;; amdgpu-corpus repo=ROCm/vllm kind=compiled arch=gfx942 opt=O3
	.text
	.amdgcn_target "amdgcn-amd-amdhsa--gfx942"
	.amdhsa_code_object_version 6
	.section	.text._Z38paged_attention_ll4mi_QKV_mfma4_kernelIDF16_DF16_LN4vllm18Fp8KVCacheDataTypeE0EhLi16ELi64ELi256ELb1ELi1EEvPKT_PKT0_S7_ifPKiS9_S9_iPKfiiiPfSC_PS2_PT2_iSB_SB_,"axG",@progbits,_Z38paged_attention_ll4mi_QKV_mfma4_kernelIDF16_DF16_LN4vllm18Fp8KVCacheDataTypeE0EhLi16ELi64ELi256ELb1ELi1EEvPKT_PKT0_S7_ifPKiS9_S9_iPKfiiiPfSC_PS2_PT2_iSB_SB_,comdat
	.protected	_Z38paged_attention_ll4mi_QKV_mfma4_kernelIDF16_DF16_LN4vllm18Fp8KVCacheDataTypeE0EhLi16ELi64ELi256ELb1ELi1EEvPKT_PKT0_S7_ifPKiS9_S9_iPKfiiiPfSC_PS2_PT2_iSB_SB_ ; -- Begin function _Z38paged_attention_ll4mi_QKV_mfma4_kernelIDF16_DF16_LN4vllm18Fp8KVCacheDataTypeE0EhLi16ELi64ELi256ELb1ELi1EEvPKT_PKT0_S7_ifPKiS9_S9_iPKfiiiPfSC_PS2_PT2_iSB_SB_
	.globl	_Z38paged_attention_ll4mi_QKV_mfma4_kernelIDF16_DF16_LN4vllm18Fp8KVCacheDataTypeE0EhLi16ELi64ELi256ELb1ELi1EEvPKT_PKT0_S7_ifPKiS9_S9_iPKfiiiPfSC_PS2_PT2_iSB_SB_
	.p2align	8
	.type	_Z38paged_attention_ll4mi_QKV_mfma4_kernelIDF16_DF16_LN4vllm18Fp8KVCacheDataTypeE0EhLi16ELi64ELi256ELb1ELi1EEvPKT_PKT0_S7_ifPKiS9_S9_iPKfiiiPfSC_PS2_PT2_iSB_SB_,@function
_Z38paged_attention_ll4mi_QKV_mfma4_kernelIDF16_DF16_LN4vllm18Fp8KVCacheDataTypeE0EhLi16ELi64ELi256ELb1ELi1EEvPKT_PKT0_S7_ifPKiS9_S9_iPKfiiiPfSC_PS2_PT2_iSB_SB_: ; @_Z38paged_attention_ll4mi_QKV_mfma4_kernelIDF16_DF16_LN4vllm18Fp8KVCacheDataTypeE0EhLi16ELi64ELi256ELb1ELi1EEvPKT_PKT0_S7_ifPKiS9_S9_iPKfiiiPfSC_PS2_PT2_iSB_SB_
; %bb.0:
	s_load_dwordx2 s[8:9], s[0:1], 0x30
	s_mov_b32 s16, s3
	s_mov_b64 s[6:7], 0
	s_waitcnt lgkmcnt(0)
	s_cmp_lg_u64 s[8:9], 0
	s_cselect_b64 s[10:11], -1, 0
	s_and_b64 vcc, exec, s[10:11]
	s_cbranch_vccz .LBB0_10
; %bb.1:
	s_add_i32 s12, s2, 1
	s_mov_b32 s13, 0
	s_lshl_b64 s[14:15], s[12:13], 2
	s_add_u32 s14, s8, s14
	s_mov_b32 s3, s13
	s_addc_u32 s15, s9, s15
	s_lshl_b64 s[12:13], s[2:3], 2
	s_add_u32 s12, s8, s12
	s_addc_u32 s13, s9, s13
	s_load_dword s5, s[14:15], 0x0
	s_load_dword s17, s[12:13], 0x0
	s_waitcnt lgkmcnt(0)
	s_sub_i32 s5, s5, s17
	s_cmp_eq_u32 s5, 1
	s_cselect_b64 s[12:13], -1, 0
	s_andn2_b64 vcc, exec, s[6:7]
	s_cbranch_vccnz .LBB0_3
.LBB0_2:
	s_mov_b32 s3, 0
	s_mov_b64 s[12:13], -1
.LBB0_3:
	s_andn2_b64 vcc, exec, s[12:13]
	s_cbranch_vccnz .LBB0_25
; %bb.4:
	s_load_dword s5, s[0:1], 0x9c
	s_load_dwordx2 s[6:7], s[0:1], 0x28
	s_add_u32 s20, s0, 0x90
	s_addc_u32 s21, s1, 0
	s_lshl_b64 s[24:25], s[2:3], 2
	s_waitcnt lgkmcnt(0)
	s_and_b32 s5, s5, 0xffff
	s_add_u32 s6, s6, s24
	s_addc_u32 s7, s7, s25
	s_load_dword s3, s[6:7], 0x0
	s_mul_i32 s5, s16, s5
	s_waitcnt lgkmcnt(0)
	s_cmp_ge_i32 s5, s3
	s_cbranch_scc1 .LBB0_25
; %bb.5:
	v_and_b32_e32 v2, 0xc0, v0
	v_add_u32_e32 v2, s5, v2
	v_lshrrev_b32_e32 v1, 6, v0
	v_cmp_gt_i32_e64 s[6:7], s3, v2
	v_cmp_le_i32_e32 vcc, s3, v2
                                        ; implicit-def: $sgpr26
                                        ; implicit-def: $sgpr17
	s_and_saveexec_b64 s[12:13], vcc
	s_xor_b64 s[12:13], exec, s[12:13]
	s_cbranch_execz .LBB0_7
; %bb.6:
	v_mul_u32_u24_e32 v2, 20, v1
	v_or_b32_e32 v2, 0xa00, v2
	v_mov_b32_e32 v3, 0xa50
	v_mov_b32_e32 v4, 0xff7fffff
	v_mad_u32_u24 v3, v1, 20, v3
	ds_write2_b32 v2, v4, v4 offset1:1
	v_mov_b32_e32 v2, 0
	ds_write2_b32 v3, v2, v2 offset1:1
	v_mov_b32_e32 v3, 0xa08
	s_mov_b32 s17, 0xff7fffff
	s_mov_b32 s26, 0
	v_mad_u32_u24 v3, v1, 20, v3
	v_mov_b32_e32 v5, 0xa58
	v_mad_u32_u24 v5, v1, 20, v5
	ds_write2_b32 v3, v4, v4 offset1:1
	ds_write2_b32 v5, v2, v2 offset1:1
                                        ; implicit-def: $vgpr2
.LBB0_7:
	s_or_saveexec_b64 s[22:23], s[12:13]
	s_load_dwordx2 s[18:19], s[0:1], 0x68
	s_load_dwordx4 s[12:15], s[0:1], 0x58
	s_load_dword s33, s[20:21], 0x4
	v_and_b32_e32 v56, 63, v0
	v_and_b32_e32 v57, 3, v0
	v_mov_b32_e32 v37, s26
	v_mov_b32_e32 v40, s17
	;; [unrolled: 1-line block ×5, first 2 shown]
                                        ; implicit-def: $vgpr3
                                        ; implicit-def: $vgpr7
                                        ; implicit-def: $vgpr11
                                        ; implicit-def: $vgpr15
                                        ; implicit-def: $vgpr19
                                        ; implicit-def: $vgpr23
                                        ; implicit-def: $vgpr27
                                        ; implicit-def: $vgpr31
	s_xor_b64 exec, exec, s[22:23]
	s_cbranch_execz .LBB0_19
; %bb.8:
	s_add_i32 s28, s3, 15
	s_ashr_i32 s29, s28, 31
	s_lshr_b32 s29, s29, 28
	v_add_u32_e32 v58, s5, v0
	s_add_i32 s28, s28, s29
	v_ashrrev_i32_e32 v3, 31, v58
	s_load_dwordx2 s[26:27], s[0:1], 0x20
	s_load_dword s17, s[0:1], 0x38
	s_ashr_i32 s28, s28, 4
	v_lshrrev_b32_e32 v3, 28, v3
	s_add_i32 s30, s28, -1
	v_add_u32_e32 v3, v58, v3
	v_ashrrev_i32_e32 v3, 4, v3
	v_mov_b32_e32 v4, s30
	v_cmp_gt_i32_e32 vcc, s3, v58
	s_waitcnt lgkmcnt(0)
	s_mul_i32 s28, s2, s17
	s_mov_b32 s29, 0
	v_cndmask_b32_e32 v4, v4, v3, vcc
	v_ashrrev_i32_e32 v3, 31, v2
	v_lshrrev_b32_e32 v3, 28, v3
	v_add_u32_e32 v2, v2, v3
	s_lshl_b64 s[28:29], s[28:29], 2
	v_ashrrev_i32_e32 v10, 4, v2
	s_add_u32 s26, s26, s28
	v_min_i32_e32 v2, s30, v10
	s_addc_u32 s27, s27, s29
	v_ashrrev_i32_e32 v3, 31, v2
	v_lshl_add_u64 v[6:7], v[2:3], 2, s[26:27]
	v_add_u32_e32 v2, 1, v10
	v_min_i32_e32 v2, s30, v2
	v_ashrrev_i32_e32 v3, 31, v2
	v_lshl_add_u64 v[8:9], v[2:3], 2, s[26:27]
	v_add_u32_e32 v2, 2, v10
	v_min_i32_e32 v2, s30, v2
	v_ashrrev_i32_e32 v3, 31, v2
	v_lshl_add_u64 v[12:13], v[2:3], 2, s[26:27]
	v_add_u32_e32 v2, 3, v10
	v_ashrrev_i32_e32 v5, 31, v4
	v_min_i32_e32 v2, s30, v2
	v_lshl_add_u64 v[4:5], v[4:5], 2, s[26:27]
	v_ashrrev_i32_e32 v3, 31, v2
	v_lshl_add_u64 v[14:15], v[2:3], 2, s[26:27]
	global_load_dword v3, v[4:5], off
	global_load_dword v2, v[6:7], off
	;; [unrolled: 1-line block ×5, first 2 shown]
	s_load_dwordx2 s[28:29], s[0:1], 0x8
	s_andn2_b64 vcc, exec, s[10:11]
	s_cbranch_vccnz .LBB0_11
; %bb.9:
	s_add_u32 s8, s8, s24
	s_addc_u32 s9, s9, s25
	s_load_dword s5, s[8:9], 0x0
	s_branch .LBB0_12
.LBB0_10:
	s_mov_b64 s[12:13], 0
	s_branch .LBB0_2
.LBB0_11:
	s_mov_b32 s5, s2
.LBB0_12:
	s_load_dwordx2 s[24:25], s[0:1], 0x10
	s_load_dwordx4 s[8:11], s[0:1], 0x48
	v_cmp_eq_u32_e32 vcc, 0, v57
	s_mov_b32 s27, 0
	v_mov_b32_e32 v55, 0
	v_mov_b32_e32 v26, 0
	v_mov_b32_e32 v27, 0
	v_mov_b32_e32 v28, 0
	v_mov_b32_e32 v29, 0
	s_and_saveexec_b64 s[30:31], vcc
	s_cbranch_execz .LBB0_14
; %bb.13:
	s_load_dwordx2 s[34:35], s[0:1], 0x0
	s_waitcnt lgkmcnt(0)
	s_ashr_i32 s11, s8, 31
	s_mul_hi_u32 s17, s5, s8
	s_mul_i32 s11, s5, s11
	s_add_i32 s37, s17, s11
	s_mul_i32 s36, s5, s8
	s_lshl_b64 s[36:37], s[36:37], 1
	s_add_u32 s5, s34, s36
	s_addc_u32 s8, s35, s37
	s_lshl_b32 s26, s4, 6
	s_lshl_b64 s[34:35], s[26:27], 1
	s_add_u32 s34, s5, s34
	s_addc_u32 s35, s8, s35
	v_lshlrev_b32_e32 v4, 2, v56
	global_load_dwordx4 v[26:29], v4, s[34:35]
.LBB0_14:
	s_or_b64 exec, exec, s[30:31]
	s_waitcnt lgkmcnt(0)
	s_mul_i32 s26, s4, s10
	s_lshl_b64 s[10:11], s[26:27], 1
	s_add_u32 s28, s10, s28
	s_waitcnt vmcnt(4)
	v_mad_i64_i32 v[4:5], s[30:31], v3, s9, 0
	s_addc_u32 s29, s11, s29
	v_and_b32_e32 v3, 15, v0
	v_lshl_add_u64 v[4:5], v[4:5], 1, s[28:29]
	v_lshlrev_b32_e32 v54, 4, v3
	v_lshl_add_u64 v[4:5], v[4:5], 0, v[54:55]
	global_load_dwordx4 v[50:53], v[4:5], off
	global_load_dwordx4 v[46:49], v[4:5], off offset:256
	global_load_dwordx4 v[22:25], v[4:5], off offset:512
	;; [unrolled: 1-line block ×7, first 2 shown]
	v_mov_b32_e32 v54, 0
	s_and_saveexec_b64 s[28:29], vcc
	s_cbranch_execz .LBB0_16
; %bb.15:
	s_load_dwordx2 s[30:31], s[0:1], 0x40
	s_mov_b32 s5, s27
	s_lshl_b64 s[26:27], s[4:5], 2
	v_mov_b32_e32 v55, 1.0
	s_waitcnt lgkmcnt(0)
	s_add_u32 s26, s30, s26
	s_addc_u32 s27, s31, s27
	s_load_dword s5, s[26:27], 0x0
	s_waitcnt lgkmcnt(0)
	v_mov_b32_e32 v54, s5
.LBB0_16:
	s_or_b64 exec, exec, s[28:29]
	s_waitcnt vmcnt(7)
	v_mfma_f32_4x4x4_16b_f16 a[0:3], v[26:27], v[50:51], 0 cbsz:4
	s_add_u32 s10, s24, s10
	v_mul_hi_i32 v3, v2, s9
	v_mfma_f32_4x4x4_16b_f16 a[0:3], v[28:29], v[52:53], a[0:3] cbsz:4
	s_addc_u32 s11, s25, s11
	v_lshlrev_b32_e32 v62, 5, v56
	s_waitcnt vmcnt(6)
	v_mfma_f32_4x4x4_16b_f16 a[0:3], v[26:27], v[46:47], a[0:3] cbsz:4 abid:1
	v_mov_b32_e32 v63, 0
	v_ashrrev_i32_e32 v3, 31, v3
	v_mfma_f32_4x4x4_16b_f16 a[0:3], v[28:29], v[48:49], a[0:3] cbsz:4 abid:1
	v_mul_hi_i32 v11, v10, s9
	v_lshl_add_u64 v[64:65], s[10:11], 0, v[62:63]
	s_waitcnt vmcnt(5)
	v_mfma_f32_4x4x4_16b_f16 a[0:3], v[26:27], v[22:23], a[0:3] cbsz:4 abid:2
	v_lshrrev_b32_e32 v62, 29, v3
	v_ashrrev_i32_e32 v11, 31, v11
	v_mfma_f32_4x4x4_16b_f16 a[0:3], v[28:29], v[24:25], a[0:3] cbsz:4 abid:2
	v_mul_hi_i32 v50, v60, s9
	v_mad_i64_i32 v[2:3], s[10:11], v2, s9, v[62:63]
	s_waitcnt vmcnt(4)
	v_mfma_f32_4x4x4_16b_f16 a[0:3], v[26:27], v[18:19], a[0:3] cbsz:4 abid:3
	v_lshrrev_b32_e32 v62, 29, v11
	v_ashrrev_i32_e32 v50, 31, v50
	v_mfma_f32_4x4x4_16b_f16 a[0:3], v[28:29], v[20:21], a[0:3] cbsz:4 abid:3
	v_mad_i64_i32 v[10:11], s[10:11], v10, s9, v[62:63]
	s_waitcnt vmcnt(3)
	v_mfma_f32_4x4x4_16b_f16 a[0:3], v[26:27], v[42:43], a[0:3] cbsz:4 abid:4
	v_mul_hi_i32 v42, v59, s9
	v_lshrrev_b32_e32 v62, 29, v50
	v_mfma_f32_4x4x4_16b_f16 a[0:3], v[28:29], v[44:45], a[0:3] cbsz:4 abid:4
	v_ashrrev_i32_e32 v42, 31, v42
	s_load_dword s0, s[0:1], 0x1c
	s_waitcnt vmcnt(2)
	v_mfma_f32_4x4x4_16b_f16 a[0:3], v[26:27], v[38:39], a[0:3] cbsz:4 abid:5
	v_mad_i64_i32 v[46:47], s[10:11], v60, s9, v[62:63]
	s_nop 0
	v_mfma_f32_4x4x4_16b_f16 a[0:3], v[28:29], v[40:41], a[0:3] cbsz:4 abid:5
	v_lshrrev_b32_e32 v62, 29, v42
	v_mad_i64_i32 v[38:39], s[8:9], v59, s9, v[62:63]
	s_waitcnt vmcnt(1)
	v_mfma_f32_4x4x4_16b_f16 a[0:3], v[26:27], v[34:35], a[0:3] cbsz:4 abid:6
	v_lshlrev_b64 v[2:3], 1, v[2:3]
	v_lshlrev_b64 v[10:11], 1, v[10:11]
	v_mfma_f32_4x4x4_16b_f16 a[0:3], v[28:29], v[36:37], a[0:3] cbsz:4 abid:6
	v_lshlrev_b64 v[22:23], 1, v[46:47]
	v_lshlrev_b64 v[34:35], 1, v[38:39]
	s_waitcnt vmcnt(0)
	v_mfma_f32_4x4x4_16b_f16 a[0:3], v[26:27], v[30:31], a[0:3] cbsz:4 abid:7
	v_and_b32_e32 v2, -16, v2
	v_and_b32_e32 v10, -16, v10
	v_mfma_f32_4x4x4_16b_f16 a[0:3], v[28:29], v[32:33], a[0:3] cbsz:4 abid:7
	v_and_b32_e32 v22, -16, v22
	v_and_b32_e32 v34, -16, v34
	v_lshl_add_u64 v[12:13], v[64:65], 0, v[2:3]
	v_lshl_add_u64 v[66:67], v[64:65], 0, v[10:11]
	;; [unrolled: 1-line block ×3, first 2 shown]
	v_accvgpr_read_b32 v27, a1
	v_lshl_add_u64 v[34:35], v[64:65], 0, v[34:35]
	v_accvgpr_read_b32 v26, a0
	global_load_dwordx4 v[2:5], v[12:13], off
	global_load_dwordx4 v[6:9], v[12:13], off offset:16
	s_nop 0
	global_load_dwordx4 v[10:13], v[66:67], off
	global_load_dwordx4 v[14:17], v[66:67], off offset:16
	global_load_dwordx4 v[18:21], v[46:47], off
	global_load_dwordx4 v[22:25], v[46:47], off offset:16
	s_waitcnt lgkmcnt(0)
	v_pk_mul_f32 v[36:37], s[0:1], v[26:27] op_sel_hi:[0,1]
	global_load_dwordx4 v[26:29], v[34:35], off
	global_load_dwordx4 v[30:33], v[34:35], off offset:16
	v_accvgpr_read_b32 v35, a3
	v_accvgpr_read_b32 v34, a2
	v_pk_mul_f32 v[34:35], s[0:1], v[34:35] op_sel_hi:[0,1]
	v_mfma_f32_4x4x1_16b_f32 a[0:3], v36, v55, 0
	v_cmp_eq_u32_e32 vcc, 1, v57
	v_mov_b32_e32 v41, 0xff7fffff
	s_nop 0
	v_cndmask_b32_e64 v36, 0, 1.0, vcc
	v_cmp_eq_u32_e32 vcc, 2, v57
	s_nop 0
	v_mfma_f32_4x4x1_16b_f32 a[0:3], v37, v36, a[0:3]
	v_cndmask_b32_e64 v36, 0, 1.0, vcc
	v_cmp_eq_u32_e32 vcc, 3, v57
	s_nop 0
	v_mfma_f32_4x4x1_16b_f32 a[0:3], v34, v36, a[0:3]
	v_cndmask_b32_e64 v34, 0, 1.0, vcc
	s_nop 1
	v_mfma_f32_4x4x1_16b_f32 a[0:3], v35, v34, a[0:3]
	v_and_b32_e32 v34, -4, v58
	v_subrev_u32_e32 v35, s3, v34
	v_add_u32_e32 v36, 1, v35
	v_cvt_f32_i32_e32 v36, v36
	v_add_u32_e32 v37, 2, v35
	v_cvt_f32_i32_e32 v37, v37
	v_accvgpr_read_b32 v38, a0
	v_fma_f32 v36, v54, v36, v38
	v_accvgpr_read_b32 v38, a1
	v_fma_f32 v37, v54, v37, v38
	v_add_u32_e32 v38, 3, v35
	v_cvt_f32_i32_e32 v38, v38
	v_add_u32_e32 v35, 4, v35
	v_max_f32_e32 v40, 0xff7fffff, v36
	v_cmp_gt_i32_e32 vcc, s3, v34
	v_cvt_f32_i32_e32 v35, v35
	v_accvgpr_read_b32 v39, a2
	v_cndmask_b32_e32 v40, v41, v40, vcc
	v_or_b32_e32 v41, 1, v34
	v_max_f32_e32 v42, v40, v37
	v_cmp_gt_i32_e64 s[0:1], s3, v41
	v_fma_f32 v38, v54, v38, v39
	v_or_b32_e32 v34, 2, v34
	v_cndmask_b32_e64 v40, v40, v42, s[0:1]
	v_accvgpr_read_b32 v39, a3
	v_max_f32_e32 v41, v40, v38
	v_cmp_gt_i32_e64 s[8:9], s3, v34
	v_fmac_f32_e32 v39, v54, v35
	v_lshlrev_b32_e32 v35, 2, v0
	v_cndmask_b32_e64 v34, v40, v41, s[8:9]
	v_or_b32_e32 v40, 3, v58
	v_max_f32_e32 v41, v34, v39
	v_cmp_gt_i32_e64 s[10:11], s3, v40
	v_and_or_b32 v35, v35, 48, v57
	s_nop 0
	v_cndmask_b32_e64 v34, v34, v41, s[10:11]
	;;#ASMSTART
	v_nop
 v_nop
 v_max_f32_dpp v34, v34, v34 row_ror:4
	;;#ASMEND
	v_lshlrev_b32_e32 v41, 2, v35
	;;#ASMSTART
	v_nop
 v_nop
 v_max_f32_dpp v34, v34, v34 row_ror:8
	;;#ASMEND
	ds_bpermute_b32 v34, v41, v34
	s_waitcnt lgkmcnt(0)
	;;#ASMSTART
	v_nop
 v_nop
 v_max_f32_dpp v34, v34, v34 row_ror:4
	;;#ASMEND
	s_nop 0
	;;#ASMSTART
	v_nop
 v_nop
 v_max_f32_dpp v40, v34, v34 row_ror:8
	;;#ASMEND
	s_nop 0
	v_sub_f32_e32 v34, v36, v40
	v_mul_f32_e32 v34, 0x3fb8aa3b, v34
	v_sub_f32_e32 v35, v37, v40
	v_exp_f32_e32 v34, v34
	v_mul_f32_e32 v35, 0x3fb8aa3b, v35
	v_sub_f32_e32 v37, v38, v40
	v_exp_f32_e32 v35, v35
	;; [unrolled: 3-line block ×3, first 2 shown]
	v_mul_f32_e32 v38, 0x3fb8aa3b, v38
	v_exp_f32_e32 v38, v38
	v_cndmask_b32_e32 v34, 0, v34, vcc
	v_add_f32_e32 v36, 0, v34
	v_cndmask_b32_e64 v35, 0, v35, s[0:1]
	v_add_f32_e32 v39, v36, v35
	v_cndmask_b32_e64 v36, 0, v37, s[8:9]
	;; [unrolled: 2-line block ×3, first 2 shown]
	v_add_f32_e32 v38, v39, v37
	;;#ASMSTART
	v_nop
 v_nop
 v_add_f32_dpp v38, v38, v38 row_ror:4
	;;#ASMEND
	v_cmp_gt_u32_e32 vcc, 4, v56
	;;#ASMSTART
	v_nop
 v_nop
 v_add_f32_dpp v38, v38, v38 row_ror:8
	;;#ASMEND
	ds_bpermute_b32 v38, v41, v38
	s_waitcnt lgkmcnt(0)
	;;#ASMSTART
	v_nop
 v_nop
 v_add_f32_dpp v38, v38, v38 row_ror:4
	;;#ASMEND
	s_nop 0
	;;#ASMSTART
	v_nop
 v_nop
 v_add_f32_dpp v38, v38, v38 row_ror:8
	;;#ASMEND
	s_and_saveexec_b64 s[0:1], vcc
	s_cbranch_execz .LBB0_18
; %bb.17:
	v_mul_u32_u24_e32 v39, 20, v1
	v_lshl_add_u32 v39, v57, 2, v39
	v_add_u32_e32 v39, 0x800, v39
	ds_write2_b32 v39, v40, v38 offset0:128 offset1:148
.LBB0_18:
	s_or_b64 exec, exec, s[0:1]
.LBB0_19:
	s_or_b64 exec, exec, s[22:23]
	s_waitcnt lgkmcnt(0)
	s_barrier
	s_load_dword s0, s[20:21], 0x8
	v_lshlrev_b32_e32 v38, 2, v57
	v_add_u32_e32 v46, 0x800, v38
	ds_read2_b32 v[38:39], v46 offset0:128 offset1:133
	ds_read2_b32 v[42:43], v46 offset0:138 offset1:143
	s_mul_i32 s1, s33, s2
	s_waitcnt lgkmcnt(0)
	s_mul_i32 s0, s1, s0
	s_mov_b32 s1, 0xff7fffff
	v_max3_f32 v41, v38, s1, v39
	v_max3_f32 v41, v41, v42, v43
	v_sub_f32_e32 v38, v38, v41
	ds_read2_b32 v[44:45], v46 offset0:148 offset1:153
	v_mul_f32_e32 v38, 0x3fb8aa3b, v38
	v_sub_f32_e32 v39, v39, v41
	v_sub_f32_e32 v42, v42, v41
	v_exp_f32_e32 v48, v38
	v_mul_f32_e32 v39, 0x3fb8aa3b, v39
	v_mul_f32_e32 v42, 0x3fb8aa3b, v42
	v_exp_f32_e32 v39, v39
	ds_read2_b32 v[46:47], v46 offset0:158 offset1:163
	v_exp_f32_e32 v49, v42
	v_sub_f32_e32 v42, v43, v41
	v_mul_f32_e32 v42, 0x3fb8aa3b, v42
	v_exp_f32_e32 v43, v42
	s_waitcnt lgkmcnt(1)
	v_fma_f32 v42, v48, v44, 0
	v_fmac_f32_e32 v42, v39, v45
	s_waitcnt lgkmcnt(0)
	v_fmac_f32_e32 v42, v49, v46
	v_mov_b32_e32 v38, 0
	v_fmac_f32_e32 v42, v43, v47
	s_mov_b32 s1, 0
	v_cmp_eq_u32_e32 vcc, 0, v57
	s_and_saveexec_b64 s[2:3], vcc
	s_cbranch_execz .LBB0_21
; %bb.20:
	s_lshl_b64 s[8:9], s[0:1], 2
	s_add_u32 s5, s12, s8
	s_mov_b32 s17, s1
	s_addc_u32 s12, s13, s9
	s_lshl_b64 s[10:11], s[16:17], 2
	s_add_u32 s5, s5, s10
	s_addc_u32 s12, s12, s11
	s_add_u32 s8, s14, s8
	s_addc_u32 s9, s15, s9
	;; [unrolled: 2-line block ×3, first 2 shown]
	s_mul_i32 s8, s33, s4
	s_mov_b32 s9, s1
	s_lshl_b64 s[8:9], s[8:9], 2
	s_add_u32 s10, s5, s8
	s_addc_u32 s11, s12, s9
	s_add_u32 s8, s13, s8
	s_addc_u32 s9, s14, s9
	global_store_dword v38, v41, s[8:9]
	global_store_dword v38, v42, s[10:11]
.LBB0_21:
	s_or_b64 exec, exec, s[2:3]
	v_mov_b32_e32 v39, 0
	s_and_saveexec_b64 s[2:3], s[6:7]
	s_cbranch_execz .LBB0_23
; %bb.22:
	v_add_f32_e32 v38, 0x358637bd, v42
	v_div_scale_f32 v39, s[6:7], v38, v38, 1.0
	v_rcp_f32_e32 v42, v39
	v_div_scale_f32 v43, vcc, 1.0, v38, 1.0
	v_sub_f32_e32 v40, v40, v41
	v_fma_f32 v44, -v39, v42, 1.0
	v_fmac_f32_e32 v42, v44, v42
	v_mul_f32_e32 v44, v43, v42
	v_fma_f32 v45, -v39, v44, v43
	v_mul_f32_e32 v40, 0x3fb8aa3b, v40
	v_fmac_f32_e32 v44, v45, v42
	v_exp_f32_e32 v40, v40
	v_fma_f32 v39, -v39, v44, v43
	v_div_fmas_f32 v39, v39, v42, v44
	v_div_fixup_f32 v38, v39, v38, 1.0
	v_mul_f32_e32 v38, v40, v38
	v_pk_mul_f32 v[36:37], v[36:37], v[38:39] op_sel_hi:[1,0]
	v_pk_mul_f32 v[34:35], v[34:35], v[38:39] op_sel_hi:[1,0]
	v_cvt_f16_f32_e32 v36, v36
	v_cvt_f16_f32_e32 v34, v34
	;; [unrolled: 1-line block ×4, first 2 shown]
	s_mov_b32 s1, 0x5040100
	v_pack_b32_f16 v34, v34, v35
	v_pack_b32_f16 v35, v36, v37
	s_waitcnt vmcnt(7)
	s_nop 0
	v_mfma_f32_4x4x4_16b_f16 a[0:3], v[34:35], v[2:3], 0 cbsz:4
	s_nop 1
	v_mfma_f32_4x4x4_16b_f16 a[0:3], v[34:35], v[4:5], a[0:3] cbsz:4 abid:1
	s_waitcnt vmcnt(6)
	s_nop 0
	v_mfma_f32_4x4x4_16b_f16 a[0:3], v[34:35], v[6:7], a[0:3] cbsz:4 abid:2
	s_nop 1
	v_mfma_f32_4x4x4_16b_f16 a[0:3], v[34:35], v[8:9], a[0:3] cbsz:4 abid:3
	s_waitcnt vmcnt(5)
	s_nop 0
	v_mfma_f32_4x4x4_16b_f16 a[0:3], v[34:35], v[10:11], a[0:3] cbsz:4 abid:4
	;; [unrolled: 5-line block ×7, first 2 shown]
	s_nop 1
	v_mfma_f32_4x4x4_16b_f16 a[0:3], v[34:35], v[32:33], a[0:3] cbsz:4 abid:15
	s_nop 4
	v_accvgpr_read_b32 v2, a0
	v_accvgpr_read_b32 v3, a1
	;; [unrolled: 1-line block ×4, first 2 shown]
	v_cvt_f16_f32_e32 v2, v2
	v_cvt_f16_f32_e32 v3, v3
	;; [unrolled: 1-line block ×4, first 2 shown]
	v_perm_b32 v38, v3, v2, s1
	v_perm_b32 v39, v5, v4, s1
.LBB0_23:
	s_or_b64 exec, exec, s[2:3]
	v_lshlrev_b32_e32 v1, 3, v1
	v_mad_u32_u24 v1, v56, 40, v1
	v_cmp_gt_u32_e32 vcc, 64, v0
	ds_write_b64 v1, v[38:39]
	s_waitcnt lgkmcnt(0)
	s_barrier
	s_and_saveexec_b64 s[2:3], vcc
	s_cbranch_execz .LBB0_25
; %bb.24:
	v_mul_u32_u24_e32 v1, 40, v56
	s_waitcnt vmcnt(7)
	ds_read2_b64 v[2:5], v1 offset1:1
	s_waitcnt vmcnt(6)
	ds_read2_b64 v[6:9], v1 offset0:2 offset1:3
	s_lshl_b32 s0, s0, 6
	s_mov_b32 s1, 0
	s_lshl_b64 s[2:3], s[0:1], 1
	s_add_u32 s2, s18, s2
	s_addc_u32 s3, s19, s3
	s_lshl_b32 s0, s16, 6
	s_lshl_b64 s[0:1], s[0:1], 1
	s_waitcnt lgkmcnt(1)
	v_pk_add_f16 v2, v2, 0
	s_add_u32 s0, s2, s0
	s_mul_i32 s2, s4, s33
	v_pk_add_f16 v2, v2, v4
	s_addc_u32 s1, s3, s1
	v_lshl_or_b32 v0, s2, 6, v0
	v_mov_b32_e32 v1, 0
	s_waitcnt lgkmcnt(0)
	v_pk_add_f16 v2, v2, v6
	v_lshl_add_u64 v[0:1], v[0:1], 1, s[0:1]
	v_pk_add_f16 v2, v2, v8
	global_store_short v[0:1], v2, off
.LBB0_25:
	s_endpgm
	.section	.rodata,"a",@progbits
	.p2align	6, 0x0
	.amdhsa_kernel _Z38paged_attention_ll4mi_QKV_mfma4_kernelIDF16_DF16_LN4vllm18Fp8KVCacheDataTypeE0EhLi16ELi64ELi256ELb1ELi1EEvPKT_PKT0_S7_ifPKiS9_S9_iPKfiiiPfSC_PS2_PT2_iSB_SB_
		.amdhsa_group_segment_fixed_size 2720
		.amdhsa_private_segment_fixed_size 0
		.amdhsa_kernarg_size 400
		.amdhsa_user_sgpr_count 2
		.amdhsa_user_sgpr_dispatch_ptr 0
		.amdhsa_user_sgpr_queue_ptr 0
		.amdhsa_user_sgpr_kernarg_segment_ptr 1
		.amdhsa_user_sgpr_dispatch_id 0
		.amdhsa_user_sgpr_kernarg_preload_length 0
		.amdhsa_user_sgpr_kernarg_preload_offset 0
		.amdhsa_user_sgpr_private_segment_size 0
		.amdhsa_uses_dynamic_stack 0
		.amdhsa_enable_private_segment 0
		.amdhsa_system_sgpr_workgroup_id_x 1
		.amdhsa_system_sgpr_workgroup_id_y 1
		.amdhsa_system_sgpr_workgroup_id_z 1
		.amdhsa_system_sgpr_workgroup_info 0
		.amdhsa_system_vgpr_workitem_id 0
		.amdhsa_next_free_vgpr 72
		.amdhsa_next_free_sgpr 38
		.amdhsa_accum_offset 68
		.amdhsa_reserve_vcc 1
		.amdhsa_float_round_mode_32 0
		.amdhsa_float_round_mode_16_64 0
		.amdhsa_float_denorm_mode_32 3
		.amdhsa_float_denorm_mode_16_64 3
		.amdhsa_dx10_clamp 1
		.amdhsa_ieee_mode 1
		.amdhsa_fp16_overflow 0
		.amdhsa_tg_split 0
		.amdhsa_exception_fp_ieee_invalid_op 0
		.amdhsa_exception_fp_denorm_src 0
		.amdhsa_exception_fp_ieee_div_zero 0
		.amdhsa_exception_fp_ieee_overflow 0
		.amdhsa_exception_fp_ieee_underflow 0
		.amdhsa_exception_fp_ieee_inexact 0
		.amdhsa_exception_int_div_zero 0
	.end_amdhsa_kernel
	.section	.text._Z38paged_attention_ll4mi_QKV_mfma4_kernelIDF16_DF16_LN4vllm18Fp8KVCacheDataTypeE0EhLi16ELi64ELi256ELb1ELi1EEvPKT_PKT0_S7_ifPKiS9_S9_iPKfiiiPfSC_PS2_PT2_iSB_SB_,"axG",@progbits,_Z38paged_attention_ll4mi_QKV_mfma4_kernelIDF16_DF16_LN4vllm18Fp8KVCacheDataTypeE0EhLi16ELi64ELi256ELb1ELi1EEvPKT_PKT0_S7_ifPKiS9_S9_iPKfiiiPfSC_PS2_PT2_iSB_SB_,comdat
.Lfunc_end0:
	.size	_Z38paged_attention_ll4mi_QKV_mfma4_kernelIDF16_DF16_LN4vllm18Fp8KVCacheDataTypeE0EhLi16ELi64ELi256ELb1ELi1EEvPKT_PKT0_S7_ifPKiS9_S9_iPKfiiiPfSC_PS2_PT2_iSB_SB_, .Lfunc_end0-_Z38paged_attention_ll4mi_QKV_mfma4_kernelIDF16_DF16_LN4vllm18Fp8KVCacheDataTypeE0EhLi16ELi64ELi256ELb1ELi1EEvPKT_PKT0_S7_ifPKiS9_S9_iPKfiiiPfSC_PS2_PT2_iSB_SB_
                                        ; -- End function
	.section	.AMDGPU.csdata,"",@progbits
; Kernel info:
; codeLenInByte = 3144
; NumSgprs: 44
; NumVgprs: 68
; NumAgprs: 4
; TotalNumVgprs: 72
; ScratchSize: 0
; MemoryBound: 0
; FloatMode: 240
; IeeeMode: 1
; LDSByteSize: 2720 bytes/workgroup (compile time only)
; SGPRBlocks: 5
; VGPRBlocks: 8
; NumSGPRsForWavesPerEU: 44
; NumVGPRsForWavesPerEU: 72
; AccumOffset: 68
; Occupancy: 7
; WaveLimiterHint : 1
; COMPUTE_PGM_RSRC2:SCRATCH_EN: 0
; COMPUTE_PGM_RSRC2:USER_SGPR: 2
; COMPUTE_PGM_RSRC2:TRAP_HANDLER: 0
; COMPUTE_PGM_RSRC2:TGID_X_EN: 1
; COMPUTE_PGM_RSRC2:TGID_Y_EN: 1
; COMPUTE_PGM_RSRC2:TGID_Z_EN: 1
; COMPUTE_PGM_RSRC2:TIDIG_COMP_CNT: 0
; COMPUTE_PGM_RSRC3_GFX90A:ACCUM_OFFSET: 16
; COMPUTE_PGM_RSRC3_GFX90A:TG_SPLIT: 0
	.section	.text._Z38paged_attention_ll4mi_QKV_mfma4_kernelIDF16_DF16_LN4vllm18Fp8KVCacheDataTypeE0EhLi16ELi64ELi256ELb1ELi2EEvPKT_PKT0_S7_ifPKiS9_S9_iPKfiiiPfSC_PS2_PT2_iSB_SB_,"axG",@progbits,_Z38paged_attention_ll4mi_QKV_mfma4_kernelIDF16_DF16_LN4vllm18Fp8KVCacheDataTypeE0EhLi16ELi64ELi256ELb1ELi2EEvPKT_PKT0_S7_ifPKiS9_S9_iPKfiiiPfSC_PS2_PT2_iSB_SB_,comdat
	.protected	_Z38paged_attention_ll4mi_QKV_mfma4_kernelIDF16_DF16_LN4vllm18Fp8KVCacheDataTypeE0EhLi16ELi64ELi256ELb1ELi2EEvPKT_PKT0_S7_ifPKiS9_S9_iPKfiiiPfSC_PS2_PT2_iSB_SB_ ; -- Begin function _Z38paged_attention_ll4mi_QKV_mfma4_kernelIDF16_DF16_LN4vllm18Fp8KVCacheDataTypeE0EhLi16ELi64ELi256ELb1ELi2EEvPKT_PKT0_S7_ifPKiS9_S9_iPKfiiiPfSC_PS2_PT2_iSB_SB_
	.globl	_Z38paged_attention_ll4mi_QKV_mfma4_kernelIDF16_DF16_LN4vllm18Fp8KVCacheDataTypeE0EhLi16ELi64ELi256ELb1ELi2EEvPKT_PKT0_S7_ifPKiS9_S9_iPKfiiiPfSC_PS2_PT2_iSB_SB_
	.p2align	8
	.type	_Z38paged_attention_ll4mi_QKV_mfma4_kernelIDF16_DF16_LN4vllm18Fp8KVCacheDataTypeE0EhLi16ELi64ELi256ELb1ELi2EEvPKT_PKT0_S7_ifPKiS9_S9_iPKfiiiPfSC_PS2_PT2_iSB_SB_,@function
_Z38paged_attention_ll4mi_QKV_mfma4_kernelIDF16_DF16_LN4vllm18Fp8KVCacheDataTypeE0EhLi16ELi64ELi256ELb1ELi2EEvPKT_PKT0_S7_ifPKiS9_S9_iPKfiiiPfSC_PS2_PT2_iSB_SB_: ; @_Z38paged_attention_ll4mi_QKV_mfma4_kernelIDF16_DF16_LN4vllm18Fp8KVCacheDataTypeE0EhLi16ELi64ELi256ELb1ELi2EEvPKT_PKT0_S7_ifPKiS9_S9_iPKfiiiPfSC_PS2_PT2_iSB_SB_
; %bb.0:
	s_load_dwordx2 s[8:9], s[0:1], 0x30
	s_mov_b32 s16, s3
	s_mov_b64 s[6:7], 0
	s_waitcnt lgkmcnt(0)
	s_cmp_lg_u64 s[8:9], 0
	s_cselect_b64 s[10:11], -1, 0
	s_and_b64 vcc, exec, s[10:11]
	s_cbranch_vccz .LBB1_10
; %bb.1:
	s_add_i32 s12, s2, 1
	s_mov_b32 s13, 0
	s_lshl_b64 s[14:15], s[12:13], 2
	s_add_u32 s14, s8, s14
	s_mov_b32 s3, s13
	s_addc_u32 s15, s9, s15
	s_lshl_b64 s[12:13], s[2:3], 2
	s_add_u32 s12, s8, s12
	s_addc_u32 s13, s9, s13
	s_load_dword s5, s[14:15], 0x0
	s_load_dword s17, s[12:13], 0x0
	s_waitcnt lgkmcnt(0)
	s_sub_i32 s5, s5, s17
	s_cmp_eq_u32 s5, 1
	s_cselect_b64 s[12:13], -1, 0
	s_andn2_b64 vcc, exec, s[6:7]
	s_cbranch_vccnz .LBB1_3
.LBB1_2:
	s_mov_b32 s3, 0
	s_mov_b64 s[12:13], -1
.LBB1_3:
	s_andn2_b64 vcc, exec, s[12:13]
	s_cbranch_vccnz .LBB1_25
; %bb.4:
	s_load_dword s5, s[0:1], 0x9c
	s_load_dwordx2 s[6:7], s[0:1], 0x28
	s_add_u32 s20, s0, 0x90
	s_addc_u32 s21, s1, 0
	s_lshl_b64 s[24:25], s[2:3], 2
	s_waitcnt lgkmcnt(0)
	s_and_b32 s5, s5, 0xffff
	s_add_u32 s6, s6, s24
	s_addc_u32 s7, s7, s25
	s_load_dword s3, s[6:7], 0x0
	s_mul_i32 s5, s16, s5
	s_waitcnt lgkmcnt(0)
	s_cmp_ge_i32 s5, s3
	s_cbranch_scc1 .LBB1_25
; %bb.5:
	v_and_b32_e32 v2, 0xc0, v0
	v_add_u32_e32 v2, s5, v2
	v_lshrrev_b32_e32 v1, 6, v0
	v_cmp_gt_i32_e64 s[6:7], s3, v2
	v_cmp_le_i32_e32 vcc, s3, v2
                                        ; implicit-def: $sgpr26
                                        ; implicit-def: $sgpr17
	s_and_saveexec_b64 s[12:13], vcc
	s_xor_b64 s[12:13], exec, s[12:13]
	s_cbranch_execz .LBB1_7
; %bb.6:
	v_mul_u32_u24_e32 v2, 20, v1
	v_or_b32_e32 v2, 0xa00, v2
	v_mov_b32_e32 v3, 0xa50
	v_mov_b32_e32 v4, 0xff7fffff
	v_mad_u32_u24 v3, v1, 20, v3
	ds_write2_b32 v2, v4, v4 offset1:1
	v_mov_b32_e32 v2, 0
	ds_write2_b32 v3, v2, v2 offset1:1
	v_mov_b32_e32 v3, 0xa08
	s_mov_b32 s17, 0xff7fffff
	s_mov_b32 s26, 0
	v_mad_u32_u24 v3, v1, 20, v3
	v_mov_b32_e32 v5, 0xa58
	v_mad_u32_u24 v5, v1, 20, v5
	ds_write2_b32 v3, v4, v4 offset1:1
	ds_write2_b32 v5, v2, v2 offset1:1
                                        ; implicit-def: $vgpr2
.LBB1_7:
	s_or_saveexec_b64 s[22:23], s[12:13]
	s_load_dwordx2 s[18:19], s[0:1], 0x68
	s_load_dwordx4 s[12:15], s[0:1], 0x58
	s_load_dword s33, s[20:21], 0x4
	v_and_b32_e32 v56, 63, v0
	v_and_b32_e32 v57, 3, v0
	s_lshl_b32 s34, s4, 1
	v_mov_b32_e32 v37, s26
	v_mov_b32_e32 v40, s17
	;; [unrolled: 1-line block ×5, first 2 shown]
                                        ; implicit-def: $vgpr3
                                        ; implicit-def: $vgpr7
                                        ; implicit-def: $vgpr11
                                        ; implicit-def: $vgpr15
                                        ; implicit-def: $vgpr19
                                        ; implicit-def: $vgpr23
                                        ; implicit-def: $vgpr27
                                        ; implicit-def: $vgpr31
	s_xor_b64 exec, exec, s[22:23]
	s_cbranch_execz .LBB1_19
; %bb.8:
	s_add_i32 s28, s3, 15
	s_load_dwordx2 s[26:27], s[0:1], 0x20
	s_load_dword s17, s[0:1], 0x38
	s_ashr_i32 s29, s28, 31
	s_lshr_b32 s29, s29, 28
	v_add_u32_e32 v58, s5, v0
	s_add_i32 s28, s28, s29
	v_ashrrev_i32_e32 v3, 31, v58
	s_ashr_i32 s28, s28, 4
	v_lshrrev_b32_e32 v3, 28, v3
	s_add_i32 s30, s28, -1
	v_add_u32_e32 v3, v58, v3
	s_waitcnt lgkmcnt(0)
	s_mul_i32 s28, s2, s17
	s_mov_b32 s29, 0
	v_ashrrev_i32_e32 v3, 4, v3
	v_mov_b32_e32 v4, s30
	v_cmp_gt_i32_e32 vcc, s3, v58
	s_lshl_b64 s[28:29], s[28:29], 2
	s_add_u32 s26, s26, s28
	v_cndmask_b32_e32 v4, v4, v3, vcc
	v_ashrrev_i32_e32 v3, 31, v2
	v_lshrrev_b32_e32 v3, 28, v3
	s_addc_u32 s27, s27, s29
	v_ashrrev_i32_e32 v5, 31, v4
	v_add_u32_e32 v2, v2, v3
	v_lshl_add_u64 v[6:7], v[4:5], 2, s[26:27]
	v_ashrrev_i32_e32 v4, 4, v2
	v_min_i32_e32 v2, s30, v4
	v_ashrrev_i32_e32 v3, 31, v2
	v_lshl_add_u64 v[8:9], v[2:3], 2, s[26:27]
	v_add_u32_e32 v2, 1, v4
	v_min_i32_e32 v2, s30, v2
	v_ashrrev_i32_e32 v3, 31, v2
	v_lshl_add_u64 v[12:13], v[2:3], 2, s[26:27]
	v_add_u32_e32 v2, 2, v4
	;; [unrolled: 4-line block ×3, first 2 shown]
	v_min_i32_e32 v2, s30, v2
	v_ashrrev_i32_e32 v3, 31, v2
	v_lshl_add_u64 v[16:17], v[2:3], 2, s[26:27]
	global_load_dword v2, v[6:7], off
	global_load_dword v4, v[8:9], off
	;; [unrolled: 1-line block ×5, first 2 shown]
	s_load_dwordx2 s[26:27], s[0:1], 0x8
	s_andn2_b64 vcc, exec, s[10:11]
	s_cbranch_vccnz .LBB1_11
; %bb.9:
	s_add_u32 s8, s8, s24
	s_addc_u32 s9, s9, s25
	s_load_dword s5, s[8:9], 0x0
	s_branch .LBB1_12
.LBB1_10:
	s_mov_b64 s[12:13], 0
	s_branch .LBB1_2
.LBB1_11:
	s_mov_b32 s5, s2
.LBB1_12:
	s_load_dwordx2 s[24:25], s[0:1], 0x10
	s_load_dwordx4 s[8:11], s[0:1], 0x48
	v_cmp_gt_u32_e32 vcc, 2, v57
	s_mov_b32 s29, 0
	v_mov_b32_e32 v3, 0
	v_mov_b32_e32 v32, 0
	;; [unrolled: 1-line block ×5, first 2 shown]
	s_and_saveexec_b64 s[30:31], vcc
	s_cbranch_execz .LBB1_14
; %bb.13:
	s_load_dwordx2 s[36:37], s[0:1], 0x0
	s_waitcnt lgkmcnt(0)
	s_ashr_i32 s11, s8, 31
	s_mul_hi_u32 s17, s5, s8
	s_mul_i32 s11, s5, s11
	s_add_i32 s39, s17, s11
	s_mul_i32 s38, s5, s8
	s_lshl_b64 s[38:39], s[38:39], 1
	s_add_u32 s5, s36, s38
	s_addc_u32 s8, s37, s39
	s_lshl_b32 s28, s4, 7
	s_lshl_b64 s[36:37], s[28:29], 1
	s_add_u32 s36, s5, s36
	v_lshlrev_b32_e32 v5, 3, v57
	v_lshrrev_b32_e32 v6, 2, v56
	s_addc_u32 s37, s8, s37
	v_add_lshl_u32 v5, v5, v6, 4
	global_load_dwordx4 v[32:35], v5, s[36:37]
.LBB1_14:
	s_or_b64 exec, exec, s[30:31]
	s_waitcnt lgkmcnt(0)
	s_mul_i32 s28, s4, s10
	s_lshl_b64 s[4:5], s[28:29], 1
	s_add_u32 s10, s4, s26
	s_waitcnt vmcnt(4)
	v_mad_i64_i32 v[6:7], s[30:31], v2, s9, 0
	s_addc_u32 s11, s5, s27
	v_and_b32_e32 v2, 15, v0
	v_lshl_add_u64 v[6:7], v[6:7], 1, s[10:11]
	v_lshlrev_b32_e32 v2, 4, v2
	v_lshl_add_u64 v[6:7], v[6:7], 0, v[2:3]
	global_load_dwordx4 v[52:55], v[6:7], off
	global_load_dwordx4 v[22:25], v[6:7], off offset:256
	global_load_dwordx4 v[18:21], v[6:7], off offset:512
	;; [unrolled: 1-line block ×7, first 2 shown]
	v_mov_b32_e32 v59, 0
	s_and_saveexec_b64 s[10:11], vcc
	s_cbranch_execz .LBB1_16
; %bb.15:
	s_load_dwordx2 s[26:27], s[0:1], 0x40
	v_or_b32_e32 v6, s34, v57
	v_mov_b32_e32 v7, 0
	s_waitcnt lgkmcnt(0)
	v_lshl_add_u64 v[6:7], v[6:7], 2, s[26:27]
	global_load_dword v59, v[6:7], off
.LBB1_16:
	s_or_b64 exec, exec, s[10:11]
	s_waitcnt vmcnt(7)
	v_mfma_f32_4x4x4_16b_f16 a[0:3], v[32:33], v[52:53], 0 cbsz:4
	s_add_u32 s4, s24, s4
	s_addc_u32 s5, s25, s5
	v_mfma_f32_4x4x4_16b_f16 a[0:3], v[34:35], v[54:55], a[0:3] cbsz:4
	v_lshlrev_b32_e32 v2, 5, v56
	v_lshl_add_u64 v[60:61], s[4:5], 0, v[2:3]
	s_waitcnt vmcnt(6)
	v_mfma_f32_4x4x4_16b_f16 a[0:3], v[32:33], v[22:23], a[0:3] cbsz:4 abid:1
	v_mul_hi_i32 v2, v4, s9
	v_ashrrev_i32_e32 v2, 31, v2
	v_mfma_f32_4x4x4_16b_f16 a[0:3], v[34:35], v[24:25], a[0:3] cbsz:4 abid:1
	v_mul_hi_i32 v11, v10, s9
	v_lshrrev_b32_e32 v62, 29, v2
	s_waitcnt vmcnt(5)
	v_mfma_f32_4x4x4_16b_f16 a[0:3], v[32:33], v[18:19], a[0:3] cbsz:4 abid:2
	v_mov_b32_e32 v63, 0
	v_ashrrev_i32_e32 v11, 31, v11
	v_mfma_f32_4x4x4_16b_f16 a[0:3], v[34:35], v[20:21], a[0:3] cbsz:4 abid:2
	v_mad_i64_i32 v[2:3], s[4:5], v4, s9, v[62:63]
	s_waitcnt vmcnt(4)
	v_mfma_f32_4x4x4_16b_f16 a[0:3], v[32:33], v[48:49], a[0:3] cbsz:4 abid:3
	v_lshrrev_b32_e32 v62, 29, v11
	v_mad_i64_i32 v[10:11], s[4:5], v10, s9, v[62:63]
	v_mfma_f32_4x4x4_16b_f16 a[0:3], v[34:35], v[50:51], a[0:3] cbsz:4 abid:3
	v_mul_hi_i32 v62, v31, s9
	v_ashrrev_i32_e32 v52, 31, v62
	s_waitcnt vmcnt(3)
	v_mfma_f32_4x4x4_16b_f16 a[0:3], v[32:33], v[44:45], a[0:3] cbsz:4 abid:4
	v_lshrrev_b32_e32 v62, 29, v52
	v_mad_i64_i32 v[22:23], s[4:5], v31, s9, v[62:63]
	v_mfma_f32_4x4x4_16b_f16 a[0:3], v[34:35], v[46:47], a[0:3] cbsz:4 abid:4
	v_mul_hi_i32 v31, v30, s9
	v_ashrrev_i32_e32 v31, 31, v31
	s_waitcnt vmcnt(2)
	v_mfma_f32_4x4x4_16b_f16 a[0:3], v[32:33], v[40:41], a[0:3] cbsz:4 abid:5
	v_lshrrev_b32_e32 v62, 29, v31
	v_mad_i64_i32 v[30:31], s[4:5], v30, s9, v[62:63]
	v_mfma_f32_4x4x4_16b_f16 a[0:3], v[34:35], v[42:43], a[0:3] cbsz:4 abid:5
	v_lshlrev_b64 v[2:3], 1, v[2:3]
	v_lshlrev_b64 v[10:11], 1, v[10:11]
	s_waitcnt vmcnt(1)
	v_mfma_f32_4x4x4_16b_f16 a[0:3], v[32:33], v[26:27], a[0:3] cbsz:4 abid:6
	v_lshlrev_b64 v[22:23], 1, v[22:23]
	v_lshlrev_b64 v[30:31], 1, v[30:31]
	v_and_b32_e32 v2, -16, v2
	v_and_b32_e32 v10, -16, v10
	;; [unrolled: 1-line block ×4, first 2 shown]
	v_mfma_f32_4x4x4_16b_f16 a[0:3], v[34:35], v[28:29], a[0:3] cbsz:4 abid:6
	v_lshl_add_u64 v[12:13], v[60:61], 0, v[2:3]
	v_lshl_add_u64 v[64:65], v[60:61], 0, v[10:11]
	;; [unrolled: 1-line block ×4, first 2 shown]
	global_load_dwordx4 v[2:5], v[12:13], off
	global_load_dwordx4 v[6:9], v[12:13], off offset:16
	s_nop 0
	global_load_dwordx4 v[10:13], v[64:65], off
	global_load_dwordx4 v[14:17], v[64:65], off offset:16
	global_load_dwordx4 v[18:21], v[52:53], off
	global_load_dwordx4 v[22:25], v[52:53], off offset:16
	s_waitcnt vmcnt(6)
	v_mfma_f32_4x4x4_16b_f16 a[0:3], v[32:33], v[36:37], a[0:3] cbsz:4 abid:7
	global_load_dwordx4 v[26:29], v[40:41], off
	global_load_dwordx4 v[30:33], v[40:41], off offset:16
	s_load_dword s0, s[0:1], 0x1c
	v_mfma_f32_4x4x4_16b_f16 a[0:3], v[34:35], v[38:39], a[0:3] cbsz:4 abid:7
	v_cmp_eq_u32_e32 vcc, 0, v57
	v_mov_b32_e32 v41, 0xff7fffff
	s_nop 0
	v_cndmask_b32_e64 v38, 0, 1.0, vcc
	v_cmp_eq_u32_e32 vcc, 1, v57
	v_accvgpr_read_b32 v37, a1
	v_accvgpr_read_b32 v36, a0
	s_waitcnt lgkmcnt(0)
	v_pk_mul_f32 v[36:37], s[0:1], v[36:37] op_sel_hi:[0,1]
	v_accvgpr_read_b32 v35, a3
	v_accvgpr_read_b32 v34, a2
	v_pk_mul_f32 v[34:35], s[0:1], v[34:35] op_sel_hi:[0,1]
	v_mfma_f32_4x4x1_16b_f32 a[0:3], v36, v38, 0
	v_cndmask_b32_e64 v36, 0, 1.0, vcc
	v_cmp_eq_u32_e32 vcc, 2, v57
	s_nop 0
	v_mfma_f32_4x4x1_16b_f32 a[0:3], v37, v36, a[0:3]
	v_cndmask_b32_e64 v36, 0, 1.0, vcc
	v_cmp_eq_u32_e32 vcc, 3, v57
	s_nop 0
	v_mfma_f32_4x4x1_16b_f32 a[0:3], v34, v36, a[0:3]
	v_cndmask_b32_e64 v34, 0, 1.0, vcc
	s_nop 1
	v_mfma_f32_4x4x1_16b_f32 a[0:3], v35, v34, a[0:3]
	v_and_b32_e32 v34, -4, v58
	v_subrev_u32_e32 v35, s3, v34
	v_add_u32_e32 v36, 1, v35
	v_cvt_f32_i32_e32 v36, v36
	v_add_u32_e32 v37, 2, v35
	v_cvt_f32_i32_e32 v37, v37
	v_accvgpr_read_b32 v38, a0
	v_fma_f32 v36, v59, v36, v38
	v_accvgpr_read_b32 v38, a1
	v_fma_f32 v37, v59, v37, v38
	v_add_u32_e32 v38, 3, v35
	v_cvt_f32_i32_e32 v38, v38
	v_add_u32_e32 v35, 4, v35
	v_max_f32_e32 v40, 0xff7fffff, v36
	v_cmp_gt_i32_e32 vcc, s3, v34
	v_cvt_f32_i32_e32 v35, v35
	v_accvgpr_read_b32 v39, a2
	v_cndmask_b32_e32 v40, v41, v40, vcc
	v_or_b32_e32 v41, 1, v34
	v_max_f32_e32 v42, v40, v37
	v_cmp_gt_i32_e64 s[0:1], s3, v41
	v_fma_f32 v38, v59, v38, v39
	v_or_b32_e32 v34, 2, v34
	v_cndmask_b32_e64 v40, v40, v42, s[0:1]
	v_accvgpr_read_b32 v39, a3
	v_max_f32_e32 v41, v40, v38
	v_cmp_gt_i32_e64 s[4:5], s3, v34
	v_fmac_f32_e32 v39, v59, v35
	v_lshlrev_b32_e32 v35, 2, v0
	v_cndmask_b32_e64 v34, v40, v41, s[4:5]
	v_or_b32_e32 v40, 3, v58
	v_max_f32_e32 v41, v34, v39
	v_cmp_gt_i32_e64 s[8:9], s3, v40
	v_and_or_b32 v35, v35, 48, v57
	s_nop 0
	v_cndmask_b32_e64 v34, v34, v41, s[8:9]
	;;#ASMSTART
	v_nop
 v_nop
 v_max_f32_dpp v34, v34, v34 row_ror:4
	;;#ASMEND
	v_lshlrev_b32_e32 v41, 2, v35
	;;#ASMSTART
	v_nop
 v_nop
 v_max_f32_dpp v34, v34, v34 row_ror:8
	;;#ASMEND
	ds_bpermute_b32 v34, v41, v34
	s_waitcnt lgkmcnt(0)
	;;#ASMSTART
	v_nop
 v_nop
 v_max_f32_dpp v34, v34, v34 row_ror:4
	;;#ASMEND
	s_nop 0
	;;#ASMSTART
	v_nop
 v_nop
 v_max_f32_dpp v40, v34, v34 row_ror:8
	;;#ASMEND
	s_nop 0
	v_sub_f32_e32 v34, v36, v40
	v_mul_f32_e32 v34, 0x3fb8aa3b, v34
	v_sub_f32_e32 v35, v37, v40
	v_exp_f32_e32 v34, v34
	v_mul_f32_e32 v35, 0x3fb8aa3b, v35
	v_sub_f32_e32 v37, v38, v40
	v_exp_f32_e32 v35, v35
	;; [unrolled: 3-line block ×3, first 2 shown]
	v_mul_f32_e32 v38, 0x3fb8aa3b, v38
	v_exp_f32_e32 v38, v38
	v_cndmask_b32_e32 v34, 0, v34, vcc
	v_add_f32_e32 v36, 0, v34
	v_cndmask_b32_e64 v35, 0, v35, s[0:1]
	v_add_f32_e32 v39, v36, v35
	v_cndmask_b32_e64 v36, 0, v37, s[4:5]
	;; [unrolled: 2-line block ×3, first 2 shown]
	v_add_f32_e32 v38, v39, v37
	;;#ASMSTART
	v_nop
 v_nop
 v_add_f32_dpp v38, v38, v38 row_ror:4
	;;#ASMEND
	v_cmp_gt_u32_e32 vcc, 4, v56
	;;#ASMSTART
	v_nop
 v_nop
 v_add_f32_dpp v38, v38, v38 row_ror:8
	;;#ASMEND
	ds_bpermute_b32 v38, v41, v38
	s_waitcnt lgkmcnt(0)
	;;#ASMSTART
	v_nop
 v_nop
 v_add_f32_dpp v38, v38, v38 row_ror:4
	;;#ASMEND
	s_nop 0
	;;#ASMSTART
	v_nop
 v_nop
 v_add_f32_dpp v38, v38, v38 row_ror:8
	;;#ASMEND
	s_and_saveexec_b64 s[0:1], vcc
	s_cbranch_execz .LBB1_18
; %bb.17:
	v_mul_u32_u24_e32 v39, 20, v1
	v_lshl_add_u32 v39, v57, 2, v39
	v_add_u32_e32 v39, 0x800, v39
	ds_write2_b32 v39, v40, v38 offset0:128 offset1:148
.LBB1_18:
	s_or_b64 exec, exec, s[0:1]
.LBB1_19:
	s_or_b64 exec, exec, s[22:23]
	s_waitcnt lgkmcnt(0)
	s_barrier
	s_load_dword s0, s[20:21], 0x8
	v_lshlrev_b32_e32 v38, 2, v57
	v_add_u32_e32 v46, 0x800, v38
	ds_read2_b32 v[38:39], v46 offset0:128 offset1:133
	ds_read2_b32 v[42:43], v46 offset0:138 offset1:143
	s_mul_i32 s1, s2, s33
	s_waitcnt lgkmcnt(0)
	s_mul_i32 s1, s1, s0
	s_lshl_b32 s0, s1, 1
	s_mov_b32 s1, 0xff7fffff
	v_max3_f32 v41, v38, s1, v39
	v_max3_f32 v41, v41, v42, v43
	v_sub_f32_e32 v38, v38, v41
	v_mul_f32_e32 v38, 0x3fb8aa3b, v38
	ds_read2_b32 v[44:45], v46 offset0:148 offset1:153
	v_exp_f32_e32 v47, v38
	v_sub_f32_e32 v38, v39, v41
	v_sub_f32_e32 v42, v42, v41
	v_mul_f32_e32 v38, 0x3fb8aa3b, v38
	v_mul_f32_e32 v42, 0x3fb8aa3b, v42
	v_exp_f32_e32 v48, v38
	ds_read2_b32 v[38:39], v46 offset0:158 offset1:163
	v_exp_f32_e32 v46, v42
	v_sub_f32_e32 v42, v43, v41
	v_mul_f32_e32 v42, 0x3fb8aa3b, v42
	v_exp_f32_e32 v43, v42
	s_waitcnt lgkmcnt(1)
	v_fma_f32 v42, v47, v44, 0
	v_fmac_f32_e32 v42, v48, v45
	s_waitcnt lgkmcnt(0)
	v_fmac_f32_e32 v42, v46, v38
	v_fmac_f32_e32 v42, v43, v39
	v_cmp_gt_u32_e32 vcc, 2, v57
	s_and_saveexec_b64 s[2:3], vcc
	s_cbranch_execz .LBB1_21
; %bb.20:
	s_mov_b32 s1, 0
	s_lshl_b64 s[4:5], s[0:1], 2
	s_add_u32 s10, s12, s4
	s_mov_b32 s17, s1
	s_addc_u32 s11, s13, s5
	s_lshl_b64 s[8:9], s[16:17], 2
	s_add_u32 s10, s10, s8
	s_addc_u32 s11, s11, s9
	s_add_u32 s1, s14, s4
	s_addc_u32 s5, s15, s5
	v_or_b32_e32 v38, s34, v57
	s_add_u32 s4, s1, s8
	v_mul_lo_u32 v38, s33, v38
	v_mov_b32_e32 v39, 0
	s_addc_u32 s5, s5, s9
	v_lshlrev_b64 v[38:39], 2, v[38:39]
	v_lshl_add_u64 v[44:45], s[10:11], 0, v[38:39]
	v_lshl_add_u64 v[38:39], s[4:5], 0, v[38:39]
	global_store_dword v[38:39], v41, off
	global_store_dword v[44:45], v42, off
.LBB1_21:
	s_or_b64 exec, exec, s[2:3]
	v_mov_b32_e32 v38, 0
	v_mov_b32_e32 v39, 0
	s_and_saveexec_b64 s[2:3], s[6:7]
	s_cbranch_execz .LBB1_23
; %bb.22:
	v_add_f32_e32 v38, 0x358637bd, v42
	v_div_scale_f32 v39, s[4:5], v38, v38, 1.0
	v_rcp_f32_e32 v42, v39
	v_div_scale_f32 v43, vcc, 1.0, v38, 1.0
	v_sub_f32_e32 v40, v40, v41
	v_fma_f32 v44, -v39, v42, 1.0
	v_fmac_f32_e32 v42, v44, v42
	v_mul_f32_e32 v44, v43, v42
	v_fma_f32 v45, -v39, v44, v43
	v_mul_f32_e32 v40, 0x3fb8aa3b, v40
	v_fmac_f32_e32 v44, v45, v42
	v_exp_f32_e32 v40, v40
	v_fma_f32 v39, -v39, v44, v43
	v_div_fmas_f32 v39, v39, v42, v44
	v_div_fixup_f32 v38, v39, v38, 1.0
	v_mul_f32_e32 v38, v40, v38
	v_pk_mul_f32 v[36:37], v[36:37], v[38:39] op_sel_hi:[1,0]
	v_pk_mul_f32 v[34:35], v[34:35], v[38:39] op_sel_hi:[1,0]
	v_cvt_f16_f32_e32 v36, v36
	v_cvt_f16_f32_e32 v34, v34
	;; [unrolled: 1-line block ×4, first 2 shown]
	s_mov_b32 s1, 0x5040100
	v_pack_b32_f16 v34, v34, v35
	v_pack_b32_f16 v35, v36, v37
	s_waitcnt vmcnt(7)
	s_nop 0
	v_mfma_f32_4x4x4_16b_f16 a[0:3], v[34:35], v[2:3], 0 cbsz:4
	s_nop 1
	v_mfma_f32_4x4x4_16b_f16 a[0:3], v[34:35], v[4:5], a[0:3] cbsz:4 abid:1
	s_waitcnt vmcnt(6)
	s_nop 0
	v_mfma_f32_4x4x4_16b_f16 a[0:3], v[34:35], v[6:7], a[0:3] cbsz:4 abid:2
	s_nop 1
	v_mfma_f32_4x4x4_16b_f16 a[0:3], v[34:35], v[8:9], a[0:3] cbsz:4 abid:3
	s_waitcnt vmcnt(5)
	s_nop 0
	v_mfma_f32_4x4x4_16b_f16 a[0:3], v[34:35], v[10:11], a[0:3] cbsz:4 abid:4
	;; [unrolled: 5-line block ×7, first 2 shown]
	s_nop 1
	v_mfma_f32_4x4x4_16b_f16 a[0:3], v[34:35], v[32:33], a[0:3] cbsz:4 abid:15
	s_nop 4
	v_accvgpr_read_b32 v2, a0
	v_accvgpr_read_b32 v3, a1
	;; [unrolled: 1-line block ×4, first 2 shown]
	v_cvt_f16_f32_e32 v2, v2
	v_cvt_f16_f32_e32 v3, v3
	v_cvt_f16_f32_e32 v4, v4
	v_cvt_f16_f32_e32 v5, v5
	v_perm_b32 v38, v3, v2, s1
	v_perm_b32 v39, v5, v4, s1
.LBB1_23:
	s_or_b64 exec, exec, s[2:3]
	v_lshlrev_b32_e32 v1, 3, v1
	v_mad_u32_u24 v1, v56, 40, v1
	v_cmp_gt_u32_e32 vcc, 64, v0
	ds_write_b64 v1, v[38:39]
	s_waitcnt lgkmcnt(0)
	s_barrier
	s_and_saveexec_b64 s[2:3], vcc
	s_cbranch_execz .LBB1_25
; %bb.24:
	s_mov_b32 s1, 0
	s_lshl_b32 s0, s0, 6
	v_mul_u32_u24_e32 v1, 40, v56
	s_lshl_b64 s[2:3], s[0:1], 1
	s_waitcnt vmcnt(7)
	ds_read2_b64 v[2:5], v1 offset1:1
	s_waitcnt vmcnt(6)
	ds_read2_b64 v[6:9], v1 offset0:2 offset1:3
	s_add_u32 s2, s18, s2
	s_addc_u32 s3, s19, s3
	s_lshl_b32 s0, s16, 6
	s_lshl_b64 s[0:1], s[0:1], 1
	s_add_u32 s0, s2, s0
	s_addc_u32 s1, s3, s1
	s_lshl_b32 s2, s33, 6
	s_waitcnt lgkmcnt(1)
	v_pk_add_f16 v1, v2, 0
	s_mul_i32 s3, s2, s34
	v_pk_add_f16 v1, v1, v4
	v_or_b32_e32 v2, s3, v0
	v_mov_b32_e32 v3, 0
	s_add_i32 s3, s3, s2
	s_waitcnt lgkmcnt(0)
	v_pk_add_f16 v1, v1, v6
	v_lshl_add_u64 v[4:5], v[2:3], 1, s[0:1]
	v_or_b32_e32 v2, s3, v0
	v_pk_add_f16 v6, v1, v8
	v_lshl_add_u64 v[0:1], v[2:3], 1, s[0:1]
	global_store_short v[4:5], v6, off
	global_store_short_d16_hi v[0:1], v6, off
.LBB1_25:
	s_endpgm
	.section	.rodata,"a",@progbits
	.p2align	6, 0x0
	.amdhsa_kernel _Z38paged_attention_ll4mi_QKV_mfma4_kernelIDF16_DF16_LN4vllm18Fp8KVCacheDataTypeE0EhLi16ELi64ELi256ELb1ELi2EEvPKT_PKT0_S7_ifPKiS9_S9_iPKfiiiPfSC_PS2_PT2_iSB_SB_
		.amdhsa_group_segment_fixed_size 2720
		.amdhsa_private_segment_fixed_size 0
		.amdhsa_kernarg_size 400
		.amdhsa_user_sgpr_count 2
		.amdhsa_user_sgpr_dispatch_ptr 0
		.amdhsa_user_sgpr_queue_ptr 0
		.amdhsa_user_sgpr_kernarg_segment_ptr 1
		.amdhsa_user_sgpr_dispatch_id 0
		.amdhsa_user_sgpr_kernarg_preload_length 0
		.amdhsa_user_sgpr_kernarg_preload_offset 0
		.amdhsa_user_sgpr_private_segment_size 0
		.amdhsa_uses_dynamic_stack 0
		.amdhsa_enable_private_segment 0
		.amdhsa_system_sgpr_workgroup_id_x 1
		.amdhsa_system_sgpr_workgroup_id_y 1
		.amdhsa_system_sgpr_workgroup_id_z 1
		.amdhsa_system_sgpr_workgroup_info 0
		.amdhsa_system_vgpr_workitem_id 0
		.amdhsa_next_free_vgpr 72
		.amdhsa_next_free_sgpr 40
		.amdhsa_accum_offset 68
		.amdhsa_reserve_vcc 1
		.amdhsa_float_round_mode_32 0
		.amdhsa_float_round_mode_16_64 0
		.amdhsa_float_denorm_mode_32 3
		.amdhsa_float_denorm_mode_16_64 3
		.amdhsa_dx10_clamp 1
		.amdhsa_ieee_mode 1
		.amdhsa_fp16_overflow 0
		.amdhsa_tg_split 0
		.amdhsa_exception_fp_ieee_invalid_op 0
		.amdhsa_exception_fp_denorm_src 0
		.amdhsa_exception_fp_ieee_div_zero 0
		.amdhsa_exception_fp_ieee_overflow 0
		.amdhsa_exception_fp_ieee_underflow 0
		.amdhsa_exception_fp_ieee_inexact 0
		.amdhsa_exception_int_div_zero 0
	.end_amdhsa_kernel
	.section	.text._Z38paged_attention_ll4mi_QKV_mfma4_kernelIDF16_DF16_LN4vllm18Fp8KVCacheDataTypeE0EhLi16ELi64ELi256ELb1ELi2EEvPKT_PKT0_S7_ifPKiS9_S9_iPKfiiiPfSC_PS2_PT2_iSB_SB_,"axG",@progbits,_Z38paged_attention_ll4mi_QKV_mfma4_kernelIDF16_DF16_LN4vllm18Fp8KVCacheDataTypeE0EhLi16ELi64ELi256ELb1ELi2EEvPKT_PKT0_S7_ifPKiS9_S9_iPKfiiiPfSC_PS2_PT2_iSB_SB_,comdat
.Lfunc_end1:
	.size	_Z38paged_attention_ll4mi_QKV_mfma4_kernelIDF16_DF16_LN4vllm18Fp8KVCacheDataTypeE0EhLi16ELi64ELi256ELb1ELi2EEvPKT_PKT0_S7_ifPKiS9_S9_iPKfiiiPfSC_PS2_PT2_iSB_SB_, .Lfunc_end1-_Z38paged_attention_ll4mi_QKV_mfma4_kernelIDF16_DF16_LN4vllm18Fp8KVCacheDataTypeE0EhLi16ELi64ELi256ELb1ELi2EEvPKT_PKT0_S7_ifPKiS9_S9_iPKfiiiPfSC_PS2_PT2_iSB_SB_
                                        ; -- End function
	.section	.AMDGPU.csdata,"",@progbits
; Kernel info:
; codeLenInByte = 3196
; NumSgprs: 46
; NumVgprs: 66
; NumAgprs: 4
; TotalNumVgprs: 72
; ScratchSize: 0
; MemoryBound: 0
; FloatMode: 240
; IeeeMode: 1
; LDSByteSize: 2720 bytes/workgroup (compile time only)
; SGPRBlocks: 5
; VGPRBlocks: 8
; NumSGPRsForWavesPerEU: 46
; NumVGPRsForWavesPerEU: 72
; AccumOffset: 68
; Occupancy: 7
; WaveLimiterHint : 1
; COMPUTE_PGM_RSRC2:SCRATCH_EN: 0
; COMPUTE_PGM_RSRC2:USER_SGPR: 2
; COMPUTE_PGM_RSRC2:TRAP_HANDLER: 0
; COMPUTE_PGM_RSRC2:TGID_X_EN: 1
; COMPUTE_PGM_RSRC2:TGID_Y_EN: 1
; COMPUTE_PGM_RSRC2:TGID_Z_EN: 1
; COMPUTE_PGM_RSRC2:TIDIG_COMP_CNT: 0
; COMPUTE_PGM_RSRC3_GFX90A:ACCUM_OFFSET: 16
; COMPUTE_PGM_RSRC3_GFX90A:TG_SPLIT: 0
	.section	.text._Z38paged_attention_ll4mi_QKV_mfma4_kernelIDF16_DF16_LN4vllm18Fp8KVCacheDataTypeE0EhLi16ELi64ELi256ELb1ELi3EEvPKT_PKT0_S7_ifPKiS9_S9_iPKfiiiPfSC_PS2_PT2_iSB_SB_,"axG",@progbits,_Z38paged_attention_ll4mi_QKV_mfma4_kernelIDF16_DF16_LN4vllm18Fp8KVCacheDataTypeE0EhLi16ELi64ELi256ELb1ELi3EEvPKT_PKT0_S7_ifPKiS9_S9_iPKfiiiPfSC_PS2_PT2_iSB_SB_,comdat
	.protected	_Z38paged_attention_ll4mi_QKV_mfma4_kernelIDF16_DF16_LN4vllm18Fp8KVCacheDataTypeE0EhLi16ELi64ELi256ELb1ELi3EEvPKT_PKT0_S7_ifPKiS9_S9_iPKfiiiPfSC_PS2_PT2_iSB_SB_ ; -- Begin function _Z38paged_attention_ll4mi_QKV_mfma4_kernelIDF16_DF16_LN4vllm18Fp8KVCacheDataTypeE0EhLi16ELi64ELi256ELb1ELi3EEvPKT_PKT0_S7_ifPKiS9_S9_iPKfiiiPfSC_PS2_PT2_iSB_SB_
	.globl	_Z38paged_attention_ll4mi_QKV_mfma4_kernelIDF16_DF16_LN4vllm18Fp8KVCacheDataTypeE0EhLi16ELi64ELi256ELb1ELi3EEvPKT_PKT0_S7_ifPKiS9_S9_iPKfiiiPfSC_PS2_PT2_iSB_SB_
	.p2align	8
	.type	_Z38paged_attention_ll4mi_QKV_mfma4_kernelIDF16_DF16_LN4vllm18Fp8KVCacheDataTypeE0EhLi16ELi64ELi256ELb1ELi3EEvPKT_PKT0_S7_ifPKiS9_S9_iPKfiiiPfSC_PS2_PT2_iSB_SB_,@function
_Z38paged_attention_ll4mi_QKV_mfma4_kernelIDF16_DF16_LN4vllm18Fp8KVCacheDataTypeE0EhLi16ELi64ELi256ELb1ELi3EEvPKT_PKT0_S7_ifPKiS9_S9_iPKfiiiPfSC_PS2_PT2_iSB_SB_: ; @_Z38paged_attention_ll4mi_QKV_mfma4_kernelIDF16_DF16_LN4vllm18Fp8KVCacheDataTypeE0EhLi16ELi64ELi256ELb1ELi3EEvPKT_PKT0_S7_ifPKiS9_S9_iPKfiiiPfSC_PS2_PT2_iSB_SB_
; %bb.0:
	s_load_dwordx2 s[8:9], s[0:1], 0x30
	s_mov_b32 s16, s3
	s_mov_b64 s[6:7], 0
	s_waitcnt lgkmcnt(0)
	s_cmp_lg_u64 s[8:9], 0
	s_cselect_b64 s[10:11], -1, 0
	s_and_b64 vcc, exec, s[10:11]
	s_cbranch_vccz .LBB2_10
; %bb.1:
	s_add_i32 s12, s2, 1
	s_mov_b32 s13, 0
	s_lshl_b64 s[14:15], s[12:13], 2
	s_add_u32 s14, s8, s14
	s_mov_b32 s3, s13
	s_addc_u32 s15, s9, s15
	s_lshl_b64 s[12:13], s[2:3], 2
	s_add_u32 s12, s8, s12
	s_addc_u32 s13, s9, s13
	s_load_dword s5, s[14:15], 0x0
	s_load_dword s17, s[12:13], 0x0
	s_waitcnt lgkmcnt(0)
	s_sub_i32 s5, s5, s17
	s_cmp_eq_u32 s5, 1
	s_cselect_b64 s[12:13], -1, 0
	s_andn2_b64 vcc, exec, s[6:7]
	s_cbranch_vccnz .LBB2_3
.LBB2_2:
	s_mov_b32 s3, 0
	s_mov_b64 s[12:13], -1
.LBB2_3:
	s_andn2_b64 vcc, exec, s[12:13]
	s_cbranch_vccnz .LBB2_25
; %bb.4:
	s_load_dword s5, s[0:1], 0x9c
	s_load_dwordx2 s[6:7], s[0:1], 0x28
	s_add_u32 s20, s0, 0x90
	s_addc_u32 s21, s1, 0
	s_lshl_b64 s[24:25], s[2:3], 2
	s_waitcnt lgkmcnt(0)
	s_and_b32 s5, s5, 0xffff
	s_add_u32 s6, s6, s24
	s_addc_u32 s7, s7, s25
	s_load_dword s3, s[6:7], 0x0
	s_mul_i32 s5, s16, s5
	s_waitcnt lgkmcnt(0)
	s_cmp_ge_i32 s5, s3
	s_cbranch_scc1 .LBB2_25
; %bb.5:
	v_and_b32_e32 v2, 0xc0, v0
	v_add_u32_e32 v2, s5, v2
	v_lshrrev_b32_e32 v1, 6, v0
	v_cmp_gt_i32_e64 s[6:7], s3, v2
	v_cmp_le_i32_e32 vcc, s3, v2
                                        ; implicit-def: $sgpr26
                                        ; implicit-def: $sgpr17
	s_and_saveexec_b64 s[12:13], vcc
	s_xor_b64 s[12:13], exec, s[12:13]
	s_cbranch_execz .LBB2_7
; %bb.6:
	v_mul_u32_u24_e32 v2, 20, v1
	v_or_b32_e32 v2, 0xa00, v2
	v_mov_b32_e32 v3, 0xa50
	v_mov_b32_e32 v4, 0xff7fffff
	v_mad_u32_u24 v3, v1, 20, v3
	ds_write2_b32 v2, v4, v4 offset1:1
	v_mov_b32_e32 v2, 0
	ds_write2_b32 v3, v2, v2 offset1:1
	v_mov_b32_e32 v3, 0xa08
	s_mov_b32 s17, 0xff7fffff
	s_mov_b32 s26, 0
	v_mad_u32_u24 v3, v1, 20, v3
	v_mov_b32_e32 v5, 0xa58
	v_mad_u32_u24 v5, v1, 20, v5
	ds_write2_b32 v3, v4, v4 offset1:1
	ds_write2_b32 v5, v2, v2 offset1:1
                                        ; implicit-def: $vgpr2
.LBB2_7:
	s_or_saveexec_b64 s[22:23], s[12:13]
	s_load_dwordx2 s[18:19], s[0:1], 0x68
	s_load_dwordx4 s[12:15], s[0:1], 0x58
	s_load_dword s33, s[20:21], 0x4
	v_and_b32_e32 v56, 63, v0
	v_and_b32_e32 v57, 3, v0
	s_mul_i32 s34, s4, 3
	v_mov_b32_e32 v37, s26
	v_mov_b32_e32 v40, s17
	;; [unrolled: 1-line block ×5, first 2 shown]
                                        ; implicit-def: $vgpr3
                                        ; implicit-def: $vgpr7
                                        ; implicit-def: $vgpr11
                                        ; implicit-def: $vgpr15
                                        ; implicit-def: $vgpr19
                                        ; implicit-def: $vgpr23
                                        ; implicit-def: $vgpr27
                                        ; implicit-def: $vgpr31
	s_xor_b64 exec, exec, s[22:23]
	s_cbranch_execz .LBB2_19
; %bb.8:
	s_add_i32 s28, s3, 15
	s_load_dwordx2 s[26:27], s[0:1], 0x20
	s_load_dword s17, s[0:1], 0x38
	s_ashr_i32 s29, s28, 31
	s_lshr_b32 s29, s29, 28
	v_add_u32_e32 v58, s5, v0
	s_add_i32 s28, s28, s29
	v_ashrrev_i32_e32 v3, 31, v58
	s_ashr_i32 s28, s28, 4
	v_lshrrev_b32_e32 v3, 28, v3
	s_add_i32 s30, s28, -1
	v_add_u32_e32 v3, v58, v3
	s_waitcnt lgkmcnt(0)
	s_mul_i32 s28, s2, s17
	s_mov_b32 s29, 0
	v_ashrrev_i32_e32 v3, 4, v3
	v_mov_b32_e32 v4, s30
	v_cmp_gt_i32_e32 vcc, s3, v58
	s_lshl_b64 s[28:29], s[28:29], 2
	s_add_u32 s26, s26, s28
	v_cndmask_b32_e32 v4, v4, v3, vcc
	v_ashrrev_i32_e32 v3, 31, v2
	v_lshrrev_b32_e32 v3, 28, v3
	s_addc_u32 s27, s27, s29
	v_ashrrev_i32_e32 v5, 31, v4
	v_add_u32_e32 v2, v2, v3
	v_lshl_add_u64 v[6:7], v[4:5], 2, s[26:27]
	v_ashrrev_i32_e32 v4, 4, v2
	v_min_i32_e32 v2, s30, v4
	v_ashrrev_i32_e32 v3, 31, v2
	v_lshl_add_u64 v[8:9], v[2:3], 2, s[26:27]
	v_add_u32_e32 v2, 1, v4
	v_min_i32_e32 v2, s30, v2
	v_ashrrev_i32_e32 v3, 31, v2
	v_lshl_add_u64 v[12:13], v[2:3], 2, s[26:27]
	v_add_u32_e32 v2, 2, v4
	;; [unrolled: 4-line block ×3, first 2 shown]
	v_min_i32_e32 v2, s30, v2
	v_ashrrev_i32_e32 v3, 31, v2
	v_lshl_add_u64 v[16:17], v[2:3], 2, s[26:27]
	global_load_dword v2, v[6:7], off
	global_load_dword v4, v[8:9], off
	;; [unrolled: 1-line block ×5, first 2 shown]
	s_load_dwordx2 s[26:27], s[0:1], 0x8
	s_andn2_b64 vcc, exec, s[10:11]
	s_cbranch_vccnz .LBB2_11
; %bb.9:
	s_add_u32 s8, s8, s24
	s_addc_u32 s9, s9, s25
	s_load_dword s5, s[8:9], 0x0
	s_branch .LBB2_12
.LBB2_10:
	s_mov_b64 s[12:13], 0
	s_branch .LBB2_2
.LBB2_11:
	s_mov_b32 s5, s2
.LBB2_12:
	s_load_dwordx2 s[24:25], s[0:1], 0x10
	s_load_dwordx4 s[8:11], s[0:1], 0x48
	v_cmp_ne_u32_e32 vcc, 3, v57
	s_mov_b32 s29, 0
	v_mov_b32_e32 v3, 0
	v_mov_b32_e32 v26, 0
	;; [unrolled: 1-line block ×5, first 2 shown]
	s_and_saveexec_b64 s[30:31], vcc
	s_cbranch_execz .LBB2_14
; %bb.13:
	s_load_dwordx2 s[36:37], s[0:1], 0x0
	s_waitcnt lgkmcnt(0)
	s_ashr_i32 s11, s8, 31
	s_mul_hi_u32 s17, s5, s8
	s_mul_i32 s11, s5, s11
	s_add_i32 s39, s17, s11
	s_mul_i32 s38, s5, s8
	s_lshl_b64 s[38:39], s[38:39], 1
	s_add_u32 s5, s36, s38
	s_mul_i32 s28, s4, 0xc0
	s_addc_u32 s8, s37, s39
	s_lshl_b64 s[36:37], s[28:29], 1
	s_add_u32 s36, s5, s36
	v_lshlrev_b32_e32 v5, 3, v57
	v_lshrrev_b32_e32 v6, 2, v56
	s_addc_u32 s37, s8, s37
	v_add_lshl_u32 v5, v5, v6, 4
	global_load_dwordx4 v[26:29], v5, s[36:37]
.LBB2_14:
	s_or_b64 exec, exec, s[30:31]
	s_waitcnt lgkmcnt(0)
	s_mul_i32 s28, s4, s10
	s_lshl_b64 s[4:5], s[28:29], 1
	s_add_u32 s10, s4, s26
	s_waitcnt vmcnt(4)
	v_mad_i64_i32 v[6:7], s[30:31], v2, s9, 0
	s_addc_u32 s11, s5, s27
	v_and_b32_e32 v2, 15, v0
	v_lshl_add_u64 v[6:7], v[6:7], 1, s[10:11]
	v_lshlrev_b32_e32 v2, 4, v2
	v_lshl_add_u64 v[6:7], v[6:7], 0, v[2:3]
	global_load_dwordx4 v[50:53], v[6:7], off
	global_load_dwordx4 v[46:49], v[6:7], off offset:256
	global_load_dwordx4 v[22:25], v[6:7], off offset:512
	;; [unrolled: 1-line block ×7, first 2 shown]
	v_mov_b32_e32 v55, 1.0
	v_mov_b32_e32 v54, 0
	s_and_saveexec_b64 s[10:11], vcc
	s_cbranch_execz .LBB2_16
; %bb.15:
	s_load_dwordx2 s[26:27], s[0:1], 0x40
	v_add_u32_e32 v54, s34, v57
	v_mov_b32_e32 v55, 0
	s_waitcnt lgkmcnt(0)
	v_lshl_add_u64 v[6:7], v[54:55], 2, s[26:27]
	global_load_dword v54, v[6:7], off
.LBB2_16:
	s_or_b64 exec, exec, s[10:11]
	s_waitcnt vmcnt(7)
	v_mfma_f32_4x4x4_16b_f16 a[0:3], v[26:27], v[50:51], 0 cbsz:4
	s_load_dword s0, s[0:1], 0x1c
	s_add_u32 s4, s24, s4
	v_mfma_f32_4x4x4_16b_f16 a[0:3], v[28:29], v[52:53], a[0:3] cbsz:4
	s_addc_u32 s5, s25, s5
	v_lshlrev_b32_e32 v2, 5, v56
	s_waitcnt vmcnt(6)
	v_mfma_f32_4x4x4_16b_f16 a[0:3], v[26:27], v[46:47], a[0:3] cbsz:4 abid:1
	v_lshl_add_u64 v[62:63], s[4:5], 0, v[2:3]
	v_mul_hi_i32 v2, v4, s9
	v_mfma_f32_4x4x4_16b_f16 a[0:3], v[28:29], v[48:49], a[0:3] cbsz:4 abid:1
	v_ashrrev_i32_e32 v2, 31, v2
	v_mul_hi_i32 v11, v10, s9
	s_waitcnt vmcnt(5)
	v_mfma_f32_4x4x4_16b_f16 a[0:3], v[26:27], v[22:23], a[0:3] cbsz:4 abid:2
	v_lshrrev_b32_e32 v64, 29, v2
	v_mov_b32_e32 v65, 0
	v_mfma_f32_4x4x4_16b_f16 a[0:3], v[28:29], v[24:25], a[0:3] cbsz:4 abid:2
	v_ashrrev_i32_e32 v11, 31, v11
	v_mul_hi_i32 v50, v60, s9
	s_waitcnt vmcnt(4)
	v_mfma_f32_4x4x4_16b_f16 a[0:3], v[26:27], v[18:19], a[0:3] cbsz:4 abid:3
	v_mad_i64_i32 v[2:3], s[4:5], v4, s9, v[64:65]
	s_nop 0
	v_mfma_f32_4x4x4_16b_f16 a[0:3], v[28:29], v[20:21], a[0:3] cbsz:4 abid:3
	v_lshrrev_b32_e32 v64, 29, v11
	v_ashrrev_i32_e32 v50, 31, v50
	s_waitcnt vmcnt(3)
	v_mfma_f32_4x4x4_16b_f16 a[0:3], v[26:27], v[42:43], a[0:3] cbsz:4 abid:4
	v_mul_hi_i32 v42, v59, s9
	v_mad_i64_i32 v[10:11], s[4:5], v10, s9, v[64:65]
	v_mfma_f32_4x4x4_16b_f16 a[0:3], v[28:29], v[44:45], a[0:3] cbsz:4 abid:4
	v_lshrrev_b32_e32 v64, 29, v50
	v_ashrrev_i32_e32 v42, 31, v42
	s_waitcnt vmcnt(2)
	v_mfma_f32_4x4x4_16b_f16 a[0:3], v[26:27], v[38:39], a[0:3] cbsz:4 abid:5
	v_cmp_eq_u32_e32 vcc, 0, v57
	v_mad_i64_i32 v[46:47], s[4:5], v60, s9, v[64:65]
	v_mfma_f32_4x4x4_16b_f16 a[0:3], v[28:29], v[40:41], a[0:3] cbsz:4 abid:5
	v_lshrrev_b32_e32 v64, 29, v42
	v_mad_i64_i32 v[38:39], s[4:5], v59, s9, v[64:65]
	s_waitcnt vmcnt(1)
	v_mfma_f32_4x4x4_16b_f16 a[0:3], v[26:27], v[34:35], a[0:3] cbsz:4 abid:6
	v_lshlrev_b64 v[2:3], 1, v[2:3]
	v_lshlrev_b64 v[10:11], 1, v[10:11]
	v_mfma_f32_4x4x4_16b_f16 a[0:3], v[28:29], v[36:37], a[0:3] cbsz:4 abid:6
	v_lshlrev_b64 v[22:23], 1, v[46:47]
	v_lshlrev_b64 v[34:35], 1, v[38:39]
	s_waitcnt vmcnt(0)
	v_mfma_f32_4x4x4_16b_f16 a[0:3], v[26:27], v[30:31], a[0:3] cbsz:4 abid:7
	v_and_b32_e32 v2, -16, v2
	v_and_b32_e32 v10, -16, v10
	v_mfma_f32_4x4x4_16b_f16 a[0:3], v[28:29], v[32:33], a[0:3] cbsz:4 abid:7
	v_and_b32_e32 v22, -16, v22
	v_and_b32_e32 v34, -16, v34
	v_lshl_add_u64 v[12:13], v[62:63], 0, v[2:3]
	v_lshl_add_u64 v[66:67], v[62:63], 0, v[10:11]
	;; [unrolled: 1-line block ×3, first 2 shown]
	v_accvgpr_read_b32 v29, a1
	v_accvgpr_read_b32 v28, a0
	s_waitcnt lgkmcnt(0)
	v_pk_mul_f32 v[28:29], s[0:1], v[28:29] op_sel_hi:[0,1]
	v_accvgpr_read_b32 v27, a3
	v_accvgpr_read_b32 v26, a2
	v_pk_mul_f32 v[36:37], s[0:1], v[26:27] op_sel_hi:[0,1]
	v_cndmask_b32_e64 v26, 0, 1.0, vcc
	v_cmp_eq_u32_e32 vcc, 1, v57
	v_lshl_add_u64 v[34:35], v[62:63], 0, v[34:35]
	v_mfma_f32_4x4x1_16b_f32 a[0:3], v28, v26, 0
	v_cndmask_b32_e64 v26, 0, 1.0, vcc
	v_cmp_eq_u32_e32 vcc, 2, v57
	global_load_dwordx4 v[2:5], v[12:13], off
	global_load_dwordx4 v[6:9], v[12:13], off offset:16
	v_mfma_f32_4x4x1_16b_f32 a[0:3], v29, v26, a[0:3]
	v_cndmask_b32_e64 v26, 0, 1.0, vcc
	global_load_dwordx4 v[10:13], v[66:67], off
	global_load_dwordx4 v[14:17], v[66:67], off offset:16
	global_load_dwordx4 v[18:21], v[46:47], off
	global_load_dwordx4 v[22:25], v[46:47], off offset:16
	v_mfma_f32_4x4x1_16b_f32 a[0:3], v36, v26, a[0:3]
	global_load_dwordx4 v[26:29], v[34:35], off
	global_load_dwordx4 v[30:33], v[34:35], off offset:16
	v_and_b32_e32 v34, -4, v58
	v_subrev_u32_e32 v35, s3, v34
	v_add_u32_e32 v36, 1, v35
	v_mfma_f32_4x4x1_16b_f32 a[0:3], v37, v55, a[0:3]
	v_cvt_f32_i32_e32 v36, v36
	v_add_u32_e32 v37, 2, v35
	v_cvt_f32_i32_e32 v37, v37
	v_mov_b32_e32 v41, 0xff7fffff
	v_accvgpr_read_b32 v38, a0
	v_fma_f32 v36, v54, v36, v38
	v_accvgpr_read_b32 v38, a1
	v_fma_f32 v37, v54, v37, v38
	v_add_u32_e32 v38, 3, v35
	v_cvt_f32_i32_e32 v38, v38
	v_add_u32_e32 v35, 4, v35
	v_max_f32_e32 v40, 0xff7fffff, v36
	v_cmp_gt_i32_e32 vcc, s3, v34
	v_cvt_f32_i32_e32 v35, v35
	v_accvgpr_read_b32 v39, a2
	v_cndmask_b32_e32 v40, v41, v40, vcc
	v_or_b32_e32 v41, 1, v34
	v_max_f32_e32 v42, v40, v37
	v_cmp_gt_i32_e64 s[0:1], s3, v41
	v_fma_f32 v38, v54, v38, v39
	v_or_b32_e32 v34, 2, v34
	v_cndmask_b32_e64 v40, v40, v42, s[0:1]
	v_accvgpr_read_b32 v39, a3
	v_max_f32_e32 v41, v40, v38
	v_cmp_gt_i32_e64 s[4:5], s3, v34
	v_fmac_f32_e32 v39, v54, v35
	v_lshlrev_b32_e32 v35, 2, v0
	v_cndmask_b32_e64 v34, v40, v41, s[4:5]
	v_or_b32_e32 v40, 3, v58
	v_max_f32_e32 v41, v34, v39
	v_cmp_gt_i32_e64 s[8:9], s3, v40
	v_and_or_b32 v35, v35, 48, v57
	s_nop 0
	v_cndmask_b32_e64 v34, v34, v41, s[8:9]
	;;#ASMSTART
	v_nop
 v_nop
 v_max_f32_dpp v34, v34, v34 row_ror:4
	;;#ASMEND
	v_lshlrev_b32_e32 v41, 2, v35
	;;#ASMSTART
	v_nop
 v_nop
 v_max_f32_dpp v34, v34, v34 row_ror:8
	;;#ASMEND
	ds_bpermute_b32 v34, v41, v34
	s_waitcnt lgkmcnt(0)
	;;#ASMSTART
	v_nop
 v_nop
 v_max_f32_dpp v34, v34, v34 row_ror:4
	;;#ASMEND
	s_nop 0
	;;#ASMSTART
	v_nop
 v_nop
 v_max_f32_dpp v40, v34, v34 row_ror:8
	;;#ASMEND
	s_nop 0
	v_sub_f32_e32 v34, v36, v40
	v_mul_f32_e32 v34, 0x3fb8aa3b, v34
	v_sub_f32_e32 v35, v37, v40
	v_exp_f32_e32 v34, v34
	v_mul_f32_e32 v35, 0x3fb8aa3b, v35
	v_sub_f32_e32 v37, v38, v40
	v_exp_f32_e32 v35, v35
	;; [unrolled: 3-line block ×3, first 2 shown]
	v_mul_f32_e32 v38, 0x3fb8aa3b, v38
	v_exp_f32_e32 v38, v38
	v_cndmask_b32_e32 v34, 0, v34, vcc
	v_add_f32_e32 v36, 0, v34
	v_cndmask_b32_e64 v35, 0, v35, s[0:1]
	v_add_f32_e32 v39, v36, v35
	v_cndmask_b32_e64 v36, 0, v37, s[4:5]
	;; [unrolled: 2-line block ×3, first 2 shown]
	v_add_f32_e32 v38, v39, v37
	;;#ASMSTART
	v_nop
 v_nop
 v_add_f32_dpp v38, v38, v38 row_ror:4
	;;#ASMEND
	v_cmp_gt_u32_e32 vcc, 4, v56
	;;#ASMSTART
	v_nop
 v_nop
 v_add_f32_dpp v38, v38, v38 row_ror:8
	;;#ASMEND
	ds_bpermute_b32 v38, v41, v38
	s_waitcnt lgkmcnt(0)
	;;#ASMSTART
	v_nop
 v_nop
 v_add_f32_dpp v38, v38, v38 row_ror:4
	;;#ASMEND
	s_nop 0
	;;#ASMSTART
	v_nop
 v_nop
 v_add_f32_dpp v38, v38, v38 row_ror:8
	;;#ASMEND
	s_and_saveexec_b64 s[0:1], vcc
	s_cbranch_execz .LBB2_18
; %bb.17:
	v_mul_u32_u24_e32 v39, 20, v1
	v_lshl_add_u32 v39, v57, 2, v39
	v_add_u32_e32 v39, 0x800, v39
	ds_write2_b32 v39, v40, v38 offset0:128 offset1:148
.LBB2_18:
	s_or_b64 exec, exec, s[0:1]
.LBB2_19:
	s_or_b64 exec, exec, s[22:23]
	s_waitcnt lgkmcnt(0)
	s_barrier
	s_load_dword s0, s[20:21], 0x8
	v_lshlrev_b32_e32 v38, 2, v57
	v_add_u32_e32 v46, 0x800, v38
	ds_read2_b32 v[38:39], v46 offset0:128 offset1:133
	ds_read2_b32 v[42:43], v46 offset0:138 offset1:143
	s_mul_i32 s1, s2, s33
	s_waitcnt lgkmcnt(0)
	s_mul_i32 s0, s1, s0
	s_mov_b32 s1, 0xff7fffff
	v_max3_f32 v41, v38, s1, v39
	v_max3_f32 v41, v41, v42, v43
	v_sub_f32_e32 v38, v38, v41
	v_mul_f32_e32 v38, 0x3fb8aa3b, v38
	ds_read2_b32 v[44:45], v46 offset0:148 offset1:153
	v_exp_f32_e32 v47, v38
	v_sub_f32_e32 v38, v39, v41
	v_sub_f32_e32 v42, v42, v41
	v_mul_f32_e32 v38, 0x3fb8aa3b, v38
	v_mul_f32_e32 v42, 0x3fb8aa3b, v42
	v_exp_f32_e32 v48, v38
	ds_read2_b32 v[38:39], v46 offset0:158 offset1:163
	v_exp_f32_e32 v46, v42
	v_sub_f32_e32 v42, v43, v41
	v_mul_f32_e32 v42, 0x3fb8aa3b, v42
	v_exp_f32_e32 v43, v42
	s_waitcnt lgkmcnt(1)
	v_fma_f32 v42, v47, v44, 0
	v_fmac_f32_e32 v42, v48, v45
	s_waitcnt lgkmcnt(0)
	v_fmac_f32_e32 v42, v46, v38
	s_mul_i32 s0, s0, 3
	v_fmac_f32_e32 v42, v43, v39
	v_cmp_ne_u32_e32 vcc, 3, v57
	s_and_saveexec_b64 s[2:3], vcc
	s_cbranch_execz .LBB2_21
; %bb.20:
	s_mov_b32 s1, 0
	s_lshl_b64 s[4:5], s[0:1], 2
	s_add_u32 s10, s12, s4
	s_mov_b32 s17, s1
	s_addc_u32 s11, s13, s5
	s_lshl_b64 s[8:9], s[16:17], 2
	s_add_u32 s10, s10, s8
	s_addc_u32 s11, s11, s9
	s_add_u32 s1, s14, s4
	s_addc_u32 s5, s15, s5
	v_add_u32_e32 v38, s34, v57
	s_add_u32 s4, s1, s8
	v_mul_lo_u32 v38, s33, v38
	v_mov_b32_e32 v39, 0
	s_addc_u32 s5, s5, s9
	v_lshlrev_b64 v[38:39], 2, v[38:39]
	v_lshl_add_u64 v[44:45], s[10:11], 0, v[38:39]
	v_lshl_add_u64 v[38:39], s[4:5], 0, v[38:39]
	global_store_dword v[38:39], v41, off
	global_store_dword v[44:45], v42, off
.LBB2_21:
	s_or_b64 exec, exec, s[2:3]
	v_mov_b32_e32 v38, 0
	v_mov_b32_e32 v39, 0
	s_and_saveexec_b64 s[2:3], s[6:7]
	s_cbranch_execz .LBB2_23
; %bb.22:
	v_add_f32_e32 v38, 0x358637bd, v42
	v_div_scale_f32 v39, s[4:5], v38, v38, 1.0
	v_rcp_f32_e32 v42, v39
	v_div_scale_f32 v43, vcc, 1.0, v38, 1.0
	v_sub_f32_e32 v40, v40, v41
	v_fma_f32 v44, -v39, v42, 1.0
	v_fmac_f32_e32 v42, v44, v42
	v_mul_f32_e32 v44, v43, v42
	v_fma_f32 v45, -v39, v44, v43
	v_mul_f32_e32 v40, 0x3fb8aa3b, v40
	v_fmac_f32_e32 v44, v45, v42
	v_exp_f32_e32 v40, v40
	v_fma_f32 v39, -v39, v44, v43
	v_div_fmas_f32 v39, v39, v42, v44
	v_div_fixup_f32 v38, v39, v38, 1.0
	v_mul_f32_e32 v38, v40, v38
	v_pk_mul_f32 v[36:37], v[36:37], v[38:39] op_sel_hi:[1,0]
	v_pk_mul_f32 v[34:35], v[34:35], v[38:39] op_sel_hi:[1,0]
	v_cvt_f16_f32_e32 v36, v36
	v_cvt_f16_f32_e32 v34, v34
	;; [unrolled: 1-line block ×4, first 2 shown]
	s_mov_b32 s1, 0x5040100
	v_pack_b32_f16 v34, v34, v35
	v_pack_b32_f16 v35, v36, v37
	s_waitcnt vmcnt(7)
	s_nop 0
	v_mfma_f32_4x4x4_16b_f16 a[0:3], v[34:35], v[2:3], 0 cbsz:4
	s_nop 1
	v_mfma_f32_4x4x4_16b_f16 a[0:3], v[34:35], v[4:5], a[0:3] cbsz:4 abid:1
	s_waitcnt vmcnt(6)
	s_nop 0
	v_mfma_f32_4x4x4_16b_f16 a[0:3], v[34:35], v[6:7], a[0:3] cbsz:4 abid:2
	s_nop 1
	v_mfma_f32_4x4x4_16b_f16 a[0:3], v[34:35], v[8:9], a[0:3] cbsz:4 abid:3
	s_waitcnt vmcnt(5)
	s_nop 0
	v_mfma_f32_4x4x4_16b_f16 a[0:3], v[34:35], v[10:11], a[0:3] cbsz:4 abid:4
	;; [unrolled: 5-line block ×7, first 2 shown]
	s_nop 1
	v_mfma_f32_4x4x4_16b_f16 a[0:3], v[34:35], v[32:33], a[0:3] cbsz:4 abid:15
	s_nop 4
	v_accvgpr_read_b32 v2, a0
	v_accvgpr_read_b32 v3, a1
	;; [unrolled: 1-line block ×4, first 2 shown]
	v_cvt_f16_f32_e32 v2, v2
	v_cvt_f16_f32_e32 v3, v3
	;; [unrolled: 1-line block ×4, first 2 shown]
	v_perm_b32 v38, v3, v2, s1
	v_perm_b32 v39, v5, v4, s1
.LBB2_23:
	s_or_b64 exec, exec, s[2:3]
	v_lshlrev_b32_e32 v1, 3, v1
	v_mad_u32_u24 v1, v56, 40, v1
	v_cmp_gt_u32_e32 vcc, 64, v0
	ds_write_b64 v1, v[38:39]
	s_waitcnt lgkmcnt(0)
	s_barrier
	s_and_saveexec_b64 s[2:3], vcc
	s_cbranch_execz .LBB2_25
; %bb.24:
	v_mul_u32_u24_e32 v1, 40, v56
	s_waitcnt vmcnt(7)
	ds_read2_b64 v[2:5], v1 offset1:1
	s_waitcnt vmcnt(6)
	ds_read2_b64 v[6:9], v1 offset0:2 offset1:3
	s_mov_b32 s1, 0
	s_lshl_b32 s0, s0, 6
	s_lshl_b64 s[2:3], s[0:1], 1
	s_add_u32 s2, s18, s2
	s_addc_u32 s3, s19, s3
	s_lshl_b32 s0, s16, 6
	s_lshl_b64 s[0:1], s[0:1], 1
	s_waitcnt lgkmcnt(1)
	v_pk_add_f16 v1, v2, 0
	v_pk_add_f16 v2, v3, 0
	s_add_u32 s0, s2, s0
	v_pk_add_f16 v2, v2, v5
	s_addc_u32 s1, s3, s1
	s_lshl_b32 s2, s33, 6
	v_pk_add_f16 v1, v1, v4
	s_waitcnt lgkmcnt(0)
	v_pk_add_f16 v2, v2, v7
	s_mul_i32 s3, s2, s34
	v_pk_add_f16 v1, v1, v6
	v_pk_add_f16 v6, v2, v9
	v_or_b32_e32 v2, s3, v0
	v_mov_b32_e32 v3, 0
	s_add_i32 s3, s3, s2
	v_pk_add_f16 v1, v1, v8
	v_lshl_add_u64 v[4:5], v[2:3], 1, s[0:1]
	v_or_b32_e32 v2, s3, v0
	s_add_i32 s3, s3, s2
	global_store_short v[4:5], v1, off
	v_lshl_add_u64 v[4:5], v[2:3], 1, s[0:1]
	v_or_b32_e32 v2, s3, v0
	global_store_short_d16_hi v[4:5], v1, off
	v_lshl_add_u64 v[0:1], v[2:3], 1, s[0:1]
	global_store_short v[0:1], v6, off
.LBB2_25:
	s_endpgm
	.section	.rodata,"a",@progbits
	.p2align	6, 0x0
	.amdhsa_kernel _Z38paged_attention_ll4mi_QKV_mfma4_kernelIDF16_DF16_LN4vllm18Fp8KVCacheDataTypeE0EhLi16ELi64ELi256ELb1ELi3EEvPKT_PKT0_S7_ifPKiS9_S9_iPKfiiiPfSC_PS2_PT2_iSB_SB_
		.amdhsa_group_segment_fixed_size 2720
		.amdhsa_private_segment_fixed_size 0
		.amdhsa_kernarg_size 400
		.amdhsa_user_sgpr_count 2
		.amdhsa_user_sgpr_dispatch_ptr 0
		.amdhsa_user_sgpr_queue_ptr 0
		.amdhsa_user_sgpr_kernarg_segment_ptr 1
		.amdhsa_user_sgpr_dispatch_id 0
		.amdhsa_user_sgpr_kernarg_preload_length 0
		.amdhsa_user_sgpr_kernarg_preload_offset 0
		.amdhsa_user_sgpr_private_segment_size 0
		.amdhsa_uses_dynamic_stack 0
		.amdhsa_enable_private_segment 0
		.amdhsa_system_sgpr_workgroup_id_x 1
		.amdhsa_system_sgpr_workgroup_id_y 1
		.amdhsa_system_sgpr_workgroup_id_z 1
		.amdhsa_system_sgpr_workgroup_info 0
		.amdhsa_system_vgpr_workitem_id 0
		.amdhsa_next_free_vgpr 72
		.amdhsa_next_free_sgpr 40
		.amdhsa_accum_offset 68
		.amdhsa_reserve_vcc 1
		.amdhsa_float_round_mode_32 0
		.amdhsa_float_round_mode_16_64 0
		.amdhsa_float_denorm_mode_32 3
		.amdhsa_float_denorm_mode_16_64 3
		.amdhsa_dx10_clamp 1
		.amdhsa_ieee_mode 1
		.amdhsa_fp16_overflow 0
		.amdhsa_tg_split 0
		.amdhsa_exception_fp_ieee_invalid_op 0
		.amdhsa_exception_fp_denorm_src 0
		.amdhsa_exception_fp_ieee_div_zero 0
		.amdhsa_exception_fp_ieee_overflow 0
		.amdhsa_exception_fp_ieee_underflow 0
		.amdhsa_exception_fp_ieee_inexact 0
		.amdhsa_exception_int_div_zero 0
	.end_amdhsa_kernel
	.section	.text._Z38paged_attention_ll4mi_QKV_mfma4_kernelIDF16_DF16_LN4vllm18Fp8KVCacheDataTypeE0EhLi16ELi64ELi256ELb1ELi3EEvPKT_PKT0_S7_ifPKiS9_S9_iPKfiiiPfSC_PS2_PT2_iSB_SB_,"axG",@progbits,_Z38paged_attention_ll4mi_QKV_mfma4_kernelIDF16_DF16_LN4vllm18Fp8KVCacheDataTypeE0EhLi16ELi64ELi256ELb1ELi3EEvPKT_PKT0_S7_ifPKiS9_S9_iPKfiiiPfSC_PS2_PT2_iSB_SB_,comdat
.Lfunc_end2:
	.size	_Z38paged_attention_ll4mi_QKV_mfma4_kernelIDF16_DF16_LN4vllm18Fp8KVCacheDataTypeE0EhLi16ELi64ELi256ELb1ELi3EEvPKT_PKT0_S7_ifPKiS9_S9_iPKfiiiPfSC_PS2_PT2_iSB_SB_, .Lfunc_end2-_Z38paged_attention_ll4mi_QKV_mfma4_kernelIDF16_DF16_LN4vllm18Fp8KVCacheDataTypeE0EhLi16ELi64ELi256ELb1ELi3EEvPKT_PKT0_S7_ifPKiS9_S9_iPKfiiiPfSC_PS2_PT2_iSB_SB_
                                        ; -- End function
	.section	.AMDGPU.csdata,"",@progbits
; Kernel info:
; codeLenInByte = 3232
; NumSgprs: 46
; NumVgprs: 68
; NumAgprs: 4
; TotalNumVgprs: 72
; ScratchSize: 0
; MemoryBound: 0
; FloatMode: 240
; IeeeMode: 1
; LDSByteSize: 2720 bytes/workgroup (compile time only)
; SGPRBlocks: 5
; VGPRBlocks: 8
; NumSGPRsForWavesPerEU: 46
; NumVGPRsForWavesPerEU: 72
; AccumOffset: 68
; Occupancy: 7
; WaveLimiterHint : 1
; COMPUTE_PGM_RSRC2:SCRATCH_EN: 0
; COMPUTE_PGM_RSRC2:USER_SGPR: 2
; COMPUTE_PGM_RSRC2:TRAP_HANDLER: 0
; COMPUTE_PGM_RSRC2:TGID_X_EN: 1
; COMPUTE_PGM_RSRC2:TGID_Y_EN: 1
; COMPUTE_PGM_RSRC2:TGID_Z_EN: 1
; COMPUTE_PGM_RSRC2:TIDIG_COMP_CNT: 0
; COMPUTE_PGM_RSRC3_GFX90A:ACCUM_OFFSET: 16
; COMPUTE_PGM_RSRC3_GFX90A:TG_SPLIT: 0
	.section	.text._Z38paged_attention_ll4mi_QKV_mfma4_kernelIDF16_DF16_LN4vllm18Fp8KVCacheDataTypeE0EhLi16ELi64ELi256ELb1ELi4EEvPKT_PKT0_S7_ifPKiS9_S9_iPKfiiiPfSC_PS2_PT2_iSB_SB_,"axG",@progbits,_Z38paged_attention_ll4mi_QKV_mfma4_kernelIDF16_DF16_LN4vllm18Fp8KVCacheDataTypeE0EhLi16ELi64ELi256ELb1ELi4EEvPKT_PKT0_S7_ifPKiS9_S9_iPKfiiiPfSC_PS2_PT2_iSB_SB_,comdat
	.protected	_Z38paged_attention_ll4mi_QKV_mfma4_kernelIDF16_DF16_LN4vllm18Fp8KVCacheDataTypeE0EhLi16ELi64ELi256ELb1ELi4EEvPKT_PKT0_S7_ifPKiS9_S9_iPKfiiiPfSC_PS2_PT2_iSB_SB_ ; -- Begin function _Z38paged_attention_ll4mi_QKV_mfma4_kernelIDF16_DF16_LN4vllm18Fp8KVCacheDataTypeE0EhLi16ELi64ELi256ELb1ELi4EEvPKT_PKT0_S7_ifPKiS9_S9_iPKfiiiPfSC_PS2_PT2_iSB_SB_
	.globl	_Z38paged_attention_ll4mi_QKV_mfma4_kernelIDF16_DF16_LN4vllm18Fp8KVCacheDataTypeE0EhLi16ELi64ELi256ELb1ELi4EEvPKT_PKT0_S7_ifPKiS9_S9_iPKfiiiPfSC_PS2_PT2_iSB_SB_
	.p2align	8
	.type	_Z38paged_attention_ll4mi_QKV_mfma4_kernelIDF16_DF16_LN4vllm18Fp8KVCacheDataTypeE0EhLi16ELi64ELi256ELb1ELi4EEvPKT_PKT0_S7_ifPKiS9_S9_iPKfiiiPfSC_PS2_PT2_iSB_SB_,@function
_Z38paged_attention_ll4mi_QKV_mfma4_kernelIDF16_DF16_LN4vllm18Fp8KVCacheDataTypeE0EhLi16ELi64ELi256ELb1ELi4EEvPKT_PKT0_S7_ifPKiS9_S9_iPKfiiiPfSC_PS2_PT2_iSB_SB_: ; @_Z38paged_attention_ll4mi_QKV_mfma4_kernelIDF16_DF16_LN4vllm18Fp8KVCacheDataTypeE0EhLi16ELi64ELi256ELb1ELi4EEvPKT_PKT0_S7_ifPKiS9_S9_iPKfiiiPfSC_PS2_PT2_iSB_SB_
; %bb.0:
	s_load_dwordx2 s[8:9], s[0:1], 0x30
	s_mov_b32 s20, s3
	s_mov_b64 s[6:7], 0
	s_waitcnt lgkmcnt(0)
	s_cmp_lg_u64 s[8:9], 0
	s_cselect_b64 s[10:11], -1, 0
	s_and_b64 vcc, exec, s[10:11]
	s_cbranch_vccz .LBB3_18
; %bb.1:
	s_add_i32 s12, s2, 1
	s_mov_b32 s13, 0
	s_lshl_b64 s[14:15], s[12:13], 2
	s_add_u32 s14, s8, s14
	s_mov_b32 s3, s13
	s_addc_u32 s15, s9, s15
	s_lshl_b64 s[12:13], s[2:3], 2
	s_add_u32 s12, s8, s12
	s_addc_u32 s13, s9, s13
	s_load_dword s5, s[14:15], 0x0
	s_load_dword s16, s[12:13], 0x0
	s_mov_b64 s[34:35], s[2:3]
	s_waitcnt lgkmcnt(0)
	s_sub_i32 s5, s5, s16
	s_cmp_eq_u32 s5, 1
	s_cselect_b64 s[12:13], -1, 0
	s_andn2_b64 vcc, exec, s[6:7]
	s_cbranch_vccnz .LBB3_3
.LBB3_2:
	s_mov_b32 s3, 0
	s_mov_b64 s[12:13], -1
	s_mov_b64 s[34:35], s[2:3]
.LBB3_3:
	s_andn2_b64 vcc, exec, s[12:13]
	s_cbranch_vccnz .LBB3_17
; %bb.4:
	s_load_dword s3, s[0:1], 0x9c
	s_load_dwordx2 s[6:7], s[0:1], 0x28
	s_add_u32 s24, s0, 0x90
	s_addc_u32 s25, s1, 0
	s_lshl_b64 s[36:37], s[34:35], 2
	s_waitcnt lgkmcnt(0)
	s_and_b32 s5, s3, 0xffff
	s_add_u32 s6, s6, s36
	s_addc_u32 s7, s7, s37
	s_load_dword s3, s[6:7], 0x0
	s_mul_i32 s5, s20, s5
	s_waitcnt lgkmcnt(0)
	s_cmp_ge_i32 s5, s3
	s_cbranch_scc1 .LBB3_17
; %bb.5:
	v_and_b32_e32 v2, 0xc0, v0
	v_and_b32_e32 v41, 3, v0
	s_lshl_b32 s33, s4, 2
	v_add_u32_e32 v4, s5, v2
	v_lshrrev_b32_e32 v1, 6, v0
	v_cmp_gt_i32_e64 s[6:7], s3, v4
	v_cmp_le_i32_e32 vcc, s3, v4
	v_or_b32_e32 v34, s33, v41
                                        ; implicit-def: $sgpr17
                                        ; implicit-def: $sgpr16
	s_and_saveexec_b64 s[12:13], vcc
	s_xor_b64 s[12:13], exec, s[12:13]
	s_cbranch_execz .LBB3_7
; %bb.6:
	v_mul_u32_u24_e32 v2, 20, v1
	v_or_b32_e32 v2, 0xa00, v2
	v_mov_b32_e32 v3, 0xa50
	v_mov_b32_e32 v4, 0xff7fffff
	v_mad_u32_u24 v3, v1, 20, v3
	ds_write2_b32 v2, v4, v4 offset1:1
	v_mov_b32_e32 v2, 0
	ds_write2_b32 v3, v2, v2 offset1:1
	v_mov_b32_e32 v3, 0xa08
	s_mov_b32 s16, 0xff7fffff
	s_mov_b32 s17, 0
	v_mad_u32_u24 v3, v1, 20, v3
	v_mov_b32_e32 v5, 0xa58
	v_or_b32_e32 v34, s33, v41
	v_mad_u32_u24 v5, v1, 20, v5
	ds_write2_b32 v3, v4, v4 offset1:1
	ds_write2_b32 v5, v2, v2 offset1:1
                                        ; implicit-def: $vgpr4
.LBB3_7:
	s_or_saveexec_b64 s[26:27], s[12:13]
	s_load_dwordx2 s[22:23], s[0:1], 0x68
	s_load_dwordx4 s[12:15], s[0:1], 0x58
	s_load_dword s40, s[24:25], 0x4
	v_and_b32_e32 v40, 63, v0
	v_mov_b32_e32 v39, s17
	v_mov_b32_e32 v42, s16
	v_mov_b32_e32 v38, s17
	v_mov_b32_e32 v37, s17
	v_mov_b32_e32 v36, s17
                                        ; implicit-def: $vgpr3
                                        ; implicit-def: $vgpr7
                                        ; implicit-def: $vgpr11
                                        ; implicit-def: $vgpr15
                                        ; implicit-def: $vgpr19
                                        ; implicit-def: $vgpr23
                                        ; implicit-def: $vgpr27
                                        ; implicit-def: $vgpr31
	s_xor_b64 exec, exec, s[26:27]
	s_cbranch_execz .LBB3_13
; %bb.8:
	s_add_i32 s19, s3, 15
	s_ashr_i32 s21, s19, 31
	s_lshr_b32 s21, s21, 28
	v_add_u32_e32 v2, s5, v0
	s_add_i32 s19, s19, s21
	v_ashrrev_i32_e32 v3, 31, v2
	s_load_dwordx2 s[16:17], s[0:1], 0x20
	s_load_dword s18, s[0:1], 0x38
	s_ashr_i32 s19, s19, 4
	v_lshrrev_b32_e32 v3, 28, v3
	s_add_i32 s21, s19, -1
	v_add_u32_e32 v3, v2, v3
	v_ashrrev_i32_e32 v3, 4, v3
	v_mov_b32_e32 v5, s21
	v_cmp_gt_i32_e32 vcc, s3, v2
	s_waitcnt lgkmcnt(0)
	s_mul_i32 s38, s2, s18
	s_mov_b32 s39, 0
	v_cndmask_b32_e32 v6, v5, v3, vcc
	v_ashrrev_i32_e32 v3, 31, v4
	v_lshrrev_b32_e32 v3, 28, v3
	v_add_u32_e32 v3, v4, v3
	s_lshl_b64 s[18:19], s[38:39], 2
	v_ashrrev_i32_e32 v3, 4, v3
	s_add_u32 s16, s16, s18
	v_min_i32_e32 v4, s21, v3
	s_addc_u32 s17, s17, s19
	v_ashrrev_i32_e32 v5, 31, v4
	v_lshl_add_u64 v[10:11], v[4:5], 2, s[16:17]
	v_add_u32_e32 v4, 1, v3
	v_min_i32_e32 v4, s21, v4
	v_ashrrev_i32_e32 v5, 31, v4
	v_lshl_add_u64 v[12:13], v[4:5], 2, s[16:17]
	v_add_u32_e32 v4, 2, v3
	v_min_i32_e32 v4, s21, v4
	v_ashrrev_i32_e32 v5, 31, v4
	v_add_u32_e32 v3, 3, v3
	v_ashrrev_i32_e32 v7, 31, v6
	v_lshl_add_u64 v[14:15], v[4:5], 2, s[16:17]
	v_min_i32_e32 v4, s21, v3
	v_lshl_add_u64 v[8:9], v[6:7], 2, s[16:17]
	v_ashrrev_i32_e32 v5, 31, v4
	v_lshl_add_u64 v[16:17], v[4:5], 2, s[16:17]
	global_load_dword v7, v[8:9], off
	global_load_dword v6, v[10:11], off
	;; [unrolled: 1-line block ×5, first 2 shown]
	s_load_dwordx2 s[30:31], s[0:1], 0x40
	s_load_dwordx4 s[16:19], s[0:1], 0x0
	s_load_dwordx2 s[28:29], s[0:1], 0x10
	s_andn2_b64 vcc, exec, s[10:11]
	s_cbranch_vccnz .LBB3_10
; %bb.9:
	s_add_u32 s8, s8, s36
	s_addc_u32 s9, s9, s37
	s_load_dword s38, s[8:9], 0x0
	s_waitcnt lgkmcnt(0)
	s_mov_b64 s[34:35], s[38:39]
.LBB3_10:
	s_load_dwordx4 s[8:11], s[0:1], 0x48
	v_lshrrev_b32_e32 v8, 2, v40
	v_lshlrev_b32_e32 v9, 3, v41
	v_add_lshl_u32 v8, v9, v8, 4
	v_mov_b32_e32 v33, 0
	s_waitcnt lgkmcnt(0)
	s_ashr_i32 s5, s8, 31
	s_mul_hi_u32 s11, s34, s8
	s_mul_i32 s5, s34, s5
	s_mul_i32 s21, s35, s8
	s_add_i32 s5, s11, s5
	s_mul_i32 s36, s34, s8
	s_add_i32 s37, s5, s21
	s_lshl_b64 s[34:35], s[36:37], 1
	s_add_u32 s5, s16, s34
	s_addc_u32 s8, s17, s35
	s_lshl_b32 s38, s4, 8
	s_lshl_b64 s[16:17], s[38:39], 1
	s_add_u32 s16, s5, s16
	s_addc_u32 s17, s8, s17
	global_load_dwordx4 v[36:39], v8, s[16:17]
	s_mul_i32 s38, s4, s10
	s_lshl_b64 s[4:5], s[38:39], 1
	s_add_u32 s10, s4, s18
	s_waitcnt vmcnt(5)
	v_mad_i64_i32 v[8:9], s[16:17], v7, s9, 0
	s_addc_u32 s11, s5, s19
	v_and_b32_e32 v7, 15, v0
	v_lshl_add_u64 v[8:9], v[8:9], 1, s[10:11]
	v_lshlrev_b32_e32 v32, 4, v7
	v_lshl_add_u64 v[46:47], v[8:9], 0, v[32:33]
	global_load_dwordx4 v[8:11], v[46:47], off
	global_load_dwordx4 v[12:15], v[46:47], off offset:256
	global_load_dwordx4 v[16:19], v[46:47], off offset:512
	;; [unrolled: 1-line block ×6, first 2 shown]
	v_mov_b32_e32 v35, v33
	global_load_dwordx4 v[46:49], v[46:47], off offset:1792
	v_lshl_add_u64 v[50:51], v[34:35], 2, s[30:31]
	global_load_dword v70, v[50:51], off
	v_and_b32_e32 v62, -4, v2
	v_lshlrev_b32_e32 v7, 2, v0
	v_or_b32_e32 v64, 3, v2
	s_waitcnt vmcnt(13)
	v_mul_hi_i32 v2, v6, s9
	s_waitcnt vmcnt(11)
	v_mul_hi_i32 v32, v4, s9
	s_add_u32 s4, s28, s4
	v_and_or_b32 v66, v7, 48, v41
	v_mul_hi_i32 v7, v5, s9
	s_waitcnt vmcnt(10)
	v_mul_hi_i32 v50, v3, s9
	v_ashrrev_i32_e32 v2, 31, v2
	v_ashrrev_i32_e32 v54, 31, v32
	s_addc_u32 s5, s29, s5
	v_lshlrev_b32_e32 v32, 5, v40
	v_ashrrev_i32_e32 v52, 31, v7
	v_ashrrev_i32_e32 v55, 31, v50
	v_lshl_add_u64 v[50:51], s[4:5], 0, v[32:33]
	v_lshrrev_b32_e32 v32, 29, v2
	v_mad_i64_i32 v[6:7], s[4:5], v6, s9, v[32:33]
	v_lshrrev_b32_e32 v32, 29, v52
	v_mad_i64_i32 v[52:53], s[4:5], v5, s9, v[32:33]
	v_lshrrev_b32_e32 v32, 29, v54
	v_lshlrev_b64 v[52:53], 1, v[52:53]
	v_mad_i64_i32 v[4:5], s[4:5], v4, s9, v[32:33]
	v_lshrrev_b32_e32 v32, 29, v55
	v_lshlrev_b64 v[6:7], 1, v[6:7]
	v_and_b32_e32 v52, -16, v52
	v_and_b32_e32 v6, -16, v6
	v_lshlrev_b64 v[56:57], 1, v[4:5]
	v_lshl_add_u64 v[54:55], v[50:51], 0, v[6:7]
	v_and_b32_e32 v56, -16, v56
	s_load_dword s0, s[0:1], 0x1c
	v_cmp_eq_u32_e32 vcc, 0, v41
	v_subrev_u32_e32 v65, s3, v62
	v_add_u32_e32 v35, 1, v65
	v_cndmask_b32_e64 v58, 0, 1.0, vcc
	v_cmp_eq_u32_e32 vcc, 1, v41
	v_cvt_f32_i32_e32 v35, v35
	v_add_u32_e32 v69, 2, v65
	v_cndmask_b32_e64 v59, 0, 1.0, vcc
	v_cmp_eq_u32_e32 vcc, 2, v41
	v_mov_b32_e32 v63, 0xff7fffff
	v_or_b32_e32 v67, 1, v62
	v_cndmask_b32_e64 v60, 0, 1.0, vcc
	v_cmp_eq_u32_e32 vcc, 3, v41
	v_or_b32_e32 v68, 2, v62
	s_waitcnt vmcnt(8)
	v_mfma_f32_4x4x4_16b_f16 a[0:3], v[36:37], v[8:9], 0 cbsz:4
	v_cndmask_b32_e64 v61, 0, 1.0, vcc
	s_nop 0
	v_mfma_f32_4x4x4_16b_f16 a[0:3], v[38:39], v[10:11], a[0:3] cbsz:4
	v_mad_i64_i32 v[10:11], s[4:5], v3, s9, v[32:33]
	s_waitcnt vmcnt(7)
	v_mfma_f32_4x4x4_16b_f16 a[0:3], v[36:37], v[12:13], a[0:3] cbsz:4 abid:1
	v_lshl_add_u64 v[32:33], v[50:51], 0, v[52:53]
	v_lshlrev_b64 v[52:53], 1, v[10:11]
	v_mfma_f32_4x4x4_16b_f16 a[0:3], v[38:39], v[14:15], a[0:3] cbsz:4 abid:1
	v_and_b32_e32 v52, -16, v52
	global_load_dwordx4 v[2:5], v[54:55], off
	global_load_dwordx4 v[6:9], v[54:55], off offset:16
	s_waitcnt vmcnt(8)
	v_mfma_f32_4x4x4_16b_f16 a[0:3], v[36:37], v[16:17], a[0:3] cbsz:4 abid:2
	global_load_dwordx4 v[10:13], v[32:33], off
	global_load_dwordx4 v[14:17], v[32:33], off offset:16
	v_mfma_f32_4x4x4_16b_f16 a[0:3], v[38:39], v[18:19], a[0:3] cbsz:4 abid:2
	v_lshl_add_u64 v[32:33], v[50:51], 0, v[56:57]
	v_lshl_add_u64 v[50:51], v[50:51], 0, v[52:53]
	s_waitcnt vmcnt(9)
	v_mfma_f32_4x4x4_16b_f16 a[0:3], v[36:37], v[20:21], a[0:3] cbsz:4 abid:3
	v_cmp_gt_i32_e32 vcc, s3, v62
	v_cmp_gt_i32_e64 s[4:5], s3, v68
	v_mfma_f32_4x4x4_16b_f16 a[0:3], v[38:39], v[22:23], a[0:3] cbsz:4 abid:3
	v_cmp_gt_i32_e64 s[8:9], s3, v64
	s_waitcnt vmcnt(8)
	v_mfma_f32_4x4x4_16b_f16 a[0:3], v[36:37], v[24:25], a[0:3] cbsz:4 abid:4
	global_load_dwordx4 v[18:21], v[32:33], off
	global_load_dwordx4 v[22:25], v[32:33], off offset:16
	v_mfma_f32_4x4x4_16b_f16 a[0:3], v[38:39], v[26:27], a[0:3] cbsz:4 abid:4
	s_waitcnt vmcnt(9)
	s_nop 0
	v_mfma_f32_4x4x4_16b_f16 a[0:3], v[36:37], v[28:29], a[0:3] cbsz:4 abid:5
	s_nop 1
	v_mfma_f32_4x4x4_16b_f16 a[0:3], v[38:39], v[30:31], a[0:3] cbsz:4 abid:5
	global_load_dwordx4 v[26:29], v[50:51], off
	global_load_dwordx4 v[30:33], v[50:51], off offset:16
	s_waitcnt vmcnt(10)
	v_mfma_f32_4x4x4_16b_f16 a[0:3], v[36:37], v[42:43], a[0:3] cbsz:4 abid:6
	v_add_u32_e32 v43, 4, v65
	v_add_u32_e32 v42, 3, v65
	v_mfma_f32_4x4x4_16b_f16 a[0:3], v[38:39], v[44:45], a[0:3] cbsz:4 abid:6
	s_waitcnt vmcnt(9)
	s_nop 0
	v_mfma_f32_4x4x4_16b_f16 a[0:3], v[36:37], v[46:47], a[0:3] cbsz:4 abid:7
	s_nop 1
	v_mfma_f32_4x4x4_16b_f16 a[0:3], v[38:39], v[48:49], a[0:3] cbsz:4 abid:7
	s_nop 4
	v_accvgpr_read_b32 v37, a1
	v_accvgpr_read_b32 v36, a0
	s_waitcnt lgkmcnt(0)
	v_pk_mul_f32 v[36:37], s[0:1], v[36:37] op_sel_hi:[0,1]
	v_accvgpr_read_b32 v39, a3
	v_accvgpr_read_b32 v38, a2
	v_pk_mul_f32 v[38:39], s[0:1], v[38:39] op_sel_hi:[0,1]
	v_mfma_f32_4x4x1_16b_f32 a[0:3], v36, v58, 0
	v_cvt_f32_i32_e32 v36, v69
	s_nop 0
	v_mfma_f32_4x4x1_16b_f32 a[0:3], v37, v59, a[0:3]
	v_cvt_f32_i32_e32 v37, v42
	v_cmp_gt_i32_e64 s[0:1], s3, v67
	v_mfma_f32_4x4x1_16b_f32 a[0:3], v38, v60, a[0:3]
	v_cvt_f32_i32_e32 v38, v43
	s_nop 0
	v_mfma_f32_4x4x1_16b_f32 a[0:3], v39, v61, a[0:3]
	s_nop 3
	v_accvgpr_read_b32 v39, a0
	v_accvgpr_read_b32 v44, a3
	s_waitcnt vmcnt(8)
	v_fma_f32 v35, v70, v35, v39
	v_accvgpr_read_b32 v42, a1
	v_fmac_f32_e32 v44, v70, v38
	v_max_f32_e32 v38, 0xff7fffff, v35
	v_fma_f32 v36, v70, v36, v42
	v_cndmask_b32_e32 v38, v63, v38, vcc
	v_accvgpr_read_b32 v43, a2
	v_max_f32_e32 v39, v38, v36
	v_fma_f32 v37, v70, v37, v43
	v_cndmask_b32_e64 v38, v38, v39, s[0:1]
	v_max_f32_e32 v39, v38, v37
	v_cndmask_b32_e64 v38, v38, v39, s[4:5]
	v_max_f32_e32 v39, v38, v44
	v_cndmask_b32_e64 v38, v38, v39, s[8:9]
	;;#ASMSTART
	v_nop
 v_nop
 v_max_f32_dpp v38, v38, v38 row_ror:4
	;;#ASMEND
	v_lshlrev_b32_e32 v43, 2, v66
	;;#ASMSTART
	v_nop
 v_nop
 v_max_f32_dpp v38, v38, v38 row_ror:8
	;;#ASMEND
	ds_bpermute_b32 v38, v43, v38
	s_waitcnt lgkmcnt(0)
	;;#ASMSTART
	v_nop
 v_nop
 v_max_f32_dpp v38, v38, v38 row_ror:4
	;;#ASMEND
	s_nop 0
	;;#ASMSTART
	v_nop
 v_nop
 v_max_f32_dpp v42, v38, v38 row_ror:8
	;;#ASMEND
	s_nop 0
	v_sub_f32_e32 v36, v36, v42
	v_mul_f32_e32 v36, 0x3fb8aa3b, v36
	v_exp_f32_e32 v38, v36
	v_sub_f32_e32 v35, v35, v42
	v_mul_f32_e32 v35, 0x3fb8aa3b, v35
	v_sub_f32_e32 v36, v37, v42
	v_exp_f32_e32 v35, v35
	v_mul_f32_e32 v39, 0x3fb8aa3b, v36
	v_cndmask_b32_e64 v37, 0, v38, s[0:1]
	v_exp_f32_e32 v38, v39
	v_sub_f32_e32 v39, v44, v42
	v_mul_f32_e32 v39, 0x3fb8aa3b, v39
	v_exp_f32_e32 v39, v39
	v_cndmask_b32_e32 v36, 0, v35, vcc
	v_add_f32_e32 v35, 0, v36
	v_add_f32_e32 v35, v35, v37
	v_cndmask_b32_e64 v38, 0, v38, s[4:5]
	v_add_f32_e32 v35, v35, v38
	v_cndmask_b32_e64 v39, 0, v39, s[8:9]
	v_add_f32_e32 v35, v35, v39
	;;#ASMSTART
	v_nop
 v_nop
 v_add_f32_dpp v35, v35, v35 row_ror:4
	;;#ASMEND
	v_cmp_gt_u32_e32 vcc, 4, v40
	;;#ASMSTART
	v_nop
 v_nop
 v_add_f32_dpp v35, v35, v35 row_ror:8
	;;#ASMEND
	ds_bpermute_b32 v35, v43, v35
	s_waitcnt lgkmcnt(0)
	;;#ASMSTART
	v_nop
 v_nop
 v_add_f32_dpp v35, v35, v35 row_ror:4
	;;#ASMEND
	s_nop 0
	;;#ASMSTART
	v_nop
 v_nop
 v_add_f32_dpp v35, v35, v35 row_ror:8
	;;#ASMEND
	s_and_saveexec_b64 s[0:1], vcc
	s_cbranch_execz .LBB3_12
; %bb.11:
	v_mul_u32_u24_e32 v43, 20, v1
	v_lshl_add_u32 v43, v41, 2, v43
	v_add_u32_e32 v43, 0x800, v43
	ds_write2_b32 v43, v42, v35 offset0:128 offset1:148
.LBB3_12:
	s_or_b64 exec, exec, s[0:1]
.LBB3_13:
	s_or_b64 exec, exec, s[26:27]
	v_lshlrev_b32_e32 v35, 2, v41
	v_add_u32_e32 v35, 0x800, v35
	s_waitcnt lgkmcnt(0)
	s_barrier
	s_load_dword s0, s[24:25], 0x8
	ds_read2_b32 v[44:45], v35 offset0:128 offset1:133
	ds_read2_b32 v[46:47], v35 offset0:138 offset1:143
	s_mov_b32 s4, 0xff7fffff
	s_mul_i32 s1, s2, s40
	ds_read2_b32 v[48:49], v35 offset0:148 offset1:153
	s_waitcnt lgkmcnt(0)
	v_max3_f32 v41, v44, s4, v45
	s_mul_i32 s1, s1, s0
	v_max3_f32 v41, v41, v46, v47
	s_lshl_b32 s0, s1, 2
	s_mov_b32 s1, 0
	v_sub_f32_e32 v43, v44, v41
	v_sub_f32_e32 v44, v45, v41
	s_lshl_b64 s[2:3], s[0:1], 2
	v_mul_f32_e32 v43, 0x3fb8aa3b, v43
	v_mul_f32_e32 v44, 0x3fb8aa3b, v44
	s_mov_b32 s21, s1
	s_add_u32 s1, s12, s2
	v_exp_f32_e32 v43, v43
	v_exp_f32_e32 v50, v44
	ds_read2_b32 v[44:45], v35 offset0:158 offset1:163
	v_sub_f32_e32 v35, v46, v41
	s_addc_u32 s8, s13, s3
	v_mul_f32_e32 v35, 0x3fb8aa3b, v35
	v_sub_f32_e32 v46, v47, v41
	s_add_u32 s4, s14, s2
	v_exp_f32_e32 v35, v35
	v_mul_f32_e32 v46, 0x3fb8aa3b, v46
	s_addc_u32 s5, s15, s3
	s_lshl_b64 s[2:3], s[20:21], 2
	v_exp_f32_e32 v46, v46
	s_add_u32 s4, s4, s2
	v_fma_f32 v43, v43, v48, 0
	s_addc_u32 s5, s5, s3
	v_fmac_f32_e32 v43, v50, v49
	s_waitcnt lgkmcnt(0)
	v_fmac_f32_e32 v43, v35, v44
	s_add_u32 s2, s1, s2
	v_mul_lo_u32 v34, s40, v34
	v_mov_b32_e32 v35, 0
	v_fmac_f32_e32 v43, v46, v45
	s_addc_u32 s3, s8, s3
	v_lshlrev_b64 v[44:45], 2, v[34:35]
	v_lshl_add_u64 v[46:47], s[4:5], 0, v[44:45]
	v_lshl_add_u64 v[44:45], s[2:3], 0, v[44:45]
	v_mov_b32_e32 v34, v35
	global_store_dword v[46:47], v41, off
	global_store_dword v[44:45], v43, off
	s_and_saveexec_b64 s[2:3], s[6:7]
	s_cbranch_execz .LBB3_15
; %bb.14:
	v_add_f32_e32 v34, 0x358637bd, v43
	v_div_scale_f32 v35, s[4:5], v34, v34, 1.0
	v_rcp_f32_e32 v43, v35
	v_div_scale_f32 v44, vcc, 1.0, v34, 1.0
	v_sub_f32_e32 v41, v42, v41
	v_fma_f32 v45, -v35, v43, 1.0
	v_fmac_f32_e32 v43, v45, v43
	v_mul_f32_e32 v45, v44, v43
	v_fma_f32 v46, -v35, v45, v44
	v_mul_f32_e32 v41, 0x3fb8aa3b, v41
	v_fmac_f32_e32 v45, v46, v43
	v_exp_f32_e32 v41, v41
	v_fma_f32 v35, -v35, v45, v44
	v_div_fmas_f32 v35, v35, v43, v45
	v_div_fixup_f32 v34, v35, v34, 1.0
	v_mul_f32_e32 v34, v41, v34
	v_pk_mul_f32 v[38:39], v[38:39], v[34:35] op_sel_hi:[1,0]
	v_pk_mul_f32 v[34:35], v[36:37], v[34:35] op_sel_hi:[1,0]
	v_cvt_f16_f32_e32 v36, v38
	v_cvt_f16_f32_e32 v34, v34
	;; [unrolled: 1-line block ×4, first 2 shown]
	s_mov_b32 s1, 0x5040100
	v_pack_b32_f16 v34, v34, v35
	v_pack_b32_f16 v35, v36, v37
	s_waitcnt vmcnt(9)
	s_nop 0
	v_mfma_f32_4x4x4_16b_f16 a[0:3], v[34:35], v[2:3], 0 cbsz:4
	s_nop 1
	v_mfma_f32_4x4x4_16b_f16 a[0:3], v[34:35], v[4:5], a[0:3] cbsz:4 abid:1
	s_waitcnt vmcnt(8)
	s_nop 0
	v_mfma_f32_4x4x4_16b_f16 a[0:3], v[34:35], v[6:7], a[0:3] cbsz:4 abid:2
	s_nop 1
	v_mfma_f32_4x4x4_16b_f16 a[0:3], v[34:35], v[8:9], a[0:3] cbsz:4 abid:3
	s_waitcnt vmcnt(7)
	s_nop 0
	v_mfma_f32_4x4x4_16b_f16 a[0:3], v[34:35], v[10:11], a[0:3] cbsz:4 abid:4
	;; [unrolled: 5-line block ×7, first 2 shown]
	s_nop 1
	v_mfma_f32_4x4x4_16b_f16 a[0:3], v[34:35], v[32:33], a[0:3] cbsz:4 abid:15
	s_nop 4
	v_accvgpr_read_b32 v2, a0
	v_accvgpr_read_b32 v3, a1
	;; [unrolled: 1-line block ×4, first 2 shown]
	v_cvt_f16_f32_e32 v2, v2
	v_cvt_f16_f32_e32 v3, v3
	;; [unrolled: 1-line block ×4, first 2 shown]
	v_perm_b32 v34, v3, v2, s1
	v_perm_b32 v35, v5, v4, s1
.LBB3_15:
	s_or_b64 exec, exec, s[2:3]
	v_lshlrev_b32_e32 v1, 3, v1
	v_mad_u32_u24 v1, v40, 40, v1
	v_cmp_gt_u32_e32 vcc, 64, v0
	ds_write_b64 v1, v[34:35]
	s_waitcnt lgkmcnt(0)
	s_barrier
	s_and_saveexec_b64 s[2:3], vcc
	s_cbranch_execz .LBB3_17
; %bb.16:
	v_mul_u32_u24_e32 v1, 40, v40
	s_waitcnt vmcnt(9)
	ds_read2_b64 v[2:5], v1 offset1:1
	s_waitcnt vmcnt(8)
	ds_read2_b64 v[6:9], v1 offset0:2 offset1:3
	s_mov_b32 s1, 0
	s_lshl_b32 s0, s0, 6
	s_lshl_b64 s[2:3], s[0:1], 1
	s_add_u32 s2, s22, s2
	s_addc_u32 s3, s23, s3
	s_lshl_b32 s0, s20, 6
	s_lshl_b64 s[0:1], s[0:1], 1
	s_waitcnt lgkmcnt(1)
	v_pk_add_f16 v1, v2, 0
	v_pk_add_f16 v2, v3, 0
	s_add_u32 s0, s2, s0
	v_pk_add_f16 v2, v2, v5
	s_addc_u32 s1, s3, s1
	s_lshl_b32 s2, s40, 6
	v_pk_add_f16 v1, v1, v4
	s_waitcnt lgkmcnt(0)
	v_pk_add_f16 v2, v2, v7
	s_mul_i32 s3, s2, s33
	v_pk_add_f16 v1, v1, v6
	v_pk_add_f16 v6, v2, v9
	v_or_b32_e32 v2, s3, v0
	v_mov_b32_e32 v3, 0
	s_add_i32 s3, s3, s2
	v_pk_add_f16 v1, v1, v8
	v_lshl_add_u64 v[4:5], v[2:3], 1, s[0:1]
	v_or_b32_e32 v2, s3, v0
	s_add_i32 s3, s3, s2
	global_store_short v[4:5], v1, off
	v_lshl_add_u64 v[4:5], v[2:3], 1, s[0:1]
	v_or_b32_e32 v2, s3, v0
	s_add_i32 s3, s3, s2
	global_store_short_d16_hi v[4:5], v1, off
	v_lshl_add_u64 v[4:5], v[2:3], 1, s[0:1]
	v_or_b32_e32 v2, s3, v0
	v_lshl_add_u64 v[0:1], v[2:3], 1, s[0:1]
	global_store_short v[4:5], v6, off
	global_store_short_d16_hi v[0:1], v6, off
.LBB3_17:
	s_endpgm
.LBB3_18:
	s_mov_b64 s[12:13], 0
                                        ; implicit-def: $sgpr34_sgpr35
	s_branch .LBB3_2
	.section	.rodata,"a",@progbits
	.p2align	6, 0x0
	.amdhsa_kernel _Z38paged_attention_ll4mi_QKV_mfma4_kernelIDF16_DF16_LN4vllm18Fp8KVCacheDataTypeE0EhLi16ELi64ELi256ELb1ELi4EEvPKT_PKT0_S7_ifPKiS9_S9_iPKfiiiPfSC_PS2_PT2_iSB_SB_
		.amdhsa_group_segment_fixed_size 2720
		.amdhsa_private_segment_fixed_size 0
		.amdhsa_kernarg_size 400
		.amdhsa_user_sgpr_count 2
		.amdhsa_user_sgpr_dispatch_ptr 0
		.amdhsa_user_sgpr_queue_ptr 0
		.amdhsa_user_sgpr_kernarg_segment_ptr 1
		.amdhsa_user_sgpr_dispatch_id 0
		.amdhsa_user_sgpr_kernarg_preload_length 0
		.amdhsa_user_sgpr_kernarg_preload_offset 0
		.amdhsa_user_sgpr_private_segment_size 0
		.amdhsa_uses_dynamic_stack 0
		.amdhsa_enable_private_segment 0
		.amdhsa_system_sgpr_workgroup_id_x 1
		.amdhsa_system_sgpr_workgroup_id_y 1
		.amdhsa_system_sgpr_workgroup_id_z 1
		.amdhsa_system_sgpr_workgroup_info 0
		.amdhsa_system_vgpr_workitem_id 0
		.amdhsa_next_free_vgpr 76
		.amdhsa_next_free_sgpr 41
		.amdhsa_accum_offset 72
		.amdhsa_reserve_vcc 1
		.amdhsa_float_round_mode_32 0
		.amdhsa_float_round_mode_16_64 0
		.amdhsa_float_denorm_mode_32 3
		.amdhsa_float_denorm_mode_16_64 3
		.amdhsa_dx10_clamp 1
		.amdhsa_ieee_mode 1
		.amdhsa_fp16_overflow 0
		.amdhsa_tg_split 0
		.amdhsa_exception_fp_ieee_invalid_op 0
		.amdhsa_exception_fp_denorm_src 0
		.amdhsa_exception_fp_ieee_div_zero 0
		.amdhsa_exception_fp_ieee_overflow 0
		.amdhsa_exception_fp_ieee_underflow 0
		.amdhsa_exception_fp_ieee_inexact 0
		.amdhsa_exception_int_div_zero 0
	.end_amdhsa_kernel
	.section	.text._Z38paged_attention_ll4mi_QKV_mfma4_kernelIDF16_DF16_LN4vllm18Fp8KVCacheDataTypeE0EhLi16ELi64ELi256ELb1ELi4EEvPKT_PKT0_S7_ifPKiS9_S9_iPKfiiiPfSC_PS2_PT2_iSB_SB_,"axG",@progbits,_Z38paged_attention_ll4mi_QKV_mfma4_kernelIDF16_DF16_LN4vllm18Fp8KVCacheDataTypeE0EhLi16ELi64ELi256ELb1ELi4EEvPKT_PKT0_S7_ifPKiS9_S9_iPKfiiiPfSC_PS2_PT2_iSB_SB_,comdat
.Lfunc_end3:
	.size	_Z38paged_attention_ll4mi_QKV_mfma4_kernelIDF16_DF16_LN4vllm18Fp8KVCacheDataTypeE0EhLi16ELi64ELi256ELb1ELi4EEvPKT_PKT0_S7_ifPKiS9_S9_iPKfiiiPfSC_PS2_PT2_iSB_SB_, .Lfunc_end3-_Z38paged_attention_ll4mi_QKV_mfma4_kernelIDF16_DF16_LN4vllm18Fp8KVCacheDataTypeE0EhLi16ELi64ELi256ELb1ELi4EEvPKT_PKT0_S7_ifPKiS9_S9_iPKfiiiPfSC_PS2_PT2_iSB_SB_
                                        ; -- End function
	.section	.AMDGPU.csdata,"",@progbits
; Kernel info:
; codeLenInByte = 3224
; NumSgprs: 47
; NumVgprs: 71
; NumAgprs: 4
; TotalNumVgprs: 76
; ScratchSize: 0
; MemoryBound: 0
; FloatMode: 240
; IeeeMode: 1
; LDSByteSize: 2720 bytes/workgroup (compile time only)
; SGPRBlocks: 5
; VGPRBlocks: 9
; NumSGPRsForWavesPerEU: 47
; NumVGPRsForWavesPerEU: 76
; AccumOffset: 72
; Occupancy: 6
; WaveLimiterHint : 1
; COMPUTE_PGM_RSRC2:SCRATCH_EN: 0
; COMPUTE_PGM_RSRC2:USER_SGPR: 2
; COMPUTE_PGM_RSRC2:TRAP_HANDLER: 0
; COMPUTE_PGM_RSRC2:TGID_X_EN: 1
; COMPUTE_PGM_RSRC2:TGID_Y_EN: 1
; COMPUTE_PGM_RSRC2:TGID_Z_EN: 1
; COMPUTE_PGM_RSRC2:TIDIG_COMP_CNT: 0
; COMPUTE_PGM_RSRC3_GFX90A:ACCUM_OFFSET: 17
; COMPUTE_PGM_RSRC3_GFX90A:TG_SPLIT: 0
	.section	.text._Z39paged_attention_ll4mi_QKV_mfma16_kernelIDF16_DF16_LN4vllm18Fp8KVCacheDataTypeE0EhLi16ELi64ELi256ELb1ELi5EEvPKT_PKT0_S7_ifPKiS9_S9_iPKfiiiPfSC_PS2_PT2_iSB_SB_,"axG",@progbits,_Z39paged_attention_ll4mi_QKV_mfma16_kernelIDF16_DF16_LN4vllm18Fp8KVCacheDataTypeE0EhLi16ELi64ELi256ELb1ELi5EEvPKT_PKT0_S7_ifPKiS9_S9_iPKfiiiPfSC_PS2_PT2_iSB_SB_,comdat
	.protected	_Z39paged_attention_ll4mi_QKV_mfma16_kernelIDF16_DF16_LN4vllm18Fp8KVCacheDataTypeE0EhLi16ELi64ELi256ELb1ELi5EEvPKT_PKT0_S7_ifPKiS9_S9_iPKfiiiPfSC_PS2_PT2_iSB_SB_ ; -- Begin function _Z39paged_attention_ll4mi_QKV_mfma16_kernelIDF16_DF16_LN4vllm18Fp8KVCacheDataTypeE0EhLi16ELi64ELi256ELb1ELi5EEvPKT_PKT0_S7_ifPKiS9_S9_iPKfiiiPfSC_PS2_PT2_iSB_SB_
	.globl	_Z39paged_attention_ll4mi_QKV_mfma16_kernelIDF16_DF16_LN4vllm18Fp8KVCacheDataTypeE0EhLi16ELi64ELi256ELb1ELi5EEvPKT_PKT0_S7_ifPKiS9_S9_iPKfiiiPfSC_PS2_PT2_iSB_SB_
	.p2align	8
	.type	_Z39paged_attention_ll4mi_QKV_mfma16_kernelIDF16_DF16_LN4vllm18Fp8KVCacheDataTypeE0EhLi16ELi64ELi256ELb1ELi5EEvPKT_PKT0_S7_ifPKiS9_S9_iPKfiiiPfSC_PS2_PT2_iSB_SB_,@function
_Z39paged_attention_ll4mi_QKV_mfma16_kernelIDF16_DF16_LN4vllm18Fp8KVCacheDataTypeE0EhLi16ELi64ELi256ELb1ELi5EEvPKT_PKT0_S7_ifPKiS9_S9_iPKfiiiPfSC_PS2_PT2_iSB_SB_: ; @_Z39paged_attention_ll4mi_QKV_mfma16_kernelIDF16_DF16_LN4vllm18Fp8KVCacheDataTypeE0EhLi16ELi64ELi256ELb1ELi5EEvPKT_PKT0_S7_ifPKiS9_S9_iPKfiiiPfSC_PS2_PT2_iSB_SB_
; %bb.0:
	s_load_dwordx2 s[8:9], s[0:1], 0x30
	s_mov_b32 s28, s3
	s_mov_b64 s[6:7], 0
	s_waitcnt lgkmcnt(0)
	s_cmp_lg_u64 s[8:9], 0
	s_cselect_b64 s[10:11], -1, 0
	s_and_b64 vcc, exec, s[10:11]
	s_cbranch_vccz .LBB4_7
; %bb.1:
	s_add_i32 s12, s2, 1
	s_mov_b32 s13, 0
	s_lshl_b64 s[14:15], s[12:13], 2
	s_add_u32 s14, s8, s14
	s_mov_b32 s3, s13
	s_addc_u32 s15, s9, s15
	s_lshl_b64 s[12:13], s[2:3], 2
	s_add_u32 s12, s8, s12
	s_addc_u32 s13, s9, s13
	s_load_dword s5, s[14:15], 0x0
	s_load_dword s16, s[12:13], 0x0
	s_waitcnt lgkmcnt(0)
	s_sub_i32 s5, s5, s16
	s_cmp_eq_u32 s5, 1
	s_cselect_b64 s[12:13], -1, 0
	s_andn2_b64 vcc, exec, s[6:7]
	s_cbranch_vccnz .LBB4_3
.LBB4_2:
	s_mov_b32 s3, 0
	s_mov_b64 s[12:13], -1
.LBB4_3:
	s_andn2_b64 vcc, exec, s[12:13]
	s_cbranch_vccnz .LBB4_20
; %bb.4:
	s_load_dwordx2 s[6:7], s[0:1], 0x28
	s_lshl_b64 s[14:15], s[2:3], 2
	s_waitcnt lgkmcnt(0)
	s_add_u32 s6, s6, s14
	s_addc_u32 s7, s7, s15
	s_load_dword s29, s[6:7], 0x0
	s_lshl_b32 s16, s28, 8
	s_waitcnt lgkmcnt(0)
	s_cmp_ge_i32 s16, s29
	s_cbranch_scc1 .LBB4_20
; %bb.5:
	s_load_dwordx2 s[6:7], s[0:1], 0x20
	s_load_dword s5, s[0:1], 0x38
	s_add_i32 s12, s29, 15
	s_ashr_i32 s13, s12, 31
	v_and_b32_e32 v1, 0xcf, v0
	s_lshr_b32 s13, s13, 28
	v_add_u32_e32 v1, s16, v1
	s_add_i32 s12, s12, s13
	v_ashrrev_i32_e32 v2, 31, v1
	s_ashr_i32 s17, s12, 4
	v_lshrrev_b32_e32 v6, 28, v2
	s_add_i32 s17, s17, -1
	s_waitcnt lgkmcnt(0)
	s_mul_i32 s12, s2, s5
	s_mov_b32 s13, 0
	v_add_u32_e32 v2, v1, v6
	s_lshl_b64 s[12:13], s[12:13], 2
	v_ashrrev_i32_e32 v2, 4, v2
	v_mov_b32_e32 v7, s17
	v_cmp_gt_i32_e32 vcc, s29, v1
	s_add_u32 s6, s6, s12
	s_addc_u32 s7, s7, s13
	v_cndmask_b32_e32 v2, v7, v2, vcc
	v_ashrrev_i32_e32 v3, 31, v2
	v_lshl_add_u64 v[4:5], v[2:3], 2, s[6:7]
	v_or_b32_e32 v2, 16, v1
	v_add_u32_e32 v3, v2, v6
	v_ashrrev_i32_e32 v3, 4, v3
	v_cmp_gt_i32_e32 vcc, s29, v2
	s_load_dwordx2 s[12:13], s[0:1], 0x8
	s_nop 0
	v_cndmask_b32_e32 v2, v7, v3, vcc
	v_ashrrev_i32_e32 v3, 31, v2
	v_lshl_add_u64 v[8:9], v[2:3], 2, s[6:7]
	v_or_b32_e32 v2, 32, v1
	v_add_u32_e32 v3, v2, v6
	v_ashrrev_i32_e32 v3, 4, v3
	v_cmp_gt_i32_e32 vcc, s29, v2
	v_or_b32_e32 v1, 48, v1
	s_nop 0
	v_cndmask_b32_e32 v2, v7, v3, vcc
	v_ashrrev_i32_e32 v3, 31, v2
	v_lshl_add_u64 v[10:11], v[2:3], 2, s[6:7]
	v_add_u32_e32 v2, v1, v6
	v_ashrrev_i32_e32 v2, 4, v2
	v_cmp_gt_i32_e32 vcc, s29, v1
	s_nop 1
	v_cndmask_b32_e32 v2, v7, v2, vcc
	v_ashrrev_i32_e32 v3, 31, v2
	v_lshl_add_u64 v[12:13], v[2:3], 2, s[6:7]
	global_load_dword v3, v[4:5], off
	global_load_dword v2, v[8:9], off
	;; [unrolled: 1-line block ×4, first 2 shown]
	s_andn2_b64 vcc, exec, s[10:11]
	s_cbranch_vccnz .LBB4_8
; %bb.6:
	s_add_u32 s8, s8, s14
	s_addc_u32 s9, s9, s15
	s_load_dword s5, s[8:9], 0x0
	s_branch .LBB4_9
.LBB4_7:
	s_mov_b64 s[12:13], 0
	s_branch .LBB4_2
.LBB4_8:
	s_mov_b32 s5, s2
.LBB4_9:
	s_load_dwordx2 s[8:9], s[0:1], 0x10
	s_load_dwordx4 s[44:47], s[0:1], 0x48
	v_lshrrev_b32_e32 v45, 6, v0
	v_bfe_u32 v54, v0, 4, 2
	v_lshl_or_b32 v1, v45, 2, v54
	v_and_b32_e32 v44, 15, v0
	v_lshlrev_b32_e32 v4, 3, v44
	v_cmp_gt_u32_e32 vcc, 5, v1
	v_cmp_gt_u32_e64 s[30:31], 8, v44
	s_mul_i32 s42, s4, 5
	s_and_b64 s[14:15], s[30:31], vcc
	v_lshlrev_b32_e32 v42, 1, v4
	s_and_saveexec_b64 s[10:11], s[14:15]
	s_cbranch_execz .LBB4_11
; %bb.10:
	s_load_dwordx2 s[14:15], s[0:1], 0x0
	s_waitcnt lgkmcnt(0)
	s_ashr_i32 s18, s44, 31
	s_mul_hi_u32 s19, s5, s44
	s_mul_i32 s18, s5, s18
	s_add_i32 s19, s19, s18
	s_mul_i32 s18, s5, s44
	s_lshl_b64 s[18:19], s[18:19], 1
	s_add_u32 s14, s14, s18
	v_add_lshl_u32 v4, v1, s42, 6
	s_addc_u32 s15, s15, s19
	v_ashrrev_i32_e32 v5, 31, v4
	v_lshl_add_u64 v[4:5], v[4:5], 1, s[14:15]
	v_mov_b32_e32 v43, 0
	v_lshl_add_u64 v[4:5], v[4:5], 0, v[42:43]
	global_load_dwordx4 v[8:11], v[4:5], off
	v_and_b32_e32 v4, 3, v0
	v_lshlrev_b32_e32 v5, 9, v44
	v_lshlrev_b32_e32 v1, 5, v1
	;; [unrolled: 1-line block ×3, first 2 shown]
	v_and_b32_e32 v5, 0x1800, v5
	v_or3_b32 v1, v5, v4, v1
	s_waitcnt vmcnt(0)
	ds_write_b128 v1, v[8:11]
.LBB4_11:
	s_or_b64 exec, exec, s[10:11]
	s_waitcnt lgkmcnt(0)
	s_mul_i32 s4, s4, s46
	s_mov_b32 s5, 0
	s_lshl_b64 s[4:5], s[4:5], 1
	s_add_u32 s10, s12, s4
	v_lshlrev_b32_e32 v1, 4, v0
	s_addc_u32 s11, s13, s5
	v_and_b32_e32 v46, 0xf0, v1
	v_mov_b32_e32 v47, 0
	v_lshl_add_u64 v[16:17], s[10:11], 0, v[46:47]
	s_waitcnt vmcnt(3)
	v_mad_i64_i32 v[4:5], s[10:11], v3, s45, 0
	s_waitcnt vmcnt(2)
	v_mad_i64_i32 v[2:3], s[10:11], v2, s45, 0
	;; [unrolled: 2-line block ×3, first 2 shown]
	v_lshl_add_u64 v[4:5], v[4:5], 1, v[16:17]
	v_and_b32_e32 v46, 0x300, v1
	v_lshl_add_u64 v[2:3], v[2:3], 1, v[16:17]
	v_lshl_add_u64 v[6:7], v[6:7], 1, v[16:17]
	s_waitcnt vmcnt(0)
	v_mad_i64_i32 v[14:15], s[10:11], v14, s45, 0
	v_lshl_add_u64 v[4:5], v[4:5], 0, v[46:47]
	v_lshl_add_u64 v[8:9], v[2:3], 0, v[46:47]
	;; [unrolled: 1-line block ×4, first 2 shown]
	s_barrier
	global_load_dwordx4 v[30:33], v[4:5], off
	global_load_dwordx4 v[10:13], v[4:5], off offset:1024
	global_load_dwordx4 v[22:25], v[8:9], off
	s_nop 0
	global_load_dwordx4 v[2:5], v[8:9], off offset:1024
	global_load_dwordx4 v[26:29], v[18:19], off
	s_nop 0
	global_load_dwordx4 v[6:9], v[18:19], off offset:1024
	v_lshl_add_u64 v[18:19], v[14:15], 0, v[46:47]
	global_load_dwordx4 v[34:37], v[18:19], off
	global_load_dwordx4 v[14:17], v[18:19], off offset:1024
	v_mul_lo_u16_e32 v18, 52, v44
	v_mov_b32_e32 v19, 5
	v_mul_lo_u16_sdwa v18, v18, v19 dst_sel:DWORD dst_unused:UNUSED_PAD src0_sel:BYTE_1 src1_sel:DWORD
	v_sub_u16_e32 v18, v44, v18
	v_lshlrev_b32_sdwa v18, v19, v18 dst_sel:DWORD dst_unused:UNUSED_PAD src0_sel:DWORD src1_sel:BYTE_0
	v_lshl_add_u32 v18, v54, 9, v18
	ds_read_b128 v[38:41], v18
	ds_read_b128 v[18:21], v18 offset:2048
	v_and_b32_e32 v55, 63, v0
	v_cmp_gt_u32_e32 vcc, 5, v44
	v_mov_b32_e32 v56, 0
	s_and_saveexec_b64 s[10:11], vcc
	s_cbranch_execz .LBB4_13
; %bb.12:
	s_load_dwordx2 s[12:13], s[0:1], 0x40
	v_add_u32_e32 v48, s42, v44
	v_ashrrev_i32_e32 v49, 31, v48
	s_waitcnt lgkmcnt(0)
	v_lshl_add_u64 v[48:49], v[48:49], 2, s[12:13]
	global_load_dword v56, v[48:49], off
.LBB4_13:
	s_or_b64 exec, exec, s[10:11]
	v_and_or_b32 v46, v0, 48, s16
	v_ashrrev_i32_e32 v43, 4, v46
	v_mov_b32_e32 v57, s17
	v_cmp_gt_i32_e32 vcc, s29, v46
	s_waitcnt vmcnt(5) lgkmcnt(1)
	v_mfma_f32_16x16x16_f16 v[58:61], v[22:23], v[38:39], 0
	s_load_dword s10, s[0:1], 0x1c
	v_cndmask_b32_e32 v48, v57, v43, vcc
	v_ashrrev_i32_e32 v49, 31, v48
	v_or_b32_e32 v43, 64, v46
	v_lshl_add_u64 v[52:53], v[48:49], 2, s[6:7]
	v_mfma_f32_16x16x16_f16 v[48:51], v[30:31], v[38:39], 0
	v_ashrrev_i32_e32 v30, 4, v43
	v_cmp_gt_i32_e32 vcc, s29, v43
	global_load_dword v70, v[52:53], off
	s_waitcnt vmcnt(4)
	v_mfma_f32_16x16x16_f16 v[62:65], v[26:27], v[38:39], 0
	v_cndmask_b32_e32 v30, v57, v30, vcc
	v_ashrrev_i32_e32 v31, 31, v30
	v_lshl_add_u64 v[22:23], v[30:31], 2, s[6:7]
	global_load_dword v71, v[22:23], off
	v_mfma_f32_16x16x16_f16 v[22:25], v[24:25], v[40:41], v[58:61]
	v_and_b32_e32 v26, 0xc0, v0
	s_add_u32 s4, s8, s4
	v_lshlrev_b32_e32 v43, 5, v44
	v_mfma_f32_16x16x16_f16 v[30:33], v[32:33], v[40:41], v[48:51]
	s_addc_u32 s5, s9, s5
	s_mov_b32 s33, 0xff7fffff
	s_waitcnt vmcnt(3)
	v_mfma_f32_16x16x16_f16 v[66:69], v[34:35], v[38:39], 0
	v_or_b32_e32 v38, 0x80, v46
	v_add_u32_e32 v48, s16, v26
	v_or_b32_e32 v39, 0xc0, v46
	v_mfma_f32_16x16x16_f16 v[26:29], v[28:29], v[40:41], v[62:65]
	v_ashrrev_i32_e32 v49, 4, v38
	v_cmp_gt_i32_e32 vcc, s29, v38
	v_ashrrev_i32_e32 v50, 4, v39
	s_waitcnt lgkmcnt(0)
	v_mfma_f32_16x16x16_f16 v[22:25], v[2:3], v[18:19], v[22:25]
	v_cndmask_b32_e32 v38, v57, v49, vcc
	v_cmp_gt_i32_e32 vcc, s29, v39
	v_ashrrev_i32_e32 v39, 31, v38
	v_mfma_f32_16x16x16_f16 v[30:33], v[10:11], v[18:19], v[30:33]
	v_cndmask_b32_e32 v10, v57, v50, vcc
	v_ashrrev_i32_e32 v11, 31, v10
	v_lshl_or_b32 v58, v54, 2, v48
	v_mfma_f32_16x16x16_f16 v[26:29], v[6:7], v[18:19], v[26:29]
	v_lshl_add_u64 v[6:7], v[38:39], 2, s[6:7]
	v_lshl_add_u64 v[38:39], v[10:11], 2, s[6:7]
	v_or_b32_e32 v57, 1, v58
	v_mfma_f32_16x16x16_f16 v[2:5], v[4:5], v[20:21], v[22:25]
	s_nop 2
	global_load_dword v22, v[6:7], off
	global_load_dword v61, v[38:39], off
	v_subrev_u32_e32 v59, s29, v57
	v_cvt_f32_i32_e32 v60, v59
	v_mfma_f32_16x16x16_f16 v[34:37], v[36:37], v[40:41], v[66:69]
	v_pk_mul_f32 v[48:49], s[10:11], v[4:5] op_sel_hi:[0,1]
	v_lshl_or_b32 v46, v45, 9, v43
	v_lshl_add_u64 v[46:47], s[4:5], 0, v[46:47]
	s_waitcnt vmcnt(4)
	v_mfma_f32_16x16x16_f16 v[34:37], v[14:15], v[18:19], v[34:37]
	v_add_u32_e32 v14, 1, v59
	v_add_u32_e32 v15, 2, v59
	v_cvt_f32_i32_e32 v23, v14
	v_cvt_f32_i32_e32 v24, v15
	v_mfma_f32_16x16x16_f16 v[14:17], v[16:17], v[20:21], v[34:37]
	v_add_u32_e32 v18, 3, v59
	v_cvt_f32_i32_e32 v18, v18
	v_pk_mul_f32 v[50:51], s[10:11], v[2:3] op_sel_hi:[0,1]
	v_mfma_f32_16x16x16_f16 v[10:13], v[12:13], v[20:21], v[30:33]
	v_cmp_gt_i32_e64 s[34:35], s29, v57
	s_nop 1
	v_pk_mul_f32 v[36:37], s[10:11], v[14:15] op_sel_hi:[0,1]
	v_add_u32_e32 v15, 19, v59
	v_add_u32_e32 v31, 18, v59
	v_cvt_f32_i32_e32 v14, v31
	v_cvt_f32_i32_e32 v15, v15
	v_mfma_f32_16x16x16_f16 v[6:9], v[8:9], v[20:21], v[26:29]
	v_pk_mul_f32 v[34:35], s[10:11], v[16:17] op_sel_hi:[0,1]
	v_fma_f32 v48, v56, v14, v48
	v_add_u32_e32 v14, 32, v59
	v_fmac_f32_e32 v49, v56, v15
	v_cvt_f32_i32_e32 v14, v14
	v_add_u32_e32 v15, 33, v59
	v_add_u32_e32 v16, 34, v59
	v_cvt_f32_i32_e32 v15, v15
	v_cvt_f32_i32_e32 v16, v16
	v_add_u32_e32 v17, 35, v59
	v_cvt_f32_i32_e32 v17, v17
	v_pk_mul_f32 v[40:41], s[10:11], v[6:7] op_sel_hi:[0,1]
	v_pk_mul_f32 v[38:39], s[10:11], v[8:9] op_sel_hi:[0,1]
	v_fma_f32 v40, v56, v14, v40
	v_add_u32_e32 v14, 48, v59
	v_fmac_f32_e32 v41, v56, v15
	v_fma_f32 v38, v56, v16, v38
	v_cvt_f32_i32_e32 v14, v14
	v_add_u32_e32 v15, 49, v59
	v_add_u32_e32 v16, 50, v59
	v_fmac_f32_e32 v39, v56, v17
	v_cvt_f32_i32_e32 v15, v15
	v_cvt_f32_i32_e32 v16, v16
	v_add_u32_e32 v17, 51, v59
	v_cvt_f32_i32_e32 v17, v17
	v_pk_mul_f32 v[52:53], s[10:11], v[12:13] op_sel_hi:[0,1]
	v_pk_mul_f32 v[10:11], s[10:11], v[10:11] op_sel_hi:[0,1]
	s_waitcnt vmcnt(3)
	v_mad_i64_i32 v[2:3], s[4:5], v70, s45, 0
	s_waitcnt vmcnt(2)
	v_mad_i64_i32 v[12:13], s[4:5], v71, s45, 0
	v_fma_f32 v10, v56, v60, v10
	v_fmac_f32_e32 v11, v56, v23
	v_fma_f32 v36, v56, v14, v36
	v_mov_b32_e32 v14, 0xff7fffff
	v_cmp_gt_i32_e64 s[4:5], s29, v58
	v_add_u32_e32 v19, 16, v59
	v_add_u32_e32 v30, 17, v59
	v_fmac_f32_e32 v37, v56, v15
	v_fma_f32 v34, v56, v16, v34
	v_cndmask_b32_e64 v15, v14, v10, s[4:5]
	v_cndmask_b32_e64 v16, v14, v11, s[34:35]
	v_cvt_f32_i32_e32 v19, v19
	v_cvt_f32_i32_e32 v25, v30
	v_fmac_f32_e32 v35, v56, v17
	v_max3_f32 v15, v15, s33, v16
	v_or_b32_e32 v16, 2, v58
	v_or_b32_e32 v17, 3, v58
	v_fma_f32 v52, v56, v24, v52
	v_fmac_f32_e32 v53, v56, v18
	v_cmp_gt_i32_e64 s[36:37], s29, v16
	v_cmp_gt_i32_e64 s[38:39], s29, v17
	v_fma_f32 v50, v56, v19, v50
	v_cndmask_b32_e64 v16, v14, v52, s[36:37]
	v_cndmask_b32_e64 v17, v14, v53, s[38:39]
	v_max3_f32 v15, v15, v16, v17
	v_or_b32_e32 v16, 16, v58
	v_or_b32_e32 v17, 17, v58
	v_fmac_f32_e32 v51, v56, v25
	v_cmp_gt_i32_e64 s[24:25], s29, v16
	v_cmp_gt_i32_e64 s[26:27], s29, v17
	v_lshl_add_u64 v[2:3], v[2:3], 1, v[46:47]
	v_cndmask_b32_e64 v16, v14, v50, s[24:25]
	v_cndmask_b32_e64 v17, v14, v51, s[26:27]
	v_max3_f32 v15, v15, v16, v17
	v_or_b32_e32 v16, 18, v58
	v_or_b32_e32 v17, 19, v58
	v_cmp_gt_i32_e64 s[20:21], s29, v16
	v_cmp_gt_i32_e64 s[22:23], s29, v17
	v_lshl_add_u64 v[12:13], v[12:13], 1, v[46:47]
	v_cndmask_b32_e64 v16, v14, v48, s[20:21]
	v_cndmask_b32_e64 v17, v14, v49, s[22:23]
	v_max3_f32 v15, v15, v16, v17
	v_or_b32_e32 v16, 32, v58
	v_or_b32_e32 v17, 33, v58
	v_cmp_gt_i32_e64 s[16:17], s29, v16
	v_cmp_gt_i32_e64 s[18:19], s29, v17
	global_load_dwordx4 v[6:9], v[2:3], off
	s_nop 0
	global_load_dwordx4 v[2:5], v[2:3], off offset:16
	v_cndmask_b32_e64 v16, v14, v40, s[16:17]
	v_cndmask_b32_e64 v17, v14, v41, s[18:19]
	v_max3_f32 v15, v15, v16, v17
	v_or_b32_e32 v16, 34, v58
	v_or_b32_e32 v17, 35, v58
	v_cmp_gt_i32_e64 s[12:13], s29, v16
	v_cmp_gt_i32_e64 s[14:15], s29, v17
	global_load_dwordx4 v[30:33], v[12:13], off
	global_load_dwordx4 v[26:29], v[12:13], off offset:16
	v_cndmask_b32_e64 v16, v14, v38, s[12:13]
	v_cndmask_b32_e64 v17, v14, v39, s[14:15]
	v_max3_f32 v15, v15, v16, v17
	v_or_b32_e32 v16, 48, v58
	v_or_b32_e32 v17, 49, v58
	v_cmp_gt_i32_e64 s[8:9], s29, v16
	v_cmp_gt_i32_e64 s[10:11], s29, v17
	s_nop 0
	v_cndmask_b32_e64 v16, v14, v36, s[8:9]
	v_cndmask_b32_e64 v17, v14, v37, s[10:11]
	v_max3_f32 v15, v15, v16, v17
	v_or_b32_e32 v16, 50, v58
	v_or_b32_e32 v17, 51, v58
	v_cmp_gt_i32_e32 vcc, s29, v16
	v_cmp_gt_i32_e64 s[6:7], s29, v17
	s_nop 0
	v_cndmask_b32_e32 v16, v14, v34, vcc
	v_cndmask_b32_e64 v14, v14, v35, s[6:7]
	v_max3_f32 v14, v15, v16, v14
	v_mbcnt_lo_u32_b32 v15, -1, 0
	v_mbcnt_hi_u32_b32 v15, -1, v15
	v_and_b32_e32 v16, 64, v15
	v_add_u32_e32 v16, 64, v16
	v_xor_b32_e32 v17, 32, v15
	v_cmp_lt_i32_e64 s[40:41], v17, v16
	s_nop 1
	v_cndmask_b32_e64 v17, v15, v17, s[40:41]
	v_lshlrev_b32_e32 v57, 2, v17
	ds_bpermute_b32 v17, v57, v14
	s_waitcnt vmcnt(5)
	v_mad_i64_i32 v[12:13], s[40:41], v22, s45, 0
	v_lshl_add_u64 v[12:13], v[12:13], 1, v[46:47]
	global_load_dwordx4 v[22:25], v[12:13], off
	global_load_dwordx4 v[18:21], v[12:13], off offset:16
	s_waitcnt lgkmcnt(0)
	v_max_f32_e32 v17, v17, v17
	v_max_f32_e32 v14, v14, v17
	v_xor_b32_e32 v17, 16, v15
	v_cmp_lt_i32_e64 s[40:41], v17, v16
	s_nop 1
	v_cndmask_b32_e64 v15, v15, v17, s[40:41]
	v_lshlrev_b32_e32 v59, 2, v15
	ds_bpermute_b32 v15, v59, v14
	s_waitcnt vmcnt(6)
	v_mad_i64_i32 v[12:13], s[40:41], v61, s45, 0
	v_lshl_add_u64 v[12:13], v[12:13], 1, v[46:47]
	s_waitcnt lgkmcnt(0)
	v_max_f32_e32 v15, v15, v15
	v_max_f32_e32 v56, v14, v15
	v_sub_f32_e32 v10, v10, v56
	v_mul_f32_e32 v10, 0x3fb8aa3b, v10
	v_exp_f32_e32 v46, v10
	v_sub_f32_e32 v10, v11, v56
	v_mul_f32_e32 v10, 0x3fb8aa3b, v10
	v_exp_f32_e32 v47, v10
	global_load_dwordx4 v[14:17], v[12:13], off
	s_nop 0
	global_load_dwordx4 v[10:13], v[12:13], off offset:16
	v_sub_f32_e32 v52, v52, v56
	v_mul_f32_e32 v52, 0x3fb8aa3b, v52
	v_sub_f32_e32 v53, v53, v56
	v_exp_f32_e32 v52, v52
	v_mul_f32_e32 v53, 0x3fb8aa3b, v53
	v_sub_f32_e32 v50, v50, v56
	v_exp_f32_e32 v53, v53
	v_mul_f32_e32 v50, 0x3fb8aa3b, v50
	v_sub_f32_e32 v51, v51, v56
	v_cndmask_b32_e64 v46, 0, v46, s[4:5]
	v_exp_f32_e32 v50, v50
	v_mul_f32_e32 v51, 0x3fb8aa3b, v51
	v_sub_f32_e32 v48, v48, v56
	v_add_f32_e32 v58, 0, v46
	v_cndmask_b32_e64 v47, 0, v47, s[34:35]
	v_exp_f32_e32 v51, v51
	v_mul_f32_e32 v48, 0x3fb8aa3b, v48
	v_sub_f32_e32 v49, v49, v56
	v_add_f32_e32 v58, v58, v47
	;; [unrolled: 5-line block ×10, first 2 shown]
	v_cndmask_b32_e64 v38, 0, v38, s[12:13]
	v_exp_f32_e32 v34, v34
	v_mul_f32_e32 v35, 0x3fb8aa3b, v35
	v_add_f32_e32 v58, v58, v38
	v_cndmask_b32_e64 v39, 0, v39, s[14:15]
	v_exp_f32_e32 v35, v35
	v_add_f32_e32 v58, v58, v39
	v_cndmask_b32_e64 v36, 0, v36, s[8:9]
	v_add_f32_e32 v58, v58, v36
	v_cndmask_b32_e64 v37, 0, v37, s[10:11]
	v_add_f32_e32 v58, v58, v37
	v_cndmask_b32_e32 v34, 0, v34, vcc
	v_add_f32_e32 v58, v58, v34
	v_cndmask_b32_e64 v35, 0, v35, s[6:7]
	v_add_f32_e32 v58, v58, v35
	ds_bpermute_b32 v57, v57, v58
	s_load_dword s9, s[0:1], 0x98
	v_cmp_gt_u32_e64 s[6:7], 16, v55
	s_waitcnt lgkmcnt(0)
	s_barrier
	v_add_f32_e32 v58, v58, v57
	ds_bpermute_b32 v59, v59, v58
	v_lshlrev_b32_e32 v57, 2, v44
	s_waitcnt lgkmcnt(0)
	s_and_saveexec_b64 s[4:5], s[6:7]
	s_cbranch_execz .LBB4_15
; %bb.14:
	v_add_f32_e32 v55, v58, v59
	v_lshl_or_b32 v58, v45, 6, v57
	ds_write2st64_b32 v58, v56, v55 offset1:1
.LBB4_15:
	s_or_b64 exec, exec, s[4:5]
	s_load_dword s8, s[0:1], 0x94
	s_waitcnt lgkmcnt(0)
	s_barrier
	ds_read2_b32 v[58:59], v57 offset1:16
	ds_read2_b32 v[60:61], v57 offset0:32 offset1:48
	ds_read2_b32 v[62:63], v57 offset0:64 offset1:80
	s_mul_i32 s9, s9, 5
	s_waitcnt lgkmcnt(2)
	v_max3_f32 v55, v58, s33, v59
	s_waitcnt lgkmcnt(1)
	v_max3_f32 v55, v55, v60, v61
	v_sub_f32_e32 v56, v58, v55
	v_mul_f32_e32 v56, 0x3fb8aa3b, v56
	v_exp_f32_e32 v64, v56
	v_sub_f32_e32 v56, v59, v55
	v_mul_f32_e32 v56, 0x3fb8aa3b, v56
	v_exp_f32_e32 v65, v56
	;; [unrolled: 3-line block ×3, first 2 shown]
	ds_read2_b32 v[58:59], v57 offset0:96 offset1:112
	v_sub_f32_e32 v56, v61, v55
	v_mul_f32_e32 v56, 0x3fb8aa3b, v56
	v_exp_f32_e32 v57, v56
	s_waitcnt lgkmcnt(1)
	v_fma_f32 v56, v64, v62, 0
	v_fmac_f32_e32 v56, v65, v63
	s_waitcnt lgkmcnt(0)
	v_fmac_f32_e32 v56, v60, v58
	v_fmac_f32_e32 v56, v57, v59
	v_add_f32_e32 v58, 0x358637bd, v56
	v_div_scale_f32 v59, s[4:5], v58, v58, 1.0
	v_rcp_f32_e32 v61, v59
	s_barrier
	v_fma_f32 v62, -v59, v61, 1.0
	v_fmac_f32_e32 v61, v62, v61
	v_div_scale_f32 v62, vcc, 1.0, v58, 1.0
	v_mul_f32_e32 v63, v62, v61
	v_fma_f32 v66, -v59, v63, v62
	v_fmac_f32_e32 v63, v66, v61
	v_fma_f32 v59, -v59, v63, v62
	v_div_fmas_f32 v59, v59, v61, v63
	v_cmp_eq_u32_e32 vcc, 1, v45
	v_div_fixup_f32 v58, v59, v58, 1.0
	s_nop 0
	v_cndmask_b32_e32 v59, v64, v65, vcc
	v_cmp_eq_u32_e32 vcc, 2, v45
	s_nop 1
	v_cndmask_b32_e32 v59, v59, v60, vcc
	v_cmp_eq_u32_e32 vcc, 3, v45
	v_lshlrev_b32_e32 v45, 11, v45
	s_nop 0
	v_cndmask_b32_e32 v57, v59, v57, vcc
	v_mul_f32_e32 v58, v57, v58
	v_pk_mul_f32 v[46:47], v[58:59], v[46:47] op_sel_hi:[0,1]
	v_cvt_f16_f32_e32 v46, v46
	v_cvt_f16_f32_e32 v47, v47
	v_pk_mul_f32 v[52:53], v[58:59], v[52:53] op_sel_hi:[0,1]
	v_cvt_f16_f32_e32 v57, v52
	v_cvt_f16_f32_e32 v53, v53
	v_pack_b32_f16 v52, v46, v47
	v_pk_mul_f32 v[46:47], v[58:59], v[48:49] op_sel_hi:[0,1]
	v_pk_mul_f32 v[48:49], v[58:59], v[50:51] op_sel_hi:[0,1]
	v_cvt_f16_f32_e32 v48, v48
	v_cvt_f16_f32_e32 v49, v49
	;; [unrolled: 1-line block ×4, first 2 shown]
	v_pack_b32_f16 v53, v57, v53
	v_lshlrev_b32_e32 v57, 3, v54
	v_pk_mul_f32 v[38:39], v[58:59], v[38:39] op_sel_hi:[0,1]
	v_pk_mul_f32 v[40:41], v[58:59], v[40:41] op_sel_hi:[0,1]
	;; [unrolled: 1-line block ×4, first 2 shown]
	v_or3_b32 v46, v45, v43, v57
	v_pack_b32_f16 v48, v48, v49
	v_pack_b32_f16 v49, v50, v47
	v_cvt_f16_f32_e32 v40, v40
	v_cvt_f16_f32_e32 v41, v41
	;; [unrolled: 1-line block ×8, first 2 shown]
	v_pack_b32_f16 v34, v40, v41
	v_pack_b32_f16 v35, v38, v39
	;; [unrolled: 1-line block ×4, first 2 shown]
	v_cmp_gt_u32_e32 vcc, 5, v0
	ds_write2st64_b64 v46, v[52:53], v[48:49] offset1:1
	ds_write2st64_b64 v46, v[34:35], v[36:37] offset0:2 offset1:3
	s_and_saveexec_b64 s[4:5], vcc
	s_cbranch_execz .LBB4_17
; %bb.16:
	s_mov_b32 s43, 0
	v_mov_b32_e32 v45, 0
	v_lshl_add_u64 v[34:35], s[42:43], 0, v[44:45]
	v_mov_b32_e32 v36, s9
	v_mad_u64_u32 v[34:35], s[10:11], s2, v36, v[34:35]
	s_mul_i32 s3, s3, s9
	v_mov_b32_e32 v44, s28
	s_load_dwordx4 s[12:15], s[0:1], 0x58
	v_add_u32_e32 v37, s3, v35
	v_mad_u64_u32 v[34:35], s[10:11], v34, s8, v[44:45]
	v_mov_b32_e32 v36, v35
	v_mad_u64_u32 v[36:37], s[10:11], v37, s8, v[36:37]
	v_mov_b32_e32 v35, v36
	v_lshlrev_b64 v[34:35], 2, v[34:35]
	s_waitcnt lgkmcnt(0)
	v_lshl_add_u64 v[36:37], s[14:15], 0, v[34:35]
	v_lshl_add_u64 v[34:35], s[12:13], 0, v[34:35]
	global_store_dword v[36:37], v55, off
	global_store_dword v[34:35], v56, off
.LBB4_17:
	s_or_b64 exec, exec, s[4:5]
	v_lshl_or_b32 v43, v54, 9, v43
	s_waitcnt lgkmcnt(0)
	s_barrier
	ds_read_b128 v[34:37], v43
	ds_read_b128 v[38:41], v43 offset:16
	s_waitcnt vmcnt(7) lgkmcnt(1)
	v_mfma_f32_16x16x16_f16 v[48:51], v[6:7], v[34:35], 0
	v_cmp_gt_u32_e32 vcc, 64, v0
	s_mov_b32 s3, 0
	s_and_b64 s[4:5], vcc, s[30:31]
	v_mfma_f32_16x16x16_f16 v[6:9], v[8:9], v[36:37], v[48:51]
	s_waitcnt vmcnt(6) lgkmcnt(0)
	v_mfma_f32_16x16x16_f16 v[6:9], v[2:3], v[38:39], v[6:9]
	v_mfma_f32_16x16x16_f16 v[2:5], v[4:5], v[40:41], v[6:9]
	s_nop 5
	ds_read_b128 v[6:9], v43 offset:2048
	ds_read_b128 v[34:37], v43 offset:2064
	s_waitcnt vmcnt(5) lgkmcnt(1)
	v_mfma_f32_16x16x16_f16 v[2:5], v[30:31], v[6:7], v[2:5]
	v_mfma_f32_16x16x16_f16 v[2:5], v[32:33], v[8:9], v[2:5]
	s_waitcnt vmcnt(4) lgkmcnt(0)
	v_mfma_f32_16x16x16_f16 v[2:5], v[26:27], v[34:35], v[2:5]
	v_mfma_f32_16x16x16_f16 v[2:5], v[28:29], v[36:37], v[2:5]
	ds_read_b128 v[6:9], v43 offset:4096
	ds_read_b128 v[26:29], v43 offset:4112
	s_waitcnt vmcnt(3) lgkmcnt(1)
	v_mfma_f32_16x16x16_f16 v[2:5], v[22:23], v[6:7], v[2:5]
	v_mfma_f32_16x16x16_f16 v[2:5], v[24:25], v[8:9], v[2:5]
	s_waitcnt vmcnt(2) lgkmcnt(0)
	v_mfma_f32_16x16x16_f16 v[2:5], v[18:19], v[26:27], v[2:5]
	v_mfma_f32_16x16x16_f16 v[2:5], v[20:21], v[28:29], v[2:5]
	ds_read_b128 v[6:9], v43 offset:6144
	ds_read_b128 v[18:21], v43 offset:6160
	v_mov_b32_e32 v43, 0
	s_waitcnt vmcnt(1) lgkmcnt(0)
	v_mfma_f32_16x16x16_f16 v[2:5], v[14:15], v[6:7], v[2:5]
	s_barrier
	v_mfma_f32_16x16x16_f16 v[2:5], v[16:17], v[8:9], v[2:5]
	s_waitcnt vmcnt(0)
	v_mfma_f32_16x16x16_f16 v[2:5], v[10:11], v[18:19], v[2:5]
	v_mfma_f32_16x16x16_f16 v[2:5], v[12:13], v[20:21], v[2:5]
	s_nop 6
	v_cvt_f16_f32_e32 v2, v2
	v_cvt_f16_f32_e32 v3, v3
	;; [unrolled: 1-line block ×4, first 2 shown]
	v_pack_b32_f16 v2, v2, v3
	v_pack_b32_f16 v3, v4, v5
	ds_write_b64 v46, v[2:3]
	s_waitcnt lgkmcnt(0)
	s_barrier
	s_and_saveexec_b64 s[10:11], s[4:5]
	s_cbranch_execz .LBB4_20
; %bb.18:
	s_load_dwordx2 s[4:5], s[0:1], 0x68
	s_lshl_b32 s0, s8, 6
	s_mul_i32 s1, s9, s2
	s_mul_hi_u32 s9, s1, s0
	s_mul_i32 s8, s1, s0
	v_lshlrev_b32_e32 v0, 10, v0
	s_lshl_b64 s[8:9], s[8:9], 1
	v_and_b32_e32 v0, 0x1800, v0
	v_lshlrev_b32_e32 v2, 5, v54
	v_and_b32_e32 v1, 16, v1
	s_waitcnt lgkmcnt(0)
	s_add_u32 s1, s4, s8
	v_or3_b32 v2, v0, v2, v1
	s_addc_u32 s4, s5, s9
	s_lshl_b32 s2, s28, 6
	s_lshl_b64 s[2:3], s[2:3], 1
	ds_read_b128 v[4:7], v2
	s_add_u32 s2, s1, s2
	s_addc_u32 s3, s4, s3
	v_add_u32_e32 v3, s42, v54
	v_lshl_add_u64 v[0:1], s[2:3], 0, v[42:43]
	v_mad_u64_u32 v[8:9], s[2:3], v3, s0, 0
	v_lshl_add_u64 v[8:9], v[8:9], 1, v[0:1]
	s_waitcnt lgkmcnt(0)
	global_store_dwordx4 v[8:9], v[4:7], off
	s_and_b64 exec, exec, s[6:7]
	s_cbranch_execz .LBB4_20
; %bb.19:
	ds_read_b128 v[2:5], v2 offset:128
	v_add3_u32 v6, s42, v54, 4
	v_mad_u64_u32 v[6:7], s[0:1], v6, s0, 0
	v_lshl_add_u64 v[0:1], v[6:7], 1, v[0:1]
	s_waitcnt lgkmcnt(0)
	global_store_dwordx4 v[0:1], v[2:5], off
.LBB4_20:
	s_endpgm
	.section	.rodata,"a",@progbits
	.p2align	6, 0x0
	.amdhsa_kernel _Z39paged_attention_ll4mi_QKV_mfma16_kernelIDF16_DF16_LN4vllm18Fp8KVCacheDataTypeE0EhLi16ELi64ELi256ELb1ELi5EEvPKT_PKT0_S7_ifPKiS9_S9_iPKfiiiPfSC_PS2_PT2_iSB_SB_
		.amdhsa_group_segment_fixed_size 8192
		.amdhsa_private_segment_fixed_size 0
		.amdhsa_kernarg_size 400
		.amdhsa_user_sgpr_count 2
		.amdhsa_user_sgpr_dispatch_ptr 0
		.amdhsa_user_sgpr_queue_ptr 0
		.amdhsa_user_sgpr_kernarg_segment_ptr 1
		.amdhsa_user_sgpr_dispatch_id 0
		.amdhsa_user_sgpr_kernarg_preload_length 0
		.amdhsa_user_sgpr_kernarg_preload_offset 0
		.amdhsa_user_sgpr_private_segment_size 0
		.amdhsa_uses_dynamic_stack 0
		.amdhsa_enable_private_segment 0
		.amdhsa_system_sgpr_workgroup_id_x 1
		.amdhsa_system_sgpr_workgroup_id_y 1
		.amdhsa_system_sgpr_workgroup_id_z 1
		.amdhsa_system_sgpr_workgroup_info 0
		.amdhsa_system_vgpr_workitem_id 0
		.amdhsa_next_free_vgpr 72
		.amdhsa_next_free_sgpr 48
		.amdhsa_accum_offset 72
		.amdhsa_reserve_vcc 1
		.amdhsa_float_round_mode_32 0
		.amdhsa_float_round_mode_16_64 0
		.amdhsa_float_denorm_mode_32 3
		.amdhsa_float_denorm_mode_16_64 3
		.amdhsa_dx10_clamp 1
		.amdhsa_ieee_mode 1
		.amdhsa_fp16_overflow 0
		.amdhsa_tg_split 0
		.amdhsa_exception_fp_ieee_invalid_op 0
		.amdhsa_exception_fp_denorm_src 0
		.amdhsa_exception_fp_ieee_div_zero 0
		.amdhsa_exception_fp_ieee_overflow 0
		.amdhsa_exception_fp_ieee_underflow 0
		.amdhsa_exception_fp_ieee_inexact 0
		.amdhsa_exception_int_div_zero 0
	.end_amdhsa_kernel
	.section	.text._Z39paged_attention_ll4mi_QKV_mfma16_kernelIDF16_DF16_LN4vllm18Fp8KVCacheDataTypeE0EhLi16ELi64ELi256ELb1ELi5EEvPKT_PKT0_S7_ifPKiS9_S9_iPKfiiiPfSC_PS2_PT2_iSB_SB_,"axG",@progbits,_Z39paged_attention_ll4mi_QKV_mfma16_kernelIDF16_DF16_LN4vllm18Fp8KVCacheDataTypeE0EhLi16ELi64ELi256ELb1ELi5EEvPKT_PKT0_S7_ifPKiS9_S9_iPKfiiiPfSC_PS2_PT2_iSB_SB_,comdat
.Lfunc_end4:
	.size	_Z39paged_attention_ll4mi_QKV_mfma16_kernelIDF16_DF16_LN4vllm18Fp8KVCacheDataTypeE0EhLi16ELi64ELi256ELb1ELi5EEvPKT_PKT0_S7_ifPKiS9_S9_iPKfiiiPfSC_PS2_PT2_iSB_SB_, .Lfunc_end4-_Z39paged_attention_ll4mi_QKV_mfma16_kernelIDF16_DF16_LN4vllm18Fp8KVCacheDataTypeE0EhLi16ELi64ELi256ELb1ELi5EEvPKT_PKT0_S7_ifPKiS9_S9_iPKfiiiPfSC_PS2_PT2_iSB_SB_
                                        ; -- End function
	.section	.AMDGPU.csdata,"",@progbits
; Kernel info:
; codeLenInByte = 4060
; NumSgprs: 54
; NumVgprs: 72
; NumAgprs: 0
; TotalNumVgprs: 72
; ScratchSize: 0
; MemoryBound: 0
; FloatMode: 240
; IeeeMode: 1
; LDSByteSize: 8192 bytes/workgroup (compile time only)
; SGPRBlocks: 6
; VGPRBlocks: 8
; NumSGPRsForWavesPerEU: 54
; NumVGPRsForWavesPerEU: 72
; AccumOffset: 72
; Occupancy: 7
; WaveLimiterHint : 1
; COMPUTE_PGM_RSRC2:SCRATCH_EN: 0
; COMPUTE_PGM_RSRC2:USER_SGPR: 2
; COMPUTE_PGM_RSRC2:TRAP_HANDLER: 0
; COMPUTE_PGM_RSRC2:TGID_X_EN: 1
; COMPUTE_PGM_RSRC2:TGID_Y_EN: 1
; COMPUTE_PGM_RSRC2:TGID_Z_EN: 1
; COMPUTE_PGM_RSRC2:TIDIG_COMP_CNT: 0
; COMPUTE_PGM_RSRC3_GFX90A:ACCUM_OFFSET: 17
; COMPUTE_PGM_RSRC3_GFX90A:TG_SPLIT: 0
	.section	.text._Z39paged_attention_ll4mi_QKV_mfma16_kernelIDF16_DF16_LN4vllm18Fp8KVCacheDataTypeE0EhLi16ELi64ELi256ELb1ELi6EEvPKT_PKT0_S7_ifPKiS9_S9_iPKfiiiPfSC_PS2_PT2_iSB_SB_,"axG",@progbits,_Z39paged_attention_ll4mi_QKV_mfma16_kernelIDF16_DF16_LN4vllm18Fp8KVCacheDataTypeE0EhLi16ELi64ELi256ELb1ELi6EEvPKT_PKT0_S7_ifPKiS9_S9_iPKfiiiPfSC_PS2_PT2_iSB_SB_,comdat
	.protected	_Z39paged_attention_ll4mi_QKV_mfma16_kernelIDF16_DF16_LN4vllm18Fp8KVCacheDataTypeE0EhLi16ELi64ELi256ELb1ELi6EEvPKT_PKT0_S7_ifPKiS9_S9_iPKfiiiPfSC_PS2_PT2_iSB_SB_ ; -- Begin function _Z39paged_attention_ll4mi_QKV_mfma16_kernelIDF16_DF16_LN4vllm18Fp8KVCacheDataTypeE0EhLi16ELi64ELi256ELb1ELi6EEvPKT_PKT0_S7_ifPKiS9_S9_iPKfiiiPfSC_PS2_PT2_iSB_SB_
	.globl	_Z39paged_attention_ll4mi_QKV_mfma16_kernelIDF16_DF16_LN4vllm18Fp8KVCacheDataTypeE0EhLi16ELi64ELi256ELb1ELi6EEvPKT_PKT0_S7_ifPKiS9_S9_iPKfiiiPfSC_PS2_PT2_iSB_SB_
	.p2align	8
	.type	_Z39paged_attention_ll4mi_QKV_mfma16_kernelIDF16_DF16_LN4vllm18Fp8KVCacheDataTypeE0EhLi16ELi64ELi256ELb1ELi6EEvPKT_PKT0_S7_ifPKiS9_S9_iPKfiiiPfSC_PS2_PT2_iSB_SB_,@function
_Z39paged_attention_ll4mi_QKV_mfma16_kernelIDF16_DF16_LN4vllm18Fp8KVCacheDataTypeE0EhLi16ELi64ELi256ELb1ELi6EEvPKT_PKT0_S7_ifPKiS9_S9_iPKfiiiPfSC_PS2_PT2_iSB_SB_: ; @_Z39paged_attention_ll4mi_QKV_mfma16_kernelIDF16_DF16_LN4vllm18Fp8KVCacheDataTypeE0EhLi16ELi64ELi256ELb1ELi6EEvPKT_PKT0_S7_ifPKiS9_S9_iPKfiiiPfSC_PS2_PT2_iSB_SB_
; %bb.0:
	s_load_dwordx2 s[8:9], s[0:1], 0x30
	s_mov_b32 s28, s3
	s_mov_b64 s[6:7], 0
	s_waitcnt lgkmcnt(0)
	s_cmp_lg_u64 s[8:9], 0
	s_cselect_b64 s[10:11], -1, 0
	s_and_b64 vcc, exec, s[10:11]
	s_cbranch_vccz .LBB5_7
; %bb.1:
	s_add_i32 s12, s2, 1
	s_mov_b32 s13, 0
	s_lshl_b64 s[14:15], s[12:13], 2
	s_add_u32 s14, s8, s14
	s_mov_b32 s3, s13
	s_addc_u32 s15, s9, s15
	s_lshl_b64 s[12:13], s[2:3], 2
	s_add_u32 s12, s8, s12
	s_addc_u32 s13, s9, s13
	s_load_dword s5, s[14:15], 0x0
	s_load_dword s16, s[12:13], 0x0
	s_waitcnt lgkmcnt(0)
	s_sub_i32 s5, s5, s16
	s_cmp_eq_u32 s5, 1
	s_cselect_b64 s[12:13], -1, 0
	s_andn2_b64 vcc, exec, s[6:7]
	s_cbranch_vccnz .LBB5_3
.LBB5_2:
	s_mov_b32 s3, 0
	s_mov_b64 s[12:13], -1
.LBB5_3:
	s_andn2_b64 vcc, exec, s[12:13]
	s_cbranch_vccnz .LBB5_20
; %bb.4:
	s_load_dwordx2 s[6:7], s[0:1], 0x28
	s_lshl_b64 s[14:15], s[2:3], 2
	s_waitcnt lgkmcnt(0)
	s_add_u32 s6, s6, s14
	s_addc_u32 s7, s7, s15
	s_load_dword s29, s[6:7], 0x0
	s_lshl_b32 s16, s28, 8
	s_waitcnt lgkmcnt(0)
	s_cmp_ge_i32 s16, s29
	s_cbranch_scc1 .LBB5_20
; %bb.5:
	s_load_dwordx2 s[6:7], s[0:1], 0x20
	s_load_dword s5, s[0:1], 0x38
	s_add_i32 s12, s29, 15
	s_ashr_i32 s13, s12, 31
	v_and_b32_e32 v1, 0xcf, v0
	s_lshr_b32 s13, s13, 28
	v_add_u32_e32 v1, s16, v1
	s_add_i32 s12, s12, s13
	v_ashrrev_i32_e32 v2, 31, v1
	s_ashr_i32 s17, s12, 4
	v_lshrrev_b32_e32 v6, 28, v2
	s_add_i32 s17, s17, -1
	s_waitcnt lgkmcnt(0)
	s_mul_i32 s12, s2, s5
	s_mov_b32 s13, 0
	v_add_u32_e32 v2, v1, v6
	s_lshl_b64 s[12:13], s[12:13], 2
	v_ashrrev_i32_e32 v2, 4, v2
	v_mov_b32_e32 v7, s17
	v_cmp_gt_i32_e32 vcc, s29, v1
	s_add_u32 s6, s6, s12
	s_addc_u32 s7, s7, s13
	v_cndmask_b32_e32 v2, v7, v2, vcc
	v_ashrrev_i32_e32 v3, 31, v2
	v_lshl_add_u64 v[4:5], v[2:3], 2, s[6:7]
	v_or_b32_e32 v2, 16, v1
	v_add_u32_e32 v3, v2, v6
	v_ashrrev_i32_e32 v3, 4, v3
	v_cmp_gt_i32_e32 vcc, s29, v2
	s_load_dwordx2 s[12:13], s[0:1], 0x8
	s_nop 0
	v_cndmask_b32_e32 v2, v7, v3, vcc
	v_ashrrev_i32_e32 v3, 31, v2
	v_lshl_add_u64 v[8:9], v[2:3], 2, s[6:7]
	v_or_b32_e32 v2, 32, v1
	v_add_u32_e32 v3, v2, v6
	v_ashrrev_i32_e32 v3, 4, v3
	v_cmp_gt_i32_e32 vcc, s29, v2
	v_or_b32_e32 v1, 48, v1
	s_nop 0
	v_cndmask_b32_e32 v2, v7, v3, vcc
	v_ashrrev_i32_e32 v3, 31, v2
	v_lshl_add_u64 v[10:11], v[2:3], 2, s[6:7]
	v_add_u32_e32 v2, v1, v6
	v_ashrrev_i32_e32 v2, 4, v2
	v_cmp_gt_i32_e32 vcc, s29, v1
	s_nop 1
	v_cndmask_b32_e32 v2, v7, v2, vcc
	v_ashrrev_i32_e32 v3, 31, v2
	v_lshl_add_u64 v[12:13], v[2:3], 2, s[6:7]
	global_load_dword v3, v[4:5], off
	global_load_dword v2, v[8:9], off
	;; [unrolled: 1-line block ×4, first 2 shown]
	s_andn2_b64 vcc, exec, s[10:11]
	s_cbranch_vccnz .LBB5_8
; %bb.6:
	s_add_u32 s8, s8, s14
	s_addc_u32 s9, s9, s15
	s_load_dword s5, s[8:9], 0x0
	s_branch .LBB5_9
.LBB5_7:
	s_mov_b64 s[12:13], 0
	s_branch .LBB5_2
.LBB5_8:
	s_mov_b32 s5, s2
.LBB5_9:
	s_load_dwordx2 s[8:9], s[0:1], 0x10
	s_load_dwordx4 s[44:47], s[0:1], 0x48
	v_lshrrev_b32_e32 v45, 6, v0
	v_bfe_u32 v54, v0, 4, 2
	v_lshl_or_b32 v1, v45, 2, v54
	v_and_b32_e32 v44, 15, v0
	v_lshlrev_b32_e32 v4, 3, v44
	v_cmp_gt_u32_e32 vcc, 6, v1
	v_cmp_gt_u32_e64 s[30:31], 8, v44
	s_mul_i32 s42, s4, 6
	s_and_b64 s[14:15], s[30:31], vcc
	v_lshlrev_b32_e32 v42, 1, v4
	s_and_saveexec_b64 s[10:11], s[14:15]
	s_cbranch_execz .LBB5_11
; %bb.10:
	s_load_dwordx2 s[14:15], s[0:1], 0x0
	s_waitcnt lgkmcnt(0)
	s_ashr_i32 s18, s44, 31
	s_mul_hi_u32 s19, s5, s44
	s_mul_i32 s18, s5, s18
	s_add_i32 s19, s19, s18
	s_mul_i32 s18, s5, s44
	s_lshl_b64 s[18:19], s[18:19], 1
	s_add_u32 s14, s14, s18
	v_add_lshl_u32 v4, v1, s42, 6
	s_addc_u32 s15, s15, s19
	v_ashrrev_i32_e32 v5, 31, v4
	v_lshl_add_u64 v[4:5], v[4:5], 1, s[14:15]
	v_mov_b32_e32 v43, 0
	v_lshl_add_u64 v[4:5], v[4:5], 0, v[42:43]
	global_load_dwordx4 v[8:11], v[4:5], off
	v_and_b32_e32 v4, 3, v0
	v_lshlrev_b32_e32 v5, 9, v44
	v_lshlrev_b32_e32 v1, 5, v1
	;; [unrolled: 1-line block ×3, first 2 shown]
	v_and_b32_e32 v5, 0x1800, v5
	v_or3_b32 v1, v5, v4, v1
	s_waitcnt vmcnt(0)
	ds_write_b128 v1, v[8:11]
.LBB5_11:
	s_or_b64 exec, exec, s[10:11]
	s_waitcnt lgkmcnt(0)
	s_mul_i32 s4, s4, s46
	s_mov_b32 s5, 0
	s_lshl_b64 s[4:5], s[4:5], 1
	s_add_u32 s10, s12, s4
	v_lshlrev_b32_e32 v1, 4, v0
	s_addc_u32 s11, s13, s5
	v_and_b32_e32 v46, 0xf0, v1
	v_mov_b32_e32 v47, 0
	v_lshl_add_u64 v[16:17], s[10:11], 0, v[46:47]
	s_waitcnt vmcnt(3)
	v_mad_i64_i32 v[4:5], s[10:11], v3, s45, 0
	s_waitcnt vmcnt(2)
	v_mad_i64_i32 v[2:3], s[10:11], v2, s45, 0
	;; [unrolled: 2-line block ×3, first 2 shown]
	v_lshl_add_u64 v[4:5], v[4:5], 1, v[16:17]
	v_and_b32_e32 v46, 0x300, v1
	v_lshl_add_u64 v[2:3], v[2:3], 1, v[16:17]
	v_lshl_add_u64 v[6:7], v[6:7], 1, v[16:17]
	s_waitcnt vmcnt(0)
	v_mad_i64_i32 v[14:15], s[10:11], v14, s45, 0
	v_lshl_add_u64 v[4:5], v[4:5], 0, v[46:47]
	v_lshl_add_u64 v[8:9], v[2:3], 0, v[46:47]
	v_lshl_add_u64 v[18:19], v[6:7], 0, v[46:47]
	v_lshl_add_u64 v[14:15], v[14:15], 1, v[16:17]
	s_barrier
	global_load_dwordx4 v[30:33], v[4:5], off
	global_load_dwordx4 v[10:13], v[4:5], off offset:1024
	global_load_dwordx4 v[22:25], v[8:9], off
	s_nop 0
	global_load_dwordx4 v[2:5], v[8:9], off offset:1024
	global_load_dwordx4 v[26:29], v[18:19], off
	s_nop 0
	global_load_dwordx4 v[6:9], v[18:19], off offset:1024
	v_lshl_add_u64 v[18:19], v[14:15], 0, v[46:47]
	global_load_dwordx4 v[34:37], v[18:19], off
	global_load_dwordx4 v[14:17], v[18:19], off offset:1024
	v_mul_lo_u16_e32 v18, 43, v44
	v_mov_b32_e32 v19, 6
	v_mul_lo_u16_sdwa v18, v18, v19 dst_sel:DWORD dst_unused:UNUSED_PAD src0_sel:BYTE_1 src1_sel:DWORD
	v_sub_u16_e32 v18, v44, v18
	v_mov_b32_e32 v19, 5
	v_lshlrev_b32_sdwa v18, v19, v18 dst_sel:DWORD dst_unused:UNUSED_PAD src0_sel:DWORD src1_sel:BYTE_0
	v_lshl_add_u32 v18, v54, 9, v18
	ds_read_b128 v[38:41], v18
	ds_read_b128 v[18:21], v18 offset:2048
	v_and_b32_e32 v55, 63, v0
	v_cmp_gt_u32_e32 vcc, 6, v44
	v_mov_b32_e32 v56, 0
	s_and_saveexec_b64 s[10:11], vcc
	s_cbranch_execz .LBB5_13
; %bb.12:
	s_load_dwordx2 s[12:13], s[0:1], 0x40
	v_add_u32_e32 v48, s42, v44
	v_ashrrev_i32_e32 v49, 31, v48
	s_waitcnt lgkmcnt(0)
	v_lshl_add_u64 v[48:49], v[48:49], 2, s[12:13]
	global_load_dword v56, v[48:49], off
.LBB5_13:
	s_or_b64 exec, exec, s[10:11]
	v_and_or_b32 v46, v0, 48, s16
	v_ashrrev_i32_e32 v43, 4, v46
	v_mov_b32_e32 v57, s17
	v_cmp_gt_i32_e32 vcc, s29, v46
	s_waitcnt vmcnt(5) lgkmcnt(1)
	v_mfma_f32_16x16x16_f16 v[58:61], v[22:23], v[38:39], 0
	s_load_dword s10, s[0:1], 0x1c
	v_cndmask_b32_e32 v48, v57, v43, vcc
	v_ashrrev_i32_e32 v49, 31, v48
	v_or_b32_e32 v43, 64, v46
	v_lshl_add_u64 v[52:53], v[48:49], 2, s[6:7]
	v_mfma_f32_16x16x16_f16 v[48:51], v[30:31], v[38:39], 0
	v_ashrrev_i32_e32 v30, 4, v43
	v_cmp_gt_i32_e32 vcc, s29, v43
	global_load_dword v70, v[52:53], off
	s_waitcnt vmcnt(4)
	v_mfma_f32_16x16x16_f16 v[62:65], v[26:27], v[38:39], 0
	v_cndmask_b32_e32 v30, v57, v30, vcc
	v_ashrrev_i32_e32 v31, 31, v30
	v_lshl_add_u64 v[22:23], v[30:31], 2, s[6:7]
	global_load_dword v71, v[22:23], off
	v_mfma_f32_16x16x16_f16 v[22:25], v[24:25], v[40:41], v[58:61]
	v_and_b32_e32 v26, 0xc0, v0
	s_add_u32 s4, s8, s4
	v_lshlrev_b32_e32 v43, 5, v44
	v_mfma_f32_16x16x16_f16 v[30:33], v[32:33], v[40:41], v[48:51]
	s_addc_u32 s5, s9, s5
	s_mov_b32 s33, 0xff7fffff
	s_waitcnt vmcnt(3)
	v_mfma_f32_16x16x16_f16 v[66:69], v[34:35], v[38:39], 0
	v_or_b32_e32 v38, 0x80, v46
	v_add_u32_e32 v48, s16, v26
	v_or_b32_e32 v39, 0xc0, v46
	v_mfma_f32_16x16x16_f16 v[26:29], v[28:29], v[40:41], v[62:65]
	v_ashrrev_i32_e32 v49, 4, v38
	v_cmp_gt_i32_e32 vcc, s29, v38
	v_ashrrev_i32_e32 v50, 4, v39
	s_waitcnt lgkmcnt(0)
	v_mfma_f32_16x16x16_f16 v[22:25], v[2:3], v[18:19], v[22:25]
	v_cndmask_b32_e32 v38, v57, v49, vcc
	v_cmp_gt_i32_e32 vcc, s29, v39
	v_ashrrev_i32_e32 v39, 31, v38
	v_mfma_f32_16x16x16_f16 v[30:33], v[10:11], v[18:19], v[30:33]
	v_cndmask_b32_e32 v10, v57, v50, vcc
	v_ashrrev_i32_e32 v11, 31, v10
	v_lshl_or_b32 v58, v54, 2, v48
	v_mfma_f32_16x16x16_f16 v[26:29], v[6:7], v[18:19], v[26:29]
	v_lshl_add_u64 v[6:7], v[38:39], 2, s[6:7]
	v_lshl_add_u64 v[38:39], v[10:11], 2, s[6:7]
	v_or_b32_e32 v57, 1, v58
	v_mfma_f32_16x16x16_f16 v[2:5], v[4:5], v[20:21], v[22:25]
	s_nop 2
	global_load_dword v22, v[6:7], off
	global_load_dword v61, v[38:39], off
	v_subrev_u32_e32 v59, s29, v57
	v_cvt_f32_i32_e32 v60, v59
	v_mfma_f32_16x16x16_f16 v[34:37], v[36:37], v[40:41], v[66:69]
	v_pk_mul_f32 v[48:49], s[10:11], v[4:5] op_sel_hi:[0,1]
	v_lshl_or_b32 v46, v45, 9, v43
	v_lshl_add_u64 v[46:47], s[4:5], 0, v[46:47]
	s_waitcnt vmcnt(4)
	v_mfma_f32_16x16x16_f16 v[34:37], v[14:15], v[18:19], v[34:37]
	v_add_u32_e32 v14, 1, v59
	v_add_u32_e32 v15, 2, v59
	v_cvt_f32_i32_e32 v23, v14
	v_cvt_f32_i32_e32 v24, v15
	v_mfma_f32_16x16x16_f16 v[14:17], v[16:17], v[20:21], v[34:37]
	v_add_u32_e32 v18, 3, v59
	v_cvt_f32_i32_e32 v18, v18
	v_pk_mul_f32 v[50:51], s[10:11], v[2:3] op_sel_hi:[0,1]
	v_mfma_f32_16x16x16_f16 v[10:13], v[12:13], v[20:21], v[30:33]
	v_cmp_gt_i32_e64 s[34:35], s29, v57
	s_nop 1
	v_pk_mul_f32 v[36:37], s[10:11], v[14:15] op_sel_hi:[0,1]
	v_add_u32_e32 v15, 19, v59
	v_add_u32_e32 v31, 18, v59
	v_cvt_f32_i32_e32 v14, v31
	v_cvt_f32_i32_e32 v15, v15
	v_mfma_f32_16x16x16_f16 v[6:9], v[8:9], v[20:21], v[26:29]
	v_pk_mul_f32 v[34:35], s[10:11], v[16:17] op_sel_hi:[0,1]
	v_fma_f32 v48, v56, v14, v48
	v_add_u32_e32 v14, 32, v59
	v_fmac_f32_e32 v49, v56, v15
	v_cvt_f32_i32_e32 v14, v14
	v_add_u32_e32 v15, 33, v59
	v_add_u32_e32 v16, 34, v59
	v_cvt_f32_i32_e32 v15, v15
	v_cvt_f32_i32_e32 v16, v16
	v_add_u32_e32 v17, 35, v59
	v_cvt_f32_i32_e32 v17, v17
	v_pk_mul_f32 v[40:41], s[10:11], v[6:7] op_sel_hi:[0,1]
	v_pk_mul_f32 v[38:39], s[10:11], v[8:9] op_sel_hi:[0,1]
	v_fma_f32 v40, v56, v14, v40
	v_add_u32_e32 v14, 48, v59
	v_fmac_f32_e32 v41, v56, v15
	v_fma_f32 v38, v56, v16, v38
	v_cvt_f32_i32_e32 v14, v14
	v_add_u32_e32 v15, 49, v59
	v_add_u32_e32 v16, 50, v59
	v_fmac_f32_e32 v39, v56, v17
	v_cvt_f32_i32_e32 v15, v15
	v_cvt_f32_i32_e32 v16, v16
	v_add_u32_e32 v17, 51, v59
	v_cvt_f32_i32_e32 v17, v17
	v_pk_mul_f32 v[52:53], s[10:11], v[12:13] op_sel_hi:[0,1]
	v_pk_mul_f32 v[10:11], s[10:11], v[10:11] op_sel_hi:[0,1]
	s_waitcnt vmcnt(3)
	v_mad_i64_i32 v[2:3], s[4:5], v70, s45, 0
	s_waitcnt vmcnt(2)
	v_mad_i64_i32 v[12:13], s[4:5], v71, s45, 0
	v_fma_f32 v10, v56, v60, v10
	v_fmac_f32_e32 v11, v56, v23
	v_fma_f32 v36, v56, v14, v36
	v_mov_b32_e32 v14, 0xff7fffff
	v_cmp_gt_i32_e64 s[4:5], s29, v58
	v_add_u32_e32 v19, 16, v59
	v_add_u32_e32 v30, 17, v59
	v_fmac_f32_e32 v37, v56, v15
	v_fma_f32 v34, v56, v16, v34
	v_cndmask_b32_e64 v15, v14, v10, s[4:5]
	v_cndmask_b32_e64 v16, v14, v11, s[34:35]
	v_cvt_f32_i32_e32 v19, v19
	v_cvt_f32_i32_e32 v25, v30
	v_fmac_f32_e32 v35, v56, v17
	v_max3_f32 v15, v15, s33, v16
	v_or_b32_e32 v16, 2, v58
	v_or_b32_e32 v17, 3, v58
	v_fma_f32 v52, v56, v24, v52
	v_fmac_f32_e32 v53, v56, v18
	v_cmp_gt_i32_e64 s[36:37], s29, v16
	v_cmp_gt_i32_e64 s[38:39], s29, v17
	v_fma_f32 v50, v56, v19, v50
	v_cndmask_b32_e64 v16, v14, v52, s[36:37]
	v_cndmask_b32_e64 v17, v14, v53, s[38:39]
	v_max3_f32 v15, v15, v16, v17
	v_or_b32_e32 v16, 16, v58
	v_or_b32_e32 v17, 17, v58
	v_fmac_f32_e32 v51, v56, v25
	v_cmp_gt_i32_e64 s[24:25], s29, v16
	v_cmp_gt_i32_e64 s[26:27], s29, v17
	v_lshl_add_u64 v[2:3], v[2:3], 1, v[46:47]
	v_cndmask_b32_e64 v16, v14, v50, s[24:25]
	v_cndmask_b32_e64 v17, v14, v51, s[26:27]
	v_max3_f32 v15, v15, v16, v17
	v_or_b32_e32 v16, 18, v58
	v_or_b32_e32 v17, 19, v58
	v_cmp_gt_i32_e64 s[20:21], s29, v16
	v_cmp_gt_i32_e64 s[22:23], s29, v17
	v_lshl_add_u64 v[12:13], v[12:13], 1, v[46:47]
	v_cndmask_b32_e64 v16, v14, v48, s[20:21]
	v_cndmask_b32_e64 v17, v14, v49, s[22:23]
	v_max3_f32 v15, v15, v16, v17
	v_or_b32_e32 v16, 32, v58
	v_or_b32_e32 v17, 33, v58
	v_cmp_gt_i32_e64 s[16:17], s29, v16
	v_cmp_gt_i32_e64 s[18:19], s29, v17
	global_load_dwordx4 v[6:9], v[2:3], off
	s_nop 0
	global_load_dwordx4 v[2:5], v[2:3], off offset:16
	v_cndmask_b32_e64 v16, v14, v40, s[16:17]
	v_cndmask_b32_e64 v17, v14, v41, s[18:19]
	v_max3_f32 v15, v15, v16, v17
	v_or_b32_e32 v16, 34, v58
	v_or_b32_e32 v17, 35, v58
	v_cmp_gt_i32_e64 s[12:13], s29, v16
	v_cmp_gt_i32_e64 s[14:15], s29, v17
	global_load_dwordx4 v[30:33], v[12:13], off
	global_load_dwordx4 v[26:29], v[12:13], off offset:16
	v_cndmask_b32_e64 v16, v14, v38, s[12:13]
	v_cndmask_b32_e64 v17, v14, v39, s[14:15]
	v_max3_f32 v15, v15, v16, v17
	v_or_b32_e32 v16, 48, v58
	v_or_b32_e32 v17, 49, v58
	v_cmp_gt_i32_e64 s[8:9], s29, v16
	v_cmp_gt_i32_e64 s[10:11], s29, v17
	s_nop 0
	v_cndmask_b32_e64 v16, v14, v36, s[8:9]
	v_cndmask_b32_e64 v17, v14, v37, s[10:11]
	v_max3_f32 v15, v15, v16, v17
	v_or_b32_e32 v16, 50, v58
	v_or_b32_e32 v17, 51, v58
	v_cmp_gt_i32_e32 vcc, s29, v16
	v_cmp_gt_i32_e64 s[6:7], s29, v17
	s_nop 0
	v_cndmask_b32_e32 v16, v14, v34, vcc
	v_cndmask_b32_e64 v14, v14, v35, s[6:7]
	v_max3_f32 v14, v15, v16, v14
	v_mbcnt_lo_u32_b32 v15, -1, 0
	v_mbcnt_hi_u32_b32 v15, -1, v15
	v_and_b32_e32 v16, 64, v15
	v_add_u32_e32 v16, 64, v16
	v_xor_b32_e32 v17, 32, v15
	v_cmp_lt_i32_e64 s[40:41], v17, v16
	s_nop 1
	v_cndmask_b32_e64 v17, v15, v17, s[40:41]
	v_lshlrev_b32_e32 v57, 2, v17
	ds_bpermute_b32 v17, v57, v14
	s_waitcnt vmcnt(5)
	v_mad_i64_i32 v[12:13], s[40:41], v22, s45, 0
	v_lshl_add_u64 v[12:13], v[12:13], 1, v[46:47]
	global_load_dwordx4 v[22:25], v[12:13], off
	global_load_dwordx4 v[18:21], v[12:13], off offset:16
	s_waitcnt lgkmcnt(0)
	v_max_f32_e32 v17, v17, v17
	v_max_f32_e32 v14, v14, v17
	v_xor_b32_e32 v17, 16, v15
	v_cmp_lt_i32_e64 s[40:41], v17, v16
	s_nop 1
	v_cndmask_b32_e64 v15, v15, v17, s[40:41]
	v_lshlrev_b32_e32 v59, 2, v15
	ds_bpermute_b32 v15, v59, v14
	s_waitcnt vmcnt(6)
	v_mad_i64_i32 v[12:13], s[40:41], v61, s45, 0
	v_lshl_add_u64 v[12:13], v[12:13], 1, v[46:47]
	s_waitcnt lgkmcnt(0)
	v_max_f32_e32 v15, v15, v15
	v_max_f32_e32 v56, v14, v15
	v_sub_f32_e32 v10, v10, v56
	v_mul_f32_e32 v10, 0x3fb8aa3b, v10
	v_exp_f32_e32 v46, v10
	v_sub_f32_e32 v10, v11, v56
	v_mul_f32_e32 v10, 0x3fb8aa3b, v10
	v_exp_f32_e32 v47, v10
	global_load_dwordx4 v[14:17], v[12:13], off
	s_nop 0
	global_load_dwordx4 v[10:13], v[12:13], off offset:16
	v_sub_f32_e32 v52, v52, v56
	v_mul_f32_e32 v52, 0x3fb8aa3b, v52
	v_sub_f32_e32 v53, v53, v56
	v_exp_f32_e32 v52, v52
	v_mul_f32_e32 v53, 0x3fb8aa3b, v53
	v_sub_f32_e32 v50, v50, v56
	v_exp_f32_e32 v53, v53
	v_mul_f32_e32 v50, 0x3fb8aa3b, v50
	v_sub_f32_e32 v51, v51, v56
	v_cndmask_b32_e64 v46, 0, v46, s[4:5]
	v_exp_f32_e32 v50, v50
	v_mul_f32_e32 v51, 0x3fb8aa3b, v51
	v_sub_f32_e32 v48, v48, v56
	v_add_f32_e32 v58, 0, v46
	v_cndmask_b32_e64 v47, 0, v47, s[34:35]
	v_exp_f32_e32 v51, v51
	v_mul_f32_e32 v48, 0x3fb8aa3b, v48
	v_sub_f32_e32 v49, v49, v56
	v_add_f32_e32 v58, v58, v47
	;; [unrolled: 5-line block ×10, first 2 shown]
	v_cndmask_b32_e64 v38, 0, v38, s[12:13]
	v_exp_f32_e32 v34, v34
	v_mul_f32_e32 v35, 0x3fb8aa3b, v35
	v_add_f32_e32 v58, v58, v38
	v_cndmask_b32_e64 v39, 0, v39, s[14:15]
	v_exp_f32_e32 v35, v35
	v_add_f32_e32 v58, v58, v39
	v_cndmask_b32_e64 v36, 0, v36, s[8:9]
	v_add_f32_e32 v58, v58, v36
	v_cndmask_b32_e64 v37, 0, v37, s[10:11]
	v_add_f32_e32 v58, v58, v37
	v_cndmask_b32_e32 v34, 0, v34, vcc
	v_add_f32_e32 v58, v58, v34
	v_cndmask_b32_e64 v35, 0, v35, s[6:7]
	v_add_f32_e32 v58, v58, v35
	ds_bpermute_b32 v57, v57, v58
	s_load_dword s7, s[0:1], 0x98
	v_cmp_gt_u32_e32 vcc, 16, v55
	s_waitcnt lgkmcnt(0)
	s_barrier
	v_add_f32_e32 v58, v58, v57
	ds_bpermute_b32 v59, v59, v58
	v_lshlrev_b32_e32 v57, 2, v44
	s_waitcnt lgkmcnt(0)
	s_and_saveexec_b64 s[4:5], vcc
	s_cbranch_execz .LBB5_15
; %bb.14:
	v_add_f32_e32 v55, v58, v59
	v_lshl_or_b32 v58, v45, 6, v57
	ds_write2st64_b32 v58, v56, v55 offset1:1
.LBB5_15:
	s_or_b64 exec, exec, s[4:5]
	s_load_dword s6, s[0:1], 0x94
	s_waitcnt lgkmcnt(0)
	s_barrier
	ds_read2_b32 v[58:59], v57 offset1:16
	ds_read2_b32 v[60:61], v57 offset0:32 offset1:48
	ds_read2_b32 v[62:63], v57 offset0:64 offset1:80
	s_mul_i32 s7, s7, 6
	s_waitcnt lgkmcnt(2)
	v_max3_f32 v55, v58, s33, v59
	s_waitcnt lgkmcnt(1)
	v_max3_f32 v55, v55, v60, v61
	v_sub_f32_e32 v56, v58, v55
	v_mul_f32_e32 v56, 0x3fb8aa3b, v56
	v_exp_f32_e32 v64, v56
	v_sub_f32_e32 v56, v59, v55
	v_mul_f32_e32 v56, 0x3fb8aa3b, v56
	v_exp_f32_e32 v65, v56
	;; [unrolled: 3-line block ×3, first 2 shown]
	ds_read2_b32 v[58:59], v57 offset0:96 offset1:112
	v_sub_f32_e32 v56, v61, v55
	v_mul_f32_e32 v56, 0x3fb8aa3b, v56
	v_exp_f32_e32 v57, v56
	s_waitcnt lgkmcnt(1)
	v_fma_f32 v56, v64, v62, 0
	v_fmac_f32_e32 v56, v65, v63
	s_waitcnt lgkmcnt(0)
	v_fmac_f32_e32 v56, v60, v58
	v_fmac_f32_e32 v56, v57, v59
	v_add_f32_e32 v58, 0x358637bd, v56
	v_div_scale_f32 v59, s[4:5], v58, v58, 1.0
	v_rcp_f32_e32 v61, v59
	s_barrier
	v_fma_f32 v62, -v59, v61, 1.0
	v_fmac_f32_e32 v61, v62, v61
	v_div_scale_f32 v62, vcc, 1.0, v58, 1.0
	v_mul_f32_e32 v63, v62, v61
	v_fma_f32 v66, -v59, v63, v62
	v_fmac_f32_e32 v63, v66, v61
	v_fma_f32 v59, -v59, v63, v62
	v_div_fmas_f32 v59, v59, v61, v63
	v_cmp_eq_u32_e32 vcc, 1, v45
	v_div_fixup_f32 v58, v59, v58, 1.0
	s_nop 0
	v_cndmask_b32_e32 v59, v64, v65, vcc
	v_cmp_eq_u32_e32 vcc, 2, v45
	s_nop 1
	v_cndmask_b32_e32 v59, v59, v60, vcc
	v_cmp_eq_u32_e32 vcc, 3, v45
	v_lshlrev_b32_e32 v45, 11, v45
	s_nop 0
	v_cndmask_b32_e32 v57, v59, v57, vcc
	v_mul_f32_e32 v58, v57, v58
	v_pk_mul_f32 v[46:47], v[58:59], v[46:47] op_sel_hi:[0,1]
	v_cvt_f16_f32_e32 v46, v46
	v_cvt_f16_f32_e32 v47, v47
	v_pk_mul_f32 v[52:53], v[58:59], v[52:53] op_sel_hi:[0,1]
	v_cvt_f16_f32_e32 v57, v52
	v_cvt_f16_f32_e32 v53, v53
	v_pack_b32_f16 v52, v46, v47
	v_pk_mul_f32 v[46:47], v[58:59], v[48:49] op_sel_hi:[0,1]
	v_pk_mul_f32 v[48:49], v[58:59], v[50:51] op_sel_hi:[0,1]
	v_cvt_f16_f32_e32 v48, v48
	v_cvt_f16_f32_e32 v49, v49
	;; [unrolled: 1-line block ×4, first 2 shown]
	v_pack_b32_f16 v53, v57, v53
	v_lshlrev_b32_e32 v57, 3, v54
	v_pk_mul_f32 v[38:39], v[58:59], v[38:39] op_sel_hi:[0,1]
	v_pk_mul_f32 v[40:41], v[58:59], v[40:41] op_sel_hi:[0,1]
	;; [unrolled: 1-line block ×4, first 2 shown]
	v_or3_b32 v46, v45, v43, v57
	v_pack_b32_f16 v48, v48, v49
	v_pack_b32_f16 v49, v50, v47
	v_cvt_f16_f32_e32 v40, v40
	v_cvt_f16_f32_e32 v41, v41
	;; [unrolled: 1-line block ×8, first 2 shown]
	v_pack_b32_f16 v34, v40, v41
	v_pack_b32_f16 v35, v38, v39
	;; [unrolled: 1-line block ×4, first 2 shown]
	v_cmp_gt_u32_e32 vcc, 6, v0
	ds_write2st64_b64 v46, v[52:53], v[48:49] offset1:1
	ds_write2st64_b64 v46, v[34:35], v[36:37] offset0:2 offset1:3
	s_and_saveexec_b64 s[4:5], vcc
	s_cbranch_execz .LBB5_17
; %bb.16:
	s_mov_b32 s43, 0
	v_mov_b32_e32 v45, 0
	v_lshl_add_u64 v[34:35], s[42:43], 0, v[44:45]
	v_mov_b32_e32 v36, s7
	v_mad_u64_u32 v[34:35], s[12:13], s2, v36, v[34:35]
	s_mul_i32 s3, s3, s7
	v_mov_b32_e32 v44, s28
	s_load_dwordx4 s[8:11], s[0:1], 0x58
	v_add_u32_e32 v37, s3, v35
	v_mad_u64_u32 v[34:35], s[12:13], v34, s6, v[44:45]
	v_mov_b32_e32 v36, v35
	v_mad_u64_u32 v[36:37], s[12:13], v37, s6, v[36:37]
	v_mov_b32_e32 v35, v36
	v_lshlrev_b64 v[34:35], 2, v[34:35]
	s_waitcnt lgkmcnt(0)
	v_lshl_add_u64 v[36:37], s[10:11], 0, v[34:35]
	v_lshl_add_u64 v[34:35], s[8:9], 0, v[34:35]
	global_store_dword v[36:37], v55, off
	global_store_dword v[34:35], v56, off
.LBB5_17:
	s_or_b64 exec, exec, s[4:5]
	v_lshl_or_b32 v43, v54, 9, v43
	s_waitcnt lgkmcnt(0)
	s_barrier
	ds_read_b128 v[34:37], v43
	ds_read_b128 v[38:41], v43 offset:16
	s_waitcnt vmcnt(7) lgkmcnt(1)
	v_mfma_f32_16x16x16_f16 v[48:51], v[6:7], v[34:35], 0
	v_cmp_gt_u32_e32 vcc, 64, v0
	s_mov_b32 s3, 0
	s_and_b64 s[4:5], vcc, s[30:31]
	v_mfma_f32_16x16x16_f16 v[6:9], v[8:9], v[36:37], v[48:51]
	s_waitcnt vmcnt(6) lgkmcnt(0)
	v_mfma_f32_16x16x16_f16 v[6:9], v[2:3], v[38:39], v[6:9]
	v_mfma_f32_16x16x16_f16 v[2:5], v[4:5], v[40:41], v[6:9]
	s_nop 5
	ds_read_b128 v[6:9], v43 offset:2048
	ds_read_b128 v[34:37], v43 offset:2064
	s_waitcnt vmcnt(5) lgkmcnt(1)
	v_mfma_f32_16x16x16_f16 v[2:5], v[30:31], v[6:7], v[2:5]
	v_mfma_f32_16x16x16_f16 v[2:5], v[32:33], v[8:9], v[2:5]
	s_waitcnt vmcnt(4) lgkmcnt(0)
	v_mfma_f32_16x16x16_f16 v[2:5], v[26:27], v[34:35], v[2:5]
	v_mfma_f32_16x16x16_f16 v[2:5], v[28:29], v[36:37], v[2:5]
	ds_read_b128 v[6:9], v43 offset:4096
	ds_read_b128 v[26:29], v43 offset:4112
	s_waitcnt vmcnt(3) lgkmcnt(1)
	v_mfma_f32_16x16x16_f16 v[2:5], v[22:23], v[6:7], v[2:5]
	v_mfma_f32_16x16x16_f16 v[2:5], v[24:25], v[8:9], v[2:5]
	s_waitcnt vmcnt(2) lgkmcnt(0)
	v_mfma_f32_16x16x16_f16 v[2:5], v[18:19], v[26:27], v[2:5]
	v_mfma_f32_16x16x16_f16 v[2:5], v[20:21], v[28:29], v[2:5]
	ds_read_b128 v[6:9], v43 offset:6144
	ds_read_b128 v[18:21], v43 offset:6160
	v_mov_b32_e32 v43, 0
	s_waitcnt vmcnt(1) lgkmcnt(0)
	v_mfma_f32_16x16x16_f16 v[2:5], v[14:15], v[6:7], v[2:5]
	s_barrier
	v_mfma_f32_16x16x16_f16 v[2:5], v[16:17], v[8:9], v[2:5]
	s_waitcnt vmcnt(0)
	v_mfma_f32_16x16x16_f16 v[2:5], v[10:11], v[18:19], v[2:5]
	v_mfma_f32_16x16x16_f16 v[2:5], v[12:13], v[20:21], v[2:5]
	s_nop 6
	v_cvt_f16_f32_e32 v2, v2
	v_cvt_f16_f32_e32 v3, v3
	;; [unrolled: 1-line block ×4, first 2 shown]
	v_pack_b32_f16 v2, v2, v3
	v_pack_b32_f16 v3, v4, v5
	ds_write_b64 v46, v[2:3]
	s_waitcnt lgkmcnt(0)
	s_barrier
	s_and_saveexec_b64 s[8:9], s[4:5]
	s_cbranch_execz .LBB5_20
; %bb.18:
	s_load_dwordx2 s[4:5], s[0:1], 0x68
	s_lshl_b32 s0, s6, 6
	s_mul_i32 s1, s7, s2
	s_mul_hi_u32 s7, s1, s0
	s_mul_i32 s6, s1, s0
	v_lshlrev_b32_e32 v0, 10, v0
	s_lshl_b64 s[6:7], s[6:7], 1
	v_and_b32_e32 v0, 0x1800, v0
	v_lshlrev_b32_e32 v3, 5, v54
	v_and_b32_e32 v1, 16, v1
	s_waitcnt lgkmcnt(0)
	s_add_u32 s1, s4, s6
	v_or3_b32 v3, v0, v3, v1
	s_addc_u32 s4, s5, s7
	s_lshl_b32 s2, s28, 6
	s_lshl_b64 s[2:3], s[2:3], 1
	ds_read_b128 v[4:7], v3
	s_add_u32 s2, s1, s2
	s_addc_u32 s3, s4, s3
	v_add_u32_e32 v8, s42, v54
	v_or_b32_e32 v2, 4, v54
	v_lshl_add_u64 v[0:1], s[2:3], 0, v[42:43]
	v_mad_u64_u32 v[8:9], s[2:3], v8, s0, 0
	v_lshl_add_u64 v[8:9], v[8:9], 1, v[0:1]
	v_cmp_gt_u32_e32 vcc, 6, v2
	s_waitcnt lgkmcnt(0)
	global_store_dwordx4 v[8:9], v[4:7], off
	s_and_b64 exec, exec, vcc
	s_cbranch_execz .LBB5_20
; %bb.19:
	ds_read_b128 v[4:7], v3 offset:128
	v_add_u32_e32 v2, s42, v2
	v_mad_u64_u32 v[2:3], s[0:1], v2, s0, 0
	v_lshl_add_u64 v[0:1], v[2:3], 1, v[0:1]
	s_waitcnt lgkmcnt(0)
	global_store_dwordx4 v[0:1], v[4:7], off
.LBB5_20:
	s_endpgm
	.section	.rodata,"a",@progbits
	.p2align	6, 0x0
	.amdhsa_kernel _Z39paged_attention_ll4mi_QKV_mfma16_kernelIDF16_DF16_LN4vllm18Fp8KVCacheDataTypeE0EhLi16ELi64ELi256ELb1ELi6EEvPKT_PKT0_S7_ifPKiS9_S9_iPKfiiiPfSC_PS2_PT2_iSB_SB_
		.amdhsa_group_segment_fixed_size 8192
		.amdhsa_private_segment_fixed_size 0
		.amdhsa_kernarg_size 400
		.amdhsa_user_sgpr_count 2
		.amdhsa_user_sgpr_dispatch_ptr 0
		.amdhsa_user_sgpr_queue_ptr 0
		.amdhsa_user_sgpr_kernarg_segment_ptr 1
		.amdhsa_user_sgpr_dispatch_id 0
		.amdhsa_user_sgpr_kernarg_preload_length 0
		.amdhsa_user_sgpr_kernarg_preload_offset 0
		.amdhsa_user_sgpr_private_segment_size 0
		.amdhsa_uses_dynamic_stack 0
		.amdhsa_enable_private_segment 0
		.amdhsa_system_sgpr_workgroup_id_x 1
		.amdhsa_system_sgpr_workgroup_id_y 1
		.amdhsa_system_sgpr_workgroup_id_z 1
		.amdhsa_system_sgpr_workgroup_info 0
		.amdhsa_system_vgpr_workitem_id 0
		.amdhsa_next_free_vgpr 72
		.amdhsa_next_free_sgpr 48
		.amdhsa_accum_offset 72
		.amdhsa_reserve_vcc 1
		.amdhsa_float_round_mode_32 0
		.amdhsa_float_round_mode_16_64 0
		.amdhsa_float_denorm_mode_32 3
		.amdhsa_float_denorm_mode_16_64 3
		.amdhsa_dx10_clamp 1
		.amdhsa_ieee_mode 1
		.amdhsa_fp16_overflow 0
		.amdhsa_tg_split 0
		.amdhsa_exception_fp_ieee_invalid_op 0
		.amdhsa_exception_fp_denorm_src 0
		.amdhsa_exception_fp_ieee_div_zero 0
		.amdhsa_exception_fp_ieee_overflow 0
		.amdhsa_exception_fp_ieee_underflow 0
		.amdhsa_exception_fp_ieee_inexact 0
		.amdhsa_exception_int_div_zero 0
	.end_amdhsa_kernel
	.section	.text._Z39paged_attention_ll4mi_QKV_mfma16_kernelIDF16_DF16_LN4vllm18Fp8KVCacheDataTypeE0EhLi16ELi64ELi256ELb1ELi6EEvPKT_PKT0_S7_ifPKiS9_S9_iPKfiiiPfSC_PS2_PT2_iSB_SB_,"axG",@progbits,_Z39paged_attention_ll4mi_QKV_mfma16_kernelIDF16_DF16_LN4vllm18Fp8KVCacheDataTypeE0EhLi16ELi64ELi256ELb1ELi6EEvPKT_PKT0_S7_ifPKiS9_S9_iPKfiiiPfSC_PS2_PT2_iSB_SB_,comdat
.Lfunc_end5:
	.size	_Z39paged_attention_ll4mi_QKV_mfma16_kernelIDF16_DF16_LN4vllm18Fp8KVCacheDataTypeE0EhLi16ELi64ELi256ELb1ELi6EEvPKT_PKT0_S7_ifPKiS9_S9_iPKfiiiPfSC_PS2_PT2_iSB_SB_, .Lfunc_end5-_Z39paged_attention_ll4mi_QKV_mfma16_kernelIDF16_DF16_LN4vllm18Fp8KVCacheDataTypeE0EhLi16ELi64ELi256ELb1ELi6EEvPKT_PKT0_S7_ifPKiS9_S9_iPKfiiiPfSC_PS2_PT2_iSB_SB_
                                        ; -- End function
	.section	.AMDGPU.csdata,"",@progbits
; Kernel info:
; codeLenInByte = 4064
; NumSgprs: 54
; NumVgprs: 72
; NumAgprs: 0
; TotalNumVgprs: 72
; ScratchSize: 0
; MemoryBound: 0
; FloatMode: 240
; IeeeMode: 1
; LDSByteSize: 8192 bytes/workgroup (compile time only)
; SGPRBlocks: 6
; VGPRBlocks: 8
; NumSGPRsForWavesPerEU: 54
; NumVGPRsForWavesPerEU: 72
; AccumOffset: 72
; Occupancy: 7
; WaveLimiterHint : 1
; COMPUTE_PGM_RSRC2:SCRATCH_EN: 0
; COMPUTE_PGM_RSRC2:USER_SGPR: 2
; COMPUTE_PGM_RSRC2:TRAP_HANDLER: 0
; COMPUTE_PGM_RSRC2:TGID_X_EN: 1
; COMPUTE_PGM_RSRC2:TGID_Y_EN: 1
; COMPUTE_PGM_RSRC2:TGID_Z_EN: 1
; COMPUTE_PGM_RSRC2:TIDIG_COMP_CNT: 0
; COMPUTE_PGM_RSRC3_GFX90A:ACCUM_OFFSET: 17
; COMPUTE_PGM_RSRC3_GFX90A:TG_SPLIT: 0
	.section	.text._Z39paged_attention_ll4mi_QKV_mfma16_kernelIDF16_DF16_LN4vllm18Fp8KVCacheDataTypeE0EhLi16ELi64ELi256ELb1ELi7EEvPKT_PKT0_S7_ifPKiS9_S9_iPKfiiiPfSC_PS2_PT2_iSB_SB_,"axG",@progbits,_Z39paged_attention_ll4mi_QKV_mfma16_kernelIDF16_DF16_LN4vllm18Fp8KVCacheDataTypeE0EhLi16ELi64ELi256ELb1ELi7EEvPKT_PKT0_S7_ifPKiS9_S9_iPKfiiiPfSC_PS2_PT2_iSB_SB_,comdat
	.protected	_Z39paged_attention_ll4mi_QKV_mfma16_kernelIDF16_DF16_LN4vllm18Fp8KVCacheDataTypeE0EhLi16ELi64ELi256ELb1ELi7EEvPKT_PKT0_S7_ifPKiS9_S9_iPKfiiiPfSC_PS2_PT2_iSB_SB_ ; -- Begin function _Z39paged_attention_ll4mi_QKV_mfma16_kernelIDF16_DF16_LN4vllm18Fp8KVCacheDataTypeE0EhLi16ELi64ELi256ELb1ELi7EEvPKT_PKT0_S7_ifPKiS9_S9_iPKfiiiPfSC_PS2_PT2_iSB_SB_
	.globl	_Z39paged_attention_ll4mi_QKV_mfma16_kernelIDF16_DF16_LN4vllm18Fp8KVCacheDataTypeE0EhLi16ELi64ELi256ELb1ELi7EEvPKT_PKT0_S7_ifPKiS9_S9_iPKfiiiPfSC_PS2_PT2_iSB_SB_
	.p2align	8
	.type	_Z39paged_attention_ll4mi_QKV_mfma16_kernelIDF16_DF16_LN4vllm18Fp8KVCacheDataTypeE0EhLi16ELi64ELi256ELb1ELi7EEvPKT_PKT0_S7_ifPKiS9_S9_iPKfiiiPfSC_PS2_PT2_iSB_SB_,@function
_Z39paged_attention_ll4mi_QKV_mfma16_kernelIDF16_DF16_LN4vllm18Fp8KVCacheDataTypeE0EhLi16ELi64ELi256ELb1ELi7EEvPKT_PKT0_S7_ifPKiS9_S9_iPKfiiiPfSC_PS2_PT2_iSB_SB_: ; @_Z39paged_attention_ll4mi_QKV_mfma16_kernelIDF16_DF16_LN4vllm18Fp8KVCacheDataTypeE0EhLi16ELi64ELi256ELb1ELi7EEvPKT_PKT0_S7_ifPKiS9_S9_iPKfiiiPfSC_PS2_PT2_iSB_SB_
; %bb.0:
	s_load_dwordx2 s[8:9], s[0:1], 0x30
	s_mov_b32 s28, s3
	s_mov_b64 s[6:7], 0
	s_waitcnt lgkmcnt(0)
	s_cmp_lg_u64 s[8:9], 0
	s_cselect_b64 s[10:11], -1, 0
	s_and_b64 vcc, exec, s[10:11]
	s_cbranch_vccz .LBB6_7
; %bb.1:
	s_add_i32 s12, s2, 1
	s_mov_b32 s13, 0
	s_lshl_b64 s[14:15], s[12:13], 2
	s_add_u32 s14, s8, s14
	s_mov_b32 s3, s13
	s_addc_u32 s15, s9, s15
	s_lshl_b64 s[12:13], s[2:3], 2
	s_add_u32 s12, s8, s12
	s_addc_u32 s13, s9, s13
	s_load_dword s5, s[14:15], 0x0
	s_load_dword s16, s[12:13], 0x0
	s_waitcnt lgkmcnt(0)
	s_sub_i32 s5, s5, s16
	s_cmp_eq_u32 s5, 1
	s_cselect_b64 s[12:13], -1, 0
	s_andn2_b64 vcc, exec, s[6:7]
	s_cbranch_vccnz .LBB6_3
.LBB6_2:
	s_mov_b32 s3, 0
	s_mov_b64 s[12:13], -1
.LBB6_3:
	s_andn2_b64 vcc, exec, s[12:13]
	s_cbranch_vccnz .LBB6_20
; %bb.4:
	s_load_dwordx2 s[6:7], s[0:1], 0x28
	s_lshl_b64 s[14:15], s[2:3], 2
	s_waitcnt lgkmcnt(0)
	s_add_u32 s6, s6, s14
	s_addc_u32 s7, s7, s15
	s_load_dword s29, s[6:7], 0x0
	s_lshl_b32 s16, s28, 8
	s_waitcnt lgkmcnt(0)
	s_cmp_ge_i32 s16, s29
	s_cbranch_scc1 .LBB6_20
; %bb.5:
	s_load_dwordx2 s[6:7], s[0:1], 0x20
	s_load_dword s5, s[0:1], 0x38
	s_add_i32 s12, s29, 15
	s_ashr_i32 s13, s12, 31
	v_and_b32_e32 v1, 0xcf, v0
	s_lshr_b32 s13, s13, 28
	v_add_u32_e32 v1, s16, v1
	s_add_i32 s12, s12, s13
	v_ashrrev_i32_e32 v2, 31, v1
	s_ashr_i32 s17, s12, 4
	v_lshrrev_b32_e32 v6, 28, v2
	s_add_i32 s17, s17, -1
	s_waitcnt lgkmcnt(0)
	s_mul_i32 s12, s2, s5
	s_mov_b32 s13, 0
	v_add_u32_e32 v2, v1, v6
	s_lshl_b64 s[12:13], s[12:13], 2
	v_ashrrev_i32_e32 v2, 4, v2
	v_mov_b32_e32 v7, s17
	v_cmp_gt_i32_e32 vcc, s29, v1
	s_add_u32 s6, s6, s12
	s_addc_u32 s7, s7, s13
	v_cndmask_b32_e32 v2, v7, v2, vcc
	v_ashrrev_i32_e32 v3, 31, v2
	v_lshl_add_u64 v[4:5], v[2:3], 2, s[6:7]
	v_or_b32_e32 v2, 16, v1
	v_add_u32_e32 v3, v2, v6
	v_ashrrev_i32_e32 v3, 4, v3
	v_cmp_gt_i32_e32 vcc, s29, v2
	s_load_dwordx2 s[12:13], s[0:1], 0x8
	s_nop 0
	v_cndmask_b32_e32 v2, v7, v3, vcc
	v_ashrrev_i32_e32 v3, 31, v2
	v_lshl_add_u64 v[8:9], v[2:3], 2, s[6:7]
	v_or_b32_e32 v2, 32, v1
	v_add_u32_e32 v3, v2, v6
	v_ashrrev_i32_e32 v3, 4, v3
	v_cmp_gt_i32_e32 vcc, s29, v2
	v_or_b32_e32 v1, 48, v1
	s_nop 0
	v_cndmask_b32_e32 v2, v7, v3, vcc
	v_ashrrev_i32_e32 v3, 31, v2
	v_lshl_add_u64 v[10:11], v[2:3], 2, s[6:7]
	v_add_u32_e32 v2, v1, v6
	v_ashrrev_i32_e32 v2, 4, v2
	v_cmp_gt_i32_e32 vcc, s29, v1
	s_nop 1
	v_cndmask_b32_e32 v2, v7, v2, vcc
	v_ashrrev_i32_e32 v3, 31, v2
	v_lshl_add_u64 v[12:13], v[2:3], 2, s[6:7]
	global_load_dword v3, v[4:5], off
	global_load_dword v2, v[8:9], off
	;; [unrolled: 1-line block ×4, first 2 shown]
	s_andn2_b64 vcc, exec, s[10:11]
	s_cbranch_vccnz .LBB6_8
; %bb.6:
	s_add_u32 s8, s8, s14
	s_addc_u32 s9, s9, s15
	s_load_dword s5, s[8:9], 0x0
	s_branch .LBB6_9
.LBB6_7:
	s_mov_b64 s[12:13], 0
	s_branch .LBB6_2
.LBB6_8:
	s_mov_b32 s5, s2
.LBB6_9:
	s_load_dwordx2 s[8:9], s[0:1], 0x10
	s_load_dwordx4 s[44:47], s[0:1], 0x48
	v_lshrrev_b32_e32 v45, 6, v0
	v_bfe_u32 v54, v0, 4, 2
	v_lshl_or_b32 v1, v45, 2, v54
	v_and_b32_e32 v44, 15, v0
	v_lshlrev_b32_e32 v4, 3, v44
	v_cmp_gt_u32_e32 vcc, 7, v1
	v_cmp_gt_u32_e64 s[30:31], 8, v44
	s_mul_i32 s42, s4, 7
	s_and_b64 s[14:15], s[30:31], vcc
	v_lshlrev_b32_e32 v42, 1, v4
	s_and_saveexec_b64 s[10:11], s[14:15]
	s_cbranch_execz .LBB6_11
; %bb.10:
	s_load_dwordx2 s[14:15], s[0:1], 0x0
	s_waitcnt lgkmcnt(0)
	s_ashr_i32 s18, s44, 31
	s_mul_hi_u32 s19, s5, s44
	s_mul_i32 s18, s5, s18
	s_add_i32 s19, s19, s18
	s_mul_i32 s18, s5, s44
	s_lshl_b64 s[18:19], s[18:19], 1
	s_add_u32 s14, s14, s18
	v_add_lshl_u32 v4, v1, s42, 6
	s_addc_u32 s15, s15, s19
	v_ashrrev_i32_e32 v5, 31, v4
	v_lshl_add_u64 v[4:5], v[4:5], 1, s[14:15]
	v_mov_b32_e32 v43, 0
	v_lshl_add_u64 v[4:5], v[4:5], 0, v[42:43]
	global_load_dwordx4 v[8:11], v[4:5], off
	v_and_b32_e32 v4, 3, v0
	v_lshlrev_b32_e32 v5, 9, v44
	v_lshlrev_b32_e32 v1, 5, v1
	;; [unrolled: 1-line block ×3, first 2 shown]
	v_and_b32_e32 v5, 0x1800, v5
	v_or3_b32 v1, v5, v4, v1
	s_waitcnt vmcnt(0)
	ds_write_b128 v1, v[8:11]
.LBB6_11:
	s_or_b64 exec, exec, s[10:11]
	s_waitcnt lgkmcnt(0)
	s_mul_i32 s4, s4, s46
	s_mov_b32 s5, 0
	s_lshl_b64 s[4:5], s[4:5], 1
	s_add_u32 s10, s12, s4
	v_lshlrev_b32_e32 v1, 4, v0
	s_addc_u32 s11, s13, s5
	v_and_b32_e32 v46, 0xf0, v1
	v_mov_b32_e32 v47, 0
	v_lshl_add_u64 v[16:17], s[10:11], 0, v[46:47]
	s_waitcnt vmcnt(3)
	v_mad_i64_i32 v[4:5], s[10:11], v3, s45, 0
	s_waitcnt vmcnt(2)
	v_mad_i64_i32 v[2:3], s[10:11], v2, s45, 0
	;; [unrolled: 2-line block ×3, first 2 shown]
	v_lshl_add_u64 v[4:5], v[4:5], 1, v[16:17]
	v_and_b32_e32 v46, 0x300, v1
	v_lshl_add_u64 v[2:3], v[2:3], 1, v[16:17]
	v_lshl_add_u64 v[6:7], v[6:7], 1, v[16:17]
	s_waitcnt vmcnt(0)
	v_mad_i64_i32 v[14:15], s[10:11], v14, s45, 0
	v_lshl_add_u64 v[4:5], v[4:5], 0, v[46:47]
	v_lshl_add_u64 v[8:9], v[2:3], 0, v[46:47]
	;; [unrolled: 1-line block ×4, first 2 shown]
	s_barrier
	global_load_dwordx4 v[30:33], v[4:5], off
	global_load_dwordx4 v[10:13], v[4:5], off offset:1024
	global_load_dwordx4 v[22:25], v[8:9], off
	s_nop 0
	global_load_dwordx4 v[2:5], v[8:9], off offset:1024
	global_load_dwordx4 v[26:29], v[18:19], off
	s_nop 0
	global_load_dwordx4 v[6:9], v[18:19], off offset:1024
	v_lshl_add_u64 v[18:19], v[14:15], 0, v[46:47]
	global_load_dwordx4 v[34:37], v[18:19], off
	global_load_dwordx4 v[14:17], v[18:19], off offset:1024
	v_mul_lo_u16_e32 v18, 37, v44
	v_mov_b32_e32 v19, 7
	v_mul_lo_u16_sdwa v18, v18, v19 dst_sel:DWORD dst_unused:UNUSED_PAD src0_sel:BYTE_1 src1_sel:DWORD
	v_sub_u16_e32 v18, v44, v18
	v_mov_b32_e32 v19, 5
	v_lshlrev_b32_sdwa v18, v19, v18 dst_sel:DWORD dst_unused:UNUSED_PAD src0_sel:DWORD src1_sel:BYTE_0
	v_lshl_add_u32 v18, v54, 9, v18
	ds_read_b128 v[38:41], v18
	ds_read_b128 v[18:21], v18 offset:2048
	v_and_b32_e32 v55, 63, v0
	v_cmp_gt_u32_e32 vcc, 7, v44
	v_mov_b32_e32 v56, 0
	s_and_saveexec_b64 s[10:11], vcc
	s_cbranch_execz .LBB6_13
; %bb.12:
	s_load_dwordx2 s[12:13], s[0:1], 0x40
	v_add_u32_e32 v48, s42, v44
	v_ashrrev_i32_e32 v49, 31, v48
	s_waitcnt lgkmcnt(0)
	v_lshl_add_u64 v[48:49], v[48:49], 2, s[12:13]
	global_load_dword v56, v[48:49], off
.LBB6_13:
	s_or_b64 exec, exec, s[10:11]
	v_and_or_b32 v46, v0, 48, s16
	v_ashrrev_i32_e32 v43, 4, v46
	v_mov_b32_e32 v57, s17
	v_cmp_gt_i32_e32 vcc, s29, v46
	s_waitcnt vmcnt(5) lgkmcnt(1)
	v_mfma_f32_16x16x16_f16 v[58:61], v[22:23], v[38:39], 0
	s_load_dword s10, s[0:1], 0x1c
	v_cndmask_b32_e32 v48, v57, v43, vcc
	v_ashrrev_i32_e32 v49, 31, v48
	v_or_b32_e32 v43, 64, v46
	v_lshl_add_u64 v[52:53], v[48:49], 2, s[6:7]
	v_mfma_f32_16x16x16_f16 v[48:51], v[30:31], v[38:39], 0
	v_ashrrev_i32_e32 v30, 4, v43
	v_cmp_gt_i32_e32 vcc, s29, v43
	global_load_dword v70, v[52:53], off
	s_waitcnt vmcnt(4)
	v_mfma_f32_16x16x16_f16 v[62:65], v[26:27], v[38:39], 0
	v_cndmask_b32_e32 v30, v57, v30, vcc
	v_ashrrev_i32_e32 v31, 31, v30
	v_lshl_add_u64 v[22:23], v[30:31], 2, s[6:7]
	global_load_dword v71, v[22:23], off
	v_mfma_f32_16x16x16_f16 v[22:25], v[24:25], v[40:41], v[58:61]
	v_and_b32_e32 v26, 0xc0, v0
	s_add_u32 s4, s8, s4
	v_lshlrev_b32_e32 v43, 5, v44
	v_mfma_f32_16x16x16_f16 v[30:33], v[32:33], v[40:41], v[48:51]
	s_addc_u32 s5, s9, s5
	s_mov_b32 s33, 0xff7fffff
	s_waitcnt vmcnt(3)
	v_mfma_f32_16x16x16_f16 v[66:69], v[34:35], v[38:39], 0
	v_or_b32_e32 v38, 0x80, v46
	v_add_u32_e32 v48, s16, v26
	v_or_b32_e32 v39, 0xc0, v46
	v_mfma_f32_16x16x16_f16 v[26:29], v[28:29], v[40:41], v[62:65]
	v_ashrrev_i32_e32 v49, 4, v38
	v_cmp_gt_i32_e32 vcc, s29, v38
	v_ashrrev_i32_e32 v50, 4, v39
	s_waitcnt lgkmcnt(0)
	v_mfma_f32_16x16x16_f16 v[22:25], v[2:3], v[18:19], v[22:25]
	v_cndmask_b32_e32 v38, v57, v49, vcc
	v_cmp_gt_i32_e32 vcc, s29, v39
	v_ashrrev_i32_e32 v39, 31, v38
	v_mfma_f32_16x16x16_f16 v[30:33], v[10:11], v[18:19], v[30:33]
	v_cndmask_b32_e32 v10, v57, v50, vcc
	v_ashrrev_i32_e32 v11, 31, v10
	v_lshl_or_b32 v58, v54, 2, v48
	v_mfma_f32_16x16x16_f16 v[26:29], v[6:7], v[18:19], v[26:29]
	v_lshl_add_u64 v[6:7], v[38:39], 2, s[6:7]
	v_lshl_add_u64 v[38:39], v[10:11], 2, s[6:7]
	v_or_b32_e32 v57, 1, v58
	v_mfma_f32_16x16x16_f16 v[2:5], v[4:5], v[20:21], v[22:25]
	s_nop 2
	global_load_dword v22, v[6:7], off
	global_load_dword v61, v[38:39], off
	v_subrev_u32_e32 v59, s29, v57
	v_cvt_f32_i32_e32 v60, v59
	v_mfma_f32_16x16x16_f16 v[34:37], v[36:37], v[40:41], v[66:69]
	v_pk_mul_f32 v[48:49], s[10:11], v[4:5] op_sel_hi:[0,1]
	v_lshl_or_b32 v46, v45, 9, v43
	v_lshl_add_u64 v[46:47], s[4:5], 0, v[46:47]
	s_waitcnt vmcnt(4)
	v_mfma_f32_16x16x16_f16 v[34:37], v[14:15], v[18:19], v[34:37]
	v_add_u32_e32 v14, 1, v59
	v_add_u32_e32 v15, 2, v59
	v_cvt_f32_i32_e32 v23, v14
	v_cvt_f32_i32_e32 v24, v15
	v_mfma_f32_16x16x16_f16 v[14:17], v[16:17], v[20:21], v[34:37]
	v_add_u32_e32 v18, 3, v59
	v_cvt_f32_i32_e32 v18, v18
	v_pk_mul_f32 v[50:51], s[10:11], v[2:3] op_sel_hi:[0,1]
	v_mfma_f32_16x16x16_f16 v[10:13], v[12:13], v[20:21], v[30:33]
	v_cmp_gt_i32_e64 s[34:35], s29, v57
	s_nop 1
	v_pk_mul_f32 v[36:37], s[10:11], v[14:15] op_sel_hi:[0,1]
	v_add_u32_e32 v15, 19, v59
	v_add_u32_e32 v31, 18, v59
	v_cvt_f32_i32_e32 v14, v31
	v_cvt_f32_i32_e32 v15, v15
	v_mfma_f32_16x16x16_f16 v[6:9], v[8:9], v[20:21], v[26:29]
	v_pk_mul_f32 v[34:35], s[10:11], v[16:17] op_sel_hi:[0,1]
	v_fma_f32 v48, v56, v14, v48
	v_add_u32_e32 v14, 32, v59
	v_fmac_f32_e32 v49, v56, v15
	v_cvt_f32_i32_e32 v14, v14
	v_add_u32_e32 v15, 33, v59
	v_add_u32_e32 v16, 34, v59
	v_cvt_f32_i32_e32 v15, v15
	v_cvt_f32_i32_e32 v16, v16
	v_add_u32_e32 v17, 35, v59
	v_cvt_f32_i32_e32 v17, v17
	v_pk_mul_f32 v[40:41], s[10:11], v[6:7] op_sel_hi:[0,1]
	v_pk_mul_f32 v[38:39], s[10:11], v[8:9] op_sel_hi:[0,1]
	v_fma_f32 v40, v56, v14, v40
	v_add_u32_e32 v14, 48, v59
	v_fmac_f32_e32 v41, v56, v15
	v_fma_f32 v38, v56, v16, v38
	v_cvt_f32_i32_e32 v14, v14
	v_add_u32_e32 v15, 49, v59
	v_add_u32_e32 v16, 50, v59
	v_fmac_f32_e32 v39, v56, v17
	v_cvt_f32_i32_e32 v15, v15
	v_cvt_f32_i32_e32 v16, v16
	v_add_u32_e32 v17, 51, v59
	v_cvt_f32_i32_e32 v17, v17
	v_pk_mul_f32 v[52:53], s[10:11], v[12:13] op_sel_hi:[0,1]
	v_pk_mul_f32 v[10:11], s[10:11], v[10:11] op_sel_hi:[0,1]
	s_waitcnt vmcnt(3)
	v_mad_i64_i32 v[2:3], s[4:5], v70, s45, 0
	s_waitcnt vmcnt(2)
	v_mad_i64_i32 v[12:13], s[4:5], v71, s45, 0
	v_fma_f32 v10, v56, v60, v10
	v_fmac_f32_e32 v11, v56, v23
	v_fma_f32 v36, v56, v14, v36
	v_mov_b32_e32 v14, 0xff7fffff
	v_cmp_gt_i32_e64 s[4:5], s29, v58
	v_add_u32_e32 v19, 16, v59
	v_add_u32_e32 v30, 17, v59
	v_fmac_f32_e32 v37, v56, v15
	v_fma_f32 v34, v56, v16, v34
	v_cndmask_b32_e64 v15, v14, v10, s[4:5]
	v_cndmask_b32_e64 v16, v14, v11, s[34:35]
	v_cvt_f32_i32_e32 v19, v19
	v_cvt_f32_i32_e32 v25, v30
	v_fmac_f32_e32 v35, v56, v17
	v_max3_f32 v15, v15, s33, v16
	v_or_b32_e32 v16, 2, v58
	v_or_b32_e32 v17, 3, v58
	v_fma_f32 v52, v56, v24, v52
	v_fmac_f32_e32 v53, v56, v18
	v_cmp_gt_i32_e64 s[36:37], s29, v16
	v_cmp_gt_i32_e64 s[38:39], s29, v17
	v_fma_f32 v50, v56, v19, v50
	v_cndmask_b32_e64 v16, v14, v52, s[36:37]
	v_cndmask_b32_e64 v17, v14, v53, s[38:39]
	v_max3_f32 v15, v15, v16, v17
	v_or_b32_e32 v16, 16, v58
	v_or_b32_e32 v17, 17, v58
	v_fmac_f32_e32 v51, v56, v25
	v_cmp_gt_i32_e64 s[24:25], s29, v16
	v_cmp_gt_i32_e64 s[26:27], s29, v17
	v_lshl_add_u64 v[2:3], v[2:3], 1, v[46:47]
	v_cndmask_b32_e64 v16, v14, v50, s[24:25]
	v_cndmask_b32_e64 v17, v14, v51, s[26:27]
	v_max3_f32 v15, v15, v16, v17
	v_or_b32_e32 v16, 18, v58
	v_or_b32_e32 v17, 19, v58
	v_cmp_gt_i32_e64 s[20:21], s29, v16
	v_cmp_gt_i32_e64 s[22:23], s29, v17
	v_lshl_add_u64 v[12:13], v[12:13], 1, v[46:47]
	v_cndmask_b32_e64 v16, v14, v48, s[20:21]
	v_cndmask_b32_e64 v17, v14, v49, s[22:23]
	v_max3_f32 v15, v15, v16, v17
	v_or_b32_e32 v16, 32, v58
	v_or_b32_e32 v17, 33, v58
	v_cmp_gt_i32_e64 s[16:17], s29, v16
	v_cmp_gt_i32_e64 s[18:19], s29, v17
	global_load_dwordx4 v[6:9], v[2:3], off
	s_nop 0
	global_load_dwordx4 v[2:5], v[2:3], off offset:16
	v_cndmask_b32_e64 v16, v14, v40, s[16:17]
	v_cndmask_b32_e64 v17, v14, v41, s[18:19]
	v_max3_f32 v15, v15, v16, v17
	v_or_b32_e32 v16, 34, v58
	v_or_b32_e32 v17, 35, v58
	v_cmp_gt_i32_e64 s[12:13], s29, v16
	v_cmp_gt_i32_e64 s[14:15], s29, v17
	global_load_dwordx4 v[30:33], v[12:13], off
	global_load_dwordx4 v[26:29], v[12:13], off offset:16
	v_cndmask_b32_e64 v16, v14, v38, s[12:13]
	v_cndmask_b32_e64 v17, v14, v39, s[14:15]
	v_max3_f32 v15, v15, v16, v17
	v_or_b32_e32 v16, 48, v58
	v_or_b32_e32 v17, 49, v58
	v_cmp_gt_i32_e64 s[8:9], s29, v16
	v_cmp_gt_i32_e64 s[10:11], s29, v17
	s_nop 0
	v_cndmask_b32_e64 v16, v14, v36, s[8:9]
	v_cndmask_b32_e64 v17, v14, v37, s[10:11]
	v_max3_f32 v15, v15, v16, v17
	v_or_b32_e32 v16, 50, v58
	v_or_b32_e32 v17, 51, v58
	v_cmp_gt_i32_e32 vcc, s29, v16
	v_cmp_gt_i32_e64 s[6:7], s29, v17
	s_nop 0
	v_cndmask_b32_e32 v16, v14, v34, vcc
	v_cndmask_b32_e64 v14, v14, v35, s[6:7]
	v_max3_f32 v14, v15, v16, v14
	v_mbcnt_lo_u32_b32 v15, -1, 0
	v_mbcnt_hi_u32_b32 v15, -1, v15
	v_and_b32_e32 v16, 64, v15
	v_add_u32_e32 v16, 64, v16
	v_xor_b32_e32 v17, 32, v15
	v_cmp_lt_i32_e64 s[40:41], v17, v16
	s_nop 1
	v_cndmask_b32_e64 v17, v15, v17, s[40:41]
	v_lshlrev_b32_e32 v57, 2, v17
	ds_bpermute_b32 v17, v57, v14
	s_waitcnt vmcnt(5)
	v_mad_i64_i32 v[12:13], s[40:41], v22, s45, 0
	v_lshl_add_u64 v[12:13], v[12:13], 1, v[46:47]
	global_load_dwordx4 v[22:25], v[12:13], off
	global_load_dwordx4 v[18:21], v[12:13], off offset:16
	s_waitcnt lgkmcnt(0)
	v_max_f32_e32 v17, v17, v17
	v_max_f32_e32 v14, v14, v17
	v_xor_b32_e32 v17, 16, v15
	v_cmp_lt_i32_e64 s[40:41], v17, v16
	s_nop 1
	v_cndmask_b32_e64 v15, v15, v17, s[40:41]
	v_lshlrev_b32_e32 v59, 2, v15
	ds_bpermute_b32 v15, v59, v14
	s_waitcnt vmcnt(6)
	v_mad_i64_i32 v[12:13], s[40:41], v61, s45, 0
	v_lshl_add_u64 v[12:13], v[12:13], 1, v[46:47]
	s_waitcnt lgkmcnt(0)
	v_max_f32_e32 v15, v15, v15
	v_max_f32_e32 v56, v14, v15
	v_sub_f32_e32 v10, v10, v56
	v_mul_f32_e32 v10, 0x3fb8aa3b, v10
	v_exp_f32_e32 v46, v10
	v_sub_f32_e32 v10, v11, v56
	v_mul_f32_e32 v10, 0x3fb8aa3b, v10
	v_exp_f32_e32 v47, v10
	global_load_dwordx4 v[14:17], v[12:13], off
	s_nop 0
	global_load_dwordx4 v[10:13], v[12:13], off offset:16
	v_sub_f32_e32 v52, v52, v56
	v_mul_f32_e32 v52, 0x3fb8aa3b, v52
	v_sub_f32_e32 v53, v53, v56
	v_exp_f32_e32 v52, v52
	v_mul_f32_e32 v53, 0x3fb8aa3b, v53
	v_sub_f32_e32 v50, v50, v56
	v_exp_f32_e32 v53, v53
	v_mul_f32_e32 v50, 0x3fb8aa3b, v50
	v_sub_f32_e32 v51, v51, v56
	v_cndmask_b32_e64 v46, 0, v46, s[4:5]
	v_exp_f32_e32 v50, v50
	v_mul_f32_e32 v51, 0x3fb8aa3b, v51
	v_sub_f32_e32 v48, v48, v56
	v_add_f32_e32 v58, 0, v46
	v_cndmask_b32_e64 v47, 0, v47, s[34:35]
	v_exp_f32_e32 v51, v51
	v_mul_f32_e32 v48, 0x3fb8aa3b, v48
	v_sub_f32_e32 v49, v49, v56
	v_add_f32_e32 v58, v58, v47
	;; [unrolled: 5-line block ×10, first 2 shown]
	v_cndmask_b32_e64 v38, 0, v38, s[12:13]
	v_exp_f32_e32 v34, v34
	v_mul_f32_e32 v35, 0x3fb8aa3b, v35
	v_add_f32_e32 v58, v58, v38
	v_cndmask_b32_e64 v39, 0, v39, s[14:15]
	v_exp_f32_e32 v35, v35
	v_add_f32_e32 v58, v58, v39
	v_cndmask_b32_e64 v36, 0, v36, s[8:9]
	v_add_f32_e32 v58, v58, v36
	v_cndmask_b32_e64 v37, 0, v37, s[10:11]
	v_add_f32_e32 v58, v58, v37
	v_cndmask_b32_e32 v34, 0, v34, vcc
	v_add_f32_e32 v58, v58, v34
	v_cndmask_b32_e64 v35, 0, v35, s[6:7]
	v_add_f32_e32 v58, v58, v35
	ds_bpermute_b32 v57, v57, v58
	s_load_dword s7, s[0:1], 0x98
	v_cmp_gt_u32_e32 vcc, 16, v55
	s_waitcnt lgkmcnt(0)
	s_barrier
	v_add_f32_e32 v58, v58, v57
	ds_bpermute_b32 v59, v59, v58
	v_lshlrev_b32_e32 v57, 2, v44
	s_waitcnt lgkmcnt(0)
	s_and_saveexec_b64 s[4:5], vcc
	s_cbranch_execz .LBB6_15
; %bb.14:
	v_add_f32_e32 v55, v58, v59
	v_lshl_or_b32 v58, v45, 6, v57
	ds_write2st64_b32 v58, v56, v55 offset1:1
.LBB6_15:
	s_or_b64 exec, exec, s[4:5]
	s_load_dword s6, s[0:1], 0x94
	s_waitcnt lgkmcnt(0)
	s_barrier
	ds_read2_b32 v[58:59], v57 offset1:16
	ds_read2_b32 v[60:61], v57 offset0:32 offset1:48
	ds_read2_b32 v[62:63], v57 offset0:64 offset1:80
	s_mul_i32 s7, s7, 7
	s_waitcnt lgkmcnt(2)
	v_max3_f32 v55, v58, s33, v59
	s_waitcnt lgkmcnt(1)
	v_max3_f32 v55, v55, v60, v61
	v_sub_f32_e32 v56, v58, v55
	v_mul_f32_e32 v56, 0x3fb8aa3b, v56
	v_exp_f32_e32 v64, v56
	v_sub_f32_e32 v56, v59, v55
	v_mul_f32_e32 v56, 0x3fb8aa3b, v56
	v_exp_f32_e32 v65, v56
	;; [unrolled: 3-line block ×3, first 2 shown]
	ds_read2_b32 v[58:59], v57 offset0:96 offset1:112
	v_sub_f32_e32 v56, v61, v55
	v_mul_f32_e32 v56, 0x3fb8aa3b, v56
	v_exp_f32_e32 v57, v56
	s_waitcnt lgkmcnt(1)
	v_fma_f32 v56, v64, v62, 0
	v_fmac_f32_e32 v56, v65, v63
	s_waitcnt lgkmcnt(0)
	v_fmac_f32_e32 v56, v60, v58
	v_fmac_f32_e32 v56, v57, v59
	v_add_f32_e32 v58, 0x358637bd, v56
	v_div_scale_f32 v59, s[4:5], v58, v58, 1.0
	v_rcp_f32_e32 v61, v59
	s_barrier
	v_fma_f32 v62, -v59, v61, 1.0
	v_fmac_f32_e32 v61, v62, v61
	v_div_scale_f32 v62, vcc, 1.0, v58, 1.0
	v_mul_f32_e32 v63, v62, v61
	v_fma_f32 v66, -v59, v63, v62
	v_fmac_f32_e32 v63, v66, v61
	v_fma_f32 v59, -v59, v63, v62
	v_div_fmas_f32 v59, v59, v61, v63
	v_cmp_eq_u32_e32 vcc, 1, v45
	v_div_fixup_f32 v58, v59, v58, 1.0
	s_nop 0
	v_cndmask_b32_e32 v59, v64, v65, vcc
	v_cmp_eq_u32_e32 vcc, 2, v45
	s_nop 1
	v_cndmask_b32_e32 v59, v59, v60, vcc
	v_cmp_eq_u32_e32 vcc, 3, v45
	v_lshlrev_b32_e32 v45, 11, v45
	s_nop 0
	v_cndmask_b32_e32 v57, v59, v57, vcc
	v_mul_f32_e32 v58, v57, v58
	v_pk_mul_f32 v[46:47], v[58:59], v[46:47] op_sel_hi:[0,1]
	v_cvt_f16_f32_e32 v46, v46
	v_cvt_f16_f32_e32 v47, v47
	v_pk_mul_f32 v[52:53], v[58:59], v[52:53] op_sel_hi:[0,1]
	v_cvt_f16_f32_e32 v57, v52
	v_cvt_f16_f32_e32 v53, v53
	v_pack_b32_f16 v52, v46, v47
	v_pk_mul_f32 v[46:47], v[58:59], v[48:49] op_sel_hi:[0,1]
	v_pk_mul_f32 v[48:49], v[58:59], v[50:51] op_sel_hi:[0,1]
	v_cvt_f16_f32_e32 v48, v48
	v_cvt_f16_f32_e32 v49, v49
	;; [unrolled: 1-line block ×4, first 2 shown]
	v_pack_b32_f16 v53, v57, v53
	v_lshlrev_b32_e32 v57, 3, v54
	v_pk_mul_f32 v[38:39], v[58:59], v[38:39] op_sel_hi:[0,1]
	v_pk_mul_f32 v[40:41], v[58:59], v[40:41] op_sel_hi:[0,1]
	;; [unrolled: 1-line block ×4, first 2 shown]
	v_or3_b32 v46, v45, v43, v57
	v_pack_b32_f16 v48, v48, v49
	v_pack_b32_f16 v49, v50, v47
	v_cvt_f16_f32_e32 v40, v40
	v_cvt_f16_f32_e32 v41, v41
	;; [unrolled: 1-line block ×8, first 2 shown]
	v_pack_b32_f16 v34, v40, v41
	v_pack_b32_f16 v35, v38, v39
	;; [unrolled: 1-line block ×4, first 2 shown]
	v_cmp_gt_u32_e32 vcc, 7, v0
	ds_write2st64_b64 v46, v[52:53], v[48:49] offset1:1
	ds_write2st64_b64 v46, v[34:35], v[36:37] offset0:2 offset1:3
	s_and_saveexec_b64 s[4:5], vcc
	s_cbranch_execz .LBB6_17
; %bb.16:
	s_mov_b32 s43, 0
	v_mov_b32_e32 v45, 0
	v_lshl_add_u64 v[34:35], s[42:43], 0, v[44:45]
	v_mov_b32_e32 v36, s7
	v_mad_u64_u32 v[34:35], s[12:13], s2, v36, v[34:35]
	s_mul_i32 s3, s3, s7
	v_mov_b32_e32 v44, s28
	s_load_dwordx4 s[8:11], s[0:1], 0x58
	v_add_u32_e32 v37, s3, v35
	v_mad_u64_u32 v[34:35], s[12:13], v34, s6, v[44:45]
	v_mov_b32_e32 v36, v35
	v_mad_u64_u32 v[36:37], s[12:13], v37, s6, v[36:37]
	v_mov_b32_e32 v35, v36
	v_lshlrev_b64 v[34:35], 2, v[34:35]
	s_waitcnt lgkmcnt(0)
	v_lshl_add_u64 v[36:37], s[10:11], 0, v[34:35]
	v_lshl_add_u64 v[34:35], s[8:9], 0, v[34:35]
	global_store_dword v[36:37], v55, off
	global_store_dword v[34:35], v56, off
.LBB6_17:
	s_or_b64 exec, exec, s[4:5]
	v_lshl_or_b32 v43, v54, 9, v43
	s_waitcnt lgkmcnt(0)
	s_barrier
	ds_read_b128 v[34:37], v43
	ds_read_b128 v[38:41], v43 offset:16
	s_waitcnt vmcnt(7) lgkmcnt(1)
	v_mfma_f32_16x16x16_f16 v[48:51], v[6:7], v[34:35], 0
	v_cmp_gt_u32_e32 vcc, 64, v0
	s_mov_b32 s3, 0
	s_and_b64 s[4:5], vcc, s[30:31]
	v_mfma_f32_16x16x16_f16 v[6:9], v[8:9], v[36:37], v[48:51]
	s_waitcnt vmcnt(6) lgkmcnt(0)
	v_mfma_f32_16x16x16_f16 v[6:9], v[2:3], v[38:39], v[6:9]
	v_mfma_f32_16x16x16_f16 v[2:5], v[4:5], v[40:41], v[6:9]
	s_nop 5
	ds_read_b128 v[6:9], v43 offset:2048
	ds_read_b128 v[34:37], v43 offset:2064
	s_waitcnt vmcnt(5) lgkmcnt(1)
	v_mfma_f32_16x16x16_f16 v[2:5], v[30:31], v[6:7], v[2:5]
	v_mfma_f32_16x16x16_f16 v[2:5], v[32:33], v[8:9], v[2:5]
	s_waitcnt vmcnt(4) lgkmcnt(0)
	v_mfma_f32_16x16x16_f16 v[2:5], v[26:27], v[34:35], v[2:5]
	v_mfma_f32_16x16x16_f16 v[2:5], v[28:29], v[36:37], v[2:5]
	ds_read_b128 v[6:9], v43 offset:4096
	ds_read_b128 v[26:29], v43 offset:4112
	s_waitcnt vmcnt(3) lgkmcnt(1)
	v_mfma_f32_16x16x16_f16 v[2:5], v[22:23], v[6:7], v[2:5]
	v_mfma_f32_16x16x16_f16 v[2:5], v[24:25], v[8:9], v[2:5]
	s_waitcnt vmcnt(2) lgkmcnt(0)
	v_mfma_f32_16x16x16_f16 v[2:5], v[18:19], v[26:27], v[2:5]
	v_mfma_f32_16x16x16_f16 v[2:5], v[20:21], v[28:29], v[2:5]
	ds_read_b128 v[6:9], v43 offset:6144
	ds_read_b128 v[18:21], v43 offset:6160
	v_mov_b32_e32 v43, 0
	s_waitcnt vmcnt(1) lgkmcnt(0)
	v_mfma_f32_16x16x16_f16 v[2:5], v[14:15], v[6:7], v[2:5]
	s_barrier
	v_mfma_f32_16x16x16_f16 v[2:5], v[16:17], v[8:9], v[2:5]
	s_waitcnt vmcnt(0)
	v_mfma_f32_16x16x16_f16 v[2:5], v[10:11], v[18:19], v[2:5]
	v_mfma_f32_16x16x16_f16 v[2:5], v[12:13], v[20:21], v[2:5]
	s_nop 6
	v_cvt_f16_f32_e32 v2, v2
	v_cvt_f16_f32_e32 v3, v3
	;; [unrolled: 1-line block ×4, first 2 shown]
	v_pack_b32_f16 v2, v2, v3
	v_pack_b32_f16 v3, v4, v5
	ds_write_b64 v46, v[2:3]
	s_waitcnt lgkmcnt(0)
	s_barrier
	s_and_saveexec_b64 s[8:9], s[4:5]
	s_cbranch_execz .LBB6_20
; %bb.18:
	s_load_dwordx2 s[4:5], s[0:1], 0x68
	s_lshl_b32 s0, s6, 6
	s_mul_i32 s1, s7, s2
	s_mul_hi_u32 s7, s1, s0
	s_mul_i32 s6, s1, s0
	v_lshlrev_b32_e32 v0, 10, v0
	s_lshl_b64 s[6:7], s[6:7], 1
	v_and_b32_e32 v0, 0x1800, v0
	v_lshlrev_b32_e32 v2, 5, v54
	v_and_b32_e32 v1, 16, v1
	s_waitcnt lgkmcnt(0)
	s_add_u32 s1, s4, s6
	v_or3_b32 v2, v0, v2, v1
	s_addc_u32 s4, s5, s7
	s_lshl_b32 s2, s28, 6
	s_lshl_b64 s[2:3], s[2:3], 1
	ds_read_b128 v[4:7], v2
	s_add_u32 s2, s1, s2
	s_addc_u32 s3, s4, s3
	v_add_u32_e32 v3, s42, v54
	v_lshl_add_u64 v[0:1], s[2:3], 0, v[42:43]
	v_mad_u64_u32 v[8:9], s[2:3], v3, s0, 0
	v_lshl_add_u64 v[8:9], v[8:9], 1, v[0:1]
	v_cmp_ne_u32_e32 vcc, 3, v54
	s_waitcnt lgkmcnt(0)
	global_store_dwordx4 v[8:9], v[4:7], off
	s_and_b64 exec, exec, vcc
	s_cbranch_execz .LBB6_20
; %bb.19:
	ds_read_b128 v[2:5], v2 offset:128
	v_add3_u32 v6, s42, v54, 4
	v_mad_u64_u32 v[6:7], s[0:1], v6, s0, 0
	v_lshl_add_u64 v[0:1], v[6:7], 1, v[0:1]
	s_waitcnt lgkmcnt(0)
	global_store_dwordx4 v[0:1], v[2:5], off
.LBB6_20:
	s_endpgm
	.section	.rodata,"a",@progbits
	.p2align	6, 0x0
	.amdhsa_kernel _Z39paged_attention_ll4mi_QKV_mfma16_kernelIDF16_DF16_LN4vllm18Fp8KVCacheDataTypeE0EhLi16ELi64ELi256ELb1ELi7EEvPKT_PKT0_S7_ifPKiS9_S9_iPKfiiiPfSC_PS2_PT2_iSB_SB_
		.amdhsa_group_segment_fixed_size 8192
		.amdhsa_private_segment_fixed_size 0
		.amdhsa_kernarg_size 400
		.amdhsa_user_sgpr_count 2
		.amdhsa_user_sgpr_dispatch_ptr 0
		.amdhsa_user_sgpr_queue_ptr 0
		.amdhsa_user_sgpr_kernarg_segment_ptr 1
		.amdhsa_user_sgpr_dispatch_id 0
		.amdhsa_user_sgpr_kernarg_preload_length 0
		.amdhsa_user_sgpr_kernarg_preload_offset 0
		.amdhsa_user_sgpr_private_segment_size 0
		.amdhsa_uses_dynamic_stack 0
		.amdhsa_enable_private_segment 0
		.amdhsa_system_sgpr_workgroup_id_x 1
		.amdhsa_system_sgpr_workgroup_id_y 1
		.amdhsa_system_sgpr_workgroup_id_z 1
		.amdhsa_system_sgpr_workgroup_info 0
		.amdhsa_system_vgpr_workitem_id 0
		.amdhsa_next_free_vgpr 72
		.amdhsa_next_free_sgpr 48
		.amdhsa_accum_offset 72
		.amdhsa_reserve_vcc 1
		.amdhsa_float_round_mode_32 0
		.amdhsa_float_round_mode_16_64 0
		.amdhsa_float_denorm_mode_32 3
		.amdhsa_float_denorm_mode_16_64 3
		.amdhsa_dx10_clamp 1
		.amdhsa_ieee_mode 1
		.amdhsa_fp16_overflow 0
		.amdhsa_tg_split 0
		.amdhsa_exception_fp_ieee_invalid_op 0
		.amdhsa_exception_fp_denorm_src 0
		.amdhsa_exception_fp_ieee_div_zero 0
		.amdhsa_exception_fp_ieee_overflow 0
		.amdhsa_exception_fp_ieee_underflow 0
		.amdhsa_exception_fp_ieee_inexact 0
		.amdhsa_exception_int_div_zero 0
	.end_amdhsa_kernel
	.section	.text._Z39paged_attention_ll4mi_QKV_mfma16_kernelIDF16_DF16_LN4vllm18Fp8KVCacheDataTypeE0EhLi16ELi64ELi256ELb1ELi7EEvPKT_PKT0_S7_ifPKiS9_S9_iPKfiiiPfSC_PS2_PT2_iSB_SB_,"axG",@progbits,_Z39paged_attention_ll4mi_QKV_mfma16_kernelIDF16_DF16_LN4vllm18Fp8KVCacheDataTypeE0EhLi16ELi64ELi256ELb1ELi7EEvPKT_PKT0_S7_ifPKiS9_S9_iPKfiiiPfSC_PS2_PT2_iSB_SB_,comdat
.Lfunc_end6:
	.size	_Z39paged_attention_ll4mi_QKV_mfma16_kernelIDF16_DF16_LN4vllm18Fp8KVCacheDataTypeE0EhLi16ELi64ELi256ELb1ELi7EEvPKT_PKT0_S7_ifPKiS9_S9_iPKfiiiPfSC_PS2_PT2_iSB_SB_, .Lfunc_end6-_Z39paged_attention_ll4mi_QKV_mfma16_kernelIDF16_DF16_LN4vllm18Fp8KVCacheDataTypeE0EhLi16ELi64ELi256ELb1ELi7EEvPKT_PKT0_S7_ifPKiS9_S9_iPKfiiiPfSC_PS2_PT2_iSB_SB_
                                        ; -- End function
	.section	.AMDGPU.csdata,"",@progbits
; Kernel info:
; codeLenInByte = 4064
; NumSgprs: 54
; NumVgprs: 72
; NumAgprs: 0
; TotalNumVgprs: 72
; ScratchSize: 0
; MemoryBound: 0
; FloatMode: 240
; IeeeMode: 1
; LDSByteSize: 8192 bytes/workgroup (compile time only)
; SGPRBlocks: 6
; VGPRBlocks: 8
; NumSGPRsForWavesPerEU: 54
; NumVGPRsForWavesPerEU: 72
; AccumOffset: 72
; Occupancy: 7
; WaveLimiterHint : 1
; COMPUTE_PGM_RSRC2:SCRATCH_EN: 0
; COMPUTE_PGM_RSRC2:USER_SGPR: 2
; COMPUTE_PGM_RSRC2:TRAP_HANDLER: 0
; COMPUTE_PGM_RSRC2:TGID_X_EN: 1
; COMPUTE_PGM_RSRC2:TGID_Y_EN: 1
; COMPUTE_PGM_RSRC2:TGID_Z_EN: 1
; COMPUTE_PGM_RSRC2:TIDIG_COMP_CNT: 0
; COMPUTE_PGM_RSRC3_GFX90A:ACCUM_OFFSET: 17
; COMPUTE_PGM_RSRC3_GFX90A:TG_SPLIT: 0
	.section	.text._Z39paged_attention_ll4mi_QKV_mfma16_kernelIDF16_DF16_LN4vllm18Fp8KVCacheDataTypeE0EhLi16ELi64ELi256ELb1ELi8EEvPKT_PKT0_S7_ifPKiS9_S9_iPKfiiiPfSC_PS2_PT2_iSB_SB_,"axG",@progbits,_Z39paged_attention_ll4mi_QKV_mfma16_kernelIDF16_DF16_LN4vllm18Fp8KVCacheDataTypeE0EhLi16ELi64ELi256ELb1ELi8EEvPKT_PKT0_S7_ifPKiS9_S9_iPKfiiiPfSC_PS2_PT2_iSB_SB_,comdat
	.protected	_Z39paged_attention_ll4mi_QKV_mfma16_kernelIDF16_DF16_LN4vllm18Fp8KVCacheDataTypeE0EhLi16ELi64ELi256ELb1ELi8EEvPKT_PKT0_S7_ifPKiS9_S9_iPKfiiiPfSC_PS2_PT2_iSB_SB_ ; -- Begin function _Z39paged_attention_ll4mi_QKV_mfma16_kernelIDF16_DF16_LN4vllm18Fp8KVCacheDataTypeE0EhLi16ELi64ELi256ELb1ELi8EEvPKT_PKT0_S7_ifPKiS9_S9_iPKfiiiPfSC_PS2_PT2_iSB_SB_
	.globl	_Z39paged_attention_ll4mi_QKV_mfma16_kernelIDF16_DF16_LN4vllm18Fp8KVCacheDataTypeE0EhLi16ELi64ELi256ELb1ELi8EEvPKT_PKT0_S7_ifPKiS9_S9_iPKfiiiPfSC_PS2_PT2_iSB_SB_
	.p2align	8
	.type	_Z39paged_attention_ll4mi_QKV_mfma16_kernelIDF16_DF16_LN4vllm18Fp8KVCacheDataTypeE0EhLi16ELi64ELi256ELb1ELi8EEvPKT_PKT0_S7_ifPKiS9_S9_iPKfiiiPfSC_PS2_PT2_iSB_SB_,@function
_Z39paged_attention_ll4mi_QKV_mfma16_kernelIDF16_DF16_LN4vllm18Fp8KVCacheDataTypeE0EhLi16ELi64ELi256ELb1ELi8EEvPKT_PKT0_S7_ifPKiS9_S9_iPKfiiiPfSC_PS2_PT2_iSB_SB_: ; @_Z39paged_attention_ll4mi_QKV_mfma16_kernelIDF16_DF16_LN4vllm18Fp8KVCacheDataTypeE0EhLi16ELi64ELi256ELb1ELi8EEvPKT_PKT0_S7_ifPKiS9_S9_iPKfiiiPfSC_PS2_PT2_iSB_SB_
; %bb.0:
	s_load_dwordx2 s[8:9], s[0:1], 0x30
	s_mov_b32 s28, s3
	s_mov_b64 s[6:7], 0
	s_waitcnt lgkmcnt(0)
	s_cmp_lg_u64 s[8:9], 0
	s_cselect_b64 s[10:11], -1, 0
	s_and_b64 vcc, exec, s[10:11]
	s_cbranch_vccz .LBB7_7
; %bb.1:
	s_add_i32 s12, s2, 1
	s_mov_b32 s13, 0
	s_lshl_b64 s[14:15], s[12:13], 2
	s_add_u32 s14, s8, s14
	s_mov_b32 s3, s13
	s_addc_u32 s15, s9, s15
	s_lshl_b64 s[12:13], s[2:3], 2
	s_add_u32 s12, s8, s12
	s_addc_u32 s13, s9, s13
	s_load_dword s5, s[14:15], 0x0
	s_load_dword s16, s[12:13], 0x0
	s_waitcnt lgkmcnt(0)
	s_sub_i32 s5, s5, s16
	s_cmp_eq_u32 s5, 1
	s_cselect_b64 s[12:13], -1, 0
	s_andn2_b64 vcc, exec, s[6:7]
	s_cbranch_vccnz .LBB7_3
.LBB7_2:
	s_mov_b32 s3, 0
	s_mov_b64 s[12:13], -1
.LBB7_3:
	s_andn2_b64 vcc, exec, s[12:13]
	s_cbranch_vccnz .LBB7_19
; %bb.4:
	s_load_dwordx2 s[6:7], s[0:1], 0x28
	s_lshl_b64 s[12:13], s[2:3], 2
	s_waitcnt lgkmcnt(0)
	s_add_u32 s6, s6, s12
	s_addc_u32 s7, s7, s13
	s_load_dword s33, s[6:7], 0x0
	s_lshl_b32 s16, s28, 8
	s_waitcnt lgkmcnt(0)
	s_cmp_ge_i32 s16, s33
	s_cbranch_scc1 .LBB7_19
; %bb.5:
	s_load_dwordx2 s[6:7], s[0:1], 0x20
	s_load_dword s5, s[0:1], 0x38
	s_add_i32 s14, s33, 15
	s_ashr_i32 s15, s14, 31
	v_and_b32_e32 v1, 0xcf, v0
	s_lshr_b32 s15, s15, 28
	v_add_u32_e32 v1, s16, v1
	s_add_i32 s14, s14, s15
	v_ashrrev_i32_e32 v2, 31, v1
	s_ashr_i32 s17, s14, 4
	v_lshrrev_b32_e32 v6, 28, v2
	s_add_i32 s17, s17, -1
	s_waitcnt lgkmcnt(0)
	s_mul_i32 s14, s2, s5
	s_mov_b32 s15, 0
	v_add_u32_e32 v2, v1, v6
	s_lshl_b64 s[14:15], s[14:15], 2
	v_ashrrev_i32_e32 v2, 4, v2
	v_mov_b32_e32 v7, s17
	v_cmp_gt_i32_e32 vcc, s33, v1
	s_add_u32 s6, s6, s14
	s_addc_u32 s7, s7, s15
	v_cndmask_b32_e32 v2, v7, v2, vcc
	v_ashrrev_i32_e32 v3, 31, v2
	v_lshl_add_u64 v[4:5], v[2:3], 2, s[6:7]
	v_or_b32_e32 v2, 16, v1
	v_add_u32_e32 v3, v2, v6
	v_ashrrev_i32_e32 v3, 4, v3
	v_cmp_gt_i32_e32 vcc, s33, v2
	s_load_dwordx2 s[14:15], s[0:1], 0x8
	s_nop 0
	v_cndmask_b32_e32 v2, v7, v3, vcc
	v_ashrrev_i32_e32 v3, 31, v2
	v_lshl_add_u64 v[8:9], v[2:3], 2, s[6:7]
	v_or_b32_e32 v2, 32, v1
	v_add_u32_e32 v3, v2, v6
	v_ashrrev_i32_e32 v3, 4, v3
	v_cmp_gt_i32_e32 vcc, s33, v2
	v_or_b32_e32 v1, 48, v1
	s_nop 0
	v_cndmask_b32_e32 v2, v7, v3, vcc
	v_ashrrev_i32_e32 v3, 31, v2
	v_lshl_add_u64 v[10:11], v[2:3], 2, s[6:7]
	v_add_u32_e32 v2, v1, v6
	v_ashrrev_i32_e32 v2, 4, v2
	v_cmp_gt_i32_e32 vcc, s33, v1
	s_nop 1
	v_cndmask_b32_e32 v2, v7, v2, vcc
	v_ashrrev_i32_e32 v3, 31, v2
	v_lshl_add_u64 v[12:13], v[2:3], 2, s[6:7]
	global_load_dword v3, v[4:5], off
	global_load_dword v2, v[8:9], off
	;; [unrolled: 1-line block ×4, first 2 shown]
	s_andn2_b64 vcc, exec, s[10:11]
	s_cbranch_vccnz .LBB7_8
; %bb.6:
	s_add_u32 s8, s8, s12
	s_addc_u32 s9, s9, s13
	s_load_dword s5, s[8:9], 0x0
	s_branch .LBB7_9
.LBB7_7:
	s_mov_b64 s[12:13], 0
	s_branch .LBB7_2
.LBB7_8:
	s_mov_b32 s5, s2
.LBB7_9:
	s_load_dwordx2 s[8:9], s[0:1], 0x10
	s_load_dwordx4 s[44:47], s[0:1], 0x48
	v_and_b32_e32 v54, 15, v0
	s_movk_i32 s10, 0x80
	v_lshlrev_b32_e32 v4, 3, v54
	v_cmp_gt_u32_e32 vcc, s10, v0
	v_cmp_gt_u32_e64 s[30:31], 8, v54
	v_lshrrev_b32_e32 v53, 6, v0
	v_bfe_u32 v1, v0, 4, 2
	s_lshl_b32 s29, s4, 3
	s_and_b64 s[12:13], vcc, s[30:31]
	v_lshlrev_b32_e32 v42, 1, v4
	s_and_saveexec_b64 s[10:11], s[12:13]
	s_cbranch_execz .LBB7_11
; %bb.10:
	s_load_dwordx2 s[12:13], s[0:1], 0x0
	s_waitcnt lgkmcnt(0)
	s_ashr_i32 s18, s44, 31
	s_mul_hi_u32 s19, s5, s44
	s_mul_i32 s18, s5, s18
	s_add_i32 s19, s19, s18
	s_mul_i32 s18, s5, s44
	v_lshl_or_b32 v7, v53, 2, v1
	s_lshl_b64 s[18:19], s[18:19], 1
	s_add_u32 s12, s12, s18
	v_add_lshl_u32 v4, v7, s29, 6
	s_addc_u32 s13, s13, s19
	v_ashrrev_i32_e32 v5, 31, v4
	v_lshl_add_u64 v[4:5], v[4:5], 1, s[12:13]
	v_mov_b32_e32 v43, 0
	v_lshl_add_u64 v[4:5], v[4:5], 0, v[42:43]
	global_load_dwordx4 v[8:11], v[4:5], off
	v_and_b32_e32 v4, 3, v0
	v_lshlrev_b32_e32 v5, 5, v7
	v_lshlrev_b32_e32 v7, 9, v54
	;; [unrolled: 1-line block ×3, first 2 shown]
	v_and_b32_e32 v7, 0x1800, v7
	v_or3_b32 v4, v7, v4, v5
	s_waitcnt vmcnt(0)
	ds_write_b128 v4, v[8:11]
.LBB7_11:
	s_or_b64 exec, exec, s[10:11]
	s_waitcnt lgkmcnt(0)
	s_mul_i32 s4, s4, s46
	s_mov_b32 s5, 0
	s_lshl_b64 s[4:5], s[4:5], 1
	s_add_u32 s10, s14, s4
	v_lshlrev_b32_e32 v52, 4, v0
	s_addc_u32 s11, s15, s5
	v_and_b32_e32 v44, 0xf0, v52
	v_mov_b32_e32 v45, 0
	v_lshl_add_u64 v[16:17], s[10:11], 0, v[44:45]
	s_waitcnt vmcnt(3)
	v_mad_i64_i32 v[4:5], s[10:11], v3, s45, 0
	s_waitcnt vmcnt(2)
	v_mad_i64_i32 v[2:3], s[10:11], v2, s45, 0
	;; [unrolled: 2-line block ×3, first 2 shown]
	v_lshl_add_u64 v[4:5], v[4:5], 1, v[16:17]
	v_and_b32_e32 v44, 0x300, v52
	v_lshl_add_u64 v[2:3], v[2:3], 1, v[16:17]
	v_lshl_add_u64 v[6:7], v[6:7], 1, v[16:17]
	s_waitcnt vmcnt(0)
	v_mad_i64_i32 v[14:15], s[10:11], v14, s45, 0
	v_lshl_add_u64 v[4:5], v[4:5], 0, v[44:45]
	v_lshl_add_u64 v[8:9], v[2:3], 0, v[44:45]
	;; [unrolled: 1-line block ×4, first 2 shown]
	s_barrier
	global_load_dwordx4 v[30:33], v[4:5], off
	global_load_dwordx4 v[10:13], v[4:5], off offset:1024
	global_load_dwordx4 v[22:25], v[8:9], off
	s_nop 0
	global_load_dwordx4 v[2:5], v[8:9], off offset:1024
	global_load_dwordx4 v[26:29], v[18:19], off
	s_nop 0
	global_load_dwordx4 v[6:9], v[18:19], off offset:1024
	v_lshl_add_u64 v[18:19], v[14:15], 0, v[44:45]
	global_load_dwordx4 v[34:37], v[18:19], off
	global_load_dwordx4 v[14:17], v[18:19], off offset:1024
	v_and_b32_e32 v18, 7, v0
	v_lshlrev_b32_e32 v18, 5, v18
	v_lshl_or_b32 v18, v1, 9, v18
	ds_read_b128 v[38:41], v18
	ds_read_b128 v[18:21], v18 offset:2048
	v_and_b32_e32 v55, 63, v0
	v_mov_b32_e32 v56, 0
	s_and_saveexec_b64 s[10:11], s[30:31]
	s_cbranch_execz .LBB7_13
; %bb.12:
	s_load_dwordx2 s[12:13], s[0:1], 0x40
	v_or_b32_e32 v46, s29, v54
	v_ashrrev_i32_e32 v47, 31, v46
	s_waitcnt lgkmcnt(0)
	v_lshl_add_u64 v[46:47], v[46:47], 2, s[12:13]
	global_load_dword v56, v[46:47], off
.LBB7_13:
	s_or_b64 exec, exec, s[10:11]
	v_and_or_b32 v44, v0, 48, s16
	v_ashrrev_i32_e32 v43, 4, v44
	v_mov_b32_e32 v57, s17
	v_cmp_gt_i32_e32 vcc, s33, v44
	s_waitcnt vmcnt(5) lgkmcnt(1)
	v_mfma_f32_16x16x16_f16 v[58:61], v[22:23], v[38:39], 0
	s_load_dword s10, s[0:1], 0x1c
	v_cndmask_b32_e32 v46, v57, v43, vcc
	v_ashrrev_i32_e32 v47, 31, v46
	v_or_b32_e32 v43, 64, v44
	v_lshl_add_u64 v[50:51], v[46:47], 2, s[6:7]
	v_mfma_f32_16x16x16_f16 v[46:49], v[30:31], v[38:39], 0
	v_ashrrev_i32_e32 v30, 4, v43
	v_cmp_gt_i32_e32 vcc, s33, v43
	global_load_dword v70, v[50:51], off
	s_waitcnt vmcnt(4)
	v_mfma_f32_16x16x16_f16 v[62:65], v[26:27], v[38:39], 0
	v_cndmask_b32_e32 v30, v57, v30, vcc
	v_ashrrev_i32_e32 v31, 31, v30
	v_lshl_add_u64 v[22:23], v[30:31], 2, s[6:7]
	global_load_dword v71, v[22:23], off
	v_mfma_f32_16x16x16_f16 v[22:25], v[24:25], v[40:41], v[58:61]
	v_and_b32_e32 v26, 0xc0, v0
	s_add_u32 s4, s8, s4
	v_lshlrev_b32_e32 v43, 5, v54
	v_mfma_f32_16x16x16_f16 v[30:33], v[32:33], v[40:41], v[46:49]
	s_addc_u32 s5, s9, s5
	s_mov_b32 s42, 0xff7fffff
	s_waitcnt vmcnt(3)
	v_mfma_f32_16x16x16_f16 v[66:69], v[34:35], v[38:39], 0
	v_or_b32_e32 v38, 0x80, v44
	v_add_u32_e32 v46, s16, v26
	v_or_b32_e32 v39, 0xc0, v44
	v_mfma_f32_16x16x16_f16 v[26:29], v[28:29], v[40:41], v[62:65]
	v_ashrrev_i32_e32 v47, 4, v38
	v_cmp_gt_i32_e32 vcc, s33, v38
	v_ashrrev_i32_e32 v48, 4, v39
	s_waitcnt lgkmcnt(0)
	v_mfma_f32_16x16x16_f16 v[22:25], v[2:3], v[18:19], v[22:25]
	v_cndmask_b32_e32 v38, v57, v47, vcc
	v_cmp_gt_i32_e32 vcc, s33, v39
	v_ashrrev_i32_e32 v39, 31, v38
	v_mfma_f32_16x16x16_f16 v[30:33], v[10:11], v[18:19], v[30:33]
	v_cndmask_b32_e32 v10, v57, v48, vcc
	v_ashrrev_i32_e32 v11, 31, v10
	v_lshl_or_b32 v58, v1, 2, v46
	v_mfma_f32_16x16x16_f16 v[26:29], v[6:7], v[18:19], v[26:29]
	v_lshl_add_u64 v[6:7], v[38:39], 2, s[6:7]
	v_lshl_add_u64 v[38:39], v[10:11], 2, s[6:7]
	v_or_b32_e32 v57, 1, v58
	v_mfma_f32_16x16x16_f16 v[2:5], v[4:5], v[20:21], v[22:25]
	s_nop 2
	global_load_dword v22, v[6:7], off
	global_load_dword v61, v[38:39], off
	v_subrev_u32_e32 v59, s33, v57
	v_cvt_f32_i32_e32 v60, v59
	v_mfma_f32_16x16x16_f16 v[34:37], v[36:37], v[40:41], v[66:69]
	v_pk_mul_f32 v[46:47], s[10:11], v[4:5] op_sel_hi:[0,1]
	v_lshl_or_b32 v44, v53, 9, v43
	v_lshl_add_u64 v[44:45], s[4:5], 0, v[44:45]
	s_waitcnt vmcnt(4)
	v_mfma_f32_16x16x16_f16 v[34:37], v[14:15], v[18:19], v[34:37]
	v_add_u32_e32 v14, 1, v59
	v_add_u32_e32 v15, 2, v59
	v_cvt_f32_i32_e32 v23, v14
	v_cvt_f32_i32_e32 v24, v15
	v_mfma_f32_16x16x16_f16 v[14:17], v[16:17], v[20:21], v[34:37]
	v_add_u32_e32 v18, 3, v59
	v_cvt_f32_i32_e32 v18, v18
	v_pk_mul_f32 v[48:49], s[10:11], v[2:3] op_sel_hi:[0,1]
	v_mfma_f32_16x16x16_f16 v[10:13], v[12:13], v[20:21], v[30:33]
	v_cmp_gt_i32_e64 s[34:35], s33, v57
	s_nop 1
	v_pk_mul_f32 v[36:37], s[10:11], v[14:15] op_sel_hi:[0,1]
	v_add_u32_e32 v15, 19, v59
	v_add_u32_e32 v31, 18, v59
	v_cvt_f32_i32_e32 v14, v31
	v_cvt_f32_i32_e32 v15, v15
	v_mfma_f32_16x16x16_f16 v[6:9], v[8:9], v[20:21], v[26:29]
	v_pk_mul_f32 v[34:35], s[10:11], v[16:17] op_sel_hi:[0,1]
	v_fma_f32 v46, v56, v14, v46
	v_add_u32_e32 v14, 32, v59
	v_fmac_f32_e32 v47, v56, v15
	v_cvt_f32_i32_e32 v14, v14
	v_add_u32_e32 v15, 33, v59
	v_add_u32_e32 v16, 34, v59
	v_cvt_f32_i32_e32 v15, v15
	v_cvt_f32_i32_e32 v16, v16
	v_add_u32_e32 v17, 35, v59
	v_cvt_f32_i32_e32 v17, v17
	v_pk_mul_f32 v[40:41], s[10:11], v[6:7] op_sel_hi:[0,1]
	v_pk_mul_f32 v[38:39], s[10:11], v[8:9] op_sel_hi:[0,1]
	v_fma_f32 v40, v56, v14, v40
	v_add_u32_e32 v14, 48, v59
	v_fmac_f32_e32 v41, v56, v15
	v_fma_f32 v38, v56, v16, v38
	v_cvt_f32_i32_e32 v14, v14
	v_add_u32_e32 v15, 49, v59
	v_add_u32_e32 v16, 50, v59
	v_fmac_f32_e32 v39, v56, v17
	v_cvt_f32_i32_e32 v15, v15
	v_cvt_f32_i32_e32 v16, v16
	v_add_u32_e32 v17, 51, v59
	v_cvt_f32_i32_e32 v17, v17
	v_pk_mul_f32 v[50:51], s[10:11], v[12:13] op_sel_hi:[0,1]
	v_pk_mul_f32 v[10:11], s[10:11], v[10:11] op_sel_hi:[0,1]
	s_waitcnt vmcnt(3)
	v_mad_i64_i32 v[2:3], s[4:5], v70, s45, 0
	s_waitcnt vmcnt(2)
	v_mad_i64_i32 v[12:13], s[4:5], v71, s45, 0
	v_fma_f32 v10, v56, v60, v10
	v_fmac_f32_e32 v11, v56, v23
	v_fma_f32 v36, v56, v14, v36
	v_mov_b32_e32 v14, 0xff7fffff
	v_cmp_gt_i32_e64 s[4:5], s33, v58
	v_add_u32_e32 v19, 16, v59
	v_add_u32_e32 v30, 17, v59
	v_fmac_f32_e32 v37, v56, v15
	v_fma_f32 v34, v56, v16, v34
	v_cndmask_b32_e64 v15, v14, v10, s[4:5]
	v_cndmask_b32_e64 v16, v14, v11, s[34:35]
	v_cvt_f32_i32_e32 v19, v19
	v_cvt_f32_i32_e32 v25, v30
	v_fmac_f32_e32 v35, v56, v17
	v_max3_f32 v15, v15, s42, v16
	v_or_b32_e32 v16, 2, v58
	v_or_b32_e32 v17, 3, v58
	v_fma_f32 v50, v56, v24, v50
	v_fmac_f32_e32 v51, v56, v18
	v_cmp_gt_i32_e64 s[36:37], s33, v16
	v_cmp_gt_i32_e64 s[38:39], s33, v17
	v_fma_f32 v48, v56, v19, v48
	v_cndmask_b32_e64 v16, v14, v50, s[36:37]
	v_cndmask_b32_e64 v17, v14, v51, s[38:39]
	v_max3_f32 v15, v15, v16, v17
	v_or_b32_e32 v16, 16, v58
	v_or_b32_e32 v17, 17, v58
	v_fmac_f32_e32 v49, v56, v25
	v_cmp_gt_i32_e64 s[24:25], s33, v16
	v_cmp_gt_i32_e64 s[26:27], s33, v17
	v_lshl_add_u64 v[2:3], v[2:3], 1, v[44:45]
	v_cndmask_b32_e64 v16, v14, v48, s[24:25]
	v_cndmask_b32_e64 v17, v14, v49, s[26:27]
	v_max3_f32 v15, v15, v16, v17
	v_or_b32_e32 v16, 18, v58
	v_or_b32_e32 v17, 19, v58
	v_cmp_gt_i32_e64 s[20:21], s33, v16
	v_cmp_gt_i32_e64 s[22:23], s33, v17
	v_lshl_add_u64 v[12:13], v[12:13], 1, v[44:45]
	v_cndmask_b32_e64 v16, v14, v46, s[20:21]
	v_cndmask_b32_e64 v17, v14, v47, s[22:23]
	v_max3_f32 v15, v15, v16, v17
	v_or_b32_e32 v16, 32, v58
	v_or_b32_e32 v17, 33, v58
	v_cmp_gt_i32_e64 s[16:17], s33, v16
	v_cmp_gt_i32_e64 s[18:19], s33, v17
	global_load_dwordx4 v[6:9], v[2:3], off
	s_nop 0
	global_load_dwordx4 v[2:5], v[2:3], off offset:16
	v_cndmask_b32_e64 v16, v14, v40, s[16:17]
	v_cndmask_b32_e64 v17, v14, v41, s[18:19]
	v_max3_f32 v15, v15, v16, v17
	v_or_b32_e32 v16, 34, v58
	v_or_b32_e32 v17, 35, v58
	v_cmp_gt_i32_e64 s[12:13], s33, v16
	v_cmp_gt_i32_e64 s[14:15], s33, v17
	global_load_dwordx4 v[30:33], v[12:13], off
	global_load_dwordx4 v[26:29], v[12:13], off offset:16
	v_cndmask_b32_e64 v16, v14, v38, s[12:13]
	v_cndmask_b32_e64 v17, v14, v39, s[14:15]
	v_max3_f32 v15, v15, v16, v17
	v_or_b32_e32 v16, 48, v58
	v_or_b32_e32 v17, 49, v58
	v_cmp_gt_i32_e64 s[8:9], s33, v16
	v_cmp_gt_i32_e64 s[10:11], s33, v17
	s_nop 0
	v_cndmask_b32_e64 v16, v14, v36, s[8:9]
	v_cndmask_b32_e64 v17, v14, v37, s[10:11]
	v_max3_f32 v15, v15, v16, v17
	v_or_b32_e32 v16, 50, v58
	v_or_b32_e32 v17, 51, v58
	v_cmp_gt_i32_e32 vcc, s33, v16
	v_cmp_gt_i32_e64 s[6:7], s33, v17
	s_nop 0
	v_cndmask_b32_e32 v16, v14, v34, vcc
	v_cndmask_b32_e64 v14, v14, v35, s[6:7]
	v_max3_f32 v14, v15, v16, v14
	v_mbcnt_lo_u32_b32 v15, -1, 0
	v_mbcnt_hi_u32_b32 v15, -1, v15
	v_and_b32_e32 v16, 64, v15
	v_add_u32_e32 v16, 64, v16
	v_xor_b32_e32 v17, 32, v15
	v_cmp_lt_i32_e64 s[40:41], v17, v16
	s_nop 1
	v_cndmask_b32_e64 v17, v15, v17, s[40:41]
	v_lshlrev_b32_e32 v57, 2, v17
	ds_bpermute_b32 v17, v57, v14
	s_waitcnt vmcnt(5)
	v_mad_i64_i32 v[12:13], s[40:41], v22, s45, 0
	v_lshl_add_u64 v[12:13], v[12:13], 1, v[44:45]
	global_load_dwordx4 v[22:25], v[12:13], off
	global_load_dwordx4 v[18:21], v[12:13], off offset:16
	s_waitcnt lgkmcnt(0)
	v_max_f32_e32 v17, v17, v17
	v_max_f32_e32 v14, v14, v17
	v_xor_b32_e32 v17, 16, v15
	v_cmp_lt_i32_e64 s[40:41], v17, v16
	s_nop 1
	v_cndmask_b32_e64 v15, v15, v17, s[40:41]
	v_lshlrev_b32_e32 v58, 2, v15
	ds_bpermute_b32 v15, v58, v14
	s_waitcnt vmcnt(6)
	v_mad_i64_i32 v[12:13], s[40:41], v61, s45, 0
	v_lshl_add_u64 v[12:13], v[12:13], 1, v[44:45]
	s_waitcnt lgkmcnt(0)
	v_max_f32_e32 v15, v15, v15
	v_max_f32_e32 v56, v14, v15
	v_sub_f32_e32 v10, v10, v56
	v_mul_f32_e32 v10, 0x3fb8aa3b, v10
	v_exp_f32_e32 v44, v10
	v_sub_f32_e32 v10, v11, v56
	v_mul_f32_e32 v10, 0x3fb8aa3b, v10
	v_exp_f32_e32 v45, v10
	global_load_dwordx4 v[14:17], v[12:13], off
	s_nop 0
	global_load_dwordx4 v[10:13], v[12:13], off offset:16
	v_sub_f32_e32 v50, v50, v56
	v_mul_f32_e32 v50, 0x3fb8aa3b, v50
	v_sub_f32_e32 v51, v51, v56
	v_exp_f32_e32 v50, v50
	v_mul_f32_e32 v51, 0x3fb8aa3b, v51
	v_sub_f32_e32 v48, v48, v56
	v_exp_f32_e32 v51, v51
	v_mul_f32_e32 v48, 0x3fb8aa3b, v48
	v_sub_f32_e32 v49, v49, v56
	v_cndmask_b32_e64 v44, 0, v44, s[4:5]
	v_exp_f32_e32 v48, v48
	v_mul_f32_e32 v49, 0x3fb8aa3b, v49
	v_sub_f32_e32 v46, v46, v56
	v_add_f32_e32 v59, 0, v44
	v_cndmask_b32_e64 v45, 0, v45, s[34:35]
	v_exp_f32_e32 v49, v49
	v_mul_f32_e32 v46, 0x3fb8aa3b, v46
	v_sub_f32_e32 v47, v47, v56
	v_add_f32_e32 v59, v59, v45
	;; [unrolled: 5-line block ×10, first 2 shown]
	v_cndmask_b32_e64 v38, 0, v38, s[12:13]
	v_exp_f32_e32 v34, v34
	v_mul_f32_e32 v35, 0x3fb8aa3b, v35
	v_add_f32_e32 v59, v59, v38
	v_cndmask_b32_e64 v39, 0, v39, s[14:15]
	v_exp_f32_e32 v35, v35
	v_add_f32_e32 v59, v59, v39
	v_cndmask_b32_e64 v36, 0, v36, s[8:9]
	v_add_f32_e32 v59, v59, v36
	v_cndmask_b32_e64 v37, 0, v37, s[10:11]
	v_add_f32_e32 v59, v59, v37
	v_cndmask_b32_e32 v34, 0, v34, vcc
	v_add_f32_e32 v59, v59, v34
	v_cndmask_b32_e64 v35, 0, v35, s[6:7]
	v_add_f32_e32 v59, v59, v35
	ds_bpermute_b32 v57, v57, v59
	s_load_dword s7, s[0:1], 0x98
	v_cmp_gt_u32_e32 vcc, 16, v55
	v_lshlrev_b32_e32 v55, 2, v54
	s_waitcnt lgkmcnt(0)
	v_add_f32_e32 v57, v59, v57
	ds_bpermute_b32 v58, v58, v57
	s_barrier
	s_waitcnt lgkmcnt(0)
	s_and_saveexec_b64 s[4:5], vcc
	s_cbranch_execz .LBB7_15
; %bb.14:
	v_add_f32_e32 v54, v57, v58
	v_lshl_or_b32 v57, v53, 6, v55
	ds_write2st64_b32 v57, v56, v54 offset1:1
.LBB7_15:
	s_or_b64 exec, exec, s[4:5]
	s_load_dword s6, s[0:1], 0x94
	s_waitcnt lgkmcnt(0)
	s_barrier
	ds_read2_b32 v[56:57], v55 offset1:16
	ds_read2_b32 v[58:59], v55 offset0:32 offset1:48
	ds_read2_b32 v[60:61], v55 offset0:64 offset1:80
	s_lshl_b32 s7, s7, 3
	s_waitcnt lgkmcnt(2)
	v_max3_f32 v54, v56, s42, v57
	s_waitcnt lgkmcnt(1)
	v_max3_f32 v54, v54, v58, v59
	v_sub_f32_e32 v56, v56, v54
	v_mul_f32_e32 v56, 0x3fb8aa3b, v56
	v_exp_f32_e32 v62, v56
	v_sub_f32_e32 v56, v57, v54
	v_mul_f32_e32 v56, 0x3fb8aa3b, v56
	v_exp_f32_e32 v63, v56
	;; [unrolled: 3-line block ×3, first 2 shown]
	ds_read2_b32 v[56:57], v55 offset0:96 offset1:112
	v_sub_f32_e32 v55, v59, v54
	v_mul_f32_e32 v55, 0x3fb8aa3b, v55
	v_exp_f32_e32 v59, v55
	s_waitcnt lgkmcnt(1)
	v_fma_f32 v55, v62, v60, 0
	v_fmac_f32_e32 v55, v63, v61
	s_waitcnt lgkmcnt(0)
	v_fmac_f32_e32 v55, v58, v56
	v_fmac_f32_e32 v55, v59, v57
	v_add_f32_e32 v56, 0x358637bd, v55
	v_div_scale_f32 v57, s[4:5], v56, v56, 1.0
	v_rcp_f32_e32 v60, v57
	s_barrier
	v_fma_f32 v61, -v57, v60, 1.0
	v_fmac_f32_e32 v60, v61, v60
	v_div_scale_f32 v61, vcc, 1.0, v56, 1.0
	v_mul_f32_e32 v64, v61, v60
	v_fma_f32 v65, -v57, v64, v61
	v_fmac_f32_e32 v64, v65, v60
	v_fma_f32 v57, -v57, v64, v61
	v_div_fmas_f32 v57, v57, v60, v64
	v_cmp_eq_u32_e32 vcc, 1, v53
	v_div_fixup_f32 v56, v57, v56, 1.0
	s_nop 0
	v_cndmask_b32_e32 v57, v62, v63, vcc
	v_cmp_eq_u32_e32 vcc, 2, v53
	s_nop 1
	v_cndmask_b32_e32 v57, v57, v58, vcc
	v_cmp_eq_u32_e32 vcc, 3, v53
	s_nop 1
	v_cndmask_b32_e32 v57, v57, v59, vcc
	v_mul_f32_e32 v56, v57, v56
	v_pk_mul_f32 v[50:51], v[56:57], v[50:51] op_sel_hi:[0,1]
	v_pk_mul_f32 v[44:45], v[56:57], v[44:45] op_sel_hi:[0,1]
	v_cvt_f16_f32_e32 v57, v50
	v_cvt_f16_f32_e32 v51, v51
	;; [unrolled: 1-line block ×4, first 2 shown]
	v_cmp_gt_u32_e32 vcc, 8, v0
	v_pack_b32_f16 v51, v57, v51
	v_lshlrev_b32_e32 v57, 3, v1
	v_pack_b32_f16 v50, v44, v45
	v_pk_mul_f32 v[44:45], v[56:57], v[46:47] op_sel_hi:[0,1]
	v_pk_mul_f32 v[46:47], v[56:57], v[48:49] op_sel_hi:[0,1]
	v_cvt_f16_f32_e32 v46, v46
	v_cvt_f16_f32_e32 v47, v47
	;; [unrolled: 1-line block ×4, first 2 shown]
	v_lshlrev_b32_e32 v44, 11, v53
	v_or3_b32 v44, v44, v43, v57
	v_pack_b32_f16 v46, v46, v47
	v_pack_b32_f16 v47, v48, v45
	v_pk_mul_f32 v[38:39], v[56:57], v[38:39] op_sel_hi:[0,1]
	v_pk_mul_f32 v[40:41], v[56:57], v[40:41] op_sel_hi:[0,1]
	;; [unrolled: 1-line block ×4, first 2 shown]
	ds_write2st64_b64 v44, v[50:51], v[46:47] offset1:1
	v_cvt_f16_f32_e32 v40, v40
	v_cvt_f16_f32_e32 v41, v41
	;; [unrolled: 1-line block ×8, first 2 shown]
	v_pack_b32_f16 v34, v40, v41
	v_pack_b32_f16 v35, v38, v39
	;; [unrolled: 1-line block ×4, first 2 shown]
	ds_write2st64_b64 v44, v[34:35], v[36:37] offset0:2 offset1:3
	s_and_saveexec_b64 s[4:5], vcc
	s_cbranch_execz .LBB7_17
; %bb.16:
	v_or_b32_e32 v34, s29, v0
	v_mov_b32_e32 v35, 0
	v_mov_b32_e32 v36, s7
	v_mad_u64_u32 v[36:37], s[12:13], s2, v36, v[34:35]
	v_mov_b32_e32 v34, s28
	s_load_dwordx4 s[8:11], s[0:1], 0x58
	s_mul_i32 s3, s3, s7
	v_mad_u64_u32 v[34:35], s[12:13], v36, s6, v[34:35]
	v_add_u32_e32 v37, s3, v37
	v_mov_b32_e32 v36, v35
	v_mad_u64_u32 v[36:37], s[12:13], v37, s6, v[36:37]
	v_mov_b32_e32 v35, v36
	v_lshlrev_b64 v[34:35], 2, v[34:35]
	s_waitcnt lgkmcnt(0)
	v_lshl_add_u64 v[36:37], s[10:11], 0, v[34:35]
	v_lshl_add_u64 v[34:35], s[8:9], 0, v[34:35]
	global_store_dword v[36:37], v54, off
	global_store_dword v[34:35], v55, off
.LBB7_17:
	s_or_b64 exec, exec, s[4:5]
	v_lshl_or_b32 v43, v1, 9, v43
	s_waitcnt lgkmcnt(0)
	s_barrier
	ds_read_b128 v[34:37], v43
	ds_read_b128 v[38:41], v43 offset:16
	s_waitcnt vmcnt(7) lgkmcnt(1)
	v_mfma_f32_16x16x16_f16 v[46:49], v[6:7], v[34:35], 0
	v_cmp_gt_u32_e32 vcc, 64, v0
	s_mov_b32 s3, 0
	s_and_b64 s[4:5], vcc, s[30:31]
	v_mfma_f32_16x16x16_f16 v[6:9], v[8:9], v[36:37], v[46:49]
	s_waitcnt vmcnt(6) lgkmcnt(0)
	v_mfma_f32_16x16x16_f16 v[6:9], v[2:3], v[38:39], v[6:9]
	v_mfma_f32_16x16x16_f16 v[2:5], v[4:5], v[40:41], v[6:9]
	s_nop 5
	ds_read_b128 v[6:9], v43 offset:2048
	ds_read_b128 v[34:37], v43 offset:2064
	s_waitcnt vmcnt(5) lgkmcnt(1)
	v_mfma_f32_16x16x16_f16 v[2:5], v[30:31], v[6:7], v[2:5]
	v_mfma_f32_16x16x16_f16 v[2:5], v[32:33], v[8:9], v[2:5]
	s_waitcnt vmcnt(4) lgkmcnt(0)
	v_mfma_f32_16x16x16_f16 v[2:5], v[26:27], v[34:35], v[2:5]
	v_mfma_f32_16x16x16_f16 v[2:5], v[28:29], v[36:37], v[2:5]
	ds_read_b128 v[6:9], v43 offset:4096
	ds_read_b128 v[26:29], v43 offset:4112
	s_waitcnt vmcnt(3) lgkmcnt(1)
	v_mfma_f32_16x16x16_f16 v[2:5], v[22:23], v[6:7], v[2:5]
	v_mfma_f32_16x16x16_f16 v[2:5], v[24:25], v[8:9], v[2:5]
	s_waitcnt vmcnt(2) lgkmcnt(0)
	v_mfma_f32_16x16x16_f16 v[2:5], v[18:19], v[26:27], v[2:5]
	v_mfma_f32_16x16x16_f16 v[2:5], v[20:21], v[28:29], v[2:5]
	ds_read_b128 v[6:9], v43 offset:6144
	ds_read_b128 v[18:21], v43 offset:6160
	v_mov_b32_e32 v43, 0
	s_waitcnt vmcnt(1) lgkmcnt(0)
	v_mfma_f32_16x16x16_f16 v[2:5], v[14:15], v[6:7], v[2:5]
	s_barrier
	v_mfma_f32_16x16x16_f16 v[2:5], v[16:17], v[8:9], v[2:5]
	s_waitcnt vmcnt(0)
	v_mfma_f32_16x16x16_f16 v[2:5], v[10:11], v[18:19], v[2:5]
	v_mfma_f32_16x16x16_f16 v[2:5], v[12:13], v[20:21], v[2:5]
	s_nop 6
	v_cvt_f16_f32_e32 v2, v2
	v_cvt_f16_f32_e32 v3, v3
	;; [unrolled: 1-line block ×4, first 2 shown]
	v_pack_b32_f16 v2, v2, v3
	v_pack_b32_f16 v3, v4, v5
	ds_write_b64 v44, v[2:3]
	s_waitcnt lgkmcnt(0)
	s_barrier
	s_and_saveexec_b64 s[8:9], s[4:5]
	s_cbranch_execz .LBB7_19
; %bb.18:
	s_load_dwordx2 s[0:1], s[0:1], 0x68
	s_lshl_b32 s6, s6, 6
	s_mul_i32 s2, s7, s2
	s_mul_hi_u32 s5, s2, s6
	s_mul_i32 s4, s2, s6
	s_lshl_b64 s[4:5], s[4:5], 1
	v_lshlrev_b32_e32 v0, 10, v0
	s_waitcnt lgkmcnt(0)
	s_add_u32 s4, s0, s4
	v_and_b32_e32 v0, 0x1800, v0
	v_lshlrev_b32_e32 v2, 5, v1
	v_and_b32_e32 v3, 16, v52
	s_addc_u32 s5, s1, s5
	s_lshl_b32 s2, s28, 6
	v_or3_b32 v0, v0, v2, v3
	s_lshl_b64 s[0:1], s[2:3], 1
	ds_read_b128 v[2:5], v0
	ds_read_b128 v[6:9], v0 offset:128
	s_add_u32 s0, s4, s0
	s_addc_u32 s1, s5, s1
	v_or_b32_e32 v12, s29, v1
	v_lshl_add_u64 v[10:11], s[0:1], 0, v[42:43]
	v_mad_u64_u32 v[0:1], s[0:1], v12, s6, 0
	v_lshl_add_u64 v[0:1], v[0:1], 1, v[10:11]
	s_waitcnt lgkmcnt(1)
	global_store_dwordx4 v[0:1], v[2:5], off
	v_or_b32_e32 v0, 4, v12
	v_mad_u64_u32 v[0:1], s[0:1], v0, s6, 0
	v_lshl_add_u64 v[0:1], v[0:1], 1, v[10:11]
	s_waitcnt lgkmcnt(0)
	global_store_dwordx4 v[0:1], v[6:9], off
.LBB7_19:
	s_endpgm
	.section	.rodata,"a",@progbits
	.p2align	6, 0x0
	.amdhsa_kernel _Z39paged_attention_ll4mi_QKV_mfma16_kernelIDF16_DF16_LN4vllm18Fp8KVCacheDataTypeE0EhLi16ELi64ELi256ELb1ELi8EEvPKT_PKT0_S7_ifPKiS9_S9_iPKfiiiPfSC_PS2_PT2_iSB_SB_
		.amdhsa_group_segment_fixed_size 8192
		.amdhsa_private_segment_fixed_size 0
		.amdhsa_kernarg_size 400
		.amdhsa_user_sgpr_count 2
		.amdhsa_user_sgpr_dispatch_ptr 0
		.amdhsa_user_sgpr_queue_ptr 0
		.amdhsa_user_sgpr_kernarg_segment_ptr 1
		.amdhsa_user_sgpr_dispatch_id 0
		.amdhsa_user_sgpr_kernarg_preload_length 0
		.amdhsa_user_sgpr_kernarg_preload_offset 0
		.amdhsa_user_sgpr_private_segment_size 0
		.amdhsa_uses_dynamic_stack 0
		.amdhsa_enable_private_segment 0
		.amdhsa_system_sgpr_workgroup_id_x 1
		.amdhsa_system_sgpr_workgroup_id_y 1
		.amdhsa_system_sgpr_workgroup_id_z 1
		.amdhsa_system_sgpr_workgroup_info 0
		.amdhsa_system_vgpr_workitem_id 0
		.amdhsa_next_free_vgpr 72
		.amdhsa_next_free_sgpr 48
		.amdhsa_accum_offset 72
		.amdhsa_reserve_vcc 1
		.amdhsa_float_round_mode_32 0
		.amdhsa_float_round_mode_16_64 0
		.amdhsa_float_denorm_mode_32 3
		.amdhsa_float_denorm_mode_16_64 3
		.amdhsa_dx10_clamp 1
		.amdhsa_ieee_mode 1
		.amdhsa_fp16_overflow 0
		.amdhsa_tg_split 0
		.amdhsa_exception_fp_ieee_invalid_op 0
		.amdhsa_exception_fp_denorm_src 0
		.amdhsa_exception_fp_ieee_div_zero 0
		.amdhsa_exception_fp_ieee_overflow 0
		.amdhsa_exception_fp_ieee_underflow 0
		.amdhsa_exception_fp_ieee_inexact 0
		.amdhsa_exception_int_div_zero 0
	.end_amdhsa_kernel
	.section	.text._Z39paged_attention_ll4mi_QKV_mfma16_kernelIDF16_DF16_LN4vllm18Fp8KVCacheDataTypeE0EhLi16ELi64ELi256ELb1ELi8EEvPKT_PKT0_S7_ifPKiS9_S9_iPKfiiiPfSC_PS2_PT2_iSB_SB_,"axG",@progbits,_Z39paged_attention_ll4mi_QKV_mfma16_kernelIDF16_DF16_LN4vllm18Fp8KVCacheDataTypeE0EhLi16ELi64ELi256ELb1ELi8EEvPKT_PKT0_S7_ifPKiS9_S9_iPKfiiiPfSC_PS2_PT2_iSB_SB_,comdat
.Lfunc_end7:
	.size	_Z39paged_attention_ll4mi_QKV_mfma16_kernelIDF16_DF16_LN4vllm18Fp8KVCacheDataTypeE0EhLi16ELi64ELi256ELb1ELi8EEvPKT_PKT0_S7_ifPKiS9_S9_iPKfiiiPfSC_PS2_PT2_iSB_SB_, .Lfunc_end7-_Z39paged_attention_ll4mi_QKV_mfma16_kernelIDF16_DF16_LN4vllm18Fp8KVCacheDataTypeE0EhLi16ELi64ELi256ELb1ELi8EEvPKT_PKT0_S7_ifPKiS9_S9_iPKfiiiPfSC_PS2_PT2_iSB_SB_
                                        ; -- End function
	.section	.AMDGPU.csdata,"",@progbits
; Kernel info:
; codeLenInByte = 4016
; NumSgprs: 54
; NumVgprs: 72
; NumAgprs: 0
; TotalNumVgprs: 72
; ScratchSize: 0
; MemoryBound: 0
; FloatMode: 240
; IeeeMode: 1
; LDSByteSize: 8192 bytes/workgroup (compile time only)
; SGPRBlocks: 6
; VGPRBlocks: 8
; NumSGPRsForWavesPerEU: 54
; NumVGPRsForWavesPerEU: 72
; AccumOffset: 72
; Occupancy: 7
; WaveLimiterHint : 1
; COMPUTE_PGM_RSRC2:SCRATCH_EN: 0
; COMPUTE_PGM_RSRC2:USER_SGPR: 2
; COMPUTE_PGM_RSRC2:TRAP_HANDLER: 0
; COMPUTE_PGM_RSRC2:TGID_X_EN: 1
; COMPUTE_PGM_RSRC2:TGID_Y_EN: 1
; COMPUTE_PGM_RSRC2:TGID_Z_EN: 1
; COMPUTE_PGM_RSRC2:TIDIG_COMP_CNT: 0
; COMPUTE_PGM_RSRC3_GFX90A:ACCUM_OFFSET: 17
; COMPUTE_PGM_RSRC3_GFX90A:TG_SPLIT: 0
	.section	.text._Z39paged_attention_ll4mi_QKV_mfma16_kernelIDF16_DF16_LN4vllm18Fp8KVCacheDataTypeE0EhLi16ELi64ELi256ELb1ELi9EEvPKT_PKT0_S7_ifPKiS9_S9_iPKfiiiPfSC_PS2_PT2_iSB_SB_,"axG",@progbits,_Z39paged_attention_ll4mi_QKV_mfma16_kernelIDF16_DF16_LN4vllm18Fp8KVCacheDataTypeE0EhLi16ELi64ELi256ELb1ELi9EEvPKT_PKT0_S7_ifPKiS9_S9_iPKfiiiPfSC_PS2_PT2_iSB_SB_,comdat
	.protected	_Z39paged_attention_ll4mi_QKV_mfma16_kernelIDF16_DF16_LN4vllm18Fp8KVCacheDataTypeE0EhLi16ELi64ELi256ELb1ELi9EEvPKT_PKT0_S7_ifPKiS9_S9_iPKfiiiPfSC_PS2_PT2_iSB_SB_ ; -- Begin function _Z39paged_attention_ll4mi_QKV_mfma16_kernelIDF16_DF16_LN4vllm18Fp8KVCacheDataTypeE0EhLi16ELi64ELi256ELb1ELi9EEvPKT_PKT0_S7_ifPKiS9_S9_iPKfiiiPfSC_PS2_PT2_iSB_SB_
	.globl	_Z39paged_attention_ll4mi_QKV_mfma16_kernelIDF16_DF16_LN4vllm18Fp8KVCacheDataTypeE0EhLi16ELi64ELi256ELb1ELi9EEvPKT_PKT0_S7_ifPKiS9_S9_iPKfiiiPfSC_PS2_PT2_iSB_SB_
	.p2align	8
	.type	_Z39paged_attention_ll4mi_QKV_mfma16_kernelIDF16_DF16_LN4vllm18Fp8KVCacheDataTypeE0EhLi16ELi64ELi256ELb1ELi9EEvPKT_PKT0_S7_ifPKiS9_S9_iPKfiiiPfSC_PS2_PT2_iSB_SB_,@function
_Z39paged_attention_ll4mi_QKV_mfma16_kernelIDF16_DF16_LN4vllm18Fp8KVCacheDataTypeE0EhLi16ELi64ELi256ELb1ELi9EEvPKT_PKT0_S7_ifPKiS9_S9_iPKfiiiPfSC_PS2_PT2_iSB_SB_: ; @_Z39paged_attention_ll4mi_QKV_mfma16_kernelIDF16_DF16_LN4vllm18Fp8KVCacheDataTypeE0EhLi16ELi64ELi256ELb1ELi9EEvPKT_PKT0_S7_ifPKiS9_S9_iPKfiiiPfSC_PS2_PT2_iSB_SB_
; %bb.0:
	s_load_dwordx2 s[8:9], s[0:1], 0x30
	s_mov_b32 s28, s3
	s_mov_b64 s[6:7], 0
	s_waitcnt lgkmcnt(0)
	s_cmp_lg_u64 s[8:9], 0
	s_cselect_b64 s[10:11], -1, 0
	s_and_b64 vcc, exec, s[10:11]
	s_cbranch_vccz .LBB8_7
; %bb.1:
	s_add_i32 s12, s2, 1
	s_mov_b32 s13, 0
	s_lshl_b64 s[14:15], s[12:13], 2
	s_add_u32 s14, s8, s14
	s_mov_b32 s3, s13
	s_addc_u32 s15, s9, s15
	s_lshl_b64 s[12:13], s[2:3], 2
	s_add_u32 s12, s8, s12
	s_addc_u32 s13, s9, s13
	s_load_dword s5, s[14:15], 0x0
	s_load_dword s16, s[12:13], 0x0
	s_waitcnt lgkmcnt(0)
	s_sub_i32 s5, s5, s16
	s_cmp_eq_u32 s5, 1
	s_cselect_b64 s[12:13], -1, 0
	s_andn2_b64 vcc, exec, s[6:7]
	s_cbranch_vccnz .LBB8_3
.LBB8_2:
	s_mov_b32 s3, 0
	s_mov_b64 s[12:13], -1
.LBB8_3:
	s_andn2_b64 vcc, exec, s[12:13]
	s_cbranch_vccnz .LBB8_20
; %bb.4:
	s_load_dwordx2 s[6:7], s[0:1], 0x28
	s_lshl_b64 s[12:13], s[2:3], 2
	s_waitcnt lgkmcnt(0)
	s_add_u32 s6, s6, s12
	s_addc_u32 s7, s7, s13
	s_load_dword s29, s[6:7], 0x0
	s_lshl_b32 s16, s28, 8
	s_waitcnt lgkmcnt(0)
	s_cmp_ge_i32 s16, s29
	s_cbranch_scc1 .LBB8_20
; %bb.5:
	s_load_dwordx2 s[6:7], s[0:1], 0x20
	s_load_dword s5, s[0:1], 0x38
	s_add_i32 s14, s29, 15
	s_ashr_i32 s15, s14, 31
	v_and_b32_e32 v1, 0xcf, v0
	s_lshr_b32 s15, s15, 28
	v_add_u32_e32 v1, s16, v1
	s_add_i32 s14, s14, s15
	v_ashrrev_i32_e32 v2, 31, v1
	s_ashr_i32 s17, s14, 4
	v_lshrrev_b32_e32 v6, 28, v2
	s_add_i32 s17, s17, -1
	s_waitcnt lgkmcnt(0)
	s_mul_i32 s14, s2, s5
	s_mov_b32 s15, 0
	v_add_u32_e32 v2, v1, v6
	s_lshl_b64 s[14:15], s[14:15], 2
	v_ashrrev_i32_e32 v2, 4, v2
	v_mov_b32_e32 v7, s17
	v_cmp_gt_i32_e32 vcc, s29, v1
	s_add_u32 s6, s6, s14
	s_addc_u32 s7, s7, s15
	v_cndmask_b32_e32 v2, v7, v2, vcc
	v_ashrrev_i32_e32 v3, 31, v2
	v_lshl_add_u64 v[4:5], v[2:3], 2, s[6:7]
	v_or_b32_e32 v2, 16, v1
	v_add_u32_e32 v3, v2, v6
	v_ashrrev_i32_e32 v3, 4, v3
	v_cmp_gt_i32_e32 vcc, s29, v2
	s_load_dwordx2 s[14:15], s[0:1], 0x8
	s_nop 0
	v_cndmask_b32_e32 v2, v7, v3, vcc
	v_ashrrev_i32_e32 v3, 31, v2
	v_lshl_add_u64 v[8:9], v[2:3], 2, s[6:7]
	v_or_b32_e32 v2, 32, v1
	v_add_u32_e32 v3, v2, v6
	v_ashrrev_i32_e32 v3, 4, v3
	v_cmp_gt_i32_e32 vcc, s29, v2
	v_or_b32_e32 v1, 48, v1
	s_nop 0
	v_cndmask_b32_e32 v2, v7, v3, vcc
	v_ashrrev_i32_e32 v3, 31, v2
	v_lshl_add_u64 v[10:11], v[2:3], 2, s[6:7]
	v_add_u32_e32 v2, v1, v6
	v_ashrrev_i32_e32 v2, 4, v2
	v_cmp_gt_i32_e32 vcc, s29, v1
	s_nop 1
	v_cndmask_b32_e32 v2, v7, v2, vcc
	v_ashrrev_i32_e32 v3, 31, v2
	v_lshl_add_u64 v[12:13], v[2:3], 2, s[6:7]
	global_load_dword v3, v[4:5], off
	global_load_dword v2, v[8:9], off
	;; [unrolled: 1-line block ×4, first 2 shown]
	s_andn2_b64 vcc, exec, s[10:11]
	s_cbranch_vccnz .LBB8_8
; %bb.6:
	s_add_u32 s8, s8, s12
	s_addc_u32 s9, s9, s13
	s_load_dword s5, s[8:9], 0x0
	s_branch .LBB8_9
.LBB8_7:
	s_mov_b64 s[12:13], 0
	s_branch .LBB8_2
.LBB8_8:
	s_mov_b32 s5, s2
.LBB8_9:
	s_load_dwordx2 s[8:9], s[0:1], 0x10
	s_load_dwordx4 s[44:47], s[0:1], 0x48
	v_lshrrev_b32_e32 v45, 6, v0
	v_bfe_u32 v54, v0, 4, 2
	v_lshl_or_b32 v1, v45, 2, v54
	v_and_b32_e32 v44, 15, v0
	v_lshlrev_b32_e32 v4, 3, v44
	v_cmp_gt_u32_e32 vcc, 9, v1
	v_cmp_gt_u32_e64 s[30:31], 8, v44
	s_mul_i32 s42, s4, 9
	s_and_b64 s[12:13], s[30:31], vcc
	v_lshlrev_b32_e32 v42, 1, v4
	s_and_saveexec_b64 s[10:11], s[12:13]
	s_cbranch_execz .LBB8_11
; %bb.10:
	s_load_dwordx2 s[12:13], s[0:1], 0x0
	s_waitcnt lgkmcnt(0)
	s_ashr_i32 s18, s44, 31
	s_mul_hi_u32 s19, s5, s44
	s_mul_i32 s18, s5, s18
	s_add_i32 s19, s19, s18
	s_mul_i32 s18, s5, s44
	s_lshl_b64 s[18:19], s[18:19], 1
	s_add_u32 s12, s12, s18
	v_add_lshl_u32 v4, v1, s42, 6
	s_addc_u32 s13, s13, s19
	v_ashrrev_i32_e32 v5, 31, v4
	v_lshl_add_u64 v[4:5], v[4:5], 1, s[12:13]
	v_mov_b32_e32 v43, 0
	v_lshl_add_u64 v[4:5], v[4:5], 0, v[42:43]
	global_load_dwordx4 v[8:11], v[4:5], off
	v_and_b32_e32 v4, 3, v0
	v_lshlrev_b32_e32 v5, 9, v44
	v_lshlrev_b32_e32 v1, 5, v1
	;; [unrolled: 1-line block ×3, first 2 shown]
	v_and_b32_e32 v5, 0x1800, v5
	v_or3_b32 v1, v5, v4, v1
	s_waitcnt vmcnt(0)
	ds_write_b128 v1, v[8:11]
.LBB8_11:
	s_or_b64 exec, exec, s[10:11]
	s_waitcnt lgkmcnt(0)
	s_mul_i32 s4, s4, s46
	s_mov_b32 s5, 0
	s_lshl_b64 s[4:5], s[4:5], 1
	s_add_u32 s10, s14, s4
	v_lshlrev_b32_e32 v1, 4, v0
	s_addc_u32 s11, s15, s5
	v_and_b32_e32 v46, 0xf0, v1
	v_mov_b32_e32 v47, 0
	v_lshl_add_u64 v[16:17], s[10:11], 0, v[46:47]
	s_waitcnt vmcnt(3)
	v_mad_i64_i32 v[4:5], s[10:11], v3, s45, 0
	s_waitcnt vmcnt(2)
	v_mad_i64_i32 v[2:3], s[10:11], v2, s45, 0
	;; [unrolled: 2-line block ×3, first 2 shown]
	v_lshl_add_u64 v[4:5], v[4:5], 1, v[16:17]
	v_and_b32_e32 v46, 0x300, v1
	v_lshl_add_u64 v[2:3], v[2:3], 1, v[16:17]
	v_lshl_add_u64 v[6:7], v[6:7], 1, v[16:17]
	s_waitcnt vmcnt(0)
	v_mad_i64_i32 v[14:15], s[10:11], v14, s45, 0
	v_lshl_add_u64 v[4:5], v[4:5], 0, v[46:47]
	v_lshl_add_u64 v[8:9], v[2:3], 0, v[46:47]
	;; [unrolled: 1-line block ×4, first 2 shown]
	s_barrier
	global_load_dwordx4 v[30:33], v[4:5], off
	global_load_dwordx4 v[10:13], v[4:5], off offset:1024
	global_load_dwordx4 v[22:25], v[8:9], off
	s_nop 0
	global_load_dwordx4 v[2:5], v[8:9], off offset:1024
	global_load_dwordx4 v[26:29], v[18:19], off
	s_nop 0
	global_load_dwordx4 v[6:9], v[18:19], off offset:1024
	v_lshl_add_u64 v[18:19], v[14:15], 0, v[46:47]
	global_load_dwordx4 v[34:37], v[18:19], off
	global_load_dwordx4 v[14:17], v[18:19], off offset:1024
	v_add_u32_e32 v18, -9, v44
	v_cmp_gt_u32_e32 vcc, 9, v44
	v_and_b32_e32 v55, 63, v0
	v_mov_b32_e32 v56, 0
	v_cndmask_b32_e32 v18, v18, v44, vcc
	v_lshlrev_b32_e32 v18, 5, v18
	v_lshl_add_u32 v18, v54, 9, v18
	ds_read_b128 v[38:41], v18
	ds_read_b128 v[18:21], v18 offset:2048
	s_and_saveexec_b64 s[10:11], vcc
	s_cbranch_execz .LBB8_13
; %bb.12:
	s_load_dwordx2 s[12:13], s[0:1], 0x40
	v_add_u32_e32 v48, s42, v44
	v_ashrrev_i32_e32 v49, 31, v48
	s_waitcnt lgkmcnt(0)
	v_lshl_add_u64 v[48:49], v[48:49], 2, s[12:13]
	global_load_dword v56, v[48:49], off
.LBB8_13:
	s_or_b64 exec, exec, s[10:11]
	v_and_or_b32 v46, v0, 48, s16
	v_ashrrev_i32_e32 v43, 4, v46
	v_mov_b32_e32 v57, s17
	v_cmp_gt_i32_e32 vcc, s29, v46
	s_waitcnt vmcnt(5) lgkmcnt(1)
	v_mfma_f32_16x16x16_f16 v[58:61], v[22:23], v[38:39], 0
	s_load_dword s10, s[0:1], 0x1c
	v_cndmask_b32_e32 v48, v57, v43, vcc
	v_ashrrev_i32_e32 v49, 31, v48
	v_or_b32_e32 v43, 64, v46
	v_lshl_add_u64 v[52:53], v[48:49], 2, s[6:7]
	v_mfma_f32_16x16x16_f16 v[48:51], v[30:31], v[38:39], 0
	v_ashrrev_i32_e32 v30, 4, v43
	v_cmp_gt_i32_e32 vcc, s29, v43
	global_load_dword v70, v[52:53], off
	s_waitcnt vmcnt(4)
	v_mfma_f32_16x16x16_f16 v[62:65], v[26:27], v[38:39], 0
	v_cndmask_b32_e32 v30, v57, v30, vcc
	v_ashrrev_i32_e32 v31, 31, v30
	v_lshl_add_u64 v[22:23], v[30:31], 2, s[6:7]
	global_load_dword v71, v[22:23], off
	v_mfma_f32_16x16x16_f16 v[22:25], v[24:25], v[40:41], v[58:61]
	v_and_b32_e32 v26, 0xc0, v0
	s_add_u32 s4, s8, s4
	v_lshlrev_b32_e32 v43, 5, v44
	v_mfma_f32_16x16x16_f16 v[30:33], v[32:33], v[40:41], v[48:51]
	s_addc_u32 s5, s9, s5
	s_mov_b32 s33, 0xff7fffff
	s_waitcnt vmcnt(3)
	v_mfma_f32_16x16x16_f16 v[66:69], v[34:35], v[38:39], 0
	v_or_b32_e32 v38, 0x80, v46
	v_add_u32_e32 v48, s16, v26
	v_or_b32_e32 v39, 0xc0, v46
	v_mfma_f32_16x16x16_f16 v[26:29], v[28:29], v[40:41], v[62:65]
	v_ashrrev_i32_e32 v49, 4, v38
	v_cmp_gt_i32_e32 vcc, s29, v38
	v_ashrrev_i32_e32 v50, 4, v39
	s_waitcnt lgkmcnt(0)
	v_mfma_f32_16x16x16_f16 v[22:25], v[2:3], v[18:19], v[22:25]
	v_cndmask_b32_e32 v38, v57, v49, vcc
	v_cmp_gt_i32_e32 vcc, s29, v39
	v_ashrrev_i32_e32 v39, 31, v38
	v_mfma_f32_16x16x16_f16 v[30:33], v[10:11], v[18:19], v[30:33]
	v_cndmask_b32_e32 v10, v57, v50, vcc
	v_ashrrev_i32_e32 v11, 31, v10
	v_lshl_or_b32 v58, v54, 2, v48
	v_mfma_f32_16x16x16_f16 v[26:29], v[6:7], v[18:19], v[26:29]
	v_lshl_add_u64 v[6:7], v[38:39], 2, s[6:7]
	v_lshl_add_u64 v[38:39], v[10:11], 2, s[6:7]
	v_or_b32_e32 v57, 1, v58
	v_mfma_f32_16x16x16_f16 v[2:5], v[4:5], v[20:21], v[22:25]
	s_nop 2
	global_load_dword v22, v[6:7], off
	global_load_dword v61, v[38:39], off
	v_subrev_u32_e32 v59, s29, v57
	v_cvt_f32_i32_e32 v60, v59
	v_mfma_f32_16x16x16_f16 v[34:37], v[36:37], v[40:41], v[66:69]
	v_pk_mul_f32 v[48:49], s[10:11], v[4:5] op_sel_hi:[0,1]
	v_lshl_or_b32 v46, v45, 9, v43
	v_lshl_add_u64 v[46:47], s[4:5], 0, v[46:47]
	s_waitcnt vmcnt(4)
	v_mfma_f32_16x16x16_f16 v[34:37], v[14:15], v[18:19], v[34:37]
	v_add_u32_e32 v14, 1, v59
	v_add_u32_e32 v15, 2, v59
	v_cvt_f32_i32_e32 v23, v14
	v_cvt_f32_i32_e32 v24, v15
	v_mfma_f32_16x16x16_f16 v[14:17], v[16:17], v[20:21], v[34:37]
	v_add_u32_e32 v18, 3, v59
	v_cvt_f32_i32_e32 v18, v18
	v_pk_mul_f32 v[50:51], s[10:11], v[2:3] op_sel_hi:[0,1]
	v_mfma_f32_16x16x16_f16 v[10:13], v[12:13], v[20:21], v[30:33]
	v_cmp_gt_i32_e64 s[34:35], s29, v57
	s_nop 1
	v_pk_mul_f32 v[36:37], s[10:11], v[14:15] op_sel_hi:[0,1]
	v_add_u32_e32 v15, 19, v59
	v_add_u32_e32 v31, 18, v59
	v_cvt_f32_i32_e32 v14, v31
	v_cvt_f32_i32_e32 v15, v15
	v_mfma_f32_16x16x16_f16 v[6:9], v[8:9], v[20:21], v[26:29]
	v_pk_mul_f32 v[34:35], s[10:11], v[16:17] op_sel_hi:[0,1]
	v_fma_f32 v48, v56, v14, v48
	v_add_u32_e32 v14, 32, v59
	v_fmac_f32_e32 v49, v56, v15
	v_cvt_f32_i32_e32 v14, v14
	v_add_u32_e32 v15, 33, v59
	v_add_u32_e32 v16, 34, v59
	v_cvt_f32_i32_e32 v15, v15
	v_cvt_f32_i32_e32 v16, v16
	v_add_u32_e32 v17, 35, v59
	v_cvt_f32_i32_e32 v17, v17
	v_pk_mul_f32 v[40:41], s[10:11], v[6:7] op_sel_hi:[0,1]
	v_pk_mul_f32 v[38:39], s[10:11], v[8:9] op_sel_hi:[0,1]
	v_fma_f32 v40, v56, v14, v40
	v_add_u32_e32 v14, 48, v59
	v_fmac_f32_e32 v41, v56, v15
	v_fma_f32 v38, v56, v16, v38
	v_cvt_f32_i32_e32 v14, v14
	v_add_u32_e32 v15, 49, v59
	v_add_u32_e32 v16, 50, v59
	v_fmac_f32_e32 v39, v56, v17
	v_cvt_f32_i32_e32 v15, v15
	v_cvt_f32_i32_e32 v16, v16
	v_add_u32_e32 v17, 51, v59
	v_cvt_f32_i32_e32 v17, v17
	v_pk_mul_f32 v[52:53], s[10:11], v[12:13] op_sel_hi:[0,1]
	v_pk_mul_f32 v[10:11], s[10:11], v[10:11] op_sel_hi:[0,1]
	s_waitcnt vmcnt(3)
	v_mad_i64_i32 v[2:3], s[4:5], v70, s45, 0
	s_waitcnt vmcnt(2)
	v_mad_i64_i32 v[12:13], s[4:5], v71, s45, 0
	v_fma_f32 v10, v56, v60, v10
	v_fmac_f32_e32 v11, v56, v23
	v_fma_f32 v36, v56, v14, v36
	v_mov_b32_e32 v14, 0xff7fffff
	v_cmp_gt_i32_e64 s[4:5], s29, v58
	v_add_u32_e32 v19, 16, v59
	v_add_u32_e32 v30, 17, v59
	v_fmac_f32_e32 v37, v56, v15
	v_fma_f32 v34, v56, v16, v34
	v_cndmask_b32_e64 v15, v14, v10, s[4:5]
	v_cndmask_b32_e64 v16, v14, v11, s[34:35]
	v_cvt_f32_i32_e32 v19, v19
	v_cvt_f32_i32_e32 v25, v30
	v_fmac_f32_e32 v35, v56, v17
	v_max3_f32 v15, v15, s33, v16
	v_or_b32_e32 v16, 2, v58
	v_or_b32_e32 v17, 3, v58
	v_fma_f32 v52, v56, v24, v52
	v_fmac_f32_e32 v53, v56, v18
	v_cmp_gt_i32_e64 s[36:37], s29, v16
	v_cmp_gt_i32_e64 s[38:39], s29, v17
	v_fma_f32 v50, v56, v19, v50
	v_cndmask_b32_e64 v16, v14, v52, s[36:37]
	v_cndmask_b32_e64 v17, v14, v53, s[38:39]
	v_max3_f32 v15, v15, v16, v17
	v_or_b32_e32 v16, 16, v58
	v_or_b32_e32 v17, 17, v58
	v_fmac_f32_e32 v51, v56, v25
	v_cmp_gt_i32_e64 s[24:25], s29, v16
	v_cmp_gt_i32_e64 s[26:27], s29, v17
	v_lshl_add_u64 v[2:3], v[2:3], 1, v[46:47]
	v_cndmask_b32_e64 v16, v14, v50, s[24:25]
	v_cndmask_b32_e64 v17, v14, v51, s[26:27]
	v_max3_f32 v15, v15, v16, v17
	v_or_b32_e32 v16, 18, v58
	v_or_b32_e32 v17, 19, v58
	v_cmp_gt_i32_e64 s[20:21], s29, v16
	v_cmp_gt_i32_e64 s[22:23], s29, v17
	v_lshl_add_u64 v[12:13], v[12:13], 1, v[46:47]
	v_cndmask_b32_e64 v16, v14, v48, s[20:21]
	v_cndmask_b32_e64 v17, v14, v49, s[22:23]
	v_max3_f32 v15, v15, v16, v17
	v_or_b32_e32 v16, 32, v58
	v_or_b32_e32 v17, 33, v58
	v_cmp_gt_i32_e64 s[16:17], s29, v16
	v_cmp_gt_i32_e64 s[18:19], s29, v17
	global_load_dwordx4 v[6:9], v[2:3], off
	s_nop 0
	global_load_dwordx4 v[2:5], v[2:3], off offset:16
	v_cndmask_b32_e64 v16, v14, v40, s[16:17]
	v_cndmask_b32_e64 v17, v14, v41, s[18:19]
	v_max3_f32 v15, v15, v16, v17
	v_or_b32_e32 v16, 34, v58
	v_or_b32_e32 v17, 35, v58
	v_cmp_gt_i32_e64 s[12:13], s29, v16
	v_cmp_gt_i32_e64 s[14:15], s29, v17
	global_load_dwordx4 v[30:33], v[12:13], off
	global_load_dwordx4 v[26:29], v[12:13], off offset:16
	v_cndmask_b32_e64 v16, v14, v38, s[12:13]
	v_cndmask_b32_e64 v17, v14, v39, s[14:15]
	v_max3_f32 v15, v15, v16, v17
	v_or_b32_e32 v16, 48, v58
	v_or_b32_e32 v17, 49, v58
	v_cmp_gt_i32_e64 s[8:9], s29, v16
	v_cmp_gt_i32_e64 s[10:11], s29, v17
	s_nop 0
	v_cndmask_b32_e64 v16, v14, v36, s[8:9]
	v_cndmask_b32_e64 v17, v14, v37, s[10:11]
	v_max3_f32 v15, v15, v16, v17
	v_or_b32_e32 v16, 50, v58
	v_or_b32_e32 v17, 51, v58
	v_cmp_gt_i32_e32 vcc, s29, v16
	v_cmp_gt_i32_e64 s[6:7], s29, v17
	s_nop 0
	v_cndmask_b32_e32 v16, v14, v34, vcc
	v_cndmask_b32_e64 v14, v14, v35, s[6:7]
	v_max3_f32 v14, v15, v16, v14
	v_mbcnt_lo_u32_b32 v15, -1, 0
	v_mbcnt_hi_u32_b32 v15, -1, v15
	v_and_b32_e32 v16, 64, v15
	v_add_u32_e32 v16, 64, v16
	v_xor_b32_e32 v17, 32, v15
	v_cmp_lt_i32_e64 s[40:41], v17, v16
	s_nop 1
	v_cndmask_b32_e64 v17, v15, v17, s[40:41]
	v_lshlrev_b32_e32 v57, 2, v17
	ds_bpermute_b32 v17, v57, v14
	s_waitcnt vmcnt(5)
	v_mad_i64_i32 v[12:13], s[40:41], v22, s45, 0
	v_lshl_add_u64 v[12:13], v[12:13], 1, v[46:47]
	global_load_dwordx4 v[22:25], v[12:13], off
	global_load_dwordx4 v[18:21], v[12:13], off offset:16
	s_waitcnt lgkmcnt(0)
	v_max_f32_e32 v17, v17, v17
	v_max_f32_e32 v14, v14, v17
	v_xor_b32_e32 v17, 16, v15
	v_cmp_lt_i32_e64 s[40:41], v17, v16
	s_nop 1
	v_cndmask_b32_e64 v15, v15, v17, s[40:41]
	v_lshlrev_b32_e32 v59, 2, v15
	ds_bpermute_b32 v15, v59, v14
	s_waitcnt vmcnt(6)
	v_mad_i64_i32 v[12:13], s[40:41], v61, s45, 0
	v_lshl_add_u64 v[12:13], v[12:13], 1, v[46:47]
	s_waitcnt lgkmcnt(0)
	v_max_f32_e32 v15, v15, v15
	v_max_f32_e32 v56, v14, v15
	v_sub_f32_e32 v10, v10, v56
	v_mul_f32_e32 v10, 0x3fb8aa3b, v10
	v_exp_f32_e32 v46, v10
	v_sub_f32_e32 v10, v11, v56
	v_mul_f32_e32 v10, 0x3fb8aa3b, v10
	v_exp_f32_e32 v47, v10
	global_load_dwordx4 v[14:17], v[12:13], off
	s_nop 0
	global_load_dwordx4 v[10:13], v[12:13], off offset:16
	v_sub_f32_e32 v52, v52, v56
	v_mul_f32_e32 v52, 0x3fb8aa3b, v52
	v_sub_f32_e32 v53, v53, v56
	v_exp_f32_e32 v52, v52
	v_mul_f32_e32 v53, 0x3fb8aa3b, v53
	v_sub_f32_e32 v50, v50, v56
	v_exp_f32_e32 v53, v53
	v_mul_f32_e32 v50, 0x3fb8aa3b, v50
	v_sub_f32_e32 v51, v51, v56
	v_cndmask_b32_e64 v46, 0, v46, s[4:5]
	v_exp_f32_e32 v50, v50
	v_mul_f32_e32 v51, 0x3fb8aa3b, v51
	v_sub_f32_e32 v48, v48, v56
	v_add_f32_e32 v58, 0, v46
	v_cndmask_b32_e64 v47, 0, v47, s[34:35]
	v_exp_f32_e32 v51, v51
	v_mul_f32_e32 v48, 0x3fb8aa3b, v48
	v_sub_f32_e32 v49, v49, v56
	v_add_f32_e32 v58, v58, v47
	;; [unrolled: 5-line block ×10, first 2 shown]
	v_cndmask_b32_e64 v38, 0, v38, s[12:13]
	v_exp_f32_e32 v34, v34
	v_mul_f32_e32 v35, 0x3fb8aa3b, v35
	v_add_f32_e32 v58, v58, v38
	v_cndmask_b32_e64 v39, 0, v39, s[14:15]
	v_exp_f32_e32 v35, v35
	v_add_f32_e32 v58, v58, v39
	v_cndmask_b32_e64 v36, 0, v36, s[8:9]
	v_add_f32_e32 v58, v58, v36
	v_cndmask_b32_e64 v37, 0, v37, s[10:11]
	v_add_f32_e32 v58, v58, v37
	v_cndmask_b32_e32 v34, 0, v34, vcc
	v_add_f32_e32 v58, v58, v34
	v_cndmask_b32_e64 v35, 0, v35, s[6:7]
	v_add_f32_e32 v58, v58, v35
	ds_bpermute_b32 v57, v57, v58
	s_load_dword s9, s[0:1], 0x98
	v_cmp_gt_u32_e64 s[6:7], 16, v55
	s_waitcnt lgkmcnt(0)
	s_barrier
	v_add_f32_e32 v58, v58, v57
	ds_bpermute_b32 v59, v59, v58
	v_lshlrev_b32_e32 v57, 2, v44
	s_waitcnt lgkmcnt(0)
	s_and_saveexec_b64 s[4:5], s[6:7]
	s_cbranch_execz .LBB8_15
; %bb.14:
	v_add_f32_e32 v55, v58, v59
	v_lshl_or_b32 v58, v45, 6, v57
	ds_write2st64_b32 v58, v56, v55 offset1:1
.LBB8_15:
	s_or_b64 exec, exec, s[4:5]
	s_load_dword s8, s[0:1], 0x94
	s_waitcnt lgkmcnt(0)
	s_barrier
	ds_read2_b32 v[58:59], v57 offset1:16
	ds_read2_b32 v[60:61], v57 offset0:32 offset1:48
	ds_read2_b32 v[62:63], v57 offset0:64 offset1:80
	s_mul_i32 s9, s9, 9
	s_waitcnt lgkmcnt(2)
	v_max3_f32 v55, v58, s33, v59
	s_waitcnt lgkmcnt(1)
	v_max3_f32 v55, v55, v60, v61
	v_sub_f32_e32 v56, v58, v55
	v_mul_f32_e32 v56, 0x3fb8aa3b, v56
	v_exp_f32_e32 v64, v56
	v_sub_f32_e32 v56, v59, v55
	v_mul_f32_e32 v56, 0x3fb8aa3b, v56
	v_exp_f32_e32 v65, v56
	;; [unrolled: 3-line block ×3, first 2 shown]
	ds_read2_b32 v[58:59], v57 offset0:96 offset1:112
	v_sub_f32_e32 v56, v61, v55
	v_mul_f32_e32 v56, 0x3fb8aa3b, v56
	v_exp_f32_e32 v57, v56
	s_waitcnt lgkmcnt(1)
	v_fma_f32 v56, v64, v62, 0
	v_fmac_f32_e32 v56, v65, v63
	s_waitcnt lgkmcnt(0)
	v_fmac_f32_e32 v56, v60, v58
	v_fmac_f32_e32 v56, v57, v59
	v_add_f32_e32 v58, 0x358637bd, v56
	v_div_scale_f32 v59, s[4:5], v58, v58, 1.0
	v_rcp_f32_e32 v61, v59
	s_barrier
	v_fma_f32 v62, -v59, v61, 1.0
	v_fmac_f32_e32 v61, v62, v61
	v_div_scale_f32 v62, vcc, 1.0, v58, 1.0
	v_mul_f32_e32 v63, v62, v61
	v_fma_f32 v66, -v59, v63, v62
	v_fmac_f32_e32 v63, v66, v61
	v_fma_f32 v59, -v59, v63, v62
	v_div_fmas_f32 v59, v59, v61, v63
	v_cmp_eq_u32_e32 vcc, 1, v45
	v_div_fixup_f32 v58, v59, v58, 1.0
	s_nop 0
	v_cndmask_b32_e32 v59, v64, v65, vcc
	v_cmp_eq_u32_e32 vcc, 2, v45
	s_nop 1
	v_cndmask_b32_e32 v59, v59, v60, vcc
	v_cmp_eq_u32_e32 vcc, 3, v45
	v_lshlrev_b32_e32 v45, 11, v45
	s_nop 0
	v_cndmask_b32_e32 v57, v59, v57, vcc
	v_mul_f32_e32 v58, v57, v58
	v_pk_mul_f32 v[46:47], v[58:59], v[46:47] op_sel_hi:[0,1]
	v_cvt_f16_f32_e32 v46, v46
	v_cvt_f16_f32_e32 v47, v47
	v_pk_mul_f32 v[52:53], v[58:59], v[52:53] op_sel_hi:[0,1]
	v_cvt_f16_f32_e32 v57, v52
	v_cvt_f16_f32_e32 v53, v53
	v_pack_b32_f16 v52, v46, v47
	v_pk_mul_f32 v[46:47], v[58:59], v[48:49] op_sel_hi:[0,1]
	v_pk_mul_f32 v[48:49], v[58:59], v[50:51] op_sel_hi:[0,1]
	v_cvt_f16_f32_e32 v48, v48
	v_cvt_f16_f32_e32 v49, v49
	;; [unrolled: 1-line block ×4, first 2 shown]
	v_pack_b32_f16 v53, v57, v53
	v_lshlrev_b32_e32 v57, 3, v54
	v_pk_mul_f32 v[38:39], v[58:59], v[38:39] op_sel_hi:[0,1]
	v_pk_mul_f32 v[40:41], v[58:59], v[40:41] op_sel_hi:[0,1]
	;; [unrolled: 1-line block ×4, first 2 shown]
	v_or3_b32 v46, v45, v43, v57
	v_pack_b32_f16 v48, v48, v49
	v_pack_b32_f16 v49, v50, v47
	v_cvt_f16_f32_e32 v40, v40
	v_cvt_f16_f32_e32 v41, v41
	;; [unrolled: 1-line block ×8, first 2 shown]
	v_pack_b32_f16 v34, v40, v41
	v_pack_b32_f16 v35, v38, v39
	;; [unrolled: 1-line block ×4, first 2 shown]
	v_cmp_gt_u32_e32 vcc, 9, v0
	ds_write2st64_b64 v46, v[52:53], v[48:49] offset1:1
	ds_write2st64_b64 v46, v[34:35], v[36:37] offset0:2 offset1:3
	s_and_saveexec_b64 s[4:5], vcc
	s_cbranch_execz .LBB8_17
; %bb.16:
	s_mov_b32 s43, 0
	v_mov_b32_e32 v45, 0
	v_lshl_add_u64 v[34:35], s[42:43], 0, v[44:45]
	v_mov_b32_e32 v36, s9
	v_mad_u64_u32 v[34:35], s[10:11], s2, v36, v[34:35]
	s_mul_i32 s3, s3, s9
	v_mov_b32_e32 v44, s28
	s_load_dwordx4 s[12:15], s[0:1], 0x58
	v_add_u32_e32 v37, s3, v35
	v_mad_u64_u32 v[34:35], s[10:11], v34, s8, v[44:45]
	v_mov_b32_e32 v36, v35
	v_mad_u64_u32 v[36:37], s[10:11], v37, s8, v[36:37]
	v_mov_b32_e32 v35, v36
	v_lshlrev_b64 v[34:35], 2, v[34:35]
	s_waitcnt lgkmcnt(0)
	v_lshl_add_u64 v[36:37], s[14:15], 0, v[34:35]
	v_lshl_add_u64 v[34:35], s[12:13], 0, v[34:35]
	global_store_dword v[36:37], v55, off
	global_store_dword v[34:35], v56, off
.LBB8_17:
	s_or_b64 exec, exec, s[4:5]
	v_lshl_or_b32 v43, v54, 9, v43
	s_waitcnt lgkmcnt(0)
	s_barrier
	ds_read_b128 v[34:37], v43
	ds_read_b128 v[38:41], v43 offset:16
	s_waitcnt vmcnt(7) lgkmcnt(1)
	v_mfma_f32_16x16x16_f16 v[48:51], v[6:7], v[34:35], 0
	v_cmp_gt_u32_e32 vcc, 64, v0
	s_mov_b32 s3, 0
	s_and_b64 s[4:5], vcc, s[30:31]
	v_mfma_f32_16x16x16_f16 v[6:9], v[8:9], v[36:37], v[48:51]
	s_waitcnt vmcnt(6) lgkmcnt(0)
	v_mfma_f32_16x16x16_f16 v[6:9], v[2:3], v[38:39], v[6:9]
	v_mfma_f32_16x16x16_f16 v[2:5], v[4:5], v[40:41], v[6:9]
	s_nop 5
	ds_read_b128 v[6:9], v43 offset:2048
	ds_read_b128 v[34:37], v43 offset:2064
	s_waitcnt vmcnt(5) lgkmcnt(1)
	v_mfma_f32_16x16x16_f16 v[2:5], v[30:31], v[6:7], v[2:5]
	v_mfma_f32_16x16x16_f16 v[2:5], v[32:33], v[8:9], v[2:5]
	s_waitcnt vmcnt(4) lgkmcnt(0)
	v_mfma_f32_16x16x16_f16 v[2:5], v[26:27], v[34:35], v[2:5]
	v_mfma_f32_16x16x16_f16 v[2:5], v[28:29], v[36:37], v[2:5]
	ds_read_b128 v[6:9], v43 offset:4096
	ds_read_b128 v[26:29], v43 offset:4112
	s_waitcnt vmcnt(3) lgkmcnt(1)
	v_mfma_f32_16x16x16_f16 v[2:5], v[22:23], v[6:7], v[2:5]
	v_mfma_f32_16x16x16_f16 v[2:5], v[24:25], v[8:9], v[2:5]
	s_waitcnt vmcnt(2) lgkmcnt(0)
	v_mfma_f32_16x16x16_f16 v[2:5], v[18:19], v[26:27], v[2:5]
	v_mfma_f32_16x16x16_f16 v[2:5], v[20:21], v[28:29], v[2:5]
	ds_read_b128 v[6:9], v43 offset:6144
	ds_read_b128 v[18:21], v43 offset:6160
	v_mov_b32_e32 v43, 0
	s_waitcnt vmcnt(1) lgkmcnt(0)
	v_mfma_f32_16x16x16_f16 v[2:5], v[14:15], v[6:7], v[2:5]
	s_barrier
	v_mfma_f32_16x16x16_f16 v[2:5], v[16:17], v[8:9], v[2:5]
	s_waitcnt vmcnt(0)
	v_mfma_f32_16x16x16_f16 v[2:5], v[10:11], v[18:19], v[2:5]
	v_mfma_f32_16x16x16_f16 v[2:5], v[12:13], v[20:21], v[2:5]
	s_nop 6
	v_cvt_f16_f32_e32 v2, v2
	v_cvt_f16_f32_e32 v3, v3
	;; [unrolled: 1-line block ×4, first 2 shown]
	v_pack_b32_f16 v2, v2, v3
	v_pack_b32_f16 v3, v4, v5
	ds_write_b64 v46, v[2:3]
	s_waitcnt lgkmcnt(0)
	s_barrier
	s_and_saveexec_b64 s[10:11], s[4:5]
	s_cbranch_execz .LBB8_20
; %bb.18:
	s_load_dwordx2 s[4:5], s[0:1], 0x68
	s_lshl_b32 s0, s8, 6
	s_mul_i32 s1, s9, s2
	s_mul_hi_u32 s9, s1, s0
	s_mul_i32 s8, s1, s0
	v_lshlrev_b32_e32 v0, 10, v0
	s_lshl_b64 s[8:9], s[8:9], 1
	v_and_b32_e32 v0, 0x1800, v0
	v_lshlrev_b32_e32 v2, 5, v54
	v_and_b32_e32 v1, 16, v1
	s_waitcnt lgkmcnt(0)
	s_add_u32 s1, s4, s8
	v_or3_b32 v2, v0, v2, v1
	s_addc_u32 s4, s5, s9
	s_lshl_b32 s2, s28, 6
	s_lshl_b64 s[2:3], s[2:3], 1
	ds_read_b128 v[4:7], v2 offset:128
	ds_read_b128 v[8:11], v2
	s_add_u32 s2, s1, s2
	s_addc_u32 s3, s4, s3
	v_add_u32_e32 v3, s42, v54
	v_lshl_add_u64 v[0:1], s[2:3], 0, v[42:43]
	v_mad_u64_u32 v[12:13], s[2:3], v3, s0, 0
	v_lshl_add_u64 v[12:13], v[12:13], 1, v[0:1]
	v_add_u32_e32 v3, 4, v3
	s_waitcnt lgkmcnt(0)
	global_store_dwordx4 v[12:13], v[8:11], off
	s_nop 1
	v_mad_u64_u32 v[8:9], s[2:3], v3, s0, 0
	v_lshl_add_u64 v[8:9], v[8:9], 1, v[0:1]
	global_store_dwordx4 v[8:9], v[4:7], off
	s_and_b64 exec, exec, s[6:7]
	s_cbranch_execz .LBB8_20
; %bb.19:
	ds_read_b128 v[2:5], v2 offset:256
	v_add3_u32 v6, s42, v54, 8
	v_mad_u64_u32 v[6:7], s[0:1], v6, s0, 0
	v_lshl_add_u64 v[0:1], v[6:7], 1, v[0:1]
	s_waitcnt lgkmcnt(0)
	global_store_dwordx4 v[0:1], v[2:5], off
.LBB8_20:
	s_endpgm
	.section	.rodata,"a",@progbits
	.p2align	6, 0x0
	.amdhsa_kernel _Z39paged_attention_ll4mi_QKV_mfma16_kernelIDF16_DF16_LN4vllm18Fp8KVCacheDataTypeE0EhLi16ELi64ELi256ELb1ELi9EEvPKT_PKT0_S7_ifPKiS9_S9_iPKfiiiPfSC_PS2_PT2_iSB_SB_
		.amdhsa_group_segment_fixed_size 8192
		.amdhsa_private_segment_fixed_size 0
		.amdhsa_kernarg_size 400
		.amdhsa_user_sgpr_count 2
		.amdhsa_user_sgpr_dispatch_ptr 0
		.amdhsa_user_sgpr_queue_ptr 0
		.amdhsa_user_sgpr_kernarg_segment_ptr 1
		.amdhsa_user_sgpr_dispatch_id 0
		.amdhsa_user_sgpr_kernarg_preload_length 0
		.amdhsa_user_sgpr_kernarg_preload_offset 0
		.amdhsa_user_sgpr_private_segment_size 0
		.amdhsa_uses_dynamic_stack 0
		.amdhsa_enable_private_segment 0
		.amdhsa_system_sgpr_workgroup_id_x 1
		.amdhsa_system_sgpr_workgroup_id_y 1
		.amdhsa_system_sgpr_workgroup_id_z 1
		.amdhsa_system_sgpr_workgroup_info 0
		.amdhsa_system_vgpr_workitem_id 0
		.amdhsa_next_free_vgpr 72
		.amdhsa_next_free_sgpr 48
		.amdhsa_accum_offset 72
		.amdhsa_reserve_vcc 1
		.amdhsa_float_round_mode_32 0
		.amdhsa_float_round_mode_16_64 0
		.amdhsa_float_denorm_mode_32 3
		.amdhsa_float_denorm_mode_16_64 3
		.amdhsa_dx10_clamp 1
		.amdhsa_ieee_mode 1
		.amdhsa_fp16_overflow 0
		.amdhsa_tg_split 0
		.amdhsa_exception_fp_ieee_invalid_op 0
		.amdhsa_exception_fp_denorm_src 0
		.amdhsa_exception_fp_ieee_div_zero 0
		.amdhsa_exception_fp_ieee_overflow 0
		.amdhsa_exception_fp_ieee_underflow 0
		.amdhsa_exception_fp_ieee_inexact 0
		.amdhsa_exception_int_div_zero 0
	.end_amdhsa_kernel
	.section	.text._Z39paged_attention_ll4mi_QKV_mfma16_kernelIDF16_DF16_LN4vllm18Fp8KVCacheDataTypeE0EhLi16ELi64ELi256ELb1ELi9EEvPKT_PKT0_S7_ifPKiS9_S9_iPKfiiiPfSC_PS2_PT2_iSB_SB_,"axG",@progbits,_Z39paged_attention_ll4mi_QKV_mfma16_kernelIDF16_DF16_LN4vllm18Fp8KVCacheDataTypeE0EhLi16ELi64ELi256ELb1ELi9EEvPKT_PKT0_S7_ifPKiS9_S9_iPKfiiiPfSC_PS2_PT2_iSB_SB_,comdat
.Lfunc_end8:
	.size	_Z39paged_attention_ll4mi_QKV_mfma16_kernelIDF16_DF16_LN4vllm18Fp8KVCacheDataTypeE0EhLi16ELi64ELi256ELb1ELi9EEvPKT_PKT0_S7_ifPKiS9_S9_iPKfiiiPfSC_PS2_PT2_iSB_SB_, .Lfunc_end8-_Z39paged_attention_ll4mi_QKV_mfma16_kernelIDF16_DF16_LN4vllm18Fp8KVCacheDataTypeE0EhLi16ELi64ELi256ELb1ELi9EEvPKT_PKT0_S7_ifPKiS9_S9_iPKfiiiPfSC_PS2_PT2_iSB_SB_
                                        ; -- End function
	.section	.AMDGPU.csdata,"",@progbits
; Kernel info:
; codeLenInByte = 4084
; NumSgprs: 54
; NumVgprs: 72
; NumAgprs: 0
; TotalNumVgprs: 72
; ScratchSize: 0
; MemoryBound: 0
; FloatMode: 240
; IeeeMode: 1
; LDSByteSize: 8192 bytes/workgroup (compile time only)
; SGPRBlocks: 6
; VGPRBlocks: 8
; NumSGPRsForWavesPerEU: 54
; NumVGPRsForWavesPerEU: 72
; AccumOffset: 72
; Occupancy: 7
; WaveLimiterHint : 1
; COMPUTE_PGM_RSRC2:SCRATCH_EN: 0
; COMPUTE_PGM_RSRC2:USER_SGPR: 2
; COMPUTE_PGM_RSRC2:TRAP_HANDLER: 0
; COMPUTE_PGM_RSRC2:TGID_X_EN: 1
; COMPUTE_PGM_RSRC2:TGID_Y_EN: 1
; COMPUTE_PGM_RSRC2:TGID_Z_EN: 1
; COMPUTE_PGM_RSRC2:TIDIG_COMP_CNT: 0
; COMPUTE_PGM_RSRC3_GFX90A:ACCUM_OFFSET: 17
; COMPUTE_PGM_RSRC3_GFX90A:TG_SPLIT: 0
	.section	.text._Z39paged_attention_ll4mi_QKV_mfma16_kernelIDF16_DF16_LN4vllm18Fp8KVCacheDataTypeE0EhLi16ELi64ELi256ELb1ELi10EEvPKT_PKT0_S7_ifPKiS9_S9_iPKfiiiPfSC_PS2_PT2_iSB_SB_,"axG",@progbits,_Z39paged_attention_ll4mi_QKV_mfma16_kernelIDF16_DF16_LN4vllm18Fp8KVCacheDataTypeE0EhLi16ELi64ELi256ELb1ELi10EEvPKT_PKT0_S7_ifPKiS9_S9_iPKfiiiPfSC_PS2_PT2_iSB_SB_,comdat
	.protected	_Z39paged_attention_ll4mi_QKV_mfma16_kernelIDF16_DF16_LN4vllm18Fp8KVCacheDataTypeE0EhLi16ELi64ELi256ELb1ELi10EEvPKT_PKT0_S7_ifPKiS9_S9_iPKfiiiPfSC_PS2_PT2_iSB_SB_ ; -- Begin function _Z39paged_attention_ll4mi_QKV_mfma16_kernelIDF16_DF16_LN4vllm18Fp8KVCacheDataTypeE0EhLi16ELi64ELi256ELb1ELi10EEvPKT_PKT0_S7_ifPKiS9_S9_iPKfiiiPfSC_PS2_PT2_iSB_SB_
	.globl	_Z39paged_attention_ll4mi_QKV_mfma16_kernelIDF16_DF16_LN4vllm18Fp8KVCacheDataTypeE0EhLi16ELi64ELi256ELb1ELi10EEvPKT_PKT0_S7_ifPKiS9_S9_iPKfiiiPfSC_PS2_PT2_iSB_SB_
	.p2align	8
	.type	_Z39paged_attention_ll4mi_QKV_mfma16_kernelIDF16_DF16_LN4vllm18Fp8KVCacheDataTypeE0EhLi16ELi64ELi256ELb1ELi10EEvPKT_PKT0_S7_ifPKiS9_S9_iPKfiiiPfSC_PS2_PT2_iSB_SB_,@function
_Z39paged_attention_ll4mi_QKV_mfma16_kernelIDF16_DF16_LN4vllm18Fp8KVCacheDataTypeE0EhLi16ELi64ELi256ELb1ELi10EEvPKT_PKT0_S7_ifPKiS9_S9_iPKfiiiPfSC_PS2_PT2_iSB_SB_: ; @_Z39paged_attention_ll4mi_QKV_mfma16_kernelIDF16_DF16_LN4vllm18Fp8KVCacheDataTypeE0EhLi16ELi64ELi256ELb1ELi10EEvPKT_PKT0_S7_ifPKiS9_S9_iPKfiiiPfSC_PS2_PT2_iSB_SB_
; %bb.0:
	s_load_dwordx2 s[8:9], s[0:1], 0x30
	s_mov_b32 s28, s3
	s_mov_b64 s[6:7], 0
	s_waitcnt lgkmcnt(0)
	s_cmp_lg_u64 s[8:9], 0
	s_cselect_b64 s[10:11], -1, 0
	s_and_b64 vcc, exec, s[10:11]
	s_cbranch_vccz .LBB9_7
; %bb.1:
	s_add_i32 s12, s2, 1
	s_mov_b32 s13, 0
	s_lshl_b64 s[14:15], s[12:13], 2
	s_add_u32 s14, s8, s14
	s_mov_b32 s3, s13
	s_addc_u32 s15, s9, s15
	s_lshl_b64 s[12:13], s[2:3], 2
	s_add_u32 s12, s8, s12
	s_addc_u32 s13, s9, s13
	s_load_dword s5, s[14:15], 0x0
	s_load_dword s16, s[12:13], 0x0
	s_waitcnt lgkmcnt(0)
	s_sub_i32 s5, s5, s16
	s_cmp_eq_u32 s5, 1
	s_cselect_b64 s[12:13], -1, 0
	s_andn2_b64 vcc, exec, s[6:7]
	s_cbranch_vccnz .LBB9_3
.LBB9_2:
	s_mov_b32 s3, 0
	s_mov_b64 s[12:13], -1
.LBB9_3:
	s_andn2_b64 vcc, exec, s[12:13]
	s_cbranch_vccnz .LBB9_20
; %bb.4:
	s_load_dwordx2 s[6:7], s[0:1], 0x28
	s_lshl_b64 s[12:13], s[2:3], 2
	s_waitcnt lgkmcnt(0)
	s_add_u32 s6, s6, s12
	s_addc_u32 s7, s7, s13
	s_load_dword s29, s[6:7], 0x0
	s_lshl_b32 s16, s28, 8
	s_waitcnt lgkmcnt(0)
	s_cmp_ge_i32 s16, s29
	s_cbranch_scc1 .LBB9_20
; %bb.5:
	s_load_dwordx2 s[6:7], s[0:1], 0x20
	s_load_dword s5, s[0:1], 0x38
	s_add_i32 s14, s29, 15
	s_ashr_i32 s15, s14, 31
	v_and_b32_e32 v1, 0xcf, v0
	s_lshr_b32 s15, s15, 28
	v_add_u32_e32 v1, s16, v1
	s_add_i32 s14, s14, s15
	v_ashrrev_i32_e32 v2, 31, v1
	s_ashr_i32 s17, s14, 4
	v_lshrrev_b32_e32 v6, 28, v2
	s_add_i32 s17, s17, -1
	s_waitcnt lgkmcnt(0)
	s_mul_i32 s14, s2, s5
	s_mov_b32 s15, 0
	v_add_u32_e32 v2, v1, v6
	s_lshl_b64 s[14:15], s[14:15], 2
	v_ashrrev_i32_e32 v2, 4, v2
	v_mov_b32_e32 v7, s17
	v_cmp_gt_i32_e32 vcc, s29, v1
	s_add_u32 s6, s6, s14
	s_addc_u32 s7, s7, s15
	v_cndmask_b32_e32 v2, v7, v2, vcc
	v_ashrrev_i32_e32 v3, 31, v2
	v_lshl_add_u64 v[4:5], v[2:3], 2, s[6:7]
	v_or_b32_e32 v2, 16, v1
	v_add_u32_e32 v3, v2, v6
	v_ashrrev_i32_e32 v3, 4, v3
	v_cmp_gt_i32_e32 vcc, s29, v2
	s_load_dwordx2 s[14:15], s[0:1], 0x8
	s_nop 0
	v_cndmask_b32_e32 v2, v7, v3, vcc
	v_ashrrev_i32_e32 v3, 31, v2
	v_lshl_add_u64 v[8:9], v[2:3], 2, s[6:7]
	v_or_b32_e32 v2, 32, v1
	v_add_u32_e32 v3, v2, v6
	v_ashrrev_i32_e32 v3, 4, v3
	v_cmp_gt_i32_e32 vcc, s29, v2
	v_or_b32_e32 v1, 48, v1
	s_nop 0
	v_cndmask_b32_e32 v2, v7, v3, vcc
	v_ashrrev_i32_e32 v3, 31, v2
	v_lshl_add_u64 v[10:11], v[2:3], 2, s[6:7]
	v_add_u32_e32 v2, v1, v6
	v_ashrrev_i32_e32 v2, 4, v2
	v_cmp_gt_i32_e32 vcc, s29, v1
	s_nop 1
	v_cndmask_b32_e32 v2, v7, v2, vcc
	v_ashrrev_i32_e32 v3, 31, v2
	v_lshl_add_u64 v[12:13], v[2:3], 2, s[6:7]
	global_load_dword v3, v[4:5], off
	global_load_dword v2, v[8:9], off
	;; [unrolled: 1-line block ×4, first 2 shown]
	s_andn2_b64 vcc, exec, s[10:11]
	s_cbranch_vccnz .LBB9_8
; %bb.6:
	s_add_u32 s8, s8, s12
	s_addc_u32 s9, s9, s13
	s_load_dword s5, s[8:9], 0x0
	s_branch .LBB9_9
.LBB9_7:
	s_mov_b64 s[12:13], 0
	s_branch .LBB9_2
.LBB9_8:
	s_mov_b32 s5, s2
.LBB9_9:
	s_load_dwordx2 s[8:9], s[0:1], 0x10
	s_load_dwordx4 s[44:47], s[0:1], 0x48
	v_lshrrev_b32_e32 v45, 6, v0
	v_bfe_u32 v54, v0, 4, 2
	v_lshl_or_b32 v1, v45, 2, v54
	v_and_b32_e32 v44, 15, v0
	v_lshlrev_b32_e32 v4, 3, v44
	v_cmp_gt_u32_e32 vcc, 10, v1
	v_cmp_gt_u32_e64 s[30:31], 8, v44
	s_mul_i32 s42, s4, 10
	s_and_b64 s[12:13], s[30:31], vcc
	v_lshlrev_b32_e32 v42, 1, v4
	s_and_saveexec_b64 s[10:11], s[12:13]
	s_cbranch_execz .LBB9_11
; %bb.10:
	s_load_dwordx2 s[12:13], s[0:1], 0x0
	s_waitcnt lgkmcnt(0)
	s_ashr_i32 s18, s44, 31
	s_mul_hi_u32 s19, s5, s44
	s_mul_i32 s18, s5, s18
	s_add_i32 s19, s19, s18
	s_mul_i32 s18, s5, s44
	s_lshl_b64 s[18:19], s[18:19], 1
	s_add_u32 s12, s12, s18
	v_add_lshl_u32 v4, v1, s42, 6
	s_addc_u32 s13, s13, s19
	v_ashrrev_i32_e32 v5, 31, v4
	v_lshl_add_u64 v[4:5], v[4:5], 1, s[12:13]
	v_mov_b32_e32 v43, 0
	v_lshl_add_u64 v[4:5], v[4:5], 0, v[42:43]
	global_load_dwordx4 v[8:11], v[4:5], off
	v_and_b32_e32 v4, 3, v0
	v_lshlrev_b32_e32 v5, 9, v44
	v_lshlrev_b32_e32 v1, 5, v1
	;; [unrolled: 1-line block ×3, first 2 shown]
	v_and_b32_e32 v5, 0x1800, v5
	v_or3_b32 v1, v5, v4, v1
	s_waitcnt vmcnt(0)
	ds_write_b128 v1, v[8:11]
.LBB9_11:
	s_or_b64 exec, exec, s[10:11]
	s_waitcnt lgkmcnt(0)
	s_mul_i32 s4, s4, s46
	s_mov_b32 s5, 0
	s_lshl_b64 s[4:5], s[4:5], 1
	s_add_u32 s10, s14, s4
	v_lshlrev_b32_e32 v1, 4, v0
	s_addc_u32 s11, s15, s5
	v_and_b32_e32 v46, 0xf0, v1
	v_mov_b32_e32 v47, 0
	v_lshl_add_u64 v[16:17], s[10:11], 0, v[46:47]
	s_waitcnt vmcnt(3)
	v_mad_i64_i32 v[4:5], s[10:11], v3, s45, 0
	s_waitcnt vmcnt(2)
	v_mad_i64_i32 v[2:3], s[10:11], v2, s45, 0
	;; [unrolled: 2-line block ×3, first 2 shown]
	v_lshl_add_u64 v[4:5], v[4:5], 1, v[16:17]
	v_and_b32_e32 v46, 0x300, v1
	v_lshl_add_u64 v[2:3], v[2:3], 1, v[16:17]
	v_lshl_add_u64 v[6:7], v[6:7], 1, v[16:17]
	s_waitcnt vmcnt(0)
	v_mad_i64_i32 v[14:15], s[10:11], v14, s45, 0
	v_lshl_add_u64 v[4:5], v[4:5], 0, v[46:47]
	v_lshl_add_u64 v[8:9], v[2:3], 0, v[46:47]
	;; [unrolled: 1-line block ×4, first 2 shown]
	s_barrier
	global_load_dwordx4 v[30:33], v[4:5], off
	global_load_dwordx4 v[10:13], v[4:5], off offset:1024
	global_load_dwordx4 v[22:25], v[8:9], off
	s_nop 0
	global_load_dwordx4 v[2:5], v[8:9], off offset:1024
	global_load_dwordx4 v[26:29], v[18:19], off
	s_nop 0
	global_load_dwordx4 v[6:9], v[18:19], off offset:1024
	v_lshl_add_u64 v[18:19], v[14:15], 0, v[46:47]
	global_load_dwordx4 v[34:37], v[18:19], off
	global_load_dwordx4 v[14:17], v[18:19], off offset:1024
	v_add_u32_e32 v18, -10, v44
	v_cmp_gt_u32_e32 vcc, 10, v44
	v_and_b32_e32 v55, 63, v0
	v_mov_b32_e32 v56, 0
	v_cndmask_b32_e32 v18, v18, v44, vcc
	v_lshlrev_b32_e32 v18, 5, v18
	v_lshl_add_u32 v18, v54, 9, v18
	ds_read_b128 v[38:41], v18
	ds_read_b128 v[18:21], v18 offset:2048
	s_and_saveexec_b64 s[10:11], vcc
	s_cbranch_execz .LBB9_13
; %bb.12:
	s_load_dwordx2 s[12:13], s[0:1], 0x40
	v_add_u32_e32 v48, s42, v44
	v_ashrrev_i32_e32 v49, 31, v48
	s_waitcnt lgkmcnt(0)
	v_lshl_add_u64 v[48:49], v[48:49], 2, s[12:13]
	global_load_dword v56, v[48:49], off
.LBB9_13:
	s_or_b64 exec, exec, s[10:11]
	v_and_or_b32 v46, v0, 48, s16
	v_ashrrev_i32_e32 v43, 4, v46
	v_mov_b32_e32 v57, s17
	v_cmp_gt_i32_e32 vcc, s29, v46
	s_waitcnt vmcnt(5) lgkmcnt(1)
	v_mfma_f32_16x16x16_f16 v[58:61], v[22:23], v[38:39], 0
	s_load_dword s10, s[0:1], 0x1c
	v_cndmask_b32_e32 v48, v57, v43, vcc
	v_ashrrev_i32_e32 v49, 31, v48
	v_or_b32_e32 v43, 64, v46
	v_lshl_add_u64 v[52:53], v[48:49], 2, s[6:7]
	v_mfma_f32_16x16x16_f16 v[48:51], v[30:31], v[38:39], 0
	v_ashrrev_i32_e32 v30, 4, v43
	v_cmp_gt_i32_e32 vcc, s29, v43
	global_load_dword v70, v[52:53], off
	s_waitcnt vmcnt(4)
	v_mfma_f32_16x16x16_f16 v[62:65], v[26:27], v[38:39], 0
	v_cndmask_b32_e32 v30, v57, v30, vcc
	v_ashrrev_i32_e32 v31, 31, v30
	v_lshl_add_u64 v[22:23], v[30:31], 2, s[6:7]
	global_load_dword v71, v[22:23], off
	v_mfma_f32_16x16x16_f16 v[22:25], v[24:25], v[40:41], v[58:61]
	v_and_b32_e32 v26, 0xc0, v0
	s_add_u32 s4, s8, s4
	v_lshlrev_b32_e32 v43, 5, v44
	v_mfma_f32_16x16x16_f16 v[30:33], v[32:33], v[40:41], v[48:51]
	s_addc_u32 s5, s9, s5
	s_mov_b32 s33, 0xff7fffff
	s_waitcnt vmcnt(3)
	v_mfma_f32_16x16x16_f16 v[66:69], v[34:35], v[38:39], 0
	v_or_b32_e32 v38, 0x80, v46
	v_add_u32_e32 v48, s16, v26
	v_or_b32_e32 v39, 0xc0, v46
	v_mfma_f32_16x16x16_f16 v[26:29], v[28:29], v[40:41], v[62:65]
	v_ashrrev_i32_e32 v49, 4, v38
	v_cmp_gt_i32_e32 vcc, s29, v38
	v_ashrrev_i32_e32 v50, 4, v39
	s_waitcnt lgkmcnt(0)
	v_mfma_f32_16x16x16_f16 v[22:25], v[2:3], v[18:19], v[22:25]
	v_cndmask_b32_e32 v38, v57, v49, vcc
	v_cmp_gt_i32_e32 vcc, s29, v39
	v_ashrrev_i32_e32 v39, 31, v38
	v_mfma_f32_16x16x16_f16 v[30:33], v[10:11], v[18:19], v[30:33]
	v_cndmask_b32_e32 v10, v57, v50, vcc
	v_ashrrev_i32_e32 v11, 31, v10
	v_lshl_or_b32 v58, v54, 2, v48
	v_mfma_f32_16x16x16_f16 v[26:29], v[6:7], v[18:19], v[26:29]
	v_lshl_add_u64 v[6:7], v[38:39], 2, s[6:7]
	v_lshl_add_u64 v[38:39], v[10:11], 2, s[6:7]
	v_or_b32_e32 v57, 1, v58
	v_mfma_f32_16x16x16_f16 v[2:5], v[4:5], v[20:21], v[22:25]
	s_nop 2
	global_load_dword v22, v[6:7], off
	global_load_dword v61, v[38:39], off
	v_subrev_u32_e32 v59, s29, v57
	v_cvt_f32_i32_e32 v60, v59
	v_mfma_f32_16x16x16_f16 v[34:37], v[36:37], v[40:41], v[66:69]
	v_pk_mul_f32 v[48:49], s[10:11], v[4:5] op_sel_hi:[0,1]
	v_lshl_or_b32 v46, v45, 9, v43
	v_lshl_add_u64 v[46:47], s[4:5], 0, v[46:47]
	s_waitcnt vmcnt(4)
	v_mfma_f32_16x16x16_f16 v[34:37], v[14:15], v[18:19], v[34:37]
	v_add_u32_e32 v14, 1, v59
	v_add_u32_e32 v15, 2, v59
	v_cvt_f32_i32_e32 v23, v14
	v_cvt_f32_i32_e32 v24, v15
	v_mfma_f32_16x16x16_f16 v[14:17], v[16:17], v[20:21], v[34:37]
	v_add_u32_e32 v18, 3, v59
	v_cvt_f32_i32_e32 v18, v18
	v_pk_mul_f32 v[50:51], s[10:11], v[2:3] op_sel_hi:[0,1]
	v_mfma_f32_16x16x16_f16 v[10:13], v[12:13], v[20:21], v[30:33]
	v_cmp_gt_i32_e64 s[34:35], s29, v57
	s_nop 1
	v_pk_mul_f32 v[36:37], s[10:11], v[14:15] op_sel_hi:[0,1]
	v_add_u32_e32 v15, 19, v59
	v_add_u32_e32 v31, 18, v59
	v_cvt_f32_i32_e32 v14, v31
	v_cvt_f32_i32_e32 v15, v15
	v_mfma_f32_16x16x16_f16 v[6:9], v[8:9], v[20:21], v[26:29]
	v_pk_mul_f32 v[34:35], s[10:11], v[16:17] op_sel_hi:[0,1]
	v_fma_f32 v48, v56, v14, v48
	v_add_u32_e32 v14, 32, v59
	v_fmac_f32_e32 v49, v56, v15
	v_cvt_f32_i32_e32 v14, v14
	v_add_u32_e32 v15, 33, v59
	v_add_u32_e32 v16, 34, v59
	v_cvt_f32_i32_e32 v15, v15
	v_cvt_f32_i32_e32 v16, v16
	v_add_u32_e32 v17, 35, v59
	v_cvt_f32_i32_e32 v17, v17
	v_pk_mul_f32 v[40:41], s[10:11], v[6:7] op_sel_hi:[0,1]
	v_pk_mul_f32 v[38:39], s[10:11], v[8:9] op_sel_hi:[0,1]
	v_fma_f32 v40, v56, v14, v40
	v_add_u32_e32 v14, 48, v59
	v_fmac_f32_e32 v41, v56, v15
	v_fma_f32 v38, v56, v16, v38
	v_cvt_f32_i32_e32 v14, v14
	v_add_u32_e32 v15, 49, v59
	v_add_u32_e32 v16, 50, v59
	v_fmac_f32_e32 v39, v56, v17
	v_cvt_f32_i32_e32 v15, v15
	v_cvt_f32_i32_e32 v16, v16
	v_add_u32_e32 v17, 51, v59
	v_cvt_f32_i32_e32 v17, v17
	v_pk_mul_f32 v[52:53], s[10:11], v[12:13] op_sel_hi:[0,1]
	v_pk_mul_f32 v[10:11], s[10:11], v[10:11] op_sel_hi:[0,1]
	s_waitcnt vmcnt(3)
	v_mad_i64_i32 v[2:3], s[4:5], v70, s45, 0
	s_waitcnt vmcnt(2)
	v_mad_i64_i32 v[12:13], s[4:5], v71, s45, 0
	v_fma_f32 v10, v56, v60, v10
	v_fmac_f32_e32 v11, v56, v23
	v_fma_f32 v36, v56, v14, v36
	v_mov_b32_e32 v14, 0xff7fffff
	v_cmp_gt_i32_e64 s[4:5], s29, v58
	v_add_u32_e32 v19, 16, v59
	v_add_u32_e32 v30, 17, v59
	v_fmac_f32_e32 v37, v56, v15
	v_fma_f32 v34, v56, v16, v34
	v_cndmask_b32_e64 v15, v14, v10, s[4:5]
	v_cndmask_b32_e64 v16, v14, v11, s[34:35]
	v_cvt_f32_i32_e32 v19, v19
	v_cvt_f32_i32_e32 v25, v30
	v_fmac_f32_e32 v35, v56, v17
	v_max3_f32 v15, v15, s33, v16
	v_or_b32_e32 v16, 2, v58
	v_or_b32_e32 v17, 3, v58
	v_fma_f32 v52, v56, v24, v52
	v_fmac_f32_e32 v53, v56, v18
	v_cmp_gt_i32_e64 s[36:37], s29, v16
	v_cmp_gt_i32_e64 s[38:39], s29, v17
	v_fma_f32 v50, v56, v19, v50
	v_cndmask_b32_e64 v16, v14, v52, s[36:37]
	v_cndmask_b32_e64 v17, v14, v53, s[38:39]
	v_max3_f32 v15, v15, v16, v17
	v_or_b32_e32 v16, 16, v58
	v_or_b32_e32 v17, 17, v58
	v_fmac_f32_e32 v51, v56, v25
	v_cmp_gt_i32_e64 s[24:25], s29, v16
	v_cmp_gt_i32_e64 s[26:27], s29, v17
	v_lshl_add_u64 v[2:3], v[2:3], 1, v[46:47]
	v_cndmask_b32_e64 v16, v14, v50, s[24:25]
	v_cndmask_b32_e64 v17, v14, v51, s[26:27]
	v_max3_f32 v15, v15, v16, v17
	v_or_b32_e32 v16, 18, v58
	v_or_b32_e32 v17, 19, v58
	v_cmp_gt_i32_e64 s[20:21], s29, v16
	v_cmp_gt_i32_e64 s[22:23], s29, v17
	v_lshl_add_u64 v[12:13], v[12:13], 1, v[46:47]
	v_cndmask_b32_e64 v16, v14, v48, s[20:21]
	v_cndmask_b32_e64 v17, v14, v49, s[22:23]
	v_max3_f32 v15, v15, v16, v17
	v_or_b32_e32 v16, 32, v58
	v_or_b32_e32 v17, 33, v58
	v_cmp_gt_i32_e64 s[16:17], s29, v16
	v_cmp_gt_i32_e64 s[18:19], s29, v17
	global_load_dwordx4 v[6:9], v[2:3], off
	s_nop 0
	global_load_dwordx4 v[2:5], v[2:3], off offset:16
	v_cndmask_b32_e64 v16, v14, v40, s[16:17]
	v_cndmask_b32_e64 v17, v14, v41, s[18:19]
	v_max3_f32 v15, v15, v16, v17
	v_or_b32_e32 v16, 34, v58
	v_or_b32_e32 v17, 35, v58
	v_cmp_gt_i32_e64 s[12:13], s29, v16
	v_cmp_gt_i32_e64 s[14:15], s29, v17
	global_load_dwordx4 v[30:33], v[12:13], off
	global_load_dwordx4 v[26:29], v[12:13], off offset:16
	v_cndmask_b32_e64 v16, v14, v38, s[12:13]
	v_cndmask_b32_e64 v17, v14, v39, s[14:15]
	v_max3_f32 v15, v15, v16, v17
	v_or_b32_e32 v16, 48, v58
	v_or_b32_e32 v17, 49, v58
	v_cmp_gt_i32_e64 s[8:9], s29, v16
	v_cmp_gt_i32_e64 s[10:11], s29, v17
	s_nop 0
	v_cndmask_b32_e64 v16, v14, v36, s[8:9]
	v_cndmask_b32_e64 v17, v14, v37, s[10:11]
	v_max3_f32 v15, v15, v16, v17
	v_or_b32_e32 v16, 50, v58
	v_or_b32_e32 v17, 51, v58
	v_cmp_gt_i32_e32 vcc, s29, v16
	v_cmp_gt_i32_e64 s[6:7], s29, v17
	s_nop 0
	v_cndmask_b32_e32 v16, v14, v34, vcc
	v_cndmask_b32_e64 v14, v14, v35, s[6:7]
	v_max3_f32 v14, v15, v16, v14
	v_mbcnt_lo_u32_b32 v15, -1, 0
	v_mbcnt_hi_u32_b32 v15, -1, v15
	v_and_b32_e32 v16, 64, v15
	v_add_u32_e32 v16, 64, v16
	v_xor_b32_e32 v17, 32, v15
	v_cmp_lt_i32_e64 s[40:41], v17, v16
	s_nop 1
	v_cndmask_b32_e64 v17, v15, v17, s[40:41]
	v_lshlrev_b32_e32 v57, 2, v17
	ds_bpermute_b32 v17, v57, v14
	s_waitcnt vmcnt(5)
	v_mad_i64_i32 v[12:13], s[40:41], v22, s45, 0
	v_lshl_add_u64 v[12:13], v[12:13], 1, v[46:47]
	global_load_dwordx4 v[22:25], v[12:13], off
	global_load_dwordx4 v[18:21], v[12:13], off offset:16
	s_waitcnt lgkmcnt(0)
	v_max_f32_e32 v17, v17, v17
	v_max_f32_e32 v14, v14, v17
	v_xor_b32_e32 v17, 16, v15
	v_cmp_lt_i32_e64 s[40:41], v17, v16
	s_nop 1
	v_cndmask_b32_e64 v15, v15, v17, s[40:41]
	v_lshlrev_b32_e32 v59, 2, v15
	ds_bpermute_b32 v15, v59, v14
	s_waitcnt vmcnt(6)
	v_mad_i64_i32 v[12:13], s[40:41], v61, s45, 0
	v_lshl_add_u64 v[12:13], v[12:13], 1, v[46:47]
	s_waitcnt lgkmcnt(0)
	v_max_f32_e32 v15, v15, v15
	v_max_f32_e32 v56, v14, v15
	v_sub_f32_e32 v10, v10, v56
	v_mul_f32_e32 v10, 0x3fb8aa3b, v10
	v_exp_f32_e32 v46, v10
	v_sub_f32_e32 v10, v11, v56
	v_mul_f32_e32 v10, 0x3fb8aa3b, v10
	v_exp_f32_e32 v47, v10
	global_load_dwordx4 v[14:17], v[12:13], off
	s_nop 0
	global_load_dwordx4 v[10:13], v[12:13], off offset:16
	v_sub_f32_e32 v52, v52, v56
	v_mul_f32_e32 v52, 0x3fb8aa3b, v52
	v_sub_f32_e32 v53, v53, v56
	v_exp_f32_e32 v52, v52
	v_mul_f32_e32 v53, 0x3fb8aa3b, v53
	v_sub_f32_e32 v50, v50, v56
	v_exp_f32_e32 v53, v53
	v_mul_f32_e32 v50, 0x3fb8aa3b, v50
	v_sub_f32_e32 v51, v51, v56
	v_cndmask_b32_e64 v46, 0, v46, s[4:5]
	v_exp_f32_e32 v50, v50
	v_mul_f32_e32 v51, 0x3fb8aa3b, v51
	v_sub_f32_e32 v48, v48, v56
	v_add_f32_e32 v58, 0, v46
	v_cndmask_b32_e64 v47, 0, v47, s[34:35]
	v_exp_f32_e32 v51, v51
	v_mul_f32_e32 v48, 0x3fb8aa3b, v48
	v_sub_f32_e32 v49, v49, v56
	v_add_f32_e32 v58, v58, v47
	;; [unrolled: 5-line block ×10, first 2 shown]
	v_cndmask_b32_e64 v38, 0, v38, s[12:13]
	v_exp_f32_e32 v34, v34
	v_mul_f32_e32 v35, 0x3fb8aa3b, v35
	v_add_f32_e32 v58, v58, v38
	v_cndmask_b32_e64 v39, 0, v39, s[14:15]
	v_exp_f32_e32 v35, v35
	v_add_f32_e32 v58, v58, v39
	v_cndmask_b32_e64 v36, 0, v36, s[8:9]
	v_add_f32_e32 v58, v58, v36
	v_cndmask_b32_e64 v37, 0, v37, s[10:11]
	v_add_f32_e32 v58, v58, v37
	v_cndmask_b32_e32 v34, 0, v34, vcc
	v_add_f32_e32 v58, v58, v34
	v_cndmask_b32_e64 v35, 0, v35, s[6:7]
	v_add_f32_e32 v58, v58, v35
	ds_bpermute_b32 v57, v57, v58
	s_load_dword s7, s[0:1], 0x98
	v_cmp_gt_u32_e32 vcc, 16, v55
	s_waitcnt lgkmcnt(0)
	s_barrier
	v_add_f32_e32 v58, v58, v57
	ds_bpermute_b32 v59, v59, v58
	v_lshlrev_b32_e32 v57, 2, v44
	s_waitcnt lgkmcnt(0)
	s_and_saveexec_b64 s[4:5], vcc
	s_cbranch_execz .LBB9_15
; %bb.14:
	v_add_f32_e32 v55, v58, v59
	v_lshl_or_b32 v58, v45, 6, v57
	ds_write2st64_b32 v58, v56, v55 offset1:1
.LBB9_15:
	s_or_b64 exec, exec, s[4:5]
	s_load_dword s6, s[0:1], 0x94
	s_waitcnt lgkmcnt(0)
	s_barrier
	ds_read2_b32 v[58:59], v57 offset1:16
	ds_read2_b32 v[60:61], v57 offset0:32 offset1:48
	ds_read2_b32 v[62:63], v57 offset0:64 offset1:80
	s_mul_i32 s7, s7, 10
	s_waitcnt lgkmcnt(2)
	v_max3_f32 v55, v58, s33, v59
	s_waitcnt lgkmcnt(1)
	v_max3_f32 v55, v55, v60, v61
	v_sub_f32_e32 v56, v58, v55
	v_mul_f32_e32 v56, 0x3fb8aa3b, v56
	v_exp_f32_e32 v64, v56
	v_sub_f32_e32 v56, v59, v55
	v_mul_f32_e32 v56, 0x3fb8aa3b, v56
	v_exp_f32_e32 v65, v56
	;; [unrolled: 3-line block ×3, first 2 shown]
	ds_read2_b32 v[58:59], v57 offset0:96 offset1:112
	v_sub_f32_e32 v56, v61, v55
	v_mul_f32_e32 v56, 0x3fb8aa3b, v56
	v_exp_f32_e32 v57, v56
	s_waitcnt lgkmcnt(1)
	v_fma_f32 v56, v64, v62, 0
	v_fmac_f32_e32 v56, v65, v63
	s_waitcnt lgkmcnt(0)
	v_fmac_f32_e32 v56, v60, v58
	v_fmac_f32_e32 v56, v57, v59
	v_add_f32_e32 v58, 0x358637bd, v56
	v_div_scale_f32 v59, s[4:5], v58, v58, 1.0
	v_rcp_f32_e32 v61, v59
	s_barrier
	v_fma_f32 v62, -v59, v61, 1.0
	v_fmac_f32_e32 v61, v62, v61
	v_div_scale_f32 v62, vcc, 1.0, v58, 1.0
	v_mul_f32_e32 v63, v62, v61
	v_fma_f32 v66, -v59, v63, v62
	v_fmac_f32_e32 v63, v66, v61
	v_fma_f32 v59, -v59, v63, v62
	v_div_fmas_f32 v59, v59, v61, v63
	v_cmp_eq_u32_e32 vcc, 1, v45
	v_div_fixup_f32 v58, v59, v58, 1.0
	s_nop 0
	v_cndmask_b32_e32 v59, v64, v65, vcc
	v_cmp_eq_u32_e32 vcc, 2, v45
	s_nop 1
	v_cndmask_b32_e32 v59, v59, v60, vcc
	v_cmp_eq_u32_e32 vcc, 3, v45
	v_lshlrev_b32_e32 v45, 11, v45
	s_nop 0
	v_cndmask_b32_e32 v57, v59, v57, vcc
	v_mul_f32_e32 v58, v57, v58
	v_pk_mul_f32 v[46:47], v[58:59], v[46:47] op_sel_hi:[0,1]
	v_cvt_f16_f32_e32 v46, v46
	v_cvt_f16_f32_e32 v47, v47
	v_pk_mul_f32 v[52:53], v[58:59], v[52:53] op_sel_hi:[0,1]
	v_cvt_f16_f32_e32 v57, v52
	v_cvt_f16_f32_e32 v53, v53
	v_pack_b32_f16 v52, v46, v47
	v_pk_mul_f32 v[46:47], v[58:59], v[48:49] op_sel_hi:[0,1]
	v_pk_mul_f32 v[48:49], v[58:59], v[50:51] op_sel_hi:[0,1]
	v_cvt_f16_f32_e32 v48, v48
	v_cvt_f16_f32_e32 v49, v49
	;; [unrolled: 1-line block ×4, first 2 shown]
	v_pack_b32_f16 v53, v57, v53
	v_lshlrev_b32_e32 v57, 3, v54
	v_pk_mul_f32 v[38:39], v[58:59], v[38:39] op_sel_hi:[0,1]
	v_pk_mul_f32 v[40:41], v[58:59], v[40:41] op_sel_hi:[0,1]
	;; [unrolled: 1-line block ×4, first 2 shown]
	v_or3_b32 v46, v45, v43, v57
	v_pack_b32_f16 v48, v48, v49
	v_pack_b32_f16 v49, v50, v47
	v_cvt_f16_f32_e32 v40, v40
	v_cvt_f16_f32_e32 v41, v41
	;; [unrolled: 1-line block ×8, first 2 shown]
	v_pack_b32_f16 v34, v40, v41
	v_pack_b32_f16 v35, v38, v39
	;; [unrolled: 1-line block ×4, first 2 shown]
	v_cmp_gt_u32_e32 vcc, 10, v0
	ds_write2st64_b64 v46, v[52:53], v[48:49] offset1:1
	ds_write2st64_b64 v46, v[34:35], v[36:37] offset0:2 offset1:3
	s_and_saveexec_b64 s[4:5], vcc
	s_cbranch_execz .LBB9_17
; %bb.16:
	s_mov_b32 s43, 0
	v_mov_b32_e32 v45, 0
	v_lshl_add_u64 v[34:35], s[42:43], 0, v[44:45]
	v_mov_b32_e32 v36, s7
	v_mad_u64_u32 v[34:35], s[12:13], s2, v36, v[34:35]
	s_mul_i32 s3, s3, s7
	v_mov_b32_e32 v44, s28
	s_load_dwordx4 s[8:11], s[0:1], 0x58
	v_add_u32_e32 v37, s3, v35
	v_mad_u64_u32 v[34:35], s[12:13], v34, s6, v[44:45]
	v_mov_b32_e32 v36, v35
	v_mad_u64_u32 v[36:37], s[12:13], v37, s6, v[36:37]
	v_mov_b32_e32 v35, v36
	v_lshlrev_b64 v[34:35], 2, v[34:35]
	s_waitcnt lgkmcnt(0)
	v_lshl_add_u64 v[36:37], s[10:11], 0, v[34:35]
	v_lshl_add_u64 v[34:35], s[8:9], 0, v[34:35]
	global_store_dword v[36:37], v55, off
	global_store_dword v[34:35], v56, off
.LBB9_17:
	s_or_b64 exec, exec, s[4:5]
	v_lshl_or_b32 v43, v54, 9, v43
	s_waitcnt lgkmcnt(0)
	s_barrier
	ds_read_b128 v[34:37], v43
	ds_read_b128 v[38:41], v43 offset:16
	s_waitcnt vmcnt(7) lgkmcnt(1)
	v_mfma_f32_16x16x16_f16 v[48:51], v[6:7], v[34:35], 0
	v_cmp_gt_u32_e32 vcc, 64, v0
	s_mov_b32 s3, 0
	s_and_b64 s[4:5], vcc, s[30:31]
	v_mfma_f32_16x16x16_f16 v[6:9], v[8:9], v[36:37], v[48:51]
	s_waitcnt vmcnt(6) lgkmcnt(0)
	v_mfma_f32_16x16x16_f16 v[6:9], v[2:3], v[38:39], v[6:9]
	v_mfma_f32_16x16x16_f16 v[2:5], v[4:5], v[40:41], v[6:9]
	s_nop 5
	ds_read_b128 v[6:9], v43 offset:2048
	ds_read_b128 v[34:37], v43 offset:2064
	s_waitcnt vmcnt(5) lgkmcnt(1)
	v_mfma_f32_16x16x16_f16 v[2:5], v[30:31], v[6:7], v[2:5]
	v_mfma_f32_16x16x16_f16 v[2:5], v[32:33], v[8:9], v[2:5]
	s_waitcnt vmcnt(4) lgkmcnt(0)
	v_mfma_f32_16x16x16_f16 v[2:5], v[26:27], v[34:35], v[2:5]
	v_mfma_f32_16x16x16_f16 v[2:5], v[28:29], v[36:37], v[2:5]
	ds_read_b128 v[6:9], v43 offset:4096
	ds_read_b128 v[26:29], v43 offset:4112
	s_waitcnt vmcnt(3) lgkmcnt(1)
	v_mfma_f32_16x16x16_f16 v[2:5], v[22:23], v[6:7], v[2:5]
	v_mfma_f32_16x16x16_f16 v[2:5], v[24:25], v[8:9], v[2:5]
	s_waitcnt vmcnt(2) lgkmcnt(0)
	v_mfma_f32_16x16x16_f16 v[2:5], v[18:19], v[26:27], v[2:5]
	v_mfma_f32_16x16x16_f16 v[2:5], v[20:21], v[28:29], v[2:5]
	ds_read_b128 v[6:9], v43 offset:6144
	ds_read_b128 v[18:21], v43 offset:6160
	v_mov_b32_e32 v43, 0
	s_waitcnt vmcnt(1) lgkmcnt(0)
	v_mfma_f32_16x16x16_f16 v[2:5], v[14:15], v[6:7], v[2:5]
	s_barrier
	v_mfma_f32_16x16x16_f16 v[2:5], v[16:17], v[8:9], v[2:5]
	s_waitcnt vmcnt(0)
	v_mfma_f32_16x16x16_f16 v[2:5], v[10:11], v[18:19], v[2:5]
	v_mfma_f32_16x16x16_f16 v[2:5], v[12:13], v[20:21], v[2:5]
	s_nop 6
	v_cvt_f16_f32_e32 v2, v2
	v_cvt_f16_f32_e32 v3, v3
	;; [unrolled: 1-line block ×4, first 2 shown]
	v_pack_b32_f16 v2, v2, v3
	v_pack_b32_f16 v3, v4, v5
	ds_write_b64 v46, v[2:3]
	s_waitcnt lgkmcnt(0)
	s_barrier
	s_and_saveexec_b64 s[8:9], s[4:5]
	s_cbranch_execz .LBB9_20
; %bb.18:
	s_load_dwordx2 s[4:5], s[0:1], 0x68
	s_lshl_b32 s0, s6, 6
	s_mul_i32 s1, s7, s2
	s_mul_hi_u32 s7, s1, s0
	s_mul_i32 s6, s1, s0
	v_lshlrev_b32_e32 v0, 10, v0
	s_lshl_b64 s[6:7], s[6:7], 1
	v_and_b32_e32 v0, 0x1800, v0
	v_lshlrev_b32_e32 v2, 5, v54
	v_and_b32_e32 v1, 16, v1
	s_waitcnt lgkmcnt(0)
	s_add_u32 s1, s4, s6
	v_or3_b32 v2, v0, v2, v1
	s_addc_u32 s4, s5, s7
	s_lshl_b32 s2, s28, 6
	s_lshl_b64 s[2:3], s[2:3], 1
	ds_read_b128 v[4:7], v2 offset:128
	ds_read_b128 v[8:11], v2
	s_add_u32 s2, s1, s2
	s_addc_u32 s3, s4, s3
	v_add_u32_e32 v14, s42, v54
	v_lshl_add_u64 v[0:1], s[2:3], 0, v[42:43]
	v_mad_u64_u32 v[12:13], s[2:3], v14, s0, 0
	v_lshl_add_u64 v[12:13], v[12:13], 1, v[0:1]
	s_waitcnt lgkmcnt(0)
	global_store_dwordx4 v[12:13], v[8:11], off
	v_or_b32_e32 v3, 8, v54
	v_cmp_gt_u32_e32 vcc, 10, v3
	v_add_u32_e32 v8, 4, v14
	v_mad_u64_u32 v[8:9], s[2:3], v8, s0, 0
	v_lshl_add_u64 v[8:9], v[8:9], 1, v[0:1]
	global_store_dwordx4 v[8:9], v[4:7], off
	s_and_b64 exec, exec, vcc
	s_cbranch_execz .LBB9_20
; %bb.19:
	ds_read_b128 v[4:7], v2 offset:256
	v_add_u32_e32 v2, s42, v3
	v_mad_u64_u32 v[2:3], s[0:1], v2, s0, 0
	v_lshl_add_u64 v[0:1], v[2:3], 1, v[0:1]
	s_waitcnt lgkmcnt(0)
	global_store_dwordx4 v[0:1], v[4:7], off
.LBB9_20:
	s_endpgm
	.section	.rodata,"a",@progbits
	.p2align	6, 0x0
	.amdhsa_kernel _Z39paged_attention_ll4mi_QKV_mfma16_kernelIDF16_DF16_LN4vllm18Fp8KVCacheDataTypeE0EhLi16ELi64ELi256ELb1ELi10EEvPKT_PKT0_S7_ifPKiS9_S9_iPKfiiiPfSC_PS2_PT2_iSB_SB_
		.amdhsa_group_segment_fixed_size 8192
		.amdhsa_private_segment_fixed_size 0
		.amdhsa_kernarg_size 400
		.amdhsa_user_sgpr_count 2
		.amdhsa_user_sgpr_dispatch_ptr 0
		.amdhsa_user_sgpr_queue_ptr 0
		.amdhsa_user_sgpr_kernarg_segment_ptr 1
		.amdhsa_user_sgpr_dispatch_id 0
		.amdhsa_user_sgpr_kernarg_preload_length 0
		.amdhsa_user_sgpr_kernarg_preload_offset 0
		.amdhsa_user_sgpr_private_segment_size 0
		.amdhsa_uses_dynamic_stack 0
		.amdhsa_enable_private_segment 0
		.amdhsa_system_sgpr_workgroup_id_x 1
		.amdhsa_system_sgpr_workgroup_id_y 1
		.amdhsa_system_sgpr_workgroup_id_z 1
		.amdhsa_system_sgpr_workgroup_info 0
		.amdhsa_system_vgpr_workitem_id 0
		.amdhsa_next_free_vgpr 72
		.amdhsa_next_free_sgpr 48
		.amdhsa_accum_offset 72
		.amdhsa_reserve_vcc 1
		.amdhsa_float_round_mode_32 0
		.amdhsa_float_round_mode_16_64 0
		.amdhsa_float_denorm_mode_32 3
		.amdhsa_float_denorm_mode_16_64 3
		.amdhsa_dx10_clamp 1
		.amdhsa_ieee_mode 1
		.amdhsa_fp16_overflow 0
		.amdhsa_tg_split 0
		.amdhsa_exception_fp_ieee_invalid_op 0
		.amdhsa_exception_fp_denorm_src 0
		.amdhsa_exception_fp_ieee_div_zero 0
		.amdhsa_exception_fp_ieee_overflow 0
		.amdhsa_exception_fp_ieee_underflow 0
		.amdhsa_exception_fp_ieee_inexact 0
		.amdhsa_exception_int_div_zero 0
	.end_amdhsa_kernel
	.section	.text._Z39paged_attention_ll4mi_QKV_mfma16_kernelIDF16_DF16_LN4vllm18Fp8KVCacheDataTypeE0EhLi16ELi64ELi256ELb1ELi10EEvPKT_PKT0_S7_ifPKiS9_S9_iPKfiiiPfSC_PS2_PT2_iSB_SB_,"axG",@progbits,_Z39paged_attention_ll4mi_QKV_mfma16_kernelIDF16_DF16_LN4vllm18Fp8KVCacheDataTypeE0EhLi16ELi64ELi256ELb1ELi10EEvPKT_PKT0_S7_ifPKiS9_S9_iPKfiiiPfSC_PS2_PT2_iSB_SB_,comdat
.Lfunc_end9:
	.size	_Z39paged_attention_ll4mi_QKV_mfma16_kernelIDF16_DF16_LN4vllm18Fp8KVCacheDataTypeE0EhLi16ELi64ELi256ELb1ELi10EEvPKT_PKT0_S7_ifPKiS9_S9_iPKfiiiPfSC_PS2_PT2_iSB_SB_, .Lfunc_end9-_Z39paged_attention_ll4mi_QKV_mfma16_kernelIDF16_DF16_LN4vllm18Fp8KVCacheDataTypeE0EhLi16ELi64ELi256ELb1ELi10EEvPKT_PKT0_S7_ifPKiS9_S9_iPKfiiiPfSC_PS2_PT2_iSB_SB_
                                        ; -- End function
	.section	.AMDGPU.csdata,"",@progbits
; Kernel info:
; codeLenInByte = 4080
; NumSgprs: 54
; NumVgprs: 72
; NumAgprs: 0
; TotalNumVgprs: 72
; ScratchSize: 0
; MemoryBound: 0
; FloatMode: 240
; IeeeMode: 1
; LDSByteSize: 8192 bytes/workgroup (compile time only)
; SGPRBlocks: 6
; VGPRBlocks: 8
; NumSGPRsForWavesPerEU: 54
; NumVGPRsForWavesPerEU: 72
; AccumOffset: 72
; Occupancy: 7
; WaveLimiterHint : 1
; COMPUTE_PGM_RSRC2:SCRATCH_EN: 0
; COMPUTE_PGM_RSRC2:USER_SGPR: 2
; COMPUTE_PGM_RSRC2:TRAP_HANDLER: 0
; COMPUTE_PGM_RSRC2:TGID_X_EN: 1
; COMPUTE_PGM_RSRC2:TGID_Y_EN: 1
; COMPUTE_PGM_RSRC2:TGID_Z_EN: 1
; COMPUTE_PGM_RSRC2:TIDIG_COMP_CNT: 0
; COMPUTE_PGM_RSRC3_GFX90A:ACCUM_OFFSET: 17
; COMPUTE_PGM_RSRC3_GFX90A:TG_SPLIT: 0
	.section	.text._Z39paged_attention_ll4mi_QKV_mfma16_kernelIDF16_DF16_LN4vllm18Fp8KVCacheDataTypeE0EhLi16ELi64ELi256ELb1ELi11EEvPKT_PKT0_S7_ifPKiS9_S9_iPKfiiiPfSC_PS2_PT2_iSB_SB_,"axG",@progbits,_Z39paged_attention_ll4mi_QKV_mfma16_kernelIDF16_DF16_LN4vllm18Fp8KVCacheDataTypeE0EhLi16ELi64ELi256ELb1ELi11EEvPKT_PKT0_S7_ifPKiS9_S9_iPKfiiiPfSC_PS2_PT2_iSB_SB_,comdat
	.protected	_Z39paged_attention_ll4mi_QKV_mfma16_kernelIDF16_DF16_LN4vllm18Fp8KVCacheDataTypeE0EhLi16ELi64ELi256ELb1ELi11EEvPKT_PKT0_S7_ifPKiS9_S9_iPKfiiiPfSC_PS2_PT2_iSB_SB_ ; -- Begin function _Z39paged_attention_ll4mi_QKV_mfma16_kernelIDF16_DF16_LN4vllm18Fp8KVCacheDataTypeE0EhLi16ELi64ELi256ELb1ELi11EEvPKT_PKT0_S7_ifPKiS9_S9_iPKfiiiPfSC_PS2_PT2_iSB_SB_
	.globl	_Z39paged_attention_ll4mi_QKV_mfma16_kernelIDF16_DF16_LN4vllm18Fp8KVCacheDataTypeE0EhLi16ELi64ELi256ELb1ELi11EEvPKT_PKT0_S7_ifPKiS9_S9_iPKfiiiPfSC_PS2_PT2_iSB_SB_
	.p2align	8
	.type	_Z39paged_attention_ll4mi_QKV_mfma16_kernelIDF16_DF16_LN4vllm18Fp8KVCacheDataTypeE0EhLi16ELi64ELi256ELb1ELi11EEvPKT_PKT0_S7_ifPKiS9_S9_iPKfiiiPfSC_PS2_PT2_iSB_SB_,@function
_Z39paged_attention_ll4mi_QKV_mfma16_kernelIDF16_DF16_LN4vllm18Fp8KVCacheDataTypeE0EhLi16ELi64ELi256ELb1ELi11EEvPKT_PKT0_S7_ifPKiS9_S9_iPKfiiiPfSC_PS2_PT2_iSB_SB_: ; @_Z39paged_attention_ll4mi_QKV_mfma16_kernelIDF16_DF16_LN4vllm18Fp8KVCacheDataTypeE0EhLi16ELi64ELi256ELb1ELi11EEvPKT_PKT0_S7_ifPKiS9_S9_iPKfiiiPfSC_PS2_PT2_iSB_SB_
; %bb.0:
	s_load_dwordx2 s[8:9], s[0:1], 0x30
	s_mov_b32 s28, s3
	s_mov_b64 s[6:7], 0
	s_waitcnt lgkmcnt(0)
	s_cmp_lg_u64 s[8:9], 0
	s_cselect_b64 s[10:11], -1, 0
	s_and_b64 vcc, exec, s[10:11]
	s_cbranch_vccz .LBB10_7
; %bb.1:
	s_add_i32 s12, s2, 1
	s_mov_b32 s13, 0
	s_lshl_b64 s[14:15], s[12:13], 2
	s_add_u32 s14, s8, s14
	s_mov_b32 s3, s13
	s_addc_u32 s15, s9, s15
	s_lshl_b64 s[12:13], s[2:3], 2
	s_add_u32 s12, s8, s12
	s_addc_u32 s13, s9, s13
	s_load_dword s5, s[14:15], 0x0
	s_load_dword s16, s[12:13], 0x0
	s_waitcnt lgkmcnt(0)
	s_sub_i32 s5, s5, s16
	s_cmp_eq_u32 s5, 1
	s_cselect_b64 s[12:13], -1, 0
	s_andn2_b64 vcc, exec, s[6:7]
	s_cbranch_vccnz .LBB10_3
.LBB10_2:
	s_mov_b32 s3, 0
	s_mov_b64 s[12:13], -1
.LBB10_3:
	s_andn2_b64 vcc, exec, s[12:13]
	s_cbranch_vccnz .LBB10_20
; %bb.4:
	s_load_dwordx2 s[6:7], s[0:1], 0x28
	s_lshl_b64 s[12:13], s[2:3], 2
	s_waitcnt lgkmcnt(0)
	s_add_u32 s6, s6, s12
	s_addc_u32 s7, s7, s13
	s_load_dword s29, s[6:7], 0x0
	s_lshl_b32 s16, s28, 8
	s_waitcnt lgkmcnt(0)
	s_cmp_ge_i32 s16, s29
	s_cbranch_scc1 .LBB10_20
; %bb.5:
	s_load_dwordx2 s[6:7], s[0:1], 0x20
	s_load_dword s5, s[0:1], 0x38
	s_add_i32 s14, s29, 15
	s_ashr_i32 s15, s14, 31
	v_and_b32_e32 v1, 0xcf, v0
	s_lshr_b32 s15, s15, 28
	v_add_u32_e32 v1, s16, v1
	s_add_i32 s14, s14, s15
	v_ashrrev_i32_e32 v2, 31, v1
	s_ashr_i32 s17, s14, 4
	v_lshrrev_b32_e32 v6, 28, v2
	s_add_i32 s17, s17, -1
	s_waitcnt lgkmcnt(0)
	s_mul_i32 s14, s2, s5
	s_mov_b32 s15, 0
	v_add_u32_e32 v2, v1, v6
	s_lshl_b64 s[14:15], s[14:15], 2
	v_ashrrev_i32_e32 v2, 4, v2
	v_mov_b32_e32 v7, s17
	v_cmp_gt_i32_e32 vcc, s29, v1
	s_add_u32 s6, s6, s14
	s_addc_u32 s7, s7, s15
	v_cndmask_b32_e32 v2, v7, v2, vcc
	v_ashrrev_i32_e32 v3, 31, v2
	v_lshl_add_u64 v[4:5], v[2:3], 2, s[6:7]
	v_or_b32_e32 v2, 16, v1
	v_add_u32_e32 v3, v2, v6
	v_ashrrev_i32_e32 v3, 4, v3
	v_cmp_gt_i32_e32 vcc, s29, v2
	s_load_dwordx2 s[14:15], s[0:1], 0x8
	s_nop 0
	v_cndmask_b32_e32 v2, v7, v3, vcc
	v_ashrrev_i32_e32 v3, 31, v2
	v_lshl_add_u64 v[8:9], v[2:3], 2, s[6:7]
	v_or_b32_e32 v2, 32, v1
	v_add_u32_e32 v3, v2, v6
	v_ashrrev_i32_e32 v3, 4, v3
	v_cmp_gt_i32_e32 vcc, s29, v2
	v_or_b32_e32 v1, 48, v1
	s_nop 0
	v_cndmask_b32_e32 v2, v7, v3, vcc
	v_ashrrev_i32_e32 v3, 31, v2
	v_lshl_add_u64 v[10:11], v[2:3], 2, s[6:7]
	v_add_u32_e32 v2, v1, v6
	v_ashrrev_i32_e32 v2, 4, v2
	v_cmp_gt_i32_e32 vcc, s29, v1
	s_nop 1
	v_cndmask_b32_e32 v2, v7, v2, vcc
	v_ashrrev_i32_e32 v3, 31, v2
	v_lshl_add_u64 v[12:13], v[2:3], 2, s[6:7]
	global_load_dword v3, v[4:5], off
	global_load_dword v2, v[8:9], off
	;; [unrolled: 1-line block ×4, first 2 shown]
	s_andn2_b64 vcc, exec, s[10:11]
	s_cbranch_vccnz .LBB10_8
; %bb.6:
	s_add_u32 s8, s8, s12
	s_addc_u32 s9, s9, s13
	s_load_dword s5, s[8:9], 0x0
	s_branch .LBB10_9
.LBB10_7:
	s_mov_b64 s[12:13], 0
	s_branch .LBB10_2
.LBB10_8:
	s_mov_b32 s5, s2
.LBB10_9:
	s_load_dwordx2 s[8:9], s[0:1], 0x10
	s_load_dwordx4 s[44:47], s[0:1], 0x48
	v_lshrrev_b32_e32 v45, 6, v0
	v_bfe_u32 v54, v0, 4, 2
	v_lshl_or_b32 v1, v45, 2, v54
	v_and_b32_e32 v44, 15, v0
	v_lshlrev_b32_e32 v4, 3, v44
	v_cmp_gt_u32_e32 vcc, 11, v1
	v_cmp_gt_u32_e64 s[30:31], 8, v44
	s_mul_i32 s42, s4, 11
	s_and_b64 s[12:13], s[30:31], vcc
	v_lshlrev_b32_e32 v42, 1, v4
	s_and_saveexec_b64 s[10:11], s[12:13]
	s_cbranch_execz .LBB10_11
; %bb.10:
	s_load_dwordx2 s[12:13], s[0:1], 0x0
	s_waitcnt lgkmcnt(0)
	s_ashr_i32 s18, s44, 31
	s_mul_hi_u32 s19, s5, s44
	s_mul_i32 s18, s5, s18
	s_add_i32 s19, s19, s18
	s_mul_i32 s18, s5, s44
	s_lshl_b64 s[18:19], s[18:19], 1
	s_add_u32 s12, s12, s18
	v_add_lshl_u32 v4, v1, s42, 6
	s_addc_u32 s13, s13, s19
	v_ashrrev_i32_e32 v5, 31, v4
	v_lshl_add_u64 v[4:5], v[4:5], 1, s[12:13]
	v_mov_b32_e32 v43, 0
	v_lshl_add_u64 v[4:5], v[4:5], 0, v[42:43]
	global_load_dwordx4 v[8:11], v[4:5], off
	v_and_b32_e32 v4, 3, v0
	v_lshlrev_b32_e32 v5, 9, v44
	v_lshlrev_b32_e32 v1, 5, v1
	;; [unrolled: 1-line block ×3, first 2 shown]
	v_and_b32_e32 v5, 0x1800, v5
	v_or3_b32 v1, v5, v4, v1
	s_waitcnt vmcnt(0)
	ds_write_b128 v1, v[8:11]
.LBB10_11:
	s_or_b64 exec, exec, s[10:11]
	s_waitcnt lgkmcnt(0)
	s_mul_i32 s4, s4, s46
	s_mov_b32 s5, 0
	s_lshl_b64 s[4:5], s[4:5], 1
	s_add_u32 s10, s14, s4
	v_lshlrev_b32_e32 v1, 4, v0
	s_addc_u32 s11, s15, s5
	v_and_b32_e32 v46, 0xf0, v1
	v_mov_b32_e32 v47, 0
	v_lshl_add_u64 v[16:17], s[10:11], 0, v[46:47]
	s_waitcnt vmcnt(3)
	v_mad_i64_i32 v[4:5], s[10:11], v3, s45, 0
	s_waitcnt vmcnt(2)
	v_mad_i64_i32 v[2:3], s[10:11], v2, s45, 0
	;; [unrolled: 2-line block ×3, first 2 shown]
	v_lshl_add_u64 v[4:5], v[4:5], 1, v[16:17]
	v_and_b32_e32 v46, 0x300, v1
	v_lshl_add_u64 v[2:3], v[2:3], 1, v[16:17]
	v_lshl_add_u64 v[6:7], v[6:7], 1, v[16:17]
	s_waitcnt vmcnt(0)
	v_mad_i64_i32 v[14:15], s[10:11], v14, s45, 0
	v_lshl_add_u64 v[4:5], v[4:5], 0, v[46:47]
	v_lshl_add_u64 v[8:9], v[2:3], 0, v[46:47]
	;; [unrolled: 1-line block ×4, first 2 shown]
	s_barrier
	global_load_dwordx4 v[30:33], v[4:5], off
	global_load_dwordx4 v[10:13], v[4:5], off offset:1024
	global_load_dwordx4 v[22:25], v[8:9], off
	s_nop 0
	global_load_dwordx4 v[2:5], v[8:9], off offset:1024
	global_load_dwordx4 v[26:29], v[18:19], off
	s_nop 0
	global_load_dwordx4 v[6:9], v[18:19], off offset:1024
	v_lshl_add_u64 v[18:19], v[14:15], 0, v[46:47]
	global_load_dwordx4 v[34:37], v[18:19], off
	global_load_dwordx4 v[14:17], v[18:19], off offset:1024
	v_add_u32_e32 v18, -11, v44
	v_cmp_gt_u32_e32 vcc, 11, v44
	v_and_b32_e32 v55, 63, v0
	v_mov_b32_e32 v56, 0
	v_cndmask_b32_e32 v18, v18, v44, vcc
	v_lshlrev_b32_e32 v18, 5, v18
	v_lshl_add_u32 v18, v54, 9, v18
	ds_read_b128 v[38:41], v18
	ds_read_b128 v[18:21], v18 offset:2048
	s_and_saveexec_b64 s[10:11], vcc
	s_cbranch_execz .LBB10_13
; %bb.12:
	s_load_dwordx2 s[12:13], s[0:1], 0x40
	v_add_u32_e32 v48, s42, v44
	v_ashrrev_i32_e32 v49, 31, v48
	s_waitcnt lgkmcnt(0)
	v_lshl_add_u64 v[48:49], v[48:49], 2, s[12:13]
	global_load_dword v56, v[48:49], off
.LBB10_13:
	s_or_b64 exec, exec, s[10:11]
	v_and_or_b32 v46, v0, 48, s16
	v_ashrrev_i32_e32 v43, 4, v46
	v_mov_b32_e32 v57, s17
	v_cmp_gt_i32_e32 vcc, s29, v46
	s_waitcnt vmcnt(5) lgkmcnt(1)
	v_mfma_f32_16x16x16_f16 v[58:61], v[22:23], v[38:39], 0
	s_load_dword s10, s[0:1], 0x1c
	v_cndmask_b32_e32 v48, v57, v43, vcc
	v_ashrrev_i32_e32 v49, 31, v48
	v_or_b32_e32 v43, 64, v46
	v_lshl_add_u64 v[52:53], v[48:49], 2, s[6:7]
	v_mfma_f32_16x16x16_f16 v[48:51], v[30:31], v[38:39], 0
	v_ashrrev_i32_e32 v30, 4, v43
	v_cmp_gt_i32_e32 vcc, s29, v43
	global_load_dword v70, v[52:53], off
	s_waitcnt vmcnt(4)
	v_mfma_f32_16x16x16_f16 v[62:65], v[26:27], v[38:39], 0
	v_cndmask_b32_e32 v30, v57, v30, vcc
	v_ashrrev_i32_e32 v31, 31, v30
	v_lshl_add_u64 v[22:23], v[30:31], 2, s[6:7]
	global_load_dword v71, v[22:23], off
	v_mfma_f32_16x16x16_f16 v[22:25], v[24:25], v[40:41], v[58:61]
	v_and_b32_e32 v26, 0xc0, v0
	s_add_u32 s4, s8, s4
	v_lshlrev_b32_e32 v43, 5, v44
	v_mfma_f32_16x16x16_f16 v[30:33], v[32:33], v[40:41], v[48:51]
	s_addc_u32 s5, s9, s5
	s_mov_b32 s33, 0xff7fffff
	s_waitcnt vmcnt(3)
	v_mfma_f32_16x16x16_f16 v[66:69], v[34:35], v[38:39], 0
	v_or_b32_e32 v38, 0x80, v46
	v_add_u32_e32 v48, s16, v26
	v_or_b32_e32 v39, 0xc0, v46
	v_mfma_f32_16x16x16_f16 v[26:29], v[28:29], v[40:41], v[62:65]
	v_ashrrev_i32_e32 v49, 4, v38
	v_cmp_gt_i32_e32 vcc, s29, v38
	v_ashrrev_i32_e32 v50, 4, v39
	s_waitcnt lgkmcnt(0)
	v_mfma_f32_16x16x16_f16 v[22:25], v[2:3], v[18:19], v[22:25]
	v_cndmask_b32_e32 v38, v57, v49, vcc
	v_cmp_gt_i32_e32 vcc, s29, v39
	v_ashrrev_i32_e32 v39, 31, v38
	v_mfma_f32_16x16x16_f16 v[30:33], v[10:11], v[18:19], v[30:33]
	v_cndmask_b32_e32 v10, v57, v50, vcc
	v_ashrrev_i32_e32 v11, 31, v10
	v_lshl_or_b32 v58, v54, 2, v48
	v_mfma_f32_16x16x16_f16 v[26:29], v[6:7], v[18:19], v[26:29]
	v_lshl_add_u64 v[6:7], v[38:39], 2, s[6:7]
	v_lshl_add_u64 v[38:39], v[10:11], 2, s[6:7]
	v_or_b32_e32 v57, 1, v58
	v_mfma_f32_16x16x16_f16 v[2:5], v[4:5], v[20:21], v[22:25]
	s_nop 2
	global_load_dword v22, v[6:7], off
	global_load_dword v61, v[38:39], off
	v_subrev_u32_e32 v59, s29, v57
	v_cvt_f32_i32_e32 v60, v59
	v_mfma_f32_16x16x16_f16 v[34:37], v[36:37], v[40:41], v[66:69]
	v_pk_mul_f32 v[48:49], s[10:11], v[4:5] op_sel_hi:[0,1]
	v_lshl_or_b32 v46, v45, 9, v43
	v_lshl_add_u64 v[46:47], s[4:5], 0, v[46:47]
	s_waitcnt vmcnt(4)
	v_mfma_f32_16x16x16_f16 v[34:37], v[14:15], v[18:19], v[34:37]
	v_add_u32_e32 v14, 1, v59
	v_add_u32_e32 v15, 2, v59
	v_cvt_f32_i32_e32 v23, v14
	v_cvt_f32_i32_e32 v24, v15
	v_mfma_f32_16x16x16_f16 v[14:17], v[16:17], v[20:21], v[34:37]
	v_add_u32_e32 v18, 3, v59
	v_cvt_f32_i32_e32 v18, v18
	v_pk_mul_f32 v[50:51], s[10:11], v[2:3] op_sel_hi:[0,1]
	v_mfma_f32_16x16x16_f16 v[10:13], v[12:13], v[20:21], v[30:33]
	v_cmp_gt_i32_e64 s[34:35], s29, v57
	s_nop 1
	v_pk_mul_f32 v[36:37], s[10:11], v[14:15] op_sel_hi:[0,1]
	v_add_u32_e32 v15, 19, v59
	v_add_u32_e32 v31, 18, v59
	v_cvt_f32_i32_e32 v14, v31
	v_cvt_f32_i32_e32 v15, v15
	v_mfma_f32_16x16x16_f16 v[6:9], v[8:9], v[20:21], v[26:29]
	v_pk_mul_f32 v[34:35], s[10:11], v[16:17] op_sel_hi:[0,1]
	v_fma_f32 v48, v56, v14, v48
	v_add_u32_e32 v14, 32, v59
	v_fmac_f32_e32 v49, v56, v15
	v_cvt_f32_i32_e32 v14, v14
	v_add_u32_e32 v15, 33, v59
	v_add_u32_e32 v16, 34, v59
	v_cvt_f32_i32_e32 v15, v15
	v_cvt_f32_i32_e32 v16, v16
	v_add_u32_e32 v17, 35, v59
	v_cvt_f32_i32_e32 v17, v17
	v_pk_mul_f32 v[40:41], s[10:11], v[6:7] op_sel_hi:[0,1]
	v_pk_mul_f32 v[38:39], s[10:11], v[8:9] op_sel_hi:[0,1]
	v_fma_f32 v40, v56, v14, v40
	v_add_u32_e32 v14, 48, v59
	v_fmac_f32_e32 v41, v56, v15
	v_fma_f32 v38, v56, v16, v38
	v_cvt_f32_i32_e32 v14, v14
	v_add_u32_e32 v15, 49, v59
	v_add_u32_e32 v16, 50, v59
	v_fmac_f32_e32 v39, v56, v17
	v_cvt_f32_i32_e32 v15, v15
	v_cvt_f32_i32_e32 v16, v16
	v_add_u32_e32 v17, 51, v59
	v_cvt_f32_i32_e32 v17, v17
	v_pk_mul_f32 v[52:53], s[10:11], v[12:13] op_sel_hi:[0,1]
	v_pk_mul_f32 v[10:11], s[10:11], v[10:11] op_sel_hi:[0,1]
	s_waitcnt vmcnt(3)
	v_mad_i64_i32 v[2:3], s[4:5], v70, s45, 0
	s_waitcnt vmcnt(2)
	v_mad_i64_i32 v[12:13], s[4:5], v71, s45, 0
	v_fma_f32 v10, v56, v60, v10
	v_fmac_f32_e32 v11, v56, v23
	v_fma_f32 v36, v56, v14, v36
	v_mov_b32_e32 v14, 0xff7fffff
	v_cmp_gt_i32_e64 s[4:5], s29, v58
	v_add_u32_e32 v19, 16, v59
	v_add_u32_e32 v30, 17, v59
	v_fmac_f32_e32 v37, v56, v15
	v_fma_f32 v34, v56, v16, v34
	v_cndmask_b32_e64 v15, v14, v10, s[4:5]
	v_cndmask_b32_e64 v16, v14, v11, s[34:35]
	v_cvt_f32_i32_e32 v19, v19
	v_cvt_f32_i32_e32 v25, v30
	v_fmac_f32_e32 v35, v56, v17
	v_max3_f32 v15, v15, s33, v16
	v_or_b32_e32 v16, 2, v58
	v_or_b32_e32 v17, 3, v58
	v_fma_f32 v52, v56, v24, v52
	v_fmac_f32_e32 v53, v56, v18
	v_cmp_gt_i32_e64 s[36:37], s29, v16
	v_cmp_gt_i32_e64 s[38:39], s29, v17
	v_fma_f32 v50, v56, v19, v50
	v_cndmask_b32_e64 v16, v14, v52, s[36:37]
	v_cndmask_b32_e64 v17, v14, v53, s[38:39]
	v_max3_f32 v15, v15, v16, v17
	v_or_b32_e32 v16, 16, v58
	v_or_b32_e32 v17, 17, v58
	v_fmac_f32_e32 v51, v56, v25
	v_cmp_gt_i32_e64 s[24:25], s29, v16
	v_cmp_gt_i32_e64 s[26:27], s29, v17
	v_lshl_add_u64 v[2:3], v[2:3], 1, v[46:47]
	v_cndmask_b32_e64 v16, v14, v50, s[24:25]
	v_cndmask_b32_e64 v17, v14, v51, s[26:27]
	v_max3_f32 v15, v15, v16, v17
	v_or_b32_e32 v16, 18, v58
	v_or_b32_e32 v17, 19, v58
	v_cmp_gt_i32_e64 s[20:21], s29, v16
	v_cmp_gt_i32_e64 s[22:23], s29, v17
	v_lshl_add_u64 v[12:13], v[12:13], 1, v[46:47]
	v_cndmask_b32_e64 v16, v14, v48, s[20:21]
	v_cndmask_b32_e64 v17, v14, v49, s[22:23]
	v_max3_f32 v15, v15, v16, v17
	v_or_b32_e32 v16, 32, v58
	v_or_b32_e32 v17, 33, v58
	v_cmp_gt_i32_e64 s[16:17], s29, v16
	v_cmp_gt_i32_e64 s[18:19], s29, v17
	global_load_dwordx4 v[6:9], v[2:3], off
	s_nop 0
	global_load_dwordx4 v[2:5], v[2:3], off offset:16
	v_cndmask_b32_e64 v16, v14, v40, s[16:17]
	v_cndmask_b32_e64 v17, v14, v41, s[18:19]
	v_max3_f32 v15, v15, v16, v17
	v_or_b32_e32 v16, 34, v58
	v_or_b32_e32 v17, 35, v58
	v_cmp_gt_i32_e64 s[12:13], s29, v16
	v_cmp_gt_i32_e64 s[14:15], s29, v17
	global_load_dwordx4 v[30:33], v[12:13], off
	global_load_dwordx4 v[26:29], v[12:13], off offset:16
	v_cndmask_b32_e64 v16, v14, v38, s[12:13]
	v_cndmask_b32_e64 v17, v14, v39, s[14:15]
	v_max3_f32 v15, v15, v16, v17
	v_or_b32_e32 v16, 48, v58
	v_or_b32_e32 v17, 49, v58
	v_cmp_gt_i32_e64 s[8:9], s29, v16
	v_cmp_gt_i32_e64 s[10:11], s29, v17
	s_nop 0
	v_cndmask_b32_e64 v16, v14, v36, s[8:9]
	v_cndmask_b32_e64 v17, v14, v37, s[10:11]
	v_max3_f32 v15, v15, v16, v17
	v_or_b32_e32 v16, 50, v58
	v_or_b32_e32 v17, 51, v58
	v_cmp_gt_i32_e32 vcc, s29, v16
	v_cmp_gt_i32_e64 s[6:7], s29, v17
	s_nop 0
	v_cndmask_b32_e32 v16, v14, v34, vcc
	v_cndmask_b32_e64 v14, v14, v35, s[6:7]
	v_max3_f32 v14, v15, v16, v14
	v_mbcnt_lo_u32_b32 v15, -1, 0
	v_mbcnt_hi_u32_b32 v15, -1, v15
	v_and_b32_e32 v16, 64, v15
	v_add_u32_e32 v16, 64, v16
	v_xor_b32_e32 v17, 32, v15
	v_cmp_lt_i32_e64 s[40:41], v17, v16
	s_nop 1
	v_cndmask_b32_e64 v17, v15, v17, s[40:41]
	v_lshlrev_b32_e32 v57, 2, v17
	ds_bpermute_b32 v17, v57, v14
	s_waitcnt vmcnt(5)
	v_mad_i64_i32 v[12:13], s[40:41], v22, s45, 0
	v_lshl_add_u64 v[12:13], v[12:13], 1, v[46:47]
	global_load_dwordx4 v[22:25], v[12:13], off
	global_load_dwordx4 v[18:21], v[12:13], off offset:16
	s_waitcnt lgkmcnt(0)
	v_max_f32_e32 v17, v17, v17
	v_max_f32_e32 v14, v14, v17
	v_xor_b32_e32 v17, 16, v15
	v_cmp_lt_i32_e64 s[40:41], v17, v16
	s_nop 1
	v_cndmask_b32_e64 v15, v15, v17, s[40:41]
	v_lshlrev_b32_e32 v59, 2, v15
	ds_bpermute_b32 v15, v59, v14
	s_waitcnt vmcnt(6)
	v_mad_i64_i32 v[12:13], s[40:41], v61, s45, 0
	v_lshl_add_u64 v[12:13], v[12:13], 1, v[46:47]
	s_waitcnt lgkmcnt(0)
	v_max_f32_e32 v15, v15, v15
	v_max_f32_e32 v56, v14, v15
	v_sub_f32_e32 v10, v10, v56
	v_mul_f32_e32 v10, 0x3fb8aa3b, v10
	v_exp_f32_e32 v46, v10
	v_sub_f32_e32 v10, v11, v56
	v_mul_f32_e32 v10, 0x3fb8aa3b, v10
	v_exp_f32_e32 v47, v10
	global_load_dwordx4 v[14:17], v[12:13], off
	s_nop 0
	global_load_dwordx4 v[10:13], v[12:13], off offset:16
	v_sub_f32_e32 v52, v52, v56
	v_mul_f32_e32 v52, 0x3fb8aa3b, v52
	v_sub_f32_e32 v53, v53, v56
	v_exp_f32_e32 v52, v52
	v_mul_f32_e32 v53, 0x3fb8aa3b, v53
	v_sub_f32_e32 v50, v50, v56
	v_exp_f32_e32 v53, v53
	v_mul_f32_e32 v50, 0x3fb8aa3b, v50
	v_sub_f32_e32 v51, v51, v56
	v_cndmask_b32_e64 v46, 0, v46, s[4:5]
	v_exp_f32_e32 v50, v50
	v_mul_f32_e32 v51, 0x3fb8aa3b, v51
	v_sub_f32_e32 v48, v48, v56
	v_add_f32_e32 v58, 0, v46
	v_cndmask_b32_e64 v47, 0, v47, s[34:35]
	v_exp_f32_e32 v51, v51
	v_mul_f32_e32 v48, 0x3fb8aa3b, v48
	v_sub_f32_e32 v49, v49, v56
	v_add_f32_e32 v58, v58, v47
	;; [unrolled: 5-line block ×10, first 2 shown]
	v_cndmask_b32_e64 v38, 0, v38, s[12:13]
	v_exp_f32_e32 v34, v34
	v_mul_f32_e32 v35, 0x3fb8aa3b, v35
	v_add_f32_e32 v58, v58, v38
	v_cndmask_b32_e64 v39, 0, v39, s[14:15]
	v_exp_f32_e32 v35, v35
	v_add_f32_e32 v58, v58, v39
	v_cndmask_b32_e64 v36, 0, v36, s[8:9]
	v_add_f32_e32 v58, v58, v36
	v_cndmask_b32_e64 v37, 0, v37, s[10:11]
	v_add_f32_e32 v58, v58, v37
	v_cndmask_b32_e32 v34, 0, v34, vcc
	v_add_f32_e32 v58, v58, v34
	v_cndmask_b32_e64 v35, 0, v35, s[6:7]
	v_add_f32_e32 v58, v58, v35
	ds_bpermute_b32 v57, v57, v58
	s_load_dword s7, s[0:1], 0x98
	v_cmp_gt_u32_e32 vcc, 16, v55
	s_waitcnt lgkmcnt(0)
	s_barrier
	v_add_f32_e32 v58, v58, v57
	ds_bpermute_b32 v59, v59, v58
	v_lshlrev_b32_e32 v57, 2, v44
	s_waitcnt lgkmcnt(0)
	s_and_saveexec_b64 s[4:5], vcc
	s_cbranch_execz .LBB10_15
; %bb.14:
	v_add_f32_e32 v55, v58, v59
	v_lshl_or_b32 v58, v45, 6, v57
	ds_write2st64_b32 v58, v56, v55 offset1:1
.LBB10_15:
	s_or_b64 exec, exec, s[4:5]
	s_load_dword s6, s[0:1], 0x94
	s_waitcnt lgkmcnt(0)
	s_barrier
	ds_read2_b32 v[58:59], v57 offset1:16
	ds_read2_b32 v[60:61], v57 offset0:32 offset1:48
	ds_read2_b32 v[62:63], v57 offset0:64 offset1:80
	s_mul_i32 s7, s7, 11
	s_waitcnt lgkmcnt(2)
	v_max3_f32 v55, v58, s33, v59
	s_waitcnt lgkmcnt(1)
	v_max3_f32 v55, v55, v60, v61
	v_sub_f32_e32 v56, v58, v55
	v_mul_f32_e32 v56, 0x3fb8aa3b, v56
	v_exp_f32_e32 v64, v56
	v_sub_f32_e32 v56, v59, v55
	v_mul_f32_e32 v56, 0x3fb8aa3b, v56
	v_exp_f32_e32 v65, v56
	;; [unrolled: 3-line block ×3, first 2 shown]
	ds_read2_b32 v[58:59], v57 offset0:96 offset1:112
	v_sub_f32_e32 v56, v61, v55
	v_mul_f32_e32 v56, 0x3fb8aa3b, v56
	v_exp_f32_e32 v57, v56
	s_waitcnt lgkmcnt(1)
	v_fma_f32 v56, v64, v62, 0
	v_fmac_f32_e32 v56, v65, v63
	s_waitcnt lgkmcnt(0)
	v_fmac_f32_e32 v56, v60, v58
	v_fmac_f32_e32 v56, v57, v59
	v_add_f32_e32 v58, 0x358637bd, v56
	v_div_scale_f32 v59, s[4:5], v58, v58, 1.0
	v_rcp_f32_e32 v61, v59
	s_barrier
	v_fma_f32 v62, -v59, v61, 1.0
	v_fmac_f32_e32 v61, v62, v61
	v_div_scale_f32 v62, vcc, 1.0, v58, 1.0
	v_mul_f32_e32 v63, v62, v61
	v_fma_f32 v66, -v59, v63, v62
	v_fmac_f32_e32 v63, v66, v61
	v_fma_f32 v59, -v59, v63, v62
	v_div_fmas_f32 v59, v59, v61, v63
	v_cmp_eq_u32_e32 vcc, 1, v45
	v_div_fixup_f32 v58, v59, v58, 1.0
	s_nop 0
	v_cndmask_b32_e32 v59, v64, v65, vcc
	v_cmp_eq_u32_e32 vcc, 2, v45
	s_nop 1
	v_cndmask_b32_e32 v59, v59, v60, vcc
	v_cmp_eq_u32_e32 vcc, 3, v45
	v_lshlrev_b32_e32 v45, 11, v45
	s_nop 0
	v_cndmask_b32_e32 v57, v59, v57, vcc
	v_mul_f32_e32 v58, v57, v58
	v_pk_mul_f32 v[46:47], v[58:59], v[46:47] op_sel_hi:[0,1]
	v_cvt_f16_f32_e32 v46, v46
	v_cvt_f16_f32_e32 v47, v47
	v_pk_mul_f32 v[52:53], v[58:59], v[52:53] op_sel_hi:[0,1]
	v_cvt_f16_f32_e32 v57, v52
	v_cvt_f16_f32_e32 v53, v53
	v_pack_b32_f16 v52, v46, v47
	v_pk_mul_f32 v[46:47], v[58:59], v[48:49] op_sel_hi:[0,1]
	v_pk_mul_f32 v[48:49], v[58:59], v[50:51] op_sel_hi:[0,1]
	v_cvt_f16_f32_e32 v48, v48
	v_cvt_f16_f32_e32 v49, v49
	;; [unrolled: 1-line block ×4, first 2 shown]
	v_pack_b32_f16 v53, v57, v53
	v_lshlrev_b32_e32 v57, 3, v54
	v_pk_mul_f32 v[38:39], v[58:59], v[38:39] op_sel_hi:[0,1]
	v_pk_mul_f32 v[40:41], v[58:59], v[40:41] op_sel_hi:[0,1]
	;; [unrolled: 1-line block ×4, first 2 shown]
	v_or3_b32 v46, v45, v43, v57
	v_pack_b32_f16 v48, v48, v49
	v_pack_b32_f16 v49, v50, v47
	v_cvt_f16_f32_e32 v40, v40
	v_cvt_f16_f32_e32 v41, v41
	;; [unrolled: 1-line block ×8, first 2 shown]
	v_pack_b32_f16 v34, v40, v41
	v_pack_b32_f16 v35, v38, v39
	;; [unrolled: 1-line block ×4, first 2 shown]
	v_cmp_gt_u32_e32 vcc, 11, v0
	ds_write2st64_b64 v46, v[52:53], v[48:49] offset1:1
	ds_write2st64_b64 v46, v[34:35], v[36:37] offset0:2 offset1:3
	s_and_saveexec_b64 s[4:5], vcc
	s_cbranch_execz .LBB10_17
; %bb.16:
	s_mov_b32 s43, 0
	v_mov_b32_e32 v45, 0
	v_lshl_add_u64 v[34:35], s[42:43], 0, v[44:45]
	v_mov_b32_e32 v36, s7
	v_mad_u64_u32 v[34:35], s[12:13], s2, v36, v[34:35]
	s_mul_i32 s3, s3, s7
	v_mov_b32_e32 v44, s28
	s_load_dwordx4 s[8:11], s[0:1], 0x58
	v_add_u32_e32 v37, s3, v35
	v_mad_u64_u32 v[34:35], s[12:13], v34, s6, v[44:45]
	v_mov_b32_e32 v36, v35
	v_mad_u64_u32 v[36:37], s[12:13], v37, s6, v[36:37]
	v_mov_b32_e32 v35, v36
	v_lshlrev_b64 v[34:35], 2, v[34:35]
	s_waitcnt lgkmcnt(0)
	v_lshl_add_u64 v[36:37], s[10:11], 0, v[34:35]
	v_lshl_add_u64 v[34:35], s[8:9], 0, v[34:35]
	global_store_dword v[36:37], v55, off
	global_store_dword v[34:35], v56, off
.LBB10_17:
	s_or_b64 exec, exec, s[4:5]
	v_lshl_or_b32 v43, v54, 9, v43
	s_waitcnt lgkmcnt(0)
	s_barrier
	ds_read_b128 v[34:37], v43
	ds_read_b128 v[38:41], v43 offset:16
	s_waitcnt vmcnt(7) lgkmcnt(1)
	v_mfma_f32_16x16x16_f16 v[48:51], v[6:7], v[34:35], 0
	v_cmp_gt_u32_e32 vcc, 64, v0
	s_mov_b32 s3, 0
	s_and_b64 s[4:5], vcc, s[30:31]
	v_mfma_f32_16x16x16_f16 v[6:9], v[8:9], v[36:37], v[48:51]
	s_waitcnt vmcnt(6) lgkmcnt(0)
	v_mfma_f32_16x16x16_f16 v[6:9], v[2:3], v[38:39], v[6:9]
	v_mfma_f32_16x16x16_f16 v[2:5], v[4:5], v[40:41], v[6:9]
	s_nop 5
	ds_read_b128 v[6:9], v43 offset:2048
	ds_read_b128 v[34:37], v43 offset:2064
	s_waitcnt vmcnt(5) lgkmcnt(1)
	v_mfma_f32_16x16x16_f16 v[2:5], v[30:31], v[6:7], v[2:5]
	v_mfma_f32_16x16x16_f16 v[2:5], v[32:33], v[8:9], v[2:5]
	s_waitcnt vmcnt(4) lgkmcnt(0)
	v_mfma_f32_16x16x16_f16 v[2:5], v[26:27], v[34:35], v[2:5]
	v_mfma_f32_16x16x16_f16 v[2:5], v[28:29], v[36:37], v[2:5]
	ds_read_b128 v[6:9], v43 offset:4096
	ds_read_b128 v[26:29], v43 offset:4112
	s_waitcnt vmcnt(3) lgkmcnt(1)
	v_mfma_f32_16x16x16_f16 v[2:5], v[22:23], v[6:7], v[2:5]
	v_mfma_f32_16x16x16_f16 v[2:5], v[24:25], v[8:9], v[2:5]
	s_waitcnt vmcnt(2) lgkmcnt(0)
	v_mfma_f32_16x16x16_f16 v[2:5], v[18:19], v[26:27], v[2:5]
	v_mfma_f32_16x16x16_f16 v[2:5], v[20:21], v[28:29], v[2:5]
	ds_read_b128 v[6:9], v43 offset:6144
	ds_read_b128 v[18:21], v43 offset:6160
	v_mov_b32_e32 v43, 0
	s_waitcnt vmcnt(1) lgkmcnt(0)
	v_mfma_f32_16x16x16_f16 v[2:5], v[14:15], v[6:7], v[2:5]
	s_barrier
	v_mfma_f32_16x16x16_f16 v[2:5], v[16:17], v[8:9], v[2:5]
	s_waitcnt vmcnt(0)
	v_mfma_f32_16x16x16_f16 v[2:5], v[10:11], v[18:19], v[2:5]
	v_mfma_f32_16x16x16_f16 v[2:5], v[12:13], v[20:21], v[2:5]
	s_nop 6
	v_cvt_f16_f32_e32 v2, v2
	v_cvt_f16_f32_e32 v3, v3
	v_cvt_f16_f32_e32 v4, v4
	v_cvt_f16_f32_e32 v5, v5
	v_pack_b32_f16 v2, v2, v3
	v_pack_b32_f16 v3, v4, v5
	ds_write_b64 v46, v[2:3]
	s_waitcnt lgkmcnt(0)
	s_barrier
	s_and_saveexec_b64 s[8:9], s[4:5]
	s_cbranch_execz .LBB10_20
; %bb.18:
	s_load_dwordx2 s[4:5], s[0:1], 0x68
	s_lshl_b32 s0, s6, 6
	s_mul_i32 s1, s7, s2
	s_mul_hi_u32 s7, s1, s0
	s_mul_i32 s6, s1, s0
	v_lshlrev_b32_e32 v0, 10, v0
	s_lshl_b64 s[6:7], s[6:7], 1
	v_and_b32_e32 v0, 0x1800, v0
	v_lshlrev_b32_e32 v2, 5, v54
	v_and_b32_e32 v1, 16, v1
	s_waitcnt lgkmcnt(0)
	s_add_u32 s1, s4, s6
	v_or3_b32 v2, v0, v2, v1
	s_addc_u32 s4, s5, s7
	s_lshl_b32 s2, s28, 6
	s_lshl_b64 s[2:3], s[2:3], 1
	ds_read_b128 v[4:7], v2 offset:128
	ds_read_b128 v[8:11], v2
	s_add_u32 s2, s1, s2
	s_addc_u32 s3, s4, s3
	v_add_u32_e32 v3, s42, v54
	v_lshl_add_u64 v[0:1], s[2:3], 0, v[42:43]
	v_mad_u64_u32 v[12:13], s[2:3], v3, s0, 0
	v_lshl_add_u64 v[12:13], v[12:13], 1, v[0:1]
	v_add_u32_e32 v3, 4, v3
	s_waitcnt lgkmcnt(0)
	global_store_dwordx4 v[12:13], v[8:11], off
	v_cmp_ne_u32_e32 vcc, 3, v54
	s_nop 0
	v_mad_u64_u32 v[8:9], s[2:3], v3, s0, 0
	v_lshl_add_u64 v[8:9], v[8:9], 1, v[0:1]
	global_store_dwordx4 v[8:9], v[4:7], off
	s_and_b64 exec, exec, vcc
	s_cbranch_execz .LBB10_20
; %bb.19:
	ds_read_b128 v[2:5], v2 offset:256
	v_add3_u32 v6, s42, v54, 8
	v_mad_u64_u32 v[6:7], s[0:1], v6, s0, 0
	v_lshl_add_u64 v[0:1], v[6:7], 1, v[0:1]
	s_waitcnt lgkmcnt(0)
	global_store_dwordx4 v[0:1], v[2:5], off
.LBB10_20:
	s_endpgm
	.section	.rodata,"a",@progbits
	.p2align	6, 0x0
	.amdhsa_kernel _Z39paged_attention_ll4mi_QKV_mfma16_kernelIDF16_DF16_LN4vllm18Fp8KVCacheDataTypeE0EhLi16ELi64ELi256ELb1ELi11EEvPKT_PKT0_S7_ifPKiS9_S9_iPKfiiiPfSC_PS2_PT2_iSB_SB_
		.amdhsa_group_segment_fixed_size 8192
		.amdhsa_private_segment_fixed_size 0
		.amdhsa_kernarg_size 400
		.amdhsa_user_sgpr_count 2
		.amdhsa_user_sgpr_dispatch_ptr 0
		.amdhsa_user_sgpr_queue_ptr 0
		.amdhsa_user_sgpr_kernarg_segment_ptr 1
		.amdhsa_user_sgpr_dispatch_id 0
		.amdhsa_user_sgpr_kernarg_preload_length 0
		.amdhsa_user_sgpr_kernarg_preload_offset 0
		.amdhsa_user_sgpr_private_segment_size 0
		.amdhsa_uses_dynamic_stack 0
		.amdhsa_enable_private_segment 0
		.amdhsa_system_sgpr_workgroup_id_x 1
		.amdhsa_system_sgpr_workgroup_id_y 1
		.amdhsa_system_sgpr_workgroup_id_z 1
		.amdhsa_system_sgpr_workgroup_info 0
		.amdhsa_system_vgpr_workitem_id 0
		.amdhsa_next_free_vgpr 72
		.amdhsa_next_free_sgpr 48
		.amdhsa_accum_offset 72
		.amdhsa_reserve_vcc 1
		.amdhsa_float_round_mode_32 0
		.amdhsa_float_round_mode_16_64 0
		.amdhsa_float_denorm_mode_32 3
		.amdhsa_float_denorm_mode_16_64 3
		.amdhsa_dx10_clamp 1
		.amdhsa_ieee_mode 1
		.amdhsa_fp16_overflow 0
		.amdhsa_tg_split 0
		.amdhsa_exception_fp_ieee_invalid_op 0
		.amdhsa_exception_fp_denorm_src 0
		.amdhsa_exception_fp_ieee_div_zero 0
		.amdhsa_exception_fp_ieee_overflow 0
		.amdhsa_exception_fp_ieee_underflow 0
		.amdhsa_exception_fp_ieee_inexact 0
		.amdhsa_exception_int_div_zero 0
	.end_amdhsa_kernel
	.section	.text._Z39paged_attention_ll4mi_QKV_mfma16_kernelIDF16_DF16_LN4vllm18Fp8KVCacheDataTypeE0EhLi16ELi64ELi256ELb1ELi11EEvPKT_PKT0_S7_ifPKiS9_S9_iPKfiiiPfSC_PS2_PT2_iSB_SB_,"axG",@progbits,_Z39paged_attention_ll4mi_QKV_mfma16_kernelIDF16_DF16_LN4vllm18Fp8KVCacheDataTypeE0EhLi16ELi64ELi256ELb1ELi11EEvPKT_PKT0_S7_ifPKiS9_S9_iPKfiiiPfSC_PS2_PT2_iSB_SB_,comdat
.Lfunc_end10:
	.size	_Z39paged_attention_ll4mi_QKV_mfma16_kernelIDF16_DF16_LN4vllm18Fp8KVCacheDataTypeE0EhLi16ELi64ELi256ELb1ELi11EEvPKT_PKT0_S7_ifPKiS9_S9_iPKfiiiPfSC_PS2_PT2_iSB_SB_, .Lfunc_end10-_Z39paged_attention_ll4mi_QKV_mfma16_kernelIDF16_DF16_LN4vllm18Fp8KVCacheDataTypeE0EhLi16ELi64ELi256ELb1ELi11EEvPKT_PKT0_S7_ifPKiS9_S9_iPKfiiiPfSC_PS2_PT2_iSB_SB_
                                        ; -- End function
	.section	.AMDGPU.csdata,"",@progbits
; Kernel info:
; codeLenInByte = 4084
; NumSgprs: 54
; NumVgprs: 72
; NumAgprs: 0
; TotalNumVgprs: 72
; ScratchSize: 0
; MemoryBound: 0
; FloatMode: 240
; IeeeMode: 1
; LDSByteSize: 8192 bytes/workgroup (compile time only)
; SGPRBlocks: 6
; VGPRBlocks: 8
; NumSGPRsForWavesPerEU: 54
; NumVGPRsForWavesPerEU: 72
; AccumOffset: 72
; Occupancy: 7
; WaveLimiterHint : 1
; COMPUTE_PGM_RSRC2:SCRATCH_EN: 0
; COMPUTE_PGM_RSRC2:USER_SGPR: 2
; COMPUTE_PGM_RSRC2:TRAP_HANDLER: 0
; COMPUTE_PGM_RSRC2:TGID_X_EN: 1
; COMPUTE_PGM_RSRC2:TGID_Y_EN: 1
; COMPUTE_PGM_RSRC2:TGID_Z_EN: 1
; COMPUTE_PGM_RSRC2:TIDIG_COMP_CNT: 0
; COMPUTE_PGM_RSRC3_GFX90A:ACCUM_OFFSET: 17
; COMPUTE_PGM_RSRC3_GFX90A:TG_SPLIT: 0
	.section	.text._Z39paged_attention_ll4mi_QKV_mfma16_kernelIDF16_DF16_LN4vllm18Fp8KVCacheDataTypeE0EhLi16ELi64ELi256ELb1ELi12EEvPKT_PKT0_S7_ifPKiS9_S9_iPKfiiiPfSC_PS2_PT2_iSB_SB_,"axG",@progbits,_Z39paged_attention_ll4mi_QKV_mfma16_kernelIDF16_DF16_LN4vllm18Fp8KVCacheDataTypeE0EhLi16ELi64ELi256ELb1ELi12EEvPKT_PKT0_S7_ifPKiS9_S9_iPKfiiiPfSC_PS2_PT2_iSB_SB_,comdat
	.protected	_Z39paged_attention_ll4mi_QKV_mfma16_kernelIDF16_DF16_LN4vllm18Fp8KVCacheDataTypeE0EhLi16ELi64ELi256ELb1ELi12EEvPKT_PKT0_S7_ifPKiS9_S9_iPKfiiiPfSC_PS2_PT2_iSB_SB_ ; -- Begin function _Z39paged_attention_ll4mi_QKV_mfma16_kernelIDF16_DF16_LN4vllm18Fp8KVCacheDataTypeE0EhLi16ELi64ELi256ELb1ELi12EEvPKT_PKT0_S7_ifPKiS9_S9_iPKfiiiPfSC_PS2_PT2_iSB_SB_
	.globl	_Z39paged_attention_ll4mi_QKV_mfma16_kernelIDF16_DF16_LN4vllm18Fp8KVCacheDataTypeE0EhLi16ELi64ELi256ELb1ELi12EEvPKT_PKT0_S7_ifPKiS9_S9_iPKfiiiPfSC_PS2_PT2_iSB_SB_
	.p2align	8
	.type	_Z39paged_attention_ll4mi_QKV_mfma16_kernelIDF16_DF16_LN4vllm18Fp8KVCacheDataTypeE0EhLi16ELi64ELi256ELb1ELi12EEvPKT_PKT0_S7_ifPKiS9_S9_iPKfiiiPfSC_PS2_PT2_iSB_SB_,@function
_Z39paged_attention_ll4mi_QKV_mfma16_kernelIDF16_DF16_LN4vllm18Fp8KVCacheDataTypeE0EhLi16ELi64ELi256ELb1ELi12EEvPKT_PKT0_S7_ifPKiS9_S9_iPKfiiiPfSC_PS2_PT2_iSB_SB_: ; @_Z39paged_attention_ll4mi_QKV_mfma16_kernelIDF16_DF16_LN4vllm18Fp8KVCacheDataTypeE0EhLi16ELi64ELi256ELb1ELi12EEvPKT_PKT0_S7_ifPKiS9_S9_iPKfiiiPfSC_PS2_PT2_iSB_SB_
; %bb.0:
	s_load_dwordx2 s[8:9], s[0:1], 0x30
	s_mov_b32 s28, s3
	s_mov_b64 s[6:7], 0
	s_waitcnt lgkmcnt(0)
	s_cmp_lg_u64 s[8:9], 0
	s_cselect_b64 s[10:11], -1, 0
	s_and_b64 vcc, exec, s[10:11]
	s_cbranch_vccz .LBB11_7
; %bb.1:
	s_add_i32 s12, s2, 1
	s_mov_b32 s13, 0
	s_lshl_b64 s[14:15], s[12:13], 2
	s_add_u32 s14, s8, s14
	s_mov_b32 s3, s13
	s_addc_u32 s15, s9, s15
	s_lshl_b64 s[12:13], s[2:3], 2
	s_add_u32 s12, s8, s12
	s_addc_u32 s13, s9, s13
	s_load_dword s5, s[14:15], 0x0
	s_load_dword s16, s[12:13], 0x0
	s_waitcnt lgkmcnt(0)
	s_sub_i32 s5, s5, s16
	s_cmp_eq_u32 s5, 1
	s_cselect_b64 s[12:13], -1, 0
	s_andn2_b64 vcc, exec, s[6:7]
	s_cbranch_vccnz .LBB11_3
.LBB11_2:
	s_mov_b32 s3, 0
	s_mov_b64 s[12:13], -1
.LBB11_3:
	s_andn2_b64 vcc, exec, s[12:13]
	s_cbranch_vccnz .LBB11_19
; %bb.4:
	s_load_dwordx2 s[6:7], s[0:1], 0x28
	s_lshl_b64 s[14:15], s[2:3], 2
	s_waitcnt lgkmcnt(0)
	s_add_u32 s6, s6, s14
	s_addc_u32 s7, s7, s15
	s_load_dword s29, s[6:7], 0x0
	s_lshl_b32 s16, s28, 8
	s_waitcnt lgkmcnt(0)
	s_cmp_ge_i32 s16, s29
	s_cbranch_scc1 .LBB11_19
; %bb.5:
	s_load_dwordx2 s[6:7], s[0:1], 0x20
	s_load_dword s5, s[0:1], 0x38
	s_add_i32 s12, s29, 15
	s_ashr_i32 s13, s12, 31
	v_and_b32_e32 v1, 0xcf, v0
	s_lshr_b32 s13, s13, 28
	v_add_u32_e32 v1, s16, v1
	s_add_i32 s12, s12, s13
	v_ashrrev_i32_e32 v2, 31, v1
	s_ashr_i32 s17, s12, 4
	v_lshrrev_b32_e32 v6, 28, v2
	s_add_i32 s17, s17, -1
	s_waitcnt lgkmcnt(0)
	s_mul_i32 s12, s2, s5
	s_mov_b32 s13, 0
	v_add_u32_e32 v2, v1, v6
	s_lshl_b64 s[12:13], s[12:13], 2
	v_ashrrev_i32_e32 v2, 4, v2
	v_mov_b32_e32 v7, s17
	v_cmp_gt_i32_e32 vcc, s29, v1
	s_add_u32 s6, s6, s12
	s_addc_u32 s7, s7, s13
	v_cndmask_b32_e32 v2, v7, v2, vcc
	v_ashrrev_i32_e32 v3, 31, v2
	v_lshl_add_u64 v[4:5], v[2:3], 2, s[6:7]
	v_or_b32_e32 v2, 16, v1
	v_add_u32_e32 v3, v2, v6
	v_ashrrev_i32_e32 v3, 4, v3
	v_cmp_gt_i32_e32 vcc, s29, v2
	s_load_dwordx2 s[12:13], s[0:1], 0x8
	s_nop 0
	v_cndmask_b32_e32 v2, v7, v3, vcc
	v_ashrrev_i32_e32 v3, 31, v2
	v_lshl_add_u64 v[8:9], v[2:3], 2, s[6:7]
	v_or_b32_e32 v2, 32, v1
	v_add_u32_e32 v3, v2, v6
	v_ashrrev_i32_e32 v3, 4, v3
	v_cmp_gt_i32_e32 vcc, s29, v2
	v_or_b32_e32 v1, 48, v1
	s_nop 0
	v_cndmask_b32_e32 v2, v7, v3, vcc
	v_ashrrev_i32_e32 v3, 31, v2
	v_lshl_add_u64 v[10:11], v[2:3], 2, s[6:7]
	v_add_u32_e32 v2, v1, v6
	v_ashrrev_i32_e32 v2, 4, v2
	v_cmp_gt_i32_e32 vcc, s29, v1
	s_nop 1
	v_cndmask_b32_e32 v2, v7, v2, vcc
	v_ashrrev_i32_e32 v3, 31, v2
	v_lshl_add_u64 v[12:13], v[2:3], 2, s[6:7]
	global_load_dword v3, v[4:5], off
	global_load_dword v2, v[8:9], off
	;; [unrolled: 1-line block ×4, first 2 shown]
	s_andn2_b64 vcc, exec, s[10:11]
	s_cbranch_vccnz .LBB11_8
; %bb.6:
	s_add_u32 s8, s8, s14
	s_addc_u32 s9, s9, s15
	s_load_dword s5, s[8:9], 0x0
	s_branch .LBB11_9
.LBB11_7:
	s_mov_b64 s[12:13], 0
	s_branch .LBB11_2
.LBB11_8:
	s_mov_b32 s5, s2
.LBB11_9:
	s_load_dwordx2 s[8:9], s[0:1], 0x10
	s_load_dwordx4 s[44:47], s[0:1], 0x48
	v_and_b32_e32 v44, 15, v0
	s_movk_i32 s10, 0xc0
	v_lshlrev_b32_e32 v4, 3, v44
	v_cmp_gt_u32_e32 vcc, s10, v0
	v_cmp_gt_u32_e64 s[30:31], 8, v44
	v_lshrrev_b32_e32 v45, 6, v0
	v_bfe_u32 v1, v0, 4, 2
	s_mul_i32 s42, s4, 12
	s_and_b64 s[14:15], vcc, s[30:31]
	v_lshlrev_b32_e32 v42, 1, v4
	s_and_saveexec_b64 s[10:11], s[14:15]
	s_cbranch_execz .LBB11_11
; %bb.10:
	s_load_dwordx2 s[14:15], s[0:1], 0x0
	s_waitcnt lgkmcnt(0)
	s_ashr_i32 s18, s44, 31
	s_mul_hi_u32 s19, s5, s44
	s_mul_i32 s18, s5, s18
	s_add_i32 s19, s19, s18
	s_mul_i32 s18, s5, s44
	v_lshl_or_b32 v7, v45, 2, v1
	s_lshl_b64 s[18:19], s[18:19], 1
	s_add_u32 s14, s14, s18
	v_add_lshl_u32 v4, v7, s42, 6
	s_addc_u32 s15, s15, s19
	v_ashrrev_i32_e32 v5, 31, v4
	v_lshl_add_u64 v[4:5], v[4:5], 1, s[14:15]
	v_mov_b32_e32 v43, 0
	v_lshl_add_u64 v[4:5], v[4:5], 0, v[42:43]
	global_load_dwordx4 v[8:11], v[4:5], off
	v_and_b32_e32 v4, 3, v0
	v_lshlrev_b32_e32 v5, 5, v7
	v_lshlrev_b32_e32 v7, 9, v44
	;; [unrolled: 1-line block ×3, first 2 shown]
	v_and_b32_e32 v7, 0x1800, v7
	v_or3_b32 v4, v7, v4, v5
	s_waitcnt vmcnt(0)
	ds_write_b128 v4, v[8:11]
.LBB11_11:
	s_or_b64 exec, exec, s[10:11]
	s_waitcnt lgkmcnt(0)
	s_mul_i32 s4, s4, s46
	s_mov_b32 s5, 0
	s_lshl_b64 s[4:5], s[4:5], 1
	s_add_u32 s10, s12, s4
	v_lshlrev_b32_e32 v54, 4, v0
	s_addc_u32 s11, s13, s5
	v_and_b32_e32 v46, 0xf0, v54
	v_mov_b32_e32 v47, 0
	v_lshl_add_u64 v[16:17], s[10:11], 0, v[46:47]
	s_waitcnt vmcnt(3)
	v_mad_i64_i32 v[4:5], s[10:11], v3, s45, 0
	s_waitcnt vmcnt(2)
	v_mad_i64_i32 v[2:3], s[10:11], v2, s45, 0
	s_waitcnt vmcnt(1)
	v_mad_i64_i32 v[6:7], s[10:11], v6, s45, 0
	v_lshl_add_u64 v[4:5], v[4:5], 1, v[16:17]
	v_and_b32_e32 v46, 0x300, v54
	v_lshl_add_u64 v[2:3], v[2:3], 1, v[16:17]
	v_lshl_add_u64 v[6:7], v[6:7], 1, v[16:17]
	s_waitcnt vmcnt(0)
	v_mad_i64_i32 v[14:15], s[10:11], v14, s45, 0
	v_lshl_add_u64 v[4:5], v[4:5], 0, v[46:47]
	v_lshl_add_u64 v[8:9], v[2:3], 0, v[46:47]
	;; [unrolled: 1-line block ×4, first 2 shown]
	s_barrier
	global_load_dwordx4 v[30:33], v[4:5], off
	global_load_dwordx4 v[10:13], v[4:5], off offset:1024
	global_load_dwordx4 v[22:25], v[8:9], off
	s_nop 0
	global_load_dwordx4 v[2:5], v[8:9], off offset:1024
	global_load_dwordx4 v[26:29], v[18:19], off
	s_nop 0
	global_load_dwordx4 v[6:9], v[18:19], off offset:1024
	v_lshl_add_u64 v[18:19], v[14:15], 0, v[46:47]
	global_load_dwordx4 v[34:37], v[18:19], off
	global_load_dwordx4 v[14:17], v[18:19], off offset:1024
	v_add_u32_e32 v18, -12, v44
	v_cmp_gt_u32_e32 vcc, 12, v44
	v_and_b32_e32 v55, 63, v0
	v_mov_b32_e32 v56, 0
	v_cndmask_b32_e32 v18, v18, v44, vcc
	v_lshlrev_b32_e32 v18, 5, v18
	v_lshl_add_u32 v18, v1, 9, v18
	ds_read_b128 v[38:41], v18
	ds_read_b128 v[18:21], v18 offset:2048
	s_and_saveexec_b64 s[10:11], vcc
	s_cbranch_execz .LBB11_13
; %bb.12:
	s_load_dwordx2 s[12:13], s[0:1], 0x40
	v_add_u32_e32 v48, s42, v44
	v_ashrrev_i32_e32 v49, 31, v48
	s_waitcnt lgkmcnt(0)
	v_lshl_add_u64 v[48:49], v[48:49], 2, s[12:13]
	global_load_dword v56, v[48:49], off
.LBB11_13:
	s_or_b64 exec, exec, s[10:11]
	v_and_or_b32 v46, v0, 48, s16
	v_ashrrev_i32_e32 v43, 4, v46
	v_mov_b32_e32 v57, s17
	v_cmp_gt_i32_e32 vcc, s29, v46
	s_waitcnt vmcnt(5) lgkmcnt(1)
	v_mfma_f32_16x16x16_f16 v[58:61], v[22:23], v[38:39], 0
	s_load_dword s10, s[0:1], 0x1c
	v_cndmask_b32_e32 v48, v57, v43, vcc
	v_ashrrev_i32_e32 v49, 31, v48
	v_or_b32_e32 v43, 64, v46
	v_lshl_add_u64 v[52:53], v[48:49], 2, s[6:7]
	v_mfma_f32_16x16x16_f16 v[48:51], v[30:31], v[38:39], 0
	v_ashrrev_i32_e32 v30, 4, v43
	v_cmp_gt_i32_e32 vcc, s29, v43
	global_load_dword v70, v[52:53], off
	s_waitcnt vmcnt(4)
	v_mfma_f32_16x16x16_f16 v[62:65], v[26:27], v[38:39], 0
	v_cndmask_b32_e32 v30, v57, v30, vcc
	v_ashrrev_i32_e32 v31, 31, v30
	v_lshl_add_u64 v[22:23], v[30:31], 2, s[6:7]
	global_load_dword v71, v[22:23], off
	v_mfma_f32_16x16x16_f16 v[22:25], v[24:25], v[40:41], v[58:61]
	v_and_b32_e32 v26, 0xc0, v0
	s_add_u32 s4, s8, s4
	v_lshlrev_b32_e32 v43, 5, v44
	v_mfma_f32_16x16x16_f16 v[30:33], v[32:33], v[40:41], v[48:51]
	s_addc_u32 s5, s9, s5
	s_mov_b32 s33, 0xff7fffff
	s_waitcnt vmcnt(3)
	v_mfma_f32_16x16x16_f16 v[66:69], v[34:35], v[38:39], 0
	v_or_b32_e32 v38, 0x80, v46
	v_add_u32_e32 v48, s16, v26
	v_or_b32_e32 v39, 0xc0, v46
	v_mfma_f32_16x16x16_f16 v[26:29], v[28:29], v[40:41], v[62:65]
	v_ashrrev_i32_e32 v49, 4, v38
	v_cmp_gt_i32_e32 vcc, s29, v38
	v_ashrrev_i32_e32 v50, 4, v39
	s_waitcnt lgkmcnt(0)
	v_mfma_f32_16x16x16_f16 v[22:25], v[2:3], v[18:19], v[22:25]
	v_cndmask_b32_e32 v38, v57, v49, vcc
	v_cmp_gt_i32_e32 vcc, s29, v39
	v_ashrrev_i32_e32 v39, 31, v38
	v_mfma_f32_16x16x16_f16 v[30:33], v[10:11], v[18:19], v[30:33]
	v_cndmask_b32_e32 v10, v57, v50, vcc
	v_ashrrev_i32_e32 v11, 31, v10
	v_lshl_or_b32 v58, v1, 2, v48
	v_mfma_f32_16x16x16_f16 v[26:29], v[6:7], v[18:19], v[26:29]
	v_lshl_add_u64 v[6:7], v[38:39], 2, s[6:7]
	v_lshl_add_u64 v[38:39], v[10:11], 2, s[6:7]
	v_or_b32_e32 v57, 1, v58
	v_mfma_f32_16x16x16_f16 v[2:5], v[4:5], v[20:21], v[22:25]
	s_nop 2
	global_load_dword v22, v[6:7], off
	global_load_dword v61, v[38:39], off
	v_subrev_u32_e32 v59, s29, v57
	v_cvt_f32_i32_e32 v60, v59
	v_mfma_f32_16x16x16_f16 v[34:37], v[36:37], v[40:41], v[66:69]
	v_pk_mul_f32 v[48:49], s[10:11], v[4:5] op_sel_hi:[0,1]
	v_lshl_or_b32 v46, v45, 9, v43
	v_lshl_add_u64 v[46:47], s[4:5], 0, v[46:47]
	s_waitcnt vmcnt(4)
	v_mfma_f32_16x16x16_f16 v[34:37], v[14:15], v[18:19], v[34:37]
	v_add_u32_e32 v14, 1, v59
	v_add_u32_e32 v15, 2, v59
	v_cvt_f32_i32_e32 v23, v14
	v_cvt_f32_i32_e32 v24, v15
	v_mfma_f32_16x16x16_f16 v[14:17], v[16:17], v[20:21], v[34:37]
	v_add_u32_e32 v18, 3, v59
	v_cvt_f32_i32_e32 v18, v18
	v_pk_mul_f32 v[50:51], s[10:11], v[2:3] op_sel_hi:[0,1]
	v_mfma_f32_16x16x16_f16 v[10:13], v[12:13], v[20:21], v[30:33]
	v_cmp_gt_i32_e64 s[34:35], s29, v57
	s_nop 1
	v_pk_mul_f32 v[36:37], s[10:11], v[14:15] op_sel_hi:[0,1]
	v_add_u32_e32 v15, 19, v59
	v_add_u32_e32 v31, 18, v59
	v_cvt_f32_i32_e32 v14, v31
	v_cvt_f32_i32_e32 v15, v15
	v_mfma_f32_16x16x16_f16 v[6:9], v[8:9], v[20:21], v[26:29]
	v_pk_mul_f32 v[34:35], s[10:11], v[16:17] op_sel_hi:[0,1]
	v_fma_f32 v48, v56, v14, v48
	v_add_u32_e32 v14, 32, v59
	v_fmac_f32_e32 v49, v56, v15
	v_cvt_f32_i32_e32 v14, v14
	v_add_u32_e32 v15, 33, v59
	v_add_u32_e32 v16, 34, v59
	v_cvt_f32_i32_e32 v15, v15
	v_cvt_f32_i32_e32 v16, v16
	v_add_u32_e32 v17, 35, v59
	v_cvt_f32_i32_e32 v17, v17
	v_pk_mul_f32 v[40:41], s[10:11], v[6:7] op_sel_hi:[0,1]
	v_pk_mul_f32 v[38:39], s[10:11], v[8:9] op_sel_hi:[0,1]
	v_fma_f32 v40, v56, v14, v40
	v_add_u32_e32 v14, 48, v59
	v_fmac_f32_e32 v41, v56, v15
	v_fma_f32 v38, v56, v16, v38
	v_cvt_f32_i32_e32 v14, v14
	v_add_u32_e32 v15, 49, v59
	v_add_u32_e32 v16, 50, v59
	v_fmac_f32_e32 v39, v56, v17
	v_cvt_f32_i32_e32 v15, v15
	v_cvt_f32_i32_e32 v16, v16
	v_add_u32_e32 v17, 51, v59
	v_cvt_f32_i32_e32 v17, v17
	v_pk_mul_f32 v[52:53], s[10:11], v[12:13] op_sel_hi:[0,1]
	v_pk_mul_f32 v[10:11], s[10:11], v[10:11] op_sel_hi:[0,1]
	s_waitcnt vmcnt(3)
	v_mad_i64_i32 v[2:3], s[4:5], v70, s45, 0
	s_waitcnt vmcnt(2)
	v_mad_i64_i32 v[12:13], s[4:5], v71, s45, 0
	v_fma_f32 v10, v56, v60, v10
	v_fmac_f32_e32 v11, v56, v23
	v_fma_f32 v36, v56, v14, v36
	v_mov_b32_e32 v14, 0xff7fffff
	v_cmp_gt_i32_e64 s[4:5], s29, v58
	v_add_u32_e32 v19, 16, v59
	v_add_u32_e32 v30, 17, v59
	v_fmac_f32_e32 v37, v56, v15
	v_fma_f32 v34, v56, v16, v34
	v_cndmask_b32_e64 v15, v14, v10, s[4:5]
	v_cndmask_b32_e64 v16, v14, v11, s[34:35]
	v_cvt_f32_i32_e32 v19, v19
	v_cvt_f32_i32_e32 v25, v30
	v_fmac_f32_e32 v35, v56, v17
	v_max3_f32 v15, v15, s33, v16
	v_or_b32_e32 v16, 2, v58
	v_or_b32_e32 v17, 3, v58
	v_fma_f32 v52, v56, v24, v52
	v_fmac_f32_e32 v53, v56, v18
	v_cmp_gt_i32_e64 s[36:37], s29, v16
	v_cmp_gt_i32_e64 s[38:39], s29, v17
	v_fma_f32 v50, v56, v19, v50
	v_cndmask_b32_e64 v16, v14, v52, s[36:37]
	v_cndmask_b32_e64 v17, v14, v53, s[38:39]
	v_max3_f32 v15, v15, v16, v17
	v_or_b32_e32 v16, 16, v58
	v_or_b32_e32 v17, 17, v58
	v_fmac_f32_e32 v51, v56, v25
	v_cmp_gt_i32_e64 s[24:25], s29, v16
	v_cmp_gt_i32_e64 s[26:27], s29, v17
	v_lshl_add_u64 v[2:3], v[2:3], 1, v[46:47]
	v_cndmask_b32_e64 v16, v14, v50, s[24:25]
	v_cndmask_b32_e64 v17, v14, v51, s[26:27]
	v_max3_f32 v15, v15, v16, v17
	v_or_b32_e32 v16, 18, v58
	v_or_b32_e32 v17, 19, v58
	v_cmp_gt_i32_e64 s[20:21], s29, v16
	v_cmp_gt_i32_e64 s[22:23], s29, v17
	v_lshl_add_u64 v[12:13], v[12:13], 1, v[46:47]
	v_cndmask_b32_e64 v16, v14, v48, s[20:21]
	v_cndmask_b32_e64 v17, v14, v49, s[22:23]
	v_max3_f32 v15, v15, v16, v17
	v_or_b32_e32 v16, 32, v58
	v_or_b32_e32 v17, 33, v58
	v_cmp_gt_i32_e64 s[16:17], s29, v16
	v_cmp_gt_i32_e64 s[18:19], s29, v17
	global_load_dwordx4 v[6:9], v[2:3], off
	s_nop 0
	global_load_dwordx4 v[2:5], v[2:3], off offset:16
	v_cndmask_b32_e64 v16, v14, v40, s[16:17]
	v_cndmask_b32_e64 v17, v14, v41, s[18:19]
	v_max3_f32 v15, v15, v16, v17
	v_or_b32_e32 v16, 34, v58
	v_or_b32_e32 v17, 35, v58
	v_cmp_gt_i32_e64 s[12:13], s29, v16
	v_cmp_gt_i32_e64 s[14:15], s29, v17
	global_load_dwordx4 v[30:33], v[12:13], off
	global_load_dwordx4 v[26:29], v[12:13], off offset:16
	v_cndmask_b32_e64 v16, v14, v38, s[12:13]
	v_cndmask_b32_e64 v17, v14, v39, s[14:15]
	v_max3_f32 v15, v15, v16, v17
	v_or_b32_e32 v16, 48, v58
	v_or_b32_e32 v17, 49, v58
	v_cmp_gt_i32_e64 s[8:9], s29, v16
	v_cmp_gt_i32_e64 s[10:11], s29, v17
	s_nop 0
	v_cndmask_b32_e64 v16, v14, v36, s[8:9]
	v_cndmask_b32_e64 v17, v14, v37, s[10:11]
	v_max3_f32 v15, v15, v16, v17
	v_or_b32_e32 v16, 50, v58
	v_or_b32_e32 v17, 51, v58
	v_cmp_gt_i32_e32 vcc, s29, v16
	v_cmp_gt_i32_e64 s[6:7], s29, v17
	s_nop 0
	v_cndmask_b32_e32 v16, v14, v34, vcc
	v_cndmask_b32_e64 v14, v14, v35, s[6:7]
	v_max3_f32 v14, v15, v16, v14
	v_mbcnt_lo_u32_b32 v15, -1, 0
	v_mbcnt_hi_u32_b32 v15, -1, v15
	v_and_b32_e32 v16, 64, v15
	v_add_u32_e32 v16, 64, v16
	v_xor_b32_e32 v17, 32, v15
	v_cmp_lt_i32_e64 s[40:41], v17, v16
	s_nop 1
	v_cndmask_b32_e64 v17, v15, v17, s[40:41]
	v_lshlrev_b32_e32 v57, 2, v17
	ds_bpermute_b32 v17, v57, v14
	s_waitcnt vmcnt(5)
	v_mad_i64_i32 v[12:13], s[40:41], v22, s45, 0
	v_lshl_add_u64 v[12:13], v[12:13], 1, v[46:47]
	global_load_dwordx4 v[22:25], v[12:13], off
	global_load_dwordx4 v[18:21], v[12:13], off offset:16
	s_waitcnt lgkmcnt(0)
	v_max_f32_e32 v17, v17, v17
	v_max_f32_e32 v14, v14, v17
	v_xor_b32_e32 v17, 16, v15
	v_cmp_lt_i32_e64 s[40:41], v17, v16
	s_nop 1
	v_cndmask_b32_e64 v15, v15, v17, s[40:41]
	v_lshlrev_b32_e32 v59, 2, v15
	ds_bpermute_b32 v15, v59, v14
	s_waitcnt vmcnt(6)
	v_mad_i64_i32 v[12:13], s[40:41], v61, s45, 0
	v_lshl_add_u64 v[12:13], v[12:13], 1, v[46:47]
	s_waitcnt lgkmcnt(0)
	v_max_f32_e32 v15, v15, v15
	v_max_f32_e32 v56, v14, v15
	v_sub_f32_e32 v10, v10, v56
	v_mul_f32_e32 v10, 0x3fb8aa3b, v10
	v_exp_f32_e32 v46, v10
	v_sub_f32_e32 v10, v11, v56
	v_mul_f32_e32 v10, 0x3fb8aa3b, v10
	v_exp_f32_e32 v47, v10
	global_load_dwordx4 v[14:17], v[12:13], off
	s_nop 0
	global_load_dwordx4 v[10:13], v[12:13], off offset:16
	v_sub_f32_e32 v52, v52, v56
	v_mul_f32_e32 v52, 0x3fb8aa3b, v52
	v_sub_f32_e32 v53, v53, v56
	v_exp_f32_e32 v52, v52
	v_mul_f32_e32 v53, 0x3fb8aa3b, v53
	v_sub_f32_e32 v50, v50, v56
	v_exp_f32_e32 v53, v53
	v_mul_f32_e32 v50, 0x3fb8aa3b, v50
	v_sub_f32_e32 v51, v51, v56
	v_cndmask_b32_e64 v46, 0, v46, s[4:5]
	v_exp_f32_e32 v50, v50
	v_mul_f32_e32 v51, 0x3fb8aa3b, v51
	v_sub_f32_e32 v48, v48, v56
	v_add_f32_e32 v58, 0, v46
	v_cndmask_b32_e64 v47, 0, v47, s[34:35]
	v_exp_f32_e32 v51, v51
	v_mul_f32_e32 v48, 0x3fb8aa3b, v48
	v_sub_f32_e32 v49, v49, v56
	v_add_f32_e32 v58, v58, v47
	;; [unrolled: 5-line block ×10, first 2 shown]
	v_cndmask_b32_e64 v38, 0, v38, s[12:13]
	v_exp_f32_e32 v34, v34
	v_mul_f32_e32 v35, 0x3fb8aa3b, v35
	v_add_f32_e32 v58, v58, v38
	v_cndmask_b32_e64 v39, 0, v39, s[14:15]
	v_exp_f32_e32 v35, v35
	v_add_f32_e32 v58, v58, v39
	v_cndmask_b32_e64 v36, 0, v36, s[8:9]
	v_add_f32_e32 v58, v58, v36
	v_cndmask_b32_e64 v37, 0, v37, s[10:11]
	v_add_f32_e32 v58, v58, v37
	v_cndmask_b32_e32 v34, 0, v34, vcc
	v_add_f32_e32 v58, v58, v34
	v_cndmask_b32_e64 v35, 0, v35, s[6:7]
	v_add_f32_e32 v58, v58, v35
	ds_bpermute_b32 v57, v57, v58
	s_load_dword s7, s[0:1], 0x98
	v_cmp_gt_u32_e32 vcc, 16, v55
	s_waitcnt lgkmcnt(0)
	s_barrier
	v_add_f32_e32 v58, v58, v57
	ds_bpermute_b32 v59, v59, v58
	v_lshlrev_b32_e32 v57, 2, v44
	s_waitcnt lgkmcnt(0)
	s_and_saveexec_b64 s[4:5], vcc
	s_cbranch_execz .LBB11_15
; %bb.14:
	v_add_f32_e32 v55, v58, v59
	v_lshl_or_b32 v58, v45, 6, v57
	ds_write2st64_b32 v58, v56, v55 offset1:1
.LBB11_15:
	s_or_b64 exec, exec, s[4:5]
	s_load_dword s6, s[0:1], 0x94
	s_waitcnt lgkmcnt(0)
	s_barrier
	ds_read2_b32 v[58:59], v57 offset1:16
	ds_read2_b32 v[60:61], v57 offset0:32 offset1:48
	ds_read2_b32 v[62:63], v57 offset0:64 offset1:80
	s_mul_i32 s7, s7, 12
	s_waitcnt lgkmcnt(2)
	v_max3_f32 v55, v58, s33, v59
	s_waitcnt lgkmcnt(1)
	v_max3_f32 v55, v55, v60, v61
	v_sub_f32_e32 v56, v58, v55
	v_mul_f32_e32 v56, 0x3fb8aa3b, v56
	v_exp_f32_e32 v64, v56
	v_sub_f32_e32 v56, v59, v55
	v_mul_f32_e32 v56, 0x3fb8aa3b, v56
	v_exp_f32_e32 v65, v56
	;; [unrolled: 3-line block ×3, first 2 shown]
	ds_read2_b32 v[58:59], v57 offset0:96 offset1:112
	v_sub_f32_e32 v56, v61, v55
	v_mul_f32_e32 v56, 0x3fb8aa3b, v56
	v_exp_f32_e32 v57, v56
	s_waitcnt lgkmcnt(1)
	v_fma_f32 v56, v64, v62, 0
	v_fmac_f32_e32 v56, v65, v63
	s_waitcnt lgkmcnt(0)
	v_fmac_f32_e32 v56, v60, v58
	v_fmac_f32_e32 v56, v57, v59
	v_add_f32_e32 v58, 0x358637bd, v56
	v_div_scale_f32 v59, s[4:5], v58, v58, 1.0
	v_rcp_f32_e32 v61, v59
	s_barrier
	v_fma_f32 v62, -v59, v61, 1.0
	v_fmac_f32_e32 v61, v62, v61
	v_div_scale_f32 v62, vcc, 1.0, v58, 1.0
	v_mul_f32_e32 v63, v62, v61
	v_fma_f32 v66, -v59, v63, v62
	v_fmac_f32_e32 v63, v66, v61
	v_fma_f32 v59, -v59, v63, v62
	v_div_fmas_f32 v59, v59, v61, v63
	v_cmp_eq_u32_e32 vcc, 1, v45
	v_div_fixup_f32 v58, v59, v58, 1.0
	s_nop 0
	v_cndmask_b32_e32 v59, v64, v65, vcc
	v_cmp_eq_u32_e32 vcc, 2, v45
	s_nop 1
	v_cndmask_b32_e32 v59, v59, v60, vcc
	v_cmp_eq_u32_e32 vcc, 3, v45
	v_lshlrev_b32_e32 v45, 11, v45
	s_nop 0
	v_cndmask_b32_e32 v57, v59, v57, vcc
	v_mul_f32_e32 v58, v57, v58
	v_pk_mul_f32 v[46:47], v[58:59], v[46:47] op_sel_hi:[0,1]
	v_cvt_f16_f32_e32 v46, v46
	v_cvt_f16_f32_e32 v47, v47
	v_pk_mul_f32 v[52:53], v[58:59], v[52:53] op_sel_hi:[0,1]
	v_cvt_f16_f32_e32 v57, v52
	v_cvt_f16_f32_e32 v53, v53
	v_pack_b32_f16 v52, v46, v47
	v_pk_mul_f32 v[46:47], v[58:59], v[48:49] op_sel_hi:[0,1]
	v_pk_mul_f32 v[48:49], v[58:59], v[50:51] op_sel_hi:[0,1]
	v_cvt_f16_f32_e32 v48, v48
	v_cvt_f16_f32_e32 v49, v49
	;; [unrolled: 1-line block ×4, first 2 shown]
	v_pack_b32_f16 v53, v57, v53
	v_lshlrev_b32_e32 v57, 3, v1
	v_pk_mul_f32 v[38:39], v[58:59], v[38:39] op_sel_hi:[0,1]
	v_pk_mul_f32 v[40:41], v[58:59], v[40:41] op_sel_hi:[0,1]
	;; [unrolled: 1-line block ×4, first 2 shown]
	v_or3_b32 v46, v45, v43, v57
	v_pack_b32_f16 v48, v48, v49
	v_pack_b32_f16 v49, v50, v47
	v_cvt_f16_f32_e32 v40, v40
	v_cvt_f16_f32_e32 v41, v41
	;; [unrolled: 1-line block ×8, first 2 shown]
	v_pack_b32_f16 v34, v40, v41
	v_pack_b32_f16 v35, v38, v39
	;; [unrolled: 1-line block ×4, first 2 shown]
	v_cmp_gt_u32_e32 vcc, 12, v0
	ds_write2st64_b64 v46, v[52:53], v[48:49] offset1:1
	ds_write2st64_b64 v46, v[34:35], v[36:37] offset0:2 offset1:3
	s_and_saveexec_b64 s[4:5], vcc
	s_cbranch_execz .LBB11_17
; %bb.16:
	s_mov_b32 s43, 0
	v_mov_b32_e32 v45, 0
	v_lshl_add_u64 v[34:35], s[42:43], 0, v[44:45]
	v_mov_b32_e32 v36, s7
	v_mad_u64_u32 v[34:35], s[12:13], s2, v36, v[34:35]
	s_mul_i32 s3, s3, s7
	v_mov_b32_e32 v44, s28
	s_load_dwordx4 s[8:11], s[0:1], 0x58
	v_add_u32_e32 v37, s3, v35
	v_mad_u64_u32 v[34:35], s[12:13], v34, s6, v[44:45]
	v_mov_b32_e32 v36, v35
	v_mad_u64_u32 v[36:37], s[12:13], v37, s6, v[36:37]
	v_mov_b32_e32 v35, v36
	v_lshlrev_b64 v[34:35], 2, v[34:35]
	s_waitcnt lgkmcnt(0)
	v_lshl_add_u64 v[36:37], s[10:11], 0, v[34:35]
	v_lshl_add_u64 v[34:35], s[8:9], 0, v[34:35]
	global_store_dword v[36:37], v55, off
	global_store_dword v[34:35], v56, off
.LBB11_17:
	s_or_b64 exec, exec, s[4:5]
	v_lshl_or_b32 v43, v1, 9, v43
	s_waitcnt lgkmcnt(0)
	s_barrier
	ds_read_b128 v[34:37], v43
	ds_read_b128 v[38:41], v43 offset:16
	s_waitcnt vmcnt(7) lgkmcnt(1)
	v_mfma_f32_16x16x16_f16 v[48:51], v[6:7], v[34:35], 0
	v_cmp_gt_u32_e32 vcc, 64, v0
	s_mov_b32 s3, 0
	s_and_b64 s[4:5], vcc, s[30:31]
	v_mfma_f32_16x16x16_f16 v[6:9], v[8:9], v[36:37], v[48:51]
	s_waitcnt vmcnt(6) lgkmcnt(0)
	v_mfma_f32_16x16x16_f16 v[6:9], v[2:3], v[38:39], v[6:9]
	v_mfma_f32_16x16x16_f16 v[2:5], v[4:5], v[40:41], v[6:9]
	s_nop 5
	ds_read_b128 v[6:9], v43 offset:2048
	ds_read_b128 v[34:37], v43 offset:2064
	s_waitcnt vmcnt(5) lgkmcnt(1)
	v_mfma_f32_16x16x16_f16 v[2:5], v[30:31], v[6:7], v[2:5]
	v_mfma_f32_16x16x16_f16 v[2:5], v[32:33], v[8:9], v[2:5]
	s_waitcnt vmcnt(4) lgkmcnt(0)
	v_mfma_f32_16x16x16_f16 v[2:5], v[26:27], v[34:35], v[2:5]
	v_mfma_f32_16x16x16_f16 v[2:5], v[28:29], v[36:37], v[2:5]
	ds_read_b128 v[6:9], v43 offset:4096
	ds_read_b128 v[26:29], v43 offset:4112
	s_waitcnt vmcnt(3) lgkmcnt(1)
	v_mfma_f32_16x16x16_f16 v[2:5], v[22:23], v[6:7], v[2:5]
	v_mfma_f32_16x16x16_f16 v[2:5], v[24:25], v[8:9], v[2:5]
	s_waitcnt vmcnt(2) lgkmcnt(0)
	v_mfma_f32_16x16x16_f16 v[2:5], v[18:19], v[26:27], v[2:5]
	v_mfma_f32_16x16x16_f16 v[2:5], v[20:21], v[28:29], v[2:5]
	ds_read_b128 v[6:9], v43 offset:6144
	ds_read_b128 v[18:21], v43 offset:6160
	v_mov_b32_e32 v43, 0
	s_waitcnt vmcnt(1) lgkmcnt(0)
	v_mfma_f32_16x16x16_f16 v[2:5], v[14:15], v[6:7], v[2:5]
	s_barrier
	v_mfma_f32_16x16x16_f16 v[2:5], v[16:17], v[8:9], v[2:5]
	s_waitcnt vmcnt(0)
	v_mfma_f32_16x16x16_f16 v[2:5], v[10:11], v[18:19], v[2:5]
	v_mfma_f32_16x16x16_f16 v[2:5], v[12:13], v[20:21], v[2:5]
	s_nop 6
	v_cvt_f16_f32_e32 v2, v2
	v_cvt_f16_f32_e32 v3, v3
	;; [unrolled: 1-line block ×4, first 2 shown]
	v_pack_b32_f16 v2, v2, v3
	v_pack_b32_f16 v3, v4, v5
	ds_write_b64 v46, v[2:3]
	s_waitcnt lgkmcnt(0)
	s_barrier
	s_and_saveexec_b64 s[8:9], s[4:5]
	s_cbranch_execz .LBB11_19
; %bb.18:
	s_load_dwordx2 s[0:1], s[0:1], 0x68
	s_lshl_b32 s6, s6, 6
	s_mul_i32 s2, s7, s2
	s_mul_hi_u32 s5, s2, s6
	s_mul_i32 s4, s2, s6
	s_lshl_b64 s[4:5], s[4:5], 1
	s_waitcnt lgkmcnt(0)
	s_add_u32 s4, s0, s4
	v_lshlrev_b32_e32 v0, 10, v0
	s_addc_u32 s5, s1, s5
	s_lshl_b32 s2, s28, 6
	v_and_b32_e32 v0, 0x1800, v0
	v_lshlrev_b32_e32 v2, 5, v1
	v_and_b32_e32 v3, 16, v54
	s_lshl_b64 s[0:1], s[2:3], 1
	v_or3_b32 v0, v0, v2, v3
	s_add_u32 s0, s4, s0
	ds_read_b128 v[2:5], v0
	ds_read_b128 v[6:9], v0 offset:128
	ds_read_b128 v[10:13], v0 offset:256
	s_addc_u32 s1, s5, s1
	v_or_b32_e32 v16, s42, v1
	v_lshl_add_u64 v[0:1], s[0:1], 0, v[42:43]
	v_mad_u64_u32 v[14:15], s[0:1], v16, s6, 0
	v_lshl_add_u64 v[14:15], v[14:15], 1, v[0:1]
	s_waitcnt lgkmcnt(2)
	global_store_dwordx4 v[14:15], v[2:5], off
	s_nop 1
	v_add_u32_e32 v2, 4, v16
	v_mad_u64_u32 v[2:3], s[0:1], v2, s6, 0
	v_lshl_add_u64 v[2:3], v[2:3], 1, v[0:1]
	s_waitcnt lgkmcnt(1)
	global_store_dwordx4 v[2:3], v[6:9], off
	v_add_u32_e32 v2, 8, v16
	v_mad_u64_u32 v[2:3], s[0:1], v2, s6, 0
	v_lshl_add_u64 v[0:1], v[2:3], 1, v[0:1]
	s_waitcnt lgkmcnt(0)
	global_store_dwordx4 v[0:1], v[10:13], off
.LBB11_19:
	s_endpgm
	.section	.rodata,"a",@progbits
	.p2align	6, 0x0
	.amdhsa_kernel _Z39paged_attention_ll4mi_QKV_mfma16_kernelIDF16_DF16_LN4vllm18Fp8KVCacheDataTypeE0EhLi16ELi64ELi256ELb1ELi12EEvPKT_PKT0_S7_ifPKiS9_S9_iPKfiiiPfSC_PS2_PT2_iSB_SB_
		.amdhsa_group_segment_fixed_size 8192
		.amdhsa_private_segment_fixed_size 0
		.amdhsa_kernarg_size 400
		.amdhsa_user_sgpr_count 2
		.amdhsa_user_sgpr_dispatch_ptr 0
		.amdhsa_user_sgpr_queue_ptr 0
		.amdhsa_user_sgpr_kernarg_segment_ptr 1
		.amdhsa_user_sgpr_dispatch_id 0
		.amdhsa_user_sgpr_kernarg_preload_length 0
		.amdhsa_user_sgpr_kernarg_preload_offset 0
		.amdhsa_user_sgpr_private_segment_size 0
		.amdhsa_uses_dynamic_stack 0
		.amdhsa_enable_private_segment 0
		.amdhsa_system_sgpr_workgroup_id_x 1
		.amdhsa_system_sgpr_workgroup_id_y 1
		.amdhsa_system_sgpr_workgroup_id_z 1
		.amdhsa_system_sgpr_workgroup_info 0
		.amdhsa_system_vgpr_workitem_id 0
		.amdhsa_next_free_vgpr 72
		.amdhsa_next_free_sgpr 48
		.amdhsa_accum_offset 72
		.amdhsa_reserve_vcc 1
		.amdhsa_float_round_mode_32 0
		.amdhsa_float_round_mode_16_64 0
		.amdhsa_float_denorm_mode_32 3
		.amdhsa_float_denorm_mode_16_64 3
		.amdhsa_dx10_clamp 1
		.amdhsa_ieee_mode 1
		.amdhsa_fp16_overflow 0
		.amdhsa_tg_split 0
		.amdhsa_exception_fp_ieee_invalid_op 0
		.amdhsa_exception_fp_denorm_src 0
		.amdhsa_exception_fp_ieee_div_zero 0
		.amdhsa_exception_fp_ieee_overflow 0
		.amdhsa_exception_fp_ieee_underflow 0
		.amdhsa_exception_fp_ieee_inexact 0
		.amdhsa_exception_int_div_zero 0
	.end_amdhsa_kernel
	.section	.text._Z39paged_attention_ll4mi_QKV_mfma16_kernelIDF16_DF16_LN4vllm18Fp8KVCacheDataTypeE0EhLi16ELi64ELi256ELb1ELi12EEvPKT_PKT0_S7_ifPKiS9_S9_iPKfiiiPfSC_PS2_PT2_iSB_SB_,"axG",@progbits,_Z39paged_attention_ll4mi_QKV_mfma16_kernelIDF16_DF16_LN4vllm18Fp8KVCacheDataTypeE0EhLi16ELi64ELi256ELb1ELi12EEvPKT_PKT0_S7_ifPKiS9_S9_iPKfiiiPfSC_PS2_PT2_iSB_SB_,comdat
.Lfunc_end11:
	.size	_Z39paged_attention_ll4mi_QKV_mfma16_kernelIDF16_DF16_LN4vllm18Fp8KVCacheDataTypeE0EhLi16ELi64ELi256ELb1ELi12EEvPKT_PKT0_S7_ifPKiS9_S9_iPKfiiiPfSC_PS2_PT2_iSB_SB_, .Lfunc_end11-_Z39paged_attention_ll4mi_QKV_mfma16_kernelIDF16_DF16_LN4vllm18Fp8KVCacheDataTypeE0EhLi16ELi64ELi256ELb1ELi12EEvPKT_PKT0_S7_ifPKiS9_S9_iPKfiiiPfSC_PS2_PT2_iSB_SB_
                                        ; -- End function
	.section	.AMDGPU.csdata,"",@progbits
; Kernel info:
; codeLenInByte = 4076
; NumSgprs: 54
; NumVgprs: 72
; NumAgprs: 0
; TotalNumVgprs: 72
; ScratchSize: 0
; MemoryBound: 0
; FloatMode: 240
; IeeeMode: 1
; LDSByteSize: 8192 bytes/workgroup (compile time only)
; SGPRBlocks: 6
; VGPRBlocks: 8
; NumSGPRsForWavesPerEU: 54
; NumVGPRsForWavesPerEU: 72
; AccumOffset: 72
; Occupancy: 7
; WaveLimiterHint : 1
; COMPUTE_PGM_RSRC2:SCRATCH_EN: 0
; COMPUTE_PGM_RSRC2:USER_SGPR: 2
; COMPUTE_PGM_RSRC2:TRAP_HANDLER: 0
; COMPUTE_PGM_RSRC2:TGID_X_EN: 1
; COMPUTE_PGM_RSRC2:TGID_Y_EN: 1
; COMPUTE_PGM_RSRC2:TGID_Z_EN: 1
; COMPUTE_PGM_RSRC2:TIDIG_COMP_CNT: 0
; COMPUTE_PGM_RSRC3_GFX90A:ACCUM_OFFSET: 17
; COMPUTE_PGM_RSRC3_GFX90A:TG_SPLIT: 0
	.section	.text._Z39paged_attention_ll4mi_QKV_mfma16_kernelIDF16_DF16_LN4vllm18Fp8KVCacheDataTypeE0EhLi16ELi64ELi256ELb1ELi13EEvPKT_PKT0_S7_ifPKiS9_S9_iPKfiiiPfSC_PS2_PT2_iSB_SB_,"axG",@progbits,_Z39paged_attention_ll4mi_QKV_mfma16_kernelIDF16_DF16_LN4vllm18Fp8KVCacheDataTypeE0EhLi16ELi64ELi256ELb1ELi13EEvPKT_PKT0_S7_ifPKiS9_S9_iPKfiiiPfSC_PS2_PT2_iSB_SB_,comdat
	.protected	_Z39paged_attention_ll4mi_QKV_mfma16_kernelIDF16_DF16_LN4vllm18Fp8KVCacheDataTypeE0EhLi16ELi64ELi256ELb1ELi13EEvPKT_PKT0_S7_ifPKiS9_S9_iPKfiiiPfSC_PS2_PT2_iSB_SB_ ; -- Begin function _Z39paged_attention_ll4mi_QKV_mfma16_kernelIDF16_DF16_LN4vllm18Fp8KVCacheDataTypeE0EhLi16ELi64ELi256ELb1ELi13EEvPKT_PKT0_S7_ifPKiS9_S9_iPKfiiiPfSC_PS2_PT2_iSB_SB_
	.globl	_Z39paged_attention_ll4mi_QKV_mfma16_kernelIDF16_DF16_LN4vllm18Fp8KVCacheDataTypeE0EhLi16ELi64ELi256ELb1ELi13EEvPKT_PKT0_S7_ifPKiS9_S9_iPKfiiiPfSC_PS2_PT2_iSB_SB_
	.p2align	8
	.type	_Z39paged_attention_ll4mi_QKV_mfma16_kernelIDF16_DF16_LN4vllm18Fp8KVCacheDataTypeE0EhLi16ELi64ELi256ELb1ELi13EEvPKT_PKT0_S7_ifPKiS9_S9_iPKfiiiPfSC_PS2_PT2_iSB_SB_,@function
_Z39paged_attention_ll4mi_QKV_mfma16_kernelIDF16_DF16_LN4vllm18Fp8KVCacheDataTypeE0EhLi16ELi64ELi256ELb1ELi13EEvPKT_PKT0_S7_ifPKiS9_S9_iPKfiiiPfSC_PS2_PT2_iSB_SB_: ; @_Z39paged_attention_ll4mi_QKV_mfma16_kernelIDF16_DF16_LN4vllm18Fp8KVCacheDataTypeE0EhLi16ELi64ELi256ELb1ELi13EEvPKT_PKT0_S7_ifPKiS9_S9_iPKfiiiPfSC_PS2_PT2_iSB_SB_
; %bb.0:
	s_load_dwordx2 s[8:9], s[0:1], 0x30
	s_mov_b32 s28, s3
	s_mov_b64 s[6:7], 0
	s_waitcnt lgkmcnt(0)
	s_cmp_lg_u64 s[8:9], 0
	s_cselect_b64 s[10:11], -1, 0
	s_and_b64 vcc, exec, s[10:11]
	s_cbranch_vccz .LBB12_7
; %bb.1:
	s_add_i32 s12, s2, 1
	s_mov_b32 s13, 0
	s_lshl_b64 s[14:15], s[12:13], 2
	s_add_u32 s14, s8, s14
	s_mov_b32 s3, s13
	s_addc_u32 s15, s9, s15
	s_lshl_b64 s[12:13], s[2:3], 2
	s_add_u32 s12, s8, s12
	s_addc_u32 s13, s9, s13
	s_load_dword s5, s[14:15], 0x0
	s_load_dword s16, s[12:13], 0x0
	s_waitcnt lgkmcnt(0)
	s_sub_i32 s5, s5, s16
	s_cmp_eq_u32 s5, 1
	s_cselect_b64 s[12:13], -1, 0
	s_andn2_b64 vcc, exec, s[6:7]
	s_cbranch_vccnz .LBB12_3
.LBB12_2:
	s_mov_b32 s3, 0
	s_mov_b64 s[12:13], -1
.LBB12_3:
	s_andn2_b64 vcc, exec, s[12:13]
	s_cbranch_vccnz .LBB12_20
; %bb.4:
	s_load_dwordx2 s[6:7], s[0:1], 0x28
	s_lshl_b64 s[12:13], s[2:3], 2
	s_waitcnt lgkmcnt(0)
	s_add_u32 s6, s6, s12
	s_addc_u32 s7, s7, s13
	s_load_dword s29, s[6:7], 0x0
	s_lshl_b32 s16, s28, 8
	s_waitcnt lgkmcnt(0)
	s_cmp_ge_i32 s16, s29
	s_cbranch_scc1 .LBB12_20
; %bb.5:
	s_load_dwordx2 s[6:7], s[0:1], 0x20
	s_load_dword s5, s[0:1], 0x38
	s_add_i32 s14, s29, 15
	s_ashr_i32 s15, s14, 31
	v_and_b32_e32 v1, 0xcf, v0
	s_lshr_b32 s15, s15, 28
	v_add_u32_e32 v1, s16, v1
	s_add_i32 s14, s14, s15
	v_ashrrev_i32_e32 v2, 31, v1
	s_ashr_i32 s17, s14, 4
	v_lshrrev_b32_e32 v6, 28, v2
	s_add_i32 s17, s17, -1
	s_waitcnt lgkmcnt(0)
	s_mul_i32 s14, s2, s5
	s_mov_b32 s15, 0
	v_add_u32_e32 v2, v1, v6
	s_lshl_b64 s[14:15], s[14:15], 2
	v_ashrrev_i32_e32 v2, 4, v2
	v_mov_b32_e32 v7, s17
	v_cmp_gt_i32_e32 vcc, s29, v1
	s_add_u32 s6, s6, s14
	s_addc_u32 s7, s7, s15
	v_cndmask_b32_e32 v2, v7, v2, vcc
	v_ashrrev_i32_e32 v3, 31, v2
	v_lshl_add_u64 v[4:5], v[2:3], 2, s[6:7]
	v_or_b32_e32 v2, 16, v1
	v_add_u32_e32 v3, v2, v6
	v_ashrrev_i32_e32 v3, 4, v3
	v_cmp_gt_i32_e32 vcc, s29, v2
	s_load_dwordx2 s[14:15], s[0:1], 0x8
	s_nop 0
	v_cndmask_b32_e32 v2, v7, v3, vcc
	v_ashrrev_i32_e32 v3, 31, v2
	v_lshl_add_u64 v[8:9], v[2:3], 2, s[6:7]
	v_or_b32_e32 v2, 32, v1
	v_add_u32_e32 v3, v2, v6
	v_ashrrev_i32_e32 v3, 4, v3
	v_cmp_gt_i32_e32 vcc, s29, v2
	v_or_b32_e32 v1, 48, v1
	s_nop 0
	v_cndmask_b32_e32 v2, v7, v3, vcc
	v_ashrrev_i32_e32 v3, 31, v2
	v_lshl_add_u64 v[10:11], v[2:3], 2, s[6:7]
	v_add_u32_e32 v2, v1, v6
	v_ashrrev_i32_e32 v2, 4, v2
	v_cmp_gt_i32_e32 vcc, s29, v1
	s_nop 1
	v_cndmask_b32_e32 v2, v7, v2, vcc
	v_ashrrev_i32_e32 v3, 31, v2
	v_lshl_add_u64 v[12:13], v[2:3], 2, s[6:7]
	global_load_dword v3, v[4:5], off
	global_load_dword v2, v[8:9], off
	;; [unrolled: 1-line block ×4, first 2 shown]
	s_andn2_b64 vcc, exec, s[10:11]
	s_cbranch_vccnz .LBB12_8
; %bb.6:
	s_add_u32 s8, s8, s12
	s_addc_u32 s9, s9, s13
	s_load_dword s5, s[8:9], 0x0
	s_branch .LBB12_9
.LBB12_7:
	s_mov_b64 s[12:13], 0
	s_branch .LBB12_2
.LBB12_8:
	s_mov_b32 s5, s2
.LBB12_9:
	s_load_dwordx2 s[8:9], s[0:1], 0x10
	s_load_dwordx4 s[44:47], s[0:1], 0x48
	v_lshrrev_b32_e32 v45, 6, v0
	v_bfe_u32 v54, v0, 4, 2
	v_lshl_or_b32 v1, v45, 2, v54
	v_and_b32_e32 v44, 15, v0
	v_lshlrev_b32_e32 v4, 3, v44
	v_cmp_gt_u32_e32 vcc, 13, v1
	v_cmp_gt_u32_e64 s[30:31], 8, v44
	s_mul_i32 s42, s4, 13
	s_and_b64 s[12:13], s[30:31], vcc
	v_lshlrev_b32_e32 v42, 1, v4
	s_and_saveexec_b64 s[10:11], s[12:13]
	s_cbranch_execz .LBB12_11
; %bb.10:
	s_load_dwordx2 s[12:13], s[0:1], 0x0
	s_waitcnt lgkmcnt(0)
	s_ashr_i32 s18, s44, 31
	s_mul_hi_u32 s19, s5, s44
	s_mul_i32 s18, s5, s18
	s_add_i32 s19, s19, s18
	s_mul_i32 s18, s5, s44
	s_lshl_b64 s[18:19], s[18:19], 1
	s_add_u32 s12, s12, s18
	v_add_lshl_u32 v4, v1, s42, 6
	s_addc_u32 s13, s13, s19
	v_ashrrev_i32_e32 v5, 31, v4
	v_lshl_add_u64 v[4:5], v[4:5], 1, s[12:13]
	v_mov_b32_e32 v43, 0
	v_lshl_add_u64 v[4:5], v[4:5], 0, v[42:43]
	global_load_dwordx4 v[8:11], v[4:5], off
	v_and_b32_e32 v4, 3, v0
	v_lshlrev_b32_e32 v5, 9, v44
	v_lshlrev_b32_e32 v1, 5, v1
	;; [unrolled: 1-line block ×3, first 2 shown]
	v_and_b32_e32 v5, 0x1800, v5
	v_or3_b32 v1, v5, v4, v1
	s_waitcnt vmcnt(0)
	ds_write_b128 v1, v[8:11]
.LBB12_11:
	s_or_b64 exec, exec, s[10:11]
	s_waitcnt lgkmcnt(0)
	s_mul_i32 s4, s4, s46
	s_mov_b32 s5, 0
	s_lshl_b64 s[4:5], s[4:5], 1
	s_add_u32 s10, s14, s4
	v_lshlrev_b32_e32 v1, 4, v0
	s_addc_u32 s11, s15, s5
	v_and_b32_e32 v46, 0xf0, v1
	v_mov_b32_e32 v47, 0
	v_lshl_add_u64 v[16:17], s[10:11], 0, v[46:47]
	s_waitcnt vmcnt(3)
	v_mad_i64_i32 v[4:5], s[10:11], v3, s45, 0
	s_waitcnt vmcnt(2)
	v_mad_i64_i32 v[2:3], s[10:11], v2, s45, 0
	;; [unrolled: 2-line block ×3, first 2 shown]
	v_lshl_add_u64 v[4:5], v[4:5], 1, v[16:17]
	v_and_b32_e32 v46, 0x300, v1
	v_lshl_add_u64 v[2:3], v[2:3], 1, v[16:17]
	v_lshl_add_u64 v[6:7], v[6:7], 1, v[16:17]
	s_waitcnt vmcnt(0)
	v_mad_i64_i32 v[14:15], s[10:11], v14, s45, 0
	v_lshl_add_u64 v[4:5], v[4:5], 0, v[46:47]
	v_lshl_add_u64 v[8:9], v[2:3], 0, v[46:47]
	;; [unrolled: 1-line block ×4, first 2 shown]
	s_barrier
	global_load_dwordx4 v[30:33], v[4:5], off
	global_load_dwordx4 v[10:13], v[4:5], off offset:1024
	global_load_dwordx4 v[22:25], v[8:9], off
	s_nop 0
	global_load_dwordx4 v[2:5], v[8:9], off offset:1024
	global_load_dwordx4 v[26:29], v[18:19], off
	s_nop 0
	global_load_dwordx4 v[6:9], v[18:19], off offset:1024
	v_lshl_add_u64 v[18:19], v[14:15], 0, v[46:47]
	global_load_dwordx4 v[34:37], v[18:19], off
	global_load_dwordx4 v[14:17], v[18:19], off offset:1024
	v_add_u32_e32 v18, -13, v44
	v_cmp_gt_u32_e32 vcc, 13, v44
	v_and_b32_e32 v55, 63, v0
	v_mov_b32_e32 v56, 0
	v_cndmask_b32_e32 v18, v18, v44, vcc
	v_lshlrev_b32_e32 v18, 5, v18
	v_lshl_add_u32 v18, v54, 9, v18
	ds_read_b128 v[38:41], v18
	ds_read_b128 v[18:21], v18 offset:2048
	s_and_saveexec_b64 s[10:11], vcc
	s_cbranch_execz .LBB12_13
; %bb.12:
	s_load_dwordx2 s[12:13], s[0:1], 0x40
	v_add_u32_e32 v48, s42, v44
	v_ashrrev_i32_e32 v49, 31, v48
	s_waitcnt lgkmcnt(0)
	v_lshl_add_u64 v[48:49], v[48:49], 2, s[12:13]
	global_load_dword v56, v[48:49], off
.LBB12_13:
	s_or_b64 exec, exec, s[10:11]
	v_and_or_b32 v46, v0, 48, s16
	v_ashrrev_i32_e32 v43, 4, v46
	v_mov_b32_e32 v57, s17
	v_cmp_gt_i32_e32 vcc, s29, v46
	s_waitcnt vmcnt(5) lgkmcnt(1)
	v_mfma_f32_16x16x16_f16 v[58:61], v[22:23], v[38:39], 0
	s_load_dword s10, s[0:1], 0x1c
	v_cndmask_b32_e32 v48, v57, v43, vcc
	v_ashrrev_i32_e32 v49, 31, v48
	v_or_b32_e32 v43, 64, v46
	v_lshl_add_u64 v[52:53], v[48:49], 2, s[6:7]
	v_mfma_f32_16x16x16_f16 v[48:51], v[30:31], v[38:39], 0
	v_ashrrev_i32_e32 v30, 4, v43
	v_cmp_gt_i32_e32 vcc, s29, v43
	global_load_dword v70, v[52:53], off
	s_waitcnt vmcnt(4)
	v_mfma_f32_16x16x16_f16 v[62:65], v[26:27], v[38:39], 0
	v_cndmask_b32_e32 v30, v57, v30, vcc
	v_ashrrev_i32_e32 v31, 31, v30
	v_lshl_add_u64 v[22:23], v[30:31], 2, s[6:7]
	global_load_dword v71, v[22:23], off
	v_mfma_f32_16x16x16_f16 v[22:25], v[24:25], v[40:41], v[58:61]
	v_and_b32_e32 v26, 0xc0, v0
	s_add_u32 s4, s8, s4
	v_lshlrev_b32_e32 v43, 5, v44
	v_mfma_f32_16x16x16_f16 v[30:33], v[32:33], v[40:41], v[48:51]
	s_addc_u32 s5, s9, s5
	s_mov_b32 s33, 0xff7fffff
	s_waitcnt vmcnt(3)
	v_mfma_f32_16x16x16_f16 v[66:69], v[34:35], v[38:39], 0
	v_or_b32_e32 v38, 0x80, v46
	v_add_u32_e32 v48, s16, v26
	v_or_b32_e32 v39, 0xc0, v46
	v_mfma_f32_16x16x16_f16 v[26:29], v[28:29], v[40:41], v[62:65]
	v_ashrrev_i32_e32 v49, 4, v38
	v_cmp_gt_i32_e32 vcc, s29, v38
	v_ashrrev_i32_e32 v50, 4, v39
	s_waitcnt lgkmcnt(0)
	v_mfma_f32_16x16x16_f16 v[22:25], v[2:3], v[18:19], v[22:25]
	v_cndmask_b32_e32 v38, v57, v49, vcc
	v_cmp_gt_i32_e32 vcc, s29, v39
	v_ashrrev_i32_e32 v39, 31, v38
	v_mfma_f32_16x16x16_f16 v[30:33], v[10:11], v[18:19], v[30:33]
	v_cndmask_b32_e32 v10, v57, v50, vcc
	v_ashrrev_i32_e32 v11, 31, v10
	v_lshl_or_b32 v58, v54, 2, v48
	v_mfma_f32_16x16x16_f16 v[26:29], v[6:7], v[18:19], v[26:29]
	v_lshl_add_u64 v[6:7], v[38:39], 2, s[6:7]
	v_lshl_add_u64 v[38:39], v[10:11], 2, s[6:7]
	v_or_b32_e32 v57, 1, v58
	v_mfma_f32_16x16x16_f16 v[2:5], v[4:5], v[20:21], v[22:25]
	s_nop 2
	global_load_dword v22, v[6:7], off
	global_load_dword v61, v[38:39], off
	v_subrev_u32_e32 v59, s29, v57
	v_cvt_f32_i32_e32 v60, v59
	v_mfma_f32_16x16x16_f16 v[34:37], v[36:37], v[40:41], v[66:69]
	v_pk_mul_f32 v[48:49], s[10:11], v[4:5] op_sel_hi:[0,1]
	v_lshl_or_b32 v46, v45, 9, v43
	v_lshl_add_u64 v[46:47], s[4:5], 0, v[46:47]
	s_waitcnt vmcnt(4)
	v_mfma_f32_16x16x16_f16 v[34:37], v[14:15], v[18:19], v[34:37]
	v_add_u32_e32 v14, 1, v59
	v_add_u32_e32 v15, 2, v59
	v_cvt_f32_i32_e32 v23, v14
	v_cvt_f32_i32_e32 v24, v15
	v_mfma_f32_16x16x16_f16 v[14:17], v[16:17], v[20:21], v[34:37]
	v_add_u32_e32 v18, 3, v59
	v_cvt_f32_i32_e32 v18, v18
	v_pk_mul_f32 v[50:51], s[10:11], v[2:3] op_sel_hi:[0,1]
	v_mfma_f32_16x16x16_f16 v[10:13], v[12:13], v[20:21], v[30:33]
	v_cmp_gt_i32_e64 s[34:35], s29, v57
	s_nop 1
	v_pk_mul_f32 v[36:37], s[10:11], v[14:15] op_sel_hi:[0,1]
	v_add_u32_e32 v15, 19, v59
	v_add_u32_e32 v31, 18, v59
	v_cvt_f32_i32_e32 v14, v31
	v_cvt_f32_i32_e32 v15, v15
	v_mfma_f32_16x16x16_f16 v[6:9], v[8:9], v[20:21], v[26:29]
	v_pk_mul_f32 v[34:35], s[10:11], v[16:17] op_sel_hi:[0,1]
	v_fma_f32 v48, v56, v14, v48
	v_add_u32_e32 v14, 32, v59
	v_fmac_f32_e32 v49, v56, v15
	v_cvt_f32_i32_e32 v14, v14
	v_add_u32_e32 v15, 33, v59
	v_add_u32_e32 v16, 34, v59
	v_cvt_f32_i32_e32 v15, v15
	v_cvt_f32_i32_e32 v16, v16
	v_add_u32_e32 v17, 35, v59
	v_cvt_f32_i32_e32 v17, v17
	v_pk_mul_f32 v[40:41], s[10:11], v[6:7] op_sel_hi:[0,1]
	v_pk_mul_f32 v[38:39], s[10:11], v[8:9] op_sel_hi:[0,1]
	v_fma_f32 v40, v56, v14, v40
	v_add_u32_e32 v14, 48, v59
	v_fmac_f32_e32 v41, v56, v15
	v_fma_f32 v38, v56, v16, v38
	v_cvt_f32_i32_e32 v14, v14
	v_add_u32_e32 v15, 49, v59
	v_add_u32_e32 v16, 50, v59
	v_fmac_f32_e32 v39, v56, v17
	v_cvt_f32_i32_e32 v15, v15
	v_cvt_f32_i32_e32 v16, v16
	v_add_u32_e32 v17, 51, v59
	v_cvt_f32_i32_e32 v17, v17
	v_pk_mul_f32 v[52:53], s[10:11], v[12:13] op_sel_hi:[0,1]
	v_pk_mul_f32 v[10:11], s[10:11], v[10:11] op_sel_hi:[0,1]
	s_waitcnt vmcnt(3)
	v_mad_i64_i32 v[2:3], s[4:5], v70, s45, 0
	s_waitcnt vmcnt(2)
	v_mad_i64_i32 v[12:13], s[4:5], v71, s45, 0
	v_fma_f32 v10, v56, v60, v10
	v_fmac_f32_e32 v11, v56, v23
	v_fma_f32 v36, v56, v14, v36
	v_mov_b32_e32 v14, 0xff7fffff
	v_cmp_gt_i32_e64 s[4:5], s29, v58
	v_add_u32_e32 v19, 16, v59
	v_add_u32_e32 v30, 17, v59
	v_fmac_f32_e32 v37, v56, v15
	v_fma_f32 v34, v56, v16, v34
	v_cndmask_b32_e64 v15, v14, v10, s[4:5]
	v_cndmask_b32_e64 v16, v14, v11, s[34:35]
	v_cvt_f32_i32_e32 v19, v19
	v_cvt_f32_i32_e32 v25, v30
	v_fmac_f32_e32 v35, v56, v17
	v_max3_f32 v15, v15, s33, v16
	v_or_b32_e32 v16, 2, v58
	v_or_b32_e32 v17, 3, v58
	v_fma_f32 v52, v56, v24, v52
	v_fmac_f32_e32 v53, v56, v18
	v_cmp_gt_i32_e64 s[36:37], s29, v16
	v_cmp_gt_i32_e64 s[38:39], s29, v17
	v_fma_f32 v50, v56, v19, v50
	v_cndmask_b32_e64 v16, v14, v52, s[36:37]
	v_cndmask_b32_e64 v17, v14, v53, s[38:39]
	v_max3_f32 v15, v15, v16, v17
	v_or_b32_e32 v16, 16, v58
	v_or_b32_e32 v17, 17, v58
	v_fmac_f32_e32 v51, v56, v25
	v_cmp_gt_i32_e64 s[24:25], s29, v16
	v_cmp_gt_i32_e64 s[26:27], s29, v17
	v_lshl_add_u64 v[2:3], v[2:3], 1, v[46:47]
	v_cndmask_b32_e64 v16, v14, v50, s[24:25]
	v_cndmask_b32_e64 v17, v14, v51, s[26:27]
	v_max3_f32 v15, v15, v16, v17
	v_or_b32_e32 v16, 18, v58
	v_or_b32_e32 v17, 19, v58
	v_cmp_gt_i32_e64 s[20:21], s29, v16
	v_cmp_gt_i32_e64 s[22:23], s29, v17
	v_lshl_add_u64 v[12:13], v[12:13], 1, v[46:47]
	v_cndmask_b32_e64 v16, v14, v48, s[20:21]
	v_cndmask_b32_e64 v17, v14, v49, s[22:23]
	v_max3_f32 v15, v15, v16, v17
	v_or_b32_e32 v16, 32, v58
	v_or_b32_e32 v17, 33, v58
	v_cmp_gt_i32_e64 s[16:17], s29, v16
	v_cmp_gt_i32_e64 s[18:19], s29, v17
	global_load_dwordx4 v[6:9], v[2:3], off
	s_nop 0
	global_load_dwordx4 v[2:5], v[2:3], off offset:16
	v_cndmask_b32_e64 v16, v14, v40, s[16:17]
	v_cndmask_b32_e64 v17, v14, v41, s[18:19]
	v_max3_f32 v15, v15, v16, v17
	v_or_b32_e32 v16, 34, v58
	v_or_b32_e32 v17, 35, v58
	v_cmp_gt_i32_e64 s[12:13], s29, v16
	v_cmp_gt_i32_e64 s[14:15], s29, v17
	global_load_dwordx4 v[30:33], v[12:13], off
	global_load_dwordx4 v[26:29], v[12:13], off offset:16
	v_cndmask_b32_e64 v16, v14, v38, s[12:13]
	v_cndmask_b32_e64 v17, v14, v39, s[14:15]
	v_max3_f32 v15, v15, v16, v17
	v_or_b32_e32 v16, 48, v58
	v_or_b32_e32 v17, 49, v58
	v_cmp_gt_i32_e64 s[8:9], s29, v16
	v_cmp_gt_i32_e64 s[10:11], s29, v17
	s_nop 0
	v_cndmask_b32_e64 v16, v14, v36, s[8:9]
	v_cndmask_b32_e64 v17, v14, v37, s[10:11]
	v_max3_f32 v15, v15, v16, v17
	v_or_b32_e32 v16, 50, v58
	v_or_b32_e32 v17, 51, v58
	v_cmp_gt_i32_e32 vcc, s29, v16
	v_cmp_gt_i32_e64 s[6:7], s29, v17
	s_nop 0
	v_cndmask_b32_e32 v16, v14, v34, vcc
	v_cndmask_b32_e64 v14, v14, v35, s[6:7]
	v_max3_f32 v14, v15, v16, v14
	v_mbcnt_lo_u32_b32 v15, -1, 0
	v_mbcnt_hi_u32_b32 v15, -1, v15
	v_and_b32_e32 v16, 64, v15
	v_add_u32_e32 v16, 64, v16
	v_xor_b32_e32 v17, 32, v15
	v_cmp_lt_i32_e64 s[40:41], v17, v16
	s_nop 1
	v_cndmask_b32_e64 v17, v15, v17, s[40:41]
	v_lshlrev_b32_e32 v57, 2, v17
	ds_bpermute_b32 v17, v57, v14
	s_waitcnt vmcnt(5)
	v_mad_i64_i32 v[12:13], s[40:41], v22, s45, 0
	v_lshl_add_u64 v[12:13], v[12:13], 1, v[46:47]
	global_load_dwordx4 v[22:25], v[12:13], off
	global_load_dwordx4 v[18:21], v[12:13], off offset:16
	s_waitcnt lgkmcnt(0)
	v_max_f32_e32 v17, v17, v17
	v_max_f32_e32 v14, v14, v17
	v_xor_b32_e32 v17, 16, v15
	v_cmp_lt_i32_e64 s[40:41], v17, v16
	s_nop 1
	v_cndmask_b32_e64 v15, v15, v17, s[40:41]
	v_lshlrev_b32_e32 v59, 2, v15
	ds_bpermute_b32 v15, v59, v14
	s_waitcnt vmcnt(6)
	v_mad_i64_i32 v[12:13], s[40:41], v61, s45, 0
	v_lshl_add_u64 v[12:13], v[12:13], 1, v[46:47]
	s_waitcnt lgkmcnt(0)
	v_max_f32_e32 v15, v15, v15
	v_max_f32_e32 v56, v14, v15
	v_sub_f32_e32 v10, v10, v56
	v_mul_f32_e32 v10, 0x3fb8aa3b, v10
	v_exp_f32_e32 v46, v10
	v_sub_f32_e32 v10, v11, v56
	v_mul_f32_e32 v10, 0x3fb8aa3b, v10
	v_exp_f32_e32 v47, v10
	global_load_dwordx4 v[14:17], v[12:13], off
	s_nop 0
	global_load_dwordx4 v[10:13], v[12:13], off offset:16
	v_sub_f32_e32 v52, v52, v56
	v_mul_f32_e32 v52, 0x3fb8aa3b, v52
	v_sub_f32_e32 v53, v53, v56
	v_exp_f32_e32 v52, v52
	v_mul_f32_e32 v53, 0x3fb8aa3b, v53
	v_sub_f32_e32 v50, v50, v56
	v_exp_f32_e32 v53, v53
	v_mul_f32_e32 v50, 0x3fb8aa3b, v50
	v_sub_f32_e32 v51, v51, v56
	v_cndmask_b32_e64 v46, 0, v46, s[4:5]
	v_exp_f32_e32 v50, v50
	v_mul_f32_e32 v51, 0x3fb8aa3b, v51
	v_sub_f32_e32 v48, v48, v56
	v_add_f32_e32 v58, 0, v46
	v_cndmask_b32_e64 v47, 0, v47, s[34:35]
	v_exp_f32_e32 v51, v51
	v_mul_f32_e32 v48, 0x3fb8aa3b, v48
	v_sub_f32_e32 v49, v49, v56
	v_add_f32_e32 v58, v58, v47
	;; [unrolled: 5-line block ×10, first 2 shown]
	v_cndmask_b32_e64 v38, 0, v38, s[12:13]
	v_exp_f32_e32 v34, v34
	v_mul_f32_e32 v35, 0x3fb8aa3b, v35
	v_add_f32_e32 v58, v58, v38
	v_cndmask_b32_e64 v39, 0, v39, s[14:15]
	v_exp_f32_e32 v35, v35
	v_add_f32_e32 v58, v58, v39
	v_cndmask_b32_e64 v36, 0, v36, s[8:9]
	v_add_f32_e32 v58, v58, v36
	v_cndmask_b32_e64 v37, 0, v37, s[10:11]
	v_add_f32_e32 v58, v58, v37
	v_cndmask_b32_e32 v34, 0, v34, vcc
	v_add_f32_e32 v58, v58, v34
	v_cndmask_b32_e64 v35, 0, v35, s[6:7]
	v_add_f32_e32 v58, v58, v35
	ds_bpermute_b32 v57, v57, v58
	s_load_dword s9, s[0:1], 0x98
	v_cmp_gt_u32_e64 s[6:7], 16, v55
	s_waitcnt lgkmcnt(0)
	s_barrier
	v_add_f32_e32 v58, v58, v57
	ds_bpermute_b32 v59, v59, v58
	v_lshlrev_b32_e32 v57, 2, v44
	s_waitcnt lgkmcnt(0)
	s_and_saveexec_b64 s[4:5], s[6:7]
	s_cbranch_execz .LBB12_15
; %bb.14:
	v_add_f32_e32 v55, v58, v59
	v_lshl_or_b32 v58, v45, 6, v57
	ds_write2st64_b32 v58, v56, v55 offset1:1
.LBB12_15:
	s_or_b64 exec, exec, s[4:5]
	s_load_dword s8, s[0:1], 0x94
	s_waitcnt lgkmcnt(0)
	s_barrier
	ds_read2_b32 v[58:59], v57 offset1:16
	ds_read2_b32 v[60:61], v57 offset0:32 offset1:48
	ds_read2_b32 v[62:63], v57 offset0:64 offset1:80
	s_mul_i32 s9, s9, 13
	s_waitcnt lgkmcnt(2)
	v_max3_f32 v55, v58, s33, v59
	s_waitcnt lgkmcnt(1)
	v_max3_f32 v55, v55, v60, v61
	v_sub_f32_e32 v56, v58, v55
	v_mul_f32_e32 v56, 0x3fb8aa3b, v56
	v_exp_f32_e32 v64, v56
	v_sub_f32_e32 v56, v59, v55
	v_mul_f32_e32 v56, 0x3fb8aa3b, v56
	v_exp_f32_e32 v65, v56
	;; [unrolled: 3-line block ×3, first 2 shown]
	ds_read2_b32 v[58:59], v57 offset0:96 offset1:112
	v_sub_f32_e32 v56, v61, v55
	v_mul_f32_e32 v56, 0x3fb8aa3b, v56
	v_exp_f32_e32 v57, v56
	s_waitcnt lgkmcnt(1)
	v_fma_f32 v56, v64, v62, 0
	v_fmac_f32_e32 v56, v65, v63
	s_waitcnt lgkmcnt(0)
	v_fmac_f32_e32 v56, v60, v58
	v_fmac_f32_e32 v56, v57, v59
	v_add_f32_e32 v58, 0x358637bd, v56
	v_div_scale_f32 v59, s[4:5], v58, v58, 1.0
	v_rcp_f32_e32 v61, v59
	s_barrier
	v_fma_f32 v62, -v59, v61, 1.0
	v_fmac_f32_e32 v61, v62, v61
	v_div_scale_f32 v62, vcc, 1.0, v58, 1.0
	v_mul_f32_e32 v63, v62, v61
	v_fma_f32 v66, -v59, v63, v62
	v_fmac_f32_e32 v63, v66, v61
	v_fma_f32 v59, -v59, v63, v62
	v_div_fmas_f32 v59, v59, v61, v63
	v_cmp_eq_u32_e32 vcc, 1, v45
	v_div_fixup_f32 v58, v59, v58, 1.0
	s_nop 0
	v_cndmask_b32_e32 v59, v64, v65, vcc
	v_cmp_eq_u32_e32 vcc, 2, v45
	s_nop 1
	v_cndmask_b32_e32 v59, v59, v60, vcc
	v_cmp_eq_u32_e32 vcc, 3, v45
	v_lshlrev_b32_e32 v45, 11, v45
	s_nop 0
	v_cndmask_b32_e32 v57, v59, v57, vcc
	v_mul_f32_e32 v58, v57, v58
	v_pk_mul_f32 v[46:47], v[58:59], v[46:47] op_sel_hi:[0,1]
	v_cvt_f16_f32_e32 v46, v46
	v_cvt_f16_f32_e32 v47, v47
	v_pk_mul_f32 v[52:53], v[58:59], v[52:53] op_sel_hi:[0,1]
	v_cvt_f16_f32_e32 v57, v52
	v_cvt_f16_f32_e32 v53, v53
	v_pack_b32_f16 v52, v46, v47
	v_pk_mul_f32 v[46:47], v[58:59], v[48:49] op_sel_hi:[0,1]
	v_pk_mul_f32 v[48:49], v[58:59], v[50:51] op_sel_hi:[0,1]
	v_cvt_f16_f32_e32 v48, v48
	v_cvt_f16_f32_e32 v49, v49
	;; [unrolled: 1-line block ×4, first 2 shown]
	v_pack_b32_f16 v53, v57, v53
	v_lshlrev_b32_e32 v57, 3, v54
	v_pk_mul_f32 v[38:39], v[58:59], v[38:39] op_sel_hi:[0,1]
	v_pk_mul_f32 v[40:41], v[58:59], v[40:41] op_sel_hi:[0,1]
	;; [unrolled: 1-line block ×4, first 2 shown]
	v_or3_b32 v46, v45, v43, v57
	v_pack_b32_f16 v48, v48, v49
	v_pack_b32_f16 v49, v50, v47
	v_cvt_f16_f32_e32 v40, v40
	v_cvt_f16_f32_e32 v41, v41
	;; [unrolled: 1-line block ×8, first 2 shown]
	v_pack_b32_f16 v34, v40, v41
	v_pack_b32_f16 v35, v38, v39
	;; [unrolled: 1-line block ×4, first 2 shown]
	v_cmp_gt_u32_e32 vcc, 13, v0
	ds_write2st64_b64 v46, v[52:53], v[48:49] offset1:1
	ds_write2st64_b64 v46, v[34:35], v[36:37] offset0:2 offset1:3
	s_and_saveexec_b64 s[4:5], vcc
	s_cbranch_execz .LBB12_17
; %bb.16:
	s_mov_b32 s43, 0
	v_mov_b32_e32 v45, 0
	v_lshl_add_u64 v[34:35], s[42:43], 0, v[44:45]
	v_mov_b32_e32 v36, s9
	v_mad_u64_u32 v[34:35], s[10:11], s2, v36, v[34:35]
	s_mul_i32 s3, s3, s9
	v_mov_b32_e32 v44, s28
	s_load_dwordx4 s[12:15], s[0:1], 0x58
	v_add_u32_e32 v37, s3, v35
	v_mad_u64_u32 v[34:35], s[10:11], v34, s8, v[44:45]
	v_mov_b32_e32 v36, v35
	v_mad_u64_u32 v[36:37], s[10:11], v37, s8, v[36:37]
	v_mov_b32_e32 v35, v36
	v_lshlrev_b64 v[34:35], 2, v[34:35]
	s_waitcnt lgkmcnt(0)
	v_lshl_add_u64 v[36:37], s[14:15], 0, v[34:35]
	v_lshl_add_u64 v[34:35], s[12:13], 0, v[34:35]
	global_store_dword v[36:37], v55, off
	global_store_dword v[34:35], v56, off
.LBB12_17:
	s_or_b64 exec, exec, s[4:5]
	v_lshl_or_b32 v43, v54, 9, v43
	s_waitcnt lgkmcnt(0)
	s_barrier
	ds_read_b128 v[34:37], v43
	ds_read_b128 v[38:41], v43 offset:16
	s_waitcnt vmcnt(7) lgkmcnt(1)
	v_mfma_f32_16x16x16_f16 v[48:51], v[6:7], v[34:35], 0
	v_cmp_gt_u32_e32 vcc, 64, v0
	s_mov_b32 s3, 0
	s_and_b64 s[4:5], vcc, s[30:31]
	v_mfma_f32_16x16x16_f16 v[6:9], v[8:9], v[36:37], v[48:51]
	s_waitcnt vmcnt(6) lgkmcnt(0)
	v_mfma_f32_16x16x16_f16 v[6:9], v[2:3], v[38:39], v[6:9]
	v_mfma_f32_16x16x16_f16 v[2:5], v[4:5], v[40:41], v[6:9]
	s_nop 5
	ds_read_b128 v[6:9], v43 offset:2048
	ds_read_b128 v[34:37], v43 offset:2064
	s_waitcnt vmcnt(5) lgkmcnt(1)
	v_mfma_f32_16x16x16_f16 v[2:5], v[30:31], v[6:7], v[2:5]
	v_mfma_f32_16x16x16_f16 v[2:5], v[32:33], v[8:9], v[2:5]
	s_waitcnt vmcnt(4) lgkmcnt(0)
	v_mfma_f32_16x16x16_f16 v[2:5], v[26:27], v[34:35], v[2:5]
	v_mfma_f32_16x16x16_f16 v[2:5], v[28:29], v[36:37], v[2:5]
	ds_read_b128 v[6:9], v43 offset:4096
	ds_read_b128 v[26:29], v43 offset:4112
	s_waitcnt vmcnt(3) lgkmcnt(1)
	v_mfma_f32_16x16x16_f16 v[2:5], v[22:23], v[6:7], v[2:5]
	v_mfma_f32_16x16x16_f16 v[2:5], v[24:25], v[8:9], v[2:5]
	s_waitcnt vmcnt(2) lgkmcnt(0)
	v_mfma_f32_16x16x16_f16 v[2:5], v[18:19], v[26:27], v[2:5]
	v_mfma_f32_16x16x16_f16 v[2:5], v[20:21], v[28:29], v[2:5]
	ds_read_b128 v[6:9], v43 offset:6144
	ds_read_b128 v[18:21], v43 offset:6160
	v_mov_b32_e32 v43, 0
	s_waitcnt vmcnt(1) lgkmcnt(0)
	v_mfma_f32_16x16x16_f16 v[2:5], v[14:15], v[6:7], v[2:5]
	s_barrier
	v_mfma_f32_16x16x16_f16 v[2:5], v[16:17], v[8:9], v[2:5]
	s_waitcnt vmcnt(0)
	v_mfma_f32_16x16x16_f16 v[2:5], v[10:11], v[18:19], v[2:5]
	v_mfma_f32_16x16x16_f16 v[2:5], v[12:13], v[20:21], v[2:5]
	s_nop 6
	v_cvt_f16_f32_e32 v2, v2
	v_cvt_f16_f32_e32 v3, v3
	;; [unrolled: 1-line block ×4, first 2 shown]
	v_pack_b32_f16 v2, v2, v3
	v_pack_b32_f16 v3, v4, v5
	ds_write_b64 v46, v[2:3]
	s_waitcnt lgkmcnt(0)
	s_barrier
	s_and_saveexec_b64 s[10:11], s[4:5]
	s_cbranch_execz .LBB12_20
; %bb.18:
	s_load_dwordx2 s[4:5], s[0:1], 0x68
	s_lshl_b32 s0, s8, 6
	s_mul_i32 s1, s9, s2
	s_mul_hi_u32 s9, s1, s0
	s_mul_i32 s8, s1, s0
	v_lshlrev_b32_e32 v0, 10, v0
	s_lshl_b64 s[8:9], s[8:9], 1
	v_and_b32_e32 v0, 0x1800, v0
	v_lshlrev_b32_e32 v2, 5, v54
	v_and_b32_e32 v1, 16, v1
	s_waitcnt lgkmcnt(0)
	s_add_u32 s1, s4, s8
	v_or3_b32 v2, v0, v2, v1
	s_addc_u32 s4, s5, s9
	s_lshl_b32 s2, s28, 6
	ds_read_b128 v[4:7], v2 offset:256
	s_lshl_b64 s[2:3], s[2:3], 1
	ds_read_b128 v[8:11], v2 offset:128
	ds_read_b128 v[12:15], v2
	s_add_u32 s2, s1, s2
	s_addc_u32 s3, s4, s3
	v_add_u32_e32 v3, s42, v54
	v_lshl_add_u64 v[0:1], s[2:3], 0, v[42:43]
	v_mad_u64_u32 v[16:17], s[2:3], v3, s0, 0
	v_lshl_add_u64 v[16:17], v[16:17], 1, v[0:1]
	s_waitcnt lgkmcnt(0)
	global_store_dwordx4 v[16:17], v[12:15], off
	s_nop 1
	v_add_u32_e32 v12, 4, v3
	v_mad_u64_u32 v[12:13], s[2:3], v12, s0, 0
	v_lshl_add_u64 v[12:13], v[12:13], 1, v[0:1]
	v_add_u32_e32 v3, 8, v3
	global_store_dwordx4 v[12:13], v[8:11], off
	s_nop 1
	v_mad_u64_u32 v[8:9], s[2:3], v3, s0, 0
	v_lshl_add_u64 v[8:9], v[8:9], 1, v[0:1]
	global_store_dwordx4 v[8:9], v[4:7], off
	s_and_b64 exec, exec, s[6:7]
	s_cbranch_execz .LBB12_20
; %bb.19:
	ds_read_b128 v[2:5], v2 offset:384
	v_add3_u32 v6, s42, v54, 12
	v_mad_u64_u32 v[6:7], s[0:1], v6, s0, 0
	v_lshl_add_u64 v[0:1], v[6:7], 1, v[0:1]
	s_waitcnt lgkmcnt(0)
	global_store_dwordx4 v[0:1], v[2:5], off
.LBB12_20:
	s_endpgm
	.section	.rodata,"a",@progbits
	.p2align	6, 0x0
	.amdhsa_kernel _Z39paged_attention_ll4mi_QKV_mfma16_kernelIDF16_DF16_LN4vllm18Fp8KVCacheDataTypeE0EhLi16ELi64ELi256ELb1ELi13EEvPKT_PKT0_S7_ifPKiS9_S9_iPKfiiiPfSC_PS2_PT2_iSB_SB_
		.amdhsa_group_segment_fixed_size 8192
		.amdhsa_private_segment_fixed_size 0
		.amdhsa_kernarg_size 400
		.amdhsa_user_sgpr_count 2
		.amdhsa_user_sgpr_dispatch_ptr 0
		.amdhsa_user_sgpr_queue_ptr 0
		.amdhsa_user_sgpr_kernarg_segment_ptr 1
		.amdhsa_user_sgpr_dispatch_id 0
		.amdhsa_user_sgpr_kernarg_preload_length 0
		.amdhsa_user_sgpr_kernarg_preload_offset 0
		.amdhsa_user_sgpr_private_segment_size 0
		.amdhsa_uses_dynamic_stack 0
		.amdhsa_enable_private_segment 0
		.amdhsa_system_sgpr_workgroup_id_x 1
		.amdhsa_system_sgpr_workgroup_id_y 1
		.amdhsa_system_sgpr_workgroup_id_z 1
		.amdhsa_system_sgpr_workgroup_info 0
		.amdhsa_system_vgpr_workitem_id 0
		.amdhsa_next_free_vgpr 72
		.amdhsa_next_free_sgpr 48
		.amdhsa_accum_offset 72
		.amdhsa_reserve_vcc 1
		.amdhsa_float_round_mode_32 0
		.amdhsa_float_round_mode_16_64 0
		.amdhsa_float_denorm_mode_32 3
		.amdhsa_float_denorm_mode_16_64 3
		.amdhsa_dx10_clamp 1
		.amdhsa_ieee_mode 1
		.amdhsa_fp16_overflow 0
		.amdhsa_tg_split 0
		.amdhsa_exception_fp_ieee_invalid_op 0
		.amdhsa_exception_fp_denorm_src 0
		.amdhsa_exception_fp_ieee_div_zero 0
		.amdhsa_exception_fp_ieee_overflow 0
		.amdhsa_exception_fp_ieee_underflow 0
		.amdhsa_exception_fp_ieee_inexact 0
		.amdhsa_exception_int_div_zero 0
	.end_amdhsa_kernel
	.section	.text._Z39paged_attention_ll4mi_QKV_mfma16_kernelIDF16_DF16_LN4vllm18Fp8KVCacheDataTypeE0EhLi16ELi64ELi256ELb1ELi13EEvPKT_PKT0_S7_ifPKiS9_S9_iPKfiiiPfSC_PS2_PT2_iSB_SB_,"axG",@progbits,_Z39paged_attention_ll4mi_QKV_mfma16_kernelIDF16_DF16_LN4vllm18Fp8KVCacheDataTypeE0EhLi16ELi64ELi256ELb1ELi13EEvPKT_PKT0_S7_ifPKiS9_S9_iPKfiiiPfSC_PS2_PT2_iSB_SB_,comdat
.Lfunc_end12:
	.size	_Z39paged_attention_ll4mi_QKV_mfma16_kernelIDF16_DF16_LN4vllm18Fp8KVCacheDataTypeE0EhLi16ELi64ELi256ELb1ELi13EEvPKT_PKT0_S7_ifPKiS9_S9_iPKfiiiPfSC_PS2_PT2_iSB_SB_, .Lfunc_end12-_Z39paged_attention_ll4mi_QKV_mfma16_kernelIDF16_DF16_LN4vllm18Fp8KVCacheDataTypeE0EhLi16ELi64ELi256ELb1ELi13EEvPKT_PKT0_S7_ifPKiS9_S9_iPKfiiiPfSC_PS2_PT2_iSB_SB_
                                        ; -- End function
	.section	.AMDGPU.csdata,"",@progbits
; Kernel info:
; codeLenInByte = 4124
; NumSgprs: 54
; NumVgprs: 72
; NumAgprs: 0
; TotalNumVgprs: 72
; ScratchSize: 0
; MemoryBound: 0
; FloatMode: 240
; IeeeMode: 1
; LDSByteSize: 8192 bytes/workgroup (compile time only)
; SGPRBlocks: 6
; VGPRBlocks: 8
; NumSGPRsForWavesPerEU: 54
; NumVGPRsForWavesPerEU: 72
; AccumOffset: 72
; Occupancy: 7
; WaveLimiterHint : 1
; COMPUTE_PGM_RSRC2:SCRATCH_EN: 0
; COMPUTE_PGM_RSRC2:USER_SGPR: 2
; COMPUTE_PGM_RSRC2:TRAP_HANDLER: 0
; COMPUTE_PGM_RSRC2:TGID_X_EN: 1
; COMPUTE_PGM_RSRC2:TGID_Y_EN: 1
; COMPUTE_PGM_RSRC2:TGID_Z_EN: 1
; COMPUTE_PGM_RSRC2:TIDIG_COMP_CNT: 0
; COMPUTE_PGM_RSRC3_GFX90A:ACCUM_OFFSET: 17
; COMPUTE_PGM_RSRC3_GFX90A:TG_SPLIT: 0
	.section	.text._Z39paged_attention_ll4mi_QKV_mfma16_kernelIDF16_DF16_LN4vllm18Fp8KVCacheDataTypeE0EhLi16ELi64ELi256ELb1ELi14EEvPKT_PKT0_S7_ifPKiS9_S9_iPKfiiiPfSC_PS2_PT2_iSB_SB_,"axG",@progbits,_Z39paged_attention_ll4mi_QKV_mfma16_kernelIDF16_DF16_LN4vllm18Fp8KVCacheDataTypeE0EhLi16ELi64ELi256ELb1ELi14EEvPKT_PKT0_S7_ifPKiS9_S9_iPKfiiiPfSC_PS2_PT2_iSB_SB_,comdat
	.protected	_Z39paged_attention_ll4mi_QKV_mfma16_kernelIDF16_DF16_LN4vllm18Fp8KVCacheDataTypeE0EhLi16ELi64ELi256ELb1ELi14EEvPKT_PKT0_S7_ifPKiS9_S9_iPKfiiiPfSC_PS2_PT2_iSB_SB_ ; -- Begin function _Z39paged_attention_ll4mi_QKV_mfma16_kernelIDF16_DF16_LN4vllm18Fp8KVCacheDataTypeE0EhLi16ELi64ELi256ELb1ELi14EEvPKT_PKT0_S7_ifPKiS9_S9_iPKfiiiPfSC_PS2_PT2_iSB_SB_
	.globl	_Z39paged_attention_ll4mi_QKV_mfma16_kernelIDF16_DF16_LN4vllm18Fp8KVCacheDataTypeE0EhLi16ELi64ELi256ELb1ELi14EEvPKT_PKT0_S7_ifPKiS9_S9_iPKfiiiPfSC_PS2_PT2_iSB_SB_
	.p2align	8
	.type	_Z39paged_attention_ll4mi_QKV_mfma16_kernelIDF16_DF16_LN4vllm18Fp8KVCacheDataTypeE0EhLi16ELi64ELi256ELb1ELi14EEvPKT_PKT0_S7_ifPKiS9_S9_iPKfiiiPfSC_PS2_PT2_iSB_SB_,@function
_Z39paged_attention_ll4mi_QKV_mfma16_kernelIDF16_DF16_LN4vllm18Fp8KVCacheDataTypeE0EhLi16ELi64ELi256ELb1ELi14EEvPKT_PKT0_S7_ifPKiS9_S9_iPKfiiiPfSC_PS2_PT2_iSB_SB_: ; @_Z39paged_attention_ll4mi_QKV_mfma16_kernelIDF16_DF16_LN4vllm18Fp8KVCacheDataTypeE0EhLi16ELi64ELi256ELb1ELi14EEvPKT_PKT0_S7_ifPKiS9_S9_iPKfiiiPfSC_PS2_PT2_iSB_SB_
; %bb.0:
	s_load_dwordx2 s[8:9], s[0:1], 0x30
	s_mov_b32 s28, s3
	s_mov_b64 s[6:7], 0
	s_waitcnt lgkmcnt(0)
	s_cmp_lg_u64 s[8:9], 0
	s_cselect_b64 s[10:11], -1, 0
	s_and_b64 vcc, exec, s[10:11]
	s_cbranch_vccz .LBB13_7
; %bb.1:
	s_add_i32 s12, s2, 1
	s_mov_b32 s13, 0
	s_lshl_b64 s[14:15], s[12:13], 2
	s_add_u32 s14, s8, s14
	s_mov_b32 s3, s13
	s_addc_u32 s15, s9, s15
	s_lshl_b64 s[12:13], s[2:3], 2
	s_add_u32 s12, s8, s12
	s_addc_u32 s13, s9, s13
	s_load_dword s5, s[14:15], 0x0
	s_load_dword s16, s[12:13], 0x0
	s_waitcnt lgkmcnt(0)
	s_sub_i32 s5, s5, s16
	s_cmp_eq_u32 s5, 1
	s_cselect_b64 s[12:13], -1, 0
	s_andn2_b64 vcc, exec, s[6:7]
	s_cbranch_vccnz .LBB13_3
.LBB13_2:
	s_mov_b32 s3, 0
	s_mov_b64 s[12:13], -1
.LBB13_3:
	s_andn2_b64 vcc, exec, s[12:13]
	s_cbranch_vccnz .LBB13_20
; %bb.4:
	s_load_dwordx2 s[6:7], s[0:1], 0x28
	s_lshl_b64 s[12:13], s[2:3], 2
	s_waitcnt lgkmcnt(0)
	s_add_u32 s6, s6, s12
	s_addc_u32 s7, s7, s13
	s_load_dword s29, s[6:7], 0x0
	s_lshl_b32 s16, s28, 8
	s_waitcnt lgkmcnt(0)
	s_cmp_ge_i32 s16, s29
	s_cbranch_scc1 .LBB13_20
; %bb.5:
	s_load_dwordx2 s[6:7], s[0:1], 0x20
	s_load_dword s5, s[0:1], 0x38
	s_add_i32 s14, s29, 15
	s_ashr_i32 s15, s14, 31
	v_and_b32_e32 v1, 0xcf, v0
	s_lshr_b32 s15, s15, 28
	v_add_u32_e32 v1, s16, v1
	s_add_i32 s14, s14, s15
	v_ashrrev_i32_e32 v2, 31, v1
	s_ashr_i32 s17, s14, 4
	v_lshrrev_b32_e32 v6, 28, v2
	s_add_i32 s17, s17, -1
	s_waitcnt lgkmcnt(0)
	s_mul_i32 s14, s2, s5
	s_mov_b32 s15, 0
	v_add_u32_e32 v2, v1, v6
	s_lshl_b64 s[14:15], s[14:15], 2
	v_ashrrev_i32_e32 v2, 4, v2
	v_mov_b32_e32 v7, s17
	v_cmp_gt_i32_e32 vcc, s29, v1
	s_add_u32 s6, s6, s14
	s_addc_u32 s7, s7, s15
	v_cndmask_b32_e32 v2, v7, v2, vcc
	v_ashrrev_i32_e32 v3, 31, v2
	v_lshl_add_u64 v[4:5], v[2:3], 2, s[6:7]
	v_or_b32_e32 v2, 16, v1
	v_add_u32_e32 v3, v2, v6
	v_ashrrev_i32_e32 v3, 4, v3
	v_cmp_gt_i32_e32 vcc, s29, v2
	s_load_dwordx2 s[14:15], s[0:1], 0x8
	s_nop 0
	v_cndmask_b32_e32 v2, v7, v3, vcc
	v_ashrrev_i32_e32 v3, 31, v2
	v_lshl_add_u64 v[8:9], v[2:3], 2, s[6:7]
	v_or_b32_e32 v2, 32, v1
	v_add_u32_e32 v3, v2, v6
	v_ashrrev_i32_e32 v3, 4, v3
	v_cmp_gt_i32_e32 vcc, s29, v2
	v_or_b32_e32 v1, 48, v1
	s_nop 0
	v_cndmask_b32_e32 v2, v7, v3, vcc
	v_ashrrev_i32_e32 v3, 31, v2
	v_lshl_add_u64 v[10:11], v[2:3], 2, s[6:7]
	v_add_u32_e32 v2, v1, v6
	v_ashrrev_i32_e32 v2, 4, v2
	v_cmp_gt_i32_e32 vcc, s29, v1
	s_nop 1
	v_cndmask_b32_e32 v2, v7, v2, vcc
	v_ashrrev_i32_e32 v3, 31, v2
	v_lshl_add_u64 v[12:13], v[2:3], 2, s[6:7]
	global_load_dword v3, v[4:5], off
	global_load_dword v2, v[8:9], off
	;; [unrolled: 1-line block ×4, first 2 shown]
	s_andn2_b64 vcc, exec, s[10:11]
	s_cbranch_vccnz .LBB13_8
; %bb.6:
	s_add_u32 s8, s8, s12
	s_addc_u32 s9, s9, s13
	s_load_dword s5, s[8:9], 0x0
	s_branch .LBB13_9
.LBB13_7:
	s_mov_b64 s[12:13], 0
	s_branch .LBB13_2
.LBB13_8:
	s_mov_b32 s5, s2
.LBB13_9:
	s_load_dwordx2 s[8:9], s[0:1], 0x10
	s_load_dwordx4 s[44:47], s[0:1], 0x48
	v_lshrrev_b32_e32 v45, 6, v0
	v_bfe_u32 v54, v0, 4, 2
	v_lshl_or_b32 v1, v45, 2, v54
	v_and_b32_e32 v44, 15, v0
	v_lshlrev_b32_e32 v4, 3, v44
	v_cmp_gt_u32_e32 vcc, 14, v1
	v_cmp_gt_u32_e64 s[30:31], 8, v44
	s_mul_i32 s42, s4, 14
	s_and_b64 s[12:13], s[30:31], vcc
	v_lshlrev_b32_e32 v42, 1, v4
	s_and_saveexec_b64 s[10:11], s[12:13]
	s_cbranch_execz .LBB13_11
; %bb.10:
	s_load_dwordx2 s[12:13], s[0:1], 0x0
	s_waitcnt lgkmcnt(0)
	s_ashr_i32 s18, s44, 31
	s_mul_hi_u32 s19, s5, s44
	s_mul_i32 s18, s5, s18
	s_add_i32 s19, s19, s18
	s_mul_i32 s18, s5, s44
	s_lshl_b64 s[18:19], s[18:19], 1
	s_add_u32 s12, s12, s18
	v_add_lshl_u32 v4, v1, s42, 6
	s_addc_u32 s13, s13, s19
	v_ashrrev_i32_e32 v5, 31, v4
	v_lshl_add_u64 v[4:5], v[4:5], 1, s[12:13]
	v_mov_b32_e32 v43, 0
	v_lshl_add_u64 v[4:5], v[4:5], 0, v[42:43]
	global_load_dwordx4 v[8:11], v[4:5], off
	v_and_b32_e32 v4, 3, v0
	v_lshlrev_b32_e32 v5, 9, v44
	v_lshlrev_b32_e32 v1, 5, v1
	;; [unrolled: 1-line block ×3, first 2 shown]
	v_and_b32_e32 v5, 0x1800, v5
	v_or3_b32 v1, v5, v4, v1
	s_waitcnt vmcnt(0)
	ds_write_b128 v1, v[8:11]
.LBB13_11:
	s_or_b64 exec, exec, s[10:11]
	s_waitcnt lgkmcnt(0)
	s_mul_i32 s4, s4, s46
	s_mov_b32 s5, 0
	s_lshl_b64 s[4:5], s[4:5], 1
	s_add_u32 s10, s14, s4
	v_lshlrev_b32_e32 v1, 4, v0
	s_addc_u32 s11, s15, s5
	v_and_b32_e32 v46, 0xf0, v1
	v_mov_b32_e32 v47, 0
	v_lshl_add_u64 v[16:17], s[10:11], 0, v[46:47]
	s_waitcnt vmcnt(3)
	v_mad_i64_i32 v[4:5], s[10:11], v3, s45, 0
	s_waitcnt vmcnt(2)
	v_mad_i64_i32 v[2:3], s[10:11], v2, s45, 0
	s_waitcnt vmcnt(1)
	v_mad_i64_i32 v[6:7], s[10:11], v6, s45, 0
	v_lshl_add_u64 v[4:5], v[4:5], 1, v[16:17]
	v_and_b32_e32 v46, 0x300, v1
	v_lshl_add_u64 v[2:3], v[2:3], 1, v[16:17]
	v_lshl_add_u64 v[6:7], v[6:7], 1, v[16:17]
	s_waitcnt vmcnt(0)
	v_mad_i64_i32 v[14:15], s[10:11], v14, s45, 0
	v_lshl_add_u64 v[4:5], v[4:5], 0, v[46:47]
	v_lshl_add_u64 v[8:9], v[2:3], 0, v[46:47]
	;; [unrolled: 1-line block ×4, first 2 shown]
	s_barrier
	global_load_dwordx4 v[30:33], v[4:5], off
	global_load_dwordx4 v[10:13], v[4:5], off offset:1024
	global_load_dwordx4 v[22:25], v[8:9], off
	s_nop 0
	global_load_dwordx4 v[2:5], v[8:9], off offset:1024
	global_load_dwordx4 v[26:29], v[18:19], off
	s_nop 0
	global_load_dwordx4 v[6:9], v[18:19], off offset:1024
	v_lshl_add_u64 v[18:19], v[14:15], 0, v[46:47]
	global_load_dwordx4 v[34:37], v[18:19], off
	global_load_dwordx4 v[14:17], v[18:19], off offset:1024
	v_add_u32_e32 v18, -14, v44
	v_cmp_gt_u32_e32 vcc, 14, v44
	v_and_b32_e32 v55, 63, v0
	v_mov_b32_e32 v56, 0
	v_cndmask_b32_e32 v18, v18, v44, vcc
	v_lshlrev_b32_e32 v18, 5, v18
	v_lshl_add_u32 v18, v54, 9, v18
	ds_read_b128 v[38:41], v18
	ds_read_b128 v[18:21], v18 offset:2048
	s_and_saveexec_b64 s[10:11], vcc
	s_cbranch_execz .LBB13_13
; %bb.12:
	s_load_dwordx2 s[12:13], s[0:1], 0x40
	v_add_u32_e32 v48, s42, v44
	v_ashrrev_i32_e32 v49, 31, v48
	s_waitcnt lgkmcnt(0)
	v_lshl_add_u64 v[48:49], v[48:49], 2, s[12:13]
	global_load_dword v56, v[48:49], off
.LBB13_13:
	s_or_b64 exec, exec, s[10:11]
	v_and_or_b32 v46, v0, 48, s16
	v_ashrrev_i32_e32 v43, 4, v46
	v_mov_b32_e32 v57, s17
	v_cmp_gt_i32_e32 vcc, s29, v46
	s_waitcnt vmcnt(5) lgkmcnt(1)
	v_mfma_f32_16x16x16_f16 v[58:61], v[22:23], v[38:39], 0
	s_load_dword s10, s[0:1], 0x1c
	v_cndmask_b32_e32 v48, v57, v43, vcc
	v_ashrrev_i32_e32 v49, 31, v48
	v_or_b32_e32 v43, 64, v46
	v_lshl_add_u64 v[52:53], v[48:49], 2, s[6:7]
	v_mfma_f32_16x16x16_f16 v[48:51], v[30:31], v[38:39], 0
	v_ashrrev_i32_e32 v30, 4, v43
	v_cmp_gt_i32_e32 vcc, s29, v43
	global_load_dword v70, v[52:53], off
	s_waitcnt vmcnt(4)
	v_mfma_f32_16x16x16_f16 v[62:65], v[26:27], v[38:39], 0
	v_cndmask_b32_e32 v30, v57, v30, vcc
	v_ashrrev_i32_e32 v31, 31, v30
	v_lshl_add_u64 v[22:23], v[30:31], 2, s[6:7]
	global_load_dword v71, v[22:23], off
	v_mfma_f32_16x16x16_f16 v[22:25], v[24:25], v[40:41], v[58:61]
	v_and_b32_e32 v26, 0xc0, v0
	s_add_u32 s4, s8, s4
	v_lshlrev_b32_e32 v43, 5, v44
	v_mfma_f32_16x16x16_f16 v[30:33], v[32:33], v[40:41], v[48:51]
	s_addc_u32 s5, s9, s5
	s_mov_b32 s33, 0xff7fffff
	s_waitcnt vmcnt(3)
	v_mfma_f32_16x16x16_f16 v[66:69], v[34:35], v[38:39], 0
	v_or_b32_e32 v38, 0x80, v46
	v_add_u32_e32 v48, s16, v26
	v_or_b32_e32 v39, 0xc0, v46
	v_mfma_f32_16x16x16_f16 v[26:29], v[28:29], v[40:41], v[62:65]
	v_ashrrev_i32_e32 v49, 4, v38
	v_cmp_gt_i32_e32 vcc, s29, v38
	v_ashrrev_i32_e32 v50, 4, v39
	s_waitcnt lgkmcnt(0)
	v_mfma_f32_16x16x16_f16 v[22:25], v[2:3], v[18:19], v[22:25]
	v_cndmask_b32_e32 v38, v57, v49, vcc
	v_cmp_gt_i32_e32 vcc, s29, v39
	v_ashrrev_i32_e32 v39, 31, v38
	v_mfma_f32_16x16x16_f16 v[30:33], v[10:11], v[18:19], v[30:33]
	v_cndmask_b32_e32 v10, v57, v50, vcc
	v_ashrrev_i32_e32 v11, 31, v10
	v_lshl_or_b32 v58, v54, 2, v48
	v_mfma_f32_16x16x16_f16 v[26:29], v[6:7], v[18:19], v[26:29]
	v_lshl_add_u64 v[6:7], v[38:39], 2, s[6:7]
	v_lshl_add_u64 v[38:39], v[10:11], 2, s[6:7]
	v_or_b32_e32 v57, 1, v58
	v_mfma_f32_16x16x16_f16 v[2:5], v[4:5], v[20:21], v[22:25]
	s_nop 2
	global_load_dword v22, v[6:7], off
	global_load_dword v61, v[38:39], off
	v_subrev_u32_e32 v59, s29, v57
	v_cvt_f32_i32_e32 v60, v59
	v_mfma_f32_16x16x16_f16 v[34:37], v[36:37], v[40:41], v[66:69]
	v_pk_mul_f32 v[48:49], s[10:11], v[4:5] op_sel_hi:[0,1]
	v_lshl_or_b32 v46, v45, 9, v43
	v_lshl_add_u64 v[46:47], s[4:5], 0, v[46:47]
	s_waitcnt vmcnt(4)
	v_mfma_f32_16x16x16_f16 v[34:37], v[14:15], v[18:19], v[34:37]
	v_add_u32_e32 v14, 1, v59
	v_add_u32_e32 v15, 2, v59
	v_cvt_f32_i32_e32 v23, v14
	v_cvt_f32_i32_e32 v24, v15
	v_mfma_f32_16x16x16_f16 v[14:17], v[16:17], v[20:21], v[34:37]
	v_add_u32_e32 v18, 3, v59
	v_cvt_f32_i32_e32 v18, v18
	v_pk_mul_f32 v[50:51], s[10:11], v[2:3] op_sel_hi:[0,1]
	v_mfma_f32_16x16x16_f16 v[10:13], v[12:13], v[20:21], v[30:33]
	v_cmp_gt_i32_e64 s[34:35], s29, v57
	s_nop 1
	v_pk_mul_f32 v[36:37], s[10:11], v[14:15] op_sel_hi:[0,1]
	v_add_u32_e32 v15, 19, v59
	v_add_u32_e32 v31, 18, v59
	v_cvt_f32_i32_e32 v14, v31
	v_cvt_f32_i32_e32 v15, v15
	v_mfma_f32_16x16x16_f16 v[6:9], v[8:9], v[20:21], v[26:29]
	v_pk_mul_f32 v[34:35], s[10:11], v[16:17] op_sel_hi:[0,1]
	v_fma_f32 v48, v56, v14, v48
	v_add_u32_e32 v14, 32, v59
	v_fmac_f32_e32 v49, v56, v15
	v_cvt_f32_i32_e32 v14, v14
	v_add_u32_e32 v15, 33, v59
	v_add_u32_e32 v16, 34, v59
	v_cvt_f32_i32_e32 v15, v15
	v_cvt_f32_i32_e32 v16, v16
	v_add_u32_e32 v17, 35, v59
	v_cvt_f32_i32_e32 v17, v17
	v_pk_mul_f32 v[40:41], s[10:11], v[6:7] op_sel_hi:[0,1]
	v_pk_mul_f32 v[38:39], s[10:11], v[8:9] op_sel_hi:[0,1]
	v_fma_f32 v40, v56, v14, v40
	v_add_u32_e32 v14, 48, v59
	v_fmac_f32_e32 v41, v56, v15
	v_fma_f32 v38, v56, v16, v38
	v_cvt_f32_i32_e32 v14, v14
	v_add_u32_e32 v15, 49, v59
	v_add_u32_e32 v16, 50, v59
	v_fmac_f32_e32 v39, v56, v17
	v_cvt_f32_i32_e32 v15, v15
	v_cvt_f32_i32_e32 v16, v16
	v_add_u32_e32 v17, 51, v59
	v_cvt_f32_i32_e32 v17, v17
	v_pk_mul_f32 v[52:53], s[10:11], v[12:13] op_sel_hi:[0,1]
	v_pk_mul_f32 v[10:11], s[10:11], v[10:11] op_sel_hi:[0,1]
	s_waitcnt vmcnt(3)
	v_mad_i64_i32 v[2:3], s[4:5], v70, s45, 0
	s_waitcnt vmcnt(2)
	v_mad_i64_i32 v[12:13], s[4:5], v71, s45, 0
	v_fma_f32 v10, v56, v60, v10
	v_fmac_f32_e32 v11, v56, v23
	v_fma_f32 v36, v56, v14, v36
	v_mov_b32_e32 v14, 0xff7fffff
	v_cmp_gt_i32_e64 s[4:5], s29, v58
	v_add_u32_e32 v19, 16, v59
	v_add_u32_e32 v30, 17, v59
	v_fmac_f32_e32 v37, v56, v15
	v_fma_f32 v34, v56, v16, v34
	v_cndmask_b32_e64 v15, v14, v10, s[4:5]
	v_cndmask_b32_e64 v16, v14, v11, s[34:35]
	v_cvt_f32_i32_e32 v19, v19
	v_cvt_f32_i32_e32 v25, v30
	v_fmac_f32_e32 v35, v56, v17
	v_max3_f32 v15, v15, s33, v16
	v_or_b32_e32 v16, 2, v58
	v_or_b32_e32 v17, 3, v58
	v_fma_f32 v52, v56, v24, v52
	v_fmac_f32_e32 v53, v56, v18
	v_cmp_gt_i32_e64 s[36:37], s29, v16
	v_cmp_gt_i32_e64 s[38:39], s29, v17
	v_fma_f32 v50, v56, v19, v50
	v_cndmask_b32_e64 v16, v14, v52, s[36:37]
	v_cndmask_b32_e64 v17, v14, v53, s[38:39]
	v_max3_f32 v15, v15, v16, v17
	v_or_b32_e32 v16, 16, v58
	v_or_b32_e32 v17, 17, v58
	v_fmac_f32_e32 v51, v56, v25
	v_cmp_gt_i32_e64 s[24:25], s29, v16
	v_cmp_gt_i32_e64 s[26:27], s29, v17
	v_lshl_add_u64 v[2:3], v[2:3], 1, v[46:47]
	v_cndmask_b32_e64 v16, v14, v50, s[24:25]
	v_cndmask_b32_e64 v17, v14, v51, s[26:27]
	v_max3_f32 v15, v15, v16, v17
	v_or_b32_e32 v16, 18, v58
	v_or_b32_e32 v17, 19, v58
	v_cmp_gt_i32_e64 s[20:21], s29, v16
	v_cmp_gt_i32_e64 s[22:23], s29, v17
	v_lshl_add_u64 v[12:13], v[12:13], 1, v[46:47]
	v_cndmask_b32_e64 v16, v14, v48, s[20:21]
	v_cndmask_b32_e64 v17, v14, v49, s[22:23]
	v_max3_f32 v15, v15, v16, v17
	v_or_b32_e32 v16, 32, v58
	v_or_b32_e32 v17, 33, v58
	v_cmp_gt_i32_e64 s[16:17], s29, v16
	v_cmp_gt_i32_e64 s[18:19], s29, v17
	global_load_dwordx4 v[6:9], v[2:3], off
	s_nop 0
	global_load_dwordx4 v[2:5], v[2:3], off offset:16
	v_cndmask_b32_e64 v16, v14, v40, s[16:17]
	v_cndmask_b32_e64 v17, v14, v41, s[18:19]
	v_max3_f32 v15, v15, v16, v17
	v_or_b32_e32 v16, 34, v58
	v_or_b32_e32 v17, 35, v58
	v_cmp_gt_i32_e64 s[12:13], s29, v16
	v_cmp_gt_i32_e64 s[14:15], s29, v17
	global_load_dwordx4 v[30:33], v[12:13], off
	global_load_dwordx4 v[26:29], v[12:13], off offset:16
	v_cndmask_b32_e64 v16, v14, v38, s[12:13]
	v_cndmask_b32_e64 v17, v14, v39, s[14:15]
	v_max3_f32 v15, v15, v16, v17
	v_or_b32_e32 v16, 48, v58
	v_or_b32_e32 v17, 49, v58
	v_cmp_gt_i32_e64 s[8:9], s29, v16
	v_cmp_gt_i32_e64 s[10:11], s29, v17
	s_nop 0
	v_cndmask_b32_e64 v16, v14, v36, s[8:9]
	v_cndmask_b32_e64 v17, v14, v37, s[10:11]
	v_max3_f32 v15, v15, v16, v17
	v_or_b32_e32 v16, 50, v58
	v_or_b32_e32 v17, 51, v58
	v_cmp_gt_i32_e32 vcc, s29, v16
	v_cmp_gt_i32_e64 s[6:7], s29, v17
	s_nop 0
	v_cndmask_b32_e32 v16, v14, v34, vcc
	v_cndmask_b32_e64 v14, v14, v35, s[6:7]
	v_max3_f32 v14, v15, v16, v14
	v_mbcnt_lo_u32_b32 v15, -1, 0
	v_mbcnt_hi_u32_b32 v15, -1, v15
	v_and_b32_e32 v16, 64, v15
	v_add_u32_e32 v16, 64, v16
	v_xor_b32_e32 v17, 32, v15
	v_cmp_lt_i32_e64 s[40:41], v17, v16
	s_nop 1
	v_cndmask_b32_e64 v17, v15, v17, s[40:41]
	v_lshlrev_b32_e32 v57, 2, v17
	ds_bpermute_b32 v17, v57, v14
	s_waitcnt vmcnt(5)
	v_mad_i64_i32 v[12:13], s[40:41], v22, s45, 0
	v_lshl_add_u64 v[12:13], v[12:13], 1, v[46:47]
	global_load_dwordx4 v[22:25], v[12:13], off
	global_load_dwordx4 v[18:21], v[12:13], off offset:16
	s_waitcnt lgkmcnt(0)
	v_max_f32_e32 v17, v17, v17
	v_max_f32_e32 v14, v14, v17
	v_xor_b32_e32 v17, 16, v15
	v_cmp_lt_i32_e64 s[40:41], v17, v16
	s_nop 1
	v_cndmask_b32_e64 v15, v15, v17, s[40:41]
	v_lshlrev_b32_e32 v59, 2, v15
	ds_bpermute_b32 v15, v59, v14
	s_waitcnt vmcnt(6)
	v_mad_i64_i32 v[12:13], s[40:41], v61, s45, 0
	v_lshl_add_u64 v[12:13], v[12:13], 1, v[46:47]
	s_waitcnt lgkmcnt(0)
	v_max_f32_e32 v15, v15, v15
	v_max_f32_e32 v56, v14, v15
	v_sub_f32_e32 v10, v10, v56
	v_mul_f32_e32 v10, 0x3fb8aa3b, v10
	v_exp_f32_e32 v46, v10
	v_sub_f32_e32 v10, v11, v56
	v_mul_f32_e32 v10, 0x3fb8aa3b, v10
	v_exp_f32_e32 v47, v10
	global_load_dwordx4 v[14:17], v[12:13], off
	s_nop 0
	global_load_dwordx4 v[10:13], v[12:13], off offset:16
	v_sub_f32_e32 v52, v52, v56
	v_mul_f32_e32 v52, 0x3fb8aa3b, v52
	v_sub_f32_e32 v53, v53, v56
	v_exp_f32_e32 v52, v52
	v_mul_f32_e32 v53, 0x3fb8aa3b, v53
	v_sub_f32_e32 v50, v50, v56
	v_exp_f32_e32 v53, v53
	v_mul_f32_e32 v50, 0x3fb8aa3b, v50
	v_sub_f32_e32 v51, v51, v56
	v_cndmask_b32_e64 v46, 0, v46, s[4:5]
	v_exp_f32_e32 v50, v50
	v_mul_f32_e32 v51, 0x3fb8aa3b, v51
	v_sub_f32_e32 v48, v48, v56
	v_add_f32_e32 v58, 0, v46
	v_cndmask_b32_e64 v47, 0, v47, s[34:35]
	v_exp_f32_e32 v51, v51
	v_mul_f32_e32 v48, 0x3fb8aa3b, v48
	v_sub_f32_e32 v49, v49, v56
	v_add_f32_e32 v58, v58, v47
	;; [unrolled: 5-line block ×10, first 2 shown]
	v_cndmask_b32_e64 v38, 0, v38, s[12:13]
	v_exp_f32_e32 v34, v34
	v_mul_f32_e32 v35, 0x3fb8aa3b, v35
	v_add_f32_e32 v58, v58, v38
	v_cndmask_b32_e64 v39, 0, v39, s[14:15]
	v_exp_f32_e32 v35, v35
	v_add_f32_e32 v58, v58, v39
	v_cndmask_b32_e64 v36, 0, v36, s[8:9]
	v_add_f32_e32 v58, v58, v36
	v_cndmask_b32_e64 v37, 0, v37, s[10:11]
	v_add_f32_e32 v58, v58, v37
	v_cndmask_b32_e32 v34, 0, v34, vcc
	v_add_f32_e32 v58, v58, v34
	v_cndmask_b32_e64 v35, 0, v35, s[6:7]
	v_add_f32_e32 v58, v58, v35
	ds_bpermute_b32 v57, v57, v58
	s_load_dword s7, s[0:1], 0x98
	v_cmp_gt_u32_e32 vcc, 16, v55
	s_waitcnt lgkmcnt(0)
	s_barrier
	v_add_f32_e32 v58, v58, v57
	ds_bpermute_b32 v59, v59, v58
	v_lshlrev_b32_e32 v57, 2, v44
	s_waitcnt lgkmcnt(0)
	s_and_saveexec_b64 s[4:5], vcc
	s_cbranch_execz .LBB13_15
; %bb.14:
	v_add_f32_e32 v55, v58, v59
	v_lshl_or_b32 v58, v45, 6, v57
	ds_write2st64_b32 v58, v56, v55 offset1:1
.LBB13_15:
	s_or_b64 exec, exec, s[4:5]
	s_load_dword s6, s[0:1], 0x94
	s_waitcnt lgkmcnt(0)
	s_barrier
	ds_read2_b32 v[58:59], v57 offset1:16
	ds_read2_b32 v[60:61], v57 offset0:32 offset1:48
	ds_read2_b32 v[62:63], v57 offset0:64 offset1:80
	s_mul_i32 s7, s7, 14
	s_waitcnt lgkmcnt(2)
	v_max3_f32 v55, v58, s33, v59
	s_waitcnt lgkmcnt(1)
	v_max3_f32 v55, v55, v60, v61
	v_sub_f32_e32 v56, v58, v55
	v_mul_f32_e32 v56, 0x3fb8aa3b, v56
	v_exp_f32_e32 v64, v56
	v_sub_f32_e32 v56, v59, v55
	v_mul_f32_e32 v56, 0x3fb8aa3b, v56
	v_exp_f32_e32 v65, v56
	;; [unrolled: 3-line block ×3, first 2 shown]
	ds_read2_b32 v[58:59], v57 offset0:96 offset1:112
	v_sub_f32_e32 v56, v61, v55
	v_mul_f32_e32 v56, 0x3fb8aa3b, v56
	v_exp_f32_e32 v57, v56
	s_waitcnt lgkmcnt(1)
	v_fma_f32 v56, v64, v62, 0
	v_fmac_f32_e32 v56, v65, v63
	s_waitcnt lgkmcnt(0)
	v_fmac_f32_e32 v56, v60, v58
	v_fmac_f32_e32 v56, v57, v59
	v_add_f32_e32 v58, 0x358637bd, v56
	v_div_scale_f32 v59, s[4:5], v58, v58, 1.0
	v_rcp_f32_e32 v61, v59
	s_barrier
	v_fma_f32 v62, -v59, v61, 1.0
	v_fmac_f32_e32 v61, v62, v61
	v_div_scale_f32 v62, vcc, 1.0, v58, 1.0
	v_mul_f32_e32 v63, v62, v61
	v_fma_f32 v66, -v59, v63, v62
	v_fmac_f32_e32 v63, v66, v61
	v_fma_f32 v59, -v59, v63, v62
	v_div_fmas_f32 v59, v59, v61, v63
	v_cmp_eq_u32_e32 vcc, 1, v45
	v_div_fixup_f32 v58, v59, v58, 1.0
	s_nop 0
	v_cndmask_b32_e32 v59, v64, v65, vcc
	v_cmp_eq_u32_e32 vcc, 2, v45
	s_nop 1
	v_cndmask_b32_e32 v59, v59, v60, vcc
	v_cmp_eq_u32_e32 vcc, 3, v45
	v_lshlrev_b32_e32 v45, 11, v45
	s_nop 0
	v_cndmask_b32_e32 v57, v59, v57, vcc
	v_mul_f32_e32 v58, v57, v58
	v_pk_mul_f32 v[46:47], v[58:59], v[46:47] op_sel_hi:[0,1]
	v_cvt_f16_f32_e32 v46, v46
	v_cvt_f16_f32_e32 v47, v47
	v_pk_mul_f32 v[52:53], v[58:59], v[52:53] op_sel_hi:[0,1]
	v_cvt_f16_f32_e32 v57, v52
	v_cvt_f16_f32_e32 v53, v53
	v_pack_b32_f16 v52, v46, v47
	v_pk_mul_f32 v[46:47], v[58:59], v[48:49] op_sel_hi:[0,1]
	v_pk_mul_f32 v[48:49], v[58:59], v[50:51] op_sel_hi:[0,1]
	v_cvt_f16_f32_e32 v48, v48
	v_cvt_f16_f32_e32 v49, v49
	;; [unrolled: 1-line block ×4, first 2 shown]
	v_pack_b32_f16 v53, v57, v53
	v_lshlrev_b32_e32 v57, 3, v54
	v_pk_mul_f32 v[38:39], v[58:59], v[38:39] op_sel_hi:[0,1]
	v_pk_mul_f32 v[40:41], v[58:59], v[40:41] op_sel_hi:[0,1]
	;; [unrolled: 1-line block ×4, first 2 shown]
	v_or3_b32 v46, v45, v43, v57
	v_pack_b32_f16 v48, v48, v49
	v_pack_b32_f16 v49, v50, v47
	v_cvt_f16_f32_e32 v40, v40
	v_cvt_f16_f32_e32 v41, v41
	;; [unrolled: 1-line block ×8, first 2 shown]
	v_pack_b32_f16 v34, v40, v41
	v_pack_b32_f16 v35, v38, v39
	;; [unrolled: 1-line block ×4, first 2 shown]
	v_cmp_gt_u32_e32 vcc, 14, v0
	ds_write2st64_b64 v46, v[52:53], v[48:49] offset1:1
	ds_write2st64_b64 v46, v[34:35], v[36:37] offset0:2 offset1:3
	s_and_saveexec_b64 s[4:5], vcc
	s_cbranch_execz .LBB13_17
; %bb.16:
	s_mov_b32 s43, 0
	v_mov_b32_e32 v45, 0
	v_lshl_add_u64 v[34:35], s[42:43], 0, v[44:45]
	v_mov_b32_e32 v36, s7
	v_mad_u64_u32 v[34:35], s[12:13], s2, v36, v[34:35]
	s_mul_i32 s3, s3, s7
	v_mov_b32_e32 v44, s28
	s_load_dwordx4 s[8:11], s[0:1], 0x58
	v_add_u32_e32 v37, s3, v35
	v_mad_u64_u32 v[34:35], s[12:13], v34, s6, v[44:45]
	v_mov_b32_e32 v36, v35
	v_mad_u64_u32 v[36:37], s[12:13], v37, s6, v[36:37]
	v_mov_b32_e32 v35, v36
	v_lshlrev_b64 v[34:35], 2, v[34:35]
	s_waitcnt lgkmcnt(0)
	v_lshl_add_u64 v[36:37], s[10:11], 0, v[34:35]
	v_lshl_add_u64 v[34:35], s[8:9], 0, v[34:35]
	global_store_dword v[36:37], v55, off
	global_store_dword v[34:35], v56, off
.LBB13_17:
	s_or_b64 exec, exec, s[4:5]
	v_lshl_or_b32 v43, v54, 9, v43
	s_waitcnt lgkmcnt(0)
	s_barrier
	ds_read_b128 v[34:37], v43
	ds_read_b128 v[38:41], v43 offset:16
	s_waitcnt vmcnt(7) lgkmcnt(1)
	v_mfma_f32_16x16x16_f16 v[48:51], v[6:7], v[34:35], 0
	v_cmp_gt_u32_e32 vcc, 64, v0
	s_mov_b32 s3, 0
	s_and_b64 s[4:5], vcc, s[30:31]
	v_mfma_f32_16x16x16_f16 v[6:9], v[8:9], v[36:37], v[48:51]
	s_waitcnt vmcnt(6) lgkmcnt(0)
	v_mfma_f32_16x16x16_f16 v[6:9], v[2:3], v[38:39], v[6:9]
	v_mfma_f32_16x16x16_f16 v[2:5], v[4:5], v[40:41], v[6:9]
	s_nop 5
	ds_read_b128 v[6:9], v43 offset:2048
	ds_read_b128 v[34:37], v43 offset:2064
	s_waitcnt vmcnt(5) lgkmcnt(1)
	v_mfma_f32_16x16x16_f16 v[2:5], v[30:31], v[6:7], v[2:5]
	v_mfma_f32_16x16x16_f16 v[2:5], v[32:33], v[8:9], v[2:5]
	s_waitcnt vmcnt(4) lgkmcnt(0)
	v_mfma_f32_16x16x16_f16 v[2:5], v[26:27], v[34:35], v[2:5]
	v_mfma_f32_16x16x16_f16 v[2:5], v[28:29], v[36:37], v[2:5]
	ds_read_b128 v[6:9], v43 offset:4096
	ds_read_b128 v[26:29], v43 offset:4112
	s_waitcnt vmcnt(3) lgkmcnt(1)
	v_mfma_f32_16x16x16_f16 v[2:5], v[22:23], v[6:7], v[2:5]
	v_mfma_f32_16x16x16_f16 v[2:5], v[24:25], v[8:9], v[2:5]
	s_waitcnt vmcnt(2) lgkmcnt(0)
	v_mfma_f32_16x16x16_f16 v[2:5], v[18:19], v[26:27], v[2:5]
	v_mfma_f32_16x16x16_f16 v[2:5], v[20:21], v[28:29], v[2:5]
	ds_read_b128 v[6:9], v43 offset:6144
	ds_read_b128 v[18:21], v43 offset:6160
	v_mov_b32_e32 v43, 0
	s_waitcnt vmcnt(1) lgkmcnt(0)
	v_mfma_f32_16x16x16_f16 v[2:5], v[14:15], v[6:7], v[2:5]
	s_barrier
	v_mfma_f32_16x16x16_f16 v[2:5], v[16:17], v[8:9], v[2:5]
	s_waitcnt vmcnt(0)
	v_mfma_f32_16x16x16_f16 v[2:5], v[10:11], v[18:19], v[2:5]
	v_mfma_f32_16x16x16_f16 v[2:5], v[12:13], v[20:21], v[2:5]
	s_nop 6
	v_cvt_f16_f32_e32 v2, v2
	v_cvt_f16_f32_e32 v3, v3
	v_cvt_f16_f32_e32 v4, v4
	v_cvt_f16_f32_e32 v5, v5
	v_pack_b32_f16 v2, v2, v3
	v_pack_b32_f16 v3, v4, v5
	ds_write_b64 v46, v[2:3]
	s_waitcnt lgkmcnt(0)
	s_barrier
	s_and_saveexec_b64 s[8:9], s[4:5]
	s_cbranch_execz .LBB13_20
; %bb.18:
	s_load_dwordx2 s[4:5], s[0:1], 0x68
	s_lshl_b32 s0, s6, 6
	s_mul_i32 s1, s7, s2
	s_mul_hi_u32 s7, s1, s0
	s_mul_i32 s6, s1, s0
	v_lshlrev_b32_e32 v0, 10, v0
	s_lshl_b64 s[6:7], s[6:7], 1
	v_and_b32_e32 v0, 0x1800, v0
	v_lshlrev_b32_e32 v2, 5, v54
	v_and_b32_e32 v1, 16, v1
	s_waitcnt lgkmcnt(0)
	s_add_u32 s1, s4, s6
	v_or3_b32 v2, v0, v2, v1
	s_addc_u32 s4, s5, s7
	s_lshl_b32 s2, s28, 6
	ds_read_b128 v[4:7], v2 offset:256
	s_lshl_b64 s[2:3], s[2:3], 1
	ds_read_b128 v[8:11], v2 offset:128
	ds_read_b128 v[12:15], v2
	s_add_u32 s2, s1, s2
	s_addc_u32 s3, s4, s3
	v_add_u32_e32 v18, s42, v54
	v_lshl_add_u64 v[0:1], s[2:3], 0, v[42:43]
	v_mad_u64_u32 v[16:17], s[2:3], v18, s0, 0
	v_lshl_add_u64 v[16:17], v[16:17], 1, v[0:1]
	s_waitcnt lgkmcnt(0)
	global_store_dwordx4 v[16:17], v[12:15], off
	v_or_b32_e32 v3, 12, v54
	v_cmp_gt_u32_e32 vcc, 14, v3
	v_add_u32_e32 v12, 4, v18
	v_mad_u64_u32 v[12:13], s[2:3], v12, s0, 0
	v_lshl_add_u64 v[12:13], v[12:13], 1, v[0:1]
	global_store_dwordx4 v[12:13], v[8:11], off
	s_nop 1
	v_add_u32_e32 v8, 8, v18
	v_mad_u64_u32 v[8:9], s[2:3], v8, s0, 0
	v_lshl_add_u64 v[8:9], v[8:9], 1, v[0:1]
	global_store_dwordx4 v[8:9], v[4:7], off
	s_and_b64 exec, exec, vcc
	s_cbranch_execz .LBB13_20
; %bb.19:
	ds_read_b128 v[4:7], v2 offset:384
	v_add_u32_e32 v2, s42, v3
	v_mad_u64_u32 v[2:3], s[0:1], v2, s0, 0
	v_lshl_add_u64 v[0:1], v[2:3], 1, v[0:1]
	s_waitcnt lgkmcnt(0)
	global_store_dwordx4 v[0:1], v[4:7], off
.LBB13_20:
	s_endpgm
	.section	.rodata,"a",@progbits
	.p2align	6, 0x0
	.amdhsa_kernel _Z39paged_attention_ll4mi_QKV_mfma16_kernelIDF16_DF16_LN4vllm18Fp8KVCacheDataTypeE0EhLi16ELi64ELi256ELb1ELi14EEvPKT_PKT0_S7_ifPKiS9_S9_iPKfiiiPfSC_PS2_PT2_iSB_SB_
		.amdhsa_group_segment_fixed_size 8192
		.amdhsa_private_segment_fixed_size 0
		.amdhsa_kernarg_size 400
		.amdhsa_user_sgpr_count 2
		.amdhsa_user_sgpr_dispatch_ptr 0
		.amdhsa_user_sgpr_queue_ptr 0
		.amdhsa_user_sgpr_kernarg_segment_ptr 1
		.amdhsa_user_sgpr_dispatch_id 0
		.amdhsa_user_sgpr_kernarg_preload_length 0
		.amdhsa_user_sgpr_kernarg_preload_offset 0
		.amdhsa_user_sgpr_private_segment_size 0
		.amdhsa_uses_dynamic_stack 0
		.amdhsa_enable_private_segment 0
		.amdhsa_system_sgpr_workgroup_id_x 1
		.amdhsa_system_sgpr_workgroup_id_y 1
		.amdhsa_system_sgpr_workgroup_id_z 1
		.amdhsa_system_sgpr_workgroup_info 0
		.amdhsa_system_vgpr_workitem_id 0
		.amdhsa_next_free_vgpr 72
		.amdhsa_next_free_sgpr 48
		.amdhsa_accum_offset 72
		.amdhsa_reserve_vcc 1
		.amdhsa_float_round_mode_32 0
		.amdhsa_float_round_mode_16_64 0
		.amdhsa_float_denorm_mode_32 3
		.amdhsa_float_denorm_mode_16_64 3
		.amdhsa_dx10_clamp 1
		.amdhsa_ieee_mode 1
		.amdhsa_fp16_overflow 0
		.amdhsa_tg_split 0
		.amdhsa_exception_fp_ieee_invalid_op 0
		.amdhsa_exception_fp_denorm_src 0
		.amdhsa_exception_fp_ieee_div_zero 0
		.amdhsa_exception_fp_ieee_overflow 0
		.amdhsa_exception_fp_ieee_underflow 0
		.amdhsa_exception_fp_ieee_inexact 0
		.amdhsa_exception_int_div_zero 0
	.end_amdhsa_kernel
	.section	.text._Z39paged_attention_ll4mi_QKV_mfma16_kernelIDF16_DF16_LN4vllm18Fp8KVCacheDataTypeE0EhLi16ELi64ELi256ELb1ELi14EEvPKT_PKT0_S7_ifPKiS9_S9_iPKfiiiPfSC_PS2_PT2_iSB_SB_,"axG",@progbits,_Z39paged_attention_ll4mi_QKV_mfma16_kernelIDF16_DF16_LN4vllm18Fp8KVCacheDataTypeE0EhLi16ELi64ELi256ELb1ELi14EEvPKT_PKT0_S7_ifPKiS9_S9_iPKfiiiPfSC_PS2_PT2_iSB_SB_,comdat
.Lfunc_end13:
	.size	_Z39paged_attention_ll4mi_QKV_mfma16_kernelIDF16_DF16_LN4vllm18Fp8KVCacheDataTypeE0EhLi16ELi64ELi256ELb1ELi14EEvPKT_PKT0_S7_ifPKiS9_S9_iPKfiiiPfSC_PS2_PT2_iSB_SB_, .Lfunc_end13-_Z39paged_attention_ll4mi_QKV_mfma16_kernelIDF16_DF16_LN4vllm18Fp8KVCacheDataTypeE0EhLi16ELi64ELi256ELb1ELi14EEvPKT_PKT0_S7_ifPKiS9_S9_iPKfiiiPfSC_PS2_PT2_iSB_SB_
                                        ; -- End function
	.section	.AMDGPU.csdata,"",@progbits
; Kernel info:
; codeLenInByte = 4120
; NumSgprs: 54
; NumVgprs: 72
; NumAgprs: 0
; TotalNumVgprs: 72
; ScratchSize: 0
; MemoryBound: 0
; FloatMode: 240
; IeeeMode: 1
; LDSByteSize: 8192 bytes/workgroup (compile time only)
; SGPRBlocks: 6
; VGPRBlocks: 8
; NumSGPRsForWavesPerEU: 54
; NumVGPRsForWavesPerEU: 72
; AccumOffset: 72
; Occupancy: 7
; WaveLimiterHint : 1
; COMPUTE_PGM_RSRC2:SCRATCH_EN: 0
; COMPUTE_PGM_RSRC2:USER_SGPR: 2
; COMPUTE_PGM_RSRC2:TRAP_HANDLER: 0
; COMPUTE_PGM_RSRC2:TGID_X_EN: 1
; COMPUTE_PGM_RSRC2:TGID_Y_EN: 1
; COMPUTE_PGM_RSRC2:TGID_Z_EN: 1
; COMPUTE_PGM_RSRC2:TIDIG_COMP_CNT: 0
; COMPUTE_PGM_RSRC3_GFX90A:ACCUM_OFFSET: 17
; COMPUTE_PGM_RSRC3_GFX90A:TG_SPLIT: 0
	.section	.text._Z39paged_attention_ll4mi_QKV_mfma16_kernelIDF16_DF16_LN4vllm18Fp8KVCacheDataTypeE0EhLi16ELi64ELi256ELb1ELi15EEvPKT_PKT0_S7_ifPKiS9_S9_iPKfiiiPfSC_PS2_PT2_iSB_SB_,"axG",@progbits,_Z39paged_attention_ll4mi_QKV_mfma16_kernelIDF16_DF16_LN4vllm18Fp8KVCacheDataTypeE0EhLi16ELi64ELi256ELb1ELi15EEvPKT_PKT0_S7_ifPKiS9_S9_iPKfiiiPfSC_PS2_PT2_iSB_SB_,comdat
	.protected	_Z39paged_attention_ll4mi_QKV_mfma16_kernelIDF16_DF16_LN4vllm18Fp8KVCacheDataTypeE0EhLi16ELi64ELi256ELb1ELi15EEvPKT_PKT0_S7_ifPKiS9_S9_iPKfiiiPfSC_PS2_PT2_iSB_SB_ ; -- Begin function _Z39paged_attention_ll4mi_QKV_mfma16_kernelIDF16_DF16_LN4vllm18Fp8KVCacheDataTypeE0EhLi16ELi64ELi256ELb1ELi15EEvPKT_PKT0_S7_ifPKiS9_S9_iPKfiiiPfSC_PS2_PT2_iSB_SB_
	.globl	_Z39paged_attention_ll4mi_QKV_mfma16_kernelIDF16_DF16_LN4vllm18Fp8KVCacheDataTypeE0EhLi16ELi64ELi256ELb1ELi15EEvPKT_PKT0_S7_ifPKiS9_S9_iPKfiiiPfSC_PS2_PT2_iSB_SB_
	.p2align	8
	.type	_Z39paged_attention_ll4mi_QKV_mfma16_kernelIDF16_DF16_LN4vllm18Fp8KVCacheDataTypeE0EhLi16ELi64ELi256ELb1ELi15EEvPKT_PKT0_S7_ifPKiS9_S9_iPKfiiiPfSC_PS2_PT2_iSB_SB_,@function
_Z39paged_attention_ll4mi_QKV_mfma16_kernelIDF16_DF16_LN4vllm18Fp8KVCacheDataTypeE0EhLi16ELi64ELi256ELb1ELi15EEvPKT_PKT0_S7_ifPKiS9_S9_iPKfiiiPfSC_PS2_PT2_iSB_SB_: ; @_Z39paged_attention_ll4mi_QKV_mfma16_kernelIDF16_DF16_LN4vllm18Fp8KVCacheDataTypeE0EhLi16ELi64ELi256ELb1ELi15EEvPKT_PKT0_S7_ifPKiS9_S9_iPKfiiiPfSC_PS2_PT2_iSB_SB_
; %bb.0:
	s_load_dwordx2 s[8:9], s[0:1], 0x30
	s_mov_b32 s28, s3
	s_mov_b64 s[6:7], 0
	s_waitcnt lgkmcnt(0)
	s_cmp_lg_u64 s[8:9], 0
	s_cselect_b64 s[10:11], -1, 0
	s_and_b64 vcc, exec, s[10:11]
	s_cbranch_vccz .LBB14_7
; %bb.1:
	s_add_i32 s12, s2, 1
	s_mov_b32 s13, 0
	s_lshl_b64 s[14:15], s[12:13], 2
	s_add_u32 s14, s8, s14
	s_mov_b32 s3, s13
	s_addc_u32 s15, s9, s15
	s_lshl_b64 s[12:13], s[2:3], 2
	s_add_u32 s12, s8, s12
	s_addc_u32 s13, s9, s13
	s_load_dword s5, s[14:15], 0x0
	s_load_dword s16, s[12:13], 0x0
	s_waitcnt lgkmcnt(0)
	s_sub_i32 s5, s5, s16
	s_cmp_eq_u32 s5, 1
	s_cselect_b64 s[12:13], -1, 0
	s_andn2_b64 vcc, exec, s[6:7]
	s_cbranch_vccnz .LBB14_3
.LBB14_2:
	s_mov_b32 s3, 0
	s_mov_b64 s[12:13], -1
.LBB14_3:
	s_andn2_b64 vcc, exec, s[12:13]
	s_cbranch_vccnz .LBB14_20
; %bb.4:
	s_load_dwordx2 s[6:7], s[0:1], 0x28
	s_lshl_b64 s[12:13], s[2:3], 2
	s_waitcnt lgkmcnt(0)
	s_add_u32 s6, s6, s12
	s_addc_u32 s7, s7, s13
	s_load_dword s29, s[6:7], 0x0
	s_lshl_b32 s16, s28, 8
	s_waitcnt lgkmcnt(0)
	s_cmp_ge_i32 s16, s29
	s_cbranch_scc1 .LBB14_20
; %bb.5:
	s_load_dwordx2 s[6:7], s[0:1], 0x20
	s_load_dword s5, s[0:1], 0x38
	s_add_i32 s14, s29, 15
	s_ashr_i32 s15, s14, 31
	v_and_b32_e32 v1, 0xcf, v0
	s_lshr_b32 s15, s15, 28
	v_add_u32_e32 v1, s16, v1
	s_add_i32 s14, s14, s15
	v_ashrrev_i32_e32 v2, 31, v1
	s_ashr_i32 s17, s14, 4
	v_lshrrev_b32_e32 v6, 28, v2
	s_add_i32 s17, s17, -1
	s_waitcnt lgkmcnt(0)
	s_mul_i32 s14, s2, s5
	s_mov_b32 s15, 0
	v_add_u32_e32 v2, v1, v6
	s_lshl_b64 s[14:15], s[14:15], 2
	v_ashrrev_i32_e32 v2, 4, v2
	v_mov_b32_e32 v7, s17
	v_cmp_gt_i32_e32 vcc, s29, v1
	s_add_u32 s6, s6, s14
	s_addc_u32 s7, s7, s15
	v_cndmask_b32_e32 v2, v7, v2, vcc
	v_ashrrev_i32_e32 v3, 31, v2
	v_lshl_add_u64 v[4:5], v[2:3], 2, s[6:7]
	v_or_b32_e32 v2, 16, v1
	v_add_u32_e32 v3, v2, v6
	v_ashrrev_i32_e32 v3, 4, v3
	v_cmp_gt_i32_e32 vcc, s29, v2
	s_load_dwordx2 s[14:15], s[0:1], 0x8
	s_nop 0
	v_cndmask_b32_e32 v2, v7, v3, vcc
	v_ashrrev_i32_e32 v3, 31, v2
	v_lshl_add_u64 v[8:9], v[2:3], 2, s[6:7]
	v_or_b32_e32 v2, 32, v1
	v_add_u32_e32 v3, v2, v6
	v_ashrrev_i32_e32 v3, 4, v3
	v_cmp_gt_i32_e32 vcc, s29, v2
	v_or_b32_e32 v1, 48, v1
	s_nop 0
	v_cndmask_b32_e32 v2, v7, v3, vcc
	v_ashrrev_i32_e32 v3, 31, v2
	v_lshl_add_u64 v[10:11], v[2:3], 2, s[6:7]
	v_add_u32_e32 v2, v1, v6
	v_ashrrev_i32_e32 v2, 4, v2
	v_cmp_gt_i32_e32 vcc, s29, v1
	s_nop 1
	v_cndmask_b32_e32 v2, v7, v2, vcc
	v_ashrrev_i32_e32 v3, 31, v2
	v_lshl_add_u64 v[12:13], v[2:3], 2, s[6:7]
	global_load_dword v3, v[4:5], off
	global_load_dword v2, v[8:9], off
	global_load_dword v6, v[10:11], off
	global_load_dword v14, v[12:13], off
	s_andn2_b64 vcc, exec, s[10:11]
	s_cbranch_vccnz .LBB14_8
; %bb.6:
	s_add_u32 s8, s8, s12
	s_addc_u32 s9, s9, s13
	s_load_dword s5, s[8:9], 0x0
	s_branch .LBB14_9
.LBB14_7:
	s_mov_b64 s[12:13], 0
	s_branch .LBB14_2
.LBB14_8:
	s_mov_b32 s5, s2
.LBB14_9:
	s_load_dwordx2 s[8:9], s[0:1], 0x10
	s_load_dwordx4 s[44:47], s[0:1], 0x48
	v_lshrrev_b32_e32 v45, 6, v0
	v_bfe_u32 v54, v0, 4, 2
	v_lshl_or_b32 v1, v45, 2, v54
	v_and_b32_e32 v44, 15, v0
	v_lshlrev_b32_e32 v4, 3, v44
	v_cmp_gt_u32_e32 vcc, 15, v1
	v_cmp_gt_u32_e64 s[30:31], 8, v44
	s_mul_i32 s42, s4, 15
	s_and_b64 s[12:13], s[30:31], vcc
	v_lshlrev_b32_e32 v42, 1, v4
	s_and_saveexec_b64 s[10:11], s[12:13]
	s_cbranch_execz .LBB14_11
; %bb.10:
	s_load_dwordx2 s[12:13], s[0:1], 0x0
	s_waitcnt lgkmcnt(0)
	s_ashr_i32 s18, s44, 31
	s_mul_hi_u32 s19, s5, s44
	s_mul_i32 s18, s5, s18
	s_add_i32 s19, s19, s18
	s_mul_i32 s18, s5, s44
	s_lshl_b64 s[18:19], s[18:19], 1
	s_add_u32 s12, s12, s18
	v_add_lshl_u32 v4, v1, s42, 6
	s_addc_u32 s13, s13, s19
	v_ashrrev_i32_e32 v5, 31, v4
	v_lshl_add_u64 v[4:5], v[4:5], 1, s[12:13]
	v_mov_b32_e32 v43, 0
	v_lshl_add_u64 v[4:5], v[4:5], 0, v[42:43]
	global_load_dwordx4 v[8:11], v[4:5], off
	v_and_b32_e32 v4, 3, v0
	v_lshlrev_b32_e32 v5, 9, v44
	v_lshlrev_b32_e32 v1, 5, v1
	;; [unrolled: 1-line block ×3, first 2 shown]
	v_and_b32_e32 v5, 0x1800, v5
	v_or3_b32 v1, v5, v4, v1
	s_waitcnt vmcnt(0)
	ds_write_b128 v1, v[8:11]
.LBB14_11:
	s_or_b64 exec, exec, s[10:11]
	s_waitcnt lgkmcnt(0)
	s_mov_b32 s5, 0
	s_mul_i32 s4, s4, s46
	s_lshl_b64 s[4:5], s[4:5], 1
	s_add_u32 s10, s14, s4
	v_lshlrev_b32_e32 v1, 4, v0
	v_mov_b32_e32 v47, 0
	s_addc_u32 s11, s15, s5
	v_and_b32_e32 v46, 0xf0, v1
	v_lshl_add_u64 v[16:17], s[10:11], 0, v[46:47]
	s_waitcnt vmcnt(3)
	v_mad_i64_i32 v[4:5], s[10:11], v3, s45, 0
	s_waitcnt vmcnt(2)
	v_mad_i64_i32 v[2:3], s[10:11], v2, s45, 0
	s_waitcnt vmcnt(1)
	v_mad_i64_i32 v[6:7], s[10:11], v6, s45, 0
	v_lshl_add_u64 v[4:5], v[4:5], 1, v[16:17]
	v_and_b32_e32 v46, 0x300, v1
	v_lshl_add_u64 v[2:3], v[2:3], 1, v[16:17]
	v_lshl_add_u64 v[6:7], v[6:7], 1, v[16:17]
	s_waitcnt vmcnt(0)
	v_mad_i64_i32 v[14:15], s[10:11], v14, s45, 0
	v_lshl_add_u64 v[4:5], v[4:5], 0, v[46:47]
	v_lshl_add_u64 v[8:9], v[2:3], 0, v[46:47]
	;; [unrolled: 1-line block ×4, first 2 shown]
	s_barrier
	global_load_dwordx4 v[30:33], v[4:5], off
	global_load_dwordx4 v[10:13], v[4:5], off offset:1024
	global_load_dwordx4 v[22:25], v[8:9], off
	s_nop 0
	global_load_dwordx4 v[2:5], v[8:9], off offset:1024
	global_load_dwordx4 v[26:29], v[18:19], off
	s_nop 0
	global_load_dwordx4 v[6:9], v[18:19], off offset:1024
	v_lshl_add_u64 v[18:19], v[14:15], 0, v[46:47]
	global_load_dwordx4 v[34:37], v[18:19], off
	global_load_dwordx4 v[14:17], v[18:19], off offset:1024
	v_cmp_ne_u32_e32 vcc, 15, v44
	v_and_b32_e32 v55, 63, v0
	v_mov_b32_e32 v56, 0
	v_cndmask_b32_e32 v18, 0, v44, vcc
	v_lshlrev_b32_e32 v18, 5, v18
	v_lshl_or_b32 v18, v54, 9, v18
	ds_read_b128 v[38:41], v18
	ds_read_b128 v[18:21], v18 offset:2048
	s_and_saveexec_b64 s[10:11], vcc
	s_cbranch_execz .LBB14_13
; %bb.12:
	s_load_dwordx2 s[12:13], s[0:1], 0x40
	v_add_u32_e32 v48, s42, v44
	v_ashrrev_i32_e32 v49, 31, v48
	s_waitcnt lgkmcnt(0)
	v_lshl_add_u64 v[48:49], v[48:49], 2, s[12:13]
	global_load_dword v56, v[48:49], off
.LBB14_13:
	s_or_b64 exec, exec, s[10:11]
	v_and_or_b32 v46, v0, 48, s16
	v_ashrrev_i32_e32 v43, 4, v46
	v_mov_b32_e32 v57, s17
	v_cmp_gt_i32_e32 vcc, s29, v46
	s_waitcnt vmcnt(5) lgkmcnt(1)
	v_mfma_f32_16x16x16_f16 v[58:61], v[22:23], v[38:39], 0
	s_load_dword s10, s[0:1], 0x1c
	v_cndmask_b32_e32 v48, v57, v43, vcc
	v_ashrrev_i32_e32 v49, 31, v48
	v_or_b32_e32 v43, 64, v46
	v_lshl_add_u64 v[52:53], v[48:49], 2, s[6:7]
	v_mfma_f32_16x16x16_f16 v[48:51], v[30:31], v[38:39], 0
	v_ashrrev_i32_e32 v30, 4, v43
	v_cmp_gt_i32_e32 vcc, s29, v43
	global_load_dword v70, v[52:53], off
	s_waitcnt vmcnt(4)
	v_mfma_f32_16x16x16_f16 v[62:65], v[26:27], v[38:39], 0
	v_cndmask_b32_e32 v30, v57, v30, vcc
	v_ashrrev_i32_e32 v31, 31, v30
	v_lshl_add_u64 v[22:23], v[30:31], 2, s[6:7]
	global_load_dword v71, v[22:23], off
	v_mfma_f32_16x16x16_f16 v[22:25], v[24:25], v[40:41], v[58:61]
	v_and_b32_e32 v26, 0xc0, v0
	s_add_u32 s4, s8, s4
	v_lshlrev_b32_e32 v43, 5, v44
	v_mfma_f32_16x16x16_f16 v[30:33], v[32:33], v[40:41], v[48:51]
	s_addc_u32 s5, s9, s5
	s_mov_b32 s33, 0xff7fffff
	s_waitcnt vmcnt(3)
	v_mfma_f32_16x16x16_f16 v[66:69], v[34:35], v[38:39], 0
	v_or_b32_e32 v38, 0x80, v46
	v_add_u32_e32 v48, s16, v26
	v_or_b32_e32 v39, 0xc0, v46
	v_mfma_f32_16x16x16_f16 v[26:29], v[28:29], v[40:41], v[62:65]
	v_ashrrev_i32_e32 v49, 4, v38
	v_cmp_gt_i32_e32 vcc, s29, v38
	v_ashrrev_i32_e32 v50, 4, v39
	s_waitcnt lgkmcnt(0)
	v_mfma_f32_16x16x16_f16 v[22:25], v[2:3], v[18:19], v[22:25]
	v_cndmask_b32_e32 v38, v57, v49, vcc
	v_cmp_gt_i32_e32 vcc, s29, v39
	v_ashrrev_i32_e32 v39, 31, v38
	v_mfma_f32_16x16x16_f16 v[30:33], v[10:11], v[18:19], v[30:33]
	v_cndmask_b32_e32 v10, v57, v50, vcc
	v_ashrrev_i32_e32 v11, 31, v10
	v_lshl_or_b32 v58, v54, 2, v48
	v_mfma_f32_16x16x16_f16 v[26:29], v[6:7], v[18:19], v[26:29]
	v_lshl_add_u64 v[6:7], v[38:39], 2, s[6:7]
	v_lshl_add_u64 v[38:39], v[10:11], 2, s[6:7]
	v_or_b32_e32 v57, 1, v58
	v_mfma_f32_16x16x16_f16 v[2:5], v[4:5], v[20:21], v[22:25]
	s_nop 2
	global_load_dword v22, v[6:7], off
	global_load_dword v61, v[38:39], off
	v_subrev_u32_e32 v59, s29, v57
	v_cvt_f32_i32_e32 v60, v59
	v_mfma_f32_16x16x16_f16 v[34:37], v[36:37], v[40:41], v[66:69]
	v_pk_mul_f32 v[48:49], s[10:11], v[4:5] op_sel_hi:[0,1]
	v_lshl_or_b32 v46, v45, 9, v43
	v_lshl_add_u64 v[46:47], s[4:5], 0, v[46:47]
	s_waitcnt vmcnt(4)
	v_mfma_f32_16x16x16_f16 v[34:37], v[14:15], v[18:19], v[34:37]
	v_add_u32_e32 v14, 1, v59
	v_add_u32_e32 v15, 2, v59
	v_cvt_f32_i32_e32 v23, v14
	v_cvt_f32_i32_e32 v24, v15
	v_mfma_f32_16x16x16_f16 v[14:17], v[16:17], v[20:21], v[34:37]
	v_add_u32_e32 v18, 3, v59
	v_cvt_f32_i32_e32 v18, v18
	v_pk_mul_f32 v[50:51], s[10:11], v[2:3] op_sel_hi:[0,1]
	v_mfma_f32_16x16x16_f16 v[10:13], v[12:13], v[20:21], v[30:33]
	v_cmp_gt_i32_e64 s[34:35], s29, v57
	s_nop 1
	v_pk_mul_f32 v[36:37], s[10:11], v[14:15] op_sel_hi:[0,1]
	v_add_u32_e32 v15, 19, v59
	v_add_u32_e32 v31, 18, v59
	v_cvt_f32_i32_e32 v14, v31
	v_cvt_f32_i32_e32 v15, v15
	v_mfma_f32_16x16x16_f16 v[6:9], v[8:9], v[20:21], v[26:29]
	v_pk_mul_f32 v[34:35], s[10:11], v[16:17] op_sel_hi:[0,1]
	v_fma_f32 v48, v56, v14, v48
	v_add_u32_e32 v14, 32, v59
	v_fmac_f32_e32 v49, v56, v15
	v_cvt_f32_i32_e32 v14, v14
	v_add_u32_e32 v15, 33, v59
	v_add_u32_e32 v16, 34, v59
	v_cvt_f32_i32_e32 v15, v15
	v_cvt_f32_i32_e32 v16, v16
	v_add_u32_e32 v17, 35, v59
	v_cvt_f32_i32_e32 v17, v17
	v_pk_mul_f32 v[40:41], s[10:11], v[6:7] op_sel_hi:[0,1]
	v_pk_mul_f32 v[38:39], s[10:11], v[8:9] op_sel_hi:[0,1]
	v_fma_f32 v40, v56, v14, v40
	v_add_u32_e32 v14, 48, v59
	v_fmac_f32_e32 v41, v56, v15
	v_fma_f32 v38, v56, v16, v38
	v_cvt_f32_i32_e32 v14, v14
	v_add_u32_e32 v15, 49, v59
	v_add_u32_e32 v16, 50, v59
	v_fmac_f32_e32 v39, v56, v17
	v_cvt_f32_i32_e32 v15, v15
	v_cvt_f32_i32_e32 v16, v16
	v_add_u32_e32 v17, 51, v59
	v_cvt_f32_i32_e32 v17, v17
	v_pk_mul_f32 v[52:53], s[10:11], v[12:13] op_sel_hi:[0,1]
	v_pk_mul_f32 v[10:11], s[10:11], v[10:11] op_sel_hi:[0,1]
	s_waitcnt vmcnt(3)
	v_mad_i64_i32 v[2:3], s[4:5], v70, s45, 0
	s_waitcnt vmcnt(2)
	v_mad_i64_i32 v[12:13], s[4:5], v71, s45, 0
	v_fma_f32 v10, v56, v60, v10
	v_fmac_f32_e32 v11, v56, v23
	v_fma_f32 v36, v56, v14, v36
	v_mov_b32_e32 v14, 0xff7fffff
	v_cmp_gt_i32_e64 s[4:5], s29, v58
	v_add_u32_e32 v19, 16, v59
	v_add_u32_e32 v30, 17, v59
	v_fmac_f32_e32 v37, v56, v15
	v_fma_f32 v34, v56, v16, v34
	v_cndmask_b32_e64 v15, v14, v10, s[4:5]
	v_cndmask_b32_e64 v16, v14, v11, s[34:35]
	v_cvt_f32_i32_e32 v19, v19
	v_cvt_f32_i32_e32 v25, v30
	v_fmac_f32_e32 v35, v56, v17
	v_max3_f32 v15, v15, s33, v16
	v_or_b32_e32 v16, 2, v58
	v_or_b32_e32 v17, 3, v58
	v_fma_f32 v52, v56, v24, v52
	v_fmac_f32_e32 v53, v56, v18
	v_cmp_gt_i32_e64 s[36:37], s29, v16
	v_cmp_gt_i32_e64 s[38:39], s29, v17
	v_fma_f32 v50, v56, v19, v50
	v_cndmask_b32_e64 v16, v14, v52, s[36:37]
	v_cndmask_b32_e64 v17, v14, v53, s[38:39]
	v_max3_f32 v15, v15, v16, v17
	v_or_b32_e32 v16, 16, v58
	v_or_b32_e32 v17, 17, v58
	v_fmac_f32_e32 v51, v56, v25
	v_cmp_gt_i32_e64 s[24:25], s29, v16
	v_cmp_gt_i32_e64 s[26:27], s29, v17
	v_lshl_add_u64 v[2:3], v[2:3], 1, v[46:47]
	v_cndmask_b32_e64 v16, v14, v50, s[24:25]
	v_cndmask_b32_e64 v17, v14, v51, s[26:27]
	v_max3_f32 v15, v15, v16, v17
	v_or_b32_e32 v16, 18, v58
	v_or_b32_e32 v17, 19, v58
	v_cmp_gt_i32_e64 s[20:21], s29, v16
	v_cmp_gt_i32_e64 s[22:23], s29, v17
	v_lshl_add_u64 v[12:13], v[12:13], 1, v[46:47]
	v_cndmask_b32_e64 v16, v14, v48, s[20:21]
	v_cndmask_b32_e64 v17, v14, v49, s[22:23]
	v_max3_f32 v15, v15, v16, v17
	v_or_b32_e32 v16, 32, v58
	v_or_b32_e32 v17, 33, v58
	v_cmp_gt_i32_e64 s[16:17], s29, v16
	v_cmp_gt_i32_e64 s[18:19], s29, v17
	global_load_dwordx4 v[6:9], v[2:3], off
	s_nop 0
	global_load_dwordx4 v[2:5], v[2:3], off offset:16
	v_cndmask_b32_e64 v16, v14, v40, s[16:17]
	v_cndmask_b32_e64 v17, v14, v41, s[18:19]
	v_max3_f32 v15, v15, v16, v17
	v_or_b32_e32 v16, 34, v58
	v_or_b32_e32 v17, 35, v58
	v_cmp_gt_i32_e64 s[12:13], s29, v16
	v_cmp_gt_i32_e64 s[14:15], s29, v17
	global_load_dwordx4 v[30:33], v[12:13], off
	global_load_dwordx4 v[26:29], v[12:13], off offset:16
	v_cndmask_b32_e64 v16, v14, v38, s[12:13]
	v_cndmask_b32_e64 v17, v14, v39, s[14:15]
	v_max3_f32 v15, v15, v16, v17
	v_or_b32_e32 v16, 48, v58
	v_or_b32_e32 v17, 49, v58
	v_cmp_gt_i32_e64 s[8:9], s29, v16
	v_cmp_gt_i32_e64 s[10:11], s29, v17
	s_nop 0
	v_cndmask_b32_e64 v16, v14, v36, s[8:9]
	v_cndmask_b32_e64 v17, v14, v37, s[10:11]
	v_max3_f32 v15, v15, v16, v17
	v_or_b32_e32 v16, 50, v58
	v_or_b32_e32 v17, 51, v58
	v_cmp_gt_i32_e32 vcc, s29, v16
	v_cmp_gt_i32_e64 s[6:7], s29, v17
	s_nop 0
	v_cndmask_b32_e32 v16, v14, v34, vcc
	v_cndmask_b32_e64 v14, v14, v35, s[6:7]
	v_max3_f32 v14, v15, v16, v14
	v_mbcnt_lo_u32_b32 v15, -1, 0
	v_mbcnt_hi_u32_b32 v15, -1, v15
	v_and_b32_e32 v16, 64, v15
	v_add_u32_e32 v16, 64, v16
	v_xor_b32_e32 v17, 32, v15
	v_cmp_lt_i32_e64 s[40:41], v17, v16
	s_nop 1
	v_cndmask_b32_e64 v17, v15, v17, s[40:41]
	v_lshlrev_b32_e32 v57, 2, v17
	ds_bpermute_b32 v17, v57, v14
	s_waitcnt vmcnt(5)
	v_mad_i64_i32 v[12:13], s[40:41], v22, s45, 0
	v_lshl_add_u64 v[12:13], v[12:13], 1, v[46:47]
	global_load_dwordx4 v[22:25], v[12:13], off
	global_load_dwordx4 v[18:21], v[12:13], off offset:16
	s_waitcnt lgkmcnt(0)
	v_max_f32_e32 v17, v17, v17
	v_max_f32_e32 v14, v14, v17
	v_xor_b32_e32 v17, 16, v15
	v_cmp_lt_i32_e64 s[40:41], v17, v16
	s_nop 1
	v_cndmask_b32_e64 v15, v15, v17, s[40:41]
	v_lshlrev_b32_e32 v59, 2, v15
	ds_bpermute_b32 v15, v59, v14
	s_waitcnt vmcnt(6)
	v_mad_i64_i32 v[12:13], s[40:41], v61, s45, 0
	v_lshl_add_u64 v[12:13], v[12:13], 1, v[46:47]
	s_waitcnt lgkmcnt(0)
	v_max_f32_e32 v15, v15, v15
	v_max_f32_e32 v56, v14, v15
	v_sub_f32_e32 v10, v10, v56
	v_mul_f32_e32 v10, 0x3fb8aa3b, v10
	v_exp_f32_e32 v46, v10
	v_sub_f32_e32 v10, v11, v56
	v_mul_f32_e32 v10, 0x3fb8aa3b, v10
	v_exp_f32_e32 v47, v10
	global_load_dwordx4 v[14:17], v[12:13], off
	s_nop 0
	global_load_dwordx4 v[10:13], v[12:13], off offset:16
	v_sub_f32_e32 v52, v52, v56
	v_mul_f32_e32 v52, 0x3fb8aa3b, v52
	v_sub_f32_e32 v53, v53, v56
	v_exp_f32_e32 v52, v52
	v_mul_f32_e32 v53, 0x3fb8aa3b, v53
	v_sub_f32_e32 v50, v50, v56
	v_exp_f32_e32 v53, v53
	v_mul_f32_e32 v50, 0x3fb8aa3b, v50
	v_sub_f32_e32 v51, v51, v56
	v_cndmask_b32_e64 v46, 0, v46, s[4:5]
	v_exp_f32_e32 v50, v50
	v_mul_f32_e32 v51, 0x3fb8aa3b, v51
	v_sub_f32_e32 v48, v48, v56
	v_add_f32_e32 v58, 0, v46
	v_cndmask_b32_e64 v47, 0, v47, s[34:35]
	v_exp_f32_e32 v51, v51
	v_mul_f32_e32 v48, 0x3fb8aa3b, v48
	v_sub_f32_e32 v49, v49, v56
	v_add_f32_e32 v58, v58, v47
	;; [unrolled: 5-line block ×10, first 2 shown]
	v_cndmask_b32_e64 v38, 0, v38, s[12:13]
	v_exp_f32_e32 v34, v34
	v_mul_f32_e32 v35, 0x3fb8aa3b, v35
	v_add_f32_e32 v58, v58, v38
	v_cndmask_b32_e64 v39, 0, v39, s[14:15]
	v_exp_f32_e32 v35, v35
	v_add_f32_e32 v58, v58, v39
	v_cndmask_b32_e64 v36, 0, v36, s[8:9]
	v_add_f32_e32 v58, v58, v36
	v_cndmask_b32_e64 v37, 0, v37, s[10:11]
	v_add_f32_e32 v58, v58, v37
	v_cndmask_b32_e32 v34, 0, v34, vcc
	v_add_f32_e32 v58, v58, v34
	v_cndmask_b32_e64 v35, 0, v35, s[6:7]
	v_add_f32_e32 v58, v58, v35
	ds_bpermute_b32 v57, v57, v58
	s_load_dword s7, s[0:1], 0x98
	v_cmp_gt_u32_e32 vcc, 16, v55
	s_waitcnt lgkmcnt(0)
	s_barrier
	v_add_f32_e32 v58, v58, v57
	ds_bpermute_b32 v59, v59, v58
	v_lshlrev_b32_e32 v57, 2, v44
	s_waitcnt lgkmcnt(0)
	s_and_saveexec_b64 s[4:5], vcc
	s_cbranch_execz .LBB14_15
; %bb.14:
	v_add_f32_e32 v55, v58, v59
	v_lshl_or_b32 v58, v45, 6, v57
	ds_write2st64_b32 v58, v56, v55 offset1:1
.LBB14_15:
	s_or_b64 exec, exec, s[4:5]
	s_load_dword s6, s[0:1], 0x94
	s_waitcnt lgkmcnt(0)
	s_barrier
	ds_read2_b32 v[58:59], v57 offset1:16
	ds_read2_b32 v[60:61], v57 offset0:32 offset1:48
	ds_read2_b32 v[62:63], v57 offset0:64 offset1:80
	s_mul_i32 s7, s7, 15
	s_waitcnt lgkmcnt(2)
	v_max3_f32 v55, v58, s33, v59
	s_waitcnt lgkmcnt(1)
	v_max3_f32 v55, v55, v60, v61
	v_sub_f32_e32 v56, v58, v55
	v_mul_f32_e32 v56, 0x3fb8aa3b, v56
	v_exp_f32_e32 v64, v56
	v_sub_f32_e32 v56, v59, v55
	v_mul_f32_e32 v56, 0x3fb8aa3b, v56
	v_exp_f32_e32 v65, v56
	;; [unrolled: 3-line block ×3, first 2 shown]
	ds_read2_b32 v[58:59], v57 offset0:96 offset1:112
	v_sub_f32_e32 v56, v61, v55
	v_mul_f32_e32 v56, 0x3fb8aa3b, v56
	v_exp_f32_e32 v57, v56
	s_waitcnt lgkmcnt(1)
	v_fma_f32 v56, v64, v62, 0
	v_fmac_f32_e32 v56, v65, v63
	s_waitcnt lgkmcnt(0)
	v_fmac_f32_e32 v56, v60, v58
	v_fmac_f32_e32 v56, v57, v59
	v_add_f32_e32 v58, 0x358637bd, v56
	v_div_scale_f32 v59, s[4:5], v58, v58, 1.0
	v_rcp_f32_e32 v61, v59
	s_barrier
	v_fma_f32 v62, -v59, v61, 1.0
	v_fmac_f32_e32 v61, v62, v61
	v_div_scale_f32 v62, vcc, 1.0, v58, 1.0
	v_mul_f32_e32 v63, v62, v61
	v_fma_f32 v66, -v59, v63, v62
	v_fmac_f32_e32 v63, v66, v61
	v_fma_f32 v59, -v59, v63, v62
	v_div_fmas_f32 v59, v59, v61, v63
	v_cmp_eq_u32_e32 vcc, 1, v45
	v_div_fixup_f32 v58, v59, v58, 1.0
	s_nop 0
	v_cndmask_b32_e32 v59, v64, v65, vcc
	v_cmp_eq_u32_e32 vcc, 2, v45
	s_nop 1
	v_cndmask_b32_e32 v59, v59, v60, vcc
	v_cmp_eq_u32_e32 vcc, 3, v45
	v_lshlrev_b32_e32 v45, 11, v45
	s_nop 0
	v_cndmask_b32_e32 v57, v59, v57, vcc
	v_mul_f32_e32 v58, v57, v58
	v_pk_mul_f32 v[46:47], v[58:59], v[46:47] op_sel_hi:[0,1]
	v_cvt_f16_f32_e32 v46, v46
	v_cvt_f16_f32_e32 v47, v47
	v_pk_mul_f32 v[52:53], v[58:59], v[52:53] op_sel_hi:[0,1]
	v_cvt_f16_f32_e32 v57, v52
	v_cvt_f16_f32_e32 v53, v53
	v_pack_b32_f16 v52, v46, v47
	v_pk_mul_f32 v[46:47], v[58:59], v[48:49] op_sel_hi:[0,1]
	v_pk_mul_f32 v[48:49], v[58:59], v[50:51] op_sel_hi:[0,1]
	v_cvt_f16_f32_e32 v48, v48
	v_cvt_f16_f32_e32 v49, v49
	;; [unrolled: 1-line block ×4, first 2 shown]
	v_pack_b32_f16 v53, v57, v53
	v_lshlrev_b32_e32 v57, 3, v54
	v_pk_mul_f32 v[38:39], v[58:59], v[38:39] op_sel_hi:[0,1]
	v_pk_mul_f32 v[40:41], v[58:59], v[40:41] op_sel_hi:[0,1]
	;; [unrolled: 1-line block ×4, first 2 shown]
	v_or3_b32 v46, v45, v43, v57
	v_pack_b32_f16 v48, v48, v49
	v_pack_b32_f16 v49, v50, v47
	v_cvt_f16_f32_e32 v40, v40
	v_cvt_f16_f32_e32 v41, v41
	;; [unrolled: 1-line block ×8, first 2 shown]
	v_pack_b32_f16 v34, v40, v41
	v_pack_b32_f16 v35, v38, v39
	;; [unrolled: 1-line block ×4, first 2 shown]
	v_cmp_gt_u32_e32 vcc, 15, v0
	ds_write2st64_b64 v46, v[52:53], v[48:49] offset1:1
	ds_write2st64_b64 v46, v[34:35], v[36:37] offset0:2 offset1:3
	s_and_saveexec_b64 s[4:5], vcc
	s_cbranch_execz .LBB14_17
; %bb.16:
	s_mov_b32 s43, 0
	v_mov_b32_e32 v45, 0
	v_lshl_add_u64 v[34:35], s[42:43], 0, v[44:45]
	v_mov_b32_e32 v36, s7
	v_mad_u64_u32 v[34:35], s[12:13], s2, v36, v[34:35]
	s_mul_i32 s3, s3, s7
	v_mov_b32_e32 v44, s28
	s_load_dwordx4 s[8:11], s[0:1], 0x58
	v_add_u32_e32 v37, s3, v35
	v_mad_u64_u32 v[34:35], s[12:13], v34, s6, v[44:45]
	v_mov_b32_e32 v36, v35
	v_mad_u64_u32 v[36:37], s[12:13], v37, s6, v[36:37]
	v_mov_b32_e32 v35, v36
	v_lshlrev_b64 v[34:35], 2, v[34:35]
	s_waitcnt lgkmcnt(0)
	v_lshl_add_u64 v[36:37], s[10:11], 0, v[34:35]
	v_lshl_add_u64 v[34:35], s[8:9], 0, v[34:35]
	global_store_dword v[36:37], v55, off
	global_store_dword v[34:35], v56, off
.LBB14_17:
	s_or_b64 exec, exec, s[4:5]
	v_lshl_or_b32 v43, v54, 9, v43
	s_waitcnt lgkmcnt(0)
	s_barrier
	ds_read_b128 v[34:37], v43
	ds_read_b128 v[38:41], v43 offset:16
	s_waitcnt vmcnt(7) lgkmcnt(1)
	v_mfma_f32_16x16x16_f16 v[48:51], v[6:7], v[34:35], 0
	v_cmp_gt_u32_e32 vcc, 64, v0
	s_mov_b32 s3, 0
	s_and_b64 s[4:5], vcc, s[30:31]
	v_mfma_f32_16x16x16_f16 v[6:9], v[8:9], v[36:37], v[48:51]
	s_waitcnt vmcnt(6) lgkmcnt(0)
	v_mfma_f32_16x16x16_f16 v[6:9], v[2:3], v[38:39], v[6:9]
	v_mfma_f32_16x16x16_f16 v[2:5], v[4:5], v[40:41], v[6:9]
	s_nop 5
	ds_read_b128 v[6:9], v43 offset:2048
	ds_read_b128 v[34:37], v43 offset:2064
	s_waitcnt vmcnt(5) lgkmcnt(1)
	v_mfma_f32_16x16x16_f16 v[2:5], v[30:31], v[6:7], v[2:5]
	v_mfma_f32_16x16x16_f16 v[2:5], v[32:33], v[8:9], v[2:5]
	s_waitcnt vmcnt(4) lgkmcnt(0)
	v_mfma_f32_16x16x16_f16 v[2:5], v[26:27], v[34:35], v[2:5]
	v_mfma_f32_16x16x16_f16 v[2:5], v[28:29], v[36:37], v[2:5]
	ds_read_b128 v[6:9], v43 offset:4096
	ds_read_b128 v[26:29], v43 offset:4112
	s_waitcnt vmcnt(3) lgkmcnt(1)
	v_mfma_f32_16x16x16_f16 v[2:5], v[22:23], v[6:7], v[2:5]
	v_mfma_f32_16x16x16_f16 v[2:5], v[24:25], v[8:9], v[2:5]
	s_waitcnt vmcnt(2) lgkmcnt(0)
	v_mfma_f32_16x16x16_f16 v[2:5], v[18:19], v[26:27], v[2:5]
	v_mfma_f32_16x16x16_f16 v[2:5], v[20:21], v[28:29], v[2:5]
	ds_read_b128 v[6:9], v43 offset:6144
	ds_read_b128 v[18:21], v43 offset:6160
	v_mov_b32_e32 v43, 0
	s_waitcnt vmcnt(1) lgkmcnt(0)
	v_mfma_f32_16x16x16_f16 v[2:5], v[14:15], v[6:7], v[2:5]
	s_barrier
	v_mfma_f32_16x16x16_f16 v[2:5], v[16:17], v[8:9], v[2:5]
	s_waitcnt vmcnt(0)
	v_mfma_f32_16x16x16_f16 v[2:5], v[10:11], v[18:19], v[2:5]
	v_mfma_f32_16x16x16_f16 v[2:5], v[12:13], v[20:21], v[2:5]
	s_nop 6
	v_cvt_f16_f32_e32 v2, v2
	v_cvt_f16_f32_e32 v3, v3
	v_cvt_f16_f32_e32 v4, v4
	v_cvt_f16_f32_e32 v5, v5
	v_pack_b32_f16 v2, v2, v3
	v_pack_b32_f16 v3, v4, v5
	ds_write_b64 v46, v[2:3]
	s_waitcnt lgkmcnt(0)
	s_barrier
	s_and_saveexec_b64 s[8:9], s[4:5]
	s_cbranch_execz .LBB14_20
; %bb.18:
	s_load_dwordx2 s[4:5], s[0:1], 0x68
	s_lshl_b32 s0, s6, 6
	s_mul_i32 s1, s7, s2
	s_mul_hi_u32 s7, s1, s0
	s_mul_i32 s6, s1, s0
	v_lshlrev_b32_e32 v0, 10, v0
	s_lshl_b64 s[6:7], s[6:7], 1
	v_and_b32_e32 v0, 0x1800, v0
	v_lshlrev_b32_e32 v2, 5, v54
	v_and_b32_e32 v1, 16, v1
	s_waitcnt lgkmcnt(0)
	s_add_u32 s1, s4, s6
	v_or3_b32 v2, v0, v2, v1
	s_addc_u32 s4, s5, s7
	s_lshl_b32 s2, s28, 6
	ds_read_b128 v[4:7], v2 offset:256
	s_lshl_b64 s[2:3], s[2:3], 1
	ds_read_b128 v[8:11], v2 offset:128
	ds_read_b128 v[12:15], v2
	s_add_u32 s2, s1, s2
	s_addc_u32 s3, s4, s3
	v_add_u32_e32 v3, s42, v54
	v_lshl_add_u64 v[0:1], s[2:3], 0, v[42:43]
	v_mad_u64_u32 v[16:17], s[2:3], v3, s0, 0
	v_lshl_add_u64 v[16:17], v[16:17], 1, v[0:1]
	s_waitcnt lgkmcnt(0)
	global_store_dwordx4 v[16:17], v[12:15], off
	v_cmp_ne_u32_e32 vcc, 3, v54
	s_nop 0
	v_add_u32_e32 v12, 4, v3
	v_mad_u64_u32 v[12:13], s[2:3], v12, s0, 0
	v_lshl_add_u64 v[12:13], v[12:13], 1, v[0:1]
	v_add_u32_e32 v3, 8, v3
	global_store_dwordx4 v[12:13], v[8:11], off
	s_nop 1
	v_mad_u64_u32 v[8:9], s[2:3], v3, s0, 0
	v_lshl_add_u64 v[8:9], v[8:9], 1, v[0:1]
	global_store_dwordx4 v[8:9], v[4:7], off
	s_and_b64 exec, exec, vcc
	s_cbranch_execz .LBB14_20
; %bb.19:
	ds_read_b128 v[2:5], v2 offset:384
	v_add3_u32 v6, s42, v54, 12
	v_mad_u64_u32 v[6:7], s[0:1], v6, s0, 0
	v_lshl_add_u64 v[0:1], v[6:7], 1, v[0:1]
	s_waitcnt lgkmcnt(0)
	global_store_dwordx4 v[0:1], v[2:5], off
.LBB14_20:
	s_endpgm
	.section	.rodata,"a",@progbits
	.p2align	6, 0x0
	.amdhsa_kernel _Z39paged_attention_ll4mi_QKV_mfma16_kernelIDF16_DF16_LN4vllm18Fp8KVCacheDataTypeE0EhLi16ELi64ELi256ELb1ELi15EEvPKT_PKT0_S7_ifPKiS9_S9_iPKfiiiPfSC_PS2_PT2_iSB_SB_
		.amdhsa_group_segment_fixed_size 8192
		.amdhsa_private_segment_fixed_size 0
		.amdhsa_kernarg_size 400
		.amdhsa_user_sgpr_count 2
		.amdhsa_user_sgpr_dispatch_ptr 0
		.amdhsa_user_sgpr_queue_ptr 0
		.amdhsa_user_sgpr_kernarg_segment_ptr 1
		.amdhsa_user_sgpr_dispatch_id 0
		.amdhsa_user_sgpr_kernarg_preload_length 0
		.amdhsa_user_sgpr_kernarg_preload_offset 0
		.amdhsa_user_sgpr_private_segment_size 0
		.amdhsa_uses_dynamic_stack 0
		.amdhsa_enable_private_segment 0
		.amdhsa_system_sgpr_workgroup_id_x 1
		.amdhsa_system_sgpr_workgroup_id_y 1
		.amdhsa_system_sgpr_workgroup_id_z 1
		.amdhsa_system_sgpr_workgroup_info 0
		.amdhsa_system_vgpr_workitem_id 0
		.amdhsa_next_free_vgpr 72
		.amdhsa_next_free_sgpr 48
		.amdhsa_accum_offset 72
		.amdhsa_reserve_vcc 1
		.amdhsa_float_round_mode_32 0
		.amdhsa_float_round_mode_16_64 0
		.amdhsa_float_denorm_mode_32 3
		.amdhsa_float_denorm_mode_16_64 3
		.amdhsa_dx10_clamp 1
		.amdhsa_ieee_mode 1
		.amdhsa_fp16_overflow 0
		.amdhsa_tg_split 0
		.amdhsa_exception_fp_ieee_invalid_op 0
		.amdhsa_exception_fp_denorm_src 0
		.amdhsa_exception_fp_ieee_div_zero 0
		.amdhsa_exception_fp_ieee_overflow 0
		.amdhsa_exception_fp_ieee_underflow 0
		.amdhsa_exception_fp_ieee_inexact 0
		.amdhsa_exception_int_div_zero 0
	.end_amdhsa_kernel
	.section	.text._Z39paged_attention_ll4mi_QKV_mfma16_kernelIDF16_DF16_LN4vllm18Fp8KVCacheDataTypeE0EhLi16ELi64ELi256ELb1ELi15EEvPKT_PKT0_S7_ifPKiS9_S9_iPKfiiiPfSC_PS2_PT2_iSB_SB_,"axG",@progbits,_Z39paged_attention_ll4mi_QKV_mfma16_kernelIDF16_DF16_LN4vllm18Fp8KVCacheDataTypeE0EhLi16ELi64ELi256ELb1ELi15EEvPKT_PKT0_S7_ifPKiS9_S9_iPKfiiiPfSC_PS2_PT2_iSB_SB_,comdat
.Lfunc_end14:
	.size	_Z39paged_attention_ll4mi_QKV_mfma16_kernelIDF16_DF16_LN4vllm18Fp8KVCacheDataTypeE0EhLi16ELi64ELi256ELb1ELi15EEvPKT_PKT0_S7_ifPKiS9_S9_iPKfiiiPfSC_PS2_PT2_iSB_SB_, .Lfunc_end14-_Z39paged_attention_ll4mi_QKV_mfma16_kernelIDF16_DF16_LN4vllm18Fp8KVCacheDataTypeE0EhLi16ELi64ELi256ELb1ELi15EEvPKT_PKT0_S7_ifPKiS9_S9_iPKfiiiPfSC_PS2_PT2_iSB_SB_
                                        ; -- End function
	.section	.AMDGPU.csdata,"",@progbits
; Kernel info:
; codeLenInByte = 4120
; NumSgprs: 54
; NumVgprs: 72
; NumAgprs: 0
; TotalNumVgprs: 72
; ScratchSize: 0
; MemoryBound: 0
; FloatMode: 240
; IeeeMode: 1
; LDSByteSize: 8192 bytes/workgroup (compile time only)
; SGPRBlocks: 6
; VGPRBlocks: 8
; NumSGPRsForWavesPerEU: 54
; NumVGPRsForWavesPerEU: 72
; AccumOffset: 72
; Occupancy: 7
; WaveLimiterHint : 1
; COMPUTE_PGM_RSRC2:SCRATCH_EN: 0
; COMPUTE_PGM_RSRC2:USER_SGPR: 2
; COMPUTE_PGM_RSRC2:TRAP_HANDLER: 0
; COMPUTE_PGM_RSRC2:TGID_X_EN: 1
; COMPUTE_PGM_RSRC2:TGID_Y_EN: 1
; COMPUTE_PGM_RSRC2:TGID_Z_EN: 1
; COMPUTE_PGM_RSRC2:TIDIG_COMP_CNT: 0
; COMPUTE_PGM_RSRC3_GFX90A:ACCUM_OFFSET: 17
; COMPUTE_PGM_RSRC3_GFX90A:TG_SPLIT: 0
	.section	.text._Z39paged_attention_ll4mi_QKV_mfma16_kernelIDF16_DF16_LN4vllm18Fp8KVCacheDataTypeE0EhLi16ELi64ELi256ELb1ELi16EEvPKT_PKT0_S7_ifPKiS9_S9_iPKfiiiPfSC_PS2_PT2_iSB_SB_,"axG",@progbits,_Z39paged_attention_ll4mi_QKV_mfma16_kernelIDF16_DF16_LN4vllm18Fp8KVCacheDataTypeE0EhLi16ELi64ELi256ELb1ELi16EEvPKT_PKT0_S7_ifPKiS9_S9_iPKfiiiPfSC_PS2_PT2_iSB_SB_,comdat
	.protected	_Z39paged_attention_ll4mi_QKV_mfma16_kernelIDF16_DF16_LN4vllm18Fp8KVCacheDataTypeE0EhLi16ELi64ELi256ELb1ELi16EEvPKT_PKT0_S7_ifPKiS9_S9_iPKfiiiPfSC_PS2_PT2_iSB_SB_ ; -- Begin function _Z39paged_attention_ll4mi_QKV_mfma16_kernelIDF16_DF16_LN4vllm18Fp8KVCacheDataTypeE0EhLi16ELi64ELi256ELb1ELi16EEvPKT_PKT0_S7_ifPKiS9_S9_iPKfiiiPfSC_PS2_PT2_iSB_SB_
	.globl	_Z39paged_attention_ll4mi_QKV_mfma16_kernelIDF16_DF16_LN4vllm18Fp8KVCacheDataTypeE0EhLi16ELi64ELi256ELb1ELi16EEvPKT_PKT0_S7_ifPKiS9_S9_iPKfiiiPfSC_PS2_PT2_iSB_SB_
	.p2align	8
	.type	_Z39paged_attention_ll4mi_QKV_mfma16_kernelIDF16_DF16_LN4vllm18Fp8KVCacheDataTypeE0EhLi16ELi64ELi256ELb1ELi16EEvPKT_PKT0_S7_ifPKiS9_S9_iPKfiiiPfSC_PS2_PT2_iSB_SB_,@function
_Z39paged_attention_ll4mi_QKV_mfma16_kernelIDF16_DF16_LN4vllm18Fp8KVCacheDataTypeE0EhLi16ELi64ELi256ELb1ELi16EEvPKT_PKT0_S7_ifPKiS9_S9_iPKfiiiPfSC_PS2_PT2_iSB_SB_: ; @_Z39paged_attention_ll4mi_QKV_mfma16_kernelIDF16_DF16_LN4vllm18Fp8KVCacheDataTypeE0EhLi16ELi64ELi256ELb1ELi16EEvPKT_PKT0_S7_ifPKiS9_S9_iPKfiiiPfSC_PS2_PT2_iSB_SB_
; %bb.0:
	s_load_dwordx2 s[14:15], s[0:1], 0x30
	s_mov_b32 s28, s3
	s_mov_b64 s[6:7], 0
	s_waitcnt lgkmcnt(0)
	s_cmp_lg_u64 s[14:15], 0
	s_cselect_b64 s[16:17], -1, 0
	s_and_b64 vcc, exec, s[16:17]
	s_cbranch_vccz .LBB15_7
; %bb.1:
	s_add_i32 s8, s2, 1
	s_mov_b32 s9, 0
	s_lshl_b64 s[10:11], s[8:9], 2
	s_add_u32 s10, s14, s10
	s_mov_b32 s3, s9
	s_addc_u32 s11, s15, s11
	s_lshl_b64 s[8:9], s[2:3], 2
	s_add_u32 s8, s14, s8
	s_addc_u32 s9, s15, s9
	s_load_dword s5, s[10:11], 0x0
	s_load_dword s12, s[8:9], 0x0
	s_waitcnt lgkmcnt(0)
	s_sub_i32 s5, s5, s12
	s_cmp_eq_u32 s5, 1
	s_cselect_b64 s[8:9], -1, 0
	s_andn2_b64 vcc, exec, s[6:7]
	s_cbranch_vccnz .LBB15_3
.LBB15_2:
	s_mov_b32 s3, 0
	s_mov_b64 s[8:9], -1
.LBB15_3:
	s_andn2_b64 vcc, exec, s[8:9]
	s_cbranch_vccnz .LBB15_17
; %bb.4:
	s_load_dwordx2 s[6:7], s[0:1], 0x28
	s_lshl_b64 s[18:19], s[2:3], 2
	s_waitcnt lgkmcnt(0)
	s_add_u32 s6, s6, s18
	s_addc_u32 s7, s7, s19
	s_load_dword s40, s[6:7], 0x0
	s_lshl_b32 s20, s28, 8
	s_waitcnt lgkmcnt(0)
	s_cmp_ge_i32 s20, s40
	s_cbranch_scc1 .LBB15_17
; %bb.5:
	s_load_dwordx2 s[6:7], s[0:1], 0x20
	s_load_dword s5, s[0:1], 0x38
	s_add_i32 s8, s40, 15
	s_ashr_i32 s9, s8, 31
	v_and_b32_e32 v1, 0xcf, v0
	s_lshr_b32 s9, s9, 28
	v_add_u32_e32 v1, s20, v1
	s_add_i32 s8, s8, s9
	v_ashrrev_i32_e32 v2, 31, v1
	s_ashr_i32 s21, s8, 4
	v_lshrrev_b32_e32 v10, 28, v2
	s_add_i32 s21, s21, -1
	s_waitcnt lgkmcnt(0)
	s_mul_i32 s8, s2, s5
	s_mov_b32 s9, 0
	v_add_u32_e32 v2, v1, v10
	s_lshl_b64 s[8:9], s[8:9], 2
	v_ashrrev_i32_e32 v2, 4, v2
	v_mov_b32_e32 v11, s21
	v_cmp_gt_i32_e32 vcc, s40, v1
	s_add_u32 s6, s6, s8
	s_addc_u32 s7, s7, s9
	v_cndmask_b32_e32 v2, v11, v2, vcc
	v_ashrrev_i32_e32 v3, 31, v2
	v_lshl_add_u64 v[4:5], v[2:3], 2, s[6:7]
	v_or_b32_e32 v2, 16, v1
	v_add_u32_e32 v3, v2, v10
	v_ashrrev_i32_e32 v3, 4, v3
	v_cmp_gt_i32_e32 vcc, s40, v2
	s_nop 1
	v_cndmask_b32_e32 v2, v11, v3, vcc
	v_ashrrev_i32_e32 v3, 31, v2
	v_lshl_add_u64 v[6:7], v[2:3], 2, s[6:7]
	v_or_b32_e32 v2, 32, v1
	v_add_u32_e32 v3, v2, v10
	v_ashrrev_i32_e32 v3, 4, v3
	v_cmp_gt_i32_e32 vcc, s40, v2
	v_or_b32_e32 v1, 48, v1
	s_nop 0
	v_cndmask_b32_e32 v2, v11, v3, vcc
	v_ashrrev_i32_e32 v3, 31, v2
	v_lshl_add_u64 v[8:9], v[2:3], 2, s[6:7]
	v_add_u32_e32 v2, v1, v10
	v_ashrrev_i32_e32 v2, 4, v2
	v_cmp_gt_i32_e32 vcc, s40, v1
	s_nop 1
	v_cndmask_b32_e32 v2, v11, v2, vcc
	v_ashrrev_i32_e32 v3, 31, v2
	v_lshl_add_u64 v[12:13], v[2:3], 2, s[6:7]
	global_load_dword v3, v[4:5], off
	global_load_dword v2, v[6:7], off
	;; [unrolled: 1-line block ×4, first 2 shown]
	s_load_dwordx2 s[12:13], s[0:1], 0x40
	s_load_dwordx4 s[8:11], s[0:1], 0x8
	s_andn2_b64 vcc, exec, s[16:17]
	s_cbranch_vccnz .LBB15_8
; %bb.6:
	s_add_u32 s14, s14, s18
	s_addc_u32 s15, s15, s19
	s_load_dword s5, s[14:15], 0x0
	s_branch .LBB15_9
.LBB15_7:
	s_mov_b64 s[8:9], 0
	s_branch .LBB15_2
.LBB15_8:
	s_mov_b32 s5, s2
.LBB15_9:
	s_load_dwordx4 s[44:47], s[0:1], 0x48
	v_and_b32_e32 v57, 15, v0
	s_movk_i32 s14, 0x100
	v_lshlrev_b32_e32 v4, 3, v57
	v_cmp_gt_u32_e32 vcc, s14, v0
	v_cmp_gt_u32_e64 s[30:31], 8, v57
	v_lshrrev_b32_e32 v55, 6, v0
	v_and_b32_e32 v56, 63, v0
	v_bfe_u32 v1, v0, 4, 2
	s_lshl_b32 s29, s4, 4
	s_and_b64 s[16:17], vcc, s[30:31]
	v_lshlrev_b32_e32 v38, 1, v4
	s_and_saveexec_b64 s[14:15], s[16:17]
	s_cbranch_execz .LBB15_11
; %bb.10:
	s_load_dwordx2 s[16:17], s[0:1], 0x0
	s_waitcnt lgkmcnt(0)
	s_ashr_i32 s18, s44, 31
	s_mul_hi_u32 s19, s5, s44
	s_mul_i32 s18, s5, s18
	s_add_i32 s19, s19, s18
	s_mul_i32 s18, s5, s44
	v_lshl_or_b32 v8, v55, 2, v1
	s_lshl_b64 s[18:19], s[18:19], 1
	s_add_u32 s16, s16, s18
	v_add_lshl_u32 v4, v8, s29, 6
	s_addc_u32 s17, s17, s19
	v_ashrrev_i32_e32 v5, 31, v4
	v_lshl_add_u64 v[4:5], v[4:5], 1, s[16:17]
	v_mov_b32_e32 v39, 0
	v_lshl_add_u64 v[4:5], v[4:5], 0, v[38:39]
	global_load_dwordx4 v[4:7], v[4:5], off
	v_and_b32_e32 v9, 3, v0
	v_lshlrev_b32_e32 v11, 9, v57
	v_lshlrev_b32_e32 v8, 5, v8
	;; [unrolled: 1-line block ×3, first 2 shown]
	v_and_b32_e32 v11, 0x1800, v11
	v_or3_b32 v8, v11, v9, v8
	s_waitcnt vmcnt(0)
	ds_write_b128 v8, v[4:7]
.LBB15_11:
	s_or_b64 exec, exec, s[14:15]
	s_waitcnt lgkmcnt(0)
	s_mul_i32 s4, s4, s46
	s_mov_b32 s5, 0
	s_lshl_b64 s[4:5], s[4:5], 1
	s_add_u32 s8, s8, s4
	v_lshlrev_b32_e32 v54, 4, v0
	s_addc_u32 s9, s9, s5
	v_and_b32_e32 v40, 0xf0, v54
	v_mov_b32_e32 v41, 0
	v_lshl_add_u64 v[16:17], s[8:9], 0, v[40:41]
	s_waitcnt vmcnt(3)
	v_mad_i64_i32 v[4:5], s[8:9], v3, s45, 0
	v_lshl_add_u64 v[4:5], v[4:5], 1, v[16:17]
	v_and_b32_e32 v40, 0x300, v54
	s_waitcnt vmcnt(2)
	v_mad_i64_i32 v[2:3], s[8:9], v2, s45, 0
	v_lshl_add_u64 v[18:19], v[4:5], 0, v[40:41]
	v_lshl_add_u64 v[2:3], v[2:3], 1, v[16:17]
	s_waitcnt vmcnt(1)
	v_mad_i64_i32 v[10:11], s[8:9], v10, s45, 0
	s_waitcnt vmcnt(0)
	v_mad_i64_i32 v[14:15], s[8:9], v14, s45, 0
	s_load_dword s33, s[0:1], 0x98
	s_load_dword s14, s[0:1], 0x1c
	s_waitcnt lgkmcnt(0)
	s_barrier
	global_load_dwordx4 v[6:9], v[18:19], off
	global_load_dwordx4 v[22:25], v[18:19], off offset:1024
	v_lshl_add_u64 v[20:21], v[2:3], 0, v[40:41]
	v_lshl_add_u64 v[10:11], v[10:11], 1, v[16:17]
	;; [unrolled: 1-line block ×3, first 2 shown]
	global_load_dwordx4 v[2:5], v[20:21], off
	global_load_dwordx4 v[30:33], v[20:21], off offset:1024
	v_lshl_add_u64 v[26:27], v[10:11], 0, v[40:41]
	v_lshl_add_u64 v[42:43], v[14:15], 0, v[40:41]
	global_load_dwordx4 v[10:13], v[26:27], off
	global_load_dwordx4 v[14:17], v[42:43], off
	v_lshlrev_b32_e32 v58, 5, v57
	v_lshl_or_b32 v39, v1, 9, v58
	ds_read_b128 v[34:37], v39
	ds_read_b128 v[18:21], v39 offset:2048
	global_load_dwordx4 v[26:29], v[26:27], off offset:1024
	v_and_or_b32 v40, v0, 48, s20
	global_load_dwordx4 v[50:53], v[42:43], off offset:1024
	v_mov_b32_e32 v59, s21
	v_ashrrev_i32_e32 v44, 4, v40
	v_cmp_gt_i32_e32 vcc, s40, v40
	v_or_b32_e32 v64, 64, v40
	v_or_b32_e32 v42, 0x80, v40
	v_cndmask_b32_e32 v48, v59, v44, vcc
	v_ashrrev_i32_e32 v49, 31, v48
	v_cmp_gt_i32_e32 vcc, s40, v64
	v_or_b32_e32 v40, 0xc0, v40
	v_ashrrev_i32_e32 v43, 4, v42
	s_add_u32 s4, s10, s4
	s_addc_u32 s5, s11, s5
	s_mov_b32 s42, 0xff7fffff
	s_waitcnt vmcnt(7) lgkmcnt(1)
	v_mfma_f32_16x16x16_f16 v[44:47], v[6:7], v[34:35], 0
	v_ashrrev_i32_e32 v6, 4, v64
	s_waitcnt vmcnt(5)
	v_mfma_f32_16x16x16_f16 v[60:63], v[2:3], v[34:35], 0
	v_cndmask_b32_e32 v2, v59, v6, vcc
	v_lshl_add_u64 v[6:7], v[48:49], 2, s[6:7]
	global_load_dword v48, v[6:7], off
	s_waitcnt vmcnt(4)
	v_mfma_f32_16x16x16_f16 v[64:67], v[10:11], v[34:35], 0
	v_ashrrev_i32_e32 v3, 31, v2
	v_lshl_add_u64 v[2:3], v[2:3], 2, s[6:7]
	global_load_dword v49, v[2:3], off
	s_waitcnt vmcnt(4)
	v_mfma_f32_16x16x16_f16 v[68:71], v[14:15], v[34:35], 0
	v_or_b32_e32 v34, s29, v57
	v_ashrrev_i32_e32 v35, 31, v34
	v_lshl_add_u64 v[10:11], v[34:35], 2, s[12:13]
	global_load_dword v35, v[10:11], off
	v_mfma_f32_16x16x16_f16 v[6:9], v[8:9], v[36:37], v[44:47]
	v_cmp_gt_i32_e32 vcc, s40, v42
	v_lshlrev_b32_e32 v57, 2, v57
	v_mfma_f32_16x16x16_f16 v[2:5], v[4:5], v[36:37], v[60:63]
	v_ashrrev_i32_e32 v44, 4, v40
	v_mfma_f32_16x16x16_f16 v[10:13], v[12:13], v[36:37], v[64:67]
	v_mfma_f32_16x16x16_f16 v[14:17], v[16:17], v[36:37], v[68:71]
	v_cndmask_b32_e32 v36, v59, v43, vcc
	v_cmp_gt_i32_e32 vcc, s40, v40
	v_ashrrev_i32_e32 v37, 31, v36
	s_waitcnt lgkmcnt(0)
	v_mfma_f32_16x16x16_f16 v[6:9], v[22:23], v[18:19], v[6:9]
	v_cndmask_b32_e32 v42, v59, v44, vcc
	v_ashrrev_i32_e32 v43, 31, v42
	v_lshl_add_u64 v[22:23], v[36:37], 2, s[6:7]
	v_mfma_f32_16x16x16_f16 v[2:5], v[30:31], v[18:19], v[2:5]
	v_lshl_add_u64 v[30:31], v[42:43], 2, s[6:7]
	global_load_dword v59, v[22:23], off
	global_load_dword v60, v[30:31], off
	v_lshl_or_b32 v40, v55, 9, v58
	s_waitcnt vmcnt(6)
	v_mfma_f32_16x16x16_f16 v[42:45], v[26:27], v[18:19], v[10:13]
	s_waitcnt vmcnt(5)
	v_mfma_f32_16x16x16_f16 v[16:19], v[50:51], v[18:19], v[14:17]
	s_nop 0
	v_lshl_add_u64 v[10:11], s[4:5], 0, v[40:41]
	s_waitcnt vmcnt(4)
	v_mad_i64_i32 v[12:13], s[4:5], v48, s45, 0
	v_mfma_f32_16x16x16_f16 v[16:19], v[52:53], v[20:21], v[16:19]
	v_lshl_add_u64 v[12:13], v[12:13], 1, v[10:11]
	s_waitcnt vmcnt(3)
	v_mad_i64_i32 v[14:15], s[4:5], v49, s45, 0
	v_mfma_f32_16x16x16_f16 v[22:25], v[24:25], v[20:21], v[6:9]
	v_lshl_add_u64 v[14:15], v[14:15], 1, v[10:11]
	s_nop 1
	v_pk_mul_f32 v[40:41], s[14:15], v[16:17] op_sel_hi:[0,1]
	v_and_b32_e32 v16, 0xc0, v0
	v_add_u32_e32 v16, s20, v16
	v_lshl_or_b32 v16, v1, 2, v16
	v_or_b32_e32 v17, 1, v16
	v_pk_mul_f32 v[36:37], s[14:15], v[18:19] op_sel_hi:[0,1]
	v_subrev_u32_e32 v18, s40, v17
	v_mfma_f32_16x16x16_f16 v[30:33], v[32:33], v[20:21], v[2:5]
	v_cvt_f32_i32_e32 v19, v18
	global_load_dwordx4 v[6:9], v[12:13], off
	s_nop 0
	global_load_dwordx4 v[2:5], v[12:13], off offset:16
	v_pk_mul_f32 v[50:51], s[14:15], v[24:25] op_sel_hi:[0,1]
	v_mfma_f32_16x16x16_f16 v[26:29], v[28:29], v[20:21], v[42:45]
	v_add_u32_e32 v20, 1, v18
	v_add_u32_e32 v21, 2, v18
	v_cvt_f32_i32_e32 v20, v20
	v_cvt_f32_i32_e32 v21, v21
	v_pk_mul_f32 v[12:13], s[14:15], v[22:23] op_sel_hi:[0,1]
	v_add_u32_e32 v22, 3, v18
	s_waitcnt vmcnt(4)
	v_fma_f32 v12, v35, v19, v12
	v_fmac_f32_e32 v13, v35, v20
	v_fma_f32 v50, v35, v21, v50
	v_add_u32_e32 v19, 16, v18
	v_add_u32_e32 v20, 17, v18
	;; [unrolled: 1-line block ×3, first 2 shown]
	v_cvt_f32_i32_e32 v22, v22
	v_cvt_f32_i32_e32 v19, v19
	;; [unrolled: 1-line block ×4, first 2 shown]
	v_pk_mul_f32 v[46:47], s[14:15], v[32:33] op_sel_hi:[0,1]
	v_pk_mul_f32 v[48:49], s[14:15], v[30:31] op_sel_hi:[0,1]
	v_fmac_f32_e32 v51, v35, v22
	v_add_u32_e32 v22, 19, v18
	v_fma_f32 v48, v35, v19, v48
	v_fmac_f32_e32 v49, v35, v20
	v_fma_f32 v46, v35, v21, v46
	v_add_u32_e32 v19, 32, v18
	v_add_u32_e32 v20, 33, v18
	;; [unrolled: 1-line block ×3, first 2 shown]
	v_cvt_f32_i32_e32 v22, v22
	v_cvt_f32_i32_e32 v19, v19
	;; [unrolled: 1-line block ×4, first 2 shown]
	v_pk_mul_f32 v[42:43], s[14:15], v[28:29] op_sel_hi:[0,1]
	v_pk_mul_f32 v[44:45], s[14:15], v[26:27] op_sel_hi:[0,1]
	v_fmac_f32_e32 v47, v35, v22
	v_add_u32_e32 v22, 35, v18
	v_fma_f32 v44, v35, v19, v44
	v_fmac_f32_e32 v45, v35, v20
	v_fma_f32 v42, v35, v21, v42
	v_add_u32_e32 v19, 48, v18
	v_add_u32_e32 v20, 49, v18
	;; [unrolled: 1-line block ×4, first 2 shown]
	v_cvt_f32_i32_e32 v18, v18
	v_cvt_f32_i32_e32 v19, v19
	;; [unrolled: 1-line block ×3, first 2 shown]
	v_cmp_gt_i32_e64 s[4:5], s40, v16
	v_fmac_f32_e32 v37, v35, v18
	v_mov_b32_e32 v18, 0xff7fffff
	v_cmp_gt_i32_e64 s[34:35], s40, v17
	v_fma_f32 v40, v35, v19, v40
	v_cndmask_b32_e64 v19, v18, v12, s[4:5]
	v_cndmask_b32_e64 v17, v18, v13, s[34:35]
	v_fmac_f32_e32 v41, v35, v20
	v_max3_f32 v17, v19, s42, v17
	v_or_b32_e32 v19, 2, v16
	v_or_b32_e32 v20, 3, v16
	v_cmp_gt_i32_e64 s[36:37], s40, v19
	v_cmp_gt_i32_e64 s[38:39], s40, v20
	v_cvt_f32_i32_e32 v22, v22
	v_cndmask_b32_e64 v19, v18, v50, s[36:37]
	v_cndmask_b32_e64 v20, v18, v51, s[38:39]
	v_max3_f32 v17, v17, v19, v20
	v_or_b32_e32 v19, 16, v16
	v_or_b32_e32 v20, 17, v16
	v_cmp_gt_i32_e64 s[24:25], s40, v19
	v_cmp_gt_i32_e64 s[26:27], s40, v20
	v_fmac_f32_e32 v43, v35, v22
	v_cndmask_b32_e64 v19, v18, v48, s[24:25]
	v_cndmask_b32_e64 v20, v18, v49, s[26:27]
	v_max3_f32 v17, v17, v19, v20
	v_or_b32_e32 v19, 18, v16
	v_or_b32_e32 v20, 19, v16
	v_cmp_gt_i32_e64 s[20:21], s40, v19
	v_cmp_gt_i32_e64 s[22:23], s40, v20
	v_cvt_f32_i32_e32 v21, v21
	v_cndmask_b32_e64 v19, v18, v46, s[20:21]
	v_cndmask_b32_e64 v20, v18, v47, s[22:23]
	v_max3_f32 v17, v17, v19, v20
	v_or_b32_e32 v19, 32, v16
	v_or_b32_e32 v20, 33, v16
	v_cmp_gt_i32_e64 s[16:17], s40, v19
	v_cmp_gt_i32_e64 s[18:19], s40, v20
	v_fma_f32 v36, v35, v21, v36
	v_cndmask_b32_e64 v19, v18, v44, s[16:17]
	v_cndmask_b32_e64 v20, v18, v45, s[18:19]
	v_max3_f32 v17, v17, v19, v20
	v_or_b32_e32 v19, 34, v16
	v_or_b32_e32 v20, 35, v16
	v_cmp_gt_i32_e64 s[12:13], s40, v19
	v_cmp_gt_i32_e64 s[14:15], s40, v20
	global_load_dwordx4 v[30:33], v[14:15], off
	global_load_dwordx4 v[26:29], v[14:15], off offset:16
	v_cndmask_b32_e64 v19, v18, v42, s[12:13]
	v_cndmask_b32_e64 v20, v18, v43, s[14:15]
	v_max3_f32 v17, v17, v19, v20
	v_or_b32_e32 v19, 48, v16
	v_or_b32_e32 v20, 49, v16
	v_cmp_gt_i32_e64 s[8:9], s40, v19
	v_cmp_gt_i32_e64 s[10:11], s40, v20
	s_nop 0
	v_cndmask_b32_e64 v19, v18, v40, s[8:9]
	v_cndmask_b32_e64 v20, v18, v41, s[10:11]
	v_max3_f32 v17, v17, v19, v20
	v_or_b32_e32 v19, 50, v16
	v_or_b32_e32 v16, 51, v16
	v_cmp_gt_i32_e32 vcc, s40, v19
	v_cmp_gt_i32_e64 s[6:7], s40, v16
	s_nop 0
	v_cndmask_b32_e32 v19, v18, v36, vcc
	v_cndmask_b32_e64 v16, v18, v37, s[6:7]
	v_max3_f32 v16, v17, v19, v16
	v_mbcnt_lo_u32_b32 v17, -1, 0
	v_mbcnt_hi_u32_b32 v17, -1, v17
	v_and_b32_e32 v18, 64, v17
	v_add_u32_e32 v18, 64, v18
	v_xor_b32_e32 v19, 32, v17
	v_cmp_lt_i32_e64 s[40:41], v19, v18
	s_nop 1
	v_cndmask_b32_e64 v19, v17, v19, s[40:41]
	v_lshlrev_b32_e32 v61, 2, v19
	ds_bpermute_b32 v19, v61, v16
	s_waitcnt vmcnt(5)
	v_mad_i64_i32 v[14:15], s[40:41], v59, s45, 0
	v_lshl_add_u64 v[14:15], v[14:15], 1, v[10:11]
	s_waitcnt lgkmcnt(0)
	v_max_f32_e32 v19, v19, v19
	v_max_f32_e32 v16, v16, v19
	v_xor_b32_e32 v19, 16, v17
	v_cmp_lt_i32_e64 s[40:41], v19, v18
	s_nop 1
	v_cndmask_b32_e64 v17, v17, v19, s[40:41]
	v_lshlrev_b32_e32 v62, 2, v17
	ds_bpermute_b32 v17, v62, v16
	global_load_dwordx4 v[22:25], v[14:15], off
	global_load_dwordx4 v[18:21], v[14:15], off offset:16
	s_waitcnt vmcnt(6)
	v_mad_i64_i32 v[14:15], s[40:41], v60, s45, 0
	v_lshl_add_u64 v[10:11], v[14:15], 1, v[10:11]
	s_waitcnt lgkmcnt(0)
	v_max_f32_e32 v14, v17, v17
	v_max_f32_e32 v35, v16, v14
	v_sub_f32_e32 v12, v12, v35
	v_mul_f32_e32 v12, 0x3fb8aa3b, v12
	v_exp_f32_e32 v52, v12
	v_sub_f32_e32 v12, v13, v35
	v_mul_f32_e32 v12, 0x3fb8aa3b, v12
	v_exp_f32_e32 v53, v12
	global_load_dwordx4 v[14:17], v[10:11], off
	s_nop 0
	global_load_dwordx4 v[10:13], v[10:11], off offset:16
	v_sub_f32_e32 v50, v50, v35
	v_mul_f32_e32 v50, 0x3fb8aa3b, v50
	v_sub_f32_e32 v51, v51, v35
	v_exp_f32_e32 v50, v50
	v_mul_f32_e32 v51, 0x3fb8aa3b, v51
	v_sub_f32_e32 v48, v48, v35
	v_exp_f32_e32 v51, v51
	v_mul_f32_e32 v48, 0x3fb8aa3b, v48
	v_sub_f32_e32 v49, v49, v35
	v_cndmask_b32_e64 v52, 0, v52, s[4:5]
	v_exp_f32_e32 v48, v48
	v_mul_f32_e32 v49, 0x3fb8aa3b, v49
	v_sub_f32_e32 v46, v46, v35
	v_add_f32_e32 v59, 0, v52
	v_cndmask_b32_e64 v53, 0, v53, s[34:35]
	v_exp_f32_e32 v49, v49
	v_mul_f32_e32 v46, 0x3fb8aa3b, v46
	v_sub_f32_e32 v47, v47, v35
	v_add_f32_e32 v59, v59, v53
	;; [unrolled: 5-line block ×10, first 2 shown]
	v_cndmask_b32_e64 v42, 0, v42, s[12:13]
	v_exp_f32_e32 v36, v36
	v_mul_f32_e32 v37, 0x3fb8aa3b, v37
	v_add_f32_e32 v59, v59, v42
	v_cndmask_b32_e64 v43, 0, v43, s[14:15]
	v_exp_f32_e32 v37, v37
	v_add_f32_e32 v59, v59, v43
	v_cndmask_b32_e64 v40, 0, v40, s[8:9]
	v_add_f32_e32 v59, v59, v40
	v_cndmask_b32_e64 v41, 0, v41, s[10:11]
	v_add_f32_e32 v59, v59, v41
	v_cndmask_b32_e32 v36, 0, v36, vcc
	v_add_f32_e32 v59, v59, v36
	v_cndmask_b32_e64 v37, 0, v37, s[6:7]
	v_add_f32_e32 v59, v59, v37
	ds_bpermute_b32 v60, v61, v59
	v_cmp_gt_u32_e32 vcc, 16, v56
	s_waitcnt lgkmcnt(0)
	s_barrier
	v_add_f32_e32 v59, v59, v60
	ds_bpermute_b32 v60, v62, v59
	s_and_saveexec_b64 s[4:5], vcc
	s_cbranch_execz .LBB15_13
; %bb.12:
	s_waitcnt lgkmcnt(0)
	v_add_f32_e32 v56, v59, v60
	v_lshl_or_b32 v59, v55, 6, v57
	ds_write2st64_b32 v59, v35, v56 offset1:1
.LBB15_13:
	s_or_b64 exec, exec, s[4:5]
	s_load_dword s6, s[0:1], 0x94
	s_waitcnt lgkmcnt(0)
	s_barrier
	ds_read2_b32 v[60:61], v57 offset1:16
	ds_read2_b32 v[62:63], v57 offset0:32 offset1:48
	ds_read2_b32 v[64:65], v57 offset0:64 offset1:80
	s_lshl_b32 s7, s33, 4
	s_waitcnt lgkmcnt(2)
	v_max3_f32 v35, v60, s42, v61
	s_waitcnt lgkmcnt(1)
	v_max3_f32 v56, v35, v62, v63
	v_sub_f32_e32 v35, v60, v56
	v_mul_f32_e32 v35, 0x3fb8aa3b, v35
	v_sub_f32_e32 v59, v61, v56
	v_sub_f32_e32 v60, v62, v56
	v_exp_f32_e32 v35, v35
	v_mul_f32_e32 v59, 0x3fb8aa3b, v59
	v_mul_f32_e32 v60, 0x3fb8aa3b, v60
	v_exp_f32_e32 v59, v59
	v_exp_f32_e32 v62, v60
	ds_read2_b32 v[60:61], v57 offset0:96 offset1:112
	v_sub_f32_e32 v57, v63, v56
	v_mul_f32_e32 v57, 0x3fb8aa3b, v57
	v_exp_f32_e32 v63, v57
	s_waitcnt lgkmcnt(1)
	v_fma_f32 v57, v35, v64, 0
	v_fmac_f32_e32 v57, v59, v65
	s_waitcnt lgkmcnt(0)
	v_fmac_f32_e32 v57, v62, v60
	v_fmac_f32_e32 v57, v63, v61
	v_add_f32_e32 v60, 0x358637bd, v57
	v_div_scale_f32 v61, s[4:5], v60, v60, 1.0
	v_rcp_f32_e32 v64, v61
	s_barrier
	v_fma_f32 v65, -v61, v64, 1.0
	v_fmac_f32_e32 v64, v65, v64
	v_div_scale_f32 v65, vcc, 1.0, v60, 1.0
	v_mul_f32_e32 v66, v65, v64
	v_fma_f32 v67, -v61, v66, v65
	v_fmac_f32_e32 v66, v67, v64
	v_fma_f32 v61, -v61, v66, v65
	v_div_fmas_f32 v61, v61, v64, v66
	v_cmp_eq_u32_e32 vcc, 1, v55
	v_div_fixup_f32 v60, v61, v60, 1.0
	s_nop 0
	v_cndmask_b32_e32 v35, v35, v59, vcc
	v_cmp_eq_u32_e32 vcc, 2, v55
	s_nop 1
	v_cndmask_b32_e32 v35, v35, v62, vcc
	v_cmp_eq_u32_e32 vcc, 3, v55
	s_nop 1
	v_cndmask_b32_e32 v35, v35, v63, vcc
	v_mul_f32_e32 v60, v35, v60
	v_pk_mul_f32 v[52:53], v[60:61], v[52:53] op_sel_hi:[0,1]
	v_cvt_f16_f32_e32 v35, v52
	v_cvt_f16_f32_e32 v52, v53
	v_pk_mul_f32 v[50:51], v[60:61], v[50:51] op_sel_hi:[0,1]
	v_pk_mul_f32 v[46:47], v[60:61], v[46:47] op_sel_hi:[0,1]
	v_pk_mul_f32 v[48:49], v[60:61], v[48:49] op_sel_hi:[0,1]
	v_cvt_f16_f32_e32 v53, v50
	v_pack_b32_f16 v50, v35, v52
	v_cvt_f16_f32_e32 v48, v48
	v_cvt_f16_f32_e32 v49, v49
	;; [unrolled: 1-line block ×4, first 2 shown]
	v_lshlrev_b32_e32 v35, 3, v1
	v_lshlrev_b32_e32 v46, 11, v55
	v_pk_mul_f32 v[42:43], v[60:61], v[42:43] op_sel_hi:[0,1]
	v_pk_mul_f32 v[44:45], v[60:61], v[44:45] op_sel_hi:[0,1]
	;; [unrolled: 1-line block ×4, first 2 shown]
	v_cvt_f16_f32_e32 v51, v51
	v_or3_b32 v46, v46, v58, v35
	v_pack_b32_f16 v48, v48, v49
	v_pack_b32_f16 v49, v52, v47
	v_cvt_f16_f32_e32 v35, v44
	v_cvt_f16_f32_e32 v44, v45
	;; [unrolled: 1-line block ×8, first 2 shown]
	v_pack_b32_f16 v51, v53, v51
	v_pack_b32_f16 v36, v35, v44
	;; [unrolled: 1-line block ×5, first 2 shown]
	v_cmp_gt_u32_e32 vcc, 16, v0
	ds_write2st64_b64 v46, v[50:51], v[48:49] offset1:1
	ds_write2st64_b64 v46, v[36:37], v[40:41] offset0:2 offset1:3
	s_and_saveexec_b64 s[4:5], vcc
	s_cbranch_execz .LBB15_15
; %bb.14:
	v_mov_b32_e32 v35, 0
	v_mov_b32_e32 v36, s7
	v_mad_u64_u32 v[36:37], s[12:13], s2, v36, v[34:35]
	v_mov_b32_e32 v34, s28
	s_load_dwordx4 s[8:11], s[0:1], 0x58
	s_mul_i32 s3, s3, s7
	v_mad_u64_u32 v[34:35], s[12:13], v36, s6, v[34:35]
	v_add_u32_e32 v37, s3, v37
	v_mov_b32_e32 v36, v35
	v_mad_u64_u32 v[36:37], s[12:13], v37, s6, v[36:37]
	v_mov_b32_e32 v35, v36
	v_lshlrev_b64 v[34:35], 2, v[34:35]
	s_waitcnt lgkmcnt(0)
	v_lshl_add_u64 v[36:37], s[10:11], 0, v[34:35]
	v_lshl_add_u64 v[34:35], s[8:9], 0, v[34:35]
	global_store_dword v[36:37], v56, off
	global_store_dword v[34:35], v57, off
.LBB15_15:
	s_or_b64 exec, exec, s[4:5]
	s_waitcnt lgkmcnt(0)
	s_barrier
	ds_read_b128 v[34:37], v39
	ds_read_b128 v[40:43], v39 offset:16
	s_waitcnt vmcnt(7) lgkmcnt(1)
	v_mfma_f32_16x16x16_f16 v[48:51], v[6:7], v[34:35], 0
	v_cmp_gt_u32_e32 vcc, 64, v0
	s_mov_b32 s3, 0
	s_and_b64 s[4:5], vcc, s[30:31]
	v_mfma_f32_16x16x16_f16 v[6:9], v[8:9], v[36:37], v[48:51]
	s_waitcnt vmcnt(6) lgkmcnt(0)
	v_mfma_f32_16x16x16_f16 v[6:9], v[2:3], v[40:41], v[6:9]
	v_mfma_f32_16x16x16_f16 v[2:5], v[4:5], v[42:43], v[6:9]
	s_nop 5
	ds_read_b128 v[6:9], v39 offset:2048
	ds_read_b128 v[34:37], v39 offset:2064
	s_waitcnt vmcnt(5) lgkmcnt(1)
	v_mfma_f32_16x16x16_f16 v[2:5], v[30:31], v[6:7], v[2:5]
	v_mfma_f32_16x16x16_f16 v[2:5], v[32:33], v[8:9], v[2:5]
	s_waitcnt vmcnt(4) lgkmcnt(0)
	v_mfma_f32_16x16x16_f16 v[2:5], v[26:27], v[34:35], v[2:5]
	v_mfma_f32_16x16x16_f16 v[2:5], v[28:29], v[36:37], v[2:5]
	ds_read_b128 v[6:9], v39 offset:4096
	ds_read_b128 v[26:29], v39 offset:4112
	s_waitcnt vmcnt(3) lgkmcnt(1)
	v_mfma_f32_16x16x16_f16 v[2:5], v[22:23], v[6:7], v[2:5]
	v_mfma_f32_16x16x16_f16 v[2:5], v[24:25], v[8:9], v[2:5]
	s_waitcnt vmcnt(2) lgkmcnt(0)
	v_mfma_f32_16x16x16_f16 v[2:5], v[18:19], v[26:27], v[2:5]
	v_mfma_f32_16x16x16_f16 v[2:5], v[20:21], v[28:29], v[2:5]
	ds_read_b128 v[6:9], v39 offset:6144
	ds_read_b128 v[18:21], v39 offset:6160
	v_mov_b32_e32 v39, 0
	s_waitcnt vmcnt(1) lgkmcnt(0)
	v_mfma_f32_16x16x16_f16 v[2:5], v[14:15], v[6:7], v[2:5]
	s_barrier
	v_mfma_f32_16x16x16_f16 v[2:5], v[16:17], v[8:9], v[2:5]
	s_waitcnt vmcnt(0)
	v_mfma_f32_16x16x16_f16 v[2:5], v[10:11], v[18:19], v[2:5]
	v_mfma_f32_16x16x16_f16 v[2:5], v[12:13], v[20:21], v[2:5]
	s_nop 6
	v_cvt_f16_f32_e32 v2, v2
	v_cvt_f16_f32_e32 v3, v3
	;; [unrolled: 1-line block ×4, first 2 shown]
	v_pack_b32_f16 v2, v2, v3
	v_pack_b32_f16 v3, v4, v5
	ds_write_b64 v46, v[2:3]
	s_waitcnt lgkmcnt(0)
	s_barrier
	s_and_saveexec_b64 s[8:9], s[4:5]
	s_cbranch_execz .LBB15_17
; %bb.16:
	s_load_dwordx2 s[0:1], s[0:1], 0x68
	s_lshl_b32 s6, s6, 6
	s_mul_i32 s2, s7, s2
	s_mul_hi_u32 s5, s2, s6
	s_mul_i32 s4, s2, s6
	s_lshl_b64 s[4:5], s[4:5], 1
	s_waitcnt lgkmcnt(0)
	s_add_u32 s4, s0, s4
	s_addc_u32 s5, s1, s5
	s_lshl_b32 s2, s28, 6
	v_lshlrev_b32_e32 v0, 10, v0
	s_lshl_b64 s[0:1], s[2:3], 1
	v_and_b32_e32 v0, 0x1800, v0
	v_lshlrev_b32_e32 v2, 5, v1
	v_and_b32_e32 v3, 16, v54
	s_add_u32 s0, s4, s0
	v_or3_b32 v0, v0, v2, v3
	s_addc_u32 s1, s5, s1
	v_or_b32_e32 v20, s29, v1
	ds_read_b128 v[2:5], v0
	ds_read_b128 v[6:9], v0 offset:128
	ds_read_b128 v[10:13], v0 offset:256
	ds_read_b128 v[14:17], v0 offset:384
	v_lshl_add_u64 v[18:19], s[0:1], 0, v[38:39]
	v_mad_u64_u32 v[0:1], s[0:1], v20, s6, 0
	v_lshl_add_u64 v[0:1], v[0:1], 1, v[18:19]
	s_waitcnt lgkmcnt(3)
	global_store_dwordx4 v[0:1], v[2:5], off
	v_or_b32_e32 v0, 4, v20
	v_mad_u64_u32 v[0:1], s[0:1], v0, s6, 0
	v_lshl_add_u64 v[0:1], v[0:1], 1, v[18:19]
	s_waitcnt lgkmcnt(2)
	global_store_dwordx4 v[0:1], v[6:9], off
	v_or_b32_e32 v0, 8, v20
	;; [unrolled: 5-line block ×3, first 2 shown]
	v_mad_u64_u32 v[0:1], s[0:1], v0, s6, 0
	v_lshl_add_u64 v[0:1], v[0:1], 1, v[18:19]
	s_waitcnt lgkmcnt(0)
	global_store_dwordx4 v[0:1], v[14:17], off
.LBB15_17:
	s_endpgm
	.section	.rodata,"a",@progbits
	.p2align	6, 0x0
	.amdhsa_kernel _Z39paged_attention_ll4mi_QKV_mfma16_kernelIDF16_DF16_LN4vllm18Fp8KVCacheDataTypeE0EhLi16ELi64ELi256ELb1ELi16EEvPKT_PKT0_S7_ifPKiS9_S9_iPKfiiiPfSC_PS2_PT2_iSB_SB_
		.amdhsa_group_segment_fixed_size 8192
		.amdhsa_private_segment_fixed_size 0
		.amdhsa_kernarg_size 400
		.amdhsa_user_sgpr_count 2
		.amdhsa_user_sgpr_dispatch_ptr 0
		.amdhsa_user_sgpr_queue_ptr 0
		.amdhsa_user_sgpr_kernarg_segment_ptr 1
		.amdhsa_user_sgpr_dispatch_id 0
		.amdhsa_user_sgpr_kernarg_preload_length 0
		.amdhsa_user_sgpr_kernarg_preload_offset 0
		.amdhsa_user_sgpr_private_segment_size 0
		.amdhsa_uses_dynamic_stack 0
		.amdhsa_enable_private_segment 0
		.amdhsa_system_sgpr_workgroup_id_x 1
		.amdhsa_system_sgpr_workgroup_id_y 1
		.amdhsa_system_sgpr_workgroup_id_z 1
		.amdhsa_system_sgpr_workgroup_info 0
		.amdhsa_system_vgpr_workitem_id 0
		.amdhsa_next_free_vgpr 72
		.amdhsa_next_free_sgpr 48
		.amdhsa_accum_offset 72
		.amdhsa_reserve_vcc 1
		.amdhsa_float_round_mode_32 0
		.amdhsa_float_round_mode_16_64 0
		.amdhsa_float_denorm_mode_32 3
		.amdhsa_float_denorm_mode_16_64 3
		.amdhsa_dx10_clamp 1
		.amdhsa_ieee_mode 1
		.amdhsa_fp16_overflow 0
		.amdhsa_tg_split 0
		.amdhsa_exception_fp_ieee_invalid_op 0
		.amdhsa_exception_fp_denorm_src 0
		.amdhsa_exception_fp_ieee_div_zero 0
		.amdhsa_exception_fp_ieee_overflow 0
		.amdhsa_exception_fp_ieee_underflow 0
		.amdhsa_exception_fp_ieee_inexact 0
		.amdhsa_exception_int_div_zero 0
	.end_amdhsa_kernel
	.section	.text._Z39paged_attention_ll4mi_QKV_mfma16_kernelIDF16_DF16_LN4vllm18Fp8KVCacheDataTypeE0EhLi16ELi64ELi256ELb1ELi16EEvPKT_PKT0_S7_ifPKiS9_S9_iPKfiiiPfSC_PS2_PT2_iSB_SB_,"axG",@progbits,_Z39paged_attention_ll4mi_QKV_mfma16_kernelIDF16_DF16_LN4vllm18Fp8KVCacheDataTypeE0EhLi16ELi64ELi256ELb1ELi16EEvPKT_PKT0_S7_ifPKiS9_S9_iPKfiiiPfSC_PS2_PT2_iSB_SB_,comdat
.Lfunc_end15:
	.size	_Z39paged_attention_ll4mi_QKV_mfma16_kernelIDF16_DF16_LN4vllm18Fp8KVCacheDataTypeE0EhLi16ELi64ELi256ELb1ELi16EEvPKT_PKT0_S7_ifPKiS9_S9_iPKfiiiPfSC_PS2_PT2_iSB_SB_, .Lfunc_end15-_Z39paged_attention_ll4mi_QKV_mfma16_kernelIDF16_DF16_LN4vllm18Fp8KVCacheDataTypeE0EhLi16ELi64ELi256ELb1ELi16EEvPKT_PKT0_S7_ifPKiS9_S9_iPKfiiiPfSC_PS2_PT2_iSB_SB_
                                        ; -- End function
	.section	.AMDGPU.csdata,"",@progbits
; Kernel info:
; codeLenInByte = 4056
; NumSgprs: 54
; NumVgprs: 72
; NumAgprs: 0
; TotalNumVgprs: 72
; ScratchSize: 0
; MemoryBound: 0
; FloatMode: 240
; IeeeMode: 1
; LDSByteSize: 8192 bytes/workgroup (compile time only)
; SGPRBlocks: 6
; VGPRBlocks: 8
; NumSGPRsForWavesPerEU: 54
; NumVGPRsForWavesPerEU: 72
; AccumOffset: 72
; Occupancy: 7
; WaveLimiterHint : 1
; COMPUTE_PGM_RSRC2:SCRATCH_EN: 0
; COMPUTE_PGM_RSRC2:USER_SGPR: 2
; COMPUTE_PGM_RSRC2:TRAP_HANDLER: 0
; COMPUTE_PGM_RSRC2:TGID_X_EN: 1
; COMPUTE_PGM_RSRC2:TGID_Y_EN: 1
; COMPUTE_PGM_RSRC2:TGID_Z_EN: 1
; COMPUTE_PGM_RSRC2:TIDIG_COMP_CNT: 0
; COMPUTE_PGM_RSRC3_GFX90A:ACCUM_OFFSET: 17
; COMPUTE_PGM_RSRC3_GFX90A:TG_SPLIT: 0
	.section	.text._Z35paged_attention_ll4mi_reduce_kernelIDF16_hLi64ELi64ELi256ELi1EEvPT0_PKfS3_PKT_PKiS8_iS3_,"axG",@progbits,_Z35paged_attention_ll4mi_reduce_kernelIDF16_hLi64ELi64ELi256ELi1EEvPT0_PKfS3_PKT_PKiS8_iS3_,comdat
	.protected	_Z35paged_attention_ll4mi_reduce_kernelIDF16_hLi64ELi64ELi256ELi1EEvPT0_PKfS3_PKT_PKiS8_iS3_ ; -- Begin function _Z35paged_attention_ll4mi_reduce_kernelIDF16_hLi64ELi64ELi256ELi1EEvPT0_PKfS3_PKT_PKiS8_iS3_
	.globl	_Z35paged_attention_ll4mi_reduce_kernelIDF16_hLi64ELi64ELi256ELi1EEvPT0_PKfS3_PKT_PKiS8_iS3_
	.p2align	8
	.type	_Z35paged_attention_ll4mi_reduce_kernelIDF16_hLi64ELi64ELi256ELi1EEvPT0_PKfS3_PKT_PKiS8_iS3_,@function
_Z35paged_attention_ll4mi_reduce_kernelIDF16_hLi64ELi64ELi256ELi1EEvPT0_PKfS3_PKT_PKiS8_iS3_: ; @_Z35paged_attention_ll4mi_reduce_kernelIDF16_hLi64ELi64ELi256ELi1EEvPT0_PKfS3_PKT_PKiS8_iS3_
; %bb.0:
	s_load_dwordx2 s[14:15], s[0:1], 0x28
	s_mov_b32 s12, s3
	s_mov_b64 s[4:5], 0
	s_waitcnt lgkmcnt(0)
	s_cmp_lg_u64 s[14:15], 0
	s_cselect_b64 s[16:17], -1, 0
	s_and_b64 vcc, exec, s[16:17]
	s_cbranch_vccz .LBB16_19
; %bb.1:
	s_add_i32 s6, s12, 1
	s_mov_b32 s7, 0
	s_lshl_b64 s[8:9], s[6:7], 2
	s_add_u32 s8, s14, s8
	s_mov_b32 s13, s7
	s_addc_u32 s9, s15, s9
	s_lshl_b64 s[6:7], s[12:13], 2
	s_add_u32 s6, s14, s6
	s_addc_u32 s7, s15, s7
	s_load_dword s3, s[8:9], 0x0
	s_load_dword s10, s[6:7], 0x0
	s_waitcnt lgkmcnt(0)
	s_sub_i32 s3, s3, s10
	s_cmp_eq_u32 s3, 1
	s_cselect_b64 s[6:7], -1, 0
	s_andn2_b64 vcc, exec, s[4:5]
	s_cbranch_vccnz .LBB16_3
.LBB16_2:
	s_mov_b32 s13, 0
	s_mov_b64 s[6:7], -1
.LBB16_3:
	s_andn2_b64 vcc, exec, s[6:7]
	s_cbranch_vccz .LBB16_5
; %bb.4:
	s_endpgm
.LBB16_5:
	s_load_dwordx4 s[8:11], s[0:1], 0x18
	s_load_dword s20, s[0:1], 0x30
	s_lshl_b64 s[18:19], s[12:13], 2
	v_cmp_lt_u32_e32 vcc, 63, v0
	s_waitcnt lgkmcnt(0)
	s_add_u32 s4, s10, s18
	s_addc_u32 s5, s11, s19
	s_load_dword s24, s[4:5], 0x0
	s_load_dword s3, s[0:1], 0x40
	s_mul_i32 s10, s2, s20
	s_mul_i32 s6, s12, s20
	s_waitcnt lgkmcnt(0)
	s_add_i32 s7, s24, 0xff
	s_ashr_i32 s4, s7, 31
	s_lshr_b32 s4, s4, 24
	s_add_i32 s7, s7, s4
	s_and_saveexec_b64 s[4:5], vcc
	s_xor_b64 s[4:5], exec, s[4:5]
	s_or_saveexec_b64 s[20:21], s[4:5]
	s_ashr_i32 s25, s7, 8
	v_mov_b32_e32 v1, s10
	s_mul_i32 s22, s6, s3
	s_xor_b64 exec, exec, s[20:21]
	s_cbranch_execz .LBB16_9
; %bb.6:
	s_load_dwordx4 s[4:7], s[0:1], 0x8
	s_mov_b32 s23, 0
	s_lshl_b64 s[26:27], s[22:23], 2
	s_mov_b32 s11, s23
	v_cmp_gt_u32_e32 vcc, s25, v0
	s_waitcnt lgkmcnt(0)
	s_add_u32 s23, s6, s26
	s_addc_u32 s29, s7, s27
	s_lshl_b64 s[6:7], s[10:11], 2
	s_add_u32 s28, s23, s6
	s_addc_u32 s29, s29, s7
	s_add_i32 s11, s25, -1
	v_mov_b32_e32 v1, s11
	v_cndmask_b32_e32 v2, v1, v0, vcc
	v_ashrrev_i32_e32 v3, 31, v2
	v_lshlrev_b64 v[2:3], 2, v[2:3]
	v_lshl_add_u64 v[4:5], s[28:29], 0, v[2:3]
	global_load_dword v1, v[4:5], off
	s_add_u32 s4, s4, s26
	s_addc_u32 s5, s5, s27
	s_add_u32 s4, s4, s6
	s_addc_u32 s5, s5, s7
	v_lshl_add_u64 v[2:3], s[4:5], 0, v[2:3]
	global_load_dword v2, v[2:3], off
	v_mbcnt_lo_u32_b32 v3, -1, 0
	v_mbcnt_hi_u32_b32 v3, -1, v3
	v_and_b32_e32 v4, 64, v3
	v_xor_b32_e32 v5, 32, v3
	v_add_u32_e32 v4, 64, v4
	v_cmp_lt_i32_e64 s[4:5], v5, v4
	v_xor_b32_e32 v6, 16, v3
	v_xor_b32_e32 v9, 8, v3
	v_cndmask_b32_e64 v5, v3, v5, s[4:5]
	v_lshlrev_b32_e32 v5, 2, v5
	v_cmp_lt_i32_e64 s[4:5], v6, v4
	v_xor_b32_e32 v10, 4, v3
	v_xor_b32_e32 v11, 2, v3
	v_cndmask_b32_e64 v6, v3, v6, s[4:5]
	v_lshlrev_b32_e32 v6, 2, v6
	v_cmp_lt_i32_e64 s[4:5], v9, v4
	v_xor_b32_e32 v12, 1, v3
	s_mov_b32 s6, 0x42b17218
	v_cndmask_b32_e64 v9, v3, v9, s[4:5]
	v_lshlrev_b32_e32 v9, 2, v9
	v_cmp_lt_i32_e64 s[4:5], v10, v4
	s_waitcnt vmcnt(1)
	ds_bpermute_b32 v7, v5, v1
	v_max_f32_e32 v8, v1, v1
	v_cndmask_b32_e64 v10, v3, v10, s[4:5]
	v_lshlrev_b32_e32 v10, 2, v10
	v_cmp_lt_i32_e64 s[4:5], v11, v4
	s_waitcnt lgkmcnt(0)
	v_max_f32_e32 v7, v7, v7
	v_max_f32_e32 v7, v8, v7
	ds_bpermute_b32 v8, v6, v7
	v_cndmask_b32_e64 v11, v3, v11, s[4:5]
	v_lshlrev_b32_e32 v11, 2, v11
	v_cmp_lt_i32_e64 s[4:5], v12, v4
	s_waitcnt lgkmcnt(0)
	v_max_f32_e32 v8, v8, v8
	v_max_f32_e32 v7, v7, v8
	ds_bpermute_b32 v8, v9, v7
	v_cndmask_b32_e64 v3, v3, v12, s[4:5]
	v_lshlrev_b32_e32 v3, 2, v3
	s_mov_b32 s4, 0x3fb8aa3b
	s_waitcnt lgkmcnt(0)
	v_max_f32_e32 v8, v8, v8
	v_max_f32_e32 v7, v7, v8
	ds_bpermute_b32 v8, v10, v7
	s_waitcnt lgkmcnt(0)
	v_max_f32_e32 v8, v8, v8
	v_max_f32_e32 v7, v7, v8
	ds_bpermute_b32 v8, v11, v7
	;; [unrolled: 4-line block ×3, first 2 shown]
	s_waitcnt lgkmcnt(0)
	v_max_f32_e32 v7, v7, v7
	v_max_f32_e32 v4, v4, v7
	v_sub_f32_e32 v1, v1, v4
	v_mul_f32_e32 v4, 0x3fb8aa3b, v1
	v_fma_f32 v7, v1, s4, -v4
	v_rndne_f32_e32 v8, v4
	v_fmamk_f32 v7, v1, 0x32a5705f, v7
	v_sub_f32_e32 v4, v4, v8
	v_add_f32_e32 v4, v4, v7
	v_cvt_i32_f32_e32 v8, v8
	v_exp_f32_e32 v4, v4
	s_mov_b32 s4, 0xc2ce8ed0
	v_cmp_ngt_f32_e64 s[4:5], s4, v1
	v_mov_b32_e32 v7, 0x7f800000
	v_ldexp_f32 v4, v4, v8
	v_cndmask_b32_e64 v4, 0, v4, s[4:5]
	v_cmp_nlt_f32_e64 s[4:5], s6, v1
	s_nop 1
	v_cndmask_b32_e64 v1, v7, v4, s[4:5]
	v_cndmask_b32_e32 v1, 0, v1, vcc
	s_waitcnt vmcnt(0)
	v_mul_f32_e32 v4, v1, v2
	ds_bpermute_b32 v1, v5, v4
	v_cmp_eq_u32_e32 vcc, 0, v0
	s_waitcnt lgkmcnt(0)
	v_add_f32_e32 v1, v4, v1
	ds_bpermute_b32 v2, v6, v1
	s_waitcnt lgkmcnt(0)
	v_add_f32_e32 v1, v1, v2
	ds_bpermute_b32 v2, v9, v1
	;; [unrolled: 3-line block ×5, first 2 shown]
	v_lshlrev_b32_e32 v3, 2, v0
	ds_write_b32 v3, v4
	s_and_saveexec_b64 s[4:5], vcc
	s_cbranch_execz .LBB16_8
; %bb.7:
	s_waitcnt lgkmcnt(1)
	v_add_f32_e32 v1, v1, v2
	v_mov_b32_e32 v2, 0
	ds_write_b32 v2, v1 offset:256
.LBB16_8:
	s_or_b64 exec, exec, s[4:5]
	v_mov_b32_e32 v1, s10
.LBB16_9:
	s_or_b64 exec, exec, s[20:21]
	s_lshl_b32 s4, s22, 6
	s_mov_b32 s5, 0
	s_lshl_b64 s[4:5], s[4:5], 1
	s_waitcnt lgkmcnt(1)
	v_lshlrev_b32_e32 v2, 6, v1
	v_mov_b32_e32 v1, 0
	s_add_u32 s4, s8, s4
	v_mov_b32_e32 v3, v1
	s_addc_u32 s5, s9, s5
	v_lshl_add_u64 v[2:3], v[2:3], 1, s[4:5]
	s_lshl_b32 s4, s25, 6
	s_sub_i32 s6, s4, 64
	s_cmp_lt_i32 s24, 1
	s_cselect_b32 s4, s6, 0
	v_lshlrev_b32_e32 v4, 1, v0
	v_mov_b32_e32 v5, v1
	s_ashr_i32 s5, s4, 31
	v_lshl_add_u64 v[2:3], v[2:3], 0, v[4:5]
	s_cmpk_lt_i32 s24, 0x101
	v_lshl_add_u64 v[12:13], s[4:5], 1, v[2:3]
	s_cselect_b32 s4, s6, 64
	s_ashr_i32 s5, s4, 31
	s_cmpk_lt_i32 s24, 0x201
	v_lshl_add_u64 v[14:15], s[4:5], 1, v[2:3]
	s_cselect_b32 s4, s6, 0x80
	s_ashr_i32 s5, s4, 31
	;; [unrolled: 4-line block ×8, first 2 shown]
	s_cmpk_lt_i32 s24, 0x901
	global_load_ushort v4, v[12:13], off
	global_load_ushort v5, v[14:15], off
	;; [unrolled: 1-line block ×8, first 2 shown]
	v_lshl_add_u64 v[20:21], s[4:5], 1, v[2:3]
	s_cselect_b32 s4, s6, 0x240
	s_ashr_i32 s5, s4, 31
	s_cmpk_lt_i32 s24, 0xa01
	v_lshl_add_u64 v[22:23], s[4:5], 1, v[2:3]
	s_cselect_b32 s4, s6, 0x280
	s_ashr_i32 s5, s4, 31
	s_cmpk_lt_i32 s24, 0xb01
	;; [unrolled: 4-line block ×6, first 2 shown]
	v_lshl_add_u64 v[32:33], s[4:5], 1, v[2:3]
	s_cselect_b32 s4, s6, 0x3c0
	s_ashr_i32 s5, s4, 31
	v_lshl_add_u64 v[34:35], s[4:5], 1, v[2:3]
	global_load_ushort v13, v[20:21], off
	global_load_ushort v14, v[22:23], off
	;; [unrolled: 1-line block ×8, first 2 shown]
	s_cmpk_gt_i32 s24, 0x1000
	s_cselect_b64 s[4:5], -1, 0
	s_cmpk_lt_i32 s24, 0x1001
	v_mov_b32_e32 v36, 0
	v_mov_b32_e32 v37, 0
	;; [unrolled: 1-line block ×48, first 2 shown]
	s_waitcnt lgkmcnt(0)
	; wave barrier
	s_waitcnt lgkmcnt(0)
	s_cbranch_scc1 .LBB16_12
; %bb.10:
	s_cmpk_lt_u32 s24, 0x1101
	s_cselect_b32 s8, s6, 0x440
	s_ashr_i32 s9, s8, 31
	s_cmpk_lt_u32 s24, 0x1201
	v_lshl_add_u64 v[28:29], s[8:9], 1, v[2:3]
	s_cselect_b32 s8, s6, 0x480
	s_ashr_i32 s9, s8, 31
	s_cmpk_lt_u32 s24, 0x1301
	v_lshl_add_u64 v[30:31], s[8:9], 1, v[2:3]
	;; [unrolled: 4-line block ×7, first 2 shown]
	s_cselect_b32 s8, s6, 0x600
	s_ashr_i32 s9, s8, 31
	s_cmpk_lt_u32 s24, 0x1901
	global_load_ushort v27, v[2:3], off offset:2048
	global_load_ushort v26, v[28:29], off
	global_load_ushort v25, v[30:31], off
	;; [unrolled: 1-line block ×7, first 2 shown]
	v_lshl_add_u64 v[36:37], s[8:9], 1, v[2:3]
	s_cselect_b32 s8, s6, 0x640
	s_ashr_i32 s9, s8, 31
	s_cmpk_lt_u32 s24, 0x1a01
	v_lshl_add_u64 v[38:39], s[8:9], 1, v[2:3]
	s_cselect_b32 s8, s6, 0x680
	s_ashr_i32 s9, s8, 31
	s_cmpk_lt_u32 s24, 0x1b01
	;; [unrolled: 4-line block ×6, first 2 shown]
	v_lshl_add_u64 v[48:49], s[8:9], 1, v[2:3]
	s_cselect_b32 s8, s6, 0x7c0
	s_ashr_i32 s9, s8, 31
	v_lshl_add_u64 v[50:51], s[8:9], 1, v[2:3]
	global_load_ushort v35, v[36:37], off
	global_load_ushort v34, v[38:39], off
	;; [unrolled: 1-line block ×8, first 2 shown]
	s_cmpk_lt_u32 s24, 0x2001
	v_mov_b32_e32 v67, 0
	v_mov_b32_e32 v66, 0
	;; [unrolled: 1-line block ×32, first 2 shown]
	s_cbranch_scc1 .LBB16_12
; %bb.11:
	s_cmpk_lt_u32 s24, 0x2101
	s_cselect_b32 s8, s6, 0x840
	s_ashr_i32 s9, s8, 31
	s_cmpk_lt_u32 s24, 0x2201
	v_lshl_add_u64 v[38:39], s[8:9], 1, v[2:3]
	s_cselect_b32 s8, s6, 0x880
	s_ashr_i32 s9, s8, 31
	s_cmpk_lt_u32 s24, 0x2301
	v_lshl_add_u64 v[40:41], s[8:9], 1, v[2:3]
	;; [unrolled: 4-line block ×7, first 2 shown]
	s_cselect_b32 s8, s6, 0xa00
	v_add_co_u32_e32 v36, vcc, 0x1000, v2
	s_ashr_i32 s9, s8, 31
	s_nop 0
	v_addc_co_u32_e32 v37, vcc, 0, v3, vcc
	s_cmpk_lt_u32 s24, 0x2901
	global_load_ushort v52, v[36:37], off
	global_load_ushort v53, v[38:39], off
	;; [unrolled: 1-line block ×8, first 2 shown]
	v_lshl_add_u64 v[36:37], s[8:9], 1, v[2:3]
	s_cselect_b32 s8, s6, 0xa40
	s_ashr_i32 s9, s8, 31
	s_cmpk_lt_u32 s24, 0x2a01
	v_lshl_add_u64 v[38:39], s[8:9], 1, v[2:3]
	s_cselect_b32 s8, s6, 0xa80
	s_ashr_i32 s9, s8, 31
	s_cmpk_lt_u32 s24, 0x2b01
	;; [unrolled: 4-line block ×8, first 2 shown]
	global_load_ushort v68, v[36:37], off
	global_load_ushort v69, v[38:39], off
	;; [unrolled: 1-line block ×8, first 2 shown]
	v_lshl_add_u64 v[36:37], s[8:9], 1, v[2:3]
	s_cselect_b32 s8, s6, 0xc40
	s_ashr_i32 s9, s8, 31
	s_cmpk_lt_u32 s24, 0x3201
	v_lshl_add_u64 v[38:39], s[8:9], 1, v[2:3]
	s_cselect_b32 s8, s6, 0xc80
	s_ashr_i32 s9, s8, 31
	s_cmpk_lt_u32 s24, 0x3301
	;; [unrolled: 4-line block ×8, first 2 shown]
	global_load_ushort v76, v[36:37], off
	global_load_ushort v77, v[38:39], off
	;; [unrolled: 1-line block ×8, first 2 shown]
	v_lshl_add_u64 v[36:37], s[8:9], 1, v[2:3]
	s_cselect_b32 s8, s6, 0xe40
	s_ashr_i32 s9, s8, 31
	s_cmpk_lt_u32 s24, 0x3a01
	v_lshl_add_u64 v[38:39], s[8:9], 1, v[2:3]
	s_cselect_b32 s8, s6, 0xe80
	s_ashr_i32 s9, s8, 31
	s_cmpk_lt_u32 s24, 0x3b01
	;; [unrolled: 4-line block ×6, first 2 shown]
	s_cselect_b32 s6, s6, 0xfc0
	s_ashr_i32 s7, s6, 31
	v_lshl_add_u64 v[48:49], s[8:9], 1, v[2:3]
	v_lshl_add_u64 v[2:3], s[6:7], 1, v[2:3]
	global_load_ushort v84, v[36:37], off
	global_load_ushort v85, v[38:39], off
	global_load_ushort v86, v[40:41], off
	global_load_ushort v87, v[42:43], off
	global_load_ushort v88, v[44:45], off
	global_load_ushort v89, v[46:47], off
	global_load_ushort v90, v[48:49], off
	global_load_ushort v91, v[2:3], off
	s_waitcnt vmcnt(31)
	v_cvt_f32_f16_e32 v67, v52
	s_waitcnt vmcnt(30)
	v_cvt_f32_f16_e32 v66, v53
	;; [unrolled: 2-line block ×32, first 2 shown]
.LBB16_12:
	ds_read_b128 v[68:71], v1
	ds_read_b128 v[72:75], v1 offset:16
	ds_read_b128 v[76:79], v1 offset:32
	;; [unrolled: 1-line block ×3, first 2 shown]
	s_load_dwordx2 s[6:7], s[0:1], 0x38
	s_andn2_b64 vcc, exec, s[4:5]
	s_waitcnt vmcnt(15) lgkmcnt(0)
	v_fma_mix_f32 v2, v68, v4, 0 op_sel_hi:[0,1,0]
	s_waitcnt vmcnt(14)
	v_fma_mix_f32 v2, v69, v5, v2 op_sel_hi:[0,1,0]
	s_waitcnt vmcnt(13)
	;; [unrolled: 2-line block ×15, first 2 shown]
	v_fma_mix_f32 v2, v83, v12, v2 op_sel_hi:[0,1,0]
	s_cbranch_vccnz .LBB16_15
; %bb.13:
	ds_read_b128 v[4:7], v1 offset:64
	ds_read_b128 v[8:11], v1 offset:80
	;; [unrolled: 1-line block ×4, first 2 shown]
	s_cmpk_lt_u32 s24, 0x2001
	s_waitcnt lgkmcnt(3)
	v_fma_mix_f32 v2, v4, v27, v2 op_sel_hi:[0,1,0]
	v_fma_mix_f32 v2, v5, v26, v2 op_sel_hi:[0,1,0]
	v_fma_mix_f32 v2, v6, v25, v2 op_sel_hi:[0,1,0]
	v_fma_mix_f32 v2, v7, v24, v2 op_sel_hi:[0,1,0]
	s_waitcnt lgkmcnt(2)
	v_fma_mix_f32 v2, v8, v23, v2 op_sel_hi:[0,1,0]
	v_fma_mix_f32 v2, v9, v22, v2 op_sel_hi:[0,1,0]
	v_fma_mix_f32 v2, v10, v21, v2 op_sel_hi:[0,1,0]
	v_fma_mix_f32 v2, v11, v20, v2 op_sel_hi:[0,1,0]
	s_waitcnt lgkmcnt(1)
	v_fma_mix_f32 v2, v12, v35, v2 op_sel_hi:[0,1,0]
	v_fma_mix_f32 v2, v13, v34, v2 op_sel_hi:[0,1,0]
	v_fma_mix_f32 v2, v14, v33, v2 op_sel_hi:[0,1,0]
	v_fma_mix_f32 v2, v15, v32, v2 op_sel_hi:[0,1,0]
	s_waitcnt lgkmcnt(0)
	v_fma_mix_f32 v2, v16, v31, v2 op_sel_hi:[0,1,0]
	v_fma_mix_f32 v2, v17, v30, v2 op_sel_hi:[0,1,0]
	v_fma_mix_f32 v2, v18, v29, v2 op_sel_hi:[0,1,0]
	v_fma_mix_f32 v2, v19, v28, v2 op_sel_hi:[0,1,0]
	s_cbranch_scc1 .LBB16_15
; %bb.14:
	v_mov_b32_e32 v3, 0
	ds_read_b128 v[4:7], v3 offset:128
	ds_read_b128 v[8:11], v3 offset:144
	;; [unrolled: 1-line block ×4, first 2 shown]
	s_waitcnt lgkmcnt(3)
	v_fmac_f32_e32 v2, v4, v67
	v_fmac_f32_e32 v2, v5, v66
	v_fmac_f32_e32 v2, v6, v65
	v_fmac_f32_e32 v2, v7, v64
	s_waitcnt lgkmcnt(2)
	v_fmac_f32_e32 v2, v8, v63
	v_fmac_f32_e32 v2, v9, v62
	v_fmac_f32_e32 v2, v10, v61
	v_fmac_f32_e32 v2, v11, v60
	;; [unrolled: 5-line block ×3, first 2 shown]
	ds_read_b128 v[4:7], v3 offset:192
	ds_read_b128 v[8:11], v3 offset:208
	s_waitcnt lgkmcnt(2)
	v_fmac_f32_e32 v2, v16, v55
	v_fmac_f32_e32 v2, v17, v54
	;; [unrolled: 1-line block ×4, first 2 shown]
	s_waitcnt lgkmcnt(1)
	v_fmac_f32_e32 v2, v4, v51
	v_fmac_f32_e32 v2, v5, v50
	;; [unrolled: 1-line block ×4, first 2 shown]
	ds_read_b128 v[4:7], v3 offset:224
	s_waitcnt lgkmcnt(1)
	v_fmac_f32_e32 v2, v8, v47
	v_fmac_f32_e32 v2, v9, v46
	;; [unrolled: 1-line block ×4, first 2 shown]
	ds_read_b128 v[8:11], v3 offset:240
	s_waitcnt lgkmcnt(1)
	v_fmac_f32_e32 v2, v4, v43
	v_fmac_f32_e32 v2, v5, v42
	;; [unrolled: 1-line block ×4, first 2 shown]
	s_waitcnt lgkmcnt(0)
	v_fmac_f32_e32 v2, v8, v39
	v_fmac_f32_e32 v2, v9, v38
	;; [unrolled: 1-line block ×4, first 2 shown]
.LBB16_15:
	s_load_dwordx2 s[0:1], s[0:1], 0x0
	ds_read_b32 v3, v1 offset:256
	s_cmp_eq_u64 s[6:7], 0
	s_cbranch_scc1 .LBB16_20
; %bb.16:
	s_load_dword s6, s[6:7], 0x0
	s_waitcnt lgkmcnt(0)
	v_div_scale_f32 v4, s[4:5], s6, s6, 1.0
	v_rcp_f32_e32 v5, v4
	v_div_scale_f32 v6, vcc, 1.0, s6, 1.0
	v_fma_f32 v7, -v4, v5, 1.0
	v_fmac_f32_e32 v5, v7, v5
	v_mul_f32_e32 v7, v6, v5
	v_fma_f32 v8, -v4, v7, v6
	v_fmac_f32_e32 v7, v8, v5
	v_fma_f32 v4, -v4, v7, v6
	v_div_fmas_f32 v4, v4, v5, v7
	v_div_fixup_f32 v4, v4, s6, 1.0
	s_andn2_b64 vcc, exec, s[16:17]
	s_cbranch_vccnz .LBB16_18
.LBB16_17:
	s_add_u32 s4, s14, s18
	s_addc_u32 s5, s15, s19
	s_load_dword s12, s[4:5], 0x0
	s_mov_b32 s13, 0
.LBB16_18:
	s_waitcnt lgkmcnt(0)
	v_add_f32_e32 v3, 0x358637bd, v3
	v_div_scale_f32 v5, s[4:5], v3, v3, 1.0
	v_rcp_f32_e32 v6, v5
	v_div_scale_f32 v7, vcc, 1.0, v3, 1.0
	s_mul_i32 s4, s3, s13
	v_fma_f32 v8, -v5, v6, 1.0
	v_fmac_f32_e32 v6, v8, v6
	v_mul_f32_e32 v8, v7, v6
	v_fma_f32 v9, -v5, v8, v7
	v_fmac_f32_e32 v8, v9, v6
	v_fma_f32 v5, -v5, v8, v7
	s_mul_hi_u32 s5, s3, s12
	v_div_fmas_f32 v5, v5, v6, v8
	s_add_i32 s5, s5, s4
	s_mul_i32 s4, s3, s12
	v_div_fixup_f32 v3, v5, v3, 1.0
	s_lshl_b64 s[4:5], s[4:5], 6
	v_mul_f32_e32 v2, v2, v3
	s_add_u32 s4, s0, s4
	s_mov_b32 s3, 0
	v_mul_f32_e32 v2, v2, v4
	s_addc_u32 s5, s1, s5
	s_lshl_b64 s[0:1], s[2:3], 6
	s_mov_b32 s2, 0x7f800000
	s_mov_b32 s3, 0x43700000
	v_mov_b32_e32 v3, 0xc3700000
	v_med3_f32 v3, v2, s3, v3
	v_cmp_nlg_f32_e64 vcc, |v2|, s2
	s_add_u32 s0, s4, s0
	s_addc_u32 s1, s5, s1
	v_cndmask_b32_e32 v2, v3, v2, vcc
	v_mov_b32_e32 v3, 0
	v_cvt_pk_fp8_f32 v3, v2, v2
	v_lshl_add_u64 v[0:1], s[0:1], 0, v[0:1]
	global_store_byte v[0:1], v3, off
	s_endpgm
.LBB16_19:
	s_mov_b64 s[6:7], 0
	s_branch .LBB16_2
.LBB16_20:
	v_mov_b32_e32 v4, 1.0
	s_andn2_b64 vcc, exec, s[16:17]
	s_cbranch_vccz .LBB16_17
	s_branch .LBB16_18
	.section	.rodata,"a",@progbits
	.p2align	6, 0x0
	.amdhsa_kernel _Z35paged_attention_ll4mi_reduce_kernelIDF16_hLi64ELi64ELi256ELi1EEvPT0_PKfS3_PKT_PKiS8_iS3_
		.amdhsa_group_segment_fixed_size 260
		.amdhsa_private_segment_fixed_size 0
		.amdhsa_kernarg_size 320
		.amdhsa_user_sgpr_count 2
		.amdhsa_user_sgpr_dispatch_ptr 0
		.amdhsa_user_sgpr_queue_ptr 0
		.amdhsa_user_sgpr_kernarg_segment_ptr 1
		.amdhsa_user_sgpr_dispatch_id 0
		.amdhsa_user_sgpr_kernarg_preload_length 0
		.amdhsa_user_sgpr_kernarg_preload_offset 0
		.amdhsa_user_sgpr_private_segment_size 0
		.amdhsa_uses_dynamic_stack 0
		.amdhsa_enable_private_segment 0
		.amdhsa_system_sgpr_workgroup_id_x 1
		.amdhsa_system_sgpr_workgroup_id_y 1
		.amdhsa_system_sgpr_workgroup_id_z 0
		.amdhsa_system_sgpr_workgroup_info 0
		.amdhsa_system_vgpr_workitem_id 0
		.amdhsa_next_free_vgpr 92
		.amdhsa_next_free_sgpr 30
		.amdhsa_accum_offset 92
		.amdhsa_reserve_vcc 1
		.amdhsa_float_round_mode_32 0
		.amdhsa_float_round_mode_16_64 0
		.amdhsa_float_denorm_mode_32 3
		.amdhsa_float_denorm_mode_16_64 3
		.amdhsa_dx10_clamp 1
		.amdhsa_ieee_mode 1
		.amdhsa_fp16_overflow 0
		.amdhsa_tg_split 0
		.amdhsa_exception_fp_ieee_invalid_op 0
		.amdhsa_exception_fp_denorm_src 0
		.amdhsa_exception_fp_ieee_div_zero 0
		.amdhsa_exception_fp_ieee_overflow 0
		.amdhsa_exception_fp_ieee_underflow 0
		.amdhsa_exception_fp_ieee_inexact 0
		.amdhsa_exception_int_div_zero 0
	.end_amdhsa_kernel
	.section	.text._Z35paged_attention_ll4mi_reduce_kernelIDF16_hLi64ELi64ELi256ELi1EEvPT0_PKfS3_PKT_PKiS8_iS3_,"axG",@progbits,_Z35paged_attention_ll4mi_reduce_kernelIDF16_hLi64ELi64ELi256ELi1EEvPT0_PKfS3_PKT_PKiS8_iS3_,comdat
.Lfunc_end16:
	.size	_Z35paged_attention_ll4mi_reduce_kernelIDF16_hLi64ELi64ELi256ELi1EEvPT0_PKfS3_PKT_PKiS8_iS3_, .Lfunc_end16-_Z35paged_attention_ll4mi_reduce_kernelIDF16_hLi64ELi64ELi256ELi1EEvPT0_PKfS3_PKT_PKiS8_iS3_
                                        ; -- End function
	.section	.AMDGPU.csdata,"",@progbits
; Kernel info:
; codeLenInByte = 4652
; NumSgprs: 36
; NumVgprs: 92
; NumAgprs: 0
; TotalNumVgprs: 92
; ScratchSize: 0
; MemoryBound: 0
; FloatMode: 240
; IeeeMode: 1
; LDSByteSize: 260 bytes/workgroup (compile time only)
; SGPRBlocks: 4
; VGPRBlocks: 11
; NumSGPRsForWavesPerEU: 36
; NumVGPRsForWavesPerEU: 92
; AccumOffset: 92
; Occupancy: 5
; WaveLimiterHint : 1
; COMPUTE_PGM_RSRC2:SCRATCH_EN: 0
; COMPUTE_PGM_RSRC2:USER_SGPR: 2
; COMPUTE_PGM_RSRC2:TRAP_HANDLER: 0
; COMPUTE_PGM_RSRC2:TGID_X_EN: 1
; COMPUTE_PGM_RSRC2:TGID_Y_EN: 1
; COMPUTE_PGM_RSRC2:TGID_Z_EN: 0
; COMPUTE_PGM_RSRC2:TIDIG_COMP_CNT: 0
; COMPUTE_PGM_RSRC3_GFX90A:ACCUM_OFFSET: 22
; COMPUTE_PGM_RSRC3_GFX90A:TG_SPLIT: 0
	.section	.text._Z35paged_attention_ll4mi_reduce_kernelIDF16_hLi64ELi64ELi256ELi2EEvPT0_PKfS3_PKT_PKiS8_iS3_,"axG",@progbits,_Z35paged_attention_ll4mi_reduce_kernelIDF16_hLi64ELi64ELi256ELi2EEvPT0_PKfS3_PKT_PKiS8_iS3_,comdat
	.protected	_Z35paged_attention_ll4mi_reduce_kernelIDF16_hLi64ELi64ELi256ELi2EEvPT0_PKfS3_PKT_PKiS8_iS3_ ; -- Begin function _Z35paged_attention_ll4mi_reduce_kernelIDF16_hLi64ELi64ELi256ELi2EEvPT0_PKfS3_PKT_PKiS8_iS3_
	.globl	_Z35paged_attention_ll4mi_reduce_kernelIDF16_hLi64ELi64ELi256ELi2EEvPT0_PKfS3_PKT_PKiS8_iS3_
	.p2align	8
	.type	_Z35paged_attention_ll4mi_reduce_kernelIDF16_hLi64ELi64ELi256ELi2EEvPT0_PKfS3_PKT_PKiS8_iS3_,@function
_Z35paged_attention_ll4mi_reduce_kernelIDF16_hLi64ELi64ELi256ELi2EEvPT0_PKfS3_PKT_PKiS8_iS3_: ; @_Z35paged_attention_ll4mi_reduce_kernelIDF16_hLi64ELi64ELi256ELi2EEvPT0_PKfS3_PKT_PKiS8_iS3_
; %bb.0:
	s_load_dwordx2 s[18:19], s[0:1], 0x28
	s_mov_b32 s16, s3
	s_mov_b64 s[4:5], 0
	s_waitcnt lgkmcnt(0)
	s_cmp_lg_u64 s[18:19], 0
	s_cselect_b64 s[20:21], -1, 0
	s_and_b64 vcc, exec, s[20:21]
	s_cbranch_vccz .LBB17_21
; %bb.1:
	s_add_i32 s6, s16, 1
	s_mov_b32 s7, 0
	s_lshl_b64 s[8:9], s[6:7], 2
	s_add_u32 s8, s18, s8
	s_mov_b32 s17, s7
	s_addc_u32 s9, s19, s9
	s_lshl_b64 s[6:7], s[16:17], 2
	s_add_u32 s6, s18, s6
	s_addc_u32 s7, s19, s7
	s_load_dword s3, s[8:9], 0x0
	s_load_dword s10, s[6:7], 0x0
	s_waitcnt lgkmcnt(0)
	s_sub_i32 s3, s3, s10
	s_cmp_eq_u32 s3, 1
	s_cselect_b64 s[6:7], -1, 0
	s_andn2_b64 vcc, exec, s[4:5]
	s_cbranch_vccnz .LBB17_3
.LBB17_2:
	s_mov_b32 s17, 0
	s_mov_b64 s[6:7], -1
.LBB17_3:
	s_andn2_b64 vcc, exec, s[6:7]
	s_cbranch_vccz .LBB17_5
; %bb.4:
	s_endpgm
.LBB17_5:
	s_load_dwordx4 s[8:11], s[0:1], 0x18
	s_load_dword s12, s[0:1], 0x30
	s_lshl_b64 s[22:23], s[16:17], 2
	v_cmp_lt_u32_e32 vcc, 63, v0
	s_waitcnt lgkmcnt(0)
	s_add_u32 s4, s10, s22
	s_addc_u32 s5, s11, s23
	s_load_dword s28, s[4:5], 0x0
	s_load_dword s3, s[0:1], 0x40
	s_mul_i32 s10, s2, s12
	s_mul_i32 s6, s16, s12
	s_waitcnt lgkmcnt(0)
	s_add_i32 s7, s28, 0xff
	s_ashr_i32 s4, s7, 31
	s_lshr_b32 s4, s4, 24
	s_add_i32 s7, s7, s4
	s_and_saveexec_b64 s[4:5], vcc
	s_xor_b64 s[4:5], exec, s[4:5]
	s_or_saveexec_b64 s[24:25], s[4:5]
	s_ashr_i32 s29, s7, 8
	v_mov_b32_e32 v1, s10
	s_mul_i32 s26, s6, s3
	s_xor_b64 exec, exec, s[24:25]
	s_cbranch_execz .LBB17_9
; %bb.6:
	s_load_dwordx4 s[12:15], s[0:1], 0x8
	s_mov_b32 s27, 0
	s_add_i32 s4, s29, -1
	v_or_b32_e32 v3, 64, v0
	s_lshl_b64 s[30:31], s[26:27], 2
	s_mov_b32 s11, s27
	v_mov_b32_e32 v1, s4
	v_cmp_gt_u32_e64 s[4:5], s29, v3
	s_waitcnt lgkmcnt(0)
	s_add_u32 s6, s14, s30
	v_cmp_gt_u32_e32 vcc, s29, v0
	v_cndmask_b32_e64 v4, v1, v3, s[4:5]
	s_addc_u32 s7, s15, s31
	s_lshl_b64 s[14:15], s[10:11], 2
	v_cndmask_b32_e32 v2, v1, v0, vcc
	s_add_u32 s6, s6, s14
	v_ashrrev_i32_e32 v5, 31, v4
	s_addc_u32 s7, s7, s15
	v_ashrrev_i32_e32 v3, 31, v2
	v_lshlrev_b64 v[4:5], 2, v[4:5]
	v_lshlrev_b64 v[2:3], 2, v[2:3]
	v_lshl_add_u64 v[8:9], s[6:7], 0, v[4:5]
	v_lshl_add_u64 v[6:7], s[6:7], 0, v[2:3]
	global_load_dword v1, v[8:9], off
	global_load_dword v10, v[6:7], off
	v_mbcnt_lo_u32_b32 v6, -1, 0
	v_mbcnt_hi_u32_b32 v6, -1, v6
	v_and_b32_e32 v7, 64, v6
	v_xor_b32_e32 v8, 32, v6
	v_add_u32_e32 v7, 64, v7
	v_cmp_lt_i32_e64 s[6:7], v8, v7
	v_xor_b32_e32 v12, 4, v6
	v_xor_b32_e32 v13, 2, v6
	v_cndmask_b32_e64 v8, v6, v8, s[6:7]
	s_add_u32 s6, s12, s30
	s_addc_u32 s7, s13, s31
	s_add_u32 s6, s6, s14
	s_addc_u32 s7, s7, s15
	v_lshl_add_u64 v[2:3], s[6:7], 0, v[2:3]
	v_lshl_add_u64 v[4:5], s[6:7], 0, v[4:5]
	global_load_dword v9, v[2:3], off
	global_load_dword v11, v[4:5], off
	v_lshlrev_b32_e32 v2, 2, v8
	v_xor_b32_e32 v5, 16, v6
	v_cmp_lt_i32_e64 s[6:7], v5, v7
	v_xor_b32_e32 v8, 8, v6
	v_xor_b32_e32 v14, 1, v6
	v_cndmask_b32_e64 v5, v6, v5, s[6:7]
	v_lshlrev_b32_e32 v5, 2, v5
	v_cmp_lt_i32_e64 s[6:7], v8, v7
	s_mov_b32 s11, 0xc2ce8ed0
	s_mov_b32 s12, 0x42b17218
	v_cndmask_b32_e64 v8, v6, v8, s[6:7]
	v_lshlrev_b32_e32 v8, 2, v8
	v_cmp_lt_i32_e64 s[6:7], v12, v7
	s_waitcnt vmcnt(3)
	v_max_f32_e32 v3, v1, v1
	s_waitcnt vmcnt(2)
	v_max_f32_e32 v4, v10, v10
	v_max_f32_e32 v3, v4, v3
	ds_bpermute_b32 v4, v2, v3
	v_cndmask_b32_e64 v12, v6, v12, s[6:7]
	v_lshlrev_b32_e32 v12, 2, v12
	v_cmp_lt_i32_e64 s[6:7], v13, v7
	s_waitcnt lgkmcnt(0)
	v_max_f32_e32 v4, v4, v4
	v_max_f32_e32 v3, v3, v4
	ds_bpermute_b32 v4, v5, v3
	v_cndmask_b32_e64 v13, v6, v13, s[6:7]
	v_lshlrev_b32_e32 v13, 2, v13
	v_cmp_lt_i32_e64 s[6:7], v14, v7
	s_waitcnt lgkmcnt(0)
	v_max_f32_e32 v4, v4, v4
	v_max_f32_e32 v3, v3, v4
	ds_bpermute_b32 v4, v8, v3
	v_cndmask_b32_e64 v6, v6, v14, s[6:7]
	v_lshlrev_b32_e32 v6, 2, v6
	s_mov_b32 s6, 0x3fb8aa3b
	s_waitcnt lgkmcnt(0)
	v_max_f32_e32 v4, v4, v4
	v_max_f32_e32 v3, v3, v4
	ds_bpermute_b32 v4, v12, v3
	s_waitcnt lgkmcnt(0)
	v_max_f32_e32 v4, v4, v4
	v_max_f32_e32 v3, v3, v4
	ds_bpermute_b32 v4, v13, v3
	s_waitcnt lgkmcnt(0)
	v_max_f32_e32 v4, v4, v4
	v_max_f32_e32 v3, v3, v4
	ds_bpermute_b32 v4, v6, v3
	s_waitcnt lgkmcnt(0)
	v_max_f32_e32 v4, v4, v4
	v_max_f32_e32 v3, v3, v4
	v_sub_f32_e32 v4, v10, v3
	v_sub_f32_e32 v1, v1, v3
	v_mul_f32_e32 v3, 0x3fb8aa3b, v4
	v_mul_f32_e32 v7, 0x3fb8aa3b, v1
	v_fma_f32 v10, v4, s6, -v3
	v_rndne_f32_e32 v14, v3
	v_fma_f32 v15, v1, s6, -v7
	v_rndne_f32_e32 v16, v7
	v_fmac_f32_e32 v10, 0x32a5705f, v4
	v_sub_f32_e32 v3, v3, v14
	v_fmac_f32_e32 v15, 0x32a5705f, v1
	v_sub_f32_e32 v7, v7, v16
	v_add_f32_e32 v3, v3, v10
	v_cvt_i32_f32_e32 v14, v14
	v_add_f32_e32 v7, v7, v15
	v_exp_f32_e32 v3, v3
	v_cvt_i32_f32_e32 v16, v16
	v_exp_f32_e32 v7, v7
	v_cmp_ngt_f32_e64 s[6:7], s11, v4
	v_ldexp_f32 v3, v3, v14
	v_mov_b32_e32 v10, 0x7f800000
	v_ldexp_f32 v7, v7, v16
	v_cndmask_b32_e64 v3, 0, v3, s[6:7]
	v_cmp_ngt_f32_e64 s[6:7], s11, v1
	v_lshlrev_b32_e32 v15, 2, v0
	s_nop 0
	v_cndmask_b32_e64 v7, 0, v7, s[6:7]
	v_cmp_nlt_f32_e64 s[6:7], s12, v4
	s_nop 1
	v_cndmask_b32_e64 v3, v10, v3, s[6:7]
	v_cmp_nlt_f32_e64 s[6:7], s12, v1
	v_cndmask_b32_e32 v3, 0, v3, vcc
	s_waitcnt vmcnt(1)
	v_mul_f32_e32 v3, v9, v3
	v_cndmask_b32_e64 v1, v10, v7, s[6:7]
	v_cndmask_b32_e64 v1, 0, v1, s[4:5]
	s_waitcnt vmcnt(0)
	v_mul_f32_e32 v4, v11, v1
	ds_write2st64_b32 v15, v3, v4 offset1:1
	v_fmac_f32_e32 v3, v11, v1
	ds_bpermute_b32 v1, v2, v3
	v_cmp_eq_u32_e32 vcc, 0, v0
	s_waitcnt lgkmcnt(0)
	v_add_f32_e32 v1, v3, v1
	ds_bpermute_b32 v2, v5, v1
	s_waitcnt lgkmcnt(0)
	v_add_f32_e32 v1, v1, v2
	ds_bpermute_b32 v2, v8, v1
	;; [unrolled: 3-line block ×5, first 2 shown]
	s_and_saveexec_b64 s[4:5], vcc
	s_cbranch_execz .LBB17_8
; %bb.7:
	s_waitcnt lgkmcnt(0)
	v_add_f32_e32 v1, v1, v2
	v_mov_b32_e32 v2, 0
	ds_write_b32 v2, v1 offset:512
.LBB17_8:
	s_or_b64 exec, exec, s[4:5]
	v_mov_b32_e32 v1, s10
.LBB17_9:
	s_or_b64 exec, exec, s[24:25]
	s_lshl_b32 s4, s26, 6
	s_mov_b32 s5, 0
	s_lshl_b64 s[4:5], s[4:5], 1
	s_waitcnt lgkmcnt(0)
	v_lshlrev_b32_e32 v2, 6, v1
	v_mov_b32_e32 v1, 0
	s_add_u32 s4, s8, s4
	v_mov_b32_e32 v3, v1
	s_addc_u32 s5, s9, s5
	v_lshl_add_u64 v[2:3], v[2:3], 1, s[4:5]
	s_lshl_b32 s4, s29, 6
	s_sub_i32 s6, s4, 64
	s_cmp_lt_i32 s28, 1
	s_cselect_b32 s4, s6, 0
	v_lshlrev_b32_e32 v4, 1, v0
	v_mov_b32_e32 v5, v1
	s_ashr_i32 s5, s4, 31
	v_lshl_add_u64 v[2:3], v[2:3], 0, v[4:5]
	s_cmpk_lt_i32 s28, 0x101
	v_lshl_add_u64 v[12:13], s[4:5], 1, v[2:3]
	s_cselect_b32 s4, s6, 64
	s_ashr_i32 s5, s4, 31
	s_cmpk_lt_i32 s28, 0x201
	v_lshl_add_u64 v[14:15], s[4:5], 1, v[2:3]
	s_cselect_b32 s4, s6, 0x80
	s_ashr_i32 s5, s4, 31
	;; [unrolled: 4-line block ×8, first 2 shown]
	s_cmpk_lt_i32 s28, 0x901
	global_load_ushort v4, v[12:13], off
	global_load_ushort v5, v[14:15], off
	;; [unrolled: 1-line block ×8, first 2 shown]
	v_lshl_add_u64 v[20:21], s[4:5], 1, v[2:3]
	s_cselect_b32 s4, s6, 0x240
	s_ashr_i32 s5, s4, 31
	s_cmpk_lt_i32 s28, 0xa01
	v_lshl_add_u64 v[22:23], s[4:5], 1, v[2:3]
	s_cselect_b32 s4, s6, 0x280
	s_ashr_i32 s5, s4, 31
	s_cmpk_lt_i32 s28, 0xb01
	;; [unrolled: 4-line block ×6, first 2 shown]
	v_lshl_add_u64 v[32:33], s[4:5], 1, v[2:3]
	s_cselect_b32 s4, s6, 0x3c0
	s_ashr_i32 s5, s4, 31
	v_lshl_add_u64 v[34:35], s[4:5], 1, v[2:3]
	global_load_ushort v13, v[20:21], off
	global_load_ushort v14, v[22:23], off
	global_load_ushort v15, v[24:25], off
	global_load_ushort v16, v[26:27], off
	global_load_ushort v17, v[28:29], off
	global_load_ushort v18, v[30:31], off
	global_load_ushort v19, v[32:33], off
	global_load_ushort v12, v[34:35], off
	s_cmpk_gt_i32 s28, 0x1000
	s_cselect_b64 s[4:5], -1, 0
	s_cmpk_lt_i32 s28, 0x1001
	v_mov_b32_e32 v36, 0
	v_mov_b32_e32 v37, 0
	;; [unrolled: 1-line block ×48, first 2 shown]
	s_waitcnt lgkmcnt(0)
	; wave barrier
	s_cbranch_scc1 .LBB17_12
; %bb.10:
	s_cmpk_lt_u32 s28, 0x1101
	s_cselect_b32 s8, s6, 0x440
	s_ashr_i32 s9, s8, 31
	s_cmpk_lt_u32 s28, 0x1201
	v_lshl_add_u64 v[28:29], s[8:9], 1, v[2:3]
	s_cselect_b32 s8, s6, 0x480
	s_ashr_i32 s9, s8, 31
	s_cmpk_lt_u32 s28, 0x1301
	v_lshl_add_u64 v[30:31], s[8:9], 1, v[2:3]
	;; [unrolled: 4-line block ×7, first 2 shown]
	s_cselect_b32 s8, s6, 0x600
	s_ashr_i32 s9, s8, 31
	s_cmpk_lt_u32 s28, 0x1901
	global_load_ushort v27, v[2:3], off offset:2048
	global_load_ushort v26, v[28:29], off
	global_load_ushort v25, v[30:31], off
	;; [unrolled: 1-line block ×7, first 2 shown]
	v_lshl_add_u64 v[36:37], s[8:9], 1, v[2:3]
	s_cselect_b32 s8, s6, 0x640
	s_ashr_i32 s9, s8, 31
	s_cmpk_lt_u32 s28, 0x1a01
	v_lshl_add_u64 v[38:39], s[8:9], 1, v[2:3]
	s_cselect_b32 s8, s6, 0x680
	s_ashr_i32 s9, s8, 31
	s_cmpk_lt_u32 s28, 0x1b01
	;; [unrolled: 4-line block ×6, first 2 shown]
	v_lshl_add_u64 v[48:49], s[8:9], 1, v[2:3]
	s_cselect_b32 s8, s6, 0x7c0
	s_ashr_i32 s9, s8, 31
	v_lshl_add_u64 v[50:51], s[8:9], 1, v[2:3]
	global_load_ushort v35, v[36:37], off
	global_load_ushort v34, v[38:39], off
	;; [unrolled: 1-line block ×8, first 2 shown]
	s_cmpk_lt_u32 s28, 0x2001
	v_mov_b32_e32 v67, 0
	v_mov_b32_e32 v66, 0
	v_mov_b32_e32 v65, 0
	v_mov_b32_e32 v64, 0
	v_mov_b32_e32 v63, 0
	v_mov_b32_e32 v62, 0
	v_mov_b32_e32 v61, 0
	v_mov_b32_e32 v60, 0
	v_mov_b32_e32 v59, 0
	v_mov_b32_e32 v58, 0
	v_mov_b32_e32 v57, 0
	v_mov_b32_e32 v56, 0
	v_mov_b32_e32 v55, 0
	v_mov_b32_e32 v54, 0
	v_mov_b32_e32 v53, 0
	v_mov_b32_e32 v52, 0
	v_mov_b32_e32 v51, 0
	v_mov_b32_e32 v50, 0
	v_mov_b32_e32 v49, 0
	v_mov_b32_e32 v48, 0
	v_mov_b32_e32 v47, 0
	v_mov_b32_e32 v46, 0
	v_mov_b32_e32 v45, 0
	v_mov_b32_e32 v44, 0
	v_mov_b32_e32 v43, 0
	v_mov_b32_e32 v42, 0
	v_mov_b32_e32 v41, 0
	v_mov_b32_e32 v40, 0
	v_mov_b32_e32 v39, 0
	v_mov_b32_e32 v38, 0
	v_mov_b32_e32 v37, 0
	v_mov_b32_e32 v36, 0
	s_cbranch_scc1 .LBB17_12
; %bb.11:
	s_cmpk_lt_u32 s28, 0x2101
	s_cselect_b32 s8, s6, 0x840
	s_ashr_i32 s9, s8, 31
	s_cmpk_lt_u32 s28, 0x2201
	v_lshl_add_u64 v[38:39], s[8:9], 1, v[2:3]
	s_cselect_b32 s8, s6, 0x880
	s_ashr_i32 s9, s8, 31
	s_cmpk_lt_u32 s28, 0x2301
	v_lshl_add_u64 v[40:41], s[8:9], 1, v[2:3]
	;; [unrolled: 4-line block ×7, first 2 shown]
	s_cselect_b32 s8, s6, 0xa00
	v_add_co_u32_e32 v36, vcc, 0x1000, v2
	s_ashr_i32 s9, s8, 31
	s_nop 0
	v_addc_co_u32_e32 v37, vcc, 0, v3, vcc
	s_cmpk_lt_u32 s28, 0x2901
	global_load_ushort v52, v[36:37], off
	global_load_ushort v53, v[38:39], off
	;; [unrolled: 1-line block ×8, first 2 shown]
	v_lshl_add_u64 v[36:37], s[8:9], 1, v[2:3]
	s_cselect_b32 s8, s6, 0xa40
	s_ashr_i32 s9, s8, 31
	s_cmpk_lt_u32 s28, 0x2a01
	v_lshl_add_u64 v[38:39], s[8:9], 1, v[2:3]
	s_cselect_b32 s8, s6, 0xa80
	s_ashr_i32 s9, s8, 31
	s_cmpk_lt_u32 s28, 0x2b01
	;; [unrolled: 4-line block ×8, first 2 shown]
	global_load_ushort v68, v[36:37], off
	global_load_ushort v69, v[38:39], off
	;; [unrolled: 1-line block ×8, first 2 shown]
	v_lshl_add_u64 v[36:37], s[8:9], 1, v[2:3]
	s_cselect_b32 s8, s6, 0xc40
	s_ashr_i32 s9, s8, 31
	s_cmpk_lt_u32 s28, 0x3201
	v_lshl_add_u64 v[38:39], s[8:9], 1, v[2:3]
	s_cselect_b32 s8, s6, 0xc80
	s_ashr_i32 s9, s8, 31
	s_cmpk_lt_u32 s28, 0x3301
	;; [unrolled: 4-line block ×8, first 2 shown]
	global_load_ushort v76, v[36:37], off
	global_load_ushort v77, v[38:39], off
	;; [unrolled: 1-line block ×8, first 2 shown]
	v_lshl_add_u64 v[36:37], s[8:9], 1, v[2:3]
	s_cselect_b32 s8, s6, 0xe40
	s_ashr_i32 s9, s8, 31
	s_cmpk_lt_u32 s28, 0x3a01
	v_lshl_add_u64 v[38:39], s[8:9], 1, v[2:3]
	s_cselect_b32 s8, s6, 0xe80
	s_ashr_i32 s9, s8, 31
	s_cmpk_lt_u32 s28, 0x3b01
	;; [unrolled: 4-line block ×6, first 2 shown]
	v_lshl_add_u64 v[48:49], s[8:9], 1, v[2:3]
	s_cselect_b32 s8, s6, 0xfc0
	s_ashr_i32 s9, s8, 31
	v_lshl_add_u64 v[50:51], s[8:9], 1, v[2:3]
	global_load_ushort v84, v[36:37], off
	global_load_ushort v85, v[38:39], off
	;; [unrolled: 1-line block ×8, first 2 shown]
	s_waitcnt vmcnt(31)
	v_cvt_f32_f16_e32 v67, v52
	s_waitcnt vmcnt(30)
	v_cvt_f32_f16_e32 v66, v53
	;; [unrolled: 2-line block ×32, first 2 shown]
.LBB17_12:
	ds_read_b128 v[68:71], v1
	ds_read_b128 v[72:75], v1 offset:16
	ds_read_b128 v[76:79], v1 offset:32
	;; [unrolled: 1-line block ×3, first 2 shown]
	s_andn2_b64 vcc, exec, s[4:5]
	s_waitcnt vmcnt(15) lgkmcnt(3)
	v_fma_mix_f32 v4, v68, v4, 0 op_sel_hi:[0,1,0]
	s_waitcnt vmcnt(14)
	v_fma_mix_f32 v4, v69, v5, v4 op_sel_hi:[0,1,0]
	s_waitcnt vmcnt(13)
	v_fma_mix_f32 v4, v70, v6, v4 op_sel_hi:[0,1,0]
	s_waitcnt vmcnt(12)
	v_fma_mix_f32 v4, v71, v7, v4 op_sel_hi:[0,1,0]
	s_waitcnt vmcnt(11) lgkmcnt(2)
	v_fma_mix_f32 v4, v72, v8, v4 op_sel_hi:[0,1,0]
	s_waitcnt vmcnt(10)
	v_fma_mix_f32 v4, v73, v9, v4 op_sel_hi:[0,1,0]
	s_waitcnt vmcnt(9)
	v_fma_mix_f32 v4, v74, v10, v4 op_sel_hi:[0,1,0]
	s_waitcnt vmcnt(8)
	v_fma_mix_f32 v4, v75, v11, v4 op_sel_hi:[0,1,0]
	;; [unrolled: 8-line block ×4, first 2 shown]
	s_cbranch_vccnz .LBB17_15
; %bb.13:
	ds_read_b128 v[6:9], v1 offset:64
	ds_read_b128 v[10:13], v1 offset:80
	;; [unrolled: 1-line block ×4, first 2 shown]
	s_cmpk_lt_u32 s28, 0x2001
	s_waitcnt lgkmcnt(3)
	v_fma_mix_f32 v4, v6, v27, v4 op_sel_hi:[0,1,0]
	v_fma_mix_f32 v4, v7, v26, v4 op_sel_hi:[0,1,0]
	v_fma_mix_f32 v4, v8, v25, v4 op_sel_hi:[0,1,0]
	v_fma_mix_f32 v4, v9, v24, v4 op_sel_hi:[0,1,0]
	s_waitcnt lgkmcnt(2)
	v_fma_mix_f32 v4, v10, v23, v4 op_sel_hi:[0,1,0]
	v_fma_mix_f32 v4, v11, v22, v4 op_sel_hi:[0,1,0]
	v_fma_mix_f32 v4, v12, v21, v4 op_sel_hi:[0,1,0]
	v_fma_mix_f32 v4, v13, v20, v4 op_sel_hi:[0,1,0]
	;; [unrolled: 5-line block ×4, first 2 shown]
	s_cbranch_scc1 .LBB17_15
; %bb.14:
	v_mov_b32_e32 v5, 0
	ds_read_b128 v[6:9], v5 offset:128
	ds_read_b128 v[10:13], v5 offset:144
	;; [unrolled: 1-line block ×4, first 2 shown]
	s_waitcnt lgkmcnt(3)
	v_fmac_f32_e32 v4, v6, v67
	v_fmac_f32_e32 v4, v7, v66
	v_fmac_f32_e32 v4, v8, v65
	v_fmac_f32_e32 v4, v9, v64
	s_waitcnt lgkmcnt(2)
	v_fmac_f32_e32 v4, v10, v63
	v_fmac_f32_e32 v4, v11, v62
	v_fmac_f32_e32 v4, v12, v61
	v_fmac_f32_e32 v4, v13, v60
	s_waitcnt lgkmcnt(1)
	v_fmac_f32_e32 v4, v14, v59
	v_fmac_f32_e32 v4, v15, v58
	v_fmac_f32_e32 v4, v16, v57
	v_fmac_f32_e32 v4, v17, v56
	ds_read_b128 v[6:9], v5 offset:192
	ds_read_b128 v[10:13], v5 offset:208
	s_waitcnt lgkmcnt(2)
	v_fmac_f32_e32 v4, v18, v55
	v_fmac_f32_e32 v4, v19, v54
	;; [unrolled: 1-line block ×4, first 2 shown]
	s_waitcnt lgkmcnt(1)
	v_fmac_f32_e32 v4, v6, v51
	v_fmac_f32_e32 v4, v7, v50
	;; [unrolled: 1-line block ×4, first 2 shown]
	ds_read_b128 v[6:9], v5 offset:224
	s_waitcnt lgkmcnt(1)
	v_fmac_f32_e32 v4, v10, v47
	v_fmac_f32_e32 v4, v11, v46
	v_fmac_f32_e32 v4, v12, v45
	v_fmac_f32_e32 v4, v13, v44
	ds_read_b128 v[10:13], v5 offset:240
	s_waitcnt lgkmcnt(1)
	v_fmac_f32_e32 v4, v6, v43
	v_fmac_f32_e32 v4, v7, v42
	;; [unrolled: 1-line block ×4, first 2 shown]
	s_waitcnt lgkmcnt(0)
	v_fmac_f32_e32 v4, v10, v39
	v_fmac_f32_e32 v4, v11, v38
	;; [unrolled: 1-line block ×4, first 2 shown]
.LBB17_15:
	s_load_dwordx2 s[4:5], s[0:1], 0x38
	s_cmpk_lt_i32 s28, 0x4001
	s_cbranch_scc1 .LBB17_17
; %bb.16:
	s_cmpk_lt_u32 s28, 0x4101
	s_cselect_b32 s8, s6, 0x1040
	s_ashr_i32 s9, s8, 31
	s_cmpk_lt_u32 s28, 0x4201
	v_lshl_add_u64 v[16:17], s[8:9], 1, v[2:3]
	s_cselect_b32 s8, s6, 0x1080
	s_ashr_i32 s9, s8, 31
	s_cmpk_lt_u32 s28, 0x4301
	v_lshl_add_u64 v[18:19], s[8:9], 1, v[2:3]
	;; [unrolled: 4-line block ×7, first 2 shown]
	s_cselect_b32 s8, s6, 0x1200
	v_add_co_u32_e32 v14, vcc, 0x2000, v2
	s_ashr_i32 s9, s8, 31
	s_nop 0
	v_addc_co_u32_e32 v15, vcc, 0, v3, vcc
	s_cmpk_lt_u32 s28, 0x4901
	global_load_ushort v5, v[14:15], off
	global_load_ushort v6, v[16:17], off
	global_load_ushort v7, v[18:19], off
	global_load_ushort v8, v[20:21], off
	global_load_ushort v9, v[22:23], off
	global_load_ushort v10, v[24:25], off
	global_load_ushort v11, v[26:27], off
	global_load_ushort v12, v[28:29], off
	v_lshl_add_u64 v[14:15], s[8:9], 1, v[2:3]
	s_cselect_b32 s8, s6, 0x1240
	s_ashr_i32 s9, s8, 31
	s_cmpk_lt_u32 s28, 0x4a01
	v_lshl_add_u64 v[16:17], s[8:9], 1, v[2:3]
	s_cselect_b32 s8, s6, 0x1280
	s_ashr_i32 s9, s8, 31
	s_cmpk_lt_u32 s28, 0x4b01
	v_lshl_add_u64 v[18:19], s[8:9], 1, v[2:3]
	s_cselect_b32 s8, s6, 0x12c0
	s_ashr_i32 s9, s8, 31
	s_cmpk_lt_u32 s28, 0x4c01
	v_lshl_add_u64 v[20:21], s[8:9], 1, v[2:3]
	s_cselect_b32 s8, s6, 0x1300
	s_ashr_i32 s9, s8, 31
	s_cmpk_lt_u32 s28, 0x4d01
	v_lshl_add_u64 v[22:23], s[8:9], 1, v[2:3]
	s_cselect_b32 s8, s6, 0x1340
	s_ashr_i32 s9, s8, 31
	s_cmpk_lt_u32 s28, 0x4e01
	v_lshl_add_u64 v[24:25], s[8:9], 1, v[2:3]
	s_cselect_b32 s8, s6, 0x1380
	s_ashr_i32 s9, s8, 31
	s_cmpk_lt_u32 s28, 0x4f01
	v_lshl_add_u64 v[26:27], s[8:9], 1, v[2:3]
	s_cselect_b32 s8, s6, 0x13c0
	s_ashr_i32 s9, s8, 31
	s_cmpk_lt_u32 s28, 0x5001
	v_lshl_add_u64 v[28:29], s[8:9], 1, v[2:3]
	s_cselect_b32 s8, s6, 0x1400
	s_ashr_i32 s9, s8, 31
	s_cmpk_lt_u32 s28, 0x5101
	global_load_ushort v13, v[14:15], off
	global_load_ushort v30, v[16:17], off
	global_load_ushort v31, v[18:19], off
	global_load_ushort v32, v[20:21], off
	global_load_ushort v33, v[22:23], off
	global_load_ushort v34, v[24:25], off
	global_load_ushort v35, v[26:27], off
	global_load_ushort v36, v[28:29], off
	v_lshl_add_u64 v[14:15], s[8:9], 1, v[2:3]
	s_cselect_b32 s8, s6, 0x1440
	s_ashr_i32 s9, s8, 31
	s_cmpk_lt_u32 s28, 0x5201
	v_lshl_add_u64 v[16:17], s[8:9], 1, v[2:3]
	s_cselect_b32 s8, s6, 0x1480
	s_ashr_i32 s9, s8, 31
	s_cmpk_lt_u32 s28, 0x5301
	v_lshl_add_u64 v[18:19], s[8:9], 1, v[2:3]
	s_cselect_b32 s8, s6, 0x14c0
	s_ashr_i32 s9, s8, 31
	s_cmpk_lt_u32 s28, 0x5401
	v_lshl_add_u64 v[20:21], s[8:9], 1, v[2:3]
	s_cselect_b32 s8, s6, 0x1500
	s_ashr_i32 s9, s8, 31
	s_cmpk_lt_u32 s28, 0x5501
	v_lshl_add_u64 v[22:23], s[8:9], 1, v[2:3]
	s_cselect_b32 s8, s6, 0x1540
	s_ashr_i32 s9, s8, 31
	s_cmpk_lt_u32 s28, 0x5601
	v_lshl_add_u64 v[24:25], s[8:9], 1, v[2:3]
	s_cselect_b32 s8, s6, 0x1580
	s_ashr_i32 s9, s8, 31
	s_cmpk_lt_u32 s28, 0x5701
	v_lshl_add_u64 v[26:27], s[8:9], 1, v[2:3]
	s_cselect_b32 s8, s6, 0x15c0
	s_ashr_i32 s9, s8, 31
	s_cmpk_lt_u32 s28, 0x5801
	v_lshl_add_u64 v[28:29], s[8:9], 1, v[2:3]
	s_cselect_b32 s8, s6, 0x1600
	s_ashr_i32 s9, s8, 31
	;; [unrolled: 40-line block ×6, first 2 shown]
	s_cmpk_lt_u32 s28, 0x7901
	global_load_ushort v69, v[14:15], off
	global_load_ushort v70, v[16:17], off
	;; [unrolled: 1-line block ×8, first 2 shown]
	v_lshl_add_u64 v[14:15], s[8:9], 1, v[2:3]
	s_cselect_b32 s8, s6, 0x1e40
	s_ashr_i32 s9, s8, 31
	s_cmpk_lt_u32 s28, 0x7a01
	v_lshl_add_u64 v[16:17], s[8:9], 1, v[2:3]
	s_cselect_b32 s8, s6, 0x1e80
	s_ashr_i32 s9, s8, 31
	s_cmpk_lt_u32 s28, 0x7b01
	;; [unrolled: 4-line block ×6, first 2 shown]
	s_cselect_b32 s6, s6, 0x1fc0
	s_ashr_i32 s7, s6, 31
	v_lshl_add_u64 v[26:27], s[8:9], 1, v[2:3]
	v_lshl_add_u64 v[2:3], s[6:7], 1, v[2:3]
	global_load_ushort v77, v[14:15], off
	global_load_ushort v78, v[16:17], off
	;; [unrolled: 1-line block ×8, first 2 shown]
	v_mov_b32_e32 v85, 0
	ds_read_b128 v[14:17], v85 offset:256
	ds_read_b128 v[18:21], v85 offset:272
	;; [unrolled: 1-line block ×4, first 2 shown]
	s_waitcnt vmcnt(62) lgkmcnt(0)
	v_fma_mix_f32 v2, v14, v5, v4 op_sel_hi:[0,1,0]
	v_fma_mix_f32 v2, v15, v6, v2 op_sel_hi:[0,1,0]
	s_waitcnt vmcnt(61)
	v_fma_mix_f32 v2, v16, v7, v2 op_sel_hi:[0,1,0]
	s_waitcnt vmcnt(60)
	;; [unrolled: 2-line block ×11, first 2 shown]
	v_fma_mix_f32 v6, v26, v33, v2 op_sel_hi:[0,1,0]
	ds_read_b128 v[2:5], v85 offset:320
	s_waitcnt vmcnt(50)
	v_fma_mix_f32 v6, v27, v34, v6 op_sel_hi:[0,1,0]
	s_waitcnt vmcnt(49)
	v_fma_mix_f32 v6, v28, v35, v6 op_sel_hi:[0,1,0]
	s_waitcnt vmcnt(48)
	v_fma_mix_f32 v10, v29, v36, v6 op_sel_hi:[0,1,0]
	ds_read_b128 v[6:9], v85 offset:336
	s_waitcnt vmcnt(47) lgkmcnt(1)
	v_fma_mix_f32 v2, v2, v37, v10 op_sel_hi:[0,1,0]
	s_waitcnt vmcnt(46)
	v_fma_mix_f32 v2, v3, v38, v2 op_sel_hi:[0,1,0]
	s_waitcnt vmcnt(45)
	v_fma_mix_f32 v2, v4, v39, v2 op_sel_hi:[0,1,0]
	s_waitcnt vmcnt(44)
	v_fma_mix_f32 v2, v5, v40, v2 op_sel_hi:[0,1,0]
	s_waitcnt vmcnt(43) lgkmcnt(0)
	v_fma_mix_f32 v6, v6, v41, v2 op_sel_hi:[0,1,0]
	ds_read_b128 v[2:5], v85 offset:352
	s_waitcnt vmcnt(42)
	v_fma_mix_f32 v6, v7, v42, v6 op_sel_hi:[0,1,0]
	s_waitcnt vmcnt(41)
	v_fma_mix_f32 v6, v8, v43, v6 op_sel_hi:[0,1,0]
	s_waitcnt vmcnt(40)
	v_fma_mix_f32 v10, v9, v44, v6 op_sel_hi:[0,1,0]
	ds_read_b128 v[6:9], v85 offset:368
	s_waitcnt vmcnt(39) lgkmcnt(1)
	v_fma_mix_f32 v2, v2, v45, v10 op_sel_hi:[0,1,0]
	s_waitcnt vmcnt(38)
	v_fma_mix_f32 v2, v3, v46, v2 op_sel_hi:[0,1,0]
	s_waitcnt vmcnt(37)
	v_fma_mix_f32 v2, v4, v47, v2 op_sel_hi:[0,1,0]
	s_waitcnt vmcnt(36)
	v_fma_mix_f32 v2, v5, v48, v2 op_sel_hi:[0,1,0]
	s_waitcnt vmcnt(35) lgkmcnt(0)
	;; [unrolled: 18-line block ×6, first 2 shown]
	v_fma_mix_f32 v2, v6, v81, v2 op_sel_hi:[0,1,0]
	s_waitcnt vmcnt(2)
	v_fma_mix_f32 v2, v7, v82, v2 op_sel_hi:[0,1,0]
	s_waitcnt vmcnt(1)
	;; [unrolled: 2-line block ×3, first 2 shown]
	v_fma_mix_f32 v4, v9, v84, v2 op_sel_hi:[0,1,0]
.LBB17_17:
	v_mov_b32_e32 v2, 0
	s_load_dwordx2 s[0:1], s[0:1], 0x0
	ds_read_b32 v2, v2 offset:512
	s_waitcnt lgkmcnt(0)
	s_cmp_eq_u64 s[4:5], 0
	s_cbranch_scc1 .LBB17_22
; %bb.18:
	s_load_dword s6, s[4:5], 0x0
	s_waitcnt lgkmcnt(0)
	v_div_scale_f32 v3, s[4:5], s6, s6, 1.0
	v_rcp_f32_e32 v5, v3
	v_div_scale_f32 v6, vcc, 1.0, s6, 1.0
	v_fma_f32 v7, -v3, v5, 1.0
	v_fmac_f32_e32 v5, v7, v5
	v_mul_f32_e32 v7, v6, v5
	v_fma_f32 v8, -v3, v7, v6
	v_fmac_f32_e32 v7, v8, v5
	v_fma_f32 v3, -v3, v7, v6
	v_div_fmas_f32 v3, v3, v5, v7
	v_div_fixup_f32 v3, v3, s6, 1.0
	s_andn2_b64 vcc, exec, s[20:21]
	s_cbranch_vccnz .LBB17_20
.LBB17_19:
	s_add_u32 s4, s18, s22
	s_addc_u32 s5, s19, s23
	s_load_dword s16, s[4:5], 0x0
	s_mov_b32 s17, 0
.LBB17_20:
	v_add_f32_e32 v2, 0x358637bd, v2
	v_div_scale_f32 v5, s[4:5], v2, v2, 1.0
	v_rcp_f32_e32 v6, v5
	v_div_scale_f32 v7, vcc, 1.0, v2, 1.0
	s_mul_i32 s4, s3, s17
	v_fma_f32 v8, -v5, v6, 1.0
	v_fmac_f32_e32 v6, v8, v6
	v_mul_f32_e32 v8, v7, v6
	v_fma_f32 v9, -v5, v8, v7
	v_fmac_f32_e32 v8, v9, v6
	v_fma_f32 v5, -v5, v8, v7
	s_waitcnt lgkmcnt(0)
	s_mul_hi_u32 s5, s3, s16
	v_div_fmas_f32 v5, v5, v6, v8
	s_add_i32 s5, s5, s4
	s_mul_i32 s4, s3, s16
	v_div_fixup_f32 v2, v5, v2, 1.0
	s_lshl_b64 s[4:5], s[4:5], 6
	v_mul_f32_e32 v2, v4, v2
	s_add_u32 s4, s0, s4
	s_mov_b32 s3, 0
	v_mul_f32_e32 v2, v2, v3
	s_addc_u32 s5, s1, s5
	s_lshl_b64 s[0:1], s[2:3], 6
	s_mov_b32 s2, 0x7f800000
	s_mov_b32 s3, 0x43700000
	v_mov_b32_e32 v3, 0xc3700000
	v_med3_f32 v3, v2, s3, v3
	v_cmp_nlg_f32_e64 vcc, |v2|, s2
	s_add_u32 s0, s4, s0
	s_addc_u32 s1, s5, s1
	v_cndmask_b32_e32 v2, v3, v2, vcc
	v_mov_b32_e32 v3, 0
	v_cvt_pk_fp8_f32 v3, v2, v2
	v_lshl_add_u64 v[0:1], s[0:1], 0, v[0:1]
	global_store_byte v[0:1], v3, off
	s_endpgm
.LBB17_21:
	s_mov_b64 s[6:7], 0
	s_branch .LBB17_2
.LBB17_22:
	v_mov_b32_e32 v3, 1.0
	s_andn2_b64 vcc, exec, s[20:21]
	s_cbranch_vccz .LBB17_19
	s_branch .LBB17_20
	.section	.rodata,"a",@progbits
	.p2align	6, 0x0
	.amdhsa_kernel _Z35paged_attention_ll4mi_reduce_kernelIDF16_hLi64ELi64ELi256ELi2EEvPT0_PKfS3_PKT_PKiS8_iS3_
		.amdhsa_group_segment_fixed_size 516
		.amdhsa_private_segment_fixed_size 0
		.amdhsa_kernarg_size 320
		.amdhsa_user_sgpr_count 2
		.amdhsa_user_sgpr_dispatch_ptr 0
		.amdhsa_user_sgpr_queue_ptr 0
		.amdhsa_user_sgpr_kernarg_segment_ptr 1
		.amdhsa_user_sgpr_dispatch_id 0
		.amdhsa_user_sgpr_kernarg_preload_length 0
		.amdhsa_user_sgpr_kernarg_preload_offset 0
		.amdhsa_user_sgpr_private_segment_size 0
		.amdhsa_uses_dynamic_stack 0
		.amdhsa_enable_private_segment 0
		.amdhsa_system_sgpr_workgroup_id_x 1
		.amdhsa_system_sgpr_workgroup_id_y 1
		.amdhsa_system_sgpr_workgroup_id_z 0
		.amdhsa_system_sgpr_workgroup_info 0
		.amdhsa_system_vgpr_workitem_id 0
		.amdhsa_next_free_vgpr 92
		.amdhsa_next_free_sgpr 32
		.amdhsa_accum_offset 92
		.amdhsa_reserve_vcc 1
		.amdhsa_float_round_mode_32 0
		.amdhsa_float_round_mode_16_64 0
		.amdhsa_float_denorm_mode_32 3
		.amdhsa_float_denorm_mode_16_64 3
		.amdhsa_dx10_clamp 1
		.amdhsa_ieee_mode 1
		.amdhsa_fp16_overflow 0
		.amdhsa_tg_split 0
		.amdhsa_exception_fp_ieee_invalid_op 0
		.amdhsa_exception_fp_denorm_src 0
		.amdhsa_exception_fp_ieee_div_zero 0
		.amdhsa_exception_fp_ieee_overflow 0
		.amdhsa_exception_fp_ieee_underflow 0
		.amdhsa_exception_fp_ieee_inexact 0
		.amdhsa_exception_int_div_zero 0
	.end_amdhsa_kernel
	.section	.text._Z35paged_attention_ll4mi_reduce_kernelIDF16_hLi64ELi64ELi256ELi2EEvPT0_PKfS3_PKT_PKiS8_iS3_,"axG",@progbits,_Z35paged_attention_ll4mi_reduce_kernelIDF16_hLi64ELi64ELi256ELi2EEvPT0_PKfS3_PKT_PKiS8_iS3_,comdat
.Lfunc_end17:
	.size	_Z35paged_attention_ll4mi_reduce_kernelIDF16_hLi64ELi64ELi256ELi2EEvPT0_PKfS3_PKT_PKiS8_iS3_, .Lfunc_end17-_Z35paged_attention_ll4mi_reduce_kernelIDF16_hLi64ELi64ELi256ELi2EEvPT0_PKfS3_PKT_PKiS8_iS3_
                                        ; -- End function
	.section	.AMDGPU.csdata,"",@progbits
; Kernel info:
; codeLenInByte = 7788
; NumSgprs: 38
; NumVgprs: 92
; NumAgprs: 0
; TotalNumVgprs: 92
; ScratchSize: 0
; MemoryBound: 0
; FloatMode: 240
; IeeeMode: 1
; LDSByteSize: 516 bytes/workgroup (compile time only)
; SGPRBlocks: 4
; VGPRBlocks: 11
; NumSGPRsForWavesPerEU: 38
; NumVGPRsForWavesPerEU: 92
; AccumOffset: 92
; Occupancy: 5
; WaveLimiterHint : 1
; COMPUTE_PGM_RSRC2:SCRATCH_EN: 0
; COMPUTE_PGM_RSRC2:USER_SGPR: 2
; COMPUTE_PGM_RSRC2:TRAP_HANDLER: 0
; COMPUTE_PGM_RSRC2:TGID_X_EN: 1
; COMPUTE_PGM_RSRC2:TGID_Y_EN: 1
; COMPUTE_PGM_RSRC2:TGID_Z_EN: 0
; COMPUTE_PGM_RSRC2:TIDIG_COMP_CNT: 0
; COMPUTE_PGM_RSRC3_GFX90A:ACCUM_OFFSET: 22
; COMPUTE_PGM_RSRC3_GFX90A:TG_SPLIT: 0
	.section	.text._Z35paged_attention_ll4mi_reduce_kernelIDF16_hLi64ELi64ELi256ELi3EEvPT0_PKfS3_PKT_PKiS8_iS3_,"axG",@progbits,_Z35paged_attention_ll4mi_reduce_kernelIDF16_hLi64ELi64ELi256ELi3EEvPT0_PKfS3_PKT_PKiS8_iS3_,comdat
	.protected	_Z35paged_attention_ll4mi_reduce_kernelIDF16_hLi64ELi64ELi256ELi3EEvPT0_PKfS3_PKT_PKiS8_iS3_ ; -- Begin function _Z35paged_attention_ll4mi_reduce_kernelIDF16_hLi64ELi64ELi256ELi3EEvPT0_PKfS3_PKT_PKiS8_iS3_
	.globl	_Z35paged_attention_ll4mi_reduce_kernelIDF16_hLi64ELi64ELi256ELi3EEvPT0_PKfS3_PKT_PKiS8_iS3_
	.p2align	8
	.type	_Z35paged_attention_ll4mi_reduce_kernelIDF16_hLi64ELi64ELi256ELi3EEvPT0_PKfS3_PKT_PKiS8_iS3_,@function
_Z35paged_attention_ll4mi_reduce_kernelIDF16_hLi64ELi64ELi256ELi3EEvPT0_PKfS3_PKT_PKiS8_iS3_: ; @_Z35paged_attention_ll4mi_reduce_kernelIDF16_hLi64ELi64ELi256ELi3EEvPT0_PKfS3_PKT_PKiS8_iS3_
; %bb.0:
	s_load_dwordx2 s[20:21], s[0:1], 0x28
	s_mov_b32 s10, s3
	s_mov_b64 s[4:5], 0
	s_waitcnt lgkmcnt(0)
	s_cmp_lg_u64 s[20:21], 0
	s_cselect_b64 s[22:23], -1, 0
	s_and_b64 vcc, exec, s[22:23]
	s_cbranch_vccz .LBB18_23
; %bb.1:
	s_add_i32 s6, s10, 1
	s_mov_b32 s7, 0
	s_lshl_b64 s[8:9], s[6:7], 2
	s_add_u32 s8, s20, s8
	s_mov_b32 s11, s7
	s_addc_u32 s9, s21, s9
	s_lshl_b64 s[6:7], s[10:11], 2
	s_add_u32 s6, s20, s6
	s_addc_u32 s7, s21, s7
	s_load_dword s3, s[8:9], 0x0
	s_load_dword s12, s[6:7], 0x0
	s_waitcnt lgkmcnt(0)
	s_sub_i32 s3, s3, s12
	s_cmp_eq_u32 s3, 1
	s_cselect_b64 s[6:7], -1, 0
	s_andn2_b64 vcc, exec, s[4:5]
	s_cbranch_vccnz .LBB18_3
.LBB18_2:
	s_mov_b32 s11, 0
	s_mov_b64 s[6:7], -1
.LBB18_3:
	s_andn2_b64 vcc, exec, s[6:7]
	s_cbranch_vccz .LBB18_5
; %bb.4:
	s_endpgm
.LBB18_5:
	s_load_dwordx4 s[12:15], s[0:1], 0x18
	s_load_dword s8, s[0:1], 0x30
	s_lshl_b64 s[24:25], s[10:11], 2
	v_cmp_lt_u32_e32 vcc, 63, v0
	s_waitcnt lgkmcnt(0)
	s_add_u32 s4, s14, s24
	s_addc_u32 s5, s15, s25
	s_load_dword s30, s[4:5], 0x0
	s_load_dword s3, s[0:1], 0x40
	s_mul_i32 s14, s2, s8
	s_mul_i32 s6, s10, s8
	s_waitcnt lgkmcnt(0)
	s_add_i32 s7, s30, 0xff
	s_ashr_i32 s4, s7, 31
	s_lshr_b32 s4, s4, 24
	s_add_i32 s7, s7, s4
	s_and_saveexec_b64 s[4:5], vcc
	s_xor_b64 s[4:5], exec, s[4:5]
	s_or_saveexec_b64 s[26:27], s[4:5]
	s_ashr_i32 s31, s7, 8
	v_mov_b32_e32 v1, s14
	s_mul_i32 s28, s6, s3
	s_xor_b64 exec, exec, s[26:27]
	s_cbranch_execz .LBB18_9
; %bb.6:
	s_load_dwordx4 s[16:19], s[0:1], 0x8
	s_mov_b32 s29, 0
	s_add_i32 s4, s31, -1
	v_or_b32_e32 v3, 64, v0
	v_mov_b32_e32 v1, s4
	v_cmp_gt_u32_e64 s[4:5], s31, v3
	s_lshl_b64 s[34:35], s[28:29], 2
	s_mov_b32 s15, s29
	v_cmp_gt_u32_e32 vcc, s31, v0
	v_cndmask_b32_e64 v4, v1, v3, s[4:5]
	v_or_b32_e32 v3, 0x80, v0
	s_waitcnt lgkmcnt(0)
	s_add_u32 s8, s18, s34
	v_cndmask_b32_e32 v2, v1, v0, vcc
	v_cmp_gt_u32_e64 s[6:7], s31, v3
	s_addc_u32 s9, s19, s35
	s_lshl_b64 s[18:19], s[14:15], 2
	v_cndmask_b32_e64 v6, v1, v3, s[6:7]
	s_add_u32 s8, s8, s18
	v_ashrrev_i32_e32 v3, 31, v2
	s_addc_u32 s9, s9, s19
	v_lshlrev_b64 v[2:3], 2, v[2:3]
	v_ashrrev_i32_e32 v5, 31, v4
	v_ashrrev_i32_e32 v7, 31, v6
	v_lshl_add_u64 v[8:9], s[8:9], 0, v[2:3]
	v_lshlrev_b64 v[4:5], 2, v[4:5]
	v_lshlrev_b64 v[6:7], 2, v[6:7]
	v_lshl_add_u64 v[10:11], s[8:9], 0, v[4:5]
	v_lshl_add_u64 v[12:13], s[8:9], 0, v[6:7]
	global_load_dword v1, v[8:9], off
	global_load_dword v14, v[10:11], off
	;; [unrolled: 1-line block ×3, first 2 shown]
	v_mbcnt_lo_u32_b32 v8, -1, 0
	v_mbcnt_hi_u32_b32 v8, -1, v8
	v_and_b32_e32 v9, 64, v8
	v_xor_b32_e32 v10, 32, v8
	v_add_u32_e32 v9, 64, v9
	v_xor_b32_e32 v11, 16, v8
	v_cmp_lt_i32_e64 s[8:9], v10, v9
	v_xor_b32_e32 v12, 8, v8
	s_mov_b32 s15, 0xc2ce8ed0
	v_cndmask_b32_e64 v10, v8, v10, s[8:9]
	v_cmp_lt_i32_e64 s[8:9], v11, v9
	v_lshlrev_b32_e32 v10, 2, v10
	s_waitcnt vmcnt(0)
	v_max3_f32 v13, v1, v14, v15
	v_cndmask_b32_e64 v11, v8, v11, s[8:9]
	v_cmp_lt_i32_e64 s[8:9], v12, v9
	ds_bpermute_b32 v16, v10, v13
	v_lshlrev_b32_e32 v11, 2, v11
	v_cndmask_b32_e64 v12, v8, v12, s[8:9]
	s_add_u32 s8, s16, s34
	s_addc_u32 s9, s17, s35
	s_add_u32 s8, s8, s18
	s_addc_u32 s9, s9, s19
	v_lshl_add_u64 v[2:3], s[8:9], 0, v[2:3]
	v_lshl_add_u64 v[4:5], s[8:9], 0, v[4:5]
	global_load_dword v17, v[2:3], off
	global_load_dword v18, v[4:5], off
	v_lshl_add_u64 v[2:3], s[8:9], 0, v[6:7]
	global_load_dword v3, v[2:3], off
	s_waitcnt lgkmcnt(0)
	v_max_f32_e32 v16, v16, v16
	v_max_f32_e32 v13, v13, v16
	ds_bpermute_b32 v16, v11, v13
	v_lshlrev_b32_e32 v12, 2, v12
	v_xor_b32_e32 v5, 4, v8
	v_cmp_lt_i32_e64 s[8:9], v5, v9
	v_xor_b32_e32 v6, 2, v8
	s_waitcnt lgkmcnt(0)
	v_max_f32_e32 v2, v16, v16
	v_max_f32_e32 v2, v13, v2
	ds_bpermute_b32 v4, v12, v2
	v_cndmask_b32_e64 v5, v8, v5, s[8:9]
	v_lshlrev_b32_e32 v5, 2, v5
	v_cmp_lt_i32_e64 s[8:9], v6, v9
	v_xor_b32_e32 v7, 1, v8
	s_waitcnt lgkmcnt(0)
	v_max_f32_e32 v4, v4, v4
	v_max_f32_e32 v2, v2, v4
	ds_bpermute_b32 v4, v5, v2
	v_cndmask_b32_e64 v6, v8, v6, s[8:9]
	v_lshlrev_b32_e32 v6, 2, v6
	v_cmp_lt_i32_e64 s[8:9], v7, v9
	s_mov_b32 s16, 0x42b17218
	s_waitcnt lgkmcnt(0)
	v_max_f32_e32 v4, v4, v4
	v_max_f32_e32 v2, v2, v4
	ds_bpermute_b32 v4, v6, v2
	v_cndmask_b32_e64 v7, v8, v7, s[8:9]
	v_lshlrev_b32_e32 v7, 2, v7
	s_mov_b32 s8, 0x3fb8aa3b
	v_mov_b32_e32 v8, 0x7f800000
	s_waitcnt lgkmcnt(0)
	v_max_f32_e32 v4, v4, v4
	v_max_f32_e32 v2, v2, v4
	ds_bpermute_b32 v4, v7, v2
	s_waitcnt lgkmcnt(0)
	v_max_f32_e32 v4, v4, v4
	v_max_f32_e32 v2, v2, v4
	v_sub_f32_e32 v1, v1, v2
	v_sub_f32_e32 v4, v14, v2
	v_mul_f32_e32 v9, 0x3fb8aa3b, v1
	v_sub_f32_e32 v2, v15, v2
	v_mul_f32_e32 v13, 0x3fb8aa3b, v4
	v_fma_f32 v15, v1, s8, -v9
	v_rndne_f32_e32 v16, v9
	v_mul_f32_e32 v14, 0x3fb8aa3b, v2
	v_fma_f32 v19, v4, s8, -v13
	v_rndne_f32_e32 v20, v13
	v_fmac_f32_e32 v15, 0x32a5705f, v1
	v_sub_f32_e32 v9, v9, v16
	v_fma_f32 v21, v2, s8, -v14
	v_rndne_f32_e32 v22, v14
	v_fmac_f32_e32 v19, 0x32a5705f, v4
	v_sub_f32_e32 v13, v13, v20
	v_add_f32_e32 v9, v9, v15
	v_cvt_i32_f32_e32 v16, v16
	v_fmac_f32_e32 v21, 0x32a5705f, v2
	v_sub_f32_e32 v14, v14, v22
	v_add_f32_e32 v13, v13, v19
	v_exp_f32_e32 v9, v9
	v_cvt_i32_f32_e32 v20, v20
	v_add_f32_e32 v14, v14, v21
	v_exp_f32_e32 v13, v13
	v_cvt_i32_f32_e32 v22, v22
	v_exp_f32_e32 v14, v14
	v_ldexp_f32 v9, v9, v16
	v_cmp_ngt_f32_e64 s[8:9], s15, v1
	v_ldexp_f32 v13, v13, v20
	v_ldexp_f32 v14, v14, v22
	v_cndmask_b32_e64 v9, 0, v9, s[8:9]
	v_cmp_ngt_f32_e64 s[8:9], s15, v4
	v_lshlrev_b32_e32 v15, 2, v0
	s_nop 0
	v_cndmask_b32_e64 v13, 0, v13, s[8:9]
	v_cmp_ngt_f32_e64 s[8:9], s15, v2
	s_nop 1
	v_cndmask_b32_e64 v14, 0, v14, s[8:9]
	v_cmp_nlt_f32_e64 s[8:9], s16, v1
	s_nop 1
	v_cndmask_b32_e64 v1, v8, v9, s[8:9]
	v_cmp_nlt_f32_e64 s[8:9], s16, v4
	v_cndmask_b32_e32 v1, 0, v1, vcc
	s_waitcnt vmcnt(2)
	v_mul_f32_e32 v1, v17, v1
	v_cndmask_b32_e64 v4, v8, v13, s[8:9]
	v_cmp_nlt_f32_e64 s[8:9], s16, v2
	v_cndmask_b32_e64 v4, 0, v4, s[4:5]
	v_cmp_eq_u32_e32 vcc, 0, v0
	v_cndmask_b32_e64 v2, v8, v14, s[8:9]
	v_cndmask_b32_e64 v8, 0, v2, s[6:7]
	s_waitcnt vmcnt(1)
	v_mul_f32_e32 v2, v18, v4
	ds_write2st64_b32 v15, v1, v2 offset1:1
	v_fmac_f32_e32 v1, v18, v4
	s_waitcnt vmcnt(0)
	v_fmac_f32_e32 v1, v3, v8
	ds_bpermute_b32 v2, v10, v1
	v_mul_f32_e32 v3, v3, v8
	ds_write_b32 v15, v3 offset:512
	s_waitcnt lgkmcnt(1)
	v_add_f32_e32 v1, v1, v2
	ds_bpermute_b32 v2, v11, v1
	s_waitcnt lgkmcnt(0)
	v_add_f32_e32 v1, v1, v2
	ds_bpermute_b32 v2, v12, v1
	;; [unrolled: 3-line block ×5, first 2 shown]
	s_and_saveexec_b64 s[4:5], vcc
	s_cbranch_execz .LBB18_8
; %bb.7:
	s_waitcnt lgkmcnt(0)
	v_add_f32_e32 v1, v1, v2
	v_mov_b32_e32 v2, 0
	ds_write_b32 v2, v1 offset:768
.LBB18_8:
	s_or_b64 exec, exec, s[4:5]
	v_mov_b32_e32 v1, s14
.LBB18_9:
	s_or_b64 exec, exec, s[26:27]
	s_lshl_b32 s4, s28, 6
	s_mov_b32 s5, 0
	s_lshl_b64 s[4:5], s[4:5], 1
	s_waitcnt lgkmcnt(0)
	v_lshlrev_b32_e32 v2, 6, v1
	v_mov_b32_e32 v1, 0
	s_add_u32 s4, s12, s4
	v_mov_b32_e32 v3, v1
	s_addc_u32 s5, s13, s5
	v_lshl_add_u64 v[2:3], v[2:3], 1, s[4:5]
	s_lshl_b32 s4, s31, 6
	s_sub_i32 s6, s4, 64
	s_cmp_lt_i32 s30, 1
	s_cselect_b32 s4, s6, 0
	v_lshlrev_b32_e32 v4, 1, v0
	v_mov_b32_e32 v5, v1
	s_ashr_i32 s5, s4, 31
	v_lshl_add_u64 v[2:3], v[2:3], 0, v[4:5]
	s_cmpk_lt_i32 s30, 0x101
	v_lshl_add_u64 v[12:13], s[4:5], 1, v[2:3]
	s_cselect_b32 s4, s6, 64
	s_ashr_i32 s5, s4, 31
	s_cmpk_lt_i32 s30, 0x201
	v_lshl_add_u64 v[14:15], s[4:5], 1, v[2:3]
	s_cselect_b32 s4, s6, 0x80
	s_ashr_i32 s5, s4, 31
	;; [unrolled: 4-line block ×8, first 2 shown]
	s_cmpk_lt_i32 s30, 0x901
	global_load_ushort v4, v[12:13], off
	global_load_ushort v5, v[14:15], off
	global_load_ushort v6, v[16:17], off
	global_load_ushort v7, v[18:19], off
	global_load_ushort v8, v[20:21], off
	global_load_ushort v9, v[22:23], off
	global_load_ushort v10, v[24:25], off
	global_load_ushort v11, v[26:27], off
	v_lshl_add_u64 v[20:21], s[4:5], 1, v[2:3]
	s_cselect_b32 s4, s6, 0x240
	s_ashr_i32 s5, s4, 31
	s_cmpk_lt_i32 s30, 0xa01
	v_lshl_add_u64 v[22:23], s[4:5], 1, v[2:3]
	s_cselect_b32 s4, s6, 0x280
	s_ashr_i32 s5, s4, 31
	s_cmpk_lt_i32 s30, 0xb01
	;; [unrolled: 4-line block ×6, first 2 shown]
	v_lshl_add_u64 v[32:33], s[4:5], 1, v[2:3]
	s_cselect_b32 s4, s6, 0x3c0
	s_ashr_i32 s5, s4, 31
	v_lshl_add_u64 v[34:35], s[4:5], 1, v[2:3]
	global_load_ushort v13, v[20:21], off
	global_load_ushort v14, v[22:23], off
	;; [unrolled: 1-line block ×8, first 2 shown]
	s_cmpk_gt_i32 s30, 0x1000
	s_cselect_b64 s[4:5], -1, 0
	s_cmpk_lt_i32 s30, 0x1001
	v_mov_b32_e32 v36, 0
	v_mov_b32_e32 v37, 0
	;; [unrolled: 1-line block ×48, first 2 shown]
	s_waitcnt lgkmcnt(0)
	; wave barrier
	s_cbranch_scc1 .LBB18_12
; %bb.10:
	s_cmpk_lt_u32 s30, 0x1101
	s_cselect_b32 s8, s6, 0x440
	s_ashr_i32 s9, s8, 31
	s_cmpk_lt_u32 s30, 0x1201
	v_lshl_add_u64 v[28:29], s[8:9], 1, v[2:3]
	s_cselect_b32 s8, s6, 0x480
	s_ashr_i32 s9, s8, 31
	s_cmpk_lt_u32 s30, 0x1301
	v_lshl_add_u64 v[30:31], s[8:9], 1, v[2:3]
	;; [unrolled: 4-line block ×7, first 2 shown]
	s_cselect_b32 s8, s6, 0x600
	s_ashr_i32 s9, s8, 31
	s_cmpk_lt_u32 s30, 0x1901
	global_load_ushort v27, v[2:3], off offset:2048
	global_load_ushort v26, v[28:29], off
	global_load_ushort v25, v[30:31], off
	;; [unrolled: 1-line block ×7, first 2 shown]
	v_lshl_add_u64 v[36:37], s[8:9], 1, v[2:3]
	s_cselect_b32 s8, s6, 0x640
	s_ashr_i32 s9, s8, 31
	s_cmpk_lt_u32 s30, 0x1a01
	v_lshl_add_u64 v[38:39], s[8:9], 1, v[2:3]
	s_cselect_b32 s8, s6, 0x680
	s_ashr_i32 s9, s8, 31
	s_cmpk_lt_u32 s30, 0x1b01
	;; [unrolled: 4-line block ×6, first 2 shown]
	v_lshl_add_u64 v[48:49], s[8:9], 1, v[2:3]
	s_cselect_b32 s8, s6, 0x7c0
	s_ashr_i32 s9, s8, 31
	v_lshl_add_u64 v[50:51], s[8:9], 1, v[2:3]
	global_load_ushort v35, v[36:37], off
	global_load_ushort v34, v[38:39], off
	;; [unrolled: 1-line block ×8, first 2 shown]
	s_cmpk_lt_u32 s30, 0x2001
	v_mov_b32_e32 v67, 0
	v_mov_b32_e32 v66, 0
	;; [unrolled: 1-line block ×32, first 2 shown]
	s_cbranch_scc1 .LBB18_12
; %bb.11:
	s_cmpk_lt_u32 s30, 0x2101
	s_cselect_b32 s8, s6, 0x840
	s_ashr_i32 s9, s8, 31
	s_cmpk_lt_u32 s30, 0x2201
	v_lshl_add_u64 v[38:39], s[8:9], 1, v[2:3]
	s_cselect_b32 s8, s6, 0x880
	s_ashr_i32 s9, s8, 31
	s_cmpk_lt_u32 s30, 0x2301
	v_lshl_add_u64 v[40:41], s[8:9], 1, v[2:3]
	;; [unrolled: 4-line block ×7, first 2 shown]
	s_cselect_b32 s8, s6, 0xa00
	v_add_co_u32_e32 v36, vcc, 0x1000, v2
	s_ashr_i32 s9, s8, 31
	s_nop 0
	v_addc_co_u32_e32 v37, vcc, 0, v3, vcc
	s_cmpk_lt_u32 s30, 0x2901
	global_load_ushort v52, v[36:37], off
	global_load_ushort v53, v[38:39], off
	;; [unrolled: 1-line block ×8, first 2 shown]
	v_lshl_add_u64 v[36:37], s[8:9], 1, v[2:3]
	s_cselect_b32 s8, s6, 0xa40
	s_ashr_i32 s9, s8, 31
	s_cmpk_lt_u32 s30, 0x2a01
	v_lshl_add_u64 v[38:39], s[8:9], 1, v[2:3]
	s_cselect_b32 s8, s6, 0xa80
	s_ashr_i32 s9, s8, 31
	s_cmpk_lt_u32 s30, 0x2b01
	;; [unrolled: 4-line block ×8, first 2 shown]
	global_load_ushort v68, v[36:37], off
	global_load_ushort v69, v[38:39], off
	;; [unrolled: 1-line block ×8, first 2 shown]
	v_lshl_add_u64 v[36:37], s[8:9], 1, v[2:3]
	s_cselect_b32 s8, s6, 0xc40
	s_ashr_i32 s9, s8, 31
	s_cmpk_lt_u32 s30, 0x3201
	v_lshl_add_u64 v[38:39], s[8:9], 1, v[2:3]
	s_cselect_b32 s8, s6, 0xc80
	s_ashr_i32 s9, s8, 31
	s_cmpk_lt_u32 s30, 0x3301
	;; [unrolled: 4-line block ×8, first 2 shown]
	global_load_ushort v76, v[36:37], off
	global_load_ushort v77, v[38:39], off
	;; [unrolled: 1-line block ×8, first 2 shown]
	v_lshl_add_u64 v[36:37], s[8:9], 1, v[2:3]
	s_cselect_b32 s8, s6, 0xe40
	s_ashr_i32 s9, s8, 31
	s_cmpk_lt_u32 s30, 0x3a01
	v_lshl_add_u64 v[38:39], s[8:9], 1, v[2:3]
	s_cselect_b32 s8, s6, 0xe80
	s_ashr_i32 s9, s8, 31
	s_cmpk_lt_u32 s30, 0x3b01
	;; [unrolled: 4-line block ×6, first 2 shown]
	v_lshl_add_u64 v[48:49], s[8:9], 1, v[2:3]
	s_cselect_b32 s8, s6, 0xfc0
	s_ashr_i32 s9, s8, 31
	v_lshl_add_u64 v[50:51], s[8:9], 1, v[2:3]
	global_load_ushort v84, v[36:37], off
	global_load_ushort v85, v[38:39], off
	;; [unrolled: 1-line block ×8, first 2 shown]
	s_waitcnt vmcnt(31)
	v_cvt_f32_f16_e32 v67, v52
	s_waitcnt vmcnt(30)
	v_cvt_f32_f16_e32 v66, v53
	;; [unrolled: 2-line block ×32, first 2 shown]
.LBB18_12:
	ds_read_b128 v[68:71], v1
	ds_read_b128 v[72:75], v1 offset:16
	ds_read_b128 v[76:79], v1 offset:32
	;; [unrolled: 1-line block ×3, first 2 shown]
	s_andn2_b64 vcc, exec, s[4:5]
	s_waitcnt vmcnt(15) lgkmcnt(3)
	v_fma_mix_f32 v4, v68, v4, 0 op_sel_hi:[0,1,0]
	s_waitcnt vmcnt(14)
	v_fma_mix_f32 v4, v69, v5, v4 op_sel_hi:[0,1,0]
	s_waitcnt vmcnt(13)
	v_fma_mix_f32 v4, v70, v6, v4 op_sel_hi:[0,1,0]
	s_waitcnt vmcnt(12)
	v_fma_mix_f32 v4, v71, v7, v4 op_sel_hi:[0,1,0]
	s_waitcnt vmcnt(11) lgkmcnt(2)
	v_fma_mix_f32 v4, v72, v8, v4 op_sel_hi:[0,1,0]
	s_waitcnt vmcnt(10)
	v_fma_mix_f32 v4, v73, v9, v4 op_sel_hi:[0,1,0]
	s_waitcnt vmcnt(9)
	v_fma_mix_f32 v4, v74, v10, v4 op_sel_hi:[0,1,0]
	s_waitcnt vmcnt(8)
	v_fma_mix_f32 v4, v75, v11, v4 op_sel_hi:[0,1,0]
	;; [unrolled: 8-line block ×4, first 2 shown]
	s_cbranch_vccnz .LBB18_15
; %bb.13:
	ds_read_b128 v[6:9], v1 offset:64
	ds_read_b128 v[10:13], v1 offset:80
	;; [unrolled: 1-line block ×4, first 2 shown]
	s_cmpk_lt_u32 s30, 0x2001
	s_waitcnt lgkmcnt(3)
	v_fma_mix_f32 v4, v6, v27, v4 op_sel_hi:[0,1,0]
	v_fma_mix_f32 v4, v7, v26, v4 op_sel_hi:[0,1,0]
	v_fma_mix_f32 v4, v8, v25, v4 op_sel_hi:[0,1,0]
	v_fma_mix_f32 v4, v9, v24, v4 op_sel_hi:[0,1,0]
	s_waitcnt lgkmcnt(2)
	v_fma_mix_f32 v4, v10, v23, v4 op_sel_hi:[0,1,0]
	v_fma_mix_f32 v4, v11, v22, v4 op_sel_hi:[0,1,0]
	v_fma_mix_f32 v4, v12, v21, v4 op_sel_hi:[0,1,0]
	v_fma_mix_f32 v4, v13, v20, v4 op_sel_hi:[0,1,0]
	;; [unrolled: 5-line block ×4, first 2 shown]
	s_cbranch_scc1 .LBB18_15
; %bb.14:
	v_mov_b32_e32 v5, 0
	ds_read_b128 v[6:9], v5 offset:128
	ds_read_b128 v[10:13], v5 offset:144
	;; [unrolled: 1-line block ×4, first 2 shown]
	s_waitcnt lgkmcnt(3)
	v_fmac_f32_e32 v4, v6, v67
	v_fmac_f32_e32 v4, v7, v66
	v_fmac_f32_e32 v4, v8, v65
	v_fmac_f32_e32 v4, v9, v64
	s_waitcnt lgkmcnt(2)
	v_fmac_f32_e32 v4, v10, v63
	v_fmac_f32_e32 v4, v11, v62
	v_fmac_f32_e32 v4, v12, v61
	v_fmac_f32_e32 v4, v13, v60
	;; [unrolled: 5-line block ×3, first 2 shown]
	ds_read_b128 v[6:9], v5 offset:192
	ds_read_b128 v[10:13], v5 offset:208
	s_waitcnt lgkmcnt(2)
	v_fmac_f32_e32 v4, v18, v55
	v_fmac_f32_e32 v4, v19, v54
	;; [unrolled: 1-line block ×4, first 2 shown]
	s_waitcnt lgkmcnt(1)
	v_fmac_f32_e32 v4, v6, v51
	v_fmac_f32_e32 v4, v7, v50
	;; [unrolled: 1-line block ×4, first 2 shown]
	ds_read_b128 v[6:9], v5 offset:224
	s_waitcnt lgkmcnt(1)
	v_fmac_f32_e32 v4, v10, v47
	v_fmac_f32_e32 v4, v11, v46
	;; [unrolled: 1-line block ×4, first 2 shown]
	ds_read_b128 v[10:13], v5 offset:240
	s_waitcnt lgkmcnt(1)
	v_fmac_f32_e32 v4, v6, v43
	v_fmac_f32_e32 v4, v7, v42
	v_fmac_f32_e32 v4, v8, v41
	v_fmac_f32_e32 v4, v9, v40
	s_waitcnt lgkmcnt(0)
	v_fmac_f32_e32 v4, v10, v39
	v_fmac_f32_e32 v4, v11, v38
	;; [unrolled: 1-line block ×4, first 2 shown]
.LBB18_15:
	s_cmpk_lt_i32 s30, 0x4001
	s_cbranch_scc1 .LBB18_17
; %bb.16:
	s_cmpk_lt_i32 s30, 0x4101
	s_cselect_b32 s4, s6, 0x1040
	s_ashr_i32 s5, s4, 31
	s_cmpk_lt_i32 s30, 0x4201
	v_lshl_add_u64 v[16:17], s[4:5], 1, v[2:3]
	s_cselect_b32 s4, s6, 0x1080
	s_ashr_i32 s5, s4, 31
	s_cmpk_lt_i32 s30, 0x4301
	v_lshl_add_u64 v[18:19], s[4:5], 1, v[2:3]
	;; [unrolled: 4-line block ×7, first 2 shown]
	s_cselect_b32 s4, s6, 0x1200
	v_add_co_u32_e32 v14, vcc, 0x2000, v2
	s_ashr_i32 s5, s4, 31
	s_nop 0
	v_addc_co_u32_e32 v15, vcc, 0, v3, vcc
	s_cmpk_lt_i32 s30, 0x4901
	global_load_ushort v5, v[14:15], off
	global_load_ushort v6, v[16:17], off
	global_load_ushort v7, v[18:19], off
	global_load_ushort v8, v[20:21], off
	global_load_ushort v9, v[22:23], off
	global_load_ushort v10, v[24:25], off
	global_load_ushort v11, v[26:27], off
	global_load_ushort v12, v[28:29], off
	v_lshl_add_u64 v[14:15], s[4:5], 1, v[2:3]
	s_cselect_b32 s4, s6, 0x1240
	s_ashr_i32 s5, s4, 31
	s_cmpk_lt_i32 s30, 0x4a01
	v_lshl_add_u64 v[16:17], s[4:5], 1, v[2:3]
	s_cselect_b32 s4, s6, 0x1280
	s_ashr_i32 s5, s4, 31
	s_cmpk_lt_i32 s30, 0x4b01
	v_lshl_add_u64 v[18:19], s[4:5], 1, v[2:3]
	s_cselect_b32 s4, s6, 0x12c0
	s_ashr_i32 s5, s4, 31
	s_cmpk_lt_i32 s30, 0x4c01
	v_lshl_add_u64 v[20:21], s[4:5], 1, v[2:3]
	s_cselect_b32 s4, s6, 0x1300
	s_ashr_i32 s5, s4, 31
	s_cmpk_lt_i32 s30, 0x4d01
	v_lshl_add_u64 v[22:23], s[4:5], 1, v[2:3]
	s_cselect_b32 s4, s6, 0x1340
	s_ashr_i32 s5, s4, 31
	s_cmpk_lt_i32 s30, 0x4e01
	v_lshl_add_u64 v[24:25], s[4:5], 1, v[2:3]
	s_cselect_b32 s4, s6, 0x1380
	s_ashr_i32 s5, s4, 31
	s_cmpk_lt_i32 s30, 0x4f01
	v_lshl_add_u64 v[26:27], s[4:5], 1, v[2:3]
	s_cselect_b32 s4, s6, 0x13c0
	s_ashr_i32 s5, s4, 31
	s_cmpk_lt_i32 s30, 0x5001
	v_lshl_add_u64 v[28:29], s[4:5], 1, v[2:3]
	s_cselect_b32 s4, s6, 0x1400
	s_ashr_i32 s5, s4, 31
	s_cmpk_lt_i32 s30, 0x5101
	global_load_ushort v13, v[14:15], off
	global_load_ushort v30, v[16:17], off
	global_load_ushort v31, v[18:19], off
	global_load_ushort v32, v[20:21], off
	global_load_ushort v33, v[22:23], off
	global_load_ushort v34, v[24:25], off
	global_load_ushort v35, v[26:27], off
	global_load_ushort v36, v[28:29], off
	v_lshl_add_u64 v[14:15], s[4:5], 1, v[2:3]
	s_cselect_b32 s4, s6, 0x1440
	s_ashr_i32 s5, s4, 31
	s_cmpk_lt_i32 s30, 0x5201
	v_lshl_add_u64 v[16:17], s[4:5], 1, v[2:3]
	s_cselect_b32 s4, s6, 0x1480
	s_ashr_i32 s5, s4, 31
	s_cmpk_lt_i32 s30, 0x5301
	v_lshl_add_u64 v[18:19], s[4:5], 1, v[2:3]
	s_cselect_b32 s4, s6, 0x14c0
	s_ashr_i32 s5, s4, 31
	s_cmpk_lt_i32 s30, 0x5401
	v_lshl_add_u64 v[20:21], s[4:5], 1, v[2:3]
	s_cselect_b32 s4, s6, 0x1500
	s_ashr_i32 s5, s4, 31
	s_cmpk_lt_i32 s30, 0x5501
	v_lshl_add_u64 v[22:23], s[4:5], 1, v[2:3]
	s_cselect_b32 s4, s6, 0x1540
	s_ashr_i32 s5, s4, 31
	s_cmpk_lt_i32 s30, 0x5601
	v_lshl_add_u64 v[24:25], s[4:5], 1, v[2:3]
	s_cselect_b32 s4, s6, 0x1580
	s_ashr_i32 s5, s4, 31
	s_cmpk_lt_i32 s30, 0x5701
	v_lshl_add_u64 v[26:27], s[4:5], 1, v[2:3]
	s_cselect_b32 s4, s6, 0x15c0
	s_ashr_i32 s5, s4, 31
	s_cmpk_lt_i32 s30, 0x5801
	v_lshl_add_u64 v[28:29], s[4:5], 1, v[2:3]
	s_cselect_b32 s4, s6, 0x1600
	s_ashr_i32 s5, s4, 31
	;; [unrolled: 40-line block ×6, first 2 shown]
	s_cmpk_lt_i32 s30, 0x7901
	global_load_ushort v69, v[14:15], off
	global_load_ushort v70, v[16:17], off
	;; [unrolled: 1-line block ×8, first 2 shown]
	v_lshl_add_u64 v[14:15], s[4:5], 1, v[2:3]
	s_cselect_b32 s4, s6, 0x1e40
	s_ashr_i32 s5, s4, 31
	s_cmpk_lt_i32 s30, 0x7a01
	v_lshl_add_u64 v[16:17], s[4:5], 1, v[2:3]
	s_cselect_b32 s4, s6, 0x1e80
	s_ashr_i32 s5, s4, 31
	s_cmpk_lt_i32 s30, 0x7b01
	;; [unrolled: 4-line block ×6, first 2 shown]
	v_lshl_add_u64 v[26:27], s[4:5], 1, v[2:3]
	s_cselect_b32 s4, s6, 0x1fc0
	s_ashr_i32 s5, s4, 31
	v_lshl_add_u64 v[28:29], s[4:5], 1, v[2:3]
	global_load_ushort v77, v[14:15], off
	global_load_ushort v78, v[16:17], off
	;; [unrolled: 1-line block ×8, first 2 shown]
	v_mov_b32_e32 v85, 0
	ds_read_b128 v[14:17], v85 offset:256
	ds_read_b128 v[18:21], v85 offset:272
	;; [unrolled: 1-line block ×4, first 2 shown]
	s_waitcnt vmcnt(62) lgkmcnt(3)
	v_fma_mix_f32 v4, v14, v5, v4 op_sel_hi:[0,1,0]
	v_fma_mix_f32 v4, v15, v6, v4 op_sel_hi:[0,1,0]
	s_waitcnt vmcnt(61)
	v_fma_mix_f32 v4, v16, v7, v4 op_sel_hi:[0,1,0]
	s_waitcnt vmcnt(60)
	v_fma_mix_f32 v4, v17, v8, v4 op_sel_hi:[0,1,0]
	s_waitcnt vmcnt(59) lgkmcnt(2)
	v_fma_mix_f32 v4, v18, v9, v4 op_sel_hi:[0,1,0]
	s_waitcnt vmcnt(58)
	v_fma_mix_f32 v4, v19, v10, v4 op_sel_hi:[0,1,0]
	s_waitcnt vmcnt(57)
	;; [unrolled: 2-line block ×3, first 2 shown]
	v_fma_mix_f32 v4, v21, v12, v4 op_sel_hi:[0,1,0]
	s_waitcnt vmcnt(55) lgkmcnt(1)
	v_fma_mix_f32 v4, v22, v13, v4 op_sel_hi:[0,1,0]
	s_waitcnt vmcnt(54)
	v_fma_mix_f32 v4, v23, v30, v4 op_sel_hi:[0,1,0]
	s_waitcnt vmcnt(53)
	v_fma_mix_f32 v4, v24, v31, v4 op_sel_hi:[0,1,0]
	s_waitcnt vmcnt(52)
	v_fma_mix_f32 v4, v25, v32, v4 op_sel_hi:[0,1,0]
	s_waitcnt vmcnt(51) lgkmcnt(0)
	v_fma_mix_f32 v8, v26, v33, v4 op_sel_hi:[0,1,0]
	ds_read_b128 v[4:7], v85 offset:320
	s_waitcnt vmcnt(50)
	v_fma_mix_f32 v8, v27, v34, v8 op_sel_hi:[0,1,0]
	s_waitcnt vmcnt(49)
	v_fma_mix_f32 v8, v28, v35, v8 op_sel_hi:[0,1,0]
	s_waitcnt vmcnt(48)
	v_fma_mix_f32 v12, v29, v36, v8 op_sel_hi:[0,1,0]
	ds_read_b128 v[8:11], v85 offset:336
	s_waitcnt vmcnt(47) lgkmcnt(1)
	v_fma_mix_f32 v4, v4, v37, v12 op_sel_hi:[0,1,0]
	s_waitcnt vmcnt(46)
	v_fma_mix_f32 v4, v5, v38, v4 op_sel_hi:[0,1,0]
	s_waitcnt vmcnt(45)
	v_fma_mix_f32 v4, v6, v39, v4 op_sel_hi:[0,1,0]
	s_waitcnt vmcnt(44)
	v_fma_mix_f32 v4, v7, v40, v4 op_sel_hi:[0,1,0]
	s_waitcnt vmcnt(43) lgkmcnt(0)
	v_fma_mix_f32 v8, v8, v41, v4 op_sel_hi:[0,1,0]
	ds_read_b128 v[4:7], v85 offset:352
	s_waitcnt vmcnt(42)
	v_fma_mix_f32 v8, v9, v42, v8 op_sel_hi:[0,1,0]
	s_waitcnt vmcnt(41)
	v_fma_mix_f32 v8, v10, v43, v8 op_sel_hi:[0,1,0]
	s_waitcnt vmcnt(40)
	v_fma_mix_f32 v12, v11, v44, v8 op_sel_hi:[0,1,0]
	ds_read_b128 v[8:11], v85 offset:368
	;; [unrolled: 18-line block ×6, first 2 shown]
	s_waitcnt vmcnt(7) lgkmcnt(1)
	v_fma_mix_f32 v4, v4, v77, v12 op_sel_hi:[0,1,0]
	s_waitcnt vmcnt(6)
	v_fma_mix_f32 v4, v5, v78, v4 op_sel_hi:[0,1,0]
	s_waitcnt vmcnt(5)
	;; [unrolled: 2-line block ×3, first 2 shown]
	v_fma_mix_f32 v4, v7, v80, v4 op_sel_hi:[0,1,0]
	s_waitcnt vmcnt(3) lgkmcnt(0)
	v_fma_mix_f32 v4, v8, v81, v4 op_sel_hi:[0,1,0]
	s_waitcnt vmcnt(2)
	v_fma_mix_f32 v4, v9, v82, v4 op_sel_hi:[0,1,0]
	s_waitcnt vmcnt(1)
	;; [unrolled: 2-line block ×3, first 2 shown]
	v_fma_mix_f32 v4, v11, v84, v4 op_sel_hi:[0,1,0]
.LBB18_17:
	s_load_dwordx2 s[4:5], s[0:1], 0x38
	s_cmp_lt_i32 s30, 0x8001
	s_cbranch_scc1 .LBB18_19
; %bb.18:
	s_cmp_lt_i32 s30, 0x8101
	s_cselect_b32 s8, s6, 0x2040
	s_ashr_i32 s9, s8, 31
	s_cmp_lt_i32 s30, 0x8201
	v_lshl_add_u64 v[16:17], s[8:9], 1, v[2:3]
	s_cselect_b32 s8, s6, 0x2080
	s_ashr_i32 s9, s8, 31
	s_cmp_lt_i32 s30, 0x8301
	v_lshl_add_u64 v[18:19], s[8:9], 1, v[2:3]
	;; [unrolled: 4-line block ×7, first 2 shown]
	s_cselect_b32 s8, s6, 0x2200
	v_add_co_u32_e32 v14, vcc, 0x4000, v2
	s_ashr_i32 s9, s8, 31
	s_nop 0
	v_addc_co_u32_e32 v15, vcc, 0, v3, vcc
	s_cmp_lt_i32 s30, 0x8901
	global_load_ushort v5, v[14:15], off
	global_load_ushort v6, v[16:17], off
	global_load_ushort v7, v[18:19], off
	global_load_ushort v8, v[20:21], off
	global_load_ushort v9, v[22:23], off
	global_load_ushort v10, v[24:25], off
	global_load_ushort v11, v[26:27], off
	global_load_ushort v12, v[28:29], off
	v_lshl_add_u64 v[14:15], s[8:9], 1, v[2:3]
	s_cselect_b32 s8, s6, 0x2240
	s_ashr_i32 s9, s8, 31
	s_cmp_lt_i32 s30, 0x8a01
	v_lshl_add_u64 v[16:17], s[8:9], 1, v[2:3]
	s_cselect_b32 s8, s6, 0x2280
	s_ashr_i32 s9, s8, 31
	s_cmp_lt_i32 s30, 0x8b01
	v_lshl_add_u64 v[18:19], s[8:9], 1, v[2:3]
	s_cselect_b32 s8, s6, 0x22c0
	s_ashr_i32 s9, s8, 31
	s_cmp_lt_i32 s30, 0x8c01
	v_lshl_add_u64 v[20:21], s[8:9], 1, v[2:3]
	s_cselect_b32 s8, s6, 0x2300
	s_ashr_i32 s9, s8, 31
	s_cmp_lt_i32 s30, 0x8d01
	v_lshl_add_u64 v[22:23], s[8:9], 1, v[2:3]
	s_cselect_b32 s8, s6, 0x2340
	s_ashr_i32 s9, s8, 31
	s_cmp_lt_i32 s30, 0x8e01
	v_lshl_add_u64 v[24:25], s[8:9], 1, v[2:3]
	s_cselect_b32 s8, s6, 0x2380
	s_ashr_i32 s9, s8, 31
	s_cmp_lt_i32 s30, 0x8f01
	v_lshl_add_u64 v[26:27], s[8:9], 1, v[2:3]
	s_cselect_b32 s8, s6, 0x23c0
	s_ashr_i32 s9, s8, 31
	s_cmp_lt_i32 s30, 0x9001
	v_lshl_add_u64 v[28:29], s[8:9], 1, v[2:3]
	s_cselect_b32 s8, s6, 0x2400
	s_ashr_i32 s9, s8, 31
	s_cmp_lt_i32 s30, 0x9101
	global_load_ushort v13, v[14:15], off
	global_load_ushort v30, v[16:17], off
	global_load_ushort v31, v[18:19], off
	global_load_ushort v32, v[20:21], off
	global_load_ushort v33, v[22:23], off
	global_load_ushort v34, v[24:25], off
	global_load_ushort v35, v[26:27], off
	global_load_ushort v36, v[28:29], off
	v_lshl_add_u64 v[14:15], s[8:9], 1, v[2:3]
	s_cselect_b32 s8, s6, 0x2440
	s_ashr_i32 s9, s8, 31
	s_cmp_lt_i32 s30, 0x9201
	v_lshl_add_u64 v[16:17], s[8:9], 1, v[2:3]
	s_cselect_b32 s8, s6, 0x2480
	s_ashr_i32 s9, s8, 31
	s_cmp_lt_i32 s30, 0x9301
	v_lshl_add_u64 v[18:19], s[8:9], 1, v[2:3]
	s_cselect_b32 s8, s6, 0x24c0
	s_ashr_i32 s9, s8, 31
	s_cmp_lt_i32 s30, 0x9401
	v_lshl_add_u64 v[20:21], s[8:9], 1, v[2:3]
	s_cselect_b32 s8, s6, 0x2500
	s_ashr_i32 s9, s8, 31
	s_cmp_lt_i32 s30, 0x9501
	v_lshl_add_u64 v[22:23], s[8:9], 1, v[2:3]
	s_cselect_b32 s8, s6, 0x2540
	s_ashr_i32 s9, s8, 31
	s_cmp_lt_i32 s30, 0x9601
	v_lshl_add_u64 v[24:25], s[8:9], 1, v[2:3]
	s_cselect_b32 s8, s6, 0x2580
	s_ashr_i32 s9, s8, 31
	s_cmp_lt_i32 s30, 0x9701
	v_lshl_add_u64 v[26:27], s[8:9], 1, v[2:3]
	s_cselect_b32 s8, s6, 0x25c0
	s_ashr_i32 s9, s8, 31
	s_cmp_lt_i32 s30, 0x9801
	v_lshl_add_u64 v[28:29], s[8:9], 1, v[2:3]
	s_cselect_b32 s8, s6, 0x2600
	s_ashr_i32 s9, s8, 31
	;; [unrolled: 40-line block ×6, first 2 shown]
	s_cmp_lt_i32 s30, 0xb901
	global_load_ushort v69, v[14:15], off
	global_load_ushort v70, v[16:17], off
	global_load_ushort v71, v[18:19], off
	global_load_ushort v72, v[20:21], off
	global_load_ushort v73, v[22:23], off
	global_load_ushort v74, v[24:25], off
	global_load_ushort v75, v[26:27], off
	global_load_ushort v76, v[28:29], off
	v_lshl_add_u64 v[14:15], s[8:9], 1, v[2:3]
	s_cselect_b32 s8, s6, 0x2e40
	s_ashr_i32 s9, s8, 31
	s_cmp_lt_i32 s30, 0xba01
	v_lshl_add_u64 v[16:17], s[8:9], 1, v[2:3]
	s_cselect_b32 s8, s6, 0x2e80
	s_ashr_i32 s9, s8, 31
	s_cmp_lt_i32 s30, 0xbb01
	;; [unrolled: 4-line block ×6, first 2 shown]
	s_cselect_b32 s6, s6, 0x2fc0
	s_ashr_i32 s7, s6, 31
	v_lshl_add_u64 v[26:27], s[8:9], 1, v[2:3]
	v_lshl_add_u64 v[2:3], s[6:7], 1, v[2:3]
	global_load_ushort v77, v[14:15], off
	global_load_ushort v78, v[16:17], off
	;; [unrolled: 1-line block ×8, first 2 shown]
	v_mov_b32_e32 v85, 0
	ds_read_b128 v[14:17], v85 offset:512
	ds_read_b128 v[18:21], v85 offset:528
	;; [unrolled: 1-line block ×4, first 2 shown]
	s_waitcnt vmcnt(62) lgkmcnt(0)
	v_fma_mix_f32 v2, v14, v5, v4 op_sel_hi:[0,1,0]
	v_fma_mix_f32 v2, v15, v6, v2 op_sel_hi:[0,1,0]
	s_waitcnt vmcnt(61)
	v_fma_mix_f32 v2, v16, v7, v2 op_sel_hi:[0,1,0]
	s_waitcnt vmcnt(60)
	;; [unrolled: 2-line block ×11, first 2 shown]
	v_fma_mix_f32 v6, v26, v33, v2 op_sel_hi:[0,1,0]
	ds_read_b128 v[2:5], v85 offset:576
	s_waitcnt vmcnt(50)
	v_fma_mix_f32 v6, v27, v34, v6 op_sel_hi:[0,1,0]
	s_waitcnt vmcnt(49)
	v_fma_mix_f32 v6, v28, v35, v6 op_sel_hi:[0,1,0]
	s_waitcnt vmcnt(48)
	v_fma_mix_f32 v10, v29, v36, v6 op_sel_hi:[0,1,0]
	ds_read_b128 v[6:9], v85 offset:592
	s_waitcnt vmcnt(47) lgkmcnt(1)
	v_fma_mix_f32 v2, v2, v37, v10 op_sel_hi:[0,1,0]
	s_waitcnt vmcnt(46)
	v_fma_mix_f32 v2, v3, v38, v2 op_sel_hi:[0,1,0]
	s_waitcnt vmcnt(45)
	v_fma_mix_f32 v2, v4, v39, v2 op_sel_hi:[0,1,0]
	s_waitcnt vmcnt(44)
	v_fma_mix_f32 v2, v5, v40, v2 op_sel_hi:[0,1,0]
	s_waitcnt vmcnt(43) lgkmcnt(0)
	v_fma_mix_f32 v6, v6, v41, v2 op_sel_hi:[0,1,0]
	ds_read_b128 v[2:5], v85 offset:608
	s_waitcnt vmcnt(42)
	v_fma_mix_f32 v6, v7, v42, v6 op_sel_hi:[0,1,0]
	s_waitcnt vmcnt(41)
	v_fma_mix_f32 v6, v8, v43, v6 op_sel_hi:[0,1,0]
	s_waitcnt vmcnt(40)
	v_fma_mix_f32 v10, v9, v44, v6 op_sel_hi:[0,1,0]
	ds_read_b128 v[6:9], v85 offset:624
	s_waitcnt vmcnt(39) lgkmcnt(1)
	v_fma_mix_f32 v2, v2, v45, v10 op_sel_hi:[0,1,0]
	s_waitcnt vmcnt(38)
	v_fma_mix_f32 v2, v3, v46, v2 op_sel_hi:[0,1,0]
	s_waitcnt vmcnt(37)
	v_fma_mix_f32 v2, v4, v47, v2 op_sel_hi:[0,1,0]
	s_waitcnt vmcnt(36)
	v_fma_mix_f32 v2, v5, v48, v2 op_sel_hi:[0,1,0]
	s_waitcnt vmcnt(35) lgkmcnt(0)
	;; [unrolled: 18-line block ×6, first 2 shown]
	v_fma_mix_f32 v2, v6, v81, v2 op_sel_hi:[0,1,0]
	s_waitcnt vmcnt(2)
	v_fma_mix_f32 v2, v7, v82, v2 op_sel_hi:[0,1,0]
	s_waitcnt vmcnt(1)
	;; [unrolled: 2-line block ×3, first 2 shown]
	v_fma_mix_f32 v4, v9, v84, v2 op_sel_hi:[0,1,0]
.LBB18_19:
	v_mov_b32_e32 v2, 0
	s_load_dwordx2 s[0:1], s[0:1], 0x0
	ds_read_b32 v2, v2 offset:768
	s_waitcnt lgkmcnt(0)
	s_cmp_eq_u64 s[4:5], 0
	s_cbranch_scc1 .LBB18_24
; %bb.20:
	s_load_dword s6, s[4:5], 0x0
	s_waitcnt lgkmcnt(0)
	v_div_scale_f32 v3, s[4:5], s6, s6, 1.0
	v_rcp_f32_e32 v5, v3
	v_div_scale_f32 v6, vcc, 1.0, s6, 1.0
	v_fma_f32 v7, -v3, v5, 1.0
	v_fmac_f32_e32 v5, v7, v5
	v_mul_f32_e32 v7, v6, v5
	v_fma_f32 v8, -v3, v7, v6
	v_fmac_f32_e32 v7, v8, v5
	v_fma_f32 v3, -v3, v7, v6
	v_div_fmas_f32 v3, v3, v5, v7
	v_div_fixup_f32 v3, v3, s6, 1.0
	s_andn2_b64 vcc, exec, s[22:23]
	s_cbranch_vccnz .LBB18_22
.LBB18_21:
	s_add_u32 s4, s20, s24
	s_addc_u32 s5, s21, s25
	s_load_dword s10, s[4:5], 0x0
	s_mov_b32 s11, 0
.LBB18_22:
	v_add_f32_e32 v2, 0x358637bd, v2
	v_div_scale_f32 v5, s[4:5], v2, v2, 1.0
	v_rcp_f32_e32 v6, v5
	v_div_scale_f32 v7, vcc, 1.0, v2, 1.0
	s_mul_i32 s4, s3, s11
	v_fma_f32 v8, -v5, v6, 1.0
	v_fmac_f32_e32 v6, v8, v6
	v_mul_f32_e32 v8, v7, v6
	v_fma_f32 v9, -v5, v8, v7
	v_fmac_f32_e32 v8, v9, v6
	v_fma_f32 v5, -v5, v8, v7
	s_waitcnt lgkmcnt(0)
	s_mul_hi_u32 s5, s3, s10
	v_div_fmas_f32 v5, v5, v6, v8
	s_add_i32 s5, s5, s4
	s_mul_i32 s4, s3, s10
	v_div_fixup_f32 v2, v5, v2, 1.0
	s_lshl_b64 s[4:5], s[4:5], 6
	v_mul_f32_e32 v2, v4, v2
	s_add_u32 s4, s0, s4
	s_mov_b32 s3, 0
	v_mul_f32_e32 v2, v2, v3
	s_addc_u32 s5, s1, s5
	s_lshl_b64 s[0:1], s[2:3], 6
	s_mov_b32 s2, 0x7f800000
	s_mov_b32 s3, 0x43700000
	v_mov_b32_e32 v3, 0xc3700000
	v_med3_f32 v3, v2, s3, v3
	v_cmp_nlg_f32_e64 vcc, |v2|, s2
	s_add_u32 s0, s4, s0
	s_addc_u32 s1, s5, s1
	v_cndmask_b32_e32 v2, v3, v2, vcc
	v_mov_b32_e32 v3, 0
	v_cvt_pk_fp8_f32 v3, v2, v2
	v_lshl_add_u64 v[0:1], s[0:1], 0, v[0:1]
	global_store_byte v[0:1], v3, off
	s_endpgm
.LBB18_23:
	s_mov_b64 s[6:7], 0
	s_branch .LBB18_2
.LBB18_24:
	v_mov_b32_e32 v3, 1.0
	s_andn2_b64 vcc, exec, s[22:23]
	s_cbranch_vccz .LBB18_21
	s_branch .LBB18_22
	.section	.rodata,"a",@progbits
	.p2align	6, 0x0
	.amdhsa_kernel _Z35paged_attention_ll4mi_reduce_kernelIDF16_hLi64ELi64ELi256ELi3EEvPT0_PKfS3_PKT_PKiS8_iS3_
		.amdhsa_group_segment_fixed_size 772
		.amdhsa_private_segment_fixed_size 0
		.amdhsa_kernarg_size 320
		.amdhsa_user_sgpr_count 2
		.amdhsa_user_sgpr_dispatch_ptr 0
		.amdhsa_user_sgpr_queue_ptr 0
		.amdhsa_user_sgpr_kernarg_segment_ptr 1
		.amdhsa_user_sgpr_dispatch_id 0
		.amdhsa_user_sgpr_kernarg_preload_length 0
		.amdhsa_user_sgpr_kernarg_preload_offset 0
		.amdhsa_user_sgpr_private_segment_size 0
		.amdhsa_uses_dynamic_stack 0
		.amdhsa_enable_private_segment 0
		.amdhsa_system_sgpr_workgroup_id_x 1
		.amdhsa_system_sgpr_workgroup_id_y 1
		.amdhsa_system_sgpr_workgroup_id_z 0
		.amdhsa_system_sgpr_workgroup_info 0
		.amdhsa_system_vgpr_workitem_id 0
		.amdhsa_next_free_vgpr 92
		.amdhsa_next_free_sgpr 36
		.amdhsa_accum_offset 92
		.amdhsa_reserve_vcc 1
		.amdhsa_float_round_mode_32 0
		.amdhsa_float_round_mode_16_64 0
		.amdhsa_float_denorm_mode_32 3
		.amdhsa_float_denorm_mode_16_64 3
		.amdhsa_dx10_clamp 1
		.amdhsa_ieee_mode 1
		.amdhsa_fp16_overflow 0
		.amdhsa_tg_split 0
		.amdhsa_exception_fp_ieee_invalid_op 0
		.amdhsa_exception_fp_denorm_src 0
		.amdhsa_exception_fp_ieee_div_zero 0
		.amdhsa_exception_fp_ieee_overflow 0
		.amdhsa_exception_fp_ieee_underflow 0
		.amdhsa_exception_fp_ieee_inexact 0
		.amdhsa_exception_int_div_zero 0
	.end_amdhsa_kernel
	.section	.text._Z35paged_attention_ll4mi_reduce_kernelIDF16_hLi64ELi64ELi256ELi3EEvPT0_PKfS3_PKT_PKiS8_iS3_,"axG",@progbits,_Z35paged_attention_ll4mi_reduce_kernelIDF16_hLi64ELi64ELi256ELi3EEvPT0_PKfS3_PKT_PKiS8_iS3_,comdat
.Lfunc_end18:
	.size	_Z35paged_attention_ll4mi_reduce_kernelIDF16_hLi64ELi64ELi256ELi3EEvPT0_PKfS3_PKT_PKiS8_iS3_, .Lfunc_end18-_Z35paged_attention_ll4mi_reduce_kernelIDF16_hLi64ELi64ELi256ELi3EEvPT0_PKfS3_PKT_PKiS8_iS3_
                                        ; -- End function
	.section	.AMDGPU.csdata,"",@progbits
; Kernel info:
; codeLenInByte = 11168
; NumSgprs: 42
; NumVgprs: 92
; NumAgprs: 0
; TotalNumVgprs: 92
; ScratchSize: 0
; MemoryBound: 0
; FloatMode: 240
; IeeeMode: 1
; LDSByteSize: 772 bytes/workgroup (compile time only)
; SGPRBlocks: 5
; VGPRBlocks: 11
; NumSGPRsForWavesPerEU: 42
; NumVGPRsForWavesPerEU: 92
; AccumOffset: 92
; Occupancy: 5
; WaveLimiterHint : 1
; COMPUTE_PGM_RSRC2:SCRATCH_EN: 0
; COMPUTE_PGM_RSRC2:USER_SGPR: 2
; COMPUTE_PGM_RSRC2:TRAP_HANDLER: 0
; COMPUTE_PGM_RSRC2:TGID_X_EN: 1
; COMPUTE_PGM_RSRC2:TGID_Y_EN: 1
; COMPUTE_PGM_RSRC2:TGID_Z_EN: 0
; COMPUTE_PGM_RSRC2:TIDIG_COMP_CNT: 0
; COMPUTE_PGM_RSRC3_GFX90A:ACCUM_OFFSET: 22
; COMPUTE_PGM_RSRC3_GFX90A:TG_SPLIT: 0
	.section	.text._Z35paged_attention_ll4mi_reduce_kernelIDF16_hLi64ELi64ELi256ELi4EEvPT0_PKfS3_PKT_PKiS8_iS3_,"axG",@progbits,_Z35paged_attention_ll4mi_reduce_kernelIDF16_hLi64ELi64ELi256ELi4EEvPT0_PKfS3_PKT_PKiS8_iS3_,comdat
	.protected	_Z35paged_attention_ll4mi_reduce_kernelIDF16_hLi64ELi64ELi256ELi4EEvPT0_PKfS3_PKT_PKiS8_iS3_ ; -- Begin function _Z35paged_attention_ll4mi_reduce_kernelIDF16_hLi64ELi64ELi256ELi4EEvPT0_PKfS3_PKT_PKiS8_iS3_
	.globl	_Z35paged_attention_ll4mi_reduce_kernelIDF16_hLi64ELi64ELi256ELi4EEvPT0_PKfS3_PKT_PKiS8_iS3_
	.p2align	8
	.type	_Z35paged_attention_ll4mi_reduce_kernelIDF16_hLi64ELi64ELi256ELi4EEvPT0_PKfS3_PKT_PKiS8_iS3_,@function
_Z35paged_attention_ll4mi_reduce_kernelIDF16_hLi64ELi64ELi256ELi4EEvPT0_PKfS3_PKT_PKiS8_iS3_: ; @_Z35paged_attention_ll4mi_reduce_kernelIDF16_hLi64ELi64ELi256ELi4EEvPT0_PKfS3_PKT_PKiS8_iS3_
; %bb.0:
	s_load_dwordx2 s[22:23], s[0:1], 0x28
	s_mov_b32 s20, s3
	s_mov_b64 s[4:5], 0
	s_waitcnt lgkmcnt(0)
	s_cmp_lg_u64 s[22:23], 0
	s_cselect_b64 s[24:25], -1, 0
	s_and_b64 vcc, exec, s[24:25]
	s_cbranch_vccz .LBB19_23
; %bb.1:
	s_add_i32 s6, s20, 1
	s_mov_b32 s7, 0
	s_lshl_b64 s[8:9], s[6:7], 2
	s_add_u32 s8, s22, s8
	s_mov_b32 s21, s7
	s_addc_u32 s9, s23, s9
	s_lshl_b64 s[6:7], s[20:21], 2
	s_add_u32 s6, s22, s6
	s_addc_u32 s7, s23, s7
	s_load_dword s3, s[8:9], 0x0
	s_load_dword s10, s[6:7], 0x0
	s_waitcnt lgkmcnt(0)
	s_sub_i32 s3, s3, s10
	s_cmp_eq_u32 s3, 1
	s_cselect_b64 s[6:7], -1, 0
	s_andn2_b64 vcc, exec, s[4:5]
	s_cbranch_vccnz .LBB19_3
.LBB19_2:
	s_mov_b32 s21, 0
	s_mov_b64 s[6:7], -1
.LBB19_3:
	s_andn2_b64 vcc, exec, s[6:7]
	s_cbranch_vccz .LBB19_5
; %bb.4:
	s_endpgm
.LBB19_5:
	s_load_dwordx4 s[12:15], s[0:1], 0x18
	s_load_dword s8, s[0:1], 0x30
	s_lshl_b64 s[26:27], s[20:21], 2
	v_cmp_lt_u32_e32 vcc, 63, v0
	s_waitcnt lgkmcnt(0)
	s_add_u32 s4, s14, s26
	s_addc_u32 s5, s15, s27
	s_load_dword s34, s[4:5], 0x0
	s_load_dword s3, s[0:1], 0x40
	s_mul_i32 s14, s2, s8
	s_mul_i32 s6, s20, s8
	s_waitcnt lgkmcnt(0)
	s_add_i32 s7, s34, 0xff
	s_ashr_i32 s4, s7, 31
	s_lshr_b32 s4, s4, 24
	s_add_i32 s7, s7, s4
	s_and_saveexec_b64 s[4:5], vcc
	s_xor_b64 s[4:5], exec, s[4:5]
	s_or_saveexec_b64 s[28:29], s[4:5]
	s_ashr_i32 s33, s7, 8
	v_mov_b32_e32 v1, s14
	s_mul_i32 s30, s6, s3
	s_xor_b64 exec, exec, s[28:29]
	s_cbranch_execz .LBB19_9
; %bb.6:
	s_load_dwordx4 s[16:19], s[0:1], 0x8
	s_add_i32 s4, s33, -1
	v_or_b32_e32 v3, 64, v0
	v_mov_b32_e32 v1, s4
	v_cmp_gt_u32_e64 s[8:9], s33, v3
	s_mov_b32 s31, 0
	s_lshl_b64 s[36:37], s[30:31], 2
	v_cndmask_b32_e64 v4, v1, v3, s[8:9]
	v_or_b32_e32 v3, 0x80, v0
	v_cmp_gt_u32_e64 s[4:5], s33, v3
	s_mov_b32 s15, s31
	v_cmp_gt_u32_e64 s[6:7], s33, v0
	v_cndmask_b32_e64 v6, v1, v3, s[4:5]
	v_or_b32_e32 v3, 0xc0, v0
	s_waitcnt lgkmcnt(0)
	s_add_u32 s10, s18, s36
	v_cndmask_b32_e64 v2, v1, v0, s[6:7]
	v_cmp_gt_u32_e32 vcc, s33, v3
	s_addc_u32 s11, s19, s37
	s_lshl_b64 s[18:19], s[14:15], 2
	v_cndmask_b32_e32 v8, v1, v3, vcc
	s_add_u32 s10, s10, s18
	v_ashrrev_i32_e32 v3, 31, v2
	s_addc_u32 s11, s11, s19
	v_lshlrev_b64 v[2:3], 2, v[2:3]
	v_ashrrev_i32_e32 v5, 31, v4
	v_lshl_add_u64 v[10:11], s[10:11], 0, v[2:3]
	v_lshlrev_b64 v[4:5], 2, v[4:5]
	v_ashrrev_i32_e32 v7, 31, v6
	v_lshl_add_u64 v[12:13], s[10:11], 0, v[4:5]
	v_lshlrev_b64 v[6:7], 2, v[6:7]
	v_ashrrev_i32_e32 v9, 31, v8
	global_load_dword v1, v[10:11], off
	global_load_dword v16, v[12:13], off
	v_lshl_add_u64 v[14:15], s[10:11], 0, v[6:7]
	v_lshlrev_b64 v[8:9], 2, v[8:9]
	v_lshl_add_u64 v[10:11], s[10:11], 0, v[8:9]
	global_load_dword v12, v[14:15], off
	global_load_dword v13, v[10:11], off
	v_mbcnt_lo_u32_b32 v10, -1, 0
	v_mbcnt_hi_u32_b32 v10, -1, v10
	v_and_b32_e32 v11, 64, v10
	v_xor_b32_e32 v14, 32, v10
	v_add_u32_e32 v11, 64, v11
	v_cmp_lt_i32_e64 s[10:11], v14, v11
	v_xor_b32_e32 v15, 16, v10
	v_xor_b32_e32 v17, 8, v10
	v_cndmask_b32_e64 v14, v10, v14, s[10:11]
	v_cmp_lt_i32_e64 s[10:11], v15, v11
	v_lshlrev_b32_e32 v14, 2, v14
	v_xor_b32_e32 v18, 4, v10
	v_cndmask_b32_e64 v15, v10, v15, s[10:11]
	s_add_u32 s10, s16, s36
	s_addc_u32 s11, s17, s37
	s_add_u32 s16, s10, s18
	s_addc_u32 s17, s11, s19
	v_lshl_add_u64 v[2:3], s[16:17], 0, v[2:3]
	v_lshl_add_u64 v[4:5], s[16:17], 0, v[4:5]
	global_load_dword v22, v[2:3], off
	global_load_dword v23, v[4:5], off
	v_lshlrev_b32_e32 v15, 2, v15
	v_cmp_lt_i32_e64 s[10:11], v17, v11
	v_xor_b32_e32 v19, 2, v10
	s_mov_b32 s15, 0x3fb8aa3b
	v_cndmask_b32_e64 v4, v10, v17, s[10:11]
	v_lshlrev_b32_e32 v17, 2, v4
	v_cmp_lt_i32_e64 s[10:11], v18, v11
	s_waitcnt vmcnt(5)
	v_max_f32_e32 v21, v1, v1
	s_waitcnt vmcnt(4)
	v_max_f32_e32 v20, v16, v16
	v_max_f32_e32 v20, v21, v20
	v_cndmask_b32_e64 v5, v10, v18, s[10:11]
	v_cmp_lt_i32_e64 s[10:11], v19, v11
	s_waitcnt vmcnt(2)
	v_max3_f32 v20, v20, v12, v13
	ds_bpermute_b32 v21, v14, v20
	v_cndmask_b32_e64 v4, v10, v19, s[10:11]
	v_lshlrev_b32_e32 v18, 2, v5
	v_lshlrev_b32_e32 v19, 2, v4
	v_lshl_add_u64 v[4:5], s[16:17], 0, v[8:9]
	s_waitcnt lgkmcnt(0)
	v_max_f32_e32 v2, v21, v21
	v_max_f32_e32 v2, v20, v2
	ds_bpermute_b32 v3, v15, v2
	s_waitcnt lgkmcnt(0)
	v_max_f32_e32 v3, v3, v3
	v_max_f32_e32 v2, v2, v3
	ds_bpermute_b32 v3, v17, v2
	s_waitcnt lgkmcnt(0)
	v_max_f32_e32 v3, v3, v3
	v_max_f32_e32 v20, v2, v3
	v_lshl_add_u64 v[2:3], s[16:17], 0, v[6:7]
	global_load_dword v6, v[2:3], off
	global_load_dword v7, v[4:5], off
	ds_bpermute_b32 v21, v18, v20
	v_xor_b32_e32 v4, 1, v10
	v_cmp_lt_i32_e64 s[10:11], v4, v11
	s_mov_b32 s16, 0xc2ce8ed0
	s_mov_b32 s17, 0x42b17218
	s_waitcnt lgkmcnt(0)
	v_max_f32_e32 v2, v21, v21
	v_max_f32_e32 v2, v20, v2
	ds_bpermute_b32 v3, v19, v2
	v_cndmask_b32_e64 v4, v10, v4, s[10:11]
	v_lshlrev_b32_e32 v4, 2, v4
	v_mov_b32_e32 v5, 0x7f800000
	s_waitcnt lgkmcnt(0)
	v_max_f32_e32 v3, v3, v3
	v_max_f32_e32 v2, v2, v3
	ds_bpermute_b32 v3, v4, v2
	s_waitcnt lgkmcnt(0)
	v_max_f32_e32 v3, v3, v3
	v_max_f32_e32 v2, v2, v3
	v_sub_f32_e32 v1, v1, v2
	v_sub_f32_e32 v3, v16, v2
	v_mul_f32_e32 v9, 0x3fb8aa3b, v1
	v_sub_f32_e32 v8, v12, v2
	v_mul_f32_e32 v10, 0x3fb8aa3b, v3
	v_fma_f32 v12, v1, s15, -v9
	v_rndne_f32_e32 v16, v9
	v_mul_f32_e32 v11, 0x3fb8aa3b, v8
	v_fma_f32 v20, v3, s15, -v10
	v_rndne_f32_e32 v21, v10
	v_fmac_f32_e32 v12, 0x32a5705f, v1
	v_sub_f32_e32 v9, v9, v16
	v_fma_f32 v24, v8, s15, -v11
	v_rndne_f32_e32 v25, v11
	v_fmac_f32_e32 v20, 0x32a5705f, v3
	v_sub_f32_e32 v10, v10, v21
	v_add_f32_e32 v9, v9, v12
	v_cvt_i32_f32_e32 v16, v16
	v_fmac_f32_e32 v24, 0x32a5705f, v8
	v_sub_f32_e32 v11, v11, v25
	v_add_f32_e32 v10, v10, v20
	v_exp_f32_e32 v9, v9
	v_cvt_i32_f32_e32 v21, v21
	v_add_f32_e32 v11, v11, v24
	v_exp_f32_e32 v10, v10
	v_cvt_i32_f32_e32 v25, v25
	v_exp_f32_e32 v11, v11
	v_ldexp_f32 v9, v9, v16
	v_cmp_ngt_f32_e64 s[10:11], s16, v1
	v_ldexp_f32 v10, v10, v21
	v_ldexp_f32 v11, v11, v25
	v_cndmask_b32_e64 v9, 0, v9, s[10:11]
	v_cmp_ngt_f32_e64 s[10:11], s16, v3
	v_sub_f32_e32 v2, v13, v2
	s_nop 0
	v_cndmask_b32_e64 v10, 0, v10, s[10:11]
	v_cmp_ngt_f32_e64 s[10:11], s16, v8
	s_nop 1
	v_cndmask_b32_e64 v11, 0, v11, s[10:11]
	v_cmp_nlt_f32_e64 s[10:11], s17, v1
	s_nop 1
	v_cndmask_b32_e64 v1, v5, v9, s[10:11]
	v_cmp_nlt_f32_e64 s[10:11], s17, v3
	v_cndmask_b32_e64 v1, 0, v1, s[6:7]
	v_cmp_nlt_f32_e64 s[6:7], s17, v8
	v_cndmask_b32_e64 v3, v5, v10, s[10:11]
	v_mul_f32_e32 v10, 0x3fb8aa3b, v2
	v_fma_f32 v12, v2, s15, -v10
	v_rndne_f32_e32 v13, v10
	v_fmac_f32_e32 v12, 0x32a5705f, v2
	v_sub_f32_e32 v10, v10, v13
	v_add_f32_e32 v10, v10, v12
	v_exp_f32_e32 v10, v10
	v_cvt_i32_f32_e32 v12, v13
	v_cndmask_b32_e64 v8, v5, v11, s[6:7]
	v_cndmask_b32_e64 v8, 0, v8, s[4:5]
	v_cmp_ngt_f32_e64 s[4:5], s16, v2
	v_ldexp_f32 v10, v10, v12
	v_cndmask_b32_e64 v3, 0, v3, s[8:9]
	v_cndmask_b32_e64 v10, 0, v10, s[4:5]
	v_cmp_nlt_f32_e64 s[4:5], s17, v2
	s_waitcnt vmcnt(3)
	v_mul_f32_e32 v1, v22, v1
	s_waitcnt vmcnt(2)
	v_mul_f32_e32 v9, v23, v3
	v_cndmask_b32_e64 v2, v5, v10, s[4:5]
	v_lshlrev_b32_e32 v10, 2, v0
	ds_write2st64_b32 v10, v1, v9 offset1:1
	v_fmac_f32_e32 v1, v23, v3
	v_cndmask_b32_e32 v5, 0, v2, vcc
	s_waitcnt vmcnt(1)
	v_fmac_f32_e32 v1, v6, v8
	s_waitcnt vmcnt(0)
	v_fmac_f32_e32 v1, v7, v5
	ds_bpermute_b32 v2, v14, v1
	v_mul_f32_e32 v3, v6, v8
	v_cmp_eq_u32_e32 vcc, 0, v0
	s_waitcnt lgkmcnt(0)
	v_add_f32_e32 v1, v1, v2
	ds_bpermute_b32 v2, v15, v1
	s_waitcnt lgkmcnt(0)
	v_add_f32_e32 v1, v1, v2
	ds_bpermute_b32 v2, v17, v1
	;; [unrolled: 3-line block ×5, first 2 shown]
	v_mul_f32_e32 v4, v7, v5
	ds_write2st64_b32 v10, v3, v4 offset0:2 offset1:3
	s_and_saveexec_b64 s[4:5], vcc
	s_cbranch_execz .LBB19_8
; %bb.7:
	s_waitcnt lgkmcnt(1)
	v_add_f32_e32 v1, v1, v2
	v_mov_b32_e32 v2, 0
	ds_write_b32 v2, v1 offset:1024
.LBB19_8:
	s_or_b64 exec, exec, s[4:5]
	v_mov_b32_e32 v1, s14
.LBB19_9:
	s_or_b64 exec, exec, s[28:29]
	s_lshl_b32 s4, s30, 6
	s_mov_b32 s5, 0
	s_lshl_b64 s[4:5], s[4:5], 1
	s_add_u32 s4, s12, s4
	s_addc_u32 s5, s13, s5
	s_lshl_b32 s10, s33, 6
	s_waitcnt lgkmcnt(1)
	v_lshlrev_b32_e32 v2, 6, v1
	v_mov_b32_e32 v1, 0
	s_sub_i32 s11, s10, 64
	v_mov_b32_e32 v3, v1
	s_cmp_lt_i32 s34, 1
	v_lshl_add_u64 v[2:3], v[2:3], 1, s[4:5]
	s_cselect_b32 s4, s11, 0
	v_lshlrev_b32_e32 v4, 1, v0
	v_mov_b32_e32 v5, v1
	s_ashr_i32 s5, s4, 31
	v_lshl_add_u64 v[2:3], v[2:3], 0, v[4:5]
	s_cmpk_lt_i32 s34, 0x101
	v_lshl_add_u64 v[12:13], s[4:5], 1, v[2:3]
	s_cselect_b32 s4, s11, 64
	s_ashr_i32 s5, s4, 31
	s_cmpk_lt_i32 s34, 0x201
	v_lshl_add_u64 v[14:15], s[4:5], 1, v[2:3]
	s_cselect_b32 s4, s11, 0x80
	s_ashr_i32 s5, s4, 31
	;; [unrolled: 4-line block ×8, first 2 shown]
	s_cmpk_lt_i32 s34, 0x901
	global_load_ushort v4, v[12:13], off
	global_load_ushort v5, v[14:15], off
	;; [unrolled: 1-line block ×8, first 2 shown]
	v_lshl_add_u64 v[20:21], s[4:5], 1, v[2:3]
	s_cselect_b32 s4, s11, 0x240
	s_ashr_i32 s5, s4, 31
	s_cmpk_lt_i32 s34, 0xa01
	v_lshl_add_u64 v[22:23], s[4:5], 1, v[2:3]
	s_cselect_b32 s4, s11, 0x280
	s_ashr_i32 s5, s4, 31
	s_cmpk_lt_i32 s34, 0xb01
	;; [unrolled: 4-line block ×6, first 2 shown]
	v_lshl_add_u64 v[32:33], s[4:5], 1, v[2:3]
	s_cselect_b32 s4, s11, 0x3c0
	s_ashr_i32 s5, s4, 31
	v_lshl_add_u64 v[34:35], s[4:5], 1, v[2:3]
	global_load_ushort v12, v[20:21], off
	global_load_ushort v13, v[22:23], off
	global_load_ushort v14, v[24:25], off
	global_load_ushort v15, v[26:27], off
	global_load_ushort v16, v[28:29], off
	global_load_ushort v17, v[30:31], off
	global_load_ushort v18, v[32:33], off
	global_load_ushort v19, v[34:35], off
	s_cmpk_gt_i32 s34, 0x1000
	s_cselect_b64 s[8:9], -1, 0
	s_cmpk_lt_i32 s34, 0x1001
	v_mov_b32_e32 v36, 0
	v_mov_b32_e32 v37, 0
	;; [unrolled: 1-line block ×48, first 2 shown]
	s_waitcnt lgkmcnt(0)
	; wave barrier
	s_waitcnt lgkmcnt(0)
	s_cbranch_scc1 .LBB19_12
; %bb.10:
	s_cmpk_lt_u32 s34, 0x1101
	s_cselect_b32 s4, s11, 0x440
	s_ashr_i32 s5, s4, 31
	s_cmpk_lt_u32 s34, 0x1201
	v_lshl_add_u64 v[28:29], s[4:5], 1, v[2:3]
	s_cselect_b32 s4, s11, 0x480
	s_ashr_i32 s5, s4, 31
	s_cmpk_lt_u32 s34, 0x1301
	v_lshl_add_u64 v[30:31], s[4:5], 1, v[2:3]
	;; [unrolled: 4-line block ×7, first 2 shown]
	s_cselect_b32 s4, s11, 0x600
	s_ashr_i32 s5, s4, 31
	s_cmpk_lt_u32 s34, 0x1901
	global_load_ushort v27, v[2:3], off offset:2048
	global_load_ushort v26, v[28:29], off
	global_load_ushort v25, v[30:31], off
	;; [unrolled: 1-line block ×7, first 2 shown]
	v_lshl_add_u64 v[36:37], s[4:5], 1, v[2:3]
	s_cselect_b32 s4, s11, 0x640
	s_ashr_i32 s5, s4, 31
	s_cmpk_lt_u32 s34, 0x1a01
	v_lshl_add_u64 v[38:39], s[4:5], 1, v[2:3]
	s_cselect_b32 s4, s11, 0x680
	s_ashr_i32 s5, s4, 31
	s_cmpk_lt_u32 s34, 0x1b01
	;; [unrolled: 4-line block ×6, first 2 shown]
	v_lshl_add_u64 v[48:49], s[4:5], 1, v[2:3]
	s_cselect_b32 s4, s11, 0x7c0
	s_ashr_i32 s5, s4, 31
	v_lshl_add_u64 v[50:51], s[4:5], 1, v[2:3]
	global_load_ushort v35, v[36:37], off
	global_load_ushort v34, v[38:39], off
	;; [unrolled: 1-line block ×8, first 2 shown]
	s_cmpk_lt_u32 s34, 0x2001
	v_mov_b32_e32 v67, 0
	v_mov_b32_e32 v66, 0
	;; [unrolled: 1-line block ×32, first 2 shown]
	s_cbranch_scc1 .LBB19_12
; %bb.11:
	s_cmpk_lt_u32 s34, 0x2101
	s_cselect_b32 s4, s11, 0x840
	s_ashr_i32 s5, s4, 31
	s_cmpk_lt_u32 s34, 0x2201
	v_lshl_add_u64 v[38:39], s[4:5], 1, v[2:3]
	s_cselect_b32 s4, s11, 0x880
	s_ashr_i32 s5, s4, 31
	s_cmpk_lt_u32 s34, 0x2301
	v_lshl_add_u64 v[40:41], s[4:5], 1, v[2:3]
	;; [unrolled: 4-line block ×7, first 2 shown]
	s_cselect_b32 s4, s11, 0xa00
	v_add_co_u32_e32 v36, vcc, 0x1000, v2
	s_ashr_i32 s5, s4, 31
	s_nop 0
	v_addc_co_u32_e32 v37, vcc, 0, v3, vcc
	s_cmpk_lt_u32 s34, 0x2901
	global_load_ushort v52, v[36:37], off
	global_load_ushort v53, v[38:39], off
	;; [unrolled: 1-line block ×8, first 2 shown]
	v_lshl_add_u64 v[36:37], s[4:5], 1, v[2:3]
	s_cselect_b32 s4, s11, 0xa40
	s_ashr_i32 s5, s4, 31
	s_cmpk_lt_u32 s34, 0x2a01
	v_lshl_add_u64 v[38:39], s[4:5], 1, v[2:3]
	s_cselect_b32 s4, s11, 0xa80
	s_ashr_i32 s5, s4, 31
	s_cmpk_lt_u32 s34, 0x2b01
	;; [unrolled: 4-line block ×8, first 2 shown]
	global_load_ushort v68, v[36:37], off
	global_load_ushort v69, v[38:39], off
	global_load_ushort v70, v[40:41], off
	global_load_ushort v71, v[42:43], off
	global_load_ushort v72, v[44:45], off
	global_load_ushort v73, v[46:47], off
	global_load_ushort v74, v[48:49], off
	global_load_ushort v75, v[50:51], off
	v_lshl_add_u64 v[36:37], s[4:5], 1, v[2:3]
	s_cselect_b32 s4, s11, 0xc40
	s_ashr_i32 s5, s4, 31
	s_cmpk_lt_u32 s34, 0x3201
	v_lshl_add_u64 v[38:39], s[4:5], 1, v[2:3]
	s_cselect_b32 s4, s11, 0xc80
	s_ashr_i32 s5, s4, 31
	s_cmpk_lt_u32 s34, 0x3301
	v_lshl_add_u64 v[40:41], s[4:5], 1, v[2:3]
	s_cselect_b32 s4, s11, 0xcc0
	s_ashr_i32 s5, s4, 31
	s_cmpk_lt_u32 s34, 0x3401
	v_lshl_add_u64 v[42:43], s[4:5], 1, v[2:3]
	s_cselect_b32 s4, s11, 0xd00
	s_ashr_i32 s5, s4, 31
	s_cmpk_lt_u32 s34, 0x3501
	v_lshl_add_u64 v[44:45], s[4:5], 1, v[2:3]
	s_cselect_b32 s4, s11, 0xd40
	s_ashr_i32 s5, s4, 31
	s_cmpk_lt_u32 s34, 0x3601
	v_lshl_add_u64 v[46:47], s[4:5], 1, v[2:3]
	s_cselect_b32 s4, s11, 0xd80
	s_ashr_i32 s5, s4, 31
	s_cmpk_lt_u32 s34, 0x3701
	v_lshl_add_u64 v[48:49], s[4:5], 1, v[2:3]
	s_cselect_b32 s4, s11, 0xdc0
	s_ashr_i32 s5, s4, 31
	s_cmpk_lt_u32 s34, 0x3801
	v_lshl_add_u64 v[50:51], s[4:5], 1, v[2:3]
	s_cselect_b32 s4, s11, 0xe00
	s_ashr_i32 s5, s4, 31
	s_cmpk_lt_u32 s34, 0x3901
	global_load_ushort v76, v[36:37], off
	global_load_ushort v77, v[38:39], off
	;; [unrolled: 1-line block ×8, first 2 shown]
	v_lshl_add_u64 v[36:37], s[4:5], 1, v[2:3]
	s_cselect_b32 s4, s11, 0xe40
	s_ashr_i32 s5, s4, 31
	s_cmpk_lt_u32 s34, 0x3a01
	v_lshl_add_u64 v[38:39], s[4:5], 1, v[2:3]
	s_cselect_b32 s4, s11, 0xe80
	s_ashr_i32 s5, s4, 31
	s_cmpk_lt_u32 s34, 0x3b01
	;; [unrolled: 4-line block ×6, first 2 shown]
	v_lshl_add_u64 v[48:49], s[4:5], 1, v[2:3]
	s_cselect_b32 s4, s11, 0xfc0
	s_ashr_i32 s5, s4, 31
	v_lshl_add_u64 v[50:51], s[4:5], 1, v[2:3]
	global_load_ushort v84, v[36:37], off
	global_load_ushort v85, v[38:39], off
	;; [unrolled: 1-line block ×8, first 2 shown]
	s_waitcnt vmcnt(31)
	v_cvt_f32_f16_e32 v67, v52
	s_waitcnt vmcnt(30)
	v_cvt_f32_f16_e32 v66, v53
	;; [unrolled: 2-line block ×32, first 2 shown]
.LBB19_12:
	ds_read_b128 v[68:71], v1
	s_load_dwordx2 s[4:5], s[0:1], 0x0
	s_load_dwordx2 s[6:7], s[0:1], 0x38
	ds_read_b128 v[72:75], v1 offset:16
	ds_read_b128 v[76:79], v1 offset:32
	;; [unrolled: 1-line block ×3, first 2 shown]
	s_and_b64 vcc, exec, s[8:9]
	s_waitcnt vmcnt(15) lgkmcnt(0)
	v_fma_mix_f32 v4, v68, v4, 0 op_sel_hi:[0,1,0]
	s_waitcnt vmcnt(14)
	v_fma_mix_f32 v4, v69, v5, v4 op_sel_hi:[0,1,0]
	s_waitcnt vmcnt(13)
	;; [unrolled: 2-line block ×15, first 2 shown]
	v_fma_mix_f32 v4, v83, v19, v4 op_sel_hi:[0,1,0]
	s_cbranch_vccz .LBB19_15
; %bb.13:
	ds_read_b128 v[6:9], v1 offset:64
	ds_read_b128 v[10:13], v1 offset:80
	;; [unrolled: 1-line block ×4, first 2 shown]
	s_cmpk_lt_u32 s34, 0x2001
	s_waitcnt lgkmcnt(3)
	v_fma_mix_f32 v4, v6, v27, v4 op_sel_hi:[0,1,0]
	v_fma_mix_f32 v4, v7, v26, v4 op_sel_hi:[0,1,0]
	v_fma_mix_f32 v4, v8, v25, v4 op_sel_hi:[0,1,0]
	v_fma_mix_f32 v4, v9, v24, v4 op_sel_hi:[0,1,0]
	s_waitcnt lgkmcnt(2)
	v_fma_mix_f32 v4, v10, v23, v4 op_sel_hi:[0,1,0]
	v_fma_mix_f32 v4, v11, v22, v4 op_sel_hi:[0,1,0]
	v_fma_mix_f32 v4, v12, v21, v4 op_sel_hi:[0,1,0]
	v_fma_mix_f32 v4, v13, v20, v4 op_sel_hi:[0,1,0]
	;; [unrolled: 5-line block ×4, first 2 shown]
	s_cbranch_scc1 .LBB19_15
; %bb.14:
	v_mov_b32_e32 v5, 0
	ds_read_b128 v[6:9], v5 offset:128
	ds_read_b128 v[10:13], v5 offset:144
	;; [unrolled: 1-line block ×4, first 2 shown]
	s_waitcnt lgkmcnt(3)
	v_fmac_f32_e32 v4, v6, v67
	v_fmac_f32_e32 v4, v7, v66
	v_fmac_f32_e32 v4, v8, v65
	v_fmac_f32_e32 v4, v9, v64
	s_waitcnt lgkmcnt(2)
	v_fmac_f32_e32 v4, v10, v63
	v_fmac_f32_e32 v4, v11, v62
	v_fmac_f32_e32 v4, v12, v61
	v_fmac_f32_e32 v4, v13, v60
	;; [unrolled: 5-line block ×3, first 2 shown]
	ds_read_b128 v[6:9], v5 offset:192
	ds_read_b128 v[10:13], v5 offset:208
	s_waitcnt lgkmcnt(2)
	v_fmac_f32_e32 v4, v18, v55
	v_fmac_f32_e32 v4, v19, v54
	;; [unrolled: 1-line block ×4, first 2 shown]
	s_waitcnt lgkmcnt(1)
	v_fmac_f32_e32 v4, v6, v51
	v_fmac_f32_e32 v4, v7, v50
	;; [unrolled: 1-line block ×4, first 2 shown]
	ds_read_b128 v[6:9], v5 offset:224
	s_waitcnt lgkmcnt(1)
	v_fmac_f32_e32 v4, v10, v47
	v_fmac_f32_e32 v4, v11, v46
	;; [unrolled: 1-line block ×4, first 2 shown]
	ds_read_b128 v[10:13], v5 offset:240
	s_waitcnt lgkmcnt(1)
	v_fmac_f32_e32 v4, v6, v43
	v_fmac_f32_e32 v4, v7, v42
	;; [unrolled: 1-line block ×4, first 2 shown]
	s_waitcnt lgkmcnt(0)
	v_fmac_f32_e32 v4, v10, v39
	v_fmac_f32_e32 v4, v11, v38
	;; [unrolled: 1-line block ×4, first 2 shown]
.LBB19_15:
	s_movk_i32 s0, 0x1fc0
	s_movk_i32 s1, 0x100
	s_mov_b32 s8, 64
	s_branch .LBB19_17
.LBB19_16:                              ;   in Loop: Header=BB19_17 Depth=1
	s_addk_i32 s0, 0x1000
	s_addk_i32 s1, 0x100
	s_add_i32 s8, s8, 64
	s_cmpk_eq_i32 s0, 0x4fc0
	s_cbranch_scc1 .LBB19_19
.LBB19_17:                              ; =>This Inner Loop Header: Depth=1
	s_cmp_le_i32 s33, s8
	s_cbranch_scc1 .LBB19_16
; %bb.18:                               ;   in Loop: Header=BB19_17 Depth=1
	s_add_i32 s9, s0, 0xfffff040
	s_cmp_lt_i32 s9, s10
	s_cselect_b32 s12, s9, s11
	s_ashr_i32 s13, s12, 31
	s_add_i32 s9, s0, 0xfffff080
	s_cmp_lt_i32 s9, s10
	v_lshl_add_u64 v[14:15], s[12:13], 1, v[2:3]
	s_cselect_b32 s12, s9, s11
	s_ashr_i32 s13, s12, 31
	s_add_i32 s9, s0, 0xfffff0c0
	s_cmp_lt_i32 s9, s10
	v_lshl_add_u64 v[16:17], s[12:13], 1, v[2:3]
	;; [unrolled: 5-line block ×8, first 2 shown]
	s_cselect_b32 s12, s9, s11
	s_ashr_i32 s13, s12, 31
	s_add_i32 s9, s0, 0xfffff280
	s_cmp_lt_i32 s9, s10
	global_load_ushort v5, v[14:15], off
	global_load_ushort v6, v[16:17], off
	global_load_ushort v7, v[18:19], off
	global_load_ushort v8, v[20:21], off
	global_load_ushort v9, v[22:23], off
	global_load_ushort v10, v[24:25], off
	global_load_ushort v11, v[26:27], off
	global_load_ushort v12, v[28:29], off
	v_lshl_add_u64 v[14:15], s[12:13], 1, v[2:3]
	s_cselect_b32 s12, s9, s11
	s_ashr_i32 s13, s12, 31
	s_add_i32 s9, s0, 0xfffff2c0
	s_cmp_lt_i32 s9, s10
	v_lshl_add_u64 v[16:17], s[12:13], 1, v[2:3]
	s_cselect_b32 s12, s9, s11
	s_ashr_i32 s13, s12, 31
	s_add_i32 s9, s0, 0xfffff300
	s_cmp_lt_i32 s9, s10
	v_lshl_add_u64 v[18:19], s[12:13], 1, v[2:3]
	s_cselect_b32 s12, s9, s11
	s_ashr_i32 s13, s12, 31
	s_add_i32 s9, s0, 0xfffff340
	s_cmp_lt_i32 s9, s10
	v_lshl_add_u64 v[20:21], s[12:13], 1, v[2:3]
	s_cselect_b32 s12, s9, s11
	s_ashr_i32 s13, s12, 31
	s_add_i32 s9, s0, 0xfffff380
	s_cmp_lt_i32 s9, s10
	v_lshl_add_u64 v[22:23], s[12:13], 1, v[2:3]
	s_cselect_b32 s12, s9, s11
	s_ashr_i32 s13, s12, 31
	s_add_i32 s9, s0, 0xfffff3c0
	s_cmp_lt_i32 s9, s10
	v_lshl_add_u64 v[24:25], s[12:13], 1, v[2:3]
	s_cselect_b32 s12, s9, s11
	s_ashr_i32 s13, s12, 31
	s_add_i32 s9, s0, 0xfffff400
	s_cmp_lt_i32 s9, s10
	v_lshl_add_u64 v[26:27], s[12:13], 1, v[2:3]
	s_cselect_b32 s12, s9, s11
	s_ashr_i32 s13, s12, 31
	s_add_i32 s9, s0, 0xfffff440
	s_cmp_lt_i32 s9, s10
	v_lshl_add_u64 v[28:29], s[12:13], 1, v[2:3]
	s_cselect_b32 s12, s9, s11
	s_ashr_i32 s13, s12, 31
	s_add_i32 s9, s0, 0xfffff480
	s_cmp_lt_i32 s9, s10
	global_load_ushort v13, v[14:15], off
	global_load_ushort v30, v[16:17], off
	global_load_ushort v31, v[18:19], off
	global_load_ushort v32, v[20:21], off
	global_load_ushort v33, v[22:23], off
	global_load_ushort v34, v[24:25], off
	global_load_ushort v35, v[26:27], off
	global_load_ushort v36, v[28:29], off
	v_lshl_add_u64 v[14:15], s[12:13], 1, v[2:3]
	s_cselect_b32 s12, s9, s11
	s_ashr_i32 s13, s12, 31
	s_add_i32 s9, s0, 0xfffff4c0
	s_cmp_lt_i32 s9, s10
	v_lshl_add_u64 v[16:17], s[12:13], 1, v[2:3]
	s_cselect_b32 s12, s9, s11
	s_ashr_i32 s13, s12, 31
	s_add_i32 s9, s0, 0xfffff500
	s_cmp_lt_i32 s9, s10
	v_lshl_add_u64 v[18:19], s[12:13], 1, v[2:3]
	s_cselect_b32 s12, s9, s11
	s_ashr_i32 s13, s12, 31
	s_add_i32 s9, s0, 0xfffff540
	s_cmp_lt_i32 s9, s10
	v_lshl_add_u64 v[20:21], s[12:13], 1, v[2:3]
	s_cselect_b32 s12, s9, s11
	s_ashr_i32 s13, s12, 31
	s_add_i32 s9, s0, 0xfffff580
	s_cmp_lt_i32 s9, s10
	v_lshl_add_u64 v[22:23], s[12:13], 1, v[2:3]
	s_cselect_b32 s12, s9, s11
	s_ashr_i32 s13, s12, 31
	s_add_i32 s9, s0, 0xfffff5c0
	s_cmp_lt_i32 s9, s10
	v_lshl_add_u64 v[24:25], s[12:13], 1, v[2:3]
	s_cselect_b32 s12, s9, s11
	s_ashr_i32 s13, s12, 31
	s_add_i32 s9, s0, 0xfffff600
	s_cmp_lt_i32 s9, s10
	v_lshl_add_u64 v[26:27], s[12:13], 1, v[2:3]
	s_cselect_b32 s12, s9, s11
	s_ashr_i32 s13, s12, 31
	s_add_i32 s9, s0, 0xfffff640
	s_cmp_lt_i32 s9, s10
	v_lshl_add_u64 v[28:29], s[12:13], 1, v[2:3]
	;; [unrolled: 48-line block ×6, first 2 shown]
	s_cselect_b32 s12, s9, s11
	s_ashr_i32 s13, s12, 31
	s_add_i32 s9, s0, 0xfffffe80
	s_cmp_lt_i32 s9, s10
	global_load_ushort v69, v[14:15], off
	global_load_ushort v70, v[16:17], off
	;; [unrolled: 1-line block ×8, first 2 shown]
	v_lshl_add_u64 v[14:15], s[12:13], 1, v[2:3]
	s_cselect_b32 s12, s9, s11
	s_ashr_i32 s13, s12, 31
	s_add_i32 s9, s0, 0xfffffec0
	s_cmp_lt_i32 s9, s10
	v_lshl_add_u64 v[16:17], s[12:13], 1, v[2:3]
	s_cselect_b32 s12, s9, s11
	s_ashr_i32 s13, s12, 31
	s_add_i32 s9, s0, 0xffffff00
	s_cmp_lt_i32 s9, s10
	;; [unrolled: 5-line block ×4, first 2 shown]
	v_lshl_add_u64 v[22:23], s[12:13], 1, v[2:3]
	s_cselect_b32 s12, s9, s11
	s_ashr_i32 s13, s12, 31
	s_sub_i32 s9, s0, 64
	s_cmp_lt_i32 s9, s10
	v_lshl_add_u64 v[24:25], s[12:13], 1, v[2:3]
	s_cselect_b32 s12, s9, s11
	s_ashr_i32 s13, s12, 31
	s_cmp_lt_i32 s0, s10
	v_lshl_add_u64 v[26:27], s[12:13], 1, v[2:3]
	s_cselect_b32 s12, s0, s11
	s_ashr_i32 s13, s12, 31
	v_lshl_add_u64 v[28:29], s[12:13], 1, v[2:3]
	global_load_ushort v77, v[14:15], off
	global_load_ushort v78, v[16:17], off
	global_load_ushort v79, v[18:19], off
	global_load_ushort v80, v[20:21], off
	global_load_ushort v81, v[22:23], off
	global_load_ushort v82, v[24:25], off
	global_load_ushort v83, v[26:27], off
	global_load_ushort v84, v[28:29], off
	v_mov_b32_e32 v85, s1
	ds_read_b128 v[14:17], v85
	ds_read_b128 v[18:21], v85 offset:16
	ds_read_b128 v[22:25], v85 offset:32
	;; [unrolled: 1-line block ×3, first 2 shown]
	s_waitcnt vmcnt(62) lgkmcnt(3)
	v_fma_mix_f32 v4, v14, v5, v4 op_sel_hi:[0,1,0]
	v_fma_mix_f32 v4, v15, v6, v4 op_sel_hi:[0,1,0]
	s_waitcnt vmcnt(61)
	v_fma_mix_f32 v4, v16, v7, v4 op_sel_hi:[0,1,0]
	s_waitcnt vmcnt(60)
	v_fma_mix_f32 v4, v17, v8, v4 op_sel_hi:[0,1,0]
	s_waitcnt vmcnt(59) lgkmcnt(2)
	v_fma_mix_f32 v4, v18, v9, v4 op_sel_hi:[0,1,0]
	s_waitcnt vmcnt(58)
	v_fma_mix_f32 v4, v19, v10, v4 op_sel_hi:[0,1,0]
	s_waitcnt vmcnt(57)
	v_fma_mix_f32 v4, v20, v11, v4 op_sel_hi:[0,1,0]
	s_waitcnt vmcnt(56)
	v_fma_mix_f32 v4, v21, v12, v4 op_sel_hi:[0,1,0]
	s_waitcnt vmcnt(55) lgkmcnt(1)
	v_fma_mix_f32 v4, v22, v13, v4 op_sel_hi:[0,1,0]
	s_waitcnt vmcnt(54)
	v_fma_mix_f32 v4, v23, v30, v4 op_sel_hi:[0,1,0]
	s_waitcnt vmcnt(53)
	v_fma_mix_f32 v4, v24, v31, v4 op_sel_hi:[0,1,0]
	s_waitcnt vmcnt(52)
	v_fma_mix_f32 v4, v25, v32, v4 op_sel_hi:[0,1,0]
	s_waitcnt vmcnt(51) lgkmcnt(0)
	v_fma_mix_f32 v8, v26, v33, v4 op_sel_hi:[0,1,0]
	ds_read_b128 v[4:7], v85 offset:64
	s_waitcnt vmcnt(50)
	v_fma_mix_f32 v8, v27, v34, v8 op_sel_hi:[0,1,0]
	s_waitcnt vmcnt(49)
	v_fma_mix_f32 v8, v28, v35, v8 op_sel_hi:[0,1,0]
	s_waitcnt vmcnt(48)
	v_fma_mix_f32 v12, v29, v36, v8 op_sel_hi:[0,1,0]
	ds_read_b128 v[8:11], v85 offset:80
	s_waitcnt vmcnt(47) lgkmcnt(1)
	v_fma_mix_f32 v4, v4, v37, v12 op_sel_hi:[0,1,0]
	s_waitcnt vmcnt(46)
	v_fma_mix_f32 v4, v5, v38, v4 op_sel_hi:[0,1,0]
	s_waitcnt vmcnt(45)
	v_fma_mix_f32 v4, v6, v39, v4 op_sel_hi:[0,1,0]
	s_waitcnt vmcnt(44)
	v_fma_mix_f32 v4, v7, v40, v4 op_sel_hi:[0,1,0]
	s_waitcnt vmcnt(43) lgkmcnt(0)
	v_fma_mix_f32 v8, v8, v41, v4 op_sel_hi:[0,1,0]
	ds_read_b128 v[4:7], v85 offset:96
	s_waitcnt vmcnt(42)
	v_fma_mix_f32 v8, v9, v42, v8 op_sel_hi:[0,1,0]
	s_waitcnt vmcnt(41)
	v_fma_mix_f32 v8, v10, v43, v8 op_sel_hi:[0,1,0]
	s_waitcnt vmcnt(40)
	v_fma_mix_f32 v12, v11, v44, v8 op_sel_hi:[0,1,0]
	ds_read_b128 v[8:11], v85 offset:112
	;; [unrolled: 18-line block ×6, first 2 shown]
	s_waitcnt vmcnt(7) lgkmcnt(1)
	v_fma_mix_f32 v4, v4, v77, v12 op_sel_hi:[0,1,0]
	s_waitcnt vmcnt(6)
	v_fma_mix_f32 v4, v5, v78, v4 op_sel_hi:[0,1,0]
	s_waitcnt vmcnt(5)
	;; [unrolled: 2-line block ×3, first 2 shown]
	v_fma_mix_f32 v4, v7, v80, v4 op_sel_hi:[0,1,0]
	s_waitcnt vmcnt(3) lgkmcnt(0)
	v_fma_mix_f32 v4, v8, v81, v4 op_sel_hi:[0,1,0]
	s_waitcnt vmcnt(2)
	v_fma_mix_f32 v4, v9, v82, v4 op_sel_hi:[0,1,0]
	s_waitcnt vmcnt(1)
	v_fma_mix_f32 v4, v10, v83, v4 op_sel_hi:[0,1,0]
	s_waitcnt vmcnt(0)
	v_fma_mix_f32 v4, v11, v84, v4 op_sel_hi:[0,1,0]
	s_branch .LBB19_16
.LBB19_19:
	v_mov_b32_e32 v2, 0
	ds_read_b32 v2, v2 offset:1024
	s_cmp_lg_u64 s[6:7], 0
	s_cbranch_scc0 .LBB19_24
; %bb.20:
	s_load_dword s6, s[6:7], 0x0
	s_waitcnt lgkmcnt(0)
	v_div_scale_f32 v3, s[0:1], s6, s6, 1.0
	v_rcp_f32_e32 v5, v3
	v_div_scale_f32 v6, vcc, 1.0, s6, 1.0
	v_fma_f32 v7, -v3, v5, 1.0
	v_fmac_f32_e32 v5, v7, v5
	v_mul_f32_e32 v7, v6, v5
	v_fma_f32 v8, -v3, v7, v6
	v_fmac_f32_e32 v7, v8, v5
	v_fma_f32 v3, -v3, v7, v6
	v_div_fmas_f32 v3, v3, v5, v7
	v_div_fixup_f32 v3, v3, s6, 1.0
	s_andn2_b64 vcc, exec, s[24:25]
	s_cbranch_vccnz .LBB19_22
.LBB19_21:
	s_add_u32 s0, s22, s26
	s_addc_u32 s1, s23, s27
	s_load_dword s20, s[0:1], 0x0
	s_mov_b32 s21, 0
.LBB19_22:
	s_waitcnt lgkmcnt(0)
	v_add_f32_e32 v2, 0x358637bd, v2
	v_div_scale_f32 v5, s[0:1], v2, v2, 1.0
	v_rcp_f32_e32 v6, v5
	v_div_scale_f32 v7, vcc, 1.0, v2, 1.0
	s_mul_i32 s0, s3, s21
	v_fma_f32 v8, -v5, v6, 1.0
	v_fmac_f32_e32 v6, v8, v6
	v_mul_f32_e32 v8, v7, v6
	v_fma_f32 v9, -v5, v8, v7
	v_fmac_f32_e32 v8, v9, v6
	v_fma_f32 v5, -v5, v8, v7
	s_mul_hi_u32 s1, s3, s20
	v_div_fmas_f32 v5, v5, v6, v8
	s_add_i32 s1, s1, s0
	s_mul_i32 s0, s3, s20
	v_div_fixup_f32 v2, v5, v2, 1.0
	s_lshl_b64 s[0:1], s[0:1], 6
	v_mul_f32_e32 v2, v4, v2
	s_add_u32 s4, s4, s0
	s_mov_b32 s3, 0
	v_mul_f32_e32 v2, v2, v3
	s_addc_u32 s5, s5, s1
	s_lshl_b64 s[0:1], s[2:3], 6
	s_mov_b32 s2, 0x7f800000
	s_mov_b32 s3, 0x43700000
	v_mov_b32_e32 v3, 0xc3700000
	v_med3_f32 v3, v2, s3, v3
	v_cmp_nlg_f32_e64 vcc, |v2|, s2
	s_add_u32 s0, s4, s0
	s_addc_u32 s1, s5, s1
	v_cndmask_b32_e32 v2, v3, v2, vcc
	v_mov_b32_e32 v3, 0
	v_cvt_pk_fp8_f32 v3, v2, v2
	v_lshl_add_u64 v[0:1], s[0:1], 0, v[0:1]
	global_store_byte v[0:1], v3, off
	s_endpgm
.LBB19_23:
	s_mov_b64 s[6:7], 0
	s_branch .LBB19_2
.LBB19_24:
	v_mov_b32_e32 v3, 1.0
	s_andn2_b64 vcc, exec, s[24:25]
	s_cbranch_vccz .LBB19_21
	s_branch .LBB19_22
	.section	.rodata,"a",@progbits
	.p2align	6, 0x0
	.amdhsa_kernel _Z35paged_attention_ll4mi_reduce_kernelIDF16_hLi64ELi64ELi256ELi4EEvPT0_PKfS3_PKT_PKiS8_iS3_
		.amdhsa_group_segment_fixed_size 1028
		.amdhsa_private_segment_fixed_size 0
		.amdhsa_kernarg_size 320
		.amdhsa_user_sgpr_count 2
		.amdhsa_user_sgpr_dispatch_ptr 0
		.amdhsa_user_sgpr_queue_ptr 0
		.amdhsa_user_sgpr_kernarg_segment_ptr 1
		.amdhsa_user_sgpr_dispatch_id 0
		.amdhsa_user_sgpr_kernarg_preload_length 0
		.amdhsa_user_sgpr_kernarg_preload_offset 0
		.amdhsa_user_sgpr_private_segment_size 0
		.amdhsa_uses_dynamic_stack 0
		.amdhsa_enable_private_segment 0
		.amdhsa_system_sgpr_workgroup_id_x 1
		.amdhsa_system_sgpr_workgroup_id_y 1
		.amdhsa_system_sgpr_workgroup_id_z 0
		.amdhsa_system_sgpr_workgroup_info 0
		.amdhsa_system_vgpr_workitem_id 0
		.amdhsa_next_free_vgpr 92
		.amdhsa_next_free_sgpr 38
		.amdhsa_accum_offset 92
		.amdhsa_reserve_vcc 1
		.amdhsa_float_round_mode_32 0
		.amdhsa_float_round_mode_16_64 0
		.amdhsa_float_denorm_mode_32 3
		.amdhsa_float_denorm_mode_16_64 3
		.amdhsa_dx10_clamp 1
		.amdhsa_ieee_mode 1
		.amdhsa_fp16_overflow 0
		.amdhsa_tg_split 0
		.amdhsa_exception_fp_ieee_invalid_op 0
		.amdhsa_exception_fp_denorm_src 0
		.amdhsa_exception_fp_ieee_div_zero 0
		.amdhsa_exception_fp_ieee_overflow 0
		.amdhsa_exception_fp_ieee_underflow 0
		.amdhsa_exception_fp_ieee_inexact 0
		.amdhsa_exception_int_div_zero 0
	.end_amdhsa_kernel
	.section	.text._Z35paged_attention_ll4mi_reduce_kernelIDF16_hLi64ELi64ELi256ELi4EEvPT0_PKfS3_PKT_PKiS8_iS3_,"axG",@progbits,_Z35paged_attention_ll4mi_reduce_kernelIDF16_hLi64ELi64ELi256ELi4EEvPT0_PKfS3_PKT_PKiS8_iS3_,comdat
.Lfunc_end19:
	.size	_Z35paged_attention_ll4mi_reduce_kernelIDF16_hLi64ELi64ELi256ELi4EEvPT0_PKfS3_PKT_PKiS8_iS3_, .Lfunc_end19-_Z35paged_attention_ll4mi_reduce_kernelIDF16_hLi64ELi64ELi256ELi4EEvPT0_PKfS3_PKT_PKiS8_iS3_
                                        ; -- End function
	.section	.AMDGPU.csdata,"",@progbits
; Kernel info:
; codeLenInByte = 8456
; NumSgprs: 44
; NumVgprs: 92
; NumAgprs: 0
; TotalNumVgprs: 92
; ScratchSize: 0
; MemoryBound: 0
; FloatMode: 240
; IeeeMode: 1
; LDSByteSize: 1028 bytes/workgroup (compile time only)
; SGPRBlocks: 5
; VGPRBlocks: 11
; NumSGPRsForWavesPerEU: 44
; NumVGPRsForWavesPerEU: 92
; AccumOffset: 92
; Occupancy: 5
; WaveLimiterHint : 1
; COMPUTE_PGM_RSRC2:SCRATCH_EN: 0
; COMPUTE_PGM_RSRC2:USER_SGPR: 2
; COMPUTE_PGM_RSRC2:TRAP_HANDLER: 0
; COMPUTE_PGM_RSRC2:TGID_X_EN: 1
; COMPUTE_PGM_RSRC2:TGID_Y_EN: 1
; COMPUTE_PGM_RSRC2:TGID_Z_EN: 0
; COMPUTE_PGM_RSRC2:TIDIG_COMP_CNT: 0
; COMPUTE_PGM_RSRC3_GFX90A:ACCUM_OFFSET: 22
; COMPUTE_PGM_RSRC3_GFX90A:TG_SPLIT: 0
	.section	.text._Z35paged_attention_ll4mi_reduce_kernelIDF16_hLi64ELi64ELi256ELi5EEvPT0_PKfS3_PKT_PKiS8_iS3_,"axG",@progbits,_Z35paged_attention_ll4mi_reduce_kernelIDF16_hLi64ELi64ELi256ELi5EEvPT0_PKfS3_PKT_PKiS8_iS3_,comdat
	.protected	_Z35paged_attention_ll4mi_reduce_kernelIDF16_hLi64ELi64ELi256ELi5EEvPT0_PKfS3_PKT_PKiS8_iS3_ ; -- Begin function _Z35paged_attention_ll4mi_reduce_kernelIDF16_hLi64ELi64ELi256ELi5EEvPT0_PKfS3_PKT_PKiS8_iS3_
	.globl	_Z35paged_attention_ll4mi_reduce_kernelIDF16_hLi64ELi64ELi256ELi5EEvPT0_PKfS3_PKT_PKiS8_iS3_
	.p2align	8
	.type	_Z35paged_attention_ll4mi_reduce_kernelIDF16_hLi64ELi64ELi256ELi5EEvPT0_PKfS3_PKT_PKiS8_iS3_,@function
_Z35paged_attention_ll4mi_reduce_kernelIDF16_hLi64ELi64ELi256ELi5EEvPT0_PKfS3_PKT_PKiS8_iS3_: ; @_Z35paged_attention_ll4mi_reduce_kernelIDF16_hLi64ELi64ELi256ELi5EEvPT0_PKfS3_PKT_PKiS8_iS3_
; %bb.0:
	s_load_dwordx2 s[24:25], s[0:1], 0x28
	s_mov_b32 s14, s3
	s_mov_b64 s[4:5], 0
	s_waitcnt lgkmcnt(0)
	s_cmp_lg_u64 s[24:25], 0
	s_cselect_b64 s[26:27], -1, 0
	s_and_b64 vcc, exec, s[26:27]
	s_cbranch_vccz .LBB20_23
; %bb.1:
	s_add_i32 s6, s14, 1
	s_mov_b32 s7, 0
	s_lshl_b64 s[8:9], s[6:7], 2
	s_add_u32 s8, s24, s8
	s_mov_b32 s15, s7
	s_addc_u32 s9, s25, s9
	s_lshl_b64 s[6:7], s[14:15], 2
	s_add_u32 s6, s24, s6
	s_addc_u32 s7, s25, s7
	s_load_dword s3, s[8:9], 0x0
	s_load_dword s10, s[6:7], 0x0
	s_waitcnt lgkmcnt(0)
	s_sub_i32 s3, s3, s10
	s_cmp_eq_u32 s3, 1
	s_cselect_b64 s[6:7], -1, 0
	s_andn2_b64 vcc, exec, s[4:5]
	s_cbranch_vccnz .LBB20_3
.LBB20_2:
	s_mov_b32 s15, 0
	s_mov_b64 s[6:7], -1
.LBB20_3:
	s_andn2_b64 vcc, exec, s[6:7]
	s_cbranch_vccz .LBB20_5
; %bb.4:
	s_endpgm
.LBB20_5:
	s_load_dwordx4 s[16:19], s[0:1], 0x18
	s_load_dword s8, s[0:1], 0x30
	s_lshl_b64 s[28:29], s[14:15], 2
	v_cmp_lt_u32_e32 vcc, 63, v0
	s_waitcnt lgkmcnt(0)
	s_add_u32 s4, s18, s28
	s_addc_u32 s5, s19, s29
	s_load_dword s38, s[4:5], 0x0
	s_load_dword s3, s[0:1], 0x40
	s_mul_i32 s18, s2, s8
	s_mul_i32 s6, s14, s8
	s_waitcnt lgkmcnt(0)
	s_add_i32 s7, s38, 0xff
	s_ashr_i32 s4, s7, 31
	s_lshr_b32 s4, s4, 24
	s_add_i32 s7, s7, s4
	s_and_saveexec_b64 s[4:5], vcc
	s_xor_b64 s[4:5], exec, s[4:5]
	s_or_saveexec_b64 s[30:31], s[4:5]
	s_ashr_i32 s33, s7, 8
	v_mov_b32_e32 v1, s18
	s_mul_i32 s34, s6, s3
	s_xor_b64 exec, exec, s[30:31]
	s_cbranch_execz .LBB20_9
; %bb.6:
	s_add_i32 s4, s33, -1
	v_or_b32_e32 v3, 64, v0
	s_load_dwordx4 s[20:23], s[0:1], 0x8
	v_mov_b32_e32 v1, s4
	v_cmp_gt_u32_e64 s[8:9], s33, v3
	s_mov_b32 s35, 0
	s_lshl_b64 s[36:37], s[34:35], 2
	v_cndmask_b32_e64 v4, v1, v3, s[8:9]
	v_or_b32_e32 v3, 0x80, v0
	v_cmp_gt_u32_e64 s[6:7], s33, v3
	s_mov_b32 s19, s35
	v_cmp_gt_u32_e64 s[10:11], s33, v0
	v_cndmask_b32_e64 v6, v1, v3, s[6:7]
	v_or_b32_e32 v3, 0xc0, v0
	v_cmp_gt_u32_e64 s[4:5], s33, v3
	s_waitcnt lgkmcnt(0)
	s_add_u32 s12, s22, s36
	v_cndmask_b32_e64 v2, v1, v0, s[10:11]
	v_cndmask_b32_e64 v8, v1, v3, s[4:5]
	v_or_b32_e32 v3, 0x100, v0
	v_cmp_gt_u32_e32 vcc, s33, v3
	s_addc_u32 s13, s23, s37
	s_lshl_b64 s[22:23], s[18:19], 2
	v_cndmask_b32_e32 v10, v1, v3, vcc
	s_add_u32 s12, s12, s22
	v_ashrrev_i32_e32 v3, 31, v2
	s_addc_u32 s13, s13, s23
	v_lshlrev_b64 v[2:3], 2, v[2:3]
	v_ashrrev_i32_e32 v5, 31, v4
	v_ashrrev_i32_e32 v7, 31, v6
	;; [unrolled: 1-line block ×4, first 2 shown]
	v_lshl_add_u64 v[12:13], s[12:13], 0, v[2:3]
	v_lshlrev_b64 v[4:5], 2, v[4:5]
	v_lshlrev_b64 v[6:7], 2, v[6:7]
	;; [unrolled: 1-line block ×4, first 2 shown]
	v_lshl_add_u64 v[14:15], s[12:13], 0, v[4:5]
	v_lshl_add_u64 v[16:17], s[12:13], 0, v[6:7]
	;; [unrolled: 1-line block ×4, first 2 shown]
	global_load_dword v1, v[12:13], off
	global_load_dword v22, v[14:15], off
	;; [unrolled: 1-line block ×5, first 2 shown]
	v_mbcnt_lo_u32_b32 v12, -1, 0
	v_mbcnt_hi_u32_b32 v12, -1, v12
	v_and_b32_e32 v14, 64, v12
	v_xor_b32_e32 v15, 32, v12
	v_add_u32_e32 v14, 64, v14
	v_cmp_lt_i32_e64 s[12:13], v15, v14
	v_xor_b32_e32 v16, 16, v12
	v_xor_b32_e32 v17, 8, v12
	v_cndmask_b32_e64 v15, v12, v15, s[12:13]
	s_add_u32 s12, s20, s36
	s_addc_u32 s13, s21, s37
	s_add_u32 s20, s12, s22
	s_addc_u32 s21, s13, s23
	v_lshl_add_u64 v[2:3], s[20:21], 0, v[2:3]
	global_load_dword v18, v[2:3], off
	v_lshlrev_b32_e32 v15, 2, v15
	v_cmp_lt_i32_e64 s[12:13], v16, v14
	s_mov_b32 s19, 0x3fb8aa3b
	s_mov_b32 s35, 0xc2ce8ed0
	v_cndmask_b32_e64 v16, v12, v16, s[12:13]
	v_lshlrev_b32_e32 v16, 2, v16
	v_cmp_lt_i32_e64 s[12:13], v17, v14
	s_mov_b32 s39, 0x42b17218
	v_mov_b32_e32 v13, 0x7f800000
	s_waitcnt vmcnt(3)
	v_max3_f32 v2, v1, v22, v23
	s_waitcnt vmcnt(1)
	v_max3_f32 v19, v2, v24, v25
	ds_bpermute_b32 v20, v15, v19
	v_lshl_add_u64 v[2:3], s[20:21], 0, v[4:5]
	global_load_dword v21, v[2:3], off
	v_cndmask_b32_e64 v5, v12, v17, s[12:13]
	v_lshlrev_b32_e32 v17, 2, v5
	s_waitcnt lgkmcnt(0)
	v_max_f32_e32 v2, v20, v20
	v_max_f32_e32 v2, v19, v2
	ds_bpermute_b32 v3, v16, v2
	v_xor_b32_e32 v4, 4, v12
	v_cmp_lt_i32_e64 s[12:13], v4, v14
	v_xor_b32_e32 v5, 2, v12
	s_waitcnt lgkmcnt(0)
	v_max_f32_e32 v3, v3, v3
	v_max_f32_e32 v2, v2, v3
	ds_bpermute_b32 v3, v17, v2
	v_cndmask_b32_e64 v4, v12, v4, s[12:13]
	v_lshlrev_b32_e32 v19, 2, v4
	v_cmp_lt_i32_e64 s[12:13], v5, v14
	v_xor_b32_e32 v4, 1, v12
	s_waitcnt lgkmcnt(0)
	v_max_f32_e32 v3, v3, v3
	v_max_f32_e32 v2, v2, v3
	ds_bpermute_b32 v3, v19, v2
	v_cndmask_b32_e64 v5, v12, v5, s[12:13]
	v_lshlrev_b32_e32 v20, 2, v5
	v_cmp_lt_i32_e64 s[12:13], v4, v14
	s_waitcnt lgkmcnt(0)
	v_max_f32_e32 v3, v3, v3
	v_max_f32_e32 v26, v2, v3
	ds_bpermute_b32 v27, v20, v26
	v_cndmask_b32_e64 v2, v12, v4, s[12:13]
	v_lshlrev_b32_e32 v12, 2, v2
	v_lshl_add_u64 v[2:3], s[20:21], 0, v[6:7]
	v_lshl_add_u64 v[4:5], s[20:21], 0, v[8:9]
	s_waitcnt lgkmcnt(0)
	v_max_f32_e32 v6, v27, v27
	v_max_f32_e32 v8, v26, v6
	v_lshl_add_u64 v[6:7], s[20:21], 0, v[10:11]
	global_load_dword v10, v[2:3], off
	global_load_dword v11, v[4:5], off
	;; [unrolled: 1-line block ×3, first 2 shown]
	ds_bpermute_b32 v9, v12, v8
	s_waitcnt lgkmcnt(0)
	v_max_f32_e32 v2, v9, v9
	v_max_f32_e32 v2, v8, v2
	v_sub_f32_e32 v1, v1, v2
	v_sub_f32_e32 v3, v22, v2
	v_mul_f32_e32 v5, 0x3fb8aa3b, v1
	v_mul_f32_e32 v6, 0x3fb8aa3b, v3
	v_fma_f32 v8, v1, s19, -v5
	v_rndne_f32_e32 v9, v5
	v_sub_f32_e32 v4, v23, v2
	v_fma_f32 v22, v3, s19, -v6
	v_rndne_f32_e32 v23, v6
	v_fmac_f32_e32 v8, 0x32a5705f, v1
	v_sub_f32_e32 v5, v5, v9
	v_fmac_f32_e32 v22, 0x32a5705f, v3
	v_sub_f32_e32 v6, v6, v23
	v_add_f32_e32 v5, v5, v8
	v_cvt_i32_f32_e32 v9, v9
	v_add_f32_e32 v6, v6, v22
	v_exp_f32_e32 v5, v5
	v_mul_f32_e32 v7, 0x3fb8aa3b, v4
	v_cvt_i32_f32_e32 v23, v23
	v_exp_f32_e32 v6, v6
	v_fma_f32 v26, v4, s19, -v7
	v_rndne_f32_e32 v27, v7
	v_fmac_f32_e32 v26, 0x32a5705f, v4
	v_sub_f32_e32 v7, v7, v27
	v_add_f32_e32 v7, v7, v26
	v_ldexp_f32 v5, v5, v9
	v_cmp_ngt_f32_e64 s[12:13], s35, v1
	v_cvt_i32_f32_e32 v27, v27
	v_exp_f32_e32 v7, v7
	v_ldexp_f32 v6, v6, v23
	v_cndmask_b32_e64 v5, 0, v5, s[12:13]
	v_cmp_ngt_f32_e64 s[12:13], s35, v3
	s_nop 1
	v_cndmask_b32_e64 v6, 0, v6, s[12:13]
	v_cmp_nlt_f32_e64 s[12:13], s39, v1
	s_nop 1
	v_cndmask_b32_e64 v1, v13, v5, s[12:13]
	v_cndmask_b32_e64 v1, 0, v1, s[10:11]
	v_cmp_nlt_f32_e64 s[10:11], s39, v3
	s_waitcnt vmcnt(4)
	v_mul_f32_e32 v1, v18, v1
	v_cndmask_b32_e64 v3, v13, v6, s[10:11]
	v_ldexp_f32 v6, v7, v27
	v_sub_f32_e32 v7, v24, v2
	v_mul_f32_e32 v8, 0x3fb8aa3b, v7
	v_fma_f32 v9, v7, s19, -v8
	v_rndne_f32_e32 v18, v8
	v_fmac_f32_e32 v9, 0x32a5705f, v7
	v_sub_f32_e32 v8, v8, v18
	v_add_f32_e32 v8, v8, v9
	v_exp_f32_e32 v8, v8
	v_cvt_i32_f32_e32 v9, v18
	v_cndmask_b32_e64 v3, 0, v3, s[8:9]
	v_cmp_ngt_f32_e64 s[8:9], s35, v4
	v_sub_f32_e32 v2, v25, v2
	s_waitcnt vmcnt(3)
	v_mul_f32_e32 v5, v21, v3
	v_cndmask_b32_e64 v6, 0, v6, s[8:9]
	v_cmp_nlt_f32_e64 s[8:9], s39, v4
	s_nop 1
	v_cndmask_b32_e64 v4, v13, v6, s[8:9]
	v_ldexp_f32 v6, v8, v9
	v_mul_f32_e32 v8, 0x3fb8aa3b, v2
	v_fma_f32 v9, v2, s19, -v8
	v_rndne_f32_e32 v18, v8
	v_fmac_f32_e32 v9, 0x32a5705f, v2
	v_sub_f32_e32 v8, v8, v18
	v_add_f32_e32 v8, v8, v9
	v_exp_f32_e32 v8, v8
	v_cvt_i32_f32_e32 v9, v18
	v_cndmask_b32_e64 v4, 0, v4, s[6:7]
	v_cmp_ngt_f32_e64 s[6:7], s35, v7
	s_nop 1
	v_cndmask_b32_e64 v6, 0, v6, s[6:7]
	v_cmp_nlt_f32_e64 s[6:7], s39, v7
	v_ldexp_f32 v7, v8, v9
	v_lshlrev_b32_e32 v8, 2, v0
	v_cndmask_b32_e64 v6, v13, v6, s[6:7]
	v_cndmask_b32_e64 v6, 0, v6, s[4:5]
	v_cmp_ngt_f32_e64 s[4:5], s35, v2
	ds_write2st64_b32 v8, v1, v5 offset1:1
	v_fmac_f32_e32 v1, v21, v3
	v_cndmask_b32_e64 v7, 0, v7, s[4:5]
	v_cmp_nlt_f32_e64 s[4:5], s39, v2
	s_waitcnt vmcnt(2)
	v_fmac_f32_e32 v1, v10, v4
	s_waitcnt vmcnt(1)
	v_fmac_f32_e32 v1, v11, v6
	v_cndmask_b32_e64 v2, v13, v7, s[4:5]
	v_cndmask_b32_e32 v7, 0, v2, vcc
	s_waitcnt vmcnt(0)
	v_fmac_f32_e32 v1, v14, v7
	ds_bpermute_b32 v2, v15, v1
	v_mul_f32_e32 v3, v10, v4
	v_mul_f32_e32 v4, v11, v6
	v_cmp_eq_u32_e32 vcc, 0, v0
	v_mul_f32_e32 v5, v14, v7
	s_waitcnt lgkmcnt(0)
	v_add_f32_e32 v1, v1, v2
	ds_bpermute_b32 v2, v16, v1
	ds_write2st64_b32 v8, v3, v4 offset0:2 offset1:3
	ds_write_b32 v8, v5 offset:1024
	s_waitcnt lgkmcnt(2)
	v_add_f32_e32 v1, v1, v2
	ds_bpermute_b32 v2, v17, v1
	s_waitcnt lgkmcnt(0)
	v_add_f32_e32 v1, v1, v2
	ds_bpermute_b32 v2, v19, v1
	;; [unrolled: 3-line block ×4, first 2 shown]
	s_and_saveexec_b64 s[4:5], vcc
	s_cbranch_execz .LBB20_8
; %bb.7:
	s_waitcnt lgkmcnt(0)
	v_add_f32_e32 v1, v1, v2
	v_mov_b32_e32 v2, 0
	ds_write_b32 v2, v1 offset:1280
.LBB20_8:
	s_or_b64 exec, exec, s[4:5]
	v_mov_b32_e32 v1, s18
.LBB20_9:
	s_or_b64 exec, exec, s[30:31]
	s_lshl_b32 s4, s34, 6
	s_mov_b32 s5, 0
	s_lshl_b64 s[4:5], s[4:5], 1
	s_add_u32 s4, s16, s4
	s_addc_u32 s5, s17, s5
	s_lshl_b32 s10, s33, 6
	s_waitcnt lgkmcnt(0)
	v_lshlrev_b32_e32 v2, 6, v1
	v_mov_b32_e32 v1, 0
	s_sub_i32 s11, s10, 64
	v_mov_b32_e32 v3, v1
	s_cmp_lt_i32 s38, 1
	v_lshl_add_u64 v[2:3], v[2:3], 1, s[4:5]
	s_cselect_b32 s4, s11, 0
	v_lshlrev_b32_e32 v4, 1, v0
	v_mov_b32_e32 v5, v1
	s_ashr_i32 s5, s4, 31
	v_lshl_add_u64 v[2:3], v[2:3], 0, v[4:5]
	s_cmpk_lt_i32 s38, 0x101
	v_lshl_add_u64 v[12:13], s[4:5], 1, v[2:3]
	s_cselect_b32 s4, s11, 64
	s_ashr_i32 s5, s4, 31
	s_cmpk_lt_i32 s38, 0x201
	v_lshl_add_u64 v[14:15], s[4:5], 1, v[2:3]
	s_cselect_b32 s4, s11, 0x80
	s_ashr_i32 s5, s4, 31
	;; [unrolled: 4-line block ×8, first 2 shown]
	s_cmpk_lt_i32 s38, 0x901
	global_load_ushort v4, v[12:13], off
	global_load_ushort v5, v[14:15], off
	;; [unrolled: 1-line block ×8, first 2 shown]
	v_lshl_add_u64 v[20:21], s[4:5], 1, v[2:3]
	s_cselect_b32 s4, s11, 0x240
	s_ashr_i32 s5, s4, 31
	s_cmpk_lt_i32 s38, 0xa01
	v_lshl_add_u64 v[22:23], s[4:5], 1, v[2:3]
	s_cselect_b32 s4, s11, 0x280
	s_ashr_i32 s5, s4, 31
	s_cmpk_lt_i32 s38, 0xb01
	;; [unrolled: 4-line block ×6, first 2 shown]
	v_lshl_add_u64 v[32:33], s[4:5], 1, v[2:3]
	s_cselect_b32 s4, s11, 0x3c0
	s_ashr_i32 s5, s4, 31
	v_lshl_add_u64 v[34:35], s[4:5], 1, v[2:3]
	global_load_ushort v12, v[20:21], off
	global_load_ushort v13, v[22:23], off
	;; [unrolled: 1-line block ×8, first 2 shown]
	s_cmpk_gt_i32 s38, 0x1000
	s_cselect_b64 s[8:9], -1, 0
	s_cmpk_lt_i32 s38, 0x1001
	v_mov_b32_e32 v36, 0
	v_mov_b32_e32 v37, 0
	;; [unrolled: 1-line block ×48, first 2 shown]
	s_waitcnt lgkmcnt(0)
	; wave barrier
	s_cbranch_scc1 .LBB20_12
; %bb.10:
	s_cmpk_lt_u32 s38, 0x1101
	s_cselect_b32 s4, s11, 0x440
	s_ashr_i32 s5, s4, 31
	s_cmpk_lt_u32 s38, 0x1201
	v_lshl_add_u64 v[28:29], s[4:5], 1, v[2:3]
	s_cselect_b32 s4, s11, 0x480
	s_ashr_i32 s5, s4, 31
	s_cmpk_lt_u32 s38, 0x1301
	v_lshl_add_u64 v[30:31], s[4:5], 1, v[2:3]
	;; [unrolled: 4-line block ×7, first 2 shown]
	s_cselect_b32 s4, s11, 0x600
	s_ashr_i32 s5, s4, 31
	s_cmpk_lt_u32 s38, 0x1901
	global_load_ushort v27, v[2:3], off offset:2048
	global_load_ushort v26, v[28:29], off
	global_load_ushort v25, v[30:31], off
	;; [unrolled: 1-line block ×7, first 2 shown]
	v_lshl_add_u64 v[36:37], s[4:5], 1, v[2:3]
	s_cselect_b32 s4, s11, 0x640
	s_ashr_i32 s5, s4, 31
	s_cmpk_lt_u32 s38, 0x1a01
	v_lshl_add_u64 v[38:39], s[4:5], 1, v[2:3]
	s_cselect_b32 s4, s11, 0x680
	s_ashr_i32 s5, s4, 31
	s_cmpk_lt_u32 s38, 0x1b01
	;; [unrolled: 4-line block ×6, first 2 shown]
	v_lshl_add_u64 v[48:49], s[4:5], 1, v[2:3]
	s_cselect_b32 s4, s11, 0x7c0
	s_ashr_i32 s5, s4, 31
	v_lshl_add_u64 v[50:51], s[4:5], 1, v[2:3]
	global_load_ushort v35, v[36:37], off
	global_load_ushort v34, v[38:39], off
	;; [unrolled: 1-line block ×8, first 2 shown]
	s_cmpk_lt_u32 s38, 0x2001
	v_mov_b32_e32 v67, 0
	v_mov_b32_e32 v66, 0
	;; [unrolled: 1-line block ×32, first 2 shown]
	s_cbranch_scc1 .LBB20_12
; %bb.11:
	s_cmpk_lt_u32 s38, 0x2101
	s_cselect_b32 s4, s11, 0x840
	s_ashr_i32 s5, s4, 31
	s_cmpk_lt_u32 s38, 0x2201
	v_lshl_add_u64 v[38:39], s[4:5], 1, v[2:3]
	s_cselect_b32 s4, s11, 0x880
	s_ashr_i32 s5, s4, 31
	s_cmpk_lt_u32 s38, 0x2301
	v_lshl_add_u64 v[40:41], s[4:5], 1, v[2:3]
	;; [unrolled: 4-line block ×7, first 2 shown]
	s_cselect_b32 s4, s11, 0xa00
	v_add_co_u32_e32 v36, vcc, 0x1000, v2
	s_ashr_i32 s5, s4, 31
	s_nop 0
	v_addc_co_u32_e32 v37, vcc, 0, v3, vcc
	s_cmpk_lt_u32 s38, 0x2901
	global_load_ushort v52, v[36:37], off
	global_load_ushort v53, v[38:39], off
	global_load_ushort v54, v[40:41], off
	global_load_ushort v55, v[42:43], off
	global_load_ushort v56, v[44:45], off
	global_load_ushort v57, v[46:47], off
	global_load_ushort v58, v[48:49], off
	global_load_ushort v59, v[50:51], off
	v_lshl_add_u64 v[36:37], s[4:5], 1, v[2:3]
	s_cselect_b32 s4, s11, 0xa40
	s_ashr_i32 s5, s4, 31
	s_cmpk_lt_u32 s38, 0x2a01
	v_lshl_add_u64 v[38:39], s[4:5], 1, v[2:3]
	s_cselect_b32 s4, s11, 0xa80
	s_ashr_i32 s5, s4, 31
	s_cmpk_lt_u32 s38, 0x2b01
	;; [unrolled: 4-line block ×8, first 2 shown]
	global_load_ushort v68, v[36:37], off
	global_load_ushort v69, v[38:39], off
	;; [unrolled: 1-line block ×8, first 2 shown]
	v_lshl_add_u64 v[36:37], s[4:5], 1, v[2:3]
	s_cselect_b32 s4, s11, 0xc40
	s_ashr_i32 s5, s4, 31
	s_cmpk_lt_u32 s38, 0x3201
	v_lshl_add_u64 v[38:39], s[4:5], 1, v[2:3]
	s_cselect_b32 s4, s11, 0xc80
	s_ashr_i32 s5, s4, 31
	s_cmpk_lt_u32 s38, 0x3301
	;; [unrolled: 4-line block ×8, first 2 shown]
	global_load_ushort v76, v[36:37], off
	global_load_ushort v77, v[38:39], off
	;; [unrolled: 1-line block ×8, first 2 shown]
	v_lshl_add_u64 v[36:37], s[4:5], 1, v[2:3]
	s_cselect_b32 s4, s11, 0xe40
	s_ashr_i32 s5, s4, 31
	s_cmpk_lt_u32 s38, 0x3a01
	v_lshl_add_u64 v[38:39], s[4:5], 1, v[2:3]
	s_cselect_b32 s4, s11, 0xe80
	s_ashr_i32 s5, s4, 31
	s_cmpk_lt_u32 s38, 0x3b01
	;; [unrolled: 4-line block ×6, first 2 shown]
	v_lshl_add_u64 v[48:49], s[4:5], 1, v[2:3]
	s_cselect_b32 s4, s11, 0xfc0
	s_ashr_i32 s5, s4, 31
	v_lshl_add_u64 v[50:51], s[4:5], 1, v[2:3]
	global_load_ushort v84, v[36:37], off
	global_load_ushort v85, v[38:39], off
	;; [unrolled: 1-line block ×8, first 2 shown]
	s_waitcnt vmcnt(31)
	v_cvt_f32_f16_e32 v67, v52
	s_waitcnt vmcnt(30)
	v_cvt_f32_f16_e32 v66, v53
	;; [unrolled: 2-line block ×32, first 2 shown]
.LBB20_12:
	ds_read_b128 v[68:71], v1
	s_load_dwordx2 s[4:5], s[0:1], 0x0
	s_load_dwordx2 s[6:7], s[0:1], 0x38
	ds_read_b128 v[72:75], v1 offset:16
	ds_read_b128 v[76:79], v1 offset:32
	;; [unrolled: 1-line block ×3, first 2 shown]
	s_and_b64 vcc, exec, s[8:9]
	s_waitcnt vmcnt(15) lgkmcnt(0)
	v_fma_mix_f32 v4, v68, v4, 0 op_sel_hi:[0,1,0]
	s_waitcnt vmcnt(14)
	v_fma_mix_f32 v4, v69, v5, v4 op_sel_hi:[0,1,0]
	s_waitcnt vmcnt(13)
	;; [unrolled: 2-line block ×15, first 2 shown]
	v_fma_mix_f32 v4, v83, v19, v4 op_sel_hi:[0,1,0]
	s_cbranch_vccz .LBB20_15
; %bb.13:
	ds_read_b128 v[6:9], v1 offset:64
	ds_read_b128 v[10:13], v1 offset:80
	;; [unrolled: 1-line block ×4, first 2 shown]
	s_cmpk_lt_u32 s38, 0x2001
	s_waitcnt lgkmcnt(3)
	v_fma_mix_f32 v4, v6, v27, v4 op_sel_hi:[0,1,0]
	v_fma_mix_f32 v4, v7, v26, v4 op_sel_hi:[0,1,0]
	v_fma_mix_f32 v4, v8, v25, v4 op_sel_hi:[0,1,0]
	v_fma_mix_f32 v4, v9, v24, v4 op_sel_hi:[0,1,0]
	s_waitcnt lgkmcnt(2)
	v_fma_mix_f32 v4, v10, v23, v4 op_sel_hi:[0,1,0]
	v_fma_mix_f32 v4, v11, v22, v4 op_sel_hi:[0,1,0]
	v_fma_mix_f32 v4, v12, v21, v4 op_sel_hi:[0,1,0]
	v_fma_mix_f32 v4, v13, v20, v4 op_sel_hi:[0,1,0]
	;; [unrolled: 5-line block ×4, first 2 shown]
	s_cbranch_scc1 .LBB20_15
; %bb.14:
	v_mov_b32_e32 v5, 0
	ds_read_b128 v[6:9], v5 offset:128
	ds_read_b128 v[10:13], v5 offset:144
	;; [unrolled: 1-line block ×4, first 2 shown]
	s_waitcnt lgkmcnt(3)
	v_fmac_f32_e32 v4, v6, v67
	v_fmac_f32_e32 v4, v7, v66
	v_fmac_f32_e32 v4, v8, v65
	v_fmac_f32_e32 v4, v9, v64
	s_waitcnt lgkmcnt(2)
	v_fmac_f32_e32 v4, v10, v63
	v_fmac_f32_e32 v4, v11, v62
	v_fmac_f32_e32 v4, v12, v61
	v_fmac_f32_e32 v4, v13, v60
	;; [unrolled: 5-line block ×3, first 2 shown]
	ds_read_b128 v[6:9], v5 offset:192
	ds_read_b128 v[10:13], v5 offset:208
	s_waitcnt lgkmcnt(2)
	v_fmac_f32_e32 v4, v18, v55
	v_fmac_f32_e32 v4, v19, v54
	v_fmac_f32_e32 v4, v20, v53
	v_fmac_f32_e32 v4, v21, v52
	s_waitcnt lgkmcnt(1)
	v_fmac_f32_e32 v4, v6, v51
	v_fmac_f32_e32 v4, v7, v50
	v_fmac_f32_e32 v4, v8, v49
	v_fmac_f32_e32 v4, v9, v48
	ds_read_b128 v[6:9], v5 offset:224
	s_waitcnt lgkmcnt(1)
	v_fmac_f32_e32 v4, v10, v47
	v_fmac_f32_e32 v4, v11, v46
	v_fmac_f32_e32 v4, v12, v45
	v_fmac_f32_e32 v4, v13, v44
	ds_read_b128 v[10:13], v5 offset:240
	s_waitcnt lgkmcnt(1)
	v_fmac_f32_e32 v4, v6, v43
	v_fmac_f32_e32 v4, v7, v42
	;; [unrolled: 1-line block ×4, first 2 shown]
	s_waitcnt lgkmcnt(0)
	v_fmac_f32_e32 v4, v10, v39
	v_fmac_f32_e32 v4, v11, v38
	;; [unrolled: 1-line block ×4, first 2 shown]
.LBB20_15:
	s_movk_i32 s0, 0x1fc0
	s_movk_i32 s1, 0x100
	s_mov_b32 s8, 64
	s_branch .LBB20_17
.LBB20_16:                              ;   in Loop: Header=BB20_17 Depth=1
	s_addk_i32 s0, 0x1000
	s_addk_i32 s1, 0x100
	s_add_i32 s8, s8, 64
	s_cmpk_eq_i32 s0, 0x5fc0
	s_cbranch_scc1 .LBB20_19
.LBB20_17:                              ; =>This Inner Loop Header: Depth=1
	s_cmp_le_i32 s33, s8
	s_cbranch_scc1 .LBB20_16
; %bb.18:                               ;   in Loop: Header=BB20_17 Depth=1
	s_add_i32 s9, s0, 0xfffff040
	s_cmp_lt_i32 s9, s10
	s_cselect_b32 s12, s9, s11
	s_ashr_i32 s13, s12, 31
	s_add_i32 s9, s0, 0xfffff080
	s_cmp_lt_i32 s9, s10
	v_lshl_add_u64 v[14:15], s[12:13], 1, v[2:3]
	s_cselect_b32 s12, s9, s11
	s_ashr_i32 s13, s12, 31
	s_add_i32 s9, s0, 0xfffff0c0
	s_cmp_lt_i32 s9, s10
	v_lshl_add_u64 v[16:17], s[12:13], 1, v[2:3]
	;; [unrolled: 5-line block ×8, first 2 shown]
	s_cselect_b32 s12, s9, s11
	s_ashr_i32 s13, s12, 31
	s_add_i32 s9, s0, 0xfffff280
	s_cmp_lt_i32 s9, s10
	global_load_ushort v5, v[14:15], off
	global_load_ushort v6, v[16:17], off
	global_load_ushort v7, v[18:19], off
	global_load_ushort v8, v[20:21], off
	global_load_ushort v9, v[22:23], off
	global_load_ushort v10, v[24:25], off
	global_load_ushort v11, v[26:27], off
	global_load_ushort v12, v[28:29], off
	v_lshl_add_u64 v[14:15], s[12:13], 1, v[2:3]
	s_cselect_b32 s12, s9, s11
	s_ashr_i32 s13, s12, 31
	s_add_i32 s9, s0, 0xfffff2c0
	s_cmp_lt_i32 s9, s10
	v_lshl_add_u64 v[16:17], s[12:13], 1, v[2:3]
	s_cselect_b32 s12, s9, s11
	s_ashr_i32 s13, s12, 31
	s_add_i32 s9, s0, 0xfffff300
	s_cmp_lt_i32 s9, s10
	v_lshl_add_u64 v[18:19], s[12:13], 1, v[2:3]
	s_cselect_b32 s12, s9, s11
	s_ashr_i32 s13, s12, 31
	s_add_i32 s9, s0, 0xfffff340
	s_cmp_lt_i32 s9, s10
	v_lshl_add_u64 v[20:21], s[12:13], 1, v[2:3]
	s_cselect_b32 s12, s9, s11
	s_ashr_i32 s13, s12, 31
	s_add_i32 s9, s0, 0xfffff380
	s_cmp_lt_i32 s9, s10
	v_lshl_add_u64 v[22:23], s[12:13], 1, v[2:3]
	s_cselect_b32 s12, s9, s11
	s_ashr_i32 s13, s12, 31
	s_add_i32 s9, s0, 0xfffff3c0
	s_cmp_lt_i32 s9, s10
	v_lshl_add_u64 v[24:25], s[12:13], 1, v[2:3]
	s_cselect_b32 s12, s9, s11
	s_ashr_i32 s13, s12, 31
	s_add_i32 s9, s0, 0xfffff400
	s_cmp_lt_i32 s9, s10
	v_lshl_add_u64 v[26:27], s[12:13], 1, v[2:3]
	s_cselect_b32 s12, s9, s11
	s_ashr_i32 s13, s12, 31
	s_add_i32 s9, s0, 0xfffff440
	s_cmp_lt_i32 s9, s10
	v_lshl_add_u64 v[28:29], s[12:13], 1, v[2:3]
	s_cselect_b32 s12, s9, s11
	s_ashr_i32 s13, s12, 31
	s_add_i32 s9, s0, 0xfffff480
	s_cmp_lt_i32 s9, s10
	global_load_ushort v13, v[14:15], off
	global_load_ushort v30, v[16:17], off
	global_load_ushort v31, v[18:19], off
	global_load_ushort v32, v[20:21], off
	global_load_ushort v33, v[22:23], off
	global_load_ushort v34, v[24:25], off
	global_load_ushort v35, v[26:27], off
	global_load_ushort v36, v[28:29], off
	v_lshl_add_u64 v[14:15], s[12:13], 1, v[2:3]
	s_cselect_b32 s12, s9, s11
	s_ashr_i32 s13, s12, 31
	s_add_i32 s9, s0, 0xfffff4c0
	s_cmp_lt_i32 s9, s10
	v_lshl_add_u64 v[16:17], s[12:13], 1, v[2:3]
	s_cselect_b32 s12, s9, s11
	s_ashr_i32 s13, s12, 31
	s_add_i32 s9, s0, 0xfffff500
	s_cmp_lt_i32 s9, s10
	v_lshl_add_u64 v[18:19], s[12:13], 1, v[2:3]
	s_cselect_b32 s12, s9, s11
	s_ashr_i32 s13, s12, 31
	s_add_i32 s9, s0, 0xfffff540
	s_cmp_lt_i32 s9, s10
	v_lshl_add_u64 v[20:21], s[12:13], 1, v[2:3]
	s_cselect_b32 s12, s9, s11
	s_ashr_i32 s13, s12, 31
	s_add_i32 s9, s0, 0xfffff580
	s_cmp_lt_i32 s9, s10
	v_lshl_add_u64 v[22:23], s[12:13], 1, v[2:3]
	s_cselect_b32 s12, s9, s11
	s_ashr_i32 s13, s12, 31
	s_add_i32 s9, s0, 0xfffff5c0
	s_cmp_lt_i32 s9, s10
	v_lshl_add_u64 v[24:25], s[12:13], 1, v[2:3]
	s_cselect_b32 s12, s9, s11
	s_ashr_i32 s13, s12, 31
	s_add_i32 s9, s0, 0xfffff600
	s_cmp_lt_i32 s9, s10
	v_lshl_add_u64 v[26:27], s[12:13], 1, v[2:3]
	s_cselect_b32 s12, s9, s11
	s_ashr_i32 s13, s12, 31
	s_add_i32 s9, s0, 0xfffff640
	s_cmp_lt_i32 s9, s10
	v_lshl_add_u64 v[28:29], s[12:13], 1, v[2:3]
	;; [unrolled: 48-line block ×6, first 2 shown]
	s_cselect_b32 s12, s9, s11
	s_ashr_i32 s13, s12, 31
	s_add_i32 s9, s0, 0xfffffe80
	s_cmp_lt_i32 s9, s10
	global_load_ushort v69, v[14:15], off
	global_load_ushort v70, v[16:17], off
	;; [unrolled: 1-line block ×8, first 2 shown]
	v_lshl_add_u64 v[14:15], s[12:13], 1, v[2:3]
	s_cselect_b32 s12, s9, s11
	s_ashr_i32 s13, s12, 31
	s_add_i32 s9, s0, 0xfffffec0
	s_cmp_lt_i32 s9, s10
	v_lshl_add_u64 v[16:17], s[12:13], 1, v[2:3]
	s_cselect_b32 s12, s9, s11
	s_ashr_i32 s13, s12, 31
	s_add_i32 s9, s0, 0xffffff00
	s_cmp_lt_i32 s9, s10
	;; [unrolled: 5-line block ×4, first 2 shown]
	v_lshl_add_u64 v[22:23], s[12:13], 1, v[2:3]
	s_cselect_b32 s12, s9, s11
	s_ashr_i32 s13, s12, 31
	s_sub_i32 s9, s0, 64
	s_cmp_lt_i32 s9, s10
	v_lshl_add_u64 v[24:25], s[12:13], 1, v[2:3]
	s_cselect_b32 s12, s9, s11
	s_ashr_i32 s13, s12, 31
	s_cmp_lt_i32 s0, s10
	v_lshl_add_u64 v[26:27], s[12:13], 1, v[2:3]
	s_cselect_b32 s12, s0, s11
	s_ashr_i32 s13, s12, 31
	v_lshl_add_u64 v[28:29], s[12:13], 1, v[2:3]
	global_load_ushort v77, v[14:15], off
	global_load_ushort v78, v[16:17], off
	;; [unrolled: 1-line block ×8, first 2 shown]
	v_mov_b32_e32 v85, s1
	ds_read_b128 v[14:17], v85
	ds_read_b128 v[18:21], v85 offset:16
	ds_read_b128 v[22:25], v85 offset:32
	;; [unrolled: 1-line block ×3, first 2 shown]
	s_waitcnt vmcnt(62) lgkmcnt(3)
	v_fma_mix_f32 v4, v14, v5, v4 op_sel_hi:[0,1,0]
	v_fma_mix_f32 v4, v15, v6, v4 op_sel_hi:[0,1,0]
	s_waitcnt vmcnt(61)
	v_fma_mix_f32 v4, v16, v7, v4 op_sel_hi:[0,1,0]
	s_waitcnt vmcnt(60)
	v_fma_mix_f32 v4, v17, v8, v4 op_sel_hi:[0,1,0]
	s_waitcnt vmcnt(59) lgkmcnt(2)
	v_fma_mix_f32 v4, v18, v9, v4 op_sel_hi:[0,1,0]
	s_waitcnt vmcnt(58)
	v_fma_mix_f32 v4, v19, v10, v4 op_sel_hi:[0,1,0]
	s_waitcnt vmcnt(57)
	;; [unrolled: 2-line block ×3, first 2 shown]
	v_fma_mix_f32 v4, v21, v12, v4 op_sel_hi:[0,1,0]
	s_waitcnt vmcnt(55) lgkmcnt(1)
	v_fma_mix_f32 v4, v22, v13, v4 op_sel_hi:[0,1,0]
	s_waitcnt vmcnt(54)
	v_fma_mix_f32 v4, v23, v30, v4 op_sel_hi:[0,1,0]
	s_waitcnt vmcnt(53)
	v_fma_mix_f32 v4, v24, v31, v4 op_sel_hi:[0,1,0]
	s_waitcnt vmcnt(52)
	v_fma_mix_f32 v4, v25, v32, v4 op_sel_hi:[0,1,0]
	s_waitcnt vmcnt(51) lgkmcnt(0)
	v_fma_mix_f32 v8, v26, v33, v4 op_sel_hi:[0,1,0]
	ds_read_b128 v[4:7], v85 offset:64
	s_waitcnt vmcnt(50)
	v_fma_mix_f32 v8, v27, v34, v8 op_sel_hi:[0,1,0]
	s_waitcnt vmcnt(49)
	v_fma_mix_f32 v8, v28, v35, v8 op_sel_hi:[0,1,0]
	s_waitcnt vmcnt(48)
	v_fma_mix_f32 v12, v29, v36, v8 op_sel_hi:[0,1,0]
	ds_read_b128 v[8:11], v85 offset:80
	s_waitcnt vmcnt(47) lgkmcnt(1)
	v_fma_mix_f32 v4, v4, v37, v12 op_sel_hi:[0,1,0]
	s_waitcnt vmcnt(46)
	v_fma_mix_f32 v4, v5, v38, v4 op_sel_hi:[0,1,0]
	s_waitcnt vmcnt(45)
	v_fma_mix_f32 v4, v6, v39, v4 op_sel_hi:[0,1,0]
	s_waitcnt vmcnt(44)
	v_fma_mix_f32 v4, v7, v40, v4 op_sel_hi:[0,1,0]
	s_waitcnt vmcnt(43) lgkmcnt(0)
	v_fma_mix_f32 v8, v8, v41, v4 op_sel_hi:[0,1,0]
	ds_read_b128 v[4:7], v85 offset:96
	s_waitcnt vmcnt(42)
	v_fma_mix_f32 v8, v9, v42, v8 op_sel_hi:[0,1,0]
	s_waitcnt vmcnt(41)
	v_fma_mix_f32 v8, v10, v43, v8 op_sel_hi:[0,1,0]
	s_waitcnt vmcnt(40)
	v_fma_mix_f32 v12, v11, v44, v8 op_sel_hi:[0,1,0]
	ds_read_b128 v[8:11], v85 offset:112
	;; [unrolled: 18-line block ×6, first 2 shown]
	s_waitcnt vmcnt(7) lgkmcnt(1)
	v_fma_mix_f32 v4, v4, v77, v12 op_sel_hi:[0,1,0]
	s_waitcnt vmcnt(6)
	v_fma_mix_f32 v4, v5, v78, v4 op_sel_hi:[0,1,0]
	s_waitcnt vmcnt(5)
	;; [unrolled: 2-line block ×3, first 2 shown]
	v_fma_mix_f32 v4, v7, v80, v4 op_sel_hi:[0,1,0]
	s_waitcnt vmcnt(3) lgkmcnt(0)
	v_fma_mix_f32 v4, v8, v81, v4 op_sel_hi:[0,1,0]
	s_waitcnt vmcnt(2)
	v_fma_mix_f32 v4, v9, v82, v4 op_sel_hi:[0,1,0]
	s_waitcnt vmcnt(1)
	;; [unrolled: 2-line block ×3, first 2 shown]
	v_fma_mix_f32 v4, v11, v84, v4 op_sel_hi:[0,1,0]
	s_branch .LBB20_16
.LBB20_19:
	v_mov_b32_e32 v2, 0
	ds_read_b32 v2, v2 offset:1280
	s_cmp_lg_u64 s[6:7], 0
	s_cbranch_scc0 .LBB20_24
; %bb.20:
	s_load_dword s6, s[6:7], 0x0
	s_waitcnt lgkmcnt(0)
	v_div_scale_f32 v3, s[0:1], s6, s6, 1.0
	v_rcp_f32_e32 v5, v3
	v_div_scale_f32 v6, vcc, 1.0, s6, 1.0
	v_fma_f32 v7, -v3, v5, 1.0
	v_fmac_f32_e32 v5, v7, v5
	v_mul_f32_e32 v7, v6, v5
	v_fma_f32 v8, -v3, v7, v6
	v_fmac_f32_e32 v7, v8, v5
	v_fma_f32 v3, -v3, v7, v6
	v_div_fmas_f32 v3, v3, v5, v7
	v_div_fixup_f32 v3, v3, s6, 1.0
	s_andn2_b64 vcc, exec, s[26:27]
	s_cbranch_vccnz .LBB20_22
.LBB20_21:
	s_add_u32 s0, s24, s28
	s_addc_u32 s1, s25, s29
	s_load_dword s14, s[0:1], 0x0
	s_mov_b32 s15, 0
.LBB20_22:
	s_waitcnt lgkmcnt(0)
	v_add_f32_e32 v2, 0x358637bd, v2
	v_div_scale_f32 v5, s[0:1], v2, v2, 1.0
	v_rcp_f32_e32 v6, v5
	v_div_scale_f32 v7, vcc, 1.0, v2, 1.0
	s_mul_i32 s0, s3, s15
	v_fma_f32 v8, -v5, v6, 1.0
	v_fmac_f32_e32 v6, v8, v6
	v_mul_f32_e32 v8, v7, v6
	v_fma_f32 v9, -v5, v8, v7
	v_fmac_f32_e32 v8, v9, v6
	v_fma_f32 v5, -v5, v8, v7
	s_mul_hi_u32 s1, s3, s14
	v_div_fmas_f32 v5, v5, v6, v8
	s_add_i32 s1, s1, s0
	s_mul_i32 s0, s3, s14
	v_div_fixup_f32 v2, v5, v2, 1.0
	s_lshl_b64 s[0:1], s[0:1], 6
	v_mul_f32_e32 v2, v4, v2
	s_add_u32 s4, s4, s0
	s_mov_b32 s3, 0
	v_mul_f32_e32 v2, v2, v3
	s_addc_u32 s5, s5, s1
	s_lshl_b64 s[0:1], s[2:3], 6
	s_mov_b32 s2, 0x7f800000
	s_mov_b32 s3, 0x43700000
	v_mov_b32_e32 v3, 0xc3700000
	v_med3_f32 v3, v2, s3, v3
	v_cmp_nlg_f32_e64 vcc, |v2|, s2
	s_add_u32 s0, s4, s0
	s_addc_u32 s1, s5, s1
	v_cndmask_b32_e32 v2, v3, v2, vcc
	v_mov_b32_e32 v3, 0
	v_cvt_pk_fp8_f32 v3, v2, v2
	v_lshl_add_u64 v[0:1], s[0:1], 0, v[0:1]
	global_store_byte v[0:1], v3, off
	s_endpgm
.LBB20_23:
	s_mov_b64 s[6:7], 0
	s_branch .LBB20_2
.LBB20_24:
	v_mov_b32_e32 v3, 1.0
	s_andn2_b64 vcc, exec, s[26:27]
	s_cbranch_vccz .LBB20_21
	s_branch .LBB20_22
	.section	.rodata,"a",@progbits
	.p2align	6, 0x0
	.amdhsa_kernel _Z35paged_attention_ll4mi_reduce_kernelIDF16_hLi64ELi64ELi256ELi5EEvPT0_PKfS3_PKT_PKiS8_iS3_
		.amdhsa_group_segment_fixed_size 1284
		.amdhsa_private_segment_fixed_size 0
		.amdhsa_kernarg_size 320
		.amdhsa_user_sgpr_count 2
		.amdhsa_user_sgpr_dispatch_ptr 0
		.amdhsa_user_sgpr_queue_ptr 0
		.amdhsa_user_sgpr_kernarg_segment_ptr 1
		.amdhsa_user_sgpr_dispatch_id 0
		.amdhsa_user_sgpr_kernarg_preload_length 0
		.amdhsa_user_sgpr_kernarg_preload_offset 0
		.amdhsa_user_sgpr_private_segment_size 0
		.amdhsa_uses_dynamic_stack 0
		.amdhsa_enable_private_segment 0
		.amdhsa_system_sgpr_workgroup_id_x 1
		.amdhsa_system_sgpr_workgroup_id_y 1
		.amdhsa_system_sgpr_workgroup_id_z 0
		.amdhsa_system_sgpr_workgroup_info 0
		.amdhsa_system_vgpr_workitem_id 0
		.amdhsa_next_free_vgpr 92
		.amdhsa_next_free_sgpr 40
		.amdhsa_accum_offset 92
		.amdhsa_reserve_vcc 1
		.amdhsa_float_round_mode_32 0
		.amdhsa_float_round_mode_16_64 0
		.amdhsa_float_denorm_mode_32 3
		.amdhsa_float_denorm_mode_16_64 3
		.amdhsa_dx10_clamp 1
		.amdhsa_ieee_mode 1
		.amdhsa_fp16_overflow 0
		.amdhsa_tg_split 0
		.amdhsa_exception_fp_ieee_invalid_op 0
		.amdhsa_exception_fp_denorm_src 0
		.amdhsa_exception_fp_ieee_div_zero 0
		.amdhsa_exception_fp_ieee_overflow 0
		.amdhsa_exception_fp_ieee_underflow 0
		.amdhsa_exception_fp_ieee_inexact 0
		.amdhsa_exception_int_div_zero 0
	.end_amdhsa_kernel
	.section	.text._Z35paged_attention_ll4mi_reduce_kernelIDF16_hLi64ELi64ELi256ELi5EEvPT0_PKfS3_PKT_PKiS8_iS3_,"axG",@progbits,_Z35paged_attention_ll4mi_reduce_kernelIDF16_hLi64ELi64ELi256ELi5EEvPT0_PKfS3_PKT_PKiS8_iS3_,comdat
.Lfunc_end20:
	.size	_Z35paged_attention_ll4mi_reduce_kernelIDF16_hLi64ELi64ELi256ELi5EEvPT0_PKfS3_PKT_PKiS8_iS3_, .Lfunc_end20-_Z35paged_attention_ll4mi_reduce_kernelIDF16_hLi64ELi64ELi256ELi5EEvPT0_PKfS3_PKT_PKiS8_iS3_
                                        ; -- End function
	.section	.AMDGPU.csdata,"",@progbits
; Kernel info:
; codeLenInByte = 8632
; NumSgprs: 46
; NumVgprs: 92
; NumAgprs: 0
; TotalNumVgprs: 92
; ScratchSize: 0
; MemoryBound: 0
; FloatMode: 240
; IeeeMode: 1
; LDSByteSize: 1284 bytes/workgroup (compile time only)
; SGPRBlocks: 5
; VGPRBlocks: 11
; NumSGPRsForWavesPerEU: 46
; NumVGPRsForWavesPerEU: 92
; AccumOffset: 92
; Occupancy: 5
; WaveLimiterHint : 1
; COMPUTE_PGM_RSRC2:SCRATCH_EN: 0
; COMPUTE_PGM_RSRC2:USER_SGPR: 2
; COMPUTE_PGM_RSRC2:TRAP_HANDLER: 0
; COMPUTE_PGM_RSRC2:TGID_X_EN: 1
; COMPUTE_PGM_RSRC2:TGID_Y_EN: 1
; COMPUTE_PGM_RSRC2:TGID_Z_EN: 0
; COMPUTE_PGM_RSRC2:TIDIG_COMP_CNT: 0
; COMPUTE_PGM_RSRC3_GFX90A:ACCUM_OFFSET: 22
; COMPUTE_PGM_RSRC3_GFX90A:TG_SPLIT: 0
	.section	.text._Z35paged_attention_ll4mi_reduce_kernelIDF16_hLi64ELi64ELi256ELi6EEvPT0_PKfS3_PKT_PKiS8_iS3_,"axG",@progbits,_Z35paged_attention_ll4mi_reduce_kernelIDF16_hLi64ELi64ELi256ELi6EEvPT0_PKfS3_PKT_PKiS8_iS3_,comdat
	.protected	_Z35paged_attention_ll4mi_reduce_kernelIDF16_hLi64ELi64ELi256ELi6EEvPT0_PKfS3_PKT_PKiS8_iS3_ ; -- Begin function _Z35paged_attention_ll4mi_reduce_kernelIDF16_hLi64ELi64ELi256ELi6EEvPT0_PKfS3_PKT_PKiS8_iS3_
	.globl	_Z35paged_attention_ll4mi_reduce_kernelIDF16_hLi64ELi64ELi256ELi6EEvPT0_PKfS3_PKT_PKiS8_iS3_
	.p2align	8
	.type	_Z35paged_attention_ll4mi_reduce_kernelIDF16_hLi64ELi64ELi256ELi6EEvPT0_PKfS3_PKT_PKiS8_iS3_,@function
_Z35paged_attention_ll4mi_reduce_kernelIDF16_hLi64ELi64ELi256ELi6EEvPT0_PKfS3_PKT_PKiS8_iS3_: ; @_Z35paged_attention_ll4mi_reduce_kernelIDF16_hLi64ELi64ELi256ELi6EEvPT0_PKfS3_PKT_PKiS8_iS3_
; %bb.0:
	s_load_dwordx2 s[26:27], s[0:1], 0x28
	s_mov_b32 s24, s3
	s_mov_b64 s[4:5], 0
	s_waitcnt lgkmcnt(0)
	s_cmp_lg_u64 s[26:27], 0
	s_cselect_b64 s[28:29], -1, 0
	s_and_b64 vcc, exec, s[28:29]
	s_cbranch_vccz .LBB21_23
; %bb.1:
	s_add_i32 s6, s24, 1
	s_mov_b32 s7, 0
	s_lshl_b64 s[8:9], s[6:7], 2
	s_add_u32 s8, s26, s8
	s_mov_b32 s25, s7
	s_addc_u32 s9, s27, s9
	s_lshl_b64 s[6:7], s[24:25], 2
	s_add_u32 s6, s26, s6
	s_addc_u32 s7, s27, s7
	s_load_dword s3, s[8:9], 0x0
	s_load_dword s10, s[6:7], 0x0
	s_waitcnt lgkmcnt(0)
	s_sub_i32 s3, s3, s10
	s_cmp_eq_u32 s3, 1
	s_cselect_b64 s[6:7], -1, 0
	s_andn2_b64 vcc, exec, s[4:5]
	s_cbranch_vccnz .LBB21_3
.LBB21_2:
	s_mov_b32 s25, 0
	s_mov_b64 s[6:7], -1
.LBB21_3:
	s_andn2_b64 vcc, exec, s[6:7]
	s_cbranch_vccz .LBB21_5
; %bb.4:
	s_endpgm
.LBB21_5:
	s_load_dwordx4 s[16:19], s[0:1], 0x18
	s_load_dword s8, s[0:1], 0x30
	s_lshl_b64 s[30:31], s[24:25], 2
	v_cmp_lt_u32_e32 vcc, 63, v0
	s_waitcnt lgkmcnt(0)
	s_add_u32 s4, s18, s30
	s_addc_u32 s5, s19, s31
	s_load_dword s38, s[4:5], 0x0
	s_load_dword s3, s[0:1], 0x40
	s_mul_i32 s18, s2, s8
	s_mul_i32 s6, s24, s8
	s_waitcnt lgkmcnt(0)
	s_add_i32 s7, s38, 0xff
	s_ashr_i32 s4, s7, 31
	s_lshr_b32 s4, s4, 24
	s_add_i32 s7, s7, s4
	s_and_saveexec_b64 s[4:5], vcc
	s_xor_b64 s[4:5], exec, s[4:5]
	s_or_saveexec_b64 s[34:35], s[4:5]
	s_ashr_i32 s33, s7, 8
	v_mov_b32_e32 v1, s18
	s_mul_i32 s36, s6, s3
	s_xor_b64 exec, exec, s[34:35]
	s_cbranch_execz .LBB21_9
; %bb.6:
	s_add_i32 s4, s33, -1
	v_or_b32_e32 v3, 64, v0
	v_mov_b32_e32 v1, s4
	v_cmp_gt_u32_e64 s[10:11], s33, v3
	s_load_dwordx4 s[20:23], s[0:1], 0x8
	s_mov_b32 s37, 0
	v_cndmask_b32_e64 v4, v1, v3, s[10:11]
	v_or_b32_e32 v3, 0x80, v0
	v_cmp_gt_u32_e64 s[8:9], s33, v3
	s_lshl_b64 s[14:15], s[36:37], 2
	s_mov_b32 s19, s37
	v_cndmask_b32_e64 v6, v1, v3, s[8:9]
	v_or_b32_e32 v3, 0xc0, v0
	v_cmp_gt_u32_e64 s[6:7], s33, v3
	v_cmp_gt_u32_e64 s[12:13], s33, v0
	s_waitcnt lgkmcnt(0)
	s_add_u32 s37, s22, s14
	v_cndmask_b32_e64 v8, v1, v3, s[6:7]
	v_or_b32_e32 v3, 0x100, v0
	v_cmp_gt_u32_e64 s[4:5], s33, v3
	v_cndmask_b32_e64 v2, v1, v0, s[12:13]
	s_addc_u32 s39, s23, s15
	v_cndmask_b32_e64 v10, v1, v3, s[4:5]
	v_or_b32_e32 v3, 0x140, v0
	v_cmp_gt_u32_e32 vcc, s33, v3
	s_lshl_b64 s[22:23], s[18:19], 2
	s_add_u32 s40, s37, s22
	v_cndmask_b32_e32 v12, v1, v3, vcc
	v_ashrrev_i32_e32 v3, 31, v2
	s_addc_u32 s41, s39, s23
	v_lshlrev_b64 v[2:3], 2, v[2:3]
	v_ashrrev_i32_e32 v5, 31, v4
	v_ashrrev_i32_e32 v7, 31, v6
	;; [unrolled: 1-line block ×5, first 2 shown]
	v_lshl_add_u64 v[14:15], s[40:41], 0, v[2:3]
	v_lshlrev_b64 v[4:5], 2, v[4:5]
	v_lshlrev_b64 v[6:7], 2, v[6:7]
	;; [unrolled: 1-line block ×5, first 2 shown]
	v_lshl_add_u64 v[16:17], s[40:41], 0, v[4:5]
	v_lshl_add_u64 v[18:19], s[40:41], 0, v[6:7]
	;; [unrolled: 1-line block ×5, first 2 shown]
	global_load_dword v1, v[14:15], off
	global_load_dword v26, v[16:17], off
	;; [unrolled: 1-line block ×6, first 2 shown]
	v_mbcnt_lo_u32_b32 v14, -1, 0
	s_add_u32 s14, s20, s14
	v_mbcnt_hi_u32_b32 v14, -1, v14
	s_addc_u32 s15, s21, s15
	v_and_b32_e32 v15, 64, v14
	s_add_u32 s20, s14, s22
	v_xor_b32_e32 v16, 32, v14
	v_add_u32_e32 v15, 64, v15
	s_addc_u32 s21, s15, s23
	v_lshl_add_u64 v[2:3], s[20:21], 0, v[2:3]
	v_cmp_lt_i32_e64 s[14:15], v16, v15
	global_load_dword v20, v[2:3], off
	v_xor_b32_e32 v17, 16, v14
	v_cndmask_b32_e64 v2, v14, v16, s[14:15]
	v_lshlrev_b32_e32 v16, 2, v2
	v_cmp_lt_i32_e64 s[14:15], v17, v15
	v_xor_b32_e32 v18, 8, v14
	v_xor_b32_e32 v19, 4, v14
	s_mov_b32 s19, 0x3fb8aa3b
	s_mov_b32 s37, 0xc2ce8ed0
	s_waitcnt vmcnt(6)
	v_max_f32_e32 v3, v1, v1
	s_waitcnt vmcnt(5)
	v_max_f32_e32 v2, v26, v26
	v_max_f32_e32 v2, v3, v2
	s_waitcnt vmcnt(3)
	v_max3_f32 v2, v2, v27, v28
	s_waitcnt vmcnt(1)
	v_max3_f32 v21, v2, v29, v30
	ds_bpermute_b32 v22, v16, v21
	v_cndmask_b32_e64 v2, v14, v17, s[14:15]
	v_lshlrev_b32_e32 v17, 2, v2
	v_lshl_add_u64 v[2:3], s[20:21], 0, v[4:5]
	global_load_dword v23, v[2:3], off
	s_waitcnt lgkmcnt(0)
	v_max_f32_e32 v2, v22, v22
	v_max_f32_e32 v2, v21, v2
	ds_bpermute_b32 v3, v17, v2
	v_cmp_lt_i32_e64 s[14:15], v18, v15
	v_xor_b32_e32 v4, 2, v14
	s_waitcnt lgkmcnt(0)
	v_max_f32_e32 v3, v3, v3
	v_cndmask_b32_e64 v5, v14, v18, s[14:15]
	v_lshlrev_b32_e32 v18, 2, v5
	v_max_f32_e32 v5, v2, v3
	ds_bpermute_b32 v21, v18, v5
	v_cmp_lt_i32_e64 s[14:15], v19, v15
	s_nop 1
	v_cndmask_b32_e64 v2, v14, v19, s[14:15]
	v_lshlrev_b32_e32 v19, 2, v2
	v_lshl_add_u64 v[2:3], s[20:21], 0, v[6:7]
	global_load_dword v6, v[2:3], off
	s_waitcnt lgkmcnt(0)
	v_max_f32_e32 v2, v21, v21
	v_max_f32_e32 v2, v5, v2
	ds_bpermute_b32 v3, v19, v2
	v_xor_b32_e32 v5, 1, v14
	v_cmp_lt_i32_e64 s[14:15], v4, v15
	s_waitcnt lgkmcnt(0)
	v_max_f32_e32 v3, v3, v3
	v_cndmask_b32_e64 v4, v14, v4, s[14:15]
	v_cmp_lt_i32_e64 s[14:15], v5, v15
	v_max_f32_e32 v21, v2, v3
	v_lshlrev_b32_e32 v7, 2, v4
	v_cndmask_b32_e64 v2, v14, v5, s[14:15]
	v_lshlrev_b32_e32 v14, 2, v2
	v_lshl_add_u64 v[2:3], s[20:21], 0, v[8:9]
	v_lshl_add_u64 v[4:5], s[20:21], 0, v[10:11]
	global_load_dword v10, v[2:3], off
	v_lshl_add_u64 v[2:3], s[20:21], 0, v[12:13]
	global_load_dword v11, v[4:5], off
	global_load_dword v12, v[2:3], off
	ds_bpermute_b32 v22, v7, v21
	s_mov_b32 s20, 0x42b17218
	s_waitcnt lgkmcnt(0)
	v_max_f32_e32 v8, v22, v22
	v_max_f32_e32 v8, v21, v8
	ds_bpermute_b32 v9, v14, v8
	s_waitcnt lgkmcnt(0)
	v_max_f32_e32 v2, v9, v9
	v_max_f32_e32 v2, v8, v2
	v_sub_f32_e32 v1, v1, v2
	v_mul_f32_e32 v4, 0x3fb8aa3b, v1
	v_fma_f32 v8, v1, s19, -v4
	v_rndne_f32_e32 v9, v4
	v_sub_f32_e32 v3, v26, v2
	v_fmac_f32_e32 v8, 0x32a5705f, v1
	v_sub_f32_e32 v4, v4, v9
	v_mul_f32_e32 v5, 0x3fb8aa3b, v3
	v_add_f32_e32 v4, v4, v8
	v_fma_f32 v13, v3, s19, -v5
	v_rndne_f32_e32 v15, v5
	v_cvt_i32_f32_e32 v9, v9
	v_exp_f32_e32 v4, v4
	v_fmac_f32_e32 v13, 0x32a5705f, v3
	v_sub_f32_e32 v5, v5, v15
	v_add_f32_e32 v5, v5, v13
	v_cvt_i32_f32_e32 v15, v15
	v_exp_f32_e32 v5, v5
	v_ldexp_f32 v4, v4, v9
	v_cmp_ngt_f32_e64 s[14:15], s37, v1
	v_mov_b32_e32 v8, 0x7f800000
	v_ldexp_f32 v5, v5, v15
	v_cndmask_b32_e64 v4, 0, v4, s[14:15]
	v_cmp_nlt_f32_e64 s[14:15], s20, v1
	s_nop 1
	v_cndmask_b32_e64 v1, v8, v4, s[14:15]
	v_cndmask_b32_e64 v1, 0, v1, s[12:13]
	v_cmp_ngt_f32_e64 s[12:13], s37, v3
	s_waitcnt vmcnt(5)
	v_mul_f32_e32 v4, v20, v1
	v_cndmask_b32_e64 v1, 0, v5, s[12:13]
	v_sub_f32_e32 v5, v27, v2
	v_mul_f32_e32 v9, 0x3fb8aa3b, v5
	v_fma_f32 v13, v5, s19, -v9
	v_rndne_f32_e32 v15, v9
	v_fmac_f32_e32 v13, 0x32a5705f, v5
	v_sub_f32_e32 v9, v9, v15
	v_add_f32_e32 v9, v9, v13
	v_exp_f32_e32 v9, v9
	v_cvt_i32_f32_e32 v13, v15
	v_cmp_nlt_f32_e64 s[12:13], s20, v3
	s_nop 1
	v_cndmask_b32_e64 v1, v8, v1, s[12:13]
	v_cndmask_b32_e64 v1, 0, v1, s[10:11]
	s_waitcnt vmcnt(4)
	v_mul_f32_e32 v3, v23, v1
	v_ldexp_f32 v1, v9, v13
	v_sub_f32_e32 v9, v28, v2
	v_mul_f32_e32 v13, 0x3fb8aa3b, v9
	v_fma_f32 v15, v9, s19, -v13
	v_rndne_f32_e32 v20, v13
	v_fmac_f32_e32 v15, 0x32a5705f, v9
	v_sub_f32_e32 v13, v13, v20
	v_cmp_ngt_f32_e64 s[10:11], s37, v5
	v_add_f32_e32 v13, v13, v15
	v_exp_f32_e32 v13, v13
	v_cndmask_b32_e64 v1, 0, v1, s[10:11]
	v_cvt_i32_f32_e32 v15, v20
	v_cmp_nlt_f32_e64 s[10:11], s20, v5
	s_nop 1
	v_cndmask_b32_e64 v1, v8, v1, s[10:11]
	v_cndmask_b32_e64 v1, 0, v1, s[8:9]
	s_waitcnt vmcnt(3)
	v_mul_f32_e32 v5, v6, v1
	v_sub_f32_e32 v6, v29, v2
	v_ldexp_f32 v1, v13, v15
	v_mul_f32_e32 v13, 0x3fb8aa3b, v6
	v_fma_f32 v15, v6, s19, -v13
	v_rndne_f32_e32 v20, v13
	v_fmac_f32_e32 v15, 0x32a5705f, v6
	v_sub_f32_e32 v13, v13, v20
	v_cmp_ngt_f32_e64 s[8:9], s37, v9
	v_add_f32_e32 v13, v13, v15
	v_exp_f32_e32 v13, v13
	v_cndmask_b32_e64 v1, 0, v1, s[8:9]
	v_cvt_i32_f32_e32 v15, v20
	v_cmp_nlt_f32_e64 s[8:9], s20, v9
	v_sub_f32_e32 v2, v30, v2
	s_nop 0
	v_cndmask_b32_e64 v1, v8, v1, s[8:9]
	v_cndmask_b32_e64 v1, 0, v1, s[6:7]
	s_waitcnt vmcnt(2)
	v_mul_f32_e32 v9, v10, v1
	v_mul_f32_e32 v10, 0x3fb8aa3b, v2
	v_ldexp_f32 v1, v13, v15
	v_fma_f32 v13, v2, s19, -v10
	v_rndne_f32_e32 v15, v10
	v_fmac_f32_e32 v13, 0x32a5705f, v2
	v_sub_f32_e32 v10, v10, v15
	v_add_f32_e32 v10, v10, v13
	v_cmp_ngt_f32_e64 s[6:7], s37, v6
	v_exp_f32_e32 v10, v10
	v_cvt_i32_f32_e32 v13, v15
	v_cndmask_b32_e64 v1, 0, v1, s[6:7]
	v_cmp_nlt_f32_e64 s[6:7], s20, v6
	s_nop 1
	v_cndmask_b32_e64 v1, v8, v1, s[6:7]
	v_cndmask_b32_e64 v1, 0, v1, s[4:5]
	s_waitcnt vmcnt(1)
	v_mul_f32_e32 v6, v11, v1
	v_ldexp_f32 v1, v10, v13
	v_cmp_ngt_f32_e64 s[4:5], s37, v2
	s_nop 1
	v_cndmask_b32_e64 v1, 0, v1, s[4:5]
	v_cmp_nlt_f32_e64 s[4:5], s20, v2
	s_nop 1
	v_cndmask_b32_e64 v1, v8, v1, s[4:5]
	v_cndmask_b32_e32 v1, 0, v1, vcc
	s_waitcnt vmcnt(0)
	v_mul_f32_e32 v8, v12, v1
	v_add_f32_e32 v1, v4, v3
	v_add_f32_e32 v1, v1, v5
	;; [unrolled: 1-line block ×5, first 2 shown]
	ds_bpermute_b32 v2, v16, v1
	v_cmp_eq_u32_e32 vcc, 0, v0
	s_waitcnt lgkmcnt(0)
	v_add_f32_e32 v1, v1, v2
	ds_bpermute_b32 v2, v17, v1
	s_waitcnt lgkmcnt(0)
	v_add_f32_e32 v1, v1, v2
	ds_bpermute_b32 v2, v18, v1
	;; [unrolled: 3-line block ×4, first 2 shown]
	v_lshlrev_b32_e32 v7, 2, v0
	ds_write2st64_b32 v7, v4, v3 offset1:1
	ds_write2st64_b32 v7, v5, v9 offset0:2 offset1:3
	ds_write2st64_b32 v7, v6, v8 offset0:4 offset1:5
	s_waitcnt lgkmcnt(3)
	v_add_f32_e32 v1, v1, v2
	ds_bpermute_b32 v2, v14, v1
	s_and_saveexec_b64 s[4:5], vcc
	s_cbranch_execz .LBB21_8
; %bb.7:
	s_waitcnt lgkmcnt(0)
	v_add_f32_e32 v1, v1, v2
	v_mov_b32_e32 v2, 0
	ds_write_b32 v2, v1 offset:1536
.LBB21_8:
	s_or_b64 exec, exec, s[4:5]
	v_mov_b32_e32 v1, s18
.LBB21_9:
	s_or_b64 exec, exec, s[34:35]
	s_lshl_b32 s4, s36, 6
	s_mov_b32 s5, 0
	s_lshl_b64 s[4:5], s[4:5], 1
	s_add_u32 s4, s16, s4
	s_addc_u32 s5, s17, s5
	s_lshl_b32 s10, s33, 6
	s_waitcnt lgkmcnt(0)
	v_lshlrev_b32_e32 v2, 6, v1
	v_mov_b32_e32 v1, 0
	s_sub_i32 s11, s10, 64
	v_mov_b32_e32 v3, v1
	s_cmp_lt_i32 s38, 1
	v_lshl_add_u64 v[2:3], v[2:3], 1, s[4:5]
	s_cselect_b32 s4, s11, 0
	v_lshlrev_b32_e32 v4, 1, v0
	v_mov_b32_e32 v5, v1
	s_ashr_i32 s5, s4, 31
	v_lshl_add_u64 v[2:3], v[2:3], 0, v[4:5]
	s_cmpk_lt_i32 s38, 0x101
	v_lshl_add_u64 v[12:13], s[4:5], 1, v[2:3]
	s_cselect_b32 s4, s11, 64
	s_ashr_i32 s5, s4, 31
	s_cmpk_lt_i32 s38, 0x201
	v_lshl_add_u64 v[14:15], s[4:5], 1, v[2:3]
	s_cselect_b32 s4, s11, 0x80
	s_ashr_i32 s5, s4, 31
	;; [unrolled: 4-line block ×8, first 2 shown]
	s_cmpk_lt_i32 s38, 0x901
	global_load_ushort v4, v[12:13], off
	global_load_ushort v5, v[14:15], off
	;; [unrolled: 1-line block ×8, first 2 shown]
	v_lshl_add_u64 v[20:21], s[4:5], 1, v[2:3]
	s_cselect_b32 s4, s11, 0x240
	s_ashr_i32 s5, s4, 31
	s_cmpk_lt_i32 s38, 0xa01
	v_lshl_add_u64 v[22:23], s[4:5], 1, v[2:3]
	s_cselect_b32 s4, s11, 0x280
	s_ashr_i32 s5, s4, 31
	s_cmpk_lt_i32 s38, 0xb01
	;; [unrolled: 4-line block ×6, first 2 shown]
	v_lshl_add_u64 v[32:33], s[4:5], 1, v[2:3]
	s_cselect_b32 s4, s11, 0x3c0
	s_ashr_i32 s5, s4, 31
	v_lshl_add_u64 v[34:35], s[4:5], 1, v[2:3]
	global_load_ushort v12, v[20:21], off
	global_load_ushort v13, v[22:23], off
	;; [unrolled: 1-line block ×8, first 2 shown]
	s_cmpk_gt_i32 s38, 0x1000
	s_cselect_b64 s[8:9], -1, 0
	s_cmpk_lt_i32 s38, 0x1001
	v_mov_b32_e32 v36, 0
	v_mov_b32_e32 v37, 0
	;; [unrolled: 1-line block ×48, first 2 shown]
	s_waitcnt lgkmcnt(0)
	; wave barrier
	s_cbranch_scc1 .LBB21_12
; %bb.10:
	s_cmpk_lt_u32 s38, 0x1101
	s_cselect_b32 s4, s11, 0x440
	s_ashr_i32 s5, s4, 31
	s_cmpk_lt_u32 s38, 0x1201
	v_lshl_add_u64 v[28:29], s[4:5], 1, v[2:3]
	s_cselect_b32 s4, s11, 0x480
	s_ashr_i32 s5, s4, 31
	s_cmpk_lt_u32 s38, 0x1301
	v_lshl_add_u64 v[30:31], s[4:5], 1, v[2:3]
	;; [unrolled: 4-line block ×7, first 2 shown]
	s_cselect_b32 s4, s11, 0x600
	s_ashr_i32 s5, s4, 31
	s_cmpk_lt_u32 s38, 0x1901
	global_load_ushort v27, v[2:3], off offset:2048
	global_load_ushort v26, v[28:29], off
	global_load_ushort v25, v[30:31], off
	global_load_ushort v24, v[32:33], off
	global_load_ushort v23, v[34:35], off
	global_load_ushort v22, v[36:37], off
	global_load_ushort v21, v[38:39], off
	global_load_ushort v20, v[40:41], off
	v_lshl_add_u64 v[36:37], s[4:5], 1, v[2:3]
	s_cselect_b32 s4, s11, 0x640
	s_ashr_i32 s5, s4, 31
	s_cmpk_lt_u32 s38, 0x1a01
	v_lshl_add_u64 v[38:39], s[4:5], 1, v[2:3]
	s_cselect_b32 s4, s11, 0x680
	s_ashr_i32 s5, s4, 31
	s_cmpk_lt_u32 s38, 0x1b01
	;; [unrolled: 4-line block ×6, first 2 shown]
	v_lshl_add_u64 v[48:49], s[4:5], 1, v[2:3]
	s_cselect_b32 s4, s11, 0x7c0
	s_ashr_i32 s5, s4, 31
	v_lshl_add_u64 v[50:51], s[4:5], 1, v[2:3]
	global_load_ushort v35, v[36:37], off
	global_load_ushort v34, v[38:39], off
	;; [unrolled: 1-line block ×8, first 2 shown]
	s_cmpk_lt_u32 s38, 0x2001
	v_mov_b32_e32 v67, 0
	v_mov_b32_e32 v66, 0
	;; [unrolled: 1-line block ×32, first 2 shown]
	s_cbranch_scc1 .LBB21_12
; %bb.11:
	s_cmpk_lt_u32 s38, 0x2101
	s_cselect_b32 s4, s11, 0x840
	s_ashr_i32 s5, s4, 31
	s_cmpk_lt_u32 s38, 0x2201
	v_lshl_add_u64 v[38:39], s[4:5], 1, v[2:3]
	s_cselect_b32 s4, s11, 0x880
	s_ashr_i32 s5, s4, 31
	s_cmpk_lt_u32 s38, 0x2301
	v_lshl_add_u64 v[40:41], s[4:5], 1, v[2:3]
	;; [unrolled: 4-line block ×7, first 2 shown]
	s_cselect_b32 s4, s11, 0xa00
	v_add_co_u32_e32 v36, vcc, 0x1000, v2
	s_ashr_i32 s5, s4, 31
	s_nop 0
	v_addc_co_u32_e32 v37, vcc, 0, v3, vcc
	s_cmpk_lt_u32 s38, 0x2901
	global_load_ushort v52, v[36:37], off
	global_load_ushort v53, v[38:39], off
	;; [unrolled: 1-line block ×8, first 2 shown]
	v_lshl_add_u64 v[36:37], s[4:5], 1, v[2:3]
	s_cselect_b32 s4, s11, 0xa40
	s_ashr_i32 s5, s4, 31
	s_cmpk_lt_u32 s38, 0x2a01
	v_lshl_add_u64 v[38:39], s[4:5], 1, v[2:3]
	s_cselect_b32 s4, s11, 0xa80
	s_ashr_i32 s5, s4, 31
	s_cmpk_lt_u32 s38, 0x2b01
	;; [unrolled: 4-line block ×8, first 2 shown]
	global_load_ushort v68, v[36:37], off
	global_load_ushort v69, v[38:39], off
	;; [unrolled: 1-line block ×8, first 2 shown]
	v_lshl_add_u64 v[36:37], s[4:5], 1, v[2:3]
	s_cselect_b32 s4, s11, 0xc40
	s_ashr_i32 s5, s4, 31
	s_cmpk_lt_u32 s38, 0x3201
	v_lshl_add_u64 v[38:39], s[4:5], 1, v[2:3]
	s_cselect_b32 s4, s11, 0xc80
	s_ashr_i32 s5, s4, 31
	s_cmpk_lt_u32 s38, 0x3301
	;; [unrolled: 4-line block ×8, first 2 shown]
	global_load_ushort v76, v[36:37], off
	global_load_ushort v77, v[38:39], off
	;; [unrolled: 1-line block ×8, first 2 shown]
	v_lshl_add_u64 v[36:37], s[4:5], 1, v[2:3]
	s_cselect_b32 s4, s11, 0xe40
	s_ashr_i32 s5, s4, 31
	s_cmpk_lt_u32 s38, 0x3a01
	v_lshl_add_u64 v[38:39], s[4:5], 1, v[2:3]
	s_cselect_b32 s4, s11, 0xe80
	s_ashr_i32 s5, s4, 31
	s_cmpk_lt_u32 s38, 0x3b01
	;; [unrolled: 4-line block ×6, first 2 shown]
	v_lshl_add_u64 v[48:49], s[4:5], 1, v[2:3]
	s_cselect_b32 s4, s11, 0xfc0
	s_ashr_i32 s5, s4, 31
	v_lshl_add_u64 v[50:51], s[4:5], 1, v[2:3]
	global_load_ushort v84, v[36:37], off
	global_load_ushort v85, v[38:39], off
	;; [unrolled: 1-line block ×8, first 2 shown]
	s_waitcnt vmcnt(31)
	v_cvt_f32_f16_e32 v67, v52
	s_waitcnt vmcnt(30)
	v_cvt_f32_f16_e32 v66, v53
	s_waitcnt vmcnt(29)
	v_cvt_f32_f16_e32 v65, v54
	s_waitcnt vmcnt(28)
	v_cvt_f32_f16_e32 v64, v55
	s_waitcnt vmcnt(27)
	v_cvt_f32_f16_e32 v63, v56
	s_waitcnt vmcnt(26)
	v_cvt_f32_f16_e32 v62, v57
	s_waitcnt vmcnt(25)
	v_cvt_f32_f16_e32 v61, v58
	s_waitcnt vmcnt(24)
	v_cvt_f32_f16_e32 v60, v59
	s_waitcnt vmcnt(23)
	v_cvt_f32_f16_e32 v59, v68
	s_waitcnt vmcnt(22)
	v_cvt_f32_f16_e32 v58, v69
	s_waitcnt vmcnt(21)
	v_cvt_f32_f16_e32 v57, v70
	s_waitcnt vmcnt(20)
	v_cvt_f32_f16_e32 v56, v71
	s_waitcnt vmcnt(19)
	v_cvt_f32_f16_e32 v55, v72
	s_waitcnt vmcnt(18)
	v_cvt_f32_f16_e32 v54, v73
	s_waitcnt vmcnt(17)
	v_cvt_f32_f16_e32 v53, v74
	s_waitcnt vmcnt(16)
	v_cvt_f32_f16_e32 v52, v75
	s_waitcnt vmcnt(15)
	v_cvt_f32_f16_e32 v51, v76
	s_waitcnt vmcnt(14)
	v_cvt_f32_f16_e32 v50, v77
	s_waitcnt vmcnt(13)
	v_cvt_f32_f16_e32 v49, v78
	s_waitcnt vmcnt(12)
	v_cvt_f32_f16_e32 v48, v79
	s_waitcnt vmcnt(11)
	v_cvt_f32_f16_e32 v47, v80
	s_waitcnt vmcnt(10)
	v_cvt_f32_f16_e32 v46, v81
	s_waitcnt vmcnt(9)
	v_cvt_f32_f16_e32 v45, v82
	s_waitcnt vmcnt(8)
	v_cvt_f32_f16_e32 v44, v83
	s_waitcnt vmcnt(7)
	v_cvt_f32_f16_e32 v43, v84
	s_waitcnt vmcnt(6)
	v_cvt_f32_f16_e32 v42, v85
	s_waitcnt vmcnt(5)
	v_cvt_f32_f16_e32 v41, v86
	s_waitcnt vmcnt(4)
	v_cvt_f32_f16_e32 v40, v87
	s_waitcnt vmcnt(3)
	v_cvt_f32_f16_e32 v39, v88
	s_waitcnt vmcnt(2)
	v_cvt_f32_f16_e32 v38, v89
	s_waitcnt vmcnt(1)
	v_cvt_f32_f16_e32 v37, v90
	s_waitcnt vmcnt(0)
	v_cvt_f32_f16_e32 v36, v91
.LBB21_12:
	ds_read_b128 v[68:71], v1
	s_load_dwordx2 s[4:5], s[0:1], 0x0
	s_load_dwordx2 s[6:7], s[0:1], 0x38
	ds_read_b128 v[72:75], v1 offset:16
	ds_read_b128 v[76:79], v1 offset:32
	;; [unrolled: 1-line block ×3, first 2 shown]
	s_and_b64 vcc, exec, s[8:9]
	s_waitcnt vmcnt(15) lgkmcnt(0)
	v_fma_mix_f32 v4, v68, v4, 0 op_sel_hi:[0,1,0]
	s_waitcnt vmcnt(14)
	v_fma_mix_f32 v4, v69, v5, v4 op_sel_hi:[0,1,0]
	s_waitcnt vmcnt(13)
	;; [unrolled: 2-line block ×15, first 2 shown]
	v_fma_mix_f32 v4, v83, v19, v4 op_sel_hi:[0,1,0]
	s_cbranch_vccz .LBB21_15
; %bb.13:
	ds_read_b128 v[6:9], v1 offset:64
	ds_read_b128 v[10:13], v1 offset:80
	;; [unrolled: 1-line block ×4, first 2 shown]
	s_cmpk_lt_u32 s38, 0x2001
	s_waitcnt lgkmcnt(3)
	v_fma_mix_f32 v4, v6, v27, v4 op_sel_hi:[0,1,0]
	v_fma_mix_f32 v4, v7, v26, v4 op_sel_hi:[0,1,0]
	v_fma_mix_f32 v4, v8, v25, v4 op_sel_hi:[0,1,0]
	v_fma_mix_f32 v4, v9, v24, v4 op_sel_hi:[0,1,0]
	s_waitcnt lgkmcnt(2)
	v_fma_mix_f32 v4, v10, v23, v4 op_sel_hi:[0,1,0]
	v_fma_mix_f32 v4, v11, v22, v4 op_sel_hi:[0,1,0]
	v_fma_mix_f32 v4, v12, v21, v4 op_sel_hi:[0,1,0]
	v_fma_mix_f32 v4, v13, v20, v4 op_sel_hi:[0,1,0]
	;; [unrolled: 5-line block ×4, first 2 shown]
	s_cbranch_scc1 .LBB21_15
; %bb.14:
	v_mov_b32_e32 v5, 0
	ds_read_b128 v[6:9], v5 offset:128
	ds_read_b128 v[10:13], v5 offset:144
	ds_read_b128 v[14:17], v5 offset:160
	ds_read_b128 v[18:21], v5 offset:176
	s_waitcnt lgkmcnt(3)
	v_fmac_f32_e32 v4, v6, v67
	v_fmac_f32_e32 v4, v7, v66
	v_fmac_f32_e32 v4, v8, v65
	v_fmac_f32_e32 v4, v9, v64
	s_waitcnt lgkmcnt(2)
	v_fmac_f32_e32 v4, v10, v63
	v_fmac_f32_e32 v4, v11, v62
	v_fmac_f32_e32 v4, v12, v61
	v_fmac_f32_e32 v4, v13, v60
	;; [unrolled: 5-line block ×3, first 2 shown]
	ds_read_b128 v[6:9], v5 offset:192
	ds_read_b128 v[10:13], v5 offset:208
	s_waitcnt lgkmcnt(2)
	v_fmac_f32_e32 v4, v18, v55
	v_fmac_f32_e32 v4, v19, v54
	;; [unrolled: 1-line block ×4, first 2 shown]
	s_waitcnt lgkmcnt(1)
	v_fmac_f32_e32 v4, v6, v51
	v_fmac_f32_e32 v4, v7, v50
	;; [unrolled: 1-line block ×4, first 2 shown]
	ds_read_b128 v[6:9], v5 offset:224
	s_waitcnt lgkmcnt(1)
	v_fmac_f32_e32 v4, v10, v47
	v_fmac_f32_e32 v4, v11, v46
	;; [unrolled: 1-line block ×4, first 2 shown]
	ds_read_b128 v[10:13], v5 offset:240
	s_waitcnt lgkmcnt(1)
	v_fmac_f32_e32 v4, v6, v43
	v_fmac_f32_e32 v4, v7, v42
	;; [unrolled: 1-line block ×4, first 2 shown]
	s_waitcnt lgkmcnt(0)
	v_fmac_f32_e32 v4, v10, v39
	v_fmac_f32_e32 v4, v11, v38
	;; [unrolled: 1-line block ×4, first 2 shown]
.LBB21_15:
	s_movk_i32 s0, 0x1fc0
	s_movk_i32 s1, 0x100
	s_mov_b32 s8, 64
	s_branch .LBB21_17
.LBB21_16:                              ;   in Loop: Header=BB21_17 Depth=1
	s_addk_i32 s0, 0x1000
	s_addk_i32 s1, 0x100
	s_add_i32 s8, s8, 64
	s_cmpk_eq_i32 s0, 0x6fc0
	s_cbranch_scc1 .LBB21_19
.LBB21_17:                              ; =>This Inner Loop Header: Depth=1
	s_cmp_le_i32 s33, s8
	s_cbranch_scc1 .LBB21_16
; %bb.18:                               ;   in Loop: Header=BB21_17 Depth=1
	s_add_i32 s9, s0, 0xfffff040
	s_cmp_lt_i32 s9, s10
	s_cselect_b32 s12, s9, s11
	s_ashr_i32 s13, s12, 31
	s_add_i32 s9, s0, 0xfffff080
	s_cmp_lt_i32 s9, s10
	v_lshl_add_u64 v[14:15], s[12:13], 1, v[2:3]
	s_cselect_b32 s12, s9, s11
	s_ashr_i32 s13, s12, 31
	s_add_i32 s9, s0, 0xfffff0c0
	s_cmp_lt_i32 s9, s10
	v_lshl_add_u64 v[16:17], s[12:13], 1, v[2:3]
	;; [unrolled: 5-line block ×8, first 2 shown]
	s_cselect_b32 s12, s9, s11
	s_ashr_i32 s13, s12, 31
	s_add_i32 s9, s0, 0xfffff280
	s_cmp_lt_i32 s9, s10
	global_load_ushort v5, v[14:15], off
	global_load_ushort v6, v[16:17], off
	global_load_ushort v7, v[18:19], off
	global_load_ushort v8, v[20:21], off
	global_load_ushort v9, v[22:23], off
	global_load_ushort v10, v[24:25], off
	global_load_ushort v11, v[26:27], off
	global_load_ushort v12, v[28:29], off
	v_lshl_add_u64 v[14:15], s[12:13], 1, v[2:3]
	s_cselect_b32 s12, s9, s11
	s_ashr_i32 s13, s12, 31
	s_add_i32 s9, s0, 0xfffff2c0
	s_cmp_lt_i32 s9, s10
	v_lshl_add_u64 v[16:17], s[12:13], 1, v[2:3]
	s_cselect_b32 s12, s9, s11
	s_ashr_i32 s13, s12, 31
	s_add_i32 s9, s0, 0xfffff300
	s_cmp_lt_i32 s9, s10
	v_lshl_add_u64 v[18:19], s[12:13], 1, v[2:3]
	s_cselect_b32 s12, s9, s11
	s_ashr_i32 s13, s12, 31
	s_add_i32 s9, s0, 0xfffff340
	s_cmp_lt_i32 s9, s10
	v_lshl_add_u64 v[20:21], s[12:13], 1, v[2:3]
	s_cselect_b32 s12, s9, s11
	s_ashr_i32 s13, s12, 31
	s_add_i32 s9, s0, 0xfffff380
	s_cmp_lt_i32 s9, s10
	v_lshl_add_u64 v[22:23], s[12:13], 1, v[2:3]
	s_cselect_b32 s12, s9, s11
	s_ashr_i32 s13, s12, 31
	s_add_i32 s9, s0, 0xfffff3c0
	s_cmp_lt_i32 s9, s10
	v_lshl_add_u64 v[24:25], s[12:13], 1, v[2:3]
	s_cselect_b32 s12, s9, s11
	s_ashr_i32 s13, s12, 31
	s_add_i32 s9, s0, 0xfffff400
	s_cmp_lt_i32 s9, s10
	v_lshl_add_u64 v[26:27], s[12:13], 1, v[2:3]
	s_cselect_b32 s12, s9, s11
	s_ashr_i32 s13, s12, 31
	s_add_i32 s9, s0, 0xfffff440
	s_cmp_lt_i32 s9, s10
	v_lshl_add_u64 v[28:29], s[12:13], 1, v[2:3]
	s_cselect_b32 s12, s9, s11
	s_ashr_i32 s13, s12, 31
	s_add_i32 s9, s0, 0xfffff480
	s_cmp_lt_i32 s9, s10
	global_load_ushort v13, v[14:15], off
	global_load_ushort v30, v[16:17], off
	global_load_ushort v31, v[18:19], off
	global_load_ushort v32, v[20:21], off
	global_load_ushort v33, v[22:23], off
	global_load_ushort v34, v[24:25], off
	global_load_ushort v35, v[26:27], off
	global_load_ushort v36, v[28:29], off
	v_lshl_add_u64 v[14:15], s[12:13], 1, v[2:3]
	s_cselect_b32 s12, s9, s11
	s_ashr_i32 s13, s12, 31
	s_add_i32 s9, s0, 0xfffff4c0
	s_cmp_lt_i32 s9, s10
	v_lshl_add_u64 v[16:17], s[12:13], 1, v[2:3]
	s_cselect_b32 s12, s9, s11
	s_ashr_i32 s13, s12, 31
	s_add_i32 s9, s0, 0xfffff500
	s_cmp_lt_i32 s9, s10
	v_lshl_add_u64 v[18:19], s[12:13], 1, v[2:3]
	s_cselect_b32 s12, s9, s11
	s_ashr_i32 s13, s12, 31
	s_add_i32 s9, s0, 0xfffff540
	s_cmp_lt_i32 s9, s10
	v_lshl_add_u64 v[20:21], s[12:13], 1, v[2:3]
	s_cselect_b32 s12, s9, s11
	s_ashr_i32 s13, s12, 31
	s_add_i32 s9, s0, 0xfffff580
	s_cmp_lt_i32 s9, s10
	v_lshl_add_u64 v[22:23], s[12:13], 1, v[2:3]
	s_cselect_b32 s12, s9, s11
	s_ashr_i32 s13, s12, 31
	s_add_i32 s9, s0, 0xfffff5c0
	s_cmp_lt_i32 s9, s10
	v_lshl_add_u64 v[24:25], s[12:13], 1, v[2:3]
	s_cselect_b32 s12, s9, s11
	s_ashr_i32 s13, s12, 31
	s_add_i32 s9, s0, 0xfffff600
	s_cmp_lt_i32 s9, s10
	v_lshl_add_u64 v[26:27], s[12:13], 1, v[2:3]
	s_cselect_b32 s12, s9, s11
	s_ashr_i32 s13, s12, 31
	s_add_i32 s9, s0, 0xfffff640
	s_cmp_lt_i32 s9, s10
	v_lshl_add_u64 v[28:29], s[12:13], 1, v[2:3]
	s_cselect_b32 s12, s9, s11
	s_ashr_i32 s13, s12, 31
	s_add_i32 s9, s0, 0xfffff680
	s_cmp_lt_i32 s9, s10
	global_load_ushort v37, v[14:15], off
	global_load_ushort v38, v[16:17], off
	global_load_ushort v39, v[18:19], off
	global_load_ushort v40, v[20:21], off
	global_load_ushort v41, v[22:23], off
	global_load_ushort v42, v[24:25], off
	global_load_ushort v43, v[26:27], off
	global_load_ushort v44, v[28:29], off
	v_lshl_add_u64 v[14:15], s[12:13], 1, v[2:3]
	s_cselect_b32 s12, s9, s11
	s_ashr_i32 s13, s12, 31
	s_add_i32 s9, s0, 0xfffff6c0
	s_cmp_lt_i32 s9, s10
	v_lshl_add_u64 v[16:17], s[12:13], 1, v[2:3]
	s_cselect_b32 s12, s9, s11
	s_ashr_i32 s13, s12, 31
	s_add_i32 s9, s0, 0xfffff700
	s_cmp_lt_i32 s9, s10
	v_lshl_add_u64 v[18:19], s[12:13], 1, v[2:3]
	s_cselect_b32 s12, s9, s11
	s_ashr_i32 s13, s12, 31
	s_add_i32 s9, s0, 0xfffff740
	s_cmp_lt_i32 s9, s10
	v_lshl_add_u64 v[20:21], s[12:13], 1, v[2:3]
	s_cselect_b32 s12, s9, s11
	s_ashr_i32 s13, s12, 31
	s_add_i32 s9, s0, 0xfffff780
	s_cmp_lt_i32 s9, s10
	v_lshl_add_u64 v[22:23], s[12:13], 1, v[2:3]
	s_cselect_b32 s12, s9, s11
	s_ashr_i32 s13, s12, 31
	s_add_i32 s9, s0, 0xfffff7c0
	s_cmp_lt_i32 s9, s10
	v_lshl_add_u64 v[24:25], s[12:13], 1, v[2:3]
	s_cselect_b32 s12, s9, s11
	s_ashr_i32 s13, s12, 31
	s_add_i32 s9, s0, 0xfffff800
	s_cmp_lt_i32 s9, s10
	v_lshl_add_u64 v[26:27], s[12:13], 1, v[2:3]
	s_cselect_b32 s12, s9, s11
	s_ashr_i32 s13, s12, 31
	s_add_i32 s9, s0, 0xfffff840
	s_cmp_lt_i32 s9, s10
	v_lshl_add_u64 v[28:29], s[12:13], 1, v[2:3]
	s_cselect_b32 s12, s9, s11
	s_ashr_i32 s13, s12, 31
	s_add_i32 s9, s0, 0xfffff880
	s_cmp_lt_i32 s9, s10
	global_load_ushort v45, v[14:15], off
	global_load_ushort v46, v[16:17], off
	global_load_ushort v47, v[18:19], off
	global_load_ushort v48, v[20:21], off
	global_load_ushort v49, v[22:23], off
	global_load_ushort v50, v[24:25], off
	global_load_ushort v51, v[26:27], off
	global_load_ushort v52, v[28:29], off
	v_lshl_add_u64 v[14:15], s[12:13], 1, v[2:3]
	s_cselect_b32 s12, s9, s11
	s_ashr_i32 s13, s12, 31
	s_add_i32 s9, s0, 0xfffff8c0
	s_cmp_lt_i32 s9, s10
	v_lshl_add_u64 v[16:17], s[12:13], 1, v[2:3]
	s_cselect_b32 s12, s9, s11
	s_ashr_i32 s13, s12, 31
	s_add_i32 s9, s0, 0xfffff900
	s_cmp_lt_i32 s9, s10
	v_lshl_add_u64 v[18:19], s[12:13], 1, v[2:3]
	s_cselect_b32 s12, s9, s11
	s_ashr_i32 s13, s12, 31
	s_add_i32 s9, s0, 0xfffff940
	s_cmp_lt_i32 s9, s10
	v_lshl_add_u64 v[20:21], s[12:13], 1, v[2:3]
	s_cselect_b32 s12, s9, s11
	s_ashr_i32 s13, s12, 31
	s_add_i32 s9, s0, 0xfffff980
	s_cmp_lt_i32 s9, s10
	v_lshl_add_u64 v[22:23], s[12:13], 1, v[2:3]
	s_cselect_b32 s12, s9, s11
	s_ashr_i32 s13, s12, 31
	s_add_i32 s9, s0, 0xfffff9c0
	s_cmp_lt_i32 s9, s10
	v_lshl_add_u64 v[24:25], s[12:13], 1, v[2:3]
	s_cselect_b32 s12, s9, s11
	s_ashr_i32 s13, s12, 31
	s_add_i32 s9, s0, 0xfffffa00
	s_cmp_lt_i32 s9, s10
	v_lshl_add_u64 v[26:27], s[12:13], 1, v[2:3]
	s_cselect_b32 s12, s9, s11
	s_ashr_i32 s13, s12, 31
	s_add_i32 s9, s0, 0xfffffa40
	s_cmp_lt_i32 s9, s10
	v_lshl_add_u64 v[28:29], s[12:13], 1, v[2:3]
	s_cselect_b32 s12, s9, s11
	s_ashr_i32 s13, s12, 31
	s_add_i32 s9, s0, 0xfffffa80
	s_cmp_lt_i32 s9, s10
	global_load_ushort v53, v[14:15], off
	global_load_ushort v54, v[16:17], off
	global_load_ushort v55, v[18:19], off
	global_load_ushort v56, v[20:21], off
	global_load_ushort v57, v[22:23], off
	global_load_ushort v58, v[24:25], off
	global_load_ushort v59, v[26:27], off
	global_load_ushort v60, v[28:29], off
	v_lshl_add_u64 v[14:15], s[12:13], 1, v[2:3]
	s_cselect_b32 s12, s9, s11
	s_ashr_i32 s13, s12, 31
	s_add_i32 s9, s0, 0xfffffac0
	s_cmp_lt_i32 s9, s10
	v_lshl_add_u64 v[16:17], s[12:13], 1, v[2:3]
	s_cselect_b32 s12, s9, s11
	s_ashr_i32 s13, s12, 31
	s_add_i32 s9, s0, 0xfffffb00
	s_cmp_lt_i32 s9, s10
	v_lshl_add_u64 v[18:19], s[12:13], 1, v[2:3]
	s_cselect_b32 s12, s9, s11
	s_ashr_i32 s13, s12, 31
	s_add_i32 s9, s0, 0xfffffb40
	s_cmp_lt_i32 s9, s10
	v_lshl_add_u64 v[20:21], s[12:13], 1, v[2:3]
	s_cselect_b32 s12, s9, s11
	s_ashr_i32 s13, s12, 31
	s_add_i32 s9, s0, 0xfffffb80
	s_cmp_lt_i32 s9, s10
	v_lshl_add_u64 v[22:23], s[12:13], 1, v[2:3]
	s_cselect_b32 s12, s9, s11
	s_ashr_i32 s13, s12, 31
	s_add_i32 s9, s0, 0xfffffbc0
	s_cmp_lt_i32 s9, s10
	v_lshl_add_u64 v[24:25], s[12:13], 1, v[2:3]
	s_cselect_b32 s12, s9, s11
	s_ashr_i32 s13, s12, 31
	s_add_i32 s9, s0, 0xfffffc00
	s_cmp_lt_i32 s9, s10
	v_lshl_add_u64 v[26:27], s[12:13], 1, v[2:3]
	s_cselect_b32 s12, s9, s11
	s_ashr_i32 s13, s12, 31
	s_add_i32 s9, s0, 0xfffffc40
	s_cmp_lt_i32 s9, s10
	v_lshl_add_u64 v[28:29], s[12:13], 1, v[2:3]
	s_cselect_b32 s12, s9, s11
	s_ashr_i32 s13, s12, 31
	s_add_i32 s9, s0, 0xfffffc80
	s_cmp_lt_i32 s9, s10
	global_load_ushort v61, v[14:15], off
	global_load_ushort v62, v[16:17], off
	global_load_ushort v63, v[18:19], off
	global_load_ushort v64, v[20:21], off
	global_load_ushort v65, v[22:23], off
	global_load_ushort v66, v[24:25], off
	global_load_ushort v67, v[26:27], off
	global_load_ushort v68, v[28:29], off
	v_lshl_add_u64 v[14:15], s[12:13], 1, v[2:3]
	s_cselect_b32 s12, s9, s11
	s_ashr_i32 s13, s12, 31
	s_add_i32 s9, s0, 0xfffffcc0
	s_cmp_lt_i32 s9, s10
	v_lshl_add_u64 v[16:17], s[12:13], 1, v[2:3]
	s_cselect_b32 s12, s9, s11
	s_ashr_i32 s13, s12, 31
	s_add_i32 s9, s0, 0xfffffd00
	s_cmp_lt_i32 s9, s10
	v_lshl_add_u64 v[18:19], s[12:13], 1, v[2:3]
	s_cselect_b32 s12, s9, s11
	s_ashr_i32 s13, s12, 31
	s_add_i32 s9, s0, 0xfffffd40
	s_cmp_lt_i32 s9, s10
	v_lshl_add_u64 v[20:21], s[12:13], 1, v[2:3]
	s_cselect_b32 s12, s9, s11
	s_ashr_i32 s13, s12, 31
	s_add_i32 s9, s0, 0xfffffd80
	s_cmp_lt_i32 s9, s10
	v_lshl_add_u64 v[22:23], s[12:13], 1, v[2:3]
	s_cselect_b32 s12, s9, s11
	s_ashr_i32 s13, s12, 31
	s_add_i32 s9, s0, 0xfffffdc0
	s_cmp_lt_i32 s9, s10
	v_lshl_add_u64 v[24:25], s[12:13], 1, v[2:3]
	s_cselect_b32 s12, s9, s11
	s_ashr_i32 s13, s12, 31
	s_add_i32 s9, s0, 0xfffffe00
	s_cmp_lt_i32 s9, s10
	v_lshl_add_u64 v[26:27], s[12:13], 1, v[2:3]
	s_cselect_b32 s12, s9, s11
	s_ashr_i32 s13, s12, 31
	s_add_i32 s9, s0, 0xfffffe40
	s_cmp_lt_i32 s9, s10
	v_lshl_add_u64 v[28:29], s[12:13], 1, v[2:3]
	s_cselect_b32 s12, s9, s11
	s_ashr_i32 s13, s12, 31
	s_add_i32 s9, s0, 0xfffffe80
	s_cmp_lt_i32 s9, s10
	global_load_ushort v69, v[14:15], off
	global_load_ushort v70, v[16:17], off
	;; [unrolled: 1-line block ×8, first 2 shown]
	v_lshl_add_u64 v[14:15], s[12:13], 1, v[2:3]
	s_cselect_b32 s12, s9, s11
	s_ashr_i32 s13, s12, 31
	s_add_i32 s9, s0, 0xfffffec0
	s_cmp_lt_i32 s9, s10
	v_lshl_add_u64 v[16:17], s[12:13], 1, v[2:3]
	s_cselect_b32 s12, s9, s11
	s_ashr_i32 s13, s12, 31
	s_add_i32 s9, s0, 0xffffff00
	s_cmp_lt_i32 s9, s10
	;; [unrolled: 5-line block ×4, first 2 shown]
	v_lshl_add_u64 v[22:23], s[12:13], 1, v[2:3]
	s_cselect_b32 s12, s9, s11
	s_ashr_i32 s13, s12, 31
	s_sub_i32 s9, s0, 64
	s_cmp_lt_i32 s9, s10
	v_lshl_add_u64 v[24:25], s[12:13], 1, v[2:3]
	s_cselect_b32 s12, s9, s11
	s_ashr_i32 s13, s12, 31
	s_cmp_lt_i32 s0, s10
	v_lshl_add_u64 v[26:27], s[12:13], 1, v[2:3]
	s_cselect_b32 s12, s0, s11
	s_ashr_i32 s13, s12, 31
	v_lshl_add_u64 v[28:29], s[12:13], 1, v[2:3]
	global_load_ushort v77, v[14:15], off
	global_load_ushort v78, v[16:17], off
	;; [unrolled: 1-line block ×8, first 2 shown]
	v_mov_b32_e32 v85, s1
	ds_read_b128 v[14:17], v85
	ds_read_b128 v[18:21], v85 offset:16
	ds_read_b128 v[22:25], v85 offset:32
	;; [unrolled: 1-line block ×3, first 2 shown]
	s_waitcnt vmcnt(62) lgkmcnt(3)
	v_fma_mix_f32 v4, v14, v5, v4 op_sel_hi:[0,1,0]
	v_fma_mix_f32 v4, v15, v6, v4 op_sel_hi:[0,1,0]
	s_waitcnt vmcnt(61)
	v_fma_mix_f32 v4, v16, v7, v4 op_sel_hi:[0,1,0]
	s_waitcnt vmcnt(60)
	v_fma_mix_f32 v4, v17, v8, v4 op_sel_hi:[0,1,0]
	s_waitcnt vmcnt(59) lgkmcnt(2)
	v_fma_mix_f32 v4, v18, v9, v4 op_sel_hi:[0,1,0]
	s_waitcnt vmcnt(58)
	v_fma_mix_f32 v4, v19, v10, v4 op_sel_hi:[0,1,0]
	s_waitcnt vmcnt(57)
	;; [unrolled: 2-line block ×3, first 2 shown]
	v_fma_mix_f32 v4, v21, v12, v4 op_sel_hi:[0,1,0]
	s_waitcnt vmcnt(55) lgkmcnt(1)
	v_fma_mix_f32 v4, v22, v13, v4 op_sel_hi:[0,1,0]
	s_waitcnt vmcnt(54)
	v_fma_mix_f32 v4, v23, v30, v4 op_sel_hi:[0,1,0]
	s_waitcnt vmcnt(53)
	v_fma_mix_f32 v4, v24, v31, v4 op_sel_hi:[0,1,0]
	s_waitcnt vmcnt(52)
	v_fma_mix_f32 v4, v25, v32, v4 op_sel_hi:[0,1,0]
	s_waitcnt vmcnt(51) lgkmcnt(0)
	v_fma_mix_f32 v8, v26, v33, v4 op_sel_hi:[0,1,0]
	ds_read_b128 v[4:7], v85 offset:64
	s_waitcnt vmcnt(50)
	v_fma_mix_f32 v8, v27, v34, v8 op_sel_hi:[0,1,0]
	s_waitcnt vmcnt(49)
	v_fma_mix_f32 v8, v28, v35, v8 op_sel_hi:[0,1,0]
	s_waitcnt vmcnt(48)
	v_fma_mix_f32 v12, v29, v36, v8 op_sel_hi:[0,1,0]
	ds_read_b128 v[8:11], v85 offset:80
	s_waitcnt vmcnt(47) lgkmcnt(1)
	v_fma_mix_f32 v4, v4, v37, v12 op_sel_hi:[0,1,0]
	s_waitcnt vmcnt(46)
	v_fma_mix_f32 v4, v5, v38, v4 op_sel_hi:[0,1,0]
	s_waitcnt vmcnt(45)
	v_fma_mix_f32 v4, v6, v39, v4 op_sel_hi:[0,1,0]
	s_waitcnt vmcnt(44)
	v_fma_mix_f32 v4, v7, v40, v4 op_sel_hi:[0,1,0]
	s_waitcnt vmcnt(43) lgkmcnt(0)
	v_fma_mix_f32 v8, v8, v41, v4 op_sel_hi:[0,1,0]
	ds_read_b128 v[4:7], v85 offset:96
	s_waitcnt vmcnt(42)
	v_fma_mix_f32 v8, v9, v42, v8 op_sel_hi:[0,1,0]
	s_waitcnt vmcnt(41)
	v_fma_mix_f32 v8, v10, v43, v8 op_sel_hi:[0,1,0]
	s_waitcnt vmcnt(40)
	v_fma_mix_f32 v12, v11, v44, v8 op_sel_hi:[0,1,0]
	ds_read_b128 v[8:11], v85 offset:112
	;; [unrolled: 18-line block ×6, first 2 shown]
	s_waitcnt vmcnt(7) lgkmcnt(1)
	v_fma_mix_f32 v4, v4, v77, v12 op_sel_hi:[0,1,0]
	s_waitcnt vmcnt(6)
	v_fma_mix_f32 v4, v5, v78, v4 op_sel_hi:[0,1,0]
	s_waitcnt vmcnt(5)
	;; [unrolled: 2-line block ×3, first 2 shown]
	v_fma_mix_f32 v4, v7, v80, v4 op_sel_hi:[0,1,0]
	s_waitcnt vmcnt(3) lgkmcnt(0)
	v_fma_mix_f32 v4, v8, v81, v4 op_sel_hi:[0,1,0]
	s_waitcnt vmcnt(2)
	v_fma_mix_f32 v4, v9, v82, v4 op_sel_hi:[0,1,0]
	s_waitcnt vmcnt(1)
	;; [unrolled: 2-line block ×3, first 2 shown]
	v_fma_mix_f32 v4, v11, v84, v4 op_sel_hi:[0,1,0]
	s_branch .LBB21_16
.LBB21_19:
	v_mov_b32_e32 v2, 0
	ds_read_b32 v2, v2 offset:1536
	s_cmp_lg_u64 s[6:7], 0
	s_cbranch_scc0 .LBB21_24
; %bb.20:
	s_load_dword s6, s[6:7], 0x0
	s_waitcnt lgkmcnt(0)
	v_div_scale_f32 v3, s[0:1], s6, s6, 1.0
	v_rcp_f32_e32 v5, v3
	v_div_scale_f32 v6, vcc, 1.0, s6, 1.0
	v_fma_f32 v7, -v3, v5, 1.0
	v_fmac_f32_e32 v5, v7, v5
	v_mul_f32_e32 v7, v6, v5
	v_fma_f32 v8, -v3, v7, v6
	v_fmac_f32_e32 v7, v8, v5
	v_fma_f32 v3, -v3, v7, v6
	v_div_fmas_f32 v3, v3, v5, v7
	v_div_fixup_f32 v3, v3, s6, 1.0
	s_andn2_b64 vcc, exec, s[28:29]
	s_cbranch_vccnz .LBB21_22
.LBB21_21:
	s_add_u32 s0, s26, s30
	s_addc_u32 s1, s27, s31
	s_load_dword s24, s[0:1], 0x0
	s_mov_b32 s25, 0
.LBB21_22:
	s_waitcnt lgkmcnt(0)
	v_add_f32_e32 v2, 0x358637bd, v2
	v_div_scale_f32 v5, s[0:1], v2, v2, 1.0
	v_rcp_f32_e32 v6, v5
	v_div_scale_f32 v7, vcc, 1.0, v2, 1.0
	s_mul_i32 s0, s3, s25
	v_fma_f32 v8, -v5, v6, 1.0
	v_fmac_f32_e32 v6, v8, v6
	v_mul_f32_e32 v8, v7, v6
	v_fma_f32 v9, -v5, v8, v7
	v_fmac_f32_e32 v8, v9, v6
	v_fma_f32 v5, -v5, v8, v7
	s_mul_hi_u32 s1, s3, s24
	v_div_fmas_f32 v5, v5, v6, v8
	s_add_i32 s1, s1, s0
	s_mul_i32 s0, s3, s24
	v_div_fixup_f32 v2, v5, v2, 1.0
	s_lshl_b64 s[0:1], s[0:1], 6
	v_mul_f32_e32 v2, v4, v2
	s_add_u32 s4, s4, s0
	s_mov_b32 s3, 0
	v_mul_f32_e32 v2, v2, v3
	s_addc_u32 s5, s5, s1
	s_lshl_b64 s[0:1], s[2:3], 6
	s_mov_b32 s2, 0x7f800000
	s_mov_b32 s3, 0x43700000
	v_mov_b32_e32 v3, 0xc3700000
	v_med3_f32 v3, v2, s3, v3
	v_cmp_nlg_f32_e64 vcc, |v2|, s2
	s_add_u32 s0, s4, s0
	s_addc_u32 s1, s5, s1
	v_cndmask_b32_e32 v2, v3, v2, vcc
	v_mov_b32_e32 v3, 0
	v_cvt_pk_fp8_f32 v3, v2, v2
	v_lshl_add_u64 v[0:1], s[0:1], 0, v[0:1]
	global_store_byte v[0:1], v3, off
	s_endpgm
.LBB21_23:
	s_mov_b64 s[6:7], 0
	s_branch .LBB21_2
.LBB21_24:
	v_mov_b32_e32 v3, 1.0
	s_andn2_b64 vcc, exec, s[28:29]
	s_cbranch_vccz .LBB21_21
	s_branch .LBB21_22
	.section	.rodata,"a",@progbits
	.p2align	6, 0x0
	.amdhsa_kernel _Z35paged_attention_ll4mi_reduce_kernelIDF16_hLi64ELi64ELi256ELi6EEvPT0_PKfS3_PKT_PKiS8_iS3_
		.amdhsa_group_segment_fixed_size 1540
		.amdhsa_private_segment_fixed_size 0
		.amdhsa_kernarg_size 320
		.amdhsa_user_sgpr_count 2
		.amdhsa_user_sgpr_dispatch_ptr 0
		.amdhsa_user_sgpr_queue_ptr 0
		.amdhsa_user_sgpr_kernarg_segment_ptr 1
		.amdhsa_user_sgpr_dispatch_id 0
		.amdhsa_user_sgpr_kernarg_preload_length 0
		.amdhsa_user_sgpr_kernarg_preload_offset 0
		.amdhsa_user_sgpr_private_segment_size 0
		.amdhsa_uses_dynamic_stack 0
		.amdhsa_enable_private_segment 0
		.amdhsa_system_sgpr_workgroup_id_x 1
		.amdhsa_system_sgpr_workgroup_id_y 1
		.amdhsa_system_sgpr_workgroup_id_z 0
		.amdhsa_system_sgpr_workgroup_info 0
		.amdhsa_system_vgpr_workitem_id 0
		.amdhsa_next_free_vgpr 92
		.amdhsa_next_free_sgpr 42
		.amdhsa_accum_offset 92
		.amdhsa_reserve_vcc 1
		.amdhsa_float_round_mode_32 0
		.amdhsa_float_round_mode_16_64 0
		.amdhsa_float_denorm_mode_32 3
		.amdhsa_float_denorm_mode_16_64 3
		.amdhsa_dx10_clamp 1
		.amdhsa_ieee_mode 1
		.amdhsa_fp16_overflow 0
		.amdhsa_tg_split 0
		.amdhsa_exception_fp_ieee_invalid_op 0
		.amdhsa_exception_fp_denorm_src 0
		.amdhsa_exception_fp_ieee_div_zero 0
		.amdhsa_exception_fp_ieee_overflow 0
		.amdhsa_exception_fp_ieee_underflow 0
		.amdhsa_exception_fp_ieee_inexact 0
		.amdhsa_exception_int_div_zero 0
	.end_amdhsa_kernel
	.section	.text._Z35paged_attention_ll4mi_reduce_kernelIDF16_hLi64ELi64ELi256ELi6EEvPT0_PKfS3_PKT_PKiS8_iS3_,"axG",@progbits,_Z35paged_attention_ll4mi_reduce_kernelIDF16_hLi64ELi64ELi256ELi6EEvPT0_PKfS3_PKT_PKiS8_iS3_,comdat
.Lfunc_end21:
	.size	_Z35paged_attention_ll4mi_reduce_kernelIDF16_hLi64ELi64ELi256ELi6EEvPT0_PKfS3_PKT_PKiS8_iS3_, .Lfunc_end21-_Z35paged_attention_ll4mi_reduce_kernelIDF16_hLi64ELi64ELi256ELi6EEvPT0_PKfS3_PKT_PKiS8_iS3_
                                        ; -- End function
	.section	.AMDGPU.csdata,"",@progbits
; Kernel info:
; codeLenInByte = 8844
; NumSgprs: 48
; NumVgprs: 92
; NumAgprs: 0
; TotalNumVgprs: 92
; ScratchSize: 0
; MemoryBound: 0
; FloatMode: 240
; IeeeMode: 1
; LDSByteSize: 1540 bytes/workgroup (compile time only)
; SGPRBlocks: 5
; VGPRBlocks: 11
; NumSGPRsForWavesPerEU: 48
; NumVGPRsForWavesPerEU: 92
; AccumOffset: 92
; Occupancy: 5
; WaveLimiterHint : 1
; COMPUTE_PGM_RSRC2:SCRATCH_EN: 0
; COMPUTE_PGM_RSRC2:USER_SGPR: 2
; COMPUTE_PGM_RSRC2:TRAP_HANDLER: 0
; COMPUTE_PGM_RSRC2:TGID_X_EN: 1
; COMPUTE_PGM_RSRC2:TGID_Y_EN: 1
; COMPUTE_PGM_RSRC2:TGID_Z_EN: 0
; COMPUTE_PGM_RSRC2:TIDIG_COMP_CNT: 0
; COMPUTE_PGM_RSRC3_GFX90A:ACCUM_OFFSET: 22
; COMPUTE_PGM_RSRC3_GFX90A:TG_SPLIT: 0
	.section	.text._Z35paged_attention_ll4mi_reduce_kernelIDF16_hLi64ELi64ELi256ELi7EEvPT0_PKfS3_PKT_PKiS8_iS3_,"axG",@progbits,_Z35paged_attention_ll4mi_reduce_kernelIDF16_hLi64ELi64ELi256ELi7EEvPT0_PKfS3_PKT_PKiS8_iS3_,comdat
	.protected	_Z35paged_attention_ll4mi_reduce_kernelIDF16_hLi64ELi64ELi256ELi7EEvPT0_PKfS3_PKT_PKiS8_iS3_ ; -- Begin function _Z35paged_attention_ll4mi_reduce_kernelIDF16_hLi64ELi64ELi256ELi7EEvPT0_PKfS3_PKT_PKiS8_iS3_
	.globl	_Z35paged_attention_ll4mi_reduce_kernelIDF16_hLi64ELi64ELi256ELi7EEvPT0_PKfS3_PKT_PKiS8_iS3_
	.p2align	8
	.type	_Z35paged_attention_ll4mi_reduce_kernelIDF16_hLi64ELi64ELi256ELi7EEvPT0_PKfS3_PKT_PKiS8_iS3_,@function
_Z35paged_attention_ll4mi_reduce_kernelIDF16_hLi64ELi64ELi256ELi7EEvPT0_PKfS3_PKT_PKiS8_iS3_: ; @_Z35paged_attention_ll4mi_reduce_kernelIDF16_hLi64ELi64ELi256ELi7EEvPT0_PKfS3_PKT_PKiS8_iS3_
; %bb.0:
	s_load_dwordx2 s[26:27], s[0:1], 0x28
	s_mov_b32 s24, s3
	s_mov_b64 s[4:5], 0
	s_waitcnt lgkmcnt(0)
	s_cmp_lg_u64 s[26:27], 0
	s_cselect_b64 s[28:29], -1, 0
	s_and_b64 vcc, exec, s[28:29]
	s_cbranch_vccz .LBB22_23
; %bb.1:
	s_add_i32 s6, s24, 1
	s_mov_b32 s7, 0
	s_lshl_b64 s[8:9], s[6:7], 2
	s_add_u32 s8, s26, s8
	s_mov_b32 s25, s7
	s_addc_u32 s9, s27, s9
	s_lshl_b64 s[6:7], s[24:25], 2
	s_add_u32 s6, s26, s6
	s_addc_u32 s7, s27, s7
	s_load_dword s3, s[8:9], 0x0
	s_load_dword s10, s[6:7], 0x0
	s_waitcnt lgkmcnt(0)
	s_sub_i32 s3, s3, s10
	s_cmp_eq_u32 s3, 1
	s_cselect_b64 s[6:7], -1, 0
	s_andn2_b64 vcc, exec, s[4:5]
	s_cbranch_vccnz .LBB22_3
.LBB22_2:
	s_mov_b32 s25, 0
	s_mov_b64 s[6:7], -1
.LBB22_3:
	s_andn2_b64 vcc, exec, s[6:7]
	s_cbranch_vccz .LBB22_5
; %bb.4:
	s_endpgm
.LBB22_5:
	s_load_dwordx4 s[20:23], s[0:1], 0x18
	s_load_dword s8, s[0:1], 0x30
	s_lshl_b64 s[30:31], s[24:25], 2
	v_cmp_lt_u32_e32 vcc, 63, v0
	s_waitcnt lgkmcnt(0)
	s_add_u32 s4, s22, s30
	s_addc_u32 s5, s23, s31
	s_load_dword s40, s[4:5], 0x0
	s_load_dword s3, s[0:1], 0x40
	s_mul_i32 s22, s2, s8
	s_mul_i32 s6, s24, s8
	s_waitcnt lgkmcnt(0)
	s_add_i32 s7, s40, 0xff
	s_ashr_i32 s4, s7, 31
	s_lshr_b32 s4, s4, 24
	s_add_i32 s7, s7, s4
	s_and_saveexec_b64 s[4:5], vcc
	s_xor_b64 s[4:5], exec, s[4:5]
	s_or_saveexec_b64 s[34:35], s[4:5]
	s_ashr_i32 s33, s7, 8
	v_mov_b32_e32 v1, s22
	s_mul_i32 s36, s6, s3
	s_xor_b64 exec, exec, s[34:35]
	s_cbranch_execz .LBB22_9
; %bb.6:
	s_add_i32 s4, s33, -1
	v_or_b32_e32 v3, 64, v0
	v_mov_b32_e32 v1, s4
	v_cmp_gt_u32_e64 s[12:13], s33, v3
	s_load_dwordx4 s[16:19], s[0:1], 0x8
	s_mov_b32 s37, 0
	v_cndmask_b32_e64 v4, v1, v3, s[12:13]
	v_or_b32_e32 v3, 0x80, v0
	v_cmp_gt_u32_e64 s[10:11], s33, v3
	s_lshl_b64 s[38:39], s[36:37], 2
	s_mov_b32 s23, s37
	v_cndmask_b32_e64 v6, v1, v3, s[10:11]
	v_or_b32_e32 v3, 0xc0, v0
	v_cmp_gt_u32_e64 s[8:9], s33, v3
	v_cmp_gt_u32_e64 s[14:15], s33, v0
	s_waitcnt lgkmcnt(0)
	s_add_u32 s37, s18, s38
	v_cndmask_b32_e64 v8, v1, v3, s[8:9]
	v_or_b32_e32 v3, 0x100, v0
	v_cmp_gt_u32_e64 s[6:7], s33, v3
	v_cndmask_b32_e64 v2, v1, v0, s[14:15]
	s_addc_u32 s41, s19, s39
	v_cndmask_b32_e64 v10, v1, v3, s[6:7]
	v_or_b32_e32 v3, 0x140, v0
	v_cmp_gt_u32_e64 s[4:5], s33, v3
	s_lshl_b64 s[18:19], s[22:23], 2
	s_add_u32 s42, s37, s18
	v_cndmask_b32_e64 v12, v1, v3, s[4:5]
	v_or_b32_e32 v3, 0x180, v0
	v_cmp_gt_u32_e32 vcc, s33, v3
	s_addc_u32 s43, s41, s19
	v_ashrrev_i32_e32 v5, 31, v4
	v_cndmask_b32_e32 v14, v1, v3, vcc
	v_ashrrev_i32_e32 v3, 31, v2
	v_lshlrev_b64 v[2:3], 2, v[2:3]
	v_ashrrev_i32_e32 v7, 31, v6
	v_ashrrev_i32_e32 v9, 31, v8
	;; [unrolled: 1-line block ×5, first 2 shown]
	v_lshl_add_u64 v[16:17], s[42:43], 0, v[2:3]
	v_lshlrev_b64 v[4:5], 2, v[4:5]
	v_lshlrev_b64 v[6:7], 2, v[6:7]
	;; [unrolled: 1-line block ×6, first 2 shown]
	v_lshl_add_u64 v[18:19], s[42:43], 0, v[4:5]
	v_lshl_add_u64 v[20:21], s[42:43], 0, v[6:7]
	;; [unrolled: 1-line block ×6, first 2 shown]
	global_load_dword v1, v[16:17], off
	global_load_dword v30, v[18:19], off
	;; [unrolled: 1-line block ×7, first 2 shown]
	v_mbcnt_lo_u32_b32 v16, -1, 0
	s_add_u32 s16, s16, s38
	v_mbcnt_hi_u32_b32 v16, -1, v16
	s_addc_u32 s17, s17, s39
	v_and_b32_e32 v18, 64, v16
	s_add_u32 s18, s16, s18
	v_xor_b32_e32 v19, 32, v16
	s_addc_u32 s19, s17, s19
	v_add_u32_e32 v18, 64, v18
	v_lshl_add_u64 v[2:3], s[18:19], 0, v[2:3]
	v_cmp_lt_i32_e64 s[16:17], v19, v18
	global_load_dword v22, v[2:3], off
	v_xor_b32_e32 v20, 16, v16
	v_cndmask_b32_e64 v2, v16, v19, s[16:17]
	v_lshlrev_b32_e32 v19, 2, v2
	v_cmp_lt_i32_e64 s[16:17], v20, v18
	v_xor_b32_e32 v21, 8, v16
	v_xor_b32_e32 v23, 4, v16
	;; [unrolled: 1-line block ×3, first 2 shown]
	s_mov_b32 s41, 0x3fb8aa3b
	s_mov_b32 s23, 0xc2ce8ed0
	;; [unrolled: 1-line block ×3, first 2 shown]
	v_mov_b32_e32 v17, 0x7f800000
	s_waitcnt vmcnt(5)
	v_max3_f32 v2, v1, v30, v31
	s_waitcnt vmcnt(3)
	v_max3_f32 v2, v2, v32, v33
	;; [unrolled: 2-line block ×3, first 2 shown]
	ds_bpermute_b32 v26, v19, v25
	v_cndmask_b32_e64 v2, v16, v20, s[16:17]
	v_lshlrev_b32_e32 v20, 2, v2
	v_lshl_add_u64 v[2:3], s[18:19], 0, v[4:5]
	global_load_dword v27, v[2:3], off
	s_waitcnt lgkmcnt(0)
	v_max_f32_e32 v2, v26, v26
	v_max_f32_e32 v2, v25, v2
	ds_bpermute_b32 v3, v20, v2
	v_cmp_lt_i32_e64 s[16:17], v21, v18
	v_xor_b32_e32 v4, 1, v16
	s_waitcnt lgkmcnt(0)
	v_max_f32_e32 v3, v3, v3
	v_cndmask_b32_e64 v5, v16, v21, s[16:17]
	v_lshlrev_b32_e32 v21, 2, v5
	v_max_f32_e32 v5, v2, v3
	ds_bpermute_b32 v25, v21, v5
	v_cmp_lt_i32_e64 s[16:17], v23, v18
	s_nop 1
	v_cndmask_b32_e64 v2, v16, v23, s[16:17]
	v_lshlrev_b32_e32 v23, 2, v2
	v_lshl_add_u64 v[2:3], s[18:19], 0, v[6:7]
	global_load_dword v26, v[2:3], off
	s_waitcnt lgkmcnt(0)
	v_max_f32_e32 v2, v25, v25
	v_max_f32_e32 v2, v5, v2
	ds_bpermute_b32 v3, v23, v2
	v_cmp_lt_i32_e64 s[16:17], v24, v18
	v_lshl_add_u64 v[6:7], s[18:19], 0, v[12:13]
	s_waitcnt lgkmcnt(0)
	v_max_f32_e32 v3, v3, v3
	v_cndmask_b32_e64 v5, v16, v24, s[16:17]
	v_cmp_lt_i32_e64 s[16:17], v4, v18
	v_max_f32_e32 v18, v2, v3
	v_lshl_add_u64 v[2:3], s[18:19], 0, v[8:9]
	global_load_dword v9, v[2:3], off
	v_cndmask_b32_e64 v4, v16, v4, s[16:17]
	v_lshlrev_b32_e32 v16, 2, v5
	v_lshlrev_b32_e32 v25, 2, v4
	v_lshl_add_u64 v[4:5], s[18:19], 0, v[10:11]
	v_lshl_add_u64 v[2:3], s[18:19], 0, v[14:15]
	global_load_dword v11, v[4:5], off
	global_load_dword v12, v[6:7], off
	global_load_dword v13, v[2:3], off
	ds_bpermute_b32 v24, v16, v18
	s_waitcnt lgkmcnt(0)
	v_max_f32_e32 v8, v24, v24
	v_max_f32_e32 v8, v18, v8
	ds_bpermute_b32 v10, v25, v8
	s_waitcnt lgkmcnt(0)
	v_max_f32_e32 v2, v10, v10
	v_max_f32_e32 v2, v8, v2
	v_sub_f32_e32 v1, v1, v2
	v_mul_f32_e32 v4, 0x3fb8aa3b, v1
	v_fma_f32 v5, v1, s41, -v4
	v_rndne_f32_e32 v6, v4
	v_fmac_f32_e32 v5, 0x32a5705f, v1
	v_sub_f32_e32 v4, v4, v6
	v_add_f32_e32 v4, v4, v5
	v_cvt_i32_f32_e32 v6, v6
	v_exp_f32_e32 v4, v4
	v_sub_f32_e32 v3, v30, v2
	v_mul_f32_e32 v5, 0x3fb8aa3b, v3
	v_fma_f32 v7, v3, s41, -v5
	v_ldexp_f32 v4, v4, v6
	v_rndne_f32_e32 v6, v5
	v_fmac_f32_e32 v7, 0x32a5705f, v3
	v_sub_f32_e32 v5, v5, v6
	v_add_f32_e32 v5, v5, v7
	v_exp_f32_e32 v5, v5
	v_cvt_i32_f32_e32 v6, v6
	v_cmp_ngt_f32_e64 s[16:17], s23, v1
	s_nop 1
	v_cndmask_b32_e64 v4, 0, v4, s[16:17]
	v_cmp_nlt_f32_e64 s[16:17], s37, v1
	s_nop 1
	v_cndmask_b32_e64 v1, v17, v4, s[16:17]
	v_ldexp_f32 v4, v5, v6
	v_sub_f32_e32 v5, v31, v2
	v_mul_f32_e32 v6, 0x3fb8aa3b, v5
	v_fma_f32 v7, v5, s41, -v6
	v_rndne_f32_e32 v8, v6
	v_fmac_f32_e32 v7, 0x32a5705f, v5
	v_sub_f32_e32 v6, v6, v8
	v_add_f32_e32 v6, v6, v7
	v_exp_f32_e32 v6, v6
	v_cvt_i32_f32_e32 v7, v8
	v_cndmask_b32_e64 v1, 0, v1, s[14:15]
	v_cmp_ngt_f32_e64 s[14:15], s23, v3
	s_waitcnt vmcnt(6)
	v_mul_f32_e32 v1, v22, v1
	v_cndmask_b32_e64 v4, 0, v4, s[14:15]
	v_cmp_nlt_f32_e64 s[14:15], s37, v3
	s_nop 1
	v_cndmask_b32_e64 v3, v17, v4, s[14:15]
	v_ldexp_f32 v4, v6, v7
	v_sub_f32_e32 v6, v32, v2
	v_mul_f32_e32 v7, 0x3fb8aa3b, v6
	v_fma_f32 v8, v6, s41, -v7
	v_rndne_f32_e32 v10, v7
	v_fmac_f32_e32 v8, 0x32a5705f, v6
	v_sub_f32_e32 v7, v7, v10
	v_add_f32_e32 v7, v7, v8
	v_exp_f32_e32 v7, v7
	v_cvt_i32_f32_e32 v8, v10
	v_cndmask_b32_e64 v3, 0, v3, s[12:13]
	v_cmp_ngt_f32_e64 s[12:13], s23, v5
	s_waitcnt vmcnt(5)
	v_mul_f32_e32 v3, v27, v3
	v_cndmask_b32_e64 v4, 0, v4, s[12:13]
	v_cmp_nlt_f32_e64 s[12:13], s37, v5
	v_ldexp_f32 v5, v7, v8
	v_sub_f32_e32 v7, v33, v2
	v_mul_f32_e32 v8, 0x3fb8aa3b, v7
	v_fma_f32 v10, v7, s41, -v8
	v_rndne_f32_e32 v14, v8
	v_fmac_f32_e32 v10, 0x32a5705f, v7
	v_sub_f32_e32 v8, v8, v14
	v_add_f32_e32 v8, v8, v10
	v_cndmask_b32_e64 v4, v17, v4, s[12:13]
	v_exp_f32_e32 v8, v8
	v_cvt_i32_f32_e32 v10, v14
	v_cndmask_b32_e64 v4, 0, v4, s[10:11]
	v_cmp_ngt_f32_e64 s[10:11], s23, v6
	s_waitcnt vmcnt(4)
	v_mul_f32_e32 v4, v26, v4
	v_cndmask_b32_e64 v5, 0, v5, s[10:11]
	v_cmp_nlt_f32_e64 s[10:11], s37, v6
	v_ldexp_f32 v6, v8, v10
	v_sub_f32_e32 v8, v34, v2
	v_cndmask_b32_e64 v5, v17, v5, s[10:11]
	v_cndmask_b32_e64 v5, 0, v5, s[8:9]
	s_waitcnt vmcnt(3)
	v_mul_f32_e32 v5, v9, v5
	v_mul_f32_e32 v9, 0x3fb8aa3b, v8
	v_fma_f32 v10, v8, s41, -v9
	v_rndne_f32_e32 v14, v9
	v_fmac_f32_e32 v10, 0x32a5705f, v8
	v_sub_f32_e32 v9, v9, v14
	v_add_f32_e32 v9, v9, v10
	v_exp_f32_e32 v9, v9
	v_cvt_i32_f32_e32 v10, v14
	v_cmp_ngt_f32_e64 s[8:9], s23, v7
	v_sub_f32_e32 v2, v35, v2
	s_nop 0
	v_cndmask_b32_e64 v6, 0, v6, s[8:9]
	v_cmp_nlt_f32_e64 s[8:9], s37, v7
	v_ldexp_f32 v7, v9, v10
	v_mul_f32_e32 v9, 0x3fb8aa3b, v2
	v_cndmask_b32_e64 v6, v17, v6, s[8:9]
	v_cndmask_b32_e64 v6, 0, v6, s[6:7]
	s_waitcnt vmcnt(2)
	v_mul_f32_e32 v6, v11, v6
	v_fma_f32 v10, v2, s41, -v9
	v_rndne_f32_e32 v11, v9
	v_fmac_f32_e32 v10, 0x32a5705f, v2
	v_sub_f32_e32 v9, v9, v11
	v_add_f32_e32 v9, v9, v10
	v_exp_f32_e32 v9, v9
	v_cvt_i32_f32_e32 v10, v11
	v_cmp_ngt_f32_e64 s[6:7], s23, v8
	v_lshlrev_b32_e32 v11, 2, v0
	ds_write2st64_b32 v11, v1, v3 offset1:1
	v_cndmask_b32_e64 v7, 0, v7, s[6:7]
	v_cmp_nlt_f32_e64 s[6:7], s37, v8
	v_ldexp_f32 v8, v9, v10
	s_nop 0
	v_cndmask_b32_e64 v7, v17, v7, s[6:7]
	v_cndmask_b32_e64 v7, 0, v7, s[4:5]
	v_cmp_ngt_f32_e64 s[4:5], s23, v2
	s_waitcnt vmcnt(1)
	v_mul_f32_e32 v7, v12, v7
	v_cndmask_b32_e64 v8, 0, v8, s[4:5]
	v_cmp_nlt_f32_e64 s[4:5], s37, v2
	s_nop 1
	v_cndmask_b32_e64 v2, v17, v8, s[4:5]
	v_add_f32_e32 v8, v1, v3
	v_add_f32_e32 v8, v8, v4
	;; [unrolled: 1-line block ×4, first 2 shown]
	v_cndmask_b32_e32 v2, 0, v2, vcc
	v_add_f32_e32 v8, v8, v7
	s_waitcnt vmcnt(0)
	v_fmac_f32_e32 v8, v13, v2
	ds_bpermute_b32 v9, v19, v8
	v_mul_f32_e32 v10, v13, v2
	v_cmp_eq_u32_e32 vcc, 0, v0
	ds_write2st64_b32 v11, v4, v5 offset0:2 offset1:3
	ds_write2st64_b32 v11, v6, v7 offset0:4 offset1:5
	ds_write_b32 v11, v10 offset:1536
	s_waitcnt lgkmcnt(3)
	v_add_f32_e32 v8, v8, v9
	ds_bpermute_b32 v9, v20, v8
	s_waitcnt lgkmcnt(0)
	v_add_f32_e32 v8, v8, v9
	ds_bpermute_b32 v9, v21, v8
	;; [unrolled: 3-line block ×5, first 2 shown]
	s_and_saveexec_b64 s[4:5], vcc
	s_cbranch_execz .LBB22_8
; %bb.7:
	s_waitcnt lgkmcnt(0)
	v_add_f32_e32 v1, v1, v2
	v_mov_b32_e32 v2, 0
	ds_write_b32 v2, v1 offset:1792
.LBB22_8:
	s_or_b64 exec, exec, s[4:5]
	v_mov_b32_e32 v1, s22
.LBB22_9:
	s_or_b64 exec, exec, s[34:35]
	s_lshl_b32 s4, s36, 6
	s_mov_b32 s5, 0
	s_lshl_b64 s[4:5], s[4:5], 1
	s_add_u32 s4, s20, s4
	s_addc_u32 s5, s21, s5
	s_lshl_b32 s10, s33, 6
	s_waitcnt lgkmcnt(0)
	v_lshlrev_b32_e32 v2, 6, v1
	v_mov_b32_e32 v1, 0
	s_sub_i32 s11, s10, 64
	v_mov_b32_e32 v3, v1
	s_cmp_lt_i32 s40, 1
	v_lshl_add_u64 v[2:3], v[2:3], 1, s[4:5]
	s_cselect_b32 s4, s11, 0
	v_lshlrev_b32_e32 v4, 1, v0
	v_mov_b32_e32 v5, v1
	s_ashr_i32 s5, s4, 31
	v_lshl_add_u64 v[2:3], v[2:3], 0, v[4:5]
	s_cmpk_lt_i32 s40, 0x101
	v_lshl_add_u64 v[12:13], s[4:5], 1, v[2:3]
	s_cselect_b32 s4, s11, 64
	s_ashr_i32 s5, s4, 31
	s_cmpk_lt_i32 s40, 0x201
	v_lshl_add_u64 v[14:15], s[4:5], 1, v[2:3]
	s_cselect_b32 s4, s11, 0x80
	s_ashr_i32 s5, s4, 31
	;; [unrolled: 4-line block ×8, first 2 shown]
	s_cmpk_lt_i32 s40, 0x901
	global_load_ushort v4, v[12:13], off
	global_load_ushort v5, v[14:15], off
	;; [unrolled: 1-line block ×8, first 2 shown]
	v_lshl_add_u64 v[20:21], s[4:5], 1, v[2:3]
	s_cselect_b32 s4, s11, 0x240
	s_ashr_i32 s5, s4, 31
	s_cmpk_lt_i32 s40, 0xa01
	v_lshl_add_u64 v[22:23], s[4:5], 1, v[2:3]
	s_cselect_b32 s4, s11, 0x280
	s_ashr_i32 s5, s4, 31
	s_cmpk_lt_i32 s40, 0xb01
	;; [unrolled: 4-line block ×6, first 2 shown]
	v_lshl_add_u64 v[32:33], s[4:5], 1, v[2:3]
	s_cselect_b32 s4, s11, 0x3c0
	s_ashr_i32 s5, s4, 31
	v_lshl_add_u64 v[34:35], s[4:5], 1, v[2:3]
	global_load_ushort v12, v[20:21], off
	global_load_ushort v13, v[22:23], off
	;; [unrolled: 1-line block ×8, first 2 shown]
	s_cmpk_gt_i32 s40, 0x1000
	s_cselect_b64 s[8:9], -1, 0
	s_cmpk_lt_i32 s40, 0x1001
	v_mov_b32_e32 v36, 0
	v_mov_b32_e32 v37, 0
	;; [unrolled: 1-line block ×48, first 2 shown]
	s_waitcnt lgkmcnt(0)
	; wave barrier
	s_cbranch_scc1 .LBB22_12
; %bb.10:
	s_cmpk_lt_u32 s40, 0x1101
	s_cselect_b32 s4, s11, 0x440
	s_ashr_i32 s5, s4, 31
	s_cmpk_lt_u32 s40, 0x1201
	v_lshl_add_u64 v[28:29], s[4:5], 1, v[2:3]
	s_cselect_b32 s4, s11, 0x480
	s_ashr_i32 s5, s4, 31
	s_cmpk_lt_u32 s40, 0x1301
	v_lshl_add_u64 v[30:31], s[4:5], 1, v[2:3]
	;; [unrolled: 4-line block ×7, first 2 shown]
	s_cselect_b32 s4, s11, 0x600
	s_ashr_i32 s5, s4, 31
	s_cmpk_lt_u32 s40, 0x1901
	global_load_ushort v27, v[2:3], off offset:2048
	global_load_ushort v26, v[28:29], off
	global_load_ushort v25, v[30:31], off
	;; [unrolled: 1-line block ×7, first 2 shown]
	v_lshl_add_u64 v[36:37], s[4:5], 1, v[2:3]
	s_cselect_b32 s4, s11, 0x640
	s_ashr_i32 s5, s4, 31
	s_cmpk_lt_u32 s40, 0x1a01
	v_lshl_add_u64 v[38:39], s[4:5], 1, v[2:3]
	s_cselect_b32 s4, s11, 0x680
	s_ashr_i32 s5, s4, 31
	s_cmpk_lt_u32 s40, 0x1b01
	;; [unrolled: 4-line block ×6, first 2 shown]
	v_lshl_add_u64 v[48:49], s[4:5], 1, v[2:3]
	s_cselect_b32 s4, s11, 0x7c0
	s_ashr_i32 s5, s4, 31
	v_lshl_add_u64 v[50:51], s[4:5], 1, v[2:3]
	global_load_ushort v35, v[36:37], off
	global_load_ushort v34, v[38:39], off
	;; [unrolled: 1-line block ×8, first 2 shown]
	s_cmpk_lt_u32 s40, 0x2001
	v_mov_b32_e32 v67, 0
	v_mov_b32_e32 v66, 0
	;; [unrolled: 1-line block ×32, first 2 shown]
	s_cbranch_scc1 .LBB22_12
; %bb.11:
	s_cmpk_lt_u32 s40, 0x2101
	s_cselect_b32 s4, s11, 0x840
	s_ashr_i32 s5, s4, 31
	s_cmpk_lt_u32 s40, 0x2201
	v_lshl_add_u64 v[38:39], s[4:5], 1, v[2:3]
	s_cselect_b32 s4, s11, 0x880
	s_ashr_i32 s5, s4, 31
	s_cmpk_lt_u32 s40, 0x2301
	v_lshl_add_u64 v[40:41], s[4:5], 1, v[2:3]
	;; [unrolled: 4-line block ×7, first 2 shown]
	s_cselect_b32 s4, s11, 0xa00
	v_add_co_u32_e32 v36, vcc, 0x1000, v2
	s_ashr_i32 s5, s4, 31
	s_nop 0
	v_addc_co_u32_e32 v37, vcc, 0, v3, vcc
	s_cmpk_lt_u32 s40, 0x2901
	global_load_ushort v52, v[36:37], off
	global_load_ushort v53, v[38:39], off
	;; [unrolled: 1-line block ×8, first 2 shown]
	v_lshl_add_u64 v[36:37], s[4:5], 1, v[2:3]
	s_cselect_b32 s4, s11, 0xa40
	s_ashr_i32 s5, s4, 31
	s_cmpk_lt_u32 s40, 0x2a01
	v_lshl_add_u64 v[38:39], s[4:5], 1, v[2:3]
	s_cselect_b32 s4, s11, 0xa80
	s_ashr_i32 s5, s4, 31
	s_cmpk_lt_u32 s40, 0x2b01
	;; [unrolled: 4-line block ×8, first 2 shown]
	global_load_ushort v68, v[36:37], off
	global_load_ushort v69, v[38:39], off
	;; [unrolled: 1-line block ×8, first 2 shown]
	v_lshl_add_u64 v[36:37], s[4:5], 1, v[2:3]
	s_cselect_b32 s4, s11, 0xc40
	s_ashr_i32 s5, s4, 31
	s_cmpk_lt_u32 s40, 0x3201
	v_lshl_add_u64 v[38:39], s[4:5], 1, v[2:3]
	s_cselect_b32 s4, s11, 0xc80
	s_ashr_i32 s5, s4, 31
	s_cmpk_lt_u32 s40, 0x3301
	;; [unrolled: 4-line block ×8, first 2 shown]
	global_load_ushort v76, v[36:37], off
	global_load_ushort v77, v[38:39], off
	;; [unrolled: 1-line block ×8, first 2 shown]
	v_lshl_add_u64 v[36:37], s[4:5], 1, v[2:3]
	s_cselect_b32 s4, s11, 0xe40
	s_ashr_i32 s5, s4, 31
	s_cmpk_lt_u32 s40, 0x3a01
	v_lshl_add_u64 v[38:39], s[4:5], 1, v[2:3]
	s_cselect_b32 s4, s11, 0xe80
	s_ashr_i32 s5, s4, 31
	s_cmpk_lt_u32 s40, 0x3b01
	;; [unrolled: 4-line block ×6, first 2 shown]
	v_lshl_add_u64 v[48:49], s[4:5], 1, v[2:3]
	s_cselect_b32 s4, s11, 0xfc0
	s_ashr_i32 s5, s4, 31
	v_lshl_add_u64 v[50:51], s[4:5], 1, v[2:3]
	global_load_ushort v84, v[36:37], off
	global_load_ushort v85, v[38:39], off
	;; [unrolled: 1-line block ×8, first 2 shown]
	s_waitcnt vmcnt(31)
	v_cvt_f32_f16_e32 v67, v52
	s_waitcnt vmcnt(30)
	v_cvt_f32_f16_e32 v66, v53
	;; [unrolled: 2-line block ×32, first 2 shown]
.LBB22_12:
	ds_read_b128 v[68:71], v1
	s_load_dwordx2 s[4:5], s[0:1], 0x0
	s_load_dwordx2 s[6:7], s[0:1], 0x38
	ds_read_b128 v[72:75], v1 offset:16
	ds_read_b128 v[76:79], v1 offset:32
	;; [unrolled: 1-line block ×3, first 2 shown]
	s_and_b64 vcc, exec, s[8:9]
	s_waitcnt vmcnt(15) lgkmcnt(0)
	v_fma_mix_f32 v4, v68, v4, 0 op_sel_hi:[0,1,0]
	s_waitcnt vmcnt(14)
	v_fma_mix_f32 v4, v69, v5, v4 op_sel_hi:[0,1,0]
	s_waitcnt vmcnt(13)
	;; [unrolled: 2-line block ×15, first 2 shown]
	v_fma_mix_f32 v4, v83, v19, v4 op_sel_hi:[0,1,0]
	s_cbranch_vccz .LBB22_15
; %bb.13:
	ds_read_b128 v[6:9], v1 offset:64
	ds_read_b128 v[10:13], v1 offset:80
	;; [unrolled: 1-line block ×4, first 2 shown]
	s_cmpk_lt_u32 s40, 0x2001
	s_waitcnt lgkmcnt(3)
	v_fma_mix_f32 v4, v6, v27, v4 op_sel_hi:[0,1,0]
	v_fma_mix_f32 v4, v7, v26, v4 op_sel_hi:[0,1,0]
	v_fma_mix_f32 v4, v8, v25, v4 op_sel_hi:[0,1,0]
	v_fma_mix_f32 v4, v9, v24, v4 op_sel_hi:[0,1,0]
	s_waitcnt lgkmcnt(2)
	v_fma_mix_f32 v4, v10, v23, v4 op_sel_hi:[0,1,0]
	v_fma_mix_f32 v4, v11, v22, v4 op_sel_hi:[0,1,0]
	v_fma_mix_f32 v4, v12, v21, v4 op_sel_hi:[0,1,0]
	v_fma_mix_f32 v4, v13, v20, v4 op_sel_hi:[0,1,0]
	;; [unrolled: 5-line block ×4, first 2 shown]
	s_cbranch_scc1 .LBB22_15
; %bb.14:
	v_mov_b32_e32 v5, 0
	ds_read_b128 v[6:9], v5 offset:128
	ds_read_b128 v[10:13], v5 offset:144
	;; [unrolled: 1-line block ×4, first 2 shown]
	s_waitcnt lgkmcnt(3)
	v_fmac_f32_e32 v4, v6, v67
	v_fmac_f32_e32 v4, v7, v66
	v_fmac_f32_e32 v4, v8, v65
	v_fmac_f32_e32 v4, v9, v64
	s_waitcnt lgkmcnt(2)
	v_fmac_f32_e32 v4, v10, v63
	v_fmac_f32_e32 v4, v11, v62
	v_fmac_f32_e32 v4, v12, v61
	v_fmac_f32_e32 v4, v13, v60
	;; [unrolled: 5-line block ×3, first 2 shown]
	ds_read_b128 v[6:9], v5 offset:192
	ds_read_b128 v[10:13], v5 offset:208
	s_waitcnt lgkmcnt(2)
	v_fmac_f32_e32 v4, v18, v55
	v_fmac_f32_e32 v4, v19, v54
	;; [unrolled: 1-line block ×4, first 2 shown]
	s_waitcnt lgkmcnt(1)
	v_fmac_f32_e32 v4, v6, v51
	v_fmac_f32_e32 v4, v7, v50
	;; [unrolled: 1-line block ×4, first 2 shown]
	ds_read_b128 v[6:9], v5 offset:224
	s_waitcnt lgkmcnt(1)
	v_fmac_f32_e32 v4, v10, v47
	v_fmac_f32_e32 v4, v11, v46
	;; [unrolled: 1-line block ×4, first 2 shown]
	ds_read_b128 v[10:13], v5 offset:240
	s_waitcnt lgkmcnt(1)
	v_fmac_f32_e32 v4, v6, v43
	v_fmac_f32_e32 v4, v7, v42
	;; [unrolled: 1-line block ×4, first 2 shown]
	s_waitcnt lgkmcnt(0)
	v_fmac_f32_e32 v4, v10, v39
	v_fmac_f32_e32 v4, v11, v38
	;; [unrolled: 1-line block ×4, first 2 shown]
.LBB22_15:
	s_movk_i32 s0, 0x1fc0
	s_movk_i32 s1, 0x100
	s_mov_b32 s8, 64
	s_branch .LBB22_17
.LBB22_16:                              ;   in Loop: Header=BB22_17 Depth=1
	s_addk_i32 s0, 0x1000
	s_addk_i32 s1, 0x100
	s_add_i32 s8, s8, 64
	s_cmpk_eq_i32 s0, 0x7fc0
	s_cbranch_scc1 .LBB22_19
.LBB22_17:                              ; =>This Inner Loop Header: Depth=1
	s_cmp_le_i32 s33, s8
	s_cbranch_scc1 .LBB22_16
; %bb.18:                               ;   in Loop: Header=BB22_17 Depth=1
	s_add_i32 s9, s0, 0xfffff040
	s_cmp_lt_i32 s9, s10
	s_cselect_b32 s12, s9, s11
	s_ashr_i32 s13, s12, 31
	s_add_i32 s9, s0, 0xfffff080
	s_cmp_lt_i32 s9, s10
	v_lshl_add_u64 v[14:15], s[12:13], 1, v[2:3]
	s_cselect_b32 s12, s9, s11
	s_ashr_i32 s13, s12, 31
	s_add_i32 s9, s0, 0xfffff0c0
	s_cmp_lt_i32 s9, s10
	v_lshl_add_u64 v[16:17], s[12:13], 1, v[2:3]
	;; [unrolled: 5-line block ×8, first 2 shown]
	s_cselect_b32 s12, s9, s11
	s_ashr_i32 s13, s12, 31
	s_add_i32 s9, s0, 0xfffff280
	s_cmp_lt_i32 s9, s10
	global_load_ushort v5, v[14:15], off
	global_load_ushort v6, v[16:17], off
	global_load_ushort v7, v[18:19], off
	global_load_ushort v8, v[20:21], off
	global_load_ushort v9, v[22:23], off
	global_load_ushort v10, v[24:25], off
	global_load_ushort v11, v[26:27], off
	global_load_ushort v12, v[28:29], off
	v_lshl_add_u64 v[14:15], s[12:13], 1, v[2:3]
	s_cselect_b32 s12, s9, s11
	s_ashr_i32 s13, s12, 31
	s_add_i32 s9, s0, 0xfffff2c0
	s_cmp_lt_i32 s9, s10
	v_lshl_add_u64 v[16:17], s[12:13], 1, v[2:3]
	s_cselect_b32 s12, s9, s11
	s_ashr_i32 s13, s12, 31
	s_add_i32 s9, s0, 0xfffff300
	s_cmp_lt_i32 s9, s10
	v_lshl_add_u64 v[18:19], s[12:13], 1, v[2:3]
	s_cselect_b32 s12, s9, s11
	s_ashr_i32 s13, s12, 31
	s_add_i32 s9, s0, 0xfffff340
	s_cmp_lt_i32 s9, s10
	v_lshl_add_u64 v[20:21], s[12:13], 1, v[2:3]
	s_cselect_b32 s12, s9, s11
	s_ashr_i32 s13, s12, 31
	s_add_i32 s9, s0, 0xfffff380
	s_cmp_lt_i32 s9, s10
	v_lshl_add_u64 v[22:23], s[12:13], 1, v[2:3]
	s_cselect_b32 s12, s9, s11
	s_ashr_i32 s13, s12, 31
	s_add_i32 s9, s0, 0xfffff3c0
	s_cmp_lt_i32 s9, s10
	v_lshl_add_u64 v[24:25], s[12:13], 1, v[2:3]
	s_cselect_b32 s12, s9, s11
	s_ashr_i32 s13, s12, 31
	s_add_i32 s9, s0, 0xfffff400
	s_cmp_lt_i32 s9, s10
	v_lshl_add_u64 v[26:27], s[12:13], 1, v[2:3]
	s_cselect_b32 s12, s9, s11
	s_ashr_i32 s13, s12, 31
	s_add_i32 s9, s0, 0xfffff440
	s_cmp_lt_i32 s9, s10
	v_lshl_add_u64 v[28:29], s[12:13], 1, v[2:3]
	s_cselect_b32 s12, s9, s11
	s_ashr_i32 s13, s12, 31
	s_add_i32 s9, s0, 0xfffff480
	s_cmp_lt_i32 s9, s10
	global_load_ushort v13, v[14:15], off
	global_load_ushort v30, v[16:17], off
	global_load_ushort v31, v[18:19], off
	global_load_ushort v32, v[20:21], off
	global_load_ushort v33, v[22:23], off
	global_load_ushort v34, v[24:25], off
	global_load_ushort v35, v[26:27], off
	global_load_ushort v36, v[28:29], off
	v_lshl_add_u64 v[14:15], s[12:13], 1, v[2:3]
	s_cselect_b32 s12, s9, s11
	s_ashr_i32 s13, s12, 31
	s_add_i32 s9, s0, 0xfffff4c0
	s_cmp_lt_i32 s9, s10
	v_lshl_add_u64 v[16:17], s[12:13], 1, v[2:3]
	s_cselect_b32 s12, s9, s11
	s_ashr_i32 s13, s12, 31
	s_add_i32 s9, s0, 0xfffff500
	s_cmp_lt_i32 s9, s10
	v_lshl_add_u64 v[18:19], s[12:13], 1, v[2:3]
	s_cselect_b32 s12, s9, s11
	s_ashr_i32 s13, s12, 31
	s_add_i32 s9, s0, 0xfffff540
	s_cmp_lt_i32 s9, s10
	v_lshl_add_u64 v[20:21], s[12:13], 1, v[2:3]
	s_cselect_b32 s12, s9, s11
	s_ashr_i32 s13, s12, 31
	s_add_i32 s9, s0, 0xfffff580
	s_cmp_lt_i32 s9, s10
	v_lshl_add_u64 v[22:23], s[12:13], 1, v[2:3]
	s_cselect_b32 s12, s9, s11
	s_ashr_i32 s13, s12, 31
	s_add_i32 s9, s0, 0xfffff5c0
	s_cmp_lt_i32 s9, s10
	v_lshl_add_u64 v[24:25], s[12:13], 1, v[2:3]
	s_cselect_b32 s12, s9, s11
	s_ashr_i32 s13, s12, 31
	s_add_i32 s9, s0, 0xfffff600
	s_cmp_lt_i32 s9, s10
	v_lshl_add_u64 v[26:27], s[12:13], 1, v[2:3]
	s_cselect_b32 s12, s9, s11
	s_ashr_i32 s13, s12, 31
	s_add_i32 s9, s0, 0xfffff640
	s_cmp_lt_i32 s9, s10
	v_lshl_add_u64 v[28:29], s[12:13], 1, v[2:3]
	;; [unrolled: 48-line block ×6, first 2 shown]
	s_cselect_b32 s12, s9, s11
	s_ashr_i32 s13, s12, 31
	s_add_i32 s9, s0, 0xfffffe80
	s_cmp_lt_i32 s9, s10
	global_load_ushort v69, v[14:15], off
	global_load_ushort v70, v[16:17], off
	;; [unrolled: 1-line block ×8, first 2 shown]
	v_lshl_add_u64 v[14:15], s[12:13], 1, v[2:3]
	s_cselect_b32 s12, s9, s11
	s_ashr_i32 s13, s12, 31
	s_add_i32 s9, s0, 0xfffffec0
	s_cmp_lt_i32 s9, s10
	v_lshl_add_u64 v[16:17], s[12:13], 1, v[2:3]
	s_cselect_b32 s12, s9, s11
	s_ashr_i32 s13, s12, 31
	s_add_i32 s9, s0, 0xffffff00
	s_cmp_lt_i32 s9, s10
	;; [unrolled: 5-line block ×4, first 2 shown]
	v_lshl_add_u64 v[22:23], s[12:13], 1, v[2:3]
	s_cselect_b32 s12, s9, s11
	s_ashr_i32 s13, s12, 31
	s_sub_i32 s9, s0, 64
	s_cmp_lt_i32 s9, s10
	v_lshl_add_u64 v[24:25], s[12:13], 1, v[2:3]
	s_cselect_b32 s12, s9, s11
	s_ashr_i32 s13, s12, 31
	s_cmp_lt_i32 s0, s10
	v_lshl_add_u64 v[26:27], s[12:13], 1, v[2:3]
	s_cselect_b32 s12, s0, s11
	s_ashr_i32 s13, s12, 31
	v_lshl_add_u64 v[28:29], s[12:13], 1, v[2:3]
	global_load_ushort v77, v[14:15], off
	global_load_ushort v78, v[16:17], off
	;; [unrolled: 1-line block ×8, first 2 shown]
	v_mov_b32_e32 v85, s1
	ds_read_b128 v[14:17], v85
	ds_read_b128 v[18:21], v85 offset:16
	ds_read_b128 v[22:25], v85 offset:32
	;; [unrolled: 1-line block ×3, first 2 shown]
	s_waitcnt vmcnt(62) lgkmcnt(3)
	v_fma_mix_f32 v4, v14, v5, v4 op_sel_hi:[0,1,0]
	v_fma_mix_f32 v4, v15, v6, v4 op_sel_hi:[0,1,0]
	s_waitcnt vmcnt(61)
	v_fma_mix_f32 v4, v16, v7, v4 op_sel_hi:[0,1,0]
	s_waitcnt vmcnt(60)
	v_fma_mix_f32 v4, v17, v8, v4 op_sel_hi:[0,1,0]
	s_waitcnt vmcnt(59) lgkmcnt(2)
	v_fma_mix_f32 v4, v18, v9, v4 op_sel_hi:[0,1,0]
	s_waitcnt vmcnt(58)
	v_fma_mix_f32 v4, v19, v10, v4 op_sel_hi:[0,1,0]
	s_waitcnt vmcnt(57)
	;; [unrolled: 2-line block ×3, first 2 shown]
	v_fma_mix_f32 v4, v21, v12, v4 op_sel_hi:[0,1,0]
	s_waitcnt vmcnt(55) lgkmcnt(1)
	v_fma_mix_f32 v4, v22, v13, v4 op_sel_hi:[0,1,0]
	s_waitcnt vmcnt(54)
	v_fma_mix_f32 v4, v23, v30, v4 op_sel_hi:[0,1,0]
	s_waitcnt vmcnt(53)
	v_fma_mix_f32 v4, v24, v31, v4 op_sel_hi:[0,1,0]
	s_waitcnt vmcnt(52)
	v_fma_mix_f32 v4, v25, v32, v4 op_sel_hi:[0,1,0]
	s_waitcnt vmcnt(51) lgkmcnt(0)
	v_fma_mix_f32 v8, v26, v33, v4 op_sel_hi:[0,1,0]
	ds_read_b128 v[4:7], v85 offset:64
	s_waitcnt vmcnt(50)
	v_fma_mix_f32 v8, v27, v34, v8 op_sel_hi:[0,1,0]
	s_waitcnt vmcnt(49)
	v_fma_mix_f32 v8, v28, v35, v8 op_sel_hi:[0,1,0]
	s_waitcnt vmcnt(48)
	v_fma_mix_f32 v12, v29, v36, v8 op_sel_hi:[0,1,0]
	ds_read_b128 v[8:11], v85 offset:80
	s_waitcnt vmcnt(47) lgkmcnt(1)
	v_fma_mix_f32 v4, v4, v37, v12 op_sel_hi:[0,1,0]
	s_waitcnt vmcnt(46)
	v_fma_mix_f32 v4, v5, v38, v4 op_sel_hi:[0,1,0]
	s_waitcnt vmcnt(45)
	v_fma_mix_f32 v4, v6, v39, v4 op_sel_hi:[0,1,0]
	s_waitcnt vmcnt(44)
	v_fma_mix_f32 v4, v7, v40, v4 op_sel_hi:[0,1,0]
	s_waitcnt vmcnt(43) lgkmcnt(0)
	v_fma_mix_f32 v8, v8, v41, v4 op_sel_hi:[0,1,0]
	ds_read_b128 v[4:7], v85 offset:96
	s_waitcnt vmcnt(42)
	v_fma_mix_f32 v8, v9, v42, v8 op_sel_hi:[0,1,0]
	s_waitcnt vmcnt(41)
	v_fma_mix_f32 v8, v10, v43, v8 op_sel_hi:[0,1,0]
	s_waitcnt vmcnt(40)
	v_fma_mix_f32 v12, v11, v44, v8 op_sel_hi:[0,1,0]
	ds_read_b128 v[8:11], v85 offset:112
	;; [unrolled: 18-line block ×6, first 2 shown]
	s_waitcnt vmcnt(7) lgkmcnt(1)
	v_fma_mix_f32 v4, v4, v77, v12 op_sel_hi:[0,1,0]
	s_waitcnt vmcnt(6)
	v_fma_mix_f32 v4, v5, v78, v4 op_sel_hi:[0,1,0]
	s_waitcnt vmcnt(5)
	;; [unrolled: 2-line block ×3, first 2 shown]
	v_fma_mix_f32 v4, v7, v80, v4 op_sel_hi:[0,1,0]
	s_waitcnt vmcnt(3) lgkmcnt(0)
	v_fma_mix_f32 v4, v8, v81, v4 op_sel_hi:[0,1,0]
	s_waitcnt vmcnt(2)
	v_fma_mix_f32 v4, v9, v82, v4 op_sel_hi:[0,1,0]
	s_waitcnt vmcnt(1)
	;; [unrolled: 2-line block ×3, first 2 shown]
	v_fma_mix_f32 v4, v11, v84, v4 op_sel_hi:[0,1,0]
	s_branch .LBB22_16
.LBB22_19:
	v_mov_b32_e32 v2, 0
	ds_read_b32 v2, v2 offset:1792
	s_cmp_lg_u64 s[6:7], 0
	s_cbranch_scc0 .LBB22_24
; %bb.20:
	s_load_dword s6, s[6:7], 0x0
	s_waitcnt lgkmcnt(0)
	v_div_scale_f32 v3, s[0:1], s6, s6, 1.0
	v_rcp_f32_e32 v5, v3
	v_div_scale_f32 v6, vcc, 1.0, s6, 1.0
	v_fma_f32 v7, -v3, v5, 1.0
	v_fmac_f32_e32 v5, v7, v5
	v_mul_f32_e32 v7, v6, v5
	v_fma_f32 v8, -v3, v7, v6
	v_fmac_f32_e32 v7, v8, v5
	v_fma_f32 v3, -v3, v7, v6
	v_div_fmas_f32 v3, v3, v5, v7
	v_div_fixup_f32 v3, v3, s6, 1.0
	s_andn2_b64 vcc, exec, s[28:29]
	s_cbranch_vccnz .LBB22_22
.LBB22_21:
	s_add_u32 s0, s26, s30
	s_addc_u32 s1, s27, s31
	s_load_dword s24, s[0:1], 0x0
	s_mov_b32 s25, 0
.LBB22_22:
	s_waitcnt lgkmcnt(0)
	v_add_f32_e32 v2, 0x358637bd, v2
	v_div_scale_f32 v5, s[0:1], v2, v2, 1.0
	v_rcp_f32_e32 v6, v5
	v_div_scale_f32 v7, vcc, 1.0, v2, 1.0
	s_mul_i32 s0, s3, s25
	v_fma_f32 v8, -v5, v6, 1.0
	v_fmac_f32_e32 v6, v8, v6
	v_mul_f32_e32 v8, v7, v6
	v_fma_f32 v9, -v5, v8, v7
	v_fmac_f32_e32 v8, v9, v6
	v_fma_f32 v5, -v5, v8, v7
	s_mul_hi_u32 s1, s3, s24
	v_div_fmas_f32 v5, v5, v6, v8
	s_add_i32 s1, s1, s0
	s_mul_i32 s0, s3, s24
	v_div_fixup_f32 v2, v5, v2, 1.0
	s_lshl_b64 s[0:1], s[0:1], 6
	v_mul_f32_e32 v2, v4, v2
	s_add_u32 s4, s4, s0
	s_mov_b32 s3, 0
	v_mul_f32_e32 v2, v2, v3
	s_addc_u32 s5, s5, s1
	s_lshl_b64 s[0:1], s[2:3], 6
	s_mov_b32 s2, 0x7f800000
	s_mov_b32 s3, 0x43700000
	v_mov_b32_e32 v3, 0xc3700000
	v_med3_f32 v3, v2, s3, v3
	v_cmp_nlg_f32_e64 vcc, |v2|, s2
	s_add_u32 s0, s4, s0
	s_addc_u32 s1, s5, s1
	v_cndmask_b32_e32 v2, v3, v2, vcc
	v_mov_b32_e32 v3, 0
	v_cvt_pk_fp8_f32 v3, v2, v2
	v_lshl_add_u64 v[0:1], s[0:1], 0, v[0:1]
	global_store_byte v[0:1], v3, off
	s_endpgm
.LBB22_23:
	s_mov_b64 s[6:7], 0
	s_branch .LBB22_2
.LBB22_24:
	v_mov_b32_e32 v3, 1.0
	s_andn2_b64 vcc, exec, s[28:29]
	s_cbranch_vccz .LBB22_21
	s_branch .LBB22_22
	.section	.rodata,"a",@progbits
	.p2align	6, 0x0
	.amdhsa_kernel _Z35paged_attention_ll4mi_reduce_kernelIDF16_hLi64ELi64ELi256ELi7EEvPT0_PKfS3_PKT_PKiS8_iS3_
		.amdhsa_group_segment_fixed_size 1796
		.amdhsa_private_segment_fixed_size 0
		.amdhsa_kernarg_size 320
		.amdhsa_user_sgpr_count 2
		.amdhsa_user_sgpr_dispatch_ptr 0
		.amdhsa_user_sgpr_queue_ptr 0
		.amdhsa_user_sgpr_kernarg_segment_ptr 1
		.amdhsa_user_sgpr_dispatch_id 0
		.amdhsa_user_sgpr_kernarg_preload_length 0
		.amdhsa_user_sgpr_kernarg_preload_offset 0
		.amdhsa_user_sgpr_private_segment_size 0
		.amdhsa_uses_dynamic_stack 0
		.amdhsa_enable_private_segment 0
		.amdhsa_system_sgpr_workgroup_id_x 1
		.amdhsa_system_sgpr_workgroup_id_y 1
		.amdhsa_system_sgpr_workgroup_id_z 0
		.amdhsa_system_sgpr_workgroup_info 0
		.amdhsa_system_vgpr_workitem_id 0
		.amdhsa_next_free_vgpr 92
		.amdhsa_next_free_sgpr 44
		.amdhsa_accum_offset 92
		.amdhsa_reserve_vcc 1
		.amdhsa_float_round_mode_32 0
		.amdhsa_float_round_mode_16_64 0
		.amdhsa_float_denorm_mode_32 3
		.amdhsa_float_denorm_mode_16_64 3
		.amdhsa_dx10_clamp 1
		.amdhsa_ieee_mode 1
		.amdhsa_fp16_overflow 0
		.amdhsa_tg_split 0
		.amdhsa_exception_fp_ieee_invalid_op 0
		.amdhsa_exception_fp_denorm_src 0
		.amdhsa_exception_fp_ieee_div_zero 0
		.amdhsa_exception_fp_ieee_overflow 0
		.amdhsa_exception_fp_ieee_underflow 0
		.amdhsa_exception_fp_ieee_inexact 0
		.amdhsa_exception_int_div_zero 0
	.end_amdhsa_kernel
	.section	.text._Z35paged_attention_ll4mi_reduce_kernelIDF16_hLi64ELi64ELi256ELi7EEvPT0_PKfS3_PKT_PKiS8_iS3_,"axG",@progbits,_Z35paged_attention_ll4mi_reduce_kernelIDF16_hLi64ELi64ELi256ELi7EEvPT0_PKfS3_PKT_PKiS8_iS3_,comdat
.Lfunc_end22:
	.size	_Z35paged_attention_ll4mi_reduce_kernelIDF16_hLi64ELi64ELi256ELi7EEvPT0_PKfS3_PKT_PKiS8_iS3_, .Lfunc_end22-_Z35paged_attention_ll4mi_reduce_kernelIDF16_hLi64ELi64ELi256ELi7EEvPT0_PKfS3_PKT_PKiS8_iS3_
                                        ; -- End function
	.section	.AMDGPU.csdata,"",@progbits
; Kernel info:
; codeLenInByte = 9016
; NumSgprs: 50
; NumVgprs: 92
; NumAgprs: 0
; TotalNumVgprs: 92
; ScratchSize: 0
; MemoryBound: 0
; FloatMode: 240
; IeeeMode: 1
; LDSByteSize: 1796 bytes/workgroup (compile time only)
; SGPRBlocks: 6
; VGPRBlocks: 11
; NumSGPRsForWavesPerEU: 50
; NumVGPRsForWavesPerEU: 92
; AccumOffset: 92
; Occupancy: 5
; WaveLimiterHint : 1
; COMPUTE_PGM_RSRC2:SCRATCH_EN: 0
; COMPUTE_PGM_RSRC2:USER_SGPR: 2
; COMPUTE_PGM_RSRC2:TRAP_HANDLER: 0
; COMPUTE_PGM_RSRC2:TGID_X_EN: 1
; COMPUTE_PGM_RSRC2:TGID_Y_EN: 1
; COMPUTE_PGM_RSRC2:TGID_Z_EN: 0
; COMPUTE_PGM_RSRC2:TIDIG_COMP_CNT: 0
; COMPUTE_PGM_RSRC3_GFX90A:ACCUM_OFFSET: 22
; COMPUTE_PGM_RSRC3_GFX90A:TG_SPLIT: 0
	.section	.text._Z35paged_attention_ll4mi_reduce_kernelIDF16_hLi64ELi64ELi256ELi8EEvPT0_PKfS3_PKT_PKiS8_iS3_,"axG",@progbits,_Z35paged_attention_ll4mi_reduce_kernelIDF16_hLi64ELi64ELi256ELi8EEvPT0_PKfS3_PKT_PKiS8_iS3_,comdat
	.protected	_Z35paged_attention_ll4mi_reduce_kernelIDF16_hLi64ELi64ELi256ELi8EEvPT0_PKfS3_PKT_PKiS8_iS3_ ; -- Begin function _Z35paged_attention_ll4mi_reduce_kernelIDF16_hLi64ELi64ELi256ELi8EEvPT0_PKfS3_PKT_PKiS8_iS3_
	.globl	_Z35paged_attention_ll4mi_reduce_kernelIDF16_hLi64ELi64ELi256ELi8EEvPT0_PKfS3_PKT_PKiS8_iS3_
	.p2align	8
	.type	_Z35paged_attention_ll4mi_reduce_kernelIDF16_hLi64ELi64ELi256ELi8EEvPT0_PKfS3_PKT_PKiS8_iS3_,@function
_Z35paged_attention_ll4mi_reduce_kernelIDF16_hLi64ELi64ELi256ELi8EEvPT0_PKfS3_PKT_PKiS8_iS3_: ; @_Z35paged_attention_ll4mi_reduce_kernelIDF16_hLi64ELi64ELi256ELi8EEvPT0_PKfS3_PKT_PKiS8_iS3_
; %bb.0:
	s_load_dwordx2 s[30:31], s[0:1], 0x28
	s_mov_b32 s28, s3
	s_mov_b64 s[4:5], 0
	s_waitcnt lgkmcnt(0)
	s_cmp_lg_u64 s[30:31], 0
	s_cselect_b64 s[34:35], -1, 0
	s_and_b64 vcc, exec, s[34:35]
	s_cbranch_vccz .LBB23_23
; %bb.1:
	s_add_i32 s6, s28, 1
	s_mov_b32 s7, 0
	s_lshl_b64 s[8:9], s[6:7], 2
	s_add_u32 s8, s30, s8
	s_mov_b32 s29, s7
	s_addc_u32 s9, s31, s9
	s_lshl_b64 s[6:7], s[28:29], 2
	s_add_u32 s6, s30, s6
	s_addc_u32 s7, s31, s7
	s_load_dword s3, s[8:9], 0x0
	s_load_dword s10, s[6:7], 0x0
	s_waitcnt lgkmcnt(0)
	s_sub_i32 s3, s3, s10
	s_cmp_eq_u32 s3, 1
	s_cselect_b64 s[6:7], -1, 0
	s_andn2_b64 vcc, exec, s[4:5]
	s_cbranch_vccnz .LBB23_3
.LBB23_2:
	s_mov_b32 s29, 0
	s_mov_b64 s[6:7], -1
.LBB23_3:
	s_andn2_b64 vcc, exec, s[6:7]
	s_cbranch_vccz .LBB23_5
; %bb.4:
	s_endpgm
.LBB23_5:
	s_load_dwordx4 s[20:23], s[0:1], 0x18
	s_load_dword s8, s[0:1], 0x30
	s_lshl_b64 s[36:37], s[28:29], 2
	v_cmp_lt_u32_e32 vcc, 63, v0
	s_waitcnt lgkmcnt(0)
	s_add_u32 s4, s22, s36
	s_addc_u32 s5, s23, s37
	s_load_dword s44, s[4:5], 0x0
	s_load_dword s3, s[0:1], 0x40
	s_mul_i32 s22, s2, s8
	s_mul_i32 s6, s28, s8
	s_waitcnt lgkmcnt(0)
	s_add_i32 s7, s44, 0xff
	s_ashr_i32 s4, s7, 31
	s_lshr_b32 s4, s4, 24
	s_add_i32 s7, s7, s4
	s_and_saveexec_b64 s[4:5], vcc
	s_xor_b64 s[4:5], exec, s[4:5]
	s_or_saveexec_b64 s[38:39], s[4:5]
	s_ashr_i32 s33, s7, 8
	v_mov_b32_e32 v1, s22
	s_mul_i32 s40, s6, s3
	s_xor_b64 exec, exec, s[38:39]
	s_cbranch_execz .LBB23_9
; %bb.6:
	s_add_i32 s4, s33, -1
	v_or_b32_e32 v3, 64, v0
	v_mov_b32_e32 v1, s4
	v_cmp_gt_u32_e64 s[14:15], s33, v3
	s_load_dwordx4 s[24:27], s[0:1], 0x8
	s_mov_b32 s41, 0
	v_cndmask_b32_e64 v4, v1, v3, s[14:15]
	v_or_b32_e32 v3, 0x80, v0
	v_cmp_gt_u32_e64 s[12:13], s33, v3
	s_lshl_b64 s[42:43], s[40:41], 2
	s_mov_b32 s23, s41
	v_cndmask_b32_e64 v6, v1, v3, s[12:13]
	v_or_b32_e32 v3, 0xc0, v0
	v_cmp_gt_u32_e64 s[10:11], s33, v3
	v_cmp_gt_u32_e64 s[16:17], s33, v0
	s_waitcnt lgkmcnt(0)
	s_add_u32 s18, s26, s42
	v_cndmask_b32_e64 v8, v1, v3, s[10:11]
	v_or_b32_e32 v3, 0x100, v0
	v_cmp_gt_u32_e64 s[8:9], s33, v3
	v_cndmask_b32_e64 v2, v1, v0, s[16:17]
	s_addc_u32 s19, s27, s43
	v_cndmask_b32_e64 v10, v1, v3, s[8:9]
	v_or_b32_e32 v3, 0x140, v0
	v_cmp_gt_u32_e64 s[6:7], s33, v3
	s_lshl_b64 s[26:27], s[22:23], 2
	s_add_u32 s18, s18, s26
	v_cndmask_b32_e64 v12, v1, v3, s[6:7]
	v_or_b32_e32 v3, 0x180, v0
	v_cmp_gt_u32_e64 s[4:5], s33, v3
	s_addc_u32 s19, s19, s27
	v_ashrrev_i32_e32 v5, 31, v4
	v_cndmask_b32_e64 v14, v1, v3, s[4:5]
	v_or_b32_e32 v3, 0x1c0, v0
	v_cmp_gt_u32_e32 vcc, s33, v3
	v_ashrrev_i32_e32 v7, 31, v6
	v_ashrrev_i32_e32 v9, 31, v8
	v_cndmask_b32_e32 v16, v1, v3, vcc
	v_ashrrev_i32_e32 v3, 31, v2
	v_lshlrev_b64 v[2:3], 2, v[2:3]
	v_ashrrev_i32_e32 v11, 31, v10
	v_ashrrev_i32_e32 v13, 31, v12
	v_ashrrev_i32_e32 v15, 31, v14
	v_ashrrev_i32_e32 v17, 31, v16
	v_lshl_add_u64 v[18:19], s[18:19], 0, v[2:3]
	v_lshlrev_b64 v[4:5], 2, v[4:5]
	v_lshlrev_b64 v[6:7], 2, v[6:7]
	;; [unrolled: 1-line block ×7, first 2 shown]
	v_lshl_add_u64 v[20:21], s[18:19], 0, v[4:5]
	v_lshl_add_u64 v[22:23], s[18:19], 0, v[6:7]
	;; [unrolled: 1-line block ×7, first 2 shown]
	global_load_dword v1, v[18:19], off
	global_load_dword v34, v[20:21], off
	;; [unrolled: 1-line block ×8, first 2 shown]
	v_mbcnt_lo_u32_b32 v18, -1, 0
	v_mbcnt_hi_u32_b32 v18, -1, v18
	v_and_b32_e32 v19, 64, v18
	v_xor_b32_e32 v20, 32, v18
	v_add_u32_e32 v19, 64, v19
	v_cmp_lt_i32_e64 s[18:19], v20, v19
	v_xor_b32_e32 v21, 16, v18
	v_xor_b32_e32 v22, 8, v18
	v_cndmask_b32_e64 v20, v18, v20, s[18:19]
	s_add_u32 s18, s24, s42
	s_addc_u32 s19, s25, s43
	s_add_u32 s24, s18, s26
	s_addc_u32 s25, s19, s27
	v_lshl_add_u64 v[2:3], s[24:25], 0, v[2:3]
	global_load_dword v24, v[2:3], off
	v_lshlrev_b32_e32 v20, 2, v20
	v_cmp_lt_i32_e64 s[18:19], v21, v19
	v_xor_b32_e32 v23, 4, v18
	v_xor_b32_e32 v25, 2, v18
	v_cndmask_b32_e64 v21, v18, v21, s[18:19]
	v_lshlrev_b32_e32 v21, 2, v21
	v_cmp_lt_i32_e64 s[18:19], v22, v19
	s_mov_b32 s23, 0x3fb8aa3b
	s_waitcnt vmcnt(8)
	v_max_f32_e32 v3, v1, v1
	s_waitcnt vmcnt(7)
	v_max_f32_e32 v2, v34, v34
	v_max_f32_e32 v2, v3, v2
	s_waitcnt vmcnt(5)
	v_max3_f32 v2, v2, v35, v36
	s_waitcnt vmcnt(3)
	v_max3_f32 v2, v2, v37, v38
	;; [unrolled: 2-line block ×3, first 2 shown]
	ds_bpermute_b32 v3, v20, v2
	s_waitcnt lgkmcnt(0)
	v_max_f32_e32 v3, v3, v3
	v_max_f32_e32 v26, v2, v3
	ds_bpermute_b32 v27, v21, v26
	v_cndmask_b32_e64 v2, v18, v22, s[18:19]
	v_lshlrev_b32_e32 v22, 2, v2
	v_lshl_add_u64 v[2:3], s[24:25], 0, v[4:5]
	global_load_dword v28, v[2:3], off
	s_waitcnt lgkmcnt(0)
	v_max_f32_e32 v2, v27, v27
	v_max_f32_e32 v2, v26, v2
	ds_bpermute_b32 v3, v22, v2
	v_cmp_lt_i32_e64 s[18:19], v23, v19
	v_xor_b32_e32 v4, 1, v18
	s_waitcnt lgkmcnt(0)
	v_max_f32_e32 v3, v3, v3
	v_cndmask_b32_e64 v5, v18, v23, s[18:19]
	v_lshlrev_b32_e32 v23, 2, v5
	v_max_f32_e32 v5, v2, v3
	ds_bpermute_b32 v26, v23, v5
	v_cmp_lt_i32_e64 s[18:19], v25, v19
	s_nop 1
	v_cndmask_b32_e64 v2, v18, v25, s[18:19]
	v_lshlrev_b32_e32 v25, 2, v2
	v_lshl_add_u64 v[2:3], s[24:25], 0, v[6:7]
	global_load_dword v27, v[2:3], off
	s_waitcnt lgkmcnt(0)
	v_max_f32_e32 v2, v26, v26
	v_max_f32_e32 v5, v5, v2
	ds_bpermute_b32 v6, v25, v5
	v_cmp_lt_i32_e64 s[18:19], v4, v19
	s_nop 1
	v_cndmask_b32_e64 v2, v18, v4, s[18:19]
	s_waitcnt lgkmcnt(0)
	v_max_f32_e32 v4, v6, v6
	v_lshlrev_b32_e32 v18, 2, v2
	v_lshl_add_u64 v[2:3], s[24:25], 0, v[8:9]
	v_max_f32_e32 v19, v5, v4
	ds_bpermute_b32 v26, v18, v19
	global_load_dword v2, v[2:3], off
	v_lshl_add_u64 v[6:7], s[24:25], 0, v[12:13]
	v_lshl_add_u64 v[8:9], s[24:25], 0, v[14:15]
	;; [unrolled: 1-line block ×3, first 2 shown]
	s_waitcnt lgkmcnt(0)
	v_max_f32_e32 v12, v26, v26
	v_max_f32_e32 v12, v19, v12
	v_sub_f32_e32 v1, v1, v12
	v_mul_f32_e32 v3, 0x3fb8aa3b, v1
	v_fma_f32 v13, v1, s23, -v3
	v_rndne_f32_e32 v14, v3
	v_fmac_f32_e32 v13, 0x32a5705f, v1
	v_sub_f32_e32 v3, v3, v14
	v_lshl_add_u64 v[10:11], s[24:25], 0, v[16:17]
	v_add_f32_e32 v3, v3, v13
	v_cvt_i32_f32_e32 v13, v14
	global_load_dword v14, v[4:5], off
	global_load_dword v15, v[6:7], off
	;; [unrolled: 1-line block ×4, first 2 shown]
	v_sub_f32_e32 v5, v34, v12
	v_mul_f32_e32 v6, 0x3fb8aa3b, v5
	v_fma_f32 v7, v5, s23, -v6
	v_rndne_f32_e32 v8, v6
	v_exp_f32_e32 v3, v3
	v_fmac_f32_e32 v7, 0x32a5705f, v5
	v_sub_f32_e32 v6, v6, v8
	v_add_f32_e32 v6, v6, v7
	v_exp_f32_e32 v6, v6
	v_cvt_i32_f32_e32 v7, v8
	s_mov_b32 s24, 0xc2ce8ed0
	v_ldexp_f32 v3, v3, v13
	v_cmp_ngt_f32_e64 s[18:19], s24, v1
	s_mov_b32 s25, 0x42b17218
	v_mov_b32_e32 v4, 0x7f800000
	v_cndmask_b32_e64 v3, 0, v3, s[18:19]
	v_cmp_nlt_f32_e64 s[18:19], s25, v1
	s_nop 1
	v_cndmask_b32_e64 v1, v4, v3, s[18:19]
	v_ldexp_f32 v3, v6, v7
	v_sub_f32_e32 v6, v35, v12
	v_mul_f32_e32 v7, 0x3fb8aa3b, v6
	v_fma_f32 v8, v6, s23, -v7
	v_rndne_f32_e32 v9, v7
	v_fmac_f32_e32 v8, 0x32a5705f, v6
	v_sub_f32_e32 v7, v7, v9
	v_add_f32_e32 v7, v7, v8
	v_exp_f32_e32 v7, v7
	v_cvt_i32_f32_e32 v8, v9
	v_cndmask_b32_e64 v1, 0, v1, s[16:17]
	v_cmp_ngt_f32_e64 s[16:17], s24, v5
	s_waitcnt vmcnt(7)
	v_mul_f32_e32 v1, v24, v1
	v_cndmask_b32_e64 v3, 0, v3, s[16:17]
	v_cmp_nlt_f32_e64 s[16:17], s25, v5
	v_ldexp_f32 v5, v7, v8
	v_sub_f32_e32 v7, v36, v12
	v_mul_f32_e32 v8, 0x3fb8aa3b, v7
	v_fma_f32 v9, v7, s23, -v8
	v_rndne_f32_e32 v10, v8
	v_fmac_f32_e32 v9, 0x32a5705f, v7
	v_sub_f32_e32 v8, v8, v10
	v_add_f32_e32 v8, v8, v9
	v_exp_f32_e32 v8, v8
	v_cvt_i32_f32_e32 v9, v10
	v_cndmask_b32_e64 v3, v4, v3, s[16:17]
	v_cndmask_b32_e64 v3, 0, v3, s[14:15]
	v_cmp_ngt_f32_e64 s[14:15], s24, v6
	s_waitcnt vmcnt(6)
	v_mul_f32_e32 v3, v28, v3
	v_cndmask_b32_e64 v5, 0, v5, s[14:15]
	v_cmp_nlt_f32_e64 s[14:15], s25, v6
	v_ldexp_f32 v6, v8, v9
	v_sub_f32_e32 v8, v37, v12
	v_mul_f32_e32 v9, 0x3fb8aa3b, v8
	v_fma_f32 v10, v8, s23, -v9
	v_rndne_f32_e32 v11, v9
	v_fmac_f32_e32 v10, 0x32a5705f, v8
	v_sub_f32_e32 v9, v9, v11
	v_cndmask_b32_e64 v5, v4, v5, s[14:15]
	v_add_f32_e32 v9, v9, v10
	v_cndmask_b32_e64 v5, 0, v5, s[12:13]
	v_cmp_ngt_f32_e64 s[12:13], s24, v7
	v_exp_f32_e32 v9, v9
	v_cvt_i32_f32_e32 v10, v11
	v_cndmask_b32_e64 v6, 0, v6, s[12:13]
	v_cmp_nlt_f32_e64 s[12:13], s25, v7
	v_sub_f32_e32 v7, v38, v12
	s_waitcnt vmcnt(5)
	v_mul_f32_e32 v5, v27, v5
	v_cndmask_b32_e64 v6, v4, v6, s[12:13]
	v_cndmask_b32_e64 v6, 0, v6, s[10:11]
	s_waitcnt vmcnt(4)
	v_mul_f32_e32 v6, v2, v6
	v_ldexp_f32 v2, v9, v10
	v_mul_f32_e32 v9, 0x3fb8aa3b, v7
	v_fma_f32 v10, v7, s23, -v9
	v_rndne_f32_e32 v11, v9
	v_fmac_f32_e32 v10, 0x32a5705f, v7
	v_sub_f32_e32 v9, v9, v11
	v_add_f32_e32 v9, v9, v10
	v_cmp_ngt_f32_e64 s[10:11], s24, v8
	v_exp_f32_e32 v9, v9
	v_cvt_i32_f32_e32 v10, v11
	v_cndmask_b32_e64 v2, 0, v2, s[10:11]
	v_cmp_nlt_f32_e64 s[10:11], s25, v8
	s_nop 1
	v_cndmask_b32_e64 v2, v4, v2, s[10:11]
	v_cndmask_b32_e64 v2, 0, v2, s[8:9]
	s_waitcnt vmcnt(3)
	v_mul_f32_e32 v8, v14, v2
	v_ldexp_f32 v2, v9, v10
	v_sub_f32_e32 v9, v39, v12
	v_mul_f32_e32 v10, 0x3fb8aa3b, v9
	v_fma_f32 v11, v9, s23, -v10
	v_rndne_f32_e32 v13, v10
	v_fmac_f32_e32 v11, 0x32a5705f, v9
	v_sub_f32_e32 v10, v10, v13
	v_add_f32_e32 v10, v10, v11
	v_cmp_ngt_f32_e64 s[8:9], s24, v7
	v_exp_f32_e32 v10, v10
	v_cvt_i32_f32_e32 v11, v13
	v_cndmask_b32_e64 v2, 0, v2, s[8:9]
	v_cmp_nlt_f32_e64 s[8:9], s25, v7
	s_nop 1
	v_cndmask_b32_e64 v2, v4, v2, s[8:9]
	v_cndmask_b32_e64 v2, 0, v2, s[6:7]
	s_waitcnt vmcnt(2)
	v_mul_f32_e32 v7, v15, v2
	v_ldexp_f32 v2, v10, v11
	v_sub_f32_e32 v10, v40, v12
	v_mul_f32_e32 v11, 0x3fb8aa3b, v10
	v_fma_f32 v12, v10, s23, -v11
	v_rndne_f32_e32 v13, v11
	v_fmac_f32_e32 v12, 0x32a5705f, v10
	v_sub_f32_e32 v11, v11, v13
	v_add_f32_e32 v11, v11, v12
	v_exp_f32_e32 v11, v11
	v_cvt_i32_f32_e32 v12, v13
	v_cmp_ngt_f32_e64 s[6:7], s24, v9
	s_nop 1
	v_cndmask_b32_e64 v2, 0, v2, s[6:7]
	v_cmp_nlt_f32_e64 s[6:7], s25, v9
	v_ldexp_f32 v9, v11, v12
	v_lshlrev_b32_e32 v12, 2, v0
	v_cndmask_b32_e64 v2, v4, v2, s[6:7]
	v_cndmask_b32_e64 v2, 0, v2, s[4:5]
	v_cmp_ngt_f32_e64 s[4:5], s24, v10
	ds_write2st64_b32 v12, v1, v3 offset1:1
	s_waitcnt vmcnt(1)
	v_mul_f32_e32 v11, v16, v2
	v_cndmask_b32_e64 v9, 0, v9, s[4:5]
	v_cmp_nlt_f32_e64 s[4:5], s25, v10
	s_nop 1
	v_cndmask_b32_e64 v4, v4, v9, s[4:5]
	v_add_f32_e32 v9, v1, v3
	v_add_f32_e32 v9, v9, v5
	;; [unrolled: 1-line block ×5, first 2 shown]
	v_cndmask_b32_e32 v4, 0, v4, vcc
	v_fmac_f32_e32 v9, v16, v2
	s_waitcnt vmcnt(0)
	v_fmac_f32_e32 v9, v17, v4
	ds_bpermute_b32 v10, v20, v9
	v_cmp_eq_u32_e32 vcc, 0, v0
	v_mul_f32_e32 v4, v17, v4
	ds_write2st64_b32 v12, v5, v6 offset0:2 offset1:3
	ds_write2st64_b32 v12, v8, v7 offset0:4 offset1:5
	;; [unrolled: 1-line block ×3, first 2 shown]
	s_waitcnt lgkmcnt(3)
	v_add_f32_e32 v9, v9, v10
	ds_bpermute_b32 v10, v21, v9
	s_waitcnt lgkmcnt(0)
	v_add_f32_e32 v9, v9, v10
	ds_bpermute_b32 v10, v22, v9
	;; [unrolled: 3-line block ×5, first 2 shown]
	s_and_saveexec_b64 s[4:5], vcc
	s_cbranch_execz .LBB23_8
; %bb.7:
	s_waitcnt lgkmcnt(0)
	v_add_f32_e32 v1, v1, v2
	v_mov_b32_e32 v2, 0
	ds_write_b32 v2, v1 offset:2048
.LBB23_8:
	s_or_b64 exec, exec, s[4:5]
	v_mov_b32_e32 v1, s22
.LBB23_9:
	s_or_b64 exec, exec, s[38:39]
	s_lshl_b32 s4, s40, 6
	s_mov_b32 s5, 0
	s_lshl_b64 s[4:5], s[4:5], 1
	s_add_u32 s4, s20, s4
	s_addc_u32 s5, s21, s5
	s_lshl_b32 s10, s33, 6
	s_waitcnt lgkmcnt(0)
	v_lshlrev_b32_e32 v2, 6, v1
	v_mov_b32_e32 v1, 0
	s_sub_i32 s11, s10, 64
	v_mov_b32_e32 v3, v1
	s_cmp_lt_i32 s44, 1
	v_lshl_add_u64 v[2:3], v[2:3], 1, s[4:5]
	s_cselect_b32 s4, s11, 0
	v_lshlrev_b32_e32 v4, 1, v0
	v_mov_b32_e32 v5, v1
	s_ashr_i32 s5, s4, 31
	v_lshl_add_u64 v[2:3], v[2:3], 0, v[4:5]
	s_cmpk_lt_i32 s44, 0x101
	v_lshl_add_u64 v[12:13], s[4:5], 1, v[2:3]
	s_cselect_b32 s4, s11, 64
	s_ashr_i32 s5, s4, 31
	s_cmpk_lt_i32 s44, 0x201
	v_lshl_add_u64 v[14:15], s[4:5], 1, v[2:3]
	s_cselect_b32 s4, s11, 0x80
	s_ashr_i32 s5, s4, 31
	;; [unrolled: 4-line block ×8, first 2 shown]
	s_cmpk_lt_i32 s44, 0x901
	global_load_ushort v4, v[12:13], off
	global_load_ushort v5, v[14:15], off
	;; [unrolled: 1-line block ×8, first 2 shown]
	v_lshl_add_u64 v[20:21], s[4:5], 1, v[2:3]
	s_cselect_b32 s4, s11, 0x240
	s_ashr_i32 s5, s4, 31
	s_cmpk_lt_i32 s44, 0xa01
	v_lshl_add_u64 v[22:23], s[4:5], 1, v[2:3]
	s_cselect_b32 s4, s11, 0x280
	s_ashr_i32 s5, s4, 31
	s_cmpk_lt_i32 s44, 0xb01
	;; [unrolled: 4-line block ×6, first 2 shown]
	v_lshl_add_u64 v[32:33], s[4:5], 1, v[2:3]
	s_cselect_b32 s4, s11, 0x3c0
	s_ashr_i32 s5, s4, 31
	v_lshl_add_u64 v[34:35], s[4:5], 1, v[2:3]
	global_load_ushort v12, v[20:21], off
	global_load_ushort v13, v[22:23], off
	global_load_ushort v14, v[24:25], off
	global_load_ushort v15, v[26:27], off
	global_load_ushort v16, v[28:29], off
	global_load_ushort v17, v[30:31], off
	global_load_ushort v18, v[32:33], off
	global_load_ushort v19, v[34:35], off
	s_cmpk_gt_i32 s44, 0x1000
	s_cselect_b64 s[8:9], -1, 0
	s_cmpk_lt_i32 s44, 0x1001
	v_mov_b32_e32 v36, 0
	v_mov_b32_e32 v37, 0
	;; [unrolled: 1-line block ×48, first 2 shown]
	s_waitcnt lgkmcnt(0)
	; wave barrier
	s_cbranch_scc1 .LBB23_12
; %bb.10:
	s_cmpk_lt_u32 s44, 0x1101
	s_cselect_b32 s4, s11, 0x440
	s_ashr_i32 s5, s4, 31
	s_cmpk_lt_u32 s44, 0x1201
	v_lshl_add_u64 v[28:29], s[4:5], 1, v[2:3]
	s_cselect_b32 s4, s11, 0x480
	s_ashr_i32 s5, s4, 31
	s_cmpk_lt_u32 s44, 0x1301
	v_lshl_add_u64 v[30:31], s[4:5], 1, v[2:3]
	;; [unrolled: 4-line block ×7, first 2 shown]
	s_cselect_b32 s4, s11, 0x600
	s_ashr_i32 s5, s4, 31
	s_cmpk_lt_u32 s44, 0x1901
	global_load_ushort v27, v[2:3], off offset:2048
	global_load_ushort v26, v[28:29], off
	global_load_ushort v25, v[30:31], off
	;; [unrolled: 1-line block ×7, first 2 shown]
	v_lshl_add_u64 v[36:37], s[4:5], 1, v[2:3]
	s_cselect_b32 s4, s11, 0x640
	s_ashr_i32 s5, s4, 31
	s_cmpk_lt_u32 s44, 0x1a01
	v_lshl_add_u64 v[38:39], s[4:5], 1, v[2:3]
	s_cselect_b32 s4, s11, 0x680
	s_ashr_i32 s5, s4, 31
	s_cmpk_lt_u32 s44, 0x1b01
	;; [unrolled: 4-line block ×6, first 2 shown]
	v_lshl_add_u64 v[48:49], s[4:5], 1, v[2:3]
	s_cselect_b32 s4, s11, 0x7c0
	s_ashr_i32 s5, s4, 31
	v_lshl_add_u64 v[50:51], s[4:5], 1, v[2:3]
	global_load_ushort v35, v[36:37], off
	global_load_ushort v34, v[38:39], off
	;; [unrolled: 1-line block ×8, first 2 shown]
	s_cmpk_lt_u32 s44, 0x2001
	v_mov_b32_e32 v67, 0
	v_mov_b32_e32 v66, 0
	;; [unrolled: 1-line block ×32, first 2 shown]
	s_cbranch_scc1 .LBB23_12
; %bb.11:
	s_cmpk_lt_u32 s44, 0x2101
	s_cselect_b32 s4, s11, 0x840
	s_ashr_i32 s5, s4, 31
	s_cmpk_lt_u32 s44, 0x2201
	v_lshl_add_u64 v[38:39], s[4:5], 1, v[2:3]
	s_cselect_b32 s4, s11, 0x880
	s_ashr_i32 s5, s4, 31
	s_cmpk_lt_u32 s44, 0x2301
	v_lshl_add_u64 v[40:41], s[4:5], 1, v[2:3]
	;; [unrolled: 4-line block ×7, first 2 shown]
	s_cselect_b32 s4, s11, 0xa00
	v_add_co_u32_e32 v36, vcc, 0x1000, v2
	s_ashr_i32 s5, s4, 31
	s_nop 0
	v_addc_co_u32_e32 v37, vcc, 0, v3, vcc
	s_cmpk_lt_u32 s44, 0x2901
	global_load_ushort v52, v[36:37], off
	global_load_ushort v53, v[38:39], off
	;; [unrolled: 1-line block ×8, first 2 shown]
	v_lshl_add_u64 v[36:37], s[4:5], 1, v[2:3]
	s_cselect_b32 s4, s11, 0xa40
	s_ashr_i32 s5, s4, 31
	s_cmpk_lt_u32 s44, 0x2a01
	v_lshl_add_u64 v[38:39], s[4:5], 1, v[2:3]
	s_cselect_b32 s4, s11, 0xa80
	s_ashr_i32 s5, s4, 31
	s_cmpk_lt_u32 s44, 0x2b01
	;; [unrolled: 4-line block ×8, first 2 shown]
	global_load_ushort v68, v[36:37], off
	global_load_ushort v69, v[38:39], off
	global_load_ushort v70, v[40:41], off
	global_load_ushort v71, v[42:43], off
	global_load_ushort v72, v[44:45], off
	global_load_ushort v73, v[46:47], off
	global_load_ushort v74, v[48:49], off
	global_load_ushort v75, v[50:51], off
	v_lshl_add_u64 v[36:37], s[4:5], 1, v[2:3]
	s_cselect_b32 s4, s11, 0xc40
	s_ashr_i32 s5, s4, 31
	s_cmpk_lt_u32 s44, 0x3201
	v_lshl_add_u64 v[38:39], s[4:5], 1, v[2:3]
	s_cselect_b32 s4, s11, 0xc80
	s_ashr_i32 s5, s4, 31
	s_cmpk_lt_u32 s44, 0x3301
	;; [unrolled: 4-line block ×8, first 2 shown]
	global_load_ushort v76, v[36:37], off
	global_load_ushort v77, v[38:39], off
	;; [unrolled: 1-line block ×8, first 2 shown]
	v_lshl_add_u64 v[36:37], s[4:5], 1, v[2:3]
	s_cselect_b32 s4, s11, 0xe40
	s_ashr_i32 s5, s4, 31
	s_cmpk_lt_u32 s44, 0x3a01
	v_lshl_add_u64 v[38:39], s[4:5], 1, v[2:3]
	s_cselect_b32 s4, s11, 0xe80
	s_ashr_i32 s5, s4, 31
	s_cmpk_lt_u32 s44, 0x3b01
	;; [unrolled: 4-line block ×6, first 2 shown]
	v_lshl_add_u64 v[48:49], s[4:5], 1, v[2:3]
	s_cselect_b32 s4, s11, 0xfc0
	s_ashr_i32 s5, s4, 31
	v_lshl_add_u64 v[50:51], s[4:5], 1, v[2:3]
	global_load_ushort v84, v[36:37], off
	global_load_ushort v85, v[38:39], off
	;; [unrolled: 1-line block ×8, first 2 shown]
	s_waitcnt vmcnt(31)
	v_cvt_f32_f16_e32 v67, v52
	s_waitcnt vmcnt(30)
	v_cvt_f32_f16_e32 v66, v53
	;; [unrolled: 2-line block ×32, first 2 shown]
.LBB23_12:
	ds_read_b128 v[68:71], v1
	s_load_dwordx2 s[4:5], s[0:1], 0x0
	s_load_dwordx2 s[6:7], s[0:1], 0x38
	ds_read_b128 v[72:75], v1 offset:16
	ds_read_b128 v[76:79], v1 offset:32
	ds_read_b128 v[80:83], v1 offset:48
	s_and_b64 vcc, exec, s[8:9]
	s_waitcnt vmcnt(15) lgkmcnt(0)
	v_fma_mix_f32 v4, v68, v4, 0 op_sel_hi:[0,1,0]
	s_waitcnt vmcnt(14)
	v_fma_mix_f32 v4, v69, v5, v4 op_sel_hi:[0,1,0]
	s_waitcnt vmcnt(13)
	;; [unrolled: 2-line block ×15, first 2 shown]
	v_fma_mix_f32 v4, v83, v19, v4 op_sel_hi:[0,1,0]
	s_cbranch_vccz .LBB23_15
; %bb.13:
	ds_read_b128 v[6:9], v1 offset:64
	ds_read_b128 v[10:13], v1 offset:80
	;; [unrolled: 1-line block ×4, first 2 shown]
	s_cmpk_lt_u32 s44, 0x2001
	s_waitcnt lgkmcnt(3)
	v_fma_mix_f32 v4, v6, v27, v4 op_sel_hi:[0,1,0]
	v_fma_mix_f32 v4, v7, v26, v4 op_sel_hi:[0,1,0]
	v_fma_mix_f32 v4, v8, v25, v4 op_sel_hi:[0,1,0]
	v_fma_mix_f32 v4, v9, v24, v4 op_sel_hi:[0,1,0]
	s_waitcnt lgkmcnt(2)
	v_fma_mix_f32 v4, v10, v23, v4 op_sel_hi:[0,1,0]
	v_fma_mix_f32 v4, v11, v22, v4 op_sel_hi:[0,1,0]
	v_fma_mix_f32 v4, v12, v21, v4 op_sel_hi:[0,1,0]
	v_fma_mix_f32 v4, v13, v20, v4 op_sel_hi:[0,1,0]
	;; [unrolled: 5-line block ×4, first 2 shown]
	s_cbranch_scc1 .LBB23_15
; %bb.14:
	v_mov_b32_e32 v5, 0
	ds_read_b128 v[6:9], v5 offset:128
	ds_read_b128 v[10:13], v5 offset:144
	;; [unrolled: 1-line block ×4, first 2 shown]
	s_waitcnt lgkmcnt(3)
	v_fmac_f32_e32 v4, v6, v67
	v_fmac_f32_e32 v4, v7, v66
	v_fmac_f32_e32 v4, v8, v65
	v_fmac_f32_e32 v4, v9, v64
	s_waitcnt lgkmcnt(2)
	v_fmac_f32_e32 v4, v10, v63
	v_fmac_f32_e32 v4, v11, v62
	v_fmac_f32_e32 v4, v12, v61
	v_fmac_f32_e32 v4, v13, v60
	;; [unrolled: 5-line block ×3, first 2 shown]
	ds_read_b128 v[6:9], v5 offset:192
	ds_read_b128 v[10:13], v5 offset:208
	s_waitcnt lgkmcnt(2)
	v_fmac_f32_e32 v4, v18, v55
	v_fmac_f32_e32 v4, v19, v54
	;; [unrolled: 1-line block ×4, first 2 shown]
	s_waitcnt lgkmcnt(1)
	v_fmac_f32_e32 v4, v6, v51
	v_fmac_f32_e32 v4, v7, v50
	;; [unrolled: 1-line block ×4, first 2 shown]
	ds_read_b128 v[6:9], v5 offset:224
	s_waitcnt lgkmcnt(1)
	v_fmac_f32_e32 v4, v10, v47
	v_fmac_f32_e32 v4, v11, v46
	;; [unrolled: 1-line block ×4, first 2 shown]
	ds_read_b128 v[10:13], v5 offset:240
	s_waitcnt lgkmcnt(1)
	v_fmac_f32_e32 v4, v6, v43
	v_fmac_f32_e32 v4, v7, v42
	;; [unrolled: 1-line block ×4, first 2 shown]
	s_waitcnt lgkmcnt(0)
	v_fmac_f32_e32 v4, v10, v39
	v_fmac_f32_e32 v4, v11, v38
	;; [unrolled: 1-line block ×4, first 2 shown]
.LBB23_15:
	s_movk_i32 s0, 0x1fc0
	s_movk_i32 s1, 0x100
	s_mov_b32 s8, 64
	s_branch .LBB23_17
.LBB23_16:                              ;   in Loop: Header=BB23_17 Depth=1
	s_addk_i32 s0, 0x1000
	s_addk_i32 s1, 0x100
	s_add_i32 s8, s8, 64
	s_cmpk_eq_u32 s0, 0x8fc0
	s_cbranch_scc1 .LBB23_19
.LBB23_17:                              ; =>This Inner Loop Header: Depth=1
	s_cmp_le_i32 s33, s8
	s_cbranch_scc1 .LBB23_16
; %bb.18:                               ;   in Loop: Header=BB23_17 Depth=1
	s_add_i32 s9, s0, 0xfffff040
	s_cmp_lt_i32 s9, s10
	s_cselect_b32 s12, s9, s11
	s_ashr_i32 s13, s12, 31
	s_add_i32 s9, s0, 0xfffff080
	s_cmp_lt_i32 s9, s10
	v_lshl_add_u64 v[14:15], s[12:13], 1, v[2:3]
	s_cselect_b32 s12, s9, s11
	s_ashr_i32 s13, s12, 31
	s_add_i32 s9, s0, 0xfffff0c0
	s_cmp_lt_i32 s9, s10
	v_lshl_add_u64 v[16:17], s[12:13], 1, v[2:3]
	;; [unrolled: 5-line block ×8, first 2 shown]
	s_cselect_b32 s12, s9, s11
	s_ashr_i32 s13, s12, 31
	s_add_i32 s9, s0, 0xfffff280
	s_cmp_lt_i32 s9, s10
	global_load_ushort v5, v[14:15], off
	global_load_ushort v6, v[16:17], off
	global_load_ushort v7, v[18:19], off
	global_load_ushort v8, v[20:21], off
	global_load_ushort v9, v[22:23], off
	global_load_ushort v10, v[24:25], off
	global_load_ushort v11, v[26:27], off
	global_load_ushort v12, v[28:29], off
	v_lshl_add_u64 v[14:15], s[12:13], 1, v[2:3]
	s_cselect_b32 s12, s9, s11
	s_ashr_i32 s13, s12, 31
	s_add_i32 s9, s0, 0xfffff2c0
	s_cmp_lt_i32 s9, s10
	v_lshl_add_u64 v[16:17], s[12:13], 1, v[2:3]
	s_cselect_b32 s12, s9, s11
	s_ashr_i32 s13, s12, 31
	s_add_i32 s9, s0, 0xfffff300
	s_cmp_lt_i32 s9, s10
	v_lshl_add_u64 v[18:19], s[12:13], 1, v[2:3]
	s_cselect_b32 s12, s9, s11
	s_ashr_i32 s13, s12, 31
	s_add_i32 s9, s0, 0xfffff340
	s_cmp_lt_i32 s9, s10
	v_lshl_add_u64 v[20:21], s[12:13], 1, v[2:3]
	s_cselect_b32 s12, s9, s11
	s_ashr_i32 s13, s12, 31
	s_add_i32 s9, s0, 0xfffff380
	s_cmp_lt_i32 s9, s10
	v_lshl_add_u64 v[22:23], s[12:13], 1, v[2:3]
	s_cselect_b32 s12, s9, s11
	s_ashr_i32 s13, s12, 31
	s_add_i32 s9, s0, 0xfffff3c0
	s_cmp_lt_i32 s9, s10
	v_lshl_add_u64 v[24:25], s[12:13], 1, v[2:3]
	s_cselect_b32 s12, s9, s11
	s_ashr_i32 s13, s12, 31
	s_add_i32 s9, s0, 0xfffff400
	s_cmp_lt_i32 s9, s10
	v_lshl_add_u64 v[26:27], s[12:13], 1, v[2:3]
	s_cselect_b32 s12, s9, s11
	s_ashr_i32 s13, s12, 31
	s_add_i32 s9, s0, 0xfffff440
	s_cmp_lt_i32 s9, s10
	v_lshl_add_u64 v[28:29], s[12:13], 1, v[2:3]
	s_cselect_b32 s12, s9, s11
	s_ashr_i32 s13, s12, 31
	s_add_i32 s9, s0, 0xfffff480
	s_cmp_lt_i32 s9, s10
	global_load_ushort v13, v[14:15], off
	global_load_ushort v30, v[16:17], off
	global_load_ushort v31, v[18:19], off
	global_load_ushort v32, v[20:21], off
	global_load_ushort v33, v[22:23], off
	global_load_ushort v34, v[24:25], off
	global_load_ushort v35, v[26:27], off
	global_load_ushort v36, v[28:29], off
	v_lshl_add_u64 v[14:15], s[12:13], 1, v[2:3]
	s_cselect_b32 s12, s9, s11
	s_ashr_i32 s13, s12, 31
	s_add_i32 s9, s0, 0xfffff4c0
	s_cmp_lt_i32 s9, s10
	v_lshl_add_u64 v[16:17], s[12:13], 1, v[2:3]
	s_cselect_b32 s12, s9, s11
	s_ashr_i32 s13, s12, 31
	s_add_i32 s9, s0, 0xfffff500
	s_cmp_lt_i32 s9, s10
	v_lshl_add_u64 v[18:19], s[12:13], 1, v[2:3]
	s_cselect_b32 s12, s9, s11
	s_ashr_i32 s13, s12, 31
	s_add_i32 s9, s0, 0xfffff540
	s_cmp_lt_i32 s9, s10
	v_lshl_add_u64 v[20:21], s[12:13], 1, v[2:3]
	s_cselect_b32 s12, s9, s11
	s_ashr_i32 s13, s12, 31
	s_add_i32 s9, s0, 0xfffff580
	s_cmp_lt_i32 s9, s10
	v_lshl_add_u64 v[22:23], s[12:13], 1, v[2:3]
	s_cselect_b32 s12, s9, s11
	s_ashr_i32 s13, s12, 31
	s_add_i32 s9, s0, 0xfffff5c0
	s_cmp_lt_i32 s9, s10
	v_lshl_add_u64 v[24:25], s[12:13], 1, v[2:3]
	s_cselect_b32 s12, s9, s11
	s_ashr_i32 s13, s12, 31
	s_add_i32 s9, s0, 0xfffff600
	s_cmp_lt_i32 s9, s10
	v_lshl_add_u64 v[26:27], s[12:13], 1, v[2:3]
	s_cselect_b32 s12, s9, s11
	s_ashr_i32 s13, s12, 31
	s_add_i32 s9, s0, 0xfffff640
	s_cmp_lt_i32 s9, s10
	v_lshl_add_u64 v[28:29], s[12:13], 1, v[2:3]
	;; [unrolled: 48-line block ×6, first 2 shown]
	s_cselect_b32 s12, s9, s11
	s_ashr_i32 s13, s12, 31
	s_add_i32 s9, s0, 0xfffffe80
	s_cmp_lt_i32 s9, s10
	global_load_ushort v69, v[14:15], off
	global_load_ushort v70, v[16:17], off
	;; [unrolled: 1-line block ×8, first 2 shown]
	v_lshl_add_u64 v[14:15], s[12:13], 1, v[2:3]
	s_cselect_b32 s12, s9, s11
	s_ashr_i32 s13, s12, 31
	s_add_i32 s9, s0, 0xfffffec0
	s_cmp_lt_i32 s9, s10
	v_lshl_add_u64 v[16:17], s[12:13], 1, v[2:3]
	s_cselect_b32 s12, s9, s11
	s_ashr_i32 s13, s12, 31
	s_add_i32 s9, s0, 0xffffff00
	s_cmp_lt_i32 s9, s10
	;; [unrolled: 5-line block ×4, first 2 shown]
	v_lshl_add_u64 v[22:23], s[12:13], 1, v[2:3]
	s_cselect_b32 s12, s9, s11
	s_ashr_i32 s13, s12, 31
	s_sub_i32 s9, s0, 64
	s_cmp_lt_i32 s9, s10
	v_lshl_add_u64 v[24:25], s[12:13], 1, v[2:3]
	s_cselect_b32 s12, s9, s11
	s_ashr_i32 s13, s12, 31
	s_cmp_lt_i32 s0, s10
	v_lshl_add_u64 v[26:27], s[12:13], 1, v[2:3]
	s_cselect_b32 s12, s0, s11
	s_ashr_i32 s13, s12, 31
	v_lshl_add_u64 v[28:29], s[12:13], 1, v[2:3]
	global_load_ushort v77, v[14:15], off
	global_load_ushort v78, v[16:17], off
	;; [unrolled: 1-line block ×8, first 2 shown]
	v_mov_b32_e32 v85, s1
	ds_read_b128 v[14:17], v85
	ds_read_b128 v[18:21], v85 offset:16
	ds_read_b128 v[22:25], v85 offset:32
	;; [unrolled: 1-line block ×3, first 2 shown]
	s_waitcnt vmcnt(62) lgkmcnt(3)
	v_fma_mix_f32 v4, v14, v5, v4 op_sel_hi:[0,1,0]
	v_fma_mix_f32 v4, v15, v6, v4 op_sel_hi:[0,1,0]
	s_waitcnt vmcnt(61)
	v_fma_mix_f32 v4, v16, v7, v4 op_sel_hi:[0,1,0]
	s_waitcnt vmcnt(60)
	v_fma_mix_f32 v4, v17, v8, v4 op_sel_hi:[0,1,0]
	s_waitcnt vmcnt(59) lgkmcnt(2)
	v_fma_mix_f32 v4, v18, v9, v4 op_sel_hi:[0,1,0]
	s_waitcnt vmcnt(58)
	v_fma_mix_f32 v4, v19, v10, v4 op_sel_hi:[0,1,0]
	s_waitcnt vmcnt(57)
	;; [unrolled: 2-line block ×3, first 2 shown]
	v_fma_mix_f32 v4, v21, v12, v4 op_sel_hi:[0,1,0]
	s_waitcnt vmcnt(55) lgkmcnt(1)
	v_fma_mix_f32 v4, v22, v13, v4 op_sel_hi:[0,1,0]
	s_waitcnt vmcnt(54)
	v_fma_mix_f32 v4, v23, v30, v4 op_sel_hi:[0,1,0]
	s_waitcnt vmcnt(53)
	v_fma_mix_f32 v4, v24, v31, v4 op_sel_hi:[0,1,0]
	s_waitcnt vmcnt(52)
	v_fma_mix_f32 v4, v25, v32, v4 op_sel_hi:[0,1,0]
	s_waitcnt vmcnt(51) lgkmcnt(0)
	v_fma_mix_f32 v8, v26, v33, v4 op_sel_hi:[0,1,0]
	ds_read_b128 v[4:7], v85 offset:64
	s_waitcnt vmcnt(50)
	v_fma_mix_f32 v8, v27, v34, v8 op_sel_hi:[0,1,0]
	s_waitcnt vmcnt(49)
	v_fma_mix_f32 v8, v28, v35, v8 op_sel_hi:[0,1,0]
	s_waitcnt vmcnt(48)
	v_fma_mix_f32 v12, v29, v36, v8 op_sel_hi:[0,1,0]
	ds_read_b128 v[8:11], v85 offset:80
	s_waitcnt vmcnt(47) lgkmcnt(1)
	v_fma_mix_f32 v4, v4, v37, v12 op_sel_hi:[0,1,0]
	s_waitcnt vmcnt(46)
	v_fma_mix_f32 v4, v5, v38, v4 op_sel_hi:[0,1,0]
	s_waitcnt vmcnt(45)
	v_fma_mix_f32 v4, v6, v39, v4 op_sel_hi:[0,1,0]
	s_waitcnt vmcnt(44)
	v_fma_mix_f32 v4, v7, v40, v4 op_sel_hi:[0,1,0]
	s_waitcnt vmcnt(43) lgkmcnt(0)
	v_fma_mix_f32 v8, v8, v41, v4 op_sel_hi:[0,1,0]
	ds_read_b128 v[4:7], v85 offset:96
	s_waitcnt vmcnt(42)
	v_fma_mix_f32 v8, v9, v42, v8 op_sel_hi:[0,1,0]
	s_waitcnt vmcnt(41)
	v_fma_mix_f32 v8, v10, v43, v8 op_sel_hi:[0,1,0]
	s_waitcnt vmcnt(40)
	v_fma_mix_f32 v12, v11, v44, v8 op_sel_hi:[0,1,0]
	ds_read_b128 v[8:11], v85 offset:112
	;; [unrolled: 18-line block ×6, first 2 shown]
	s_waitcnt vmcnt(7) lgkmcnt(1)
	v_fma_mix_f32 v4, v4, v77, v12 op_sel_hi:[0,1,0]
	s_waitcnt vmcnt(6)
	v_fma_mix_f32 v4, v5, v78, v4 op_sel_hi:[0,1,0]
	s_waitcnt vmcnt(5)
	v_fma_mix_f32 v4, v6, v79, v4 op_sel_hi:[0,1,0]
	s_waitcnt vmcnt(4)
	v_fma_mix_f32 v4, v7, v80, v4 op_sel_hi:[0,1,0]
	s_waitcnt vmcnt(3) lgkmcnt(0)
	v_fma_mix_f32 v4, v8, v81, v4 op_sel_hi:[0,1,0]
	s_waitcnt vmcnt(2)
	v_fma_mix_f32 v4, v9, v82, v4 op_sel_hi:[0,1,0]
	s_waitcnt vmcnt(1)
	;; [unrolled: 2-line block ×3, first 2 shown]
	v_fma_mix_f32 v4, v11, v84, v4 op_sel_hi:[0,1,0]
	s_branch .LBB23_16
.LBB23_19:
	v_mov_b32_e32 v2, 0
	ds_read_b32 v2, v2 offset:2048
	s_cmp_lg_u64 s[6:7], 0
	s_cbranch_scc0 .LBB23_24
; %bb.20:
	s_load_dword s6, s[6:7], 0x0
	s_waitcnt lgkmcnt(0)
	v_div_scale_f32 v3, s[0:1], s6, s6, 1.0
	v_rcp_f32_e32 v5, v3
	v_div_scale_f32 v6, vcc, 1.0, s6, 1.0
	v_fma_f32 v7, -v3, v5, 1.0
	v_fmac_f32_e32 v5, v7, v5
	v_mul_f32_e32 v7, v6, v5
	v_fma_f32 v8, -v3, v7, v6
	v_fmac_f32_e32 v7, v8, v5
	v_fma_f32 v3, -v3, v7, v6
	v_div_fmas_f32 v3, v3, v5, v7
	v_div_fixup_f32 v3, v3, s6, 1.0
	s_andn2_b64 vcc, exec, s[34:35]
	s_cbranch_vccnz .LBB23_22
.LBB23_21:
	s_add_u32 s0, s30, s36
	s_addc_u32 s1, s31, s37
	s_load_dword s28, s[0:1], 0x0
	s_mov_b32 s29, 0
.LBB23_22:
	s_waitcnt lgkmcnt(0)
	v_add_f32_e32 v2, 0x358637bd, v2
	v_div_scale_f32 v5, s[0:1], v2, v2, 1.0
	v_rcp_f32_e32 v6, v5
	v_div_scale_f32 v7, vcc, 1.0, v2, 1.0
	s_mul_i32 s0, s3, s29
	v_fma_f32 v8, -v5, v6, 1.0
	v_fmac_f32_e32 v6, v8, v6
	v_mul_f32_e32 v8, v7, v6
	v_fma_f32 v9, -v5, v8, v7
	v_fmac_f32_e32 v8, v9, v6
	v_fma_f32 v5, -v5, v8, v7
	s_mul_hi_u32 s1, s3, s28
	v_div_fmas_f32 v5, v5, v6, v8
	s_add_i32 s1, s1, s0
	s_mul_i32 s0, s3, s28
	v_div_fixup_f32 v2, v5, v2, 1.0
	s_lshl_b64 s[0:1], s[0:1], 6
	v_mul_f32_e32 v2, v4, v2
	s_add_u32 s4, s4, s0
	s_mov_b32 s3, 0
	v_mul_f32_e32 v2, v2, v3
	s_addc_u32 s5, s5, s1
	s_lshl_b64 s[0:1], s[2:3], 6
	s_mov_b32 s2, 0x7f800000
	s_mov_b32 s3, 0x43700000
	v_mov_b32_e32 v3, 0xc3700000
	v_med3_f32 v3, v2, s3, v3
	v_cmp_nlg_f32_e64 vcc, |v2|, s2
	s_add_u32 s0, s4, s0
	s_addc_u32 s1, s5, s1
	v_cndmask_b32_e32 v2, v3, v2, vcc
	v_mov_b32_e32 v3, 0
	v_cvt_pk_fp8_f32 v3, v2, v2
	v_lshl_add_u64 v[0:1], s[0:1], 0, v[0:1]
	global_store_byte v[0:1], v3, off
	s_endpgm
.LBB23_23:
	s_mov_b64 s[6:7], 0
	s_branch .LBB23_2
.LBB23_24:
	v_mov_b32_e32 v3, 1.0
	s_andn2_b64 vcc, exec, s[34:35]
	s_cbranch_vccz .LBB23_21
	s_branch .LBB23_22
	.section	.rodata,"a",@progbits
	.p2align	6, 0x0
	.amdhsa_kernel _Z35paged_attention_ll4mi_reduce_kernelIDF16_hLi64ELi64ELi256ELi8EEvPT0_PKfS3_PKT_PKiS8_iS3_
		.amdhsa_group_segment_fixed_size 2052
		.amdhsa_private_segment_fixed_size 0
		.amdhsa_kernarg_size 320
		.amdhsa_user_sgpr_count 2
		.amdhsa_user_sgpr_dispatch_ptr 0
		.amdhsa_user_sgpr_queue_ptr 0
		.amdhsa_user_sgpr_kernarg_segment_ptr 1
		.amdhsa_user_sgpr_dispatch_id 0
		.amdhsa_user_sgpr_kernarg_preload_length 0
		.amdhsa_user_sgpr_kernarg_preload_offset 0
		.amdhsa_user_sgpr_private_segment_size 0
		.amdhsa_uses_dynamic_stack 0
		.amdhsa_enable_private_segment 0
		.amdhsa_system_sgpr_workgroup_id_x 1
		.amdhsa_system_sgpr_workgroup_id_y 1
		.amdhsa_system_sgpr_workgroup_id_z 0
		.amdhsa_system_sgpr_workgroup_info 0
		.amdhsa_system_vgpr_workitem_id 0
		.amdhsa_next_free_vgpr 92
		.amdhsa_next_free_sgpr 45
		.amdhsa_accum_offset 92
		.amdhsa_reserve_vcc 1
		.amdhsa_float_round_mode_32 0
		.amdhsa_float_round_mode_16_64 0
		.amdhsa_float_denorm_mode_32 3
		.amdhsa_float_denorm_mode_16_64 3
		.amdhsa_dx10_clamp 1
		.amdhsa_ieee_mode 1
		.amdhsa_fp16_overflow 0
		.amdhsa_tg_split 0
		.amdhsa_exception_fp_ieee_invalid_op 0
		.amdhsa_exception_fp_denorm_src 0
		.amdhsa_exception_fp_ieee_div_zero 0
		.amdhsa_exception_fp_ieee_overflow 0
		.amdhsa_exception_fp_ieee_underflow 0
		.amdhsa_exception_fp_ieee_inexact 0
		.amdhsa_exception_int_div_zero 0
	.end_amdhsa_kernel
	.section	.text._Z35paged_attention_ll4mi_reduce_kernelIDF16_hLi64ELi64ELi256ELi8EEvPT0_PKfS3_PKT_PKiS8_iS3_,"axG",@progbits,_Z35paged_attention_ll4mi_reduce_kernelIDF16_hLi64ELi64ELi256ELi8EEvPT0_PKfS3_PKT_PKiS8_iS3_,comdat
.Lfunc_end23:
	.size	_Z35paged_attention_ll4mi_reduce_kernelIDF16_hLi64ELi64ELi256ELi8EEvPT0_PKfS3_PKT_PKiS8_iS3_, .Lfunc_end23-_Z35paged_attention_ll4mi_reduce_kernelIDF16_hLi64ELi64ELi256ELi8EEvPT0_PKfS3_PKT_PKiS8_iS3_
                                        ; -- End function
	.section	.AMDGPU.csdata,"",@progbits
; Kernel info:
; codeLenInByte = 9212
; NumSgprs: 51
; NumVgprs: 92
; NumAgprs: 0
; TotalNumVgprs: 92
; ScratchSize: 0
; MemoryBound: 0
; FloatMode: 240
; IeeeMode: 1
; LDSByteSize: 2052 bytes/workgroup (compile time only)
; SGPRBlocks: 6
; VGPRBlocks: 11
; NumSGPRsForWavesPerEU: 51
; NumVGPRsForWavesPerEU: 92
; AccumOffset: 92
; Occupancy: 5
; WaveLimiterHint : 1
; COMPUTE_PGM_RSRC2:SCRATCH_EN: 0
; COMPUTE_PGM_RSRC2:USER_SGPR: 2
; COMPUTE_PGM_RSRC2:TRAP_HANDLER: 0
; COMPUTE_PGM_RSRC2:TGID_X_EN: 1
; COMPUTE_PGM_RSRC2:TGID_Y_EN: 1
; COMPUTE_PGM_RSRC2:TGID_Z_EN: 0
; COMPUTE_PGM_RSRC2:TIDIG_COMP_CNT: 0
; COMPUTE_PGM_RSRC3_GFX90A:ACCUM_OFFSET: 22
; COMPUTE_PGM_RSRC3_GFX90A:TG_SPLIT: 0
	.section	.text._Z39paged_attention_ll4mi_QKV_mfma16_kernelIDF16_DF16_LN4vllm18Fp8KVCacheDataTypeE0EhLi16ELi64ELi256ELb1ELi1EEvPKT_PKT0_S7_ifPKiS9_S9_iPKfiiiPfSC_PS2_PT2_iSB_SB_,"axG",@progbits,_Z39paged_attention_ll4mi_QKV_mfma16_kernelIDF16_DF16_LN4vllm18Fp8KVCacheDataTypeE0EhLi16ELi64ELi256ELb1ELi1EEvPKT_PKT0_S7_ifPKiS9_S9_iPKfiiiPfSC_PS2_PT2_iSB_SB_,comdat
	.protected	_Z39paged_attention_ll4mi_QKV_mfma16_kernelIDF16_DF16_LN4vllm18Fp8KVCacheDataTypeE0EhLi16ELi64ELi256ELb1ELi1EEvPKT_PKT0_S7_ifPKiS9_S9_iPKfiiiPfSC_PS2_PT2_iSB_SB_ ; -- Begin function _Z39paged_attention_ll4mi_QKV_mfma16_kernelIDF16_DF16_LN4vllm18Fp8KVCacheDataTypeE0EhLi16ELi64ELi256ELb1ELi1EEvPKT_PKT0_S7_ifPKiS9_S9_iPKfiiiPfSC_PS2_PT2_iSB_SB_
	.globl	_Z39paged_attention_ll4mi_QKV_mfma16_kernelIDF16_DF16_LN4vllm18Fp8KVCacheDataTypeE0EhLi16ELi64ELi256ELb1ELi1EEvPKT_PKT0_S7_ifPKiS9_S9_iPKfiiiPfSC_PS2_PT2_iSB_SB_
	.p2align	8
	.type	_Z39paged_attention_ll4mi_QKV_mfma16_kernelIDF16_DF16_LN4vllm18Fp8KVCacheDataTypeE0EhLi16ELi64ELi256ELb1ELi1EEvPKT_PKT0_S7_ifPKiS9_S9_iPKfiiiPfSC_PS2_PT2_iSB_SB_,@function
_Z39paged_attention_ll4mi_QKV_mfma16_kernelIDF16_DF16_LN4vllm18Fp8KVCacheDataTypeE0EhLi16ELi64ELi256ELb1ELi1EEvPKT_PKT0_S7_ifPKiS9_S9_iPKfiiiPfSC_PS2_PT2_iSB_SB_: ; @_Z39paged_attention_ll4mi_QKV_mfma16_kernelIDF16_DF16_LN4vllm18Fp8KVCacheDataTypeE0EhLi16ELi64ELi256ELb1ELi1EEvPKT_PKT0_S7_ifPKiS9_S9_iPKfiiiPfSC_PS2_PT2_iSB_SB_
; %bb.0:
	s_load_dwordx2 s[6:7], s[0:1], 0x30
	s_mov_b32 s30, s3
	s_mov_b64 s[8:9], 0
	s_waitcnt lgkmcnt(0)
	s_cmp_lg_u64 s[6:7], 0
	s_cselect_b64 s[10:11], -1, 0
	s_and_b64 vcc, exec, s[10:11]
	s_cbranch_vccz .LBB24_7
; %bb.1:
	s_add_i32 s12, s2, 1
	s_mov_b32 s13, 0
	s_lshl_b64 s[14:15], s[12:13], 2
	s_add_u32 s14, s6, s14
	s_mov_b32 s3, s13
	s_addc_u32 s15, s7, s15
	s_lshl_b64 s[12:13], s[2:3], 2
	s_add_u32 s12, s6, s12
	s_addc_u32 s13, s7, s13
	s_load_dword s5, s[14:15], 0x0
	s_load_dword s16, s[12:13], 0x0
	s_waitcnt lgkmcnt(0)
	s_sub_i32 s5, s5, s16
	s_cmp_eq_u32 s5, 1
	s_cselect_b64 s[12:13], -1, 0
	s_andn2_b64 vcc, exec, s[8:9]
	s_cbranch_vccnz .LBB24_3
.LBB24_2:
	s_mov_b32 s3, 0
	s_mov_b64 s[12:13], -1
.LBB24_3:
	s_andn2_b64 vcc, exec, s[12:13]
	s_cbranch_vccnz .LBB24_19
; %bb.4:
	s_load_dwordx2 s[8:9], s[0:1], 0x28
	s_lshl_b64 s[12:13], s[2:3], 2
	s_waitcnt lgkmcnt(0)
	s_add_u32 s8, s8, s12
	s_addc_u32 s9, s9, s13
	s_load_dword s31, s[8:9], 0x0
	s_lshl_b32 s16, s30, 8
	s_waitcnt lgkmcnt(0)
	s_cmp_ge_i32 s16, s31
	s_cbranch_scc1 .LBB24_19
; %bb.5:
	s_load_dwordx2 s[8:9], s[0:1], 0x20
	s_load_dword s5, s[0:1], 0x38
	s_add_i32 s14, s31, 15
	s_ashr_i32 s15, s14, 31
	v_and_b32_e32 v1, 0xcf, v0
	s_lshr_b32 s15, s15, 28
	v_add_u32_e32 v1, s16, v1
	s_add_i32 s14, s14, s15
	v_ashrrev_i32_e32 v2, 31, v1
	s_ashr_i32 s17, s14, 4
	v_lshrrev_b32_e32 v6, 28, v2
	s_add_i32 s17, s17, -1
	s_waitcnt lgkmcnt(0)
	s_mul_i32 s14, s2, s5
	s_mov_b32 s15, 0
	v_add_u32_e32 v2, v1, v6
	s_lshl_b64 s[14:15], s[14:15], 2
	v_ashrrev_i32_e32 v2, 4, v2
	v_mov_b32_e32 v7, s17
	v_cmp_gt_i32_e32 vcc, s31, v1
	s_add_u32 s8, s8, s14
	s_addc_u32 s9, s9, s15
	v_cndmask_b32_e32 v2, v7, v2, vcc
	v_ashrrev_i32_e32 v3, 31, v2
	v_lshl_add_u64 v[4:5], v[2:3], 2, s[8:9]
	v_or_b32_e32 v2, 16, v1
	v_add_u32_e32 v3, v2, v6
	v_ashrrev_i32_e32 v3, 4, v3
	v_cmp_gt_i32_e32 vcc, s31, v2
	s_load_dwordx2 s[14:15], s[0:1], 0x8
	s_nop 0
	v_cndmask_b32_e32 v2, v7, v3, vcc
	v_ashrrev_i32_e32 v3, 31, v2
	v_lshl_add_u64 v[8:9], v[2:3], 2, s[8:9]
	v_or_b32_e32 v2, 32, v1
	v_add_u32_e32 v3, v2, v6
	v_ashrrev_i32_e32 v3, 4, v3
	v_cmp_gt_i32_e32 vcc, s31, v2
	v_or_b32_e32 v1, 48, v1
	s_nop 0
	v_cndmask_b32_e32 v2, v7, v3, vcc
	v_ashrrev_i32_e32 v3, 31, v2
	v_lshl_add_u64 v[10:11], v[2:3], 2, s[8:9]
	v_add_u32_e32 v2, v1, v6
	v_ashrrev_i32_e32 v2, 4, v2
	v_cmp_gt_i32_e32 vcc, s31, v1
	s_nop 1
	v_cndmask_b32_e32 v2, v7, v2, vcc
	v_ashrrev_i32_e32 v3, 31, v2
	v_lshl_add_u64 v[12:13], v[2:3], 2, s[8:9]
	global_load_dword v3, v[4:5], off
	global_load_dword v2, v[8:9], off
	global_load_dword v6, v[10:11], off
	global_load_dword v14, v[12:13], off
	s_andn2_b64 vcc, exec, s[10:11]
	s_cbranch_vccnz .LBB24_8
; %bb.6:
	s_add_u32 s6, s6, s12
	s_addc_u32 s7, s7, s13
	s_load_dword s5, s[6:7], 0x0
	s_branch .LBB24_9
.LBB24_7:
	s_mov_b64 s[12:13], 0
	s_branch .LBB24_2
.LBB24_8:
	s_mov_b32 s5, s2
.LBB24_9:
	s_load_dwordx2 s[10:11], s[0:1], 0x10
	s_load_dwordx4 s[44:47], s[0:1], 0x48
	v_lshrrev_b32_e32 v52, 6, v0
	v_bfe_u32 v50, v0, 4, 2
	v_lshl_or_b32 v1, v52, 2, v50
	v_and_b32_e32 v53, 15, v0
	v_lshlrev_b32_e32 v4, 3, v53
	v_cmp_eq_u32_e32 vcc, 0, v1
	v_cmp_gt_u32_e64 s[6:7], 8, v53
	s_and_b64 s[18:19], s[6:7], vcc
	v_lshlrev_b32_e32 v1, 1, v4
	s_and_saveexec_b64 s[12:13], s[18:19]
	s_cbranch_execz .LBB24_11
; %bb.10:
	s_load_dwordx2 s[18:19], s[0:1], 0x0
	s_waitcnt lgkmcnt(0)
	s_ashr_i32 s20, s44, 31
	s_mul_hi_u32 s21, s5, s44
	s_mul_i32 s20, s5, s20
	s_add_i32 s21, s21, s20
	s_mul_i32 s20, s5, s44
	s_lshl_b64 s[20:21], s[20:21], 1
	s_add_u32 s5, s18, s20
	s_addc_u32 s20, s19, s21
	s_lshl_b32 s18, s4, 6
	s_ashr_i32 s19, s18, 31
	s_lshl_b64 s[18:19], s[18:19], 1
	s_add_u32 s18, s5, s18
	s_addc_u32 s19, s20, s19
	global_load_dwordx4 v[8:11], v1, s[18:19]
	v_and_b32_e32 v4, 3, v0
	v_lshlrev_b32_e32 v5, 9, v53
	v_lshlrev_b32_e32 v4, 9, v4
	s_movk_i32 s5, 0x1800
	v_and_or_b32 v4, v5, s5, v4
	s_waitcnt vmcnt(0)
	ds_write_b128 v4, v[8:11]
.LBB24_11:
	s_or_b64 exec, exec, s[12:13]
	s_waitcnt lgkmcnt(0)
	s_mul_i32 s12, s4, s46
	s_mov_b32 s13, 0
	s_lshl_b64 s[12:13], s[12:13], 1
	s_add_u32 s14, s14, s12
	v_lshlrev_b32_e32 v51, 4, v0
	s_addc_u32 s15, s15, s13
	v_and_b32_e32 v42, 0xf0, v51
	v_mov_b32_e32 v43, 0
	v_lshl_add_u64 v[16:17], s[14:15], 0, v[42:43]
	s_waitcnt vmcnt(3)
	v_mad_i64_i32 v[4:5], s[14:15], v3, s45, 0
	s_waitcnt vmcnt(2)
	v_mad_i64_i32 v[2:3], s[14:15], v2, s45, 0
	;; [unrolled: 2-line block ×3, first 2 shown]
	v_lshl_add_u64 v[4:5], v[4:5], 1, v[16:17]
	v_and_b32_e32 v42, 0x300, v51
	v_lshl_add_u64 v[2:3], v[2:3], 1, v[16:17]
	v_lshl_add_u64 v[6:7], v[6:7], 1, v[16:17]
	s_waitcnt vmcnt(0)
	v_mad_i64_i32 v[14:15], s[14:15], v14, s45, 0
	v_lshl_add_u64 v[4:5], v[4:5], 0, v[42:43]
	v_lshl_add_u64 v[8:9], v[2:3], 0, v[42:43]
	;; [unrolled: 1-line block ×4, first 2 shown]
	s_barrier
	global_load_dwordx4 v[30:33], v[4:5], off
	global_load_dwordx4 v[10:13], v[4:5], off offset:1024
	global_load_dwordx4 v[22:25], v[8:9], off
	s_nop 0
	global_load_dwordx4 v[2:5], v[8:9], off offset:1024
	global_load_dwordx4 v[26:29], v[18:19], off
	s_nop 0
	global_load_dwordx4 v[6:9], v[18:19], off offset:1024
	v_lshl_add_u64 v[18:19], v[14:15], 0, v[42:43]
	global_load_dwordx4 v[34:37], v[18:19], off
	global_load_dwordx4 v[14:17], v[18:19], off offset:1024
	v_lshlrev_b32_e32 v18, 9, v50
	ds_read_b128 v[38:41], v18
	ds_read_b128 v[18:21], v18 offset:2048
	v_and_b32_e32 v55, 63, v0
	v_cmp_eq_u32_e32 vcc, 0, v53
	v_mov_b32_e32 v56, 0
	s_and_saveexec_b64 s[14:15], vcc
	s_cbranch_execz .LBB24_13
; %bb.12:
	s_load_dwordx2 s[18:19], s[0:1], 0x40
	s_ashr_i32 s5, s4, 31
	s_lshl_b64 s[20:21], s[4:5], 2
	s_waitcnt lgkmcnt(0)
	s_add_u32 s18, s18, s20
	s_addc_u32 s19, s19, s21
	s_load_dword s5, s[18:19], 0x0
	s_waitcnt lgkmcnt(0)
	v_mov_b32_e32 v56, s5
.LBB24_13:
	s_or_b64 exec, exec, s[14:15]
	v_and_or_b32 v42, v0, 48, s16
	v_ashrrev_i32_e32 v44, 4, v42
	v_mov_b32_e32 v57, s17
	v_cmp_gt_i32_e32 vcc, s31, v42
	v_or_b32_e32 v54, 64, v42
	s_waitcnt vmcnt(5) lgkmcnt(1)
	v_mfma_f32_16x16x16_f16 v[58:61], v[22:23], v[38:39], 0
	v_cndmask_b32_e32 v44, v57, v44, vcc
	v_ashrrev_i32_e32 v45, 31, v44
	v_lshl_add_u64 v[48:49], v[44:45], 2, s[8:9]
	v_mfma_f32_16x16x16_f16 v[44:47], v[30:31], v[38:39], 0
	v_ashrrev_i32_e32 v30, 4, v54
	v_cmp_gt_i32_e32 vcc, s31, v54
	global_load_dword v70, v[48:49], off
	s_waitcnt vmcnt(4)
	v_mfma_f32_16x16x16_f16 v[62:65], v[26:27], v[38:39], 0
	v_cndmask_b32_e32 v30, v57, v30, vcc
	v_ashrrev_i32_e32 v31, 31, v30
	v_lshl_add_u64 v[22:23], v[30:31], 2, s[8:9]
	global_load_dword v71, v[22:23], off
	v_mfma_f32_16x16x16_f16 v[22:25], v[24:25], v[40:41], v[58:61]
	v_and_b32_e32 v26, 0xc0, v0
	s_load_dword s14, s[0:1], 0x1c
	s_mov_b32 s5, 0xff7fffff
	v_mfma_f32_16x16x16_f16 v[30:33], v[32:33], v[40:41], v[44:47]
	s_add_u32 s10, s10, s12
	v_lshlrev_b32_e32 v54, 5, v53
	s_addc_u32 s11, s11, s13
	s_waitcnt vmcnt(3)
	v_mfma_f32_16x16x16_f16 v[66:69], v[34:35], v[38:39], 0
	v_or_b32_e32 v38, 0x80, v42
	v_add_u32_e32 v44, s16, v26
	v_or_b32_e32 v39, 0xc0, v42
	v_mfma_f32_16x16x16_f16 v[26:29], v[28:29], v[40:41], v[62:65]
	v_ashrrev_i32_e32 v45, 4, v38
	v_cmp_gt_i32_e32 vcc, s31, v38
	v_ashrrev_i32_e32 v46, 4, v39
	s_waitcnt lgkmcnt(0)
	v_mfma_f32_16x16x16_f16 v[22:25], v[2:3], v[18:19], v[22:25]
	v_cndmask_b32_e32 v38, v57, v45, vcc
	v_cmp_gt_i32_e32 vcc, s31, v39
	v_ashrrev_i32_e32 v39, 31, v38
	v_mfma_f32_16x16x16_f16 v[30:33], v[10:11], v[18:19], v[30:33]
	v_cndmask_b32_e32 v10, v57, v46, vcc
	v_ashrrev_i32_e32 v11, 31, v10
	v_lshl_or_b32 v58, v50, 2, v44
	v_mfma_f32_16x16x16_f16 v[26:29], v[6:7], v[18:19], v[26:29]
	v_lshl_add_u64 v[6:7], v[38:39], 2, s[8:9]
	v_lshl_add_u64 v[38:39], v[10:11], 2, s[8:9]
	v_or_b32_e32 v57, 1, v58
	v_mfma_f32_16x16x16_f16 v[2:5], v[4:5], v[20:21], v[22:25]
	s_nop 2
	global_load_dword v22, v[6:7], off
	global_load_dword v61, v[38:39], off
	v_subrev_u32_e32 v59, s31, v57
	v_cvt_f32_i32_e32 v60, v59
	v_mfma_f32_16x16x16_f16 v[34:37], v[36:37], v[40:41], v[66:69]
	v_pk_mul_f32 v[44:45], s[14:15], v[4:5] op_sel_hi:[0,1]
	v_cmp_gt_i32_e64 s[34:35], s31, v58
	v_cmp_gt_i32_e64 s[36:37], s31, v57
	s_waitcnt vmcnt(4)
	v_mfma_f32_16x16x16_f16 v[34:37], v[14:15], v[18:19], v[34:37]
	v_add_u32_e32 v14, 1, v59
	v_add_u32_e32 v15, 2, v59
	v_cvt_f32_i32_e32 v23, v14
	v_cvt_f32_i32_e32 v24, v15
	v_mfma_f32_16x16x16_f16 v[14:17], v[16:17], v[20:21], v[34:37]
	v_add_u32_e32 v18, 3, v59
	v_cvt_f32_i32_e32 v18, v18
	v_add_u32_e32 v19, 16, v59
	v_mfma_f32_16x16x16_f16 v[10:13], v[12:13], v[20:21], v[30:33]
	v_cvt_f32_i32_e32 v19, v19
	s_nop 1
	v_pk_mul_f32 v[36:37], s[14:15], v[14:15] op_sel_hi:[0,1]
	v_add_u32_e32 v15, 19, v59
	v_add_u32_e32 v31, 18, v59
	v_cvt_f32_i32_e32 v14, v31
	v_cvt_f32_i32_e32 v15, v15
	v_mfma_f32_16x16x16_f16 v[6:9], v[8:9], v[20:21], v[26:29]
	v_pk_mul_f32 v[34:35], s[14:15], v[16:17] op_sel_hi:[0,1]
	v_fma_f32 v44, v56, v14, v44
	v_add_u32_e32 v14, 32, v59
	v_fmac_f32_e32 v45, v56, v15
	v_cvt_f32_i32_e32 v14, v14
	v_add_u32_e32 v15, 33, v59
	v_add_u32_e32 v16, 34, v59
	v_cvt_f32_i32_e32 v15, v15
	v_cvt_f32_i32_e32 v16, v16
	v_add_u32_e32 v17, 35, v59
	v_cvt_f32_i32_e32 v17, v17
	v_pk_mul_f32 v[40:41], s[14:15], v[6:7] op_sel_hi:[0,1]
	v_pk_mul_f32 v[38:39], s[14:15], v[8:9] op_sel_hi:[0,1]
	v_fma_f32 v40, v56, v14, v40
	v_add_u32_e32 v14, 48, v59
	v_fmac_f32_e32 v41, v56, v15
	v_fma_f32 v38, v56, v16, v38
	v_cvt_f32_i32_e32 v14, v14
	v_add_u32_e32 v15, 49, v59
	v_add_u32_e32 v16, 50, v59
	v_fmac_f32_e32 v39, v56, v17
	v_cvt_f32_i32_e32 v15, v15
	v_cvt_f32_i32_e32 v16, v16
	v_add_u32_e32 v17, 51, v59
	v_cvt_f32_i32_e32 v17, v17
	v_pk_mul_f32 v[10:11], s[14:15], v[10:11] op_sel_hi:[0,1]
	v_fma_f32 v10, v56, v60, v10
	v_fmac_f32_e32 v11, v56, v23
	v_fma_f32 v36, v56, v14, v36
	v_mov_b32_e32 v14, 0xff7fffff
	v_add_u32_e32 v30, 17, v59
	v_fmac_f32_e32 v37, v56, v15
	v_fma_f32 v34, v56, v16, v34
	v_cndmask_b32_e64 v15, v14, v10, s[34:35]
	v_cndmask_b32_e64 v16, v14, v11, s[36:37]
	v_cvt_f32_i32_e32 v25, v30
	v_pk_mul_f32 v[48:49], s[14:15], v[12:13] op_sel_hi:[0,1]
	v_fmac_f32_e32 v35, v56, v17
	v_max3_f32 v15, v15, s5, v16
	v_or_b32_e32 v16, 2, v58
	v_or_b32_e32 v17, 3, v58
	v_fma_f32 v48, v56, v24, v48
	v_fmac_f32_e32 v49, v56, v18
	v_cmp_gt_i32_e64 s[38:39], s31, v16
	v_cmp_gt_i32_e64 s[40:41], s31, v17
	v_pk_mul_f32 v[46:47], s[14:15], v[2:3] op_sel_hi:[0,1]
	v_cndmask_b32_e64 v16, v14, v48, s[38:39]
	v_cndmask_b32_e64 v17, v14, v49, s[40:41]
	v_max3_f32 v15, v15, v16, v17
	v_or_b32_e32 v16, 16, v58
	v_or_b32_e32 v17, 17, v58
	v_fma_f32 v46, v56, v19, v46
	v_fmac_f32_e32 v47, v56, v25
	v_cmp_gt_i32_e64 s[26:27], s31, v16
	v_cmp_gt_i32_e64 s[28:29], s31, v17
	v_lshl_or_b32 v42, v52, 9, v54
	v_cndmask_b32_e64 v16, v14, v46, s[26:27]
	v_cndmask_b32_e64 v17, v14, v47, s[28:29]
	v_max3_f32 v15, v15, v16, v17
	v_or_b32_e32 v16, 18, v58
	v_or_b32_e32 v17, 19, v58
	v_cmp_gt_i32_e64 s[22:23], s31, v16
	v_cmp_gt_i32_e64 s[24:25], s31, v17
	v_lshl_add_u64 v[42:43], s[10:11], 0, v[42:43]
	v_cndmask_b32_e64 v16, v14, v44, s[22:23]
	v_cndmask_b32_e64 v17, v14, v45, s[24:25]
	v_max3_f32 v15, v15, v16, v17
	v_or_b32_e32 v16, 32, v58
	v_or_b32_e32 v17, 33, v58
	v_cmp_gt_i32_e64 s[18:19], s31, v16
	v_cmp_gt_i32_e64 s[20:21], s31, v17
	s_waitcnt vmcnt(3)
	v_mad_i64_i32 v[2:3], s[8:9], v70, s45, 0
	v_cndmask_b32_e64 v16, v14, v40, s[18:19]
	v_cndmask_b32_e64 v17, v14, v41, s[20:21]
	v_max3_f32 v15, v15, v16, v17
	v_or_b32_e32 v16, 34, v58
	v_or_b32_e32 v17, 35, v58
	v_cmp_gt_i32_e64 s[14:15], s31, v16
	v_cmp_gt_i32_e64 s[16:17], s31, v17
	s_waitcnt vmcnt(2)
	v_mad_i64_i32 v[12:13], s[8:9], v71, s45, 0
	v_cndmask_b32_e64 v16, v14, v38, s[14:15]
	v_cndmask_b32_e64 v17, v14, v39, s[16:17]
	v_max3_f32 v15, v15, v16, v17
	v_or_b32_e32 v16, 48, v58
	v_or_b32_e32 v17, 49, v58
	v_cmp_gt_i32_e64 s[10:11], s31, v16
	v_cmp_gt_i32_e64 s[12:13], s31, v17
	v_lshl_add_u64 v[2:3], v[2:3], 1, v[42:43]
	v_cndmask_b32_e64 v16, v14, v36, s[10:11]
	v_cndmask_b32_e64 v17, v14, v37, s[12:13]
	v_max3_f32 v15, v15, v16, v17
	v_or_b32_e32 v16, 50, v58
	v_or_b32_e32 v17, 51, v58
	v_cmp_gt_i32_e32 vcc, s31, v16
	v_cmp_gt_i32_e64 s[8:9], s31, v17
	v_lshl_add_u64 v[12:13], v[12:13], 1, v[42:43]
	v_cndmask_b32_e32 v16, v14, v34, vcc
	v_cndmask_b32_e64 v14, v14, v35, s[8:9]
	v_max3_f32 v14, v15, v16, v14
	v_mbcnt_lo_u32_b32 v15, -1, 0
	v_mbcnt_hi_u32_b32 v15, -1, v15
	v_and_b32_e32 v16, 64, v15
	v_add_u32_e32 v16, 64, v16
	v_xor_b32_e32 v17, 32, v15
	v_cmp_lt_i32_e64 s[42:43], v17, v16
	global_load_dwordx4 v[6:9], v[2:3], off
	s_nop 0
	global_load_dwordx4 v[2:5], v[2:3], off offset:16
	v_cndmask_b32_e64 v17, v15, v17, s[42:43]
	v_lshlrev_b32_e32 v57, 2, v17
	ds_bpermute_b32 v17, v57, v14
	global_load_dwordx4 v[30:33], v[12:13], off
	global_load_dwordx4 v[26:29], v[12:13], off offset:16
	s_waitcnt vmcnt(5)
	v_mad_i64_i32 v[12:13], s[42:43], v22, s45, 0
	v_lshl_add_u64 v[12:13], v[12:13], 1, v[42:43]
	s_waitcnt lgkmcnt(0)
	v_max_f32_e32 v17, v17, v17
	v_max_f32_e32 v14, v14, v17
	v_xor_b32_e32 v17, 16, v15
	v_cmp_lt_i32_e64 s[42:43], v17, v16
	global_load_dwordx4 v[22:25], v[12:13], off
	global_load_dwordx4 v[18:21], v[12:13], off offset:16
	v_cndmask_b32_e64 v15, v15, v17, s[42:43]
	v_lshlrev_b32_e32 v58, 2, v15
	ds_bpermute_b32 v15, v58, v14
	s_waitcnt vmcnt(6)
	v_mad_i64_i32 v[12:13], s[42:43], v61, s45, 0
	v_lshl_add_u64 v[12:13], v[12:13], 1, v[42:43]
	s_waitcnt lgkmcnt(0)
	v_max_f32_e32 v15, v15, v15
	v_max_f32_e32 v56, v14, v15
	v_sub_f32_e32 v10, v10, v56
	v_mul_f32_e32 v10, 0x3fb8aa3b, v10
	v_exp_f32_e32 v42, v10
	v_sub_f32_e32 v10, v11, v56
	v_mul_f32_e32 v10, 0x3fb8aa3b, v10
	v_exp_f32_e32 v43, v10
	global_load_dwordx4 v[14:17], v[12:13], off
	s_nop 0
	global_load_dwordx4 v[10:13], v[12:13], off offset:16
	v_sub_f32_e32 v48, v48, v56
	v_mul_f32_e32 v48, 0x3fb8aa3b, v48
	v_sub_f32_e32 v49, v49, v56
	v_exp_f32_e32 v48, v48
	v_mul_f32_e32 v49, 0x3fb8aa3b, v49
	v_sub_f32_e32 v46, v46, v56
	v_exp_f32_e32 v49, v49
	v_mul_f32_e32 v46, 0x3fb8aa3b, v46
	v_sub_f32_e32 v47, v47, v56
	v_cndmask_b32_e64 v42, 0, v42, s[34:35]
	v_exp_f32_e32 v46, v46
	v_mul_f32_e32 v47, 0x3fb8aa3b, v47
	v_sub_f32_e32 v44, v44, v56
	v_add_f32_e32 v59, 0, v42
	v_cndmask_b32_e64 v43, 0, v43, s[36:37]
	v_exp_f32_e32 v47, v47
	v_mul_f32_e32 v44, 0x3fb8aa3b, v44
	v_sub_f32_e32 v45, v45, v56
	v_add_f32_e32 v59, v59, v43
	;; [unrolled: 5-line block ×10, first 2 shown]
	v_cndmask_b32_e64 v38, 0, v38, s[14:15]
	v_exp_f32_e32 v34, v34
	v_mul_f32_e32 v35, 0x3fb8aa3b, v35
	v_add_f32_e32 v59, v59, v38
	v_cndmask_b32_e64 v39, 0, v39, s[16:17]
	v_exp_f32_e32 v35, v35
	v_add_f32_e32 v59, v59, v39
	v_cndmask_b32_e64 v36, 0, v36, s[10:11]
	v_add_f32_e32 v59, v59, v36
	v_cndmask_b32_e64 v37, 0, v37, s[12:13]
	v_add_f32_e32 v59, v59, v37
	v_cndmask_b32_e32 v34, 0, v34, vcc
	v_add_f32_e32 v59, v59, v34
	v_cndmask_b32_e64 v35, 0, v35, s[8:9]
	v_add_f32_e32 v59, v59, v35
	ds_bpermute_b32 v57, v57, v59
	v_cmp_gt_u32_e64 s[8:9], 16, v55
	v_lshlrev_b32_e32 v55, 2, v53
	s_waitcnt lgkmcnt(0)
	s_barrier
	v_add_f32_e32 v57, v59, v57
	ds_bpermute_b32 v58, v58, v57
	s_waitcnt lgkmcnt(0)
	s_and_saveexec_b64 s[10:11], s[8:9]
	s_cbranch_execz .LBB24_15
; %bb.14:
	v_add_f32_e32 v53, v57, v58
	v_lshl_or_b32 v57, v52, 6, v55
	ds_write2st64_b32 v57, v56, v53 offset1:1
.LBB24_15:
	s_or_b64 exec, exec, s[10:11]
	s_load_dwordx2 s[10:11], s[0:1], 0x94
	s_waitcnt lgkmcnt(0)
	s_barrier
	ds_read2_b32 v[56:57], v55 offset1:16
	ds_read2_b32 v[58:59], v55 offset0:32 offset1:48
	ds_read2_b32 v[60:61], v55 offset0:64 offset1:80
	s_waitcnt lgkmcnt(2)
	v_max3_f32 v53, v56, s5, v57
	s_waitcnt lgkmcnt(1)
	v_max3_f32 v53, v53, v58, v59
	v_sub_f32_e32 v56, v56, v53
	v_mul_f32_e32 v56, 0x3fb8aa3b, v56
	v_exp_f32_e32 v62, v56
	v_sub_f32_e32 v56, v57, v53
	v_mul_f32_e32 v56, 0x3fb8aa3b, v56
	v_exp_f32_e32 v63, v56
	v_sub_f32_e32 v56, v58, v53
	v_mul_f32_e32 v56, 0x3fb8aa3b, v56
	v_exp_f32_e32 v58, v56
	ds_read2_b32 v[56:57], v55 offset0:96 offset1:112
	v_sub_f32_e32 v55, v59, v53
	v_mul_f32_e32 v55, 0x3fb8aa3b, v55
	v_exp_f32_e32 v59, v55
	s_waitcnt lgkmcnt(1)
	v_fma_f32 v55, v62, v60, 0
	v_fmac_f32_e32 v55, v63, v61
	s_waitcnt lgkmcnt(0)
	v_fmac_f32_e32 v55, v58, v56
	v_fmac_f32_e32 v55, v59, v57
	v_add_f32_e32 v57, 0x358637bd, v55
	v_div_scale_f32 v60, s[12:13], v57, v57, 1.0
	v_rcp_f32_e32 v61, v60
	s_barrier
	v_fma_f32 v64, -v60, v61, 1.0
	v_fmac_f32_e32 v61, v64, v61
	v_div_scale_f32 v64, vcc, 1.0, v57, 1.0
	v_mul_f32_e32 v65, v64, v61
	v_fma_f32 v66, -v60, v65, v64
	v_fmac_f32_e32 v65, v66, v61
	v_fma_f32 v60, -v60, v65, v64
	v_div_fmas_f32 v60, v60, v61, v65
	v_cmp_eq_u32_e32 vcc, 1, v52
	v_div_fixup_f32 v57, v60, v57, 1.0
	v_mov_b32_e32 v56, 0
	v_cndmask_b32_e32 v60, v62, v63, vcc
	v_cmp_eq_u32_e32 vcc, 2, v52
	s_nop 1
	v_cndmask_b32_e32 v58, v60, v58, vcc
	v_cmp_eq_u32_e32 vcc, 3, v52
	s_nop 1
	v_cndmask_b32_e32 v58, v58, v59, vcc
	v_mul_f32_e32 v58, v58, v57
	v_pk_mul_f32 v[42:43], v[58:59], v[42:43] op_sel_hi:[0,1]
	v_cvt_f16_f32_e32 v42, v42
	v_cvt_f16_f32_e32 v43, v43
	v_pk_mul_f32 v[48:49], v[58:59], v[48:49] op_sel_hi:[0,1]
	v_cvt_f16_f32_e32 v57, v48
	v_cvt_f16_f32_e32 v49, v49
	v_pack_b32_f16 v48, v42, v43
	v_pk_mul_f32 v[42:43], v[58:59], v[44:45] op_sel_hi:[0,1]
	v_pk_mul_f32 v[44:45], v[58:59], v[46:47] op_sel_hi:[0,1]
	v_cvt_f16_f32_e32 v44, v44
	v_cvt_f16_f32_e32 v45, v45
	;; [unrolled: 1-line block ×4, first 2 shown]
	v_pack_b32_f16 v49, v57, v49
	v_lshlrev_b32_e32 v57, 3, v50
	v_lshlrev_b32_e32 v42, 11, v52
	v_or3_b32 v42, v42, v54, v57
	v_pack_b32_f16 v44, v44, v45
	v_pack_b32_f16 v45, v46, v43
	v_pk_mul_f32 v[38:39], v[58:59], v[38:39] op_sel_hi:[0,1]
	v_pk_mul_f32 v[40:41], v[58:59], v[40:41] op_sel_hi:[0,1]
	;; [unrolled: 1-line block ×4, first 2 shown]
	ds_write2st64_b64 v42, v[48:49], v[44:45] offset1:1
	v_cvt_f16_f32_e32 v40, v40
	v_cvt_f16_f32_e32 v41, v41
	;; [unrolled: 1-line block ×8, first 2 shown]
	v_pack_b32_f16 v34, v40, v41
	v_pack_b32_f16 v35, v38, v39
	;; [unrolled: 1-line block ×4, first 2 shown]
	v_cmp_eq_u32_e32 vcc, 0, v0
	ds_write2st64_b64 v42, v[34:35], v[36:37] offset0:2 offset1:3
	s_and_saveexec_b64 s[12:13], vcc
	s_cbranch_execz .LBB24_17
; %bb.16:
	s_mul_i32 s3, s3, s11
	s_mul_hi_u32 s5, s2, s11
	s_add_i32 s5, s5, s3
	s_mul_i32 s3, s2, s11
	s_add_u32 s3, s3, s4
	s_addc_u32 s5, s5, 0
	s_load_dwordx4 s[16:19], s[0:1], 0x58
	s_mul_i32 s5, s5, s10
	s_mul_hi_u32 s14, s3, s10
	s_add_i32 s5, s14, s5
	s_mul_i32 s3, s3, s10
	s_add_u32 s14, s3, s30
	s_addc_u32 s15, s5, 0
	s_lshl_b64 s[14:15], s[14:15], 2
	s_waitcnt lgkmcnt(0)
	s_add_u32 s18, s18, s14
	s_addc_u32 s19, s19, s15
	s_add_u32 s14, s16, s14
	s_addc_u32 s15, s17, s15
	global_store_dword v56, v53, s[18:19]
	global_store_dword v56, v55, s[14:15]
.LBB24_17:
	s_or_b64 exec, exec, s[12:13]
	v_lshl_or_b32 v43, v50, 9, v54
	s_waitcnt lgkmcnt(0)
	s_barrier
	ds_read_b128 v[34:37], v43
	ds_read_b128 v[38:41], v43 offset:16
	s_waitcnt vmcnt(7) lgkmcnt(1)
	v_mfma_f32_16x16x16_f16 v[44:47], v[6:7], v[34:35], 0
	v_cmp_gt_u32_e32 vcc, 64, v0
	s_and_b64 s[6:7], s[6:7], vcc
	s_mov_b32 s3, 0
	v_mfma_f32_16x16x16_f16 v[6:9], v[8:9], v[36:37], v[44:47]
	s_and_b64 s[6:7], s[6:7], s[8:9]
	s_waitcnt vmcnt(6) lgkmcnt(0)
	v_mfma_f32_16x16x16_f16 v[6:9], v[2:3], v[38:39], v[6:9]
	v_mfma_f32_16x16x16_f16 v[2:5], v[4:5], v[40:41], v[6:9]
	s_nop 5
	ds_read_b128 v[6:9], v43 offset:2048
	ds_read_b128 v[34:37], v43 offset:2064
	s_waitcnt vmcnt(5) lgkmcnt(1)
	v_mfma_f32_16x16x16_f16 v[2:5], v[30:31], v[6:7], v[2:5]
	v_mfma_f32_16x16x16_f16 v[2:5], v[32:33], v[8:9], v[2:5]
	s_waitcnt vmcnt(4) lgkmcnt(0)
	v_mfma_f32_16x16x16_f16 v[2:5], v[26:27], v[34:35], v[2:5]
	v_mfma_f32_16x16x16_f16 v[2:5], v[28:29], v[36:37], v[2:5]
	ds_read_b128 v[6:9], v43 offset:4096
	ds_read_b128 v[26:29], v43 offset:4112
	s_waitcnt vmcnt(3) lgkmcnt(1)
	v_mfma_f32_16x16x16_f16 v[2:5], v[22:23], v[6:7], v[2:5]
	v_mfma_f32_16x16x16_f16 v[2:5], v[24:25], v[8:9], v[2:5]
	s_waitcnt vmcnt(2) lgkmcnt(0)
	v_mfma_f32_16x16x16_f16 v[2:5], v[18:19], v[26:27], v[2:5]
	v_mfma_f32_16x16x16_f16 v[2:5], v[20:21], v[28:29], v[2:5]
	ds_read_b128 v[6:9], v43 offset:6144
	ds_read_b128 v[18:21], v43 offset:6160
	s_waitcnt lgkmcnt(0)
	s_barrier
	s_waitcnt vmcnt(1)
	v_mfma_f32_16x16x16_f16 v[2:5], v[14:15], v[6:7], v[2:5]
	v_mfma_f32_16x16x16_f16 v[2:5], v[16:17], v[8:9], v[2:5]
	s_waitcnt vmcnt(0)
	v_mfma_f32_16x16x16_f16 v[2:5], v[10:11], v[18:19], v[2:5]
	v_mfma_f32_16x16x16_f16 v[2:5], v[12:13], v[20:21], v[2:5]
	s_nop 6
	v_cvt_f16_f32_e32 v2, v2
	v_cvt_f16_f32_e32 v3, v3
	v_cvt_f16_f32_e32 v4, v4
	v_cvt_f16_f32_e32 v5, v5
	v_pack_b32_f16 v2, v2, v3
	v_pack_b32_f16 v3, v4, v5
	ds_write_b64 v42, v[2:3]
	s_waitcnt lgkmcnt(0)
	s_barrier
	s_and_saveexec_b64 s[8:9], s[6:7]
	s_cbranch_execz .LBB24_19
; %bb.18:
	s_load_dwordx2 s[0:1], s[0:1], 0x68
	s_mul_i32 s2, s11, s2
	s_lshl_b32 s5, s10, 6
	s_mul_hi_u32 s7, s2, s5
	s_mul_i32 s6, s2, s5
	s_lshl_b64 s[6:7], s[6:7], 1
	v_lshlrev_b32_e32 v0, 10, v0
	s_waitcnt lgkmcnt(0)
	s_add_u32 s6, s0, s6
	v_and_b32_e32 v0, 0x1800, v0
	v_lshlrev_b32_e32 v2, 5, v50
	v_and_b32_e32 v3, 16, v51
	s_addc_u32 s7, s1, s7
	s_lshl_b32 s2, s30, 6
	v_or3_b32 v0, v0, v2, v3
	s_lshl_b64 s[0:1], s[2:3], 1
	ds_read_b128 v[2:5], v0
	s_add_u32 s2, s6, s0
	s_addc_u32 s3, s7, s1
	s_mul_hi_u32 s1, s5, s4
	s_mul_i32 s0, s5, s4
	s_lshl_b64 s[0:1], s[0:1], 1
	s_add_u32 s0, s2, s0
	s_addc_u32 s1, s3, s1
	s_waitcnt lgkmcnt(0)
	global_store_dwordx4 v1, v[2:5], s[0:1]
.LBB24_19:
	s_endpgm
	.section	.rodata,"a",@progbits
	.p2align	6, 0x0
	.amdhsa_kernel _Z39paged_attention_ll4mi_QKV_mfma16_kernelIDF16_DF16_LN4vllm18Fp8KVCacheDataTypeE0EhLi16ELi64ELi256ELb1ELi1EEvPKT_PKT0_S7_ifPKiS9_S9_iPKfiiiPfSC_PS2_PT2_iSB_SB_
		.amdhsa_group_segment_fixed_size 8192
		.amdhsa_private_segment_fixed_size 0
		.amdhsa_kernarg_size 400
		.amdhsa_user_sgpr_count 2
		.amdhsa_user_sgpr_dispatch_ptr 0
		.amdhsa_user_sgpr_queue_ptr 0
		.amdhsa_user_sgpr_kernarg_segment_ptr 1
		.amdhsa_user_sgpr_dispatch_id 0
		.amdhsa_user_sgpr_kernarg_preload_length 0
		.amdhsa_user_sgpr_kernarg_preload_offset 0
		.amdhsa_user_sgpr_private_segment_size 0
		.amdhsa_uses_dynamic_stack 0
		.amdhsa_enable_private_segment 0
		.amdhsa_system_sgpr_workgroup_id_x 1
		.amdhsa_system_sgpr_workgroup_id_y 1
		.amdhsa_system_sgpr_workgroup_id_z 1
		.amdhsa_system_sgpr_workgroup_info 0
		.amdhsa_system_vgpr_workitem_id 0
		.amdhsa_next_free_vgpr 72
		.amdhsa_next_free_sgpr 48
		.amdhsa_accum_offset 72
		.amdhsa_reserve_vcc 1
		.amdhsa_float_round_mode_32 0
		.amdhsa_float_round_mode_16_64 0
		.amdhsa_float_denorm_mode_32 3
		.amdhsa_float_denorm_mode_16_64 3
		.amdhsa_dx10_clamp 1
		.amdhsa_ieee_mode 1
		.amdhsa_fp16_overflow 0
		.amdhsa_tg_split 0
		.amdhsa_exception_fp_ieee_invalid_op 0
		.amdhsa_exception_fp_denorm_src 0
		.amdhsa_exception_fp_ieee_div_zero 0
		.amdhsa_exception_fp_ieee_overflow 0
		.amdhsa_exception_fp_ieee_underflow 0
		.amdhsa_exception_fp_ieee_inexact 0
		.amdhsa_exception_int_div_zero 0
	.end_amdhsa_kernel
	.section	.text._Z39paged_attention_ll4mi_QKV_mfma16_kernelIDF16_DF16_LN4vllm18Fp8KVCacheDataTypeE0EhLi16ELi64ELi256ELb1ELi1EEvPKT_PKT0_S7_ifPKiS9_S9_iPKfiiiPfSC_PS2_PT2_iSB_SB_,"axG",@progbits,_Z39paged_attention_ll4mi_QKV_mfma16_kernelIDF16_DF16_LN4vllm18Fp8KVCacheDataTypeE0EhLi16ELi64ELi256ELb1ELi1EEvPKT_PKT0_S7_ifPKiS9_S9_iPKfiiiPfSC_PS2_PT2_iSB_SB_,comdat
.Lfunc_end24:
	.size	_Z39paged_attention_ll4mi_QKV_mfma16_kernelIDF16_DF16_LN4vllm18Fp8KVCacheDataTypeE0EhLi16ELi64ELi256ELb1ELi1EEvPKT_PKT0_S7_ifPKiS9_S9_iPKfiiiPfSC_PS2_PT2_iSB_SB_, .Lfunc_end24-_Z39paged_attention_ll4mi_QKV_mfma16_kernelIDF16_DF16_LN4vllm18Fp8KVCacheDataTypeE0EhLi16ELi64ELi256ELb1ELi1EEvPKT_PKT0_S7_ifPKiS9_S9_iPKfiiiPfSC_PS2_PT2_iSB_SB_
                                        ; -- End function
	.section	.AMDGPU.csdata,"",@progbits
; Kernel info:
; codeLenInByte = 3908
; NumSgprs: 54
; NumVgprs: 72
; NumAgprs: 0
; TotalNumVgprs: 72
; ScratchSize: 0
; MemoryBound: 0
; FloatMode: 240
; IeeeMode: 1
; LDSByteSize: 8192 bytes/workgroup (compile time only)
; SGPRBlocks: 6
; VGPRBlocks: 8
; NumSGPRsForWavesPerEU: 54
; NumVGPRsForWavesPerEU: 72
; AccumOffset: 72
; Occupancy: 7
; WaveLimiterHint : 1
; COMPUTE_PGM_RSRC2:SCRATCH_EN: 0
; COMPUTE_PGM_RSRC2:USER_SGPR: 2
; COMPUTE_PGM_RSRC2:TRAP_HANDLER: 0
; COMPUTE_PGM_RSRC2:TGID_X_EN: 1
; COMPUTE_PGM_RSRC2:TGID_Y_EN: 1
; COMPUTE_PGM_RSRC2:TGID_Z_EN: 1
; COMPUTE_PGM_RSRC2:TIDIG_COMP_CNT: 0
; COMPUTE_PGM_RSRC3_GFX90A:ACCUM_OFFSET: 17
; COMPUTE_PGM_RSRC3_GFX90A:TG_SPLIT: 0
	.section	.text._Z39paged_attention_ll4mi_QKV_mfma16_kernelIDF16_DF16_LN4vllm18Fp8KVCacheDataTypeE0EhLi16ELi64ELi256ELb1ELi2EEvPKT_PKT0_S7_ifPKiS9_S9_iPKfiiiPfSC_PS2_PT2_iSB_SB_,"axG",@progbits,_Z39paged_attention_ll4mi_QKV_mfma16_kernelIDF16_DF16_LN4vllm18Fp8KVCacheDataTypeE0EhLi16ELi64ELi256ELb1ELi2EEvPKT_PKT0_S7_ifPKiS9_S9_iPKfiiiPfSC_PS2_PT2_iSB_SB_,comdat
	.protected	_Z39paged_attention_ll4mi_QKV_mfma16_kernelIDF16_DF16_LN4vllm18Fp8KVCacheDataTypeE0EhLi16ELi64ELi256ELb1ELi2EEvPKT_PKT0_S7_ifPKiS9_S9_iPKfiiiPfSC_PS2_PT2_iSB_SB_ ; -- Begin function _Z39paged_attention_ll4mi_QKV_mfma16_kernelIDF16_DF16_LN4vllm18Fp8KVCacheDataTypeE0EhLi16ELi64ELi256ELb1ELi2EEvPKT_PKT0_S7_ifPKiS9_S9_iPKfiiiPfSC_PS2_PT2_iSB_SB_
	.globl	_Z39paged_attention_ll4mi_QKV_mfma16_kernelIDF16_DF16_LN4vllm18Fp8KVCacheDataTypeE0EhLi16ELi64ELi256ELb1ELi2EEvPKT_PKT0_S7_ifPKiS9_S9_iPKfiiiPfSC_PS2_PT2_iSB_SB_
	.p2align	8
	.type	_Z39paged_attention_ll4mi_QKV_mfma16_kernelIDF16_DF16_LN4vllm18Fp8KVCacheDataTypeE0EhLi16ELi64ELi256ELb1ELi2EEvPKT_PKT0_S7_ifPKiS9_S9_iPKfiiiPfSC_PS2_PT2_iSB_SB_,@function
_Z39paged_attention_ll4mi_QKV_mfma16_kernelIDF16_DF16_LN4vllm18Fp8KVCacheDataTypeE0EhLi16ELi64ELi256ELb1ELi2EEvPKT_PKT0_S7_ifPKiS9_S9_iPKfiiiPfSC_PS2_PT2_iSB_SB_: ; @_Z39paged_attention_ll4mi_QKV_mfma16_kernelIDF16_DF16_LN4vllm18Fp8KVCacheDataTypeE0EhLi16ELi64ELi256ELb1ELi2EEvPKT_PKT0_S7_ifPKiS9_S9_iPKfiiiPfSC_PS2_PT2_iSB_SB_
; %bb.0:
	s_load_dwordx2 s[8:9], s[0:1], 0x30
	s_mov_b32 s28, s3
	s_mov_b64 s[6:7], 0
	s_waitcnt lgkmcnt(0)
	s_cmp_lg_u64 s[8:9], 0
	s_cselect_b64 s[10:11], -1, 0
	s_and_b64 vcc, exec, s[10:11]
	s_cbranch_vccz .LBB25_7
; %bb.1:
	s_add_i32 s12, s2, 1
	s_mov_b32 s13, 0
	s_lshl_b64 s[14:15], s[12:13], 2
	s_add_u32 s14, s8, s14
	s_mov_b32 s3, s13
	s_addc_u32 s15, s9, s15
	s_lshl_b64 s[12:13], s[2:3], 2
	s_add_u32 s12, s8, s12
	s_addc_u32 s13, s9, s13
	s_load_dword s5, s[14:15], 0x0
	s_load_dword s16, s[12:13], 0x0
	s_waitcnt lgkmcnt(0)
	s_sub_i32 s5, s5, s16
	s_cmp_eq_u32 s5, 1
	s_cselect_b64 s[12:13], -1, 0
	s_andn2_b64 vcc, exec, s[6:7]
	s_cbranch_vccnz .LBB25_3
.LBB25_2:
	s_mov_b32 s3, 0
	s_mov_b64 s[12:13], -1
.LBB25_3:
	s_andn2_b64 vcc, exec, s[12:13]
	s_cbranch_vccnz .LBB25_19
; %bb.4:
	s_load_dwordx2 s[6:7], s[0:1], 0x28
	s_lshl_b64 s[12:13], s[2:3], 2
	s_waitcnt lgkmcnt(0)
	s_add_u32 s6, s6, s12
	s_addc_u32 s7, s7, s13
	s_load_dword s33, s[6:7], 0x0
	s_lshl_b32 s16, s28, 8
	s_waitcnt lgkmcnt(0)
	s_cmp_ge_i32 s16, s33
	s_cbranch_scc1 .LBB25_19
; %bb.5:
	s_load_dwordx2 s[6:7], s[0:1], 0x20
	s_load_dword s5, s[0:1], 0x38
	s_add_i32 s14, s33, 15
	s_ashr_i32 s15, s14, 31
	v_and_b32_e32 v1, 0xcf, v0
	s_lshr_b32 s15, s15, 28
	v_add_u32_e32 v1, s16, v1
	s_add_i32 s14, s14, s15
	v_ashrrev_i32_e32 v2, 31, v1
	s_ashr_i32 s17, s14, 4
	v_lshrrev_b32_e32 v6, 28, v2
	s_add_i32 s17, s17, -1
	s_waitcnt lgkmcnt(0)
	s_mul_i32 s14, s2, s5
	s_mov_b32 s15, 0
	v_add_u32_e32 v2, v1, v6
	s_lshl_b64 s[14:15], s[14:15], 2
	v_ashrrev_i32_e32 v2, 4, v2
	v_mov_b32_e32 v7, s17
	v_cmp_gt_i32_e32 vcc, s33, v1
	s_add_u32 s6, s6, s14
	s_addc_u32 s7, s7, s15
	v_cndmask_b32_e32 v2, v7, v2, vcc
	v_ashrrev_i32_e32 v3, 31, v2
	v_lshl_add_u64 v[4:5], v[2:3], 2, s[6:7]
	v_or_b32_e32 v2, 16, v1
	v_add_u32_e32 v3, v2, v6
	v_ashrrev_i32_e32 v3, 4, v3
	v_cmp_gt_i32_e32 vcc, s33, v2
	s_load_dwordx2 s[14:15], s[0:1], 0x8
	s_nop 0
	v_cndmask_b32_e32 v2, v7, v3, vcc
	v_ashrrev_i32_e32 v3, 31, v2
	v_lshl_add_u64 v[8:9], v[2:3], 2, s[6:7]
	v_or_b32_e32 v2, 32, v1
	v_add_u32_e32 v3, v2, v6
	v_ashrrev_i32_e32 v3, 4, v3
	v_cmp_gt_i32_e32 vcc, s33, v2
	v_or_b32_e32 v1, 48, v1
	s_nop 0
	v_cndmask_b32_e32 v2, v7, v3, vcc
	v_ashrrev_i32_e32 v3, 31, v2
	v_lshl_add_u64 v[10:11], v[2:3], 2, s[6:7]
	v_add_u32_e32 v2, v1, v6
	v_ashrrev_i32_e32 v2, 4, v2
	v_cmp_gt_i32_e32 vcc, s33, v1
	s_nop 1
	v_cndmask_b32_e32 v2, v7, v2, vcc
	v_ashrrev_i32_e32 v3, 31, v2
	v_lshl_add_u64 v[12:13], v[2:3], 2, s[6:7]
	global_load_dword v3, v[4:5], off
	global_load_dword v2, v[8:9], off
	;; [unrolled: 1-line block ×4, first 2 shown]
	s_andn2_b64 vcc, exec, s[10:11]
	s_cbranch_vccnz .LBB25_8
; %bb.6:
	s_add_u32 s8, s8, s12
	s_addc_u32 s9, s9, s13
	s_load_dword s5, s[8:9], 0x0
	s_branch .LBB25_9
.LBB25_7:
	s_mov_b64 s[12:13], 0
	s_branch .LBB25_2
.LBB25_8:
	s_mov_b32 s5, s2
.LBB25_9:
	s_load_dwordx2 s[8:9], s[0:1], 0x10
	s_load_dwordx4 s[44:47], s[0:1], 0x48
	v_lshrrev_b32_e32 v54, 6, v0
	v_bfe_u32 v1, v0, 4, 2
	v_lshl_or_b32 v4, v54, 2, v1
	v_and_b32_e32 v55, 15, v0
	v_lshlrev_b32_e32 v5, 3, v55
	v_cmp_gt_u32_e32 vcc, 2, v4
	v_cmp_gt_u32_e64 s[30:31], 8, v55
	s_lshl_b32 s29, s4, 1
	s_and_b64 s[12:13], s[30:31], vcc
	v_lshlrev_b32_e32 v42, 1, v5
	s_and_saveexec_b64 s[10:11], s[12:13]
	s_cbranch_execz .LBB25_11
; %bb.10:
	s_load_dwordx2 s[12:13], s[0:1], 0x0
	s_waitcnt lgkmcnt(0)
	s_ashr_i32 s18, s44, 31
	s_mul_hi_u32 s19, s5, s44
	s_mul_i32 s18, s5, s18
	s_add_i32 s19, s19, s18
	s_mul_i32 s18, s5, s44
	s_lshl_b64 s[18:19], s[18:19], 1
	s_add_u32 s12, s12, s18
	v_add_lshl_u32 v8, v1, s29, 6
	s_addc_u32 s13, s13, s19
	v_ashrrev_i32_e32 v9, 31, v8
	v_lshl_add_u64 v[8:9], v[8:9], 1, s[12:13]
	v_mov_b32_e32 v43, 0
	v_lshl_add_u64 v[8:9], v[8:9], 0, v[42:43]
	global_load_dwordx4 v[8:11], v[8:9], off
	v_and_b32_e32 v5, 3, v0
	v_lshlrev_b32_e32 v7, 9, v55
	v_lshlrev_b32_e32 v4, 5, v4
	v_lshlrev_b32_e32 v5, 9, v5
	v_and_b32_e32 v7, 0x1800, v7
	v_or3_b32 v4, v7, v5, v4
	s_waitcnt vmcnt(0)
	ds_write_b128 v4, v[8:11]
.LBB25_11:
	s_or_b64 exec, exec, s[10:11]
	s_waitcnt lgkmcnt(0)
	s_mul_i32 s4, s4, s46
	s_mov_b32 s5, 0
	s_lshl_b64 s[4:5], s[4:5], 1
	s_add_u32 s10, s14, s4
	v_lshlrev_b32_e32 v52, 4, v0
	s_addc_u32 s11, s15, s5
	v_and_b32_e32 v44, 0xf0, v52
	v_mov_b32_e32 v45, 0
	v_lshl_add_u64 v[16:17], s[10:11], 0, v[44:45]
	s_waitcnt vmcnt(3)
	v_mad_i64_i32 v[4:5], s[10:11], v3, s45, 0
	s_waitcnt vmcnt(2)
	v_mad_i64_i32 v[2:3], s[10:11], v2, s45, 0
	;; [unrolled: 2-line block ×3, first 2 shown]
	v_lshl_add_u64 v[4:5], v[4:5], 1, v[16:17]
	v_and_b32_e32 v44, 0x300, v52
	v_lshl_add_u64 v[2:3], v[2:3], 1, v[16:17]
	v_lshl_add_u64 v[6:7], v[6:7], 1, v[16:17]
	s_waitcnt vmcnt(0)
	v_mad_i64_i32 v[14:15], s[10:11], v14, s45, 0
	v_lshl_add_u64 v[4:5], v[4:5], 0, v[44:45]
	v_lshl_add_u64 v[8:9], v[2:3], 0, v[44:45]
	;; [unrolled: 1-line block ×4, first 2 shown]
	s_barrier
	global_load_dwordx4 v[30:33], v[4:5], off
	global_load_dwordx4 v[10:13], v[4:5], off offset:1024
	global_load_dwordx4 v[22:25], v[8:9], off
	s_nop 0
	global_load_dwordx4 v[2:5], v[8:9], off offset:1024
	global_load_dwordx4 v[26:29], v[18:19], off
	s_nop 0
	global_load_dwordx4 v[6:9], v[18:19], off offset:1024
	v_lshl_add_u64 v[18:19], v[14:15], 0, v[44:45]
	global_load_dwordx4 v[34:37], v[18:19], off
	global_load_dwordx4 v[14:17], v[18:19], off offset:1024
	v_and_b32_e32 v18, 1, v0
	v_lshlrev_b32_e32 v18, 5, v18
	v_lshl_or_b32 v18, v1, 9, v18
	ds_read_b128 v[38:41], v18
	ds_read_b128 v[18:21], v18 offset:2048
	v_and_b32_e32 v53, 63, v0
	v_cmp_gt_u32_e32 vcc, 2, v55
	v_mov_b32_e32 v56, 0
	s_and_saveexec_b64 s[10:11], vcc
	s_cbranch_execz .LBB25_13
; %bb.12:
	s_load_dwordx2 s[12:13], s[0:1], 0x40
	v_or_b32_e32 v46, s29, v55
	v_ashrrev_i32_e32 v47, 31, v46
	s_waitcnt lgkmcnt(0)
	v_lshl_add_u64 v[46:47], v[46:47], 2, s[12:13]
	global_load_dword v56, v[46:47], off
.LBB25_13:
	s_or_b64 exec, exec, s[10:11]
	v_and_or_b32 v44, v0, 48, s16
	v_ashrrev_i32_e32 v43, 4, v44
	v_mov_b32_e32 v57, s17
	v_cmp_gt_i32_e32 vcc, s33, v44
	s_waitcnt vmcnt(5) lgkmcnt(1)
	v_mfma_f32_16x16x16_f16 v[58:61], v[22:23], v[38:39], 0
	s_load_dword s10, s[0:1], 0x1c
	v_cndmask_b32_e32 v46, v57, v43, vcc
	v_ashrrev_i32_e32 v47, 31, v46
	v_or_b32_e32 v43, 64, v44
	v_lshl_add_u64 v[50:51], v[46:47], 2, s[6:7]
	v_mfma_f32_16x16x16_f16 v[46:49], v[30:31], v[38:39], 0
	v_ashrrev_i32_e32 v30, 4, v43
	v_cmp_gt_i32_e32 vcc, s33, v43
	global_load_dword v70, v[50:51], off
	s_waitcnt vmcnt(4)
	v_mfma_f32_16x16x16_f16 v[62:65], v[26:27], v[38:39], 0
	v_cndmask_b32_e32 v30, v57, v30, vcc
	v_ashrrev_i32_e32 v31, 31, v30
	v_lshl_add_u64 v[22:23], v[30:31], 2, s[6:7]
	global_load_dword v71, v[22:23], off
	v_mfma_f32_16x16x16_f16 v[22:25], v[24:25], v[40:41], v[58:61]
	v_and_b32_e32 v26, 0xc0, v0
	s_add_u32 s4, s8, s4
	v_lshlrev_b32_e32 v43, 5, v55
	v_mfma_f32_16x16x16_f16 v[30:33], v[32:33], v[40:41], v[46:49]
	s_addc_u32 s5, s9, s5
	s_mov_b32 s42, 0xff7fffff
	s_waitcnt vmcnt(3)
	v_mfma_f32_16x16x16_f16 v[66:69], v[34:35], v[38:39], 0
	v_or_b32_e32 v38, 0x80, v44
	v_add_u32_e32 v46, s16, v26
	v_or_b32_e32 v39, 0xc0, v44
	v_mfma_f32_16x16x16_f16 v[26:29], v[28:29], v[40:41], v[62:65]
	v_ashrrev_i32_e32 v47, 4, v38
	v_cmp_gt_i32_e32 vcc, s33, v38
	v_ashrrev_i32_e32 v48, 4, v39
	s_waitcnt lgkmcnt(0)
	v_mfma_f32_16x16x16_f16 v[22:25], v[2:3], v[18:19], v[22:25]
	v_cndmask_b32_e32 v38, v57, v47, vcc
	v_cmp_gt_i32_e32 vcc, s33, v39
	v_ashrrev_i32_e32 v39, 31, v38
	v_mfma_f32_16x16x16_f16 v[30:33], v[10:11], v[18:19], v[30:33]
	v_cndmask_b32_e32 v10, v57, v48, vcc
	v_ashrrev_i32_e32 v11, 31, v10
	v_lshl_or_b32 v58, v1, 2, v46
	v_mfma_f32_16x16x16_f16 v[26:29], v[6:7], v[18:19], v[26:29]
	v_lshl_add_u64 v[6:7], v[38:39], 2, s[6:7]
	v_lshl_add_u64 v[38:39], v[10:11], 2, s[6:7]
	v_or_b32_e32 v57, 1, v58
	v_mfma_f32_16x16x16_f16 v[2:5], v[4:5], v[20:21], v[22:25]
	s_nop 2
	global_load_dword v22, v[6:7], off
	global_load_dword v61, v[38:39], off
	v_subrev_u32_e32 v59, s33, v57
	v_cvt_f32_i32_e32 v60, v59
	v_mfma_f32_16x16x16_f16 v[34:37], v[36:37], v[40:41], v[66:69]
	v_pk_mul_f32 v[46:47], s[10:11], v[4:5] op_sel_hi:[0,1]
	v_lshl_or_b32 v44, v54, 9, v43
	v_lshl_add_u64 v[44:45], s[4:5], 0, v[44:45]
	s_waitcnt vmcnt(4)
	v_mfma_f32_16x16x16_f16 v[34:37], v[14:15], v[18:19], v[34:37]
	v_add_u32_e32 v14, 1, v59
	v_add_u32_e32 v15, 2, v59
	v_cvt_f32_i32_e32 v23, v14
	v_cvt_f32_i32_e32 v24, v15
	v_mfma_f32_16x16x16_f16 v[14:17], v[16:17], v[20:21], v[34:37]
	v_add_u32_e32 v18, 3, v59
	v_cvt_f32_i32_e32 v18, v18
	v_pk_mul_f32 v[48:49], s[10:11], v[2:3] op_sel_hi:[0,1]
	v_mfma_f32_16x16x16_f16 v[10:13], v[12:13], v[20:21], v[30:33]
	v_cmp_gt_i32_e64 s[34:35], s33, v57
	s_nop 1
	v_pk_mul_f32 v[36:37], s[10:11], v[14:15] op_sel_hi:[0,1]
	v_add_u32_e32 v15, 19, v59
	v_add_u32_e32 v31, 18, v59
	v_cvt_f32_i32_e32 v14, v31
	v_cvt_f32_i32_e32 v15, v15
	v_mfma_f32_16x16x16_f16 v[6:9], v[8:9], v[20:21], v[26:29]
	v_pk_mul_f32 v[34:35], s[10:11], v[16:17] op_sel_hi:[0,1]
	v_fma_f32 v46, v56, v14, v46
	v_add_u32_e32 v14, 32, v59
	v_fmac_f32_e32 v47, v56, v15
	v_cvt_f32_i32_e32 v14, v14
	v_add_u32_e32 v15, 33, v59
	v_add_u32_e32 v16, 34, v59
	v_cvt_f32_i32_e32 v15, v15
	v_cvt_f32_i32_e32 v16, v16
	v_add_u32_e32 v17, 35, v59
	v_cvt_f32_i32_e32 v17, v17
	v_pk_mul_f32 v[40:41], s[10:11], v[6:7] op_sel_hi:[0,1]
	v_pk_mul_f32 v[38:39], s[10:11], v[8:9] op_sel_hi:[0,1]
	v_fma_f32 v40, v56, v14, v40
	v_add_u32_e32 v14, 48, v59
	v_fmac_f32_e32 v41, v56, v15
	v_fma_f32 v38, v56, v16, v38
	v_cvt_f32_i32_e32 v14, v14
	v_add_u32_e32 v15, 49, v59
	v_add_u32_e32 v16, 50, v59
	v_fmac_f32_e32 v39, v56, v17
	v_cvt_f32_i32_e32 v15, v15
	v_cvt_f32_i32_e32 v16, v16
	v_add_u32_e32 v17, 51, v59
	v_cvt_f32_i32_e32 v17, v17
	v_pk_mul_f32 v[50:51], s[10:11], v[12:13] op_sel_hi:[0,1]
	v_pk_mul_f32 v[10:11], s[10:11], v[10:11] op_sel_hi:[0,1]
	s_waitcnt vmcnt(3)
	v_mad_i64_i32 v[2:3], s[4:5], v70, s45, 0
	s_waitcnt vmcnt(2)
	v_mad_i64_i32 v[12:13], s[4:5], v71, s45, 0
	v_fma_f32 v10, v56, v60, v10
	v_fmac_f32_e32 v11, v56, v23
	v_fma_f32 v36, v56, v14, v36
	v_mov_b32_e32 v14, 0xff7fffff
	v_cmp_gt_i32_e64 s[4:5], s33, v58
	v_add_u32_e32 v19, 16, v59
	v_add_u32_e32 v30, 17, v59
	v_fmac_f32_e32 v37, v56, v15
	v_fma_f32 v34, v56, v16, v34
	v_cndmask_b32_e64 v15, v14, v10, s[4:5]
	v_cndmask_b32_e64 v16, v14, v11, s[34:35]
	v_cvt_f32_i32_e32 v19, v19
	v_cvt_f32_i32_e32 v25, v30
	v_fmac_f32_e32 v35, v56, v17
	v_max3_f32 v15, v15, s42, v16
	v_or_b32_e32 v16, 2, v58
	v_or_b32_e32 v17, 3, v58
	v_fma_f32 v50, v56, v24, v50
	v_fmac_f32_e32 v51, v56, v18
	v_cmp_gt_i32_e64 s[36:37], s33, v16
	v_cmp_gt_i32_e64 s[38:39], s33, v17
	v_fma_f32 v48, v56, v19, v48
	v_cndmask_b32_e64 v16, v14, v50, s[36:37]
	v_cndmask_b32_e64 v17, v14, v51, s[38:39]
	v_max3_f32 v15, v15, v16, v17
	v_or_b32_e32 v16, 16, v58
	v_or_b32_e32 v17, 17, v58
	v_fmac_f32_e32 v49, v56, v25
	v_cmp_gt_i32_e64 s[24:25], s33, v16
	v_cmp_gt_i32_e64 s[26:27], s33, v17
	v_lshl_add_u64 v[2:3], v[2:3], 1, v[44:45]
	v_cndmask_b32_e64 v16, v14, v48, s[24:25]
	v_cndmask_b32_e64 v17, v14, v49, s[26:27]
	v_max3_f32 v15, v15, v16, v17
	v_or_b32_e32 v16, 18, v58
	v_or_b32_e32 v17, 19, v58
	v_cmp_gt_i32_e64 s[20:21], s33, v16
	v_cmp_gt_i32_e64 s[22:23], s33, v17
	v_lshl_add_u64 v[12:13], v[12:13], 1, v[44:45]
	v_cndmask_b32_e64 v16, v14, v46, s[20:21]
	v_cndmask_b32_e64 v17, v14, v47, s[22:23]
	v_max3_f32 v15, v15, v16, v17
	v_or_b32_e32 v16, 32, v58
	v_or_b32_e32 v17, 33, v58
	v_cmp_gt_i32_e64 s[16:17], s33, v16
	v_cmp_gt_i32_e64 s[18:19], s33, v17
	global_load_dwordx4 v[6:9], v[2:3], off
	s_nop 0
	global_load_dwordx4 v[2:5], v[2:3], off offset:16
	v_cndmask_b32_e64 v16, v14, v40, s[16:17]
	v_cndmask_b32_e64 v17, v14, v41, s[18:19]
	v_max3_f32 v15, v15, v16, v17
	v_or_b32_e32 v16, 34, v58
	v_or_b32_e32 v17, 35, v58
	v_cmp_gt_i32_e64 s[12:13], s33, v16
	v_cmp_gt_i32_e64 s[14:15], s33, v17
	global_load_dwordx4 v[30:33], v[12:13], off
	global_load_dwordx4 v[26:29], v[12:13], off offset:16
	v_cndmask_b32_e64 v16, v14, v38, s[12:13]
	v_cndmask_b32_e64 v17, v14, v39, s[14:15]
	v_max3_f32 v15, v15, v16, v17
	v_or_b32_e32 v16, 48, v58
	v_or_b32_e32 v17, 49, v58
	v_cmp_gt_i32_e64 s[8:9], s33, v16
	v_cmp_gt_i32_e64 s[10:11], s33, v17
	s_nop 0
	v_cndmask_b32_e64 v16, v14, v36, s[8:9]
	v_cndmask_b32_e64 v17, v14, v37, s[10:11]
	v_max3_f32 v15, v15, v16, v17
	v_or_b32_e32 v16, 50, v58
	v_or_b32_e32 v17, 51, v58
	v_cmp_gt_i32_e32 vcc, s33, v16
	v_cmp_gt_i32_e64 s[6:7], s33, v17
	s_nop 0
	v_cndmask_b32_e32 v16, v14, v34, vcc
	v_cndmask_b32_e64 v14, v14, v35, s[6:7]
	v_max3_f32 v14, v15, v16, v14
	v_mbcnt_lo_u32_b32 v15, -1, 0
	v_mbcnt_hi_u32_b32 v15, -1, v15
	v_and_b32_e32 v16, 64, v15
	v_add_u32_e32 v16, 64, v16
	v_xor_b32_e32 v17, 32, v15
	v_cmp_lt_i32_e64 s[40:41], v17, v16
	s_nop 1
	v_cndmask_b32_e64 v17, v15, v17, s[40:41]
	v_lshlrev_b32_e32 v57, 2, v17
	ds_bpermute_b32 v17, v57, v14
	s_waitcnt vmcnt(5)
	v_mad_i64_i32 v[12:13], s[40:41], v22, s45, 0
	v_lshl_add_u64 v[12:13], v[12:13], 1, v[44:45]
	global_load_dwordx4 v[22:25], v[12:13], off
	global_load_dwordx4 v[18:21], v[12:13], off offset:16
	s_waitcnt lgkmcnt(0)
	v_max_f32_e32 v17, v17, v17
	v_max_f32_e32 v14, v14, v17
	v_xor_b32_e32 v17, 16, v15
	v_cmp_lt_i32_e64 s[40:41], v17, v16
	s_nop 1
	v_cndmask_b32_e64 v15, v15, v17, s[40:41]
	v_lshlrev_b32_e32 v59, 2, v15
	ds_bpermute_b32 v15, v59, v14
	s_waitcnt vmcnt(6)
	v_mad_i64_i32 v[12:13], s[40:41], v61, s45, 0
	v_lshl_add_u64 v[12:13], v[12:13], 1, v[44:45]
	s_waitcnt lgkmcnt(0)
	v_max_f32_e32 v15, v15, v15
	v_max_f32_e32 v56, v14, v15
	v_sub_f32_e32 v10, v10, v56
	v_mul_f32_e32 v10, 0x3fb8aa3b, v10
	v_exp_f32_e32 v44, v10
	v_sub_f32_e32 v10, v11, v56
	v_mul_f32_e32 v10, 0x3fb8aa3b, v10
	v_exp_f32_e32 v45, v10
	global_load_dwordx4 v[14:17], v[12:13], off
	s_nop 0
	global_load_dwordx4 v[10:13], v[12:13], off offset:16
	v_sub_f32_e32 v50, v50, v56
	v_mul_f32_e32 v50, 0x3fb8aa3b, v50
	v_sub_f32_e32 v51, v51, v56
	v_exp_f32_e32 v50, v50
	v_mul_f32_e32 v51, 0x3fb8aa3b, v51
	v_sub_f32_e32 v48, v48, v56
	v_exp_f32_e32 v51, v51
	v_mul_f32_e32 v48, 0x3fb8aa3b, v48
	v_sub_f32_e32 v49, v49, v56
	v_cndmask_b32_e64 v44, 0, v44, s[4:5]
	v_exp_f32_e32 v48, v48
	v_mul_f32_e32 v49, 0x3fb8aa3b, v49
	v_sub_f32_e32 v46, v46, v56
	v_add_f32_e32 v58, 0, v44
	v_cndmask_b32_e64 v45, 0, v45, s[34:35]
	v_exp_f32_e32 v49, v49
	v_mul_f32_e32 v46, 0x3fb8aa3b, v46
	v_sub_f32_e32 v47, v47, v56
	v_add_f32_e32 v58, v58, v45
	;; [unrolled: 5-line block ×10, first 2 shown]
	v_cndmask_b32_e64 v38, 0, v38, s[12:13]
	v_exp_f32_e32 v34, v34
	v_mul_f32_e32 v35, 0x3fb8aa3b, v35
	v_add_f32_e32 v58, v58, v38
	v_cndmask_b32_e64 v39, 0, v39, s[14:15]
	v_exp_f32_e32 v35, v35
	v_add_f32_e32 v58, v58, v39
	v_cndmask_b32_e64 v36, 0, v36, s[8:9]
	v_add_f32_e32 v58, v58, v36
	v_cndmask_b32_e64 v37, 0, v37, s[10:11]
	v_add_f32_e32 v58, v58, v37
	v_cndmask_b32_e32 v34, 0, v34, vcc
	v_add_f32_e32 v58, v58, v34
	v_cndmask_b32_e64 v35, 0, v35, s[6:7]
	v_add_f32_e32 v58, v58, v35
	ds_bpermute_b32 v57, v57, v58
	s_load_dword s7, s[0:1], 0x98
	v_cmp_gt_u32_e32 vcc, 16, v53
	s_waitcnt lgkmcnt(0)
	s_barrier
	v_add_f32_e32 v58, v58, v57
	ds_bpermute_b32 v59, v59, v58
	v_lshlrev_b32_e32 v57, 2, v55
	s_waitcnt lgkmcnt(0)
	s_and_saveexec_b64 s[4:5], vcc
	s_cbranch_execz .LBB25_15
; %bb.14:
	v_add_f32_e32 v55, v58, v59
	v_lshl_or_b32 v58, v54, 6, v57
	ds_write2st64_b32 v58, v56, v55 offset1:1
.LBB25_15:
	s_or_b64 exec, exec, s[4:5]
	s_load_dword s6, s[0:1], 0x94
	s_waitcnt lgkmcnt(0)
	s_barrier
	ds_read2_b32 v[58:59], v57 offset1:16
	ds_read2_b32 v[60:61], v57 offset0:32 offset1:48
	ds_read2_b32 v[62:63], v57 offset0:64 offset1:80
	s_lshl_b32 s7, s7, 1
	s_waitcnt lgkmcnt(2)
	v_max3_f32 v55, v58, s42, v59
	s_waitcnt lgkmcnt(1)
	v_max3_f32 v55, v55, v60, v61
	v_sub_f32_e32 v56, v58, v55
	v_mul_f32_e32 v56, 0x3fb8aa3b, v56
	v_exp_f32_e32 v64, v56
	v_sub_f32_e32 v56, v59, v55
	v_mul_f32_e32 v56, 0x3fb8aa3b, v56
	v_exp_f32_e32 v65, v56
	;; [unrolled: 3-line block ×3, first 2 shown]
	ds_read2_b32 v[58:59], v57 offset0:96 offset1:112
	v_sub_f32_e32 v56, v61, v55
	v_mul_f32_e32 v56, 0x3fb8aa3b, v56
	v_exp_f32_e32 v57, v56
	s_waitcnt lgkmcnt(1)
	v_fma_f32 v56, v64, v62, 0
	v_fmac_f32_e32 v56, v65, v63
	s_waitcnt lgkmcnt(0)
	v_fmac_f32_e32 v56, v60, v58
	v_fmac_f32_e32 v56, v57, v59
	v_add_f32_e32 v58, 0x358637bd, v56
	v_div_scale_f32 v59, s[4:5], v58, v58, 1.0
	v_rcp_f32_e32 v61, v59
	s_barrier
	v_fma_f32 v62, -v59, v61, 1.0
	v_fmac_f32_e32 v61, v62, v61
	v_div_scale_f32 v62, vcc, 1.0, v58, 1.0
	v_mul_f32_e32 v63, v62, v61
	v_fma_f32 v66, -v59, v63, v62
	v_fmac_f32_e32 v63, v66, v61
	v_fma_f32 v59, -v59, v63, v62
	v_div_fmas_f32 v59, v59, v61, v63
	v_cmp_eq_u32_e32 vcc, 1, v54
	v_div_fixup_f32 v58, v59, v58, 1.0
	s_nop 0
	v_cndmask_b32_e32 v59, v64, v65, vcc
	v_cmp_eq_u32_e32 vcc, 2, v54
	s_nop 1
	v_cndmask_b32_e32 v59, v59, v60, vcc
	v_cmp_eq_u32_e32 vcc, 3, v54
	s_nop 1
	v_cndmask_b32_e32 v57, v59, v57, vcc
	v_mul_f32_e32 v58, v57, v58
	v_pk_mul_f32 v[44:45], v[58:59], v[44:45] op_sel_hi:[0,1]
	v_cvt_f16_f32_e32 v44, v44
	v_cvt_f16_f32_e32 v45, v45
	v_pk_mul_f32 v[50:51], v[58:59], v[50:51] op_sel_hi:[0,1]
	v_cvt_f16_f32_e32 v57, v50
	v_cvt_f16_f32_e32 v51, v51
	v_pack_b32_f16 v50, v44, v45
	v_pk_mul_f32 v[44:45], v[58:59], v[46:47] op_sel_hi:[0,1]
	v_pk_mul_f32 v[46:47], v[58:59], v[48:49] op_sel_hi:[0,1]
	v_cvt_f16_f32_e32 v46, v46
	v_cvt_f16_f32_e32 v47, v47
	;; [unrolled: 1-line block ×4, first 2 shown]
	v_pack_b32_f16 v51, v57, v51
	v_lshlrev_b32_e32 v57, 3, v1
	v_lshlrev_b32_e32 v44, 11, v54
	v_or3_b32 v44, v44, v43, v57
	v_pack_b32_f16 v46, v46, v47
	v_pack_b32_f16 v47, v48, v45
	v_pk_mul_f32 v[38:39], v[58:59], v[38:39] op_sel_hi:[0,1]
	v_pk_mul_f32 v[40:41], v[58:59], v[40:41] op_sel_hi:[0,1]
	;; [unrolled: 1-line block ×4, first 2 shown]
	ds_write2st64_b64 v44, v[50:51], v[46:47] offset1:1
	v_cvt_f16_f32_e32 v40, v40
	v_cvt_f16_f32_e32 v41, v41
	;; [unrolled: 1-line block ×8, first 2 shown]
	v_pack_b32_f16 v34, v40, v41
	v_pack_b32_f16 v35, v38, v39
	;; [unrolled: 1-line block ×4, first 2 shown]
	v_cmp_gt_u32_e32 vcc, 2, v0
	ds_write2st64_b64 v44, v[34:35], v[36:37] offset0:2 offset1:3
	s_and_saveexec_b64 s[4:5], vcc
	s_cbranch_execz .LBB25_17
; %bb.16:
	v_or_b32_e32 v34, s29, v0
	v_mov_b32_e32 v35, 0
	v_mov_b32_e32 v36, s7
	v_mad_u64_u32 v[36:37], s[12:13], s2, v36, v[34:35]
	v_mov_b32_e32 v34, s28
	s_load_dwordx4 s[8:11], s[0:1], 0x58
	s_mul_i32 s3, s3, s7
	v_mad_u64_u32 v[34:35], s[12:13], v36, s6, v[34:35]
	v_add_u32_e32 v37, s3, v37
	v_mov_b32_e32 v36, v35
	v_mad_u64_u32 v[36:37], s[12:13], v37, s6, v[36:37]
	v_mov_b32_e32 v35, v36
	v_lshlrev_b64 v[34:35], 2, v[34:35]
	s_waitcnt lgkmcnt(0)
	v_lshl_add_u64 v[36:37], s[10:11], 0, v[34:35]
	v_lshl_add_u64 v[34:35], s[8:9], 0, v[34:35]
	global_store_dword v[36:37], v55, off
	global_store_dword v[34:35], v56, off
.LBB25_17:
	s_or_b64 exec, exec, s[4:5]
	v_lshl_or_b32 v43, v1, 9, v43
	s_waitcnt lgkmcnt(0)
	s_barrier
	ds_read_b128 v[34:37], v43
	ds_read_b128 v[38:41], v43 offset:16
	s_waitcnt vmcnt(7) lgkmcnt(1)
	v_mfma_f32_16x16x16_f16 v[46:49], v[6:7], v[34:35], 0
	v_cmp_gt_u32_e32 vcc, 64, v0
	v_cmp_gt_u32_e64 s[4:5], 32, v53
	s_and_b64 s[4:5], s[4:5], vcc
	v_mfma_f32_16x16x16_f16 v[6:9], v[8:9], v[36:37], v[46:49]
	s_mov_b32 s3, 0
	s_and_b64 s[4:5], s[4:5], s[30:31]
	s_waitcnt vmcnt(6) lgkmcnt(0)
	v_mfma_f32_16x16x16_f16 v[6:9], v[2:3], v[38:39], v[6:9]
	v_mfma_f32_16x16x16_f16 v[2:5], v[4:5], v[40:41], v[6:9]
	s_nop 5
	ds_read_b128 v[6:9], v43 offset:2048
	ds_read_b128 v[34:37], v43 offset:2064
	s_waitcnt vmcnt(5) lgkmcnt(1)
	v_mfma_f32_16x16x16_f16 v[2:5], v[30:31], v[6:7], v[2:5]
	v_mfma_f32_16x16x16_f16 v[2:5], v[32:33], v[8:9], v[2:5]
	s_waitcnt vmcnt(4) lgkmcnt(0)
	v_mfma_f32_16x16x16_f16 v[2:5], v[26:27], v[34:35], v[2:5]
	v_mfma_f32_16x16x16_f16 v[2:5], v[28:29], v[36:37], v[2:5]
	ds_read_b128 v[6:9], v43 offset:4096
	ds_read_b128 v[26:29], v43 offset:4112
	s_waitcnt vmcnt(3) lgkmcnt(1)
	v_mfma_f32_16x16x16_f16 v[2:5], v[22:23], v[6:7], v[2:5]
	v_mfma_f32_16x16x16_f16 v[2:5], v[24:25], v[8:9], v[2:5]
	s_waitcnt vmcnt(2) lgkmcnt(0)
	v_mfma_f32_16x16x16_f16 v[2:5], v[18:19], v[26:27], v[2:5]
	v_mfma_f32_16x16x16_f16 v[2:5], v[20:21], v[28:29], v[2:5]
	ds_read_b128 v[6:9], v43 offset:6144
	ds_read_b128 v[18:21], v43 offset:6160
	v_mov_b32_e32 v43, 0
	s_waitcnt vmcnt(1) lgkmcnt(0)
	v_mfma_f32_16x16x16_f16 v[2:5], v[14:15], v[6:7], v[2:5]
	s_barrier
	v_mfma_f32_16x16x16_f16 v[2:5], v[16:17], v[8:9], v[2:5]
	s_waitcnt vmcnt(0)
	v_mfma_f32_16x16x16_f16 v[2:5], v[10:11], v[18:19], v[2:5]
	v_mfma_f32_16x16x16_f16 v[2:5], v[12:13], v[20:21], v[2:5]
	s_nop 6
	v_cvt_f16_f32_e32 v2, v2
	v_cvt_f16_f32_e32 v3, v3
	;; [unrolled: 1-line block ×4, first 2 shown]
	v_pack_b32_f16 v2, v2, v3
	v_pack_b32_f16 v3, v4, v5
	ds_write_b64 v44, v[2:3]
	s_waitcnt lgkmcnt(0)
	s_barrier
	s_and_saveexec_b64 s[8:9], s[4:5]
	s_cbranch_execz .LBB25_19
; %bb.18:
	s_load_dwordx2 s[0:1], s[0:1], 0x68
	s_mul_i32 s2, s7, s2
	s_lshl_b32 s6, s6, 6
	s_mul_hi_u32 s5, s2, s6
	s_mul_i32 s4, s2, s6
	v_lshlrev_b32_e32 v0, 10, v0
	s_lshl_b64 s[4:5], s[4:5], 1
	v_and_b32_e32 v0, 0x1800, v0
	v_lshlrev_b32_e32 v2, 5, v1
	v_and_b32_e32 v3, 16, v52
	s_waitcnt lgkmcnt(0)
	s_add_u32 s4, s0, s4
	v_or3_b32 v0, v0, v2, v3
	s_addc_u32 s5, s1, s5
	s_lshl_b32 s2, s28, 6
	ds_read_b128 v[2:5], v0
	s_lshl_b64 s[0:1], s[2:3], 1
	s_add_u32 s0, s4, s0
	v_or_b32_e32 v0, s29, v1
	s_addc_u32 s1, s5, s1
	v_mad_u64_u32 v[0:1], s[2:3], s6, v0, 0
	v_lshl_add_u64 v[0:1], v[0:1], 1, s[0:1]
	v_lshl_add_u64 v[0:1], v[0:1], 0, v[42:43]
	s_waitcnt lgkmcnt(0)
	global_store_dwordx4 v[0:1], v[2:5], off
.LBB25_19:
	s_endpgm
	.section	.rodata,"a",@progbits
	.p2align	6, 0x0
	.amdhsa_kernel _Z39paged_attention_ll4mi_QKV_mfma16_kernelIDF16_DF16_LN4vllm18Fp8KVCacheDataTypeE0EhLi16ELi64ELi256ELb1ELi2EEvPKT_PKT0_S7_ifPKiS9_S9_iPKfiiiPfSC_PS2_PT2_iSB_SB_
		.amdhsa_group_segment_fixed_size 8192
		.amdhsa_private_segment_fixed_size 0
		.amdhsa_kernarg_size 400
		.amdhsa_user_sgpr_count 2
		.amdhsa_user_sgpr_dispatch_ptr 0
		.amdhsa_user_sgpr_queue_ptr 0
		.amdhsa_user_sgpr_kernarg_segment_ptr 1
		.amdhsa_user_sgpr_dispatch_id 0
		.amdhsa_user_sgpr_kernarg_preload_length 0
		.amdhsa_user_sgpr_kernarg_preload_offset 0
		.amdhsa_user_sgpr_private_segment_size 0
		.amdhsa_uses_dynamic_stack 0
		.amdhsa_enable_private_segment 0
		.amdhsa_system_sgpr_workgroup_id_x 1
		.amdhsa_system_sgpr_workgroup_id_y 1
		.amdhsa_system_sgpr_workgroup_id_z 1
		.amdhsa_system_sgpr_workgroup_info 0
		.amdhsa_system_vgpr_workitem_id 0
		.amdhsa_next_free_vgpr 72
		.amdhsa_next_free_sgpr 48
		.amdhsa_accum_offset 72
		.amdhsa_reserve_vcc 1
		.amdhsa_float_round_mode_32 0
		.amdhsa_float_round_mode_16_64 0
		.amdhsa_float_denorm_mode_32 3
		.amdhsa_float_denorm_mode_16_64 3
		.amdhsa_dx10_clamp 1
		.amdhsa_ieee_mode 1
		.amdhsa_fp16_overflow 0
		.amdhsa_tg_split 0
		.amdhsa_exception_fp_ieee_invalid_op 0
		.amdhsa_exception_fp_denorm_src 0
		.amdhsa_exception_fp_ieee_div_zero 0
		.amdhsa_exception_fp_ieee_overflow 0
		.amdhsa_exception_fp_ieee_underflow 0
		.amdhsa_exception_fp_ieee_inexact 0
		.amdhsa_exception_int_div_zero 0
	.end_amdhsa_kernel
	.section	.text._Z39paged_attention_ll4mi_QKV_mfma16_kernelIDF16_DF16_LN4vllm18Fp8KVCacheDataTypeE0EhLi16ELi64ELi256ELb1ELi2EEvPKT_PKT0_S7_ifPKiS9_S9_iPKfiiiPfSC_PS2_PT2_iSB_SB_,"axG",@progbits,_Z39paged_attention_ll4mi_QKV_mfma16_kernelIDF16_DF16_LN4vllm18Fp8KVCacheDataTypeE0EhLi16ELi64ELi256ELb1ELi2EEvPKT_PKT0_S7_ifPKiS9_S9_iPKfiiiPfSC_PS2_PT2_iSB_SB_,comdat
.Lfunc_end25:
	.size	_Z39paged_attention_ll4mi_QKV_mfma16_kernelIDF16_DF16_LN4vllm18Fp8KVCacheDataTypeE0EhLi16ELi64ELi256ELb1ELi2EEvPKT_PKT0_S7_ifPKiS9_S9_iPKfiiiPfSC_PS2_PT2_iSB_SB_, .Lfunc_end25-_Z39paged_attention_ll4mi_QKV_mfma16_kernelIDF16_DF16_LN4vllm18Fp8KVCacheDataTypeE0EhLi16ELi64ELi256ELb1ELi2EEvPKT_PKT0_S7_ifPKiS9_S9_iPKfiiiPfSC_PS2_PT2_iSB_SB_
                                        ; -- End function
	.section	.AMDGPU.csdata,"",@progbits
; Kernel info:
; codeLenInByte = 3988
; NumSgprs: 54
; NumVgprs: 72
; NumAgprs: 0
; TotalNumVgprs: 72
; ScratchSize: 0
; MemoryBound: 0
; FloatMode: 240
; IeeeMode: 1
; LDSByteSize: 8192 bytes/workgroup (compile time only)
; SGPRBlocks: 6
; VGPRBlocks: 8
; NumSGPRsForWavesPerEU: 54
; NumVGPRsForWavesPerEU: 72
; AccumOffset: 72
; Occupancy: 7
; WaveLimiterHint : 1
; COMPUTE_PGM_RSRC2:SCRATCH_EN: 0
; COMPUTE_PGM_RSRC2:USER_SGPR: 2
; COMPUTE_PGM_RSRC2:TRAP_HANDLER: 0
; COMPUTE_PGM_RSRC2:TGID_X_EN: 1
; COMPUTE_PGM_RSRC2:TGID_Y_EN: 1
; COMPUTE_PGM_RSRC2:TGID_Z_EN: 1
; COMPUTE_PGM_RSRC2:TIDIG_COMP_CNT: 0
; COMPUTE_PGM_RSRC3_GFX90A:ACCUM_OFFSET: 17
; COMPUTE_PGM_RSRC3_GFX90A:TG_SPLIT: 0
	.section	.text._Z39paged_attention_ll4mi_QKV_mfma16_kernelIDF16_DF16_LN4vllm18Fp8KVCacheDataTypeE0EhLi16ELi64ELi256ELb1ELi3EEvPKT_PKT0_S7_ifPKiS9_S9_iPKfiiiPfSC_PS2_PT2_iSB_SB_,"axG",@progbits,_Z39paged_attention_ll4mi_QKV_mfma16_kernelIDF16_DF16_LN4vllm18Fp8KVCacheDataTypeE0EhLi16ELi64ELi256ELb1ELi3EEvPKT_PKT0_S7_ifPKiS9_S9_iPKfiiiPfSC_PS2_PT2_iSB_SB_,comdat
	.protected	_Z39paged_attention_ll4mi_QKV_mfma16_kernelIDF16_DF16_LN4vllm18Fp8KVCacheDataTypeE0EhLi16ELi64ELi256ELb1ELi3EEvPKT_PKT0_S7_ifPKiS9_S9_iPKfiiiPfSC_PS2_PT2_iSB_SB_ ; -- Begin function _Z39paged_attention_ll4mi_QKV_mfma16_kernelIDF16_DF16_LN4vllm18Fp8KVCacheDataTypeE0EhLi16ELi64ELi256ELb1ELi3EEvPKT_PKT0_S7_ifPKiS9_S9_iPKfiiiPfSC_PS2_PT2_iSB_SB_
	.globl	_Z39paged_attention_ll4mi_QKV_mfma16_kernelIDF16_DF16_LN4vllm18Fp8KVCacheDataTypeE0EhLi16ELi64ELi256ELb1ELi3EEvPKT_PKT0_S7_ifPKiS9_S9_iPKfiiiPfSC_PS2_PT2_iSB_SB_
	.p2align	8
	.type	_Z39paged_attention_ll4mi_QKV_mfma16_kernelIDF16_DF16_LN4vllm18Fp8KVCacheDataTypeE0EhLi16ELi64ELi256ELb1ELi3EEvPKT_PKT0_S7_ifPKiS9_S9_iPKfiiiPfSC_PS2_PT2_iSB_SB_,@function
_Z39paged_attention_ll4mi_QKV_mfma16_kernelIDF16_DF16_LN4vllm18Fp8KVCacheDataTypeE0EhLi16ELi64ELi256ELb1ELi3EEvPKT_PKT0_S7_ifPKiS9_S9_iPKfiiiPfSC_PS2_PT2_iSB_SB_: ; @_Z39paged_attention_ll4mi_QKV_mfma16_kernelIDF16_DF16_LN4vllm18Fp8KVCacheDataTypeE0EhLi16ELi64ELi256ELb1ELi3EEvPKT_PKT0_S7_ifPKiS9_S9_iPKfiiiPfSC_PS2_PT2_iSB_SB_
; %bb.0:
	s_load_dwordx2 s[8:9], s[0:1], 0x30
	s_mov_b32 s28, s3
	s_mov_b64 s[6:7], 0
	s_waitcnt lgkmcnt(0)
	s_cmp_lg_u64 s[8:9], 0
	s_cselect_b64 s[10:11], -1, 0
	s_and_b64 vcc, exec, s[10:11]
	s_cbranch_vccz .LBB26_7
; %bb.1:
	s_add_i32 s12, s2, 1
	s_mov_b32 s13, 0
	s_lshl_b64 s[14:15], s[12:13], 2
	s_add_u32 s14, s8, s14
	s_mov_b32 s3, s13
	s_addc_u32 s15, s9, s15
	s_lshl_b64 s[12:13], s[2:3], 2
	s_add_u32 s12, s8, s12
	s_addc_u32 s13, s9, s13
	s_load_dword s5, s[14:15], 0x0
	s_load_dword s16, s[12:13], 0x0
	s_waitcnt lgkmcnt(0)
	s_sub_i32 s5, s5, s16
	s_cmp_eq_u32 s5, 1
	s_cselect_b64 s[12:13], -1, 0
	s_andn2_b64 vcc, exec, s[6:7]
	s_cbranch_vccnz .LBB26_3
.LBB26_2:
	s_mov_b32 s3, 0
	s_mov_b64 s[12:13], -1
.LBB26_3:
	s_andn2_b64 vcc, exec, s[12:13]
	s_cbranch_vccnz .LBB26_19
; %bb.4:
	s_load_dwordx2 s[6:7], s[0:1], 0x28
	s_lshl_b64 s[14:15], s[2:3], 2
	s_waitcnt lgkmcnt(0)
	s_add_u32 s6, s6, s14
	s_addc_u32 s7, s7, s15
	s_load_dword s29, s[6:7], 0x0
	s_lshl_b32 s16, s28, 8
	s_waitcnt lgkmcnt(0)
	s_cmp_ge_i32 s16, s29
	s_cbranch_scc1 .LBB26_19
; %bb.5:
	s_load_dwordx2 s[6:7], s[0:1], 0x20
	s_load_dword s5, s[0:1], 0x38
	s_add_i32 s12, s29, 15
	s_ashr_i32 s13, s12, 31
	v_and_b32_e32 v1, 0xcf, v0
	s_lshr_b32 s13, s13, 28
	v_add_u32_e32 v1, s16, v1
	s_add_i32 s12, s12, s13
	v_ashrrev_i32_e32 v2, 31, v1
	s_ashr_i32 s17, s12, 4
	v_lshrrev_b32_e32 v6, 28, v2
	s_add_i32 s17, s17, -1
	s_waitcnt lgkmcnt(0)
	s_mul_i32 s12, s2, s5
	s_mov_b32 s13, 0
	v_add_u32_e32 v2, v1, v6
	s_lshl_b64 s[12:13], s[12:13], 2
	v_ashrrev_i32_e32 v2, 4, v2
	v_mov_b32_e32 v7, s17
	v_cmp_gt_i32_e32 vcc, s29, v1
	s_add_u32 s6, s6, s12
	s_addc_u32 s7, s7, s13
	v_cndmask_b32_e32 v2, v7, v2, vcc
	v_ashrrev_i32_e32 v3, 31, v2
	v_lshl_add_u64 v[4:5], v[2:3], 2, s[6:7]
	v_or_b32_e32 v2, 16, v1
	v_add_u32_e32 v3, v2, v6
	v_ashrrev_i32_e32 v3, 4, v3
	v_cmp_gt_i32_e32 vcc, s29, v2
	s_load_dwordx2 s[12:13], s[0:1], 0x8
	s_nop 0
	v_cndmask_b32_e32 v2, v7, v3, vcc
	v_ashrrev_i32_e32 v3, 31, v2
	v_lshl_add_u64 v[8:9], v[2:3], 2, s[6:7]
	v_or_b32_e32 v2, 32, v1
	v_add_u32_e32 v3, v2, v6
	v_ashrrev_i32_e32 v3, 4, v3
	v_cmp_gt_i32_e32 vcc, s29, v2
	v_or_b32_e32 v1, 48, v1
	s_nop 0
	v_cndmask_b32_e32 v2, v7, v3, vcc
	v_ashrrev_i32_e32 v3, 31, v2
	v_lshl_add_u64 v[10:11], v[2:3], 2, s[6:7]
	v_add_u32_e32 v2, v1, v6
	v_ashrrev_i32_e32 v2, 4, v2
	v_cmp_gt_i32_e32 vcc, s29, v1
	s_nop 1
	v_cndmask_b32_e32 v2, v7, v2, vcc
	v_ashrrev_i32_e32 v3, 31, v2
	v_lshl_add_u64 v[12:13], v[2:3], 2, s[6:7]
	global_load_dword v3, v[4:5], off
	global_load_dword v2, v[8:9], off
	;; [unrolled: 1-line block ×4, first 2 shown]
	s_andn2_b64 vcc, exec, s[10:11]
	s_cbranch_vccnz .LBB26_8
; %bb.6:
	s_add_u32 s8, s8, s14
	s_addc_u32 s9, s9, s15
	s_load_dword s5, s[8:9], 0x0
	s_branch .LBB26_9
.LBB26_7:
	s_mov_b64 s[12:13], 0
	s_branch .LBB26_2
.LBB26_8:
	s_mov_b32 s5, s2
.LBB26_9:
	s_load_dwordx2 s[8:9], s[0:1], 0x10
	s_load_dwordx4 s[44:47], s[0:1], 0x48
	v_lshrrev_b32_e32 v45, 6, v0
	v_bfe_u32 v54, v0, 4, 2
	v_lshl_or_b32 v4, v45, 2, v54
	v_and_b32_e32 v44, 15, v0
	s_mul_i32 s42, s4, 3
	v_lshlrev_b32_e32 v5, 3, v44
	v_cmp_gt_u32_e32 vcc, 3, v4
	v_cmp_gt_u32_e64 s[30:31], 8, v44
	v_add_u32_e32 v1, s42, v54
	s_and_b64 s[14:15], s[30:31], vcc
	v_lshlrev_b32_e32 v42, 1, v5
	s_and_saveexec_b64 s[10:11], s[14:15]
	s_cbranch_execz .LBB26_11
; %bb.10:
	s_load_dwordx2 s[14:15], s[0:1], 0x0
	s_waitcnt lgkmcnt(0)
	s_ashr_i32 s18, s44, 31
	s_mul_hi_u32 s19, s5, s44
	s_mul_i32 s18, s5, s18
	s_add_i32 s19, s19, s18
	s_mul_i32 s18, s5, s44
	s_lshl_b64 s[18:19], s[18:19], 1
	s_add_u32 s14, s14, s18
	v_lshlrev_b32_e32 v8, 6, v1
	s_addc_u32 s15, s15, s19
	v_ashrrev_i32_e32 v9, 31, v8
	v_lshl_add_u64 v[8:9], v[8:9], 1, s[14:15]
	v_mov_b32_e32 v43, 0
	v_lshl_add_u64 v[8:9], v[8:9], 0, v[42:43]
	global_load_dwordx4 v[8:11], v[8:9], off
	v_and_b32_e32 v5, 3, v0
	v_lshlrev_b32_e32 v7, 9, v44
	v_lshlrev_b32_e32 v4, 5, v4
	;; [unrolled: 1-line block ×3, first 2 shown]
	v_and_b32_e32 v7, 0x1800, v7
	v_or3_b32 v4, v7, v5, v4
	s_waitcnt vmcnt(0)
	ds_write_b128 v4, v[8:11]
.LBB26_11:
	s_or_b64 exec, exec, s[10:11]
	s_waitcnt lgkmcnt(0)
	s_mul_i32 s4, s4, s46
	s_mov_b32 s5, 0
	s_lshl_b64 s[4:5], s[4:5], 1
	s_add_u32 s10, s12, s4
	v_lshlrev_b32_e32 v55, 4, v0
	s_addc_u32 s11, s13, s5
	v_and_b32_e32 v46, 0xf0, v55
	v_mov_b32_e32 v47, 0
	v_lshl_add_u64 v[16:17], s[10:11], 0, v[46:47]
	s_waitcnt vmcnt(3)
	v_mad_i64_i32 v[4:5], s[10:11], v3, s45, 0
	s_waitcnt vmcnt(2)
	v_mad_i64_i32 v[2:3], s[10:11], v2, s45, 0
	;; [unrolled: 2-line block ×3, first 2 shown]
	v_lshl_add_u64 v[4:5], v[4:5], 1, v[16:17]
	v_and_b32_e32 v46, 0x300, v55
	v_lshl_add_u64 v[2:3], v[2:3], 1, v[16:17]
	v_lshl_add_u64 v[6:7], v[6:7], 1, v[16:17]
	s_waitcnt vmcnt(0)
	v_mad_i64_i32 v[14:15], s[10:11], v14, s45, 0
	v_lshl_add_u64 v[4:5], v[4:5], 0, v[46:47]
	v_lshl_add_u64 v[8:9], v[2:3], 0, v[46:47]
	;; [unrolled: 1-line block ×4, first 2 shown]
	s_barrier
	global_load_dwordx4 v[30:33], v[4:5], off
	global_load_dwordx4 v[10:13], v[4:5], off offset:1024
	global_load_dwordx4 v[22:25], v[8:9], off
	s_nop 0
	global_load_dwordx4 v[2:5], v[8:9], off offset:1024
	global_load_dwordx4 v[26:29], v[18:19], off
	s_nop 0
	global_load_dwordx4 v[6:9], v[18:19], off offset:1024
	v_lshl_add_u64 v[18:19], v[14:15], 0, v[46:47]
	global_load_dwordx4 v[34:37], v[18:19], off
	global_load_dwordx4 v[14:17], v[18:19], off offset:1024
	v_mul_lo_u16_e32 v18, 0x56, v44
	v_mov_b32_e32 v19, 3
	v_mul_lo_u16_sdwa v18, v18, v19 dst_sel:DWORD dst_unused:UNUSED_PAD src0_sel:BYTE_1 src1_sel:DWORD
	v_sub_u16_e32 v18, v44, v18
	v_mov_b32_e32 v19, 5
	v_lshlrev_b32_sdwa v18, v19, v18 dst_sel:DWORD dst_unused:UNUSED_PAD src0_sel:DWORD src1_sel:BYTE_0
	v_lshl_add_u32 v18, v54, 9, v18
	ds_read_b128 v[38:41], v18
	ds_read_b128 v[18:21], v18 offset:2048
	v_and_b32_e32 v56, 63, v0
	v_cmp_gt_u32_e32 vcc, 3, v44
	v_mov_b32_e32 v57, 0
	s_and_saveexec_b64 s[10:11], vcc
	s_cbranch_execz .LBB26_13
; %bb.12:
	s_load_dwordx2 s[12:13], s[0:1], 0x40
	v_add_u32_e32 v48, s42, v44
	v_ashrrev_i32_e32 v49, 31, v48
	s_waitcnt lgkmcnt(0)
	v_lshl_add_u64 v[48:49], v[48:49], 2, s[12:13]
	global_load_dword v57, v[48:49], off
.LBB26_13:
	s_or_b64 exec, exec, s[10:11]
	v_and_or_b32 v46, v0, 48, s16
	v_ashrrev_i32_e32 v43, 4, v46
	v_mov_b32_e32 v70, s17
	v_cmp_gt_i32_e32 vcc, s29, v46
	s_waitcnt vmcnt(5) lgkmcnt(1)
	v_mfma_f32_16x16x16_f16 v[58:61], v[22:23], v[38:39], 0
	s_load_dword s10, s[0:1], 0x1c
	v_cndmask_b32_e32 v48, v70, v43, vcc
	v_ashrrev_i32_e32 v49, 31, v48
	v_or_b32_e32 v43, 64, v46
	v_lshl_add_u64 v[52:53], v[48:49], 2, s[6:7]
	v_mfma_f32_16x16x16_f16 v[48:51], v[30:31], v[38:39], 0
	v_ashrrev_i32_e32 v30, 4, v43
	v_cmp_gt_i32_e32 vcc, s29, v43
	global_load_dword v71, v[52:53], off
	s_waitcnt vmcnt(4)
	v_mfma_f32_16x16x16_f16 v[62:65], v[26:27], v[38:39], 0
	v_cndmask_b32_e32 v30, v70, v30, vcc
	v_ashrrev_i32_e32 v31, 31, v30
	v_lshl_add_u64 v[22:23], v[30:31], 2, s[6:7]
	global_load_dword v72, v[22:23], off
	v_mfma_f32_16x16x16_f16 v[22:25], v[24:25], v[40:41], v[58:61]
	v_and_b32_e32 v26, 0xc0, v0
	s_add_u32 s4, s8, s4
	v_lshlrev_b32_e32 v43, 5, v44
	v_mfma_f32_16x16x16_f16 v[30:33], v[32:33], v[40:41], v[48:51]
	s_addc_u32 s5, s9, s5
	s_mov_b32 s33, 0xff7fffff
	s_waitcnt vmcnt(3)
	v_mfma_f32_16x16x16_f16 v[66:69], v[34:35], v[38:39], 0
	v_or_b32_e32 v38, 0x80, v46
	v_add_u32_e32 v48, s16, v26
	v_or_b32_e32 v39, 0xc0, v46
	v_mfma_f32_16x16x16_f16 v[26:29], v[28:29], v[40:41], v[62:65]
	v_ashrrev_i32_e32 v49, 4, v38
	v_cmp_gt_i32_e32 vcc, s29, v38
	v_ashrrev_i32_e32 v50, 4, v39
	s_waitcnt lgkmcnt(0)
	v_mfma_f32_16x16x16_f16 v[22:25], v[2:3], v[18:19], v[22:25]
	v_cndmask_b32_e32 v38, v70, v49, vcc
	v_cmp_gt_i32_e32 vcc, s29, v39
	v_ashrrev_i32_e32 v39, 31, v38
	v_mfma_f32_16x16x16_f16 v[30:33], v[10:11], v[18:19], v[30:33]
	v_cndmask_b32_e32 v10, v70, v50, vcc
	v_ashrrev_i32_e32 v11, 31, v10
	v_lshl_or_b32 v58, v54, 2, v48
	v_mfma_f32_16x16x16_f16 v[26:29], v[6:7], v[18:19], v[26:29]
	v_lshl_add_u64 v[6:7], v[38:39], 2, s[6:7]
	v_lshl_add_u64 v[38:39], v[10:11], 2, s[6:7]
	v_or_b32_e32 v59, 1, v58
	v_mfma_f32_16x16x16_f16 v[2:5], v[4:5], v[20:21], v[22:25]
	s_nop 2
	global_load_dword v22, v[6:7], off
	global_load_dword v62, v[38:39], off
	v_subrev_u32_e32 v60, s29, v59
	v_cvt_f32_i32_e32 v61, v60
	v_mfma_f32_16x16x16_f16 v[34:37], v[36:37], v[40:41], v[66:69]
	v_pk_mul_f32 v[48:49], s[10:11], v[4:5] op_sel_hi:[0,1]
	v_lshl_or_b32 v46, v45, 9, v43
	v_lshl_add_u64 v[46:47], s[4:5], 0, v[46:47]
	s_waitcnt vmcnt(4)
	v_mfma_f32_16x16x16_f16 v[34:37], v[14:15], v[18:19], v[34:37]
	v_add_u32_e32 v14, 1, v60
	v_add_u32_e32 v15, 2, v60
	v_cvt_f32_i32_e32 v23, v14
	v_cvt_f32_i32_e32 v24, v15
	v_mfma_f32_16x16x16_f16 v[14:17], v[16:17], v[20:21], v[34:37]
	v_add_u32_e32 v18, 3, v60
	v_cvt_f32_i32_e32 v18, v18
	v_pk_mul_f32 v[50:51], s[10:11], v[2:3] op_sel_hi:[0,1]
	v_mfma_f32_16x16x16_f16 v[10:13], v[12:13], v[20:21], v[30:33]
	v_cmp_gt_i32_e64 s[34:35], s29, v59
	s_nop 1
	v_pk_mul_f32 v[36:37], s[10:11], v[14:15] op_sel_hi:[0,1]
	v_add_u32_e32 v15, 19, v60
	v_add_u32_e32 v31, 18, v60
	v_cvt_f32_i32_e32 v14, v31
	v_cvt_f32_i32_e32 v15, v15
	v_mfma_f32_16x16x16_f16 v[6:9], v[8:9], v[20:21], v[26:29]
	v_pk_mul_f32 v[34:35], s[10:11], v[16:17] op_sel_hi:[0,1]
	v_fma_f32 v48, v57, v14, v48
	v_add_u32_e32 v14, 32, v60
	v_fmac_f32_e32 v49, v57, v15
	v_cvt_f32_i32_e32 v14, v14
	v_add_u32_e32 v15, 33, v60
	v_add_u32_e32 v16, 34, v60
	v_cvt_f32_i32_e32 v15, v15
	v_cvt_f32_i32_e32 v16, v16
	v_add_u32_e32 v17, 35, v60
	v_cvt_f32_i32_e32 v17, v17
	v_pk_mul_f32 v[40:41], s[10:11], v[6:7] op_sel_hi:[0,1]
	v_pk_mul_f32 v[38:39], s[10:11], v[8:9] op_sel_hi:[0,1]
	v_fma_f32 v40, v57, v14, v40
	v_add_u32_e32 v14, 48, v60
	v_fmac_f32_e32 v41, v57, v15
	v_fma_f32 v38, v57, v16, v38
	v_cvt_f32_i32_e32 v14, v14
	v_add_u32_e32 v15, 49, v60
	v_add_u32_e32 v16, 50, v60
	v_fmac_f32_e32 v39, v57, v17
	v_cvt_f32_i32_e32 v15, v15
	v_cvt_f32_i32_e32 v16, v16
	v_add_u32_e32 v17, 51, v60
	v_cvt_f32_i32_e32 v17, v17
	v_pk_mul_f32 v[52:53], s[10:11], v[12:13] op_sel_hi:[0,1]
	v_pk_mul_f32 v[10:11], s[10:11], v[10:11] op_sel_hi:[0,1]
	s_waitcnt vmcnt(3)
	v_mad_i64_i32 v[2:3], s[4:5], v71, s45, 0
	s_waitcnt vmcnt(2)
	v_mad_i64_i32 v[12:13], s[4:5], v72, s45, 0
	v_fma_f32 v10, v57, v61, v10
	v_fmac_f32_e32 v11, v57, v23
	v_fma_f32 v36, v57, v14, v36
	v_mov_b32_e32 v14, 0xff7fffff
	v_cmp_gt_i32_e64 s[4:5], s29, v58
	v_add_u32_e32 v19, 16, v60
	v_add_u32_e32 v30, 17, v60
	v_fmac_f32_e32 v37, v57, v15
	v_fma_f32 v34, v57, v16, v34
	v_cndmask_b32_e64 v15, v14, v10, s[4:5]
	v_cndmask_b32_e64 v16, v14, v11, s[34:35]
	v_cvt_f32_i32_e32 v19, v19
	v_cvt_f32_i32_e32 v25, v30
	v_fmac_f32_e32 v35, v57, v17
	v_max3_f32 v15, v15, s33, v16
	v_or_b32_e32 v16, 2, v58
	v_or_b32_e32 v17, 3, v58
	v_fma_f32 v52, v57, v24, v52
	v_fmac_f32_e32 v53, v57, v18
	v_cmp_gt_i32_e64 s[36:37], s29, v16
	v_cmp_gt_i32_e64 s[38:39], s29, v17
	v_fma_f32 v50, v57, v19, v50
	v_cndmask_b32_e64 v16, v14, v52, s[36:37]
	v_cndmask_b32_e64 v17, v14, v53, s[38:39]
	v_max3_f32 v15, v15, v16, v17
	v_or_b32_e32 v16, 16, v58
	v_or_b32_e32 v17, 17, v58
	v_fmac_f32_e32 v51, v57, v25
	v_cmp_gt_i32_e64 s[24:25], s29, v16
	v_cmp_gt_i32_e64 s[26:27], s29, v17
	v_lshl_add_u64 v[2:3], v[2:3], 1, v[46:47]
	v_cndmask_b32_e64 v16, v14, v50, s[24:25]
	v_cndmask_b32_e64 v17, v14, v51, s[26:27]
	v_max3_f32 v15, v15, v16, v17
	v_or_b32_e32 v16, 18, v58
	v_or_b32_e32 v17, 19, v58
	v_cmp_gt_i32_e64 s[20:21], s29, v16
	v_cmp_gt_i32_e64 s[22:23], s29, v17
	v_lshl_add_u64 v[12:13], v[12:13], 1, v[46:47]
	v_cndmask_b32_e64 v16, v14, v48, s[20:21]
	v_cndmask_b32_e64 v17, v14, v49, s[22:23]
	v_max3_f32 v15, v15, v16, v17
	v_or_b32_e32 v16, 32, v58
	v_or_b32_e32 v17, 33, v58
	v_cmp_gt_i32_e64 s[16:17], s29, v16
	v_cmp_gt_i32_e64 s[18:19], s29, v17
	global_load_dwordx4 v[6:9], v[2:3], off
	s_nop 0
	global_load_dwordx4 v[2:5], v[2:3], off offset:16
	v_cndmask_b32_e64 v16, v14, v40, s[16:17]
	v_cndmask_b32_e64 v17, v14, v41, s[18:19]
	v_max3_f32 v15, v15, v16, v17
	v_or_b32_e32 v16, 34, v58
	v_or_b32_e32 v17, 35, v58
	v_cmp_gt_i32_e64 s[12:13], s29, v16
	v_cmp_gt_i32_e64 s[14:15], s29, v17
	global_load_dwordx4 v[30:33], v[12:13], off
	global_load_dwordx4 v[26:29], v[12:13], off offset:16
	v_cndmask_b32_e64 v16, v14, v38, s[12:13]
	v_cndmask_b32_e64 v17, v14, v39, s[14:15]
	v_max3_f32 v15, v15, v16, v17
	v_or_b32_e32 v16, 48, v58
	v_or_b32_e32 v17, 49, v58
	v_cmp_gt_i32_e64 s[8:9], s29, v16
	v_cmp_gt_i32_e64 s[10:11], s29, v17
	s_nop 0
	v_cndmask_b32_e64 v16, v14, v36, s[8:9]
	v_cndmask_b32_e64 v17, v14, v37, s[10:11]
	v_max3_f32 v15, v15, v16, v17
	v_or_b32_e32 v16, 50, v58
	v_or_b32_e32 v17, 51, v58
	v_cmp_gt_i32_e32 vcc, s29, v16
	v_cmp_gt_i32_e64 s[6:7], s29, v17
	s_nop 0
	v_cndmask_b32_e32 v16, v14, v34, vcc
	v_cndmask_b32_e64 v14, v14, v35, s[6:7]
	v_max3_f32 v14, v15, v16, v14
	v_mbcnt_lo_u32_b32 v15, -1, 0
	v_mbcnt_hi_u32_b32 v15, -1, v15
	v_and_b32_e32 v16, 64, v15
	v_add_u32_e32 v16, 64, v16
	v_xor_b32_e32 v17, 32, v15
	v_cmp_lt_i32_e64 s[40:41], v17, v16
	s_nop 1
	v_cndmask_b32_e64 v17, v15, v17, s[40:41]
	v_lshlrev_b32_e32 v58, 2, v17
	ds_bpermute_b32 v17, v58, v14
	s_waitcnt vmcnt(5)
	v_mad_i64_i32 v[12:13], s[40:41], v22, s45, 0
	v_lshl_add_u64 v[12:13], v[12:13], 1, v[46:47]
	global_load_dwordx4 v[22:25], v[12:13], off
	global_load_dwordx4 v[18:21], v[12:13], off offset:16
	s_waitcnt lgkmcnt(0)
	v_max_f32_e32 v17, v17, v17
	v_max_f32_e32 v14, v14, v17
	v_xor_b32_e32 v17, 16, v15
	v_cmp_lt_i32_e64 s[40:41], v17, v16
	s_nop 1
	v_cndmask_b32_e64 v15, v15, v17, s[40:41]
	v_lshlrev_b32_e32 v60, 2, v15
	ds_bpermute_b32 v15, v60, v14
	s_waitcnt vmcnt(6)
	v_mad_i64_i32 v[12:13], s[40:41], v62, s45, 0
	v_lshl_add_u64 v[12:13], v[12:13], 1, v[46:47]
	s_waitcnt lgkmcnt(0)
	v_max_f32_e32 v15, v15, v15
	v_max_f32_e32 v57, v14, v15
	v_sub_f32_e32 v10, v10, v57
	v_mul_f32_e32 v10, 0x3fb8aa3b, v10
	v_exp_f32_e32 v46, v10
	v_sub_f32_e32 v10, v11, v57
	v_mul_f32_e32 v10, 0x3fb8aa3b, v10
	v_exp_f32_e32 v47, v10
	global_load_dwordx4 v[14:17], v[12:13], off
	s_nop 0
	global_load_dwordx4 v[10:13], v[12:13], off offset:16
	v_sub_f32_e32 v52, v52, v57
	v_mul_f32_e32 v52, 0x3fb8aa3b, v52
	v_sub_f32_e32 v53, v53, v57
	v_exp_f32_e32 v52, v52
	v_mul_f32_e32 v53, 0x3fb8aa3b, v53
	v_sub_f32_e32 v50, v50, v57
	v_exp_f32_e32 v53, v53
	v_mul_f32_e32 v50, 0x3fb8aa3b, v50
	v_sub_f32_e32 v51, v51, v57
	v_cndmask_b32_e64 v46, 0, v46, s[4:5]
	v_exp_f32_e32 v50, v50
	v_mul_f32_e32 v51, 0x3fb8aa3b, v51
	v_sub_f32_e32 v48, v48, v57
	v_add_f32_e32 v59, 0, v46
	v_cndmask_b32_e64 v47, 0, v47, s[34:35]
	v_exp_f32_e32 v51, v51
	v_mul_f32_e32 v48, 0x3fb8aa3b, v48
	v_sub_f32_e32 v49, v49, v57
	v_add_f32_e32 v59, v59, v47
	;; [unrolled: 5-line block ×10, first 2 shown]
	v_cndmask_b32_e64 v38, 0, v38, s[12:13]
	v_exp_f32_e32 v34, v34
	v_mul_f32_e32 v35, 0x3fb8aa3b, v35
	v_add_f32_e32 v59, v59, v38
	v_cndmask_b32_e64 v39, 0, v39, s[14:15]
	v_exp_f32_e32 v35, v35
	v_add_f32_e32 v59, v59, v39
	v_cndmask_b32_e64 v36, 0, v36, s[8:9]
	v_add_f32_e32 v59, v59, v36
	v_cndmask_b32_e64 v37, 0, v37, s[10:11]
	v_add_f32_e32 v59, v59, v37
	v_cndmask_b32_e32 v34, 0, v34, vcc
	v_add_f32_e32 v59, v59, v34
	v_cndmask_b32_e64 v35, 0, v35, s[6:7]
	v_add_f32_e32 v59, v59, v35
	ds_bpermute_b32 v58, v58, v59
	s_load_dword s7, s[0:1], 0x98
	v_cmp_gt_u32_e32 vcc, 16, v56
	s_waitcnt lgkmcnt(0)
	s_barrier
	v_add_f32_e32 v59, v59, v58
	ds_bpermute_b32 v60, v60, v59
	v_lshlrev_b32_e32 v58, 2, v44
	s_waitcnt lgkmcnt(0)
	s_and_saveexec_b64 s[4:5], vcc
	s_cbranch_execz .LBB26_15
; %bb.14:
	v_add_f32_e32 v56, v59, v60
	v_lshl_or_b32 v59, v45, 6, v58
	ds_write2st64_b32 v59, v57, v56 offset1:1
.LBB26_15:
	s_or_b64 exec, exec, s[4:5]
	s_load_dword s6, s[0:1], 0x94
	s_waitcnt lgkmcnt(0)
	s_barrier
	ds_read2_b32 v[60:61], v58 offset1:16
	ds_read2_b32 v[62:63], v58 offset0:32 offset1:48
	ds_read2_b32 v[64:65], v58 offset0:64 offset1:80
	;; [unrolled: 1-line block ×3, first 2 shown]
	s_mul_i32 s7, s7, 3
	s_waitcnt lgkmcnt(3)
	v_max3_f32 v56, v60, s33, v61
	s_waitcnt lgkmcnt(2)
	v_max3_f32 v56, v56, v62, v63
	v_sub_f32_e32 v57, v60, v56
	v_mul_f32_e32 v57, 0x3fb8aa3b, v57
	v_exp_f32_e32 v60, v57
	v_sub_f32_e32 v57, v61, v56
	v_mul_f32_e32 v57, 0x3fb8aa3b, v57
	v_exp_f32_e32 v61, v57
	;; [unrolled: 3-line block ×4, first 2 shown]
	s_waitcnt lgkmcnt(1)
	v_fma_f32 v57, v60, v64, 0
	v_fmac_f32_e32 v57, v61, v65
	s_waitcnt lgkmcnt(0)
	v_fmac_f32_e32 v57, v62, v58
	v_fmac_f32_e32 v57, v63, v59
	v_add_f32_e32 v58, 0x358637bd, v57
	v_div_scale_f32 v59, s[4:5], v58, v58, 1.0
	v_rcp_f32_e32 v64, v59
	s_barrier
	v_fma_f32 v65, -v59, v64, 1.0
	v_fmac_f32_e32 v64, v65, v64
	v_div_scale_f32 v65, vcc, 1.0, v58, 1.0
	v_mul_f32_e32 v66, v65, v64
	v_fma_f32 v67, -v59, v66, v65
	v_fmac_f32_e32 v66, v67, v64
	v_fma_f32 v59, -v59, v66, v65
	v_div_fmas_f32 v59, v59, v64, v66
	v_cmp_eq_u32_e32 vcc, 1, v45
	v_div_fixup_f32 v58, v59, v58, 1.0
	s_nop 0
	v_cndmask_b32_e32 v59, v60, v61, vcc
	v_cmp_eq_u32_e32 vcc, 2, v45
	s_nop 1
	v_cndmask_b32_e32 v59, v59, v62, vcc
	v_cmp_eq_u32_e32 vcc, 3, v45
	v_lshlrev_b32_e32 v45, 11, v45
	s_nop 0
	v_cndmask_b32_e32 v59, v59, v63, vcc
	v_mul_f32_e32 v58, v59, v58
	v_pk_mul_f32 v[52:53], v[58:59], v[52:53] op_sel_hi:[0,1]
	v_pk_mul_f32 v[46:47], v[58:59], v[46:47] op_sel_hi:[0,1]
	v_cvt_f16_f32_e32 v59, v52
	v_cvt_f16_f32_e32 v53, v53
	;; [unrolled: 1-line block ×4, first 2 shown]
	v_cmp_gt_u32_e32 vcc, 3, v0
	v_pack_b32_f16 v53, v59, v53
	v_lshlrev_b32_e32 v59, 3, v54
	v_pack_b32_f16 v52, v46, v47
	v_pk_mul_f32 v[46:47], v[58:59], v[48:49] op_sel_hi:[0,1]
	v_pk_mul_f32 v[48:49], v[58:59], v[50:51] op_sel_hi:[0,1]
	v_cvt_f16_f32_e32 v48, v48
	v_cvt_f16_f32_e32 v49, v49
	;; [unrolled: 1-line block ×4, first 2 shown]
	v_pk_mul_f32 v[38:39], v[58:59], v[38:39] op_sel_hi:[0,1]
	v_pk_mul_f32 v[40:41], v[58:59], v[40:41] op_sel_hi:[0,1]
	;; [unrolled: 1-line block ×4, first 2 shown]
	v_or3_b32 v46, v45, v43, v59
	v_pack_b32_f16 v48, v48, v49
	v_pack_b32_f16 v49, v50, v47
	v_cvt_f16_f32_e32 v40, v40
	v_cvt_f16_f32_e32 v41, v41
	;; [unrolled: 1-line block ×8, first 2 shown]
	v_pack_b32_f16 v34, v40, v41
	v_pack_b32_f16 v35, v38, v39
	;; [unrolled: 1-line block ×4, first 2 shown]
	ds_write2st64_b64 v46, v[52:53], v[48:49] offset1:1
	ds_write2st64_b64 v46, v[34:35], v[36:37] offset0:2 offset1:3
	s_and_saveexec_b64 s[4:5], vcc
	s_cbranch_execz .LBB26_17
; %bb.16:
	s_mov_b32 s43, 0
	v_mov_b32_e32 v45, 0
	v_lshl_add_u64 v[34:35], s[42:43], 0, v[44:45]
	v_mov_b32_e32 v36, s7
	v_mad_u64_u32 v[34:35], s[12:13], s2, v36, v[34:35]
	s_mul_i32 s3, s3, s7
	v_mov_b32_e32 v44, s28
	s_load_dwordx4 s[8:11], s[0:1], 0x58
	v_add_u32_e32 v37, s3, v35
	v_mad_u64_u32 v[34:35], s[12:13], v34, s6, v[44:45]
	v_mov_b32_e32 v36, v35
	v_mad_u64_u32 v[36:37], s[12:13], v37, s6, v[36:37]
	v_mov_b32_e32 v35, v36
	v_lshlrev_b64 v[34:35], 2, v[34:35]
	s_waitcnt lgkmcnt(0)
	v_lshl_add_u64 v[36:37], s[10:11], 0, v[34:35]
	v_lshl_add_u64 v[34:35], s[8:9], 0, v[34:35]
	global_store_dword v[36:37], v56, off
	global_store_dword v[34:35], v57, off
.LBB26_17:
	s_or_b64 exec, exec, s[4:5]
	v_lshl_or_b32 v43, v54, 9, v43
	s_waitcnt lgkmcnt(0)
	s_barrier
	ds_read_b128 v[34:37], v43
	ds_read_b128 v[38:41], v43 offset:16
	s_waitcnt vmcnt(7) lgkmcnt(1)
	v_mfma_f32_16x16x16_f16 v[48:51], v[6:7], v[34:35], 0
	v_cmp_gt_u32_e32 vcc, 64, v0
	v_cmp_ne_u32_e64 s[4:5], 3, v54
	s_and_b64 s[4:5], s[4:5], vcc
	v_mfma_f32_16x16x16_f16 v[6:9], v[8:9], v[36:37], v[48:51]
	s_mov_b32 s3, 0
	s_and_b64 s[4:5], s[4:5], s[30:31]
	s_waitcnt vmcnt(6) lgkmcnt(0)
	v_mfma_f32_16x16x16_f16 v[6:9], v[2:3], v[38:39], v[6:9]
	v_mfma_f32_16x16x16_f16 v[2:5], v[4:5], v[40:41], v[6:9]
	s_nop 5
	ds_read_b128 v[6:9], v43 offset:2048
	ds_read_b128 v[34:37], v43 offset:2064
	s_waitcnt vmcnt(5) lgkmcnt(1)
	v_mfma_f32_16x16x16_f16 v[2:5], v[30:31], v[6:7], v[2:5]
	v_mfma_f32_16x16x16_f16 v[2:5], v[32:33], v[8:9], v[2:5]
	s_waitcnt vmcnt(4) lgkmcnt(0)
	v_mfma_f32_16x16x16_f16 v[2:5], v[26:27], v[34:35], v[2:5]
	v_mfma_f32_16x16x16_f16 v[2:5], v[28:29], v[36:37], v[2:5]
	ds_read_b128 v[6:9], v43 offset:4096
	ds_read_b128 v[26:29], v43 offset:4112
	s_waitcnt vmcnt(3) lgkmcnt(1)
	v_mfma_f32_16x16x16_f16 v[2:5], v[22:23], v[6:7], v[2:5]
	v_mfma_f32_16x16x16_f16 v[2:5], v[24:25], v[8:9], v[2:5]
	s_waitcnt vmcnt(2) lgkmcnt(0)
	v_mfma_f32_16x16x16_f16 v[2:5], v[18:19], v[26:27], v[2:5]
	v_mfma_f32_16x16x16_f16 v[2:5], v[20:21], v[28:29], v[2:5]
	ds_read_b128 v[6:9], v43 offset:6144
	ds_read_b128 v[18:21], v43 offset:6160
	v_mov_b32_e32 v43, 0
	s_waitcnt vmcnt(1) lgkmcnt(0)
	v_mfma_f32_16x16x16_f16 v[2:5], v[14:15], v[6:7], v[2:5]
	s_barrier
	v_mfma_f32_16x16x16_f16 v[2:5], v[16:17], v[8:9], v[2:5]
	s_waitcnt vmcnt(0)
	v_mfma_f32_16x16x16_f16 v[2:5], v[10:11], v[18:19], v[2:5]
	v_mfma_f32_16x16x16_f16 v[2:5], v[12:13], v[20:21], v[2:5]
	s_nop 6
	v_cvt_f16_f32_e32 v2, v2
	v_cvt_f16_f32_e32 v3, v3
	;; [unrolled: 1-line block ×4, first 2 shown]
	v_pack_b32_f16 v2, v2, v3
	v_pack_b32_f16 v3, v4, v5
	ds_write_b64 v46, v[2:3]
	s_waitcnt lgkmcnt(0)
	s_barrier
	s_and_saveexec_b64 s[8:9], s[4:5]
	s_cbranch_execz .LBB26_19
; %bb.18:
	s_load_dwordx2 s[0:1], s[0:1], 0x68
	s_mul_i32 s2, s7, s2
	s_lshl_b32 s6, s6, 6
	s_mul_hi_u32 s5, s2, s6
	s_mul_i32 s4, s2, s6
	v_lshlrev_b32_e32 v0, 10, v0
	s_lshl_b64 s[4:5], s[4:5], 1
	v_and_b32_e32 v0, 0x1800, v0
	v_lshlrev_b32_e32 v2, 5, v54
	v_and_b32_e32 v3, 16, v55
	s_waitcnt lgkmcnt(0)
	s_add_u32 s4, s0, s4
	v_or3_b32 v0, v0, v2, v3
	s_addc_u32 s5, s1, s5
	s_lshl_b32 s2, s28, 6
	ds_read_b128 v[2:5], v0
	s_lshl_b64 s[0:1], s[2:3], 1
	s_add_u32 s0, s4, s0
	s_addc_u32 s1, s5, s1
	v_mad_u64_u32 v[0:1], s[2:3], s6, v1, 0
	v_lshl_add_u64 v[0:1], v[0:1], 1, s[0:1]
	v_lshl_add_u64 v[0:1], v[0:1], 0, v[42:43]
	s_waitcnt lgkmcnt(0)
	global_store_dwordx4 v[0:1], v[2:5], off
.LBB26_19:
	s_endpgm
	.section	.rodata,"a",@progbits
	.p2align	6, 0x0
	.amdhsa_kernel _Z39paged_attention_ll4mi_QKV_mfma16_kernelIDF16_DF16_LN4vllm18Fp8KVCacheDataTypeE0EhLi16ELi64ELi256ELb1ELi3EEvPKT_PKT0_S7_ifPKiS9_S9_iPKfiiiPfSC_PS2_PT2_iSB_SB_
		.amdhsa_group_segment_fixed_size 8192
		.amdhsa_private_segment_fixed_size 0
		.amdhsa_kernarg_size 400
		.amdhsa_user_sgpr_count 2
		.amdhsa_user_sgpr_dispatch_ptr 0
		.amdhsa_user_sgpr_queue_ptr 0
		.amdhsa_user_sgpr_kernarg_segment_ptr 1
		.amdhsa_user_sgpr_dispatch_id 0
		.amdhsa_user_sgpr_kernarg_preload_length 0
		.amdhsa_user_sgpr_kernarg_preload_offset 0
		.amdhsa_user_sgpr_private_segment_size 0
		.amdhsa_uses_dynamic_stack 0
		.amdhsa_enable_private_segment 0
		.amdhsa_system_sgpr_workgroup_id_x 1
		.amdhsa_system_sgpr_workgroup_id_y 1
		.amdhsa_system_sgpr_workgroup_id_z 1
		.amdhsa_system_sgpr_workgroup_info 0
		.amdhsa_system_vgpr_workitem_id 0
		.amdhsa_next_free_vgpr 73
		.amdhsa_next_free_sgpr 48
		.amdhsa_accum_offset 76
		.amdhsa_reserve_vcc 1
		.amdhsa_float_round_mode_32 0
		.amdhsa_float_round_mode_16_64 0
		.amdhsa_float_denorm_mode_32 3
		.amdhsa_float_denorm_mode_16_64 3
		.amdhsa_dx10_clamp 1
		.amdhsa_ieee_mode 1
		.amdhsa_fp16_overflow 0
		.amdhsa_tg_split 0
		.amdhsa_exception_fp_ieee_invalid_op 0
		.amdhsa_exception_fp_denorm_src 0
		.amdhsa_exception_fp_ieee_div_zero 0
		.amdhsa_exception_fp_ieee_overflow 0
		.amdhsa_exception_fp_ieee_underflow 0
		.amdhsa_exception_fp_ieee_inexact 0
		.amdhsa_exception_int_div_zero 0
	.end_amdhsa_kernel
	.section	.text._Z39paged_attention_ll4mi_QKV_mfma16_kernelIDF16_DF16_LN4vllm18Fp8KVCacheDataTypeE0EhLi16ELi64ELi256ELb1ELi3EEvPKT_PKT0_S7_ifPKiS9_S9_iPKfiiiPfSC_PS2_PT2_iSB_SB_,"axG",@progbits,_Z39paged_attention_ll4mi_QKV_mfma16_kernelIDF16_DF16_LN4vllm18Fp8KVCacheDataTypeE0EhLi16ELi64ELi256ELb1ELi3EEvPKT_PKT0_S7_ifPKiS9_S9_iPKfiiiPfSC_PS2_PT2_iSB_SB_,comdat
.Lfunc_end26:
	.size	_Z39paged_attention_ll4mi_QKV_mfma16_kernelIDF16_DF16_LN4vllm18Fp8KVCacheDataTypeE0EhLi16ELi64ELi256ELb1ELi3EEvPKT_PKT0_S7_ifPKiS9_S9_iPKfiiiPfSC_PS2_PT2_iSB_SB_, .Lfunc_end26-_Z39paged_attention_ll4mi_QKV_mfma16_kernelIDF16_DF16_LN4vllm18Fp8KVCacheDataTypeE0EhLi16ELi64ELi256ELb1ELi3EEvPKT_PKT0_S7_ifPKiS9_S9_iPKfiiiPfSC_PS2_PT2_iSB_SB_
                                        ; -- End function
	.section	.AMDGPU.csdata,"",@progbits
; Kernel info:
; codeLenInByte = 4020
; NumSgprs: 54
; NumVgprs: 73
; NumAgprs: 0
; TotalNumVgprs: 73
; ScratchSize: 0
; MemoryBound: 0
; FloatMode: 240
; IeeeMode: 1
; LDSByteSize: 8192 bytes/workgroup (compile time only)
; SGPRBlocks: 6
; VGPRBlocks: 9
; NumSGPRsForWavesPerEU: 54
; NumVGPRsForWavesPerEU: 73
; AccumOffset: 76
; Occupancy: 6
; WaveLimiterHint : 1
; COMPUTE_PGM_RSRC2:SCRATCH_EN: 0
; COMPUTE_PGM_RSRC2:USER_SGPR: 2
; COMPUTE_PGM_RSRC2:TRAP_HANDLER: 0
; COMPUTE_PGM_RSRC2:TGID_X_EN: 1
; COMPUTE_PGM_RSRC2:TGID_Y_EN: 1
; COMPUTE_PGM_RSRC2:TGID_Z_EN: 1
; COMPUTE_PGM_RSRC2:TIDIG_COMP_CNT: 0
; COMPUTE_PGM_RSRC3_GFX90A:ACCUM_OFFSET: 18
; COMPUTE_PGM_RSRC3_GFX90A:TG_SPLIT: 0
	.section	.text._Z39paged_attention_ll4mi_QKV_mfma16_kernelIDF16_DF16_LN4vllm18Fp8KVCacheDataTypeE0EhLi16ELi64ELi256ELb1ELi4EEvPKT_PKT0_S7_ifPKiS9_S9_iPKfiiiPfSC_PS2_PT2_iSB_SB_,"axG",@progbits,_Z39paged_attention_ll4mi_QKV_mfma16_kernelIDF16_DF16_LN4vllm18Fp8KVCacheDataTypeE0EhLi16ELi64ELi256ELb1ELi4EEvPKT_PKT0_S7_ifPKiS9_S9_iPKfiiiPfSC_PS2_PT2_iSB_SB_,comdat
	.protected	_Z39paged_attention_ll4mi_QKV_mfma16_kernelIDF16_DF16_LN4vllm18Fp8KVCacheDataTypeE0EhLi16ELi64ELi256ELb1ELi4EEvPKT_PKT0_S7_ifPKiS9_S9_iPKfiiiPfSC_PS2_PT2_iSB_SB_ ; -- Begin function _Z39paged_attention_ll4mi_QKV_mfma16_kernelIDF16_DF16_LN4vllm18Fp8KVCacheDataTypeE0EhLi16ELi64ELi256ELb1ELi4EEvPKT_PKT0_S7_ifPKiS9_S9_iPKfiiiPfSC_PS2_PT2_iSB_SB_
	.globl	_Z39paged_attention_ll4mi_QKV_mfma16_kernelIDF16_DF16_LN4vllm18Fp8KVCacheDataTypeE0EhLi16ELi64ELi256ELb1ELi4EEvPKT_PKT0_S7_ifPKiS9_S9_iPKfiiiPfSC_PS2_PT2_iSB_SB_
	.p2align	8
	.type	_Z39paged_attention_ll4mi_QKV_mfma16_kernelIDF16_DF16_LN4vllm18Fp8KVCacheDataTypeE0EhLi16ELi64ELi256ELb1ELi4EEvPKT_PKT0_S7_ifPKiS9_S9_iPKfiiiPfSC_PS2_PT2_iSB_SB_,@function
_Z39paged_attention_ll4mi_QKV_mfma16_kernelIDF16_DF16_LN4vllm18Fp8KVCacheDataTypeE0EhLi16ELi64ELi256ELb1ELi4EEvPKT_PKT0_S7_ifPKiS9_S9_iPKfiiiPfSC_PS2_PT2_iSB_SB_: ; @_Z39paged_attention_ll4mi_QKV_mfma16_kernelIDF16_DF16_LN4vllm18Fp8KVCacheDataTypeE0EhLi16ELi64ELi256ELb1ELi4EEvPKT_PKT0_S7_ifPKiS9_S9_iPKfiiiPfSC_PS2_PT2_iSB_SB_
; %bb.0:
	s_load_dwordx2 s[6:7], s[0:1], 0x30
	s_mov_b32 s26, s3
	s_mov_b64 s[8:9], 0
	s_waitcnt lgkmcnt(0)
	s_cmp_lg_u64 s[6:7], 0
	s_cselect_b64 s[10:11], -1, 0
	s_and_b64 vcc, exec, s[10:11]
	s_cbranch_vccz .LBB27_7
; %bb.1:
	s_add_i32 s12, s2, 1
	s_mov_b32 s13, 0
	s_lshl_b64 s[14:15], s[12:13], 2
	s_add_u32 s14, s6, s14
	s_mov_b32 s3, s13
	s_addc_u32 s15, s7, s15
	s_lshl_b64 s[12:13], s[2:3], 2
	s_add_u32 s12, s6, s12
	s_addc_u32 s13, s7, s13
	s_load_dword s5, s[14:15], 0x0
	s_load_dword s16, s[12:13], 0x0
	s_waitcnt lgkmcnt(0)
	s_sub_i32 s5, s5, s16
	s_cmp_eq_u32 s5, 1
	s_cselect_b64 s[12:13], -1, 0
	s_andn2_b64 vcc, exec, s[8:9]
	s_cbranch_vccnz .LBB27_3
.LBB27_2:
	s_mov_b32 s3, 0
	s_mov_b64 s[12:13], -1
.LBB27_3:
	s_andn2_b64 vcc, exec, s[12:13]
	s_cbranch_vccnz .LBB27_19
; %bb.4:
	s_load_dwordx2 s[8:9], s[0:1], 0x28
	s_lshl_b64 s[12:13], s[2:3], 2
	s_waitcnt lgkmcnt(0)
	s_add_u32 s8, s8, s12
	s_addc_u32 s9, s9, s13
	s_load_dword s33, s[8:9], 0x0
	s_lshl_b32 s16, s26, 8
	s_waitcnt lgkmcnt(0)
	s_cmp_ge_i32 s16, s33
	s_cbranch_scc1 .LBB27_19
; %bb.5:
	s_load_dwordx2 s[8:9], s[0:1], 0x20
	s_load_dword s5, s[0:1], 0x38
	s_add_i32 s14, s33, 15
	s_ashr_i32 s15, s14, 31
	v_and_b32_e32 v1, 0xcf, v0
	s_lshr_b32 s15, s15, 28
	v_add_u32_e32 v1, s16, v1
	s_add_i32 s14, s14, s15
	v_ashrrev_i32_e32 v2, 31, v1
	s_ashr_i32 s17, s14, 4
	v_lshrrev_b32_e32 v6, 28, v2
	s_add_i32 s17, s17, -1
	s_waitcnt lgkmcnt(0)
	s_mul_i32 s14, s2, s5
	s_mov_b32 s15, 0
	v_add_u32_e32 v2, v1, v6
	s_lshl_b64 s[14:15], s[14:15], 2
	v_ashrrev_i32_e32 v2, 4, v2
	v_mov_b32_e32 v7, s17
	v_cmp_gt_i32_e32 vcc, s33, v1
	s_add_u32 s8, s8, s14
	s_addc_u32 s9, s9, s15
	v_cndmask_b32_e32 v2, v7, v2, vcc
	v_ashrrev_i32_e32 v3, 31, v2
	v_lshl_add_u64 v[4:5], v[2:3], 2, s[8:9]
	v_or_b32_e32 v2, 16, v1
	v_add_u32_e32 v3, v2, v6
	v_ashrrev_i32_e32 v3, 4, v3
	v_cmp_gt_i32_e32 vcc, s33, v2
	s_load_dwordx2 s[14:15], s[0:1], 0x8
	s_nop 0
	v_cndmask_b32_e32 v2, v7, v3, vcc
	v_ashrrev_i32_e32 v3, 31, v2
	v_lshl_add_u64 v[8:9], v[2:3], 2, s[8:9]
	v_or_b32_e32 v2, 32, v1
	v_add_u32_e32 v3, v2, v6
	v_ashrrev_i32_e32 v3, 4, v3
	v_cmp_gt_i32_e32 vcc, s33, v2
	v_or_b32_e32 v1, 48, v1
	s_nop 0
	v_cndmask_b32_e32 v2, v7, v3, vcc
	v_ashrrev_i32_e32 v3, 31, v2
	v_lshl_add_u64 v[10:11], v[2:3], 2, s[8:9]
	v_add_u32_e32 v2, v1, v6
	v_ashrrev_i32_e32 v2, 4, v2
	v_cmp_gt_i32_e32 vcc, s33, v1
	s_nop 1
	v_cndmask_b32_e32 v2, v7, v2, vcc
	v_ashrrev_i32_e32 v3, 31, v2
	v_lshl_add_u64 v[12:13], v[2:3], 2, s[8:9]
	global_load_dword v3, v[4:5], off
	global_load_dword v2, v[8:9], off
	;; [unrolled: 1-line block ×4, first 2 shown]
	s_andn2_b64 vcc, exec, s[10:11]
	s_cbranch_vccnz .LBB27_8
; %bb.6:
	s_add_u32 s6, s6, s12
	s_addc_u32 s7, s7, s13
	s_load_dword s5, s[6:7], 0x0
	s_branch .LBB27_9
.LBB27_7:
	s_mov_b64 s[12:13], 0
	s_branch .LBB27_2
.LBB27_8:
	s_mov_b32 s5, s2
.LBB27_9:
	s_load_dwordx2 s[10:11], s[0:1], 0x10
	s_load_dwordx4 s[40:43], s[0:1], 0x48
	v_and_b32_e32 v56, 15, v0
	v_bfe_u32 v54, v0, 4, 2
	s_lshl_b32 s27, s4, 2
	v_lshlrev_b32_e32 v4, 3, v56
	v_cmp_gt_u32_e32 vcc, 64, v0
	v_cmp_gt_u32_e64 s[6:7], 8, v56
	v_lshrrev_b32_e32 v55, 6, v0
	v_or_b32_e32 v1, s27, v54
	v_and_b32_e32 v18, 3, v0
	s_and_b64 s[44:45], vcc, s[6:7]
	v_lshlrev_b32_e32 v42, 1, v4
	v_lshlrev_b32_e32 v52, 5, v54
	s_and_saveexec_b64 s[6:7], s[44:45]
	s_cbranch_execz .LBB27_11
; %bb.10:
	s_load_dwordx2 s[12:13], s[0:1], 0x0
	s_waitcnt lgkmcnt(0)
	s_ashr_i32 s18, s40, 31
	s_mul_hi_u32 s19, s5, s40
	s_mul_i32 s18, s5, s18
	s_add_i32 s19, s19, s18
	s_mul_i32 s18, s5, s40
	s_lshl_b64 s[18:19], s[18:19], 1
	s_add_u32 s12, s12, s18
	v_lshlrev_b32_e32 v4, 6, v1
	s_addc_u32 s13, s13, s19
	v_ashrrev_i32_e32 v5, 31, v4
	v_lshl_add_u64 v[4:5], v[4:5], 1, s[12:13]
	v_mov_b32_e32 v43, 0
	v_lshl_add_u64 v[4:5], v[4:5], 0, v[42:43]
	global_load_dwordx4 v[8:11], v[4:5], off
	v_lshlrev_b32_e32 v7, 9, v56
	v_lshl_or_b32 v4, v55, 7, v52
	v_lshlrev_b32_e32 v5, 9, v18
	v_and_b32_e32 v7, 0x1800, v7
	v_or3_b32 v4, v7, v5, v4
	s_waitcnt vmcnt(0)
	ds_write_b128 v4, v[8:11]
.LBB27_11:
	s_or_b64 exec, exec, s[6:7]
	s_waitcnt lgkmcnt(0)
	s_mul_i32 s4, s4, s42
	s_mov_b32 s5, 0
	s_lshl_b64 s[4:5], s[4:5], 1
	s_add_u32 s6, s14, s4
	v_lshlrev_b32_e32 v53, 4, v0
	s_addc_u32 s7, s15, s5
	v_and_b32_e32 v44, 0xf0, v53
	v_mov_b32_e32 v45, 0
	v_lshl_add_u64 v[16:17], s[6:7], 0, v[44:45]
	s_waitcnt vmcnt(3)
	v_mad_i64_i32 v[4:5], s[6:7], v3, s41, 0
	s_waitcnt vmcnt(2)
	v_mad_i64_i32 v[2:3], s[6:7], v2, s41, 0
	;; [unrolled: 2-line block ×3, first 2 shown]
	v_lshl_add_u64 v[4:5], v[4:5], 1, v[16:17]
	v_and_b32_e32 v44, 0x300, v53
	v_lshl_add_u64 v[2:3], v[2:3], 1, v[16:17]
	v_lshl_add_u64 v[6:7], v[6:7], 1, v[16:17]
	s_waitcnt vmcnt(0)
	v_mad_i64_i32 v[14:15], s[6:7], v14, s41, 0
	v_lshl_add_u64 v[4:5], v[4:5], 0, v[44:45]
	v_lshl_add_u64 v[8:9], v[2:3], 0, v[44:45]
	;; [unrolled: 1-line block ×4, first 2 shown]
	s_barrier
	global_load_dwordx4 v[30:33], v[4:5], off
	global_load_dwordx4 v[10:13], v[4:5], off offset:1024
	global_load_dwordx4 v[22:25], v[8:9], off
	s_nop 0
	global_load_dwordx4 v[2:5], v[8:9], off offset:1024
	global_load_dwordx4 v[26:29], v[20:21], off
	s_nop 0
	global_load_dwordx4 v[6:9], v[20:21], off offset:1024
	v_lshl_add_u64 v[20:21], v[14:15], 0, v[44:45]
	global_load_dwordx4 v[34:37], v[20:21], off
	global_load_dwordx4 v[14:17], v[20:21], off offset:1024
	v_lshlrev_b32_e32 v18, 5, v18
	v_lshl_or_b32 v18, v54, 9, v18
	ds_read_b128 v[38:41], v18
	ds_read_b128 v[18:21], v18 offset:2048
	v_and_b32_e32 v57, 63, v0
	v_cmp_gt_u32_e32 vcc, 4, v56
	v_mov_b32_e32 v58, 0
	s_and_saveexec_b64 s[6:7], vcc
	s_cbranch_execz .LBB27_13
; %bb.12:
	s_load_dwordx2 s[12:13], s[0:1], 0x40
	v_or_b32_e32 v46, s27, v56
	v_ashrrev_i32_e32 v47, 31, v46
	s_waitcnt lgkmcnt(0)
	v_lshl_add_u64 v[46:47], v[46:47], 2, s[12:13]
	global_load_dword v58, v[46:47], off
.LBB27_13:
	s_or_b64 exec, exec, s[6:7]
	v_and_or_b32 v44, v0, 48, s16
	v_ashrrev_i32_e32 v43, 4, v44
	v_mov_b32_e32 v59, s17
	v_cmp_gt_i32_e32 vcc, s33, v44
	s_waitcnt vmcnt(5) lgkmcnt(1)
	v_mfma_f32_16x16x16_f16 v[60:63], v[22:23], v[38:39], 0
	s_load_dword s6, s[0:1], 0x1c
	v_cndmask_b32_e32 v46, v59, v43, vcc
	v_ashrrev_i32_e32 v47, 31, v46
	v_or_b32_e32 v43, 64, v44
	v_lshl_add_u64 v[50:51], v[46:47], 2, s[8:9]
	v_mfma_f32_16x16x16_f16 v[46:49], v[30:31], v[38:39], 0
	v_ashrrev_i32_e32 v30, 4, v43
	v_cmp_gt_i32_e32 vcc, s33, v43
	global_load_dword v72, v[50:51], off
	s_waitcnt vmcnt(4)
	v_mfma_f32_16x16x16_f16 v[64:67], v[26:27], v[38:39], 0
	v_cndmask_b32_e32 v30, v59, v30, vcc
	v_ashrrev_i32_e32 v31, 31, v30
	v_lshl_add_u64 v[22:23], v[30:31], 2, s[8:9]
	global_load_dword v73, v[22:23], off
	v_mfma_f32_16x16x16_f16 v[22:25], v[24:25], v[40:41], v[60:63]
	v_and_b32_e32 v26, 0xc0, v0
	s_mov_b32 s40, 0xff7fffff
	s_add_u32 s4, s10, s4
	v_mfma_f32_16x16x16_f16 v[30:33], v[32:33], v[40:41], v[46:49]
	s_addc_u32 s5, s11, s5
	v_lshlrev_b32_e32 v43, 5, v56
	s_waitcnt vmcnt(3)
	v_mfma_f32_16x16x16_f16 v[68:71], v[34:35], v[38:39], 0
	v_or_b32_e32 v38, 0x80, v44
	v_add_u32_e32 v46, s16, v26
	v_or_b32_e32 v39, 0xc0, v44
	v_mfma_f32_16x16x16_f16 v[26:29], v[28:29], v[40:41], v[64:67]
	v_ashrrev_i32_e32 v47, 4, v38
	v_cmp_gt_i32_e32 vcc, s33, v38
	v_ashrrev_i32_e32 v48, 4, v39
	s_waitcnt lgkmcnt(0)
	v_mfma_f32_16x16x16_f16 v[22:25], v[2:3], v[18:19], v[22:25]
	v_cndmask_b32_e32 v38, v59, v47, vcc
	v_cmp_gt_i32_e32 vcc, s33, v39
	v_ashrrev_i32_e32 v39, 31, v38
	v_mfma_f32_16x16x16_f16 v[30:33], v[10:11], v[18:19], v[30:33]
	v_cndmask_b32_e32 v10, v59, v48, vcc
	v_ashrrev_i32_e32 v11, 31, v10
	v_lshl_or_b32 v60, v54, 2, v46
	v_mfma_f32_16x16x16_f16 v[26:29], v[6:7], v[18:19], v[26:29]
	v_lshl_add_u64 v[6:7], v[38:39], 2, s[8:9]
	v_lshl_add_u64 v[38:39], v[10:11], 2, s[8:9]
	v_or_b32_e32 v59, 1, v60
	v_mfma_f32_16x16x16_f16 v[2:5], v[4:5], v[20:21], v[22:25]
	s_nop 2
	global_load_dword v22, v[6:7], off
	global_load_dword v63, v[38:39], off
	v_subrev_u32_e32 v61, s33, v59
	v_cvt_f32_i32_e32 v62, v61
	v_mfma_f32_16x16x16_f16 v[34:37], v[36:37], v[40:41], v[68:71]
	v_pk_mul_f32 v[46:47], s[6:7], v[4:5] op_sel_hi:[0,1]
	v_cmp_gt_i32_e64 s[28:29], s33, v60
	v_cmp_gt_i32_e64 s[30:31], s33, v59
	s_waitcnt vmcnt(4)
	v_mfma_f32_16x16x16_f16 v[34:37], v[14:15], v[18:19], v[34:37]
	v_add_u32_e32 v14, 1, v61
	v_add_u32_e32 v15, 2, v61
	v_cvt_f32_i32_e32 v23, v14
	v_cvt_f32_i32_e32 v24, v15
	v_mfma_f32_16x16x16_f16 v[14:17], v[16:17], v[20:21], v[34:37]
	v_add_u32_e32 v18, 3, v61
	v_cvt_f32_i32_e32 v18, v18
	v_add_u32_e32 v19, 16, v61
	v_mfma_f32_16x16x16_f16 v[10:13], v[12:13], v[20:21], v[30:33]
	v_cvt_f32_i32_e32 v19, v19
	s_nop 1
	v_pk_mul_f32 v[36:37], s[6:7], v[14:15] op_sel_hi:[0,1]
	v_add_u32_e32 v15, 19, v61
	v_add_u32_e32 v31, 18, v61
	v_cvt_f32_i32_e32 v14, v31
	v_cvt_f32_i32_e32 v15, v15
	v_mfma_f32_16x16x16_f16 v[6:9], v[8:9], v[20:21], v[26:29]
	v_pk_mul_f32 v[34:35], s[6:7], v[16:17] op_sel_hi:[0,1]
	v_fma_f32 v46, v58, v14, v46
	v_add_u32_e32 v14, 32, v61
	v_fmac_f32_e32 v47, v58, v15
	v_cvt_f32_i32_e32 v14, v14
	v_add_u32_e32 v15, 33, v61
	v_add_u32_e32 v16, 34, v61
	v_cvt_f32_i32_e32 v15, v15
	v_cvt_f32_i32_e32 v16, v16
	v_add_u32_e32 v17, 35, v61
	v_cvt_f32_i32_e32 v17, v17
	v_pk_mul_f32 v[40:41], s[6:7], v[6:7] op_sel_hi:[0,1]
	v_pk_mul_f32 v[38:39], s[6:7], v[8:9] op_sel_hi:[0,1]
	v_fma_f32 v40, v58, v14, v40
	v_add_u32_e32 v14, 48, v61
	v_fmac_f32_e32 v41, v58, v15
	v_fma_f32 v38, v58, v16, v38
	v_cvt_f32_i32_e32 v14, v14
	v_add_u32_e32 v15, 49, v61
	v_add_u32_e32 v16, 50, v61
	v_fmac_f32_e32 v39, v58, v17
	v_cvt_f32_i32_e32 v15, v15
	v_cvt_f32_i32_e32 v16, v16
	v_add_u32_e32 v17, 51, v61
	v_cvt_f32_i32_e32 v17, v17
	v_pk_mul_f32 v[10:11], s[6:7], v[10:11] op_sel_hi:[0,1]
	v_fma_f32 v10, v58, v62, v10
	v_fmac_f32_e32 v11, v58, v23
	v_fma_f32 v36, v58, v14, v36
	v_mov_b32_e32 v14, 0xff7fffff
	v_add_u32_e32 v30, 17, v61
	v_fmac_f32_e32 v37, v58, v15
	v_fma_f32 v34, v58, v16, v34
	v_cndmask_b32_e64 v15, v14, v10, s[28:29]
	v_cndmask_b32_e64 v16, v14, v11, s[30:31]
	v_cvt_f32_i32_e32 v25, v30
	v_pk_mul_f32 v[50:51], s[6:7], v[12:13] op_sel_hi:[0,1]
	v_fmac_f32_e32 v35, v58, v17
	v_max3_f32 v15, v15, s40, v16
	v_or_b32_e32 v16, 2, v60
	v_or_b32_e32 v17, 3, v60
	v_fma_f32 v50, v58, v24, v50
	v_fmac_f32_e32 v51, v58, v18
	v_cmp_gt_i32_e64 s[34:35], s33, v16
	v_cmp_gt_i32_e64 s[36:37], s33, v17
	v_pk_mul_f32 v[48:49], s[6:7], v[2:3] op_sel_hi:[0,1]
	v_cndmask_b32_e64 v16, v14, v50, s[34:35]
	v_cndmask_b32_e64 v17, v14, v51, s[36:37]
	v_max3_f32 v15, v15, v16, v17
	v_or_b32_e32 v16, 16, v60
	v_or_b32_e32 v17, 17, v60
	v_fma_f32 v48, v58, v19, v48
	v_fmac_f32_e32 v49, v58, v25
	v_cmp_gt_i32_e64 s[22:23], s33, v16
	v_cmp_gt_i32_e64 s[24:25], s33, v17
	v_lshl_or_b32 v44, v55, 9, v43
	v_cndmask_b32_e64 v16, v14, v48, s[22:23]
	v_cndmask_b32_e64 v17, v14, v49, s[24:25]
	v_max3_f32 v15, v15, v16, v17
	v_or_b32_e32 v16, 18, v60
	v_or_b32_e32 v17, 19, v60
	v_cmp_gt_i32_e64 s[18:19], s33, v16
	v_cmp_gt_i32_e64 s[20:21], s33, v17
	v_lshl_add_u64 v[44:45], s[4:5], 0, v[44:45]
	v_cndmask_b32_e64 v16, v14, v46, s[18:19]
	v_cndmask_b32_e64 v17, v14, v47, s[20:21]
	v_max3_f32 v15, v15, v16, v17
	v_or_b32_e32 v16, 32, v60
	v_or_b32_e32 v17, 33, v60
	v_cmp_gt_i32_e64 s[14:15], s33, v16
	v_cmp_gt_i32_e64 s[16:17], s33, v17
	s_waitcnt vmcnt(3)
	v_mad_i64_i32 v[2:3], s[4:5], v72, s41, 0
	v_cndmask_b32_e64 v16, v14, v40, s[14:15]
	v_cndmask_b32_e64 v17, v14, v41, s[16:17]
	v_max3_f32 v15, v15, v16, v17
	v_or_b32_e32 v16, 34, v60
	v_or_b32_e32 v17, 35, v60
	v_cmp_gt_i32_e64 s[10:11], s33, v16
	v_cmp_gt_i32_e64 s[12:13], s33, v17
	s_waitcnt vmcnt(2)
	v_mad_i64_i32 v[12:13], s[4:5], v73, s41, 0
	v_cndmask_b32_e64 v16, v14, v38, s[10:11]
	v_cndmask_b32_e64 v17, v14, v39, s[12:13]
	v_max3_f32 v15, v15, v16, v17
	v_or_b32_e32 v16, 48, v60
	v_or_b32_e32 v17, 49, v60
	v_cmp_gt_i32_e64 s[6:7], s33, v16
	v_cmp_gt_i32_e64 s[8:9], s33, v17
	v_lshl_add_u64 v[2:3], v[2:3], 1, v[44:45]
	v_cndmask_b32_e64 v16, v14, v36, s[6:7]
	v_cndmask_b32_e64 v17, v14, v37, s[8:9]
	v_max3_f32 v15, v15, v16, v17
	v_or_b32_e32 v16, 50, v60
	v_or_b32_e32 v17, 51, v60
	v_cmp_gt_i32_e32 vcc, s33, v16
	v_cmp_gt_i32_e64 s[4:5], s33, v17
	v_lshl_add_u64 v[12:13], v[12:13], 1, v[44:45]
	v_cndmask_b32_e32 v16, v14, v34, vcc
	v_cndmask_b32_e64 v14, v14, v35, s[4:5]
	v_max3_f32 v14, v15, v16, v14
	v_mbcnt_lo_u32_b32 v15, -1, 0
	v_mbcnt_hi_u32_b32 v15, -1, v15
	v_and_b32_e32 v16, 64, v15
	v_add_u32_e32 v16, 64, v16
	v_xor_b32_e32 v17, 32, v15
	v_cmp_lt_i32_e64 s[38:39], v17, v16
	global_load_dwordx4 v[6:9], v[2:3], off
	s_nop 0
	global_load_dwordx4 v[2:5], v[2:3], off offset:16
	v_cndmask_b32_e64 v17, v15, v17, s[38:39]
	v_lshlrev_b32_e32 v59, 2, v17
	ds_bpermute_b32 v17, v59, v14
	global_load_dwordx4 v[30:33], v[12:13], off
	global_load_dwordx4 v[26:29], v[12:13], off offset:16
	s_waitcnt vmcnt(5)
	v_mad_i64_i32 v[12:13], s[38:39], v22, s41, 0
	v_lshl_add_u64 v[12:13], v[12:13], 1, v[44:45]
	s_waitcnt lgkmcnt(0)
	v_max_f32_e32 v17, v17, v17
	v_max_f32_e32 v14, v14, v17
	v_xor_b32_e32 v17, 16, v15
	v_cmp_lt_i32_e64 s[38:39], v17, v16
	global_load_dwordx4 v[22:25], v[12:13], off
	global_load_dwordx4 v[18:21], v[12:13], off offset:16
	v_cndmask_b32_e64 v15, v15, v17, s[38:39]
	v_lshlrev_b32_e32 v60, 2, v15
	ds_bpermute_b32 v15, v60, v14
	s_waitcnt vmcnt(6)
	v_mad_i64_i32 v[12:13], s[38:39], v63, s41, 0
	v_lshl_add_u64 v[12:13], v[12:13], 1, v[44:45]
	s_waitcnt lgkmcnt(0)
	v_max_f32_e32 v15, v15, v15
	v_max_f32_e32 v58, v14, v15
	v_sub_f32_e32 v10, v10, v58
	v_mul_f32_e32 v10, 0x3fb8aa3b, v10
	v_exp_f32_e32 v44, v10
	v_sub_f32_e32 v10, v11, v58
	v_mul_f32_e32 v10, 0x3fb8aa3b, v10
	v_exp_f32_e32 v45, v10
	global_load_dwordx4 v[14:17], v[12:13], off
	s_nop 0
	global_load_dwordx4 v[10:13], v[12:13], off offset:16
	v_sub_f32_e32 v50, v50, v58
	v_mul_f32_e32 v50, 0x3fb8aa3b, v50
	v_sub_f32_e32 v51, v51, v58
	v_exp_f32_e32 v50, v50
	v_mul_f32_e32 v51, 0x3fb8aa3b, v51
	v_sub_f32_e32 v48, v48, v58
	v_exp_f32_e32 v51, v51
	v_mul_f32_e32 v48, 0x3fb8aa3b, v48
	v_sub_f32_e32 v49, v49, v58
	v_cndmask_b32_e64 v44, 0, v44, s[28:29]
	v_exp_f32_e32 v48, v48
	v_mul_f32_e32 v49, 0x3fb8aa3b, v49
	v_sub_f32_e32 v46, v46, v58
	v_add_f32_e32 v61, 0, v44
	v_cndmask_b32_e64 v45, 0, v45, s[30:31]
	v_exp_f32_e32 v49, v49
	v_mul_f32_e32 v46, 0x3fb8aa3b, v46
	v_sub_f32_e32 v47, v47, v58
	v_add_f32_e32 v61, v61, v45
	;; [unrolled: 5-line block ×10, first 2 shown]
	v_cndmask_b32_e64 v38, 0, v38, s[10:11]
	v_exp_f32_e32 v34, v34
	v_mul_f32_e32 v35, 0x3fb8aa3b, v35
	v_add_f32_e32 v61, v61, v38
	v_cndmask_b32_e64 v39, 0, v39, s[12:13]
	v_exp_f32_e32 v35, v35
	v_add_f32_e32 v61, v61, v39
	v_cndmask_b32_e64 v36, 0, v36, s[6:7]
	v_add_f32_e32 v61, v61, v36
	v_cndmask_b32_e64 v37, 0, v37, s[8:9]
	v_add_f32_e32 v61, v61, v37
	v_cndmask_b32_e32 v34, 0, v34, vcc
	v_add_f32_e32 v61, v61, v34
	v_cndmask_b32_e64 v35, 0, v35, s[4:5]
	v_add_f32_e32 v61, v61, v35
	ds_bpermute_b32 v59, v59, v61
	s_load_dword s7, s[0:1], 0x98
	v_cmp_gt_u32_e32 vcc, 16, v57
	v_lshlrev_b32_e32 v57, 2, v56
	s_waitcnt lgkmcnt(0)
	v_add_f32_e32 v59, v61, v59
	ds_bpermute_b32 v60, v60, v59
	s_barrier
	s_waitcnt lgkmcnt(0)
	s_and_saveexec_b64 s[4:5], vcc
	s_cbranch_execz .LBB27_15
; %bb.14:
	v_add_f32_e32 v56, v59, v60
	v_lshl_or_b32 v59, v55, 6, v57
	ds_write2st64_b32 v59, v58, v56 offset1:1
.LBB27_15:
	s_or_b64 exec, exec, s[4:5]
	s_load_dword s6, s[0:1], 0x94
	s_waitcnt lgkmcnt(0)
	s_barrier
	ds_read2_b32 v[58:59], v57 offset1:16
	ds_read2_b32 v[60:61], v57 offset0:32 offset1:48
	ds_read2_b32 v[62:63], v57 offset0:64 offset1:80
	s_lshl_b32 s7, s7, 2
	s_waitcnt lgkmcnt(2)
	v_max3_f32 v56, v58, s40, v59
	s_waitcnt lgkmcnt(1)
	v_max3_f32 v56, v56, v60, v61
	v_sub_f32_e32 v58, v58, v56
	v_mul_f32_e32 v58, 0x3fb8aa3b, v58
	v_exp_f32_e32 v64, v58
	v_sub_f32_e32 v58, v59, v56
	v_mul_f32_e32 v58, 0x3fb8aa3b, v58
	v_exp_f32_e32 v65, v58
	;; [unrolled: 3-line block ×3, first 2 shown]
	ds_read2_b32 v[58:59], v57 offset0:96 offset1:112
	v_sub_f32_e32 v57, v61, v56
	v_mul_f32_e32 v57, 0x3fb8aa3b, v57
	v_exp_f32_e32 v61, v57
	s_waitcnt lgkmcnt(1)
	v_fma_f32 v57, v64, v62, 0
	v_fmac_f32_e32 v57, v65, v63
	s_waitcnt lgkmcnt(0)
	v_fmac_f32_e32 v57, v60, v58
	v_fmac_f32_e32 v57, v61, v59
	v_add_f32_e32 v58, 0x358637bd, v57
	v_div_scale_f32 v59, s[4:5], v58, v58, 1.0
	v_rcp_f32_e32 v62, v59
	s_barrier
	v_fma_f32 v63, -v59, v62, 1.0
	v_fmac_f32_e32 v62, v63, v62
	v_div_scale_f32 v63, vcc, 1.0, v58, 1.0
	v_mul_f32_e32 v66, v63, v62
	v_fma_f32 v67, -v59, v66, v63
	v_fmac_f32_e32 v66, v67, v62
	v_fma_f32 v59, -v59, v66, v63
	v_div_fmas_f32 v59, v59, v62, v66
	v_cmp_eq_u32_e32 vcc, 1, v55
	v_div_fixup_f32 v58, v59, v58, 1.0
	s_nop 0
	v_cndmask_b32_e32 v59, v64, v65, vcc
	v_cmp_eq_u32_e32 vcc, 2, v55
	s_nop 1
	v_cndmask_b32_e32 v59, v59, v60, vcc
	v_cmp_eq_u32_e32 vcc, 3, v55
	s_nop 1
	v_cndmask_b32_e32 v59, v59, v61, vcc
	v_mul_f32_e32 v58, v59, v58
	v_pk_mul_f32 v[50:51], v[58:59], v[50:51] op_sel_hi:[0,1]
	v_pk_mul_f32 v[44:45], v[58:59], v[44:45] op_sel_hi:[0,1]
	v_cvt_f16_f32_e32 v59, v50
	v_cvt_f16_f32_e32 v51, v51
	;; [unrolled: 1-line block ×4, first 2 shown]
	v_cmp_gt_u32_e32 vcc, 4, v0
	v_pack_b32_f16 v51, v59, v51
	v_lshlrev_b32_e32 v59, 3, v54
	v_pack_b32_f16 v50, v44, v45
	v_pk_mul_f32 v[44:45], v[58:59], v[46:47] op_sel_hi:[0,1]
	v_pk_mul_f32 v[46:47], v[58:59], v[48:49] op_sel_hi:[0,1]
	v_cvt_f16_f32_e32 v46, v46
	v_cvt_f16_f32_e32 v47, v47
	;; [unrolled: 1-line block ×4, first 2 shown]
	v_lshlrev_b32_e32 v44, 11, v55
	v_or3_b32 v44, v44, v43, v59
	v_pack_b32_f16 v46, v46, v47
	v_pack_b32_f16 v47, v48, v45
	v_pk_mul_f32 v[38:39], v[58:59], v[38:39] op_sel_hi:[0,1]
	v_pk_mul_f32 v[40:41], v[58:59], v[40:41] op_sel_hi:[0,1]
	v_pk_mul_f32 v[34:35], v[58:59], v[34:35] op_sel_hi:[0,1]
	v_pk_mul_f32 v[36:37], v[58:59], v[36:37] op_sel_hi:[0,1]
	ds_write2st64_b64 v44, v[50:51], v[46:47] offset1:1
	v_cvt_f16_f32_e32 v40, v40
	v_cvt_f16_f32_e32 v41, v41
	;; [unrolled: 1-line block ×8, first 2 shown]
	v_pack_b32_f16 v34, v40, v41
	v_pack_b32_f16 v35, v38, v39
	;; [unrolled: 1-line block ×4, first 2 shown]
	ds_write2st64_b64 v44, v[34:35], v[36:37] offset0:2 offset1:3
	s_and_saveexec_b64 s[4:5], vcc
	s_cbranch_execz .LBB27_17
; %bb.16:
	v_or_b32_e32 v34, s27, v0
	v_mov_b32_e32 v35, 0
	v_mov_b32_e32 v36, s7
	v_mad_u64_u32 v[36:37], s[12:13], s2, v36, v[34:35]
	v_mov_b32_e32 v34, s26
	s_load_dwordx4 s[8:11], s[0:1], 0x58
	s_mul_i32 s3, s3, s7
	v_mad_u64_u32 v[34:35], s[12:13], v36, s6, v[34:35]
	v_add_u32_e32 v37, s3, v37
	v_mov_b32_e32 v36, v35
	v_mad_u64_u32 v[36:37], s[12:13], v37, s6, v[36:37]
	v_mov_b32_e32 v35, v36
	v_lshlrev_b64 v[34:35], 2, v[34:35]
	s_waitcnt lgkmcnt(0)
	v_lshl_add_u64 v[36:37], s[10:11], 0, v[34:35]
	v_lshl_add_u64 v[34:35], s[8:9], 0, v[34:35]
	global_store_dword v[36:37], v56, off
	global_store_dword v[34:35], v57, off
.LBB27_17:
	s_or_b64 exec, exec, s[4:5]
	v_lshl_or_b32 v43, v54, 9, v43
	s_waitcnt lgkmcnt(0)
	s_barrier
	ds_read_b128 v[34:37], v43
	ds_read_b128 v[38:41], v43 offset:16
	s_waitcnt vmcnt(7) lgkmcnt(1)
	v_mfma_f32_16x16x16_f16 v[46:49], v[6:7], v[34:35], 0
	s_mov_b32 s3, 0
	v_mfma_f32_16x16x16_f16 v[6:9], v[8:9], v[36:37], v[46:49]
	s_waitcnt vmcnt(6) lgkmcnt(0)
	v_mfma_f32_16x16x16_f16 v[6:9], v[2:3], v[38:39], v[6:9]
	v_mfma_f32_16x16x16_f16 v[2:5], v[4:5], v[40:41], v[6:9]
	s_nop 5
	ds_read_b128 v[6:9], v43 offset:2048
	ds_read_b128 v[34:37], v43 offset:2064
	s_waitcnt vmcnt(5) lgkmcnt(1)
	v_mfma_f32_16x16x16_f16 v[2:5], v[30:31], v[6:7], v[2:5]
	v_mfma_f32_16x16x16_f16 v[2:5], v[32:33], v[8:9], v[2:5]
	s_waitcnt vmcnt(4) lgkmcnt(0)
	v_mfma_f32_16x16x16_f16 v[2:5], v[26:27], v[34:35], v[2:5]
	v_mfma_f32_16x16x16_f16 v[2:5], v[28:29], v[36:37], v[2:5]
	ds_read_b128 v[6:9], v43 offset:4096
	ds_read_b128 v[26:29], v43 offset:4112
	s_waitcnt vmcnt(3) lgkmcnt(1)
	v_mfma_f32_16x16x16_f16 v[2:5], v[22:23], v[6:7], v[2:5]
	v_mfma_f32_16x16x16_f16 v[2:5], v[24:25], v[8:9], v[2:5]
	s_waitcnt vmcnt(2) lgkmcnt(0)
	v_mfma_f32_16x16x16_f16 v[2:5], v[18:19], v[26:27], v[2:5]
	v_mfma_f32_16x16x16_f16 v[2:5], v[20:21], v[28:29], v[2:5]
	ds_read_b128 v[6:9], v43 offset:6144
	ds_read_b128 v[18:21], v43 offset:6160
	v_mov_b32_e32 v43, 0
	s_waitcnt vmcnt(1) lgkmcnt(0)
	v_mfma_f32_16x16x16_f16 v[2:5], v[14:15], v[6:7], v[2:5]
	s_barrier
	v_mfma_f32_16x16x16_f16 v[2:5], v[16:17], v[8:9], v[2:5]
	s_waitcnt vmcnt(0)
	v_mfma_f32_16x16x16_f16 v[2:5], v[10:11], v[18:19], v[2:5]
	v_mfma_f32_16x16x16_f16 v[2:5], v[12:13], v[20:21], v[2:5]
	s_nop 6
	v_cvt_f16_f32_e32 v2, v2
	v_cvt_f16_f32_e32 v3, v3
	;; [unrolled: 1-line block ×4, first 2 shown]
	v_pack_b32_f16 v2, v2, v3
	v_pack_b32_f16 v3, v4, v5
	ds_write_b64 v44, v[2:3]
	s_waitcnt lgkmcnt(0)
	s_barrier
	s_and_saveexec_b64 s[4:5], s[44:45]
	s_cbranch_execz .LBB27_19
; %bb.18:
	s_load_dwordx2 s[0:1], s[0:1], 0x68
	s_lshl_b32 s6, s6, 6
	s_mul_i32 s2, s7, s2
	s_mul_hi_u32 s5, s2, s6
	s_mul_i32 s4, s2, s6
	v_lshlrev_b32_e32 v0, 10, v0
	s_lshl_b64 s[4:5], s[4:5], 1
	v_and_b32_e32 v0, 0x1800, v0
	v_and_b32_e32 v2, 16, v53
	s_waitcnt lgkmcnt(0)
	s_add_u32 s4, s0, s4
	v_or3_b32 v0, v0, v52, v2
	s_addc_u32 s5, s1, s5
	s_lshl_b32 s2, s26, 6
	ds_read_b128 v[2:5], v0
	s_lshl_b64 s[0:1], s[2:3], 1
	s_add_u32 s0, s4, s0
	s_addc_u32 s1, s5, s1
	v_mad_u64_u32 v[0:1], s[2:3], s6, v1, 0
	v_lshl_add_u64 v[0:1], v[0:1], 1, s[0:1]
	v_lshl_add_u64 v[0:1], v[0:1], 0, v[42:43]
	s_waitcnt lgkmcnt(0)
	global_store_dwordx4 v[0:1], v[2:5], off
.LBB27_19:
	s_endpgm
	.section	.rodata,"a",@progbits
	.p2align	6, 0x0
	.amdhsa_kernel _Z39paged_attention_ll4mi_QKV_mfma16_kernelIDF16_DF16_LN4vllm18Fp8KVCacheDataTypeE0EhLi16ELi64ELi256ELb1ELi4EEvPKT_PKT0_S7_ifPKiS9_S9_iPKfiiiPfSC_PS2_PT2_iSB_SB_
		.amdhsa_group_segment_fixed_size 8192
		.amdhsa_private_segment_fixed_size 0
		.amdhsa_kernarg_size 400
		.amdhsa_user_sgpr_count 2
		.amdhsa_user_sgpr_dispatch_ptr 0
		.amdhsa_user_sgpr_queue_ptr 0
		.amdhsa_user_sgpr_kernarg_segment_ptr 1
		.amdhsa_user_sgpr_dispatch_id 0
		.amdhsa_user_sgpr_kernarg_preload_length 0
		.amdhsa_user_sgpr_kernarg_preload_offset 0
		.amdhsa_user_sgpr_private_segment_size 0
		.amdhsa_uses_dynamic_stack 0
		.amdhsa_enable_private_segment 0
		.amdhsa_system_sgpr_workgroup_id_x 1
		.amdhsa_system_sgpr_workgroup_id_y 1
		.amdhsa_system_sgpr_workgroup_id_z 1
		.amdhsa_system_sgpr_workgroup_info 0
		.amdhsa_system_vgpr_workitem_id 0
		.amdhsa_next_free_vgpr 74
		.amdhsa_next_free_sgpr 46
		.amdhsa_accum_offset 76
		.amdhsa_reserve_vcc 1
		.amdhsa_float_round_mode_32 0
		.amdhsa_float_round_mode_16_64 0
		.amdhsa_float_denorm_mode_32 3
		.amdhsa_float_denorm_mode_16_64 3
		.amdhsa_dx10_clamp 1
		.amdhsa_ieee_mode 1
		.amdhsa_fp16_overflow 0
		.amdhsa_tg_split 0
		.amdhsa_exception_fp_ieee_invalid_op 0
		.amdhsa_exception_fp_denorm_src 0
		.amdhsa_exception_fp_ieee_div_zero 0
		.amdhsa_exception_fp_ieee_overflow 0
		.amdhsa_exception_fp_ieee_underflow 0
		.amdhsa_exception_fp_ieee_inexact 0
		.amdhsa_exception_int_div_zero 0
	.end_amdhsa_kernel
	.section	.text._Z39paged_attention_ll4mi_QKV_mfma16_kernelIDF16_DF16_LN4vllm18Fp8KVCacheDataTypeE0EhLi16ELi64ELi256ELb1ELi4EEvPKT_PKT0_S7_ifPKiS9_S9_iPKfiiiPfSC_PS2_PT2_iSB_SB_,"axG",@progbits,_Z39paged_attention_ll4mi_QKV_mfma16_kernelIDF16_DF16_LN4vllm18Fp8KVCacheDataTypeE0EhLi16ELi64ELi256ELb1ELi4EEvPKT_PKT0_S7_ifPKiS9_S9_iPKfiiiPfSC_PS2_PT2_iSB_SB_,comdat
.Lfunc_end27:
	.size	_Z39paged_attention_ll4mi_QKV_mfma16_kernelIDF16_DF16_LN4vllm18Fp8KVCacheDataTypeE0EhLi16ELi64ELi256ELb1ELi4EEvPKT_PKT0_S7_ifPKiS9_S9_iPKfiiiPfSC_PS2_PT2_iSB_SB_, .Lfunc_end27-_Z39paged_attention_ll4mi_QKV_mfma16_kernelIDF16_DF16_LN4vllm18Fp8KVCacheDataTypeE0EhLi16ELi64ELi256ELb1ELi4EEvPKT_PKT0_S7_ifPKiS9_S9_iPKfiiiPfSC_PS2_PT2_iSB_SB_
                                        ; -- End function
	.section	.AMDGPU.csdata,"",@progbits
; Kernel info:
; codeLenInByte = 3940
; NumSgprs: 52
; NumVgprs: 74
; NumAgprs: 0
; TotalNumVgprs: 74
; ScratchSize: 0
; MemoryBound: 0
; FloatMode: 240
; IeeeMode: 1
; LDSByteSize: 8192 bytes/workgroup (compile time only)
; SGPRBlocks: 6
; VGPRBlocks: 9
; NumSGPRsForWavesPerEU: 52
; NumVGPRsForWavesPerEU: 74
; AccumOffset: 76
; Occupancy: 6
; WaveLimiterHint : 1
; COMPUTE_PGM_RSRC2:SCRATCH_EN: 0
; COMPUTE_PGM_RSRC2:USER_SGPR: 2
; COMPUTE_PGM_RSRC2:TRAP_HANDLER: 0
; COMPUTE_PGM_RSRC2:TGID_X_EN: 1
; COMPUTE_PGM_RSRC2:TGID_Y_EN: 1
; COMPUTE_PGM_RSRC2:TGID_Z_EN: 1
; COMPUTE_PGM_RSRC2:TIDIG_COMP_CNT: 0
; COMPUTE_PGM_RSRC3_GFX90A:ACCUM_OFFSET: 18
; COMPUTE_PGM_RSRC3_GFX90A:TG_SPLIT: 0
	.section	.text._Z35paged_attention_ll4mi_reduce_kernelIDF16_hLi64ELi64ELi256ELi9EEvPT0_PKfS3_PKT_PKiS8_iS3_,"axG",@progbits,_Z35paged_attention_ll4mi_reduce_kernelIDF16_hLi64ELi64ELi256ELi9EEvPT0_PKfS3_PKT_PKiS8_iS3_,comdat
	.protected	_Z35paged_attention_ll4mi_reduce_kernelIDF16_hLi64ELi64ELi256ELi9EEvPT0_PKfS3_PKT_PKiS8_iS3_ ; -- Begin function _Z35paged_attention_ll4mi_reduce_kernelIDF16_hLi64ELi64ELi256ELi9EEvPT0_PKfS3_PKT_PKiS8_iS3_
	.globl	_Z35paged_attention_ll4mi_reduce_kernelIDF16_hLi64ELi64ELi256ELi9EEvPT0_PKfS3_PKT_PKiS8_iS3_
	.p2align	8
	.type	_Z35paged_attention_ll4mi_reduce_kernelIDF16_hLi64ELi64ELi256ELi9EEvPT0_PKfS3_PKT_PKiS8_iS3_,@function
_Z35paged_attention_ll4mi_reduce_kernelIDF16_hLi64ELi64ELi256ELi9EEvPT0_PKfS3_PKT_PKiS8_iS3_: ; @_Z35paged_attention_ll4mi_reduce_kernelIDF16_hLi64ELi64ELi256ELi9EEvPT0_PKfS3_PKT_PKiS8_iS3_
; %bb.0:
	s_load_dwordx2 s[34:35], s[0:1], 0x28
	s_mov_b32 s22, s3
	s_mov_b64 s[4:5], 0
	s_waitcnt lgkmcnt(0)
	s_cmp_lg_u64 s[34:35], 0
	s_cselect_b64 s[36:37], -1, 0
	s_and_b64 vcc, exec, s[36:37]
	s_cbranch_vccz .LBB28_23
; %bb.1:
	s_add_i32 s6, s22, 1
	s_mov_b32 s7, 0
	s_lshl_b64 s[8:9], s[6:7], 2
	s_add_u32 s8, s34, s8
	s_mov_b32 s23, s7
	s_addc_u32 s9, s35, s9
	s_lshl_b64 s[6:7], s[22:23], 2
	s_add_u32 s6, s34, s6
	s_addc_u32 s7, s35, s7
	s_load_dword s3, s[8:9], 0x0
	s_load_dword s10, s[6:7], 0x0
	s_waitcnt lgkmcnt(0)
	s_sub_i32 s3, s3, s10
	s_cmp_eq_u32 s3, 1
	s_cselect_b64 s[6:7], -1, 0
	s_andn2_b64 vcc, exec, s[4:5]
	s_cbranch_vccnz .LBB28_3
.LBB28_2:
	s_mov_b32 s23, 0
	s_mov_b64 s[6:7], -1
.LBB28_3:
	s_andn2_b64 vcc, exec, s[6:7]
	s_cbranch_vccz .LBB28_5
; %bb.4:
	s_endpgm
.LBB28_5:
	s_load_dwordx4 s[24:27], s[0:1], 0x18
	s_load_dword s8, s[0:1], 0x30
	s_lshl_b64 s[38:39], s[22:23], 2
	v_cmp_lt_u32_e32 vcc, 63, v0
	s_waitcnt lgkmcnt(0)
	s_add_u32 s4, s26, s38
	s_addc_u32 s5, s27, s39
	s_load_dword s46, s[4:5], 0x0
	s_load_dword s3, s[0:1], 0x40
	s_mul_i32 s26, s2, s8
	s_mul_i32 s6, s22, s8
	s_waitcnt lgkmcnt(0)
	s_add_i32 s7, s46, 0xff
	s_ashr_i32 s4, s7, 31
	s_lshr_b32 s4, s4, 24
	s_add_i32 s7, s7, s4
	s_and_saveexec_b64 s[4:5], vcc
	s_xor_b64 s[4:5], exec, s[4:5]
	s_or_saveexec_b64 s[40:41], s[4:5]
	s_ashr_i32 s33, s7, 8
	v_mov_b32_e32 v1, s26
	s_mul_i32 s42, s6, s3
	s_xor_b64 exec, exec, s[40:41]
	s_cbranch_execz .LBB28_9
; %bb.6:
	s_add_i32 s4, s33, -1
	v_or_b32_e32 v3, 64, v0
	v_mov_b32_e32 v1, s4
	v_cmp_gt_u32_e64 s[16:17], s33, v3
	s_load_dwordx4 s[28:31], s[0:1], 0x8
	s_mov_b32 s43, 0
	v_cndmask_b32_e64 v4, v1, v3, s[16:17]
	v_or_b32_e32 v3, 0x80, v0
	v_cmp_gt_u32_e64 s[14:15], s33, v3
	s_lshl_b64 s[44:45], s[42:43], 2
	s_mov_b32 s27, s43
	v_cndmask_b32_e64 v6, v1, v3, s[14:15]
	v_or_b32_e32 v3, 0xc0, v0
	v_cmp_gt_u32_e64 s[12:13], s33, v3
	v_cmp_gt_u32_e64 s[18:19], s33, v0
	s_waitcnt lgkmcnt(0)
	s_add_u32 s20, s30, s44
	v_cndmask_b32_e64 v8, v1, v3, s[12:13]
	v_or_b32_e32 v3, 0x100, v0
	v_cmp_gt_u32_e64 s[10:11], s33, v3
	v_cndmask_b32_e64 v2, v1, v0, s[18:19]
	s_addc_u32 s21, s31, s45
	v_cndmask_b32_e64 v10, v1, v3, s[10:11]
	v_or_b32_e32 v3, 0x140, v0
	v_cmp_gt_u32_e64 s[8:9], s33, v3
	s_lshl_b64 s[30:31], s[26:27], 2
	s_add_u32 s20, s20, s30
	v_cndmask_b32_e64 v12, v1, v3, s[8:9]
	v_or_b32_e32 v3, 0x180, v0
	v_cmp_gt_u32_e64 s[6:7], s33, v3
	s_addc_u32 s21, s21, s31
	v_ashrrev_i32_e32 v5, 31, v4
	v_cndmask_b32_e64 v14, v1, v3, s[6:7]
	v_or_b32_e32 v3, 0x1c0, v0
	v_cmp_gt_u32_e64 s[4:5], s33, v3
	v_ashrrev_i32_e32 v7, 31, v6
	v_ashrrev_i32_e32 v9, 31, v8
	v_cndmask_b32_e64 v16, v1, v3, s[4:5]
	v_or_b32_e32 v3, 0x200, v0
	v_cmp_gt_u32_e32 vcc, s33, v3
	v_ashrrev_i32_e32 v11, 31, v10
	v_ashrrev_i32_e32 v13, 31, v12
	v_cndmask_b32_e32 v18, v1, v3, vcc
	v_ashrrev_i32_e32 v3, 31, v2
	v_lshlrev_b64 v[2:3], 2, v[2:3]
	v_ashrrev_i32_e32 v15, 31, v14
	v_ashrrev_i32_e32 v17, 31, v16
	;; [unrolled: 1-line block ×3, first 2 shown]
	v_lshl_add_u64 v[20:21], s[20:21], 0, v[2:3]
	v_lshlrev_b64 v[4:5], 2, v[4:5]
	v_lshlrev_b64 v[6:7], 2, v[6:7]
	;; [unrolled: 1-line block ×8, first 2 shown]
	v_lshl_add_u64 v[22:23], s[20:21], 0, v[4:5]
	v_lshl_add_u64 v[24:25], s[20:21], 0, v[6:7]
	;; [unrolled: 1-line block ×7, first 2 shown]
	global_load_dword v1, v[20:21], off
	global_load_dword v36, v[22:23], off
	;; [unrolled: 1-line block ×8, first 2 shown]
	v_lshl_add_u64 v[20:21], s[20:21], 0, v[18:19]
	global_load_dword v20, v[20:21], off
	v_mbcnt_lo_u32_b32 v21, -1, 0
	v_mbcnt_hi_u32_b32 v21, -1, v21
	v_and_b32_e32 v22, 64, v21
	v_xor_b32_e32 v23, 32, v21
	v_add_u32_e32 v22, 64, v22
	v_cmp_lt_i32_e64 s[20:21], v23, v22
	v_xor_b32_e32 v24, 16, v21
	v_xor_b32_e32 v25, 8, v21
	v_cndmask_b32_e64 v23, v21, v23, s[20:21]
	s_add_u32 s20, s28, s44
	s_addc_u32 s21, s29, s45
	s_add_u32 s28, s20, s30
	s_addc_u32 s29, s21, s31
	v_lshl_add_u64 v[2:3], s[28:29], 0, v[2:3]
	global_load_dword v27, v[2:3], off
	v_lshlrev_b32_e32 v23, 2, v23
	v_cmp_lt_i32_e64 s[20:21], v24, v22
	v_xor_b32_e32 v26, 4, v21
	v_xor_b32_e32 v28, 2, v21
	v_cndmask_b32_e64 v24, v21, v24, s[20:21]
	v_lshlrev_b32_e32 v24, 2, v24
	v_cmp_lt_i32_e64 s[20:21], v25, v22
	s_mov_b32 s27, 0x3fb8aa3b
	s_waitcnt vmcnt(7)
	v_max3_f32 v2, v1, v36, v37
	s_waitcnt vmcnt(5)
	v_max3_f32 v2, v2, v38, v39
	;; [unrolled: 2-line block ×4, first 2 shown]
	ds_bpermute_b32 v3, v23, v2
	s_waitcnt lgkmcnt(0)
	v_max_f32_e32 v3, v3, v3
	v_max_f32_e32 v29, v2, v3
	ds_bpermute_b32 v30, v24, v29
	v_cndmask_b32_e64 v2, v21, v25, s[20:21]
	v_lshlrev_b32_e32 v25, 2, v2
	v_lshl_add_u64 v[2:3], s[28:29], 0, v[4:5]
	v_cmp_lt_i32_e64 s[20:21], v26, v22
	s_waitcnt lgkmcnt(0)
	v_max_f32_e32 v4, v30, v30
	v_max_f32_e32 v4, v29, v4
	ds_bpermute_b32 v5, v25, v4
	global_load_dword v29, v[2:3], off
	v_cndmask_b32_e64 v2, v21, v26, s[20:21]
	v_lshlrev_b32_e32 v26, 2, v2
	v_cmp_lt_i32_e64 s[20:21], v28, v22
	s_waitcnt lgkmcnt(0)
	v_max_f32_e32 v2, v5, v5
	v_max_f32_e32 v2, v4, v2
	ds_bpermute_b32 v3, v26, v2
	v_cndmask_b32_e64 v5, v21, v28, s[20:21]
	v_lshlrev_b32_e32 v28, 2, v5
	v_xor_b32_e32 v4, 1, v21
	v_cmp_lt_i32_e64 s[20:21], v4, v22
	s_waitcnt lgkmcnt(0)
	v_max_f32_e32 v3, v3, v3
	v_max_f32_e32 v5, v2, v3
	ds_bpermute_b32 v30, v28, v5
	v_lshl_add_u64 v[2:3], s[28:29], 0, v[6:7]
	global_load_dword v31, v[2:3], off
	v_cndmask_b32_e64 v2, v21, v4, s[20:21]
	v_lshlrev_b32_e32 v22, 2, v2
	s_waitcnt lgkmcnt(0)
	v_max_f32_e32 v3, v30, v30
	v_max_f32_e32 v21, v5, v3
	v_lshl_add_u64 v[2:3], s[28:29], 0, v[8:9]
	v_lshl_add_u64 v[8:9], s[28:29], 0, v[14:15]
	global_load_dword v14, v[2:3], off
	ds_bpermute_b32 v30, v22, v21
	v_lshl_add_u64 v[6:7], s[28:29], 0, v[12:13]
	v_lshl_add_u64 v[4:5], s[28:29], 0, v[10:11]
	;; [unrolled: 1-line block ×3, first 2 shown]
	s_waitcnt lgkmcnt(0)
	v_max_f32_e32 v12, v30, v30
	v_max_f32_e32 v12, v21, v12
	v_sub_f32_e32 v1, v1, v12
	v_mul_f32_e32 v13, 0x3fb8aa3b, v1
	v_fma_f32 v2, v1, s27, -v13
	v_rndne_f32_e32 v3, v13
	v_fmac_f32_e32 v2, 0x32a5705f, v1
	v_sub_f32_e32 v13, v13, v3
	v_add_f32_e32 v2, v13, v2
	global_load_dword v16, v[4:5], off
	global_load_dword v17, v[6:7], off
	;; [unrolled: 1-line block ×4, first 2 shown]
	v_exp_f32_e32 v13, v2
	v_cvt_i32_f32_e32 v15, v3
	v_lshl_add_u64 v[2:3], s[28:29], 0, v[18:19]
	global_load_dword v2, v[2:3], off
	v_sub_f32_e32 v5, v36, v12
	v_mul_f32_e32 v6, 0x3fb8aa3b, v5
	v_fma_f32 v7, v5, s27, -v6
	v_rndne_f32_e32 v8, v6
	v_fmac_f32_e32 v7, 0x32a5705f, v5
	v_sub_f32_e32 v6, v6, v8
	v_add_f32_e32 v6, v6, v7
	v_exp_f32_e32 v6, v6
	v_cvt_i32_f32_e32 v7, v8
	s_mov_b32 s28, 0xc2ce8ed0
	v_ldexp_f32 v3, v13, v15
	v_cmp_ngt_f32_e64 s[20:21], s28, v1
	s_mov_b32 s29, 0x42b17218
	v_mov_b32_e32 v4, 0x7f800000
	v_cndmask_b32_e64 v3, 0, v3, s[20:21]
	v_cmp_nlt_f32_e64 s[20:21], s29, v1
	s_nop 1
	v_cndmask_b32_e64 v1, v4, v3, s[20:21]
	v_ldexp_f32 v3, v6, v7
	v_sub_f32_e32 v6, v37, v12
	v_mul_f32_e32 v7, 0x3fb8aa3b, v6
	v_fma_f32 v8, v6, s27, -v7
	v_rndne_f32_e32 v9, v7
	v_fmac_f32_e32 v8, 0x32a5705f, v6
	v_sub_f32_e32 v7, v7, v9
	v_add_f32_e32 v7, v7, v8
	v_exp_f32_e32 v7, v7
	v_cvt_i32_f32_e32 v8, v9
	v_cndmask_b32_e64 v1, 0, v1, s[18:19]
	v_cmp_ngt_f32_e64 s[18:19], s28, v5
	s_waitcnt vmcnt(8)
	v_mul_f32_e32 v1, v27, v1
	v_cndmask_b32_e64 v3, 0, v3, s[18:19]
	v_cmp_nlt_f32_e64 s[18:19], s29, v5
	v_ldexp_f32 v5, v7, v8
	v_sub_f32_e32 v7, v38, v12
	v_mul_f32_e32 v8, 0x3fb8aa3b, v7
	v_fma_f32 v9, v7, s27, -v8
	v_rndne_f32_e32 v10, v8
	v_fmac_f32_e32 v9, 0x32a5705f, v7
	v_sub_f32_e32 v8, v8, v10
	v_add_f32_e32 v8, v8, v9
	v_exp_f32_e32 v8, v8
	v_cvt_i32_f32_e32 v9, v10
	v_cndmask_b32_e64 v3, v4, v3, s[18:19]
	v_cndmask_b32_e64 v3, 0, v3, s[16:17]
	v_cmp_ngt_f32_e64 s[16:17], s28, v6
	s_waitcnt vmcnt(7)
	v_mul_f32_e32 v3, v29, v3
	v_cndmask_b32_e64 v5, 0, v5, s[16:17]
	v_cmp_nlt_f32_e64 s[16:17], s29, v6
	v_ldexp_f32 v6, v8, v9
	v_sub_f32_e32 v8, v39, v12
	v_mul_f32_e32 v9, 0x3fb8aa3b, v8
	v_fma_f32 v10, v8, s27, -v9
	v_rndne_f32_e32 v11, v9
	v_fmac_f32_e32 v10, 0x32a5705f, v8
	v_sub_f32_e32 v9, v9, v11
	v_add_f32_e32 v9, v9, v10
	v_exp_f32_e32 v9, v9
	v_cvt_i32_f32_e32 v10, v11
	v_cndmask_b32_e64 v5, v4, v5, s[16:17]
	;; [unrolled: 17-line block ×5, first 2 shown]
	v_cndmask_b32_e64 v8, 0, v8, s[8:9]
	v_cmp_ngt_f32_e64 s[8:9], s28, v10
	v_sub_f32_e32 v12, v20, v12
	s_waitcnt vmcnt(3)
	v_mul_f32_e32 v8, v17, v8
	v_cndmask_b32_e64 v9, 0, v9, s[8:9]
	v_cmp_nlt_f32_e64 s[8:9], s29, v10
	v_ldexp_f32 v10, v13, v14
	v_mul_f32_e32 v13, 0x3fb8aa3b, v12
	v_fma_f32 v14, v12, s27, -v13
	v_rndne_f32_e32 v15, v13
	v_fmac_f32_e32 v14, 0x32a5705f, v12
	v_sub_f32_e32 v13, v13, v15
	v_add_f32_e32 v13, v13, v14
	v_cndmask_b32_e64 v9, v4, v9, s[8:9]
	v_exp_f32_e32 v13, v13
	v_cvt_i32_f32_e32 v14, v15
	v_cndmask_b32_e64 v9, 0, v9, s[6:7]
	v_cmp_ngt_f32_e64 s[6:7], s28, v11
	s_nop 1
	v_cndmask_b32_e64 v10, 0, v10, s[6:7]
	v_cmp_nlt_f32_e64 s[6:7], s29, v11
	v_ldexp_f32 v11, v13, v14
	v_lshlrev_b32_e32 v13, 2, v0
	v_cndmask_b32_e64 v10, v4, v10, s[6:7]
	v_cndmask_b32_e64 v10, 0, v10, s[4:5]
	v_cmp_ngt_f32_e64 s[4:5], s28, v12
	ds_write2st64_b32 v13, v1, v3 offset1:1
	ds_write2st64_b32 v13, v5, v6 offset0:2 offset1:3
	v_cndmask_b32_e64 v11, 0, v11, s[4:5]
	v_cmp_nlt_f32_e64 s[4:5], s29, v12
	s_nop 1
	v_cndmask_b32_e64 v4, v4, v11, s[4:5]
	v_add_f32_e32 v11, v1, v3
	v_add_f32_e32 v11, v11, v5
	;; [unrolled: 1-line block ×5, first 2 shown]
	s_waitcnt vmcnt(2)
	v_fmac_f32_e32 v11, v21, v9
	v_cndmask_b32_e32 v4, 0, v4, vcc
	s_waitcnt vmcnt(1)
	v_fmac_f32_e32 v11, v30, v10
	s_waitcnt vmcnt(0)
	v_fmac_f32_e32 v11, v2, v4
	ds_bpermute_b32 v12, v23, v11
	v_mul_f32_e32 v4, v2, v4
	v_cmp_eq_u32_e32 vcc, 0, v0
	v_mul_f32_e32 v9, v21, v9
	v_mul_f32_e32 v10, v30, v10
	s_waitcnt lgkmcnt(0)
	v_add_f32_e32 v11, v11, v12
	ds_bpermute_b32 v12, v24, v11
	ds_write2st64_b32 v13, v7, v8 offset0:4 offset1:5
	ds_write2st64_b32 v13, v9, v10 offset0:6 offset1:7
	ds_write_b32 v13, v4 offset:2048
	s_waitcnt lgkmcnt(3)
	v_add_f32_e32 v11, v11, v12
	ds_bpermute_b32 v12, v25, v11
	s_waitcnt lgkmcnt(0)
	v_add_f32_e32 v11, v11, v12
	ds_bpermute_b32 v12, v26, v11
	;; [unrolled: 3-line block ×4, first 2 shown]
	s_and_saveexec_b64 s[4:5], vcc
	s_cbranch_execz .LBB28_8
; %bb.7:
	s_waitcnt lgkmcnt(0)
	v_add_f32_e32 v1, v1, v2
	v_mov_b32_e32 v2, 0
	ds_write_b32 v2, v1 offset:2304
.LBB28_8:
	s_or_b64 exec, exec, s[4:5]
	v_mov_b32_e32 v1, s26
.LBB28_9:
	s_or_b64 exec, exec, s[40:41]
	s_lshl_b32 s4, s42, 6
	s_mov_b32 s5, 0
	s_lshl_b64 s[4:5], s[4:5], 1
	s_add_u32 s4, s24, s4
	s_addc_u32 s5, s25, s5
	s_lshl_b32 s10, s33, 6
	s_waitcnt lgkmcnt(0)
	v_lshlrev_b32_e32 v2, 6, v1
	v_mov_b32_e32 v1, 0
	s_sub_i32 s11, s10, 64
	v_mov_b32_e32 v3, v1
	s_cmp_lt_i32 s46, 1
	v_lshl_add_u64 v[2:3], v[2:3], 1, s[4:5]
	s_cselect_b32 s4, s11, 0
	v_lshlrev_b32_e32 v4, 1, v0
	v_mov_b32_e32 v5, v1
	s_ashr_i32 s5, s4, 31
	v_lshl_add_u64 v[2:3], v[2:3], 0, v[4:5]
	s_cmpk_lt_i32 s46, 0x101
	v_lshl_add_u64 v[12:13], s[4:5], 1, v[2:3]
	s_cselect_b32 s4, s11, 64
	s_ashr_i32 s5, s4, 31
	s_cmpk_lt_i32 s46, 0x201
	v_lshl_add_u64 v[14:15], s[4:5], 1, v[2:3]
	s_cselect_b32 s4, s11, 0x80
	s_ashr_i32 s5, s4, 31
	;; [unrolled: 4-line block ×8, first 2 shown]
	s_cmpk_lt_i32 s46, 0x901
	global_load_ushort v4, v[12:13], off
	global_load_ushort v5, v[14:15], off
	;; [unrolled: 1-line block ×8, first 2 shown]
	v_lshl_add_u64 v[20:21], s[4:5], 1, v[2:3]
	s_cselect_b32 s4, s11, 0x240
	s_ashr_i32 s5, s4, 31
	s_cmpk_lt_i32 s46, 0xa01
	v_lshl_add_u64 v[22:23], s[4:5], 1, v[2:3]
	s_cselect_b32 s4, s11, 0x280
	s_ashr_i32 s5, s4, 31
	s_cmpk_lt_i32 s46, 0xb01
	;; [unrolled: 4-line block ×6, first 2 shown]
	v_lshl_add_u64 v[32:33], s[4:5], 1, v[2:3]
	s_cselect_b32 s4, s11, 0x3c0
	s_ashr_i32 s5, s4, 31
	v_lshl_add_u64 v[34:35], s[4:5], 1, v[2:3]
	global_load_ushort v12, v[20:21], off
	global_load_ushort v13, v[22:23], off
	;; [unrolled: 1-line block ×8, first 2 shown]
	s_cmpk_gt_i32 s46, 0x1000
	s_cselect_b64 s[8:9], -1, 0
	s_cmpk_lt_i32 s46, 0x1001
	v_mov_b32_e32 v36, 0
	v_mov_b32_e32 v37, 0
	;; [unrolled: 1-line block ×48, first 2 shown]
	s_waitcnt lgkmcnt(0)
	; wave barrier
	s_cbranch_scc1 .LBB28_12
; %bb.10:
	s_cmpk_lt_u32 s46, 0x1101
	s_cselect_b32 s4, s11, 0x440
	s_ashr_i32 s5, s4, 31
	s_cmpk_lt_u32 s46, 0x1201
	v_lshl_add_u64 v[28:29], s[4:5], 1, v[2:3]
	s_cselect_b32 s4, s11, 0x480
	s_ashr_i32 s5, s4, 31
	s_cmpk_lt_u32 s46, 0x1301
	v_lshl_add_u64 v[30:31], s[4:5], 1, v[2:3]
	;; [unrolled: 4-line block ×7, first 2 shown]
	s_cselect_b32 s4, s11, 0x600
	s_ashr_i32 s5, s4, 31
	s_cmpk_lt_u32 s46, 0x1901
	global_load_ushort v27, v[2:3], off offset:2048
	global_load_ushort v26, v[28:29], off
	global_load_ushort v25, v[30:31], off
	;; [unrolled: 1-line block ×7, first 2 shown]
	v_lshl_add_u64 v[36:37], s[4:5], 1, v[2:3]
	s_cselect_b32 s4, s11, 0x640
	s_ashr_i32 s5, s4, 31
	s_cmpk_lt_u32 s46, 0x1a01
	v_lshl_add_u64 v[38:39], s[4:5], 1, v[2:3]
	s_cselect_b32 s4, s11, 0x680
	s_ashr_i32 s5, s4, 31
	s_cmpk_lt_u32 s46, 0x1b01
	;; [unrolled: 4-line block ×6, first 2 shown]
	v_lshl_add_u64 v[48:49], s[4:5], 1, v[2:3]
	s_cselect_b32 s4, s11, 0x7c0
	s_ashr_i32 s5, s4, 31
	v_lshl_add_u64 v[50:51], s[4:5], 1, v[2:3]
	global_load_ushort v35, v[36:37], off
	global_load_ushort v34, v[38:39], off
	;; [unrolled: 1-line block ×8, first 2 shown]
	s_cmpk_lt_u32 s46, 0x2001
	v_mov_b32_e32 v67, 0
	v_mov_b32_e32 v66, 0
	;; [unrolled: 1-line block ×32, first 2 shown]
	s_cbranch_scc1 .LBB28_12
; %bb.11:
	s_cmpk_lt_u32 s46, 0x2101
	s_cselect_b32 s4, s11, 0x840
	s_ashr_i32 s5, s4, 31
	s_cmpk_lt_u32 s46, 0x2201
	v_lshl_add_u64 v[38:39], s[4:5], 1, v[2:3]
	s_cselect_b32 s4, s11, 0x880
	s_ashr_i32 s5, s4, 31
	s_cmpk_lt_u32 s46, 0x2301
	v_lshl_add_u64 v[40:41], s[4:5], 1, v[2:3]
	;; [unrolled: 4-line block ×7, first 2 shown]
	s_cselect_b32 s4, s11, 0xa00
	v_add_co_u32_e32 v36, vcc, 0x1000, v2
	s_ashr_i32 s5, s4, 31
	s_nop 0
	v_addc_co_u32_e32 v37, vcc, 0, v3, vcc
	s_cmpk_lt_u32 s46, 0x2901
	global_load_ushort v52, v[36:37], off
	global_load_ushort v53, v[38:39], off
	;; [unrolled: 1-line block ×8, first 2 shown]
	v_lshl_add_u64 v[36:37], s[4:5], 1, v[2:3]
	s_cselect_b32 s4, s11, 0xa40
	s_ashr_i32 s5, s4, 31
	s_cmpk_lt_u32 s46, 0x2a01
	v_lshl_add_u64 v[38:39], s[4:5], 1, v[2:3]
	s_cselect_b32 s4, s11, 0xa80
	s_ashr_i32 s5, s4, 31
	s_cmpk_lt_u32 s46, 0x2b01
	;; [unrolled: 4-line block ×8, first 2 shown]
	global_load_ushort v68, v[36:37], off
	global_load_ushort v69, v[38:39], off
	;; [unrolled: 1-line block ×8, first 2 shown]
	v_lshl_add_u64 v[36:37], s[4:5], 1, v[2:3]
	s_cselect_b32 s4, s11, 0xc40
	s_ashr_i32 s5, s4, 31
	s_cmpk_lt_u32 s46, 0x3201
	v_lshl_add_u64 v[38:39], s[4:5], 1, v[2:3]
	s_cselect_b32 s4, s11, 0xc80
	s_ashr_i32 s5, s4, 31
	s_cmpk_lt_u32 s46, 0x3301
	;; [unrolled: 4-line block ×8, first 2 shown]
	global_load_ushort v76, v[36:37], off
	global_load_ushort v77, v[38:39], off
	;; [unrolled: 1-line block ×8, first 2 shown]
	v_lshl_add_u64 v[36:37], s[4:5], 1, v[2:3]
	s_cselect_b32 s4, s11, 0xe40
	s_ashr_i32 s5, s4, 31
	s_cmpk_lt_u32 s46, 0x3a01
	v_lshl_add_u64 v[38:39], s[4:5], 1, v[2:3]
	s_cselect_b32 s4, s11, 0xe80
	s_ashr_i32 s5, s4, 31
	s_cmpk_lt_u32 s46, 0x3b01
	;; [unrolled: 4-line block ×6, first 2 shown]
	v_lshl_add_u64 v[48:49], s[4:5], 1, v[2:3]
	s_cselect_b32 s4, s11, 0xfc0
	s_ashr_i32 s5, s4, 31
	v_lshl_add_u64 v[50:51], s[4:5], 1, v[2:3]
	global_load_ushort v84, v[36:37], off
	global_load_ushort v85, v[38:39], off
	;; [unrolled: 1-line block ×8, first 2 shown]
	s_waitcnt vmcnt(31)
	v_cvt_f32_f16_e32 v67, v52
	s_waitcnt vmcnt(30)
	v_cvt_f32_f16_e32 v66, v53
	;; [unrolled: 2-line block ×32, first 2 shown]
.LBB28_12:
	ds_read_b128 v[68:71], v1
	s_load_dwordx2 s[4:5], s[0:1], 0x0
	s_load_dwordx2 s[6:7], s[0:1], 0x38
	ds_read_b128 v[72:75], v1 offset:16
	ds_read_b128 v[76:79], v1 offset:32
	;; [unrolled: 1-line block ×3, first 2 shown]
	s_and_b64 vcc, exec, s[8:9]
	s_waitcnt vmcnt(15) lgkmcnt(0)
	v_fma_mix_f32 v4, v68, v4, 0 op_sel_hi:[0,1,0]
	s_waitcnt vmcnt(14)
	v_fma_mix_f32 v4, v69, v5, v4 op_sel_hi:[0,1,0]
	s_waitcnt vmcnt(13)
	;; [unrolled: 2-line block ×15, first 2 shown]
	v_fma_mix_f32 v4, v83, v19, v4 op_sel_hi:[0,1,0]
	s_cbranch_vccz .LBB28_15
; %bb.13:
	ds_read_b128 v[6:9], v1 offset:64
	ds_read_b128 v[10:13], v1 offset:80
	;; [unrolled: 1-line block ×4, first 2 shown]
	s_cmpk_lt_u32 s46, 0x2001
	s_waitcnt lgkmcnt(3)
	v_fma_mix_f32 v4, v6, v27, v4 op_sel_hi:[0,1,0]
	v_fma_mix_f32 v4, v7, v26, v4 op_sel_hi:[0,1,0]
	v_fma_mix_f32 v4, v8, v25, v4 op_sel_hi:[0,1,0]
	v_fma_mix_f32 v4, v9, v24, v4 op_sel_hi:[0,1,0]
	s_waitcnt lgkmcnt(2)
	v_fma_mix_f32 v4, v10, v23, v4 op_sel_hi:[0,1,0]
	v_fma_mix_f32 v4, v11, v22, v4 op_sel_hi:[0,1,0]
	v_fma_mix_f32 v4, v12, v21, v4 op_sel_hi:[0,1,0]
	v_fma_mix_f32 v4, v13, v20, v4 op_sel_hi:[0,1,0]
	;; [unrolled: 5-line block ×4, first 2 shown]
	s_cbranch_scc1 .LBB28_15
; %bb.14:
	v_mov_b32_e32 v5, 0
	ds_read_b128 v[6:9], v5 offset:128
	ds_read_b128 v[10:13], v5 offset:144
	;; [unrolled: 1-line block ×4, first 2 shown]
	s_waitcnt lgkmcnt(3)
	v_fmac_f32_e32 v4, v6, v67
	v_fmac_f32_e32 v4, v7, v66
	v_fmac_f32_e32 v4, v8, v65
	v_fmac_f32_e32 v4, v9, v64
	s_waitcnt lgkmcnt(2)
	v_fmac_f32_e32 v4, v10, v63
	v_fmac_f32_e32 v4, v11, v62
	v_fmac_f32_e32 v4, v12, v61
	v_fmac_f32_e32 v4, v13, v60
	;; [unrolled: 5-line block ×3, first 2 shown]
	ds_read_b128 v[6:9], v5 offset:192
	ds_read_b128 v[10:13], v5 offset:208
	s_waitcnt lgkmcnt(2)
	v_fmac_f32_e32 v4, v18, v55
	v_fmac_f32_e32 v4, v19, v54
	;; [unrolled: 1-line block ×4, first 2 shown]
	s_waitcnt lgkmcnt(1)
	v_fmac_f32_e32 v4, v6, v51
	v_fmac_f32_e32 v4, v7, v50
	;; [unrolled: 1-line block ×4, first 2 shown]
	ds_read_b128 v[6:9], v5 offset:224
	s_waitcnt lgkmcnt(1)
	v_fmac_f32_e32 v4, v10, v47
	v_fmac_f32_e32 v4, v11, v46
	;; [unrolled: 1-line block ×4, first 2 shown]
	ds_read_b128 v[10:13], v5 offset:240
	s_waitcnt lgkmcnt(1)
	v_fmac_f32_e32 v4, v6, v43
	v_fmac_f32_e32 v4, v7, v42
	;; [unrolled: 1-line block ×4, first 2 shown]
	s_waitcnt lgkmcnt(0)
	v_fmac_f32_e32 v4, v10, v39
	v_fmac_f32_e32 v4, v11, v38
	;; [unrolled: 1-line block ×4, first 2 shown]
.LBB28_15:
	s_movk_i32 s0, 0x1fc0
	s_movk_i32 s1, 0x100
	s_mov_b32 s8, 64
	s_branch .LBB28_17
.LBB28_16:                              ;   in Loop: Header=BB28_17 Depth=1
	s_addk_i32 s0, 0x1000
	s_addk_i32 s1, 0x100
	s_add_i32 s8, s8, 64
	s_cmpk_eq_u32 s0, 0x9fc0
	s_cbranch_scc1 .LBB28_19
.LBB28_17:                              ; =>This Inner Loop Header: Depth=1
	s_cmp_le_i32 s33, s8
	s_cbranch_scc1 .LBB28_16
; %bb.18:                               ;   in Loop: Header=BB28_17 Depth=1
	s_add_i32 s9, s0, 0xfffff040
	s_cmp_lt_i32 s9, s10
	s_cselect_b32 s12, s9, s11
	s_ashr_i32 s13, s12, 31
	s_add_i32 s9, s0, 0xfffff080
	s_cmp_lt_i32 s9, s10
	v_lshl_add_u64 v[14:15], s[12:13], 1, v[2:3]
	s_cselect_b32 s12, s9, s11
	s_ashr_i32 s13, s12, 31
	s_add_i32 s9, s0, 0xfffff0c0
	s_cmp_lt_i32 s9, s10
	v_lshl_add_u64 v[16:17], s[12:13], 1, v[2:3]
	;; [unrolled: 5-line block ×8, first 2 shown]
	s_cselect_b32 s12, s9, s11
	s_ashr_i32 s13, s12, 31
	s_add_i32 s9, s0, 0xfffff280
	s_cmp_lt_i32 s9, s10
	global_load_ushort v5, v[14:15], off
	global_load_ushort v6, v[16:17], off
	global_load_ushort v7, v[18:19], off
	global_load_ushort v8, v[20:21], off
	global_load_ushort v9, v[22:23], off
	global_load_ushort v10, v[24:25], off
	global_load_ushort v11, v[26:27], off
	global_load_ushort v12, v[28:29], off
	v_lshl_add_u64 v[14:15], s[12:13], 1, v[2:3]
	s_cselect_b32 s12, s9, s11
	s_ashr_i32 s13, s12, 31
	s_add_i32 s9, s0, 0xfffff2c0
	s_cmp_lt_i32 s9, s10
	v_lshl_add_u64 v[16:17], s[12:13], 1, v[2:3]
	s_cselect_b32 s12, s9, s11
	s_ashr_i32 s13, s12, 31
	s_add_i32 s9, s0, 0xfffff300
	s_cmp_lt_i32 s9, s10
	v_lshl_add_u64 v[18:19], s[12:13], 1, v[2:3]
	s_cselect_b32 s12, s9, s11
	s_ashr_i32 s13, s12, 31
	s_add_i32 s9, s0, 0xfffff340
	s_cmp_lt_i32 s9, s10
	v_lshl_add_u64 v[20:21], s[12:13], 1, v[2:3]
	s_cselect_b32 s12, s9, s11
	s_ashr_i32 s13, s12, 31
	s_add_i32 s9, s0, 0xfffff380
	s_cmp_lt_i32 s9, s10
	v_lshl_add_u64 v[22:23], s[12:13], 1, v[2:3]
	s_cselect_b32 s12, s9, s11
	s_ashr_i32 s13, s12, 31
	s_add_i32 s9, s0, 0xfffff3c0
	s_cmp_lt_i32 s9, s10
	v_lshl_add_u64 v[24:25], s[12:13], 1, v[2:3]
	s_cselect_b32 s12, s9, s11
	s_ashr_i32 s13, s12, 31
	s_add_i32 s9, s0, 0xfffff400
	s_cmp_lt_i32 s9, s10
	v_lshl_add_u64 v[26:27], s[12:13], 1, v[2:3]
	s_cselect_b32 s12, s9, s11
	s_ashr_i32 s13, s12, 31
	s_add_i32 s9, s0, 0xfffff440
	s_cmp_lt_i32 s9, s10
	v_lshl_add_u64 v[28:29], s[12:13], 1, v[2:3]
	s_cselect_b32 s12, s9, s11
	s_ashr_i32 s13, s12, 31
	s_add_i32 s9, s0, 0xfffff480
	s_cmp_lt_i32 s9, s10
	global_load_ushort v13, v[14:15], off
	global_load_ushort v30, v[16:17], off
	global_load_ushort v31, v[18:19], off
	global_load_ushort v32, v[20:21], off
	global_load_ushort v33, v[22:23], off
	global_load_ushort v34, v[24:25], off
	global_load_ushort v35, v[26:27], off
	global_load_ushort v36, v[28:29], off
	v_lshl_add_u64 v[14:15], s[12:13], 1, v[2:3]
	s_cselect_b32 s12, s9, s11
	s_ashr_i32 s13, s12, 31
	s_add_i32 s9, s0, 0xfffff4c0
	s_cmp_lt_i32 s9, s10
	v_lshl_add_u64 v[16:17], s[12:13], 1, v[2:3]
	s_cselect_b32 s12, s9, s11
	s_ashr_i32 s13, s12, 31
	s_add_i32 s9, s0, 0xfffff500
	s_cmp_lt_i32 s9, s10
	v_lshl_add_u64 v[18:19], s[12:13], 1, v[2:3]
	s_cselect_b32 s12, s9, s11
	s_ashr_i32 s13, s12, 31
	s_add_i32 s9, s0, 0xfffff540
	s_cmp_lt_i32 s9, s10
	v_lshl_add_u64 v[20:21], s[12:13], 1, v[2:3]
	s_cselect_b32 s12, s9, s11
	s_ashr_i32 s13, s12, 31
	s_add_i32 s9, s0, 0xfffff580
	s_cmp_lt_i32 s9, s10
	v_lshl_add_u64 v[22:23], s[12:13], 1, v[2:3]
	s_cselect_b32 s12, s9, s11
	s_ashr_i32 s13, s12, 31
	s_add_i32 s9, s0, 0xfffff5c0
	s_cmp_lt_i32 s9, s10
	v_lshl_add_u64 v[24:25], s[12:13], 1, v[2:3]
	s_cselect_b32 s12, s9, s11
	s_ashr_i32 s13, s12, 31
	s_add_i32 s9, s0, 0xfffff600
	s_cmp_lt_i32 s9, s10
	v_lshl_add_u64 v[26:27], s[12:13], 1, v[2:3]
	s_cselect_b32 s12, s9, s11
	s_ashr_i32 s13, s12, 31
	s_add_i32 s9, s0, 0xfffff640
	s_cmp_lt_i32 s9, s10
	v_lshl_add_u64 v[28:29], s[12:13], 1, v[2:3]
	s_cselect_b32 s12, s9, s11
	s_ashr_i32 s13, s12, 31
	s_add_i32 s9, s0, 0xfffff680
	s_cmp_lt_i32 s9, s10
	global_load_ushort v37, v[14:15], off
	global_load_ushort v38, v[16:17], off
	global_load_ushort v39, v[18:19], off
	global_load_ushort v40, v[20:21], off
	global_load_ushort v41, v[22:23], off
	global_load_ushort v42, v[24:25], off
	global_load_ushort v43, v[26:27], off
	global_load_ushort v44, v[28:29], off
	v_lshl_add_u64 v[14:15], s[12:13], 1, v[2:3]
	s_cselect_b32 s12, s9, s11
	s_ashr_i32 s13, s12, 31
	s_add_i32 s9, s0, 0xfffff6c0
	s_cmp_lt_i32 s9, s10
	v_lshl_add_u64 v[16:17], s[12:13], 1, v[2:3]
	s_cselect_b32 s12, s9, s11
	s_ashr_i32 s13, s12, 31
	s_add_i32 s9, s0, 0xfffff700
	s_cmp_lt_i32 s9, s10
	v_lshl_add_u64 v[18:19], s[12:13], 1, v[2:3]
	s_cselect_b32 s12, s9, s11
	s_ashr_i32 s13, s12, 31
	s_add_i32 s9, s0, 0xfffff740
	s_cmp_lt_i32 s9, s10
	v_lshl_add_u64 v[20:21], s[12:13], 1, v[2:3]
	s_cselect_b32 s12, s9, s11
	s_ashr_i32 s13, s12, 31
	s_add_i32 s9, s0, 0xfffff780
	s_cmp_lt_i32 s9, s10
	v_lshl_add_u64 v[22:23], s[12:13], 1, v[2:3]
	s_cselect_b32 s12, s9, s11
	s_ashr_i32 s13, s12, 31
	s_add_i32 s9, s0, 0xfffff7c0
	s_cmp_lt_i32 s9, s10
	v_lshl_add_u64 v[24:25], s[12:13], 1, v[2:3]
	s_cselect_b32 s12, s9, s11
	s_ashr_i32 s13, s12, 31
	s_add_i32 s9, s0, 0xfffff800
	s_cmp_lt_i32 s9, s10
	v_lshl_add_u64 v[26:27], s[12:13], 1, v[2:3]
	s_cselect_b32 s12, s9, s11
	s_ashr_i32 s13, s12, 31
	s_add_i32 s9, s0, 0xfffff840
	s_cmp_lt_i32 s9, s10
	v_lshl_add_u64 v[28:29], s[12:13], 1, v[2:3]
	s_cselect_b32 s12, s9, s11
	s_ashr_i32 s13, s12, 31
	s_add_i32 s9, s0, 0xfffff880
	s_cmp_lt_i32 s9, s10
	global_load_ushort v45, v[14:15], off
	global_load_ushort v46, v[16:17], off
	global_load_ushort v47, v[18:19], off
	global_load_ushort v48, v[20:21], off
	global_load_ushort v49, v[22:23], off
	global_load_ushort v50, v[24:25], off
	global_load_ushort v51, v[26:27], off
	global_load_ushort v52, v[28:29], off
	v_lshl_add_u64 v[14:15], s[12:13], 1, v[2:3]
	s_cselect_b32 s12, s9, s11
	s_ashr_i32 s13, s12, 31
	s_add_i32 s9, s0, 0xfffff8c0
	s_cmp_lt_i32 s9, s10
	v_lshl_add_u64 v[16:17], s[12:13], 1, v[2:3]
	s_cselect_b32 s12, s9, s11
	s_ashr_i32 s13, s12, 31
	s_add_i32 s9, s0, 0xfffff900
	s_cmp_lt_i32 s9, s10
	v_lshl_add_u64 v[18:19], s[12:13], 1, v[2:3]
	s_cselect_b32 s12, s9, s11
	s_ashr_i32 s13, s12, 31
	s_add_i32 s9, s0, 0xfffff940
	s_cmp_lt_i32 s9, s10
	v_lshl_add_u64 v[20:21], s[12:13], 1, v[2:3]
	s_cselect_b32 s12, s9, s11
	s_ashr_i32 s13, s12, 31
	s_add_i32 s9, s0, 0xfffff980
	s_cmp_lt_i32 s9, s10
	v_lshl_add_u64 v[22:23], s[12:13], 1, v[2:3]
	s_cselect_b32 s12, s9, s11
	s_ashr_i32 s13, s12, 31
	s_add_i32 s9, s0, 0xfffff9c0
	s_cmp_lt_i32 s9, s10
	v_lshl_add_u64 v[24:25], s[12:13], 1, v[2:3]
	s_cselect_b32 s12, s9, s11
	s_ashr_i32 s13, s12, 31
	s_add_i32 s9, s0, 0xfffffa00
	s_cmp_lt_i32 s9, s10
	v_lshl_add_u64 v[26:27], s[12:13], 1, v[2:3]
	s_cselect_b32 s12, s9, s11
	s_ashr_i32 s13, s12, 31
	s_add_i32 s9, s0, 0xfffffa40
	s_cmp_lt_i32 s9, s10
	v_lshl_add_u64 v[28:29], s[12:13], 1, v[2:3]
	s_cselect_b32 s12, s9, s11
	s_ashr_i32 s13, s12, 31
	s_add_i32 s9, s0, 0xfffffa80
	s_cmp_lt_i32 s9, s10
	global_load_ushort v53, v[14:15], off
	global_load_ushort v54, v[16:17], off
	global_load_ushort v55, v[18:19], off
	global_load_ushort v56, v[20:21], off
	global_load_ushort v57, v[22:23], off
	global_load_ushort v58, v[24:25], off
	global_load_ushort v59, v[26:27], off
	global_load_ushort v60, v[28:29], off
	v_lshl_add_u64 v[14:15], s[12:13], 1, v[2:3]
	s_cselect_b32 s12, s9, s11
	s_ashr_i32 s13, s12, 31
	s_add_i32 s9, s0, 0xfffffac0
	s_cmp_lt_i32 s9, s10
	v_lshl_add_u64 v[16:17], s[12:13], 1, v[2:3]
	s_cselect_b32 s12, s9, s11
	s_ashr_i32 s13, s12, 31
	s_add_i32 s9, s0, 0xfffffb00
	s_cmp_lt_i32 s9, s10
	v_lshl_add_u64 v[18:19], s[12:13], 1, v[2:3]
	s_cselect_b32 s12, s9, s11
	s_ashr_i32 s13, s12, 31
	s_add_i32 s9, s0, 0xfffffb40
	s_cmp_lt_i32 s9, s10
	v_lshl_add_u64 v[20:21], s[12:13], 1, v[2:3]
	s_cselect_b32 s12, s9, s11
	s_ashr_i32 s13, s12, 31
	s_add_i32 s9, s0, 0xfffffb80
	s_cmp_lt_i32 s9, s10
	v_lshl_add_u64 v[22:23], s[12:13], 1, v[2:3]
	s_cselect_b32 s12, s9, s11
	s_ashr_i32 s13, s12, 31
	s_add_i32 s9, s0, 0xfffffbc0
	s_cmp_lt_i32 s9, s10
	v_lshl_add_u64 v[24:25], s[12:13], 1, v[2:3]
	s_cselect_b32 s12, s9, s11
	s_ashr_i32 s13, s12, 31
	s_add_i32 s9, s0, 0xfffffc00
	s_cmp_lt_i32 s9, s10
	v_lshl_add_u64 v[26:27], s[12:13], 1, v[2:3]
	s_cselect_b32 s12, s9, s11
	s_ashr_i32 s13, s12, 31
	s_add_i32 s9, s0, 0xfffffc40
	s_cmp_lt_i32 s9, s10
	v_lshl_add_u64 v[28:29], s[12:13], 1, v[2:3]
	s_cselect_b32 s12, s9, s11
	s_ashr_i32 s13, s12, 31
	s_add_i32 s9, s0, 0xfffffc80
	s_cmp_lt_i32 s9, s10
	global_load_ushort v61, v[14:15], off
	global_load_ushort v62, v[16:17], off
	global_load_ushort v63, v[18:19], off
	global_load_ushort v64, v[20:21], off
	global_load_ushort v65, v[22:23], off
	global_load_ushort v66, v[24:25], off
	global_load_ushort v67, v[26:27], off
	global_load_ushort v68, v[28:29], off
	v_lshl_add_u64 v[14:15], s[12:13], 1, v[2:3]
	s_cselect_b32 s12, s9, s11
	s_ashr_i32 s13, s12, 31
	s_add_i32 s9, s0, 0xfffffcc0
	s_cmp_lt_i32 s9, s10
	v_lshl_add_u64 v[16:17], s[12:13], 1, v[2:3]
	s_cselect_b32 s12, s9, s11
	s_ashr_i32 s13, s12, 31
	s_add_i32 s9, s0, 0xfffffd00
	s_cmp_lt_i32 s9, s10
	v_lshl_add_u64 v[18:19], s[12:13], 1, v[2:3]
	s_cselect_b32 s12, s9, s11
	s_ashr_i32 s13, s12, 31
	s_add_i32 s9, s0, 0xfffffd40
	s_cmp_lt_i32 s9, s10
	v_lshl_add_u64 v[20:21], s[12:13], 1, v[2:3]
	s_cselect_b32 s12, s9, s11
	s_ashr_i32 s13, s12, 31
	s_add_i32 s9, s0, 0xfffffd80
	s_cmp_lt_i32 s9, s10
	v_lshl_add_u64 v[22:23], s[12:13], 1, v[2:3]
	s_cselect_b32 s12, s9, s11
	s_ashr_i32 s13, s12, 31
	s_add_i32 s9, s0, 0xfffffdc0
	s_cmp_lt_i32 s9, s10
	v_lshl_add_u64 v[24:25], s[12:13], 1, v[2:3]
	s_cselect_b32 s12, s9, s11
	s_ashr_i32 s13, s12, 31
	s_add_i32 s9, s0, 0xfffffe00
	s_cmp_lt_i32 s9, s10
	v_lshl_add_u64 v[26:27], s[12:13], 1, v[2:3]
	s_cselect_b32 s12, s9, s11
	s_ashr_i32 s13, s12, 31
	s_add_i32 s9, s0, 0xfffffe40
	s_cmp_lt_i32 s9, s10
	v_lshl_add_u64 v[28:29], s[12:13], 1, v[2:3]
	s_cselect_b32 s12, s9, s11
	s_ashr_i32 s13, s12, 31
	s_add_i32 s9, s0, 0xfffffe80
	s_cmp_lt_i32 s9, s10
	global_load_ushort v69, v[14:15], off
	global_load_ushort v70, v[16:17], off
	;; [unrolled: 1-line block ×8, first 2 shown]
	v_lshl_add_u64 v[14:15], s[12:13], 1, v[2:3]
	s_cselect_b32 s12, s9, s11
	s_ashr_i32 s13, s12, 31
	s_add_i32 s9, s0, 0xfffffec0
	s_cmp_lt_i32 s9, s10
	v_lshl_add_u64 v[16:17], s[12:13], 1, v[2:3]
	s_cselect_b32 s12, s9, s11
	s_ashr_i32 s13, s12, 31
	s_add_i32 s9, s0, 0xffffff00
	s_cmp_lt_i32 s9, s10
	;; [unrolled: 5-line block ×4, first 2 shown]
	v_lshl_add_u64 v[22:23], s[12:13], 1, v[2:3]
	s_cselect_b32 s12, s9, s11
	s_ashr_i32 s13, s12, 31
	s_sub_i32 s9, s0, 64
	s_cmp_lt_i32 s9, s10
	v_lshl_add_u64 v[24:25], s[12:13], 1, v[2:3]
	s_cselect_b32 s12, s9, s11
	s_ashr_i32 s13, s12, 31
	s_cmp_lt_i32 s0, s10
	v_lshl_add_u64 v[26:27], s[12:13], 1, v[2:3]
	s_cselect_b32 s12, s0, s11
	s_ashr_i32 s13, s12, 31
	v_lshl_add_u64 v[28:29], s[12:13], 1, v[2:3]
	global_load_ushort v77, v[14:15], off
	global_load_ushort v78, v[16:17], off
	;; [unrolled: 1-line block ×8, first 2 shown]
	v_mov_b32_e32 v85, s1
	ds_read_b128 v[14:17], v85
	ds_read_b128 v[18:21], v85 offset:16
	ds_read_b128 v[22:25], v85 offset:32
	;; [unrolled: 1-line block ×3, first 2 shown]
	s_waitcnt vmcnt(62) lgkmcnt(3)
	v_fma_mix_f32 v4, v14, v5, v4 op_sel_hi:[0,1,0]
	v_fma_mix_f32 v4, v15, v6, v4 op_sel_hi:[0,1,0]
	s_waitcnt vmcnt(61)
	v_fma_mix_f32 v4, v16, v7, v4 op_sel_hi:[0,1,0]
	s_waitcnt vmcnt(60)
	v_fma_mix_f32 v4, v17, v8, v4 op_sel_hi:[0,1,0]
	s_waitcnt vmcnt(59) lgkmcnt(2)
	v_fma_mix_f32 v4, v18, v9, v4 op_sel_hi:[0,1,0]
	s_waitcnt vmcnt(58)
	v_fma_mix_f32 v4, v19, v10, v4 op_sel_hi:[0,1,0]
	s_waitcnt vmcnt(57)
	;; [unrolled: 2-line block ×3, first 2 shown]
	v_fma_mix_f32 v4, v21, v12, v4 op_sel_hi:[0,1,0]
	s_waitcnt vmcnt(55) lgkmcnt(1)
	v_fma_mix_f32 v4, v22, v13, v4 op_sel_hi:[0,1,0]
	s_waitcnt vmcnt(54)
	v_fma_mix_f32 v4, v23, v30, v4 op_sel_hi:[0,1,0]
	s_waitcnt vmcnt(53)
	v_fma_mix_f32 v4, v24, v31, v4 op_sel_hi:[0,1,0]
	s_waitcnt vmcnt(52)
	v_fma_mix_f32 v4, v25, v32, v4 op_sel_hi:[0,1,0]
	s_waitcnt vmcnt(51) lgkmcnt(0)
	v_fma_mix_f32 v8, v26, v33, v4 op_sel_hi:[0,1,0]
	ds_read_b128 v[4:7], v85 offset:64
	s_waitcnt vmcnt(50)
	v_fma_mix_f32 v8, v27, v34, v8 op_sel_hi:[0,1,0]
	s_waitcnt vmcnt(49)
	v_fma_mix_f32 v8, v28, v35, v8 op_sel_hi:[0,1,0]
	s_waitcnt vmcnt(48)
	v_fma_mix_f32 v12, v29, v36, v8 op_sel_hi:[0,1,0]
	ds_read_b128 v[8:11], v85 offset:80
	s_waitcnt vmcnt(47) lgkmcnt(1)
	v_fma_mix_f32 v4, v4, v37, v12 op_sel_hi:[0,1,0]
	s_waitcnt vmcnt(46)
	v_fma_mix_f32 v4, v5, v38, v4 op_sel_hi:[0,1,0]
	s_waitcnt vmcnt(45)
	v_fma_mix_f32 v4, v6, v39, v4 op_sel_hi:[0,1,0]
	s_waitcnt vmcnt(44)
	v_fma_mix_f32 v4, v7, v40, v4 op_sel_hi:[0,1,0]
	s_waitcnt vmcnt(43) lgkmcnt(0)
	v_fma_mix_f32 v8, v8, v41, v4 op_sel_hi:[0,1,0]
	ds_read_b128 v[4:7], v85 offset:96
	s_waitcnt vmcnt(42)
	v_fma_mix_f32 v8, v9, v42, v8 op_sel_hi:[0,1,0]
	s_waitcnt vmcnt(41)
	v_fma_mix_f32 v8, v10, v43, v8 op_sel_hi:[0,1,0]
	s_waitcnt vmcnt(40)
	v_fma_mix_f32 v12, v11, v44, v8 op_sel_hi:[0,1,0]
	ds_read_b128 v[8:11], v85 offset:112
	;; [unrolled: 18-line block ×6, first 2 shown]
	s_waitcnt vmcnt(7) lgkmcnt(1)
	v_fma_mix_f32 v4, v4, v77, v12 op_sel_hi:[0,1,0]
	s_waitcnt vmcnt(6)
	v_fma_mix_f32 v4, v5, v78, v4 op_sel_hi:[0,1,0]
	s_waitcnt vmcnt(5)
	;; [unrolled: 2-line block ×3, first 2 shown]
	v_fma_mix_f32 v4, v7, v80, v4 op_sel_hi:[0,1,0]
	s_waitcnt vmcnt(3) lgkmcnt(0)
	v_fma_mix_f32 v4, v8, v81, v4 op_sel_hi:[0,1,0]
	s_waitcnt vmcnt(2)
	v_fma_mix_f32 v4, v9, v82, v4 op_sel_hi:[0,1,0]
	s_waitcnt vmcnt(1)
	;; [unrolled: 2-line block ×3, first 2 shown]
	v_fma_mix_f32 v4, v11, v84, v4 op_sel_hi:[0,1,0]
	s_branch .LBB28_16
.LBB28_19:
	v_mov_b32_e32 v2, 0
	ds_read_b32 v2, v2 offset:2304
	s_cmp_lg_u64 s[6:7], 0
	s_cbranch_scc0 .LBB28_24
; %bb.20:
	s_load_dword s6, s[6:7], 0x0
	s_waitcnt lgkmcnt(0)
	v_div_scale_f32 v3, s[0:1], s6, s6, 1.0
	v_rcp_f32_e32 v5, v3
	v_div_scale_f32 v6, vcc, 1.0, s6, 1.0
	v_fma_f32 v7, -v3, v5, 1.0
	v_fmac_f32_e32 v5, v7, v5
	v_mul_f32_e32 v7, v6, v5
	v_fma_f32 v8, -v3, v7, v6
	v_fmac_f32_e32 v7, v8, v5
	v_fma_f32 v3, -v3, v7, v6
	v_div_fmas_f32 v3, v3, v5, v7
	v_div_fixup_f32 v3, v3, s6, 1.0
	s_andn2_b64 vcc, exec, s[36:37]
	s_cbranch_vccnz .LBB28_22
.LBB28_21:
	s_add_u32 s0, s34, s38
	s_addc_u32 s1, s35, s39
	s_load_dword s22, s[0:1], 0x0
	s_mov_b32 s23, 0
.LBB28_22:
	s_waitcnt lgkmcnt(0)
	v_add_f32_e32 v2, 0x358637bd, v2
	v_div_scale_f32 v5, s[0:1], v2, v2, 1.0
	v_rcp_f32_e32 v6, v5
	v_div_scale_f32 v7, vcc, 1.0, v2, 1.0
	s_mul_i32 s0, s3, s23
	v_fma_f32 v8, -v5, v6, 1.0
	v_fmac_f32_e32 v6, v8, v6
	v_mul_f32_e32 v8, v7, v6
	v_fma_f32 v9, -v5, v8, v7
	v_fmac_f32_e32 v8, v9, v6
	v_fma_f32 v5, -v5, v8, v7
	s_mul_hi_u32 s1, s3, s22
	v_div_fmas_f32 v5, v5, v6, v8
	s_add_i32 s1, s1, s0
	s_mul_i32 s0, s3, s22
	v_div_fixup_f32 v2, v5, v2, 1.0
	s_lshl_b64 s[0:1], s[0:1], 6
	v_mul_f32_e32 v2, v4, v2
	s_add_u32 s4, s4, s0
	s_mov_b32 s3, 0
	v_mul_f32_e32 v2, v2, v3
	s_addc_u32 s5, s5, s1
	s_lshl_b64 s[0:1], s[2:3], 6
	s_mov_b32 s2, 0x7f800000
	s_mov_b32 s3, 0x43700000
	v_mov_b32_e32 v3, 0xc3700000
	v_med3_f32 v3, v2, s3, v3
	v_cmp_nlg_f32_e64 vcc, |v2|, s2
	s_add_u32 s0, s4, s0
	s_addc_u32 s1, s5, s1
	v_cndmask_b32_e32 v2, v3, v2, vcc
	v_mov_b32_e32 v3, 0
	v_cvt_pk_fp8_f32 v3, v2, v2
	v_lshl_add_u64 v[0:1], s[0:1], 0, v[0:1]
	global_store_byte v[0:1], v3, off
	s_endpgm
.LBB28_23:
	s_mov_b64 s[6:7], 0
	s_branch .LBB28_2
.LBB28_24:
	v_mov_b32_e32 v3, 1.0
	s_andn2_b64 vcc, exec, s[36:37]
	s_cbranch_vccz .LBB28_21
	s_branch .LBB28_22
	.section	.rodata,"a",@progbits
	.p2align	6, 0x0
	.amdhsa_kernel _Z35paged_attention_ll4mi_reduce_kernelIDF16_hLi64ELi64ELi256ELi9EEvPT0_PKfS3_PKT_PKiS8_iS3_
		.amdhsa_group_segment_fixed_size 2308
		.amdhsa_private_segment_fixed_size 0
		.amdhsa_kernarg_size 320
		.amdhsa_user_sgpr_count 2
		.amdhsa_user_sgpr_dispatch_ptr 0
		.amdhsa_user_sgpr_queue_ptr 0
		.amdhsa_user_sgpr_kernarg_segment_ptr 1
		.amdhsa_user_sgpr_dispatch_id 0
		.amdhsa_user_sgpr_kernarg_preload_length 0
		.amdhsa_user_sgpr_kernarg_preload_offset 0
		.amdhsa_user_sgpr_private_segment_size 0
		.amdhsa_uses_dynamic_stack 0
		.amdhsa_enable_private_segment 0
		.amdhsa_system_sgpr_workgroup_id_x 1
		.amdhsa_system_sgpr_workgroup_id_y 1
		.amdhsa_system_sgpr_workgroup_id_z 0
		.amdhsa_system_sgpr_workgroup_info 0
		.amdhsa_system_vgpr_workitem_id 0
		.amdhsa_next_free_vgpr 92
		.amdhsa_next_free_sgpr 47
		.amdhsa_accum_offset 92
		.amdhsa_reserve_vcc 1
		.amdhsa_float_round_mode_32 0
		.amdhsa_float_round_mode_16_64 0
		.amdhsa_float_denorm_mode_32 3
		.amdhsa_float_denorm_mode_16_64 3
		.amdhsa_dx10_clamp 1
		.amdhsa_ieee_mode 1
		.amdhsa_fp16_overflow 0
		.amdhsa_tg_split 0
		.amdhsa_exception_fp_ieee_invalid_op 0
		.amdhsa_exception_fp_denorm_src 0
		.amdhsa_exception_fp_ieee_div_zero 0
		.amdhsa_exception_fp_ieee_overflow 0
		.amdhsa_exception_fp_ieee_underflow 0
		.amdhsa_exception_fp_ieee_inexact 0
		.amdhsa_exception_int_div_zero 0
	.end_amdhsa_kernel
	.section	.text._Z35paged_attention_ll4mi_reduce_kernelIDF16_hLi64ELi64ELi256ELi9EEvPT0_PKfS3_PKT_PKiS8_iS3_,"axG",@progbits,_Z35paged_attention_ll4mi_reduce_kernelIDF16_hLi64ELi64ELi256ELi9EEvPT0_PKfS3_PKT_PKiS8_iS3_,comdat
.Lfunc_end28:
	.size	_Z35paged_attention_ll4mi_reduce_kernelIDF16_hLi64ELi64ELi256ELi9EEvPT0_PKfS3_PKT_PKiS8_iS3_, .Lfunc_end28-_Z35paged_attention_ll4mi_reduce_kernelIDF16_hLi64ELi64ELi256ELi9EEvPT0_PKfS3_PKT_PKiS8_iS3_
                                        ; -- End function
	.section	.AMDGPU.csdata,"",@progbits
; Kernel info:
; codeLenInByte = 9372
; NumSgprs: 53
; NumVgprs: 92
; NumAgprs: 0
; TotalNumVgprs: 92
; ScratchSize: 0
; MemoryBound: 0
; FloatMode: 240
; IeeeMode: 1
; LDSByteSize: 2308 bytes/workgroup (compile time only)
; SGPRBlocks: 6
; VGPRBlocks: 11
; NumSGPRsForWavesPerEU: 53
; NumVGPRsForWavesPerEU: 92
; AccumOffset: 92
; Occupancy: 5
; WaveLimiterHint : 1
; COMPUTE_PGM_RSRC2:SCRATCH_EN: 0
; COMPUTE_PGM_RSRC2:USER_SGPR: 2
; COMPUTE_PGM_RSRC2:TRAP_HANDLER: 0
; COMPUTE_PGM_RSRC2:TGID_X_EN: 1
; COMPUTE_PGM_RSRC2:TGID_Y_EN: 1
; COMPUTE_PGM_RSRC2:TGID_Z_EN: 0
; COMPUTE_PGM_RSRC2:TIDIG_COMP_CNT: 0
; COMPUTE_PGM_RSRC3_GFX90A:ACCUM_OFFSET: 22
; COMPUTE_PGM_RSRC3_GFX90A:TG_SPLIT: 0
	.section	.text._Z35paged_attention_ll4mi_reduce_kernelIDF16_hLi64ELi64ELi256ELi10EEvPT0_PKfS3_PKT_PKiS8_iS3_,"axG",@progbits,_Z35paged_attention_ll4mi_reduce_kernelIDF16_hLi64ELi64ELi256ELi10EEvPT0_PKfS3_PKT_PKiS8_iS3_,comdat
	.protected	_Z35paged_attention_ll4mi_reduce_kernelIDF16_hLi64ELi64ELi256ELi10EEvPT0_PKfS3_PKT_PKiS8_iS3_ ; -- Begin function _Z35paged_attention_ll4mi_reduce_kernelIDF16_hLi64ELi64ELi256ELi10EEvPT0_PKfS3_PKT_PKiS8_iS3_
	.globl	_Z35paged_attention_ll4mi_reduce_kernelIDF16_hLi64ELi64ELi256ELi10EEvPT0_PKfS3_PKT_PKiS8_iS3_
	.p2align	8
	.type	_Z35paged_attention_ll4mi_reduce_kernelIDF16_hLi64ELi64ELi256ELi10EEvPT0_PKfS3_PKT_PKiS8_iS3_,@function
_Z35paged_attention_ll4mi_reduce_kernelIDF16_hLi64ELi64ELi256ELi10EEvPT0_PKfS3_PKT_PKiS8_iS3_: ; @_Z35paged_attention_ll4mi_reduce_kernelIDF16_hLi64ELi64ELi256ELi10EEvPT0_PKfS3_PKT_PKiS8_iS3_
; %bb.0:
	s_load_dwordx2 s[36:37], s[0:1], 0x28
	s_mov_b32 s34, s3
	s_mov_b64 s[4:5], 0
	s_waitcnt lgkmcnt(0)
	s_cmp_lg_u64 s[36:37], 0
	s_cselect_b64 s[38:39], -1, 0
	s_and_b64 vcc, exec, s[38:39]
	s_cbranch_vccz .LBB29_23
; %bb.1:
	s_add_i32 s6, s34, 1
	s_mov_b32 s7, 0
	s_lshl_b64 s[8:9], s[6:7], 2
	s_add_u32 s8, s36, s8
	s_mov_b32 s35, s7
	s_addc_u32 s9, s37, s9
	s_lshl_b64 s[6:7], s[34:35], 2
	s_add_u32 s6, s36, s6
	s_addc_u32 s7, s37, s7
	s_load_dword s3, s[8:9], 0x0
	s_load_dword s10, s[6:7], 0x0
	s_waitcnt lgkmcnt(0)
	s_sub_i32 s3, s3, s10
	s_cmp_eq_u32 s3, 1
	s_cselect_b64 s[6:7], -1, 0
	s_andn2_b64 vcc, exec, s[4:5]
	s_cbranch_vccnz .LBB29_3
.LBB29_2:
	s_mov_b32 s35, 0
	s_mov_b64 s[6:7], -1
.LBB29_3:
	s_andn2_b64 vcc, exec, s[6:7]
	s_cbranch_vccz .LBB29_5
; %bb.4:
	s_endpgm
.LBB29_5:
	s_load_dwordx4 s[24:27], s[0:1], 0x18
	s_load_dword s8, s[0:1], 0x30
	s_lshl_b64 s[40:41], s[34:35], 2
	v_cmp_lt_u32_e32 vcc, 63, v0
	s_waitcnt lgkmcnt(0)
	s_add_u32 s4, s26, s40
	s_addc_u32 s5, s27, s41
	s_load_dword s48, s[4:5], 0x0
	s_load_dword s3, s[0:1], 0x40
	s_mul_i32 s26, s2, s8
	s_mul_i32 s6, s34, s8
	s_waitcnt lgkmcnt(0)
	s_add_i32 s7, s48, 0xff
	s_ashr_i32 s4, s7, 31
	s_lshr_b32 s4, s4, 24
	s_add_i32 s7, s7, s4
	s_and_saveexec_b64 s[4:5], vcc
	s_xor_b64 s[4:5], exec, s[4:5]
	s_or_saveexec_b64 s[42:43], s[4:5]
	s_ashr_i32 s33, s7, 8
	v_mov_b32_e32 v1, s26
	s_mul_i32 s44, s6, s3
	s_xor_b64 exec, exec, s[42:43]
	s_cbranch_execz .LBB29_9
; %bb.6:
	s_add_i32 s4, s33, -1
	v_or_b32_e32 v3, 64, v0
	v_mov_b32_e32 v1, s4
	v_cmp_gt_u32_e64 s[18:19], s33, v3
	s_load_dwordx4 s[28:31], s[0:1], 0x8
	s_mov_b32 s45, 0
	v_cndmask_b32_e64 v4, v1, v3, s[18:19]
	v_or_b32_e32 v3, 0x80, v0
	v_cmp_gt_u32_e64 s[16:17], s33, v3
	s_lshl_b64 s[46:47], s[44:45], 2
	s_mov_b32 s27, s45
	v_cndmask_b32_e64 v6, v1, v3, s[16:17]
	v_or_b32_e32 v3, 0xc0, v0
	v_cmp_gt_u32_e64 s[14:15], s33, v3
	v_cmp_gt_u32_e64 s[20:21], s33, v0
	s_waitcnt lgkmcnt(0)
	s_add_u32 s22, s30, s46
	v_cndmask_b32_e64 v8, v1, v3, s[14:15]
	v_or_b32_e32 v3, 0x100, v0
	v_cmp_gt_u32_e64 s[12:13], s33, v3
	v_cndmask_b32_e64 v2, v1, v0, s[20:21]
	s_addc_u32 s23, s31, s47
	v_cndmask_b32_e64 v10, v1, v3, s[12:13]
	v_or_b32_e32 v3, 0x140, v0
	v_cmp_gt_u32_e64 s[10:11], s33, v3
	s_lshl_b64 s[30:31], s[26:27], 2
	s_add_u32 s22, s22, s30
	v_cndmask_b32_e64 v12, v1, v3, s[10:11]
	v_or_b32_e32 v3, 0x180, v0
	v_cmp_gt_u32_e64 s[8:9], s33, v3
	s_addc_u32 s23, s23, s31
	v_ashrrev_i32_e32 v5, 31, v4
	v_cndmask_b32_e64 v14, v1, v3, s[8:9]
	v_or_b32_e32 v3, 0x1c0, v0
	v_cmp_gt_u32_e64 s[6:7], s33, v3
	v_ashrrev_i32_e32 v7, 31, v6
	v_ashrrev_i32_e32 v9, 31, v8
	v_cndmask_b32_e64 v16, v1, v3, s[6:7]
	v_or_b32_e32 v3, 0x200, v0
	v_cmp_gt_u32_e64 s[4:5], s33, v3
	v_ashrrev_i32_e32 v11, 31, v10
	v_ashrrev_i32_e32 v13, 31, v12
	v_cndmask_b32_e64 v18, v1, v3, s[4:5]
	v_or_b32_e32 v3, 0x240, v0
	v_cmp_gt_u32_e32 vcc, s33, v3
	v_ashrrev_i32_e32 v15, 31, v14
	v_ashrrev_i32_e32 v17, 31, v16
	v_cndmask_b32_e32 v20, v1, v3, vcc
	v_ashrrev_i32_e32 v3, 31, v2
	v_lshlrev_b64 v[2:3], 2, v[2:3]
	v_ashrrev_i32_e32 v19, 31, v18
	v_lshl_add_u64 v[22:23], s[22:23], 0, v[2:3]
	v_lshlrev_b64 v[4:5], 2, v[4:5]
	v_lshlrev_b64 v[6:7], 2, v[6:7]
	;; [unrolled: 1-line block ×8, first 2 shown]
	v_ashrrev_i32_e32 v21, 31, v20
	v_lshl_add_u64 v[24:25], s[22:23], 0, v[4:5]
	v_lshl_add_u64 v[26:27], s[22:23], 0, v[6:7]
	;; [unrolled: 1-line block ×7, first 2 shown]
	global_load_dword v1, v[22:23], off
	global_load_dword v38, v[24:25], off
	global_load_dword v39, v[26:27], off
	global_load_dword v40, v[28:29], off
	global_load_dword v41, v[30:31], off
	global_load_dword v42, v[32:33], off
	global_load_dword v43, v[34:35], off
	global_load_dword v44, v[36:37], off
	v_lshl_add_u64 v[22:23], s[22:23], 0, v[18:19]
	v_lshlrev_b64 v[20:21], 2, v[20:21]
	v_lshl_add_u64 v[24:25], s[22:23], 0, v[20:21]
	global_load_dword v26, v[22:23], off
	global_load_dword v27, v[24:25], off
	v_mbcnt_lo_u32_b32 v22, -1, 0
	v_mbcnt_hi_u32_b32 v22, -1, v22
	v_and_b32_e32 v23, 64, v22
	v_xor_b32_e32 v24, 32, v22
	v_add_u32_e32 v23, 64, v23
	v_cmp_lt_i32_e64 s[22:23], v24, v23
	v_xor_b32_e32 v25, 16, v22
	v_xor_b32_e32 v30, 8, v22
	v_cndmask_b32_e64 v24, v22, v24, s[22:23]
	v_lshlrev_b32_e32 v24, 2, v24
	v_cmp_lt_i32_e64 s[22:23], v25, v23
	s_mov_b32 s27, 0x3fb8aa3b
	s_waitcnt vmcnt(9)
	v_max_f32_e32 v29, v1, v1
	s_waitcnt vmcnt(8)
	v_max_f32_e32 v28, v38, v38
	v_max_f32_e32 v28, v29, v28
	s_waitcnt vmcnt(6)
	v_max3_f32 v28, v28, v39, v40
	v_cndmask_b32_e64 v25, v22, v25, s[22:23]
	s_waitcnt vmcnt(4)
	v_max3_f32 v28, v28, v41, v42
	v_lshlrev_b32_e32 v25, 2, v25
	s_waitcnt vmcnt(2)
	v_max3_f32 v28, v28, v43, v44
	v_cmp_lt_i32_e64 s[22:23], v30, v23
	s_waitcnt vmcnt(0)
	v_max3_f32 v28, v28, v26, v27
	ds_bpermute_b32 v29, v24, v28
	v_cndmask_b32_e64 v30, v22, v30, s[22:23]
	v_lshlrev_b32_e32 v30, 2, v30
	s_add_u32 s22, s28, s46
	s_addc_u32 s23, s29, s47
	s_waitcnt lgkmcnt(0)
	v_max_f32_e32 v29, v29, v29
	v_max_f32_e32 v28, v28, v29
	ds_bpermute_b32 v29, v25, v28
	s_add_u32 s28, s22, s30
	s_addc_u32 s29, s23, s31
	v_lshl_add_u64 v[2:3], s[28:29], 0, v[2:3]
	global_load_dword v31, v[2:3], off
	s_waitcnt lgkmcnt(0)
	v_max_f32_e32 v29, v29, v29
	v_max_f32_e32 v28, v28, v29
	ds_bpermute_b32 v29, v30, v28
	s_waitcnt lgkmcnt(0)
	v_max_f32_e32 v2, v29, v29
	v_max_f32_e32 v28, v28, v2
	v_xor_b32_e32 v2, 4, v22
	v_cmp_lt_i32_e64 s[22:23], v2, v23
	s_nop 1
	v_cndmask_b32_e64 v2, v22, v2, s[22:23]
	v_lshlrev_b32_e32 v29, 2, v2
	ds_bpermute_b32 v2, v29, v28
	s_waitcnt lgkmcnt(0)
	v_max_f32_e32 v32, v2, v2
	v_lshl_add_u64 v[2:3], s[28:29], 0, v[4:5]
	global_load_dword v33, v[2:3], off
	v_xor_b32_e32 v3, 2, v22
	v_cmp_lt_i32_e64 s[22:23], v3, v23
	v_max_f32_e32 v2, v28, v32
	v_xor_b32_e32 v4, 1, v22
	v_cndmask_b32_e64 v3, v22, v3, s[22:23]
	v_lshlrev_b32_e32 v28, 2, v3
	ds_bpermute_b32 v3, v28, v2
	v_cmp_lt_i32_e64 s[22:23], v4, v23
	s_waitcnt lgkmcnt(0)
	v_max_f32_e32 v3, v3, v3
	v_max_f32_e32 v32, v2, v3
	v_lshl_add_u64 v[2:3], s[28:29], 0, v[6:7]
	global_load_dword v34, v[2:3], off
	v_cndmask_b32_e64 v2, v22, v4, s[22:23]
	v_lshlrev_b32_e32 v22, 2, v2
	v_lshl_add_u64 v[2:3], s[28:29], 0, v[8:9]
	v_lshl_add_u64 v[4:5], s[28:29], 0, v[10:11]
	;; [unrolled: 1-line block ×5, first 2 shown]
	global_load_dword v12, v[2:3], off
	global_load_dword v13, v[4:5], off
	;; [unrolled: 1-line block ×5, first 2 shown]
	ds_bpermute_b32 v23, v22, v32
	v_lshl_add_u64 v[2:3], s[28:29], 0, v[18:19]
	s_waitcnt lgkmcnt(0)
	v_max_f32_e32 v4, v23, v23
	v_max_f32_e32 v6, v32, v4
	v_sub_f32_e32 v1, v1, v6
	v_mul_f32_e32 v4, 0x3fb8aa3b, v1
	v_fma_f32 v5, v1, s27, -v4
	v_rndne_f32_e32 v7, v4
	v_fmac_f32_e32 v5, 0x32a5705f, v1
	v_sub_f32_e32 v4, v4, v7
	v_add_f32_e32 v4, v4, v5
	v_exp_f32_e32 v8, v4
	v_cvt_i32_f32_e32 v7, v7
	v_lshl_add_u64 v[4:5], s[28:29], 0, v[20:21]
	global_load_dword v9, v[2:3], off
	global_load_dword v10, v[4:5], off
	v_sub_f32_e32 v4, v38, v6
	v_mul_f32_e32 v5, 0x3fb8aa3b, v4
	v_ldexp_f32 v2, v8, v7
	v_fma_f32 v7, v4, s27, -v5
	v_rndne_f32_e32 v8, v5
	v_fmac_f32_e32 v7, 0x32a5705f, v4
	v_sub_f32_e32 v5, v5, v8
	v_add_f32_e32 v5, v5, v7
	v_exp_f32_e32 v5, v5
	v_cvt_i32_f32_e32 v7, v8
	s_mov_b32 s28, 0xc2ce8ed0
	v_cmp_ngt_f32_e64 s[22:23], s28, v1
	s_mov_b32 s29, 0x42b17218
	v_mov_b32_e32 v3, 0x7f800000
	v_cndmask_b32_e64 v2, 0, v2, s[22:23]
	v_cmp_nlt_f32_e64 s[22:23], s29, v1
	s_nop 1
	v_cndmask_b32_e64 v1, v3, v2, s[22:23]
	v_ldexp_f32 v2, v5, v7
	v_sub_f32_e32 v5, v39, v6
	v_mul_f32_e32 v7, 0x3fb8aa3b, v5
	v_fma_f32 v8, v5, s27, -v7
	v_rndne_f32_e32 v11, v7
	v_fmac_f32_e32 v8, 0x32a5705f, v5
	v_sub_f32_e32 v7, v7, v11
	v_add_f32_e32 v7, v7, v8
	v_exp_f32_e32 v7, v7
	v_cvt_i32_f32_e32 v8, v11
	v_cndmask_b32_e64 v1, 0, v1, s[20:21]
	v_cmp_ngt_f32_e64 s[20:21], s28, v4
	s_waitcnt vmcnt(9)
	v_mul_f32_e32 v1, v31, v1
	v_cndmask_b32_e64 v2, 0, v2, s[20:21]
	v_cmp_nlt_f32_e64 s[20:21], s29, v4
	v_ldexp_f32 v4, v7, v8
	v_sub_f32_e32 v7, v40, v6
	v_mul_f32_e32 v8, 0x3fb8aa3b, v7
	v_fma_f32 v11, v7, s27, -v8
	v_rndne_f32_e32 v17, v8
	v_fmac_f32_e32 v11, 0x32a5705f, v7
	v_sub_f32_e32 v8, v8, v17
	v_add_f32_e32 v8, v8, v11
	v_exp_f32_e32 v8, v8
	v_cvt_i32_f32_e32 v11, v17
	v_cndmask_b32_e64 v2, v3, v2, s[20:21]
	v_cndmask_b32_e64 v2, 0, v2, s[18:19]
	v_cmp_ngt_f32_e64 s[18:19], s28, v5
	s_waitcnt vmcnt(8)
	v_mul_f32_e32 v2, v33, v2
	v_cndmask_b32_e64 v4, 0, v4, s[18:19]
	v_cmp_nlt_f32_e64 s[18:19], s29, v5
	v_ldexp_f32 v5, v8, v11
	v_sub_f32_e32 v8, v41, v6
	v_mul_f32_e32 v11, 0x3fb8aa3b, v8
	v_fma_f32 v17, v8, s27, -v11
	v_rndne_f32_e32 v18, v11
	v_fmac_f32_e32 v17, 0x32a5705f, v8
	v_sub_f32_e32 v11, v11, v18
	v_add_f32_e32 v11, v11, v17
	v_cndmask_b32_e64 v4, v3, v4, s[18:19]
	v_exp_f32_e32 v11, v11
	v_cvt_i32_f32_e32 v17, v18
	v_cndmask_b32_e64 v4, 0, v4, s[16:17]
	v_cmp_ngt_f32_e64 s[16:17], s28, v7
	s_waitcnt vmcnt(7)
	v_mul_f32_e32 v4, v34, v4
	v_cndmask_b32_e64 v5, 0, v5, s[16:17]
	v_cmp_nlt_f32_e64 s[16:17], s29, v7
	v_ldexp_f32 v7, v11, v17
	v_sub_f32_e32 v11, v42, v6
	v_cndmask_b32_e64 v5, v3, v5, s[16:17]
	v_cndmask_b32_e64 v5, 0, v5, s[14:15]
	s_waitcnt vmcnt(6)
	v_mul_f32_e32 v5, v12, v5
	v_mul_f32_e32 v12, 0x3fb8aa3b, v11
	v_fma_f32 v17, v11, s27, -v12
	v_rndne_f32_e32 v18, v12
	v_fmac_f32_e32 v17, 0x32a5705f, v11
	v_sub_f32_e32 v12, v12, v18
	v_add_f32_e32 v12, v12, v17
	v_exp_f32_e32 v12, v12
	v_cvt_i32_f32_e32 v17, v18
	v_cmp_ngt_f32_e64 s[14:15], s28, v8
	s_nop 1
	v_cndmask_b32_e64 v7, 0, v7, s[14:15]
	v_cmp_nlt_f32_e64 s[14:15], s29, v8
	v_ldexp_f32 v8, v12, v17
	v_sub_f32_e32 v12, v43, v6
	v_cndmask_b32_e64 v7, v3, v7, s[14:15]
	v_cndmask_b32_e64 v7, 0, v7, s[12:13]
	s_waitcnt vmcnt(5)
	v_mul_f32_e32 v7, v13, v7
	v_mul_f32_e32 v13, 0x3fb8aa3b, v12
	v_fma_f32 v17, v12, s27, -v13
	v_rndne_f32_e32 v18, v13
	v_fmac_f32_e32 v17, 0x32a5705f, v12
	v_sub_f32_e32 v13, v13, v18
	v_add_f32_e32 v13, v13, v17
	v_exp_f32_e32 v13, v13
	v_cvt_i32_f32_e32 v17, v18
	v_cmp_ngt_f32_e64 s[12:13], s28, v11
	s_nop 1
	;; [unrolled: 18-line block ×3, first 2 shown]
	v_cndmask_b32_e64 v11, 0, v11, s[10:11]
	v_cmp_nlt_f32_e64 s[10:11], s29, v12
	v_ldexp_f32 v12, v14, v17
	v_sub_f32_e32 v14, v26, v6
	v_mul_f32_e32 v17, 0x3fb8aa3b, v14
	v_fma_f32 v18, v14, s27, -v17
	v_rndne_f32_e32 v19, v17
	v_fmac_f32_e32 v18, 0x32a5705f, v14
	v_sub_f32_e32 v17, v17, v19
	v_add_f32_e32 v17, v17, v18
	v_exp_f32_e32 v17, v17
	v_cvt_i32_f32_e32 v18, v19
	v_cndmask_b32_e64 v11, v3, v11, s[10:11]
	v_cndmask_b32_e64 v11, 0, v11, s[8:9]
	v_cmp_ngt_f32_e64 s[8:9], s28, v13
	v_sub_f32_e32 v6, v27, v6
	s_nop 0
	v_cndmask_b32_e64 v12, 0, v12, s[8:9]
	v_cmp_nlt_f32_e64 s[8:9], s29, v13
	v_ldexp_f32 v13, v17, v18
	v_mul_f32_e32 v17, 0x3fb8aa3b, v6
	v_fma_f32 v18, v6, s27, -v17
	v_rndne_f32_e32 v19, v17
	v_fmac_f32_e32 v18, 0x32a5705f, v6
	v_sub_f32_e32 v17, v17, v19
	v_add_f32_e32 v17, v17, v18
	v_cndmask_b32_e64 v12, v3, v12, s[8:9]
	v_exp_f32_e32 v17, v17
	v_cvt_i32_f32_e32 v18, v19
	v_cndmask_b32_e64 v12, 0, v12, s[6:7]
	v_cmp_ngt_f32_e64 s[6:7], s28, v14
	s_nop 1
	v_cndmask_b32_e64 v13, 0, v13, s[6:7]
	v_cmp_nlt_f32_e64 s[6:7], s29, v14
	v_ldexp_f32 v14, v17, v18
	s_nop 0
	v_cndmask_b32_e64 v13, v3, v13, s[6:7]
	v_cndmask_b32_e64 v13, 0, v13, s[4:5]
	v_cmp_ngt_f32_e64 s[4:5], s28, v6
	s_nop 1
	v_cndmask_b32_e64 v14, 0, v14, s[4:5]
	v_cmp_nlt_f32_e64 s[4:5], s29, v6
	v_add_f32_e32 v6, v1, v2
	v_add_f32_e32 v6, v6, v4
	;; [unrolled: 1-line block ×5, first 2 shown]
	s_waitcnt vmcnt(3)
	v_fmac_f32_e32 v6, v15, v11
	v_cndmask_b32_e64 v3, v3, v14, s[4:5]
	s_waitcnt vmcnt(2)
	v_fmac_f32_e32 v6, v16, v12
	v_cndmask_b32_e32 v3, 0, v3, vcc
	s_waitcnt vmcnt(1)
	v_fmac_f32_e32 v6, v9, v13
	s_waitcnt vmcnt(0)
	v_fmac_f32_e32 v6, v10, v3
	ds_bpermute_b32 v14, v24, v6
	v_mul_f32_e32 v9, v9, v13
	v_mul_f32_e32 v3, v10, v3
	v_lshlrev_b32_e32 v10, 2, v0
	ds_write2st64_b32 v10, v1, v2 offset1:1
	ds_write2st64_b32 v10, v4, v5 offset0:2 offset1:3
	s_waitcnt lgkmcnt(2)
	v_add_f32_e32 v6, v6, v14
	ds_bpermute_b32 v14, v25, v6
	v_cmp_eq_u32_e32 vcc, 0, v0
	v_mul_f32_e32 v11, v15, v11
	v_mul_f32_e32 v12, v16, v12
	ds_write2st64_b32 v10, v7, v8 offset0:4 offset1:5
	ds_write2st64_b32 v10, v11, v12 offset0:6 offset1:7
	;; [unrolled: 1-line block ×3, first 2 shown]
	s_waitcnt lgkmcnt(3)
	v_add_f32_e32 v6, v6, v14
	ds_bpermute_b32 v14, v30, v6
	s_waitcnt lgkmcnt(0)
	v_add_f32_e32 v6, v6, v14
	ds_bpermute_b32 v14, v29, v6
	;; [unrolled: 3-line block ×4, first 2 shown]
	s_and_saveexec_b64 s[4:5], vcc
	s_cbranch_execz .LBB29_8
; %bb.7:
	s_waitcnt lgkmcnt(0)
	v_add_f32_e32 v1, v1, v2
	v_mov_b32_e32 v2, 0
	ds_write_b32 v2, v1 offset:2560
.LBB29_8:
	s_or_b64 exec, exec, s[4:5]
	v_mov_b32_e32 v1, s26
.LBB29_9:
	s_or_b64 exec, exec, s[42:43]
	s_lshl_b32 s4, s44, 6
	s_mov_b32 s5, 0
	s_lshl_b64 s[4:5], s[4:5], 1
	s_add_u32 s4, s24, s4
	s_addc_u32 s5, s25, s5
	s_lshl_b32 s10, s33, 6
	s_waitcnt lgkmcnt(0)
	v_lshlrev_b32_e32 v2, 6, v1
	v_mov_b32_e32 v1, 0
	s_sub_i32 s11, s10, 64
	v_mov_b32_e32 v3, v1
	s_cmp_lt_i32 s48, 1
	v_lshl_add_u64 v[2:3], v[2:3], 1, s[4:5]
	s_cselect_b32 s4, s11, 0
	v_lshlrev_b32_e32 v4, 1, v0
	v_mov_b32_e32 v5, v1
	s_ashr_i32 s5, s4, 31
	v_lshl_add_u64 v[2:3], v[2:3], 0, v[4:5]
	s_cmpk_lt_i32 s48, 0x101
	v_lshl_add_u64 v[12:13], s[4:5], 1, v[2:3]
	s_cselect_b32 s4, s11, 64
	s_ashr_i32 s5, s4, 31
	s_cmpk_lt_i32 s48, 0x201
	v_lshl_add_u64 v[14:15], s[4:5], 1, v[2:3]
	s_cselect_b32 s4, s11, 0x80
	s_ashr_i32 s5, s4, 31
	;; [unrolled: 4-line block ×8, first 2 shown]
	s_cmpk_lt_i32 s48, 0x901
	global_load_ushort v4, v[12:13], off
	global_load_ushort v5, v[14:15], off
	;; [unrolled: 1-line block ×8, first 2 shown]
	v_lshl_add_u64 v[20:21], s[4:5], 1, v[2:3]
	s_cselect_b32 s4, s11, 0x240
	s_ashr_i32 s5, s4, 31
	s_cmpk_lt_i32 s48, 0xa01
	v_lshl_add_u64 v[22:23], s[4:5], 1, v[2:3]
	s_cselect_b32 s4, s11, 0x280
	s_ashr_i32 s5, s4, 31
	s_cmpk_lt_i32 s48, 0xb01
	;; [unrolled: 4-line block ×6, first 2 shown]
	v_lshl_add_u64 v[32:33], s[4:5], 1, v[2:3]
	s_cselect_b32 s4, s11, 0x3c0
	s_ashr_i32 s5, s4, 31
	v_lshl_add_u64 v[34:35], s[4:5], 1, v[2:3]
	global_load_ushort v12, v[20:21], off
	global_load_ushort v13, v[22:23], off
	;; [unrolled: 1-line block ×8, first 2 shown]
	s_cmpk_gt_i32 s48, 0x1000
	s_cselect_b64 s[8:9], -1, 0
	s_cmpk_lt_i32 s48, 0x1001
	v_mov_b32_e32 v36, 0
	v_mov_b32_e32 v37, 0
	;; [unrolled: 1-line block ×48, first 2 shown]
	s_waitcnt lgkmcnt(0)
	; wave barrier
	s_cbranch_scc1 .LBB29_12
; %bb.10:
	s_cmpk_lt_u32 s48, 0x1101
	s_cselect_b32 s4, s11, 0x440
	s_ashr_i32 s5, s4, 31
	s_cmpk_lt_u32 s48, 0x1201
	v_lshl_add_u64 v[28:29], s[4:5], 1, v[2:3]
	s_cselect_b32 s4, s11, 0x480
	s_ashr_i32 s5, s4, 31
	s_cmpk_lt_u32 s48, 0x1301
	v_lshl_add_u64 v[30:31], s[4:5], 1, v[2:3]
	;; [unrolled: 4-line block ×7, first 2 shown]
	s_cselect_b32 s4, s11, 0x600
	s_ashr_i32 s5, s4, 31
	s_cmpk_lt_u32 s48, 0x1901
	global_load_ushort v27, v[2:3], off offset:2048
	global_load_ushort v26, v[28:29], off
	global_load_ushort v25, v[30:31], off
	;; [unrolled: 1-line block ×7, first 2 shown]
	v_lshl_add_u64 v[36:37], s[4:5], 1, v[2:3]
	s_cselect_b32 s4, s11, 0x640
	s_ashr_i32 s5, s4, 31
	s_cmpk_lt_u32 s48, 0x1a01
	v_lshl_add_u64 v[38:39], s[4:5], 1, v[2:3]
	s_cselect_b32 s4, s11, 0x680
	s_ashr_i32 s5, s4, 31
	s_cmpk_lt_u32 s48, 0x1b01
	;; [unrolled: 4-line block ×6, first 2 shown]
	v_lshl_add_u64 v[48:49], s[4:5], 1, v[2:3]
	s_cselect_b32 s4, s11, 0x7c0
	s_ashr_i32 s5, s4, 31
	v_lshl_add_u64 v[50:51], s[4:5], 1, v[2:3]
	global_load_ushort v35, v[36:37], off
	global_load_ushort v34, v[38:39], off
	;; [unrolled: 1-line block ×8, first 2 shown]
	s_cmpk_lt_u32 s48, 0x2001
	v_mov_b32_e32 v67, 0
	v_mov_b32_e32 v66, 0
	;; [unrolled: 1-line block ×32, first 2 shown]
	s_cbranch_scc1 .LBB29_12
; %bb.11:
	s_cmpk_lt_u32 s48, 0x2101
	s_cselect_b32 s4, s11, 0x840
	s_ashr_i32 s5, s4, 31
	s_cmpk_lt_u32 s48, 0x2201
	v_lshl_add_u64 v[38:39], s[4:5], 1, v[2:3]
	s_cselect_b32 s4, s11, 0x880
	s_ashr_i32 s5, s4, 31
	s_cmpk_lt_u32 s48, 0x2301
	v_lshl_add_u64 v[40:41], s[4:5], 1, v[2:3]
	;; [unrolled: 4-line block ×7, first 2 shown]
	s_cselect_b32 s4, s11, 0xa00
	v_add_co_u32_e32 v36, vcc, 0x1000, v2
	s_ashr_i32 s5, s4, 31
	s_nop 0
	v_addc_co_u32_e32 v37, vcc, 0, v3, vcc
	s_cmpk_lt_u32 s48, 0x2901
	global_load_ushort v52, v[36:37], off
	global_load_ushort v53, v[38:39], off
	global_load_ushort v54, v[40:41], off
	global_load_ushort v55, v[42:43], off
	global_load_ushort v56, v[44:45], off
	global_load_ushort v57, v[46:47], off
	global_load_ushort v58, v[48:49], off
	global_load_ushort v59, v[50:51], off
	v_lshl_add_u64 v[36:37], s[4:5], 1, v[2:3]
	s_cselect_b32 s4, s11, 0xa40
	s_ashr_i32 s5, s4, 31
	s_cmpk_lt_u32 s48, 0x2a01
	v_lshl_add_u64 v[38:39], s[4:5], 1, v[2:3]
	s_cselect_b32 s4, s11, 0xa80
	s_ashr_i32 s5, s4, 31
	s_cmpk_lt_u32 s48, 0x2b01
	;; [unrolled: 4-line block ×8, first 2 shown]
	global_load_ushort v68, v[36:37], off
	global_load_ushort v69, v[38:39], off
	;; [unrolled: 1-line block ×8, first 2 shown]
	v_lshl_add_u64 v[36:37], s[4:5], 1, v[2:3]
	s_cselect_b32 s4, s11, 0xc40
	s_ashr_i32 s5, s4, 31
	s_cmpk_lt_u32 s48, 0x3201
	v_lshl_add_u64 v[38:39], s[4:5], 1, v[2:3]
	s_cselect_b32 s4, s11, 0xc80
	s_ashr_i32 s5, s4, 31
	s_cmpk_lt_u32 s48, 0x3301
	;; [unrolled: 4-line block ×8, first 2 shown]
	global_load_ushort v76, v[36:37], off
	global_load_ushort v77, v[38:39], off
	;; [unrolled: 1-line block ×8, first 2 shown]
	v_lshl_add_u64 v[36:37], s[4:5], 1, v[2:3]
	s_cselect_b32 s4, s11, 0xe40
	s_ashr_i32 s5, s4, 31
	s_cmpk_lt_u32 s48, 0x3a01
	v_lshl_add_u64 v[38:39], s[4:5], 1, v[2:3]
	s_cselect_b32 s4, s11, 0xe80
	s_ashr_i32 s5, s4, 31
	s_cmpk_lt_u32 s48, 0x3b01
	;; [unrolled: 4-line block ×6, first 2 shown]
	v_lshl_add_u64 v[48:49], s[4:5], 1, v[2:3]
	s_cselect_b32 s4, s11, 0xfc0
	s_ashr_i32 s5, s4, 31
	v_lshl_add_u64 v[50:51], s[4:5], 1, v[2:3]
	global_load_ushort v84, v[36:37], off
	global_load_ushort v85, v[38:39], off
	;; [unrolled: 1-line block ×8, first 2 shown]
	s_waitcnt vmcnt(31)
	v_cvt_f32_f16_e32 v67, v52
	s_waitcnt vmcnt(30)
	v_cvt_f32_f16_e32 v66, v53
	;; [unrolled: 2-line block ×32, first 2 shown]
.LBB29_12:
	ds_read_b128 v[68:71], v1
	s_load_dwordx2 s[4:5], s[0:1], 0x0
	s_load_dwordx2 s[6:7], s[0:1], 0x38
	ds_read_b128 v[72:75], v1 offset:16
	ds_read_b128 v[76:79], v1 offset:32
	;; [unrolled: 1-line block ×3, first 2 shown]
	s_and_b64 vcc, exec, s[8:9]
	s_waitcnt vmcnt(15) lgkmcnt(0)
	v_fma_mix_f32 v4, v68, v4, 0 op_sel_hi:[0,1,0]
	s_waitcnt vmcnt(14)
	v_fma_mix_f32 v4, v69, v5, v4 op_sel_hi:[0,1,0]
	s_waitcnt vmcnt(13)
	;; [unrolled: 2-line block ×15, first 2 shown]
	v_fma_mix_f32 v4, v83, v19, v4 op_sel_hi:[0,1,0]
	s_cbranch_vccz .LBB29_15
; %bb.13:
	ds_read_b128 v[6:9], v1 offset:64
	ds_read_b128 v[10:13], v1 offset:80
	;; [unrolled: 1-line block ×4, first 2 shown]
	s_cmpk_lt_u32 s48, 0x2001
	s_waitcnt lgkmcnt(3)
	v_fma_mix_f32 v4, v6, v27, v4 op_sel_hi:[0,1,0]
	v_fma_mix_f32 v4, v7, v26, v4 op_sel_hi:[0,1,0]
	v_fma_mix_f32 v4, v8, v25, v4 op_sel_hi:[0,1,0]
	v_fma_mix_f32 v4, v9, v24, v4 op_sel_hi:[0,1,0]
	s_waitcnt lgkmcnt(2)
	v_fma_mix_f32 v4, v10, v23, v4 op_sel_hi:[0,1,0]
	v_fma_mix_f32 v4, v11, v22, v4 op_sel_hi:[0,1,0]
	v_fma_mix_f32 v4, v12, v21, v4 op_sel_hi:[0,1,0]
	v_fma_mix_f32 v4, v13, v20, v4 op_sel_hi:[0,1,0]
	;; [unrolled: 5-line block ×4, first 2 shown]
	s_cbranch_scc1 .LBB29_15
; %bb.14:
	v_mov_b32_e32 v5, 0
	ds_read_b128 v[6:9], v5 offset:128
	ds_read_b128 v[10:13], v5 offset:144
	;; [unrolled: 1-line block ×4, first 2 shown]
	s_waitcnt lgkmcnt(3)
	v_fmac_f32_e32 v4, v6, v67
	v_fmac_f32_e32 v4, v7, v66
	v_fmac_f32_e32 v4, v8, v65
	v_fmac_f32_e32 v4, v9, v64
	s_waitcnt lgkmcnt(2)
	v_fmac_f32_e32 v4, v10, v63
	v_fmac_f32_e32 v4, v11, v62
	v_fmac_f32_e32 v4, v12, v61
	v_fmac_f32_e32 v4, v13, v60
	;; [unrolled: 5-line block ×3, first 2 shown]
	ds_read_b128 v[6:9], v5 offset:192
	ds_read_b128 v[10:13], v5 offset:208
	s_waitcnt lgkmcnt(2)
	v_fmac_f32_e32 v4, v18, v55
	v_fmac_f32_e32 v4, v19, v54
	;; [unrolled: 1-line block ×4, first 2 shown]
	s_waitcnt lgkmcnt(1)
	v_fmac_f32_e32 v4, v6, v51
	v_fmac_f32_e32 v4, v7, v50
	;; [unrolled: 1-line block ×4, first 2 shown]
	ds_read_b128 v[6:9], v5 offset:224
	s_waitcnt lgkmcnt(1)
	v_fmac_f32_e32 v4, v10, v47
	v_fmac_f32_e32 v4, v11, v46
	;; [unrolled: 1-line block ×4, first 2 shown]
	ds_read_b128 v[10:13], v5 offset:240
	s_waitcnt lgkmcnt(1)
	v_fmac_f32_e32 v4, v6, v43
	v_fmac_f32_e32 v4, v7, v42
	;; [unrolled: 1-line block ×4, first 2 shown]
	s_waitcnt lgkmcnt(0)
	v_fmac_f32_e32 v4, v10, v39
	v_fmac_f32_e32 v4, v11, v38
	v_fmac_f32_e32 v4, v12, v37
	v_fmac_f32_e32 v4, v13, v36
.LBB29_15:
	s_movk_i32 s0, 0x1fc0
	s_movk_i32 s1, 0x100
	s_mov_b32 s8, 64
	s_branch .LBB29_17
.LBB29_16:                              ;   in Loop: Header=BB29_17 Depth=1
	s_addk_i32 s0, 0x1000
	s_addk_i32 s1, 0x100
	s_add_i32 s8, s8, 64
	s_cmpk_eq_u32 s0, 0xafc0
	s_cbranch_scc1 .LBB29_19
.LBB29_17:                              ; =>This Inner Loop Header: Depth=1
	s_cmp_le_i32 s33, s8
	s_cbranch_scc1 .LBB29_16
; %bb.18:                               ;   in Loop: Header=BB29_17 Depth=1
	s_add_i32 s9, s0, 0xfffff040
	s_cmp_lt_i32 s9, s10
	s_cselect_b32 s12, s9, s11
	s_ashr_i32 s13, s12, 31
	s_add_i32 s9, s0, 0xfffff080
	s_cmp_lt_i32 s9, s10
	v_lshl_add_u64 v[14:15], s[12:13], 1, v[2:3]
	s_cselect_b32 s12, s9, s11
	s_ashr_i32 s13, s12, 31
	s_add_i32 s9, s0, 0xfffff0c0
	s_cmp_lt_i32 s9, s10
	v_lshl_add_u64 v[16:17], s[12:13], 1, v[2:3]
	;; [unrolled: 5-line block ×8, first 2 shown]
	s_cselect_b32 s12, s9, s11
	s_ashr_i32 s13, s12, 31
	s_add_i32 s9, s0, 0xfffff280
	s_cmp_lt_i32 s9, s10
	global_load_ushort v5, v[14:15], off
	global_load_ushort v6, v[16:17], off
	global_load_ushort v7, v[18:19], off
	global_load_ushort v8, v[20:21], off
	global_load_ushort v9, v[22:23], off
	global_load_ushort v10, v[24:25], off
	global_load_ushort v11, v[26:27], off
	global_load_ushort v12, v[28:29], off
	v_lshl_add_u64 v[14:15], s[12:13], 1, v[2:3]
	s_cselect_b32 s12, s9, s11
	s_ashr_i32 s13, s12, 31
	s_add_i32 s9, s0, 0xfffff2c0
	s_cmp_lt_i32 s9, s10
	v_lshl_add_u64 v[16:17], s[12:13], 1, v[2:3]
	s_cselect_b32 s12, s9, s11
	s_ashr_i32 s13, s12, 31
	s_add_i32 s9, s0, 0xfffff300
	s_cmp_lt_i32 s9, s10
	v_lshl_add_u64 v[18:19], s[12:13], 1, v[2:3]
	s_cselect_b32 s12, s9, s11
	s_ashr_i32 s13, s12, 31
	s_add_i32 s9, s0, 0xfffff340
	s_cmp_lt_i32 s9, s10
	v_lshl_add_u64 v[20:21], s[12:13], 1, v[2:3]
	s_cselect_b32 s12, s9, s11
	s_ashr_i32 s13, s12, 31
	s_add_i32 s9, s0, 0xfffff380
	s_cmp_lt_i32 s9, s10
	v_lshl_add_u64 v[22:23], s[12:13], 1, v[2:3]
	s_cselect_b32 s12, s9, s11
	s_ashr_i32 s13, s12, 31
	s_add_i32 s9, s0, 0xfffff3c0
	s_cmp_lt_i32 s9, s10
	v_lshl_add_u64 v[24:25], s[12:13], 1, v[2:3]
	s_cselect_b32 s12, s9, s11
	s_ashr_i32 s13, s12, 31
	s_add_i32 s9, s0, 0xfffff400
	s_cmp_lt_i32 s9, s10
	v_lshl_add_u64 v[26:27], s[12:13], 1, v[2:3]
	s_cselect_b32 s12, s9, s11
	s_ashr_i32 s13, s12, 31
	s_add_i32 s9, s0, 0xfffff440
	s_cmp_lt_i32 s9, s10
	v_lshl_add_u64 v[28:29], s[12:13], 1, v[2:3]
	s_cselect_b32 s12, s9, s11
	s_ashr_i32 s13, s12, 31
	s_add_i32 s9, s0, 0xfffff480
	s_cmp_lt_i32 s9, s10
	global_load_ushort v13, v[14:15], off
	global_load_ushort v30, v[16:17], off
	global_load_ushort v31, v[18:19], off
	global_load_ushort v32, v[20:21], off
	global_load_ushort v33, v[22:23], off
	global_load_ushort v34, v[24:25], off
	global_load_ushort v35, v[26:27], off
	global_load_ushort v36, v[28:29], off
	v_lshl_add_u64 v[14:15], s[12:13], 1, v[2:3]
	s_cselect_b32 s12, s9, s11
	s_ashr_i32 s13, s12, 31
	s_add_i32 s9, s0, 0xfffff4c0
	s_cmp_lt_i32 s9, s10
	v_lshl_add_u64 v[16:17], s[12:13], 1, v[2:3]
	s_cselect_b32 s12, s9, s11
	s_ashr_i32 s13, s12, 31
	s_add_i32 s9, s0, 0xfffff500
	s_cmp_lt_i32 s9, s10
	v_lshl_add_u64 v[18:19], s[12:13], 1, v[2:3]
	s_cselect_b32 s12, s9, s11
	s_ashr_i32 s13, s12, 31
	s_add_i32 s9, s0, 0xfffff540
	s_cmp_lt_i32 s9, s10
	v_lshl_add_u64 v[20:21], s[12:13], 1, v[2:3]
	s_cselect_b32 s12, s9, s11
	s_ashr_i32 s13, s12, 31
	s_add_i32 s9, s0, 0xfffff580
	s_cmp_lt_i32 s9, s10
	v_lshl_add_u64 v[22:23], s[12:13], 1, v[2:3]
	s_cselect_b32 s12, s9, s11
	s_ashr_i32 s13, s12, 31
	s_add_i32 s9, s0, 0xfffff5c0
	s_cmp_lt_i32 s9, s10
	v_lshl_add_u64 v[24:25], s[12:13], 1, v[2:3]
	s_cselect_b32 s12, s9, s11
	s_ashr_i32 s13, s12, 31
	s_add_i32 s9, s0, 0xfffff600
	s_cmp_lt_i32 s9, s10
	v_lshl_add_u64 v[26:27], s[12:13], 1, v[2:3]
	s_cselect_b32 s12, s9, s11
	s_ashr_i32 s13, s12, 31
	s_add_i32 s9, s0, 0xfffff640
	s_cmp_lt_i32 s9, s10
	v_lshl_add_u64 v[28:29], s[12:13], 1, v[2:3]
	;; [unrolled: 48-line block ×6, first 2 shown]
	s_cselect_b32 s12, s9, s11
	s_ashr_i32 s13, s12, 31
	s_add_i32 s9, s0, 0xfffffe80
	s_cmp_lt_i32 s9, s10
	global_load_ushort v69, v[14:15], off
	global_load_ushort v70, v[16:17], off
	;; [unrolled: 1-line block ×8, first 2 shown]
	v_lshl_add_u64 v[14:15], s[12:13], 1, v[2:3]
	s_cselect_b32 s12, s9, s11
	s_ashr_i32 s13, s12, 31
	s_add_i32 s9, s0, 0xfffffec0
	s_cmp_lt_i32 s9, s10
	v_lshl_add_u64 v[16:17], s[12:13], 1, v[2:3]
	s_cselect_b32 s12, s9, s11
	s_ashr_i32 s13, s12, 31
	s_add_i32 s9, s0, 0xffffff00
	s_cmp_lt_i32 s9, s10
	;; [unrolled: 5-line block ×4, first 2 shown]
	v_lshl_add_u64 v[22:23], s[12:13], 1, v[2:3]
	s_cselect_b32 s12, s9, s11
	s_ashr_i32 s13, s12, 31
	s_sub_i32 s9, s0, 64
	s_cmp_lt_i32 s9, s10
	v_lshl_add_u64 v[24:25], s[12:13], 1, v[2:3]
	s_cselect_b32 s12, s9, s11
	s_ashr_i32 s13, s12, 31
	s_cmp_lt_i32 s0, s10
	v_lshl_add_u64 v[26:27], s[12:13], 1, v[2:3]
	s_cselect_b32 s12, s0, s11
	s_ashr_i32 s13, s12, 31
	v_lshl_add_u64 v[28:29], s[12:13], 1, v[2:3]
	global_load_ushort v77, v[14:15], off
	global_load_ushort v78, v[16:17], off
	;; [unrolled: 1-line block ×8, first 2 shown]
	v_mov_b32_e32 v85, s1
	ds_read_b128 v[14:17], v85
	ds_read_b128 v[18:21], v85 offset:16
	ds_read_b128 v[22:25], v85 offset:32
	;; [unrolled: 1-line block ×3, first 2 shown]
	s_waitcnt vmcnt(62) lgkmcnt(3)
	v_fma_mix_f32 v4, v14, v5, v4 op_sel_hi:[0,1,0]
	v_fma_mix_f32 v4, v15, v6, v4 op_sel_hi:[0,1,0]
	s_waitcnt vmcnt(61)
	v_fma_mix_f32 v4, v16, v7, v4 op_sel_hi:[0,1,0]
	s_waitcnt vmcnt(60)
	v_fma_mix_f32 v4, v17, v8, v4 op_sel_hi:[0,1,0]
	s_waitcnt vmcnt(59) lgkmcnt(2)
	v_fma_mix_f32 v4, v18, v9, v4 op_sel_hi:[0,1,0]
	s_waitcnt vmcnt(58)
	v_fma_mix_f32 v4, v19, v10, v4 op_sel_hi:[0,1,0]
	s_waitcnt vmcnt(57)
	v_fma_mix_f32 v4, v20, v11, v4 op_sel_hi:[0,1,0]
	s_waitcnt vmcnt(56)
	v_fma_mix_f32 v4, v21, v12, v4 op_sel_hi:[0,1,0]
	s_waitcnt vmcnt(55) lgkmcnt(1)
	v_fma_mix_f32 v4, v22, v13, v4 op_sel_hi:[0,1,0]
	s_waitcnt vmcnt(54)
	v_fma_mix_f32 v4, v23, v30, v4 op_sel_hi:[0,1,0]
	s_waitcnt vmcnt(53)
	v_fma_mix_f32 v4, v24, v31, v4 op_sel_hi:[0,1,0]
	s_waitcnt vmcnt(52)
	v_fma_mix_f32 v4, v25, v32, v4 op_sel_hi:[0,1,0]
	s_waitcnt vmcnt(51) lgkmcnt(0)
	v_fma_mix_f32 v8, v26, v33, v4 op_sel_hi:[0,1,0]
	ds_read_b128 v[4:7], v85 offset:64
	s_waitcnt vmcnt(50)
	v_fma_mix_f32 v8, v27, v34, v8 op_sel_hi:[0,1,0]
	s_waitcnt vmcnt(49)
	v_fma_mix_f32 v8, v28, v35, v8 op_sel_hi:[0,1,0]
	s_waitcnt vmcnt(48)
	v_fma_mix_f32 v12, v29, v36, v8 op_sel_hi:[0,1,0]
	ds_read_b128 v[8:11], v85 offset:80
	s_waitcnt vmcnt(47) lgkmcnt(1)
	v_fma_mix_f32 v4, v4, v37, v12 op_sel_hi:[0,1,0]
	s_waitcnt vmcnt(46)
	v_fma_mix_f32 v4, v5, v38, v4 op_sel_hi:[0,1,0]
	s_waitcnt vmcnt(45)
	v_fma_mix_f32 v4, v6, v39, v4 op_sel_hi:[0,1,0]
	s_waitcnt vmcnt(44)
	v_fma_mix_f32 v4, v7, v40, v4 op_sel_hi:[0,1,0]
	s_waitcnt vmcnt(43) lgkmcnt(0)
	v_fma_mix_f32 v8, v8, v41, v4 op_sel_hi:[0,1,0]
	ds_read_b128 v[4:7], v85 offset:96
	s_waitcnt vmcnt(42)
	v_fma_mix_f32 v8, v9, v42, v8 op_sel_hi:[0,1,0]
	s_waitcnt vmcnt(41)
	v_fma_mix_f32 v8, v10, v43, v8 op_sel_hi:[0,1,0]
	s_waitcnt vmcnt(40)
	v_fma_mix_f32 v12, v11, v44, v8 op_sel_hi:[0,1,0]
	ds_read_b128 v[8:11], v85 offset:112
	;; [unrolled: 18-line block ×6, first 2 shown]
	s_waitcnt vmcnt(7) lgkmcnt(1)
	v_fma_mix_f32 v4, v4, v77, v12 op_sel_hi:[0,1,0]
	s_waitcnt vmcnt(6)
	v_fma_mix_f32 v4, v5, v78, v4 op_sel_hi:[0,1,0]
	s_waitcnt vmcnt(5)
	;; [unrolled: 2-line block ×3, first 2 shown]
	v_fma_mix_f32 v4, v7, v80, v4 op_sel_hi:[0,1,0]
	s_waitcnt vmcnt(3) lgkmcnt(0)
	v_fma_mix_f32 v4, v8, v81, v4 op_sel_hi:[0,1,0]
	s_waitcnt vmcnt(2)
	v_fma_mix_f32 v4, v9, v82, v4 op_sel_hi:[0,1,0]
	s_waitcnt vmcnt(1)
	;; [unrolled: 2-line block ×3, first 2 shown]
	v_fma_mix_f32 v4, v11, v84, v4 op_sel_hi:[0,1,0]
	s_branch .LBB29_16
.LBB29_19:
	v_mov_b32_e32 v2, 0
	ds_read_b32 v2, v2 offset:2560
	s_cmp_lg_u64 s[6:7], 0
	s_cbranch_scc0 .LBB29_24
; %bb.20:
	s_load_dword s6, s[6:7], 0x0
	s_waitcnt lgkmcnt(0)
	v_div_scale_f32 v3, s[0:1], s6, s6, 1.0
	v_rcp_f32_e32 v5, v3
	v_div_scale_f32 v6, vcc, 1.0, s6, 1.0
	v_fma_f32 v7, -v3, v5, 1.0
	v_fmac_f32_e32 v5, v7, v5
	v_mul_f32_e32 v7, v6, v5
	v_fma_f32 v8, -v3, v7, v6
	v_fmac_f32_e32 v7, v8, v5
	v_fma_f32 v3, -v3, v7, v6
	v_div_fmas_f32 v3, v3, v5, v7
	v_div_fixup_f32 v3, v3, s6, 1.0
	s_andn2_b64 vcc, exec, s[38:39]
	s_cbranch_vccnz .LBB29_22
.LBB29_21:
	s_add_u32 s0, s36, s40
	s_addc_u32 s1, s37, s41
	s_load_dword s34, s[0:1], 0x0
	s_mov_b32 s35, 0
.LBB29_22:
	s_waitcnt lgkmcnt(0)
	v_add_f32_e32 v2, 0x358637bd, v2
	v_div_scale_f32 v5, s[0:1], v2, v2, 1.0
	v_rcp_f32_e32 v6, v5
	v_div_scale_f32 v7, vcc, 1.0, v2, 1.0
	s_mul_i32 s0, s3, s35
	v_fma_f32 v8, -v5, v6, 1.0
	v_fmac_f32_e32 v6, v8, v6
	v_mul_f32_e32 v8, v7, v6
	v_fma_f32 v9, -v5, v8, v7
	v_fmac_f32_e32 v8, v9, v6
	v_fma_f32 v5, -v5, v8, v7
	s_mul_hi_u32 s1, s3, s34
	v_div_fmas_f32 v5, v5, v6, v8
	s_add_i32 s1, s1, s0
	s_mul_i32 s0, s3, s34
	v_div_fixup_f32 v2, v5, v2, 1.0
	s_lshl_b64 s[0:1], s[0:1], 6
	v_mul_f32_e32 v2, v4, v2
	s_add_u32 s4, s4, s0
	s_mov_b32 s3, 0
	v_mul_f32_e32 v2, v2, v3
	s_addc_u32 s5, s5, s1
	s_lshl_b64 s[0:1], s[2:3], 6
	s_mov_b32 s2, 0x7f800000
	s_mov_b32 s3, 0x43700000
	v_mov_b32_e32 v3, 0xc3700000
	v_med3_f32 v3, v2, s3, v3
	v_cmp_nlg_f32_e64 vcc, |v2|, s2
	s_add_u32 s0, s4, s0
	s_addc_u32 s1, s5, s1
	v_cndmask_b32_e32 v2, v3, v2, vcc
	v_mov_b32_e32 v3, 0
	v_cvt_pk_fp8_f32 v3, v2, v2
	v_lshl_add_u64 v[0:1], s[0:1], 0, v[0:1]
	global_store_byte v[0:1], v3, off
	s_endpgm
.LBB29_23:
	s_mov_b64 s[6:7], 0
	s_branch .LBB29_2
.LBB29_24:
	v_mov_b32_e32 v3, 1.0
	s_andn2_b64 vcc, exec, s[38:39]
	s_cbranch_vccz .LBB29_21
	s_branch .LBB29_22
	.section	.rodata,"a",@progbits
	.p2align	6, 0x0
	.amdhsa_kernel _Z35paged_attention_ll4mi_reduce_kernelIDF16_hLi64ELi64ELi256ELi10EEvPT0_PKfS3_PKT_PKiS8_iS3_
		.amdhsa_group_segment_fixed_size 2564
		.amdhsa_private_segment_fixed_size 0
		.amdhsa_kernarg_size 320
		.amdhsa_user_sgpr_count 2
		.amdhsa_user_sgpr_dispatch_ptr 0
		.amdhsa_user_sgpr_queue_ptr 0
		.amdhsa_user_sgpr_kernarg_segment_ptr 1
		.amdhsa_user_sgpr_dispatch_id 0
		.amdhsa_user_sgpr_kernarg_preload_length 0
		.amdhsa_user_sgpr_kernarg_preload_offset 0
		.amdhsa_user_sgpr_private_segment_size 0
		.amdhsa_uses_dynamic_stack 0
		.amdhsa_enable_private_segment 0
		.amdhsa_system_sgpr_workgroup_id_x 1
		.amdhsa_system_sgpr_workgroup_id_y 1
		.amdhsa_system_sgpr_workgroup_id_z 0
		.amdhsa_system_sgpr_workgroup_info 0
		.amdhsa_system_vgpr_workitem_id 0
		.amdhsa_next_free_vgpr 92
		.amdhsa_next_free_sgpr 49
		.amdhsa_accum_offset 92
		.amdhsa_reserve_vcc 1
		.amdhsa_float_round_mode_32 0
		.amdhsa_float_round_mode_16_64 0
		.amdhsa_float_denorm_mode_32 3
		.amdhsa_float_denorm_mode_16_64 3
		.amdhsa_dx10_clamp 1
		.amdhsa_ieee_mode 1
		.amdhsa_fp16_overflow 0
		.amdhsa_tg_split 0
		.amdhsa_exception_fp_ieee_invalid_op 0
		.amdhsa_exception_fp_denorm_src 0
		.amdhsa_exception_fp_ieee_div_zero 0
		.amdhsa_exception_fp_ieee_overflow 0
		.amdhsa_exception_fp_ieee_underflow 0
		.amdhsa_exception_fp_ieee_inexact 0
		.amdhsa_exception_int_div_zero 0
	.end_amdhsa_kernel
	.section	.text._Z35paged_attention_ll4mi_reduce_kernelIDF16_hLi64ELi64ELi256ELi10EEvPT0_PKfS3_PKT_PKiS8_iS3_,"axG",@progbits,_Z35paged_attention_ll4mi_reduce_kernelIDF16_hLi64ELi64ELi256ELi10EEvPT0_PKfS3_PKT_PKiS8_iS3_,comdat
.Lfunc_end29:
	.size	_Z35paged_attention_ll4mi_reduce_kernelIDF16_hLi64ELi64ELi256ELi10EEvPT0_PKfS3_PKT_PKiS8_iS3_, .Lfunc_end29-_Z35paged_attention_ll4mi_reduce_kernelIDF16_hLi64ELi64ELi256ELi10EEvPT0_PKfS3_PKT_PKiS8_iS3_
                                        ; -- End function
	.section	.AMDGPU.csdata,"",@progbits
; Kernel info:
; codeLenInByte = 9592
; NumSgprs: 55
; NumVgprs: 92
; NumAgprs: 0
; TotalNumVgprs: 92
; ScratchSize: 0
; MemoryBound: 0
; FloatMode: 240
; IeeeMode: 1
; LDSByteSize: 2564 bytes/workgroup (compile time only)
; SGPRBlocks: 6
; VGPRBlocks: 11
; NumSGPRsForWavesPerEU: 55
; NumVGPRsForWavesPerEU: 92
; AccumOffset: 92
; Occupancy: 5
; WaveLimiterHint : 1
; COMPUTE_PGM_RSRC2:SCRATCH_EN: 0
; COMPUTE_PGM_RSRC2:USER_SGPR: 2
; COMPUTE_PGM_RSRC2:TRAP_HANDLER: 0
; COMPUTE_PGM_RSRC2:TGID_X_EN: 1
; COMPUTE_PGM_RSRC2:TGID_Y_EN: 1
; COMPUTE_PGM_RSRC2:TGID_Z_EN: 0
; COMPUTE_PGM_RSRC2:TIDIG_COMP_CNT: 0
; COMPUTE_PGM_RSRC3_GFX90A:ACCUM_OFFSET: 22
; COMPUTE_PGM_RSRC3_GFX90A:TG_SPLIT: 0
	.section	.text._Z35paged_attention_ll4mi_reduce_kernelIDF16_hLi64ELi64ELi256ELi11EEvPT0_PKfS3_PKT_PKiS8_iS3_,"axG",@progbits,_Z35paged_attention_ll4mi_reduce_kernelIDF16_hLi64ELi64ELi256ELi11EEvPT0_PKfS3_PKT_PKiS8_iS3_,comdat
	.protected	_Z35paged_attention_ll4mi_reduce_kernelIDF16_hLi64ELi64ELi256ELi11EEvPT0_PKfS3_PKT_PKiS8_iS3_ ; -- Begin function _Z35paged_attention_ll4mi_reduce_kernelIDF16_hLi64ELi64ELi256ELi11EEvPT0_PKfS3_PKT_PKiS8_iS3_
	.globl	_Z35paged_attention_ll4mi_reduce_kernelIDF16_hLi64ELi64ELi256ELi11EEvPT0_PKfS3_PKT_PKiS8_iS3_
	.p2align	8
	.type	_Z35paged_attention_ll4mi_reduce_kernelIDF16_hLi64ELi64ELi256ELi11EEvPT0_PKfS3_PKT_PKiS8_iS3_,@function
_Z35paged_attention_ll4mi_reduce_kernelIDF16_hLi64ELi64ELi256ELi11EEvPT0_PKfS3_PKT_PKiS8_iS3_: ; @_Z35paged_attention_ll4mi_reduce_kernelIDF16_hLi64ELi64ELi256ELi11EEvPT0_PKfS3_PKT_PKiS8_iS3_
; %bb.0:
	s_load_dwordx2 s[34:35], s[0:1], 0x28
	s_mov_b32 s26, s3
	s_mov_b64 s[4:5], 0
	s_waitcnt lgkmcnt(0)
	s_cmp_lg_u64 s[34:35], 0
	s_cselect_b64 s[40:41], -1, 0
	s_and_b64 vcc, exec, s[40:41]
	s_cbranch_vccz .LBB30_23
; %bb.1:
	s_add_i32 s6, s26, 1
	s_mov_b32 s7, 0
	s_lshl_b64 s[8:9], s[6:7], 2
	s_add_u32 s8, s34, s8
	s_mov_b32 s27, s7
	s_addc_u32 s9, s35, s9
	s_lshl_b64 s[6:7], s[26:27], 2
	s_add_u32 s6, s34, s6
	s_addc_u32 s7, s35, s7
	s_load_dword s3, s[8:9], 0x0
	s_load_dword s10, s[6:7], 0x0
	s_waitcnt lgkmcnt(0)
	s_sub_i32 s3, s3, s10
	s_cmp_eq_u32 s3, 1
	s_cselect_b64 s[6:7], -1, 0
	s_andn2_b64 vcc, exec, s[4:5]
	s_cbranch_vccnz .LBB30_3
.LBB30_2:
	s_mov_b32 s27, 0
	s_mov_b64 s[6:7], -1
.LBB30_3:
	s_andn2_b64 vcc, exec, s[6:7]
	s_cbranch_vccz .LBB30_5
; %bb.4:
	s_endpgm
.LBB30_5:
	s_load_dwordx4 s[28:31], s[0:1], 0x18
	s_load_dword s8, s[0:1], 0x30
	s_lshl_b64 s[42:43], s[26:27], 2
	v_cmp_lt_u32_e32 vcc, 63, v0
	s_waitcnt lgkmcnt(0)
	s_add_u32 s4, s30, s42
	s_addc_u32 s5, s31, s43
	s_load_dword s50, s[4:5], 0x0
	s_load_dword s3, s[0:1], 0x40
	s_mul_i32 s30, s2, s8
	s_mul_i32 s6, s26, s8
	s_waitcnt lgkmcnt(0)
	s_add_i32 s7, s50, 0xff
	s_ashr_i32 s4, s7, 31
	s_lshr_b32 s4, s4, 24
	s_add_i32 s7, s7, s4
	s_and_saveexec_b64 s[4:5], vcc
	s_xor_b64 s[4:5], exec, s[4:5]
	s_or_saveexec_b64 s[44:45], s[4:5]
	s_ashr_i32 s33, s7, 8
	v_mov_b32_e32 v1, s30
	s_mul_i32 s46, s6, s3
	s_xor_b64 exec, exec, s[44:45]
	s_cbranch_execz .LBB30_9
; %bb.6:
	s_add_i32 s4, s33, -1
	v_or_b32_e32 v3, 64, v0
	v_mov_b32_e32 v1, s4
	v_cmp_gt_u32_e64 s[20:21], s33, v3
	s_load_dwordx4 s[36:39], s[0:1], 0x8
	s_mov_b32 s47, 0
	v_cndmask_b32_e64 v4, v1, v3, s[20:21]
	v_or_b32_e32 v3, 0x80, v0
	v_cmp_gt_u32_e64 s[18:19], s33, v3
	s_lshl_b64 s[48:49], s[46:47], 2
	s_mov_b32 s31, s47
	v_cndmask_b32_e64 v6, v1, v3, s[18:19]
	v_or_b32_e32 v3, 0xc0, v0
	v_cmp_gt_u32_e64 s[16:17], s33, v3
	v_cmp_gt_u32_e64 s[22:23], s33, v0
	s_waitcnt lgkmcnt(0)
	s_add_u32 s24, s38, s48
	v_cndmask_b32_e64 v8, v1, v3, s[16:17]
	v_or_b32_e32 v3, 0x100, v0
	v_cmp_gt_u32_e64 s[14:15], s33, v3
	v_cndmask_b32_e64 v2, v1, v0, s[22:23]
	s_addc_u32 s25, s39, s49
	v_cndmask_b32_e64 v10, v1, v3, s[14:15]
	v_or_b32_e32 v3, 0x140, v0
	v_cmp_gt_u32_e64 s[12:13], s33, v3
	s_lshl_b64 s[38:39], s[30:31], 2
	s_add_u32 s24, s24, s38
	v_cndmask_b32_e64 v12, v1, v3, s[12:13]
	v_or_b32_e32 v3, 0x180, v0
	v_cmp_gt_u32_e64 s[10:11], s33, v3
	v_ashrrev_i32_e32 v9, 31, v8
	v_ashrrev_i32_e32 v11, 31, v10
	v_cndmask_b32_e64 v14, v1, v3, s[10:11]
	v_or_b32_e32 v3, 0x1c0, v0
	v_cmp_gt_u32_e64 s[8:9], s33, v3
	v_ashrrev_i32_e32 v13, 31, v12
	s_addc_u32 s25, s25, s39
	v_cndmask_b32_e64 v16, v1, v3, s[8:9]
	v_or_b32_e32 v3, 0x200, v0
	v_cmp_gt_u32_e64 s[6:7], s33, v3
	v_ashrrev_i32_e32 v5, 31, v4
	v_ashrrev_i32_e32 v7, 31, v6
	v_cndmask_b32_e64 v18, v1, v3, s[6:7]
	v_or_b32_e32 v3, 0x240, v0
	v_cmp_gt_u32_e64 s[4:5], s33, v3
	v_lshlrev_b64 v[8:9], 2, v[8:9]
	v_lshlrev_b64 v[10:11], 2, v[10:11]
	v_cndmask_b32_e64 v20, v1, v3, s[4:5]
	v_or_b32_e32 v3, 0x280, v0
	v_cmp_gt_u32_e32 vcc, s33, v3
	v_lshlrev_b64 v[12:13], 2, v[12:13]
	v_ashrrev_i32_e32 v15, 31, v14
	v_cndmask_b32_e32 v22, v1, v3, vcc
	v_ashrrev_i32_e32 v3, 31, v2
	v_lshlrev_b64 v[2:3], 2, v[2:3]
	v_ashrrev_i32_e32 v17, 31, v16
	v_ashrrev_i32_e32 v19, 31, v18
	v_lshl_add_u64 v[24:25], s[24:25], 0, v[2:3]
	v_lshlrev_b64 v[4:5], 2, v[4:5]
	v_lshlrev_b64 v[6:7], 2, v[6:7]
	v_lshl_add_u64 v[30:31], s[24:25], 0, v[8:9]
	v_lshl_add_u64 v[32:33], s[24:25], 0, v[10:11]
	;; [unrolled: 1-line block ×3, first 2 shown]
	v_lshlrev_b64 v[14:15], 2, v[14:15]
	v_lshlrev_b64 v[16:17], 2, v[16:17]
	;; [unrolled: 1-line block ×3, first 2 shown]
	v_ashrrev_i32_e32 v21, 31, v20
	v_ashrrev_i32_e32 v23, 31, v22
	v_lshl_add_u64 v[26:27], s[24:25], 0, v[4:5]
	v_lshl_add_u64 v[28:29], s[24:25], 0, v[6:7]
	;; [unrolled: 1-line block ×4, first 2 shown]
	global_load_dword v1, v[24:25], off
	global_load_dword v40, v[26:27], off
	;; [unrolled: 1-line block ×3, first 2 shown]
	s_nop 0
	global_load_dword v30, v[30:31], off
	s_nop 0
	global_load_dword v31, v[32:33], off
	;; [unrolled: 2-line block ×3, first 2 shown]
	global_load_dword v33, v[36:37], off
	s_nop 0
	global_load_dword v34, v[38:39], off
	v_lshl_add_u64 v[24:25], s[24:25], 0, v[18:19]
	v_lshlrev_b64 v[20:21], 2, v[20:21]
	v_lshlrev_b64 v[22:23], 2, v[22:23]
	v_lshl_add_u64 v[26:27], s[24:25], 0, v[20:21]
	v_lshl_add_u64 v[28:29], s[24:25], 0, v[22:23]
	global_load_dword v24, v[24:25], off
	s_nop 0
	global_load_dword v25, v[26:27], off
	global_load_dword v35, v[28:29], off
	v_mbcnt_lo_u32_b32 v26, -1, 0
	v_mbcnt_hi_u32_b32 v26, -1, v26
	v_and_b32_e32 v27, 64, v26
	v_add_u32_e32 v27, 64, v27
	v_xor_b32_e32 v29, 32, v26
	v_cmp_lt_i32_e64 s[24:25], v29, v27
	v_xor_b32_e32 v42, 2, v26
	s_mov_b32 s31, 0x3fb8aa3b
	v_cndmask_b32_e64 v29, v26, v29, s[24:25]
	v_lshlrev_b32_e32 v29, 2, v29
	s_waitcnt vmcnt(8)
	v_max3_f32 v28, v1, v40, v41
	s_waitcnt vmcnt(6)
	v_max3_f32 v28, v28, v30, v31
	;; [unrolled: 2-line block ×5, first 2 shown]
	ds_bpermute_b32 v36, v29, v28
	s_waitcnt lgkmcnt(0)
	v_max_f32_e32 v36, v36, v36
	v_max_f32_e32 v28, v28, v36
	v_xor_b32_e32 v36, 16, v26
	v_cmp_lt_i32_e64 s[24:25], v36, v27
	s_nop 1
	v_cndmask_b32_e64 v36, v26, v36, s[24:25]
	v_lshlrev_b32_e32 v36, 2, v36
	ds_bpermute_b32 v37, v36, v28
	s_waitcnt lgkmcnt(0)
	v_max_f32_e32 v37, v37, v37
	v_max_f32_e32 v28, v28, v37
	v_xor_b32_e32 v37, 8, v26
	v_cmp_lt_i32_e64 s[24:25], v37, v27
	s_nop 1
	v_cndmask_b32_e64 v37, v26, v37, s[24:25]
	s_add_u32 s24, s36, s48
	v_lshlrev_b32_e32 v37, 2, v37
	s_addc_u32 s25, s37, s49
	ds_bpermute_b32 v38, v37, v28
	s_add_u32 s36, s24, s38
	s_addc_u32 s37, s25, s39
	v_lshl_add_u64 v[2:3], s[36:37], 0, v[2:3]
	global_load_dword v39, v[2:3], off
	v_xor_b32_e32 v3, 4, v26
	v_cmp_lt_i32_e64 s[24:25], v3, v27
	s_waitcnt lgkmcnt(0)
	v_max_f32_e32 v2, v38, v38
	v_max_f32_e32 v2, v28, v2
	v_cndmask_b32_e64 v3, v26, v3, s[24:25]
	v_lshlrev_b32_e32 v28, 2, v3
	ds_bpermute_b32 v3, v28, v2
	v_cmp_lt_i32_e64 s[24:25], v42, v27
	s_waitcnt lgkmcnt(0)
	v_max_f32_e32 v3, v3, v3
	v_max_f32_e32 v38, v2, v3
	v_lshl_add_u64 v[2:3], s[36:37], 0, v[4:5]
	global_load_dword v43, v[2:3], off
	v_cndmask_b32_e64 v2, v26, v42, s[24:25]
	v_lshlrev_b32_e32 v42, 2, v2
	ds_bpermute_b32 v2, v42, v38
	v_lshl_add_u64 v[4:5], s[36:37], 0, v[10:11]
	v_lshl_add_u64 v[10:11], s[36:37], 0, v[16:17]
	s_waitcnt lgkmcnt(0)
	v_max_f32_e32 v2, v2, v2
	v_max_f32_e32 v38, v38, v2
	v_xor_b32_e32 v2, 1, v26
	v_cmp_lt_i32_e64 s[24:25], v2, v27
	s_nop 1
	v_cndmask_b32_e64 v2, v26, v2, s[24:25]
	v_lshlrev_b32_e32 v26, 2, v2
	v_lshl_add_u64 v[2:3], s[36:37], 0, v[6:7]
	global_load_dword v27, v[2:3], off
	v_lshl_add_u64 v[2:3], s[36:37], 0, v[8:9]
	v_lshl_add_u64 v[6:7], s[36:37], 0, v[12:13]
	;; [unrolled: 1-line block ×3, first 2 shown]
	global_load_dword v12, v[2:3], off
	global_load_dword v13, v[4:5], off
	global_load_dword v14, v[6:7], off
	global_load_dword v15, v[8:9], off
	global_load_dword v16, v[10:11], off
	ds_bpermute_b32 v44, v26, v38
	v_lshl_add_u64 v[2:3], s[36:37], 0, v[18:19]
	v_lshl_add_u64 v[4:5], s[36:37], 0, v[20:21]
	;; [unrolled: 1-line block ×3, first 2 shown]
	s_mov_b32 s36, 0xc2ce8ed0
	s_waitcnt lgkmcnt(0)
	v_max_f32_e32 v8, v44, v44
	v_max_f32_e32 v8, v38, v8
	v_sub_f32_e32 v1, v1, v8
	v_mul_f32_e32 v9, 0x3fb8aa3b, v1
	v_fma_f32 v10, v1, s31, -v9
	v_rndne_f32_e32 v11, v9
	v_fmac_f32_e32 v10, 0x32a5705f, v1
	v_sub_f32_e32 v9, v9, v11
	v_add_f32_e32 v9, v9, v10
	v_cvt_i32_f32_e32 v10, v11
	global_load_dword v11, v[2:3], off
	global_load_dword v17, v[4:5], off
	;; [unrolled: 1-line block ×3, first 2 shown]
	v_sub_f32_e32 v4, v40, v8
	v_mul_f32_e32 v5, 0x3fb8aa3b, v4
	v_fma_f32 v6, v4, s31, -v5
	v_rndne_f32_e32 v7, v5
	v_exp_f32_e32 v9, v9
	v_fmac_f32_e32 v6, 0x32a5705f, v4
	v_sub_f32_e32 v5, v5, v7
	v_add_f32_e32 v5, v5, v6
	v_exp_f32_e32 v5, v5
	v_cvt_i32_f32_e32 v6, v7
	v_ldexp_f32 v2, v9, v10
	v_cmp_ngt_f32_e64 s[24:25], s36, v1
	s_mov_b32 s37, 0x42b17218
	v_mov_b32_e32 v3, 0x7f800000
	v_cndmask_b32_e64 v2, 0, v2, s[24:25]
	v_cmp_nlt_f32_e64 s[24:25], s37, v1
	s_nop 1
	v_cndmask_b32_e64 v1, v3, v2, s[24:25]
	v_ldexp_f32 v2, v5, v6
	v_sub_f32_e32 v5, v41, v8
	v_mul_f32_e32 v6, 0x3fb8aa3b, v5
	v_fma_f32 v7, v5, s31, -v6
	v_rndne_f32_e32 v9, v6
	v_fmac_f32_e32 v7, 0x32a5705f, v5
	v_sub_f32_e32 v6, v6, v9
	v_add_f32_e32 v6, v6, v7
	v_exp_f32_e32 v6, v6
	v_cvt_i32_f32_e32 v7, v9
	v_cndmask_b32_e64 v1, 0, v1, s[22:23]
	v_cmp_ngt_f32_e64 s[22:23], s36, v4
	s_waitcnt vmcnt(10)
	v_mul_f32_e32 v1, v39, v1
	v_cndmask_b32_e64 v2, 0, v2, s[22:23]
	v_cmp_nlt_f32_e64 s[22:23], s37, v4
	v_ldexp_f32 v4, v6, v7
	v_sub_f32_e32 v6, v30, v8
	v_mul_f32_e32 v7, 0x3fb8aa3b, v6
	v_fma_f32 v9, v6, s31, -v7
	v_rndne_f32_e32 v10, v7
	v_fmac_f32_e32 v9, 0x32a5705f, v6
	v_sub_f32_e32 v7, v7, v10
	v_add_f32_e32 v7, v7, v9
	v_exp_f32_e32 v7, v7
	v_cvt_i32_f32_e32 v9, v10
	v_cndmask_b32_e64 v2, v3, v2, s[22:23]
	v_cndmask_b32_e64 v2, 0, v2, s[20:21]
	v_cmp_ngt_f32_e64 s[20:21], s36, v5
	s_waitcnt vmcnt(9)
	v_mul_f32_e32 v2, v43, v2
	v_cndmask_b32_e64 v4, 0, v4, s[20:21]
	v_cmp_nlt_f32_e64 s[20:21], s37, v5
	v_ldexp_f32 v5, v7, v9
	v_sub_f32_e32 v7, v31, v8
	v_mul_f32_e32 v9, 0x3fb8aa3b, v7
	v_fma_f32 v10, v7, s31, -v9
	v_rndne_f32_e32 v19, v9
	v_fmac_f32_e32 v10, 0x32a5705f, v7
	v_sub_f32_e32 v9, v9, v19
	v_add_f32_e32 v9, v9, v10
	v_exp_f32_e32 v9, v9
	v_cvt_i32_f32_e32 v10, v19
	v_cndmask_b32_e64 v4, v3, v4, s[20:21]
	v_cndmask_b32_e64 v4, 0, v4, s[18:19]
	v_cmp_ngt_f32_e64 s[18:19], s36, v6
	s_waitcnt vmcnt(8)
	v_mul_f32_e32 v4, v27, v4
	v_cndmask_b32_e64 v5, 0, v5, s[18:19]
	v_cmp_nlt_f32_e64 s[18:19], s37, v6
	v_ldexp_f32 v6, v9, v10
	v_sub_f32_e32 v9, v32, v8
	v_cndmask_b32_e64 v5, v3, v5, s[18:19]
	v_cndmask_b32_e64 v5, 0, v5, s[16:17]
	v_mul_f32_e32 v10, 0x3fb8aa3b, v9
	s_waitcnt vmcnt(7)
	v_mul_f32_e32 v5, v12, v5
	v_fma_f32 v12, v9, s31, -v10
	v_rndne_f32_e32 v19, v10
	v_fmac_f32_e32 v12, 0x32a5705f, v9
	v_sub_f32_e32 v10, v10, v19
	v_add_f32_e32 v10, v10, v12
	v_exp_f32_e32 v10, v10
	v_cvt_i32_f32_e32 v12, v19
	v_cmp_ngt_f32_e64 s[16:17], s36, v7
	s_nop 1
	v_cndmask_b32_e64 v6, 0, v6, s[16:17]
	v_cmp_nlt_f32_e64 s[16:17], s37, v7
	v_ldexp_f32 v7, v10, v12
	v_sub_f32_e32 v10, v33, v8
	v_cndmask_b32_e64 v6, v3, v6, s[16:17]
	v_cndmask_b32_e64 v6, 0, v6, s[14:15]
	v_mul_f32_e32 v12, 0x3fb8aa3b, v10
	s_waitcnt vmcnt(6)
	v_mul_f32_e32 v6, v13, v6
	v_fma_f32 v13, v10, s31, -v12
	v_rndne_f32_e32 v19, v12
	v_fmac_f32_e32 v13, 0x32a5705f, v10
	v_sub_f32_e32 v12, v12, v19
	v_add_f32_e32 v12, v12, v13
	v_exp_f32_e32 v12, v12
	v_cvt_i32_f32_e32 v13, v19
	v_cmp_ngt_f32_e64 s[14:15], s36, v9
	s_nop 1
	;; [unrolled: 18-line block ×4, first 2 shown]
	v_cndmask_b32_e64 v10, 0, v10, s[10:11]
	v_cmp_nlt_f32_e64 s[10:11], s37, v12
	v_ldexp_f32 v12, v14, v15
	v_sub_f32_e32 v14, v25, v8
	v_cndmask_b32_e64 v10, v3, v10, s[10:11]
	v_cndmask_b32_e64 v10, 0, v10, s[8:9]
	v_mul_f32_e32 v15, 0x3fb8aa3b, v14
	s_waitcnt vmcnt(3)
	v_mul_f32_e32 v10, v16, v10
	v_fma_f32 v16, v14, s31, -v15
	v_rndne_f32_e32 v19, v15
	v_fmac_f32_e32 v16, 0x32a5705f, v14
	v_sub_f32_e32 v15, v15, v19
	v_add_f32_e32 v15, v15, v16
	v_cmp_ngt_f32_e64 s[8:9], s36, v13
	v_exp_f32_e32 v15, v15
	v_cvt_i32_f32_e32 v16, v19
	v_cndmask_b32_e64 v12, 0, v12, s[8:9]
	v_cmp_nlt_f32_e64 s[8:9], s37, v13
	v_sub_f32_e32 v8, v35, v8
	v_mul_f32_e32 v13, 0x3fb8aa3b, v8
	v_cndmask_b32_e64 v12, v3, v12, s[8:9]
	v_cndmask_b32_e64 v12, 0, v12, s[6:7]
	s_waitcnt vmcnt(2)
	v_mul_f32_e32 v11, v11, v12
	v_ldexp_f32 v12, v15, v16
	v_fma_f32 v15, v8, s31, -v13
	v_rndne_f32_e32 v16, v13
	v_fmac_f32_e32 v15, 0x32a5705f, v8
	v_sub_f32_e32 v13, v13, v16
	v_add_f32_e32 v13, v13, v15
	v_exp_f32_e32 v13, v13
	v_cvt_i32_f32_e32 v15, v16
	v_cmp_ngt_f32_e64 s[6:7], s36, v14
	v_ldexp_f32 v13, v13, v15
	s_nop 0
	v_cndmask_b32_e64 v12, 0, v12, s[6:7]
	v_cmp_nlt_f32_e64 s[6:7], s37, v14
	v_lshlrev_b32_e32 v14, 2, v0
	ds_write2st64_b32 v14, v1, v2 offset1:1
	ds_write2st64_b32 v14, v4, v5 offset0:2 offset1:3
	ds_write2st64_b32 v14, v6, v7 offset0:4 offset1:5
	v_cndmask_b32_e64 v12, v3, v12, s[6:7]
	v_cndmask_b32_e64 v12, 0, v12, s[4:5]
	v_cmp_ngt_f32_e64 s[4:5], s36, v8
	s_waitcnt vmcnt(1)
	v_mul_f32_e32 v12, v17, v12
	v_cndmask_b32_e64 v13, 0, v13, s[4:5]
	v_cmp_nlt_f32_e64 s[4:5], s37, v8
	v_add_f32_e32 v8, v1, v2
	v_add_f32_e32 v8, v8, v4
	;; [unrolled: 1-line block ×6, first 2 shown]
	v_cndmask_b32_e64 v3, v3, v13, s[4:5]
	v_add_f32_e32 v8, v8, v10
	v_cndmask_b32_e32 v3, 0, v3, vcc
	v_add_f32_e32 v8, v8, v11
	s_waitcnt vmcnt(0)
	v_mul_f32_e32 v3, v18, v3
	v_add_f32_e32 v8, v8, v12
	v_add_f32_e32 v8, v8, v3
	ds_bpermute_b32 v13, v29, v8
	v_cmp_eq_u32_e32 vcc, 0, v0
	ds_write2st64_b32 v14, v9, v10 offset0:6 offset1:7
	ds_write2st64_b32 v14, v11, v12 offset0:8 offset1:9
	ds_write_b32 v14, v3 offset:2560
	s_waitcnt lgkmcnt(3)
	v_add_f32_e32 v8, v8, v13
	ds_bpermute_b32 v13, v36, v8
	s_waitcnt lgkmcnt(0)
	v_add_f32_e32 v8, v8, v13
	ds_bpermute_b32 v13, v37, v8
	s_waitcnt lgkmcnt(0)
	v_add_f32_e32 v8, v8, v13
	ds_bpermute_b32 v13, v28, v8
	s_waitcnt lgkmcnt(0)
	v_add_f32_e32 v8, v8, v13
	ds_bpermute_b32 v13, v42, v8
	s_waitcnt lgkmcnt(0)
	v_add_f32_e32 v1, v8, v13
	ds_bpermute_b32 v2, v26, v1
	s_and_saveexec_b64 s[4:5], vcc
	s_cbranch_execz .LBB30_8
; %bb.7:
	s_waitcnt lgkmcnt(0)
	v_add_f32_e32 v1, v1, v2
	v_mov_b32_e32 v2, 0
	ds_write_b32 v2, v1 offset:2816
.LBB30_8:
	s_or_b64 exec, exec, s[4:5]
	v_mov_b32_e32 v1, s30
.LBB30_9:
	s_or_b64 exec, exec, s[44:45]
	s_lshl_b32 s4, s46, 6
	s_mov_b32 s5, 0
	s_lshl_b64 s[4:5], s[4:5], 1
	s_add_u32 s4, s28, s4
	s_addc_u32 s5, s29, s5
	s_lshl_b32 s10, s33, 6
	s_waitcnt lgkmcnt(0)
	v_lshlrev_b32_e32 v2, 6, v1
	v_mov_b32_e32 v1, 0
	s_sub_i32 s11, s10, 64
	v_mov_b32_e32 v3, v1
	s_cmp_lt_i32 s50, 1
	v_lshl_add_u64 v[2:3], v[2:3], 1, s[4:5]
	s_cselect_b32 s4, s11, 0
	v_lshlrev_b32_e32 v4, 1, v0
	v_mov_b32_e32 v5, v1
	s_ashr_i32 s5, s4, 31
	v_lshl_add_u64 v[2:3], v[2:3], 0, v[4:5]
	s_cmpk_lt_i32 s50, 0x101
	v_lshl_add_u64 v[12:13], s[4:5], 1, v[2:3]
	s_cselect_b32 s4, s11, 64
	s_ashr_i32 s5, s4, 31
	s_cmpk_lt_i32 s50, 0x201
	v_lshl_add_u64 v[14:15], s[4:5], 1, v[2:3]
	s_cselect_b32 s4, s11, 0x80
	s_ashr_i32 s5, s4, 31
	;; [unrolled: 4-line block ×8, first 2 shown]
	s_cmpk_lt_i32 s50, 0x901
	global_load_ushort v4, v[12:13], off
	global_load_ushort v5, v[14:15], off
	;; [unrolled: 1-line block ×8, first 2 shown]
	v_lshl_add_u64 v[20:21], s[4:5], 1, v[2:3]
	s_cselect_b32 s4, s11, 0x240
	s_ashr_i32 s5, s4, 31
	s_cmpk_lt_i32 s50, 0xa01
	v_lshl_add_u64 v[22:23], s[4:5], 1, v[2:3]
	s_cselect_b32 s4, s11, 0x280
	s_ashr_i32 s5, s4, 31
	s_cmpk_lt_i32 s50, 0xb01
	;; [unrolled: 4-line block ×6, first 2 shown]
	v_lshl_add_u64 v[32:33], s[4:5], 1, v[2:3]
	s_cselect_b32 s4, s11, 0x3c0
	s_ashr_i32 s5, s4, 31
	v_lshl_add_u64 v[34:35], s[4:5], 1, v[2:3]
	global_load_ushort v12, v[20:21], off
	global_load_ushort v13, v[22:23], off
	;; [unrolled: 1-line block ×8, first 2 shown]
	s_cmpk_gt_i32 s50, 0x1000
	s_cselect_b64 s[8:9], -1, 0
	s_cmpk_lt_i32 s50, 0x1001
	v_mov_b32_e32 v36, 0
	v_mov_b32_e32 v37, 0
	;; [unrolled: 1-line block ×48, first 2 shown]
	s_waitcnt lgkmcnt(0)
	; wave barrier
	s_cbranch_scc1 .LBB30_12
; %bb.10:
	s_cmpk_lt_u32 s50, 0x1101
	s_cselect_b32 s4, s11, 0x440
	s_ashr_i32 s5, s4, 31
	s_cmpk_lt_u32 s50, 0x1201
	v_lshl_add_u64 v[28:29], s[4:5], 1, v[2:3]
	s_cselect_b32 s4, s11, 0x480
	s_ashr_i32 s5, s4, 31
	s_cmpk_lt_u32 s50, 0x1301
	v_lshl_add_u64 v[30:31], s[4:5], 1, v[2:3]
	;; [unrolled: 4-line block ×7, first 2 shown]
	s_cselect_b32 s4, s11, 0x600
	s_ashr_i32 s5, s4, 31
	s_cmpk_lt_u32 s50, 0x1901
	global_load_ushort v27, v[2:3], off offset:2048
	global_load_ushort v26, v[28:29], off
	global_load_ushort v25, v[30:31], off
	;; [unrolled: 1-line block ×7, first 2 shown]
	v_lshl_add_u64 v[36:37], s[4:5], 1, v[2:3]
	s_cselect_b32 s4, s11, 0x640
	s_ashr_i32 s5, s4, 31
	s_cmpk_lt_u32 s50, 0x1a01
	v_lshl_add_u64 v[38:39], s[4:5], 1, v[2:3]
	s_cselect_b32 s4, s11, 0x680
	s_ashr_i32 s5, s4, 31
	s_cmpk_lt_u32 s50, 0x1b01
	;; [unrolled: 4-line block ×6, first 2 shown]
	v_lshl_add_u64 v[48:49], s[4:5], 1, v[2:3]
	s_cselect_b32 s4, s11, 0x7c0
	s_ashr_i32 s5, s4, 31
	v_lshl_add_u64 v[50:51], s[4:5], 1, v[2:3]
	global_load_ushort v35, v[36:37], off
	global_load_ushort v34, v[38:39], off
	global_load_ushort v33, v[40:41], off
	global_load_ushort v32, v[42:43], off
	global_load_ushort v31, v[44:45], off
	global_load_ushort v30, v[46:47], off
	global_load_ushort v29, v[48:49], off
	global_load_ushort v28, v[50:51], off
	s_cmpk_lt_u32 s50, 0x2001
	v_mov_b32_e32 v67, 0
	v_mov_b32_e32 v66, 0
	;; [unrolled: 1-line block ×32, first 2 shown]
	s_cbranch_scc1 .LBB30_12
; %bb.11:
	s_cmpk_lt_u32 s50, 0x2101
	s_cselect_b32 s4, s11, 0x840
	s_ashr_i32 s5, s4, 31
	s_cmpk_lt_u32 s50, 0x2201
	v_lshl_add_u64 v[38:39], s[4:5], 1, v[2:3]
	s_cselect_b32 s4, s11, 0x880
	s_ashr_i32 s5, s4, 31
	s_cmpk_lt_u32 s50, 0x2301
	v_lshl_add_u64 v[40:41], s[4:5], 1, v[2:3]
	;; [unrolled: 4-line block ×7, first 2 shown]
	s_cselect_b32 s4, s11, 0xa00
	v_add_co_u32_e32 v36, vcc, 0x1000, v2
	s_ashr_i32 s5, s4, 31
	s_nop 0
	v_addc_co_u32_e32 v37, vcc, 0, v3, vcc
	s_cmpk_lt_u32 s50, 0x2901
	global_load_ushort v52, v[36:37], off
	global_load_ushort v53, v[38:39], off
	;; [unrolled: 1-line block ×8, first 2 shown]
	v_lshl_add_u64 v[36:37], s[4:5], 1, v[2:3]
	s_cselect_b32 s4, s11, 0xa40
	s_ashr_i32 s5, s4, 31
	s_cmpk_lt_u32 s50, 0x2a01
	v_lshl_add_u64 v[38:39], s[4:5], 1, v[2:3]
	s_cselect_b32 s4, s11, 0xa80
	s_ashr_i32 s5, s4, 31
	s_cmpk_lt_u32 s50, 0x2b01
	;; [unrolled: 4-line block ×8, first 2 shown]
	global_load_ushort v68, v[36:37], off
	global_load_ushort v69, v[38:39], off
	;; [unrolled: 1-line block ×8, first 2 shown]
	v_lshl_add_u64 v[36:37], s[4:5], 1, v[2:3]
	s_cselect_b32 s4, s11, 0xc40
	s_ashr_i32 s5, s4, 31
	s_cmpk_lt_u32 s50, 0x3201
	v_lshl_add_u64 v[38:39], s[4:5], 1, v[2:3]
	s_cselect_b32 s4, s11, 0xc80
	s_ashr_i32 s5, s4, 31
	s_cmpk_lt_u32 s50, 0x3301
	;; [unrolled: 4-line block ×8, first 2 shown]
	global_load_ushort v76, v[36:37], off
	global_load_ushort v77, v[38:39], off
	;; [unrolled: 1-line block ×8, first 2 shown]
	v_lshl_add_u64 v[36:37], s[4:5], 1, v[2:3]
	s_cselect_b32 s4, s11, 0xe40
	s_ashr_i32 s5, s4, 31
	s_cmpk_lt_u32 s50, 0x3a01
	v_lshl_add_u64 v[38:39], s[4:5], 1, v[2:3]
	s_cselect_b32 s4, s11, 0xe80
	s_ashr_i32 s5, s4, 31
	s_cmpk_lt_u32 s50, 0x3b01
	;; [unrolled: 4-line block ×6, first 2 shown]
	v_lshl_add_u64 v[48:49], s[4:5], 1, v[2:3]
	s_cselect_b32 s4, s11, 0xfc0
	s_ashr_i32 s5, s4, 31
	v_lshl_add_u64 v[50:51], s[4:5], 1, v[2:3]
	global_load_ushort v84, v[36:37], off
	global_load_ushort v85, v[38:39], off
	;; [unrolled: 1-line block ×8, first 2 shown]
	s_waitcnt vmcnt(31)
	v_cvt_f32_f16_e32 v67, v52
	s_waitcnt vmcnt(30)
	v_cvt_f32_f16_e32 v66, v53
	;; [unrolled: 2-line block ×32, first 2 shown]
.LBB30_12:
	ds_read_b128 v[68:71], v1
	s_load_dwordx2 s[4:5], s[0:1], 0x0
	s_load_dwordx2 s[6:7], s[0:1], 0x38
	ds_read_b128 v[72:75], v1 offset:16
	ds_read_b128 v[76:79], v1 offset:32
	;; [unrolled: 1-line block ×3, first 2 shown]
	s_and_b64 vcc, exec, s[8:9]
	s_waitcnt vmcnt(15) lgkmcnt(0)
	v_fma_mix_f32 v4, v68, v4, 0 op_sel_hi:[0,1,0]
	s_waitcnt vmcnt(14)
	v_fma_mix_f32 v4, v69, v5, v4 op_sel_hi:[0,1,0]
	s_waitcnt vmcnt(13)
	;; [unrolled: 2-line block ×15, first 2 shown]
	v_fma_mix_f32 v4, v83, v19, v4 op_sel_hi:[0,1,0]
	s_cbranch_vccz .LBB30_15
; %bb.13:
	ds_read_b128 v[6:9], v1 offset:64
	ds_read_b128 v[10:13], v1 offset:80
	ds_read_b128 v[14:17], v1 offset:96
	ds_read_b128 v[68:71], v1 offset:112
	s_cmpk_lt_u32 s50, 0x2001
	s_waitcnt lgkmcnt(3)
	v_fma_mix_f32 v4, v6, v27, v4 op_sel_hi:[0,1,0]
	v_fma_mix_f32 v4, v7, v26, v4 op_sel_hi:[0,1,0]
	v_fma_mix_f32 v4, v8, v25, v4 op_sel_hi:[0,1,0]
	v_fma_mix_f32 v4, v9, v24, v4 op_sel_hi:[0,1,0]
	s_waitcnt lgkmcnt(2)
	v_fma_mix_f32 v4, v10, v23, v4 op_sel_hi:[0,1,0]
	v_fma_mix_f32 v4, v11, v22, v4 op_sel_hi:[0,1,0]
	v_fma_mix_f32 v4, v12, v21, v4 op_sel_hi:[0,1,0]
	v_fma_mix_f32 v4, v13, v20, v4 op_sel_hi:[0,1,0]
	s_waitcnt lgkmcnt(1)
	v_fma_mix_f32 v4, v14, v35, v4 op_sel_hi:[0,1,0]
	v_fma_mix_f32 v4, v15, v34, v4 op_sel_hi:[0,1,0]
	v_fma_mix_f32 v4, v16, v33, v4 op_sel_hi:[0,1,0]
	v_fma_mix_f32 v4, v17, v32, v4 op_sel_hi:[0,1,0]
	s_waitcnt lgkmcnt(0)
	v_fma_mix_f32 v4, v68, v31, v4 op_sel_hi:[0,1,0]
	v_fma_mix_f32 v4, v69, v30, v4 op_sel_hi:[0,1,0]
	v_fma_mix_f32 v4, v70, v29, v4 op_sel_hi:[0,1,0]
	v_fma_mix_f32 v4, v71, v28, v4 op_sel_hi:[0,1,0]
	s_cbranch_scc1 .LBB30_15
; %bb.14:
	v_mov_b32_e32 v5, 0
	ds_read_b128 v[6:9], v5 offset:128
	ds_read_b128 v[10:13], v5 offset:144
	;; [unrolled: 1-line block ×4, first 2 shown]
	s_waitcnt lgkmcnt(3)
	v_fmac_f32_e32 v4, v6, v67
	v_fmac_f32_e32 v4, v7, v66
	v_fmac_f32_e32 v4, v8, v65
	v_fmac_f32_e32 v4, v9, v64
	s_waitcnt lgkmcnt(2)
	v_fmac_f32_e32 v4, v10, v63
	v_fmac_f32_e32 v4, v11, v62
	v_fmac_f32_e32 v4, v12, v61
	v_fmac_f32_e32 v4, v13, v60
	;; [unrolled: 5-line block ×3, first 2 shown]
	ds_read_b128 v[6:9], v5 offset:192
	ds_read_b128 v[10:13], v5 offset:208
	s_waitcnt lgkmcnt(2)
	v_fmac_f32_e32 v4, v18, v55
	v_fmac_f32_e32 v4, v19, v54
	;; [unrolled: 1-line block ×4, first 2 shown]
	s_waitcnt lgkmcnt(1)
	v_fmac_f32_e32 v4, v6, v51
	v_fmac_f32_e32 v4, v7, v50
	;; [unrolled: 1-line block ×4, first 2 shown]
	ds_read_b128 v[6:9], v5 offset:224
	s_waitcnt lgkmcnt(1)
	v_fmac_f32_e32 v4, v10, v47
	v_fmac_f32_e32 v4, v11, v46
	;; [unrolled: 1-line block ×4, first 2 shown]
	ds_read_b128 v[10:13], v5 offset:240
	s_waitcnt lgkmcnt(1)
	v_fmac_f32_e32 v4, v6, v43
	v_fmac_f32_e32 v4, v7, v42
	;; [unrolled: 1-line block ×4, first 2 shown]
	s_waitcnt lgkmcnt(0)
	v_fmac_f32_e32 v4, v10, v39
	v_fmac_f32_e32 v4, v11, v38
	;; [unrolled: 1-line block ×4, first 2 shown]
.LBB30_15:
	s_movk_i32 s0, 0x1fc0
	s_movk_i32 s1, 0x100
	s_mov_b32 s8, 64
	s_branch .LBB30_17
.LBB30_16:                              ;   in Loop: Header=BB30_17 Depth=1
	s_addk_i32 s0, 0x1000
	s_addk_i32 s1, 0x100
	s_add_i32 s8, s8, 64
	s_cmpk_eq_u32 s0, 0xbfc0
	s_cbranch_scc1 .LBB30_19
.LBB30_17:                              ; =>This Inner Loop Header: Depth=1
	s_cmp_le_i32 s33, s8
	s_cbranch_scc1 .LBB30_16
; %bb.18:                               ;   in Loop: Header=BB30_17 Depth=1
	s_add_i32 s9, s0, 0xfffff040
	s_cmp_lt_i32 s9, s10
	s_cselect_b32 s12, s9, s11
	s_ashr_i32 s13, s12, 31
	s_add_i32 s9, s0, 0xfffff080
	s_cmp_lt_i32 s9, s10
	v_lshl_add_u64 v[14:15], s[12:13], 1, v[2:3]
	s_cselect_b32 s12, s9, s11
	s_ashr_i32 s13, s12, 31
	s_add_i32 s9, s0, 0xfffff0c0
	s_cmp_lt_i32 s9, s10
	v_lshl_add_u64 v[16:17], s[12:13], 1, v[2:3]
	;; [unrolled: 5-line block ×8, first 2 shown]
	s_cselect_b32 s12, s9, s11
	s_ashr_i32 s13, s12, 31
	s_add_i32 s9, s0, 0xfffff280
	s_cmp_lt_i32 s9, s10
	global_load_ushort v5, v[14:15], off
	global_load_ushort v6, v[16:17], off
	global_load_ushort v7, v[18:19], off
	global_load_ushort v8, v[20:21], off
	global_load_ushort v9, v[22:23], off
	global_load_ushort v10, v[24:25], off
	global_load_ushort v11, v[26:27], off
	global_load_ushort v12, v[28:29], off
	v_lshl_add_u64 v[14:15], s[12:13], 1, v[2:3]
	s_cselect_b32 s12, s9, s11
	s_ashr_i32 s13, s12, 31
	s_add_i32 s9, s0, 0xfffff2c0
	s_cmp_lt_i32 s9, s10
	v_lshl_add_u64 v[16:17], s[12:13], 1, v[2:3]
	s_cselect_b32 s12, s9, s11
	s_ashr_i32 s13, s12, 31
	s_add_i32 s9, s0, 0xfffff300
	s_cmp_lt_i32 s9, s10
	v_lshl_add_u64 v[18:19], s[12:13], 1, v[2:3]
	s_cselect_b32 s12, s9, s11
	s_ashr_i32 s13, s12, 31
	s_add_i32 s9, s0, 0xfffff340
	s_cmp_lt_i32 s9, s10
	v_lshl_add_u64 v[20:21], s[12:13], 1, v[2:3]
	s_cselect_b32 s12, s9, s11
	s_ashr_i32 s13, s12, 31
	s_add_i32 s9, s0, 0xfffff380
	s_cmp_lt_i32 s9, s10
	v_lshl_add_u64 v[22:23], s[12:13], 1, v[2:3]
	s_cselect_b32 s12, s9, s11
	s_ashr_i32 s13, s12, 31
	s_add_i32 s9, s0, 0xfffff3c0
	s_cmp_lt_i32 s9, s10
	v_lshl_add_u64 v[24:25], s[12:13], 1, v[2:3]
	s_cselect_b32 s12, s9, s11
	s_ashr_i32 s13, s12, 31
	s_add_i32 s9, s0, 0xfffff400
	s_cmp_lt_i32 s9, s10
	v_lshl_add_u64 v[26:27], s[12:13], 1, v[2:3]
	s_cselect_b32 s12, s9, s11
	s_ashr_i32 s13, s12, 31
	s_add_i32 s9, s0, 0xfffff440
	s_cmp_lt_i32 s9, s10
	v_lshl_add_u64 v[28:29], s[12:13], 1, v[2:3]
	s_cselect_b32 s12, s9, s11
	s_ashr_i32 s13, s12, 31
	s_add_i32 s9, s0, 0xfffff480
	s_cmp_lt_i32 s9, s10
	global_load_ushort v13, v[14:15], off
	global_load_ushort v30, v[16:17], off
	global_load_ushort v31, v[18:19], off
	global_load_ushort v32, v[20:21], off
	global_load_ushort v33, v[22:23], off
	global_load_ushort v34, v[24:25], off
	global_load_ushort v35, v[26:27], off
	global_load_ushort v36, v[28:29], off
	v_lshl_add_u64 v[14:15], s[12:13], 1, v[2:3]
	s_cselect_b32 s12, s9, s11
	s_ashr_i32 s13, s12, 31
	s_add_i32 s9, s0, 0xfffff4c0
	s_cmp_lt_i32 s9, s10
	v_lshl_add_u64 v[16:17], s[12:13], 1, v[2:3]
	s_cselect_b32 s12, s9, s11
	s_ashr_i32 s13, s12, 31
	s_add_i32 s9, s0, 0xfffff500
	s_cmp_lt_i32 s9, s10
	v_lshl_add_u64 v[18:19], s[12:13], 1, v[2:3]
	s_cselect_b32 s12, s9, s11
	s_ashr_i32 s13, s12, 31
	s_add_i32 s9, s0, 0xfffff540
	s_cmp_lt_i32 s9, s10
	v_lshl_add_u64 v[20:21], s[12:13], 1, v[2:3]
	s_cselect_b32 s12, s9, s11
	s_ashr_i32 s13, s12, 31
	s_add_i32 s9, s0, 0xfffff580
	s_cmp_lt_i32 s9, s10
	v_lshl_add_u64 v[22:23], s[12:13], 1, v[2:3]
	s_cselect_b32 s12, s9, s11
	s_ashr_i32 s13, s12, 31
	s_add_i32 s9, s0, 0xfffff5c0
	s_cmp_lt_i32 s9, s10
	v_lshl_add_u64 v[24:25], s[12:13], 1, v[2:3]
	s_cselect_b32 s12, s9, s11
	s_ashr_i32 s13, s12, 31
	s_add_i32 s9, s0, 0xfffff600
	s_cmp_lt_i32 s9, s10
	v_lshl_add_u64 v[26:27], s[12:13], 1, v[2:3]
	s_cselect_b32 s12, s9, s11
	s_ashr_i32 s13, s12, 31
	s_add_i32 s9, s0, 0xfffff640
	s_cmp_lt_i32 s9, s10
	v_lshl_add_u64 v[28:29], s[12:13], 1, v[2:3]
	;; [unrolled: 48-line block ×6, first 2 shown]
	s_cselect_b32 s12, s9, s11
	s_ashr_i32 s13, s12, 31
	s_add_i32 s9, s0, 0xfffffe80
	s_cmp_lt_i32 s9, s10
	global_load_ushort v69, v[14:15], off
	global_load_ushort v70, v[16:17], off
	;; [unrolled: 1-line block ×8, first 2 shown]
	v_lshl_add_u64 v[14:15], s[12:13], 1, v[2:3]
	s_cselect_b32 s12, s9, s11
	s_ashr_i32 s13, s12, 31
	s_add_i32 s9, s0, 0xfffffec0
	s_cmp_lt_i32 s9, s10
	v_lshl_add_u64 v[16:17], s[12:13], 1, v[2:3]
	s_cselect_b32 s12, s9, s11
	s_ashr_i32 s13, s12, 31
	s_add_i32 s9, s0, 0xffffff00
	s_cmp_lt_i32 s9, s10
	;; [unrolled: 5-line block ×4, first 2 shown]
	v_lshl_add_u64 v[22:23], s[12:13], 1, v[2:3]
	s_cselect_b32 s12, s9, s11
	s_ashr_i32 s13, s12, 31
	s_sub_i32 s9, s0, 64
	s_cmp_lt_i32 s9, s10
	v_lshl_add_u64 v[24:25], s[12:13], 1, v[2:3]
	s_cselect_b32 s12, s9, s11
	s_ashr_i32 s13, s12, 31
	s_cmp_lt_i32 s0, s10
	v_lshl_add_u64 v[26:27], s[12:13], 1, v[2:3]
	s_cselect_b32 s12, s0, s11
	s_ashr_i32 s13, s12, 31
	v_lshl_add_u64 v[28:29], s[12:13], 1, v[2:3]
	global_load_ushort v77, v[14:15], off
	global_load_ushort v78, v[16:17], off
	;; [unrolled: 1-line block ×8, first 2 shown]
	v_mov_b32_e32 v85, s1
	ds_read_b128 v[14:17], v85
	ds_read_b128 v[18:21], v85 offset:16
	ds_read_b128 v[22:25], v85 offset:32
	;; [unrolled: 1-line block ×3, first 2 shown]
	s_waitcnt vmcnt(62) lgkmcnt(3)
	v_fma_mix_f32 v4, v14, v5, v4 op_sel_hi:[0,1,0]
	v_fma_mix_f32 v4, v15, v6, v4 op_sel_hi:[0,1,0]
	s_waitcnt vmcnt(61)
	v_fma_mix_f32 v4, v16, v7, v4 op_sel_hi:[0,1,0]
	s_waitcnt vmcnt(60)
	v_fma_mix_f32 v4, v17, v8, v4 op_sel_hi:[0,1,0]
	s_waitcnt vmcnt(59) lgkmcnt(2)
	v_fma_mix_f32 v4, v18, v9, v4 op_sel_hi:[0,1,0]
	s_waitcnt vmcnt(58)
	v_fma_mix_f32 v4, v19, v10, v4 op_sel_hi:[0,1,0]
	s_waitcnt vmcnt(57)
	v_fma_mix_f32 v4, v20, v11, v4 op_sel_hi:[0,1,0]
	s_waitcnt vmcnt(56)
	v_fma_mix_f32 v4, v21, v12, v4 op_sel_hi:[0,1,0]
	s_waitcnt vmcnt(55) lgkmcnt(1)
	v_fma_mix_f32 v4, v22, v13, v4 op_sel_hi:[0,1,0]
	s_waitcnt vmcnt(54)
	v_fma_mix_f32 v4, v23, v30, v4 op_sel_hi:[0,1,0]
	s_waitcnt vmcnt(53)
	v_fma_mix_f32 v4, v24, v31, v4 op_sel_hi:[0,1,0]
	s_waitcnt vmcnt(52)
	v_fma_mix_f32 v4, v25, v32, v4 op_sel_hi:[0,1,0]
	s_waitcnt vmcnt(51) lgkmcnt(0)
	v_fma_mix_f32 v8, v26, v33, v4 op_sel_hi:[0,1,0]
	ds_read_b128 v[4:7], v85 offset:64
	s_waitcnt vmcnt(50)
	v_fma_mix_f32 v8, v27, v34, v8 op_sel_hi:[0,1,0]
	s_waitcnt vmcnt(49)
	v_fma_mix_f32 v8, v28, v35, v8 op_sel_hi:[0,1,0]
	s_waitcnt vmcnt(48)
	v_fma_mix_f32 v12, v29, v36, v8 op_sel_hi:[0,1,0]
	ds_read_b128 v[8:11], v85 offset:80
	s_waitcnt vmcnt(47) lgkmcnt(1)
	v_fma_mix_f32 v4, v4, v37, v12 op_sel_hi:[0,1,0]
	s_waitcnt vmcnt(46)
	v_fma_mix_f32 v4, v5, v38, v4 op_sel_hi:[0,1,0]
	s_waitcnt vmcnt(45)
	v_fma_mix_f32 v4, v6, v39, v4 op_sel_hi:[0,1,0]
	s_waitcnt vmcnt(44)
	v_fma_mix_f32 v4, v7, v40, v4 op_sel_hi:[0,1,0]
	s_waitcnt vmcnt(43) lgkmcnt(0)
	v_fma_mix_f32 v8, v8, v41, v4 op_sel_hi:[0,1,0]
	ds_read_b128 v[4:7], v85 offset:96
	s_waitcnt vmcnt(42)
	v_fma_mix_f32 v8, v9, v42, v8 op_sel_hi:[0,1,0]
	s_waitcnt vmcnt(41)
	v_fma_mix_f32 v8, v10, v43, v8 op_sel_hi:[0,1,0]
	s_waitcnt vmcnt(40)
	v_fma_mix_f32 v12, v11, v44, v8 op_sel_hi:[0,1,0]
	ds_read_b128 v[8:11], v85 offset:112
	;; [unrolled: 18-line block ×6, first 2 shown]
	s_waitcnt vmcnt(7) lgkmcnt(1)
	v_fma_mix_f32 v4, v4, v77, v12 op_sel_hi:[0,1,0]
	s_waitcnt vmcnt(6)
	v_fma_mix_f32 v4, v5, v78, v4 op_sel_hi:[0,1,0]
	s_waitcnt vmcnt(5)
	;; [unrolled: 2-line block ×3, first 2 shown]
	v_fma_mix_f32 v4, v7, v80, v4 op_sel_hi:[0,1,0]
	s_waitcnt vmcnt(3) lgkmcnt(0)
	v_fma_mix_f32 v4, v8, v81, v4 op_sel_hi:[0,1,0]
	s_waitcnt vmcnt(2)
	v_fma_mix_f32 v4, v9, v82, v4 op_sel_hi:[0,1,0]
	s_waitcnt vmcnt(1)
	;; [unrolled: 2-line block ×3, first 2 shown]
	v_fma_mix_f32 v4, v11, v84, v4 op_sel_hi:[0,1,0]
	s_branch .LBB30_16
.LBB30_19:
	v_mov_b32_e32 v2, 0
	ds_read_b32 v2, v2 offset:2816
	s_cmp_lg_u64 s[6:7], 0
	s_cbranch_scc0 .LBB30_24
; %bb.20:
	s_load_dword s6, s[6:7], 0x0
	s_waitcnt lgkmcnt(0)
	v_div_scale_f32 v3, s[0:1], s6, s6, 1.0
	v_rcp_f32_e32 v5, v3
	v_div_scale_f32 v6, vcc, 1.0, s6, 1.0
	v_fma_f32 v7, -v3, v5, 1.0
	v_fmac_f32_e32 v5, v7, v5
	v_mul_f32_e32 v7, v6, v5
	v_fma_f32 v8, -v3, v7, v6
	v_fmac_f32_e32 v7, v8, v5
	v_fma_f32 v3, -v3, v7, v6
	v_div_fmas_f32 v3, v3, v5, v7
	v_div_fixup_f32 v3, v3, s6, 1.0
	s_andn2_b64 vcc, exec, s[40:41]
	s_cbranch_vccnz .LBB30_22
.LBB30_21:
	s_add_u32 s0, s34, s42
	s_addc_u32 s1, s35, s43
	s_load_dword s26, s[0:1], 0x0
	s_mov_b32 s27, 0
.LBB30_22:
	s_waitcnt lgkmcnt(0)
	v_add_f32_e32 v2, 0x358637bd, v2
	v_div_scale_f32 v5, s[0:1], v2, v2, 1.0
	v_rcp_f32_e32 v6, v5
	v_div_scale_f32 v7, vcc, 1.0, v2, 1.0
	s_mul_i32 s0, s3, s27
	v_fma_f32 v8, -v5, v6, 1.0
	v_fmac_f32_e32 v6, v8, v6
	v_mul_f32_e32 v8, v7, v6
	v_fma_f32 v9, -v5, v8, v7
	v_fmac_f32_e32 v8, v9, v6
	v_fma_f32 v5, -v5, v8, v7
	s_mul_hi_u32 s1, s3, s26
	v_div_fmas_f32 v5, v5, v6, v8
	s_add_i32 s1, s1, s0
	s_mul_i32 s0, s3, s26
	v_div_fixup_f32 v2, v5, v2, 1.0
	s_lshl_b64 s[0:1], s[0:1], 6
	v_mul_f32_e32 v2, v4, v2
	s_add_u32 s4, s4, s0
	s_mov_b32 s3, 0
	v_mul_f32_e32 v2, v2, v3
	s_addc_u32 s5, s5, s1
	s_lshl_b64 s[0:1], s[2:3], 6
	s_mov_b32 s2, 0x7f800000
	s_mov_b32 s3, 0x43700000
	v_mov_b32_e32 v3, 0xc3700000
	v_med3_f32 v3, v2, s3, v3
	v_cmp_nlg_f32_e64 vcc, |v2|, s2
	s_add_u32 s0, s4, s0
	s_addc_u32 s1, s5, s1
	v_cndmask_b32_e32 v2, v3, v2, vcc
	v_mov_b32_e32 v3, 0
	v_cvt_pk_fp8_f32 v3, v2, v2
	v_lshl_add_u64 v[0:1], s[0:1], 0, v[0:1]
	global_store_byte v[0:1], v3, off
	s_endpgm
.LBB30_23:
	s_mov_b64 s[6:7], 0
	s_branch .LBB30_2
.LBB30_24:
	v_mov_b32_e32 v3, 1.0
	s_andn2_b64 vcc, exec, s[40:41]
	s_cbranch_vccz .LBB30_21
	s_branch .LBB30_22
	.section	.rodata,"a",@progbits
	.p2align	6, 0x0
	.amdhsa_kernel _Z35paged_attention_ll4mi_reduce_kernelIDF16_hLi64ELi64ELi256ELi11EEvPT0_PKfS3_PKT_PKiS8_iS3_
		.amdhsa_group_segment_fixed_size 2820
		.amdhsa_private_segment_fixed_size 0
		.amdhsa_kernarg_size 320
		.amdhsa_user_sgpr_count 2
		.amdhsa_user_sgpr_dispatch_ptr 0
		.amdhsa_user_sgpr_queue_ptr 0
		.amdhsa_user_sgpr_kernarg_segment_ptr 1
		.amdhsa_user_sgpr_dispatch_id 0
		.amdhsa_user_sgpr_kernarg_preload_length 0
		.amdhsa_user_sgpr_kernarg_preload_offset 0
		.amdhsa_user_sgpr_private_segment_size 0
		.amdhsa_uses_dynamic_stack 0
		.amdhsa_enable_private_segment 0
		.amdhsa_system_sgpr_workgroup_id_x 1
		.amdhsa_system_sgpr_workgroup_id_y 1
		.amdhsa_system_sgpr_workgroup_id_z 0
		.amdhsa_system_sgpr_workgroup_info 0
		.amdhsa_system_vgpr_workitem_id 0
		.amdhsa_next_free_vgpr 92
		.amdhsa_next_free_sgpr 51
		.amdhsa_accum_offset 92
		.amdhsa_reserve_vcc 1
		.amdhsa_float_round_mode_32 0
		.amdhsa_float_round_mode_16_64 0
		.amdhsa_float_denorm_mode_32 3
		.amdhsa_float_denorm_mode_16_64 3
		.amdhsa_dx10_clamp 1
		.amdhsa_ieee_mode 1
		.amdhsa_fp16_overflow 0
		.amdhsa_tg_split 0
		.amdhsa_exception_fp_ieee_invalid_op 0
		.amdhsa_exception_fp_denorm_src 0
		.amdhsa_exception_fp_ieee_div_zero 0
		.amdhsa_exception_fp_ieee_overflow 0
		.amdhsa_exception_fp_ieee_underflow 0
		.amdhsa_exception_fp_ieee_inexact 0
		.amdhsa_exception_int_div_zero 0
	.end_amdhsa_kernel
	.section	.text._Z35paged_attention_ll4mi_reduce_kernelIDF16_hLi64ELi64ELi256ELi11EEvPT0_PKfS3_PKT_PKiS8_iS3_,"axG",@progbits,_Z35paged_attention_ll4mi_reduce_kernelIDF16_hLi64ELi64ELi256ELi11EEvPT0_PKfS3_PKT_PKiS8_iS3_,comdat
.Lfunc_end30:
	.size	_Z35paged_attention_ll4mi_reduce_kernelIDF16_hLi64ELi64ELi256ELi11EEvPT0_PKfS3_PKT_PKiS8_iS3_, .Lfunc_end30-_Z35paged_attention_ll4mi_reduce_kernelIDF16_hLi64ELi64ELi256ELi11EEvPT0_PKfS3_PKT_PKiS8_iS3_
                                        ; -- End function
	.section	.AMDGPU.csdata,"",@progbits
; Kernel info:
; codeLenInByte = 9788
; NumSgprs: 57
; NumVgprs: 92
; NumAgprs: 0
; TotalNumVgprs: 92
; ScratchSize: 0
; MemoryBound: 0
; FloatMode: 240
; IeeeMode: 1
; LDSByteSize: 2820 bytes/workgroup (compile time only)
; SGPRBlocks: 7
; VGPRBlocks: 11
; NumSGPRsForWavesPerEU: 57
; NumVGPRsForWavesPerEU: 92
; AccumOffset: 92
; Occupancy: 5
; WaveLimiterHint : 1
; COMPUTE_PGM_RSRC2:SCRATCH_EN: 0
; COMPUTE_PGM_RSRC2:USER_SGPR: 2
; COMPUTE_PGM_RSRC2:TRAP_HANDLER: 0
; COMPUTE_PGM_RSRC2:TGID_X_EN: 1
; COMPUTE_PGM_RSRC2:TGID_Y_EN: 1
; COMPUTE_PGM_RSRC2:TGID_Z_EN: 0
; COMPUTE_PGM_RSRC2:TIDIG_COMP_CNT: 0
; COMPUTE_PGM_RSRC3_GFX90A:ACCUM_OFFSET: 22
; COMPUTE_PGM_RSRC3_GFX90A:TG_SPLIT: 0
	.section	.text._Z35paged_attention_ll4mi_reduce_kernelIDF16_hLi64ELi64ELi256ELi12EEvPT0_PKfS3_PKT_PKiS8_iS3_,"axG",@progbits,_Z35paged_attention_ll4mi_reduce_kernelIDF16_hLi64ELi64ELi256ELi12EEvPT0_PKfS3_PKT_PKiS8_iS3_,comdat
	.protected	_Z35paged_attention_ll4mi_reduce_kernelIDF16_hLi64ELi64ELi256ELi12EEvPT0_PKfS3_PKT_PKiS8_iS3_ ; -- Begin function _Z35paged_attention_ll4mi_reduce_kernelIDF16_hLi64ELi64ELi256ELi12EEvPT0_PKfS3_PKT_PKiS8_iS3_
	.globl	_Z35paged_attention_ll4mi_reduce_kernelIDF16_hLi64ELi64ELi256ELi12EEvPT0_PKfS3_PKT_PKiS8_iS3_
	.p2align	8
	.type	_Z35paged_attention_ll4mi_reduce_kernelIDF16_hLi64ELi64ELi256ELi12EEvPT0_PKfS3_PKT_PKiS8_iS3_,@function
_Z35paged_attention_ll4mi_reduce_kernelIDF16_hLi64ELi64ELi256ELi12EEvPT0_PKfS3_PKT_PKiS8_iS3_: ; @_Z35paged_attention_ll4mi_reduce_kernelIDF16_hLi64ELi64ELi256ELi12EEvPT0_PKfS3_PKT_PKiS8_iS3_
; %bb.0:
	s_load_dwordx2 s[40:41], s[0:1], 0x28
	s_mov_b32 s34, s3
	s_mov_b64 s[4:5], 0
	s_waitcnt lgkmcnt(0)
	s_cmp_lg_u64 s[40:41], 0
	s_cselect_b64 s[42:43], -1, 0
	s_and_b64 vcc, exec, s[42:43]
	s_cbranch_vccz .LBB31_23
; %bb.1:
	s_add_i32 s6, s34, 1
	s_mov_b32 s7, 0
	s_lshl_b64 s[8:9], s[6:7], 2
	s_add_u32 s8, s40, s8
	s_mov_b32 s35, s7
	s_addc_u32 s9, s41, s9
	s_lshl_b64 s[6:7], s[34:35], 2
	s_add_u32 s6, s40, s6
	s_addc_u32 s7, s41, s7
	s_load_dword s3, s[8:9], 0x0
	s_load_dword s10, s[6:7], 0x0
	s_waitcnt lgkmcnt(0)
	s_sub_i32 s3, s3, s10
	s_cmp_eq_u32 s3, 1
	s_cselect_b64 s[6:7], -1, 0
	s_andn2_b64 vcc, exec, s[4:5]
	s_cbranch_vccnz .LBB31_3
.LBB31_2:
	s_mov_b32 s35, 0
	s_mov_b64 s[6:7], -1
.LBB31_3:
	s_andn2_b64 vcc, exec, s[6:7]
	s_cbranch_vccz .LBB31_5
; %bb.4:
	s_endpgm
.LBB31_5:
	s_load_dwordx4 s[28:31], s[0:1], 0x18
	s_load_dword s8, s[0:1], 0x30
	s_lshl_b64 s[44:45], s[34:35], 2
	v_cmp_lt_u32_e32 vcc, 63, v0
	s_waitcnt lgkmcnt(0)
	s_add_u32 s4, s30, s44
	s_addc_u32 s5, s31, s45
	s_load_dword s52, s[4:5], 0x0
	s_load_dword s3, s[0:1], 0x40
	s_mul_i32 s30, s2, s8
	s_mul_i32 s6, s34, s8
	s_waitcnt lgkmcnt(0)
	s_add_i32 s7, s52, 0xff
	s_ashr_i32 s4, s7, 31
	s_lshr_b32 s4, s4, 24
	s_add_i32 s7, s7, s4
	s_and_saveexec_b64 s[4:5], vcc
	s_xor_b64 s[4:5], exec, s[4:5]
	s_or_saveexec_b64 s[46:47], s[4:5]
	s_ashr_i32 s33, s7, 8
	v_mov_b32_e32 v1, s30
	s_mul_i32 s48, s6, s3
	s_xor_b64 exec, exec, s[46:47]
	s_cbranch_execz .LBB31_9
; %bb.6:
	s_add_i32 s4, s33, -1
	v_or_b32_e32 v3, 64, v0
	v_mov_b32_e32 v1, s4
	v_cmp_gt_u32_e64 s[22:23], s33, v3
	s_load_dwordx4 s[36:39], s[0:1], 0x8
	s_mov_b32 s49, 0
	v_cndmask_b32_e64 v4, v1, v3, s[22:23]
	v_or_b32_e32 v3, 0x80, v0
	v_cmp_gt_u32_e64 s[20:21], s33, v3
	s_lshl_b64 s[50:51], s[48:49], 2
	s_mov_b32 s31, s49
	v_cndmask_b32_e64 v6, v1, v3, s[20:21]
	v_or_b32_e32 v3, 0xc0, v0
	v_cmp_gt_u32_e64 s[18:19], s33, v3
	v_cmp_gt_u32_e64 s[24:25], s33, v0
	s_waitcnt lgkmcnt(0)
	s_add_u32 s26, s38, s50
	v_cndmask_b32_e64 v8, v1, v3, s[18:19]
	v_or_b32_e32 v3, 0x100, v0
	v_cmp_gt_u32_e64 s[16:17], s33, v3
	v_cndmask_b32_e64 v2, v1, v0, s[24:25]
	s_addc_u32 s27, s39, s51
	v_cndmask_b32_e64 v10, v1, v3, s[16:17]
	v_or_b32_e32 v3, 0x140, v0
	v_cmp_gt_u32_e64 s[14:15], s33, v3
	s_lshl_b64 s[38:39], s[30:31], 2
	s_add_u32 s26, s26, s38
	v_cndmask_b32_e64 v12, v1, v3, s[14:15]
	v_or_b32_e32 v3, 0x180, v0
	v_cmp_gt_u32_e64 s[12:13], s33, v3
	v_ashrrev_i32_e32 v11, 31, v10
	v_ashrrev_i32_e32 v13, 31, v12
	v_cndmask_b32_e64 v14, v1, v3, s[12:13]
	v_or_b32_e32 v3, 0x1c0, v0
	v_cmp_gt_u32_e64 s[10:11], s33, v3
	s_addc_u32 s27, s27, s39
	v_ashrrev_i32_e32 v5, 31, v4
	v_cndmask_b32_e64 v16, v1, v3, s[10:11]
	v_or_b32_e32 v3, 0x200, v0
	v_cmp_gt_u32_e64 s[8:9], s33, v3
	v_ashrrev_i32_e32 v7, 31, v6
	v_ashrrev_i32_e32 v9, 31, v8
	v_cndmask_b32_e64 v18, v1, v3, s[8:9]
	v_or_b32_e32 v3, 0x240, v0
	v_cmp_gt_u32_e64 s[6:7], s33, v3
	v_lshlrev_b64 v[10:11], 2, v[10:11]
	v_lshlrev_b64 v[12:13], 2, v[12:13]
	v_cndmask_b32_e64 v20, v1, v3, s[6:7]
	v_or_b32_e32 v3, 0x280, v0
	v_cmp_gt_u32_e64 s[4:5], s33, v3
	v_ashrrev_i32_e32 v15, 31, v14
	v_ashrrev_i32_e32 v17, 31, v16
	v_cndmask_b32_e64 v22, v1, v3, s[4:5]
	v_or_b32_e32 v3, 0x2c0, v0
	v_cmp_gt_u32_e32 vcc, s33, v3
	v_lshlrev_b64 v[4:5], 2, v[4:5]
	v_lshlrev_b64 v[6:7], 2, v[6:7]
	v_cndmask_b32_e32 v24, v1, v3, vcc
	v_ashrrev_i32_e32 v3, 31, v2
	v_lshlrev_b64 v[2:3], 2, v[2:3]
	v_lshl_add_u64 v[26:27], s[26:27], 0, v[2:3]
	v_lshlrev_b64 v[8:9], 2, v[8:9]
	v_lshl_add_u64 v[34:35], s[26:27], 0, v[10:11]
	v_lshl_add_u64 v[36:37], s[26:27], 0, v[12:13]
	v_lshlrev_b64 v[14:15], 2, v[14:15]
	v_lshlrev_b64 v[16:17], 2, v[16:17]
	v_ashrrev_i32_e32 v19, 31, v18
	v_ashrrev_i32_e32 v21, 31, v20
	v_lshl_add_u64 v[28:29], s[26:27], 0, v[4:5]
	v_lshl_add_u64 v[30:31], s[26:27], 0, v[6:7]
	;; [unrolled: 1-line block ×5, first 2 shown]
	global_load_dword v1, v[26:27], off
	global_load_dword v42, v[28:29], off
	global_load_dword v43, v[30:31], off
	global_load_dword v44, v[32:33], off
	s_nop 0
	global_load_dword v34, v[34:35], off
	s_nop 0
	global_load_dword v35, v[36:37], off
	;; [unrolled: 2-line block ×3, first 2 shown]
	global_load_dword v37, v[40:41], off
	v_lshlrev_b64 v[18:19], 2, v[18:19]
	v_lshlrev_b64 v[20:21], 2, v[20:21]
	v_ashrrev_i32_e32 v23, 31, v22
	v_ashrrev_i32_e32 v25, 31, v24
	v_lshl_add_u64 v[26:27], s[26:27], 0, v[18:19]
	v_lshl_add_u64 v[28:29], s[26:27], 0, v[20:21]
	v_lshlrev_b64 v[22:23], 2, v[22:23]
	v_lshlrev_b64 v[24:25], 2, v[24:25]
	v_lshl_add_u64 v[30:31], s[26:27], 0, v[22:23]
	v_lshl_add_u64 v[32:33], s[26:27], 0, v[24:25]
	global_load_dword v26, v[26:27], off
	s_nop 0
	global_load_dword v27, v[28:29], off
	s_nop 0
	global_load_dword v28, v[30:31], off
	global_load_dword v29, v[32:33], off
	s_mov_b32 s31, 0x3fb8aa3b
	s_waitcnt vmcnt(11)
	v_max_f32_e32 v31, v1, v1
	s_waitcnt vmcnt(10)
	v_max_f32_e32 v30, v42, v42
	v_max_f32_e32 v30, v31, v30
	v_mbcnt_lo_u32_b32 v31, -1, 0
	v_mbcnt_hi_u32_b32 v31, -1, v31
	s_waitcnt vmcnt(8)
	v_max3_f32 v30, v30, v43, v44
	v_and_b32_e32 v32, 64, v31
	s_waitcnt vmcnt(6)
	v_max3_f32 v30, v30, v34, v35
	v_add_u32_e32 v32, 64, v32
	v_xor_b32_e32 v33, 32, v31
	s_waitcnt vmcnt(4)
	v_max3_f32 v30, v30, v36, v37
	v_cmp_lt_i32_e64 s[26:27], v33, v32
	s_waitcnt vmcnt(2)
	v_max3_f32 v30, v30, v26, v27
	v_cndmask_b32_e64 v33, v31, v33, s[26:27]
	s_waitcnt vmcnt(0)
	v_max3_f32 v30, v30, v28, v29
	v_lshlrev_b32_e32 v33, 2, v33
	ds_bpermute_b32 v38, v33, v30
	s_waitcnt lgkmcnt(0)
	v_max_f32_e32 v38, v38, v38
	v_max_f32_e32 v30, v30, v38
	v_xor_b32_e32 v38, 16, v31
	v_cmp_lt_i32_e64 s[26:27], v38, v32
	s_nop 1
	v_cndmask_b32_e64 v38, v31, v38, s[26:27]
	v_lshlrev_b32_e32 v38, 2, v38
	ds_bpermute_b32 v39, v38, v30
	s_waitcnt lgkmcnt(0)
	v_max_f32_e32 v39, v39, v39
	v_max_f32_e32 v30, v30, v39
	v_xor_b32_e32 v39, 8, v31
	v_cmp_lt_i32_e64 s[26:27], v39, v32
	s_nop 1
	v_cndmask_b32_e64 v39, v31, v39, s[26:27]
	v_lshlrev_b32_e32 v39, 2, v39
	ds_bpermute_b32 v40, v39, v30
	s_add_u32 s26, s36, s50
	s_addc_u32 s27, s37, s51
	s_add_u32 s36, s26, s38
	s_addc_u32 s37, s27, s39
	s_waitcnt lgkmcnt(0)
	v_max_f32_e32 v40, v40, v40
	v_lshl_add_u64 v[2:3], s[36:37], 0, v[2:3]
	v_max_f32_e32 v30, v30, v40
	global_load_dword v40, v[2:3], off
	v_xor_b32_e32 v2, 4, v31
	v_cmp_lt_i32_e64 s[26:27], v2, v32
	s_nop 1
	v_cndmask_b32_e64 v2, v31, v2, s[26:27]
	v_lshlrev_b32_e32 v41, 2, v2
	ds_bpermute_b32 v2, v41, v30
	s_waitcnt lgkmcnt(0)
	v_max_f32_e32 v2, v2, v2
	v_max_f32_e32 v30, v30, v2
	v_xor_b32_e32 v2, 2, v31
	v_cmp_lt_i32_e64 s[26:27], v2, v32
	s_nop 1
	v_cndmask_b32_e64 v45, v31, v2, s[26:27]
	v_lshl_add_u64 v[2:3], s[36:37], 0, v[4:5]
	v_lshlrev_b32_e32 v45, 2, v45
	global_load_dword v46, v[2:3], off
	ds_bpermute_b32 v2, v45, v30
	v_lshl_add_u64 v[4:5], s[36:37], 0, v[8:9]
	v_lshl_add_u64 v[8:9], s[36:37], 0, v[14:15]
	s_waitcnt lgkmcnt(0)
	v_max_f32_e32 v2, v2, v2
	v_max_f32_e32 v30, v30, v2
	v_xor_b32_e32 v2, 1, v31
	v_cmp_lt_i32_e64 s[26:27], v2, v32
	s_nop 1
	v_cndmask_b32_e64 v2, v31, v2, s[26:27]
	v_lshlrev_b32_e32 v31, 2, v2
	v_lshl_add_u64 v[2:3], s[36:37], 0, v[6:7]
	global_load_dword v47, v[2:3], off
	v_lshl_add_u64 v[2:3], s[36:37], 0, v[10:11]
	v_lshl_add_u64 v[6:7], s[36:37], 0, v[12:13]
	;; [unrolled: 1-line block ×3, first 2 shown]
	global_load_dword v12, v[4:5], off
	global_load_dword v13, v[2:3], off
	;; [unrolled: 1-line block ×5, first 2 shown]
	ds_bpermute_b32 v32, v31, v30
	v_lshl_add_u64 v[2:3], s[36:37], 0, v[18:19]
	v_lshl_add_u64 v[4:5], s[36:37], 0, v[20:21]
	;; [unrolled: 1-line block ×4, first 2 shown]
	s_waitcnt lgkmcnt(0)
	v_max_f32_e32 v10, v32, v32
	v_max_f32_e32 v10, v30, v10
	v_sub_f32_e32 v1, v1, v10
	v_mul_f32_e32 v11, 0x3fb8aa3b, v1
	v_fma_f32 v17, v1, s31, -v11
	v_rndne_f32_e32 v18, v11
	v_fmac_f32_e32 v17, 0x32a5705f, v1
	v_sub_f32_e32 v11, v11, v18
	v_add_f32_e32 v11, v11, v17
	v_cvt_i32_f32_e32 v17, v18
	global_load_dword v18, v[2:3], off
	global_load_dword v19, v[4:5], off
	;; [unrolled: 1-line block ×4, first 2 shown]
	v_sub_f32_e32 v4, v42, v10
	v_mul_f32_e32 v5, 0x3fb8aa3b, v4
	v_fma_f32 v6, v4, s31, -v5
	v_rndne_f32_e32 v7, v5
	v_exp_f32_e32 v11, v11
	v_fmac_f32_e32 v6, 0x32a5705f, v4
	v_sub_f32_e32 v5, v5, v7
	v_add_f32_e32 v5, v5, v6
	v_exp_f32_e32 v5, v5
	v_cvt_i32_f32_e32 v6, v7
	s_mov_b32 s36, 0xc2ce8ed0
	v_ldexp_f32 v2, v11, v17
	v_cmp_ngt_f32_e64 s[26:27], s36, v1
	s_mov_b32 s37, 0x42b17218
	v_mov_b32_e32 v3, 0x7f800000
	v_cndmask_b32_e64 v2, 0, v2, s[26:27]
	v_cmp_nlt_f32_e64 s[26:27], s37, v1
	s_nop 1
	v_cndmask_b32_e64 v1, v3, v2, s[26:27]
	v_ldexp_f32 v2, v5, v6
	v_sub_f32_e32 v5, v43, v10
	v_mul_f32_e32 v6, 0x3fb8aa3b, v5
	v_fma_f32 v7, v5, s31, -v6
	v_rndne_f32_e32 v8, v6
	v_fmac_f32_e32 v7, 0x32a5705f, v5
	v_sub_f32_e32 v6, v6, v8
	v_add_f32_e32 v6, v6, v7
	v_exp_f32_e32 v6, v6
	v_cvt_i32_f32_e32 v7, v8
	v_cndmask_b32_e64 v1, 0, v1, s[24:25]
	v_cmp_ngt_f32_e64 s[24:25], s36, v4
	s_waitcnt vmcnt(11)
	v_mul_f32_e32 v1, v40, v1
	v_cndmask_b32_e64 v2, 0, v2, s[24:25]
	v_cmp_nlt_f32_e64 s[24:25], s37, v4
	v_ldexp_f32 v4, v6, v7
	v_sub_f32_e32 v6, v44, v10
	v_mul_f32_e32 v7, 0x3fb8aa3b, v6
	v_fma_f32 v8, v6, s31, -v7
	v_rndne_f32_e32 v9, v7
	v_fmac_f32_e32 v8, 0x32a5705f, v6
	v_sub_f32_e32 v7, v7, v9
	v_add_f32_e32 v7, v7, v8
	v_exp_f32_e32 v7, v7
	v_cvt_i32_f32_e32 v8, v9
	v_cndmask_b32_e64 v2, v3, v2, s[24:25]
	v_cndmask_b32_e64 v2, 0, v2, s[22:23]
	v_cmp_ngt_f32_e64 s[22:23], s36, v5
	s_waitcnt vmcnt(10)
	v_mul_f32_e32 v2, v46, v2
	v_cndmask_b32_e64 v4, 0, v4, s[22:23]
	v_cmp_nlt_f32_e64 s[22:23], s37, v5
	v_ldexp_f32 v5, v7, v8
	v_sub_f32_e32 v7, v34, v10
	v_mul_f32_e32 v8, 0x3fb8aa3b, v7
	v_fma_f32 v9, v7, s31, -v8
	v_rndne_f32_e32 v11, v8
	v_fmac_f32_e32 v9, 0x32a5705f, v7
	v_sub_f32_e32 v8, v8, v11
	v_add_f32_e32 v8, v8, v9
	v_exp_f32_e32 v8, v8
	v_cvt_i32_f32_e32 v9, v11
	v_cndmask_b32_e64 v4, v3, v4, s[22:23]
	v_cndmask_b32_e64 v4, 0, v4, s[20:21]
	v_cmp_ngt_f32_e64 s[20:21], s36, v6
	s_waitcnt vmcnt(9)
	v_mul_f32_e32 v4, v47, v4
	v_cndmask_b32_e64 v5, 0, v5, s[20:21]
	v_cmp_nlt_f32_e64 s[20:21], s37, v6
	v_ldexp_f32 v6, v8, v9
	v_sub_f32_e32 v8, v35, v10
	v_cndmask_b32_e64 v5, v3, v5, s[20:21]
	v_cndmask_b32_e64 v5, 0, v5, s[18:19]
	v_mul_f32_e32 v9, 0x3fb8aa3b, v8
	s_waitcnt vmcnt(8)
	v_mul_f32_e32 v5, v12, v5
	v_fma_f32 v11, v8, s31, -v9
	v_rndne_f32_e32 v12, v9
	v_fmac_f32_e32 v11, 0x32a5705f, v8
	v_sub_f32_e32 v9, v9, v12
	v_add_f32_e32 v9, v9, v11
	v_exp_f32_e32 v9, v9
	v_cvt_i32_f32_e32 v11, v12
	v_cmp_ngt_f32_e64 s[18:19], s36, v7
	s_nop 1
	v_cndmask_b32_e64 v6, 0, v6, s[18:19]
	v_cmp_nlt_f32_e64 s[18:19], s37, v7
	v_ldexp_f32 v7, v9, v11
	v_sub_f32_e32 v9, v36, v10
	v_cndmask_b32_e64 v6, v3, v6, s[18:19]
	v_cndmask_b32_e64 v6, 0, v6, s[16:17]
	v_mul_f32_e32 v11, 0x3fb8aa3b, v9
	s_waitcnt vmcnt(7)
	v_mul_f32_e32 v6, v13, v6
	v_fma_f32 v12, v9, s31, -v11
	v_rndne_f32_e32 v13, v11
	v_fmac_f32_e32 v12, 0x32a5705f, v9
	v_sub_f32_e32 v11, v11, v13
	v_add_f32_e32 v11, v11, v12
	v_exp_f32_e32 v11, v11
	v_cvt_i32_f32_e32 v12, v13
	v_cmp_ngt_f32_e64 s[16:17], s36, v8
	s_nop 1
	;; [unrolled: 18-line block ×5, first 2 shown]
	v_cndmask_b32_e64 v11, 0, v11, s[10:11]
	v_cmp_nlt_f32_e64 s[10:11], s37, v12
	v_ldexp_f32 v12, v14, v15
	v_sub_f32_e32 v14, v28, v10
	v_mul_f32_e32 v15, 0x3fb8aa3b, v14
	v_fma_f32 v16, v14, s31, -v15
	v_rndne_f32_e32 v17, v15
	v_fmac_f32_e32 v16, 0x32a5705f, v14
	v_sub_f32_e32 v15, v15, v17
	v_add_f32_e32 v15, v15, v16
	v_exp_f32_e32 v15, v15
	v_cvt_i32_f32_e32 v16, v17
	v_cndmask_b32_e64 v11, v3, v11, s[10:11]
	v_cndmask_b32_e64 v11, 0, v11, s[8:9]
	v_cmp_ngt_f32_e64 s[8:9], s36, v13
	v_sub_f32_e32 v10, v29, v10
	s_waitcnt vmcnt(3)
	v_mul_f32_e32 v11, v18, v11
	v_cndmask_b32_e64 v12, 0, v12, s[8:9]
	v_cmp_nlt_f32_e64 s[8:9], s37, v13
	v_ldexp_f32 v13, v15, v16
	v_mul_f32_e32 v15, 0x3fb8aa3b, v10
	v_fma_f32 v16, v10, s31, -v15
	v_rndne_f32_e32 v17, v15
	v_fmac_f32_e32 v16, 0x32a5705f, v10
	v_sub_f32_e32 v15, v15, v17
	v_add_f32_e32 v15, v15, v16
	v_cndmask_b32_e64 v12, v3, v12, s[8:9]
	v_exp_f32_e32 v15, v15
	v_cvt_i32_f32_e32 v16, v17
	v_cndmask_b32_e64 v12, 0, v12, s[6:7]
	v_cmp_ngt_f32_e64 s[6:7], s36, v14
	s_waitcnt vmcnt(2)
	v_mul_f32_e32 v12, v19, v12
	v_cndmask_b32_e64 v13, 0, v13, s[6:7]
	v_cmp_nlt_f32_e64 s[6:7], s37, v14
	v_ldexp_f32 v14, v15, v16
	v_lshlrev_b32_e32 v15, 2, v0
	v_cndmask_b32_e64 v13, v3, v13, s[6:7]
	v_cndmask_b32_e64 v13, 0, v13, s[4:5]
	v_cmp_ngt_f32_e64 s[4:5], s36, v10
	s_waitcnt vmcnt(1)
	v_mul_f32_e32 v13, v20, v13
	ds_write2st64_b32 v15, v1, v2 offset1:1
	ds_write2st64_b32 v15, v4, v5 offset0:2 offset1:3
	ds_write2st64_b32 v15, v6, v7 offset0:4 offset1:5
	v_cndmask_b32_e64 v14, 0, v14, s[4:5]
	v_cmp_nlt_f32_e64 s[4:5], s37, v10
	v_add_f32_e32 v10, v1, v2
	v_add_f32_e32 v10, v10, v4
	;; [unrolled: 1-line block ×8, first 2 shown]
	v_cndmask_b32_e64 v3, v3, v14, s[4:5]
	v_add_f32_e32 v10, v10, v12
	v_cndmask_b32_e32 v3, 0, v3, vcc
	v_add_f32_e32 v10, v10, v13
	s_waitcnt vmcnt(0)
	v_fmac_f32_e32 v10, v21, v3
	ds_bpermute_b32 v14, v33, v10
	v_cmp_eq_u32_e32 vcc, 0, v0
	v_mul_f32_e32 v3, v21, v3
	ds_write2st64_b32 v15, v8, v9 offset0:6 offset1:7
	ds_write2st64_b32 v15, v11, v12 offset0:8 offset1:9
	;; [unrolled: 1-line block ×3, first 2 shown]
	s_waitcnt lgkmcnt(3)
	v_add_f32_e32 v10, v10, v14
	ds_bpermute_b32 v14, v38, v10
	s_waitcnt lgkmcnt(0)
	v_add_f32_e32 v10, v10, v14
	ds_bpermute_b32 v14, v39, v10
	;; [unrolled: 3-line block ×5, first 2 shown]
	s_and_saveexec_b64 s[4:5], vcc
	s_cbranch_execz .LBB31_8
; %bb.7:
	s_waitcnt lgkmcnt(0)
	v_add_f32_e32 v1, v1, v2
	v_mov_b32_e32 v2, 0
	ds_write_b32 v2, v1 offset:3072
.LBB31_8:
	s_or_b64 exec, exec, s[4:5]
	v_mov_b32_e32 v1, s30
.LBB31_9:
	s_or_b64 exec, exec, s[46:47]
	s_lshl_b32 s4, s48, 6
	s_mov_b32 s5, 0
	s_lshl_b64 s[4:5], s[4:5], 1
	s_add_u32 s4, s28, s4
	s_addc_u32 s5, s29, s5
	s_lshl_b32 s10, s33, 6
	s_waitcnt lgkmcnt(0)
	v_lshlrev_b32_e32 v2, 6, v1
	v_mov_b32_e32 v1, 0
	s_sub_i32 s11, s10, 64
	v_mov_b32_e32 v3, v1
	s_cmp_lt_i32 s52, 1
	v_lshl_add_u64 v[2:3], v[2:3], 1, s[4:5]
	s_cselect_b32 s4, s11, 0
	v_lshlrev_b32_e32 v4, 1, v0
	v_mov_b32_e32 v5, v1
	s_ashr_i32 s5, s4, 31
	v_lshl_add_u64 v[2:3], v[2:3], 0, v[4:5]
	s_cmpk_lt_i32 s52, 0x101
	v_lshl_add_u64 v[12:13], s[4:5], 1, v[2:3]
	s_cselect_b32 s4, s11, 64
	s_ashr_i32 s5, s4, 31
	s_cmpk_lt_i32 s52, 0x201
	v_lshl_add_u64 v[14:15], s[4:5], 1, v[2:3]
	s_cselect_b32 s4, s11, 0x80
	s_ashr_i32 s5, s4, 31
	;; [unrolled: 4-line block ×8, first 2 shown]
	s_cmpk_lt_i32 s52, 0x901
	global_load_ushort v4, v[12:13], off
	global_load_ushort v5, v[14:15], off
	;; [unrolled: 1-line block ×8, first 2 shown]
	v_lshl_add_u64 v[20:21], s[4:5], 1, v[2:3]
	s_cselect_b32 s4, s11, 0x240
	s_ashr_i32 s5, s4, 31
	s_cmpk_lt_i32 s52, 0xa01
	v_lshl_add_u64 v[22:23], s[4:5], 1, v[2:3]
	s_cselect_b32 s4, s11, 0x280
	s_ashr_i32 s5, s4, 31
	s_cmpk_lt_i32 s52, 0xb01
	;; [unrolled: 4-line block ×6, first 2 shown]
	v_lshl_add_u64 v[32:33], s[4:5], 1, v[2:3]
	s_cselect_b32 s4, s11, 0x3c0
	s_ashr_i32 s5, s4, 31
	v_lshl_add_u64 v[34:35], s[4:5], 1, v[2:3]
	global_load_ushort v12, v[20:21], off
	global_load_ushort v13, v[22:23], off
	;; [unrolled: 1-line block ×8, first 2 shown]
	s_cmpk_gt_i32 s52, 0x1000
	s_cselect_b64 s[8:9], -1, 0
	s_cmpk_lt_i32 s52, 0x1001
	v_mov_b32_e32 v36, 0
	v_mov_b32_e32 v37, 0
	;; [unrolled: 1-line block ×48, first 2 shown]
	s_waitcnt lgkmcnt(0)
	; wave barrier
	s_cbranch_scc1 .LBB31_12
; %bb.10:
	s_cmpk_lt_u32 s52, 0x1101
	s_cselect_b32 s4, s11, 0x440
	s_ashr_i32 s5, s4, 31
	s_cmpk_lt_u32 s52, 0x1201
	v_lshl_add_u64 v[28:29], s[4:5], 1, v[2:3]
	s_cselect_b32 s4, s11, 0x480
	s_ashr_i32 s5, s4, 31
	s_cmpk_lt_u32 s52, 0x1301
	v_lshl_add_u64 v[30:31], s[4:5], 1, v[2:3]
	;; [unrolled: 4-line block ×7, first 2 shown]
	s_cselect_b32 s4, s11, 0x600
	s_ashr_i32 s5, s4, 31
	s_cmpk_lt_u32 s52, 0x1901
	global_load_ushort v27, v[2:3], off offset:2048
	global_load_ushort v26, v[28:29], off
	global_load_ushort v25, v[30:31], off
	;; [unrolled: 1-line block ×7, first 2 shown]
	v_lshl_add_u64 v[36:37], s[4:5], 1, v[2:3]
	s_cselect_b32 s4, s11, 0x640
	s_ashr_i32 s5, s4, 31
	s_cmpk_lt_u32 s52, 0x1a01
	v_lshl_add_u64 v[38:39], s[4:5], 1, v[2:3]
	s_cselect_b32 s4, s11, 0x680
	s_ashr_i32 s5, s4, 31
	s_cmpk_lt_u32 s52, 0x1b01
	;; [unrolled: 4-line block ×6, first 2 shown]
	v_lshl_add_u64 v[48:49], s[4:5], 1, v[2:3]
	s_cselect_b32 s4, s11, 0x7c0
	s_ashr_i32 s5, s4, 31
	v_lshl_add_u64 v[50:51], s[4:5], 1, v[2:3]
	global_load_ushort v35, v[36:37], off
	global_load_ushort v34, v[38:39], off
	;; [unrolled: 1-line block ×8, first 2 shown]
	s_cmpk_lt_u32 s52, 0x2001
	v_mov_b32_e32 v67, 0
	v_mov_b32_e32 v66, 0
	;; [unrolled: 1-line block ×32, first 2 shown]
	s_cbranch_scc1 .LBB31_12
; %bb.11:
	s_cmpk_lt_u32 s52, 0x2101
	s_cselect_b32 s4, s11, 0x840
	s_ashr_i32 s5, s4, 31
	s_cmpk_lt_u32 s52, 0x2201
	v_lshl_add_u64 v[38:39], s[4:5], 1, v[2:3]
	s_cselect_b32 s4, s11, 0x880
	s_ashr_i32 s5, s4, 31
	s_cmpk_lt_u32 s52, 0x2301
	v_lshl_add_u64 v[40:41], s[4:5], 1, v[2:3]
	;; [unrolled: 4-line block ×7, first 2 shown]
	s_cselect_b32 s4, s11, 0xa00
	v_add_co_u32_e32 v36, vcc, 0x1000, v2
	s_ashr_i32 s5, s4, 31
	s_nop 0
	v_addc_co_u32_e32 v37, vcc, 0, v3, vcc
	s_cmpk_lt_u32 s52, 0x2901
	global_load_ushort v52, v[36:37], off
	global_load_ushort v53, v[38:39], off
	;; [unrolled: 1-line block ×8, first 2 shown]
	v_lshl_add_u64 v[36:37], s[4:5], 1, v[2:3]
	s_cselect_b32 s4, s11, 0xa40
	s_ashr_i32 s5, s4, 31
	s_cmpk_lt_u32 s52, 0x2a01
	v_lshl_add_u64 v[38:39], s[4:5], 1, v[2:3]
	s_cselect_b32 s4, s11, 0xa80
	s_ashr_i32 s5, s4, 31
	s_cmpk_lt_u32 s52, 0x2b01
	;; [unrolled: 4-line block ×8, first 2 shown]
	global_load_ushort v68, v[36:37], off
	global_load_ushort v69, v[38:39], off
	;; [unrolled: 1-line block ×8, first 2 shown]
	v_lshl_add_u64 v[36:37], s[4:5], 1, v[2:3]
	s_cselect_b32 s4, s11, 0xc40
	s_ashr_i32 s5, s4, 31
	s_cmpk_lt_u32 s52, 0x3201
	v_lshl_add_u64 v[38:39], s[4:5], 1, v[2:3]
	s_cselect_b32 s4, s11, 0xc80
	s_ashr_i32 s5, s4, 31
	s_cmpk_lt_u32 s52, 0x3301
	;; [unrolled: 4-line block ×8, first 2 shown]
	global_load_ushort v76, v[36:37], off
	global_load_ushort v77, v[38:39], off
	global_load_ushort v78, v[40:41], off
	global_load_ushort v79, v[42:43], off
	global_load_ushort v80, v[44:45], off
	global_load_ushort v81, v[46:47], off
	global_load_ushort v82, v[48:49], off
	global_load_ushort v83, v[50:51], off
	v_lshl_add_u64 v[36:37], s[4:5], 1, v[2:3]
	s_cselect_b32 s4, s11, 0xe40
	s_ashr_i32 s5, s4, 31
	s_cmpk_lt_u32 s52, 0x3a01
	v_lshl_add_u64 v[38:39], s[4:5], 1, v[2:3]
	s_cselect_b32 s4, s11, 0xe80
	s_ashr_i32 s5, s4, 31
	s_cmpk_lt_u32 s52, 0x3b01
	;; [unrolled: 4-line block ×6, first 2 shown]
	v_lshl_add_u64 v[48:49], s[4:5], 1, v[2:3]
	s_cselect_b32 s4, s11, 0xfc0
	s_ashr_i32 s5, s4, 31
	v_lshl_add_u64 v[50:51], s[4:5], 1, v[2:3]
	global_load_ushort v84, v[36:37], off
	global_load_ushort v85, v[38:39], off
	;; [unrolled: 1-line block ×8, first 2 shown]
	s_waitcnt vmcnt(31)
	v_cvt_f32_f16_e32 v67, v52
	s_waitcnt vmcnt(30)
	v_cvt_f32_f16_e32 v66, v53
	;; [unrolled: 2-line block ×32, first 2 shown]
.LBB31_12:
	ds_read_b128 v[68:71], v1
	s_load_dwordx2 s[4:5], s[0:1], 0x0
	s_load_dwordx2 s[6:7], s[0:1], 0x38
	ds_read_b128 v[72:75], v1 offset:16
	ds_read_b128 v[76:79], v1 offset:32
	;; [unrolled: 1-line block ×3, first 2 shown]
	s_and_b64 vcc, exec, s[8:9]
	s_waitcnt vmcnt(15) lgkmcnt(0)
	v_fma_mix_f32 v4, v68, v4, 0 op_sel_hi:[0,1,0]
	s_waitcnt vmcnt(14)
	v_fma_mix_f32 v4, v69, v5, v4 op_sel_hi:[0,1,0]
	s_waitcnt vmcnt(13)
	v_fma_mix_f32 v4, v70, v6, v4 op_sel_hi:[0,1,0]
	s_waitcnt vmcnt(12)
	v_fma_mix_f32 v4, v71, v7, v4 op_sel_hi:[0,1,0]
	s_waitcnt vmcnt(11)
	v_fma_mix_f32 v4, v72, v8, v4 op_sel_hi:[0,1,0]
	s_waitcnt vmcnt(10)
	v_fma_mix_f32 v4, v73, v9, v4 op_sel_hi:[0,1,0]
	s_waitcnt vmcnt(9)
	v_fma_mix_f32 v4, v74, v10, v4 op_sel_hi:[0,1,0]
	s_waitcnt vmcnt(8)
	v_fma_mix_f32 v4, v75, v11, v4 op_sel_hi:[0,1,0]
	s_waitcnt vmcnt(7)
	v_fma_mix_f32 v4, v76, v12, v4 op_sel_hi:[0,1,0]
	s_waitcnt vmcnt(6)
	v_fma_mix_f32 v4, v77, v13, v4 op_sel_hi:[0,1,0]
	s_waitcnt vmcnt(5)
	v_fma_mix_f32 v4, v78, v14, v4 op_sel_hi:[0,1,0]
	s_waitcnt vmcnt(4)
	v_fma_mix_f32 v4, v79, v15, v4 op_sel_hi:[0,1,0]
	s_waitcnt vmcnt(3)
	v_fma_mix_f32 v4, v80, v16, v4 op_sel_hi:[0,1,0]
	s_waitcnt vmcnt(2)
	v_fma_mix_f32 v4, v81, v17, v4 op_sel_hi:[0,1,0]
	s_waitcnt vmcnt(1)
	v_fma_mix_f32 v4, v82, v18, v4 op_sel_hi:[0,1,0]
	s_waitcnt vmcnt(0)
	v_fma_mix_f32 v4, v83, v19, v4 op_sel_hi:[0,1,0]
	s_cbranch_vccz .LBB31_15
; %bb.13:
	ds_read_b128 v[6:9], v1 offset:64
	ds_read_b128 v[10:13], v1 offset:80
	;; [unrolled: 1-line block ×4, first 2 shown]
	s_cmpk_lt_u32 s52, 0x2001
	s_waitcnt lgkmcnt(3)
	v_fma_mix_f32 v4, v6, v27, v4 op_sel_hi:[0,1,0]
	v_fma_mix_f32 v4, v7, v26, v4 op_sel_hi:[0,1,0]
	v_fma_mix_f32 v4, v8, v25, v4 op_sel_hi:[0,1,0]
	v_fma_mix_f32 v4, v9, v24, v4 op_sel_hi:[0,1,0]
	s_waitcnt lgkmcnt(2)
	v_fma_mix_f32 v4, v10, v23, v4 op_sel_hi:[0,1,0]
	v_fma_mix_f32 v4, v11, v22, v4 op_sel_hi:[0,1,0]
	v_fma_mix_f32 v4, v12, v21, v4 op_sel_hi:[0,1,0]
	v_fma_mix_f32 v4, v13, v20, v4 op_sel_hi:[0,1,0]
	;; [unrolled: 5-line block ×4, first 2 shown]
	s_cbranch_scc1 .LBB31_15
; %bb.14:
	v_mov_b32_e32 v5, 0
	ds_read_b128 v[6:9], v5 offset:128
	ds_read_b128 v[10:13], v5 offset:144
	;; [unrolled: 1-line block ×4, first 2 shown]
	s_waitcnt lgkmcnt(3)
	v_fmac_f32_e32 v4, v6, v67
	v_fmac_f32_e32 v4, v7, v66
	v_fmac_f32_e32 v4, v8, v65
	v_fmac_f32_e32 v4, v9, v64
	s_waitcnt lgkmcnt(2)
	v_fmac_f32_e32 v4, v10, v63
	v_fmac_f32_e32 v4, v11, v62
	v_fmac_f32_e32 v4, v12, v61
	v_fmac_f32_e32 v4, v13, v60
	;; [unrolled: 5-line block ×3, first 2 shown]
	ds_read_b128 v[6:9], v5 offset:192
	ds_read_b128 v[10:13], v5 offset:208
	s_waitcnt lgkmcnt(2)
	v_fmac_f32_e32 v4, v18, v55
	v_fmac_f32_e32 v4, v19, v54
	;; [unrolled: 1-line block ×4, first 2 shown]
	s_waitcnt lgkmcnt(1)
	v_fmac_f32_e32 v4, v6, v51
	v_fmac_f32_e32 v4, v7, v50
	;; [unrolled: 1-line block ×4, first 2 shown]
	ds_read_b128 v[6:9], v5 offset:224
	s_waitcnt lgkmcnt(1)
	v_fmac_f32_e32 v4, v10, v47
	v_fmac_f32_e32 v4, v11, v46
	;; [unrolled: 1-line block ×4, first 2 shown]
	ds_read_b128 v[10:13], v5 offset:240
	s_waitcnt lgkmcnt(1)
	v_fmac_f32_e32 v4, v6, v43
	v_fmac_f32_e32 v4, v7, v42
	;; [unrolled: 1-line block ×4, first 2 shown]
	s_waitcnt lgkmcnt(0)
	v_fmac_f32_e32 v4, v10, v39
	v_fmac_f32_e32 v4, v11, v38
	;; [unrolled: 1-line block ×4, first 2 shown]
.LBB31_15:
	s_movk_i32 s0, 0x1fc0
	s_movk_i32 s1, 0x100
	s_mov_b32 s8, 64
	s_branch .LBB31_17
.LBB31_16:                              ;   in Loop: Header=BB31_17 Depth=1
	s_addk_i32 s0, 0x1000
	s_addk_i32 s1, 0x100
	s_add_i32 s8, s8, 64
	s_cmpk_eq_u32 s0, 0xcfc0
	s_cbranch_scc1 .LBB31_19
.LBB31_17:                              ; =>This Inner Loop Header: Depth=1
	s_cmp_le_i32 s33, s8
	s_cbranch_scc1 .LBB31_16
; %bb.18:                               ;   in Loop: Header=BB31_17 Depth=1
	s_add_i32 s9, s0, 0xfffff040
	s_cmp_lt_i32 s9, s10
	s_cselect_b32 s12, s9, s11
	s_ashr_i32 s13, s12, 31
	s_add_i32 s9, s0, 0xfffff080
	s_cmp_lt_i32 s9, s10
	v_lshl_add_u64 v[14:15], s[12:13], 1, v[2:3]
	s_cselect_b32 s12, s9, s11
	s_ashr_i32 s13, s12, 31
	s_add_i32 s9, s0, 0xfffff0c0
	s_cmp_lt_i32 s9, s10
	v_lshl_add_u64 v[16:17], s[12:13], 1, v[2:3]
	;; [unrolled: 5-line block ×8, first 2 shown]
	s_cselect_b32 s12, s9, s11
	s_ashr_i32 s13, s12, 31
	s_add_i32 s9, s0, 0xfffff280
	s_cmp_lt_i32 s9, s10
	global_load_ushort v5, v[14:15], off
	global_load_ushort v6, v[16:17], off
	global_load_ushort v7, v[18:19], off
	global_load_ushort v8, v[20:21], off
	global_load_ushort v9, v[22:23], off
	global_load_ushort v10, v[24:25], off
	global_load_ushort v11, v[26:27], off
	global_load_ushort v12, v[28:29], off
	v_lshl_add_u64 v[14:15], s[12:13], 1, v[2:3]
	s_cselect_b32 s12, s9, s11
	s_ashr_i32 s13, s12, 31
	s_add_i32 s9, s0, 0xfffff2c0
	s_cmp_lt_i32 s9, s10
	v_lshl_add_u64 v[16:17], s[12:13], 1, v[2:3]
	s_cselect_b32 s12, s9, s11
	s_ashr_i32 s13, s12, 31
	s_add_i32 s9, s0, 0xfffff300
	s_cmp_lt_i32 s9, s10
	v_lshl_add_u64 v[18:19], s[12:13], 1, v[2:3]
	s_cselect_b32 s12, s9, s11
	s_ashr_i32 s13, s12, 31
	s_add_i32 s9, s0, 0xfffff340
	s_cmp_lt_i32 s9, s10
	v_lshl_add_u64 v[20:21], s[12:13], 1, v[2:3]
	s_cselect_b32 s12, s9, s11
	s_ashr_i32 s13, s12, 31
	s_add_i32 s9, s0, 0xfffff380
	s_cmp_lt_i32 s9, s10
	v_lshl_add_u64 v[22:23], s[12:13], 1, v[2:3]
	s_cselect_b32 s12, s9, s11
	s_ashr_i32 s13, s12, 31
	s_add_i32 s9, s0, 0xfffff3c0
	s_cmp_lt_i32 s9, s10
	v_lshl_add_u64 v[24:25], s[12:13], 1, v[2:3]
	s_cselect_b32 s12, s9, s11
	s_ashr_i32 s13, s12, 31
	s_add_i32 s9, s0, 0xfffff400
	s_cmp_lt_i32 s9, s10
	v_lshl_add_u64 v[26:27], s[12:13], 1, v[2:3]
	s_cselect_b32 s12, s9, s11
	s_ashr_i32 s13, s12, 31
	s_add_i32 s9, s0, 0xfffff440
	s_cmp_lt_i32 s9, s10
	v_lshl_add_u64 v[28:29], s[12:13], 1, v[2:3]
	s_cselect_b32 s12, s9, s11
	s_ashr_i32 s13, s12, 31
	s_add_i32 s9, s0, 0xfffff480
	s_cmp_lt_i32 s9, s10
	global_load_ushort v13, v[14:15], off
	global_load_ushort v30, v[16:17], off
	global_load_ushort v31, v[18:19], off
	global_load_ushort v32, v[20:21], off
	global_load_ushort v33, v[22:23], off
	global_load_ushort v34, v[24:25], off
	global_load_ushort v35, v[26:27], off
	global_load_ushort v36, v[28:29], off
	v_lshl_add_u64 v[14:15], s[12:13], 1, v[2:3]
	s_cselect_b32 s12, s9, s11
	s_ashr_i32 s13, s12, 31
	s_add_i32 s9, s0, 0xfffff4c0
	s_cmp_lt_i32 s9, s10
	v_lshl_add_u64 v[16:17], s[12:13], 1, v[2:3]
	s_cselect_b32 s12, s9, s11
	s_ashr_i32 s13, s12, 31
	s_add_i32 s9, s0, 0xfffff500
	s_cmp_lt_i32 s9, s10
	v_lshl_add_u64 v[18:19], s[12:13], 1, v[2:3]
	s_cselect_b32 s12, s9, s11
	s_ashr_i32 s13, s12, 31
	s_add_i32 s9, s0, 0xfffff540
	s_cmp_lt_i32 s9, s10
	v_lshl_add_u64 v[20:21], s[12:13], 1, v[2:3]
	s_cselect_b32 s12, s9, s11
	s_ashr_i32 s13, s12, 31
	s_add_i32 s9, s0, 0xfffff580
	s_cmp_lt_i32 s9, s10
	v_lshl_add_u64 v[22:23], s[12:13], 1, v[2:3]
	s_cselect_b32 s12, s9, s11
	s_ashr_i32 s13, s12, 31
	s_add_i32 s9, s0, 0xfffff5c0
	s_cmp_lt_i32 s9, s10
	v_lshl_add_u64 v[24:25], s[12:13], 1, v[2:3]
	s_cselect_b32 s12, s9, s11
	s_ashr_i32 s13, s12, 31
	s_add_i32 s9, s0, 0xfffff600
	s_cmp_lt_i32 s9, s10
	v_lshl_add_u64 v[26:27], s[12:13], 1, v[2:3]
	s_cselect_b32 s12, s9, s11
	s_ashr_i32 s13, s12, 31
	s_add_i32 s9, s0, 0xfffff640
	s_cmp_lt_i32 s9, s10
	v_lshl_add_u64 v[28:29], s[12:13], 1, v[2:3]
	s_cselect_b32 s12, s9, s11
	s_ashr_i32 s13, s12, 31
	s_add_i32 s9, s0, 0xfffff680
	s_cmp_lt_i32 s9, s10
	global_load_ushort v37, v[14:15], off
	global_load_ushort v38, v[16:17], off
	global_load_ushort v39, v[18:19], off
	global_load_ushort v40, v[20:21], off
	global_load_ushort v41, v[22:23], off
	global_load_ushort v42, v[24:25], off
	global_load_ushort v43, v[26:27], off
	global_load_ushort v44, v[28:29], off
	v_lshl_add_u64 v[14:15], s[12:13], 1, v[2:3]
	s_cselect_b32 s12, s9, s11
	s_ashr_i32 s13, s12, 31
	s_add_i32 s9, s0, 0xfffff6c0
	s_cmp_lt_i32 s9, s10
	v_lshl_add_u64 v[16:17], s[12:13], 1, v[2:3]
	s_cselect_b32 s12, s9, s11
	s_ashr_i32 s13, s12, 31
	s_add_i32 s9, s0, 0xfffff700
	s_cmp_lt_i32 s9, s10
	v_lshl_add_u64 v[18:19], s[12:13], 1, v[2:3]
	s_cselect_b32 s12, s9, s11
	s_ashr_i32 s13, s12, 31
	s_add_i32 s9, s0, 0xfffff740
	s_cmp_lt_i32 s9, s10
	v_lshl_add_u64 v[20:21], s[12:13], 1, v[2:3]
	s_cselect_b32 s12, s9, s11
	s_ashr_i32 s13, s12, 31
	s_add_i32 s9, s0, 0xfffff780
	s_cmp_lt_i32 s9, s10
	v_lshl_add_u64 v[22:23], s[12:13], 1, v[2:3]
	s_cselect_b32 s12, s9, s11
	s_ashr_i32 s13, s12, 31
	s_add_i32 s9, s0, 0xfffff7c0
	s_cmp_lt_i32 s9, s10
	v_lshl_add_u64 v[24:25], s[12:13], 1, v[2:3]
	s_cselect_b32 s12, s9, s11
	s_ashr_i32 s13, s12, 31
	s_add_i32 s9, s0, 0xfffff800
	s_cmp_lt_i32 s9, s10
	v_lshl_add_u64 v[26:27], s[12:13], 1, v[2:3]
	s_cselect_b32 s12, s9, s11
	s_ashr_i32 s13, s12, 31
	s_add_i32 s9, s0, 0xfffff840
	s_cmp_lt_i32 s9, s10
	v_lshl_add_u64 v[28:29], s[12:13], 1, v[2:3]
	s_cselect_b32 s12, s9, s11
	s_ashr_i32 s13, s12, 31
	s_add_i32 s9, s0, 0xfffff880
	s_cmp_lt_i32 s9, s10
	global_load_ushort v45, v[14:15], off
	global_load_ushort v46, v[16:17], off
	global_load_ushort v47, v[18:19], off
	global_load_ushort v48, v[20:21], off
	global_load_ushort v49, v[22:23], off
	global_load_ushort v50, v[24:25], off
	global_load_ushort v51, v[26:27], off
	global_load_ushort v52, v[28:29], off
	v_lshl_add_u64 v[14:15], s[12:13], 1, v[2:3]
	s_cselect_b32 s12, s9, s11
	s_ashr_i32 s13, s12, 31
	s_add_i32 s9, s0, 0xfffff8c0
	s_cmp_lt_i32 s9, s10
	v_lshl_add_u64 v[16:17], s[12:13], 1, v[2:3]
	s_cselect_b32 s12, s9, s11
	s_ashr_i32 s13, s12, 31
	s_add_i32 s9, s0, 0xfffff900
	s_cmp_lt_i32 s9, s10
	v_lshl_add_u64 v[18:19], s[12:13], 1, v[2:3]
	s_cselect_b32 s12, s9, s11
	s_ashr_i32 s13, s12, 31
	s_add_i32 s9, s0, 0xfffff940
	s_cmp_lt_i32 s9, s10
	v_lshl_add_u64 v[20:21], s[12:13], 1, v[2:3]
	s_cselect_b32 s12, s9, s11
	s_ashr_i32 s13, s12, 31
	s_add_i32 s9, s0, 0xfffff980
	s_cmp_lt_i32 s9, s10
	v_lshl_add_u64 v[22:23], s[12:13], 1, v[2:3]
	s_cselect_b32 s12, s9, s11
	s_ashr_i32 s13, s12, 31
	s_add_i32 s9, s0, 0xfffff9c0
	s_cmp_lt_i32 s9, s10
	v_lshl_add_u64 v[24:25], s[12:13], 1, v[2:3]
	s_cselect_b32 s12, s9, s11
	s_ashr_i32 s13, s12, 31
	s_add_i32 s9, s0, 0xfffffa00
	s_cmp_lt_i32 s9, s10
	v_lshl_add_u64 v[26:27], s[12:13], 1, v[2:3]
	s_cselect_b32 s12, s9, s11
	s_ashr_i32 s13, s12, 31
	s_add_i32 s9, s0, 0xfffffa40
	s_cmp_lt_i32 s9, s10
	v_lshl_add_u64 v[28:29], s[12:13], 1, v[2:3]
	s_cselect_b32 s12, s9, s11
	s_ashr_i32 s13, s12, 31
	s_add_i32 s9, s0, 0xfffffa80
	s_cmp_lt_i32 s9, s10
	global_load_ushort v53, v[14:15], off
	global_load_ushort v54, v[16:17], off
	global_load_ushort v55, v[18:19], off
	global_load_ushort v56, v[20:21], off
	global_load_ushort v57, v[22:23], off
	global_load_ushort v58, v[24:25], off
	global_load_ushort v59, v[26:27], off
	global_load_ushort v60, v[28:29], off
	v_lshl_add_u64 v[14:15], s[12:13], 1, v[2:3]
	s_cselect_b32 s12, s9, s11
	s_ashr_i32 s13, s12, 31
	s_add_i32 s9, s0, 0xfffffac0
	s_cmp_lt_i32 s9, s10
	v_lshl_add_u64 v[16:17], s[12:13], 1, v[2:3]
	s_cselect_b32 s12, s9, s11
	s_ashr_i32 s13, s12, 31
	s_add_i32 s9, s0, 0xfffffb00
	s_cmp_lt_i32 s9, s10
	v_lshl_add_u64 v[18:19], s[12:13], 1, v[2:3]
	s_cselect_b32 s12, s9, s11
	s_ashr_i32 s13, s12, 31
	s_add_i32 s9, s0, 0xfffffb40
	s_cmp_lt_i32 s9, s10
	v_lshl_add_u64 v[20:21], s[12:13], 1, v[2:3]
	s_cselect_b32 s12, s9, s11
	s_ashr_i32 s13, s12, 31
	s_add_i32 s9, s0, 0xfffffb80
	s_cmp_lt_i32 s9, s10
	v_lshl_add_u64 v[22:23], s[12:13], 1, v[2:3]
	s_cselect_b32 s12, s9, s11
	s_ashr_i32 s13, s12, 31
	s_add_i32 s9, s0, 0xfffffbc0
	s_cmp_lt_i32 s9, s10
	v_lshl_add_u64 v[24:25], s[12:13], 1, v[2:3]
	s_cselect_b32 s12, s9, s11
	s_ashr_i32 s13, s12, 31
	s_add_i32 s9, s0, 0xfffffc00
	s_cmp_lt_i32 s9, s10
	v_lshl_add_u64 v[26:27], s[12:13], 1, v[2:3]
	s_cselect_b32 s12, s9, s11
	s_ashr_i32 s13, s12, 31
	s_add_i32 s9, s0, 0xfffffc40
	s_cmp_lt_i32 s9, s10
	v_lshl_add_u64 v[28:29], s[12:13], 1, v[2:3]
	s_cselect_b32 s12, s9, s11
	s_ashr_i32 s13, s12, 31
	s_add_i32 s9, s0, 0xfffffc80
	s_cmp_lt_i32 s9, s10
	global_load_ushort v61, v[14:15], off
	global_load_ushort v62, v[16:17], off
	global_load_ushort v63, v[18:19], off
	global_load_ushort v64, v[20:21], off
	global_load_ushort v65, v[22:23], off
	global_load_ushort v66, v[24:25], off
	global_load_ushort v67, v[26:27], off
	global_load_ushort v68, v[28:29], off
	v_lshl_add_u64 v[14:15], s[12:13], 1, v[2:3]
	s_cselect_b32 s12, s9, s11
	s_ashr_i32 s13, s12, 31
	s_add_i32 s9, s0, 0xfffffcc0
	s_cmp_lt_i32 s9, s10
	v_lshl_add_u64 v[16:17], s[12:13], 1, v[2:3]
	s_cselect_b32 s12, s9, s11
	s_ashr_i32 s13, s12, 31
	s_add_i32 s9, s0, 0xfffffd00
	s_cmp_lt_i32 s9, s10
	v_lshl_add_u64 v[18:19], s[12:13], 1, v[2:3]
	s_cselect_b32 s12, s9, s11
	s_ashr_i32 s13, s12, 31
	s_add_i32 s9, s0, 0xfffffd40
	s_cmp_lt_i32 s9, s10
	v_lshl_add_u64 v[20:21], s[12:13], 1, v[2:3]
	s_cselect_b32 s12, s9, s11
	s_ashr_i32 s13, s12, 31
	s_add_i32 s9, s0, 0xfffffd80
	s_cmp_lt_i32 s9, s10
	v_lshl_add_u64 v[22:23], s[12:13], 1, v[2:3]
	s_cselect_b32 s12, s9, s11
	s_ashr_i32 s13, s12, 31
	s_add_i32 s9, s0, 0xfffffdc0
	s_cmp_lt_i32 s9, s10
	v_lshl_add_u64 v[24:25], s[12:13], 1, v[2:3]
	s_cselect_b32 s12, s9, s11
	s_ashr_i32 s13, s12, 31
	s_add_i32 s9, s0, 0xfffffe00
	s_cmp_lt_i32 s9, s10
	v_lshl_add_u64 v[26:27], s[12:13], 1, v[2:3]
	s_cselect_b32 s12, s9, s11
	s_ashr_i32 s13, s12, 31
	s_add_i32 s9, s0, 0xfffffe40
	s_cmp_lt_i32 s9, s10
	v_lshl_add_u64 v[28:29], s[12:13], 1, v[2:3]
	s_cselect_b32 s12, s9, s11
	s_ashr_i32 s13, s12, 31
	s_add_i32 s9, s0, 0xfffffe80
	s_cmp_lt_i32 s9, s10
	global_load_ushort v69, v[14:15], off
	global_load_ushort v70, v[16:17], off
	;; [unrolled: 1-line block ×8, first 2 shown]
	v_lshl_add_u64 v[14:15], s[12:13], 1, v[2:3]
	s_cselect_b32 s12, s9, s11
	s_ashr_i32 s13, s12, 31
	s_add_i32 s9, s0, 0xfffffec0
	s_cmp_lt_i32 s9, s10
	v_lshl_add_u64 v[16:17], s[12:13], 1, v[2:3]
	s_cselect_b32 s12, s9, s11
	s_ashr_i32 s13, s12, 31
	s_add_i32 s9, s0, 0xffffff00
	s_cmp_lt_i32 s9, s10
	;; [unrolled: 5-line block ×4, first 2 shown]
	v_lshl_add_u64 v[22:23], s[12:13], 1, v[2:3]
	s_cselect_b32 s12, s9, s11
	s_ashr_i32 s13, s12, 31
	s_sub_i32 s9, s0, 64
	s_cmp_lt_i32 s9, s10
	v_lshl_add_u64 v[24:25], s[12:13], 1, v[2:3]
	s_cselect_b32 s12, s9, s11
	s_ashr_i32 s13, s12, 31
	s_cmp_lt_i32 s0, s10
	v_lshl_add_u64 v[26:27], s[12:13], 1, v[2:3]
	s_cselect_b32 s12, s0, s11
	s_ashr_i32 s13, s12, 31
	v_lshl_add_u64 v[28:29], s[12:13], 1, v[2:3]
	global_load_ushort v77, v[14:15], off
	global_load_ushort v78, v[16:17], off
	;; [unrolled: 1-line block ×8, first 2 shown]
	v_mov_b32_e32 v85, s1
	ds_read_b128 v[14:17], v85
	ds_read_b128 v[18:21], v85 offset:16
	ds_read_b128 v[22:25], v85 offset:32
	;; [unrolled: 1-line block ×3, first 2 shown]
	s_waitcnt vmcnt(62) lgkmcnt(3)
	v_fma_mix_f32 v4, v14, v5, v4 op_sel_hi:[0,1,0]
	v_fma_mix_f32 v4, v15, v6, v4 op_sel_hi:[0,1,0]
	s_waitcnt vmcnt(61)
	v_fma_mix_f32 v4, v16, v7, v4 op_sel_hi:[0,1,0]
	s_waitcnt vmcnt(60)
	v_fma_mix_f32 v4, v17, v8, v4 op_sel_hi:[0,1,0]
	s_waitcnt vmcnt(59) lgkmcnt(2)
	v_fma_mix_f32 v4, v18, v9, v4 op_sel_hi:[0,1,0]
	s_waitcnt vmcnt(58)
	v_fma_mix_f32 v4, v19, v10, v4 op_sel_hi:[0,1,0]
	s_waitcnt vmcnt(57)
	;; [unrolled: 2-line block ×3, first 2 shown]
	v_fma_mix_f32 v4, v21, v12, v4 op_sel_hi:[0,1,0]
	s_waitcnt vmcnt(55) lgkmcnt(1)
	v_fma_mix_f32 v4, v22, v13, v4 op_sel_hi:[0,1,0]
	s_waitcnt vmcnt(54)
	v_fma_mix_f32 v4, v23, v30, v4 op_sel_hi:[0,1,0]
	s_waitcnt vmcnt(53)
	v_fma_mix_f32 v4, v24, v31, v4 op_sel_hi:[0,1,0]
	s_waitcnt vmcnt(52)
	v_fma_mix_f32 v4, v25, v32, v4 op_sel_hi:[0,1,0]
	s_waitcnt vmcnt(51) lgkmcnt(0)
	v_fma_mix_f32 v8, v26, v33, v4 op_sel_hi:[0,1,0]
	ds_read_b128 v[4:7], v85 offset:64
	s_waitcnt vmcnt(50)
	v_fma_mix_f32 v8, v27, v34, v8 op_sel_hi:[0,1,0]
	s_waitcnt vmcnt(49)
	v_fma_mix_f32 v8, v28, v35, v8 op_sel_hi:[0,1,0]
	s_waitcnt vmcnt(48)
	v_fma_mix_f32 v12, v29, v36, v8 op_sel_hi:[0,1,0]
	ds_read_b128 v[8:11], v85 offset:80
	s_waitcnt vmcnt(47) lgkmcnt(1)
	v_fma_mix_f32 v4, v4, v37, v12 op_sel_hi:[0,1,0]
	s_waitcnt vmcnt(46)
	v_fma_mix_f32 v4, v5, v38, v4 op_sel_hi:[0,1,0]
	s_waitcnt vmcnt(45)
	v_fma_mix_f32 v4, v6, v39, v4 op_sel_hi:[0,1,0]
	s_waitcnt vmcnt(44)
	v_fma_mix_f32 v4, v7, v40, v4 op_sel_hi:[0,1,0]
	s_waitcnt vmcnt(43) lgkmcnt(0)
	v_fma_mix_f32 v8, v8, v41, v4 op_sel_hi:[0,1,0]
	ds_read_b128 v[4:7], v85 offset:96
	s_waitcnt vmcnt(42)
	v_fma_mix_f32 v8, v9, v42, v8 op_sel_hi:[0,1,0]
	s_waitcnt vmcnt(41)
	v_fma_mix_f32 v8, v10, v43, v8 op_sel_hi:[0,1,0]
	s_waitcnt vmcnt(40)
	v_fma_mix_f32 v12, v11, v44, v8 op_sel_hi:[0,1,0]
	ds_read_b128 v[8:11], v85 offset:112
	;; [unrolled: 18-line block ×6, first 2 shown]
	s_waitcnt vmcnt(7) lgkmcnt(1)
	v_fma_mix_f32 v4, v4, v77, v12 op_sel_hi:[0,1,0]
	s_waitcnt vmcnt(6)
	v_fma_mix_f32 v4, v5, v78, v4 op_sel_hi:[0,1,0]
	s_waitcnt vmcnt(5)
	;; [unrolled: 2-line block ×3, first 2 shown]
	v_fma_mix_f32 v4, v7, v80, v4 op_sel_hi:[0,1,0]
	s_waitcnt vmcnt(3) lgkmcnt(0)
	v_fma_mix_f32 v4, v8, v81, v4 op_sel_hi:[0,1,0]
	s_waitcnt vmcnt(2)
	v_fma_mix_f32 v4, v9, v82, v4 op_sel_hi:[0,1,0]
	s_waitcnt vmcnt(1)
	;; [unrolled: 2-line block ×3, first 2 shown]
	v_fma_mix_f32 v4, v11, v84, v4 op_sel_hi:[0,1,0]
	s_branch .LBB31_16
.LBB31_19:
	v_mov_b32_e32 v2, 0
	ds_read_b32 v2, v2 offset:3072
	s_cmp_lg_u64 s[6:7], 0
	s_cbranch_scc0 .LBB31_24
; %bb.20:
	s_load_dword s6, s[6:7], 0x0
	s_waitcnt lgkmcnt(0)
	v_div_scale_f32 v3, s[0:1], s6, s6, 1.0
	v_rcp_f32_e32 v5, v3
	v_div_scale_f32 v6, vcc, 1.0, s6, 1.0
	v_fma_f32 v7, -v3, v5, 1.0
	v_fmac_f32_e32 v5, v7, v5
	v_mul_f32_e32 v7, v6, v5
	v_fma_f32 v8, -v3, v7, v6
	v_fmac_f32_e32 v7, v8, v5
	v_fma_f32 v3, -v3, v7, v6
	v_div_fmas_f32 v3, v3, v5, v7
	v_div_fixup_f32 v3, v3, s6, 1.0
	s_andn2_b64 vcc, exec, s[42:43]
	s_cbranch_vccnz .LBB31_22
.LBB31_21:
	s_add_u32 s0, s40, s44
	s_addc_u32 s1, s41, s45
	s_load_dword s34, s[0:1], 0x0
	s_mov_b32 s35, 0
.LBB31_22:
	s_waitcnt lgkmcnt(0)
	v_add_f32_e32 v2, 0x358637bd, v2
	v_div_scale_f32 v5, s[0:1], v2, v2, 1.0
	v_rcp_f32_e32 v6, v5
	v_div_scale_f32 v7, vcc, 1.0, v2, 1.0
	s_mul_i32 s0, s3, s35
	v_fma_f32 v8, -v5, v6, 1.0
	v_fmac_f32_e32 v6, v8, v6
	v_mul_f32_e32 v8, v7, v6
	v_fma_f32 v9, -v5, v8, v7
	v_fmac_f32_e32 v8, v9, v6
	v_fma_f32 v5, -v5, v8, v7
	s_mul_hi_u32 s1, s3, s34
	v_div_fmas_f32 v5, v5, v6, v8
	s_add_i32 s1, s1, s0
	s_mul_i32 s0, s3, s34
	v_div_fixup_f32 v2, v5, v2, 1.0
	s_lshl_b64 s[0:1], s[0:1], 6
	v_mul_f32_e32 v2, v4, v2
	s_add_u32 s4, s4, s0
	s_mov_b32 s3, 0
	v_mul_f32_e32 v2, v2, v3
	s_addc_u32 s5, s5, s1
	s_lshl_b64 s[0:1], s[2:3], 6
	s_mov_b32 s2, 0x7f800000
	s_mov_b32 s3, 0x43700000
	v_mov_b32_e32 v3, 0xc3700000
	v_med3_f32 v3, v2, s3, v3
	v_cmp_nlg_f32_e64 vcc, |v2|, s2
	s_add_u32 s0, s4, s0
	s_addc_u32 s1, s5, s1
	v_cndmask_b32_e32 v2, v3, v2, vcc
	v_mov_b32_e32 v3, 0
	v_cvt_pk_fp8_f32 v3, v2, v2
	v_lshl_add_u64 v[0:1], s[0:1], 0, v[0:1]
	global_store_byte v[0:1], v3, off
	s_endpgm
.LBB31_23:
	s_mov_b64 s[6:7], 0
	s_branch .LBB31_2
.LBB31_24:
	v_mov_b32_e32 v3, 1.0
	s_andn2_b64 vcc, exec, s[42:43]
	s_cbranch_vccz .LBB31_21
	s_branch .LBB31_22
	.section	.rodata,"a",@progbits
	.p2align	6, 0x0
	.amdhsa_kernel _Z35paged_attention_ll4mi_reduce_kernelIDF16_hLi64ELi64ELi256ELi12EEvPT0_PKfS3_PKT_PKiS8_iS3_
		.amdhsa_group_segment_fixed_size 3076
		.amdhsa_private_segment_fixed_size 0
		.amdhsa_kernarg_size 320
		.amdhsa_user_sgpr_count 2
		.amdhsa_user_sgpr_dispatch_ptr 0
		.amdhsa_user_sgpr_queue_ptr 0
		.amdhsa_user_sgpr_kernarg_segment_ptr 1
		.amdhsa_user_sgpr_dispatch_id 0
		.amdhsa_user_sgpr_kernarg_preload_length 0
		.amdhsa_user_sgpr_kernarg_preload_offset 0
		.amdhsa_user_sgpr_private_segment_size 0
		.amdhsa_uses_dynamic_stack 0
		.amdhsa_enable_private_segment 0
		.amdhsa_system_sgpr_workgroup_id_x 1
		.amdhsa_system_sgpr_workgroup_id_y 1
		.amdhsa_system_sgpr_workgroup_id_z 0
		.amdhsa_system_sgpr_workgroup_info 0
		.amdhsa_system_vgpr_workitem_id 0
		.amdhsa_next_free_vgpr 92
		.amdhsa_next_free_sgpr 53
		.amdhsa_accum_offset 92
		.amdhsa_reserve_vcc 1
		.amdhsa_float_round_mode_32 0
		.amdhsa_float_round_mode_16_64 0
		.amdhsa_float_denorm_mode_32 3
		.amdhsa_float_denorm_mode_16_64 3
		.amdhsa_dx10_clamp 1
		.amdhsa_ieee_mode 1
		.amdhsa_fp16_overflow 0
		.amdhsa_tg_split 0
		.amdhsa_exception_fp_ieee_invalid_op 0
		.amdhsa_exception_fp_denorm_src 0
		.amdhsa_exception_fp_ieee_div_zero 0
		.amdhsa_exception_fp_ieee_overflow 0
		.amdhsa_exception_fp_ieee_underflow 0
		.amdhsa_exception_fp_ieee_inexact 0
		.amdhsa_exception_int_div_zero 0
	.end_amdhsa_kernel
	.section	.text._Z35paged_attention_ll4mi_reduce_kernelIDF16_hLi64ELi64ELi256ELi12EEvPT0_PKfS3_PKT_PKiS8_iS3_,"axG",@progbits,_Z35paged_attention_ll4mi_reduce_kernelIDF16_hLi64ELi64ELi256ELi12EEvPT0_PKfS3_PKT_PKiS8_iS3_,comdat
.Lfunc_end31:
	.size	_Z35paged_attention_ll4mi_reduce_kernelIDF16_hLi64ELi64ELi256ELi12EEvPT0_PKfS3_PKT_PKiS8_iS3_, .Lfunc_end31-_Z35paged_attention_ll4mi_reduce_kernelIDF16_hLi64ELi64ELi256ELi12EEvPT0_PKfS3_PKT_PKiS8_iS3_
                                        ; -- End function
	.section	.AMDGPU.csdata,"",@progbits
; Kernel info:
; codeLenInByte = 9992
; NumSgprs: 59
; NumVgprs: 92
; NumAgprs: 0
; TotalNumVgprs: 92
; ScratchSize: 0
; MemoryBound: 0
; FloatMode: 240
; IeeeMode: 1
; LDSByteSize: 3076 bytes/workgroup (compile time only)
; SGPRBlocks: 7
; VGPRBlocks: 11
; NumSGPRsForWavesPerEU: 59
; NumVGPRsForWavesPerEU: 92
; AccumOffset: 92
; Occupancy: 5
; WaveLimiterHint : 1
; COMPUTE_PGM_RSRC2:SCRATCH_EN: 0
; COMPUTE_PGM_RSRC2:USER_SGPR: 2
; COMPUTE_PGM_RSRC2:TRAP_HANDLER: 0
; COMPUTE_PGM_RSRC2:TGID_X_EN: 1
; COMPUTE_PGM_RSRC2:TGID_Y_EN: 1
; COMPUTE_PGM_RSRC2:TGID_Z_EN: 0
; COMPUTE_PGM_RSRC2:TIDIG_COMP_CNT: 0
; COMPUTE_PGM_RSRC3_GFX90A:ACCUM_OFFSET: 22
; COMPUTE_PGM_RSRC3_GFX90A:TG_SPLIT: 0
	.section	.text._Z35paged_attention_ll4mi_reduce_kernelIDF16_hLi64ELi64ELi256ELi13EEvPT0_PKfS3_PKT_PKiS8_iS3_,"axG",@progbits,_Z35paged_attention_ll4mi_reduce_kernelIDF16_hLi64ELi64ELi256ELi13EEvPT0_PKfS3_PKT_PKiS8_iS3_,comdat
	.protected	_Z35paged_attention_ll4mi_reduce_kernelIDF16_hLi64ELi64ELi256ELi13EEvPT0_PKfS3_PKT_PKiS8_iS3_ ; -- Begin function _Z35paged_attention_ll4mi_reduce_kernelIDF16_hLi64ELi64ELi256ELi13EEvPT0_PKfS3_PKT_PKiS8_iS3_
	.globl	_Z35paged_attention_ll4mi_reduce_kernelIDF16_hLi64ELi64ELi256ELi13EEvPT0_PKfS3_PKT_PKiS8_iS3_
	.p2align	8
	.type	_Z35paged_attention_ll4mi_reduce_kernelIDF16_hLi64ELi64ELi256ELi13EEvPT0_PKfS3_PKT_PKiS8_iS3_,@function
_Z35paged_attention_ll4mi_reduce_kernelIDF16_hLi64ELi64ELi256ELi13EEvPT0_PKfS3_PKT_PKiS8_iS3_: ; @_Z35paged_attention_ll4mi_reduce_kernelIDF16_hLi64ELi64ELi256ELi13EEvPT0_PKfS3_PKT_PKiS8_iS3_
; %bb.0:
	s_load_dwordx2 s[34:35], s[0:1], 0x28
	s_mov_b32 s30, s3
	s_mov_b64 s[4:5], 0
	s_waitcnt lgkmcnt(0)
	s_cmp_lg_u64 s[34:35], 0
	s_cselect_b64 s[44:45], -1, 0
	s_and_b64 vcc, exec, s[44:45]
	s_cbranch_vccz .LBB32_23
; %bb.1:
	s_add_i32 s6, s30, 1
	s_mov_b32 s7, 0
	s_lshl_b64 s[8:9], s[6:7], 2
	s_add_u32 s8, s34, s8
	s_mov_b32 s31, s7
	s_addc_u32 s9, s35, s9
	s_lshl_b64 s[6:7], s[30:31], 2
	s_add_u32 s6, s34, s6
	s_addc_u32 s7, s35, s7
	s_load_dword s3, s[8:9], 0x0
	s_load_dword s10, s[6:7], 0x0
	s_waitcnt lgkmcnt(0)
	s_sub_i32 s3, s3, s10
	s_cmp_eq_u32 s3, 1
	s_cselect_b64 s[6:7], -1, 0
	s_andn2_b64 vcc, exec, s[4:5]
	s_cbranch_vccnz .LBB32_3
.LBB32_2:
	s_mov_b32 s31, 0
	s_mov_b64 s[6:7], -1
.LBB32_3:
	s_andn2_b64 vcc, exec, s[6:7]
	s_cbranch_vccz .LBB32_5
; %bb.4:
	s_endpgm
.LBB32_5:
	s_load_dwordx4 s[36:39], s[0:1], 0x18
	s_load_dword s8, s[0:1], 0x30
	s_lshl_b64 s[46:47], s[30:31], 2
	v_cmp_lt_u32_e32 vcc, 63, v0
	s_waitcnt lgkmcnt(0)
	s_add_u32 s4, s38, s46
	s_addc_u32 s5, s39, s47
	s_load_dword s54, s[4:5], 0x0
	s_load_dword s3, s[0:1], 0x40
	s_mul_i32 s38, s2, s8
	s_mul_i32 s6, s30, s8
	s_waitcnt lgkmcnt(0)
	s_add_i32 s7, s54, 0xff
	s_ashr_i32 s4, s7, 31
	s_lshr_b32 s4, s4, 24
	s_add_i32 s7, s7, s4
	s_and_saveexec_b64 s[4:5], vcc
	s_xor_b64 s[4:5], exec, s[4:5]
	s_or_saveexec_b64 s[48:49], s[4:5]
	s_ashr_i32 s33, s7, 8
	v_mov_b32_e32 v1, s38
	s_mul_i32 s50, s6, s3
	s_xor_b64 exec, exec, s[48:49]
	s_cbranch_execz .LBB32_9
; %bb.6:
	s_add_i32 s4, s33, -1
	v_or_b32_e32 v3, 64, v0
	v_mov_b32_e32 v1, s4
	v_cmp_gt_u32_e64 s[24:25], s33, v3
	s_load_dwordx4 s[40:43], s[0:1], 0x8
	s_mov_b32 s51, 0
	v_cndmask_b32_e64 v4, v1, v3, s[24:25]
	v_or_b32_e32 v3, 0x80, v0
	v_cmp_gt_u32_e64 s[22:23], s33, v3
	s_lshl_b64 s[52:53], s[50:51], 2
	s_mov_b32 s39, s51
	v_cndmask_b32_e64 v6, v1, v3, s[22:23]
	v_or_b32_e32 v3, 0xc0, v0
	v_cmp_gt_u32_e64 s[20:21], s33, v3
	v_cmp_gt_u32_e64 s[26:27], s33, v0
	s_waitcnt lgkmcnt(0)
	s_add_u32 s28, s42, s52
	v_cndmask_b32_e64 v8, v1, v3, s[20:21]
	v_or_b32_e32 v3, 0x100, v0
	v_cmp_gt_u32_e64 s[18:19], s33, v3
	v_cndmask_b32_e64 v2, v1, v0, s[26:27]
	s_addc_u32 s29, s43, s53
	v_cndmask_b32_e64 v10, v1, v3, s[18:19]
	v_or_b32_e32 v3, 0x140, v0
	v_cmp_gt_u32_e64 s[16:17], s33, v3
	s_lshl_b64 s[42:43], s[38:39], 2
	s_add_u32 s28, s28, s42
	v_cndmask_b32_e64 v12, v1, v3, s[16:17]
	v_or_b32_e32 v3, 0x180, v0
	v_cmp_gt_u32_e64 s[14:15], s33, v3
	v_ashrrev_i32_e32 v13, 31, v12
	s_addc_u32 s29, s29, s43
	v_cndmask_b32_e64 v14, v1, v3, s[14:15]
	v_or_b32_e32 v3, 0x1c0, v0
	v_cmp_gt_u32_e64 s[12:13], s33, v3
	v_ashrrev_i32_e32 v15, 31, v14
	v_ashrrev_i32_e32 v5, 31, v4
	v_cndmask_b32_e64 v16, v1, v3, s[12:13]
	v_or_b32_e32 v3, 0x200, v0
	v_cmp_gt_u32_e64 s[10:11], s33, v3
	v_ashrrev_i32_e32 v7, 31, v6
	v_ashrrev_i32_e32 v9, 31, v8
	v_cndmask_b32_e64 v18, v1, v3, s[10:11]
	v_or_b32_e32 v3, 0x240, v0
	v_cmp_gt_u32_e64 s[8:9], s33, v3
	v_ashrrev_i32_e32 v11, 31, v10
	v_lshlrev_b64 v[12:13], 2, v[12:13]
	v_cndmask_b32_e64 v20, v1, v3, s[8:9]
	v_or_b32_e32 v3, 0x280, v0
	v_cmp_gt_u32_e64 s[6:7], s33, v3
	v_lshlrev_b64 v[14:15], 2, v[14:15]
	v_ashrrev_i32_e32 v17, 31, v16
	v_cndmask_b32_e64 v22, v1, v3, s[6:7]
	v_or_b32_e32 v3, 0x2c0, v0
	v_cmp_gt_u32_e64 s[4:5], s33, v3
	v_lshlrev_b64 v[4:5], 2, v[4:5]
	v_lshlrev_b64 v[6:7], 2, v[6:7]
	v_cndmask_b32_e64 v24, v1, v3, s[4:5]
	v_or_b32_e32 v3, 0x300, v0
	v_cmp_gt_u32_e32 vcc, s33, v3
	v_lshlrev_b64 v[8:9], 2, v[8:9]
	v_lshlrev_b64 v[10:11], 2, v[10:11]
	v_cndmask_b32_e32 v26, v1, v3, vcc
	v_ashrrev_i32_e32 v3, 31, v2
	v_lshlrev_b64 v[2:3], 2, v[2:3]
	v_lshl_add_u64 v[28:29], s[28:29], 0, v[2:3]
	v_lshl_add_u64 v[38:39], s[28:29], 0, v[12:13]
	v_lshl_add_u64 v[40:41], s[28:29], 0, v[14:15]
	v_lshlrev_b64 v[16:17], 2, v[16:17]
	v_ashrrev_i32_e32 v19, 31, v18
	v_ashrrev_i32_e32 v21, 31, v20
	;; [unrolled: 1-line block ×3, first 2 shown]
	v_lshl_add_u64 v[30:31], s[28:29], 0, v[4:5]
	v_lshl_add_u64 v[32:33], s[28:29], 0, v[6:7]
	;; [unrolled: 1-line block ×5, first 2 shown]
	global_load_dword v1, v[28:29], off
	global_load_dword v44, v[30:31], off
	;; [unrolled: 1-line block ×5, first 2 shown]
	s_nop 0
	global_load_dword v38, v[38:39], off
	s_nop 0
	global_load_dword v39, v[40:41], off
	;; [unrolled: 2-line block ×3, first 2 shown]
	v_lshlrev_b64 v[18:19], 2, v[18:19]
	v_lshlrev_b64 v[20:21], 2, v[20:21]
	;; [unrolled: 1-line block ×3, first 2 shown]
	v_ashrrev_i32_e32 v25, 31, v24
	v_ashrrev_i32_e32 v27, 31, v26
	v_lshl_add_u64 v[28:29], s[28:29], 0, v[18:19]
	v_lshl_add_u64 v[30:31], s[28:29], 0, v[20:21]
	;; [unrolled: 1-line block ×3, first 2 shown]
	v_lshlrev_b64 v[24:25], 2, v[24:25]
	v_lshlrev_b64 v[26:27], 2, v[26:27]
	v_lshl_add_u64 v[34:35], s[28:29], 0, v[24:25]
	v_lshl_add_u64 v[36:37], s[28:29], 0, v[26:27]
	global_load_dword v28, v[28:29], off
	s_nop 0
	global_load_dword v29, v[30:31], off
	s_nop 0
	global_load_dword v30, v[32:33], off
	global_load_dword v31, v[34:35], off
	s_nop 0
	global_load_dword v32, v[36:37], off
	v_mbcnt_lo_u32_b32 v34, -1, 0
	v_mbcnt_hi_u32_b32 v34, -1, v34
	v_and_b32_e32 v35, 64, v34
	v_add_u32_e32 v35, 64, v35
	v_xor_b32_e32 v36, 32, v34
	v_cmp_lt_i32_e64 s[28:29], v36, v35
	s_mov_b32 s39, 0x3fb8aa3b
	s_waitcnt vmcnt(10)
	v_max3_f32 v33, v1, v44, v45
	v_cndmask_b32_e64 v36, v34, v36, s[28:29]
	s_waitcnt vmcnt(8)
	v_max3_f32 v33, v33, v46, v47
	v_lshlrev_b32_e32 v36, 2, v36
	s_waitcnt vmcnt(6)
	v_max3_f32 v33, v33, v38, v39
	s_waitcnt vmcnt(4)
	v_max3_f32 v33, v33, v40, v28
	;; [unrolled: 2-line block ×4, first 2 shown]
	ds_bpermute_b32 v37, v36, v33
	s_waitcnt lgkmcnt(0)
	v_max_f32_e32 v37, v37, v37
	v_max_f32_e32 v33, v33, v37
	v_xor_b32_e32 v37, 16, v34
	v_cmp_lt_i32_e64 s[28:29], v37, v35
	s_nop 1
	v_cndmask_b32_e64 v37, v34, v37, s[28:29]
	v_lshlrev_b32_e32 v37, 2, v37
	ds_bpermute_b32 v41, v37, v33
	s_waitcnt lgkmcnt(0)
	v_max_f32_e32 v41, v41, v41
	v_max_f32_e32 v33, v33, v41
	v_xor_b32_e32 v41, 8, v34
	v_cmp_lt_i32_e64 s[28:29], v41, v35
	s_nop 1
	v_cndmask_b32_e64 v41, v34, v41, s[28:29]
	v_lshlrev_b32_e32 v41, 2, v41
	ds_bpermute_b32 v42, v41, v33
	s_add_u32 s28, s40, s52
	s_addc_u32 s29, s41, s53
	s_add_u32 s40, s28, s42
	s_addc_u32 s41, s29, s43
	s_waitcnt lgkmcnt(0)
	v_max_f32_e32 v42, v42, v42
	v_max_f32_e32 v33, v33, v42
	v_xor_b32_e32 v42, 4, v34
	v_lshl_add_u64 v[2:3], s[40:41], 0, v[2:3]
	v_cmp_lt_i32_e64 s[28:29], v42, v35
	global_load_dword v43, v[2:3], off
	s_nop 0
	v_cndmask_b32_e64 v2, v34, v42, s[28:29]
	v_lshlrev_b32_e32 v42, 2, v2
	ds_bpermute_b32 v2, v42, v33
	s_waitcnt lgkmcnt(0)
	v_max_f32_e32 v2, v2, v2
	v_max_f32_e32 v33, v33, v2
	v_xor_b32_e32 v2, 2, v34
	v_cmp_lt_i32_e64 s[28:29], v2, v35
	s_nop 1
	v_cndmask_b32_e64 v2, v34, v2, s[28:29]
	v_lshlrev_b32_e32 v48, 2, v2
	ds_bpermute_b32 v49, v48, v33
	v_lshl_add_u64 v[2:3], s[40:41], 0, v[4:5]
	global_load_dword v50, v[2:3], off
	v_lshl_add_u64 v[4:5], s[40:41], 0, v[8:9]
	v_lshl_add_u64 v[8:9], s[40:41], 0, v[12:13]
	s_waitcnt lgkmcnt(0)
	v_max_f32_e32 v2, v49, v49
	v_max_f32_e32 v33, v33, v2
	v_xor_b32_e32 v2, 1, v34
	v_cmp_lt_i32_e64 s[28:29], v2, v35
	s_nop 1
	v_cndmask_b32_e64 v2, v34, v2, s[28:29]
	v_lshlrev_b32_e32 v34, 2, v2
	v_lshl_add_u64 v[2:3], s[40:41], 0, v[6:7]
	global_load_dword v12, v[2:3], off
	v_lshl_add_u64 v[6:7], s[40:41], 0, v[10:11]
	v_lshl_add_u64 v[2:3], s[40:41], 0, v[14:15]
	;; [unrolled: 1-line block ×3, first 2 shown]
	global_load_dword v13, v[4:5], off
	global_load_dword v14, v[6:7], off
	;; [unrolled: 1-line block ×5, first 2 shown]
	ds_bpermute_b32 v35, v34, v33
	v_lshl_add_u64 v[2:3], s[40:41], 0, v[18:19]
	v_lshl_add_u64 v[4:5], s[40:41], 0, v[20:21]
	;; [unrolled: 1-line block ×4, first 2 shown]
	s_waitcnt lgkmcnt(0)
	v_max_f32_e32 v18, v35, v35
	v_max_f32_e32 v18, v33, v18
	v_sub_f32_e32 v1, v1, v18
	v_mul_f32_e32 v19, 0x3fb8aa3b, v1
	v_fma_f32 v20, v1, s39, -v19
	v_rndne_f32_e32 v21, v19
	v_fmac_f32_e32 v20, 0x32a5705f, v1
	v_sub_f32_e32 v19, v19, v21
	v_lshl_add_u64 v[10:11], s[40:41], 0, v[26:27]
	v_add_f32_e32 v19, v19, v20
	v_cvt_i32_f32_e32 v20, v21
	global_load_dword v21, v[2:3], off
	global_load_dword v22, v[4:5], off
	;; [unrolled: 1-line block ×5, first 2 shown]
	v_sub_f32_e32 v4, v44, v18
	v_mul_f32_e32 v5, 0x3fb8aa3b, v4
	v_fma_f32 v6, v4, s39, -v5
	v_rndne_f32_e32 v7, v5
	v_exp_f32_e32 v19, v19
	v_fmac_f32_e32 v6, 0x32a5705f, v4
	v_sub_f32_e32 v5, v5, v7
	v_add_f32_e32 v5, v5, v6
	v_exp_f32_e32 v5, v5
	v_cvt_i32_f32_e32 v6, v7
	s_mov_b32 s40, 0xc2ce8ed0
	v_ldexp_f32 v2, v19, v20
	v_cmp_ngt_f32_e64 s[28:29], s40, v1
	s_mov_b32 s41, 0x42b17218
	v_mov_b32_e32 v3, 0x7f800000
	v_cndmask_b32_e64 v2, 0, v2, s[28:29]
	v_cmp_nlt_f32_e64 s[28:29], s41, v1
	s_nop 1
	v_cndmask_b32_e64 v1, v3, v2, s[28:29]
	v_ldexp_f32 v2, v5, v6
	v_sub_f32_e32 v5, v45, v18
	v_mul_f32_e32 v6, 0x3fb8aa3b, v5
	v_fma_f32 v7, v5, s39, -v6
	v_rndne_f32_e32 v8, v6
	v_fmac_f32_e32 v7, 0x32a5705f, v5
	v_sub_f32_e32 v6, v6, v8
	v_add_f32_e32 v6, v6, v7
	v_exp_f32_e32 v6, v6
	v_cvt_i32_f32_e32 v7, v8
	v_cndmask_b32_e64 v1, 0, v1, s[26:27]
	v_cmp_ngt_f32_e64 s[26:27], s40, v4
	s_waitcnt vmcnt(12)
	v_mul_f32_e32 v1, v43, v1
	v_cndmask_b32_e64 v2, 0, v2, s[26:27]
	v_cmp_nlt_f32_e64 s[26:27], s41, v4
	v_ldexp_f32 v4, v6, v7
	v_sub_f32_e32 v6, v46, v18
	v_mul_f32_e32 v7, 0x3fb8aa3b, v6
	v_fma_f32 v8, v6, s39, -v7
	v_rndne_f32_e32 v9, v7
	v_fmac_f32_e32 v8, 0x32a5705f, v6
	v_sub_f32_e32 v7, v7, v9
	v_add_f32_e32 v7, v7, v8
	v_exp_f32_e32 v7, v7
	v_cvt_i32_f32_e32 v8, v9
	v_cndmask_b32_e64 v2, v3, v2, s[26:27]
	v_cndmask_b32_e64 v2, 0, v2, s[24:25]
	v_cmp_ngt_f32_e64 s[24:25], s40, v5
	s_waitcnt vmcnt(11)
	v_mul_f32_e32 v2, v50, v2
	v_cndmask_b32_e64 v4, 0, v4, s[24:25]
	v_cmp_nlt_f32_e64 s[24:25], s41, v5
	v_ldexp_f32 v5, v7, v8
	v_sub_f32_e32 v7, v47, v18
	v_mul_f32_e32 v8, 0x3fb8aa3b, v7
	v_fma_f32 v9, v7, s39, -v8
	v_rndne_f32_e32 v10, v8
	v_fmac_f32_e32 v9, 0x32a5705f, v7
	v_sub_f32_e32 v8, v8, v10
	v_add_f32_e32 v8, v8, v9
	v_exp_f32_e32 v8, v8
	v_cvt_i32_f32_e32 v9, v10
	v_cndmask_b32_e64 v4, v3, v4, s[24:25]
	;; [unrolled: 17-line block ×9, first 2 shown]
	v_cndmask_b32_e64 v11, 0, v11, s[8:9]
	v_cmp_ngt_f32_e64 s[8:9], s40, v13
	s_waitcnt vmcnt(3)
	v_mul_f32_e32 v11, v22, v11
	v_cndmask_b32_e64 v12, 0, v12, s[8:9]
	v_cmp_nlt_f32_e64 s[8:9], s41, v13
	v_ldexp_f32 v13, v15, v16
	v_sub_f32_e32 v15, v32, v18
	v_mul_f32_e32 v16, 0x3fb8aa3b, v15
	v_fma_f32 v17, v15, s39, -v16
	v_rndne_f32_e32 v18, v16
	v_fmac_f32_e32 v17, 0x32a5705f, v15
	v_sub_f32_e32 v16, v16, v18
	v_add_f32_e32 v16, v16, v17
	v_cndmask_b32_e64 v12, v3, v12, s[8:9]
	v_exp_f32_e32 v16, v16
	v_cvt_i32_f32_e32 v17, v18
	v_cndmask_b32_e64 v12, 0, v12, s[6:7]
	v_cmp_ngt_f32_e64 s[6:7], s40, v14
	s_waitcnt vmcnt(2)
	v_mul_f32_e32 v12, v23, v12
	v_cndmask_b32_e64 v13, 0, v13, s[6:7]
	v_cmp_nlt_f32_e64 s[6:7], s41, v14
	v_ldexp_f32 v14, v16, v17
	v_lshlrev_b32_e32 v16, 2, v0
	v_cndmask_b32_e64 v13, v3, v13, s[6:7]
	v_cndmask_b32_e64 v13, 0, v13, s[4:5]
	v_cmp_ngt_f32_e64 s[4:5], s40, v15
	ds_write2st64_b32 v16, v1, v2 offset1:1
	ds_write2st64_b32 v16, v4, v5 offset0:2 offset1:3
	ds_write2st64_b32 v16, v6, v7 offset0:4 offset1:5
	;; [unrolled: 1-line block ×3, first 2 shown]
	v_cndmask_b32_e64 v14, 0, v14, s[4:5]
	v_cmp_nlt_f32_e64 s[4:5], s41, v15
	s_nop 1
	v_cndmask_b32_e64 v3, v3, v14, s[4:5]
	v_add_f32_e32 v14, v1, v2
	v_add_f32_e32 v14, v14, v4
	;; [unrolled: 1-line block ×10, first 2 shown]
	v_cndmask_b32_e32 v3, 0, v3, vcc
	s_waitcnt vmcnt(1)
	v_fmac_f32_e32 v14, v24, v13
	s_waitcnt vmcnt(0)
	v_fmac_f32_e32 v14, v25, v3
	ds_bpermute_b32 v15, v36, v14
	v_cmp_eq_u32_e32 vcc, 0, v0
	v_mul_f32_e32 v13, v24, v13
	v_mul_f32_e32 v3, v25, v3
	ds_write2st64_b32 v16, v10, v11 offset0:8 offset1:9
	ds_write2st64_b32 v16, v12, v13 offset0:10 offset1:11
	ds_write_b32 v16, v3 offset:3072
	s_waitcnt lgkmcnt(3)
	v_add_f32_e32 v14, v14, v15
	ds_bpermute_b32 v15, v37, v14
	s_waitcnt lgkmcnt(0)
	v_add_f32_e32 v14, v14, v15
	ds_bpermute_b32 v15, v41, v14
	;; [unrolled: 3-line block ×5, first 2 shown]
	s_and_saveexec_b64 s[4:5], vcc
	s_cbranch_execz .LBB32_8
; %bb.7:
	s_waitcnt lgkmcnt(0)
	v_add_f32_e32 v1, v1, v2
	v_mov_b32_e32 v2, 0
	ds_write_b32 v2, v1 offset:3328
.LBB32_8:
	s_or_b64 exec, exec, s[4:5]
	v_mov_b32_e32 v1, s38
.LBB32_9:
	s_or_b64 exec, exec, s[48:49]
	s_lshl_b32 s4, s50, 6
	s_mov_b32 s5, 0
	s_lshl_b64 s[4:5], s[4:5], 1
	s_add_u32 s4, s36, s4
	s_addc_u32 s5, s37, s5
	s_lshl_b32 s10, s33, 6
	s_waitcnt lgkmcnt(0)
	v_lshlrev_b32_e32 v2, 6, v1
	v_mov_b32_e32 v1, 0
	s_sub_i32 s11, s10, 64
	v_mov_b32_e32 v3, v1
	s_cmp_lt_i32 s54, 1
	v_lshl_add_u64 v[2:3], v[2:3], 1, s[4:5]
	s_cselect_b32 s4, s11, 0
	v_lshlrev_b32_e32 v4, 1, v0
	v_mov_b32_e32 v5, v1
	s_ashr_i32 s5, s4, 31
	v_lshl_add_u64 v[2:3], v[2:3], 0, v[4:5]
	s_cmpk_lt_i32 s54, 0x101
	v_lshl_add_u64 v[12:13], s[4:5], 1, v[2:3]
	s_cselect_b32 s4, s11, 64
	s_ashr_i32 s5, s4, 31
	s_cmpk_lt_i32 s54, 0x201
	v_lshl_add_u64 v[14:15], s[4:5], 1, v[2:3]
	s_cselect_b32 s4, s11, 0x80
	s_ashr_i32 s5, s4, 31
	;; [unrolled: 4-line block ×8, first 2 shown]
	s_cmpk_lt_i32 s54, 0x901
	global_load_ushort v4, v[12:13], off
	global_load_ushort v5, v[14:15], off
	;; [unrolled: 1-line block ×8, first 2 shown]
	v_lshl_add_u64 v[20:21], s[4:5], 1, v[2:3]
	s_cselect_b32 s4, s11, 0x240
	s_ashr_i32 s5, s4, 31
	s_cmpk_lt_i32 s54, 0xa01
	v_lshl_add_u64 v[22:23], s[4:5], 1, v[2:3]
	s_cselect_b32 s4, s11, 0x280
	s_ashr_i32 s5, s4, 31
	s_cmpk_lt_i32 s54, 0xb01
	;; [unrolled: 4-line block ×6, first 2 shown]
	v_lshl_add_u64 v[32:33], s[4:5], 1, v[2:3]
	s_cselect_b32 s4, s11, 0x3c0
	s_ashr_i32 s5, s4, 31
	v_lshl_add_u64 v[34:35], s[4:5], 1, v[2:3]
	global_load_ushort v12, v[20:21], off
	global_load_ushort v13, v[22:23], off
	;; [unrolled: 1-line block ×8, first 2 shown]
	s_cmpk_gt_i32 s54, 0x1000
	s_cselect_b64 s[8:9], -1, 0
	s_cmpk_lt_i32 s54, 0x1001
	v_mov_b32_e32 v36, 0
	v_mov_b32_e32 v37, 0
	;; [unrolled: 1-line block ×48, first 2 shown]
	s_waitcnt lgkmcnt(0)
	; wave barrier
	s_cbranch_scc1 .LBB32_12
; %bb.10:
	s_cmpk_lt_u32 s54, 0x1101
	s_cselect_b32 s4, s11, 0x440
	s_ashr_i32 s5, s4, 31
	s_cmpk_lt_u32 s54, 0x1201
	v_lshl_add_u64 v[28:29], s[4:5], 1, v[2:3]
	s_cselect_b32 s4, s11, 0x480
	s_ashr_i32 s5, s4, 31
	s_cmpk_lt_u32 s54, 0x1301
	v_lshl_add_u64 v[30:31], s[4:5], 1, v[2:3]
	;; [unrolled: 4-line block ×7, first 2 shown]
	s_cselect_b32 s4, s11, 0x600
	s_ashr_i32 s5, s4, 31
	s_cmpk_lt_u32 s54, 0x1901
	global_load_ushort v27, v[2:3], off offset:2048
	global_load_ushort v26, v[28:29], off
	global_load_ushort v25, v[30:31], off
	;; [unrolled: 1-line block ×7, first 2 shown]
	v_lshl_add_u64 v[36:37], s[4:5], 1, v[2:3]
	s_cselect_b32 s4, s11, 0x640
	s_ashr_i32 s5, s4, 31
	s_cmpk_lt_u32 s54, 0x1a01
	v_lshl_add_u64 v[38:39], s[4:5], 1, v[2:3]
	s_cselect_b32 s4, s11, 0x680
	s_ashr_i32 s5, s4, 31
	s_cmpk_lt_u32 s54, 0x1b01
	v_lshl_add_u64 v[40:41], s[4:5], 1, v[2:3]
	s_cselect_b32 s4, s11, 0x6c0
	s_ashr_i32 s5, s4, 31
	s_cmpk_lt_u32 s54, 0x1c01
	v_lshl_add_u64 v[42:43], s[4:5], 1, v[2:3]
	s_cselect_b32 s4, s11, 0x700
	s_ashr_i32 s5, s4, 31
	s_cmpk_lt_u32 s54, 0x1d01
	v_lshl_add_u64 v[44:45], s[4:5], 1, v[2:3]
	s_cselect_b32 s4, s11, 0x740
	s_ashr_i32 s5, s4, 31
	s_cmpk_lt_u32 s54, 0x1e01
	v_lshl_add_u64 v[46:47], s[4:5], 1, v[2:3]
	s_cselect_b32 s4, s11, 0x780
	s_ashr_i32 s5, s4, 31
	s_cmpk_lt_u32 s54, 0x1f01
	v_lshl_add_u64 v[48:49], s[4:5], 1, v[2:3]
	s_cselect_b32 s4, s11, 0x7c0
	s_ashr_i32 s5, s4, 31
	v_lshl_add_u64 v[50:51], s[4:5], 1, v[2:3]
	global_load_ushort v35, v[36:37], off
	global_load_ushort v34, v[38:39], off
	;; [unrolled: 1-line block ×8, first 2 shown]
	s_cmpk_lt_u32 s54, 0x2001
	v_mov_b32_e32 v67, 0
	v_mov_b32_e32 v66, 0
	;; [unrolled: 1-line block ×32, first 2 shown]
	s_cbranch_scc1 .LBB32_12
; %bb.11:
	s_cmpk_lt_u32 s54, 0x2101
	s_cselect_b32 s4, s11, 0x840
	s_ashr_i32 s5, s4, 31
	s_cmpk_lt_u32 s54, 0x2201
	v_lshl_add_u64 v[38:39], s[4:5], 1, v[2:3]
	s_cselect_b32 s4, s11, 0x880
	s_ashr_i32 s5, s4, 31
	s_cmpk_lt_u32 s54, 0x2301
	v_lshl_add_u64 v[40:41], s[4:5], 1, v[2:3]
	;; [unrolled: 4-line block ×7, first 2 shown]
	s_cselect_b32 s4, s11, 0xa00
	v_add_co_u32_e32 v36, vcc, 0x1000, v2
	s_ashr_i32 s5, s4, 31
	s_nop 0
	v_addc_co_u32_e32 v37, vcc, 0, v3, vcc
	s_cmpk_lt_u32 s54, 0x2901
	global_load_ushort v52, v[36:37], off
	global_load_ushort v53, v[38:39], off
	;; [unrolled: 1-line block ×8, first 2 shown]
	v_lshl_add_u64 v[36:37], s[4:5], 1, v[2:3]
	s_cselect_b32 s4, s11, 0xa40
	s_ashr_i32 s5, s4, 31
	s_cmpk_lt_u32 s54, 0x2a01
	v_lshl_add_u64 v[38:39], s[4:5], 1, v[2:3]
	s_cselect_b32 s4, s11, 0xa80
	s_ashr_i32 s5, s4, 31
	s_cmpk_lt_u32 s54, 0x2b01
	;; [unrolled: 4-line block ×8, first 2 shown]
	global_load_ushort v68, v[36:37], off
	global_load_ushort v69, v[38:39], off
	;; [unrolled: 1-line block ×8, first 2 shown]
	v_lshl_add_u64 v[36:37], s[4:5], 1, v[2:3]
	s_cselect_b32 s4, s11, 0xc40
	s_ashr_i32 s5, s4, 31
	s_cmpk_lt_u32 s54, 0x3201
	v_lshl_add_u64 v[38:39], s[4:5], 1, v[2:3]
	s_cselect_b32 s4, s11, 0xc80
	s_ashr_i32 s5, s4, 31
	s_cmpk_lt_u32 s54, 0x3301
	;; [unrolled: 4-line block ×8, first 2 shown]
	global_load_ushort v76, v[36:37], off
	global_load_ushort v77, v[38:39], off
	;; [unrolled: 1-line block ×8, first 2 shown]
	v_lshl_add_u64 v[36:37], s[4:5], 1, v[2:3]
	s_cselect_b32 s4, s11, 0xe40
	s_ashr_i32 s5, s4, 31
	s_cmpk_lt_u32 s54, 0x3a01
	v_lshl_add_u64 v[38:39], s[4:5], 1, v[2:3]
	s_cselect_b32 s4, s11, 0xe80
	s_ashr_i32 s5, s4, 31
	s_cmpk_lt_u32 s54, 0x3b01
	;; [unrolled: 4-line block ×6, first 2 shown]
	v_lshl_add_u64 v[48:49], s[4:5], 1, v[2:3]
	s_cselect_b32 s4, s11, 0xfc0
	s_ashr_i32 s5, s4, 31
	v_lshl_add_u64 v[50:51], s[4:5], 1, v[2:3]
	global_load_ushort v84, v[36:37], off
	global_load_ushort v85, v[38:39], off
	;; [unrolled: 1-line block ×8, first 2 shown]
	s_waitcnt vmcnt(31)
	v_cvt_f32_f16_e32 v67, v52
	s_waitcnt vmcnt(30)
	v_cvt_f32_f16_e32 v66, v53
	s_waitcnt vmcnt(29)
	v_cvt_f32_f16_e32 v65, v54
	s_waitcnt vmcnt(28)
	v_cvt_f32_f16_e32 v64, v55
	s_waitcnt vmcnt(27)
	v_cvt_f32_f16_e32 v63, v56
	s_waitcnt vmcnt(26)
	v_cvt_f32_f16_e32 v62, v57
	s_waitcnt vmcnt(25)
	v_cvt_f32_f16_e32 v61, v58
	s_waitcnt vmcnt(24)
	v_cvt_f32_f16_e32 v60, v59
	s_waitcnt vmcnt(23)
	v_cvt_f32_f16_e32 v59, v68
	s_waitcnt vmcnt(22)
	v_cvt_f32_f16_e32 v58, v69
	s_waitcnt vmcnt(21)
	v_cvt_f32_f16_e32 v57, v70
	s_waitcnt vmcnt(20)
	v_cvt_f32_f16_e32 v56, v71
	s_waitcnt vmcnt(19)
	v_cvt_f32_f16_e32 v55, v72
	s_waitcnt vmcnt(18)
	v_cvt_f32_f16_e32 v54, v73
	s_waitcnt vmcnt(17)
	v_cvt_f32_f16_e32 v53, v74
	s_waitcnt vmcnt(16)
	v_cvt_f32_f16_e32 v52, v75
	s_waitcnt vmcnt(15)
	v_cvt_f32_f16_e32 v51, v76
	s_waitcnt vmcnt(14)
	v_cvt_f32_f16_e32 v50, v77
	s_waitcnt vmcnt(13)
	v_cvt_f32_f16_e32 v49, v78
	s_waitcnt vmcnt(12)
	v_cvt_f32_f16_e32 v48, v79
	s_waitcnt vmcnt(11)
	v_cvt_f32_f16_e32 v47, v80
	s_waitcnt vmcnt(10)
	v_cvt_f32_f16_e32 v46, v81
	s_waitcnt vmcnt(9)
	v_cvt_f32_f16_e32 v45, v82
	s_waitcnt vmcnt(8)
	v_cvt_f32_f16_e32 v44, v83
	s_waitcnt vmcnt(7)
	v_cvt_f32_f16_e32 v43, v84
	s_waitcnt vmcnt(6)
	v_cvt_f32_f16_e32 v42, v85
	s_waitcnt vmcnt(5)
	v_cvt_f32_f16_e32 v41, v86
	s_waitcnt vmcnt(4)
	v_cvt_f32_f16_e32 v40, v87
	s_waitcnt vmcnt(3)
	v_cvt_f32_f16_e32 v39, v88
	s_waitcnt vmcnt(2)
	v_cvt_f32_f16_e32 v38, v89
	s_waitcnt vmcnt(1)
	v_cvt_f32_f16_e32 v37, v90
	s_waitcnt vmcnt(0)
	v_cvt_f32_f16_e32 v36, v91
.LBB32_12:
	ds_read_b128 v[68:71], v1
	s_load_dwordx2 s[4:5], s[0:1], 0x0
	s_load_dwordx2 s[6:7], s[0:1], 0x38
	ds_read_b128 v[72:75], v1 offset:16
	ds_read_b128 v[76:79], v1 offset:32
	;; [unrolled: 1-line block ×3, first 2 shown]
	s_and_b64 vcc, exec, s[8:9]
	s_waitcnt vmcnt(15) lgkmcnt(0)
	v_fma_mix_f32 v4, v68, v4, 0 op_sel_hi:[0,1,0]
	s_waitcnt vmcnt(14)
	v_fma_mix_f32 v4, v69, v5, v4 op_sel_hi:[0,1,0]
	s_waitcnt vmcnt(13)
	v_fma_mix_f32 v4, v70, v6, v4 op_sel_hi:[0,1,0]
	s_waitcnt vmcnt(12)
	v_fma_mix_f32 v4, v71, v7, v4 op_sel_hi:[0,1,0]
	s_waitcnt vmcnt(11)
	v_fma_mix_f32 v4, v72, v8, v4 op_sel_hi:[0,1,0]
	s_waitcnt vmcnt(10)
	v_fma_mix_f32 v4, v73, v9, v4 op_sel_hi:[0,1,0]
	s_waitcnt vmcnt(9)
	v_fma_mix_f32 v4, v74, v10, v4 op_sel_hi:[0,1,0]
	s_waitcnt vmcnt(8)
	v_fma_mix_f32 v4, v75, v11, v4 op_sel_hi:[0,1,0]
	s_waitcnt vmcnt(7)
	v_fma_mix_f32 v4, v76, v12, v4 op_sel_hi:[0,1,0]
	s_waitcnt vmcnt(6)
	v_fma_mix_f32 v4, v77, v13, v4 op_sel_hi:[0,1,0]
	s_waitcnt vmcnt(5)
	v_fma_mix_f32 v4, v78, v14, v4 op_sel_hi:[0,1,0]
	s_waitcnt vmcnt(4)
	v_fma_mix_f32 v4, v79, v15, v4 op_sel_hi:[0,1,0]
	s_waitcnt vmcnt(3)
	v_fma_mix_f32 v4, v80, v16, v4 op_sel_hi:[0,1,0]
	s_waitcnt vmcnt(2)
	v_fma_mix_f32 v4, v81, v17, v4 op_sel_hi:[0,1,0]
	s_waitcnt vmcnt(1)
	v_fma_mix_f32 v4, v82, v18, v4 op_sel_hi:[0,1,0]
	s_waitcnt vmcnt(0)
	v_fma_mix_f32 v4, v83, v19, v4 op_sel_hi:[0,1,0]
	s_cbranch_vccz .LBB32_15
; %bb.13:
	ds_read_b128 v[6:9], v1 offset:64
	ds_read_b128 v[10:13], v1 offset:80
	;; [unrolled: 1-line block ×4, first 2 shown]
	s_cmpk_lt_u32 s54, 0x2001
	s_waitcnt lgkmcnt(3)
	v_fma_mix_f32 v4, v6, v27, v4 op_sel_hi:[0,1,0]
	v_fma_mix_f32 v4, v7, v26, v4 op_sel_hi:[0,1,0]
	v_fma_mix_f32 v4, v8, v25, v4 op_sel_hi:[0,1,0]
	v_fma_mix_f32 v4, v9, v24, v4 op_sel_hi:[0,1,0]
	s_waitcnt lgkmcnt(2)
	v_fma_mix_f32 v4, v10, v23, v4 op_sel_hi:[0,1,0]
	v_fma_mix_f32 v4, v11, v22, v4 op_sel_hi:[0,1,0]
	v_fma_mix_f32 v4, v12, v21, v4 op_sel_hi:[0,1,0]
	v_fma_mix_f32 v4, v13, v20, v4 op_sel_hi:[0,1,0]
	;; [unrolled: 5-line block ×4, first 2 shown]
	s_cbranch_scc1 .LBB32_15
; %bb.14:
	v_mov_b32_e32 v5, 0
	ds_read_b128 v[6:9], v5 offset:128
	ds_read_b128 v[10:13], v5 offset:144
	;; [unrolled: 1-line block ×4, first 2 shown]
	s_waitcnt lgkmcnt(3)
	v_fmac_f32_e32 v4, v6, v67
	v_fmac_f32_e32 v4, v7, v66
	v_fmac_f32_e32 v4, v8, v65
	v_fmac_f32_e32 v4, v9, v64
	s_waitcnt lgkmcnt(2)
	v_fmac_f32_e32 v4, v10, v63
	v_fmac_f32_e32 v4, v11, v62
	v_fmac_f32_e32 v4, v12, v61
	v_fmac_f32_e32 v4, v13, v60
	;; [unrolled: 5-line block ×3, first 2 shown]
	ds_read_b128 v[6:9], v5 offset:192
	ds_read_b128 v[10:13], v5 offset:208
	s_waitcnt lgkmcnt(2)
	v_fmac_f32_e32 v4, v18, v55
	v_fmac_f32_e32 v4, v19, v54
	;; [unrolled: 1-line block ×4, first 2 shown]
	s_waitcnt lgkmcnt(1)
	v_fmac_f32_e32 v4, v6, v51
	v_fmac_f32_e32 v4, v7, v50
	;; [unrolled: 1-line block ×4, first 2 shown]
	ds_read_b128 v[6:9], v5 offset:224
	s_waitcnt lgkmcnt(1)
	v_fmac_f32_e32 v4, v10, v47
	v_fmac_f32_e32 v4, v11, v46
	;; [unrolled: 1-line block ×4, first 2 shown]
	ds_read_b128 v[10:13], v5 offset:240
	s_waitcnt lgkmcnt(1)
	v_fmac_f32_e32 v4, v6, v43
	v_fmac_f32_e32 v4, v7, v42
	;; [unrolled: 1-line block ×4, first 2 shown]
	s_waitcnt lgkmcnt(0)
	v_fmac_f32_e32 v4, v10, v39
	v_fmac_f32_e32 v4, v11, v38
	;; [unrolled: 1-line block ×4, first 2 shown]
.LBB32_15:
	s_movk_i32 s0, 0x1fc0
	s_movk_i32 s1, 0x100
	s_mov_b32 s8, 64
	s_branch .LBB32_17
.LBB32_16:                              ;   in Loop: Header=BB32_17 Depth=1
	s_addk_i32 s0, 0x1000
	s_addk_i32 s1, 0x100
	s_add_i32 s8, s8, 64
	s_cmpk_eq_u32 s0, 0xdfc0
	s_cbranch_scc1 .LBB32_19
.LBB32_17:                              ; =>This Inner Loop Header: Depth=1
	s_cmp_le_i32 s33, s8
	s_cbranch_scc1 .LBB32_16
; %bb.18:                               ;   in Loop: Header=BB32_17 Depth=1
	s_add_i32 s9, s0, 0xfffff040
	s_cmp_lt_i32 s9, s10
	s_cselect_b32 s12, s9, s11
	s_ashr_i32 s13, s12, 31
	s_add_i32 s9, s0, 0xfffff080
	s_cmp_lt_i32 s9, s10
	v_lshl_add_u64 v[14:15], s[12:13], 1, v[2:3]
	s_cselect_b32 s12, s9, s11
	s_ashr_i32 s13, s12, 31
	s_add_i32 s9, s0, 0xfffff0c0
	s_cmp_lt_i32 s9, s10
	v_lshl_add_u64 v[16:17], s[12:13], 1, v[2:3]
	;; [unrolled: 5-line block ×8, first 2 shown]
	s_cselect_b32 s12, s9, s11
	s_ashr_i32 s13, s12, 31
	s_add_i32 s9, s0, 0xfffff280
	s_cmp_lt_i32 s9, s10
	global_load_ushort v5, v[14:15], off
	global_load_ushort v6, v[16:17], off
	global_load_ushort v7, v[18:19], off
	global_load_ushort v8, v[20:21], off
	global_load_ushort v9, v[22:23], off
	global_load_ushort v10, v[24:25], off
	global_load_ushort v11, v[26:27], off
	global_load_ushort v12, v[28:29], off
	v_lshl_add_u64 v[14:15], s[12:13], 1, v[2:3]
	s_cselect_b32 s12, s9, s11
	s_ashr_i32 s13, s12, 31
	s_add_i32 s9, s0, 0xfffff2c0
	s_cmp_lt_i32 s9, s10
	v_lshl_add_u64 v[16:17], s[12:13], 1, v[2:3]
	s_cselect_b32 s12, s9, s11
	s_ashr_i32 s13, s12, 31
	s_add_i32 s9, s0, 0xfffff300
	s_cmp_lt_i32 s9, s10
	v_lshl_add_u64 v[18:19], s[12:13], 1, v[2:3]
	s_cselect_b32 s12, s9, s11
	s_ashr_i32 s13, s12, 31
	s_add_i32 s9, s0, 0xfffff340
	s_cmp_lt_i32 s9, s10
	v_lshl_add_u64 v[20:21], s[12:13], 1, v[2:3]
	s_cselect_b32 s12, s9, s11
	s_ashr_i32 s13, s12, 31
	s_add_i32 s9, s0, 0xfffff380
	s_cmp_lt_i32 s9, s10
	v_lshl_add_u64 v[22:23], s[12:13], 1, v[2:3]
	s_cselect_b32 s12, s9, s11
	s_ashr_i32 s13, s12, 31
	s_add_i32 s9, s0, 0xfffff3c0
	s_cmp_lt_i32 s9, s10
	v_lshl_add_u64 v[24:25], s[12:13], 1, v[2:3]
	s_cselect_b32 s12, s9, s11
	s_ashr_i32 s13, s12, 31
	s_add_i32 s9, s0, 0xfffff400
	s_cmp_lt_i32 s9, s10
	v_lshl_add_u64 v[26:27], s[12:13], 1, v[2:3]
	s_cselect_b32 s12, s9, s11
	s_ashr_i32 s13, s12, 31
	s_add_i32 s9, s0, 0xfffff440
	s_cmp_lt_i32 s9, s10
	v_lshl_add_u64 v[28:29], s[12:13], 1, v[2:3]
	s_cselect_b32 s12, s9, s11
	s_ashr_i32 s13, s12, 31
	s_add_i32 s9, s0, 0xfffff480
	s_cmp_lt_i32 s9, s10
	global_load_ushort v13, v[14:15], off
	global_load_ushort v30, v[16:17], off
	global_load_ushort v31, v[18:19], off
	global_load_ushort v32, v[20:21], off
	global_load_ushort v33, v[22:23], off
	global_load_ushort v34, v[24:25], off
	global_load_ushort v35, v[26:27], off
	global_load_ushort v36, v[28:29], off
	v_lshl_add_u64 v[14:15], s[12:13], 1, v[2:3]
	s_cselect_b32 s12, s9, s11
	s_ashr_i32 s13, s12, 31
	s_add_i32 s9, s0, 0xfffff4c0
	s_cmp_lt_i32 s9, s10
	v_lshl_add_u64 v[16:17], s[12:13], 1, v[2:3]
	s_cselect_b32 s12, s9, s11
	s_ashr_i32 s13, s12, 31
	s_add_i32 s9, s0, 0xfffff500
	s_cmp_lt_i32 s9, s10
	v_lshl_add_u64 v[18:19], s[12:13], 1, v[2:3]
	s_cselect_b32 s12, s9, s11
	s_ashr_i32 s13, s12, 31
	s_add_i32 s9, s0, 0xfffff540
	s_cmp_lt_i32 s9, s10
	v_lshl_add_u64 v[20:21], s[12:13], 1, v[2:3]
	s_cselect_b32 s12, s9, s11
	s_ashr_i32 s13, s12, 31
	s_add_i32 s9, s0, 0xfffff580
	s_cmp_lt_i32 s9, s10
	v_lshl_add_u64 v[22:23], s[12:13], 1, v[2:3]
	s_cselect_b32 s12, s9, s11
	s_ashr_i32 s13, s12, 31
	s_add_i32 s9, s0, 0xfffff5c0
	s_cmp_lt_i32 s9, s10
	v_lshl_add_u64 v[24:25], s[12:13], 1, v[2:3]
	s_cselect_b32 s12, s9, s11
	s_ashr_i32 s13, s12, 31
	s_add_i32 s9, s0, 0xfffff600
	s_cmp_lt_i32 s9, s10
	v_lshl_add_u64 v[26:27], s[12:13], 1, v[2:3]
	s_cselect_b32 s12, s9, s11
	s_ashr_i32 s13, s12, 31
	s_add_i32 s9, s0, 0xfffff640
	s_cmp_lt_i32 s9, s10
	v_lshl_add_u64 v[28:29], s[12:13], 1, v[2:3]
	;; [unrolled: 48-line block ×6, first 2 shown]
	s_cselect_b32 s12, s9, s11
	s_ashr_i32 s13, s12, 31
	s_add_i32 s9, s0, 0xfffffe80
	s_cmp_lt_i32 s9, s10
	global_load_ushort v69, v[14:15], off
	global_load_ushort v70, v[16:17], off
	;; [unrolled: 1-line block ×8, first 2 shown]
	v_lshl_add_u64 v[14:15], s[12:13], 1, v[2:3]
	s_cselect_b32 s12, s9, s11
	s_ashr_i32 s13, s12, 31
	s_add_i32 s9, s0, 0xfffffec0
	s_cmp_lt_i32 s9, s10
	v_lshl_add_u64 v[16:17], s[12:13], 1, v[2:3]
	s_cselect_b32 s12, s9, s11
	s_ashr_i32 s13, s12, 31
	s_add_i32 s9, s0, 0xffffff00
	s_cmp_lt_i32 s9, s10
	;; [unrolled: 5-line block ×4, first 2 shown]
	v_lshl_add_u64 v[22:23], s[12:13], 1, v[2:3]
	s_cselect_b32 s12, s9, s11
	s_ashr_i32 s13, s12, 31
	s_sub_i32 s9, s0, 64
	s_cmp_lt_i32 s9, s10
	v_lshl_add_u64 v[24:25], s[12:13], 1, v[2:3]
	s_cselect_b32 s12, s9, s11
	s_ashr_i32 s13, s12, 31
	s_cmp_lt_i32 s0, s10
	v_lshl_add_u64 v[26:27], s[12:13], 1, v[2:3]
	s_cselect_b32 s12, s0, s11
	s_ashr_i32 s13, s12, 31
	v_lshl_add_u64 v[28:29], s[12:13], 1, v[2:3]
	global_load_ushort v77, v[14:15], off
	global_load_ushort v78, v[16:17], off
	;; [unrolled: 1-line block ×8, first 2 shown]
	v_mov_b32_e32 v85, s1
	ds_read_b128 v[14:17], v85
	ds_read_b128 v[18:21], v85 offset:16
	ds_read_b128 v[22:25], v85 offset:32
	;; [unrolled: 1-line block ×3, first 2 shown]
	s_waitcnt vmcnt(62) lgkmcnt(3)
	v_fma_mix_f32 v4, v14, v5, v4 op_sel_hi:[0,1,0]
	v_fma_mix_f32 v4, v15, v6, v4 op_sel_hi:[0,1,0]
	s_waitcnt vmcnt(61)
	v_fma_mix_f32 v4, v16, v7, v4 op_sel_hi:[0,1,0]
	s_waitcnt vmcnt(60)
	v_fma_mix_f32 v4, v17, v8, v4 op_sel_hi:[0,1,0]
	s_waitcnt vmcnt(59) lgkmcnt(2)
	v_fma_mix_f32 v4, v18, v9, v4 op_sel_hi:[0,1,0]
	s_waitcnt vmcnt(58)
	v_fma_mix_f32 v4, v19, v10, v4 op_sel_hi:[0,1,0]
	s_waitcnt vmcnt(57)
	;; [unrolled: 2-line block ×3, first 2 shown]
	v_fma_mix_f32 v4, v21, v12, v4 op_sel_hi:[0,1,0]
	s_waitcnt vmcnt(55) lgkmcnt(1)
	v_fma_mix_f32 v4, v22, v13, v4 op_sel_hi:[0,1,0]
	s_waitcnt vmcnt(54)
	v_fma_mix_f32 v4, v23, v30, v4 op_sel_hi:[0,1,0]
	s_waitcnt vmcnt(53)
	v_fma_mix_f32 v4, v24, v31, v4 op_sel_hi:[0,1,0]
	s_waitcnt vmcnt(52)
	v_fma_mix_f32 v4, v25, v32, v4 op_sel_hi:[0,1,0]
	s_waitcnt vmcnt(51) lgkmcnt(0)
	v_fma_mix_f32 v8, v26, v33, v4 op_sel_hi:[0,1,0]
	ds_read_b128 v[4:7], v85 offset:64
	s_waitcnt vmcnt(50)
	v_fma_mix_f32 v8, v27, v34, v8 op_sel_hi:[0,1,0]
	s_waitcnt vmcnt(49)
	v_fma_mix_f32 v8, v28, v35, v8 op_sel_hi:[0,1,0]
	s_waitcnt vmcnt(48)
	v_fma_mix_f32 v12, v29, v36, v8 op_sel_hi:[0,1,0]
	ds_read_b128 v[8:11], v85 offset:80
	s_waitcnt vmcnt(47) lgkmcnt(1)
	v_fma_mix_f32 v4, v4, v37, v12 op_sel_hi:[0,1,0]
	s_waitcnt vmcnt(46)
	v_fma_mix_f32 v4, v5, v38, v4 op_sel_hi:[0,1,0]
	s_waitcnt vmcnt(45)
	v_fma_mix_f32 v4, v6, v39, v4 op_sel_hi:[0,1,0]
	s_waitcnt vmcnt(44)
	v_fma_mix_f32 v4, v7, v40, v4 op_sel_hi:[0,1,0]
	s_waitcnt vmcnt(43) lgkmcnt(0)
	v_fma_mix_f32 v8, v8, v41, v4 op_sel_hi:[0,1,0]
	ds_read_b128 v[4:7], v85 offset:96
	s_waitcnt vmcnt(42)
	v_fma_mix_f32 v8, v9, v42, v8 op_sel_hi:[0,1,0]
	s_waitcnt vmcnt(41)
	v_fma_mix_f32 v8, v10, v43, v8 op_sel_hi:[0,1,0]
	s_waitcnt vmcnt(40)
	v_fma_mix_f32 v12, v11, v44, v8 op_sel_hi:[0,1,0]
	ds_read_b128 v[8:11], v85 offset:112
	;; [unrolled: 18-line block ×6, first 2 shown]
	s_waitcnt vmcnt(7) lgkmcnt(1)
	v_fma_mix_f32 v4, v4, v77, v12 op_sel_hi:[0,1,0]
	s_waitcnt vmcnt(6)
	v_fma_mix_f32 v4, v5, v78, v4 op_sel_hi:[0,1,0]
	s_waitcnt vmcnt(5)
	;; [unrolled: 2-line block ×3, first 2 shown]
	v_fma_mix_f32 v4, v7, v80, v4 op_sel_hi:[0,1,0]
	s_waitcnt vmcnt(3) lgkmcnt(0)
	v_fma_mix_f32 v4, v8, v81, v4 op_sel_hi:[0,1,0]
	s_waitcnt vmcnt(2)
	v_fma_mix_f32 v4, v9, v82, v4 op_sel_hi:[0,1,0]
	s_waitcnt vmcnt(1)
	;; [unrolled: 2-line block ×3, first 2 shown]
	v_fma_mix_f32 v4, v11, v84, v4 op_sel_hi:[0,1,0]
	s_branch .LBB32_16
.LBB32_19:
	v_mov_b32_e32 v2, 0
	ds_read_b32 v2, v2 offset:3328
	s_cmp_lg_u64 s[6:7], 0
	s_cbranch_scc0 .LBB32_24
; %bb.20:
	s_load_dword s6, s[6:7], 0x0
	s_waitcnt lgkmcnt(0)
	v_div_scale_f32 v3, s[0:1], s6, s6, 1.0
	v_rcp_f32_e32 v5, v3
	v_div_scale_f32 v6, vcc, 1.0, s6, 1.0
	v_fma_f32 v7, -v3, v5, 1.0
	v_fmac_f32_e32 v5, v7, v5
	v_mul_f32_e32 v7, v6, v5
	v_fma_f32 v8, -v3, v7, v6
	v_fmac_f32_e32 v7, v8, v5
	v_fma_f32 v3, -v3, v7, v6
	v_div_fmas_f32 v3, v3, v5, v7
	v_div_fixup_f32 v3, v3, s6, 1.0
	s_andn2_b64 vcc, exec, s[44:45]
	s_cbranch_vccnz .LBB32_22
.LBB32_21:
	s_add_u32 s0, s34, s46
	s_addc_u32 s1, s35, s47
	s_load_dword s30, s[0:1], 0x0
	s_mov_b32 s31, 0
.LBB32_22:
	s_waitcnt lgkmcnt(0)
	v_add_f32_e32 v2, 0x358637bd, v2
	v_div_scale_f32 v5, s[0:1], v2, v2, 1.0
	v_rcp_f32_e32 v6, v5
	v_div_scale_f32 v7, vcc, 1.0, v2, 1.0
	s_mul_i32 s0, s3, s31
	v_fma_f32 v8, -v5, v6, 1.0
	v_fmac_f32_e32 v6, v8, v6
	v_mul_f32_e32 v8, v7, v6
	v_fma_f32 v9, -v5, v8, v7
	v_fmac_f32_e32 v8, v9, v6
	v_fma_f32 v5, -v5, v8, v7
	s_mul_hi_u32 s1, s3, s30
	v_div_fmas_f32 v5, v5, v6, v8
	s_add_i32 s1, s1, s0
	s_mul_i32 s0, s3, s30
	v_div_fixup_f32 v2, v5, v2, 1.0
	s_lshl_b64 s[0:1], s[0:1], 6
	v_mul_f32_e32 v2, v4, v2
	s_add_u32 s4, s4, s0
	s_mov_b32 s3, 0
	v_mul_f32_e32 v2, v2, v3
	s_addc_u32 s5, s5, s1
	s_lshl_b64 s[0:1], s[2:3], 6
	s_mov_b32 s2, 0x7f800000
	s_mov_b32 s3, 0x43700000
	v_mov_b32_e32 v3, 0xc3700000
	v_med3_f32 v3, v2, s3, v3
	v_cmp_nlg_f32_e64 vcc, |v2|, s2
	s_add_u32 s0, s4, s0
	s_addc_u32 s1, s5, s1
	v_cndmask_b32_e32 v2, v3, v2, vcc
	v_mov_b32_e32 v3, 0
	v_cvt_pk_fp8_f32 v3, v2, v2
	v_lshl_add_u64 v[0:1], s[0:1], 0, v[0:1]
	global_store_byte v[0:1], v3, off
	s_endpgm
.LBB32_23:
	s_mov_b64 s[6:7], 0
	s_branch .LBB32_2
.LBB32_24:
	v_mov_b32_e32 v3, 1.0
	s_andn2_b64 vcc, exec, s[44:45]
	s_cbranch_vccz .LBB32_21
	s_branch .LBB32_22
	.section	.rodata,"a",@progbits
	.p2align	6, 0x0
	.amdhsa_kernel _Z35paged_attention_ll4mi_reduce_kernelIDF16_hLi64ELi64ELi256ELi13EEvPT0_PKfS3_PKT_PKiS8_iS3_
		.amdhsa_group_segment_fixed_size 3332
		.amdhsa_private_segment_fixed_size 0
		.amdhsa_kernarg_size 320
		.amdhsa_user_sgpr_count 2
		.amdhsa_user_sgpr_dispatch_ptr 0
		.amdhsa_user_sgpr_queue_ptr 0
		.amdhsa_user_sgpr_kernarg_segment_ptr 1
		.amdhsa_user_sgpr_dispatch_id 0
		.amdhsa_user_sgpr_kernarg_preload_length 0
		.amdhsa_user_sgpr_kernarg_preload_offset 0
		.amdhsa_user_sgpr_private_segment_size 0
		.amdhsa_uses_dynamic_stack 0
		.amdhsa_enable_private_segment 0
		.amdhsa_system_sgpr_workgroup_id_x 1
		.amdhsa_system_sgpr_workgroup_id_y 1
		.amdhsa_system_sgpr_workgroup_id_z 0
		.amdhsa_system_sgpr_workgroup_info 0
		.amdhsa_system_vgpr_workitem_id 0
		.amdhsa_next_free_vgpr 92
		.amdhsa_next_free_sgpr 55
		.amdhsa_accum_offset 92
		.amdhsa_reserve_vcc 1
		.amdhsa_float_round_mode_32 0
		.amdhsa_float_round_mode_16_64 0
		.amdhsa_float_denorm_mode_32 3
		.amdhsa_float_denorm_mode_16_64 3
		.amdhsa_dx10_clamp 1
		.amdhsa_ieee_mode 1
		.amdhsa_fp16_overflow 0
		.amdhsa_tg_split 0
		.amdhsa_exception_fp_ieee_invalid_op 0
		.amdhsa_exception_fp_denorm_src 0
		.amdhsa_exception_fp_ieee_div_zero 0
		.amdhsa_exception_fp_ieee_overflow 0
		.amdhsa_exception_fp_ieee_underflow 0
		.amdhsa_exception_fp_ieee_inexact 0
		.amdhsa_exception_int_div_zero 0
	.end_amdhsa_kernel
	.section	.text._Z35paged_attention_ll4mi_reduce_kernelIDF16_hLi64ELi64ELi256ELi13EEvPT0_PKfS3_PKT_PKiS8_iS3_,"axG",@progbits,_Z35paged_attention_ll4mi_reduce_kernelIDF16_hLi64ELi64ELi256ELi13EEvPT0_PKfS3_PKT_PKiS8_iS3_,comdat
.Lfunc_end32:
	.size	_Z35paged_attention_ll4mi_reduce_kernelIDF16_hLi64ELi64ELi256ELi13EEvPT0_PKfS3_PKT_PKiS8_iS3_, .Lfunc_end32-_Z35paged_attention_ll4mi_reduce_kernelIDF16_hLi64ELi64ELi256ELi13EEvPT0_PKfS3_PKT_PKiS8_iS3_
                                        ; -- End function
	.section	.AMDGPU.csdata,"",@progbits
; Kernel info:
; codeLenInByte = 10156
; NumSgprs: 61
; NumVgprs: 92
; NumAgprs: 0
; TotalNumVgprs: 92
; ScratchSize: 0
; MemoryBound: 0
; FloatMode: 240
; IeeeMode: 1
; LDSByteSize: 3332 bytes/workgroup (compile time only)
; SGPRBlocks: 7
; VGPRBlocks: 11
; NumSGPRsForWavesPerEU: 61
; NumVGPRsForWavesPerEU: 92
; AccumOffset: 92
; Occupancy: 5
; WaveLimiterHint : 1
; COMPUTE_PGM_RSRC2:SCRATCH_EN: 0
; COMPUTE_PGM_RSRC2:USER_SGPR: 2
; COMPUTE_PGM_RSRC2:TRAP_HANDLER: 0
; COMPUTE_PGM_RSRC2:TGID_X_EN: 1
; COMPUTE_PGM_RSRC2:TGID_Y_EN: 1
; COMPUTE_PGM_RSRC2:TGID_Z_EN: 0
; COMPUTE_PGM_RSRC2:TIDIG_COMP_CNT: 0
; COMPUTE_PGM_RSRC3_GFX90A:ACCUM_OFFSET: 22
; COMPUTE_PGM_RSRC3_GFX90A:TG_SPLIT: 0
	.section	.text._Z35paged_attention_ll4mi_reduce_kernelIDF16_hLi64ELi64ELi256ELi14EEvPT0_PKfS3_PKT_PKiS8_iS3_,"axG",@progbits,_Z35paged_attention_ll4mi_reduce_kernelIDF16_hLi64ELi64ELi256ELi14EEvPT0_PKfS3_PKT_PKiS8_iS3_,comdat
	.protected	_Z35paged_attention_ll4mi_reduce_kernelIDF16_hLi64ELi64ELi256ELi14EEvPT0_PKfS3_PKT_PKiS8_iS3_ ; -- Begin function _Z35paged_attention_ll4mi_reduce_kernelIDF16_hLi64ELi64ELi256ELi14EEvPT0_PKfS3_PKT_PKiS8_iS3_
	.globl	_Z35paged_attention_ll4mi_reduce_kernelIDF16_hLi64ELi64ELi256ELi14EEvPT0_PKfS3_PKT_PKiS8_iS3_
	.p2align	8
	.type	_Z35paged_attention_ll4mi_reduce_kernelIDF16_hLi64ELi64ELi256ELi14EEvPT0_PKfS3_PKT_PKiS8_iS3_,@function
_Z35paged_attention_ll4mi_reduce_kernelIDF16_hLi64ELi64ELi256ELi14EEvPT0_PKfS3_PKT_PKiS8_iS3_: ; @_Z35paged_attention_ll4mi_reduce_kernelIDF16_hLi64ELi64ELi256ELi14EEvPT0_PKfS3_PKT_PKiS8_iS3_
; %bb.0:
	s_load_dwordx2 s[44:45], s[0:1], 0x28
	s_mov_b32 s34, s3
	s_mov_b64 s[4:5], 0
	s_waitcnt lgkmcnt(0)
	s_cmp_lg_u64 s[44:45], 0
	s_cselect_b64 s[46:47], -1, 0
	s_and_b64 vcc, exec, s[46:47]
	s_cbranch_vccz .LBB33_23
; %bb.1:
	s_add_i32 s6, s34, 1
	s_mov_b32 s7, 0
	s_lshl_b64 s[8:9], s[6:7], 2
	s_add_u32 s8, s44, s8
	s_mov_b32 s35, s7
	s_addc_u32 s9, s45, s9
	s_lshl_b64 s[6:7], s[34:35], 2
	s_add_u32 s6, s44, s6
	s_addc_u32 s7, s45, s7
	s_load_dword s3, s[8:9], 0x0
	s_load_dword s10, s[6:7], 0x0
	s_waitcnt lgkmcnt(0)
	s_sub_i32 s3, s3, s10
	s_cmp_eq_u32 s3, 1
	s_cselect_b64 s[6:7], -1, 0
	s_andn2_b64 vcc, exec, s[4:5]
	s_cbranch_vccnz .LBB33_3
.LBB33_2:
	s_mov_b32 s35, 0
	s_mov_b64 s[6:7], -1
.LBB33_3:
	s_andn2_b64 vcc, exec, s[6:7]
	s_cbranch_vccz .LBB33_5
; %bb.4:
	s_endpgm
.LBB33_5:
	s_load_dwordx4 s[36:39], s[0:1], 0x18
	s_load_dword s8, s[0:1], 0x30
	s_lshl_b64 s[48:49], s[34:35], 2
	v_cmp_lt_u32_e32 vcc, 63, v0
	s_waitcnt lgkmcnt(0)
	s_add_u32 s4, s38, s48
	s_addc_u32 s5, s39, s49
	s_load_dword s56, s[4:5], 0x0
	s_load_dword s3, s[0:1], 0x40
	s_mul_i32 s38, s2, s8
	s_mul_i32 s6, s34, s8
	s_waitcnt lgkmcnt(0)
	s_add_i32 s7, s56, 0xff
	s_ashr_i32 s4, s7, 31
	s_lshr_b32 s4, s4, 24
	s_add_i32 s7, s7, s4
	s_and_saveexec_b64 s[4:5], vcc
	s_xor_b64 s[4:5], exec, s[4:5]
	s_or_saveexec_b64 s[50:51], s[4:5]
	s_ashr_i32 s33, s7, 8
	v_mov_b32_e32 v1, s38
	s_mul_i32 s52, s6, s3
	s_xor_b64 exec, exec, s[50:51]
	s_cbranch_execz .LBB33_9
; %bb.6:
	s_add_i32 s4, s33, -1
	v_or_b32_e32 v3, 64, v0
	v_mov_b32_e32 v1, s4
	v_cmp_gt_u32_e64 s[26:27], s33, v3
	s_load_dwordx4 s[40:43], s[0:1], 0x8
	s_mov_b32 s53, 0
	v_cndmask_b32_e64 v4, v1, v3, s[26:27]
	v_or_b32_e32 v3, 0x80, v0
	v_cmp_gt_u32_e64 s[24:25], s33, v3
	s_lshl_b64 s[54:55], s[52:53], 2
	s_mov_b32 s39, s53
	v_cndmask_b32_e64 v6, v1, v3, s[24:25]
	v_or_b32_e32 v3, 0xc0, v0
	v_cmp_gt_u32_e64 s[22:23], s33, v3
	v_cmp_gt_u32_e64 s[28:29], s33, v0
	s_waitcnt lgkmcnt(0)
	s_add_u32 s30, s42, s54
	v_cndmask_b32_e64 v8, v1, v3, s[22:23]
	v_or_b32_e32 v3, 0x100, v0
	v_cmp_gt_u32_e64 s[20:21], s33, v3
	v_cndmask_b32_e64 v2, v1, v0, s[28:29]
	s_addc_u32 s31, s43, s55
	v_cndmask_b32_e64 v10, v1, v3, s[20:21]
	v_or_b32_e32 v3, 0x140, v0
	v_cmp_gt_u32_e64 s[18:19], s33, v3
	s_lshl_b64 s[42:43], s[38:39], 2
	s_add_u32 s30, s30, s42
	v_cndmask_b32_e64 v12, v1, v3, s[18:19]
	v_or_b32_e32 v3, 0x180, v0
	v_cmp_gt_u32_e64 s[16:17], s33, v3
	s_addc_u32 s31, s31, s43
	v_ashrrev_i32_e32 v5, 31, v4
	v_cndmask_b32_e64 v14, v1, v3, s[16:17]
	v_or_b32_e32 v3, 0x1c0, v0
	v_cmp_gt_u32_e64 s[14:15], s33, v3
	v_ashrrev_i32_e32 v15, 31, v14
	v_ashrrev_i32_e32 v7, 31, v6
	v_cndmask_b32_e64 v16, v1, v3, s[14:15]
	v_or_b32_e32 v3, 0x200, v0
	v_cmp_gt_u32_e64 s[12:13], s33, v3
	v_ashrrev_i32_e32 v9, 31, v8
	;; [unrolled: 5-line block ×3, first 2 shown]
	v_lshlrev_b64 v[14:15], 2, v[14:15]
	v_cndmask_b32_e64 v20, v1, v3, s[10:11]
	v_or_b32_e32 v3, 0x280, v0
	v_cmp_gt_u32_e64 s[8:9], s33, v3
	v_ashrrev_i32_e32 v17, 31, v16
	v_lshlrev_b64 v[4:5], 2, v[4:5]
	v_cndmask_b32_e64 v22, v1, v3, s[8:9]
	v_or_b32_e32 v3, 0x2c0, v0
	v_cmp_gt_u32_e64 s[6:7], s33, v3
	v_lshlrev_b64 v[6:7], 2, v[6:7]
	v_lshlrev_b64 v[8:9], 2, v[8:9]
	v_cndmask_b32_e64 v24, v1, v3, s[6:7]
	v_or_b32_e32 v3, 0x300, v0
	v_cmp_gt_u32_e64 s[4:5], s33, v3
	v_lshlrev_b64 v[10:11], 2, v[10:11]
	v_lshlrev_b64 v[12:13], 2, v[12:13]
	v_cndmask_b32_e64 v26, v1, v3, s[4:5]
	v_or_b32_e32 v3, 0x340, v0
	v_cmp_gt_u32_e32 vcc, s33, v3
	v_lshl_add_u64 v[42:43], s[30:31], 0, v[14:15]
	v_lshlrev_b64 v[16:17], 2, v[16:17]
	v_cndmask_b32_e32 v28, v1, v3, vcc
	v_ashrrev_i32_e32 v3, 31, v2
	v_lshlrev_b64 v[2:3], 2, v[2:3]
	v_lshl_add_u64 v[30:31], s[30:31], 0, v[2:3]
	v_lshl_add_u64 v[32:33], s[30:31], 0, v[4:5]
	;; [unrolled: 1-line block ×7, first 2 shown]
	global_load_dword v1, v[30:31], off
	global_load_dword v46, v[32:33], off
	;; [unrolled: 1-line block ×6, first 2 shown]
	s_nop 0
	global_load_dword v42, v[42:43], off
	s_nop 0
	global_load_dword v43, v[44:45], off
	v_ashrrev_i32_e32 v19, 31, v18
	v_ashrrev_i32_e32 v21, 31, v20
	;; [unrolled: 1-line block ×3, first 2 shown]
	v_lshlrev_b64 v[18:19], 2, v[18:19]
	v_lshlrev_b64 v[20:21], 2, v[20:21]
	;; [unrolled: 1-line block ×3, first 2 shown]
	v_ashrrev_i32_e32 v25, 31, v24
	v_ashrrev_i32_e32 v27, 31, v26
	;; [unrolled: 1-line block ×3, first 2 shown]
	v_lshl_add_u64 v[30:31], s[30:31], 0, v[18:19]
	v_lshl_add_u64 v[32:33], s[30:31], 0, v[20:21]
	;; [unrolled: 1-line block ×3, first 2 shown]
	v_lshlrev_b64 v[24:25], 2, v[24:25]
	v_lshlrev_b64 v[26:27], 2, v[26:27]
	;; [unrolled: 1-line block ×3, first 2 shown]
	v_lshl_add_u64 v[36:37], s[30:31], 0, v[24:25]
	v_lshl_add_u64 v[38:39], s[30:31], 0, v[26:27]
	;; [unrolled: 1-line block ×3, first 2 shown]
	global_load_dword v30, v[30:31], off
	s_nop 0
	global_load_dword v31, v[32:33], off
	s_nop 0
	global_load_dword v32, v[34:35], off
	global_load_dword v33, v[36:37], off
	s_nop 0
	global_load_dword v34, v[38:39], off
	global_load_dword v35, v[40:41], off
	s_mov_b32 s39, 0x3fb8aa3b
	s_waitcnt vmcnt(13)
	v_max_f32_e32 v37, v1, v1
	s_waitcnt vmcnt(12)
	v_max_f32_e32 v36, v46, v46
	v_max_f32_e32 v36, v37, v36
	v_mbcnt_lo_u32_b32 v37, -1, 0
	s_waitcnt vmcnt(10)
	v_max3_f32 v36, v36, v47, v48
	v_mbcnt_hi_u32_b32 v37, -1, v37
	s_waitcnt vmcnt(8)
	v_max3_f32 v36, v36, v49, v50
	v_and_b32_e32 v38, 64, v37
	s_waitcnt vmcnt(6)
	v_max3_f32 v36, v36, v42, v43
	v_add_u32_e32 v38, 64, v38
	v_xor_b32_e32 v39, 32, v37
	v_cmp_lt_i32_e64 s[30:31], v39, v38
	s_waitcnt vmcnt(4)
	v_max3_f32 v36, v36, v30, v31
	v_cndmask_b32_e64 v39, v37, v39, s[30:31]
	s_waitcnt vmcnt(2)
	v_max3_f32 v36, v36, v32, v33
	v_lshlrev_b32_e32 v39, 2, v39
	s_waitcnt vmcnt(0)
	v_max3_f32 v36, v36, v34, v35
	ds_bpermute_b32 v40, v39, v36
	s_waitcnt lgkmcnt(0)
	v_max_f32_e32 v40, v40, v40
	v_max_f32_e32 v36, v36, v40
	v_xor_b32_e32 v40, 16, v37
	v_cmp_lt_i32_e64 s[30:31], v40, v38
	s_nop 1
	v_cndmask_b32_e64 v40, v37, v40, s[30:31]
	v_lshlrev_b32_e32 v40, 2, v40
	ds_bpermute_b32 v41, v40, v36
	s_waitcnt lgkmcnt(0)
	v_max_f32_e32 v41, v41, v41
	v_max_f32_e32 v36, v36, v41
	v_xor_b32_e32 v41, 8, v37
	v_cmp_lt_i32_e64 s[30:31], v41, v38
	s_nop 1
	v_cndmask_b32_e64 v41, v37, v41, s[30:31]
	v_lshlrev_b32_e32 v41, 2, v41
	ds_bpermute_b32 v44, v41, v36
	s_add_u32 s30, s40, s54
	s_addc_u32 s31, s41, s55
	s_add_u32 s40, s30, s42
	s_addc_u32 s41, s31, s43
	s_waitcnt lgkmcnt(0)
	v_max_f32_e32 v44, v44, v44
	v_max_f32_e32 v36, v36, v44
	v_xor_b32_e32 v44, 4, v37
	v_lshl_add_u64 v[2:3], s[40:41], 0, v[2:3]
	v_cmp_lt_i32_e64 s[30:31], v44, v38
	global_load_dword v45, v[2:3], off
	s_nop 0
	v_cndmask_b32_e64 v2, v37, v44, s[30:31]
	v_lshlrev_b32_e32 v44, 2, v2
	ds_bpermute_b32 v2, v44, v36
	s_waitcnt lgkmcnt(0)
	v_max_f32_e32 v2, v2, v2
	v_max_f32_e32 v36, v36, v2
	v_xor_b32_e32 v2, 2, v37
	v_cmp_lt_i32_e64 s[30:31], v2, v38
	s_nop 1
	v_cndmask_b32_e64 v2, v37, v2, s[30:31]
	v_lshlrev_b32_e32 v51, 2, v2
	ds_bpermute_b32 v52, v51, v36
	v_lshl_add_u64 v[2:3], s[40:41], 0, v[4:5]
	global_load_dword v53, v[2:3], off
	v_lshl_add_u64 v[4:5], s[40:41], 0, v[8:9]
	v_lshl_add_u64 v[8:9], s[40:41], 0, v[12:13]
	s_waitcnt lgkmcnt(0)
	v_max_f32_e32 v2, v52, v52
	v_max_f32_e32 v36, v36, v2
	v_xor_b32_e32 v2, 1, v37
	v_cmp_lt_i32_e64 s[30:31], v2, v38
	v_lshl_add_u64 v[12:13], s[40:41], 0, v[16:17]
	s_nop 0
	v_cndmask_b32_e64 v2, v37, v2, s[30:31]
	v_lshlrev_b32_e32 v37, 2, v2
	v_lshl_add_u64 v[2:3], s[40:41], 0, v[6:7]
	v_lshl_add_u64 v[6:7], s[40:41], 0, v[10:11]
	;; [unrolled: 1-line block ×3, first 2 shown]
	global_load_dword v14, v[2:3], off
	global_load_dword v15, v[4:5], off
	;; [unrolled: 1-line block ×6, first 2 shown]
	ds_bpermute_b32 v38, v37, v36
	v_lshl_add_u64 v[2:3], s[40:41], 0, v[18:19]
	v_lshl_add_u64 v[4:5], s[40:41], 0, v[20:21]
	;; [unrolled: 1-line block ×4, first 2 shown]
	s_waitcnt lgkmcnt(0)
	v_max_f32_e32 v18, v38, v38
	v_max_f32_e32 v18, v36, v18
	v_sub_f32_e32 v1, v1, v18
	v_mul_f32_e32 v19, 0x3fb8aa3b, v1
	v_fma_f32 v20, v1, s39, -v19
	v_rndne_f32_e32 v21, v19
	v_fmac_f32_e32 v20, 0x32a5705f, v1
	v_sub_f32_e32 v19, v19, v21
	v_lshl_add_u64 v[10:11], s[40:41], 0, v[26:27]
	v_lshl_add_u64 v[12:13], s[40:41], 0, v[28:29]
	v_add_f32_e32 v19, v19, v20
	v_cvt_i32_f32_e32 v20, v21
	global_load_dword v2, v[2:3], off
	s_nop 0
	global_load_dword v3, v[4:5], off
	global_load_dword v21, v[6:7], off
	;; [unrolled: 1-line block ×5, first 2 shown]
	v_sub_f32_e32 v6, v46, v18
	v_mul_f32_e32 v7, 0x3fb8aa3b, v6
	v_fma_f32 v8, v6, s39, -v7
	v_rndne_f32_e32 v9, v7
	v_exp_f32_e32 v19, v19
	v_fmac_f32_e32 v8, 0x32a5705f, v6
	v_sub_f32_e32 v7, v7, v9
	v_add_f32_e32 v7, v7, v8
	v_exp_f32_e32 v7, v7
	v_cvt_i32_f32_e32 v8, v9
	s_mov_b32 s40, 0xc2ce8ed0
	v_ldexp_f32 v4, v19, v20
	v_cmp_ngt_f32_e64 s[30:31], s40, v1
	s_mov_b32 s41, 0x42b17218
	v_mov_b32_e32 v5, 0x7f800000
	v_cndmask_b32_e64 v4, 0, v4, s[30:31]
	v_cmp_nlt_f32_e64 s[30:31], s41, v1
	s_nop 1
	v_cndmask_b32_e64 v1, v5, v4, s[30:31]
	v_ldexp_f32 v4, v7, v8
	v_sub_f32_e32 v7, v47, v18
	v_mul_f32_e32 v8, 0x3fb8aa3b, v7
	v_fma_f32 v9, v7, s39, -v8
	v_rndne_f32_e32 v10, v8
	v_fmac_f32_e32 v9, 0x32a5705f, v7
	v_sub_f32_e32 v8, v8, v10
	v_add_f32_e32 v8, v8, v9
	v_exp_f32_e32 v8, v8
	v_cvt_i32_f32_e32 v9, v10
	v_cndmask_b32_e64 v1, 0, v1, s[28:29]
	v_cmp_ngt_f32_e64 s[28:29], s40, v6
	s_waitcnt vmcnt(13)
	v_mul_f32_e32 v1, v45, v1
	v_cndmask_b32_e64 v4, 0, v4, s[28:29]
	v_cmp_nlt_f32_e64 s[28:29], s41, v6
	v_ldexp_f32 v6, v8, v9
	v_sub_f32_e32 v8, v48, v18
	v_mul_f32_e32 v9, 0x3fb8aa3b, v8
	v_fma_f32 v10, v8, s39, -v9
	v_rndne_f32_e32 v11, v9
	v_fmac_f32_e32 v10, 0x32a5705f, v8
	v_sub_f32_e32 v9, v9, v11
	v_add_f32_e32 v9, v9, v10
	v_exp_f32_e32 v9, v9
	v_cvt_i32_f32_e32 v10, v11
	v_cndmask_b32_e64 v4, v5, v4, s[28:29]
	v_cndmask_b32_e64 v4, 0, v4, s[26:27]
	v_cmp_ngt_f32_e64 s[26:27], s40, v7
	s_waitcnt vmcnt(12)
	v_mul_f32_e32 v4, v53, v4
	v_cndmask_b32_e64 v6, 0, v6, s[26:27]
	v_cmp_nlt_f32_e64 s[26:27], s41, v7
	v_ldexp_f32 v7, v9, v10
	v_sub_f32_e32 v9, v49, v18
	v_mul_f32_e32 v10, 0x3fb8aa3b, v9
	v_fma_f32 v11, v9, s39, -v10
	v_rndne_f32_e32 v12, v10
	v_fmac_f32_e32 v11, 0x32a5705f, v9
	v_sub_f32_e32 v10, v10, v12
	v_add_f32_e32 v10, v10, v11
	v_exp_f32_e32 v10, v10
	v_cvt_i32_f32_e32 v11, v12
	v_cndmask_b32_e64 v6, v5, v6, s[26:27]
	;; [unrolled: 17-line block ×6, first 2 shown]
	v_cndmask_b32_e64 v10, 0, v10, s[16:17]
	v_cmp_ngt_f32_e64 s[16:17], s40, v12
	s_waitcnt vmcnt(7)
	v_mul_f32_e32 v10, v52, v10
	v_cndmask_b32_e64 v11, 0, v11, s[16:17]
	v_cmp_nlt_f32_e64 s[16:17], s41, v12
	v_ldexp_f32 v12, v14, v15
	v_sub_f32_e32 v14, v31, v18
	v_mul_f32_e32 v15, 0x3fb8aa3b, v14
	v_fma_f32 v16, v14, s39, -v15
	v_rndne_f32_e32 v17, v15
	v_fmac_f32_e32 v16, 0x32a5705f, v14
	v_sub_f32_e32 v15, v15, v17
	v_cndmask_b32_e64 v11, v5, v11, s[16:17]
	v_add_f32_e32 v15, v15, v16
	v_cndmask_b32_e64 v11, 0, v11, s[14:15]
	v_cmp_ngt_f32_e64 s[14:15], s40, v13
	v_exp_f32_e32 v15, v15
	v_cvt_i32_f32_e32 v16, v17
	v_cndmask_b32_e64 v12, 0, v12, s[14:15]
	v_cmp_nlt_f32_e64 s[14:15], s41, v13
	v_sub_f32_e32 v13, v32, v18
	s_waitcnt vmcnt(6)
	v_mul_f32_e32 v11, v54, v11
	v_cndmask_b32_e64 v12, v5, v12, s[14:15]
	v_cndmask_b32_e64 v12, 0, v12, s[12:13]
	s_waitcnt vmcnt(5)
	v_mul_f32_e32 v12, v2, v12
	v_ldexp_f32 v2, v15, v16
	v_mul_f32_e32 v15, 0x3fb8aa3b, v13
	v_fma_f32 v16, v13, s39, -v15
	v_rndne_f32_e32 v17, v15
	v_fmac_f32_e32 v16, 0x32a5705f, v13
	v_sub_f32_e32 v15, v15, v17
	v_add_f32_e32 v15, v15, v16
	v_cmp_ngt_f32_e64 s[12:13], s40, v14
	v_exp_f32_e32 v15, v15
	v_cvt_i32_f32_e32 v16, v17
	v_cndmask_b32_e64 v2, 0, v2, s[12:13]
	v_cmp_nlt_f32_e64 s[12:13], s41, v14
	v_sub_f32_e32 v14, v33, v18
	s_nop 0
	v_cndmask_b32_e64 v2, v5, v2, s[12:13]
	v_cndmask_b32_e64 v2, 0, v2, s[10:11]
	s_waitcnt vmcnt(4)
	v_mul_f32_e32 v3, v3, v2
	v_ldexp_f32 v2, v15, v16
	v_mul_f32_e32 v15, 0x3fb8aa3b, v14
	v_fma_f32 v16, v14, s39, -v15
	v_rndne_f32_e32 v17, v15
	v_fmac_f32_e32 v16, 0x32a5705f, v14
	v_sub_f32_e32 v15, v15, v17
	v_add_f32_e32 v15, v15, v16
	v_cmp_ngt_f32_e64 s[10:11], s40, v13
	v_exp_f32_e32 v15, v15
	v_cvt_i32_f32_e32 v16, v17
	v_cndmask_b32_e64 v2, 0, v2, s[10:11]
	v_cmp_nlt_f32_e64 s[10:11], s41, v13
	s_nop 1
	v_cndmask_b32_e64 v2, v5, v2, s[10:11]
	v_cndmask_b32_e64 v2, 0, v2, s[8:9]
	s_waitcnt vmcnt(3)
	v_mul_f32_e32 v13, v21, v2
	v_ldexp_f32 v2, v15, v16
	v_sub_f32_e32 v15, v34, v18
	v_mul_f32_e32 v16, 0x3fb8aa3b, v15
	v_fma_f32 v17, v15, s39, -v16
	v_rndne_f32_e32 v19, v16
	v_fmac_f32_e32 v17, 0x32a5705f, v15
	v_sub_f32_e32 v16, v16, v19
	v_add_f32_e32 v16, v16, v17
	v_exp_f32_e32 v16, v16
	v_cvt_i32_f32_e32 v17, v19
	v_cmp_ngt_f32_e64 s[8:9], s40, v14
	s_nop 1
	v_cndmask_b32_e64 v2, 0, v2, s[8:9]
	v_cmp_nlt_f32_e64 s[8:9], s41, v14
	v_ldexp_f32 v14, v16, v17
	v_sub_f32_e32 v16, v35, v18
	v_mul_f32_e32 v17, 0x3fb8aa3b, v16
	v_fma_f32 v18, v16, s39, -v17
	v_rndne_f32_e32 v19, v17
	v_fmac_f32_e32 v18, 0x32a5705f, v16
	v_sub_f32_e32 v17, v17, v19
	v_add_f32_e32 v17, v17, v18
	v_cndmask_b32_e64 v2, v5, v2, s[8:9]
	v_exp_f32_e32 v17, v17
	v_cvt_i32_f32_e32 v18, v19
	v_cndmask_b32_e64 v2, 0, v2, s[6:7]
	v_cmp_ngt_f32_e64 s[6:7], s40, v15
	s_nop 1
	v_cndmask_b32_e64 v14, 0, v14, s[6:7]
	v_cmp_nlt_f32_e64 s[6:7], s41, v15
	v_ldexp_f32 v15, v17, v18
	s_waitcnt vmcnt(2)
	v_mul_f32_e32 v17, v22, v2
	v_cndmask_b32_e64 v14, v5, v14, s[6:7]
	v_cndmask_b32_e64 v14, 0, v14, s[4:5]
	v_cmp_ngt_f32_e64 s[4:5], s40, v16
	v_lshlrev_b32_e32 v18, 2, v0
	ds_write2st64_b32 v18, v1, v4 offset1:1
	ds_write2st64_b32 v18, v6, v7 offset0:2 offset1:3
	ds_write2st64_b32 v18, v8, v9 offset0:4 offset1:5
	;; [unrolled: 1-line block ×3, first 2 shown]
	v_cndmask_b32_e64 v15, 0, v15, s[4:5]
	v_cmp_nlt_f32_e64 s[4:5], s41, v16
	s_nop 1
	v_cndmask_b32_e64 v5, v5, v15, s[4:5]
	v_add_f32_e32 v15, v1, v4
	v_add_f32_e32 v15, v15, v6
	;; [unrolled: 1-line block ×10, first 2 shown]
	v_fmac_f32_e32 v15, v22, v2
	v_cndmask_b32_e32 v5, 0, v5, vcc
	s_waitcnt vmcnt(1)
	v_fmac_f32_e32 v15, v23, v14
	s_waitcnt vmcnt(0)
	v_fmac_f32_e32 v15, v24, v5
	ds_bpermute_b32 v16, v39, v15
	v_cmp_eq_u32_e32 vcc, 0, v0
	v_mul_f32_e32 v14, v23, v14
	v_mul_f32_e32 v5, v24, v5
	ds_write2st64_b32 v18, v12, v3 offset0:8 offset1:9
	ds_write2st64_b32 v18, v13, v17 offset0:10 offset1:11
	ds_write2st64_b32 v18, v14, v5 offset0:12 offset1:13
	s_waitcnt lgkmcnt(3)
	v_add_f32_e32 v15, v15, v16
	ds_bpermute_b32 v16, v40, v15
	s_waitcnt lgkmcnt(0)
	v_add_f32_e32 v15, v15, v16
	ds_bpermute_b32 v16, v41, v15
	;; [unrolled: 3-line block ×5, first 2 shown]
	s_and_saveexec_b64 s[4:5], vcc
	s_cbranch_execz .LBB33_8
; %bb.7:
	s_waitcnt lgkmcnt(0)
	v_add_f32_e32 v1, v1, v2
	v_mov_b32_e32 v2, 0
	ds_write_b32 v2, v1 offset:3584
.LBB33_8:
	s_or_b64 exec, exec, s[4:5]
	v_mov_b32_e32 v1, s38
.LBB33_9:
	s_or_b64 exec, exec, s[50:51]
	s_lshl_b32 s4, s52, 6
	s_mov_b32 s5, 0
	s_lshl_b64 s[4:5], s[4:5], 1
	s_add_u32 s4, s36, s4
	s_addc_u32 s5, s37, s5
	s_lshl_b32 s10, s33, 6
	s_waitcnt lgkmcnt(0)
	v_lshlrev_b32_e32 v2, 6, v1
	v_mov_b32_e32 v1, 0
	s_sub_i32 s11, s10, 64
	v_mov_b32_e32 v3, v1
	s_cmp_lt_i32 s56, 1
	v_lshl_add_u64 v[2:3], v[2:3], 1, s[4:5]
	s_cselect_b32 s4, s11, 0
	v_lshlrev_b32_e32 v4, 1, v0
	v_mov_b32_e32 v5, v1
	s_ashr_i32 s5, s4, 31
	v_lshl_add_u64 v[2:3], v[2:3], 0, v[4:5]
	s_cmpk_lt_i32 s56, 0x101
	v_lshl_add_u64 v[12:13], s[4:5], 1, v[2:3]
	s_cselect_b32 s4, s11, 64
	s_ashr_i32 s5, s4, 31
	s_cmpk_lt_i32 s56, 0x201
	v_lshl_add_u64 v[14:15], s[4:5], 1, v[2:3]
	s_cselect_b32 s4, s11, 0x80
	s_ashr_i32 s5, s4, 31
	;; [unrolled: 4-line block ×8, first 2 shown]
	s_cmpk_lt_i32 s56, 0x901
	global_load_ushort v4, v[12:13], off
	global_load_ushort v5, v[14:15], off
	;; [unrolled: 1-line block ×8, first 2 shown]
	v_lshl_add_u64 v[20:21], s[4:5], 1, v[2:3]
	s_cselect_b32 s4, s11, 0x240
	s_ashr_i32 s5, s4, 31
	s_cmpk_lt_i32 s56, 0xa01
	v_lshl_add_u64 v[22:23], s[4:5], 1, v[2:3]
	s_cselect_b32 s4, s11, 0x280
	s_ashr_i32 s5, s4, 31
	s_cmpk_lt_i32 s56, 0xb01
	;; [unrolled: 4-line block ×6, first 2 shown]
	v_lshl_add_u64 v[32:33], s[4:5], 1, v[2:3]
	s_cselect_b32 s4, s11, 0x3c0
	s_ashr_i32 s5, s4, 31
	v_lshl_add_u64 v[34:35], s[4:5], 1, v[2:3]
	global_load_ushort v12, v[20:21], off
	global_load_ushort v13, v[22:23], off
	;; [unrolled: 1-line block ×8, first 2 shown]
	s_cmpk_gt_i32 s56, 0x1000
	s_cselect_b64 s[8:9], -1, 0
	s_cmpk_lt_i32 s56, 0x1001
	v_mov_b32_e32 v36, 0
	v_mov_b32_e32 v37, 0
	;; [unrolled: 1-line block ×48, first 2 shown]
	s_waitcnt lgkmcnt(0)
	; wave barrier
	s_cbranch_scc1 .LBB33_12
; %bb.10:
	s_cmpk_lt_u32 s56, 0x1101
	s_cselect_b32 s4, s11, 0x440
	s_ashr_i32 s5, s4, 31
	s_cmpk_lt_u32 s56, 0x1201
	v_lshl_add_u64 v[28:29], s[4:5], 1, v[2:3]
	s_cselect_b32 s4, s11, 0x480
	s_ashr_i32 s5, s4, 31
	s_cmpk_lt_u32 s56, 0x1301
	v_lshl_add_u64 v[30:31], s[4:5], 1, v[2:3]
	;; [unrolled: 4-line block ×7, first 2 shown]
	s_cselect_b32 s4, s11, 0x600
	s_ashr_i32 s5, s4, 31
	s_cmpk_lt_u32 s56, 0x1901
	global_load_ushort v27, v[2:3], off offset:2048
	global_load_ushort v26, v[28:29], off
	global_load_ushort v25, v[30:31], off
	;; [unrolled: 1-line block ×7, first 2 shown]
	v_lshl_add_u64 v[36:37], s[4:5], 1, v[2:3]
	s_cselect_b32 s4, s11, 0x640
	s_ashr_i32 s5, s4, 31
	s_cmpk_lt_u32 s56, 0x1a01
	v_lshl_add_u64 v[38:39], s[4:5], 1, v[2:3]
	s_cselect_b32 s4, s11, 0x680
	s_ashr_i32 s5, s4, 31
	s_cmpk_lt_u32 s56, 0x1b01
	;; [unrolled: 4-line block ×6, first 2 shown]
	v_lshl_add_u64 v[48:49], s[4:5], 1, v[2:3]
	s_cselect_b32 s4, s11, 0x7c0
	s_ashr_i32 s5, s4, 31
	v_lshl_add_u64 v[50:51], s[4:5], 1, v[2:3]
	global_load_ushort v35, v[36:37], off
	global_load_ushort v34, v[38:39], off
	;; [unrolled: 1-line block ×8, first 2 shown]
	s_cmpk_lt_u32 s56, 0x2001
	v_mov_b32_e32 v67, 0
	v_mov_b32_e32 v66, 0
	;; [unrolled: 1-line block ×32, first 2 shown]
	s_cbranch_scc1 .LBB33_12
; %bb.11:
	s_cmpk_lt_u32 s56, 0x2101
	s_cselect_b32 s4, s11, 0x840
	s_ashr_i32 s5, s4, 31
	s_cmpk_lt_u32 s56, 0x2201
	v_lshl_add_u64 v[38:39], s[4:5], 1, v[2:3]
	s_cselect_b32 s4, s11, 0x880
	s_ashr_i32 s5, s4, 31
	s_cmpk_lt_u32 s56, 0x2301
	v_lshl_add_u64 v[40:41], s[4:5], 1, v[2:3]
	;; [unrolled: 4-line block ×7, first 2 shown]
	s_cselect_b32 s4, s11, 0xa00
	v_add_co_u32_e32 v36, vcc, 0x1000, v2
	s_ashr_i32 s5, s4, 31
	s_nop 0
	v_addc_co_u32_e32 v37, vcc, 0, v3, vcc
	s_cmpk_lt_u32 s56, 0x2901
	global_load_ushort v52, v[36:37], off
	global_load_ushort v53, v[38:39], off
	global_load_ushort v54, v[40:41], off
	global_load_ushort v55, v[42:43], off
	global_load_ushort v56, v[44:45], off
	global_load_ushort v57, v[46:47], off
	global_load_ushort v58, v[48:49], off
	global_load_ushort v59, v[50:51], off
	v_lshl_add_u64 v[36:37], s[4:5], 1, v[2:3]
	s_cselect_b32 s4, s11, 0xa40
	s_ashr_i32 s5, s4, 31
	s_cmpk_lt_u32 s56, 0x2a01
	v_lshl_add_u64 v[38:39], s[4:5], 1, v[2:3]
	s_cselect_b32 s4, s11, 0xa80
	s_ashr_i32 s5, s4, 31
	s_cmpk_lt_u32 s56, 0x2b01
	;; [unrolled: 4-line block ×8, first 2 shown]
	global_load_ushort v68, v[36:37], off
	global_load_ushort v69, v[38:39], off
	;; [unrolled: 1-line block ×8, first 2 shown]
	v_lshl_add_u64 v[36:37], s[4:5], 1, v[2:3]
	s_cselect_b32 s4, s11, 0xc40
	s_ashr_i32 s5, s4, 31
	s_cmpk_lt_u32 s56, 0x3201
	v_lshl_add_u64 v[38:39], s[4:5], 1, v[2:3]
	s_cselect_b32 s4, s11, 0xc80
	s_ashr_i32 s5, s4, 31
	s_cmpk_lt_u32 s56, 0x3301
	;; [unrolled: 4-line block ×8, first 2 shown]
	global_load_ushort v76, v[36:37], off
	global_load_ushort v77, v[38:39], off
	;; [unrolled: 1-line block ×8, first 2 shown]
	v_lshl_add_u64 v[36:37], s[4:5], 1, v[2:3]
	s_cselect_b32 s4, s11, 0xe40
	s_ashr_i32 s5, s4, 31
	s_cmpk_lt_u32 s56, 0x3a01
	v_lshl_add_u64 v[38:39], s[4:5], 1, v[2:3]
	s_cselect_b32 s4, s11, 0xe80
	s_ashr_i32 s5, s4, 31
	s_cmpk_lt_u32 s56, 0x3b01
	;; [unrolled: 4-line block ×6, first 2 shown]
	v_lshl_add_u64 v[48:49], s[4:5], 1, v[2:3]
	s_cselect_b32 s4, s11, 0xfc0
	s_ashr_i32 s5, s4, 31
	v_lshl_add_u64 v[50:51], s[4:5], 1, v[2:3]
	global_load_ushort v84, v[36:37], off
	global_load_ushort v85, v[38:39], off
	global_load_ushort v86, v[40:41], off
	global_load_ushort v87, v[42:43], off
	global_load_ushort v88, v[44:45], off
	global_load_ushort v89, v[46:47], off
	global_load_ushort v90, v[48:49], off
	global_load_ushort v91, v[50:51], off
	s_waitcnt vmcnt(31)
	v_cvt_f32_f16_e32 v67, v52
	s_waitcnt vmcnt(30)
	v_cvt_f32_f16_e32 v66, v53
	;; [unrolled: 2-line block ×32, first 2 shown]
.LBB33_12:
	ds_read_b128 v[68:71], v1
	s_load_dwordx2 s[4:5], s[0:1], 0x0
	s_load_dwordx2 s[6:7], s[0:1], 0x38
	ds_read_b128 v[72:75], v1 offset:16
	ds_read_b128 v[76:79], v1 offset:32
	;; [unrolled: 1-line block ×3, first 2 shown]
	s_and_b64 vcc, exec, s[8:9]
	s_waitcnt vmcnt(15) lgkmcnt(0)
	v_fma_mix_f32 v4, v68, v4, 0 op_sel_hi:[0,1,0]
	s_waitcnt vmcnt(14)
	v_fma_mix_f32 v4, v69, v5, v4 op_sel_hi:[0,1,0]
	s_waitcnt vmcnt(13)
	;; [unrolled: 2-line block ×15, first 2 shown]
	v_fma_mix_f32 v4, v83, v19, v4 op_sel_hi:[0,1,0]
	s_cbranch_vccz .LBB33_15
; %bb.13:
	ds_read_b128 v[6:9], v1 offset:64
	ds_read_b128 v[10:13], v1 offset:80
	;; [unrolled: 1-line block ×4, first 2 shown]
	s_cmpk_lt_u32 s56, 0x2001
	s_waitcnt lgkmcnt(3)
	v_fma_mix_f32 v4, v6, v27, v4 op_sel_hi:[0,1,0]
	v_fma_mix_f32 v4, v7, v26, v4 op_sel_hi:[0,1,0]
	v_fma_mix_f32 v4, v8, v25, v4 op_sel_hi:[0,1,0]
	v_fma_mix_f32 v4, v9, v24, v4 op_sel_hi:[0,1,0]
	s_waitcnt lgkmcnt(2)
	v_fma_mix_f32 v4, v10, v23, v4 op_sel_hi:[0,1,0]
	v_fma_mix_f32 v4, v11, v22, v4 op_sel_hi:[0,1,0]
	v_fma_mix_f32 v4, v12, v21, v4 op_sel_hi:[0,1,0]
	v_fma_mix_f32 v4, v13, v20, v4 op_sel_hi:[0,1,0]
	s_waitcnt lgkmcnt(1)
	v_fma_mix_f32 v4, v14, v35, v4 op_sel_hi:[0,1,0]
	v_fma_mix_f32 v4, v15, v34, v4 op_sel_hi:[0,1,0]
	v_fma_mix_f32 v4, v16, v33, v4 op_sel_hi:[0,1,0]
	v_fma_mix_f32 v4, v17, v32, v4 op_sel_hi:[0,1,0]
	s_waitcnt lgkmcnt(0)
	v_fma_mix_f32 v4, v68, v31, v4 op_sel_hi:[0,1,0]
	v_fma_mix_f32 v4, v69, v30, v4 op_sel_hi:[0,1,0]
	v_fma_mix_f32 v4, v70, v29, v4 op_sel_hi:[0,1,0]
	v_fma_mix_f32 v4, v71, v28, v4 op_sel_hi:[0,1,0]
	s_cbranch_scc1 .LBB33_15
; %bb.14:
	v_mov_b32_e32 v5, 0
	ds_read_b128 v[6:9], v5 offset:128
	ds_read_b128 v[10:13], v5 offset:144
	;; [unrolled: 1-line block ×4, first 2 shown]
	s_waitcnt lgkmcnt(3)
	v_fmac_f32_e32 v4, v6, v67
	v_fmac_f32_e32 v4, v7, v66
	v_fmac_f32_e32 v4, v8, v65
	v_fmac_f32_e32 v4, v9, v64
	s_waitcnt lgkmcnt(2)
	v_fmac_f32_e32 v4, v10, v63
	v_fmac_f32_e32 v4, v11, v62
	v_fmac_f32_e32 v4, v12, v61
	v_fmac_f32_e32 v4, v13, v60
	s_waitcnt lgkmcnt(1)
	v_fmac_f32_e32 v4, v14, v59
	v_fmac_f32_e32 v4, v15, v58
	v_fmac_f32_e32 v4, v16, v57
	v_fmac_f32_e32 v4, v17, v56
	ds_read_b128 v[6:9], v5 offset:192
	ds_read_b128 v[10:13], v5 offset:208
	s_waitcnt lgkmcnt(2)
	v_fmac_f32_e32 v4, v18, v55
	v_fmac_f32_e32 v4, v19, v54
	;; [unrolled: 1-line block ×4, first 2 shown]
	s_waitcnt lgkmcnt(1)
	v_fmac_f32_e32 v4, v6, v51
	v_fmac_f32_e32 v4, v7, v50
	;; [unrolled: 1-line block ×4, first 2 shown]
	ds_read_b128 v[6:9], v5 offset:224
	s_waitcnt lgkmcnt(1)
	v_fmac_f32_e32 v4, v10, v47
	v_fmac_f32_e32 v4, v11, v46
	;; [unrolled: 1-line block ×4, first 2 shown]
	ds_read_b128 v[10:13], v5 offset:240
	s_waitcnt lgkmcnt(1)
	v_fmac_f32_e32 v4, v6, v43
	v_fmac_f32_e32 v4, v7, v42
	;; [unrolled: 1-line block ×4, first 2 shown]
	s_waitcnt lgkmcnt(0)
	v_fmac_f32_e32 v4, v10, v39
	v_fmac_f32_e32 v4, v11, v38
	;; [unrolled: 1-line block ×4, first 2 shown]
.LBB33_15:
	s_movk_i32 s0, 0x1fc0
	s_movk_i32 s1, 0x100
	s_mov_b32 s8, 64
	s_branch .LBB33_17
.LBB33_16:                              ;   in Loop: Header=BB33_17 Depth=1
	s_addk_i32 s0, 0x1000
	s_addk_i32 s1, 0x100
	s_add_i32 s8, s8, 64
	s_cmpk_eq_u32 s0, 0xefc0
	s_cbranch_scc1 .LBB33_19
.LBB33_17:                              ; =>This Inner Loop Header: Depth=1
	s_cmp_le_i32 s33, s8
	s_cbranch_scc1 .LBB33_16
; %bb.18:                               ;   in Loop: Header=BB33_17 Depth=1
	s_add_i32 s9, s0, 0xfffff040
	s_cmp_lt_i32 s9, s10
	s_cselect_b32 s12, s9, s11
	s_ashr_i32 s13, s12, 31
	s_add_i32 s9, s0, 0xfffff080
	s_cmp_lt_i32 s9, s10
	v_lshl_add_u64 v[14:15], s[12:13], 1, v[2:3]
	s_cselect_b32 s12, s9, s11
	s_ashr_i32 s13, s12, 31
	s_add_i32 s9, s0, 0xfffff0c0
	s_cmp_lt_i32 s9, s10
	v_lshl_add_u64 v[16:17], s[12:13], 1, v[2:3]
	;; [unrolled: 5-line block ×8, first 2 shown]
	s_cselect_b32 s12, s9, s11
	s_ashr_i32 s13, s12, 31
	s_add_i32 s9, s0, 0xfffff280
	s_cmp_lt_i32 s9, s10
	global_load_ushort v5, v[14:15], off
	global_load_ushort v6, v[16:17], off
	global_load_ushort v7, v[18:19], off
	global_load_ushort v8, v[20:21], off
	global_load_ushort v9, v[22:23], off
	global_load_ushort v10, v[24:25], off
	global_load_ushort v11, v[26:27], off
	global_load_ushort v12, v[28:29], off
	v_lshl_add_u64 v[14:15], s[12:13], 1, v[2:3]
	s_cselect_b32 s12, s9, s11
	s_ashr_i32 s13, s12, 31
	s_add_i32 s9, s0, 0xfffff2c0
	s_cmp_lt_i32 s9, s10
	v_lshl_add_u64 v[16:17], s[12:13], 1, v[2:3]
	s_cselect_b32 s12, s9, s11
	s_ashr_i32 s13, s12, 31
	s_add_i32 s9, s0, 0xfffff300
	s_cmp_lt_i32 s9, s10
	v_lshl_add_u64 v[18:19], s[12:13], 1, v[2:3]
	s_cselect_b32 s12, s9, s11
	s_ashr_i32 s13, s12, 31
	s_add_i32 s9, s0, 0xfffff340
	s_cmp_lt_i32 s9, s10
	v_lshl_add_u64 v[20:21], s[12:13], 1, v[2:3]
	s_cselect_b32 s12, s9, s11
	s_ashr_i32 s13, s12, 31
	s_add_i32 s9, s0, 0xfffff380
	s_cmp_lt_i32 s9, s10
	v_lshl_add_u64 v[22:23], s[12:13], 1, v[2:3]
	s_cselect_b32 s12, s9, s11
	s_ashr_i32 s13, s12, 31
	s_add_i32 s9, s0, 0xfffff3c0
	s_cmp_lt_i32 s9, s10
	v_lshl_add_u64 v[24:25], s[12:13], 1, v[2:3]
	s_cselect_b32 s12, s9, s11
	s_ashr_i32 s13, s12, 31
	s_add_i32 s9, s0, 0xfffff400
	s_cmp_lt_i32 s9, s10
	v_lshl_add_u64 v[26:27], s[12:13], 1, v[2:3]
	s_cselect_b32 s12, s9, s11
	s_ashr_i32 s13, s12, 31
	s_add_i32 s9, s0, 0xfffff440
	s_cmp_lt_i32 s9, s10
	v_lshl_add_u64 v[28:29], s[12:13], 1, v[2:3]
	s_cselect_b32 s12, s9, s11
	s_ashr_i32 s13, s12, 31
	s_add_i32 s9, s0, 0xfffff480
	s_cmp_lt_i32 s9, s10
	global_load_ushort v13, v[14:15], off
	global_load_ushort v30, v[16:17], off
	global_load_ushort v31, v[18:19], off
	global_load_ushort v32, v[20:21], off
	global_load_ushort v33, v[22:23], off
	global_load_ushort v34, v[24:25], off
	global_load_ushort v35, v[26:27], off
	global_load_ushort v36, v[28:29], off
	v_lshl_add_u64 v[14:15], s[12:13], 1, v[2:3]
	s_cselect_b32 s12, s9, s11
	s_ashr_i32 s13, s12, 31
	s_add_i32 s9, s0, 0xfffff4c0
	s_cmp_lt_i32 s9, s10
	v_lshl_add_u64 v[16:17], s[12:13], 1, v[2:3]
	s_cselect_b32 s12, s9, s11
	s_ashr_i32 s13, s12, 31
	s_add_i32 s9, s0, 0xfffff500
	s_cmp_lt_i32 s9, s10
	v_lshl_add_u64 v[18:19], s[12:13], 1, v[2:3]
	s_cselect_b32 s12, s9, s11
	s_ashr_i32 s13, s12, 31
	s_add_i32 s9, s0, 0xfffff540
	s_cmp_lt_i32 s9, s10
	v_lshl_add_u64 v[20:21], s[12:13], 1, v[2:3]
	s_cselect_b32 s12, s9, s11
	s_ashr_i32 s13, s12, 31
	s_add_i32 s9, s0, 0xfffff580
	s_cmp_lt_i32 s9, s10
	v_lshl_add_u64 v[22:23], s[12:13], 1, v[2:3]
	s_cselect_b32 s12, s9, s11
	s_ashr_i32 s13, s12, 31
	s_add_i32 s9, s0, 0xfffff5c0
	s_cmp_lt_i32 s9, s10
	v_lshl_add_u64 v[24:25], s[12:13], 1, v[2:3]
	s_cselect_b32 s12, s9, s11
	s_ashr_i32 s13, s12, 31
	s_add_i32 s9, s0, 0xfffff600
	s_cmp_lt_i32 s9, s10
	v_lshl_add_u64 v[26:27], s[12:13], 1, v[2:3]
	s_cselect_b32 s12, s9, s11
	s_ashr_i32 s13, s12, 31
	s_add_i32 s9, s0, 0xfffff640
	s_cmp_lt_i32 s9, s10
	v_lshl_add_u64 v[28:29], s[12:13], 1, v[2:3]
	;; [unrolled: 48-line block ×6, first 2 shown]
	s_cselect_b32 s12, s9, s11
	s_ashr_i32 s13, s12, 31
	s_add_i32 s9, s0, 0xfffffe80
	s_cmp_lt_i32 s9, s10
	global_load_ushort v69, v[14:15], off
	global_load_ushort v70, v[16:17], off
	;; [unrolled: 1-line block ×8, first 2 shown]
	v_lshl_add_u64 v[14:15], s[12:13], 1, v[2:3]
	s_cselect_b32 s12, s9, s11
	s_ashr_i32 s13, s12, 31
	s_add_i32 s9, s0, 0xfffffec0
	s_cmp_lt_i32 s9, s10
	v_lshl_add_u64 v[16:17], s[12:13], 1, v[2:3]
	s_cselect_b32 s12, s9, s11
	s_ashr_i32 s13, s12, 31
	s_add_i32 s9, s0, 0xffffff00
	s_cmp_lt_i32 s9, s10
	;; [unrolled: 5-line block ×4, first 2 shown]
	v_lshl_add_u64 v[22:23], s[12:13], 1, v[2:3]
	s_cselect_b32 s12, s9, s11
	s_ashr_i32 s13, s12, 31
	s_sub_i32 s9, s0, 64
	s_cmp_lt_i32 s9, s10
	v_lshl_add_u64 v[24:25], s[12:13], 1, v[2:3]
	s_cselect_b32 s12, s9, s11
	s_ashr_i32 s13, s12, 31
	s_cmp_lt_i32 s0, s10
	v_lshl_add_u64 v[26:27], s[12:13], 1, v[2:3]
	s_cselect_b32 s12, s0, s11
	s_ashr_i32 s13, s12, 31
	v_lshl_add_u64 v[28:29], s[12:13], 1, v[2:3]
	global_load_ushort v77, v[14:15], off
	global_load_ushort v78, v[16:17], off
	;; [unrolled: 1-line block ×8, first 2 shown]
	v_mov_b32_e32 v85, s1
	ds_read_b128 v[14:17], v85
	ds_read_b128 v[18:21], v85 offset:16
	ds_read_b128 v[22:25], v85 offset:32
	;; [unrolled: 1-line block ×3, first 2 shown]
	s_waitcnt vmcnt(62) lgkmcnt(3)
	v_fma_mix_f32 v4, v14, v5, v4 op_sel_hi:[0,1,0]
	v_fma_mix_f32 v4, v15, v6, v4 op_sel_hi:[0,1,0]
	s_waitcnt vmcnt(61)
	v_fma_mix_f32 v4, v16, v7, v4 op_sel_hi:[0,1,0]
	s_waitcnt vmcnt(60)
	v_fma_mix_f32 v4, v17, v8, v4 op_sel_hi:[0,1,0]
	s_waitcnt vmcnt(59) lgkmcnt(2)
	v_fma_mix_f32 v4, v18, v9, v4 op_sel_hi:[0,1,0]
	s_waitcnt vmcnt(58)
	v_fma_mix_f32 v4, v19, v10, v4 op_sel_hi:[0,1,0]
	s_waitcnt vmcnt(57)
	;; [unrolled: 2-line block ×3, first 2 shown]
	v_fma_mix_f32 v4, v21, v12, v4 op_sel_hi:[0,1,0]
	s_waitcnt vmcnt(55) lgkmcnt(1)
	v_fma_mix_f32 v4, v22, v13, v4 op_sel_hi:[0,1,0]
	s_waitcnt vmcnt(54)
	v_fma_mix_f32 v4, v23, v30, v4 op_sel_hi:[0,1,0]
	s_waitcnt vmcnt(53)
	v_fma_mix_f32 v4, v24, v31, v4 op_sel_hi:[0,1,0]
	s_waitcnt vmcnt(52)
	v_fma_mix_f32 v4, v25, v32, v4 op_sel_hi:[0,1,0]
	s_waitcnt vmcnt(51) lgkmcnt(0)
	v_fma_mix_f32 v8, v26, v33, v4 op_sel_hi:[0,1,0]
	ds_read_b128 v[4:7], v85 offset:64
	s_waitcnt vmcnt(50)
	v_fma_mix_f32 v8, v27, v34, v8 op_sel_hi:[0,1,0]
	s_waitcnt vmcnt(49)
	v_fma_mix_f32 v8, v28, v35, v8 op_sel_hi:[0,1,0]
	s_waitcnt vmcnt(48)
	v_fma_mix_f32 v12, v29, v36, v8 op_sel_hi:[0,1,0]
	ds_read_b128 v[8:11], v85 offset:80
	s_waitcnt vmcnt(47) lgkmcnt(1)
	v_fma_mix_f32 v4, v4, v37, v12 op_sel_hi:[0,1,0]
	s_waitcnt vmcnt(46)
	v_fma_mix_f32 v4, v5, v38, v4 op_sel_hi:[0,1,0]
	s_waitcnt vmcnt(45)
	v_fma_mix_f32 v4, v6, v39, v4 op_sel_hi:[0,1,0]
	s_waitcnt vmcnt(44)
	v_fma_mix_f32 v4, v7, v40, v4 op_sel_hi:[0,1,0]
	s_waitcnt vmcnt(43) lgkmcnt(0)
	v_fma_mix_f32 v8, v8, v41, v4 op_sel_hi:[0,1,0]
	ds_read_b128 v[4:7], v85 offset:96
	s_waitcnt vmcnt(42)
	v_fma_mix_f32 v8, v9, v42, v8 op_sel_hi:[0,1,0]
	s_waitcnt vmcnt(41)
	v_fma_mix_f32 v8, v10, v43, v8 op_sel_hi:[0,1,0]
	s_waitcnt vmcnt(40)
	v_fma_mix_f32 v12, v11, v44, v8 op_sel_hi:[0,1,0]
	ds_read_b128 v[8:11], v85 offset:112
	;; [unrolled: 18-line block ×6, first 2 shown]
	s_waitcnt vmcnt(7) lgkmcnt(1)
	v_fma_mix_f32 v4, v4, v77, v12 op_sel_hi:[0,1,0]
	s_waitcnt vmcnt(6)
	v_fma_mix_f32 v4, v5, v78, v4 op_sel_hi:[0,1,0]
	s_waitcnt vmcnt(5)
	;; [unrolled: 2-line block ×3, first 2 shown]
	v_fma_mix_f32 v4, v7, v80, v4 op_sel_hi:[0,1,0]
	s_waitcnt vmcnt(3) lgkmcnt(0)
	v_fma_mix_f32 v4, v8, v81, v4 op_sel_hi:[0,1,0]
	s_waitcnt vmcnt(2)
	v_fma_mix_f32 v4, v9, v82, v4 op_sel_hi:[0,1,0]
	s_waitcnt vmcnt(1)
	;; [unrolled: 2-line block ×3, first 2 shown]
	v_fma_mix_f32 v4, v11, v84, v4 op_sel_hi:[0,1,0]
	s_branch .LBB33_16
.LBB33_19:
	v_mov_b32_e32 v2, 0
	ds_read_b32 v2, v2 offset:3584
	s_cmp_lg_u64 s[6:7], 0
	s_cbranch_scc0 .LBB33_24
; %bb.20:
	s_load_dword s6, s[6:7], 0x0
	s_waitcnt lgkmcnt(0)
	v_div_scale_f32 v3, s[0:1], s6, s6, 1.0
	v_rcp_f32_e32 v5, v3
	v_div_scale_f32 v6, vcc, 1.0, s6, 1.0
	v_fma_f32 v7, -v3, v5, 1.0
	v_fmac_f32_e32 v5, v7, v5
	v_mul_f32_e32 v7, v6, v5
	v_fma_f32 v8, -v3, v7, v6
	v_fmac_f32_e32 v7, v8, v5
	v_fma_f32 v3, -v3, v7, v6
	v_div_fmas_f32 v3, v3, v5, v7
	v_div_fixup_f32 v3, v3, s6, 1.0
	s_andn2_b64 vcc, exec, s[46:47]
	s_cbranch_vccnz .LBB33_22
.LBB33_21:
	s_add_u32 s0, s44, s48
	s_addc_u32 s1, s45, s49
	s_load_dword s34, s[0:1], 0x0
	s_mov_b32 s35, 0
.LBB33_22:
	s_waitcnt lgkmcnt(0)
	v_add_f32_e32 v2, 0x358637bd, v2
	v_div_scale_f32 v5, s[0:1], v2, v2, 1.0
	v_rcp_f32_e32 v6, v5
	v_div_scale_f32 v7, vcc, 1.0, v2, 1.0
	s_mul_i32 s0, s3, s35
	v_fma_f32 v8, -v5, v6, 1.0
	v_fmac_f32_e32 v6, v8, v6
	v_mul_f32_e32 v8, v7, v6
	v_fma_f32 v9, -v5, v8, v7
	v_fmac_f32_e32 v8, v9, v6
	v_fma_f32 v5, -v5, v8, v7
	s_mul_hi_u32 s1, s3, s34
	v_div_fmas_f32 v5, v5, v6, v8
	s_add_i32 s1, s1, s0
	s_mul_i32 s0, s3, s34
	v_div_fixup_f32 v2, v5, v2, 1.0
	s_lshl_b64 s[0:1], s[0:1], 6
	v_mul_f32_e32 v2, v4, v2
	s_add_u32 s4, s4, s0
	s_mov_b32 s3, 0
	v_mul_f32_e32 v2, v2, v3
	s_addc_u32 s5, s5, s1
	s_lshl_b64 s[0:1], s[2:3], 6
	s_mov_b32 s2, 0x7f800000
	s_mov_b32 s3, 0x43700000
	v_mov_b32_e32 v3, 0xc3700000
	v_med3_f32 v3, v2, s3, v3
	v_cmp_nlg_f32_e64 vcc, |v2|, s2
	s_add_u32 s0, s4, s0
	s_addc_u32 s1, s5, s1
	v_cndmask_b32_e32 v2, v3, v2, vcc
	v_mov_b32_e32 v3, 0
	v_cvt_pk_fp8_f32 v3, v2, v2
	v_lshl_add_u64 v[0:1], s[0:1], 0, v[0:1]
	global_store_byte v[0:1], v3, off
	s_endpgm
.LBB33_23:
	s_mov_b64 s[6:7], 0
	s_branch .LBB33_2
.LBB33_24:
	v_mov_b32_e32 v3, 1.0
	s_andn2_b64 vcc, exec, s[46:47]
	s_cbranch_vccz .LBB33_21
	s_branch .LBB33_22
	.section	.rodata,"a",@progbits
	.p2align	6, 0x0
	.amdhsa_kernel _Z35paged_attention_ll4mi_reduce_kernelIDF16_hLi64ELi64ELi256ELi14EEvPT0_PKfS3_PKT_PKiS8_iS3_
		.amdhsa_group_segment_fixed_size 3588
		.amdhsa_private_segment_fixed_size 0
		.amdhsa_kernarg_size 320
		.amdhsa_user_sgpr_count 2
		.amdhsa_user_sgpr_dispatch_ptr 0
		.amdhsa_user_sgpr_queue_ptr 0
		.amdhsa_user_sgpr_kernarg_segment_ptr 1
		.amdhsa_user_sgpr_dispatch_id 0
		.amdhsa_user_sgpr_kernarg_preload_length 0
		.amdhsa_user_sgpr_kernarg_preload_offset 0
		.amdhsa_user_sgpr_private_segment_size 0
		.amdhsa_uses_dynamic_stack 0
		.amdhsa_enable_private_segment 0
		.amdhsa_system_sgpr_workgroup_id_x 1
		.amdhsa_system_sgpr_workgroup_id_y 1
		.amdhsa_system_sgpr_workgroup_id_z 0
		.amdhsa_system_sgpr_workgroup_info 0
		.amdhsa_system_vgpr_workitem_id 0
		.amdhsa_next_free_vgpr 92
		.amdhsa_next_free_sgpr 57
		.amdhsa_accum_offset 92
		.amdhsa_reserve_vcc 1
		.amdhsa_float_round_mode_32 0
		.amdhsa_float_round_mode_16_64 0
		.amdhsa_float_denorm_mode_32 3
		.amdhsa_float_denorm_mode_16_64 3
		.amdhsa_dx10_clamp 1
		.amdhsa_ieee_mode 1
		.amdhsa_fp16_overflow 0
		.amdhsa_tg_split 0
		.amdhsa_exception_fp_ieee_invalid_op 0
		.amdhsa_exception_fp_denorm_src 0
		.amdhsa_exception_fp_ieee_div_zero 0
		.amdhsa_exception_fp_ieee_overflow 0
		.amdhsa_exception_fp_ieee_underflow 0
		.amdhsa_exception_fp_ieee_inexact 0
		.amdhsa_exception_int_div_zero 0
	.end_amdhsa_kernel
	.section	.text._Z35paged_attention_ll4mi_reduce_kernelIDF16_hLi64ELi64ELi256ELi14EEvPT0_PKfS3_PKT_PKiS8_iS3_,"axG",@progbits,_Z35paged_attention_ll4mi_reduce_kernelIDF16_hLi64ELi64ELi256ELi14EEvPT0_PKfS3_PKT_PKiS8_iS3_,comdat
.Lfunc_end33:
	.size	_Z35paged_attention_ll4mi_reduce_kernelIDF16_hLi64ELi64ELi256ELi14EEvPT0_PKfS3_PKT_PKiS8_iS3_, .Lfunc_end33-_Z35paged_attention_ll4mi_reduce_kernelIDF16_hLi64ELi64ELi256ELi14EEvPT0_PKfS3_PKT_PKiS8_iS3_
                                        ; -- End function
	.section	.AMDGPU.csdata,"",@progbits
; Kernel info:
; codeLenInByte = 10368
; NumSgprs: 63
; NumVgprs: 92
; NumAgprs: 0
; TotalNumVgprs: 92
; ScratchSize: 0
; MemoryBound: 0
; FloatMode: 240
; IeeeMode: 1
; LDSByteSize: 3588 bytes/workgroup (compile time only)
; SGPRBlocks: 7
; VGPRBlocks: 11
; NumSGPRsForWavesPerEU: 63
; NumVGPRsForWavesPerEU: 92
; AccumOffset: 92
; Occupancy: 5
; WaveLimiterHint : 1
; COMPUTE_PGM_RSRC2:SCRATCH_EN: 0
; COMPUTE_PGM_RSRC2:USER_SGPR: 2
; COMPUTE_PGM_RSRC2:TRAP_HANDLER: 0
; COMPUTE_PGM_RSRC2:TGID_X_EN: 1
; COMPUTE_PGM_RSRC2:TGID_Y_EN: 1
; COMPUTE_PGM_RSRC2:TGID_Z_EN: 0
; COMPUTE_PGM_RSRC2:TIDIG_COMP_CNT: 0
; COMPUTE_PGM_RSRC3_GFX90A:ACCUM_OFFSET: 22
; COMPUTE_PGM_RSRC3_GFX90A:TG_SPLIT: 0
	.section	.text._Z35paged_attention_ll4mi_reduce_kernelIDF16_hLi64ELi64ELi256ELi15EEvPT0_PKfS3_PKT_PKiS8_iS3_,"axG",@progbits,_Z35paged_attention_ll4mi_reduce_kernelIDF16_hLi64ELi64ELi256ELi15EEvPT0_PKfS3_PKT_PKiS8_iS3_,comdat
	.protected	_Z35paged_attention_ll4mi_reduce_kernelIDF16_hLi64ELi64ELi256ELi15EEvPT0_PKfS3_PKT_PKiS8_iS3_ ; -- Begin function _Z35paged_attention_ll4mi_reduce_kernelIDF16_hLi64ELi64ELi256ELi15EEvPT0_PKfS3_PKT_PKiS8_iS3_
	.globl	_Z35paged_attention_ll4mi_reduce_kernelIDF16_hLi64ELi64ELi256ELi15EEvPT0_PKfS3_PKT_PKiS8_iS3_
	.p2align	8
	.type	_Z35paged_attention_ll4mi_reduce_kernelIDF16_hLi64ELi64ELi256ELi15EEvPT0_PKfS3_PKT_PKiS8_iS3_,@function
_Z35paged_attention_ll4mi_reduce_kernelIDF16_hLi64ELi64ELi256ELi15EEvPT0_PKfS3_PKT_PKiS8_iS3_: ; @_Z35paged_attention_ll4mi_reduce_kernelIDF16_hLi64ELi64ELi256ELi15EEvPT0_PKfS3_PKT_PKiS8_iS3_
; %bb.0:
	s_load_dwordx2 s[46:47], s[0:1], 0x28
	s_mov_b32 s44, s3
	s_mov_b64 s[4:5], 0
	s_waitcnt lgkmcnt(0)
	s_cmp_lg_u64 s[46:47], 0
	s_cselect_b64 s[48:49], -1, 0
	s_and_b64 vcc, exec, s[48:49]
	s_cbranch_vccz .LBB34_23
; %bb.1:
	s_add_i32 s6, s44, 1
	s_mov_b32 s7, 0
	s_lshl_b64 s[8:9], s[6:7], 2
	s_add_u32 s8, s46, s8
	s_mov_b32 s45, s7
	s_addc_u32 s9, s47, s9
	s_lshl_b64 s[6:7], s[44:45], 2
	s_add_u32 s6, s46, s6
	s_addc_u32 s7, s47, s7
	s_load_dword s3, s[8:9], 0x0
	s_load_dword s10, s[6:7], 0x0
	s_waitcnt lgkmcnt(0)
	s_sub_i32 s3, s3, s10
	s_cmp_eq_u32 s3, 1
	s_cselect_b64 s[6:7], -1, 0
	s_andn2_b64 vcc, exec, s[4:5]
	s_cbranch_vccnz .LBB34_3
.LBB34_2:
	s_mov_b32 s45, 0
	s_mov_b64 s[6:7], -1
.LBB34_3:
	s_andn2_b64 vcc, exec, s[6:7]
	s_cbranch_vccz .LBB34_5
; %bb.4:
	s_endpgm
.LBB34_5:
	s_load_dwordx4 s[36:39], s[0:1], 0x18
	s_load_dword s8, s[0:1], 0x30
	s_lshl_b64 s[50:51], s[44:45], 2
	v_cmp_lt_u32_e32 vcc, 63, v0
	s_waitcnt lgkmcnt(0)
	s_add_u32 s4, s38, s50
	s_addc_u32 s5, s39, s51
	s_load_dword s58, s[4:5], 0x0
	s_load_dword s3, s[0:1], 0x40
	s_mul_i32 s38, s2, s8
	s_mul_i32 s6, s44, s8
	s_waitcnt lgkmcnt(0)
	s_add_i32 s7, s58, 0xff
	s_ashr_i32 s4, s7, 31
	s_lshr_b32 s4, s4, 24
	s_add_i32 s7, s7, s4
	s_and_saveexec_b64 s[4:5], vcc
	s_xor_b64 s[4:5], exec, s[4:5]
	s_or_saveexec_b64 s[52:53], s[4:5]
	s_ashr_i32 s33, s7, 8
	v_mov_b32_e32 v1, s38
	s_mul_i32 s54, s6, s3
	s_xor_b64 exec, exec, s[52:53]
	s_cbranch_execz .LBB34_9
; %bb.6:
	s_add_i32 s4, s33, -1
	v_or_b32_e32 v3, 64, v0
	v_mov_b32_e32 v1, s4
	v_cmp_gt_u32_e64 s[28:29], s33, v3
	s_load_dwordx4 s[40:43], s[0:1], 0x8
	s_mov_b32 s55, 0
	v_cndmask_b32_e64 v4, v1, v3, s[28:29]
	v_or_b32_e32 v3, 0x80, v0
	v_cmp_gt_u32_e64 s[26:27], s33, v3
	s_lshl_b64 s[56:57], s[54:55], 2
	s_mov_b32 s39, s55
	v_cndmask_b32_e64 v6, v1, v3, s[26:27]
	v_or_b32_e32 v3, 0xc0, v0
	v_cmp_gt_u32_e64 s[24:25], s33, v3
	v_cmp_gt_u32_e64 s[30:31], s33, v0
	s_waitcnt lgkmcnt(0)
	s_add_u32 s34, s42, s56
	v_cndmask_b32_e64 v8, v1, v3, s[24:25]
	v_or_b32_e32 v3, 0x100, v0
	v_cmp_gt_u32_e64 s[22:23], s33, v3
	v_cndmask_b32_e64 v2, v1, v0, s[30:31]
	s_addc_u32 s35, s43, s57
	v_cndmask_b32_e64 v10, v1, v3, s[22:23]
	v_or_b32_e32 v3, 0x140, v0
	v_cmp_gt_u32_e64 s[20:21], s33, v3
	s_lshl_b64 s[42:43], s[38:39], 2
	s_add_u32 s34, s34, s42
	v_cndmask_b32_e64 v12, v1, v3, s[20:21]
	v_or_b32_e32 v3, 0x180, v0
	v_cmp_gt_u32_e64 s[18:19], s33, v3
	s_addc_u32 s35, s35, s43
	v_ashrrev_i32_e32 v5, 31, v4
	v_cndmask_b32_e64 v14, v1, v3, s[18:19]
	v_or_b32_e32 v3, 0x1c0, v0
	v_cmp_gt_u32_e64 s[16:17], s33, v3
	v_ashrrev_i32_e32 v7, 31, v6
	v_ashrrev_i32_e32 v9, 31, v8
	v_cndmask_b32_e64 v16, v1, v3, s[16:17]
	v_or_b32_e32 v3, 0x200, v0
	v_cmp_gt_u32_e64 s[14:15], s33, v3
	v_ashrrev_i32_e32 v17, 31, v16
	;; [unrolled: 5-line block ×3, first 2 shown]
	v_ashrrev_i32_e32 v15, 31, v14
	v_cndmask_b32_e64 v20, v1, v3, s[12:13]
	v_or_b32_e32 v3, 0x280, v0
	v_cmp_gt_u32_e64 s[10:11], s33, v3
	v_lshlrev_b64 v[16:17], 2, v[16:17]
	v_lshlrev_b64 v[4:5], 2, v[4:5]
	v_cndmask_b32_e64 v22, v1, v3, s[10:11]
	v_or_b32_e32 v3, 0x2c0, v0
	v_cmp_gt_u32_e64 s[8:9], s33, v3
	v_lshlrev_b64 v[6:7], 2, v[6:7]
	v_lshlrev_b64 v[8:9], 2, v[8:9]
	;; [unrolled: 5-line block ×3, first 2 shown]
	v_cndmask_b32_e64 v26, v1, v3, s[6:7]
	v_or_b32_e32 v3, 0x340, v0
	v_cmp_gt_u32_e64 s[4:5], s33, v3
	v_lshlrev_b64 v[14:15], 2, v[14:15]
	v_lshl_add_u64 v[46:47], s[34:35], 0, v[16:17]
	v_cndmask_b32_e64 v28, v1, v3, s[4:5]
	v_or_b32_e32 v3, 0x380, v0
	v_cmp_gt_u32_e32 vcc, s33, v3
	v_lshl_add_u64 v[34:35], s[34:35], 0, v[4:5]
	v_lshl_add_u64 v[36:37], s[34:35], 0, v[6:7]
	v_cndmask_b32_e32 v30, v1, v3, vcc
	v_ashrrev_i32_e32 v3, 31, v2
	v_lshlrev_b64 v[2:3], 2, v[2:3]
	v_lshl_add_u64 v[32:33], s[34:35], 0, v[2:3]
	v_lshl_add_u64 v[38:39], s[34:35], 0, v[8:9]
	;; [unrolled: 1-line block ×5, first 2 shown]
	global_load_dword v1, v[32:33], off
	global_load_dword v48, v[34:35], off
	global_load_dword v49, v[36:37], off
	global_load_dword v50, v[38:39], off
	global_load_dword v51, v[40:41], off
	global_load_dword v52, v[42:43], off
	global_load_dword v53, v[44:45], off
	s_nop 0
	global_load_dword v46, v[46:47], off
	v_ashrrev_i32_e32 v19, 31, v18
	v_ashrrev_i32_e32 v21, 31, v20
	;; [unrolled: 1-line block ×4, first 2 shown]
	v_lshlrev_b64 v[18:19], 2, v[18:19]
	v_lshlrev_b64 v[20:21], 2, v[20:21]
	;; [unrolled: 1-line block ×4, first 2 shown]
	v_ashrrev_i32_e32 v27, 31, v26
	v_ashrrev_i32_e32 v29, 31, v28
	;; [unrolled: 1-line block ×3, first 2 shown]
	v_lshl_add_u64 v[32:33], s[34:35], 0, v[18:19]
	v_lshl_add_u64 v[34:35], s[34:35], 0, v[20:21]
	;; [unrolled: 1-line block ×4, first 2 shown]
	v_lshlrev_b64 v[26:27], 2, v[26:27]
	v_lshlrev_b64 v[28:29], 2, v[28:29]
	;; [unrolled: 1-line block ×3, first 2 shown]
	v_lshl_add_u64 v[40:41], s[34:35], 0, v[26:27]
	v_lshl_add_u64 v[42:43], s[34:35], 0, v[28:29]
	;; [unrolled: 1-line block ×3, first 2 shown]
	global_load_dword v32, v[32:33], off
	s_nop 0
	global_load_dword v33, v[34:35], off
	s_nop 0
	global_load_dword v34, v[36:37], off
	global_load_dword v35, v[38:39], off
	s_nop 0
	global_load_dword v36, v[40:41], off
	global_load_dword v37, v[42:43], off
	;; [unrolled: 1-line block ×3, first 2 shown]
	v_mbcnt_lo_u32_b32 v40, -1, 0
	v_mbcnt_hi_u32_b32 v40, -1, v40
	v_and_b32_e32 v41, 64, v40
	v_add_u32_e32 v41, 64, v41
	v_xor_b32_e32 v42, 32, v40
	v_cmp_lt_i32_e64 s[34:35], v42, v41
	s_mov_b32 s39, 0x3fb8aa3b
	s_waitcnt vmcnt(12)
	v_max3_f32 v39, v1, v48, v49
	v_cndmask_b32_e64 v42, v40, v42, s[34:35]
	s_waitcnt vmcnt(10)
	v_max3_f32 v39, v39, v50, v51
	v_lshlrev_b32_e32 v42, 2, v42
	s_waitcnt vmcnt(8)
	v_max3_f32 v39, v39, v52, v53
	s_waitcnt vmcnt(6)
	v_max3_f32 v39, v39, v46, v32
	;; [unrolled: 2-line block ×5, first 2 shown]
	ds_bpermute_b32 v43, v42, v39
	s_waitcnt lgkmcnt(0)
	v_max_f32_e32 v43, v43, v43
	v_max_f32_e32 v39, v39, v43
	v_xor_b32_e32 v43, 16, v40
	v_cmp_lt_i32_e64 s[34:35], v43, v41
	s_nop 1
	v_cndmask_b32_e64 v43, v40, v43, s[34:35]
	v_lshlrev_b32_e32 v43, 2, v43
	ds_bpermute_b32 v44, v43, v39
	s_waitcnt lgkmcnt(0)
	v_max_f32_e32 v44, v44, v44
	v_max_f32_e32 v39, v39, v44
	v_xor_b32_e32 v44, 8, v40
	v_cmp_lt_i32_e64 s[34:35], v44, v41
	s_nop 1
	v_cndmask_b32_e64 v44, v40, v44, s[34:35]
	v_lshlrev_b32_e32 v44, 2, v44
	ds_bpermute_b32 v45, v44, v39
	s_waitcnt lgkmcnt(0)
	v_max_f32_e32 v45, v45, v45
	v_max_f32_e32 v39, v39, v45
	v_xor_b32_e32 v45, 4, v40
	v_cmp_lt_i32_e64 s[34:35], v45, v41
	s_nop 1
	v_cndmask_b32_e64 v45, v40, v45, s[34:35]
	s_add_u32 s34, s40, s56
	s_addc_u32 s35, s41, s57
	s_add_u32 s40, s34, s42
	s_addc_u32 s41, s35, s43
	v_lshlrev_b32_e32 v45, 2, v45
	v_lshl_add_u64 v[2:3], s[40:41], 0, v[2:3]
	global_load_dword v47, v[2:3], off
	ds_bpermute_b32 v2, v45, v39
	s_waitcnt lgkmcnt(0)
	v_max_f32_e32 v2, v2, v2
	v_max_f32_e32 v39, v39, v2
	v_xor_b32_e32 v2, 2, v40
	v_cmp_lt_i32_e64 s[34:35], v2, v41
	s_nop 1
	v_cndmask_b32_e64 v2, v40, v2, s[34:35]
	v_lshlrev_b32_e32 v54, 2, v2
	ds_bpermute_b32 v55, v54, v39
	v_lshl_add_u64 v[2:3], s[40:41], 0, v[4:5]
	global_load_dword v56, v[2:3], off
	v_lshl_add_u64 v[4:5], s[40:41], 0, v[8:9]
	v_lshl_add_u64 v[8:9], s[40:41], 0, v[12:13]
	s_waitcnt lgkmcnt(0)
	v_max_f32_e32 v2, v55, v55
	v_max_f32_e32 v39, v39, v2
	v_xor_b32_e32 v2, 1, v40
	v_cmp_lt_i32_e64 s[34:35], v2, v41
	v_lshl_add_u64 v[12:13], s[40:41], 0, v[16:17]
	s_nop 0
	v_cndmask_b32_e64 v2, v40, v2, s[34:35]
	v_lshlrev_b32_e32 v40, 2, v2
	v_lshl_add_u64 v[2:3], s[40:41], 0, v[6:7]
	v_lshl_add_u64 v[6:7], s[40:41], 0, v[10:11]
	;; [unrolled: 1-line block ×3, first 2 shown]
	global_load_dword v16, v[2:3], off
	global_load_dword v17, v[4:5], off
	;; [unrolled: 1-line block ×6, first 2 shown]
	ds_bpermute_b32 v41, v40, v39
	v_lshl_add_u64 v[2:3], s[40:41], 0, v[18:19]
	v_lshl_add_u64 v[4:5], s[40:41], 0, v[20:21]
	;; [unrolled: 1-line block ×4, first 2 shown]
	s_waitcnt lgkmcnt(0)
	v_max_f32_e32 v18, v41, v41
	v_max_f32_e32 v18, v39, v18
	v_sub_f32_e32 v1, v1, v18
	v_lshl_add_u64 v[10:11], s[40:41], 0, v[26:27]
	v_mul_f32_e32 v19, 0x3fb8aa3b, v1
	v_lshl_add_u64 v[12:13], s[40:41], 0, v[28:29]
	v_lshl_add_u64 v[14:15], s[40:41], 0, v[30:31]
	v_fma_f32 v20, v1, s39, -v19
	v_rndne_f32_e32 v21, v19
	global_load_dword v2, v[2:3], off
	s_nop 0
	global_load_dword v3, v[4:5], off
	s_nop 0
	global_load_dword v4, v[6:7], off
	global_load_dword v5, v[8:9], off
	s_nop 0
	global_load_dword v6, v[10:11], off
	global_load_dword v7, v[12:13], off
	;; [unrolled: 1-line block ×3, first 2 shown]
	v_sub_f32_e32 v11, v48, v18
	v_fmac_f32_e32 v20, 0x32a5705f, v1
	v_sub_f32_e32 v19, v19, v21
	v_mul_f32_e32 v12, 0x3fb8aa3b, v11
	v_add_f32_e32 v19, v19, v20
	v_fma_f32 v13, v11, s39, -v12
	v_rndne_f32_e32 v14, v12
	v_exp_f32_e32 v19, v19
	v_cvt_i32_f32_e32 v20, v21
	v_fmac_f32_e32 v13, 0x32a5705f, v11
	v_sub_f32_e32 v12, v12, v14
	v_add_f32_e32 v12, v12, v13
	v_exp_f32_e32 v12, v12
	v_cvt_i32_f32_e32 v13, v14
	s_mov_b32 s40, 0xc2ce8ed0
	v_ldexp_f32 v9, v19, v20
	v_cmp_ngt_f32_e64 s[34:35], s40, v1
	s_mov_b32 s41, 0x42b17218
	v_mov_b32_e32 v10, 0x7f800000
	v_cndmask_b32_e64 v9, 0, v9, s[34:35]
	v_cmp_nlt_f32_e64 s[34:35], s41, v1
	s_nop 1
	v_cndmask_b32_e64 v1, v10, v9, s[34:35]
	v_ldexp_f32 v9, v12, v13
	v_sub_f32_e32 v12, v49, v18
	v_mul_f32_e32 v13, 0x3fb8aa3b, v12
	v_fma_f32 v14, v12, s39, -v13
	v_rndne_f32_e32 v15, v13
	v_fmac_f32_e32 v14, 0x32a5705f, v12
	v_sub_f32_e32 v13, v13, v15
	v_add_f32_e32 v13, v13, v14
	v_exp_f32_e32 v13, v13
	v_cvt_i32_f32_e32 v14, v15
	v_cndmask_b32_e64 v1, 0, v1, s[30:31]
	v_cmp_ngt_f32_e64 s[30:31], s40, v11
	s_waitcnt vmcnt(14)
	v_mul_f32_e32 v1, v47, v1
	v_cndmask_b32_e64 v9, 0, v9, s[30:31]
	v_cmp_nlt_f32_e64 s[30:31], s41, v11
	v_ldexp_f32 v11, v13, v14
	v_sub_f32_e32 v13, v50, v18
	v_mul_f32_e32 v14, 0x3fb8aa3b, v13
	v_fma_f32 v15, v13, s39, -v14
	v_rndne_f32_e32 v19, v14
	v_fmac_f32_e32 v15, 0x32a5705f, v13
	v_sub_f32_e32 v14, v14, v19
	v_add_f32_e32 v14, v14, v15
	v_exp_f32_e32 v14, v14
	v_cvt_i32_f32_e32 v15, v19
	v_cndmask_b32_e64 v9, v10, v9, s[30:31]
	v_cndmask_b32_e64 v9, 0, v9, s[28:29]
	v_cmp_ngt_f32_e64 s[28:29], s40, v12
	s_waitcnt vmcnt(13)
	v_mul_f32_e32 v9, v56, v9
	v_cndmask_b32_e64 v11, 0, v11, s[28:29]
	v_cmp_nlt_f32_e64 s[28:29], s41, v12
	v_ldexp_f32 v12, v14, v15
	v_sub_f32_e32 v14, v51, v18
	v_cndmask_b32_e64 v11, v10, v11, s[28:29]
	v_cndmask_b32_e64 v11, 0, v11, s[26:27]
	v_mul_f32_e32 v15, 0x3fb8aa3b, v14
	s_waitcnt vmcnt(12)
	v_mul_f32_e32 v11, v16, v11
	v_fma_f32 v16, v14, s39, -v15
	v_rndne_f32_e32 v19, v15
	v_fmac_f32_e32 v16, 0x32a5705f, v14
	v_sub_f32_e32 v15, v15, v19
	v_add_f32_e32 v15, v15, v16
	v_exp_f32_e32 v15, v15
	v_cvt_i32_f32_e32 v16, v19
	v_cmp_ngt_f32_e64 s[26:27], s40, v13
	s_nop 1
	v_cndmask_b32_e64 v12, 0, v12, s[26:27]
	v_cmp_nlt_f32_e64 s[26:27], s41, v13
	v_ldexp_f32 v13, v15, v16
	v_sub_f32_e32 v15, v52, v18
	v_cndmask_b32_e64 v12, v10, v12, s[26:27]
	v_cndmask_b32_e64 v12, 0, v12, s[24:25]
	v_mul_f32_e32 v16, 0x3fb8aa3b, v15
	s_waitcnt vmcnt(11)
	v_mul_f32_e32 v12, v17, v12
	v_fma_f32 v17, v15, s39, -v16
	v_rndne_f32_e32 v19, v16
	v_fmac_f32_e32 v17, 0x32a5705f, v15
	v_sub_f32_e32 v16, v16, v19
	v_add_f32_e32 v16, v16, v17
	v_exp_f32_e32 v16, v16
	v_cvt_i32_f32_e32 v17, v19
	v_cmp_ngt_f32_e64 s[24:25], s40, v14
	s_nop 1
	v_cndmask_b32_e64 v13, 0, v13, s[24:25]
	v_cmp_nlt_f32_e64 s[24:25], s41, v14
	v_ldexp_f32 v14, v16, v17
	v_sub_f32_e32 v16, v53, v18
	v_mul_f32_e32 v17, 0x3fb8aa3b, v16
	v_fma_f32 v19, v16, s39, -v17
	v_rndne_f32_e32 v20, v17
	v_fmac_f32_e32 v19, 0x32a5705f, v16
	v_sub_f32_e32 v17, v17, v20
	v_add_f32_e32 v17, v17, v19
	v_exp_f32_e32 v17, v17
	v_cvt_i32_f32_e32 v19, v20
	v_cndmask_b32_e64 v13, v10, v13, s[24:25]
	v_cndmask_b32_e64 v13, 0, v13, s[22:23]
	v_cmp_ngt_f32_e64 s[22:23], s40, v15
	s_waitcnt vmcnt(10)
	v_mul_f32_e32 v13, v55, v13
	v_cndmask_b32_e64 v14, 0, v14, s[22:23]
	v_cmp_nlt_f32_e64 s[22:23], s41, v15
	v_ldexp_f32 v15, v17, v19
	v_sub_f32_e32 v17, v46, v18
	v_mul_f32_e32 v19, 0x3fb8aa3b, v17
	v_fma_f32 v20, v17, s39, -v19
	v_rndne_f32_e32 v21, v19
	v_fmac_f32_e32 v20, 0x32a5705f, v17
	v_sub_f32_e32 v19, v19, v21
	v_add_f32_e32 v19, v19, v20
	v_exp_f32_e32 v19, v19
	v_cvt_i32_f32_e32 v20, v21
	v_cndmask_b32_e64 v14, v10, v14, s[22:23]
	v_cndmask_b32_e64 v14, 0, v14, s[20:21]
	v_cmp_ngt_f32_e64 s[20:21], s40, v16
	s_waitcnt vmcnt(9)
	v_mul_f32_e32 v14, v57, v14
	;; [unrolled: 17-line block ×3, first 2 shown]
	v_cndmask_b32_e64 v16, 0, v16, s[18:19]
	v_cmp_nlt_f32_e64 s[18:19], s41, v17
	v_ldexp_f32 v17, v20, v21
	v_sub_f32_e32 v20, v33, v18
	v_mul_f32_e32 v21, 0x3fb8aa3b, v20
	v_fma_f32 v22, v20, s39, -v21
	v_rndne_f32_e32 v23, v21
	v_fmac_f32_e32 v22, 0x32a5705f, v20
	v_sub_f32_e32 v21, v21, v23
	v_cndmask_b32_e64 v16, v10, v16, s[18:19]
	v_add_f32_e32 v21, v21, v22
	v_cndmask_b32_e64 v16, 0, v16, s[16:17]
	v_cmp_ngt_f32_e64 s[16:17], s40, v19
	v_exp_f32_e32 v21, v21
	v_cvt_i32_f32_e32 v22, v23
	v_cndmask_b32_e64 v17, 0, v17, s[16:17]
	v_cmp_nlt_f32_e64 s[16:17], s41, v19
	v_sub_f32_e32 v19, v34, v18
	s_waitcnt vmcnt(7)
	v_mul_f32_e32 v16, v59, v16
	v_cndmask_b32_e64 v17, v10, v17, s[16:17]
	v_cndmask_b32_e64 v17, 0, v17, s[14:15]
	s_waitcnt vmcnt(6)
	v_mul_f32_e32 v2, v2, v17
	v_ldexp_f32 v17, v21, v22
	v_mul_f32_e32 v21, 0x3fb8aa3b, v19
	v_fma_f32 v22, v19, s39, -v21
	v_rndne_f32_e32 v23, v21
	v_fmac_f32_e32 v22, 0x32a5705f, v19
	v_sub_f32_e32 v21, v21, v23
	v_add_f32_e32 v21, v21, v22
	v_cmp_ngt_f32_e64 s[14:15], s40, v20
	v_exp_f32_e32 v21, v21
	v_cvt_i32_f32_e32 v22, v23
	v_cndmask_b32_e64 v17, 0, v17, s[14:15]
	v_cmp_nlt_f32_e64 s[14:15], s41, v20
	v_sub_f32_e32 v20, v35, v18
	s_nop 0
	v_cndmask_b32_e64 v17, v10, v17, s[14:15]
	v_cndmask_b32_e64 v17, 0, v17, s[12:13]
	s_waitcnt vmcnt(5)
	v_mul_f32_e32 v3, v3, v17
	v_ldexp_f32 v17, v21, v22
	v_mul_f32_e32 v21, 0x3fb8aa3b, v20
	v_fma_f32 v22, v20, s39, -v21
	v_rndne_f32_e32 v23, v21
	v_fmac_f32_e32 v22, 0x32a5705f, v20
	v_sub_f32_e32 v21, v21, v23
	v_add_f32_e32 v21, v21, v22
	v_cmp_ngt_f32_e64 s[12:13], s40, v19
	v_exp_f32_e32 v21, v21
	v_cvt_i32_f32_e32 v22, v23
	v_cndmask_b32_e64 v17, 0, v17, s[12:13]
	v_cmp_nlt_f32_e64 s[12:13], s41, v19
	v_sub_f32_e32 v19, v36, v18
	s_nop 0
	v_cndmask_b32_e64 v17, v10, v17, s[12:13]
	v_cndmask_b32_e64 v17, 0, v17, s[10:11]
	s_waitcnt vmcnt(4)
	v_mul_f32_e32 v4, v4, v17
	v_ldexp_f32 v17, v21, v22
	v_mul_f32_e32 v21, 0x3fb8aa3b, v19
	v_fma_f32 v22, v19, s39, -v21
	v_rndne_f32_e32 v23, v21
	v_fmac_f32_e32 v22, 0x32a5705f, v19
	v_sub_f32_e32 v21, v21, v23
	v_add_f32_e32 v21, v21, v22
	v_exp_f32_e32 v21, v21
	v_cvt_i32_f32_e32 v22, v23
	v_cmp_ngt_f32_e64 s[10:11], s40, v20
	s_nop 1
	v_cndmask_b32_e64 v17, 0, v17, s[10:11]
	v_cmp_nlt_f32_e64 s[10:11], s41, v20
	v_ldexp_f32 v20, v21, v22
	v_sub_f32_e32 v21, v37, v18
	v_mul_f32_e32 v22, 0x3fb8aa3b, v21
	v_fma_f32 v23, v21, s39, -v22
	v_rndne_f32_e32 v24, v22
	v_fmac_f32_e32 v23, 0x32a5705f, v21
	v_sub_f32_e32 v22, v22, v24
	v_add_f32_e32 v22, v22, v23
	v_exp_f32_e32 v22, v22
	v_cvt_i32_f32_e32 v23, v24
	v_cndmask_b32_e64 v17, v10, v17, s[10:11]
	v_cndmask_b32_e64 v17, 0, v17, s[8:9]
	v_cmp_ngt_f32_e64 s[8:9], s40, v19
	v_sub_f32_e32 v18, v38, v18
	s_nop 0
	v_cndmask_b32_e64 v20, 0, v20, s[8:9]
	v_cmp_nlt_f32_e64 s[8:9], s41, v19
	s_nop 1
	v_cndmask_b32_e64 v19, v10, v20, s[8:9]
	v_ldexp_f32 v20, v22, v23
	v_mul_f32_e32 v22, 0x3fb8aa3b, v18
	v_fma_f32 v23, v18, s39, -v22
	v_rndne_f32_e32 v24, v22
	v_fmac_f32_e32 v23, 0x32a5705f, v18
	v_sub_f32_e32 v22, v22, v24
	v_add_f32_e32 v22, v22, v23
	v_exp_f32_e32 v22, v22
	v_cvt_i32_f32_e32 v23, v24
	v_cndmask_b32_e64 v19, 0, v19, s[6:7]
	v_cmp_ngt_f32_e64 s[6:7], s40, v21
	s_nop 1
	v_cndmask_b32_e64 v20, 0, v20, s[6:7]
	v_cmp_nlt_f32_e64 s[6:7], s41, v21
	v_ldexp_f32 v21, v22, v23
	s_nop 0
	v_cndmask_b32_e64 v20, v10, v20, s[6:7]
	v_cndmask_b32_e64 v20, 0, v20, s[4:5]
	v_cmp_ngt_f32_e64 s[4:5], s40, v18
	s_nop 1
	v_cndmask_b32_e64 v21, 0, v21, s[4:5]
	v_cmp_nlt_f32_e64 s[4:5], s41, v18
	v_add_f32_e32 v18, v1, v9
	v_add_f32_e32 v18, v18, v11
	v_add_f32_e32 v18, v18, v12
	v_add_f32_e32 v18, v18, v13
	v_add_f32_e32 v18, v18, v14
	v_add_f32_e32 v18, v18, v15
	v_add_f32_e32 v18, v18, v16
	v_add_f32_e32 v18, v18, v2
	v_add_f32_e32 v18, v18, v3
	v_add_f32_e32 v18, v18, v4
	s_waitcnt vmcnt(3)
	v_fmac_f32_e32 v18, v5, v17
	v_cndmask_b32_e64 v10, v10, v21, s[4:5]
	s_waitcnt vmcnt(2)
	v_fmac_f32_e32 v18, v6, v19
	v_cndmask_b32_e32 v10, 0, v10, vcc
	s_waitcnt vmcnt(1)
	v_fmac_f32_e32 v18, v7, v20
	s_waitcnt vmcnt(0)
	v_fmac_f32_e32 v18, v8, v10
	ds_bpermute_b32 v21, v42, v18
	v_mul_f32_e32 v5, v5, v17
	v_mul_f32_e32 v8, v8, v10
	v_lshlrev_b32_e32 v10, 2, v0
	ds_write2st64_b32 v10, v1, v9 offset1:1
	s_waitcnt lgkmcnt(1)
	v_add_f32_e32 v18, v18, v21
	ds_bpermute_b32 v21, v43, v18
	ds_write2st64_b32 v10, v11, v12 offset0:2 offset1:3
	ds_write2st64_b32 v10, v13, v14 offset0:4 offset1:5
	ds_write2st64_b32 v10, v15, v16 offset0:6 offset1:7
	ds_write2st64_b32 v10, v2, v3 offset0:8 offset1:9
	v_cmp_eq_u32_e32 vcc, 0, v0
	v_mul_f32_e32 v6, v6, v19
	v_mul_f32_e32 v7, v7, v20
	s_waitcnt lgkmcnt(4)
	v_add_f32_e32 v18, v18, v21
	ds_bpermute_b32 v21, v44, v18
	ds_write2st64_b32 v10, v4, v5 offset0:10 offset1:11
	ds_write2st64_b32 v10, v6, v7 offset0:12 offset1:13
	ds_write_b32 v10, v8 offset:3584
	s_waitcnt lgkmcnt(3)
	v_add_f32_e32 v17, v18, v21
	ds_bpermute_b32 v18, v45, v17
	s_waitcnt lgkmcnt(0)
	v_add_f32_e32 v1, v17, v18
	ds_bpermute_b32 v9, v54, v1
	;; [unrolled: 3-line block ×3, first 2 shown]
	s_and_saveexec_b64 s[4:5], vcc
	s_cbranch_execz .LBB34_8
; %bb.7:
	s_waitcnt lgkmcnt(0)
	v_add_f32_e32 v1, v1, v2
	v_mov_b32_e32 v2, 0
	ds_write_b32 v2, v1 offset:3840
.LBB34_8:
	s_or_b64 exec, exec, s[4:5]
	v_mov_b32_e32 v1, s38
.LBB34_9:
	s_or_b64 exec, exec, s[52:53]
	s_lshl_b32 s4, s54, 6
	s_mov_b32 s5, 0
	s_lshl_b64 s[4:5], s[4:5], 1
	s_add_u32 s4, s36, s4
	s_addc_u32 s5, s37, s5
	s_lshl_b32 s10, s33, 6
	s_waitcnt lgkmcnt(0)
	v_lshlrev_b32_e32 v2, 6, v1
	v_mov_b32_e32 v1, 0
	s_sub_i32 s11, s10, 64
	v_mov_b32_e32 v3, v1
	s_cmp_lt_i32 s58, 1
	v_lshl_add_u64 v[2:3], v[2:3], 1, s[4:5]
	s_cselect_b32 s4, s11, 0
	v_lshlrev_b32_e32 v4, 1, v0
	v_mov_b32_e32 v5, v1
	s_ashr_i32 s5, s4, 31
	v_lshl_add_u64 v[2:3], v[2:3], 0, v[4:5]
	s_cmpk_lt_i32 s58, 0x101
	v_lshl_add_u64 v[12:13], s[4:5], 1, v[2:3]
	s_cselect_b32 s4, s11, 64
	s_ashr_i32 s5, s4, 31
	s_cmpk_lt_i32 s58, 0x201
	v_lshl_add_u64 v[14:15], s[4:5], 1, v[2:3]
	s_cselect_b32 s4, s11, 0x80
	s_ashr_i32 s5, s4, 31
	;; [unrolled: 4-line block ×8, first 2 shown]
	s_cmpk_lt_i32 s58, 0x901
	global_load_ushort v4, v[12:13], off
	global_load_ushort v5, v[14:15], off
	;; [unrolled: 1-line block ×8, first 2 shown]
	v_lshl_add_u64 v[20:21], s[4:5], 1, v[2:3]
	s_cselect_b32 s4, s11, 0x240
	s_ashr_i32 s5, s4, 31
	s_cmpk_lt_i32 s58, 0xa01
	v_lshl_add_u64 v[22:23], s[4:5], 1, v[2:3]
	s_cselect_b32 s4, s11, 0x280
	s_ashr_i32 s5, s4, 31
	s_cmpk_lt_i32 s58, 0xb01
	;; [unrolled: 4-line block ×6, first 2 shown]
	v_lshl_add_u64 v[32:33], s[4:5], 1, v[2:3]
	s_cselect_b32 s4, s11, 0x3c0
	s_ashr_i32 s5, s4, 31
	v_lshl_add_u64 v[34:35], s[4:5], 1, v[2:3]
	global_load_ushort v12, v[20:21], off
	global_load_ushort v13, v[22:23], off
	;; [unrolled: 1-line block ×8, first 2 shown]
	s_cmpk_gt_i32 s58, 0x1000
	s_cselect_b64 s[8:9], -1, 0
	s_cmpk_lt_i32 s58, 0x1001
	v_mov_b32_e32 v36, 0
	v_mov_b32_e32 v37, 0
	;; [unrolled: 1-line block ×48, first 2 shown]
	s_waitcnt lgkmcnt(0)
	; wave barrier
	s_cbranch_scc1 .LBB34_12
; %bb.10:
	s_cmpk_lt_u32 s58, 0x1101
	s_cselect_b32 s4, s11, 0x440
	s_ashr_i32 s5, s4, 31
	s_cmpk_lt_u32 s58, 0x1201
	v_lshl_add_u64 v[28:29], s[4:5], 1, v[2:3]
	s_cselect_b32 s4, s11, 0x480
	s_ashr_i32 s5, s4, 31
	s_cmpk_lt_u32 s58, 0x1301
	v_lshl_add_u64 v[30:31], s[4:5], 1, v[2:3]
	;; [unrolled: 4-line block ×7, first 2 shown]
	s_cselect_b32 s4, s11, 0x600
	s_ashr_i32 s5, s4, 31
	s_cmpk_lt_u32 s58, 0x1901
	global_load_ushort v27, v[2:3], off offset:2048
	global_load_ushort v26, v[28:29], off
	global_load_ushort v25, v[30:31], off
	;; [unrolled: 1-line block ×7, first 2 shown]
	v_lshl_add_u64 v[36:37], s[4:5], 1, v[2:3]
	s_cselect_b32 s4, s11, 0x640
	s_ashr_i32 s5, s4, 31
	s_cmpk_lt_u32 s58, 0x1a01
	v_lshl_add_u64 v[38:39], s[4:5], 1, v[2:3]
	s_cselect_b32 s4, s11, 0x680
	s_ashr_i32 s5, s4, 31
	s_cmpk_lt_u32 s58, 0x1b01
	;; [unrolled: 4-line block ×6, first 2 shown]
	v_lshl_add_u64 v[48:49], s[4:5], 1, v[2:3]
	s_cselect_b32 s4, s11, 0x7c0
	s_ashr_i32 s5, s4, 31
	v_lshl_add_u64 v[50:51], s[4:5], 1, v[2:3]
	global_load_ushort v35, v[36:37], off
	global_load_ushort v34, v[38:39], off
	;; [unrolled: 1-line block ×8, first 2 shown]
	s_cmpk_lt_u32 s58, 0x2001
	v_mov_b32_e32 v67, 0
	v_mov_b32_e32 v66, 0
	;; [unrolled: 1-line block ×32, first 2 shown]
	s_cbranch_scc1 .LBB34_12
; %bb.11:
	s_cmpk_lt_u32 s58, 0x2101
	s_cselect_b32 s4, s11, 0x840
	s_ashr_i32 s5, s4, 31
	s_cmpk_lt_u32 s58, 0x2201
	v_lshl_add_u64 v[38:39], s[4:5], 1, v[2:3]
	s_cselect_b32 s4, s11, 0x880
	s_ashr_i32 s5, s4, 31
	s_cmpk_lt_u32 s58, 0x2301
	v_lshl_add_u64 v[40:41], s[4:5], 1, v[2:3]
	;; [unrolled: 4-line block ×7, first 2 shown]
	s_cselect_b32 s4, s11, 0xa00
	v_add_co_u32_e32 v36, vcc, 0x1000, v2
	s_ashr_i32 s5, s4, 31
	s_nop 0
	v_addc_co_u32_e32 v37, vcc, 0, v3, vcc
	s_cmpk_lt_u32 s58, 0x2901
	global_load_ushort v52, v[36:37], off
	global_load_ushort v53, v[38:39], off
	;; [unrolled: 1-line block ×8, first 2 shown]
	v_lshl_add_u64 v[36:37], s[4:5], 1, v[2:3]
	s_cselect_b32 s4, s11, 0xa40
	s_ashr_i32 s5, s4, 31
	s_cmpk_lt_u32 s58, 0x2a01
	v_lshl_add_u64 v[38:39], s[4:5], 1, v[2:3]
	s_cselect_b32 s4, s11, 0xa80
	s_ashr_i32 s5, s4, 31
	s_cmpk_lt_u32 s58, 0x2b01
	;; [unrolled: 4-line block ×8, first 2 shown]
	global_load_ushort v68, v[36:37], off
	global_load_ushort v69, v[38:39], off
	;; [unrolled: 1-line block ×8, first 2 shown]
	v_lshl_add_u64 v[36:37], s[4:5], 1, v[2:3]
	s_cselect_b32 s4, s11, 0xc40
	s_ashr_i32 s5, s4, 31
	s_cmpk_lt_u32 s58, 0x3201
	v_lshl_add_u64 v[38:39], s[4:5], 1, v[2:3]
	s_cselect_b32 s4, s11, 0xc80
	s_ashr_i32 s5, s4, 31
	s_cmpk_lt_u32 s58, 0x3301
	;; [unrolled: 4-line block ×8, first 2 shown]
	global_load_ushort v76, v[36:37], off
	global_load_ushort v77, v[38:39], off
	global_load_ushort v78, v[40:41], off
	global_load_ushort v79, v[42:43], off
	global_load_ushort v80, v[44:45], off
	global_load_ushort v81, v[46:47], off
	global_load_ushort v82, v[48:49], off
	global_load_ushort v83, v[50:51], off
	v_lshl_add_u64 v[36:37], s[4:5], 1, v[2:3]
	s_cselect_b32 s4, s11, 0xe40
	s_ashr_i32 s5, s4, 31
	s_cmpk_lt_u32 s58, 0x3a01
	v_lshl_add_u64 v[38:39], s[4:5], 1, v[2:3]
	s_cselect_b32 s4, s11, 0xe80
	s_ashr_i32 s5, s4, 31
	s_cmpk_lt_u32 s58, 0x3b01
	;; [unrolled: 4-line block ×6, first 2 shown]
	v_lshl_add_u64 v[48:49], s[4:5], 1, v[2:3]
	s_cselect_b32 s4, s11, 0xfc0
	s_ashr_i32 s5, s4, 31
	v_lshl_add_u64 v[50:51], s[4:5], 1, v[2:3]
	global_load_ushort v84, v[36:37], off
	global_load_ushort v85, v[38:39], off
	;; [unrolled: 1-line block ×8, first 2 shown]
	s_waitcnt vmcnt(31)
	v_cvt_f32_f16_e32 v67, v52
	s_waitcnt vmcnt(30)
	v_cvt_f32_f16_e32 v66, v53
	;; [unrolled: 2-line block ×32, first 2 shown]
.LBB34_12:
	ds_read_b128 v[68:71], v1
	s_load_dwordx2 s[4:5], s[0:1], 0x0
	s_load_dwordx2 s[6:7], s[0:1], 0x38
	ds_read_b128 v[72:75], v1 offset:16
	ds_read_b128 v[76:79], v1 offset:32
	;; [unrolled: 1-line block ×3, first 2 shown]
	s_and_b64 vcc, exec, s[8:9]
	s_waitcnt vmcnt(15) lgkmcnt(0)
	v_fma_mix_f32 v4, v68, v4, 0 op_sel_hi:[0,1,0]
	s_waitcnt vmcnt(14)
	v_fma_mix_f32 v4, v69, v5, v4 op_sel_hi:[0,1,0]
	s_waitcnt vmcnt(13)
	;; [unrolled: 2-line block ×15, first 2 shown]
	v_fma_mix_f32 v4, v83, v19, v4 op_sel_hi:[0,1,0]
	s_cbranch_vccz .LBB34_15
; %bb.13:
	ds_read_b128 v[6:9], v1 offset:64
	ds_read_b128 v[10:13], v1 offset:80
	;; [unrolled: 1-line block ×4, first 2 shown]
	s_cmpk_lt_u32 s58, 0x2001
	s_waitcnt lgkmcnt(3)
	v_fma_mix_f32 v4, v6, v27, v4 op_sel_hi:[0,1,0]
	v_fma_mix_f32 v4, v7, v26, v4 op_sel_hi:[0,1,0]
	v_fma_mix_f32 v4, v8, v25, v4 op_sel_hi:[0,1,0]
	v_fma_mix_f32 v4, v9, v24, v4 op_sel_hi:[0,1,0]
	s_waitcnt lgkmcnt(2)
	v_fma_mix_f32 v4, v10, v23, v4 op_sel_hi:[0,1,0]
	v_fma_mix_f32 v4, v11, v22, v4 op_sel_hi:[0,1,0]
	v_fma_mix_f32 v4, v12, v21, v4 op_sel_hi:[0,1,0]
	v_fma_mix_f32 v4, v13, v20, v4 op_sel_hi:[0,1,0]
	;; [unrolled: 5-line block ×4, first 2 shown]
	s_cbranch_scc1 .LBB34_15
; %bb.14:
	v_mov_b32_e32 v5, 0
	ds_read_b128 v[6:9], v5 offset:128
	ds_read_b128 v[10:13], v5 offset:144
	;; [unrolled: 1-line block ×4, first 2 shown]
	s_waitcnt lgkmcnt(3)
	v_fmac_f32_e32 v4, v6, v67
	v_fmac_f32_e32 v4, v7, v66
	v_fmac_f32_e32 v4, v8, v65
	v_fmac_f32_e32 v4, v9, v64
	s_waitcnt lgkmcnt(2)
	v_fmac_f32_e32 v4, v10, v63
	v_fmac_f32_e32 v4, v11, v62
	v_fmac_f32_e32 v4, v12, v61
	v_fmac_f32_e32 v4, v13, v60
	;; [unrolled: 5-line block ×3, first 2 shown]
	ds_read_b128 v[6:9], v5 offset:192
	ds_read_b128 v[10:13], v5 offset:208
	s_waitcnt lgkmcnt(2)
	v_fmac_f32_e32 v4, v18, v55
	v_fmac_f32_e32 v4, v19, v54
	;; [unrolled: 1-line block ×4, first 2 shown]
	s_waitcnt lgkmcnt(1)
	v_fmac_f32_e32 v4, v6, v51
	v_fmac_f32_e32 v4, v7, v50
	;; [unrolled: 1-line block ×4, first 2 shown]
	ds_read_b128 v[6:9], v5 offset:224
	s_waitcnt lgkmcnt(1)
	v_fmac_f32_e32 v4, v10, v47
	v_fmac_f32_e32 v4, v11, v46
	;; [unrolled: 1-line block ×4, first 2 shown]
	ds_read_b128 v[10:13], v5 offset:240
	s_waitcnt lgkmcnt(1)
	v_fmac_f32_e32 v4, v6, v43
	v_fmac_f32_e32 v4, v7, v42
	;; [unrolled: 1-line block ×4, first 2 shown]
	s_waitcnt lgkmcnt(0)
	v_fmac_f32_e32 v4, v10, v39
	v_fmac_f32_e32 v4, v11, v38
	;; [unrolled: 1-line block ×4, first 2 shown]
.LBB34_15:
	s_movk_i32 s0, 0x1fc0
	s_movk_i32 s1, 0x100
	s_mov_b32 s8, 64
	s_branch .LBB34_17
.LBB34_16:                              ;   in Loop: Header=BB34_17 Depth=1
	s_addk_i32 s0, 0x1000
	s_addk_i32 s1, 0x100
	s_add_i32 s8, s8, 64
	s_cmpk_eq_u32 s0, 0xffc0
	s_cbranch_scc1 .LBB34_19
.LBB34_17:                              ; =>This Inner Loop Header: Depth=1
	s_cmp_le_i32 s33, s8
	s_cbranch_scc1 .LBB34_16
; %bb.18:                               ;   in Loop: Header=BB34_17 Depth=1
	s_add_i32 s9, s0, 0xfffff040
	s_cmp_lt_i32 s9, s10
	s_cselect_b32 s12, s9, s11
	s_ashr_i32 s13, s12, 31
	s_add_i32 s9, s0, 0xfffff080
	s_cmp_lt_i32 s9, s10
	v_lshl_add_u64 v[14:15], s[12:13], 1, v[2:3]
	s_cselect_b32 s12, s9, s11
	s_ashr_i32 s13, s12, 31
	s_add_i32 s9, s0, 0xfffff0c0
	s_cmp_lt_i32 s9, s10
	v_lshl_add_u64 v[16:17], s[12:13], 1, v[2:3]
	s_cselect_b32 s12, s9, s11
	s_ashr_i32 s13, s12, 31
	s_add_i32 s9, s0, 0xfffff100
	s_cmp_lt_i32 s9, s10
	v_lshl_add_u64 v[18:19], s[12:13], 1, v[2:3]
	s_cselect_b32 s12, s9, s11
	s_ashr_i32 s13, s12, 31
	s_add_i32 s9, s0, 0xfffff140
	s_cmp_lt_i32 s9, s10
	v_lshl_add_u64 v[20:21], s[12:13], 1, v[2:3]
	s_cselect_b32 s12, s9, s11
	s_ashr_i32 s13, s12, 31
	s_add_i32 s9, s0, 0xfffff180
	s_cmp_lt_i32 s9, s10
	v_lshl_add_u64 v[22:23], s[12:13], 1, v[2:3]
	s_cselect_b32 s12, s9, s11
	s_ashr_i32 s13, s12, 31
	s_add_i32 s9, s0, 0xfffff1c0
	s_cmp_lt_i32 s9, s10
	v_lshl_add_u64 v[24:25], s[12:13], 1, v[2:3]
	s_cselect_b32 s12, s9, s11
	s_ashr_i32 s13, s12, 31
	s_add_i32 s9, s0, 0xfffff200
	s_cmp_lt_i32 s9, s10
	v_lshl_add_u64 v[26:27], s[12:13], 1, v[2:3]
	s_cselect_b32 s12, s9, s11
	s_ashr_i32 s13, s12, 31
	s_add_i32 s9, s0, 0xfffff240
	s_cmp_lt_i32 s9, s10
	v_lshl_add_u64 v[28:29], s[12:13], 1, v[2:3]
	s_cselect_b32 s12, s9, s11
	s_ashr_i32 s13, s12, 31
	s_add_i32 s9, s0, 0xfffff280
	s_cmp_lt_i32 s9, s10
	global_load_ushort v5, v[14:15], off
	global_load_ushort v6, v[16:17], off
	global_load_ushort v7, v[18:19], off
	global_load_ushort v8, v[20:21], off
	global_load_ushort v9, v[22:23], off
	global_load_ushort v10, v[24:25], off
	global_load_ushort v11, v[26:27], off
	global_load_ushort v12, v[28:29], off
	v_lshl_add_u64 v[14:15], s[12:13], 1, v[2:3]
	s_cselect_b32 s12, s9, s11
	s_ashr_i32 s13, s12, 31
	s_add_i32 s9, s0, 0xfffff2c0
	s_cmp_lt_i32 s9, s10
	v_lshl_add_u64 v[16:17], s[12:13], 1, v[2:3]
	s_cselect_b32 s12, s9, s11
	s_ashr_i32 s13, s12, 31
	s_add_i32 s9, s0, 0xfffff300
	s_cmp_lt_i32 s9, s10
	v_lshl_add_u64 v[18:19], s[12:13], 1, v[2:3]
	s_cselect_b32 s12, s9, s11
	s_ashr_i32 s13, s12, 31
	s_add_i32 s9, s0, 0xfffff340
	s_cmp_lt_i32 s9, s10
	v_lshl_add_u64 v[20:21], s[12:13], 1, v[2:3]
	s_cselect_b32 s12, s9, s11
	s_ashr_i32 s13, s12, 31
	s_add_i32 s9, s0, 0xfffff380
	s_cmp_lt_i32 s9, s10
	v_lshl_add_u64 v[22:23], s[12:13], 1, v[2:3]
	s_cselect_b32 s12, s9, s11
	s_ashr_i32 s13, s12, 31
	s_add_i32 s9, s0, 0xfffff3c0
	s_cmp_lt_i32 s9, s10
	v_lshl_add_u64 v[24:25], s[12:13], 1, v[2:3]
	s_cselect_b32 s12, s9, s11
	s_ashr_i32 s13, s12, 31
	s_add_i32 s9, s0, 0xfffff400
	s_cmp_lt_i32 s9, s10
	v_lshl_add_u64 v[26:27], s[12:13], 1, v[2:3]
	s_cselect_b32 s12, s9, s11
	s_ashr_i32 s13, s12, 31
	s_add_i32 s9, s0, 0xfffff440
	s_cmp_lt_i32 s9, s10
	v_lshl_add_u64 v[28:29], s[12:13], 1, v[2:3]
	s_cselect_b32 s12, s9, s11
	s_ashr_i32 s13, s12, 31
	s_add_i32 s9, s0, 0xfffff480
	s_cmp_lt_i32 s9, s10
	global_load_ushort v13, v[14:15], off
	global_load_ushort v30, v[16:17], off
	global_load_ushort v31, v[18:19], off
	global_load_ushort v32, v[20:21], off
	global_load_ushort v33, v[22:23], off
	global_load_ushort v34, v[24:25], off
	global_load_ushort v35, v[26:27], off
	global_load_ushort v36, v[28:29], off
	v_lshl_add_u64 v[14:15], s[12:13], 1, v[2:3]
	s_cselect_b32 s12, s9, s11
	s_ashr_i32 s13, s12, 31
	s_add_i32 s9, s0, 0xfffff4c0
	s_cmp_lt_i32 s9, s10
	v_lshl_add_u64 v[16:17], s[12:13], 1, v[2:3]
	s_cselect_b32 s12, s9, s11
	s_ashr_i32 s13, s12, 31
	s_add_i32 s9, s0, 0xfffff500
	s_cmp_lt_i32 s9, s10
	v_lshl_add_u64 v[18:19], s[12:13], 1, v[2:3]
	s_cselect_b32 s12, s9, s11
	s_ashr_i32 s13, s12, 31
	s_add_i32 s9, s0, 0xfffff540
	s_cmp_lt_i32 s9, s10
	v_lshl_add_u64 v[20:21], s[12:13], 1, v[2:3]
	s_cselect_b32 s12, s9, s11
	s_ashr_i32 s13, s12, 31
	s_add_i32 s9, s0, 0xfffff580
	s_cmp_lt_i32 s9, s10
	v_lshl_add_u64 v[22:23], s[12:13], 1, v[2:3]
	s_cselect_b32 s12, s9, s11
	s_ashr_i32 s13, s12, 31
	s_add_i32 s9, s0, 0xfffff5c0
	s_cmp_lt_i32 s9, s10
	v_lshl_add_u64 v[24:25], s[12:13], 1, v[2:3]
	s_cselect_b32 s12, s9, s11
	s_ashr_i32 s13, s12, 31
	s_add_i32 s9, s0, 0xfffff600
	s_cmp_lt_i32 s9, s10
	v_lshl_add_u64 v[26:27], s[12:13], 1, v[2:3]
	s_cselect_b32 s12, s9, s11
	s_ashr_i32 s13, s12, 31
	s_add_i32 s9, s0, 0xfffff640
	s_cmp_lt_i32 s9, s10
	v_lshl_add_u64 v[28:29], s[12:13], 1, v[2:3]
	;; [unrolled: 48-line block ×6, first 2 shown]
	s_cselect_b32 s12, s9, s11
	s_ashr_i32 s13, s12, 31
	s_add_i32 s9, s0, 0xfffffe80
	s_cmp_lt_i32 s9, s10
	global_load_ushort v69, v[14:15], off
	global_load_ushort v70, v[16:17], off
	global_load_ushort v71, v[18:19], off
	global_load_ushort v72, v[20:21], off
	global_load_ushort v73, v[22:23], off
	global_load_ushort v74, v[24:25], off
	global_load_ushort v75, v[26:27], off
	global_load_ushort v76, v[28:29], off
	v_lshl_add_u64 v[14:15], s[12:13], 1, v[2:3]
	s_cselect_b32 s12, s9, s11
	s_ashr_i32 s13, s12, 31
	s_add_i32 s9, s0, 0xfffffec0
	s_cmp_lt_i32 s9, s10
	v_lshl_add_u64 v[16:17], s[12:13], 1, v[2:3]
	s_cselect_b32 s12, s9, s11
	s_ashr_i32 s13, s12, 31
	s_add_i32 s9, s0, 0xffffff00
	s_cmp_lt_i32 s9, s10
	;; [unrolled: 5-line block ×4, first 2 shown]
	v_lshl_add_u64 v[22:23], s[12:13], 1, v[2:3]
	s_cselect_b32 s12, s9, s11
	s_ashr_i32 s13, s12, 31
	s_sub_i32 s9, s0, 64
	s_cmp_lt_i32 s9, s10
	v_lshl_add_u64 v[24:25], s[12:13], 1, v[2:3]
	s_cselect_b32 s12, s9, s11
	s_ashr_i32 s13, s12, 31
	s_cmp_lt_i32 s0, s10
	v_lshl_add_u64 v[26:27], s[12:13], 1, v[2:3]
	s_cselect_b32 s12, s0, s11
	s_ashr_i32 s13, s12, 31
	v_lshl_add_u64 v[28:29], s[12:13], 1, v[2:3]
	global_load_ushort v77, v[14:15], off
	global_load_ushort v78, v[16:17], off
	;; [unrolled: 1-line block ×8, first 2 shown]
	v_mov_b32_e32 v85, s1
	ds_read_b128 v[14:17], v85
	ds_read_b128 v[18:21], v85 offset:16
	ds_read_b128 v[22:25], v85 offset:32
	;; [unrolled: 1-line block ×3, first 2 shown]
	s_waitcnt vmcnt(62) lgkmcnt(3)
	v_fma_mix_f32 v4, v14, v5, v4 op_sel_hi:[0,1,0]
	v_fma_mix_f32 v4, v15, v6, v4 op_sel_hi:[0,1,0]
	s_waitcnt vmcnt(61)
	v_fma_mix_f32 v4, v16, v7, v4 op_sel_hi:[0,1,0]
	s_waitcnt vmcnt(60)
	v_fma_mix_f32 v4, v17, v8, v4 op_sel_hi:[0,1,0]
	s_waitcnt vmcnt(59) lgkmcnt(2)
	v_fma_mix_f32 v4, v18, v9, v4 op_sel_hi:[0,1,0]
	s_waitcnt vmcnt(58)
	v_fma_mix_f32 v4, v19, v10, v4 op_sel_hi:[0,1,0]
	s_waitcnt vmcnt(57)
	;; [unrolled: 2-line block ×3, first 2 shown]
	v_fma_mix_f32 v4, v21, v12, v4 op_sel_hi:[0,1,0]
	s_waitcnt vmcnt(55) lgkmcnt(1)
	v_fma_mix_f32 v4, v22, v13, v4 op_sel_hi:[0,1,0]
	s_waitcnt vmcnt(54)
	v_fma_mix_f32 v4, v23, v30, v4 op_sel_hi:[0,1,0]
	s_waitcnt vmcnt(53)
	v_fma_mix_f32 v4, v24, v31, v4 op_sel_hi:[0,1,0]
	s_waitcnt vmcnt(52)
	v_fma_mix_f32 v4, v25, v32, v4 op_sel_hi:[0,1,0]
	s_waitcnt vmcnt(51) lgkmcnt(0)
	v_fma_mix_f32 v8, v26, v33, v4 op_sel_hi:[0,1,0]
	ds_read_b128 v[4:7], v85 offset:64
	s_waitcnt vmcnt(50)
	v_fma_mix_f32 v8, v27, v34, v8 op_sel_hi:[0,1,0]
	s_waitcnt vmcnt(49)
	v_fma_mix_f32 v8, v28, v35, v8 op_sel_hi:[0,1,0]
	s_waitcnt vmcnt(48)
	v_fma_mix_f32 v12, v29, v36, v8 op_sel_hi:[0,1,0]
	ds_read_b128 v[8:11], v85 offset:80
	s_waitcnt vmcnt(47) lgkmcnt(1)
	v_fma_mix_f32 v4, v4, v37, v12 op_sel_hi:[0,1,0]
	s_waitcnt vmcnt(46)
	v_fma_mix_f32 v4, v5, v38, v4 op_sel_hi:[0,1,0]
	s_waitcnt vmcnt(45)
	v_fma_mix_f32 v4, v6, v39, v4 op_sel_hi:[0,1,0]
	s_waitcnt vmcnt(44)
	v_fma_mix_f32 v4, v7, v40, v4 op_sel_hi:[0,1,0]
	s_waitcnt vmcnt(43) lgkmcnt(0)
	v_fma_mix_f32 v8, v8, v41, v4 op_sel_hi:[0,1,0]
	ds_read_b128 v[4:7], v85 offset:96
	s_waitcnt vmcnt(42)
	v_fma_mix_f32 v8, v9, v42, v8 op_sel_hi:[0,1,0]
	s_waitcnt vmcnt(41)
	v_fma_mix_f32 v8, v10, v43, v8 op_sel_hi:[0,1,0]
	s_waitcnt vmcnt(40)
	v_fma_mix_f32 v12, v11, v44, v8 op_sel_hi:[0,1,0]
	ds_read_b128 v[8:11], v85 offset:112
	;; [unrolled: 18-line block ×6, first 2 shown]
	s_waitcnt vmcnt(7) lgkmcnt(1)
	v_fma_mix_f32 v4, v4, v77, v12 op_sel_hi:[0,1,0]
	s_waitcnt vmcnt(6)
	v_fma_mix_f32 v4, v5, v78, v4 op_sel_hi:[0,1,0]
	s_waitcnt vmcnt(5)
	v_fma_mix_f32 v4, v6, v79, v4 op_sel_hi:[0,1,0]
	s_waitcnt vmcnt(4)
	v_fma_mix_f32 v4, v7, v80, v4 op_sel_hi:[0,1,0]
	s_waitcnt vmcnt(3) lgkmcnt(0)
	v_fma_mix_f32 v4, v8, v81, v4 op_sel_hi:[0,1,0]
	s_waitcnt vmcnt(2)
	v_fma_mix_f32 v4, v9, v82, v4 op_sel_hi:[0,1,0]
	s_waitcnt vmcnt(1)
	;; [unrolled: 2-line block ×3, first 2 shown]
	v_fma_mix_f32 v4, v11, v84, v4 op_sel_hi:[0,1,0]
	s_branch .LBB34_16
.LBB34_19:
	v_mov_b32_e32 v2, 0
	ds_read_b32 v2, v2 offset:3840
	s_cmp_lg_u64 s[6:7], 0
	s_cbranch_scc0 .LBB34_24
; %bb.20:
	s_load_dword s6, s[6:7], 0x0
	s_waitcnt lgkmcnt(0)
	v_div_scale_f32 v3, s[0:1], s6, s6, 1.0
	v_rcp_f32_e32 v5, v3
	v_div_scale_f32 v6, vcc, 1.0, s6, 1.0
	v_fma_f32 v7, -v3, v5, 1.0
	v_fmac_f32_e32 v5, v7, v5
	v_mul_f32_e32 v7, v6, v5
	v_fma_f32 v8, -v3, v7, v6
	v_fmac_f32_e32 v7, v8, v5
	v_fma_f32 v3, -v3, v7, v6
	v_div_fmas_f32 v3, v3, v5, v7
	v_div_fixup_f32 v3, v3, s6, 1.0
	s_andn2_b64 vcc, exec, s[48:49]
	s_cbranch_vccnz .LBB34_22
.LBB34_21:
	s_add_u32 s0, s46, s50
	s_addc_u32 s1, s47, s51
	s_load_dword s44, s[0:1], 0x0
	s_mov_b32 s45, 0
.LBB34_22:
	s_waitcnt lgkmcnt(0)
	v_add_f32_e32 v2, 0x358637bd, v2
	v_div_scale_f32 v5, s[0:1], v2, v2, 1.0
	v_rcp_f32_e32 v6, v5
	v_div_scale_f32 v7, vcc, 1.0, v2, 1.0
	s_mul_i32 s0, s3, s45
	v_fma_f32 v8, -v5, v6, 1.0
	v_fmac_f32_e32 v6, v8, v6
	v_mul_f32_e32 v8, v7, v6
	v_fma_f32 v9, -v5, v8, v7
	v_fmac_f32_e32 v8, v9, v6
	v_fma_f32 v5, -v5, v8, v7
	s_mul_hi_u32 s1, s3, s44
	v_div_fmas_f32 v5, v5, v6, v8
	s_add_i32 s1, s1, s0
	s_mul_i32 s0, s3, s44
	v_div_fixup_f32 v2, v5, v2, 1.0
	s_lshl_b64 s[0:1], s[0:1], 6
	v_mul_f32_e32 v2, v4, v2
	s_add_u32 s4, s4, s0
	s_mov_b32 s3, 0
	v_mul_f32_e32 v2, v2, v3
	s_addc_u32 s5, s5, s1
	s_lshl_b64 s[0:1], s[2:3], 6
	s_mov_b32 s2, 0x7f800000
	s_mov_b32 s3, 0x43700000
	v_mov_b32_e32 v3, 0xc3700000
	v_med3_f32 v3, v2, s3, v3
	v_cmp_nlg_f32_e64 vcc, |v2|, s2
	s_add_u32 s0, s4, s0
	s_addc_u32 s1, s5, s1
	v_cndmask_b32_e32 v2, v3, v2, vcc
	v_mov_b32_e32 v3, 0
	v_cvt_pk_fp8_f32 v3, v2, v2
	v_lshl_add_u64 v[0:1], s[0:1], 0, v[0:1]
	global_store_byte v[0:1], v3, off
	s_endpgm
.LBB34_23:
	s_mov_b64 s[6:7], 0
	s_branch .LBB34_2
.LBB34_24:
	v_mov_b32_e32 v3, 1.0
	s_andn2_b64 vcc, exec, s[48:49]
	s_cbranch_vccz .LBB34_21
	s_branch .LBB34_22
	.section	.rodata,"a",@progbits
	.p2align	6, 0x0
	.amdhsa_kernel _Z35paged_attention_ll4mi_reduce_kernelIDF16_hLi64ELi64ELi256ELi15EEvPT0_PKfS3_PKT_PKiS8_iS3_
		.amdhsa_group_segment_fixed_size 3844
		.amdhsa_private_segment_fixed_size 0
		.amdhsa_kernarg_size 320
		.amdhsa_user_sgpr_count 2
		.amdhsa_user_sgpr_dispatch_ptr 0
		.amdhsa_user_sgpr_queue_ptr 0
		.amdhsa_user_sgpr_kernarg_segment_ptr 1
		.amdhsa_user_sgpr_dispatch_id 0
		.amdhsa_user_sgpr_kernarg_preload_length 0
		.amdhsa_user_sgpr_kernarg_preload_offset 0
		.amdhsa_user_sgpr_private_segment_size 0
		.amdhsa_uses_dynamic_stack 0
		.amdhsa_enable_private_segment 0
		.amdhsa_system_sgpr_workgroup_id_x 1
		.amdhsa_system_sgpr_workgroup_id_y 1
		.amdhsa_system_sgpr_workgroup_id_z 0
		.amdhsa_system_sgpr_workgroup_info 0
		.amdhsa_system_vgpr_workitem_id 0
		.amdhsa_next_free_vgpr 92
		.amdhsa_next_free_sgpr 59
		.amdhsa_accum_offset 92
		.amdhsa_reserve_vcc 1
		.amdhsa_float_round_mode_32 0
		.amdhsa_float_round_mode_16_64 0
		.amdhsa_float_denorm_mode_32 3
		.amdhsa_float_denorm_mode_16_64 3
		.amdhsa_dx10_clamp 1
		.amdhsa_ieee_mode 1
		.amdhsa_fp16_overflow 0
		.amdhsa_tg_split 0
		.amdhsa_exception_fp_ieee_invalid_op 0
		.amdhsa_exception_fp_denorm_src 0
		.amdhsa_exception_fp_ieee_div_zero 0
		.amdhsa_exception_fp_ieee_overflow 0
		.amdhsa_exception_fp_ieee_underflow 0
		.amdhsa_exception_fp_ieee_inexact 0
		.amdhsa_exception_int_div_zero 0
	.end_amdhsa_kernel
	.section	.text._Z35paged_attention_ll4mi_reduce_kernelIDF16_hLi64ELi64ELi256ELi15EEvPT0_PKfS3_PKT_PKiS8_iS3_,"axG",@progbits,_Z35paged_attention_ll4mi_reduce_kernelIDF16_hLi64ELi64ELi256ELi15EEvPT0_PKfS3_PKT_PKiS8_iS3_,comdat
.Lfunc_end34:
	.size	_Z35paged_attention_ll4mi_reduce_kernelIDF16_hLi64ELi64ELi256ELi15EEvPT0_PKfS3_PKT_PKiS8_iS3_, .Lfunc_end34-_Z35paged_attention_ll4mi_reduce_kernelIDF16_hLi64ELi64ELi256ELi15EEvPT0_PKfS3_PKT_PKiS8_iS3_
                                        ; -- End function
	.section	.AMDGPU.csdata,"",@progbits
; Kernel info:
; codeLenInByte = 10568
; NumSgprs: 65
; NumVgprs: 92
; NumAgprs: 0
; TotalNumVgprs: 92
; ScratchSize: 0
; MemoryBound: 0
; FloatMode: 240
; IeeeMode: 1
; LDSByteSize: 3844 bytes/workgroup (compile time only)
; SGPRBlocks: 8
; VGPRBlocks: 11
; NumSGPRsForWavesPerEU: 65
; NumVGPRsForWavesPerEU: 92
; AccumOffset: 92
; Occupancy: 5
; WaveLimiterHint : 1
; COMPUTE_PGM_RSRC2:SCRATCH_EN: 0
; COMPUTE_PGM_RSRC2:USER_SGPR: 2
; COMPUTE_PGM_RSRC2:TRAP_HANDLER: 0
; COMPUTE_PGM_RSRC2:TGID_X_EN: 1
; COMPUTE_PGM_RSRC2:TGID_Y_EN: 1
; COMPUTE_PGM_RSRC2:TGID_Z_EN: 0
; COMPUTE_PGM_RSRC2:TIDIG_COMP_CNT: 0
; COMPUTE_PGM_RSRC3_GFX90A:ACCUM_OFFSET: 22
; COMPUTE_PGM_RSRC3_GFX90A:TG_SPLIT: 0
	.section	.text._Z35paged_attention_ll4mi_reduce_kernelIDF16_hLi64ELi64ELi256ELi16EEvPT0_PKfS3_PKT_PKiS8_iS3_,"axG",@progbits,_Z35paged_attention_ll4mi_reduce_kernelIDF16_hLi64ELi64ELi256ELi16EEvPT0_PKfS3_PKT_PKiS8_iS3_,comdat
	.protected	_Z35paged_attention_ll4mi_reduce_kernelIDF16_hLi64ELi64ELi256ELi16EEvPT0_PKfS3_PKT_PKiS8_iS3_ ; -- Begin function _Z35paged_attention_ll4mi_reduce_kernelIDF16_hLi64ELi64ELi256ELi16EEvPT0_PKfS3_PKT_PKiS8_iS3_
	.globl	_Z35paged_attention_ll4mi_reduce_kernelIDF16_hLi64ELi64ELi256ELi16EEvPT0_PKfS3_PKT_PKiS8_iS3_
	.p2align	8
	.type	_Z35paged_attention_ll4mi_reduce_kernelIDF16_hLi64ELi64ELi256ELi16EEvPT0_PKfS3_PKT_PKiS8_iS3_,@function
_Z35paged_attention_ll4mi_reduce_kernelIDF16_hLi64ELi64ELi256ELi16EEvPT0_PKfS3_PKT_PKiS8_iS3_: ; @_Z35paged_attention_ll4mi_reduce_kernelIDF16_hLi64ELi64ELi256ELi16EEvPT0_PKfS3_PKT_PKiS8_iS3_
; %bb.0:
	s_load_dwordx2 s[48:49], s[0:1], 0x28
	s_mov_b32 s38, s3
	s_mov_b64 s[4:5], 0
	s_waitcnt lgkmcnt(0)
	s_cmp_lg_u64 s[48:49], 0
	s_cselect_b64 s[50:51], -1, 0
	s_and_b64 vcc, exec, s[50:51]
	s_cbranch_vccz .LBB35_23
; %bb.1:
	s_add_i32 s6, s38, 1
	s_mov_b32 s7, 0
	s_lshl_b64 s[8:9], s[6:7], 2
	s_add_u32 s8, s48, s8
	s_mov_b32 s39, s7
	s_addc_u32 s9, s49, s9
	s_lshl_b64 s[6:7], s[38:39], 2
	s_add_u32 s6, s48, s6
	s_addc_u32 s7, s49, s7
	s_load_dword s3, s[8:9], 0x0
	s_load_dword s10, s[6:7], 0x0
	s_waitcnt lgkmcnt(0)
	s_sub_i32 s3, s3, s10
	s_cmp_eq_u32 s3, 1
	s_cselect_b64 s[6:7], -1, 0
	s_andn2_b64 vcc, exec, s[4:5]
	s_cbranch_vccnz .LBB35_3
.LBB35_2:
	s_mov_b32 s39, 0
	s_mov_b64 s[6:7], -1
.LBB35_3:
	s_andn2_b64 vcc, exec, s[6:7]
	s_cbranch_vccz .LBB35_5
; %bb.4:
	s_endpgm
.LBB35_5:
	s_load_dwordx4 s[40:43], s[0:1], 0x18
	s_load_dword s8, s[0:1], 0x30
	s_lshl_b64 s[52:53], s[38:39], 2
	v_cmp_lt_u32_e32 vcc, 63, v0
	s_waitcnt lgkmcnt(0)
	s_add_u32 s4, s42, s52
	s_addc_u32 s5, s43, s53
	s_load_dword s60, s[4:5], 0x0
	s_load_dword s3, s[0:1], 0x40
	s_mul_i32 s42, s2, s8
	s_mul_i32 s6, s38, s8
	s_waitcnt lgkmcnt(0)
	s_add_i32 s7, s60, 0xff
	s_ashr_i32 s4, s7, 31
	s_lshr_b32 s4, s4, 24
	s_add_i32 s7, s7, s4
	s_and_saveexec_b64 s[4:5], vcc
	s_xor_b64 s[4:5], exec, s[4:5]
	s_or_saveexec_b64 s[54:55], s[4:5]
	s_ashr_i32 s33, s7, 8
	v_mov_b32_e32 v1, s42
	s_mul_i32 s56, s6, s3
	s_xor_b64 exec, exec, s[54:55]
	s_cbranch_execz .LBB35_9
; %bb.6:
	s_add_i32 s4, s33, -1
	v_or_b32_e32 v3, 64, v0
	v_mov_b32_e32 v1, s4
	v_cmp_gt_u32_e64 s[30:31], s33, v3
	s_load_dwordx4 s[44:47], s[0:1], 0x8
	s_mov_b32 s57, 0
	v_cndmask_b32_e64 v4, v1, v3, s[30:31]
	v_or_b32_e32 v3, 0x80, v0
	v_cmp_gt_u32_e64 s[28:29], s33, v3
	s_lshl_b64 s[58:59], s[56:57], 2
	s_mov_b32 s43, s57
	v_cndmask_b32_e64 v6, v1, v3, s[28:29]
	v_or_b32_e32 v3, 0xc0, v0
	v_cmp_gt_u32_e64 s[26:27], s33, v3
	v_cmp_gt_u32_e64 s[34:35], s33, v0
	s_waitcnt lgkmcnt(0)
	s_add_u32 s36, s46, s58
	v_cndmask_b32_e64 v8, v1, v3, s[26:27]
	v_or_b32_e32 v3, 0x100, v0
	v_cmp_gt_u32_e64 s[24:25], s33, v3
	v_cndmask_b32_e64 v2, v1, v0, s[34:35]
	s_addc_u32 s37, s47, s59
	v_cndmask_b32_e64 v10, v1, v3, s[24:25]
	v_or_b32_e32 v3, 0x140, v0
	v_cmp_gt_u32_e64 s[22:23], s33, v3
	s_lshl_b64 s[46:47], s[42:43], 2
	s_add_u32 s36, s36, s46
	v_cndmask_b32_e64 v12, v1, v3, s[22:23]
	v_or_b32_e32 v3, 0x180, v0
	v_cmp_gt_u32_e64 s[20:21], s33, v3
	s_addc_u32 s37, s37, s47
	v_ashrrev_i32_e32 v5, 31, v4
	v_cndmask_b32_e64 v14, v1, v3, s[20:21]
	v_or_b32_e32 v3, 0x1c0, v0
	v_cmp_gt_u32_e64 s[16:17], s33, v3
	v_ashrrev_i32_e32 v7, 31, v6
	v_ashrrev_i32_e32 v9, 31, v8
	v_cndmask_b32_e64 v16, v1, v3, s[16:17]
	v_or_b32_e32 v3, 0x200, v0
	v_cmp_gt_u32_e64 s[12:13], s33, v3
	v_ashrrev_i32_e32 v11, 31, v10
	;; [unrolled: 5-line block ×3, first 2 shown]
	v_ashrrev_i32_e32 v17, 31, v16
	v_cndmask_b32_e64 v20, v1, v3, s[8:9]
	v_or_b32_e32 v3, 0x280, v0
	v_cmp_gt_u32_e64 s[6:7], s33, v3
	v_lshlrev_b64 v[4:5], 2, v[4:5]
	v_lshlrev_b64 v[6:7], 2, v[6:7]
	v_cndmask_b32_e64 v22, v1, v3, s[6:7]
	v_or_b32_e32 v3, 0x2c0, v0
	v_cmp_gt_u32_e64 s[18:19], s33, v3
	v_lshlrev_b64 v[8:9], 2, v[8:9]
	v_lshlrev_b64 v[10:11], 2, v[10:11]
	;; [unrolled: 5-line block ×3, first 2 shown]
	v_cndmask_b32_e64 v26, v1, v3, s[14:15]
	v_or_b32_e32 v3, 0x340, v0
	v_cmp_gt_u32_e64 s[10:11], s33, v3
	v_lshlrev_b64 v[16:17], 2, v[16:17]
	v_lshl_add_u64 v[36:37], s[36:37], 0, v[4:5]
	v_cndmask_b32_e64 v28, v1, v3, s[10:11]
	v_or_b32_e32 v3, 0x380, v0
	v_cmp_gt_u32_e64 s[4:5], s33, v3
	v_lshl_add_u64 v[38:39], s[36:37], 0, v[6:7]
	v_lshl_add_u64 v[40:41], s[36:37], 0, v[8:9]
	v_cndmask_b32_e64 v30, v1, v3, s[4:5]
	v_or_b32_e32 v3, 0x3c0, v0
	v_cmp_gt_u32_e32 vcc, s33, v3
	v_lshl_add_u64 v[42:43], s[36:37], 0, v[10:11]
	v_lshl_add_u64 v[44:45], s[36:37], 0, v[12:13]
	v_cndmask_b32_e32 v32, v1, v3, vcc
	v_ashrrev_i32_e32 v3, 31, v2
	v_lshlrev_b64 v[2:3], 2, v[2:3]
	v_lshl_add_u64 v[34:35], s[36:37], 0, v[2:3]
	v_lshl_add_u64 v[46:47], s[36:37], 0, v[14:15]
	;; [unrolled: 1-line block ×3, first 2 shown]
	global_load_dword v1, v[34:35], off
	global_load_dword v50, v[36:37], off
	;; [unrolled: 1-line block ×8, first 2 shown]
	v_ashrrev_i32_e32 v19, 31, v18
	v_ashrrev_i32_e32 v21, 31, v20
	;; [unrolled: 1-line block ×4, first 2 shown]
	v_lshlrev_b64 v[18:19], 2, v[18:19]
	v_lshlrev_b64 v[20:21], 2, v[20:21]
	;; [unrolled: 1-line block ×4, first 2 shown]
	v_ashrrev_i32_e32 v27, 31, v26
	v_ashrrev_i32_e32 v29, 31, v28
	;; [unrolled: 1-line block ×4, first 2 shown]
	v_lshl_add_u64 v[34:35], s[36:37], 0, v[18:19]
	v_lshl_add_u64 v[36:37], s[36:37], 0, v[20:21]
	;; [unrolled: 1-line block ×4, first 2 shown]
	v_lshlrev_b64 v[26:27], 2, v[26:27]
	v_lshlrev_b64 v[28:29], 2, v[28:29]
	;; [unrolled: 1-line block ×4, first 2 shown]
	v_lshl_add_u64 v[42:43], s[36:37], 0, v[26:27]
	v_lshl_add_u64 v[44:45], s[36:37], 0, v[28:29]
	;; [unrolled: 1-line block ×4, first 2 shown]
	global_load_dword v34, v[34:35], off
	s_nop 0
	global_load_dword v35, v[36:37], off
	s_nop 0
	global_load_dword v36, v[38:39], off
	global_load_dword v37, v[40:41], off
	s_nop 0
	global_load_dword v38, v[42:43], off
	global_load_dword v39, v[44:45], off
	;; [unrolled: 1-line block ×4, first 2 shown]
	s_mov_b32 s43, 0x3fb8aa3b
	s_waitcnt vmcnt(15)
	v_max_f32_e32 v43, v1, v1
	s_waitcnt vmcnt(14)
	v_max_f32_e32 v42, v50, v50
	v_max_f32_e32 v42, v43, v42
	s_waitcnt vmcnt(12)
	v_max3_f32 v42, v42, v51, v52
	v_mbcnt_lo_u32_b32 v43, -1, 0
	s_waitcnt vmcnt(10)
	v_max3_f32 v42, v42, v53, v54
	v_mbcnt_hi_u32_b32 v43, -1, v43
	s_waitcnt vmcnt(8)
	v_max3_f32 v42, v42, v55, v56
	v_and_b32_e32 v44, 64, v43
	v_add_u32_e32 v44, 64, v44
	v_xor_b32_e32 v45, 32, v43
	v_cmp_lt_i32_e64 s[36:37], v45, v44
	s_waitcnt vmcnt(6)
	v_max3_f32 v42, v42, v34, v35
	v_cndmask_b32_e64 v45, v43, v45, s[36:37]
	s_waitcnt vmcnt(4)
	v_max3_f32 v42, v42, v36, v37
	v_lshlrev_b32_e32 v45, 2, v45
	s_waitcnt vmcnt(2)
	v_max3_f32 v42, v42, v38, v39
	s_waitcnt vmcnt(0)
	v_max3_f32 v42, v42, v40, v41
	ds_bpermute_b32 v46, v45, v42
	s_waitcnt lgkmcnt(0)
	v_max_f32_e32 v46, v46, v46
	v_max_f32_e32 v42, v42, v46
	v_xor_b32_e32 v46, 16, v43
	v_cmp_lt_i32_e64 s[36:37], v46, v44
	s_nop 1
	v_cndmask_b32_e64 v46, v43, v46, s[36:37]
	v_lshlrev_b32_e32 v46, 2, v46
	ds_bpermute_b32 v47, v46, v42
	s_waitcnt lgkmcnt(0)
	v_max_f32_e32 v47, v47, v47
	v_max_f32_e32 v42, v42, v47
	v_xor_b32_e32 v47, 8, v43
	v_cmp_lt_i32_e64 s[36:37], v47, v44
	s_nop 1
	v_cndmask_b32_e64 v47, v43, v47, s[36:37]
	v_lshlrev_b32_e32 v47, 2, v47
	ds_bpermute_b32 v48, v47, v42
	s_waitcnt lgkmcnt(0)
	v_max_f32_e32 v48, v48, v48
	v_max_f32_e32 v42, v42, v48
	v_xor_b32_e32 v48, 4, v43
	v_cmp_lt_i32_e64 s[36:37], v48, v44
	s_nop 1
	v_cndmask_b32_e64 v48, v43, v48, s[36:37]
	s_add_u32 s36, s44, s58
	v_lshlrev_b32_e32 v48, 2, v48
	s_addc_u32 s37, s45, s59
	ds_bpermute_b32 v49, v48, v42
	s_add_u32 s44, s36, s46
	s_addc_u32 s45, s37, s47
	v_lshl_add_u64 v[2:3], s[44:45], 0, v[2:3]
	global_load_dword v57, v[2:3], off
	v_xor_b32_e32 v3, 2, v43
	v_cmp_lt_i32_e64 s[36:37], v3, v44
	s_waitcnt lgkmcnt(0)
	v_max_f32_e32 v2, v49, v49
	v_max_f32_e32 v2, v42, v2
	v_cndmask_b32_e64 v3, v43, v3, s[36:37]
	v_lshlrev_b32_e32 v42, 2, v3
	ds_bpermute_b32 v3, v42, v2
	s_waitcnt lgkmcnt(0)
	v_max_f32_e32 v3, v3, v3
	v_max_f32_e32 v49, v2, v3
	v_lshl_add_u64 v[2:3], s[44:45], 0, v[4:5]
	global_load_dword v58, v[2:3], off
	v_xor_b32_e32 v2, 1, v43
	v_cmp_lt_i32_e64 s[36:37], v2, v44
	v_lshl_add_u64 v[4:5], s[44:45], 0, v[8:9]
	v_lshl_add_u64 v[8:9], s[44:45], 0, v[12:13]
	v_cndmask_b32_e64 v2, v43, v2, s[36:37]
	v_lshlrev_b32_e32 v43, 2, v2
	v_lshl_add_u64 v[2:3], s[44:45], 0, v[6:7]
	v_lshl_add_u64 v[6:7], s[44:45], 0, v[10:11]
	;; [unrolled: 1-line block ×4, first 2 shown]
	global_load_dword v59, v[2:3], off
	global_load_dword v60, v[4:5], off
	;; [unrolled: 1-line block ×4, first 2 shown]
	s_nop 0
	global_load_dword v10, v[10:11], off
	s_nop 0
	global_load_dword v63, v[12:13], off
	ds_bpermute_b32 v44, v43, v49
	v_lshl_add_u64 v[4:5], s[44:45], 0, v[20:21]
	v_lshl_add_u64 v[6:7], s[44:45], 0, v[22:23]
	;; [unrolled: 1-line block ×4, first 2 shown]
	s_waitcnt lgkmcnt(0)
	v_max_f32_e32 v11, v44, v44
	v_max_f32_e32 v20, v49, v11
	v_sub_f32_e32 v1, v1, v20
	v_mul_f32_e32 v11, 0x3fb8aa3b, v1
	v_fma_f32 v21, v1, s43, -v11
	v_rndne_f32_e32 v22, v11
	v_fmac_f32_e32 v21, 0x32a5705f, v1
	v_sub_f32_e32 v11, v11, v22
	v_lshl_add_u64 v[14:15], s[44:45], 0, v[28:29]
	v_add_f32_e32 v11, v11, v21
	v_lshl_add_u64 v[8:9], s[44:45], 0, v[24:25]
	v_lshl_add_u64 v[16:17], s[44:45], 0, v[30:31]
	;; [unrolled: 1-line block ×3, first 2 shown]
	v_exp_f32_e32 v21, v11
	global_load_dword v2, v[2:3], off
	s_nop 0
	global_load_dword v3, v[4:5], off
	s_nop 0
	global_load_dword v4, v[6:7], off
	global_load_dword v11, v[8:9], off
	s_nop 0
	global_load_dword v12, v[12:13], off
	s_nop 0
	;; [unrolled: 2-line block ×3, first 2 shown]
	global_load_dword v14, v[16:17], off
	global_load_dword v15, v[18:19], off
	v_sub_f32_e32 v6, v50, v20
	v_mul_f32_e32 v7, 0x3fb8aa3b, v6
	v_fma_f32 v8, v6, s43, -v7
	v_rndne_f32_e32 v9, v7
	v_cvt_i32_f32_e32 v22, v22
	v_fmac_f32_e32 v8, 0x32a5705f, v6
	v_sub_f32_e32 v7, v7, v9
	v_add_f32_e32 v7, v7, v8
	v_exp_f32_e32 v7, v7
	v_cvt_i32_f32_e32 v8, v9
	s_mov_b32 s44, 0xc2ce8ed0
	v_ldexp_f32 v5, v21, v22
	v_cmp_ngt_f32_e64 s[36:37], s44, v1
	s_mov_b32 s45, 0x42b17218
	v_mov_b32_e32 v16, 0x7f800000
	v_cndmask_b32_e64 v5, 0, v5, s[36:37]
	v_cmp_nlt_f32_e64 s[36:37], s45, v1
	v_sub_f32_e32 v23, v37, v20
	v_mul_f32_e32 v24, 0x3fb8aa3b, v23
	v_cndmask_b32_e64 v1, v16, v5, s[36:37]
	v_ldexp_f32 v5, v7, v8
	v_sub_f32_e32 v7, v51, v20
	v_mul_f32_e32 v8, 0x3fb8aa3b, v7
	v_fma_f32 v9, v7, s43, -v8
	v_rndne_f32_e32 v17, v8
	v_fmac_f32_e32 v9, 0x32a5705f, v7
	v_sub_f32_e32 v8, v8, v17
	v_add_f32_e32 v8, v8, v9
	v_exp_f32_e32 v8, v8
	v_cvt_i32_f32_e32 v9, v17
	v_cndmask_b32_e64 v1, 0, v1, s[34:35]
	v_cmp_ngt_f32_e64 s[34:35], s44, v6
	v_fma_f32 v25, v23, s43, -v24
	v_rndne_f32_e32 v26, v24
	v_cndmask_b32_e64 v5, 0, v5, s[34:35]
	v_cmp_nlt_f32_e64 s[34:35], s45, v6
	v_ldexp_f32 v6, v8, v9
	v_sub_f32_e32 v8, v52, v20
	v_mul_f32_e32 v9, 0x3fb8aa3b, v8
	v_fma_f32 v17, v8, s43, -v9
	v_rndne_f32_e32 v18, v9
	v_fmac_f32_e32 v17, 0x32a5705f, v8
	v_sub_f32_e32 v9, v9, v18
	v_cndmask_b32_e64 v5, v16, v5, s[34:35]
	v_add_f32_e32 v9, v9, v17
	v_cndmask_b32_e64 v5, 0, v5, s[30:31]
	v_cmp_ngt_f32_e64 s[30:31], s44, v7
	v_exp_f32_e32 v9, v9
	v_cvt_i32_f32_e32 v17, v18
	v_cndmask_b32_e64 v6, 0, v6, s[30:31]
	v_cmp_nlt_f32_e64 s[30:31], s45, v7
	v_sub_f32_e32 v7, v53, v20
	v_fmac_f32_e32 v25, 0x32a5705f, v23
	v_cndmask_b32_e64 v6, v16, v6, s[30:31]
	v_cndmask_b32_e64 v6, 0, v6, s[28:29]
	s_waitcnt vmcnt(13)
	v_mul_f32_e32 v18, v59, v6
	v_ldexp_f32 v6, v9, v17
	v_mul_f32_e32 v9, 0x3fb8aa3b, v7
	v_fma_f32 v17, v7, s43, -v9
	v_rndne_f32_e32 v19, v9
	v_fmac_f32_e32 v17, 0x32a5705f, v7
	v_sub_f32_e32 v9, v9, v19
	v_add_f32_e32 v9, v9, v17
	v_cmp_ngt_f32_e64 s[28:29], s44, v8
	v_exp_f32_e32 v9, v9
	v_cvt_i32_f32_e32 v17, v19
	v_cndmask_b32_e64 v6, 0, v6, s[28:29]
	v_cmp_nlt_f32_e64 s[28:29], s45, v8
	v_sub_f32_e32 v8, v54, v20
	v_sub_f32_e32 v24, v24, v26
	v_cndmask_b32_e64 v6, v16, v6, s[28:29]
	v_cndmask_b32_e64 v6, 0, v6, s[26:27]
	s_waitcnt vmcnt(12)
	v_mul_f32_e32 v19, v60, v6
	v_ldexp_f32 v6, v9, v17
	v_mul_f32_e32 v9, 0x3fb8aa3b, v8
	v_fma_f32 v17, v8, s43, -v9
	v_rndne_f32_e32 v21, v9
	v_fmac_f32_e32 v17, 0x32a5705f, v8
	v_sub_f32_e32 v9, v9, v21
	v_add_f32_e32 v9, v9, v17
	v_cmp_ngt_f32_e64 s[26:27], s44, v7
	v_exp_f32_e32 v9, v9
	v_cvt_i32_f32_e32 v17, v21
	v_cndmask_b32_e64 v6, 0, v6, s[26:27]
	v_cmp_nlt_f32_e64 s[26:27], s45, v7
	v_sub_f32_e32 v7, v55, v20
	v_add_f32_e32 v24, v24, v25
	v_cndmask_b32_e64 v6, v16, v6, s[26:27]
	v_cndmask_b32_e64 v6, 0, v6, s[24:25]
	s_waitcnt vmcnt(11)
	v_mul_f32_e32 v21, v61, v6
	v_ldexp_f32 v6, v9, v17
	v_mul_f32_e32 v9, 0x3fb8aa3b, v7
	v_fma_f32 v17, v7, s43, -v9
	v_rndne_f32_e32 v22, v9
	v_fmac_f32_e32 v17, 0x32a5705f, v7
	v_sub_f32_e32 v9, v9, v22
	v_add_f32_e32 v9, v9, v17
	v_cmp_ngt_f32_e64 s[24:25], s44, v8
	v_exp_f32_e32 v9, v9
	v_cvt_i32_f32_e32 v17, v22
	v_cndmask_b32_e64 v6, 0, v6, s[24:25]
	v_cmp_nlt_f32_e64 s[24:25], s45, v8
	v_exp_f32_e32 v24, v24
	v_cvt_i32_f32_e32 v25, v26
	v_cndmask_b32_e64 v6, v16, v6, s[24:25]
	v_cndmask_b32_e64 v6, 0, v6, s[22:23]
	s_waitcnt vmcnt(10)
	v_mul_f32_e32 v22, v62, v6
	v_ldexp_f32 v6, v9, v17
	v_cmp_ngt_f32_e64 s[22:23], s44, v7
	v_mul_f32_e32 v1, v57, v1
	v_mul_f32_e32 v5, v58, v5
	v_cndmask_b32_e64 v6, 0, v6, s[22:23]
	v_cmp_nlt_f32_e64 s[22:23], s45, v7
	v_sub_f32_e32 v7, v56, v20
	v_mul_f32_e32 v8, 0x3fb8aa3b, v7
	v_fma_f32 v9, v7, s43, -v8
	v_rndne_f32_e32 v17, v8
	v_fmac_f32_e32 v9, 0x32a5705f, v7
	v_sub_f32_e32 v8, v8, v17
	v_add_f32_e32 v8, v8, v9
	v_exp_f32_e32 v8, v8
	v_cvt_i32_f32_e32 v9, v17
	v_cndmask_b32_e64 v6, v16, v6, s[22:23]
	v_cndmask_b32_e64 v6, 0, v6, s[20:21]
	v_ldexp_f32 v17, v24, v25
	v_cmp_ngt_f32_e64 s[20:21], s44, v23
	v_ldexp_f32 v8, v8, v9
	v_sub_f32_e32 v9, v34, v20
	v_cndmask_b32_e64 v17, 0, v17, s[20:21]
	v_cmp_nlt_f32_e64 s[20:21], s45, v23
	s_waitcnt vmcnt(9)
	v_mul_f32_e32 v6, v10, v6
	v_mul_f32_e32 v10, 0x3fb8aa3b, v9
	v_cndmask_b32_e64 v17, v16, v17, s[20:21]
	v_cndmask_b32_e64 v17, 0, v17, s[18:19]
	s_waitcnt vmcnt(4)
	v_mul_f32_e32 v11, v11, v17
	v_fma_f32 v17, v9, s43, -v10
	v_rndne_f32_e32 v23, v10
	v_fmac_f32_e32 v17, 0x32a5705f, v9
	v_sub_f32_e32 v10, v10, v23
	v_add_f32_e32 v10, v10, v17
	v_exp_f32_e32 v10, v10
	v_cvt_i32_f32_e32 v17, v23
	v_cmp_ngt_f32_e64 s[18:19], s44, v7
	s_nop 1
	v_cndmask_b32_e64 v8, 0, v8, s[18:19]
	v_cmp_nlt_f32_e64 s[18:19], s45, v7
	s_nop 1
	v_cndmask_b32_e64 v7, v16, v8, s[18:19]
	v_ldexp_f32 v8, v10, v17
	v_sub_f32_e32 v10, v35, v20
	v_mul_f32_e32 v17, 0x3fb8aa3b, v10
	v_fma_f32 v23, v10, s43, -v17
	v_rndne_f32_e32 v24, v17
	v_fmac_f32_e32 v23, 0x32a5705f, v10
	v_sub_f32_e32 v17, v17, v24
	v_add_f32_e32 v17, v17, v23
	v_cvt_i32_f32_e32 v23, v24
	v_sub_f32_e32 v24, v38, v20
	v_mul_f32_e32 v25, 0x3fb8aa3b, v24
	v_fma_f32 v26, v24, s43, -v25
	v_rndne_f32_e32 v27, v25
	v_fmac_f32_e32 v26, 0x32a5705f, v24
	v_sub_f32_e32 v25, v25, v27
	v_add_f32_e32 v25, v25, v26
	v_exp_f32_e32 v17, v17
	v_exp_f32_e32 v25, v25
	v_cvt_i32_f32_e32 v26, v27
	v_cndmask_b32_e64 v7, 0, v7, s[16:17]
	v_ldexp_f32 v17, v17, v23
	v_cmp_ngt_f32_e64 s[16:17], s44, v9
	v_ldexp_f32 v23, v25, v26
	v_sub_f32_e32 v25, v39, v20
	v_mul_f32_e32 v26, 0x3fb8aa3b, v25
	v_cndmask_b32_e64 v8, 0, v8, s[16:17]
	v_cmp_ngt_f32_e64 s[16:17], s44, v24
	v_cmp_nlt_f32_e64 s[18:19], s45, v9
	v_fma_f32 v27, v25, s43, -v26
	v_rndne_f32_e32 v28, v26
	v_cndmask_b32_e64 v23, 0, v23, s[16:17]
	v_cmp_nlt_f32_e64 s[16:17], s45, v24
	v_cndmask_b32_e64 v8, v16, v8, s[18:19]
	v_fmac_f32_e32 v27, 0x32a5705f, v25
	v_sub_f32_e32 v26, v26, v28
	v_cndmask_b32_e64 v8, 0, v8, s[12:13]
	v_cmp_ngt_f32_e64 s[12:13], s44, v10
	v_cndmask_b32_e64 v23, v16, v23, s[16:17]
	v_add_f32_e32 v26, v26, v27
	v_cndmask_b32_e64 v9, 0, v17, s[12:13]
	v_sub_f32_e32 v17, v36, v20
	v_cndmask_b32_e64 v23, 0, v23, s[14:15]
	v_exp_f32_e32 v26, v26
	v_cvt_i32_f32_e32 v27, v28
	s_waitcnt vmcnt(3)
	v_mul_f32_e32 v12, v12, v23
	v_mul_f32_e32 v23, 0x3fb8aa3b, v17
	v_fma_f32 v24, v17, s43, -v23
	v_rndne_f32_e32 v28, v23
	v_cmp_nlt_f32_e64 s[12:13], s45, v10
	v_fmac_f32_e32 v24, 0x32a5705f, v17
	v_sub_f32_e32 v23, v23, v28
	v_mul_f32_e32 v8, v2, v8
	v_cndmask_b32_e64 v2, v16, v9, s[12:13]
	v_add_f32_e32 v23, v23, v24
	v_ldexp_f32 v24, v26, v27
	v_cndmask_b32_e64 v2, 0, v2, s[8:9]
	v_cmp_ngt_f32_e64 s[8:9], s44, v25
	v_exp_f32_e32 v10, v23
	v_cvt_i32_f32_e32 v23, v28
	v_cndmask_b32_e64 v9, 0, v24, s[8:9]
	v_cmp_nlt_f32_e64 s[8:9], s45, v25
	v_mul_f32_e32 v7, v63, v7
	s_nop 0
	v_cndmask_b32_e64 v9, v16, v9, s[8:9]
	v_cndmask_b32_e64 v9, 0, v9, s[10:11]
	s_waitcnt vmcnt(2)
	v_mul_f32_e32 v13, v13, v9
	v_mul_f32_e32 v9, v3, v2
	v_sub_f32_e32 v3, v40, v20
	v_ldexp_f32 v2, v10, v23
	v_mul_f32_e32 v10, 0x3fb8aa3b, v3
	v_fma_f32 v23, v3, s43, -v10
	v_rndne_f32_e32 v24, v10
	v_fmac_f32_e32 v23, 0x32a5705f, v3
	v_sub_f32_e32 v10, v10, v24
	v_add_f32_e32 v10, v10, v23
	v_exp_f32_e32 v10, v10
	v_cvt_i32_f32_e32 v23, v24
	v_cmp_ngt_f32_e64 s[8:9], s44, v17
	v_ldexp_f32 v10, v10, v23
	s_nop 0
	v_cndmask_b32_e64 v2, 0, v2, s[8:9]
	v_cmp_nlt_f32_e64 s[8:9], s45, v17
	v_sub_f32_e32 v17, v41, v20
	s_nop 0
	v_cndmask_b32_e64 v2, v16, v2, s[8:9]
	v_cndmask_b32_e64 v2, 0, v2, s[6:7]
	v_cmp_ngt_f32_e64 s[6:7], s44, v3
	s_nop 1
	v_cndmask_b32_e64 v10, 0, v10, s[6:7]
	v_cmp_nlt_f32_e64 s[6:7], s45, v3
	s_nop 1
	v_cndmask_b32_e64 v3, v16, v10, s[6:7]
	v_mul_f32_e32 v10, 0x3fb8aa3b, v17
	v_fma_f32 v20, v17, s43, -v10
	v_rndne_f32_e32 v23, v10
	v_fmac_f32_e32 v20, 0x32a5705f, v17
	v_sub_f32_e32 v10, v10, v23
	v_add_f32_e32 v10, v10, v20
	v_exp_f32_e32 v20, v10
	v_cvt_i32_f32_e32 v23, v23
	v_cndmask_b32_e64 v3, 0, v3, s[4:5]
	v_mul_f32_e32 v10, v4, v2
	v_cmp_ngt_f32_e64 s[4:5], s44, v17
	v_ldexp_f32 v2, v20, v23
	s_waitcnt vmcnt(1)
	v_mul_f32_e32 v3, v14, v3
	v_cndmask_b32_e64 v2, 0, v2, s[4:5]
	v_cmp_nlt_f32_e64 s[4:5], s45, v17
	s_nop 1
	v_cndmask_b32_e64 v2, v16, v2, s[4:5]
	v_cndmask_b32_e32 v2, 0, v2, vcc
	s_waitcnt vmcnt(0)
	v_mul_f32_e32 v4, v15, v2
	v_add_f32_e32 v2, v1, v5
	v_add_f32_e32 v2, v2, v18
	;; [unrolled: 1-line block ×15, first 2 shown]
	ds_bpermute_b32 v14, v45, v2
	v_lshlrev_b32_e32 v15, 2, v0
	ds_write2st64_b32 v15, v1, v5 offset1:1
	v_cmp_eq_u32_e32 vcc, 0, v0
	ds_write2st64_b32 v15, v18, v19 offset0:2 offset1:3
	ds_write2st64_b32 v15, v21, v22 offset0:4 offset1:5
	;; [unrolled: 1-line block ×4, first 2 shown]
	s_waitcnt lgkmcnt(5)
	v_add_f32_e32 v2, v2, v14
	ds_bpermute_b32 v14, v46, v2
	ds_write2st64_b32 v15, v10, v11 offset0:10 offset1:11
	ds_write2st64_b32 v15, v12, v13 offset0:12 offset1:13
	ds_write2st64_b32 v15, v3, v4 offset0:14 offset1:15
	s_waitcnt lgkmcnt(3)
	v_add_f32_e32 v2, v2, v14
	ds_bpermute_b32 v14, v47, v2
	s_waitcnt lgkmcnt(0)
	v_add_f32_e32 v2, v2, v14
	ds_bpermute_b32 v14, v48, v2
	;; [unrolled: 3-line block ×4, first 2 shown]
	s_and_saveexec_b64 s[4:5], vcc
	s_cbranch_execz .LBB35_8
; %bb.7:
	s_waitcnt lgkmcnt(0)
	v_add_f32_e32 v1, v1, v2
	v_mov_b32_e32 v2, 0
	ds_write_b32 v2, v1 offset:4096
.LBB35_8:
	s_or_b64 exec, exec, s[4:5]
	v_mov_b32_e32 v1, s42
.LBB35_9:
	s_or_b64 exec, exec, s[54:55]
	s_lshl_b32 s4, s56, 6
	s_mov_b32 s5, 0
	s_lshl_b64 s[4:5], s[4:5], 1
	s_add_u32 s4, s40, s4
	s_addc_u32 s5, s41, s5
	s_lshl_b32 s10, s33, 6
	s_waitcnt lgkmcnt(0)
	v_lshlrev_b32_e32 v2, 6, v1
	v_mov_b32_e32 v1, 0
	s_sub_i32 s11, s10, 64
	v_mov_b32_e32 v3, v1
	s_cmp_lt_i32 s60, 1
	v_lshl_add_u64 v[2:3], v[2:3], 1, s[4:5]
	s_cselect_b32 s4, s11, 0
	v_lshlrev_b32_e32 v4, 1, v0
	v_mov_b32_e32 v5, v1
	s_ashr_i32 s5, s4, 31
	v_lshl_add_u64 v[2:3], v[2:3], 0, v[4:5]
	s_cmpk_lt_i32 s60, 0x101
	v_lshl_add_u64 v[12:13], s[4:5], 1, v[2:3]
	s_cselect_b32 s4, s11, 64
	s_ashr_i32 s5, s4, 31
	s_cmpk_lt_i32 s60, 0x201
	v_lshl_add_u64 v[14:15], s[4:5], 1, v[2:3]
	s_cselect_b32 s4, s11, 0x80
	s_ashr_i32 s5, s4, 31
	;; [unrolled: 4-line block ×8, first 2 shown]
	s_cmpk_lt_i32 s60, 0x901
	global_load_ushort v4, v[12:13], off
	global_load_ushort v5, v[14:15], off
	;; [unrolled: 1-line block ×8, first 2 shown]
	v_lshl_add_u64 v[20:21], s[4:5], 1, v[2:3]
	s_cselect_b32 s4, s11, 0x240
	s_ashr_i32 s5, s4, 31
	s_cmpk_lt_i32 s60, 0xa01
	v_lshl_add_u64 v[22:23], s[4:5], 1, v[2:3]
	s_cselect_b32 s4, s11, 0x280
	s_ashr_i32 s5, s4, 31
	s_cmpk_lt_i32 s60, 0xb01
	;; [unrolled: 4-line block ×6, first 2 shown]
	v_lshl_add_u64 v[32:33], s[4:5], 1, v[2:3]
	s_cselect_b32 s4, s11, 0x3c0
	s_ashr_i32 s5, s4, 31
	v_lshl_add_u64 v[34:35], s[4:5], 1, v[2:3]
	global_load_ushort v12, v[20:21], off
	global_load_ushort v13, v[22:23], off
	;; [unrolled: 1-line block ×8, first 2 shown]
	s_cmpk_gt_i32 s60, 0x1000
	s_cselect_b64 s[8:9], -1, 0
	s_cmpk_lt_i32 s60, 0x1001
	v_mov_b32_e32 v36, 0
	v_mov_b32_e32 v37, 0
	v_mov_b32_e32 v38, 0
	v_mov_b32_e32 v39, 0
	v_mov_b32_e32 v40, 0
	v_mov_b32_e32 v41, 0
	v_mov_b32_e32 v42, 0
	v_mov_b32_e32 v43, 0
	v_mov_b32_e32 v44, 0
	v_mov_b32_e32 v45, 0
	v_mov_b32_e32 v46, 0
	v_mov_b32_e32 v47, 0
	v_mov_b32_e32 v48, 0
	v_mov_b32_e32 v49, 0
	v_mov_b32_e32 v50, 0
	v_mov_b32_e32 v51, 0
	v_mov_b32_e32 v52, 0
	v_mov_b32_e32 v53, 0
	v_mov_b32_e32 v54, 0
	v_mov_b32_e32 v55, 0
	v_mov_b32_e32 v56, 0
	v_mov_b32_e32 v57, 0
	v_mov_b32_e32 v58, 0
	v_mov_b32_e32 v59, 0
	v_mov_b32_e32 v60, 0
	v_mov_b32_e32 v61, 0
	v_mov_b32_e32 v62, 0
	v_mov_b32_e32 v63, 0
	v_mov_b32_e32 v64, 0
	v_mov_b32_e32 v65, 0
	v_mov_b32_e32 v66, 0
	v_mov_b32_e32 v67, 0
	v_mov_b32_e32 v28, 0
	v_mov_b32_e32 v29, 0
	v_mov_b32_e32 v30, 0
	v_mov_b32_e32 v31, 0
	v_mov_b32_e32 v32, 0
	v_mov_b32_e32 v33, 0
	v_mov_b32_e32 v34, 0
	v_mov_b32_e32 v35, 0
	v_mov_b32_e32 v20, 0
	v_mov_b32_e32 v21, 0
	v_mov_b32_e32 v22, 0
	v_mov_b32_e32 v23, 0
	v_mov_b32_e32 v24, 0
	v_mov_b32_e32 v25, 0
	v_mov_b32_e32 v26, 0
	v_mov_b32_e32 v27, 0
	s_waitcnt lgkmcnt(0)
	; wave barrier
	s_cbranch_scc1 .LBB35_12
; %bb.10:
	s_cmpk_lt_u32 s60, 0x1101
	s_cselect_b32 s4, s11, 0x440
	s_ashr_i32 s5, s4, 31
	s_cmpk_lt_u32 s60, 0x1201
	v_lshl_add_u64 v[28:29], s[4:5], 1, v[2:3]
	s_cselect_b32 s4, s11, 0x480
	s_ashr_i32 s5, s4, 31
	s_cmpk_lt_u32 s60, 0x1301
	v_lshl_add_u64 v[30:31], s[4:5], 1, v[2:3]
	;; [unrolled: 4-line block ×7, first 2 shown]
	s_cselect_b32 s4, s11, 0x600
	s_ashr_i32 s5, s4, 31
	s_cmpk_lt_u32 s60, 0x1901
	global_load_ushort v27, v[2:3], off offset:2048
	global_load_ushort v26, v[28:29], off
	global_load_ushort v25, v[30:31], off
	global_load_ushort v24, v[32:33], off
	global_load_ushort v23, v[34:35], off
	global_load_ushort v22, v[36:37], off
	global_load_ushort v21, v[38:39], off
	global_load_ushort v20, v[40:41], off
	v_lshl_add_u64 v[36:37], s[4:5], 1, v[2:3]
	s_cselect_b32 s4, s11, 0x640
	s_ashr_i32 s5, s4, 31
	s_cmpk_lt_u32 s60, 0x1a01
	v_lshl_add_u64 v[38:39], s[4:5], 1, v[2:3]
	s_cselect_b32 s4, s11, 0x680
	s_ashr_i32 s5, s4, 31
	s_cmpk_lt_u32 s60, 0x1b01
	;; [unrolled: 4-line block ×6, first 2 shown]
	v_lshl_add_u64 v[48:49], s[4:5], 1, v[2:3]
	s_cselect_b32 s4, s11, 0x7c0
	s_ashr_i32 s5, s4, 31
	v_lshl_add_u64 v[50:51], s[4:5], 1, v[2:3]
	global_load_ushort v35, v[36:37], off
	global_load_ushort v34, v[38:39], off
	;; [unrolled: 1-line block ×8, first 2 shown]
	s_cmpk_lt_u32 s60, 0x2001
	v_mov_b32_e32 v67, 0
	v_mov_b32_e32 v66, 0
	;; [unrolled: 1-line block ×32, first 2 shown]
	s_cbranch_scc1 .LBB35_12
; %bb.11:
	s_cmpk_lt_u32 s60, 0x2101
	s_cselect_b32 s4, s11, 0x840
	s_ashr_i32 s5, s4, 31
	s_cmpk_lt_u32 s60, 0x2201
	v_lshl_add_u64 v[38:39], s[4:5], 1, v[2:3]
	s_cselect_b32 s4, s11, 0x880
	s_ashr_i32 s5, s4, 31
	s_cmpk_lt_u32 s60, 0x2301
	v_lshl_add_u64 v[40:41], s[4:5], 1, v[2:3]
	;; [unrolled: 4-line block ×7, first 2 shown]
	s_cselect_b32 s4, s11, 0xa00
	v_add_co_u32_e32 v36, vcc, 0x1000, v2
	s_ashr_i32 s5, s4, 31
	s_nop 0
	v_addc_co_u32_e32 v37, vcc, 0, v3, vcc
	s_cmpk_lt_u32 s60, 0x2901
	global_load_ushort v52, v[36:37], off
	global_load_ushort v53, v[38:39], off
	;; [unrolled: 1-line block ×8, first 2 shown]
	v_lshl_add_u64 v[36:37], s[4:5], 1, v[2:3]
	s_cselect_b32 s4, s11, 0xa40
	s_ashr_i32 s5, s4, 31
	s_cmpk_lt_u32 s60, 0x2a01
	v_lshl_add_u64 v[38:39], s[4:5], 1, v[2:3]
	s_cselect_b32 s4, s11, 0xa80
	s_ashr_i32 s5, s4, 31
	s_cmpk_lt_u32 s60, 0x2b01
	;; [unrolled: 4-line block ×8, first 2 shown]
	global_load_ushort v68, v[36:37], off
	global_load_ushort v69, v[38:39], off
	;; [unrolled: 1-line block ×8, first 2 shown]
	v_lshl_add_u64 v[36:37], s[4:5], 1, v[2:3]
	s_cselect_b32 s4, s11, 0xc40
	s_ashr_i32 s5, s4, 31
	s_cmpk_lt_u32 s60, 0x3201
	v_lshl_add_u64 v[38:39], s[4:5], 1, v[2:3]
	s_cselect_b32 s4, s11, 0xc80
	s_ashr_i32 s5, s4, 31
	s_cmpk_lt_u32 s60, 0x3301
	;; [unrolled: 4-line block ×8, first 2 shown]
	global_load_ushort v76, v[36:37], off
	global_load_ushort v77, v[38:39], off
	;; [unrolled: 1-line block ×8, first 2 shown]
	v_lshl_add_u64 v[36:37], s[4:5], 1, v[2:3]
	s_cselect_b32 s4, s11, 0xe40
	s_ashr_i32 s5, s4, 31
	s_cmpk_lt_u32 s60, 0x3a01
	v_lshl_add_u64 v[38:39], s[4:5], 1, v[2:3]
	s_cselect_b32 s4, s11, 0xe80
	s_ashr_i32 s5, s4, 31
	s_cmpk_lt_u32 s60, 0x3b01
	;; [unrolled: 4-line block ×6, first 2 shown]
	v_lshl_add_u64 v[48:49], s[4:5], 1, v[2:3]
	s_cselect_b32 s4, s11, 0xfc0
	s_ashr_i32 s5, s4, 31
	v_lshl_add_u64 v[50:51], s[4:5], 1, v[2:3]
	global_load_ushort v84, v[36:37], off
	global_load_ushort v85, v[38:39], off
	global_load_ushort v86, v[40:41], off
	global_load_ushort v87, v[42:43], off
	global_load_ushort v88, v[44:45], off
	global_load_ushort v89, v[46:47], off
	global_load_ushort v90, v[48:49], off
	global_load_ushort v91, v[50:51], off
	s_waitcnt vmcnt(31)
	v_cvt_f32_f16_e32 v67, v52
	s_waitcnt vmcnt(30)
	v_cvt_f32_f16_e32 v66, v53
	;; [unrolled: 2-line block ×32, first 2 shown]
.LBB35_12:
	ds_read_b128 v[68:71], v1
	s_load_dwordx2 s[4:5], s[0:1], 0x0
	s_load_dwordx2 s[6:7], s[0:1], 0x38
	ds_read_b128 v[72:75], v1 offset:16
	ds_read_b128 v[76:79], v1 offset:32
	;; [unrolled: 1-line block ×3, first 2 shown]
	s_and_b64 vcc, exec, s[8:9]
	s_waitcnt vmcnt(15) lgkmcnt(0)
	v_fma_mix_f32 v4, v68, v4, 0 op_sel_hi:[0,1,0]
	s_waitcnt vmcnt(14)
	v_fma_mix_f32 v4, v69, v5, v4 op_sel_hi:[0,1,0]
	s_waitcnt vmcnt(13)
	v_fma_mix_f32 v4, v70, v6, v4 op_sel_hi:[0,1,0]
	s_waitcnt vmcnt(12)
	v_fma_mix_f32 v4, v71, v7, v4 op_sel_hi:[0,1,0]
	s_waitcnt vmcnt(11)
	v_fma_mix_f32 v4, v72, v8, v4 op_sel_hi:[0,1,0]
	s_waitcnt vmcnt(10)
	v_fma_mix_f32 v4, v73, v9, v4 op_sel_hi:[0,1,0]
	s_waitcnt vmcnt(9)
	v_fma_mix_f32 v4, v74, v10, v4 op_sel_hi:[0,1,0]
	s_waitcnt vmcnt(8)
	v_fma_mix_f32 v4, v75, v11, v4 op_sel_hi:[0,1,0]
	s_waitcnt vmcnt(7)
	v_fma_mix_f32 v4, v76, v12, v4 op_sel_hi:[0,1,0]
	s_waitcnt vmcnt(6)
	v_fma_mix_f32 v4, v77, v13, v4 op_sel_hi:[0,1,0]
	s_waitcnt vmcnt(5)
	v_fma_mix_f32 v4, v78, v14, v4 op_sel_hi:[0,1,0]
	s_waitcnt vmcnt(4)
	v_fma_mix_f32 v4, v79, v15, v4 op_sel_hi:[0,1,0]
	s_waitcnt vmcnt(3)
	v_fma_mix_f32 v4, v80, v16, v4 op_sel_hi:[0,1,0]
	s_waitcnt vmcnt(2)
	v_fma_mix_f32 v4, v81, v17, v4 op_sel_hi:[0,1,0]
	s_waitcnt vmcnt(1)
	v_fma_mix_f32 v4, v82, v18, v4 op_sel_hi:[0,1,0]
	s_waitcnt vmcnt(0)
	v_fma_mix_f32 v4, v83, v19, v4 op_sel_hi:[0,1,0]
	s_cbranch_vccz .LBB35_15
; %bb.13:
	ds_read_b128 v[6:9], v1 offset:64
	ds_read_b128 v[10:13], v1 offset:80
	ds_read_b128 v[14:17], v1 offset:96
	ds_read_b128 v[68:71], v1 offset:112
	s_cmpk_lt_u32 s60, 0x2001
	s_waitcnt lgkmcnt(3)
	v_fma_mix_f32 v4, v6, v27, v4 op_sel_hi:[0,1,0]
	v_fma_mix_f32 v4, v7, v26, v4 op_sel_hi:[0,1,0]
	v_fma_mix_f32 v4, v8, v25, v4 op_sel_hi:[0,1,0]
	v_fma_mix_f32 v4, v9, v24, v4 op_sel_hi:[0,1,0]
	s_waitcnt lgkmcnt(2)
	v_fma_mix_f32 v4, v10, v23, v4 op_sel_hi:[0,1,0]
	v_fma_mix_f32 v4, v11, v22, v4 op_sel_hi:[0,1,0]
	v_fma_mix_f32 v4, v12, v21, v4 op_sel_hi:[0,1,0]
	v_fma_mix_f32 v4, v13, v20, v4 op_sel_hi:[0,1,0]
	;; [unrolled: 5-line block ×4, first 2 shown]
	s_cbranch_scc1 .LBB35_15
; %bb.14:
	v_mov_b32_e32 v5, 0
	ds_read_b128 v[6:9], v5 offset:128
	ds_read_b128 v[10:13], v5 offset:144
	;; [unrolled: 1-line block ×4, first 2 shown]
	s_waitcnt lgkmcnt(3)
	v_fmac_f32_e32 v4, v6, v67
	v_fmac_f32_e32 v4, v7, v66
	v_fmac_f32_e32 v4, v8, v65
	v_fmac_f32_e32 v4, v9, v64
	s_waitcnt lgkmcnt(2)
	v_fmac_f32_e32 v4, v10, v63
	v_fmac_f32_e32 v4, v11, v62
	v_fmac_f32_e32 v4, v12, v61
	v_fmac_f32_e32 v4, v13, v60
	;; [unrolled: 5-line block ×3, first 2 shown]
	ds_read_b128 v[6:9], v5 offset:192
	ds_read_b128 v[10:13], v5 offset:208
	s_waitcnt lgkmcnt(2)
	v_fmac_f32_e32 v4, v18, v55
	v_fmac_f32_e32 v4, v19, v54
	;; [unrolled: 1-line block ×4, first 2 shown]
	s_waitcnt lgkmcnt(1)
	v_fmac_f32_e32 v4, v6, v51
	v_fmac_f32_e32 v4, v7, v50
	;; [unrolled: 1-line block ×4, first 2 shown]
	ds_read_b128 v[6:9], v5 offset:224
	s_waitcnt lgkmcnt(1)
	v_fmac_f32_e32 v4, v10, v47
	v_fmac_f32_e32 v4, v11, v46
	v_fmac_f32_e32 v4, v12, v45
	v_fmac_f32_e32 v4, v13, v44
	ds_read_b128 v[10:13], v5 offset:240
	s_waitcnt lgkmcnt(1)
	v_fmac_f32_e32 v4, v6, v43
	v_fmac_f32_e32 v4, v7, v42
	;; [unrolled: 1-line block ×4, first 2 shown]
	s_waitcnt lgkmcnt(0)
	v_fmac_f32_e32 v4, v10, v39
	v_fmac_f32_e32 v4, v11, v38
	;; [unrolled: 1-line block ×4, first 2 shown]
.LBB35_15:
	s_movk_i32 s0, 0x1fc0
	s_movk_i32 s1, 0x100
	s_mov_b32 s8, 64
	s_branch .LBB35_17
.LBB35_16:                              ;   in Loop: Header=BB35_17 Depth=1
	s_addk_i32 s0, 0x1000
	s_addk_i32 s1, 0x100
	s_add_i32 s8, s8, 64
	s_cmp_eq_u32 s0, 0x10fc0
	s_cbranch_scc1 .LBB35_19
.LBB35_17:                              ; =>This Inner Loop Header: Depth=1
	s_cmp_le_i32 s33, s8
	s_cbranch_scc1 .LBB35_16
; %bb.18:                               ;   in Loop: Header=BB35_17 Depth=1
	s_add_i32 s9, s0, 0xfffff040
	s_cmp_lt_i32 s9, s10
	s_cselect_b32 s12, s9, s11
	s_ashr_i32 s13, s12, 31
	s_add_i32 s9, s0, 0xfffff080
	s_cmp_lt_i32 s9, s10
	v_lshl_add_u64 v[14:15], s[12:13], 1, v[2:3]
	s_cselect_b32 s12, s9, s11
	s_ashr_i32 s13, s12, 31
	s_add_i32 s9, s0, 0xfffff0c0
	s_cmp_lt_i32 s9, s10
	v_lshl_add_u64 v[16:17], s[12:13], 1, v[2:3]
	;; [unrolled: 5-line block ×8, first 2 shown]
	s_cselect_b32 s12, s9, s11
	s_ashr_i32 s13, s12, 31
	s_add_i32 s9, s0, 0xfffff280
	s_cmp_lt_i32 s9, s10
	global_load_ushort v5, v[14:15], off
	global_load_ushort v6, v[16:17], off
	global_load_ushort v7, v[18:19], off
	global_load_ushort v8, v[20:21], off
	global_load_ushort v9, v[22:23], off
	global_load_ushort v10, v[24:25], off
	global_load_ushort v11, v[26:27], off
	global_load_ushort v12, v[28:29], off
	v_lshl_add_u64 v[14:15], s[12:13], 1, v[2:3]
	s_cselect_b32 s12, s9, s11
	s_ashr_i32 s13, s12, 31
	s_add_i32 s9, s0, 0xfffff2c0
	s_cmp_lt_i32 s9, s10
	v_lshl_add_u64 v[16:17], s[12:13], 1, v[2:3]
	s_cselect_b32 s12, s9, s11
	s_ashr_i32 s13, s12, 31
	s_add_i32 s9, s0, 0xfffff300
	s_cmp_lt_i32 s9, s10
	v_lshl_add_u64 v[18:19], s[12:13], 1, v[2:3]
	s_cselect_b32 s12, s9, s11
	s_ashr_i32 s13, s12, 31
	s_add_i32 s9, s0, 0xfffff340
	s_cmp_lt_i32 s9, s10
	v_lshl_add_u64 v[20:21], s[12:13], 1, v[2:3]
	s_cselect_b32 s12, s9, s11
	s_ashr_i32 s13, s12, 31
	s_add_i32 s9, s0, 0xfffff380
	s_cmp_lt_i32 s9, s10
	v_lshl_add_u64 v[22:23], s[12:13], 1, v[2:3]
	s_cselect_b32 s12, s9, s11
	s_ashr_i32 s13, s12, 31
	s_add_i32 s9, s0, 0xfffff3c0
	s_cmp_lt_i32 s9, s10
	v_lshl_add_u64 v[24:25], s[12:13], 1, v[2:3]
	s_cselect_b32 s12, s9, s11
	s_ashr_i32 s13, s12, 31
	s_add_i32 s9, s0, 0xfffff400
	s_cmp_lt_i32 s9, s10
	v_lshl_add_u64 v[26:27], s[12:13], 1, v[2:3]
	s_cselect_b32 s12, s9, s11
	s_ashr_i32 s13, s12, 31
	s_add_i32 s9, s0, 0xfffff440
	s_cmp_lt_i32 s9, s10
	v_lshl_add_u64 v[28:29], s[12:13], 1, v[2:3]
	s_cselect_b32 s12, s9, s11
	s_ashr_i32 s13, s12, 31
	s_add_i32 s9, s0, 0xfffff480
	s_cmp_lt_i32 s9, s10
	global_load_ushort v13, v[14:15], off
	global_load_ushort v30, v[16:17], off
	global_load_ushort v31, v[18:19], off
	global_load_ushort v32, v[20:21], off
	global_load_ushort v33, v[22:23], off
	global_load_ushort v34, v[24:25], off
	global_load_ushort v35, v[26:27], off
	global_load_ushort v36, v[28:29], off
	v_lshl_add_u64 v[14:15], s[12:13], 1, v[2:3]
	s_cselect_b32 s12, s9, s11
	s_ashr_i32 s13, s12, 31
	s_add_i32 s9, s0, 0xfffff4c0
	s_cmp_lt_i32 s9, s10
	v_lshl_add_u64 v[16:17], s[12:13], 1, v[2:3]
	s_cselect_b32 s12, s9, s11
	s_ashr_i32 s13, s12, 31
	s_add_i32 s9, s0, 0xfffff500
	s_cmp_lt_i32 s9, s10
	v_lshl_add_u64 v[18:19], s[12:13], 1, v[2:3]
	s_cselect_b32 s12, s9, s11
	s_ashr_i32 s13, s12, 31
	s_add_i32 s9, s0, 0xfffff540
	s_cmp_lt_i32 s9, s10
	v_lshl_add_u64 v[20:21], s[12:13], 1, v[2:3]
	s_cselect_b32 s12, s9, s11
	s_ashr_i32 s13, s12, 31
	s_add_i32 s9, s0, 0xfffff580
	s_cmp_lt_i32 s9, s10
	v_lshl_add_u64 v[22:23], s[12:13], 1, v[2:3]
	s_cselect_b32 s12, s9, s11
	s_ashr_i32 s13, s12, 31
	s_add_i32 s9, s0, 0xfffff5c0
	s_cmp_lt_i32 s9, s10
	v_lshl_add_u64 v[24:25], s[12:13], 1, v[2:3]
	s_cselect_b32 s12, s9, s11
	s_ashr_i32 s13, s12, 31
	s_add_i32 s9, s0, 0xfffff600
	s_cmp_lt_i32 s9, s10
	v_lshl_add_u64 v[26:27], s[12:13], 1, v[2:3]
	s_cselect_b32 s12, s9, s11
	s_ashr_i32 s13, s12, 31
	s_add_i32 s9, s0, 0xfffff640
	s_cmp_lt_i32 s9, s10
	v_lshl_add_u64 v[28:29], s[12:13], 1, v[2:3]
	;; [unrolled: 48-line block ×6, first 2 shown]
	s_cselect_b32 s12, s9, s11
	s_ashr_i32 s13, s12, 31
	s_add_i32 s9, s0, 0xfffffe80
	s_cmp_lt_i32 s9, s10
	global_load_ushort v69, v[14:15], off
	global_load_ushort v70, v[16:17], off
	;; [unrolled: 1-line block ×8, first 2 shown]
	v_lshl_add_u64 v[14:15], s[12:13], 1, v[2:3]
	s_cselect_b32 s12, s9, s11
	s_ashr_i32 s13, s12, 31
	s_add_i32 s9, s0, 0xfffffec0
	s_cmp_lt_i32 s9, s10
	v_lshl_add_u64 v[16:17], s[12:13], 1, v[2:3]
	s_cselect_b32 s12, s9, s11
	s_ashr_i32 s13, s12, 31
	s_add_i32 s9, s0, 0xffffff00
	s_cmp_lt_i32 s9, s10
	;; [unrolled: 5-line block ×4, first 2 shown]
	v_lshl_add_u64 v[22:23], s[12:13], 1, v[2:3]
	s_cselect_b32 s12, s9, s11
	s_ashr_i32 s13, s12, 31
	s_sub_i32 s9, s0, 64
	s_cmp_lt_i32 s9, s10
	v_lshl_add_u64 v[24:25], s[12:13], 1, v[2:3]
	s_cselect_b32 s12, s9, s11
	s_ashr_i32 s13, s12, 31
	s_cmp_lt_i32 s0, s10
	v_lshl_add_u64 v[26:27], s[12:13], 1, v[2:3]
	s_cselect_b32 s12, s0, s11
	s_ashr_i32 s13, s12, 31
	v_lshl_add_u64 v[28:29], s[12:13], 1, v[2:3]
	global_load_ushort v77, v[14:15], off
	global_load_ushort v78, v[16:17], off
	;; [unrolled: 1-line block ×8, first 2 shown]
	v_mov_b32_e32 v85, s1
	ds_read_b128 v[14:17], v85
	ds_read_b128 v[18:21], v85 offset:16
	ds_read_b128 v[22:25], v85 offset:32
	;; [unrolled: 1-line block ×3, first 2 shown]
	s_waitcnt vmcnt(62) lgkmcnt(3)
	v_fma_mix_f32 v4, v14, v5, v4 op_sel_hi:[0,1,0]
	v_fma_mix_f32 v4, v15, v6, v4 op_sel_hi:[0,1,0]
	s_waitcnt vmcnt(61)
	v_fma_mix_f32 v4, v16, v7, v4 op_sel_hi:[0,1,0]
	s_waitcnt vmcnt(60)
	v_fma_mix_f32 v4, v17, v8, v4 op_sel_hi:[0,1,0]
	s_waitcnt vmcnt(59) lgkmcnt(2)
	v_fma_mix_f32 v4, v18, v9, v4 op_sel_hi:[0,1,0]
	s_waitcnt vmcnt(58)
	v_fma_mix_f32 v4, v19, v10, v4 op_sel_hi:[0,1,0]
	s_waitcnt vmcnt(57)
	;; [unrolled: 2-line block ×3, first 2 shown]
	v_fma_mix_f32 v4, v21, v12, v4 op_sel_hi:[0,1,0]
	s_waitcnt vmcnt(55) lgkmcnt(1)
	v_fma_mix_f32 v4, v22, v13, v4 op_sel_hi:[0,1,0]
	s_waitcnt vmcnt(54)
	v_fma_mix_f32 v4, v23, v30, v4 op_sel_hi:[0,1,0]
	s_waitcnt vmcnt(53)
	v_fma_mix_f32 v4, v24, v31, v4 op_sel_hi:[0,1,0]
	s_waitcnt vmcnt(52)
	v_fma_mix_f32 v4, v25, v32, v4 op_sel_hi:[0,1,0]
	s_waitcnt vmcnt(51) lgkmcnt(0)
	v_fma_mix_f32 v8, v26, v33, v4 op_sel_hi:[0,1,0]
	ds_read_b128 v[4:7], v85 offset:64
	s_waitcnt vmcnt(50)
	v_fma_mix_f32 v8, v27, v34, v8 op_sel_hi:[0,1,0]
	s_waitcnt vmcnt(49)
	v_fma_mix_f32 v8, v28, v35, v8 op_sel_hi:[0,1,0]
	s_waitcnt vmcnt(48)
	v_fma_mix_f32 v12, v29, v36, v8 op_sel_hi:[0,1,0]
	ds_read_b128 v[8:11], v85 offset:80
	s_waitcnt vmcnt(47) lgkmcnt(1)
	v_fma_mix_f32 v4, v4, v37, v12 op_sel_hi:[0,1,0]
	s_waitcnt vmcnt(46)
	v_fma_mix_f32 v4, v5, v38, v4 op_sel_hi:[0,1,0]
	s_waitcnt vmcnt(45)
	v_fma_mix_f32 v4, v6, v39, v4 op_sel_hi:[0,1,0]
	s_waitcnt vmcnt(44)
	v_fma_mix_f32 v4, v7, v40, v4 op_sel_hi:[0,1,0]
	s_waitcnt vmcnt(43) lgkmcnt(0)
	v_fma_mix_f32 v8, v8, v41, v4 op_sel_hi:[0,1,0]
	ds_read_b128 v[4:7], v85 offset:96
	s_waitcnt vmcnt(42)
	v_fma_mix_f32 v8, v9, v42, v8 op_sel_hi:[0,1,0]
	s_waitcnt vmcnt(41)
	v_fma_mix_f32 v8, v10, v43, v8 op_sel_hi:[0,1,0]
	s_waitcnt vmcnt(40)
	v_fma_mix_f32 v12, v11, v44, v8 op_sel_hi:[0,1,0]
	ds_read_b128 v[8:11], v85 offset:112
	;; [unrolled: 18-line block ×6, first 2 shown]
	s_waitcnt vmcnt(7) lgkmcnt(1)
	v_fma_mix_f32 v4, v4, v77, v12 op_sel_hi:[0,1,0]
	s_waitcnt vmcnt(6)
	v_fma_mix_f32 v4, v5, v78, v4 op_sel_hi:[0,1,0]
	s_waitcnt vmcnt(5)
	;; [unrolled: 2-line block ×3, first 2 shown]
	v_fma_mix_f32 v4, v7, v80, v4 op_sel_hi:[0,1,0]
	s_waitcnt vmcnt(3) lgkmcnt(0)
	v_fma_mix_f32 v4, v8, v81, v4 op_sel_hi:[0,1,0]
	s_waitcnt vmcnt(2)
	v_fma_mix_f32 v4, v9, v82, v4 op_sel_hi:[0,1,0]
	s_waitcnt vmcnt(1)
	;; [unrolled: 2-line block ×3, first 2 shown]
	v_fma_mix_f32 v4, v11, v84, v4 op_sel_hi:[0,1,0]
	s_branch .LBB35_16
.LBB35_19:
	v_mov_b32_e32 v2, 0
	ds_read_b32 v2, v2 offset:4096
	s_cmp_lg_u64 s[6:7], 0
	s_cbranch_scc0 .LBB35_24
; %bb.20:
	s_load_dword s6, s[6:7], 0x0
	s_waitcnt lgkmcnt(0)
	v_div_scale_f32 v3, s[0:1], s6, s6, 1.0
	v_rcp_f32_e32 v5, v3
	v_div_scale_f32 v6, vcc, 1.0, s6, 1.0
	v_fma_f32 v7, -v3, v5, 1.0
	v_fmac_f32_e32 v5, v7, v5
	v_mul_f32_e32 v7, v6, v5
	v_fma_f32 v8, -v3, v7, v6
	v_fmac_f32_e32 v7, v8, v5
	v_fma_f32 v3, -v3, v7, v6
	v_div_fmas_f32 v3, v3, v5, v7
	v_div_fixup_f32 v3, v3, s6, 1.0
	s_andn2_b64 vcc, exec, s[50:51]
	s_cbranch_vccnz .LBB35_22
.LBB35_21:
	s_add_u32 s0, s48, s52
	s_addc_u32 s1, s49, s53
	s_load_dword s38, s[0:1], 0x0
	s_mov_b32 s39, 0
.LBB35_22:
	s_waitcnt lgkmcnt(0)
	v_add_f32_e32 v2, 0x358637bd, v2
	v_div_scale_f32 v5, s[0:1], v2, v2, 1.0
	v_rcp_f32_e32 v6, v5
	v_div_scale_f32 v7, vcc, 1.0, v2, 1.0
	s_mul_i32 s0, s3, s39
	v_fma_f32 v8, -v5, v6, 1.0
	v_fmac_f32_e32 v6, v8, v6
	v_mul_f32_e32 v8, v7, v6
	v_fma_f32 v9, -v5, v8, v7
	v_fmac_f32_e32 v8, v9, v6
	v_fma_f32 v5, -v5, v8, v7
	s_mul_hi_u32 s1, s3, s38
	v_div_fmas_f32 v5, v5, v6, v8
	s_add_i32 s1, s1, s0
	s_mul_i32 s0, s3, s38
	v_div_fixup_f32 v2, v5, v2, 1.0
	s_lshl_b64 s[0:1], s[0:1], 6
	v_mul_f32_e32 v2, v4, v2
	s_add_u32 s4, s4, s0
	s_mov_b32 s3, 0
	v_mul_f32_e32 v2, v2, v3
	s_addc_u32 s5, s5, s1
	s_lshl_b64 s[0:1], s[2:3], 6
	s_mov_b32 s2, 0x7f800000
	s_mov_b32 s3, 0x43700000
	v_mov_b32_e32 v3, 0xc3700000
	v_med3_f32 v3, v2, s3, v3
	v_cmp_nlg_f32_e64 vcc, |v2|, s2
	s_add_u32 s0, s4, s0
	s_addc_u32 s1, s5, s1
	v_cndmask_b32_e32 v2, v3, v2, vcc
	v_mov_b32_e32 v3, 0
	v_cvt_pk_fp8_f32 v3, v2, v2
	v_lshl_add_u64 v[0:1], s[0:1], 0, v[0:1]
	global_store_byte v[0:1], v3, off
	s_endpgm
.LBB35_23:
	s_mov_b64 s[6:7], 0
	s_branch .LBB35_2
.LBB35_24:
	v_mov_b32_e32 v3, 1.0
	s_andn2_b64 vcc, exec, s[50:51]
	s_cbranch_vccz .LBB35_21
	s_branch .LBB35_22
	.section	.rodata,"a",@progbits
	.p2align	6, 0x0
	.amdhsa_kernel _Z35paged_attention_ll4mi_reduce_kernelIDF16_hLi64ELi64ELi256ELi16EEvPT0_PKfS3_PKT_PKiS8_iS3_
		.amdhsa_group_segment_fixed_size 4100
		.amdhsa_private_segment_fixed_size 0
		.amdhsa_kernarg_size 320
		.amdhsa_user_sgpr_count 2
		.amdhsa_user_sgpr_dispatch_ptr 0
		.amdhsa_user_sgpr_queue_ptr 0
		.amdhsa_user_sgpr_kernarg_segment_ptr 1
		.amdhsa_user_sgpr_dispatch_id 0
		.amdhsa_user_sgpr_kernarg_preload_length 0
		.amdhsa_user_sgpr_kernarg_preload_offset 0
		.amdhsa_user_sgpr_private_segment_size 0
		.amdhsa_uses_dynamic_stack 0
		.amdhsa_enable_private_segment 0
		.amdhsa_system_sgpr_workgroup_id_x 1
		.amdhsa_system_sgpr_workgroup_id_y 1
		.amdhsa_system_sgpr_workgroup_id_z 0
		.amdhsa_system_sgpr_workgroup_info 0
		.amdhsa_system_vgpr_workitem_id 0
		.amdhsa_next_free_vgpr 92
		.amdhsa_next_free_sgpr 61
		.amdhsa_accum_offset 92
		.amdhsa_reserve_vcc 1
		.amdhsa_float_round_mode_32 0
		.amdhsa_float_round_mode_16_64 0
		.amdhsa_float_denorm_mode_32 3
		.amdhsa_float_denorm_mode_16_64 3
		.amdhsa_dx10_clamp 1
		.amdhsa_ieee_mode 1
		.amdhsa_fp16_overflow 0
		.amdhsa_tg_split 0
		.amdhsa_exception_fp_ieee_invalid_op 0
		.amdhsa_exception_fp_denorm_src 0
		.amdhsa_exception_fp_ieee_div_zero 0
		.amdhsa_exception_fp_ieee_overflow 0
		.amdhsa_exception_fp_ieee_underflow 0
		.amdhsa_exception_fp_ieee_inexact 0
		.amdhsa_exception_int_div_zero 0
	.end_amdhsa_kernel
	.section	.text._Z35paged_attention_ll4mi_reduce_kernelIDF16_hLi64ELi64ELi256ELi16EEvPT0_PKfS3_PKT_PKiS8_iS3_,"axG",@progbits,_Z35paged_attention_ll4mi_reduce_kernelIDF16_hLi64ELi64ELi256ELi16EEvPT0_PKfS3_PKT_PKiS8_iS3_,comdat
.Lfunc_end35:
	.size	_Z35paged_attention_ll4mi_reduce_kernelIDF16_hLi64ELi64ELi256ELi16EEvPT0_PKfS3_PKT_PKiS8_iS3_, .Lfunc_end35-_Z35paged_attention_ll4mi_reduce_kernelIDF16_hLi64ELi64ELi256ELi16EEvPT0_PKfS3_PKT_PKiS8_iS3_
                                        ; -- End function
	.section	.AMDGPU.csdata,"",@progbits
; Kernel info:
; codeLenInByte = 10736
; NumSgprs: 67
; NumVgprs: 92
; NumAgprs: 0
; TotalNumVgprs: 92
; ScratchSize: 0
; MemoryBound: 0
; FloatMode: 240
; IeeeMode: 1
; LDSByteSize: 4100 bytes/workgroup (compile time only)
; SGPRBlocks: 8
; VGPRBlocks: 11
; NumSGPRsForWavesPerEU: 67
; NumVGPRsForWavesPerEU: 92
; AccumOffset: 92
; Occupancy: 4
; WaveLimiterHint : 1
; COMPUTE_PGM_RSRC2:SCRATCH_EN: 0
; COMPUTE_PGM_RSRC2:USER_SGPR: 2
; COMPUTE_PGM_RSRC2:TRAP_HANDLER: 0
; COMPUTE_PGM_RSRC2:TGID_X_EN: 1
; COMPUTE_PGM_RSRC2:TGID_Y_EN: 1
; COMPUTE_PGM_RSRC2:TGID_Z_EN: 0
; COMPUTE_PGM_RSRC2:TIDIG_COMP_CNT: 0
; COMPUTE_PGM_RSRC3_GFX90A:ACCUM_OFFSET: 22
; COMPUTE_PGM_RSRC3_GFX90A:TG_SPLIT: 0
	.section	.text._Z38paged_attention_ll4mi_QKV_mfma4_kernelIDF16_DF16_LN4vllm18Fp8KVCacheDataTypeE0EhLi16ELi64ELi256ELb0ELi1EEvPKT_PKT0_S7_ifPKiS9_S9_iPKfiiiPfSC_PS2_PT2_iSB_SB_,"axG",@progbits,_Z38paged_attention_ll4mi_QKV_mfma4_kernelIDF16_DF16_LN4vllm18Fp8KVCacheDataTypeE0EhLi16ELi64ELi256ELb0ELi1EEvPKT_PKT0_S7_ifPKiS9_S9_iPKfiiiPfSC_PS2_PT2_iSB_SB_,comdat
	.protected	_Z38paged_attention_ll4mi_QKV_mfma4_kernelIDF16_DF16_LN4vllm18Fp8KVCacheDataTypeE0EhLi16ELi64ELi256ELb0ELi1EEvPKT_PKT0_S7_ifPKiS9_S9_iPKfiiiPfSC_PS2_PT2_iSB_SB_ ; -- Begin function _Z38paged_attention_ll4mi_QKV_mfma4_kernelIDF16_DF16_LN4vllm18Fp8KVCacheDataTypeE0EhLi16ELi64ELi256ELb0ELi1EEvPKT_PKT0_S7_ifPKiS9_S9_iPKfiiiPfSC_PS2_PT2_iSB_SB_
	.globl	_Z38paged_attention_ll4mi_QKV_mfma4_kernelIDF16_DF16_LN4vllm18Fp8KVCacheDataTypeE0EhLi16ELi64ELi256ELb0ELi1EEvPKT_PKT0_S7_ifPKiS9_S9_iPKfiiiPfSC_PS2_PT2_iSB_SB_
	.p2align	8
	.type	_Z38paged_attention_ll4mi_QKV_mfma4_kernelIDF16_DF16_LN4vllm18Fp8KVCacheDataTypeE0EhLi16ELi64ELi256ELb0ELi1EEvPKT_PKT0_S7_ifPKiS9_S9_iPKfiiiPfSC_PS2_PT2_iSB_SB_,@function
_Z38paged_attention_ll4mi_QKV_mfma4_kernelIDF16_DF16_LN4vllm18Fp8KVCacheDataTypeE0EhLi16ELi64ELi256ELb0ELi1EEvPKT_PKT0_S7_ifPKiS9_S9_iPKfiiiPfSC_PS2_PT2_iSB_SB_: ; @_Z38paged_attention_ll4mi_QKV_mfma4_kernelIDF16_DF16_LN4vllm18Fp8KVCacheDataTypeE0EhLi16ELi64ELi256ELb0ELi1EEvPKT_PKT0_S7_ifPKiS9_S9_iPKfiiiPfSC_PS2_PT2_iSB_SB_
; %bb.0:
	s_load_dwordx2 s[16:17], s[0:1], 0x30
	s_mov_b32 s20, s3
	s_mov_b64 s[6:7], 0
	s_waitcnt lgkmcnt(0)
	s_cmp_lg_u64 s[16:17], 0
	s_cselect_b64 s[18:19], -1, 0
	s_and_b64 vcc, exec, s[18:19]
	s_cbranch_vccz .LBB36_10
; %bb.1:
	s_add_i32 s8, s2, 1
	s_mov_b32 s9, 0
	s_lshl_b64 s[10:11], s[8:9], 2
	s_add_u32 s10, s16, s10
	s_mov_b32 s3, s9
	s_addc_u32 s11, s17, s11
	s_lshl_b64 s[8:9], s[2:3], 2
	s_add_u32 s8, s16, s8
	s_addc_u32 s9, s17, s9
	s_load_dword s5, s[10:11], 0x0
	s_load_dword s12, s[8:9], 0x0
	s_waitcnt lgkmcnt(0)
	s_sub_i32 s5, s5, s12
	s_cmp_eq_u32 s5, 1
	s_cselect_b64 s[8:9], -1, 0
	s_andn2_b64 vcc, exec, s[6:7]
	s_cbranch_vccnz .LBB36_3
.LBB36_2:
	s_mov_b32 s3, 0
	s_mov_b64 s[8:9], -1
.LBB36_3:
	s_andn2_b64 vcc, exec, s[8:9]
	s_cbranch_vccnz .LBB36_23
; %bb.4:
	s_load_dword s5, s[0:1], 0x9c
	s_load_dwordx2 s[6:7], s[0:1], 0x28
	s_add_u32 s24, s0, 0x90
	s_addc_u32 s25, s1, 0
	s_lshl_b64 s[28:29], s[2:3], 2
	s_waitcnt lgkmcnt(0)
	s_and_b32 s5, s5, 0xffff
	s_add_u32 s6, s6, s28
	s_addc_u32 s7, s7, s29
	s_load_dword s3, s[6:7], 0x0
	s_mul_i32 s10, s20, s5
	s_waitcnt lgkmcnt(0)
	s_cmp_ge_i32 s10, s3
	s_cbranch_scc1 .LBB36_23
; %bb.5:
	v_and_b32_e32 v2, 0xc0, v0
	v_add_u32_e32 v2, s10, v2
	v_lshrrev_b32_e32 v1, 6, v0
	v_cmp_gt_i32_e64 s[6:7], s3, v2
	v_cmp_le_i32_e32 vcc, s3, v2
                                        ; implicit-def: $sgpr21
                                        ; implicit-def: $sgpr11
	s_and_saveexec_b64 s[8:9], vcc
	s_xor_b64 s[8:9], exec, s[8:9]
	s_cbranch_execz .LBB36_7
; %bb.6:
	v_mul_u32_u24_e32 v2, 20, v1
	v_or_b32_e32 v2, 0xa00, v2
	v_mov_b32_e32 v3, 0xa50
	v_mov_b32_e32 v4, 0xff7fffff
	v_mad_u32_u24 v3, v1, 20, v3
	ds_write2_b32 v2, v4, v4 offset1:1
	v_mov_b32_e32 v2, 0
	ds_write2_b32 v3, v2, v2 offset1:1
	v_mov_b32_e32 v3, 0xa08
	s_mov_b32 s11, 0xff7fffff
	s_mov_b32 s21, 0
	v_mad_u32_u24 v3, v1, 20, v3
	v_mov_b32_e32 v5, 0xa58
	v_mad_u32_u24 v5, v1, 20, v5
	ds_write2_b32 v3, v4, v4 offset1:1
	ds_write2_b32 v5, v2, v2 offset1:1
                                        ; implicit-def: $vgpr2
.LBB36_7:
	s_or_saveexec_b64 s[26:27], s[8:9]
	s_load_dwordx2 s[22:23], s[0:1], 0x68
	s_load_dwordx4 s[12:15], s[0:1], 0x58
	s_load_dword s5, s[24:25], 0x4
	v_and_b32_e32 v40, 63, v0
	v_and_b32_e32 v39, 3, v0
	v_mov_b32_e32 v37, s21
	v_mov_b32_e32 v41, s11
	;; [unrolled: 1-line block ×5, first 2 shown]
                                        ; implicit-def: $vgpr3
                                        ; implicit-def: $vgpr7
                                        ; implicit-def: $vgpr11
                                        ; implicit-def: $vgpr15
                                        ; implicit-def: $vgpr19
                                        ; implicit-def: $vgpr23
                                        ; implicit-def: $vgpr27
                                        ; implicit-def: $vgpr31
	s_xor_b64 exec, exec, s[26:27]
	s_cbranch_execz .LBB36_17
; %bb.8:
	s_add_i32 s21, s3, 15
	s_load_dwordx2 s[8:9], s[0:1], 0x20
	s_load_dword s11, s[0:1], 0x38
	s_ashr_i32 s30, s21, 31
	s_lshr_b32 s30, s30, 28
	v_add_u32_e32 v38, s10, v0
	s_add_i32 s21, s21, s30
	v_ashrrev_i32_e32 v3, 31, v38
	s_ashr_i32 s21, s21, 4
	v_lshrrev_b32_e32 v3, 28, v3
	s_add_i32 s21, s21, -1
	v_add_u32_e32 v3, v38, v3
	s_waitcnt lgkmcnt(0)
	s_mul_i32 s30, s2, s11
	s_mov_b32 s31, 0
	v_ashrrev_i32_e32 v3, 4, v3
	v_mov_b32_e32 v4, s21
	v_cmp_gt_i32_e32 vcc, s3, v38
	s_lshl_b64 s[30:31], s[30:31], 2
	s_add_u32 s8, s8, s30
	v_cndmask_b32_e32 v4, v4, v3, vcc
	v_ashrrev_i32_e32 v3, 31, v2
	v_lshrrev_b32_e32 v3, 28, v3
	s_addc_u32 s9, s9, s31
	v_ashrrev_i32_e32 v5, 31, v4
	v_add_u32_e32 v2, v2, v3
	v_lshl_add_u64 v[8:9], v[4:5], 2, s[8:9]
	v_ashrrev_i32_e32 v4, 4, v2
	v_min_i32_e32 v2, s21, v4
	v_ashrrev_i32_e32 v3, 31, v2
	v_lshl_add_u64 v[10:11], v[2:3], 2, s[8:9]
	v_add_u32_e32 v2, 1, v4
	v_min_i32_e32 v2, s21, v2
	v_ashrrev_i32_e32 v3, 31, v2
	v_lshl_add_u64 v[12:13], v[2:3], 2, s[8:9]
	v_add_u32_e32 v2, 2, v4
	;; [unrolled: 4-line block ×3, first 2 shown]
	v_min_i32_e32 v2, s21, v2
	v_ashrrev_i32_e32 v3, 31, v2
	v_lshl_add_u64 v[16:17], v[2:3], 2, s[8:9]
	global_load_dword v2, v[8:9], off
	global_load_dword v7, v[10:11], off
	;; [unrolled: 1-line block ×5, first 2 shown]
	s_load_dwordx4 s[8:11], s[0:1], 0x8
	s_andn2_b64 vcc, exec, s[18:19]
	s_cbranch_vccnz .LBB36_11
; %bb.9:
	s_add_u32 s16, s16, s28
	s_addc_u32 s17, s17, s29
	s_load_dword s21, s[16:17], 0x0
	s_branch .LBB36_12
.LBB36_10:
	s_mov_b64 s[8:9], 0
	s_branch .LBB36_2
.LBB36_11:
	s_mov_b32 s21, s2
.LBB36_12:
	s_load_dwordx4 s[16:19], s[0:1], 0x48
	v_cmp_eq_u32_e32 vcc, 0, v39
	s_mov_b32 s29, 0
	v_mov_b32_e32 v41, 0
	v_mov_b32_e32 v3, 0
	;; [unrolled: 1-line block ×6, first 2 shown]
	s_and_saveexec_b64 s[30:31], vcc
	s_cbranch_execz .LBB36_14
; %bb.13:
	s_load_dwordx2 s[34:35], s[0:1], 0x0
	s_waitcnt lgkmcnt(0)
	s_ashr_i32 s19, s16, 31
	s_mul_hi_u32 s28, s21, s16
	s_mul_i32 s19, s21, s19
	s_add_i32 s37, s28, s19
	s_mul_i32 s36, s21, s16
	s_lshl_b64 s[36:37], s[36:37], 1
	s_add_u32 s16, s34, s36
	s_addc_u32 s19, s35, s37
	s_lshl_b32 s28, s4, 6
	s_lshl_b64 s[34:35], s[28:29], 1
	s_add_u32 s34, s16, s34
	s_addc_u32 s35, s19, s35
	v_lshlrev_b32_e32 v8, 2, v40
	global_load_dwordx4 v[34:37], v8, s[34:35]
	v_mov_b32_e32 v41, 1.0
.LBB36_14:
	s_or_b64 exec, exec, s[30:31]
	s_waitcnt lgkmcnt(0)
	s_mul_i32 s28, s4, s18
	s_lshl_b64 s[18:19], s[28:29], 1
	s_add_u32 s8, s18, s8
	s_waitcnt vmcnt(4)
	v_mad_i64_i32 v[8:9], s[30:31], v2, s17, 0
	s_addc_u32 s9, s19, s9
	v_and_b32_e32 v2, 15, v0
	v_lshl_add_u64 v[8:9], v[8:9], 1, s[8:9]
	v_lshlrev_b32_e32 v2, 4, v2
	v_lshl_add_u64 v[32:33], v[8:9], 0, v[2:3]
	global_load_dwordx4 v[8:11], v[32:33], off
	global_load_dwordx4 v[12:15], v[32:33], off offset:256
	global_load_dwordx4 v[16:19], v[32:33], off offset:512
	;; [unrolled: 1-line block ×7, first 2 shown]
	s_waitcnt vmcnt(11)
	v_mul_hi_i32 v2, v7, s17
	s_add_u32 s8, s10, s18
	s_waitcnt vmcnt(10)
	v_mul_hi_i32 v32, v6, s17
	s_waitcnt vmcnt(9)
	v_mul_hi_i32 v33, v5, s17
	v_ashrrev_i32_e32 v51, 31, v2
	s_addc_u32 s9, s11, s19
	v_lshlrev_b32_e32 v2, 5, v40
	s_waitcnt vmcnt(8)
	v_mul_hi_i32 v50, v4, s17
	v_ashrrev_i32_e32 v52, 31, v32
	v_ashrrev_i32_e32 v53, 31, v33
	v_lshl_add_u64 v[32:33], s[8:9], 0, v[2:3]
	v_lshrrev_b32_e32 v2, 29, v51
	v_ashrrev_i32_e32 v54, 31, v50
	v_mad_i64_i32 v[50:51], s[8:9], v7, s17, v[2:3]
	v_lshrrev_b32_e32 v2, 29, v52
	v_lshlrev_b64 v[50:51], 1, v[50:51]
	v_mad_i64_i32 v[6:7], s[8:9], v6, s17, v[2:3]
	v_lshrrev_b32_e32 v2, 29, v53
	v_and_b32_e32 v50, -16, v50
	v_lshlrev_b64 v[52:53], 1, v[6:7]
	v_mad_i64_i32 v[6:7], s[8:9], v5, s17, v[2:3]
	v_lshrrev_b32_e32 v2, 29, v54
	v_lshl_add_u64 v[50:51], v[32:33], 0, v[50:51]
	v_and_b32_e32 v52, -16, v52
	v_lshlrev_b64 v[54:55], 1, v[6:7]
	v_and_b32_e32 v54, -16, v54
	s_load_dword s0, s[0:1], 0x1c
	v_cmp_eq_u32_e32 vcc, 1, v39
	v_and_b32_e32 v59, -4, v38
	v_or_b32_e32 v38, 3, v38
	v_cndmask_b32_e64 v56, 0, 1.0, vcc
	v_cmp_eq_u32_e32 vcc, 2, v39
	v_cmp_gt_i32_e64 s[10:11], s3, v38
	v_lshlrev_b32_e32 v60, 2, v0
	v_cndmask_b32_e64 v57, 0, 1.0, vcc
	v_cmp_eq_u32_e32 vcc, 3, v39
	s_waitcnt vmcnt(7)
	v_mfma_f32_4x4x4_16b_f16 a[0:3], v[34:35], v[8:9], 0 cbsz:4
	v_cndmask_b32_e64 v58, 0, 1.0, vcc
	s_nop 0
	v_mfma_f32_4x4x4_16b_f16 a[0:3], v[36:37], v[10:11], a[0:3] cbsz:4
	v_mad_i64_i32 v[10:11], s[8:9], v4, s17, v[2:3]
	s_waitcnt vmcnt(6)
	v_mfma_f32_4x4x4_16b_f16 a[0:3], v[34:35], v[12:13], a[0:3] cbsz:4 abid:1
	global_load_dwordx4 v[2:5], v[50:51], off
	global_load_dwordx4 v[6:9], v[50:51], off offset:16
	v_mfma_f32_4x4x4_16b_f16 a[0:3], v[36:37], v[14:15], a[0:3] cbsz:4 abid:1
	v_lshl_add_u64 v[50:51], v[32:33], 0, v[52:53]
	v_lshlrev_b64 v[52:53], 1, v[10:11]
	s_waitcnt vmcnt(7)
	v_mfma_f32_4x4x4_16b_f16 a[0:3], v[34:35], v[16:17], a[0:3] cbsz:4 abid:2
	global_load_dwordx4 v[10:13], v[50:51], off
	global_load_dwordx4 v[14:17], v[50:51], off offset:16
	v_mfma_f32_4x4x4_16b_f16 a[0:3], v[36:37], v[18:19], a[0:3] cbsz:4 abid:2
	v_lshl_add_u64 v[50:51], v[32:33], 0, v[54:55]
	v_and_b32_e32 v52, -16, v52
	s_waitcnt vmcnt(8)
	v_mfma_f32_4x4x4_16b_f16 a[0:3], v[34:35], v[20:21], a[0:3] cbsz:4 abid:3
	v_cmp_gt_i32_e32 vcc, s3, v59
	s_nop 0
	v_mfma_f32_4x4x4_16b_f16 a[0:3], v[36:37], v[22:23], a[0:3] cbsz:4 abid:3
	s_waitcnt vmcnt(7)
	s_nop 0
	v_mfma_f32_4x4x4_16b_f16 a[0:3], v[34:35], v[24:25], a[0:3] cbsz:4 abid:4
	global_load_dwordx4 v[18:21], v[50:51], off
	global_load_dwordx4 v[22:25], v[50:51], off offset:16
	v_mfma_f32_4x4x4_16b_f16 a[0:3], v[36:37], v[26:27], a[0:3] cbsz:4 abid:4
	v_lshl_add_u64 v[50:51], v[32:33], 0, v[52:53]
	s_waitcnt vmcnt(8)
	v_mfma_f32_4x4x4_16b_f16 a[0:3], v[34:35], v[28:29], a[0:3] cbsz:4 abid:5
	s_nop 1
	v_mfma_f32_4x4x4_16b_f16 a[0:3], v[36:37], v[30:31], a[0:3] cbsz:4 abid:5
	global_load_dwordx4 v[26:29], v[50:51], off
	global_load_dwordx4 v[30:33], v[50:51], off offset:16
	s_waitcnt vmcnt(9)
	v_mfma_f32_4x4x4_16b_f16 a[0:3], v[34:35], v[42:43], a[0:3] cbsz:4 abid:6
	v_mov_b32_e32 v42, 0xff7fffff
	v_and_or_b32 v43, v60, 48, v39
	v_mfma_f32_4x4x4_16b_f16 a[0:3], v[36:37], v[44:45], a[0:3] cbsz:4 abid:6
	v_lshlrev_b32_e32 v43, 2, v43
	s_waitcnt vmcnt(8)
	v_mfma_f32_4x4x4_16b_f16 a[0:3], v[34:35], v[46:47], a[0:3] cbsz:4 abid:7
	s_nop 1
	v_mfma_f32_4x4x4_16b_f16 a[0:3], v[36:37], v[48:49], a[0:3] cbsz:4 abid:7
	s_nop 4
	v_accvgpr_read_b32 v35, a1
	v_accvgpr_read_b32 v34, a0
	s_waitcnt lgkmcnt(0)
	v_pk_mul_f32 v[34:35], s[0:1], v[34:35] op_sel_hi:[0,1]
	v_accvgpr_read_b32 v37, a3
	v_accvgpr_read_b32 v36, a2
	v_pk_mul_f32 v[36:37], s[0:1], v[36:37] op_sel_hi:[0,1]
	v_mfma_f32_4x4x1_16b_f32 a[0:3], v34, v41, 0
	v_or_b32_e32 v34, 1, v59
	s_nop 0
	v_mfma_f32_4x4x1_16b_f32 a[0:3], v35, v56, a[0:3]
	v_cmp_gt_i32_e64 s[0:1], s3, v34
	v_or_b32_e32 v35, 2, v59
	v_mfma_f32_4x4x1_16b_f32 a[0:3], v36, v57, a[0:3]
	v_cmp_gt_i32_e64 s[8:9], s3, v35
	s_nop 0
	v_mfma_f32_4x4x1_16b_f32 a[0:3], v37, v58, a[0:3]
	s_nop 3
	v_accvgpr_read_b32 v36, a0
	v_max_f32_e32 v41, v36, v36
	v_accvgpr_read_b32 v37, a1
	v_max_f32_e32 v41, 0xff7fffff, v41
	v_max_f32_e32 v46, v37, v37
	v_cndmask_b32_e32 v41, v42, v41, vcc
	v_accvgpr_read_b32 v44, a2
	v_max_f32_e32 v42, v41, v46
	v_max_f32_e32 v47, v44, v44
	v_cndmask_b32_e64 v34, v41, v42, s[0:1]
	v_accvgpr_read_b32 v45, a3
	v_max_f32_e32 v41, v34, v47
	v_max_f32_e32 v48, v45, v45
	v_cndmask_b32_e64 v34, v34, v41, s[8:9]
	v_max_f32_e32 v35, v34, v48
	v_cndmask_b32_e64 v34, v34, v35, s[10:11]
	;;#ASMSTART
	v_nop
 v_nop
 v_max_f32_dpp v34, v34, v34 row_ror:4
	;;#ASMEND
	s_nop 0
	;;#ASMSTART
	v_nop
 v_nop
 v_max_f32_dpp v34, v34, v34 row_ror:8
	;;#ASMEND
	ds_bpermute_b32 v34, v43, v34
	s_waitcnt lgkmcnt(0)
	;;#ASMSTART
	v_nop
 v_nop
 v_max_f32_dpp v34, v34, v34 row_ror:4
	;;#ASMEND
	s_nop 0
	;;#ASMSTART
	v_nop
 v_nop
 v_max_f32_dpp v41, v34, v34 row_ror:8
	;;#ASMEND
	s_nop 0
	v_sub_f32_e32 v34, v36, v41
	v_sub_f32_e32 v35, v37, v41
	v_mul_f32_e32 v34, 0x3fb8aa3b, v34
	v_sub_f32_e32 v36, v44, v41
	v_mul_f32_e32 v35, 0x3fb8aa3b, v35
	v_exp_f32_e32 v34, v34
	v_sub_f32_e32 v37, v45, v41
	v_mul_f32_e32 v36, 0x3fb8aa3b, v36
	v_exp_f32_e32 v35, v35
	v_mul_f32_e32 v37, 0x3fb8aa3b, v37
	v_exp_f32_e32 v36, v36
	v_exp_f32_e32 v37, v37
	v_cndmask_b32_e32 v34, 0, v34, vcc
	v_cndmask_b32_e64 v35, 0, v35, s[0:1]
	v_add_f32_e32 v38, 0, v34
	v_cndmask_b32_e64 v36, 0, v36, s[8:9]
	v_add_f32_e32 v38, v38, v35
	;; [unrolled: 2-line block ×3, first 2 shown]
	v_add_f32_e32 v38, v38, v37
	;;#ASMSTART
	v_nop
 v_nop
 v_add_f32_dpp v38, v38, v38 row_ror:4
	;;#ASMEND
	v_cmp_gt_u32_e32 vcc, 4, v40
	;;#ASMSTART
	v_nop
 v_nop
 v_add_f32_dpp v38, v38, v38 row_ror:8
	;;#ASMEND
	ds_bpermute_b32 v38, v43, v38
	s_waitcnt lgkmcnt(0)
	;;#ASMSTART
	v_nop
 v_nop
 v_add_f32_dpp v38, v38, v38 row_ror:4
	;;#ASMEND
	s_nop 0
	;;#ASMSTART
	v_nop
 v_nop
 v_add_f32_dpp v38, v38, v38 row_ror:8
	;;#ASMEND
	s_and_saveexec_b64 s[0:1], vcc
	s_cbranch_execz .LBB36_16
; %bb.15:
	v_mul_u32_u24_e32 v42, 20, v1
	v_lshl_add_u32 v42, v39, 2, v42
	v_add_u32_e32 v42, 0x800, v42
	ds_write2_b32 v42, v41, v38 offset0:128 offset1:148
.LBB36_16:
	s_or_b64 exec, exec, s[0:1]
.LBB36_17:
	s_or_b64 exec, exec, s[26:27]
	s_waitcnt lgkmcnt(0)
	s_barrier
	s_load_dword s0, s[24:25], 0x8
	v_lshlrev_b32_e32 v38, 2, v39
	v_add_u32_e32 v43, 0x800, v38
	ds_read2_b32 v[44:45], v43 offset0:128 offset1:133
	ds_read2_b32 v[46:47], v43 offset0:138 offset1:143
	s_mul_i32 s1, s5, s2
	s_waitcnt lgkmcnt(0)
	s_mul_i32 s0, s1, s0
	s_mov_b32 s1, 0xff7fffff
	v_max3_f32 v38, v44, s1, v45
	v_max3_f32 v42, v38, v46, v47
	v_sub_f32_e32 v38, v44, v42
	v_sub_f32_e32 v44, v45, v42
	v_mul_f32_e32 v44, 0x3fb8aa3b, v44
	ds_read2_b32 v[48:49], v43 offset0:148 offset1:153
	v_mul_f32_e32 v38, 0x3fb8aa3b, v38
	v_exp_f32_e32 v51, v44
	ds_read2_b32 v[44:45], v43 offset0:158 offset1:163
	v_sub_f32_e32 v43, v46, v42
	v_exp_f32_e32 v50, v38
	v_mul_f32_e32 v43, 0x3fb8aa3b, v43
	v_exp_f32_e32 v46, v43
	v_sub_f32_e32 v43, v47, v42
	v_mul_f32_e32 v43, 0x3fb8aa3b, v43
	v_exp_f32_e32 v47, v43
	s_waitcnt lgkmcnt(1)
	v_fma_f32 v43, v50, v48, 0
	v_fmac_f32_e32 v43, v51, v49
	s_waitcnt lgkmcnt(0)
	v_fmac_f32_e32 v43, v46, v44
	v_mov_b32_e32 v38, 0
	v_fmac_f32_e32 v43, v47, v45
	s_mov_b32 s1, 0
	v_cmp_eq_u32_e32 vcc, 0, v39
	s_and_saveexec_b64 s[2:3], vcc
	s_cbranch_execz .LBB36_19
; %bb.18:
	s_lshl_b64 s[8:9], s[0:1], 2
	s_add_u32 s12, s12, s8
	s_mov_b32 s21, s1
	s_addc_u32 s13, s13, s9
	s_lshl_b64 s[10:11], s[20:21], 2
	s_add_u32 s12, s12, s10
	s_addc_u32 s13, s13, s11
	s_add_u32 s8, s14, s8
	s_addc_u32 s9, s15, s9
	;; [unrolled: 2-line block ×3, first 2 shown]
	s_mul_i32 s8, s5, s4
	s_mov_b32 s9, s1
	s_lshl_b64 s[8:9], s[8:9], 2
	s_add_u32 s10, s12, s8
	s_addc_u32 s11, s13, s9
	s_add_u32 s8, s14, s8
	s_addc_u32 s9, s15, s9
	global_store_dword v38, v42, s[8:9]
	global_store_dword v38, v43, s[10:11]
.LBB36_19:
	s_or_b64 exec, exec, s[2:3]
	v_mov_b32_e32 v39, 0
	s_and_saveexec_b64 s[2:3], s[6:7]
	s_cbranch_execz .LBB36_21
; %bb.20:
	v_add_f32_e32 v38, 0x358637bd, v43
	v_div_scale_f32 v39, s[6:7], v38, v38, 1.0
	v_rcp_f32_e32 v43, v39
	v_div_scale_f32 v44, vcc, 1.0, v38, 1.0
	v_sub_f32_e32 v41, v41, v42
	v_fma_f32 v45, -v39, v43, 1.0
	v_fmac_f32_e32 v43, v45, v43
	v_mul_f32_e32 v45, v44, v43
	v_fma_f32 v46, -v39, v45, v44
	v_mul_f32_e32 v41, 0x3fb8aa3b, v41
	v_fmac_f32_e32 v45, v46, v43
	v_exp_f32_e32 v41, v41
	v_fma_f32 v39, -v39, v45, v44
	v_div_fmas_f32 v39, v39, v43, v45
	v_div_fixup_f32 v38, v39, v38, 1.0
	v_mul_f32_e32 v38, v41, v38
	v_pk_mul_f32 v[36:37], v[36:37], v[38:39] op_sel_hi:[1,0]
	v_pk_mul_f32 v[34:35], v[34:35], v[38:39] op_sel_hi:[1,0]
	v_cvt_f16_f32_e32 v36, v36
	v_cvt_f16_f32_e32 v34, v34
	;; [unrolled: 1-line block ×4, first 2 shown]
	s_mov_b32 s1, 0x5040100
	v_pack_b32_f16 v34, v34, v35
	v_pack_b32_f16 v35, v36, v37
	s_waitcnt vmcnt(7)
	s_nop 0
	v_mfma_f32_4x4x4_16b_f16 a[0:3], v[34:35], v[2:3], 0 cbsz:4
	s_nop 1
	v_mfma_f32_4x4x4_16b_f16 a[0:3], v[34:35], v[4:5], a[0:3] cbsz:4 abid:1
	s_waitcnt vmcnt(6)
	s_nop 0
	v_mfma_f32_4x4x4_16b_f16 a[0:3], v[34:35], v[6:7], a[0:3] cbsz:4 abid:2
	s_nop 1
	v_mfma_f32_4x4x4_16b_f16 a[0:3], v[34:35], v[8:9], a[0:3] cbsz:4 abid:3
	s_waitcnt vmcnt(5)
	s_nop 0
	v_mfma_f32_4x4x4_16b_f16 a[0:3], v[34:35], v[10:11], a[0:3] cbsz:4 abid:4
	s_nop 1
	v_mfma_f32_4x4x4_16b_f16 a[0:3], v[34:35], v[12:13], a[0:3] cbsz:4 abid:5
	s_waitcnt vmcnt(4)
	s_nop 0
	v_mfma_f32_4x4x4_16b_f16 a[0:3], v[34:35], v[14:15], a[0:3] cbsz:4 abid:6
	s_nop 1
	v_mfma_f32_4x4x4_16b_f16 a[0:3], v[34:35], v[16:17], a[0:3] cbsz:4 abid:7
	s_waitcnt vmcnt(3)
	s_nop 0
	v_mfma_f32_4x4x4_16b_f16 a[0:3], v[34:35], v[18:19], a[0:3] cbsz:4 abid:8
	s_nop 1
	v_mfma_f32_4x4x4_16b_f16 a[0:3], v[34:35], v[20:21], a[0:3] cbsz:4 abid:9
	s_waitcnt vmcnt(2)
	s_nop 0
	v_mfma_f32_4x4x4_16b_f16 a[0:3], v[34:35], v[22:23], a[0:3] cbsz:4 abid:10
	s_nop 1
	v_mfma_f32_4x4x4_16b_f16 a[0:3], v[34:35], v[24:25], a[0:3] cbsz:4 abid:11
	s_waitcnt vmcnt(1)
	s_nop 0
	v_mfma_f32_4x4x4_16b_f16 a[0:3], v[34:35], v[26:27], a[0:3] cbsz:4 abid:12
	s_nop 1
	v_mfma_f32_4x4x4_16b_f16 a[0:3], v[34:35], v[28:29], a[0:3] cbsz:4 abid:13
	s_waitcnt vmcnt(0)
	s_nop 0
	v_mfma_f32_4x4x4_16b_f16 a[0:3], v[34:35], v[30:31], a[0:3] cbsz:4 abid:14
	s_nop 1
	v_mfma_f32_4x4x4_16b_f16 a[0:3], v[34:35], v[32:33], a[0:3] cbsz:4 abid:15
	s_nop 4
	v_accvgpr_read_b32 v2, a0
	v_accvgpr_read_b32 v3, a1
	;; [unrolled: 1-line block ×4, first 2 shown]
	v_cvt_f16_f32_e32 v2, v2
	v_cvt_f16_f32_e32 v3, v3
	;; [unrolled: 1-line block ×4, first 2 shown]
	v_perm_b32 v38, v3, v2, s1
	v_perm_b32 v39, v5, v4, s1
.LBB36_21:
	s_or_b64 exec, exec, s[2:3]
	v_lshlrev_b32_e32 v1, 3, v1
	v_mad_u32_u24 v1, v40, 40, v1
	v_cmp_gt_u32_e32 vcc, 64, v0
	ds_write_b64 v1, v[38:39]
	s_waitcnt lgkmcnt(0)
	s_barrier
	s_and_saveexec_b64 s[2:3], vcc
	s_cbranch_execz .LBB36_23
; %bb.22:
	v_mul_u32_u24_e32 v1, 40, v40
	s_waitcnt vmcnt(7)
	ds_read2_b64 v[2:5], v1 offset1:1
	s_waitcnt vmcnt(6)
	ds_read2_b64 v[6:9], v1 offset0:2 offset1:3
	s_lshl_b32 s0, s0, 6
	s_mov_b32 s1, 0
	s_lshl_b64 s[2:3], s[0:1], 1
	s_add_u32 s2, s22, s2
	s_addc_u32 s3, s23, s3
	s_lshl_b32 s0, s20, 6
	s_lshl_b64 s[0:1], s[0:1], 1
	s_waitcnt lgkmcnt(1)
	v_pk_add_f16 v2, v2, 0
	s_add_u32 s0, s2, s0
	s_mul_i32 s4, s4, s5
	v_pk_add_f16 v2, v2, v4
	s_addc_u32 s1, s3, s1
	v_lshl_or_b32 v0, s4, 6, v0
	v_mov_b32_e32 v1, 0
	s_waitcnt lgkmcnt(0)
	v_pk_add_f16 v2, v2, v6
	v_lshl_add_u64 v[0:1], v[0:1], 1, s[0:1]
	v_pk_add_f16 v2, v2, v8
	global_store_short v[0:1], v2, off
.LBB36_23:
	s_endpgm
	.section	.rodata,"a",@progbits
	.p2align	6, 0x0
	.amdhsa_kernel _Z38paged_attention_ll4mi_QKV_mfma4_kernelIDF16_DF16_LN4vllm18Fp8KVCacheDataTypeE0EhLi16ELi64ELi256ELb0ELi1EEvPKT_PKT0_S7_ifPKiS9_S9_iPKfiiiPfSC_PS2_PT2_iSB_SB_
		.amdhsa_group_segment_fixed_size 2720
		.amdhsa_private_segment_fixed_size 0
		.amdhsa_kernarg_size 400
		.amdhsa_user_sgpr_count 2
		.amdhsa_user_sgpr_dispatch_ptr 0
		.amdhsa_user_sgpr_queue_ptr 0
		.amdhsa_user_sgpr_kernarg_segment_ptr 1
		.amdhsa_user_sgpr_dispatch_id 0
		.amdhsa_user_sgpr_kernarg_preload_length 0
		.amdhsa_user_sgpr_kernarg_preload_offset 0
		.amdhsa_user_sgpr_private_segment_size 0
		.amdhsa_uses_dynamic_stack 0
		.amdhsa_enable_private_segment 0
		.amdhsa_system_sgpr_workgroup_id_x 1
		.amdhsa_system_sgpr_workgroup_id_y 1
		.amdhsa_system_sgpr_workgroup_id_z 1
		.amdhsa_system_sgpr_workgroup_info 0
		.amdhsa_system_vgpr_workitem_id 0
		.amdhsa_next_free_vgpr 68
		.amdhsa_next_free_sgpr 38
		.amdhsa_accum_offset 64
		.amdhsa_reserve_vcc 1
		.amdhsa_float_round_mode_32 0
		.amdhsa_float_round_mode_16_64 0
		.amdhsa_float_denorm_mode_32 3
		.amdhsa_float_denorm_mode_16_64 3
		.amdhsa_dx10_clamp 1
		.amdhsa_ieee_mode 1
		.amdhsa_fp16_overflow 0
		.amdhsa_tg_split 0
		.amdhsa_exception_fp_ieee_invalid_op 0
		.amdhsa_exception_fp_denorm_src 0
		.amdhsa_exception_fp_ieee_div_zero 0
		.amdhsa_exception_fp_ieee_overflow 0
		.amdhsa_exception_fp_ieee_underflow 0
		.amdhsa_exception_fp_ieee_inexact 0
		.amdhsa_exception_int_div_zero 0
	.end_amdhsa_kernel
	.section	.text._Z38paged_attention_ll4mi_QKV_mfma4_kernelIDF16_DF16_LN4vllm18Fp8KVCacheDataTypeE0EhLi16ELi64ELi256ELb0ELi1EEvPKT_PKT0_S7_ifPKiS9_S9_iPKfiiiPfSC_PS2_PT2_iSB_SB_,"axG",@progbits,_Z38paged_attention_ll4mi_QKV_mfma4_kernelIDF16_DF16_LN4vllm18Fp8KVCacheDataTypeE0EhLi16ELi64ELi256ELb0ELi1EEvPKT_PKT0_S7_ifPKiS9_S9_iPKfiiiPfSC_PS2_PT2_iSB_SB_,comdat
.Lfunc_end36:
	.size	_Z38paged_attention_ll4mi_QKV_mfma4_kernelIDF16_DF16_LN4vllm18Fp8KVCacheDataTypeE0EhLi16ELi64ELi256ELb0ELi1EEvPKT_PKT0_S7_ifPKiS9_S9_iPKfiiiPfSC_PS2_PT2_iSB_SB_, .Lfunc_end36-_Z38paged_attention_ll4mi_QKV_mfma4_kernelIDF16_DF16_LN4vllm18Fp8KVCacheDataTypeE0EhLi16ELi64ELi256ELb0ELi1EEvPKT_PKT0_S7_ifPKiS9_S9_iPKfiiiPfSC_PS2_PT2_iSB_SB_
                                        ; -- End function
	.section	.AMDGPU.csdata,"",@progbits
; Kernel info:
; codeLenInByte = 3056
; NumSgprs: 44
; NumVgprs: 61
; NumAgprs: 4
; TotalNumVgprs: 68
; ScratchSize: 0
; MemoryBound: 0
; FloatMode: 240
; IeeeMode: 1
; LDSByteSize: 2720 bytes/workgroup (compile time only)
; SGPRBlocks: 5
; VGPRBlocks: 8
; NumSGPRsForWavesPerEU: 44
; NumVGPRsForWavesPerEU: 68
; AccumOffset: 64
; Occupancy: 7
; WaveLimiterHint : 1
; COMPUTE_PGM_RSRC2:SCRATCH_EN: 0
; COMPUTE_PGM_RSRC2:USER_SGPR: 2
; COMPUTE_PGM_RSRC2:TRAP_HANDLER: 0
; COMPUTE_PGM_RSRC2:TGID_X_EN: 1
; COMPUTE_PGM_RSRC2:TGID_Y_EN: 1
; COMPUTE_PGM_RSRC2:TGID_Z_EN: 1
; COMPUTE_PGM_RSRC2:TIDIG_COMP_CNT: 0
; COMPUTE_PGM_RSRC3_GFX90A:ACCUM_OFFSET: 15
; COMPUTE_PGM_RSRC3_GFX90A:TG_SPLIT: 0
	.section	.text._Z38paged_attention_ll4mi_QKV_mfma4_kernelIDF16_DF16_LN4vllm18Fp8KVCacheDataTypeE0EhLi16ELi64ELi256ELb0ELi2EEvPKT_PKT0_S7_ifPKiS9_S9_iPKfiiiPfSC_PS2_PT2_iSB_SB_,"axG",@progbits,_Z38paged_attention_ll4mi_QKV_mfma4_kernelIDF16_DF16_LN4vllm18Fp8KVCacheDataTypeE0EhLi16ELi64ELi256ELb0ELi2EEvPKT_PKT0_S7_ifPKiS9_S9_iPKfiiiPfSC_PS2_PT2_iSB_SB_,comdat
	.protected	_Z38paged_attention_ll4mi_QKV_mfma4_kernelIDF16_DF16_LN4vllm18Fp8KVCacheDataTypeE0EhLi16ELi64ELi256ELb0ELi2EEvPKT_PKT0_S7_ifPKiS9_S9_iPKfiiiPfSC_PS2_PT2_iSB_SB_ ; -- Begin function _Z38paged_attention_ll4mi_QKV_mfma4_kernelIDF16_DF16_LN4vllm18Fp8KVCacheDataTypeE0EhLi16ELi64ELi256ELb0ELi2EEvPKT_PKT0_S7_ifPKiS9_S9_iPKfiiiPfSC_PS2_PT2_iSB_SB_
	.globl	_Z38paged_attention_ll4mi_QKV_mfma4_kernelIDF16_DF16_LN4vllm18Fp8KVCacheDataTypeE0EhLi16ELi64ELi256ELb0ELi2EEvPKT_PKT0_S7_ifPKiS9_S9_iPKfiiiPfSC_PS2_PT2_iSB_SB_
	.p2align	8
	.type	_Z38paged_attention_ll4mi_QKV_mfma4_kernelIDF16_DF16_LN4vllm18Fp8KVCacheDataTypeE0EhLi16ELi64ELi256ELb0ELi2EEvPKT_PKT0_S7_ifPKiS9_S9_iPKfiiiPfSC_PS2_PT2_iSB_SB_,@function
_Z38paged_attention_ll4mi_QKV_mfma4_kernelIDF16_DF16_LN4vllm18Fp8KVCacheDataTypeE0EhLi16ELi64ELi256ELb0ELi2EEvPKT_PKT0_S7_ifPKiS9_S9_iPKfiiiPfSC_PS2_PT2_iSB_SB_: ; @_Z38paged_attention_ll4mi_QKV_mfma4_kernelIDF16_DF16_LN4vllm18Fp8KVCacheDataTypeE0EhLi16ELi64ELi256ELb0ELi2EEvPKT_PKT0_S7_ifPKiS9_S9_iPKfiiiPfSC_PS2_PT2_iSB_SB_
; %bb.0:
	s_load_dwordx2 s[16:17], s[0:1], 0x30
	s_mov_b32 s20, s3
	s_mov_b64 s[6:7], 0
	s_waitcnt lgkmcnt(0)
	s_cmp_lg_u64 s[16:17], 0
	s_cselect_b64 s[18:19], -1, 0
	s_and_b64 vcc, exec, s[18:19]
	s_cbranch_vccz .LBB37_10
; %bb.1:
	s_add_i32 s8, s2, 1
	s_mov_b32 s9, 0
	s_lshl_b64 s[10:11], s[8:9], 2
	s_add_u32 s10, s16, s10
	s_mov_b32 s3, s9
	s_addc_u32 s11, s17, s11
	s_lshl_b64 s[8:9], s[2:3], 2
	s_add_u32 s8, s16, s8
	s_addc_u32 s9, s17, s9
	s_load_dword s5, s[10:11], 0x0
	s_load_dword s12, s[8:9], 0x0
	s_waitcnt lgkmcnt(0)
	s_sub_i32 s5, s5, s12
	s_cmp_eq_u32 s5, 1
	s_cselect_b64 s[8:9], -1, 0
	s_andn2_b64 vcc, exec, s[6:7]
	s_cbranch_vccnz .LBB37_3
.LBB37_2:
	s_mov_b32 s3, 0
	s_mov_b64 s[8:9], -1
.LBB37_3:
	s_andn2_b64 vcc, exec, s[8:9]
	s_cbranch_vccnz .LBB37_23
; %bb.4:
	s_load_dword s5, s[0:1], 0x9c
	s_load_dwordx2 s[6:7], s[0:1], 0x28
	s_add_u32 s24, s0, 0x90
	s_addc_u32 s25, s1, 0
	s_lshl_b64 s[28:29], s[2:3], 2
	s_waitcnt lgkmcnt(0)
	s_and_b32 s5, s5, 0xffff
	s_add_u32 s6, s6, s28
	s_addc_u32 s7, s7, s29
	s_load_dword s3, s[6:7], 0x0
	s_mul_i32 s10, s20, s5
	s_waitcnt lgkmcnt(0)
	s_cmp_ge_i32 s10, s3
	s_cbranch_scc1 .LBB37_23
; %bb.5:
	v_and_b32_e32 v2, 0xc0, v0
	v_add_u32_e32 v2, s10, v2
	v_lshrrev_b32_e32 v1, 6, v0
	v_cmp_gt_i32_e64 s[6:7], s3, v2
	v_cmp_le_i32_e32 vcc, s3, v2
                                        ; implicit-def: $sgpr21
                                        ; implicit-def: $sgpr11
	s_and_saveexec_b64 s[8:9], vcc
	s_xor_b64 s[8:9], exec, s[8:9]
	s_cbranch_execz .LBB37_7
; %bb.6:
	v_mul_u32_u24_e32 v2, 20, v1
	v_or_b32_e32 v2, 0xa00, v2
	v_mov_b32_e32 v3, 0xa50
	v_mov_b32_e32 v4, 0xff7fffff
	v_mad_u32_u24 v3, v1, 20, v3
	ds_write2_b32 v2, v4, v4 offset1:1
	v_mov_b32_e32 v2, 0
	ds_write2_b32 v3, v2, v2 offset1:1
	v_mov_b32_e32 v3, 0xa08
	s_mov_b32 s11, 0xff7fffff
	s_mov_b32 s21, 0
	v_mad_u32_u24 v3, v1, 20, v3
	v_mov_b32_e32 v5, 0xa58
	v_mad_u32_u24 v5, v1, 20, v5
	ds_write2_b32 v3, v4, v4 offset1:1
	ds_write2_b32 v5, v2, v2 offset1:1
                                        ; implicit-def: $vgpr2
.LBB37_7:
	s_or_saveexec_b64 s[26:27], s[8:9]
	s_load_dwordx2 s[22:23], s[0:1], 0x68
	s_load_dwordx4 s[12:15], s[0:1], 0x58
	s_load_dword s5, s[24:25], 0x4
	v_and_b32_e32 v40, 63, v0
	v_and_b32_e32 v38, 3, v0
	v_mov_b32_e32 v37, s21
	v_mov_b32_e32 v41, s11
	;; [unrolled: 1-line block ×5, first 2 shown]
                                        ; implicit-def: $vgpr3
                                        ; implicit-def: $vgpr7
                                        ; implicit-def: $vgpr11
                                        ; implicit-def: $vgpr15
                                        ; implicit-def: $vgpr19
                                        ; implicit-def: $vgpr23
                                        ; implicit-def: $vgpr27
                                        ; implicit-def: $vgpr31
	s_xor_b64 exec, exec, s[26:27]
	s_cbranch_execz .LBB37_17
; %bb.8:
	s_add_i32 s21, s3, 15
	s_load_dwordx2 s[8:9], s[0:1], 0x20
	s_load_dword s11, s[0:1], 0x38
	s_ashr_i32 s30, s21, 31
	s_lshr_b32 s30, s30, 28
	v_add_u32_e32 v39, s10, v0
	s_add_i32 s21, s21, s30
	v_ashrrev_i32_e32 v3, 31, v39
	s_ashr_i32 s21, s21, 4
	v_lshrrev_b32_e32 v3, 28, v3
	s_add_i32 s21, s21, -1
	v_add_u32_e32 v3, v39, v3
	s_waitcnt lgkmcnt(0)
	s_mul_i32 s30, s2, s11
	s_mov_b32 s31, 0
	v_ashrrev_i32_e32 v3, 4, v3
	v_mov_b32_e32 v4, s21
	v_cmp_gt_i32_e32 vcc, s3, v39
	s_lshl_b64 s[30:31], s[30:31], 2
	s_add_u32 s8, s8, s30
	v_cndmask_b32_e32 v4, v4, v3, vcc
	v_ashrrev_i32_e32 v3, 31, v2
	v_lshrrev_b32_e32 v3, 28, v3
	s_addc_u32 s9, s9, s31
	v_ashrrev_i32_e32 v5, 31, v4
	v_add_u32_e32 v2, v2, v3
	v_lshl_add_u64 v[8:9], v[4:5], 2, s[8:9]
	v_ashrrev_i32_e32 v4, 4, v2
	v_min_i32_e32 v2, s21, v4
	v_ashrrev_i32_e32 v3, 31, v2
	v_lshl_add_u64 v[10:11], v[2:3], 2, s[8:9]
	v_add_u32_e32 v2, 1, v4
	v_min_i32_e32 v2, s21, v2
	v_ashrrev_i32_e32 v3, 31, v2
	v_lshl_add_u64 v[12:13], v[2:3], 2, s[8:9]
	v_add_u32_e32 v2, 2, v4
	;; [unrolled: 4-line block ×3, first 2 shown]
	v_min_i32_e32 v2, s21, v2
	v_ashrrev_i32_e32 v3, 31, v2
	v_lshl_add_u64 v[16:17], v[2:3], 2, s[8:9]
	global_load_dword v2, v[8:9], off
	global_load_dword v7, v[10:11], off
	;; [unrolled: 1-line block ×5, first 2 shown]
	s_load_dwordx4 s[8:11], s[0:1], 0x8
	s_andn2_b64 vcc, exec, s[18:19]
	s_cbranch_vccnz .LBB37_11
; %bb.9:
	s_add_u32 s16, s16, s28
	s_addc_u32 s17, s17, s29
	s_load_dword s21, s[16:17], 0x0
	s_branch .LBB37_12
.LBB37_10:
	s_mov_b64 s[8:9], 0
	s_branch .LBB37_2
.LBB37_11:
	s_mov_b32 s21, s2
.LBB37_12:
	s_load_dwordx4 s[16:19], s[0:1], 0x48
	v_cmp_gt_u32_e32 vcc, 2, v38
	s_mov_b32 s29, 0
	v_mov_b32_e32 v3, 0
	v_mov_b32_e32 v34, 0
	;; [unrolled: 1-line block ×5, first 2 shown]
	s_and_saveexec_b64 s[30:31], vcc
	s_cbranch_execz .LBB37_14
; %bb.13:
	s_load_dwordx2 s[34:35], s[0:1], 0x0
	s_waitcnt lgkmcnt(0)
	s_ashr_i32 s19, s16, 31
	s_mul_hi_u32 s28, s21, s16
	s_mul_i32 s19, s21, s19
	s_add_i32 s37, s28, s19
	s_mul_i32 s36, s21, s16
	s_lshl_b64 s[36:37], s[36:37], 1
	s_add_u32 s16, s34, s36
	s_addc_u32 s19, s35, s37
	s_lshl_b32 s28, s4, 7
	s_lshl_b64 s[34:35], s[28:29], 1
	s_add_u32 s34, s16, s34
	v_lshlrev_b32_e32 v8, 3, v38
	v_lshrrev_b32_e32 v9, 2, v40
	s_addc_u32 s35, s19, s35
	v_add_lshl_u32 v8, v8, v9, 4
	global_load_dwordx4 v[34:37], v8, s[34:35]
.LBB37_14:
	s_or_b64 exec, exec, s[30:31]
	s_waitcnt lgkmcnt(0)
	s_mul_i32 s28, s4, s18
	s_lshl_b64 s[18:19], s[28:29], 1
	s_add_u32 s8, s18, s8
	s_waitcnt vmcnt(4)
	v_mad_i64_i32 v[8:9], s[30:31], v2, s17, 0
	s_addc_u32 s9, s19, s9
	v_and_b32_e32 v2, 15, v0
	v_lshl_add_u64 v[8:9], v[8:9], 1, s[8:9]
	v_lshlrev_b32_e32 v2, 4, v2
	v_lshl_add_u64 v[32:33], v[8:9], 0, v[2:3]
	global_load_dwordx4 v[8:11], v[32:33], off
	global_load_dwordx4 v[12:15], v[32:33], off offset:256
	global_load_dwordx4 v[16:19], v[32:33], off offset:512
	;; [unrolled: 1-line block ×7, first 2 shown]
	s_waitcnt vmcnt(11)
	v_mul_hi_i32 v2, v7, s17
	s_add_u32 s8, s10, s18
	s_waitcnt vmcnt(10)
	v_mul_hi_i32 v32, v6, s17
	s_waitcnt vmcnt(9)
	v_mul_hi_i32 v33, v5, s17
	v_ashrrev_i32_e32 v50, 31, v2
	s_addc_u32 s9, s11, s19
	v_lshlrev_b32_e32 v2, 5, v40
	v_ashrrev_i32_e32 v52, 31, v32
	v_ashrrev_i32_e32 v53, 31, v33
	v_lshl_add_u64 v[32:33], s[8:9], 0, v[2:3]
	v_lshrrev_b32_e32 v2, 29, v50
	s_waitcnt vmcnt(8)
	v_mul_hi_i32 v41, v4, s17
	v_mad_i64_i32 v[50:51], s[8:9], v7, s17, v[2:3]
	v_lshrrev_b32_e32 v2, 29, v52
	v_ashrrev_i32_e32 v41, 31, v41
	v_lshlrev_b64 v[50:51], 1, v[50:51]
	v_mad_i64_i32 v[6:7], s[8:9], v6, s17, v[2:3]
	v_lshrrev_b32_e32 v2, 29, v53
	v_and_b32_e32 v50, -16, v50
	v_lshlrev_b64 v[52:53], 1, v[6:7]
	v_mad_i64_i32 v[6:7], s[8:9], v5, s17, v[2:3]
	v_lshrrev_b32_e32 v2, 29, v41
	v_lshl_add_u64 v[50:51], v[32:33], 0, v[50:51]
	v_and_b32_e32 v52, -16, v52
	v_lshlrev_b64 v[54:55], 1, v[6:7]
	v_and_b32_e32 v54, -16, v54
	s_load_dword s0, s[0:1], 0x1c
	v_cmp_eq_u32_e32 vcc, 0, v38
	v_and_b32_e32 v60, -4, v39
	v_mov_b32_e32 v41, 0xff7fffff
	v_cndmask_b32_e64 v56, 0, 1.0, vcc
	v_cmp_eq_u32_e32 vcc, 1, v38
	v_or_b32_e32 v39, 3, v39
	v_cmp_gt_i32_e64 s[10:11], s3, v39
	v_cndmask_b32_e64 v57, 0, 1.0, vcc
	v_cmp_eq_u32_e32 vcc, 2, v38
	v_lshlrev_b32_e32 v61, 2, v0
	s_waitcnt vmcnt(7)
	v_mfma_f32_4x4x4_16b_f16 a[0:3], v[34:35], v[8:9], 0 cbsz:4
	v_cndmask_b32_e64 v58, 0, 1.0, vcc
	s_nop 0
	v_mfma_f32_4x4x4_16b_f16 a[0:3], v[36:37], v[10:11], a[0:3] cbsz:4
	v_mad_i64_i32 v[10:11], s[8:9], v4, s17, v[2:3]
	s_waitcnt vmcnt(6)
	v_mfma_f32_4x4x4_16b_f16 a[0:3], v[34:35], v[12:13], a[0:3] cbsz:4 abid:1
	global_load_dwordx4 v[2:5], v[50:51], off
	global_load_dwordx4 v[6:9], v[50:51], off offset:16
	v_mfma_f32_4x4x4_16b_f16 a[0:3], v[36:37], v[14:15], a[0:3] cbsz:4 abid:1
	v_lshl_add_u64 v[50:51], v[32:33], 0, v[52:53]
	v_lshlrev_b64 v[52:53], 1, v[10:11]
	s_waitcnt vmcnt(7)
	v_mfma_f32_4x4x4_16b_f16 a[0:3], v[34:35], v[16:17], a[0:3] cbsz:4 abid:2
	global_load_dwordx4 v[10:13], v[50:51], off
	global_load_dwordx4 v[14:17], v[50:51], off offset:16
	v_mfma_f32_4x4x4_16b_f16 a[0:3], v[36:37], v[18:19], a[0:3] cbsz:4 abid:2
	v_lshl_add_u64 v[50:51], v[32:33], 0, v[54:55]
	v_and_b32_e32 v52, -16, v52
	s_waitcnt vmcnt(8)
	v_mfma_f32_4x4x4_16b_f16 a[0:3], v[34:35], v[20:21], a[0:3] cbsz:4 abid:3
	v_cmp_eq_u32_e32 vcc, 3, v38
	s_nop 0
	v_mfma_f32_4x4x4_16b_f16 a[0:3], v[36:37], v[22:23], a[0:3] cbsz:4 abid:3
	v_cndmask_b32_e64 v59, 0, 1.0, vcc
	v_cmp_gt_i32_e32 vcc, s3, v60
	s_waitcnt vmcnt(7)
	v_mfma_f32_4x4x4_16b_f16 a[0:3], v[34:35], v[24:25], a[0:3] cbsz:4 abid:4
	global_load_dwordx4 v[18:21], v[50:51], off
	global_load_dwordx4 v[22:25], v[50:51], off offset:16
	v_mfma_f32_4x4x4_16b_f16 a[0:3], v[36:37], v[26:27], a[0:3] cbsz:4 abid:4
	v_lshl_add_u64 v[50:51], v[32:33], 0, v[52:53]
	s_waitcnt vmcnt(8)
	v_mfma_f32_4x4x4_16b_f16 a[0:3], v[34:35], v[28:29], a[0:3] cbsz:4 abid:5
	s_nop 1
	v_mfma_f32_4x4x4_16b_f16 a[0:3], v[36:37], v[30:31], a[0:3] cbsz:4 abid:5
	global_load_dwordx4 v[26:29], v[50:51], off
	global_load_dwordx4 v[30:33], v[50:51], off offset:16
	s_waitcnt vmcnt(9)
	v_mfma_f32_4x4x4_16b_f16 a[0:3], v[34:35], v[42:43], a[0:3] cbsz:4 abid:6
	v_and_or_b32 v42, v61, 48, v38
	v_lshlrev_b32_e32 v42, 2, v42
	v_mfma_f32_4x4x4_16b_f16 a[0:3], v[36:37], v[44:45], a[0:3] cbsz:4 abid:6
	s_waitcnt vmcnt(8)
	s_nop 0
	v_mfma_f32_4x4x4_16b_f16 a[0:3], v[34:35], v[46:47], a[0:3] cbsz:4 abid:7
	s_nop 1
	v_mfma_f32_4x4x4_16b_f16 a[0:3], v[36:37], v[48:49], a[0:3] cbsz:4 abid:7
	s_nop 4
	v_accvgpr_read_b32 v35, a1
	v_accvgpr_read_b32 v34, a0
	s_waitcnt lgkmcnt(0)
	v_pk_mul_f32 v[34:35], s[0:1], v[34:35] op_sel_hi:[0,1]
	v_accvgpr_read_b32 v37, a3
	v_accvgpr_read_b32 v36, a2
	v_pk_mul_f32 v[36:37], s[0:1], v[36:37] op_sel_hi:[0,1]
	v_mfma_f32_4x4x1_16b_f32 a[0:3], v34, v56, 0
	v_or_b32_e32 v34, 1, v60
	s_nop 0
	v_mfma_f32_4x4x1_16b_f32 a[0:3], v35, v57, a[0:3]
	v_cmp_gt_i32_e64 s[0:1], s3, v34
	v_or_b32_e32 v35, 2, v60
	v_mfma_f32_4x4x1_16b_f32 a[0:3], v36, v58, a[0:3]
	v_cmp_gt_i32_e64 s[8:9], s3, v35
	s_nop 0
	v_mfma_f32_4x4x1_16b_f32 a[0:3], v37, v59, a[0:3]
	s_nop 3
	v_accvgpr_read_b32 v36, a0
	v_max_f32_e32 v45, v36, v36
	v_accvgpr_read_b32 v37, a1
	v_max_f32_e32 v45, 0xff7fffff, v45
	v_max_f32_e32 v46, v37, v37
	v_cndmask_b32_e32 v41, v41, v45, vcc
	v_accvgpr_read_b32 v43, a2
	v_max_f32_e32 v45, v41, v46
	v_max_f32_e32 v47, v43, v43
	v_cndmask_b32_e64 v34, v41, v45, s[0:1]
	v_accvgpr_read_b32 v44, a3
	v_max_f32_e32 v41, v34, v47
	v_max_f32_e32 v48, v44, v44
	v_cndmask_b32_e64 v34, v34, v41, s[8:9]
	v_max_f32_e32 v35, v34, v48
	v_cndmask_b32_e64 v34, v34, v35, s[10:11]
	;;#ASMSTART
	v_nop
 v_nop
 v_max_f32_dpp v34, v34, v34 row_ror:4
	;;#ASMEND
	s_nop 0
	;;#ASMSTART
	v_nop
 v_nop
 v_max_f32_dpp v34, v34, v34 row_ror:8
	;;#ASMEND
	ds_bpermute_b32 v34, v42, v34
	s_waitcnt lgkmcnt(0)
	;;#ASMSTART
	v_nop
 v_nop
 v_max_f32_dpp v34, v34, v34 row_ror:4
	;;#ASMEND
	s_nop 0
	;;#ASMSTART
	v_nop
 v_nop
 v_max_f32_dpp v41, v34, v34 row_ror:8
	;;#ASMEND
	s_nop 0
	v_sub_f32_e32 v34, v36, v41
	v_sub_f32_e32 v35, v37, v41
	v_mul_f32_e32 v34, 0x3fb8aa3b, v34
	v_sub_f32_e32 v36, v43, v41
	v_mul_f32_e32 v35, 0x3fb8aa3b, v35
	v_exp_f32_e32 v34, v34
	v_sub_f32_e32 v37, v44, v41
	v_mul_f32_e32 v36, 0x3fb8aa3b, v36
	v_exp_f32_e32 v35, v35
	v_mul_f32_e32 v37, 0x3fb8aa3b, v37
	v_exp_f32_e32 v36, v36
	v_exp_f32_e32 v37, v37
	v_cndmask_b32_e32 v34, 0, v34, vcc
	v_cndmask_b32_e64 v35, 0, v35, s[0:1]
	v_add_f32_e32 v39, 0, v34
	v_cndmask_b32_e64 v36, 0, v36, s[8:9]
	v_add_f32_e32 v39, v39, v35
	;; [unrolled: 2-line block ×3, first 2 shown]
	v_add_f32_e32 v39, v39, v37
	;;#ASMSTART
	v_nop
 v_nop
 v_add_f32_dpp v39, v39, v39 row_ror:4
	;;#ASMEND
	v_cmp_gt_u32_e32 vcc, 4, v40
	;;#ASMSTART
	v_nop
 v_nop
 v_add_f32_dpp v39, v39, v39 row_ror:8
	;;#ASMEND
	ds_bpermute_b32 v39, v42, v39
	s_waitcnt lgkmcnt(0)
	;;#ASMSTART
	v_nop
 v_nop
 v_add_f32_dpp v39, v39, v39 row_ror:4
	;;#ASMEND
	s_nop 0
	;;#ASMSTART
	v_nop
 v_nop
 v_add_f32_dpp v39, v39, v39 row_ror:8
	;;#ASMEND
	s_and_saveexec_b64 s[0:1], vcc
	s_cbranch_execz .LBB37_16
; %bb.15:
	v_mul_u32_u24_e32 v42, 20, v1
	v_lshl_add_u32 v42, v38, 2, v42
	v_add_u32_e32 v42, 0x800, v42
	ds_write2_b32 v42, v41, v39 offset0:128 offset1:148
.LBB37_16:
	s_or_b64 exec, exec, s[0:1]
.LBB37_17:
	s_or_b64 exec, exec, s[26:27]
	s_waitcnt lgkmcnt(0)
	s_barrier
	s_load_dword s0, s[24:25], 0x8
	v_lshlrev_b32_e32 v39, 2, v38
	v_add_u32_e32 v39, 0x800, v39
	ds_read2_b32 v[44:45], v39 offset0:128 offset1:133
	ds_read2_b32 v[46:47], v39 offset0:138 offset1:143
	s_mul_i32 s1, s2, s5
	s_waitcnt lgkmcnt(0)
	s_mul_i32 s1, s1, s0
	s_lshl_b32 s0, s1, 1
	s_mov_b32 s1, 0xff7fffff
	v_max3_f32 v42, v44, s1, v45
	v_max3_f32 v42, v42, v46, v47
	v_sub_f32_e32 v43, v44, v42
	v_sub_f32_e32 v44, v45, v42
	ds_read2_b32 v[48:49], v39 offset0:148 offset1:153
	v_mul_f32_e32 v43, 0x3fb8aa3b, v43
	v_mul_f32_e32 v44, 0x3fb8aa3b, v44
	v_exp_f32_e32 v43, v43
	v_exp_f32_e32 v50, v44
	ds_read2_b32 v[44:45], v39 offset0:158 offset1:163
	v_sub_f32_e32 v39, v46, v42
	v_mul_f32_e32 v39, 0x3fb8aa3b, v39
	v_sub_f32_e32 v46, v47, v42
	v_exp_f32_e32 v39, v39
	v_mul_f32_e32 v46, 0x3fb8aa3b, v46
	v_exp_f32_e32 v46, v46
	s_waitcnt lgkmcnt(1)
	v_fma_f32 v43, v43, v48, 0
	v_fmac_f32_e32 v43, v50, v49
	s_waitcnt lgkmcnt(0)
	v_fmac_f32_e32 v43, v39, v44
	s_lshl_b32 s4, s4, 1
	v_fmac_f32_e32 v43, v46, v45
	v_cmp_gt_u32_e32 vcc, 2, v38
	s_and_saveexec_b64 s[2:3], vcc
	s_cbranch_execz .LBB37_19
; %bb.18:
	s_mov_b32 s1, 0
	s_lshl_b64 s[8:9], s[0:1], 2
	s_add_u32 s12, s12, s8
	s_mov_b32 s21, s1
	s_addc_u32 s13, s13, s9
	s_lshl_b64 s[10:11], s[20:21], 2
	s_add_u32 s12, s12, s10
	s_addc_u32 s13, s13, s11
	s_add_u32 s1, s14, s8
	s_addc_u32 s9, s15, s9
	v_or_b32_e32 v38, s4, v38
	s_add_u32 s8, s1, s10
	v_mul_lo_u32 v38, s5, v38
	v_mov_b32_e32 v39, 0
	s_addc_u32 s9, s9, s11
	v_lshlrev_b64 v[38:39], 2, v[38:39]
	v_lshl_add_u64 v[44:45], s[12:13], 0, v[38:39]
	v_lshl_add_u64 v[38:39], s[8:9], 0, v[38:39]
	global_store_dword v[38:39], v42, off
	global_store_dword v[44:45], v43, off
.LBB37_19:
	s_or_b64 exec, exec, s[2:3]
	v_mov_b32_e32 v38, 0
	v_mov_b32_e32 v39, 0
	s_and_saveexec_b64 s[2:3], s[6:7]
	s_cbranch_execz .LBB37_21
; %bb.20:
	v_add_f32_e32 v38, 0x358637bd, v43
	v_div_scale_f32 v39, s[6:7], v38, v38, 1.0
	v_rcp_f32_e32 v43, v39
	v_div_scale_f32 v44, vcc, 1.0, v38, 1.0
	v_sub_f32_e32 v41, v41, v42
	v_fma_f32 v45, -v39, v43, 1.0
	v_fmac_f32_e32 v43, v45, v43
	v_mul_f32_e32 v45, v44, v43
	v_fma_f32 v46, -v39, v45, v44
	v_mul_f32_e32 v41, 0x3fb8aa3b, v41
	v_fmac_f32_e32 v45, v46, v43
	v_exp_f32_e32 v41, v41
	v_fma_f32 v39, -v39, v45, v44
	v_div_fmas_f32 v39, v39, v43, v45
	v_div_fixup_f32 v38, v39, v38, 1.0
	v_mul_f32_e32 v38, v41, v38
	v_pk_mul_f32 v[36:37], v[36:37], v[38:39] op_sel_hi:[1,0]
	v_pk_mul_f32 v[34:35], v[34:35], v[38:39] op_sel_hi:[1,0]
	v_cvt_f16_f32_e32 v36, v36
	v_cvt_f16_f32_e32 v34, v34
	;; [unrolled: 1-line block ×4, first 2 shown]
	s_mov_b32 s1, 0x5040100
	v_pack_b32_f16 v34, v34, v35
	v_pack_b32_f16 v35, v36, v37
	s_waitcnt vmcnt(7)
	s_nop 0
	v_mfma_f32_4x4x4_16b_f16 a[0:3], v[34:35], v[2:3], 0 cbsz:4
	s_nop 1
	v_mfma_f32_4x4x4_16b_f16 a[0:3], v[34:35], v[4:5], a[0:3] cbsz:4 abid:1
	s_waitcnt vmcnt(6)
	s_nop 0
	v_mfma_f32_4x4x4_16b_f16 a[0:3], v[34:35], v[6:7], a[0:3] cbsz:4 abid:2
	s_nop 1
	v_mfma_f32_4x4x4_16b_f16 a[0:3], v[34:35], v[8:9], a[0:3] cbsz:4 abid:3
	s_waitcnt vmcnt(5)
	s_nop 0
	v_mfma_f32_4x4x4_16b_f16 a[0:3], v[34:35], v[10:11], a[0:3] cbsz:4 abid:4
	;; [unrolled: 5-line block ×7, first 2 shown]
	s_nop 1
	v_mfma_f32_4x4x4_16b_f16 a[0:3], v[34:35], v[32:33], a[0:3] cbsz:4 abid:15
	s_nop 4
	v_accvgpr_read_b32 v2, a0
	v_accvgpr_read_b32 v3, a1
	;; [unrolled: 1-line block ×4, first 2 shown]
	v_cvt_f16_f32_e32 v2, v2
	v_cvt_f16_f32_e32 v3, v3
	;; [unrolled: 1-line block ×4, first 2 shown]
	v_perm_b32 v38, v3, v2, s1
	v_perm_b32 v39, v5, v4, s1
.LBB37_21:
	s_or_b64 exec, exec, s[2:3]
	v_lshlrev_b32_e32 v1, 3, v1
	v_mad_u32_u24 v1, v40, 40, v1
	v_cmp_gt_u32_e32 vcc, 64, v0
	ds_write_b64 v1, v[38:39]
	s_waitcnt lgkmcnt(0)
	s_barrier
	s_and_saveexec_b64 s[2:3], vcc
	s_cbranch_execz .LBB37_23
; %bb.22:
	s_mov_b32 s1, 0
	s_lshl_b32 s0, s0, 6
	v_mul_u32_u24_e32 v1, 40, v40
	s_lshl_b64 s[2:3], s[0:1], 1
	s_waitcnt vmcnt(7)
	ds_read2_b64 v[2:5], v1 offset1:1
	s_waitcnt vmcnt(6)
	ds_read2_b64 v[6:9], v1 offset0:2 offset1:3
	s_add_u32 s2, s22, s2
	s_addc_u32 s3, s23, s3
	s_lshl_b32 s0, s20, 6
	s_lshl_b64 s[0:1], s[0:1], 1
	s_add_u32 s0, s2, s0
	s_addc_u32 s1, s3, s1
	s_lshl_b32 s2, s5, 6
	s_waitcnt lgkmcnt(1)
	v_pk_add_f16 v1, v2, 0
	s_mul_i32 s3, s2, s4
	v_pk_add_f16 v1, v1, v4
	v_or_b32_e32 v2, s3, v0
	v_mov_b32_e32 v3, 0
	s_add_i32 s3, s3, s2
	s_waitcnt lgkmcnt(0)
	v_pk_add_f16 v1, v1, v6
	v_lshl_add_u64 v[4:5], v[2:3], 1, s[0:1]
	v_or_b32_e32 v2, s3, v0
	v_pk_add_f16 v6, v1, v8
	v_lshl_add_u64 v[0:1], v[2:3], 1, s[0:1]
	global_store_short v[4:5], v6, off
	global_store_short_d16_hi v[0:1], v6, off
.LBB37_23:
	s_endpgm
	.section	.rodata,"a",@progbits
	.p2align	6, 0x0
	.amdhsa_kernel _Z38paged_attention_ll4mi_QKV_mfma4_kernelIDF16_DF16_LN4vllm18Fp8KVCacheDataTypeE0EhLi16ELi64ELi256ELb0ELi2EEvPKT_PKT0_S7_ifPKiS9_S9_iPKfiiiPfSC_PS2_PT2_iSB_SB_
		.amdhsa_group_segment_fixed_size 2720
		.amdhsa_private_segment_fixed_size 0
		.amdhsa_kernarg_size 400
		.amdhsa_user_sgpr_count 2
		.amdhsa_user_sgpr_dispatch_ptr 0
		.amdhsa_user_sgpr_queue_ptr 0
		.amdhsa_user_sgpr_kernarg_segment_ptr 1
		.amdhsa_user_sgpr_dispatch_id 0
		.amdhsa_user_sgpr_kernarg_preload_length 0
		.amdhsa_user_sgpr_kernarg_preload_offset 0
		.amdhsa_user_sgpr_private_segment_size 0
		.amdhsa_uses_dynamic_stack 0
		.amdhsa_enable_private_segment 0
		.amdhsa_system_sgpr_workgroup_id_x 1
		.amdhsa_system_sgpr_workgroup_id_y 1
		.amdhsa_system_sgpr_workgroup_id_z 1
		.amdhsa_system_sgpr_workgroup_info 0
		.amdhsa_system_vgpr_workitem_id 0
		.amdhsa_next_free_vgpr 68
		.amdhsa_next_free_sgpr 38
		.amdhsa_accum_offset 64
		.amdhsa_reserve_vcc 1
		.amdhsa_float_round_mode_32 0
		.amdhsa_float_round_mode_16_64 0
		.amdhsa_float_denorm_mode_32 3
		.amdhsa_float_denorm_mode_16_64 3
		.amdhsa_dx10_clamp 1
		.amdhsa_ieee_mode 1
		.amdhsa_fp16_overflow 0
		.amdhsa_tg_split 0
		.amdhsa_exception_fp_ieee_invalid_op 0
		.amdhsa_exception_fp_denorm_src 0
		.amdhsa_exception_fp_ieee_div_zero 0
		.amdhsa_exception_fp_ieee_overflow 0
		.amdhsa_exception_fp_ieee_underflow 0
		.amdhsa_exception_fp_ieee_inexact 0
		.amdhsa_exception_int_div_zero 0
	.end_amdhsa_kernel
	.section	.text._Z38paged_attention_ll4mi_QKV_mfma4_kernelIDF16_DF16_LN4vllm18Fp8KVCacheDataTypeE0EhLi16ELi64ELi256ELb0ELi2EEvPKT_PKT0_S7_ifPKiS9_S9_iPKfiiiPfSC_PS2_PT2_iSB_SB_,"axG",@progbits,_Z38paged_attention_ll4mi_QKV_mfma4_kernelIDF16_DF16_LN4vllm18Fp8KVCacheDataTypeE0EhLi16ELi64ELi256ELb0ELi2EEvPKT_PKT0_S7_ifPKiS9_S9_iPKfiiiPfSC_PS2_PT2_iSB_SB_,comdat
.Lfunc_end37:
	.size	_Z38paged_attention_ll4mi_QKV_mfma4_kernelIDF16_DF16_LN4vllm18Fp8KVCacheDataTypeE0EhLi16ELi64ELi256ELb0ELi2EEvPKT_PKT0_S7_ifPKiS9_S9_iPKfiiiPfSC_PS2_PT2_iSB_SB_, .Lfunc_end37-_Z38paged_attention_ll4mi_QKV_mfma4_kernelIDF16_DF16_LN4vllm18Fp8KVCacheDataTypeE0EhLi16ELi64ELi256ELb0ELi2EEvPKT_PKT0_S7_ifPKiS9_S9_iPKfiiiPfSC_PS2_PT2_iSB_SB_
                                        ; -- End function
	.section	.AMDGPU.csdata,"",@progbits
; Kernel info:
; codeLenInByte = 3116
; NumSgprs: 44
; NumVgprs: 62
; NumAgprs: 4
; TotalNumVgprs: 68
; ScratchSize: 0
; MemoryBound: 0
; FloatMode: 240
; IeeeMode: 1
; LDSByteSize: 2720 bytes/workgroup (compile time only)
; SGPRBlocks: 5
; VGPRBlocks: 8
; NumSGPRsForWavesPerEU: 44
; NumVGPRsForWavesPerEU: 68
; AccumOffset: 64
; Occupancy: 7
; WaveLimiterHint : 1
; COMPUTE_PGM_RSRC2:SCRATCH_EN: 0
; COMPUTE_PGM_RSRC2:USER_SGPR: 2
; COMPUTE_PGM_RSRC2:TRAP_HANDLER: 0
; COMPUTE_PGM_RSRC2:TGID_X_EN: 1
; COMPUTE_PGM_RSRC2:TGID_Y_EN: 1
; COMPUTE_PGM_RSRC2:TGID_Z_EN: 1
; COMPUTE_PGM_RSRC2:TIDIG_COMP_CNT: 0
; COMPUTE_PGM_RSRC3_GFX90A:ACCUM_OFFSET: 15
; COMPUTE_PGM_RSRC3_GFX90A:TG_SPLIT: 0
	.section	.text._Z38paged_attention_ll4mi_QKV_mfma4_kernelIDF16_DF16_LN4vllm18Fp8KVCacheDataTypeE0EhLi16ELi64ELi256ELb0ELi3EEvPKT_PKT0_S7_ifPKiS9_S9_iPKfiiiPfSC_PS2_PT2_iSB_SB_,"axG",@progbits,_Z38paged_attention_ll4mi_QKV_mfma4_kernelIDF16_DF16_LN4vllm18Fp8KVCacheDataTypeE0EhLi16ELi64ELi256ELb0ELi3EEvPKT_PKT0_S7_ifPKiS9_S9_iPKfiiiPfSC_PS2_PT2_iSB_SB_,comdat
	.protected	_Z38paged_attention_ll4mi_QKV_mfma4_kernelIDF16_DF16_LN4vllm18Fp8KVCacheDataTypeE0EhLi16ELi64ELi256ELb0ELi3EEvPKT_PKT0_S7_ifPKiS9_S9_iPKfiiiPfSC_PS2_PT2_iSB_SB_ ; -- Begin function _Z38paged_attention_ll4mi_QKV_mfma4_kernelIDF16_DF16_LN4vllm18Fp8KVCacheDataTypeE0EhLi16ELi64ELi256ELb0ELi3EEvPKT_PKT0_S7_ifPKiS9_S9_iPKfiiiPfSC_PS2_PT2_iSB_SB_
	.globl	_Z38paged_attention_ll4mi_QKV_mfma4_kernelIDF16_DF16_LN4vllm18Fp8KVCacheDataTypeE0EhLi16ELi64ELi256ELb0ELi3EEvPKT_PKT0_S7_ifPKiS9_S9_iPKfiiiPfSC_PS2_PT2_iSB_SB_
	.p2align	8
	.type	_Z38paged_attention_ll4mi_QKV_mfma4_kernelIDF16_DF16_LN4vllm18Fp8KVCacheDataTypeE0EhLi16ELi64ELi256ELb0ELi3EEvPKT_PKT0_S7_ifPKiS9_S9_iPKfiiiPfSC_PS2_PT2_iSB_SB_,@function
_Z38paged_attention_ll4mi_QKV_mfma4_kernelIDF16_DF16_LN4vllm18Fp8KVCacheDataTypeE0EhLi16ELi64ELi256ELb0ELi3EEvPKT_PKT0_S7_ifPKiS9_S9_iPKfiiiPfSC_PS2_PT2_iSB_SB_: ; @_Z38paged_attention_ll4mi_QKV_mfma4_kernelIDF16_DF16_LN4vllm18Fp8KVCacheDataTypeE0EhLi16ELi64ELi256ELb0ELi3EEvPKT_PKT0_S7_ifPKiS9_S9_iPKfiiiPfSC_PS2_PT2_iSB_SB_
; %bb.0:
	s_load_dwordx2 s[16:17], s[0:1], 0x30
	s_mov_b32 s20, s3
	s_mov_b64 s[6:7], 0
	s_waitcnt lgkmcnt(0)
	s_cmp_lg_u64 s[16:17], 0
	s_cselect_b64 s[18:19], -1, 0
	s_and_b64 vcc, exec, s[18:19]
	s_cbranch_vccz .LBB38_10
; %bb.1:
	s_add_i32 s8, s2, 1
	s_mov_b32 s9, 0
	s_lshl_b64 s[10:11], s[8:9], 2
	s_add_u32 s10, s16, s10
	s_mov_b32 s3, s9
	s_addc_u32 s11, s17, s11
	s_lshl_b64 s[8:9], s[2:3], 2
	s_add_u32 s8, s16, s8
	s_addc_u32 s9, s17, s9
	s_load_dword s5, s[10:11], 0x0
	s_load_dword s12, s[8:9], 0x0
	s_waitcnt lgkmcnt(0)
	s_sub_i32 s5, s5, s12
	s_cmp_eq_u32 s5, 1
	s_cselect_b64 s[8:9], -1, 0
	s_andn2_b64 vcc, exec, s[6:7]
	s_cbranch_vccnz .LBB38_3
.LBB38_2:
	s_mov_b32 s3, 0
	s_mov_b64 s[8:9], -1
.LBB38_3:
	s_andn2_b64 vcc, exec, s[8:9]
	s_cbranch_vccnz .LBB38_23
; %bb.4:
	s_load_dword s5, s[0:1], 0x9c
	s_load_dwordx2 s[6:7], s[0:1], 0x28
	s_add_u32 s24, s0, 0x90
	s_addc_u32 s25, s1, 0
	s_lshl_b64 s[28:29], s[2:3], 2
	s_waitcnt lgkmcnt(0)
	s_and_b32 s5, s5, 0xffff
	s_add_u32 s6, s6, s28
	s_addc_u32 s7, s7, s29
	s_load_dword s3, s[6:7], 0x0
	s_mul_i32 s10, s20, s5
	s_waitcnt lgkmcnt(0)
	s_cmp_ge_i32 s10, s3
	s_cbranch_scc1 .LBB38_23
; %bb.5:
	v_and_b32_e32 v2, 0xc0, v0
	v_add_u32_e32 v2, s10, v2
	v_lshrrev_b32_e32 v1, 6, v0
	v_cmp_gt_i32_e64 s[6:7], s3, v2
	v_cmp_le_i32_e32 vcc, s3, v2
                                        ; implicit-def: $sgpr21
                                        ; implicit-def: $sgpr11
	s_and_saveexec_b64 s[8:9], vcc
	s_xor_b64 s[8:9], exec, s[8:9]
	s_cbranch_execz .LBB38_7
; %bb.6:
	v_mul_u32_u24_e32 v2, 20, v1
	v_or_b32_e32 v2, 0xa00, v2
	v_mov_b32_e32 v3, 0xa50
	v_mov_b32_e32 v4, 0xff7fffff
	v_mad_u32_u24 v3, v1, 20, v3
	ds_write2_b32 v2, v4, v4 offset1:1
	v_mov_b32_e32 v2, 0
	ds_write2_b32 v3, v2, v2 offset1:1
	v_mov_b32_e32 v3, 0xa08
	s_mov_b32 s11, 0xff7fffff
	s_mov_b32 s21, 0
	v_mad_u32_u24 v3, v1, 20, v3
	v_mov_b32_e32 v5, 0xa58
	v_mad_u32_u24 v5, v1, 20, v5
	ds_write2_b32 v3, v4, v4 offset1:1
	ds_write2_b32 v5, v2, v2 offset1:1
                                        ; implicit-def: $vgpr2
.LBB38_7:
	s_or_saveexec_b64 s[26:27], s[8:9]
	s_load_dwordx2 s[22:23], s[0:1], 0x68
	s_load_dwordx4 s[12:15], s[0:1], 0x58
	s_load_dword s5, s[24:25], 0x4
	v_and_b32_e32 v40, 63, v0
	v_and_b32_e32 v38, 3, v0
	v_mov_b32_e32 v37, s21
	v_mov_b32_e32 v41, s11
	;; [unrolled: 1-line block ×5, first 2 shown]
                                        ; implicit-def: $vgpr3
                                        ; implicit-def: $vgpr7
                                        ; implicit-def: $vgpr11
                                        ; implicit-def: $vgpr15
                                        ; implicit-def: $vgpr19
                                        ; implicit-def: $vgpr23
                                        ; implicit-def: $vgpr27
                                        ; implicit-def: $vgpr31
	s_xor_b64 exec, exec, s[26:27]
	s_cbranch_execz .LBB38_17
; %bb.8:
	s_add_i32 s21, s3, 15
	s_load_dwordx2 s[8:9], s[0:1], 0x20
	s_load_dword s11, s[0:1], 0x38
	s_ashr_i32 s30, s21, 31
	s_lshr_b32 s30, s30, 28
	v_add_u32_e32 v39, s10, v0
	s_add_i32 s21, s21, s30
	v_ashrrev_i32_e32 v3, 31, v39
	s_ashr_i32 s21, s21, 4
	v_lshrrev_b32_e32 v3, 28, v3
	s_add_i32 s21, s21, -1
	v_add_u32_e32 v3, v39, v3
	s_waitcnt lgkmcnt(0)
	s_mul_i32 s30, s2, s11
	s_mov_b32 s31, 0
	v_ashrrev_i32_e32 v3, 4, v3
	v_mov_b32_e32 v4, s21
	v_cmp_gt_i32_e32 vcc, s3, v39
	s_lshl_b64 s[30:31], s[30:31], 2
	s_add_u32 s8, s8, s30
	v_cndmask_b32_e32 v4, v4, v3, vcc
	v_ashrrev_i32_e32 v3, 31, v2
	v_lshrrev_b32_e32 v3, 28, v3
	s_addc_u32 s9, s9, s31
	v_ashrrev_i32_e32 v5, 31, v4
	v_add_u32_e32 v2, v2, v3
	v_lshl_add_u64 v[8:9], v[4:5], 2, s[8:9]
	v_ashrrev_i32_e32 v4, 4, v2
	v_min_i32_e32 v2, s21, v4
	v_ashrrev_i32_e32 v3, 31, v2
	v_lshl_add_u64 v[10:11], v[2:3], 2, s[8:9]
	v_add_u32_e32 v2, 1, v4
	v_min_i32_e32 v2, s21, v2
	v_ashrrev_i32_e32 v3, 31, v2
	v_lshl_add_u64 v[12:13], v[2:3], 2, s[8:9]
	v_add_u32_e32 v2, 2, v4
	;; [unrolled: 4-line block ×3, first 2 shown]
	v_min_i32_e32 v2, s21, v2
	v_ashrrev_i32_e32 v3, 31, v2
	v_lshl_add_u64 v[16:17], v[2:3], 2, s[8:9]
	global_load_dword v2, v[8:9], off
	global_load_dword v7, v[10:11], off
	;; [unrolled: 1-line block ×5, first 2 shown]
	s_load_dwordx4 s[8:11], s[0:1], 0x8
	s_andn2_b64 vcc, exec, s[18:19]
	s_cbranch_vccnz .LBB38_11
; %bb.9:
	s_add_u32 s16, s16, s28
	s_addc_u32 s17, s17, s29
	s_load_dword s21, s[16:17], 0x0
	s_branch .LBB38_12
.LBB38_10:
	s_mov_b64 s[8:9], 0
	s_branch .LBB38_2
.LBB38_11:
	s_mov_b32 s21, s2
.LBB38_12:
	s_load_dwordx4 s[16:19], s[0:1], 0x48
	v_cmp_ne_u32_e32 vcc, 3, v38
	s_mov_b32 s29, 0
	v_mov_b32_e32 v41, 1.0
	v_mov_b32_e32 v3, 0
	v_mov_b32_e32 v34, 0
	;; [unrolled: 1-line block ×5, first 2 shown]
	s_and_saveexec_b64 s[30:31], vcc
	s_cbranch_execz .LBB38_14
; %bb.13:
	s_load_dwordx2 s[34:35], s[0:1], 0x0
	s_waitcnt lgkmcnt(0)
	s_ashr_i32 s19, s16, 31
	s_mul_hi_u32 s28, s21, s16
	s_mul_i32 s19, s21, s19
	s_add_i32 s37, s28, s19
	s_mul_i32 s36, s21, s16
	s_lshl_b64 s[36:37], s[36:37], 1
	s_add_u32 s16, s34, s36
	s_mul_i32 s28, s4, 0xc0
	s_addc_u32 s19, s35, s37
	s_lshl_b64 s[34:35], s[28:29], 1
	s_add_u32 s34, s16, s34
	v_lshlrev_b32_e32 v8, 3, v38
	v_lshrrev_b32_e32 v9, 2, v40
	s_addc_u32 s35, s19, s35
	v_add_lshl_u32 v8, v8, v9, 4
	global_load_dwordx4 v[34:37], v8, s[34:35]
	v_mov_b32_e32 v41, 0
.LBB38_14:
	s_or_b64 exec, exec, s[30:31]
	s_waitcnt lgkmcnt(0)
	s_mul_i32 s28, s4, s18
	s_lshl_b64 s[18:19], s[28:29], 1
	s_add_u32 s8, s18, s8
	s_waitcnt vmcnt(4)
	v_mad_i64_i32 v[8:9], s[30:31], v2, s17, 0
	s_addc_u32 s9, s19, s9
	v_and_b32_e32 v2, 15, v0
	v_lshl_add_u64 v[8:9], v[8:9], 1, s[8:9]
	v_lshlrev_b32_e32 v2, 4, v2
	v_lshl_add_u64 v[32:33], v[8:9], 0, v[2:3]
	global_load_dwordx4 v[8:11], v[32:33], off
	global_load_dwordx4 v[12:15], v[32:33], off offset:256
	global_load_dwordx4 v[16:19], v[32:33], off offset:512
	global_load_dwordx4 v[20:23], v[32:33], off offset:768
	global_load_dwordx4 v[24:27], v[32:33], off offset:1024
	global_load_dwordx4 v[28:31], v[32:33], off offset:1280
	global_load_dwordx4 v[42:45], v[32:33], off offset:1536
	global_load_dwordx4 v[46:49], v[32:33], off offset:1792
	s_waitcnt vmcnt(11)
	v_mul_hi_i32 v2, v7, s17
	s_add_u32 s8, s10, s18
	s_waitcnt vmcnt(10)
	v_mul_hi_i32 v32, v6, s17
	s_waitcnt vmcnt(9)
	v_mul_hi_i32 v33, v5, s17
	v_ashrrev_i32_e32 v51, 31, v2
	s_addc_u32 s9, s11, s19
	v_lshlrev_b32_e32 v2, 5, v40
	s_waitcnt vmcnt(8)
	v_mul_hi_i32 v50, v4, s17
	v_ashrrev_i32_e32 v52, 31, v32
	v_ashrrev_i32_e32 v53, 31, v33
	v_lshl_add_u64 v[32:33], s[8:9], 0, v[2:3]
	v_lshrrev_b32_e32 v2, 29, v51
	v_ashrrev_i32_e32 v54, 31, v50
	v_mad_i64_i32 v[50:51], s[8:9], v7, s17, v[2:3]
	v_lshrrev_b32_e32 v2, 29, v52
	v_lshlrev_b64 v[50:51], 1, v[50:51]
	v_mad_i64_i32 v[6:7], s[8:9], v6, s17, v[2:3]
	v_lshrrev_b32_e32 v2, 29, v53
	v_and_b32_e32 v50, -16, v50
	v_lshlrev_b64 v[52:53], 1, v[6:7]
	v_mad_i64_i32 v[6:7], s[8:9], v5, s17, v[2:3]
	v_lshrrev_b32_e32 v2, 29, v54
	v_lshl_add_u64 v[50:51], v[32:33], 0, v[50:51]
	v_and_b32_e32 v52, -16, v52
	v_lshlrev_b64 v[54:55], 1, v[6:7]
	v_and_b32_e32 v54, -16, v54
	s_load_dword s0, s[0:1], 0x1c
	v_cmp_eq_u32_e32 vcc, 0, v38
	v_and_b32_e32 v59, -4, v39
	v_or_b32_e32 v39, 3, v39
	v_cndmask_b32_e64 v56, 0, 1.0, vcc
	v_cmp_eq_u32_e32 vcc, 1, v38
	v_cmp_gt_i32_e64 s[10:11], s3, v39
	v_lshlrev_b32_e32 v60, 2, v0
	v_cndmask_b32_e64 v57, 0, 1.0, vcc
	v_cmp_eq_u32_e32 vcc, 2, v38
	s_waitcnt vmcnt(7)
	v_mfma_f32_4x4x4_16b_f16 a[0:3], v[34:35], v[8:9], 0 cbsz:4
	v_cndmask_b32_e64 v58, 0, 1.0, vcc
	s_nop 0
	v_mfma_f32_4x4x4_16b_f16 a[0:3], v[36:37], v[10:11], a[0:3] cbsz:4
	v_mad_i64_i32 v[10:11], s[8:9], v4, s17, v[2:3]
	s_waitcnt vmcnt(6)
	v_mfma_f32_4x4x4_16b_f16 a[0:3], v[34:35], v[12:13], a[0:3] cbsz:4 abid:1
	global_load_dwordx4 v[2:5], v[50:51], off
	global_load_dwordx4 v[6:9], v[50:51], off offset:16
	v_mfma_f32_4x4x4_16b_f16 a[0:3], v[36:37], v[14:15], a[0:3] cbsz:4 abid:1
	v_lshl_add_u64 v[50:51], v[32:33], 0, v[52:53]
	v_lshlrev_b64 v[52:53], 1, v[10:11]
	s_waitcnt vmcnt(7)
	v_mfma_f32_4x4x4_16b_f16 a[0:3], v[34:35], v[16:17], a[0:3] cbsz:4 abid:2
	global_load_dwordx4 v[10:13], v[50:51], off
	global_load_dwordx4 v[14:17], v[50:51], off offset:16
	v_mfma_f32_4x4x4_16b_f16 a[0:3], v[36:37], v[18:19], a[0:3] cbsz:4 abid:2
	v_lshl_add_u64 v[50:51], v[32:33], 0, v[54:55]
	v_and_b32_e32 v52, -16, v52
	s_waitcnt vmcnt(8)
	v_mfma_f32_4x4x4_16b_f16 a[0:3], v[34:35], v[20:21], a[0:3] cbsz:4 abid:3
	v_cmp_gt_i32_e32 vcc, s3, v59
	s_nop 0
	v_mfma_f32_4x4x4_16b_f16 a[0:3], v[36:37], v[22:23], a[0:3] cbsz:4 abid:3
	s_waitcnt vmcnt(7)
	s_nop 0
	v_mfma_f32_4x4x4_16b_f16 a[0:3], v[34:35], v[24:25], a[0:3] cbsz:4 abid:4
	global_load_dwordx4 v[18:21], v[50:51], off
	global_load_dwordx4 v[22:25], v[50:51], off offset:16
	v_mfma_f32_4x4x4_16b_f16 a[0:3], v[36:37], v[26:27], a[0:3] cbsz:4 abid:4
	v_lshl_add_u64 v[50:51], v[32:33], 0, v[52:53]
	s_waitcnt vmcnt(8)
	v_mfma_f32_4x4x4_16b_f16 a[0:3], v[34:35], v[28:29], a[0:3] cbsz:4 abid:5
	s_nop 1
	v_mfma_f32_4x4x4_16b_f16 a[0:3], v[36:37], v[30:31], a[0:3] cbsz:4 abid:5
	global_load_dwordx4 v[26:29], v[50:51], off
	global_load_dwordx4 v[30:33], v[50:51], off offset:16
	s_waitcnt vmcnt(9)
	v_mfma_f32_4x4x4_16b_f16 a[0:3], v[34:35], v[42:43], a[0:3] cbsz:4 abid:6
	v_mov_b32_e32 v42, 0xff7fffff
	v_and_or_b32 v43, v60, 48, v38
	v_mfma_f32_4x4x4_16b_f16 a[0:3], v[36:37], v[44:45], a[0:3] cbsz:4 abid:6
	v_lshlrev_b32_e32 v43, 2, v43
	s_waitcnt vmcnt(8)
	v_mfma_f32_4x4x4_16b_f16 a[0:3], v[34:35], v[46:47], a[0:3] cbsz:4 abid:7
	s_nop 1
	v_mfma_f32_4x4x4_16b_f16 a[0:3], v[36:37], v[48:49], a[0:3] cbsz:4 abid:7
	s_nop 4
	v_accvgpr_read_b32 v35, a1
	v_accvgpr_read_b32 v34, a0
	s_waitcnt lgkmcnt(0)
	v_pk_mul_f32 v[34:35], s[0:1], v[34:35] op_sel_hi:[0,1]
	v_accvgpr_read_b32 v37, a3
	v_accvgpr_read_b32 v36, a2
	v_pk_mul_f32 v[36:37], s[0:1], v[36:37] op_sel_hi:[0,1]
	v_mfma_f32_4x4x1_16b_f32 a[0:3], v34, v56, 0
	v_or_b32_e32 v34, 1, v59
	s_nop 0
	v_mfma_f32_4x4x1_16b_f32 a[0:3], v35, v57, a[0:3]
	v_cmp_gt_i32_e64 s[0:1], s3, v34
	v_or_b32_e32 v35, 2, v59
	v_mfma_f32_4x4x1_16b_f32 a[0:3], v36, v58, a[0:3]
	v_cmp_gt_i32_e64 s[8:9], s3, v35
	s_nop 0
	v_mfma_f32_4x4x1_16b_f32 a[0:3], v37, v41, a[0:3]
	s_nop 3
	v_accvgpr_read_b32 v36, a0
	v_max_f32_e32 v41, v36, v36
	v_accvgpr_read_b32 v37, a1
	v_max_f32_e32 v41, 0xff7fffff, v41
	v_max_f32_e32 v46, v37, v37
	v_cndmask_b32_e32 v41, v42, v41, vcc
	v_accvgpr_read_b32 v44, a2
	v_max_f32_e32 v42, v41, v46
	v_max_f32_e32 v47, v44, v44
	v_cndmask_b32_e64 v34, v41, v42, s[0:1]
	v_accvgpr_read_b32 v45, a3
	v_max_f32_e32 v41, v34, v47
	v_max_f32_e32 v48, v45, v45
	v_cndmask_b32_e64 v34, v34, v41, s[8:9]
	v_max_f32_e32 v35, v34, v48
	v_cndmask_b32_e64 v34, v34, v35, s[10:11]
	;;#ASMSTART
	v_nop
 v_nop
 v_max_f32_dpp v34, v34, v34 row_ror:4
	;;#ASMEND
	s_nop 0
	;;#ASMSTART
	v_nop
 v_nop
 v_max_f32_dpp v34, v34, v34 row_ror:8
	;;#ASMEND
	ds_bpermute_b32 v34, v43, v34
	s_waitcnt lgkmcnt(0)
	;;#ASMSTART
	v_nop
 v_nop
 v_max_f32_dpp v34, v34, v34 row_ror:4
	;;#ASMEND
	s_nop 0
	;;#ASMSTART
	v_nop
 v_nop
 v_max_f32_dpp v41, v34, v34 row_ror:8
	;;#ASMEND
	s_nop 0
	v_sub_f32_e32 v34, v36, v41
	v_sub_f32_e32 v35, v37, v41
	v_mul_f32_e32 v34, 0x3fb8aa3b, v34
	v_sub_f32_e32 v36, v44, v41
	v_mul_f32_e32 v35, 0x3fb8aa3b, v35
	v_exp_f32_e32 v34, v34
	v_sub_f32_e32 v37, v45, v41
	v_mul_f32_e32 v36, 0x3fb8aa3b, v36
	v_exp_f32_e32 v35, v35
	v_mul_f32_e32 v37, 0x3fb8aa3b, v37
	v_exp_f32_e32 v36, v36
	v_exp_f32_e32 v37, v37
	v_cndmask_b32_e32 v34, 0, v34, vcc
	v_cndmask_b32_e64 v35, 0, v35, s[0:1]
	v_add_f32_e32 v39, 0, v34
	v_cndmask_b32_e64 v36, 0, v36, s[8:9]
	v_add_f32_e32 v39, v39, v35
	;; [unrolled: 2-line block ×3, first 2 shown]
	v_add_f32_e32 v39, v39, v37
	;;#ASMSTART
	v_nop
 v_nop
 v_add_f32_dpp v39, v39, v39 row_ror:4
	;;#ASMEND
	v_cmp_gt_u32_e32 vcc, 4, v40
	;;#ASMSTART
	v_nop
 v_nop
 v_add_f32_dpp v39, v39, v39 row_ror:8
	;;#ASMEND
	ds_bpermute_b32 v39, v43, v39
	s_waitcnt lgkmcnt(0)
	;;#ASMSTART
	v_nop
 v_nop
 v_add_f32_dpp v39, v39, v39 row_ror:4
	;;#ASMEND
	s_nop 0
	;;#ASMSTART
	v_nop
 v_nop
 v_add_f32_dpp v39, v39, v39 row_ror:8
	;;#ASMEND
	s_and_saveexec_b64 s[0:1], vcc
	s_cbranch_execz .LBB38_16
; %bb.15:
	v_mul_u32_u24_e32 v42, 20, v1
	v_lshl_add_u32 v42, v38, 2, v42
	v_add_u32_e32 v42, 0x800, v42
	ds_write2_b32 v42, v41, v39 offset0:128 offset1:148
.LBB38_16:
	s_or_b64 exec, exec, s[0:1]
.LBB38_17:
	s_or_b64 exec, exec, s[26:27]
	s_waitcnt lgkmcnt(0)
	s_barrier
	s_load_dword s0, s[24:25], 0x8
	v_lshlrev_b32_e32 v39, 2, v38
	v_add_u32_e32 v39, 0x800, v39
	ds_read2_b32 v[44:45], v39 offset0:128 offset1:133
	ds_read2_b32 v[46:47], v39 offset0:138 offset1:143
	s_mul_i32 s1, s2, s5
	s_waitcnt lgkmcnt(0)
	s_mul_i32 s0, s1, s0
	s_mov_b32 s1, 0xff7fffff
	v_max3_f32 v42, v44, s1, v45
	v_max3_f32 v42, v42, v46, v47
	v_sub_f32_e32 v43, v44, v42
	v_sub_f32_e32 v44, v45, v42
	ds_read2_b32 v[48:49], v39 offset0:148 offset1:153
	v_mul_f32_e32 v43, 0x3fb8aa3b, v43
	v_mul_f32_e32 v44, 0x3fb8aa3b, v44
	v_exp_f32_e32 v43, v43
	v_exp_f32_e32 v50, v44
	ds_read2_b32 v[44:45], v39 offset0:158 offset1:163
	v_sub_f32_e32 v39, v46, v42
	v_mul_f32_e32 v39, 0x3fb8aa3b, v39
	v_sub_f32_e32 v46, v47, v42
	v_exp_f32_e32 v39, v39
	v_mul_f32_e32 v46, 0x3fb8aa3b, v46
	v_exp_f32_e32 v46, v46
	s_waitcnt lgkmcnt(1)
	v_fma_f32 v43, v43, v48, 0
	v_fmac_f32_e32 v43, v50, v49
	s_waitcnt lgkmcnt(0)
	v_fmac_f32_e32 v43, v39, v44
	s_mul_i32 s4, s4, 3
	s_mul_i32 s0, s0, 3
	v_fmac_f32_e32 v43, v46, v45
	v_cmp_ne_u32_e32 vcc, 3, v38
	s_and_saveexec_b64 s[2:3], vcc
	s_cbranch_execz .LBB38_19
; %bb.18:
	s_mov_b32 s1, 0
	s_lshl_b64 s[8:9], s[0:1], 2
	s_add_u32 s12, s12, s8
	s_mov_b32 s21, s1
	s_addc_u32 s13, s13, s9
	s_lshl_b64 s[10:11], s[20:21], 2
	s_add_u32 s12, s12, s10
	s_addc_u32 s13, s13, s11
	s_add_u32 s1, s14, s8
	s_addc_u32 s9, s15, s9
	v_add_u32_e32 v38, s4, v38
	s_add_u32 s8, s1, s10
	v_mul_lo_u32 v38, s5, v38
	v_mov_b32_e32 v39, 0
	s_addc_u32 s9, s9, s11
	v_lshlrev_b64 v[38:39], 2, v[38:39]
	v_lshl_add_u64 v[44:45], s[12:13], 0, v[38:39]
	v_lshl_add_u64 v[38:39], s[8:9], 0, v[38:39]
	global_store_dword v[38:39], v42, off
	global_store_dword v[44:45], v43, off
.LBB38_19:
	s_or_b64 exec, exec, s[2:3]
	v_mov_b32_e32 v38, 0
	v_mov_b32_e32 v39, 0
	s_and_saveexec_b64 s[2:3], s[6:7]
	s_cbranch_execz .LBB38_21
; %bb.20:
	v_add_f32_e32 v38, 0x358637bd, v43
	v_div_scale_f32 v39, s[6:7], v38, v38, 1.0
	v_rcp_f32_e32 v43, v39
	v_div_scale_f32 v44, vcc, 1.0, v38, 1.0
	v_sub_f32_e32 v41, v41, v42
	v_fma_f32 v45, -v39, v43, 1.0
	v_fmac_f32_e32 v43, v45, v43
	v_mul_f32_e32 v45, v44, v43
	v_fma_f32 v46, -v39, v45, v44
	v_mul_f32_e32 v41, 0x3fb8aa3b, v41
	v_fmac_f32_e32 v45, v46, v43
	v_exp_f32_e32 v41, v41
	v_fma_f32 v39, -v39, v45, v44
	v_div_fmas_f32 v39, v39, v43, v45
	v_div_fixup_f32 v38, v39, v38, 1.0
	v_mul_f32_e32 v38, v41, v38
	v_pk_mul_f32 v[36:37], v[36:37], v[38:39] op_sel_hi:[1,0]
	v_pk_mul_f32 v[34:35], v[34:35], v[38:39] op_sel_hi:[1,0]
	v_cvt_f16_f32_e32 v36, v36
	v_cvt_f16_f32_e32 v34, v34
	;; [unrolled: 1-line block ×4, first 2 shown]
	s_mov_b32 s1, 0x5040100
	v_pack_b32_f16 v34, v34, v35
	v_pack_b32_f16 v35, v36, v37
	s_waitcnt vmcnt(7)
	s_nop 0
	v_mfma_f32_4x4x4_16b_f16 a[0:3], v[34:35], v[2:3], 0 cbsz:4
	s_nop 1
	v_mfma_f32_4x4x4_16b_f16 a[0:3], v[34:35], v[4:5], a[0:3] cbsz:4 abid:1
	s_waitcnt vmcnt(6)
	s_nop 0
	v_mfma_f32_4x4x4_16b_f16 a[0:3], v[34:35], v[6:7], a[0:3] cbsz:4 abid:2
	s_nop 1
	v_mfma_f32_4x4x4_16b_f16 a[0:3], v[34:35], v[8:9], a[0:3] cbsz:4 abid:3
	s_waitcnt vmcnt(5)
	s_nop 0
	v_mfma_f32_4x4x4_16b_f16 a[0:3], v[34:35], v[10:11], a[0:3] cbsz:4 abid:4
	;; [unrolled: 5-line block ×7, first 2 shown]
	s_nop 1
	v_mfma_f32_4x4x4_16b_f16 a[0:3], v[34:35], v[32:33], a[0:3] cbsz:4 abid:15
	s_nop 4
	v_accvgpr_read_b32 v2, a0
	v_accvgpr_read_b32 v3, a1
	;; [unrolled: 1-line block ×4, first 2 shown]
	v_cvt_f16_f32_e32 v2, v2
	v_cvt_f16_f32_e32 v3, v3
	;; [unrolled: 1-line block ×4, first 2 shown]
	v_perm_b32 v38, v3, v2, s1
	v_perm_b32 v39, v5, v4, s1
.LBB38_21:
	s_or_b64 exec, exec, s[2:3]
	v_lshlrev_b32_e32 v1, 3, v1
	v_mad_u32_u24 v1, v40, 40, v1
	v_cmp_gt_u32_e32 vcc, 64, v0
	ds_write_b64 v1, v[38:39]
	s_waitcnt lgkmcnt(0)
	s_barrier
	s_and_saveexec_b64 s[2:3], vcc
	s_cbranch_execz .LBB38_23
; %bb.22:
	v_mul_u32_u24_e32 v1, 40, v40
	s_waitcnt vmcnt(7)
	ds_read2_b64 v[2:5], v1 offset1:1
	s_waitcnt vmcnt(6)
	ds_read2_b64 v[6:9], v1 offset0:2 offset1:3
	s_mov_b32 s1, 0
	s_lshl_b32 s0, s0, 6
	s_lshl_b64 s[2:3], s[0:1], 1
	s_add_u32 s2, s22, s2
	s_addc_u32 s3, s23, s3
	s_lshl_b32 s0, s20, 6
	s_lshl_b64 s[0:1], s[0:1], 1
	s_waitcnt lgkmcnt(1)
	v_pk_add_f16 v1, v2, 0
	v_pk_add_f16 v2, v3, 0
	s_add_u32 s0, s2, s0
	v_pk_add_f16 v2, v2, v5
	s_addc_u32 s1, s3, s1
	s_lshl_b32 s2, s5, 6
	v_pk_add_f16 v1, v1, v4
	s_waitcnt lgkmcnt(0)
	v_pk_add_f16 v2, v2, v7
	s_mul_i32 s3, s2, s4
	v_pk_add_f16 v1, v1, v6
	v_pk_add_f16 v6, v2, v9
	v_or_b32_e32 v2, s3, v0
	v_mov_b32_e32 v3, 0
	s_add_i32 s3, s3, s2
	v_pk_add_f16 v1, v1, v8
	v_lshl_add_u64 v[4:5], v[2:3], 1, s[0:1]
	v_or_b32_e32 v2, s3, v0
	s_add_i32 s3, s3, s2
	global_store_short v[4:5], v1, off
	v_lshl_add_u64 v[4:5], v[2:3], 1, s[0:1]
	v_or_b32_e32 v2, s3, v0
	global_store_short_d16_hi v[4:5], v1, off
	v_lshl_add_u64 v[0:1], v[2:3], 1, s[0:1]
	global_store_short v[0:1], v6, off
.LBB38_23:
	s_endpgm
	.section	.rodata,"a",@progbits
	.p2align	6, 0x0
	.amdhsa_kernel _Z38paged_attention_ll4mi_QKV_mfma4_kernelIDF16_DF16_LN4vllm18Fp8KVCacheDataTypeE0EhLi16ELi64ELi256ELb0ELi3EEvPKT_PKT0_S7_ifPKiS9_S9_iPKfiiiPfSC_PS2_PT2_iSB_SB_
		.amdhsa_group_segment_fixed_size 2720
		.amdhsa_private_segment_fixed_size 0
		.amdhsa_kernarg_size 400
		.amdhsa_user_sgpr_count 2
		.amdhsa_user_sgpr_dispatch_ptr 0
		.amdhsa_user_sgpr_queue_ptr 0
		.amdhsa_user_sgpr_kernarg_segment_ptr 1
		.amdhsa_user_sgpr_dispatch_id 0
		.amdhsa_user_sgpr_kernarg_preload_length 0
		.amdhsa_user_sgpr_kernarg_preload_offset 0
		.amdhsa_user_sgpr_private_segment_size 0
		.amdhsa_uses_dynamic_stack 0
		.amdhsa_enable_private_segment 0
		.amdhsa_system_sgpr_workgroup_id_x 1
		.amdhsa_system_sgpr_workgroup_id_y 1
		.amdhsa_system_sgpr_workgroup_id_z 1
		.amdhsa_system_sgpr_workgroup_info 0
		.amdhsa_system_vgpr_workitem_id 0
		.amdhsa_next_free_vgpr 68
		.amdhsa_next_free_sgpr 38
		.amdhsa_accum_offset 64
		.amdhsa_reserve_vcc 1
		.amdhsa_float_round_mode_32 0
		.amdhsa_float_round_mode_16_64 0
		.amdhsa_float_denorm_mode_32 3
		.amdhsa_float_denorm_mode_16_64 3
		.amdhsa_dx10_clamp 1
		.amdhsa_ieee_mode 1
		.amdhsa_fp16_overflow 0
		.amdhsa_tg_split 0
		.amdhsa_exception_fp_ieee_invalid_op 0
		.amdhsa_exception_fp_denorm_src 0
		.amdhsa_exception_fp_ieee_div_zero 0
		.amdhsa_exception_fp_ieee_overflow 0
		.amdhsa_exception_fp_ieee_underflow 0
		.amdhsa_exception_fp_ieee_inexact 0
		.amdhsa_exception_int_div_zero 0
	.end_amdhsa_kernel
	.section	.text._Z38paged_attention_ll4mi_QKV_mfma4_kernelIDF16_DF16_LN4vllm18Fp8KVCacheDataTypeE0EhLi16ELi64ELi256ELb0ELi3EEvPKT_PKT0_S7_ifPKiS9_S9_iPKfiiiPfSC_PS2_PT2_iSB_SB_,"axG",@progbits,_Z38paged_attention_ll4mi_QKV_mfma4_kernelIDF16_DF16_LN4vllm18Fp8KVCacheDataTypeE0EhLi16ELi64ELi256ELb0ELi3EEvPKT_PKT0_S7_ifPKiS9_S9_iPKfiiiPfSC_PS2_PT2_iSB_SB_,comdat
.Lfunc_end38:
	.size	_Z38paged_attention_ll4mi_QKV_mfma4_kernelIDF16_DF16_LN4vllm18Fp8KVCacheDataTypeE0EhLi16ELi64ELi256ELb0ELi3EEvPKT_PKT0_S7_ifPKiS9_S9_iPKfiiiPfSC_PS2_PT2_iSB_SB_, .Lfunc_end38-_Z38paged_attention_ll4mi_QKV_mfma4_kernelIDF16_DF16_LN4vllm18Fp8KVCacheDataTypeE0EhLi16ELi64ELi256ELb0ELi3EEvPKT_PKT0_S7_ifPKiS9_S9_iPKfiiiPfSC_PS2_PT2_iSB_SB_
                                        ; -- End function
	.section	.AMDGPU.csdata,"",@progbits
; Kernel info:
; codeLenInByte = 3172
; NumSgprs: 44
; NumVgprs: 61
; NumAgprs: 4
; TotalNumVgprs: 68
; ScratchSize: 0
; MemoryBound: 0
; FloatMode: 240
; IeeeMode: 1
; LDSByteSize: 2720 bytes/workgroup (compile time only)
; SGPRBlocks: 5
; VGPRBlocks: 8
; NumSGPRsForWavesPerEU: 44
; NumVGPRsForWavesPerEU: 68
; AccumOffset: 64
; Occupancy: 7
; WaveLimiterHint : 1
; COMPUTE_PGM_RSRC2:SCRATCH_EN: 0
; COMPUTE_PGM_RSRC2:USER_SGPR: 2
; COMPUTE_PGM_RSRC2:TRAP_HANDLER: 0
; COMPUTE_PGM_RSRC2:TGID_X_EN: 1
; COMPUTE_PGM_RSRC2:TGID_Y_EN: 1
; COMPUTE_PGM_RSRC2:TGID_Z_EN: 1
; COMPUTE_PGM_RSRC2:TIDIG_COMP_CNT: 0
; COMPUTE_PGM_RSRC3_GFX90A:ACCUM_OFFSET: 15
; COMPUTE_PGM_RSRC3_GFX90A:TG_SPLIT: 0
	.section	.text._Z38paged_attention_ll4mi_QKV_mfma4_kernelIDF16_DF16_LN4vllm18Fp8KVCacheDataTypeE0EhLi16ELi64ELi256ELb0ELi4EEvPKT_PKT0_S7_ifPKiS9_S9_iPKfiiiPfSC_PS2_PT2_iSB_SB_,"axG",@progbits,_Z38paged_attention_ll4mi_QKV_mfma4_kernelIDF16_DF16_LN4vllm18Fp8KVCacheDataTypeE0EhLi16ELi64ELi256ELb0ELi4EEvPKT_PKT0_S7_ifPKiS9_S9_iPKfiiiPfSC_PS2_PT2_iSB_SB_,comdat
	.protected	_Z38paged_attention_ll4mi_QKV_mfma4_kernelIDF16_DF16_LN4vllm18Fp8KVCacheDataTypeE0EhLi16ELi64ELi256ELb0ELi4EEvPKT_PKT0_S7_ifPKiS9_S9_iPKfiiiPfSC_PS2_PT2_iSB_SB_ ; -- Begin function _Z38paged_attention_ll4mi_QKV_mfma4_kernelIDF16_DF16_LN4vllm18Fp8KVCacheDataTypeE0EhLi16ELi64ELi256ELb0ELi4EEvPKT_PKT0_S7_ifPKiS9_S9_iPKfiiiPfSC_PS2_PT2_iSB_SB_
	.globl	_Z38paged_attention_ll4mi_QKV_mfma4_kernelIDF16_DF16_LN4vllm18Fp8KVCacheDataTypeE0EhLi16ELi64ELi256ELb0ELi4EEvPKT_PKT0_S7_ifPKiS9_S9_iPKfiiiPfSC_PS2_PT2_iSB_SB_
	.p2align	8
	.type	_Z38paged_attention_ll4mi_QKV_mfma4_kernelIDF16_DF16_LN4vllm18Fp8KVCacheDataTypeE0EhLi16ELi64ELi256ELb0ELi4EEvPKT_PKT0_S7_ifPKiS9_S9_iPKfiiiPfSC_PS2_PT2_iSB_SB_,@function
_Z38paged_attention_ll4mi_QKV_mfma4_kernelIDF16_DF16_LN4vllm18Fp8KVCacheDataTypeE0EhLi16ELi64ELi256ELb0ELi4EEvPKT_PKT0_S7_ifPKiS9_S9_iPKfiiiPfSC_PS2_PT2_iSB_SB_: ; @_Z38paged_attention_ll4mi_QKV_mfma4_kernelIDF16_DF16_LN4vllm18Fp8KVCacheDataTypeE0EhLi16ELi64ELi256ELb0ELi4EEvPKT_PKT0_S7_ifPKiS9_S9_iPKfiiiPfSC_PS2_PT2_iSB_SB_
; %bb.0:
	s_load_dwordx2 s[8:9], s[0:1], 0x30
	s_mov_b32 s20, s3
	s_mov_b64 s[6:7], 0
	s_waitcnt lgkmcnt(0)
	s_cmp_lg_u64 s[8:9], 0
	s_cselect_b64 s[10:11], -1, 0
	s_and_b64 vcc, exec, s[10:11]
	s_cbranch_vccz .LBB39_18
; %bb.1:
	s_add_i32 s12, s2, 1
	s_mov_b32 s13, 0
	s_lshl_b64 s[14:15], s[12:13], 2
	s_add_u32 s14, s8, s14
	s_mov_b32 s3, s13
	s_addc_u32 s15, s9, s15
	s_lshl_b64 s[12:13], s[2:3], 2
	s_add_u32 s12, s8, s12
	s_addc_u32 s13, s9, s13
	s_load_dword s5, s[14:15], 0x0
	s_load_dword s16, s[12:13], 0x0
	s_mov_b64 s[30:31], s[2:3]
	s_waitcnt lgkmcnt(0)
	s_sub_i32 s5, s5, s16
	s_cmp_eq_u32 s5, 1
	s_cselect_b64 s[12:13], -1, 0
	s_andn2_b64 vcc, exec, s[6:7]
	s_cbranch_vccnz .LBB39_3
.LBB39_2:
	s_mov_b32 s3, 0
	s_mov_b64 s[12:13], -1
	s_mov_b64 s[30:31], s[2:3]
.LBB39_3:
	s_andn2_b64 vcc, exec, s[12:13]
	s_cbranch_vccnz .LBB39_17
; %bb.4:
	s_load_dword s3, s[0:1], 0x9c
	s_load_dwordx2 s[6:7], s[0:1], 0x28
	s_add_u32 s24, s0, 0x90
	s_addc_u32 s25, s1, 0
	s_lshl_b64 s[34:35], s[30:31], 2
	s_waitcnt lgkmcnt(0)
	s_and_b32 s5, s3, 0xffff
	s_add_u32 s6, s6, s34
	s_addc_u32 s7, s7, s35
	s_load_dword s3, s[6:7], 0x0
	s_mul_i32 s16, s20, s5
	s_waitcnt lgkmcnt(0)
	s_cmp_ge_i32 s16, s3
	s_cbranch_scc1 .LBB39_17
; %bb.5:
	v_and_b32_e32 v2, 0xc0, v0
	v_add_u32_e32 v2, s16, v2
	v_lshrrev_b32_e32 v1, 6, v0
	v_cmp_gt_i32_e64 s[6:7], s3, v2
	v_cmp_le_i32_e32 vcc, s3, v2
                                        ; implicit-def: $sgpr18
                                        ; implicit-def: $sgpr17
	s_and_saveexec_b64 s[12:13], vcc
	s_xor_b64 s[12:13], exec, s[12:13]
	s_cbranch_execz .LBB39_7
; %bb.6:
	v_mul_u32_u24_e32 v2, 20, v1
	v_or_b32_e32 v2, 0xa00, v2
	v_mov_b32_e32 v3, 0xa50
	v_mov_b32_e32 v4, 0xff7fffff
	v_mad_u32_u24 v3, v1, 20, v3
	ds_write2_b32 v2, v4, v4 offset1:1
	v_mov_b32_e32 v2, 0
	ds_write2_b32 v3, v2, v2 offset1:1
	v_mov_b32_e32 v3, 0xa08
	s_mov_b32 s17, 0xff7fffff
	s_mov_b32 s18, 0
	v_mad_u32_u24 v3, v1, 20, v3
	v_mov_b32_e32 v5, 0xa58
	v_mad_u32_u24 v5, v1, 20, v5
	ds_write2_b32 v3, v4, v4 offset1:1
	ds_write2_b32 v5, v2, v2 offset1:1
                                        ; implicit-def: $vgpr2
.LBB39_7:
	s_or_saveexec_b64 s[26:27], s[12:13]
	s_load_dwordx2 s[22:23], s[0:1], 0x68
	s_load_dwordx4 s[12:15], s[0:1], 0x58
	s_load_dword s5, s[24:25], 0x4
	v_and_b32_e32 v40, 63, v0
	v_and_b32_e32 v38, 3, v0
	v_mov_b32_e32 v37, s18
	v_mov_b32_e32 v41, s17
	;; [unrolled: 1-line block ×5, first 2 shown]
                                        ; implicit-def: $vgpr3
                                        ; implicit-def: $vgpr7
                                        ; implicit-def: $vgpr11
                                        ; implicit-def: $vgpr15
                                        ; implicit-def: $vgpr19
                                        ; implicit-def: $vgpr23
                                        ; implicit-def: $vgpr27
                                        ; implicit-def: $vgpr31
	s_xor_b64 exec, exec, s[26:27]
	s_cbranch_execz .LBB39_13
; %bb.8:
	s_add_i32 s21, s3, 15
	s_load_dwordx2 s[18:19], s[0:1], 0x20
	s_load_dword s17, s[0:1], 0x38
	s_ashr_i32 s28, s21, 31
	s_lshr_b32 s28, s28, 28
	v_add_u32_e32 v34, s16, v0
	s_add_i32 s21, s21, s28
	v_ashrrev_i32_e32 v3, 31, v34
	s_ashr_i32 s21, s21, 4
	v_lshrrev_b32_e32 v3, 28, v3
	s_add_i32 s21, s21, -1
	v_add_u32_e32 v3, v34, v3
	s_waitcnt lgkmcnt(0)
	s_mul_i32 s36, s2, s17
	s_mov_b32 s37, 0
	v_ashrrev_i32_e32 v3, 4, v3
	v_mov_b32_e32 v4, s21
	v_cmp_gt_i32_e32 vcc, s3, v34
	s_lshl_b64 s[28:29], s[36:37], 2
	s_add_u32 s18, s18, s28
	v_cndmask_b32_e32 v4, v4, v3, vcc
	v_ashrrev_i32_e32 v3, 31, v2
	v_lshrrev_b32_e32 v3, 28, v3
	s_addc_u32 s19, s19, s29
	v_ashrrev_i32_e32 v5, 31, v4
	v_add_u32_e32 v2, v2, v3
	v_lshl_add_u64 v[8:9], v[4:5], 2, s[18:19]
	v_ashrrev_i32_e32 v4, 4, v2
	v_min_i32_e32 v2, s21, v4
	v_ashrrev_i32_e32 v3, 31, v2
	v_lshl_add_u64 v[10:11], v[2:3], 2, s[18:19]
	v_add_u32_e32 v2, 1, v4
	v_min_i32_e32 v2, s21, v2
	v_ashrrev_i32_e32 v3, 31, v2
	v_lshl_add_u64 v[12:13], v[2:3], 2, s[18:19]
	v_add_u32_e32 v2, 2, v4
	;; [unrolled: 4-line block ×3, first 2 shown]
	v_min_i32_e32 v2, s21, v2
	v_ashrrev_i32_e32 v3, 31, v2
	v_lshl_add_u64 v[16:17], v[2:3], 2, s[18:19]
	global_load_dword v6, v[8:9], off
	global_load_dword v5, v[10:11], off
	;; [unrolled: 1-line block ×5, first 2 shown]
	s_load_dwordx4 s[16:19], s[0:1], 0x0
	s_load_dwordx2 s[28:29], s[0:1], 0x10
	s_andn2_b64 vcc, exec, s[10:11]
	s_cbranch_vccnz .LBB39_10
; %bb.9:
	s_add_u32 s8, s8, s34
	s_addc_u32 s9, s9, s35
	s_load_dword s36, s[8:9], 0x0
	s_waitcnt lgkmcnt(0)
	s_mov_b64 s[30:31], s[36:37]
.LBB39_10:
	s_load_dwordx4 s[8:11], s[0:1], 0x48
	v_lshrrev_b32_e32 v7, 2, v40
	v_lshlrev_b32_e32 v8, 3, v38
	v_add_lshl_u32 v7, v8, v7, 4
	v_and_b32_e32 v8, 15, v0
	s_waitcnt lgkmcnt(0)
	s_ashr_i32 s11, s8, 31
	s_mul_hi_u32 s21, s30, s8
	s_mul_i32 s31, s31, s8
	s_mul_i32 s34, s30, s8
	;; [unrolled: 1-line block ×3, first 2 shown]
	s_add_i32 s8, s21, s8
	s_add_i32 s35, s8, s31
	s_lshl_b64 s[30:31], s[34:35], 1
	s_add_u32 s8, s16, s30
	s_addc_u32 s11, s17, s31
	s_lshl_b32 s36, s4, 8
	s_lshl_b64 s[16:17], s[36:37], 1
	s_add_u32 s16, s8, s16
	s_addc_u32 s17, s11, s17
	global_load_dwordx4 v[42:45], v7, s[16:17]
	s_mul_i32 s36, s4, s10
	s_waitcnt vmcnt(5)
	v_mad_i64_i32 v[6:7], s[16:17], v6, s9, 0
	s_lshl_b64 s[10:11], s[36:37], 1
	s_add_u32 s16, s10, s18
	s_addc_u32 s17, s11, s19
	v_lshl_add_u64 v[6:7], v[6:7], 1, s[16:17]
	v_lshlrev_b32_e32 v30, 4, v8
	v_mov_b32_e32 v31, 0
	v_lshl_add_u64 v[32:33], v[6:7], 0, v[30:31]
	global_load_dwordx4 v[6:9], v[32:33], off
	global_load_dwordx4 v[10:13], v[32:33], off offset:256
	global_load_dwordx4 v[14:17], v[32:33], off offset:512
	;; [unrolled: 1-line block ×7, first 2 shown]
	s_waitcnt vmcnt(12)
	v_mul_hi_i32 v30, v5, s9
	s_add_u32 s10, s28, s10
	s_waitcnt vmcnt(11)
	v_mul_hi_i32 v32, v4, s9
	s_waitcnt vmcnt(10)
	v_mul_hi_i32 v33, v3, s9
	v_ashrrev_i32_e32 v36, 31, v30
	s_addc_u32 s11, s29, s11
	v_lshlrev_b32_e32 v30, 5, v40
	v_ashrrev_i32_e32 v54, 31, v32
	v_ashrrev_i32_e32 v55, 31, v33
	v_lshl_add_u64 v[32:33], s[10:11], 0, v[30:31]
	v_lshrrev_b32_e32 v30, 29, v36
	s_waitcnt vmcnt(9)
	v_mul_hi_i32 v35, v2, s9
	v_mad_i64_i32 v[36:37], s[10:11], v5, s9, v[30:31]
	v_lshrrev_b32_e32 v30, 29, v54
	v_ashrrev_i32_e32 v35, 31, v35
	v_lshlrev_b64 v[36:37], 1, v[36:37]
	v_mad_i64_i32 v[4:5], s[10:11], v4, s9, v[30:31]
	v_lshrrev_b32_e32 v30, 29, v55
	v_and_b32_e32 v36, -16, v36
	v_lshlrev_b64 v[54:55], 1, v[4:5]
	v_mad_i64_i32 v[4:5], s[10:11], v3, s9, v[30:31]
	v_lshrrev_b32_e32 v30, 29, v35
	v_lshl_add_u64 v[36:37], v[32:33], 0, v[36:37]
	v_and_b32_e32 v54, -16, v54
	v_lshlrev_b64 v[56:57], 1, v[4:5]
	v_and_b32_e32 v56, -16, v56
	s_load_dword s0, s[0:1], 0x1c
	v_and_b32_e32 v60, -4, v34
	v_cmp_eq_u32_e32 vcc, 0, v38
	v_lshlrev_b32_e32 v61, 2, v0
	s_waitcnt vmcnt(7)
	v_mfma_f32_4x4x4_16b_f16 a[0:3], v[42:43], v[6:7], 0 cbsz:4
	v_cndmask_b32_e64 v39, 0, 1.0, vcc
	s_nop 0
	v_mfma_f32_4x4x4_16b_f16 a[0:3], v[44:45], v[8:9], a[0:3] cbsz:4
	v_cmp_eq_u32_e32 vcc, 1, v38
	s_waitcnt vmcnt(6)
	v_mfma_f32_4x4x4_16b_f16 a[0:3], v[42:43], v[10:11], a[0:3] cbsz:4 abid:1
	v_mad_i64_i32 v[10:11], s[8:9], v2, s9, v[30:31]
	s_nop 0
	v_mfma_f32_4x4x4_16b_f16 a[0:3], v[44:45], v[12:13], a[0:3] cbsz:4 abid:1
	global_load_dwordx4 v[2:5], v[36:37], off
	global_load_dwordx4 v[6:9], v[36:37], off offset:16
	s_waitcnt vmcnt(7)
	v_mfma_f32_4x4x4_16b_f16 a[0:3], v[42:43], v[14:15], a[0:3] cbsz:4 abid:2
	v_lshlrev_b64 v[36:37], 1, v[10:11]
	v_lshl_add_u64 v[30:31], v[32:33], 0, v[54:55]
	v_mfma_f32_4x4x4_16b_f16 a[0:3], v[44:45], v[16:17], a[0:3] cbsz:4 abid:2
	v_and_b32_e32 v36, -16, v36
	global_load_dwordx4 v[10:13], v[30:31], off
	global_load_dwordx4 v[14:17], v[30:31], off offset:16
	s_waitcnt vmcnt(8)
	v_mfma_f32_4x4x4_16b_f16 a[0:3], v[42:43], v[18:19], a[0:3] cbsz:4 abid:3
	v_lshl_add_u64 v[30:31], v[32:33], 0, v[56:57]
	v_lshl_add_u64 v[36:37], v[32:33], 0, v[36:37]
	v_mfma_f32_4x4x4_16b_f16 a[0:3], v[44:45], v[20:21], a[0:3] cbsz:4 abid:3
	v_cndmask_b32_e64 v41, 0, 1.0, vcc
	v_cmp_eq_u32_e32 vcc, 2, v38
	s_waitcnt vmcnt(7)
	v_mfma_f32_4x4x4_16b_f16 a[0:3], v[42:43], v[22:23], a[0:3] cbsz:4 abid:4
	v_cndmask_b32_e64 v58, 0, 1.0, vcc
	s_nop 0
	v_mfma_f32_4x4x4_16b_f16 a[0:3], v[44:45], v[24:25], a[0:3] cbsz:4 abid:4
	global_load_dwordx4 v[18:21], v[30:31], off
	global_load_dwordx4 v[22:25], v[30:31], off offset:16
	s_waitcnt vmcnt(8)
	v_mfma_f32_4x4x4_16b_f16 a[0:3], v[42:43], v[26:27], a[0:3] cbsz:4 abid:5
	v_cmp_eq_u32_e32 vcc, 3, v38
	s_nop 0
	v_mfma_f32_4x4x4_16b_f16 a[0:3], v[44:45], v[28:29], a[0:3] cbsz:4 abid:5
	global_load_dwordx4 v[26:29], v[36:37], off
	global_load_dwordx4 v[30:33], v[36:37], off offset:16
	s_waitcnt vmcnt(9)
	v_mfma_f32_4x4x4_16b_f16 a[0:3], v[42:43], v[46:47], a[0:3] cbsz:4 abid:6
	v_cndmask_b32_e64 v59, 0, 1.0, vcc
	v_mov_b32_e32 v46, 0xff7fffff
	v_mfma_f32_4x4x4_16b_f16 a[0:3], v[44:45], v[48:49], a[0:3] cbsz:4 abid:6
	v_cmp_gt_i32_e32 vcc, s3, v60
	s_waitcnt vmcnt(8)
	v_mfma_f32_4x4x4_16b_f16 a[0:3], v[42:43], v[50:51], a[0:3] cbsz:4 abid:7
	v_or_b32_e32 v42, 3, v34
	v_and_or_b32 v43, v61, 48, v38
	v_mfma_f32_4x4x4_16b_f16 a[0:3], v[44:45], v[52:53], a[0:3] cbsz:4 abid:7
	v_cmp_gt_i32_e64 s[10:11], s3, v42
	s_nop 3
	v_accvgpr_read_b32 v35, a1
	v_accvgpr_read_b32 v34, a0
	s_waitcnt lgkmcnt(0)
	v_pk_mul_f32 v[34:35], s[0:1], v[34:35] op_sel_hi:[0,1]
	v_accvgpr_read_b32 v37, a3
	v_accvgpr_read_b32 v36, a2
	v_pk_mul_f32 v[36:37], s[0:1], v[36:37] op_sel_hi:[0,1]
	v_mfma_f32_4x4x1_16b_f32 a[0:3], v34, v39, 0
	v_or_b32_e32 v34, 1, v60
	s_nop 0
	v_mfma_f32_4x4x1_16b_f32 a[0:3], v35, v41, a[0:3]
	v_lshlrev_b32_e32 v39, 2, v43
	v_cmp_gt_i32_e64 s[0:1], s3, v34
	v_mfma_f32_4x4x1_16b_f32 a[0:3], v36, v58, a[0:3]
	v_or_b32_e32 v35, 2, v60
	v_cmp_gt_i32_e64 s[8:9], s3, v35
	v_mfma_f32_4x4x1_16b_f32 a[0:3], v37, v59, a[0:3]
	s_nop 3
	v_accvgpr_read_b32 v36, a0
	v_max_f32_e32 v41, v36, v36
	v_accvgpr_read_b32 v37, a1
	v_max_f32_e32 v41, 0xff7fffff, v41
	v_max_f32_e32 v45, v37, v37
	v_cndmask_b32_e32 v41, v46, v41, vcc
	v_accvgpr_read_b32 v43, a2
	v_max_f32_e32 v45, v41, v45
	v_max_f32_e32 v47, v43, v43
	v_cndmask_b32_e64 v34, v41, v45, s[0:1]
	v_accvgpr_read_b32 v44, a3
	v_max_f32_e32 v41, v34, v47
	v_max_f32_e32 v48, v44, v44
	v_cndmask_b32_e64 v34, v34, v41, s[8:9]
	v_max_f32_e32 v35, v34, v48
	v_cndmask_b32_e64 v34, v34, v35, s[10:11]
	;;#ASMSTART
	v_nop
 v_nop
 v_max_f32_dpp v34, v34, v34 row_ror:4
	;;#ASMEND
	s_nop 0
	;;#ASMSTART
	v_nop
 v_nop
 v_max_f32_dpp v34, v34, v34 row_ror:8
	;;#ASMEND
	ds_bpermute_b32 v34, v39, v34
	s_waitcnt lgkmcnt(0)
	;;#ASMSTART
	v_nop
 v_nop
 v_max_f32_dpp v34, v34, v34 row_ror:4
	;;#ASMEND
	s_nop 0
	;;#ASMSTART
	v_nop
 v_nop
 v_max_f32_dpp v41, v34, v34 row_ror:8
	;;#ASMEND
	s_nop 0
	v_sub_f32_e32 v34, v36, v41
	v_sub_f32_e32 v35, v37, v41
	v_mul_f32_e32 v34, 0x3fb8aa3b, v34
	v_sub_f32_e32 v36, v43, v41
	v_mul_f32_e32 v35, 0x3fb8aa3b, v35
	v_exp_f32_e32 v34, v34
	v_sub_f32_e32 v37, v44, v41
	v_mul_f32_e32 v36, 0x3fb8aa3b, v36
	v_exp_f32_e32 v35, v35
	v_mul_f32_e32 v37, 0x3fb8aa3b, v37
	v_exp_f32_e32 v36, v36
	v_exp_f32_e32 v37, v37
	v_cndmask_b32_e32 v34, 0, v34, vcc
	v_cndmask_b32_e64 v35, 0, v35, s[0:1]
	v_add_f32_e32 v42, 0, v34
	v_cndmask_b32_e64 v36, 0, v36, s[8:9]
	v_add_f32_e32 v42, v42, v35
	;; [unrolled: 2-line block ×3, first 2 shown]
	v_add_f32_e32 v42, v42, v37
	;;#ASMSTART
	v_nop
 v_nop
 v_add_f32_dpp v42, v42, v42 row_ror:4
	;;#ASMEND
	v_cmp_gt_u32_e32 vcc, 4, v40
	;;#ASMSTART
	v_nop
 v_nop
 v_add_f32_dpp v42, v42, v42 row_ror:8
	;;#ASMEND
	ds_bpermute_b32 v39, v39, v42
	s_waitcnt lgkmcnt(0)
	;;#ASMSTART
	v_nop
 v_nop
 v_add_f32_dpp v39, v39, v39 row_ror:4
	;;#ASMEND
	s_nop 0
	;;#ASMSTART
	v_nop
 v_nop
 v_add_f32_dpp v39, v39, v39 row_ror:8
	;;#ASMEND
	s_and_saveexec_b64 s[0:1], vcc
	s_cbranch_execz .LBB39_12
; %bb.11:
	v_mul_u32_u24_e32 v42, 20, v1
	v_lshl_add_u32 v42, v38, 2, v42
	v_add_u32_e32 v42, 0x800, v42
	ds_write2_b32 v42, v41, v39 offset0:128 offset1:148
.LBB39_12:
	s_or_b64 exec, exec, s[0:1]
.LBB39_13:
	s_or_b64 exec, exec, s[26:27]
	v_lshlrev_b32_e32 v39, 2, v38
	v_add_u32_e32 v39, 0x800, v39
	s_waitcnt lgkmcnt(0)
	s_barrier
	s_load_dword s0, s[24:25], 0x8
	ds_read2_b32 v[44:45], v39 offset0:128 offset1:133
	ds_read2_b32 v[46:47], v39 offset0:138 offset1:143
	s_mov_b32 s8, 0xff7fffff
	s_mul_i32 s1, s2, s5
	s_lshl_b32 s4, s4, 2
	s_waitcnt lgkmcnt(0)
	v_max3_f32 v42, v44, s8, v45
	s_mul_i32 s1, s1, s0
	v_max3_f32 v42, v42, v46, v47
	s_lshl_b32 s0, s1, 2
	s_mov_b32 s1, 0
	v_sub_f32_e32 v43, v44, v42
	v_sub_f32_e32 v44, v45, v42
	s_lshl_b64 s[2:3], s[0:1], 2
	ds_read2_b32 v[48:49], v39 offset0:148 offset1:153
	v_mul_f32_e32 v43, 0x3fb8aa3b, v43
	v_mul_f32_e32 v44, 0x3fb8aa3b, v44
	s_mov_b32 s21, s1
	s_add_u32 s1, s12, s2
	v_exp_f32_e32 v43, v43
	v_exp_f32_e32 v50, v44
	ds_read2_b32 v[44:45], v39 offset0:158 offset1:163
	v_sub_f32_e32 v39, v46, v42
	s_addc_u32 s10, s13, s3
	v_mul_f32_e32 v39, 0x3fb8aa3b, v39
	v_sub_f32_e32 v46, v47, v42
	s_add_u32 s8, s14, s2
	v_exp_f32_e32 v39, v39
	v_mul_f32_e32 v46, 0x3fb8aa3b, v46
	s_addc_u32 s9, s15, s3
	s_lshl_b64 s[2:3], s[20:21], 2
	v_exp_f32_e32 v46, v46
	s_add_u32 s8, s8, s2
	s_waitcnt lgkmcnt(1)
	v_fma_f32 v43, v43, v48, 0
	s_addc_u32 s9, s9, s3
	v_fmac_f32_e32 v43, v50, v49
	v_or_b32_e32 v38, s4, v38
	s_waitcnt lgkmcnt(0)
	v_fmac_f32_e32 v43, v39, v44
	s_add_u32 s2, s1, s2
	v_mul_lo_u32 v38, s5, v38
	v_mov_b32_e32 v39, 0
	v_fmac_f32_e32 v43, v46, v45
	s_addc_u32 s3, s10, s3
	v_lshlrev_b64 v[44:45], 2, v[38:39]
	v_lshl_add_u64 v[46:47], s[8:9], 0, v[44:45]
	v_lshl_add_u64 v[44:45], s[2:3], 0, v[44:45]
	v_mov_b32_e32 v38, v39
	global_store_dword v[46:47], v42, off
	global_store_dword v[44:45], v43, off
	s_and_saveexec_b64 s[2:3], s[6:7]
	s_cbranch_execz .LBB39_15
; %bb.14:
	v_add_f32_e32 v38, 0x358637bd, v43
	v_div_scale_f32 v39, s[6:7], v38, v38, 1.0
	v_rcp_f32_e32 v43, v39
	v_div_scale_f32 v44, vcc, 1.0, v38, 1.0
	v_sub_f32_e32 v41, v41, v42
	v_fma_f32 v45, -v39, v43, 1.0
	v_fmac_f32_e32 v43, v45, v43
	v_mul_f32_e32 v45, v44, v43
	v_fma_f32 v46, -v39, v45, v44
	v_mul_f32_e32 v41, 0x3fb8aa3b, v41
	v_fmac_f32_e32 v45, v46, v43
	v_exp_f32_e32 v41, v41
	v_fma_f32 v39, -v39, v45, v44
	v_div_fmas_f32 v39, v39, v43, v45
	v_div_fixup_f32 v38, v39, v38, 1.0
	v_mul_f32_e32 v38, v41, v38
	v_pk_mul_f32 v[36:37], v[36:37], v[38:39] op_sel_hi:[1,0]
	v_pk_mul_f32 v[34:35], v[34:35], v[38:39] op_sel_hi:[1,0]
	v_cvt_f16_f32_e32 v36, v36
	v_cvt_f16_f32_e32 v34, v34
	;; [unrolled: 1-line block ×4, first 2 shown]
	s_mov_b32 s1, 0x5040100
	v_pack_b32_f16 v34, v34, v35
	v_pack_b32_f16 v35, v36, v37
	s_waitcnt vmcnt(9)
	s_nop 0
	v_mfma_f32_4x4x4_16b_f16 a[0:3], v[34:35], v[2:3], 0 cbsz:4
	s_nop 1
	v_mfma_f32_4x4x4_16b_f16 a[0:3], v[34:35], v[4:5], a[0:3] cbsz:4 abid:1
	s_waitcnt vmcnt(8)
	s_nop 0
	v_mfma_f32_4x4x4_16b_f16 a[0:3], v[34:35], v[6:7], a[0:3] cbsz:4 abid:2
	s_nop 1
	v_mfma_f32_4x4x4_16b_f16 a[0:3], v[34:35], v[8:9], a[0:3] cbsz:4 abid:3
	s_waitcnt vmcnt(7)
	s_nop 0
	v_mfma_f32_4x4x4_16b_f16 a[0:3], v[34:35], v[10:11], a[0:3] cbsz:4 abid:4
	;; [unrolled: 5-line block ×7, first 2 shown]
	s_nop 1
	v_mfma_f32_4x4x4_16b_f16 a[0:3], v[34:35], v[32:33], a[0:3] cbsz:4 abid:15
	s_nop 4
	v_accvgpr_read_b32 v2, a0
	v_accvgpr_read_b32 v3, a1
	;; [unrolled: 1-line block ×4, first 2 shown]
	v_cvt_f16_f32_e32 v2, v2
	v_cvt_f16_f32_e32 v3, v3
	;; [unrolled: 1-line block ×4, first 2 shown]
	v_perm_b32 v38, v3, v2, s1
	v_perm_b32 v39, v5, v4, s1
.LBB39_15:
	s_or_b64 exec, exec, s[2:3]
	v_lshlrev_b32_e32 v1, 3, v1
	v_mad_u32_u24 v1, v40, 40, v1
	v_cmp_gt_u32_e32 vcc, 64, v0
	ds_write_b64 v1, v[38:39]
	s_waitcnt lgkmcnt(0)
	s_barrier
	s_and_saveexec_b64 s[2:3], vcc
	s_cbranch_execz .LBB39_17
; %bb.16:
	v_mul_u32_u24_e32 v1, 40, v40
	s_waitcnt vmcnt(9)
	ds_read2_b64 v[2:5], v1 offset1:1
	s_waitcnt vmcnt(8)
	ds_read2_b64 v[6:9], v1 offset0:2 offset1:3
	s_mov_b32 s1, 0
	s_lshl_b32 s0, s0, 6
	s_lshl_b64 s[2:3], s[0:1], 1
	s_add_u32 s2, s22, s2
	s_addc_u32 s3, s23, s3
	s_lshl_b32 s0, s20, 6
	s_lshl_b64 s[0:1], s[0:1], 1
	s_waitcnt lgkmcnt(1)
	v_pk_add_f16 v1, v2, 0
	v_pk_add_f16 v2, v3, 0
	s_add_u32 s0, s2, s0
	v_pk_add_f16 v2, v2, v5
	s_addc_u32 s1, s3, s1
	s_lshl_b32 s2, s5, 6
	v_pk_add_f16 v1, v1, v4
	s_waitcnt lgkmcnt(0)
	v_pk_add_f16 v2, v2, v7
	s_mul_i32 s3, s2, s4
	v_pk_add_f16 v1, v1, v6
	v_pk_add_f16 v6, v2, v9
	v_or_b32_e32 v2, s3, v0
	v_mov_b32_e32 v3, 0
	s_add_i32 s3, s3, s2
	v_pk_add_f16 v1, v1, v8
	v_lshl_add_u64 v[4:5], v[2:3], 1, s[0:1]
	v_or_b32_e32 v2, s3, v0
	s_add_i32 s3, s3, s2
	global_store_short v[4:5], v1, off
	v_lshl_add_u64 v[4:5], v[2:3], 1, s[0:1]
	v_or_b32_e32 v2, s3, v0
	s_add_i32 s3, s3, s2
	global_store_short_d16_hi v[4:5], v1, off
	v_lshl_add_u64 v[4:5], v[2:3], 1, s[0:1]
	v_or_b32_e32 v2, s3, v0
	v_lshl_add_u64 v[0:1], v[2:3], 1, s[0:1]
	global_store_short v[4:5], v6, off
	global_store_short_d16_hi v[0:1], v6, off
.LBB39_17:
	s_endpgm
.LBB39_18:
	s_mov_b64 s[12:13], 0
                                        ; implicit-def: $sgpr30_sgpr31
	s_branch .LBB39_2
	.section	.rodata,"a",@progbits
	.p2align	6, 0x0
	.amdhsa_kernel _Z38paged_attention_ll4mi_QKV_mfma4_kernelIDF16_DF16_LN4vllm18Fp8KVCacheDataTypeE0EhLi16ELi64ELi256ELb0ELi4EEvPKT_PKT0_S7_ifPKiS9_S9_iPKfiiiPfSC_PS2_PT2_iSB_SB_
		.amdhsa_group_segment_fixed_size 2720
		.amdhsa_private_segment_fixed_size 0
		.amdhsa_kernarg_size 400
		.amdhsa_user_sgpr_count 2
		.amdhsa_user_sgpr_dispatch_ptr 0
		.amdhsa_user_sgpr_queue_ptr 0
		.amdhsa_user_sgpr_kernarg_segment_ptr 1
		.amdhsa_user_sgpr_dispatch_id 0
		.amdhsa_user_sgpr_kernarg_preload_length 0
		.amdhsa_user_sgpr_kernarg_preload_offset 0
		.amdhsa_user_sgpr_private_segment_size 0
		.amdhsa_uses_dynamic_stack 0
		.amdhsa_enable_private_segment 0
		.amdhsa_system_sgpr_workgroup_id_x 1
		.amdhsa_system_sgpr_workgroup_id_y 1
		.amdhsa_system_sgpr_workgroup_id_z 1
		.amdhsa_system_sgpr_workgroup_info 0
		.amdhsa_system_vgpr_workitem_id 0
		.amdhsa_next_free_vgpr 68
		.amdhsa_next_free_sgpr 38
		.amdhsa_accum_offset 64
		.amdhsa_reserve_vcc 1
		.amdhsa_float_round_mode_32 0
		.amdhsa_float_round_mode_16_64 0
		.amdhsa_float_denorm_mode_32 3
		.amdhsa_float_denorm_mode_16_64 3
		.amdhsa_dx10_clamp 1
		.amdhsa_ieee_mode 1
		.amdhsa_fp16_overflow 0
		.amdhsa_tg_split 0
		.amdhsa_exception_fp_ieee_invalid_op 0
		.amdhsa_exception_fp_denorm_src 0
		.amdhsa_exception_fp_ieee_div_zero 0
		.amdhsa_exception_fp_ieee_overflow 0
		.amdhsa_exception_fp_ieee_underflow 0
		.amdhsa_exception_fp_ieee_inexact 0
		.amdhsa_exception_int_div_zero 0
	.end_amdhsa_kernel
	.section	.text._Z38paged_attention_ll4mi_QKV_mfma4_kernelIDF16_DF16_LN4vllm18Fp8KVCacheDataTypeE0EhLi16ELi64ELi256ELb0ELi4EEvPKT_PKT0_S7_ifPKiS9_S9_iPKfiiiPfSC_PS2_PT2_iSB_SB_,"axG",@progbits,_Z38paged_attention_ll4mi_QKV_mfma4_kernelIDF16_DF16_LN4vllm18Fp8KVCacheDataTypeE0EhLi16ELi64ELi256ELb0ELi4EEvPKT_PKT0_S7_ifPKiS9_S9_iPKfiiiPfSC_PS2_PT2_iSB_SB_,comdat
.Lfunc_end39:
	.size	_Z38paged_attention_ll4mi_QKV_mfma4_kernelIDF16_DF16_LN4vllm18Fp8KVCacheDataTypeE0EhLi16ELi64ELi256ELb0ELi4EEvPKT_PKT0_S7_ifPKiS9_S9_iPKfiiiPfSC_PS2_PT2_iSB_SB_, .Lfunc_end39-_Z38paged_attention_ll4mi_QKV_mfma4_kernelIDF16_DF16_LN4vllm18Fp8KVCacheDataTypeE0EhLi16ELi64ELi256ELb0ELi4EEvPKT_PKT0_S7_ifPKiS9_S9_iPKfiiiPfSC_PS2_PT2_iSB_SB_
                                        ; -- End function
	.section	.AMDGPU.csdata,"",@progbits
; Kernel info:
; codeLenInByte = 3144
; NumSgprs: 44
; NumVgprs: 62
; NumAgprs: 4
; TotalNumVgprs: 68
; ScratchSize: 0
; MemoryBound: 0
; FloatMode: 240
; IeeeMode: 1
; LDSByteSize: 2720 bytes/workgroup (compile time only)
; SGPRBlocks: 5
; VGPRBlocks: 8
; NumSGPRsForWavesPerEU: 44
; NumVGPRsForWavesPerEU: 68
; AccumOffset: 64
; Occupancy: 7
; WaveLimiterHint : 1
; COMPUTE_PGM_RSRC2:SCRATCH_EN: 0
; COMPUTE_PGM_RSRC2:USER_SGPR: 2
; COMPUTE_PGM_RSRC2:TRAP_HANDLER: 0
; COMPUTE_PGM_RSRC2:TGID_X_EN: 1
; COMPUTE_PGM_RSRC2:TGID_Y_EN: 1
; COMPUTE_PGM_RSRC2:TGID_Z_EN: 1
; COMPUTE_PGM_RSRC2:TIDIG_COMP_CNT: 0
; COMPUTE_PGM_RSRC3_GFX90A:ACCUM_OFFSET: 15
; COMPUTE_PGM_RSRC3_GFX90A:TG_SPLIT: 0
	.section	.text._Z39paged_attention_ll4mi_QKV_mfma16_kernelIDF16_DF16_LN4vllm18Fp8KVCacheDataTypeE0EhLi16ELi64ELi256ELb0ELi5EEvPKT_PKT0_S7_ifPKiS9_S9_iPKfiiiPfSC_PS2_PT2_iSB_SB_,"axG",@progbits,_Z39paged_attention_ll4mi_QKV_mfma16_kernelIDF16_DF16_LN4vllm18Fp8KVCacheDataTypeE0EhLi16ELi64ELi256ELb0ELi5EEvPKT_PKT0_S7_ifPKiS9_S9_iPKfiiiPfSC_PS2_PT2_iSB_SB_,comdat
	.protected	_Z39paged_attention_ll4mi_QKV_mfma16_kernelIDF16_DF16_LN4vllm18Fp8KVCacheDataTypeE0EhLi16ELi64ELi256ELb0ELi5EEvPKT_PKT0_S7_ifPKiS9_S9_iPKfiiiPfSC_PS2_PT2_iSB_SB_ ; -- Begin function _Z39paged_attention_ll4mi_QKV_mfma16_kernelIDF16_DF16_LN4vllm18Fp8KVCacheDataTypeE0EhLi16ELi64ELi256ELb0ELi5EEvPKT_PKT0_S7_ifPKiS9_S9_iPKfiiiPfSC_PS2_PT2_iSB_SB_
	.globl	_Z39paged_attention_ll4mi_QKV_mfma16_kernelIDF16_DF16_LN4vllm18Fp8KVCacheDataTypeE0EhLi16ELi64ELi256ELb0ELi5EEvPKT_PKT0_S7_ifPKiS9_S9_iPKfiiiPfSC_PS2_PT2_iSB_SB_
	.p2align	8
	.type	_Z39paged_attention_ll4mi_QKV_mfma16_kernelIDF16_DF16_LN4vllm18Fp8KVCacheDataTypeE0EhLi16ELi64ELi256ELb0ELi5EEvPKT_PKT0_S7_ifPKiS9_S9_iPKfiiiPfSC_PS2_PT2_iSB_SB_,@function
_Z39paged_attention_ll4mi_QKV_mfma16_kernelIDF16_DF16_LN4vllm18Fp8KVCacheDataTypeE0EhLi16ELi64ELi256ELb0ELi5EEvPKT_PKT0_S7_ifPKiS9_S9_iPKfiiiPfSC_PS2_PT2_iSB_SB_: ; @_Z39paged_attention_ll4mi_QKV_mfma16_kernelIDF16_DF16_LN4vllm18Fp8KVCacheDataTypeE0EhLi16ELi64ELi256ELb0ELi5EEvPKT_PKT0_S7_ifPKiS9_S9_iPKfiiiPfSC_PS2_PT2_iSB_SB_
; %bb.0:
	s_load_dwordx2 s[12:13], s[0:1], 0x30
	s_mov_b32 s28, s3
	s_mov_b64 s[6:7], 0
	s_waitcnt lgkmcnt(0)
	s_cmp_lg_u64 s[12:13], 0
	s_cselect_b64 s[14:15], -1, 0
	s_and_b64 vcc, exec, s[14:15]
	s_cbranch_vccz .LBB40_7
; %bb.1:
	s_add_i32 s8, s2, 1
	s_mov_b32 s9, 0
	s_lshl_b64 s[10:11], s[8:9], 2
	s_add_u32 s10, s12, s10
	s_mov_b32 s3, s9
	s_addc_u32 s11, s13, s11
	s_lshl_b64 s[8:9], s[2:3], 2
	s_add_u32 s8, s12, s8
	s_addc_u32 s9, s13, s9
	s_load_dword s5, s[10:11], 0x0
	s_load_dword s16, s[8:9], 0x0
	s_waitcnt lgkmcnt(0)
	s_sub_i32 s5, s5, s16
	s_cmp_eq_u32 s5, 1
	s_cselect_b64 s[8:9], -1, 0
	s_andn2_b64 vcc, exec, s[6:7]
	s_cbranch_vccnz .LBB40_3
.LBB40_2:
	s_mov_b32 s3, 0
	s_mov_b64 s[8:9], -1
.LBB40_3:
	s_andn2_b64 vcc, exec, s[8:9]
	s_cbranch_vccnz .LBB40_18
; %bb.4:
	s_load_dwordx2 s[6:7], s[0:1], 0x28
	s_lshl_b64 s[16:17], s[2:3], 2
	s_waitcnt lgkmcnt(0)
	s_add_u32 s6, s6, s16
	s_addc_u32 s7, s7, s17
	s_load_dword s33, s[6:7], 0x0
	s_lshl_b32 s18, s28, 8
	s_waitcnt lgkmcnt(0)
	s_cmp_ge_i32 s18, s33
	s_cbranch_scc1 .LBB40_18
; %bb.5:
	s_load_dwordx2 s[6:7], s[0:1], 0x20
	s_load_dword s5, s[0:1], 0x38
	s_add_i32 s8, s33, 15
	s_ashr_i32 s9, s8, 31
	v_and_b32_e32 v1, 0xcf, v0
	s_lshr_b32 s9, s9, 28
	v_add_u32_e32 v1, s18, v1
	s_add_i32 s8, s8, s9
	v_ashrrev_i32_e32 v2, 31, v1
	s_ashr_i32 s19, s8, 4
	v_lshrrev_b32_e32 v10, 28, v2
	s_add_i32 s19, s19, -1
	s_waitcnt lgkmcnt(0)
	s_mul_i32 s8, s2, s5
	s_mov_b32 s9, 0
	v_add_u32_e32 v2, v1, v10
	s_lshl_b64 s[8:9], s[8:9], 2
	v_ashrrev_i32_e32 v2, 4, v2
	v_mov_b32_e32 v11, s19
	v_cmp_gt_i32_e32 vcc, s33, v1
	s_add_u32 s6, s6, s8
	s_addc_u32 s7, s7, s9
	v_cndmask_b32_e32 v2, v11, v2, vcc
	v_ashrrev_i32_e32 v3, 31, v2
	v_lshl_add_u64 v[4:5], v[2:3], 2, s[6:7]
	v_or_b32_e32 v2, 16, v1
	v_add_u32_e32 v3, v2, v10
	v_ashrrev_i32_e32 v3, 4, v3
	v_cmp_gt_i32_e32 vcc, s33, v2
	s_load_dwordx4 s[8:11], s[0:1], 0x8
	s_nop 0
	v_cndmask_b32_e32 v2, v11, v3, vcc
	v_ashrrev_i32_e32 v3, 31, v2
	v_lshl_add_u64 v[6:7], v[2:3], 2, s[6:7]
	v_or_b32_e32 v2, 32, v1
	v_add_u32_e32 v3, v2, v10
	v_ashrrev_i32_e32 v3, 4, v3
	v_cmp_gt_i32_e32 vcc, s33, v2
	v_or_b32_e32 v1, 48, v1
	s_nop 0
	v_cndmask_b32_e32 v2, v11, v3, vcc
	v_ashrrev_i32_e32 v3, 31, v2
	v_lshl_add_u64 v[8:9], v[2:3], 2, s[6:7]
	v_add_u32_e32 v2, v1, v10
	v_ashrrev_i32_e32 v2, 4, v2
	v_cmp_gt_i32_e32 vcc, s33, v1
	s_nop 1
	v_cndmask_b32_e32 v2, v11, v2, vcc
	v_ashrrev_i32_e32 v3, 31, v2
	v_lshl_add_u64 v[12:13], v[2:3], 2, s[6:7]
	global_load_dword v3, v[4:5], off
	global_load_dword v2, v[6:7], off
	;; [unrolled: 1-line block ×4, first 2 shown]
	s_andn2_b64 vcc, exec, s[14:15]
	s_cbranch_vccnz .LBB40_8
; %bb.6:
	s_add_u32 s12, s12, s16
	s_addc_u32 s13, s13, s17
	s_load_dword s5, s[12:13], 0x0
	s_branch .LBB40_9
.LBB40_7:
	s_mov_b64 s[8:9], 0
	s_branch .LBB40_2
.LBB40_8:
	s_mov_b32 s5, s2
.LBB40_9:
	s_load_dwordx4 s[44:47], s[0:1], 0x48
	v_lshrrev_b32_e32 v37, 6, v0
	v_bfe_u32 v54, v0, 4, 2
	v_lshl_or_b32 v1, v37, 2, v54
	v_and_b32_e32 v36, 15, v0
	v_lshlrev_b32_e32 v4, 3, v36
	v_cmp_gt_u32_e32 vcc, 5, v1
	v_cmp_gt_u32_e64 s[30:31], 8, v36
	v_and_b32_e32 v55, 63, v0
	s_mul_i32 s42, s4, 5
	s_and_b64 s[14:15], s[30:31], vcc
	v_lshlrev_b32_e32 v34, 1, v4
	s_and_saveexec_b64 s[12:13], s[14:15]
	s_cbranch_execz .LBB40_11
; %bb.10:
	s_load_dwordx2 s[14:15], s[0:1], 0x0
	s_waitcnt lgkmcnt(0)
	s_ashr_i32 s16, s44, 31
	s_mul_hi_u32 s17, s5, s44
	s_mul_i32 s16, s5, s16
	s_add_i32 s17, s17, s16
	s_mul_i32 s16, s5, s44
	s_lshl_b64 s[16:17], s[16:17], 1
	s_add_u32 s14, s14, s16
	v_add_lshl_u32 v4, v1, s42, 6
	s_addc_u32 s15, s15, s17
	v_ashrrev_i32_e32 v5, 31, v4
	v_lshl_add_u64 v[4:5], v[4:5], 1, s[14:15]
	v_mov_b32_e32 v35, 0
	v_lshl_add_u64 v[4:5], v[4:5], 0, v[34:35]
	global_load_dwordx4 v[4:7], v[4:5], off
	v_and_b32_e32 v8, 3, v0
	v_lshlrev_b32_e32 v9, 9, v36
	v_lshlrev_b32_e32 v1, 5, v1
	;; [unrolled: 1-line block ×3, first 2 shown]
	v_and_b32_e32 v9, 0x1800, v9
	v_or3_b32 v1, v9, v8, v1
	s_waitcnt vmcnt(0)
	ds_write_b128 v1, v[4:7]
.LBB40_11:
	s_or_b64 exec, exec, s[12:13]
	s_waitcnt lgkmcnt(0)
	s_mul_i32 s4, s4, s46
	s_mov_b32 s5, 0
	s_lshl_b64 s[4:5], s[4:5], 1
	s_add_u32 s8, s8, s4
	v_lshlrev_b32_e32 v1, 4, v0
	s_addc_u32 s9, s9, s5
	v_and_b32_e32 v30, 0xf0, v1
	v_mov_b32_e32 v31, 0
	v_lshl_add_u64 v[18:19], s[8:9], 0, v[30:31]
	s_waitcnt vmcnt(3)
	v_mad_i64_i32 v[4:5], s[8:9], v3, s45, 0
	v_lshl_add_u64 v[4:5], v[4:5], 1, v[18:19]
	v_and_b32_e32 v30, 0x300, v1
	s_waitcnt vmcnt(2)
	v_mad_i64_i32 v[2:3], s[8:9], v2, s45, 0
	v_lshl_add_u64 v[14:15], v[4:5], 0, v[30:31]
	v_lshl_add_u64 v[2:3], v[2:3], 1, v[18:19]
	s_load_dword s29, s[0:1], 0x98
	s_load_dword s12, s[0:1], 0x1c
	s_waitcnt lgkmcnt(0)
	s_barrier
	global_load_dwordx4 v[6:9], v[14:15], off
	global_load_dwordx4 v[26:29], v[14:15], off offset:1024
	v_lshl_add_u64 v[32:33], v[2:3], 0, v[30:31]
	global_load_dwordx4 v[2:5], v[32:33], off
	global_load_dwordx4 v[46:49], v[32:33], off offset:1024
	s_waitcnt vmcnt(5)
	v_mad_i64_i32 v[10:11], s[8:9], v10, s45, 0
	v_lshl_add_u64 v[10:11], v[10:11], 1, v[18:19]
	v_lshl_add_u64 v[38:39], v[10:11], 0, v[30:31]
	global_load_dwordx4 v[10:13], v[38:39], off
	global_load_dwordx4 v[56:59], v[38:39], off offset:1024
	s_waitcnt vmcnt(6)
	v_mad_i64_i32 v[16:17], s[8:9], v16, s45, 0
	v_lshl_add_u64 v[16:17], v[16:17], 1, v[18:19]
	v_lshl_add_u64 v[40:41], v[16:17], 0, v[30:31]
	global_load_dwordx4 v[18:21], v[40:41], off
	v_mul_lo_u16_e32 v16, 52, v36
	v_mov_b32_e32 v17, 5
	v_mul_lo_u16_sdwa v16, v16, v17 dst_sel:DWORD dst_unused:UNUSED_PAD src0_sel:BYTE_1 src1_sel:DWORD
	v_sub_u16_e32 v16, v36, v16
	v_lshlrev_b32_sdwa v16, v17, v16 dst_sel:DWORD dst_unused:UNUSED_PAD src0_sel:DWORD src1_sel:BYTE_0
	v_lshl_add_u32 v16, v54, 9, v16
	ds_read_b128 v[22:25], v16
	global_load_dwordx4 v[38:41], v[40:41], off offset:1024
	v_and_or_b32 v30, v0, 48, s18
	v_mov_b32_e32 v68, s19
	v_cmp_gt_i32_e32 vcc, s33, v30
	ds_read_b128 v[14:17], v16 offset:2048
	v_lshlrev_b32_e32 v35, 5, v36
	s_add_u32 s4, s10, s4
	s_addc_u32 s5, s11, s5
	s_mov_b32 s43, 0xff7fffff
	s_waitcnt vmcnt(7) lgkmcnt(1)
	v_mfma_f32_16x16x16_f16 v[42:45], v[6:7], v[22:23], 0
	v_ashrrev_i32_e32 v6, 4, v30
	v_or_b32_e32 v7, 64, v30
	s_waitcnt vmcnt(5)
	v_mfma_f32_16x16x16_f16 v[50:53], v[2:3], v[22:23], 0
	v_cndmask_b32_e32 v2, v68, v6, vcc
	v_ashrrev_i32_e32 v3, 31, v2
	v_ashrrev_i32_e32 v6, 4, v7
	v_cmp_gt_i32_e32 vcc, s33, v7
	v_lshl_add_u64 v[2:3], v[2:3], 2, s[6:7]
	s_waitcnt vmcnt(3)
	v_mfma_f32_16x16x16_f16 v[60:63], v[10:11], v[22:23], 0
	v_cndmask_b32_e32 v10, v68, v6, vcc
	v_ashrrev_i32_e32 v11, 31, v10
	v_lshl_add_u64 v[10:11], v[10:11], 2, s[6:7]
	v_mfma_f32_16x16x16_f16 v[6:9], v[8:9], v[24:25], v[42:45]
	s_nop 2
	global_load_dword v42, v[2:3], off
	global_load_dword v43, v[10:11], off
	s_waitcnt vmcnt(3)
	v_mfma_f32_16x16x16_f16 v[64:67], v[18:19], v[22:23], 0
	v_or_b32_e32 v22, 0x80, v30
	v_or_b32_e32 v23, 0xc0, v30
	v_ashrrev_i32_e32 v30, 4, v22
	v_cmp_gt_i32_e32 vcc, s33, v22
	v_ashrrev_i32_e32 v32, 4, v23
	v_mfma_f32_16x16x16_f16 v[2:5], v[4:5], v[24:25], v[50:53]
	v_cndmask_b32_e32 v22, v68, v30, vcc
	v_cmp_gt_i32_e32 vcc, s33, v23
	v_ashrrev_i32_e32 v23, 31, v22
	v_mfma_f32_16x16x16_f16 v[10:13], v[12:13], v[24:25], v[60:63]
	v_lshl_or_b32 v30, v37, 9, v35
	v_mfma_f32_16x16x16_f16 v[18:21], v[20:21], v[24:25], v[64:67]
	v_cndmask_b32_e32 v24, v68, v32, vcc
	v_ashrrev_i32_e32 v25, 31, v24
	v_lshl_add_u64 v[32:33], v[24:25], 2, s[6:7]
	s_waitcnt lgkmcnt(0)
	v_mfma_f32_16x16x16_f16 v[6:9], v[26:27], v[14:15], v[6:9]
	v_lshl_add_u64 v[26:27], v[22:23], 2, s[6:7]
	global_load_dword v60, v[26:27], off
	global_load_dword v61, v[32:33], off
	v_mfma_f32_16x16x16_f16 v[2:5], v[46:47], v[14:15], v[2:5]
	v_mfma_f32_16x16x16_f16 v[22:25], v[56:57], v[14:15], v[10:13]
	s_waitcnt vmcnt(4)
	v_mfma_f32_16x16x16_f16 v[18:21], v[38:39], v[14:15], v[18:21]
	s_nop 0
	v_lshl_add_u64 v[10:11], s[4:5], 0, v[30:31]
	s_waitcnt vmcnt(3)
	v_mad_i64_i32 v[26:27], s[4:5], v42, s45, 0
	v_mfma_f32_16x16x16_f16 v[12:15], v[28:29], v[16:17], v[6:9]
	v_lshl_add_u64 v[30:31], v[26:27], 1, v[10:11]
	s_waitcnt vmcnt(2)
	v_mad_i64_i32 v[32:33], s[4:5], v43, s45, 0
	v_mfma_f32_16x16x16_f16 v[26:29], v[48:49], v[16:17], v[2:5]
	v_lshl_add_u64 v[56:57], v[32:33], 1, v[10:11]
	s_nop 1
	v_pk_mul_f32 v[50:51], s[12:13], v[14:15] op_sel_hi:[0,1]
	v_pk_mul_f32 v[12:13], s[12:13], v[12:13] op_sel_hi:[0,1]
	v_mfma_f32_16x16x16_f16 v[22:25], v[58:59], v[16:17], v[22:25]
	global_load_dwordx4 v[6:9], v[30:31], off
	global_load_dwordx4 v[2:5], v[30:31], off offset:16
	v_pk_mul_f32 v[42:43], s[12:13], v[26:27] op_sel_hi:[0,1]
	v_pk_mul_f32 v[52:53], s[12:13], v[28:29] op_sel_hi:[0,1]
	v_mfma_f32_16x16x16_f16 v[14:17], v[40:41], v[16:17], v[18:21]
	s_nop 1
	v_pk_mul_f32 v[48:49], s[12:13], v[22:23] op_sel_hi:[0,1]
	v_pk_mul_f32 v[46:47], s[12:13], v[24:25] op_sel_hi:[0,1]
	global_load_dwordx4 v[30:33], v[56:57], off
	global_load_dwordx4 v[26:29], v[56:57], off offset:16
	s_nop 0
	v_pk_mul_f32 v[44:45], s[12:13], v[14:15] op_sel_hi:[0,1]
	v_and_b32_e32 v14, 0xc0, v0
	v_add_u32_e32 v14, s18, v14
	v_lshl_or_b32 v14, v54, 2, v14
	v_pk_mul_f32 v[38:39], s[12:13], v[16:17] op_sel_hi:[0,1]
	v_or_b32_e32 v17, 1, v14
	v_mov_b32_e32 v15, 0xff7fffff
	v_cmp_gt_i32_e64 s[4:5], s33, v14
	v_cmp_gt_i32_e64 s[34:35], s33, v17
	v_or_b32_e32 v18, 3, v14
	v_cndmask_b32_e64 v16, v15, v12, s[4:5]
	v_cndmask_b32_e64 v17, v15, v13, s[34:35]
	v_max3_f32 v16, v16, s43, v17
	v_or_b32_e32 v17, 2, v14
	v_cmp_gt_i32_e64 s[36:37], s33, v17
	v_cmp_gt_i32_e64 s[38:39], s33, v18
	s_nop 0
	v_cndmask_b32_e64 v17, v15, v50, s[36:37]
	v_cndmask_b32_e64 v18, v15, v51, s[38:39]
	v_max3_f32 v16, v16, v17, v18
	v_or_b32_e32 v17, 16, v14
	v_or_b32_e32 v18, 17, v14
	v_cmp_gt_i32_e64 s[24:25], s33, v17
	v_cmp_gt_i32_e64 s[26:27], s33, v18
	s_nop 0
	v_cndmask_b32_e64 v17, v15, v42, s[24:25]
	v_cndmask_b32_e64 v18, v15, v43, s[26:27]
	v_max3_f32 v16, v16, v17, v18
	v_or_b32_e32 v17, 18, v14
	;; [unrolled: 8-line block ×6, first 2 shown]
	v_or_b32_e32 v14, 51, v14
	v_cmp_gt_i32_e32 vcc, s33, v17
	v_cmp_gt_i32_e64 s[6:7], s33, v14
	s_nop 0
	v_cndmask_b32_e32 v17, v15, v38, vcc
	v_cndmask_b32_e64 v14, v15, v39, s[6:7]
	v_max3_f32 v16, v16, v17, v14
	v_mbcnt_lo_u32_b32 v14, -1, 0
	v_mbcnt_hi_u32_b32 v17, -1, v14
	v_and_b32_e32 v14, 64, v17
	v_add_u32_e32 v18, 64, v14
	v_xor_b32_e32 v14, 32, v17
	v_cmp_lt_i32_e64 s[40:41], v14, v18
	s_nop 1
	v_cndmask_b32_e64 v14, v17, v14, s[40:41]
	v_lshlrev_b32_e32 v58, 2, v14
	ds_bpermute_b32 v19, v58, v16
	s_waitcnt vmcnt(5)
	v_mad_i64_i32 v[14:15], s[40:41], v60, s45, 0
	v_lshl_add_u64 v[14:15], v[14:15], 1, v[10:11]
	s_waitcnt lgkmcnt(0)
	v_max_f32_e32 v19, v19, v19
	v_max_f32_e32 v16, v16, v19
	v_xor_b32_e32 v19, 16, v17
	v_cmp_lt_i32_e64 s[40:41], v19, v18
	s_nop 1
	v_cndmask_b32_e64 v17, v17, v19, s[40:41]
	v_lshlrev_b32_e32 v57, 2, v17
	ds_bpermute_b32 v17, v57, v16
	global_load_dwordx4 v[22:25], v[14:15], off
	global_load_dwordx4 v[18:21], v[14:15], off offset:16
	s_waitcnt vmcnt(6)
	v_mad_i64_i32 v[14:15], s[40:41], v61, s45, 0
	v_lshl_add_u64 v[10:11], v[14:15], 1, v[10:11]
	s_waitcnt lgkmcnt(0)
	v_max_f32_e32 v14, v17, v17
	v_max_f32_e32 v56, v16, v14
	v_sub_f32_e32 v12, v12, v56
	v_mul_f32_e32 v12, 0x3fb8aa3b, v12
	v_exp_f32_e32 v40, v12
	v_sub_f32_e32 v12, v13, v56
	v_mul_f32_e32 v12, 0x3fb8aa3b, v12
	v_exp_f32_e32 v41, v12
	global_load_dwordx4 v[14:17], v[10:11], off
	s_nop 0
	global_load_dwordx4 v[10:13], v[10:11], off offset:16
	v_sub_f32_e32 v50, v50, v56
	v_mul_f32_e32 v50, 0x3fb8aa3b, v50
	v_sub_f32_e32 v51, v51, v56
	v_exp_f32_e32 v50, v50
	v_mul_f32_e32 v51, 0x3fb8aa3b, v51
	v_sub_f32_e32 v42, v42, v56
	v_exp_f32_e32 v51, v51
	v_mul_f32_e32 v42, 0x3fb8aa3b, v42
	v_sub_f32_e32 v43, v43, v56
	v_cndmask_b32_e64 v40, 0, v40, s[4:5]
	v_exp_f32_e32 v42, v42
	v_mul_f32_e32 v43, 0x3fb8aa3b, v43
	v_sub_f32_e32 v52, v52, v56
	v_add_f32_e32 v59, 0, v40
	v_cndmask_b32_e64 v41, 0, v41, s[34:35]
	v_exp_f32_e32 v43, v43
	v_mul_f32_e32 v52, 0x3fb8aa3b, v52
	v_sub_f32_e32 v53, v53, v56
	v_add_f32_e32 v59, v59, v41
	;; [unrolled: 5-line block ×10, first 2 shown]
	v_cndmask_b32_e64 v46, 0, v46, s[12:13]
	v_exp_f32_e32 v38, v38
	v_mul_f32_e32 v39, 0x3fb8aa3b, v39
	v_add_f32_e32 v59, v59, v46
	v_cndmask_b32_e64 v47, 0, v47, s[14:15]
	v_exp_f32_e32 v39, v39
	v_add_f32_e32 v59, v59, v47
	v_cndmask_b32_e64 v44, 0, v44, s[8:9]
	v_add_f32_e32 v59, v59, v44
	v_cndmask_b32_e64 v45, 0, v45, s[10:11]
	v_add_f32_e32 v59, v59, v45
	v_cndmask_b32_e32 v38, 0, v38, vcc
	v_add_f32_e32 v59, v59, v38
	v_cndmask_b32_e64 v39, 0, v39, s[6:7]
	v_add_f32_e32 v59, v59, v39
	ds_bpermute_b32 v58, v58, v59
	v_cmp_gt_u32_e64 s[6:7], 16, v55
	s_waitcnt lgkmcnt(0)
	s_barrier
	v_add_f32_e32 v58, v59, v58
	ds_bpermute_b32 v59, v57, v58
	v_lshlrev_b32_e32 v57, 2, v36
	s_and_saveexec_b64 s[4:5], s[6:7]
	s_cbranch_execz .LBB40_13
; %bb.12:
	s_waitcnt lgkmcnt(0)
	v_add_f32_e32 v55, v58, v59
	v_lshl_or_b32 v58, v37, 6, v57
	ds_write2st64_b32 v58, v56, v55 offset1:1
.LBB40_13:
	s_or_b64 exec, exec, s[4:5]
	s_load_dword s8, s[0:1], 0x94
	s_waitcnt lgkmcnt(0)
	s_barrier
	ds_read2_b32 v[58:59], v57 offset1:16
	ds_read2_b32 v[60:61], v57 offset0:32 offset1:48
	ds_read2_b32 v[62:63], v57 offset0:64 offset1:80
	s_mul_i32 s9, s29, 5
	s_waitcnt lgkmcnt(2)
	v_max3_f32 v55, v58, s43, v59
	s_waitcnt lgkmcnt(1)
	v_max3_f32 v55, v55, v60, v61
	v_sub_f32_e32 v56, v58, v55
	v_mul_f32_e32 v56, 0x3fb8aa3b, v56
	v_exp_f32_e32 v64, v56
	v_sub_f32_e32 v56, v59, v55
	v_mul_f32_e32 v56, 0x3fb8aa3b, v56
	v_exp_f32_e32 v65, v56
	;; [unrolled: 3-line block ×3, first 2 shown]
	ds_read2_b32 v[58:59], v57 offset0:96 offset1:112
	v_sub_f32_e32 v56, v61, v55
	v_mul_f32_e32 v56, 0x3fb8aa3b, v56
	v_exp_f32_e32 v57, v56
	s_waitcnt lgkmcnt(1)
	v_fma_f32 v56, v64, v62, 0
	v_fmac_f32_e32 v56, v65, v63
	s_waitcnt lgkmcnt(0)
	v_fmac_f32_e32 v56, v60, v58
	v_fmac_f32_e32 v56, v57, v59
	v_add_f32_e32 v58, 0x358637bd, v56
	v_div_scale_f32 v59, s[4:5], v58, v58, 1.0
	v_rcp_f32_e32 v61, v59
	s_barrier
	v_fma_f32 v62, -v59, v61, 1.0
	v_fmac_f32_e32 v61, v62, v61
	v_div_scale_f32 v62, vcc, 1.0, v58, 1.0
	v_mul_f32_e32 v63, v62, v61
	v_fma_f32 v66, -v59, v63, v62
	v_fmac_f32_e32 v63, v66, v61
	v_fma_f32 v59, -v59, v63, v62
	v_div_fmas_f32 v59, v59, v61, v63
	v_cmp_eq_u32_e32 vcc, 1, v37
	v_div_fixup_f32 v58, v59, v58, 1.0
	s_nop 0
	v_cndmask_b32_e32 v59, v64, v65, vcc
	v_cmp_eq_u32_e32 vcc, 2, v37
	s_nop 1
	v_cndmask_b32_e32 v59, v59, v60, vcc
	v_cmp_eq_u32_e32 vcc, 3, v37
	v_lshlrev_b32_e32 v37, 11, v37
	s_nop 0
	v_cndmask_b32_e32 v57, v59, v57, vcc
	v_mul_f32_e32 v58, v57, v58
	v_pk_mul_f32 v[40:41], v[58:59], v[40:41] op_sel_hi:[0,1]
	v_cvt_f16_f32_e32 v40, v40
	v_cvt_f16_f32_e32 v41, v41
	v_pk_mul_f32 v[50:51], v[58:59], v[50:51] op_sel_hi:[0,1]
	v_cvt_f16_f32_e32 v57, v50
	v_cvt_f16_f32_e32 v51, v51
	v_pack_b32_f16 v50, v40, v41
	v_pk_mul_f32 v[40:41], v[58:59], v[52:53] op_sel_hi:[0,1]
	v_pk_mul_f32 v[42:43], v[58:59], v[42:43] op_sel_hi:[0,1]
	v_cvt_f16_f32_e32 v42, v42
	v_cvt_f16_f32_e32 v43, v43
	;; [unrolled: 1-line block ×4, first 2 shown]
	v_pack_b32_f16 v51, v57, v51
	v_lshlrev_b32_e32 v57, 3, v54
	v_or3_b32 v40, v37, v35, v57
	v_pack_b32_f16 v42, v42, v43
	v_pack_b32_f16 v43, v52, v41
	ds_write2st64_b64 v40, v[50:51], v[42:43] offset1:1
	v_pk_mul_f32 v[42:43], v[58:59], v[46:47] op_sel_hi:[0,1]
	v_pk_mul_f32 v[46:47], v[58:59], v[48:49] op_sel_hi:[0,1]
	v_cvt_f16_f32_e32 v37, v46
	v_cvt_f16_f32_e32 v41, v47
	;; [unrolled: 1-line block ×4, first 2 shown]
	v_pk_mul_f32 v[38:39], v[58:59], v[38:39] op_sel_hi:[0,1]
	v_pk_mul_f32 v[42:43], v[58:59], v[44:45] op_sel_hi:[0,1]
	v_cvt_f16_f32_e32 v42, v42
	v_cvt_f16_f32_e32 v43, v43
	;; [unrolled: 1-line block ×4, first 2 shown]
	v_pack_b32_f16 v38, v37, v41
	v_pack_b32_f16 v39, v46, v47
	;; [unrolled: 1-line block ×4, first 2 shown]
	v_cmp_gt_u32_e32 vcc, 5, v0
	ds_write2st64_b64 v40, v[38:39], v[42:43] offset0:2 offset1:3
	s_and_saveexec_b64 s[4:5], vcc
	s_cbranch_execz .LBB40_15
; %bb.14:
	s_mov_b32 s43, 0
	v_mov_b32_e32 v37, 0
	v_lshl_add_u64 v[38:39], s[42:43], 0, v[36:37]
	v_mov_b32_e32 v36, s9
	v_mad_u64_u32 v[38:39], s[10:11], s2, v36, v[38:39]
	v_mov_b32_e32 v36, s28
	s_load_dwordx4 s[12:15], s[0:1], 0x58
	s_mul_i32 s3, s3, s9
	v_mad_u64_u32 v[36:37], s[10:11], v38, s8, v[36:37]
	v_add_u32_e32 v39, s3, v39
	v_mov_b32_e32 v38, v37
	v_mad_u64_u32 v[38:39], s[10:11], v39, s8, v[38:39]
	v_mov_b32_e32 v37, v38
	v_lshlrev_b64 v[36:37], 2, v[36:37]
	s_waitcnt lgkmcnt(0)
	v_lshl_add_u64 v[38:39], s[14:15], 0, v[36:37]
	v_lshl_add_u64 v[36:37], s[12:13], 0, v[36:37]
	global_store_dword v[38:39], v55, off
	global_store_dword v[36:37], v56, off
.LBB40_15:
	s_or_b64 exec, exec, s[4:5]
	v_lshl_or_b32 v35, v54, 9, v35
	s_waitcnt lgkmcnt(0)
	s_barrier
	ds_read_b128 v[36:39], v35
	ds_read_b128 v[42:45], v35 offset:16
	s_waitcnt vmcnt(7) lgkmcnt(1)
	v_mfma_f32_16x16x16_f16 v[46:49], v[6:7], v[36:37], 0
	v_cmp_gt_u32_e32 vcc, 64, v0
	s_mov_b32 s3, 0
	s_and_b64 s[4:5], vcc, s[30:31]
	v_mfma_f32_16x16x16_f16 v[6:9], v[8:9], v[38:39], v[46:49]
	s_waitcnt vmcnt(6) lgkmcnt(0)
	v_mfma_f32_16x16x16_f16 v[6:9], v[2:3], v[42:43], v[6:9]
	v_mfma_f32_16x16x16_f16 v[2:5], v[4:5], v[44:45], v[6:9]
	s_nop 5
	ds_read_b128 v[6:9], v35 offset:2048
	ds_read_b128 v[36:39], v35 offset:2064
	s_waitcnt vmcnt(5) lgkmcnt(1)
	v_mfma_f32_16x16x16_f16 v[2:5], v[30:31], v[6:7], v[2:5]
	v_mfma_f32_16x16x16_f16 v[2:5], v[32:33], v[8:9], v[2:5]
	s_waitcnt vmcnt(4) lgkmcnt(0)
	v_mfma_f32_16x16x16_f16 v[2:5], v[26:27], v[36:37], v[2:5]
	v_mfma_f32_16x16x16_f16 v[2:5], v[28:29], v[38:39], v[2:5]
	ds_read_b128 v[6:9], v35 offset:4096
	ds_read_b128 v[26:29], v35 offset:4112
	s_waitcnt vmcnt(3) lgkmcnt(1)
	v_mfma_f32_16x16x16_f16 v[2:5], v[22:23], v[6:7], v[2:5]
	v_mfma_f32_16x16x16_f16 v[2:5], v[24:25], v[8:9], v[2:5]
	s_waitcnt vmcnt(2) lgkmcnt(0)
	v_mfma_f32_16x16x16_f16 v[2:5], v[18:19], v[26:27], v[2:5]
	v_mfma_f32_16x16x16_f16 v[2:5], v[20:21], v[28:29], v[2:5]
	ds_read_b128 v[6:9], v35 offset:6144
	ds_read_b128 v[18:21], v35 offset:6160
	v_mov_b32_e32 v35, 0
	s_waitcnt vmcnt(1) lgkmcnt(0)
	v_mfma_f32_16x16x16_f16 v[2:5], v[14:15], v[6:7], v[2:5]
	s_barrier
	v_mfma_f32_16x16x16_f16 v[2:5], v[16:17], v[8:9], v[2:5]
	s_waitcnt vmcnt(0)
	v_mfma_f32_16x16x16_f16 v[2:5], v[10:11], v[18:19], v[2:5]
	v_mfma_f32_16x16x16_f16 v[2:5], v[12:13], v[20:21], v[2:5]
	s_nop 6
	v_cvt_f16_f32_e32 v2, v2
	v_cvt_f16_f32_e32 v3, v3
	;; [unrolled: 1-line block ×4, first 2 shown]
	v_pack_b32_f16 v2, v2, v3
	v_pack_b32_f16 v3, v4, v5
	ds_write_b64 v40, v[2:3]
	s_waitcnt lgkmcnt(0)
	s_barrier
	s_and_saveexec_b64 s[10:11], s[4:5]
	s_cbranch_execz .LBB40_18
; %bb.16:
	s_load_dwordx2 s[4:5], s[0:1], 0x68
	s_lshl_b32 s0, s8, 6
	s_mul_i32 s1, s9, s2
	s_mul_hi_u32 s9, s1, s0
	s_mul_i32 s8, s1, s0
	v_lshlrev_b32_e32 v0, 10, v0
	s_lshl_b64 s[8:9], s[8:9], 1
	v_and_b32_e32 v0, 0x1800, v0
	v_lshlrev_b32_e32 v2, 5, v54
	v_and_b32_e32 v1, 16, v1
	s_waitcnt lgkmcnt(0)
	s_add_u32 s1, s4, s8
	v_or3_b32 v2, v0, v2, v1
	s_addc_u32 s4, s5, s9
	s_lshl_b32 s2, s28, 6
	s_lshl_b64 s[2:3], s[2:3], 1
	ds_read_b128 v[4:7], v2
	s_add_u32 s2, s1, s2
	s_addc_u32 s3, s4, s3
	v_add_u32_e32 v3, s42, v54
	v_lshl_add_u64 v[0:1], s[2:3], 0, v[34:35]
	v_mad_u64_u32 v[8:9], s[2:3], v3, s0, 0
	v_lshl_add_u64 v[8:9], v[8:9], 1, v[0:1]
	s_waitcnt lgkmcnt(0)
	global_store_dwordx4 v[8:9], v[4:7], off
	s_and_b64 exec, exec, s[6:7]
	s_cbranch_execz .LBB40_18
; %bb.17:
	ds_read_b128 v[2:5], v2 offset:128
	v_add3_u32 v6, s42, v54, 4
	v_mad_u64_u32 v[6:7], s[0:1], v6, s0, 0
	v_lshl_add_u64 v[0:1], v[6:7], 1, v[0:1]
	s_waitcnt lgkmcnt(0)
	global_store_dwordx4 v[0:1], v[2:5], off
.LBB40_18:
	s_endpgm
	.section	.rodata,"a",@progbits
	.p2align	6, 0x0
	.amdhsa_kernel _Z39paged_attention_ll4mi_QKV_mfma16_kernelIDF16_DF16_LN4vllm18Fp8KVCacheDataTypeE0EhLi16ELi64ELi256ELb0ELi5EEvPKT_PKT0_S7_ifPKiS9_S9_iPKfiiiPfSC_PS2_PT2_iSB_SB_
		.amdhsa_group_segment_fixed_size 8192
		.amdhsa_private_segment_fixed_size 0
		.amdhsa_kernarg_size 400
		.amdhsa_user_sgpr_count 2
		.amdhsa_user_sgpr_dispatch_ptr 0
		.amdhsa_user_sgpr_queue_ptr 0
		.amdhsa_user_sgpr_kernarg_segment_ptr 1
		.amdhsa_user_sgpr_dispatch_id 0
		.amdhsa_user_sgpr_kernarg_preload_length 0
		.amdhsa_user_sgpr_kernarg_preload_offset 0
		.amdhsa_user_sgpr_private_segment_size 0
		.amdhsa_uses_dynamic_stack 0
		.amdhsa_enable_private_segment 0
		.amdhsa_system_sgpr_workgroup_id_x 1
		.amdhsa_system_sgpr_workgroup_id_y 1
		.amdhsa_system_sgpr_workgroup_id_z 1
		.amdhsa_system_sgpr_workgroup_info 0
		.amdhsa_system_vgpr_workitem_id 0
		.amdhsa_next_free_vgpr 69
		.amdhsa_next_free_sgpr 48
		.amdhsa_accum_offset 72
		.amdhsa_reserve_vcc 1
		.amdhsa_float_round_mode_32 0
		.amdhsa_float_round_mode_16_64 0
		.amdhsa_float_denorm_mode_32 3
		.amdhsa_float_denorm_mode_16_64 3
		.amdhsa_dx10_clamp 1
		.amdhsa_ieee_mode 1
		.amdhsa_fp16_overflow 0
		.amdhsa_tg_split 0
		.amdhsa_exception_fp_ieee_invalid_op 0
		.amdhsa_exception_fp_denorm_src 0
		.amdhsa_exception_fp_ieee_div_zero 0
		.amdhsa_exception_fp_ieee_overflow 0
		.amdhsa_exception_fp_ieee_underflow 0
		.amdhsa_exception_fp_ieee_inexact 0
		.amdhsa_exception_int_div_zero 0
	.end_amdhsa_kernel
	.section	.text._Z39paged_attention_ll4mi_QKV_mfma16_kernelIDF16_DF16_LN4vllm18Fp8KVCacheDataTypeE0EhLi16ELi64ELi256ELb0ELi5EEvPKT_PKT0_S7_ifPKiS9_S9_iPKfiiiPfSC_PS2_PT2_iSB_SB_,"axG",@progbits,_Z39paged_attention_ll4mi_QKV_mfma16_kernelIDF16_DF16_LN4vllm18Fp8KVCacheDataTypeE0EhLi16ELi64ELi256ELb0ELi5EEvPKT_PKT0_S7_ifPKiS9_S9_iPKfiiiPfSC_PS2_PT2_iSB_SB_,comdat
.Lfunc_end40:
	.size	_Z39paged_attention_ll4mi_QKV_mfma16_kernelIDF16_DF16_LN4vllm18Fp8KVCacheDataTypeE0EhLi16ELi64ELi256ELb0ELi5EEvPKT_PKT0_S7_ifPKiS9_S9_iPKfiiiPfSC_PS2_PT2_iSB_SB_, .Lfunc_end40-_Z39paged_attention_ll4mi_QKV_mfma16_kernelIDF16_DF16_LN4vllm18Fp8KVCacheDataTypeE0EhLi16ELi64ELi256ELb0ELi5EEvPKT_PKT0_S7_ifPKiS9_S9_iPKfiiiPfSC_PS2_PT2_iSB_SB_
                                        ; -- End function
	.section	.AMDGPU.csdata,"",@progbits
; Kernel info:
; codeLenInByte = 3800
; NumSgprs: 54
; NumVgprs: 69
; NumAgprs: 0
; TotalNumVgprs: 69
; ScratchSize: 0
; MemoryBound: 0
; FloatMode: 240
; IeeeMode: 1
; LDSByteSize: 8192 bytes/workgroup (compile time only)
; SGPRBlocks: 6
; VGPRBlocks: 8
; NumSGPRsForWavesPerEU: 54
; NumVGPRsForWavesPerEU: 69
; AccumOffset: 72
; Occupancy: 7
; WaveLimiterHint : 1
; COMPUTE_PGM_RSRC2:SCRATCH_EN: 0
; COMPUTE_PGM_RSRC2:USER_SGPR: 2
; COMPUTE_PGM_RSRC2:TRAP_HANDLER: 0
; COMPUTE_PGM_RSRC2:TGID_X_EN: 1
; COMPUTE_PGM_RSRC2:TGID_Y_EN: 1
; COMPUTE_PGM_RSRC2:TGID_Z_EN: 1
; COMPUTE_PGM_RSRC2:TIDIG_COMP_CNT: 0
; COMPUTE_PGM_RSRC3_GFX90A:ACCUM_OFFSET: 17
; COMPUTE_PGM_RSRC3_GFX90A:TG_SPLIT: 0
	.section	.text._Z39paged_attention_ll4mi_QKV_mfma16_kernelIDF16_DF16_LN4vllm18Fp8KVCacheDataTypeE0EhLi16ELi64ELi256ELb0ELi6EEvPKT_PKT0_S7_ifPKiS9_S9_iPKfiiiPfSC_PS2_PT2_iSB_SB_,"axG",@progbits,_Z39paged_attention_ll4mi_QKV_mfma16_kernelIDF16_DF16_LN4vllm18Fp8KVCacheDataTypeE0EhLi16ELi64ELi256ELb0ELi6EEvPKT_PKT0_S7_ifPKiS9_S9_iPKfiiiPfSC_PS2_PT2_iSB_SB_,comdat
	.protected	_Z39paged_attention_ll4mi_QKV_mfma16_kernelIDF16_DF16_LN4vllm18Fp8KVCacheDataTypeE0EhLi16ELi64ELi256ELb0ELi6EEvPKT_PKT0_S7_ifPKiS9_S9_iPKfiiiPfSC_PS2_PT2_iSB_SB_ ; -- Begin function _Z39paged_attention_ll4mi_QKV_mfma16_kernelIDF16_DF16_LN4vllm18Fp8KVCacheDataTypeE0EhLi16ELi64ELi256ELb0ELi6EEvPKT_PKT0_S7_ifPKiS9_S9_iPKfiiiPfSC_PS2_PT2_iSB_SB_
	.globl	_Z39paged_attention_ll4mi_QKV_mfma16_kernelIDF16_DF16_LN4vllm18Fp8KVCacheDataTypeE0EhLi16ELi64ELi256ELb0ELi6EEvPKT_PKT0_S7_ifPKiS9_S9_iPKfiiiPfSC_PS2_PT2_iSB_SB_
	.p2align	8
	.type	_Z39paged_attention_ll4mi_QKV_mfma16_kernelIDF16_DF16_LN4vllm18Fp8KVCacheDataTypeE0EhLi16ELi64ELi256ELb0ELi6EEvPKT_PKT0_S7_ifPKiS9_S9_iPKfiiiPfSC_PS2_PT2_iSB_SB_,@function
_Z39paged_attention_ll4mi_QKV_mfma16_kernelIDF16_DF16_LN4vllm18Fp8KVCacheDataTypeE0EhLi16ELi64ELi256ELb0ELi6EEvPKT_PKT0_S7_ifPKiS9_S9_iPKfiiiPfSC_PS2_PT2_iSB_SB_: ; @_Z39paged_attention_ll4mi_QKV_mfma16_kernelIDF16_DF16_LN4vllm18Fp8KVCacheDataTypeE0EhLi16ELi64ELi256ELb0ELi6EEvPKT_PKT0_S7_ifPKiS9_S9_iPKfiiiPfSC_PS2_PT2_iSB_SB_
; %bb.0:
	s_load_dwordx2 s[12:13], s[0:1], 0x30
	s_mov_b32 s28, s3
	s_mov_b64 s[6:7], 0
	s_waitcnt lgkmcnt(0)
	s_cmp_lg_u64 s[12:13], 0
	s_cselect_b64 s[14:15], -1, 0
	s_and_b64 vcc, exec, s[14:15]
	s_cbranch_vccz .LBB41_7
; %bb.1:
	s_add_i32 s8, s2, 1
	s_mov_b32 s9, 0
	s_lshl_b64 s[10:11], s[8:9], 2
	s_add_u32 s10, s12, s10
	s_mov_b32 s3, s9
	s_addc_u32 s11, s13, s11
	s_lshl_b64 s[8:9], s[2:3], 2
	s_add_u32 s8, s12, s8
	s_addc_u32 s9, s13, s9
	s_load_dword s5, s[10:11], 0x0
	s_load_dword s16, s[8:9], 0x0
	s_waitcnt lgkmcnt(0)
	s_sub_i32 s5, s5, s16
	s_cmp_eq_u32 s5, 1
	s_cselect_b64 s[8:9], -1, 0
	s_andn2_b64 vcc, exec, s[6:7]
	s_cbranch_vccnz .LBB41_3
.LBB41_2:
	s_mov_b32 s3, 0
	s_mov_b64 s[8:9], -1
.LBB41_3:
	s_andn2_b64 vcc, exec, s[8:9]
	s_cbranch_vccnz .LBB41_18
; %bb.4:
	s_load_dwordx2 s[6:7], s[0:1], 0x28
	s_lshl_b64 s[16:17], s[2:3], 2
	s_waitcnt lgkmcnt(0)
	s_add_u32 s6, s6, s16
	s_addc_u32 s7, s7, s17
	s_load_dword s33, s[6:7], 0x0
	s_lshl_b32 s18, s28, 8
	s_waitcnt lgkmcnt(0)
	s_cmp_ge_i32 s18, s33
	s_cbranch_scc1 .LBB41_18
; %bb.5:
	s_load_dwordx2 s[6:7], s[0:1], 0x20
	s_load_dword s5, s[0:1], 0x38
	s_add_i32 s8, s33, 15
	s_ashr_i32 s9, s8, 31
	v_and_b32_e32 v1, 0xcf, v0
	s_lshr_b32 s9, s9, 28
	v_add_u32_e32 v1, s18, v1
	s_add_i32 s8, s8, s9
	v_ashrrev_i32_e32 v2, 31, v1
	s_ashr_i32 s19, s8, 4
	v_lshrrev_b32_e32 v10, 28, v2
	s_add_i32 s19, s19, -1
	s_waitcnt lgkmcnt(0)
	s_mul_i32 s8, s2, s5
	s_mov_b32 s9, 0
	v_add_u32_e32 v2, v1, v10
	s_lshl_b64 s[8:9], s[8:9], 2
	v_ashrrev_i32_e32 v2, 4, v2
	v_mov_b32_e32 v11, s19
	v_cmp_gt_i32_e32 vcc, s33, v1
	s_add_u32 s6, s6, s8
	s_addc_u32 s7, s7, s9
	v_cndmask_b32_e32 v2, v11, v2, vcc
	v_ashrrev_i32_e32 v3, 31, v2
	v_lshl_add_u64 v[4:5], v[2:3], 2, s[6:7]
	v_or_b32_e32 v2, 16, v1
	v_add_u32_e32 v3, v2, v10
	v_ashrrev_i32_e32 v3, 4, v3
	v_cmp_gt_i32_e32 vcc, s33, v2
	s_load_dwordx4 s[8:11], s[0:1], 0x8
	s_nop 0
	v_cndmask_b32_e32 v2, v11, v3, vcc
	v_ashrrev_i32_e32 v3, 31, v2
	v_lshl_add_u64 v[6:7], v[2:3], 2, s[6:7]
	v_or_b32_e32 v2, 32, v1
	v_add_u32_e32 v3, v2, v10
	v_ashrrev_i32_e32 v3, 4, v3
	v_cmp_gt_i32_e32 vcc, s33, v2
	v_or_b32_e32 v1, 48, v1
	s_nop 0
	v_cndmask_b32_e32 v2, v11, v3, vcc
	v_ashrrev_i32_e32 v3, 31, v2
	v_lshl_add_u64 v[8:9], v[2:3], 2, s[6:7]
	v_add_u32_e32 v2, v1, v10
	v_ashrrev_i32_e32 v2, 4, v2
	v_cmp_gt_i32_e32 vcc, s33, v1
	s_nop 1
	v_cndmask_b32_e32 v2, v11, v2, vcc
	v_ashrrev_i32_e32 v3, 31, v2
	v_lshl_add_u64 v[12:13], v[2:3], 2, s[6:7]
	global_load_dword v3, v[4:5], off
	global_load_dword v2, v[6:7], off
	;; [unrolled: 1-line block ×4, first 2 shown]
	s_andn2_b64 vcc, exec, s[14:15]
	s_cbranch_vccnz .LBB41_8
; %bb.6:
	s_add_u32 s12, s12, s16
	s_addc_u32 s13, s13, s17
	s_load_dword s5, s[12:13], 0x0
	s_branch .LBB41_9
.LBB41_7:
	s_mov_b64 s[8:9], 0
	s_branch .LBB41_2
.LBB41_8:
	s_mov_b32 s5, s2
.LBB41_9:
	s_load_dwordx4 s[44:47], s[0:1], 0x48
	v_lshrrev_b32_e32 v37, 6, v0
	v_bfe_u32 v54, v0, 4, 2
	v_lshl_or_b32 v1, v37, 2, v54
	v_and_b32_e32 v36, 15, v0
	v_lshlrev_b32_e32 v4, 3, v36
	v_cmp_gt_u32_e32 vcc, 6, v1
	v_cmp_gt_u32_e64 s[30:31], 8, v36
	v_and_b32_e32 v55, 63, v0
	s_mul_i32 s42, s4, 6
	s_and_b64 s[14:15], s[30:31], vcc
	v_lshlrev_b32_e32 v34, 1, v4
	s_and_saveexec_b64 s[12:13], s[14:15]
	s_cbranch_execz .LBB41_11
; %bb.10:
	s_load_dwordx2 s[14:15], s[0:1], 0x0
	s_waitcnt lgkmcnt(0)
	s_ashr_i32 s16, s44, 31
	s_mul_hi_u32 s17, s5, s44
	s_mul_i32 s16, s5, s16
	s_add_i32 s17, s17, s16
	s_mul_i32 s16, s5, s44
	s_lshl_b64 s[16:17], s[16:17], 1
	s_add_u32 s14, s14, s16
	v_add_lshl_u32 v4, v1, s42, 6
	s_addc_u32 s15, s15, s17
	v_ashrrev_i32_e32 v5, 31, v4
	v_lshl_add_u64 v[4:5], v[4:5], 1, s[14:15]
	v_mov_b32_e32 v35, 0
	v_lshl_add_u64 v[4:5], v[4:5], 0, v[34:35]
	global_load_dwordx4 v[4:7], v[4:5], off
	v_and_b32_e32 v8, 3, v0
	v_lshlrev_b32_e32 v9, 9, v36
	v_lshlrev_b32_e32 v1, 5, v1
	;; [unrolled: 1-line block ×3, first 2 shown]
	v_and_b32_e32 v9, 0x1800, v9
	v_or3_b32 v1, v9, v8, v1
	s_waitcnt vmcnt(0)
	ds_write_b128 v1, v[4:7]
.LBB41_11:
	s_or_b64 exec, exec, s[12:13]
	s_waitcnt lgkmcnt(0)
	s_mul_i32 s4, s4, s46
	s_mov_b32 s5, 0
	s_lshl_b64 s[4:5], s[4:5], 1
	s_add_u32 s8, s8, s4
	v_lshlrev_b32_e32 v1, 4, v0
	s_addc_u32 s9, s9, s5
	v_and_b32_e32 v30, 0xf0, v1
	v_mov_b32_e32 v31, 0
	v_lshl_add_u64 v[18:19], s[8:9], 0, v[30:31]
	s_waitcnt vmcnt(3)
	v_mad_i64_i32 v[4:5], s[8:9], v3, s45, 0
	v_lshl_add_u64 v[4:5], v[4:5], 1, v[18:19]
	v_and_b32_e32 v30, 0x300, v1
	s_waitcnt vmcnt(2)
	v_mad_i64_i32 v[2:3], s[8:9], v2, s45, 0
	v_lshl_add_u64 v[14:15], v[4:5], 0, v[30:31]
	v_lshl_add_u64 v[2:3], v[2:3], 1, v[18:19]
	s_load_dword s29, s[0:1], 0x98
	s_load_dword s12, s[0:1], 0x1c
	s_waitcnt lgkmcnt(0)
	s_barrier
	global_load_dwordx4 v[6:9], v[14:15], off
	global_load_dwordx4 v[26:29], v[14:15], off offset:1024
	v_lshl_add_u64 v[32:33], v[2:3], 0, v[30:31]
	global_load_dwordx4 v[2:5], v[32:33], off
	global_load_dwordx4 v[46:49], v[32:33], off offset:1024
	s_waitcnt vmcnt(5)
	v_mad_i64_i32 v[10:11], s[8:9], v10, s45, 0
	v_lshl_add_u64 v[10:11], v[10:11], 1, v[18:19]
	v_lshl_add_u64 v[38:39], v[10:11], 0, v[30:31]
	global_load_dwordx4 v[10:13], v[38:39], off
	global_load_dwordx4 v[56:59], v[38:39], off offset:1024
	s_waitcnt vmcnt(6)
	v_mad_i64_i32 v[16:17], s[8:9], v16, s45, 0
	v_lshl_add_u64 v[16:17], v[16:17], 1, v[18:19]
	v_lshl_add_u64 v[40:41], v[16:17], 0, v[30:31]
	global_load_dwordx4 v[18:21], v[40:41], off
	v_mul_lo_u16_e32 v16, 43, v36
	v_mov_b32_e32 v17, 6
	v_mul_lo_u16_sdwa v16, v16, v17 dst_sel:DWORD dst_unused:UNUSED_PAD src0_sel:BYTE_1 src1_sel:DWORD
	v_mov_b32_e32 v22, 5
	v_sub_u16_e32 v16, v36, v16
	v_lshlrev_b32_sdwa v16, v22, v16 dst_sel:DWORD dst_unused:UNUSED_PAD src0_sel:DWORD src1_sel:BYTE_0
	v_lshl_add_u32 v16, v54, 9, v16
	ds_read_b128 v[22:25], v16
	global_load_dwordx4 v[38:41], v[40:41], off offset:1024
	v_and_or_b32 v30, v0, 48, s18
	v_mov_b32_e32 v68, s19
	v_cmp_gt_i32_e32 vcc, s33, v30
	ds_read_b128 v[14:17], v16 offset:2048
	v_lshlrev_b32_e32 v35, 5, v36
	s_add_u32 s4, s10, s4
	s_addc_u32 s5, s11, s5
	s_mov_b32 s43, 0xff7fffff
	s_waitcnt vmcnt(7) lgkmcnt(1)
	v_mfma_f32_16x16x16_f16 v[42:45], v[6:7], v[22:23], 0
	v_ashrrev_i32_e32 v6, 4, v30
	v_or_b32_e32 v7, 64, v30
	s_waitcnt vmcnt(5)
	v_mfma_f32_16x16x16_f16 v[50:53], v[2:3], v[22:23], 0
	v_cndmask_b32_e32 v2, v68, v6, vcc
	v_ashrrev_i32_e32 v3, 31, v2
	v_ashrrev_i32_e32 v6, 4, v7
	v_cmp_gt_i32_e32 vcc, s33, v7
	v_lshl_add_u64 v[2:3], v[2:3], 2, s[6:7]
	s_waitcnt vmcnt(3)
	v_mfma_f32_16x16x16_f16 v[60:63], v[10:11], v[22:23], 0
	v_cndmask_b32_e32 v10, v68, v6, vcc
	v_ashrrev_i32_e32 v11, 31, v10
	v_lshl_add_u64 v[10:11], v[10:11], 2, s[6:7]
	v_mfma_f32_16x16x16_f16 v[6:9], v[8:9], v[24:25], v[42:45]
	s_nop 2
	global_load_dword v42, v[2:3], off
	global_load_dword v43, v[10:11], off
	s_waitcnt vmcnt(3)
	v_mfma_f32_16x16x16_f16 v[64:67], v[18:19], v[22:23], 0
	v_or_b32_e32 v22, 0x80, v30
	v_or_b32_e32 v23, 0xc0, v30
	v_ashrrev_i32_e32 v30, 4, v22
	v_cmp_gt_i32_e32 vcc, s33, v22
	v_ashrrev_i32_e32 v32, 4, v23
	v_mfma_f32_16x16x16_f16 v[2:5], v[4:5], v[24:25], v[50:53]
	v_cndmask_b32_e32 v22, v68, v30, vcc
	v_cmp_gt_i32_e32 vcc, s33, v23
	v_ashrrev_i32_e32 v23, 31, v22
	v_mfma_f32_16x16x16_f16 v[10:13], v[12:13], v[24:25], v[60:63]
	v_lshl_or_b32 v30, v37, 9, v35
	v_mfma_f32_16x16x16_f16 v[18:21], v[20:21], v[24:25], v[64:67]
	v_cndmask_b32_e32 v24, v68, v32, vcc
	v_ashrrev_i32_e32 v25, 31, v24
	v_lshl_add_u64 v[32:33], v[24:25], 2, s[6:7]
	s_waitcnt lgkmcnt(0)
	v_mfma_f32_16x16x16_f16 v[6:9], v[26:27], v[14:15], v[6:9]
	v_lshl_add_u64 v[26:27], v[22:23], 2, s[6:7]
	global_load_dword v60, v[26:27], off
	global_load_dword v61, v[32:33], off
	v_mfma_f32_16x16x16_f16 v[2:5], v[46:47], v[14:15], v[2:5]
	v_mfma_f32_16x16x16_f16 v[22:25], v[56:57], v[14:15], v[10:13]
	s_waitcnt vmcnt(4)
	v_mfma_f32_16x16x16_f16 v[18:21], v[38:39], v[14:15], v[18:21]
	s_nop 0
	v_lshl_add_u64 v[10:11], s[4:5], 0, v[30:31]
	s_waitcnt vmcnt(3)
	v_mad_i64_i32 v[26:27], s[4:5], v42, s45, 0
	v_mfma_f32_16x16x16_f16 v[12:15], v[28:29], v[16:17], v[6:9]
	v_lshl_add_u64 v[30:31], v[26:27], 1, v[10:11]
	s_waitcnt vmcnt(2)
	v_mad_i64_i32 v[32:33], s[4:5], v43, s45, 0
	v_mfma_f32_16x16x16_f16 v[26:29], v[48:49], v[16:17], v[2:5]
	v_lshl_add_u64 v[56:57], v[32:33], 1, v[10:11]
	s_nop 1
	v_pk_mul_f32 v[50:51], s[12:13], v[14:15] op_sel_hi:[0,1]
	v_pk_mul_f32 v[12:13], s[12:13], v[12:13] op_sel_hi:[0,1]
	v_mfma_f32_16x16x16_f16 v[22:25], v[58:59], v[16:17], v[22:25]
	global_load_dwordx4 v[6:9], v[30:31], off
	global_load_dwordx4 v[2:5], v[30:31], off offset:16
	v_pk_mul_f32 v[42:43], s[12:13], v[26:27] op_sel_hi:[0,1]
	v_pk_mul_f32 v[52:53], s[12:13], v[28:29] op_sel_hi:[0,1]
	v_mfma_f32_16x16x16_f16 v[14:17], v[40:41], v[16:17], v[18:21]
	s_nop 1
	v_pk_mul_f32 v[48:49], s[12:13], v[22:23] op_sel_hi:[0,1]
	v_pk_mul_f32 v[46:47], s[12:13], v[24:25] op_sel_hi:[0,1]
	global_load_dwordx4 v[30:33], v[56:57], off
	global_load_dwordx4 v[26:29], v[56:57], off offset:16
	s_nop 0
	v_pk_mul_f32 v[44:45], s[12:13], v[14:15] op_sel_hi:[0,1]
	v_and_b32_e32 v14, 0xc0, v0
	v_add_u32_e32 v14, s18, v14
	v_lshl_or_b32 v14, v54, 2, v14
	v_pk_mul_f32 v[38:39], s[12:13], v[16:17] op_sel_hi:[0,1]
	v_or_b32_e32 v17, 1, v14
	v_mov_b32_e32 v15, 0xff7fffff
	v_cmp_gt_i32_e64 s[4:5], s33, v14
	v_cmp_gt_i32_e64 s[34:35], s33, v17
	v_or_b32_e32 v18, 3, v14
	v_cndmask_b32_e64 v16, v15, v12, s[4:5]
	v_cndmask_b32_e64 v17, v15, v13, s[34:35]
	v_max3_f32 v16, v16, s43, v17
	v_or_b32_e32 v17, 2, v14
	v_cmp_gt_i32_e64 s[36:37], s33, v17
	v_cmp_gt_i32_e64 s[38:39], s33, v18
	s_nop 0
	v_cndmask_b32_e64 v17, v15, v50, s[36:37]
	v_cndmask_b32_e64 v18, v15, v51, s[38:39]
	v_max3_f32 v16, v16, v17, v18
	v_or_b32_e32 v17, 16, v14
	v_or_b32_e32 v18, 17, v14
	v_cmp_gt_i32_e64 s[24:25], s33, v17
	v_cmp_gt_i32_e64 s[26:27], s33, v18
	s_nop 0
	v_cndmask_b32_e64 v17, v15, v42, s[24:25]
	v_cndmask_b32_e64 v18, v15, v43, s[26:27]
	v_max3_f32 v16, v16, v17, v18
	v_or_b32_e32 v17, 18, v14
	;; [unrolled: 8-line block ×6, first 2 shown]
	v_or_b32_e32 v14, 51, v14
	v_cmp_gt_i32_e32 vcc, s33, v17
	v_cmp_gt_i32_e64 s[6:7], s33, v14
	s_nop 0
	v_cndmask_b32_e32 v17, v15, v38, vcc
	v_cndmask_b32_e64 v14, v15, v39, s[6:7]
	v_max3_f32 v16, v16, v17, v14
	v_mbcnt_lo_u32_b32 v14, -1, 0
	v_mbcnt_hi_u32_b32 v17, -1, v14
	v_and_b32_e32 v14, 64, v17
	v_add_u32_e32 v18, 64, v14
	v_xor_b32_e32 v14, 32, v17
	v_cmp_lt_i32_e64 s[40:41], v14, v18
	s_nop 1
	v_cndmask_b32_e64 v14, v17, v14, s[40:41]
	v_lshlrev_b32_e32 v58, 2, v14
	ds_bpermute_b32 v19, v58, v16
	s_waitcnt vmcnt(5)
	v_mad_i64_i32 v[14:15], s[40:41], v60, s45, 0
	v_lshl_add_u64 v[14:15], v[14:15], 1, v[10:11]
	s_waitcnt lgkmcnt(0)
	v_max_f32_e32 v19, v19, v19
	v_max_f32_e32 v16, v16, v19
	v_xor_b32_e32 v19, 16, v17
	v_cmp_lt_i32_e64 s[40:41], v19, v18
	s_nop 1
	v_cndmask_b32_e64 v17, v17, v19, s[40:41]
	v_lshlrev_b32_e32 v57, 2, v17
	ds_bpermute_b32 v17, v57, v16
	global_load_dwordx4 v[22:25], v[14:15], off
	global_load_dwordx4 v[18:21], v[14:15], off offset:16
	s_waitcnt vmcnt(6)
	v_mad_i64_i32 v[14:15], s[40:41], v61, s45, 0
	v_lshl_add_u64 v[10:11], v[14:15], 1, v[10:11]
	s_waitcnt lgkmcnt(0)
	v_max_f32_e32 v14, v17, v17
	v_max_f32_e32 v56, v16, v14
	v_sub_f32_e32 v12, v12, v56
	v_mul_f32_e32 v12, 0x3fb8aa3b, v12
	v_exp_f32_e32 v40, v12
	v_sub_f32_e32 v12, v13, v56
	v_mul_f32_e32 v12, 0x3fb8aa3b, v12
	v_exp_f32_e32 v41, v12
	global_load_dwordx4 v[14:17], v[10:11], off
	s_nop 0
	global_load_dwordx4 v[10:13], v[10:11], off offset:16
	v_sub_f32_e32 v50, v50, v56
	v_mul_f32_e32 v50, 0x3fb8aa3b, v50
	v_sub_f32_e32 v51, v51, v56
	v_exp_f32_e32 v50, v50
	v_mul_f32_e32 v51, 0x3fb8aa3b, v51
	v_sub_f32_e32 v42, v42, v56
	v_exp_f32_e32 v51, v51
	v_mul_f32_e32 v42, 0x3fb8aa3b, v42
	v_sub_f32_e32 v43, v43, v56
	v_cndmask_b32_e64 v40, 0, v40, s[4:5]
	v_exp_f32_e32 v42, v42
	v_mul_f32_e32 v43, 0x3fb8aa3b, v43
	v_sub_f32_e32 v52, v52, v56
	v_add_f32_e32 v59, 0, v40
	v_cndmask_b32_e64 v41, 0, v41, s[34:35]
	v_exp_f32_e32 v43, v43
	v_mul_f32_e32 v52, 0x3fb8aa3b, v52
	v_sub_f32_e32 v53, v53, v56
	v_add_f32_e32 v59, v59, v41
	;; [unrolled: 5-line block ×10, first 2 shown]
	v_cndmask_b32_e64 v46, 0, v46, s[12:13]
	v_exp_f32_e32 v38, v38
	v_mul_f32_e32 v39, 0x3fb8aa3b, v39
	v_add_f32_e32 v59, v59, v46
	v_cndmask_b32_e64 v47, 0, v47, s[14:15]
	v_exp_f32_e32 v39, v39
	v_add_f32_e32 v59, v59, v47
	v_cndmask_b32_e64 v44, 0, v44, s[8:9]
	v_add_f32_e32 v59, v59, v44
	v_cndmask_b32_e64 v45, 0, v45, s[10:11]
	v_add_f32_e32 v59, v59, v45
	v_cndmask_b32_e32 v38, 0, v38, vcc
	v_add_f32_e32 v59, v59, v38
	v_cndmask_b32_e64 v39, 0, v39, s[6:7]
	v_add_f32_e32 v59, v59, v39
	ds_bpermute_b32 v58, v58, v59
	v_cmp_gt_u32_e32 vcc, 16, v55
	s_waitcnt lgkmcnt(0)
	s_barrier
	v_add_f32_e32 v58, v59, v58
	ds_bpermute_b32 v59, v57, v58
	v_lshlrev_b32_e32 v57, 2, v36
	s_and_saveexec_b64 s[4:5], vcc
	s_cbranch_execz .LBB41_13
; %bb.12:
	s_waitcnt lgkmcnt(0)
	v_add_f32_e32 v55, v58, v59
	v_lshl_or_b32 v58, v37, 6, v57
	ds_write2st64_b32 v58, v56, v55 offset1:1
.LBB41_13:
	s_or_b64 exec, exec, s[4:5]
	s_load_dword s6, s[0:1], 0x94
	s_waitcnt lgkmcnt(0)
	s_barrier
	ds_read2_b32 v[58:59], v57 offset1:16
	ds_read2_b32 v[60:61], v57 offset0:32 offset1:48
	ds_read2_b32 v[62:63], v57 offset0:64 offset1:80
	s_mul_i32 s7, s29, 6
	s_waitcnt lgkmcnt(2)
	v_max3_f32 v55, v58, s43, v59
	s_waitcnt lgkmcnt(1)
	v_max3_f32 v55, v55, v60, v61
	v_sub_f32_e32 v56, v58, v55
	v_mul_f32_e32 v56, 0x3fb8aa3b, v56
	v_exp_f32_e32 v64, v56
	v_sub_f32_e32 v56, v59, v55
	v_mul_f32_e32 v56, 0x3fb8aa3b, v56
	v_exp_f32_e32 v65, v56
	;; [unrolled: 3-line block ×3, first 2 shown]
	ds_read2_b32 v[58:59], v57 offset0:96 offset1:112
	v_sub_f32_e32 v56, v61, v55
	v_mul_f32_e32 v56, 0x3fb8aa3b, v56
	v_exp_f32_e32 v57, v56
	s_waitcnt lgkmcnt(1)
	v_fma_f32 v56, v64, v62, 0
	v_fmac_f32_e32 v56, v65, v63
	s_waitcnt lgkmcnt(0)
	v_fmac_f32_e32 v56, v60, v58
	v_fmac_f32_e32 v56, v57, v59
	v_add_f32_e32 v58, 0x358637bd, v56
	v_div_scale_f32 v59, s[4:5], v58, v58, 1.0
	v_rcp_f32_e32 v61, v59
	s_barrier
	v_fma_f32 v62, -v59, v61, 1.0
	v_fmac_f32_e32 v61, v62, v61
	v_div_scale_f32 v62, vcc, 1.0, v58, 1.0
	v_mul_f32_e32 v63, v62, v61
	v_fma_f32 v66, -v59, v63, v62
	v_fmac_f32_e32 v63, v66, v61
	v_fma_f32 v59, -v59, v63, v62
	v_div_fmas_f32 v59, v59, v61, v63
	v_cmp_eq_u32_e32 vcc, 1, v37
	v_div_fixup_f32 v58, v59, v58, 1.0
	s_nop 0
	v_cndmask_b32_e32 v59, v64, v65, vcc
	v_cmp_eq_u32_e32 vcc, 2, v37
	s_nop 1
	v_cndmask_b32_e32 v59, v59, v60, vcc
	v_cmp_eq_u32_e32 vcc, 3, v37
	v_lshlrev_b32_e32 v37, 11, v37
	s_nop 0
	v_cndmask_b32_e32 v57, v59, v57, vcc
	v_mul_f32_e32 v58, v57, v58
	v_pk_mul_f32 v[40:41], v[58:59], v[40:41] op_sel_hi:[0,1]
	v_cvt_f16_f32_e32 v40, v40
	v_cvt_f16_f32_e32 v41, v41
	v_pk_mul_f32 v[50:51], v[58:59], v[50:51] op_sel_hi:[0,1]
	v_cvt_f16_f32_e32 v57, v50
	v_cvt_f16_f32_e32 v51, v51
	v_pack_b32_f16 v50, v40, v41
	v_pk_mul_f32 v[40:41], v[58:59], v[52:53] op_sel_hi:[0,1]
	v_pk_mul_f32 v[42:43], v[58:59], v[42:43] op_sel_hi:[0,1]
	v_cvt_f16_f32_e32 v42, v42
	v_cvt_f16_f32_e32 v43, v43
	v_cvt_f16_f32_e32 v52, v40
	v_cvt_f16_f32_e32 v41, v41
	v_pack_b32_f16 v51, v57, v51
	v_lshlrev_b32_e32 v57, 3, v54
	v_or3_b32 v40, v37, v35, v57
	v_pack_b32_f16 v42, v42, v43
	v_pack_b32_f16 v43, v52, v41
	ds_write2st64_b64 v40, v[50:51], v[42:43] offset1:1
	v_pk_mul_f32 v[42:43], v[58:59], v[46:47] op_sel_hi:[0,1]
	v_pk_mul_f32 v[46:47], v[58:59], v[48:49] op_sel_hi:[0,1]
	v_cvt_f16_f32_e32 v37, v46
	v_cvt_f16_f32_e32 v41, v47
	;; [unrolled: 1-line block ×4, first 2 shown]
	v_pk_mul_f32 v[38:39], v[58:59], v[38:39] op_sel_hi:[0,1]
	v_pk_mul_f32 v[42:43], v[58:59], v[44:45] op_sel_hi:[0,1]
	v_cvt_f16_f32_e32 v42, v42
	v_cvt_f16_f32_e32 v43, v43
	;; [unrolled: 1-line block ×4, first 2 shown]
	v_pack_b32_f16 v38, v37, v41
	v_pack_b32_f16 v39, v46, v47
	;; [unrolled: 1-line block ×4, first 2 shown]
	v_cmp_gt_u32_e32 vcc, 6, v0
	ds_write2st64_b64 v40, v[38:39], v[42:43] offset0:2 offset1:3
	s_and_saveexec_b64 s[4:5], vcc
	s_cbranch_execz .LBB41_15
; %bb.14:
	s_mov_b32 s43, 0
	v_mov_b32_e32 v37, 0
	v_lshl_add_u64 v[38:39], s[42:43], 0, v[36:37]
	v_mov_b32_e32 v36, s7
	v_mad_u64_u32 v[38:39], s[12:13], s2, v36, v[38:39]
	v_mov_b32_e32 v36, s28
	s_load_dwordx4 s[8:11], s[0:1], 0x58
	s_mul_i32 s3, s3, s7
	v_mad_u64_u32 v[36:37], s[12:13], v38, s6, v[36:37]
	v_add_u32_e32 v39, s3, v39
	v_mov_b32_e32 v38, v37
	v_mad_u64_u32 v[38:39], s[12:13], v39, s6, v[38:39]
	v_mov_b32_e32 v37, v38
	v_lshlrev_b64 v[36:37], 2, v[36:37]
	s_waitcnt lgkmcnt(0)
	v_lshl_add_u64 v[38:39], s[10:11], 0, v[36:37]
	v_lshl_add_u64 v[36:37], s[8:9], 0, v[36:37]
	global_store_dword v[38:39], v55, off
	global_store_dword v[36:37], v56, off
.LBB41_15:
	s_or_b64 exec, exec, s[4:5]
	v_lshl_or_b32 v35, v54, 9, v35
	s_waitcnt lgkmcnt(0)
	s_barrier
	ds_read_b128 v[36:39], v35
	ds_read_b128 v[42:45], v35 offset:16
	s_waitcnt vmcnt(7) lgkmcnt(1)
	v_mfma_f32_16x16x16_f16 v[46:49], v[6:7], v[36:37], 0
	v_cmp_gt_u32_e32 vcc, 64, v0
	s_mov_b32 s3, 0
	s_and_b64 s[4:5], vcc, s[30:31]
	v_mfma_f32_16x16x16_f16 v[6:9], v[8:9], v[38:39], v[46:49]
	s_waitcnt vmcnt(6) lgkmcnt(0)
	v_mfma_f32_16x16x16_f16 v[6:9], v[2:3], v[42:43], v[6:9]
	v_mfma_f32_16x16x16_f16 v[2:5], v[4:5], v[44:45], v[6:9]
	s_nop 5
	ds_read_b128 v[6:9], v35 offset:2048
	ds_read_b128 v[36:39], v35 offset:2064
	s_waitcnt vmcnt(5) lgkmcnt(1)
	v_mfma_f32_16x16x16_f16 v[2:5], v[30:31], v[6:7], v[2:5]
	v_mfma_f32_16x16x16_f16 v[2:5], v[32:33], v[8:9], v[2:5]
	s_waitcnt vmcnt(4) lgkmcnt(0)
	v_mfma_f32_16x16x16_f16 v[2:5], v[26:27], v[36:37], v[2:5]
	v_mfma_f32_16x16x16_f16 v[2:5], v[28:29], v[38:39], v[2:5]
	ds_read_b128 v[6:9], v35 offset:4096
	ds_read_b128 v[26:29], v35 offset:4112
	s_waitcnt vmcnt(3) lgkmcnt(1)
	v_mfma_f32_16x16x16_f16 v[2:5], v[22:23], v[6:7], v[2:5]
	v_mfma_f32_16x16x16_f16 v[2:5], v[24:25], v[8:9], v[2:5]
	s_waitcnt vmcnt(2) lgkmcnt(0)
	v_mfma_f32_16x16x16_f16 v[2:5], v[18:19], v[26:27], v[2:5]
	v_mfma_f32_16x16x16_f16 v[2:5], v[20:21], v[28:29], v[2:5]
	ds_read_b128 v[6:9], v35 offset:6144
	ds_read_b128 v[18:21], v35 offset:6160
	v_mov_b32_e32 v35, 0
	s_waitcnt vmcnt(1) lgkmcnt(0)
	v_mfma_f32_16x16x16_f16 v[2:5], v[14:15], v[6:7], v[2:5]
	s_barrier
	v_mfma_f32_16x16x16_f16 v[2:5], v[16:17], v[8:9], v[2:5]
	s_waitcnt vmcnt(0)
	v_mfma_f32_16x16x16_f16 v[2:5], v[10:11], v[18:19], v[2:5]
	v_mfma_f32_16x16x16_f16 v[2:5], v[12:13], v[20:21], v[2:5]
	s_nop 6
	v_cvt_f16_f32_e32 v2, v2
	v_cvt_f16_f32_e32 v3, v3
	;; [unrolled: 1-line block ×4, first 2 shown]
	v_pack_b32_f16 v2, v2, v3
	v_pack_b32_f16 v3, v4, v5
	ds_write_b64 v40, v[2:3]
	s_waitcnt lgkmcnt(0)
	s_barrier
	s_and_saveexec_b64 s[8:9], s[4:5]
	s_cbranch_execz .LBB41_18
; %bb.16:
	s_load_dwordx2 s[4:5], s[0:1], 0x68
	s_lshl_b32 s0, s6, 6
	s_mul_i32 s1, s7, s2
	s_mul_hi_u32 s7, s1, s0
	s_mul_i32 s6, s1, s0
	v_lshlrev_b32_e32 v0, 10, v0
	s_lshl_b64 s[6:7], s[6:7], 1
	v_and_b32_e32 v0, 0x1800, v0
	v_lshlrev_b32_e32 v3, 5, v54
	v_and_b32_e32 v1, 16, v1
	s_waitcnt lgkmcnt(0)
	s_add_u32 s1, s4, s6
	v_or3_b32 v3, v0, v3, v1
	s_addc_u32 s4, s5, s7
	s_lshl_b32 s2, s28, 6
	s_lshl_b64 s[2:3], s[2:3], 1
	ds_read_b128 v[4:7], v3
	s_add_u32 s2, s1, s2
	s_addc_u32 s3, s4, s3
	v_add_u32_e32 v8, s42, v54
	v_or_b32_e32 v2, 4, v54
	v_lshl_add_u64 v[0:1], s[2:3], 0, v[34:35]
	v_mad_u64_u32 v[8:9], s[2:3], v8, s0, 0
	v_lshl_add_u64 v[8:9], v[8:9], 1, v[0:1]
	v_cmp_gt_u32_e32 vcc, 6, v2
	s_waitcnt lgkmcnt(0)
	global_store_dwordx4 v[8:9], v[4:7], off
	s_and_b64 exec, exec, vcc
	s_cbranch_execz .LBB41_18
; %bb.17:
	ds_read_b128 v[4:7], v3 offset:128
	v_add_u32_e32 v2, s42, v2
	v_mad_u64_u32 v[2:3], s[0:1], v2, s0, 0
	v_lshl_add_u64 v[0:1], v[2:3], 1, v[0:1]
	s_waitcnt lgkmcnt(0)
	global_store_dwordx4 v[0:1], v[4:7], off
.LBB41_18:
	s_endpgm
	.section	.rodata,"a",@progbits
	.p2align	6, 0x0
	.amdhsa_kernel _Z39paged_attention_ll4mi_QKV_mfma16_kernelIDF16_DF16_LN4vllm18Fp8KVCacheDataTypeE0EhLi16ELi64ELi256ELb0ELi6EEvPKT_PKT0_S7_ifPKiS9_S9_iPKfiiiPfSC_PS2_PT2_iSB_SB_
		.amdhsa_group_segment_fixed_size 8192
		.amdhsa_private_segment_fixed_size 0
		.amdhsa_kernarg_size 400
		.amdhsa_user_sgpr_count 2
		.amdhsa_user_sgpr_dispatch_ptr 0
		.amdhsa_user_sgpr_queue_ptr 0
		.amdhsa_user_sgpr_kernarg_segment_ptr 1
		.amdhsa_user_sgpr_dispatch_id 0
		.amdhsa_user_sgpr_kernarg_preload_length 0
		.amdhsa_user_sgpr_kernarg_preload_offset 0
		.amdhsa_user_sgpr_private_segment_size 0
		.amdhsa_uses_dynamic_stack 0
		.amdhsa_enable_private_segment 0
		.amdhsa_system_sgpr_workgroup_id_x 1
		.amdhsa_system_sgpr_workgroup_id_y 1
		.amdhsa_system_sgpr_workgroup_id_z 1
		.amdhsa_system_sgpr_workgroup_info 0
		.amdhsa_system_vgpr_workitem_id 0
		.amdhsa_next_free_vgpr 69
		.amdhsa_next_free_sgpr 48
		.amdhsa_accum_offset 72
		.amdhsa_reserve_vcc 1
		.amdhsa_float_round_mode_32 0
		.amdhsa_float_round_mode_16_64 0
		.amdhsa_float_denorm_mode_32 3
		.amdhsa_float_denorm_mode_16_64 3
		.amdhsa_dx10_clamp 1
		.amdhsa_ieee_mode 1
		.amdhsa_fp16_overflow 0
		.amdhsa_tg_split 0
		.amdhsa_exception_fp_ieee_invalid_op 0
		.amdhsa_exception_fp_denorm_src 0
		.amdhsa_exception_fp_ieee_div_zero 0
		.amdhsa_exception_fp_ieee_overflow 0
		.amdhsa_exception_fp_ieee_underflow 0
		.amdhsa_exception_fp_ieee_inexact 0
		.amdhsa_exception_int_div_zero 0
	.end_amdhsa_kernel
	.section	.text._Z39paged_attention_ll4mi_QKV_mfma16_kernelIDF16_DF16_LN4vllm18Fp8KVCacheDataTypeE0EhLi16ELi64ELi256ELb0ELi6EEvPKT_PKT0_S7_ifPKiS9_S9_iPKfiiiPfSC_PS2_PT2_iSB_SB_,"axG",@progbits,_Z39paged_attention_ll4mi_QKV_mfma16_kernelIDF16_DF16_LN4vllm18Fp8KVCacheDataTypeE0EhLi16ELi64ELi256ELb0ELi6EEvPKT_PKT0_S7_ifPKiS9_S9_iPKfiiiPfSC_PS2_PT2_iSB_SB_,comdat
.Lfunc_end41:
	.size	_Z39paged_attention_ll4mi_QKV_mfma16_kernelIDF16_DF16_LN4vllm18Fp8KVCacheDataTypeE0EhLi16ELi64ELi256ELb0ELi6EEvPKT_PKT0_S7_ifPKiS9_S9_iPKfiiiPfSC_PS2_PT2_iSB_SB_, .Lfunc_end41-_Z39paged_attention_ll4mi_QKV_mfma16_kernelIDF16_DF16_LN4vllm18Fp8KVCacheDataTypeE0EhLi16ELi64ELi256ELb0ELi6EEvPKT_PKT0_S7_ifPKiS9_S9_iPKfiiiPfSC_PS2_PT2_iSB_SB_
                                        ; -- End function
	.section	.AMDGPU.csdata,"",@progbits
; Kernel info:
; codeLenInByte = 3804
; NumSgprs: 54
; NumVgprs: 69
; NumAgprs: 0
; TotalNumVgprs: 69
; ScratchSize: 0
; MemoryBound: 0
; FloatMode: 240
; IeeeMode: 1
; LDSByteSize: 8192 bytes/workgroup (compile time only)
; SGPRBlocks: 6
; VGPRBlocks: 8
; NumSGPRsForWavesPerEU: 54
; NumVGPRsForWavesPerEU: 69
; AccumOffset: 72
; Occupancy: 7
; WaveLimiterHint : 1
; COMPUTE_PGM_RSRC2:SCRATCH_EN: 0
; COMPUTE_PGM_RSRC2:USER_SGPR: 2
; COMPUTE_PGM_RSRC2:TRAP_HANDLER: 0
; COMPUTE_PGM_RSRC2:TGID_X_EN: 1
; COMPUTE_PGM_RSRC2:TGID_Y_EN: 1
; COMPUTE_PGM_RSRC2:TGID_Z_EN: 1
; COMPUTE_PGM_RSRC2:TIDIG_COMP_CNT: 0
; COMPUTE_PGM_RSRC3_GFX90A:ACCUM_OFFSET: 17
; COMPUTE_PGM_RSRC3_GFX90A:TG_SPLIT: 0
	.section	.text._Z39paged_attention_ll4mi_QKV_mfma16_kernelIDF16_DF16_LN4vllm18Fp8KVCacheDataTypeE0EhLi16ELi64ELi256ELb0ELi7EEvPKT_PKT0_S7_ifPKiS9_S9_iPKfiiiPfSC_PS2_PT2_iSB_SB_,"axG",@progbits,_Z39paged_attention_ll4mi_QKV_mfma16_kernelIDF16_DF16_LN4vllm18Fp8KVCacheDataTypeE0EhLi16ELi64ELi256ELb0ELi7EEvPKT_PKT0_S7_ifPKiS9_S9_iPKfiiiPfSC_PS2_PT2_iSB_SB_,comdat
	.protected	_Z39paged_attention_ll4mi_QKV_mfma16_kernelIDF16_DF16_LN4vllm18Fp8KVCacheDataTypeE0EhLi16ELi64ELi256ELb0ELi7EEvPKT_PKT0_S7_ifPKiS9_S9_iPKfiiiPfSC_PS2_PT2_iSB_SB_ ; -- Begin function _Z39paged_attention_ll4mi_QKV_mfma16_kernelIDF16_DF16_LN4vllm18Fp8KVCacheDataTypeE0EhLi16ELi64ELi256ELb0ELi7EEvPKT_PKT0_S7_ifPKiS9_S9_iPKfiiiPfSC_PS2_PT2_iSB_SB_
	.globl	_Z39paged_attention_ll4mi_QKV_mfma16_kernelIDF16_DF16_LN4vllm18Fp8KVCacheDataTypeE0EhLi16ELi64ELi256ELb0ELi7EEvPKT_PKT0_S7_ifPKiS9_S9_iPKfiiiPfSC_PS2_PT2_iSB_SB_
	.p2align	8
	.type	_Z39paged_attention_ll4mi_QKV_mfma16_kernelIDF16_DF16_LN4vllm18Fp8KVCacheDataTypeE0EhLi16ELi64ELi256ELb0ELi7EEvPKT_PKT0_S7_ifPKiS9_S9_iPKfiiiPfSC_PS2_PT2_iSB_SB_,@function
_Z39paged_attention_ll4mi_QKV_mfma16_kernelIDF16_DF16_LN4vllm18Fp8KVCacheDataTypeE0EhLi16ELi64ELi256ELb0ELi7EEvPKT_PKT0_S7_ifPKiS9_S9_iPKfiiiPfSC_PS2_PT2_iSB_SB_: ; @_Z39paged_attention_ll4mi_QKV_mfma16_kernelIDF16_DF16_LN4vllm18Fp8KVCacheDataTypeE0EhLi16ELi64ELi256ELb0ELi7EEvPKT_PKT0_S7_ifPKiS9_S9_iPKfiiiPfSC_PS2_PT2_iSB_SB_
; %bb.0:
	s_load_dwordx2 s[12:13], s[0:1], 0x30
	s_mov_b32 s28, s3
	s_mov_b64 s[6:7], 0
	s_waitcnt lgkmcnt(0)
	s_cmp_lg_u64 s[12:13], 0
	s_cselect_b64 s[14:15], -1, 0
	s_and_b64 vcc, exec, s[14:15]
	s_cbranch_vccz .LBB42_7
; %bb.1:
	s_add_i32 s8, s2, 1
	s_mov_b32 s9, 0
	s_lshl_b64 s[10:11], s[8:9], 2
	s_add_u32 s10, s12, s10
	s_mov_b32 s3, s9
	s_addc_u32 s11, s13, s11
	s_lshl_b64 s[8:9], s[2:3], 2
	s_add_u32 s8, s12, s8
	s_addc_u32 s9, s13, s9
	s_load_dword s5, s[10:11], 0x0
	s_load_dword s16, s[8:9], 0x0
	s_waitcnt lgkmcnt(0)
	s_sub_i32 s5, s5, s16
	s_cmp_eq_u32 s5, 1
	s_cselect_b64 s[8:9], -1, 0
	s_andn2_b64 vcc, exec, s[6:7]
	s_cbranch_vccnz .LBB42_3
.LBB42_2:
	s_mov_b32 s3, 0
	s_mov_b64 s[8:9], -1
.LBB42_3:
	s_andn2_b64 vcc, exec, s[8:9]
	s_cbranch_vccnz .LBB42_18
; %bb.4:
	s_load_dwordx2 s[6:7], s[0:1], 0x28
	s_lshl_b64 s[16:17], s[2:3], 2
	s_waitcnt lgkmcnt(0)
	s_add_u32 s6, s6, s16
	s_addc_u32 s7, s7, s17
	s_load_dword s33, s[6:7], 0x0
	s_lshl_b32 s18, s28, 8
	s_waitcnt lgkmcnt(0)
	s_cmp_ge_i32 s18, s33
	s_cbranch_scc1 .LBB42_18
; %bb.5:
	s_load_dwordx2 s[6:7], s[0:1], 0x20
	s_load_dword s5, s[0:1], 0x38
	s_add_i32 s8, s33, 15
	s_ashr_i32 s9, s8, 31
	v_and_b32_e32 v1, 0xcf, v0
	s_lshr_b32 s9, s9, 28
	v_add_u32_e32 v1, s18, v1
	s_add_i32 s8, s8, s9
	v_ashrrev_i32_e32 v2, 31, v1
	s_ashr_i32 s19, s8, 4
	v_lshrrev_b32_e32 v10, 28, v2
	s_add_i32 s19, s19, -1
	s_waitcnt lgkmcnt(0)
	s_mul_i32 s8, s2, s5
	s_mov_b32 s9, 0
	v_add_u32_e32 v2, v1, v10
	s_lshl_b64 s[8:9], s[8:9], 2
	v_ashrrev_i32_e32 v2, 4, v2
	v_mov_b32_e32 v11, s19
	v_cmp_gt_i32_e32 vcc, s33, v1
	s_add_u32 s6, s6, s8
	s_addc_u32 s7, s7, s9
	v_cndmask_b32_e32 v2, v11, v2, vcc
	v_ashrrev_i32_e32 v3, 31, v2
	v_lshl_add_u64 v[4:5], v[2:3], 2, s[6:7]
	v_or_b32_e32 v2, 16, v1
	v_add_u32_e32 v3, v2, v10
	v_ashrrev_i32_e32 v3, 4, v3
	v_cmp_gt_i32_e32 vcc, s33, v2
	s_load_dwordx4 s[8:11], s[0:1], 0x8
	s_nop 0
	v_cndmask_b32_e32 v2, v11, v3, vcc
	v_ashrrev_i32_e32 v3, 31, v2
	v_lshl_add_u64 v[6:7], v[2:3], 2, s[6:7]
	v_or_b32_e32 v2, 32, v1
	v_add_u32_e32 v3, v2, v10
	v_ashrrev_i32_e32 v3, 4, v3
	v_cmp_gt_i32_e32 vcc, s33, v2
	v_or_b32_e32 v1, 48, v1
	s_nop 0
	v_cndmask_b32_e32 v2, v11, v3, vcc
	v_ashrrev_i32_e32 v3, 31, v2
	v_lshl_add_u64 v[8:9], v[2:3], 2, s[6:7]
	v_add_u32_e32 v2, v1, v10
	v_ashrrev_i32_e32 v2, 4, v2
	v_cmp_gt_i32_e32 vcc, s33, v1
	s_nop 1
	v_cndmask_b32_e32 v2, v11, v2, vcc
	v_ashrrev_i32_e32 v3, 31, v2
	v_lshl_add_u64 v[12:13], v[2:3], 2, s[6:7]
	global_load_dword v3, v[4:5], off
	global_load_dword v2, v[6:7], off
	;; [unrolled: 1-line block ×4, first 2 shown]
	s_andn2_b64 vcc, exec, s[14:15]
	s_cbranch_vccnz .LBB42_8
; %bb.6:
	s_add_u32 s12, s12, s16
	s_addc_u32 s13, s13, s17
	s_load_dword s5, s[12:13], 0x0
	s_branch .LBB42_9
.LBB42_7:
	s_mov_b64 s[8:9], 0
	s_branch .LBB42_2
.LBB42_8:
	s_mov_b32 s5, s2
.LBB42_9:
	s_load_dwordx4 s[44:47], s[0:1], 0x48
	v_lshrrev_b32_e32 v37, 6, v0
	v_bfe_u32 v54, v0, 4, 2
	v_lshl_or_b32 v1, v37, 2, v54
	v_and_b32_e32 v36, 15, v0
	v_lshlrev_b32_e32 v4, 3, v36
	v_cmp_gt_u32_e32 vcc, 7, v1
	v_cmp_gt_u32_e64 s[30:31], 8, v36
	v_and_b32_e32 v55, 63, v0
	s_mul_i32 s42, s4, 7
	s_and_b64 s[14:15], s[30:31], vcc
	v_lshlrev_b32_e32 v34, 1, v4
	s_and_saveexec_b64 s[12:13], s[14:15]
	s_cbranch_execz .LBB42_11
; %bb.10:
	s_load_dwordx2 s[14:15], s[0:1], 0x0
	s_waitcnt lgkmcnt(0)
	s_ashr_i32 s16, s44, 31
	s_mul_hi_u32 s17, s5, s44
	s_mul_i32 s16, s5, s16
	s_add_i32 s17, s17, s16
	s_mul_i32 s16, s5, s44
	s_lshl_b64 s[16:17], s[16:17], 1
	s_add_u32 s14, s14, s16
	v_add_lshl_u32 v4, v1, s42, 6
	s_addc_u32 s15, s15, s17
	v_ashrrev_i32_e32 v5, 31, v4
	v_lshl_add_u64 v[4:5], v[4:5], 1, s[14:15]
	v_mov_b32_e32 v35, 0
	v_lshl_add_u64 v[4:5], v[4:5], 0, v[34:35]
	global_load_dwordx4 v[4:7], v[4:5], off
	v_and_b32_e32 v8, 3, v0
	v_lshlrev_b32_e32 v9, 9, v36
	v_lshlrev_b32_e32 v1, 5, v1
	;; [unrolled: 1-line block ×3, first 2 shown]
	v_and_b32_e32 v9, 0x1800, v9
	v_or3_b32 v1, v9, v8, v1
	s_waitcnt vmcnt(0)
	ds_write_b128 v1, v[4:7]
.LBB42_11:
	s_or_b64 exec, exec, s[12:13]
	s_waitcnt lgkmcnt(0)
	s_mul_i32 s4, s4, s46
	s_mov_b32 s5, 0
	s_lshl_b64 s[4:5], s[4:5], 1
	s_add_u32 s8, s8, s4
	v_lshlrev_b32_e32 v1, 4, v0
	s_addc_u32 s9, s9, s5
	v_and_b32_e32 v30, 0xf0, v1
	v_mov_b32_e32 v31, 0
	v_lshl_add_u64 v[18:19], s[8:9], 0, v[30:31]
	s_waitcnt vmcnt(3)
	v_mad_i64_i32 v[4:5], s[8:9], v3, s45, 0
	v_lshl_add_u64 v[4:5], v[4:5], 1, v[18:19]
	v_and_b32_e32 v30, 0x300, v1
	s_waitcnt vmcnt(2)
	v_mad_i64_i32 v[2:3], s[8:9], v2, s45, 0
	v_lshl_add_u64 v[14:15], v[4:5], 0, v[30:31]
	v_lshl_add_u64 v[2:3], v[2:3], 1, v[18:19]
	s_load_dword s29, s[0:1], 0x98
	s_load_dword s12, s[0:1], 0x1c
	s_waitcnt lgkmcnt(0)
	s_barrier
	global_load_dwordx4 v[6:9], v[14:15], off
	global_load_dwordx4 v[26:29], v[14:15], off offset:1024
	v_lshl_add_u64 v[32:33], v[2:3], 0, v[30:31]
	global_load_dwordx4 v[2:5], v[32:33], off
	global_load_dwordx4 v[46:49], v[32:33], off offset:1024
	s_waitcnt vmcnt(5)
	v_mad_i64_i32 v[10:11], s[8:9], v10, s45, 0
	v_lshl_add_u64 v[10:11], v[10:11], 1, v[18:19]
	v_lshl_add_u64 v[38:39], v[10:11], 0, v[30:31]
	global_load_dwordx4 v[10:13], v[38:39], off
	global_load_dwordx4 v[56:59], v[38:39], off offset:1024
	s_waitcnt vmcnt(6)
	v_mad_i64_i32 v[16:17], s[8:9], v16, s45, 0
	v_lshl_add_u64 v[16:17], v[16:17], 1, v[18:19]
	v_lshl_add_u64 v[40:41], v[16:17], 0, v[30:31]
	global_load_dwordx4 v[18:21], v[40:41], off
	v_mul_lo_u16_e32 v16, 37, v36
	v_mov_b32_e32 v17, 7
	v_mul_lo_u16_sdwa v16, v16, v17 dst_sel:DWORD dst_unused:UNUSED_PAD src0_sel:BYTE_1 src1_sel:DWORD
	v_mov_b32_e32 v22, 5
	v_sub_u16_e32 v16, v36, v16
	v_lshlrev_b32_sdwa v16, v22, v16 dst_sel:DWORD dst_unused:UNUSED_PAD src0_sel:DWORD src1_sel:BYTE_0
	v_lshl_add_u32 v16, v54, 9, v16
	ds_read_b128 v[22:25], v16
	global_load_dwordx4 v[38:41], v[40:41], off offset:1024
	v_and_or_b32 v30, v0, 48, s18
	v_mov_b32_e32 v68, s19
	v_cmp_gt_i32_e32 vcc, s33, v30
	ds_read_b128 v[14:17], v16 offset:2048
	v_lshlrev_b32_e32 v35, 5, v36
	s_add_u32 s4, s10, s4
	s_addc_u32 s5, s11, s5
	s_mov_b32 s43, 0xff7fffff
	s_waitcnt vmcnt(7) lgkmcnt(1)
	v_mfma_f32_16x16x16_f16 v[42:45], v[6:7], v[22:23], 0
	v_ashrrev_i32_e32 v6, 4, v30
	v_or_b32_e32 v7, 64, v30
	s_waitcnt vmcnt(5)
	v_mfma_f32_16x16x16_f16 v[50:53], v[2:3], v[22:23], 0
	v_cndmask_b32_e32 v2, v68, v6, vcc
	v_ashrrev_i32_e32 v3, 31, v2
	v_ashrrev_i32_e32 v6, 4, v7
	v_cmp_gt_i32_e32 vcc, s33, v7
	v_lshl_add_u64 v[2:3], v[2:3], 2, s[6:7]
	s_waitcnt vmcnt(3)
	v_mfma_f32_16x16x16_f16 v[60:63], v[10:11], v[22:23], 0
	v_cndmask_b32_e32 v10, v68, v6, vcc
	v_ashrrev_i32_e32 v11, 31, v10
	v_lshl_add_u64 v[10:11], v[10:11], 2, s[6:7]
	v_mfma_f32_16x16x16_f16 v[6:9], v[8:9], v[24:25], v[42:45]
	s_nop 2
	global_load_dword v42, v[2:3], off
	global_load_dword v43, v[10:11], off
	s_waitcnt vmcnt(3)
	v_mfma_f32_16x16x16_f16 v[64:67], v[18:19], v[22:23], 0
	v_or_b32_e32 v22, 0x80, v30
	v_or_b32_e32 v23, 0xc0, v30
	v_ashrrev_i32_e32 v30, 4, v22
	v_cmp_gt_i32_e32 vcc, s33, v22
	v_ashrrev_i32_e32 v32, 4, v23
	v_mfma_f32_16x16x16_f16 v[2:5], v[4:5], v[24:25], v[50:53]
	v_cndmask_b32_e32 v22, v68, v30, vcc
	v_cmp_gt_i32_e32 vcc, s33, v23
	v_ashrrev_i32_e32 v23, 31, v22
	v_mfma_f32_16x16x16_f16 v[10:13], v[12:13], v[24:25], v[60:63]
	v_lshl_or_b32 v30, v37, 9, v35
	v_mfma_f32_16x16x16_f16 v[18:21], v[20:21], v[24:25], v[64:67]
	v_cndmask_b32_e32 v24, v68, v32, vcc
	v_ashrrev_i32_e32 v25, 31, v24
	v_lshl_add_u64 v[32:33], v[24:25], 2, s[6:7]
	s_waitcnt lgkmcnt(0)
	v_mfma_f32_16x16x16_f16 v[6:9], v[26:27], v[14:15], v[6:9]
	v_lshl_add_u64 v[26:27], v[22:23], 2, s[6:7]
	global_load_dword v60, v[26:27], off
	global_load_dword v61, v[32:33], off
	v_mfma_f32_16x16x16_f16 v[2:5], v[46:47], v[14:15], v[2:5]
	v_mfma_f32_16x16x16_f16 v[22:25], v[56:57], v[14:15], v[10:13]
	s_waitcnt vmcnt(4)
	v_mfma_f32_16x16x16_f16 v[18:21], v[38:39], v[14:15], v[18:21]
	s_nop 0
	v_lshl_add_u64 v[10:11], s[4:5], 0, v[30:31]
	s_waitcnt vmcnt(3)
	v_mad_i64_i32 v[26:27], s[4:5], v42, s45, 0
	v_mfma_f32_16x16x16_f16 v[12:15], v[28:29], v[16:17], v[6:9]
	v_lshl_add_u64 v[30:31], v[26:27], 1, v[10:11]
	s_waitcnt vmcnt(2)
	v_mad_i64_i32 v[32:33], s[4:5], v43, s45, 0
	v_mfma_f32_16x16x16_f16 v[26:29], v[48:49], v[16:17], v[2:5]
	v_lshl_add_u64 v[56:57], v[32:33], 1, v[10:11]
	s_nop 1
	v_pk_mul_f32 v[50:51], s[12:13], v[14:15] op_sel_hi:[0,1]
	v_pk_mul_f32 v[12:13], s[12:13], v[12:13] op_sel_hi:[0,1]
	v_mfma_f32_16x16x16_f16 v[22:25], v[58:59], v[16:17], v[22:25]
	global_load_dwordx4 v[6:9], v[30:31], off
	global_load_dwordx4 v[2:5], v[30:31], off offset:16
	v_pk_mul_f32 v[42:43], s[12:13], v[26:27] op_sel_hi:[0,1]
	v_pk_mul_f32 v[52:53], s[12:13], v[28:29] op_sel_hi:[0,1]
	v_mfma_f32_16x16x16_f16 v[14:17], v[40:41], v[16:17], v[18:21]
	s_nop 1
	v_pk_mul_f32 v[48:49], s[12:13], v[22:23] op_sel_hi:[0,1]
	v_pk_mul_f32 v[46:47], s[12:13], v[24:25] op_sel_hi:[0,1]
	global_load_dwordx4 v[30:33], v[56:57], off
	global_load_dwordx4 v[26:29], v[56:57], off offset:16
	s_nop 0
	v_pk_mul_f32 v[44:45], s[12:13], v[14:15] op_sel_hi:[0,1]
	v_and_b32_e32 v14, 0xc0, v0
	v_add_u32_e32 v14, s18, v14
	v_lshl_or_b32 v14, v54, 2, v14
	v_pk_mul_f32 v[38:39], s[12:13], v[16:17] op_sel_hi:[0,1]
	v_or_b32_e32 v17, 1, v14
	v_mov_b32_e32 v15, 0xff7fffff
	v_cmp_gt_i32_e64 s[4:5], s33, v14
	v_cmp_gt_i32_e64 s[34:35], s33, v17
	v_or_b32_e32 v18, 3, v14
	v_cndmask_b32_e64 v16, v15, v12, s[4:5]
	v_cndmask_b32_e64 v17, v15, v13, s[34:35]
	v_max3_f32 v16, v16, s43, v17
	v_or_b32_e32 v17, 2, v14
	v_cmp_gt_i32_e64 s[36:37], s33, v17
	v_cmp_gt_i32_e64 s[38:39], s33, v18
	s_nop 0
	v_cndmask_b32_e64 v17, v15, v50, s[36:37]
	v_cndmask_b32_e64 v18, v15, v51, s[38:39]
	v_max3_f32 v16, v16, v17, v18
	v_or_b32_e32 v17, 16, v14
	v_or_b32_e32 v18, 17, v14
	v_cmp_gt_i32_e64 s[24:25], s33, v17
	v_cmp_gt_i32_e64 s[26:27], s33, v18
	s_nop 0
	v_cndmask_b32_e64 v17, v15, v42, s[24:25]
	v_cndmask_b32_e64 v18, v15, v43, s[26:27]
	v_max3_f32 v16, v16, v17, v18
	v_or_b32_e32 v17, 18, v14
	;; [unrolled: 8-line block ×6, first 2 shown]
	v_or_b32_e32 v14, 51, v14
	v_cmp_gt_i32_e32 vcc, s33, v17
	v_cmp_gt_i32_e64 s[6:7], s33, v14
	s_nop 0
	v_cndmask_b32_e32 v17, v15, v38, vcc
	v_cndmask_b32_e64 v14, v15, v39, s[6:7]
	v_max3_f32 v16, v16, v17, v14
	v_mbcnt_lo_u32_b32 v14, -1, 0
	v_mbcnt_hi_u32_b32 v17, -1, v14
	v_and_b32_e32 v14, 64, v17
	v_add_u32_e32 v18, 64, v14
	v_xor_b32_e32 v14, 32, v17
	v_cmp_lt_i32_e64 s[40:41], v14, v18
	s_nop 1
	v_cndmask_b32_e64 v14, v17, v14, s[40:41]
	v_lshlrev_b32_e32 v58, 2, v14
	ds_bpermute_b32 v19, v58, v16
	s_waitcnt vmcnt(5)
	v_mad_i64_i32 v[14:15], s[40:41], v60, s45, 0
	v_lshl_add_u64 v[14:15], v[14:15], 1, v[10:11]
	s_waitcnt lgkmcnt(0)
	v_max_f32_e32 v19, v19, v19
	v_max_f32_e32 v16, v16, v19
	v_xor_b32_e32 v19, 16, v17
	v_cmp_lt_i32_e64 s[40:41], v19, v18
	s_nop 1
	v_cndmask_b32_e64 v17, v17, v19, s[40:41]
	v_lshlrev_b32_e32 v57, 2, v17
	ds_bpermute_b32 v17, v57, v16
	global_load_dwordx4 v[22:25], v[14:15], off
	global_load_dwordx4 v[18:21], v[14:15], off offset:16
	s_waitcnt vmcnt(6)
	v_mad_i64_i32 v[14:15], s[40:41], v61, s45, 0
	v_lshl_add_u64 v[10:11], v[14:15], 1, v[10:11]
	s_waitcnt lgkmcnt(0)
	v_max_f32_e32 v14, v17, v17
	v_max_f32_e32 v56, v16, v14
	v_sub_f32_e32 v12, v12, v56
	v_mul_f32_e32 v12, 0x3fb8aa3b, v12
	v_exp_f32_e32 v40, v12
	v_sub_f32_e32 v12, v13, v56
	v_mul_f32_e32 v12, 0x3fb8aa3b, v12
	v_exp_f32_e32 v41, v12
	global_load_dwordx4 v[14:17], v[10:11], off
	s_nop 0
	global_load_dwordx4 v[10:13], v[10:11], off offset:16
	v_sub_f32_e32 v50, v50, v56
	v_mul_f32_e32 v50, 0x3fb8aa3b, v50
	v_sub_f32_e32 v51, v51, v56
	v_exp_f32_e32 v50, v50
	v_mul_f32_e32 v51, 0x3fb8aa3b, v51
	v_sub_f32_e32 v42, v42, v56
	v_exp_f32_e32 v51, v51
	v_mul_f32_e32 v42, 0x3fb8aa3b, v42
	v_sub_f32_e32 v43, v43, v56
	v_cndmask_b32_e64 v40, 0, v40, s[4:5]
	v_exp_f32_e32 v42, v42
	v_mul_f32_e32 v43, 0x3fb8aa3b, v43
	v_sub_f32_e32 v52, v52, v56
	v_add_f32_e32 v59, 0, v40
	v_cndmask_b32_e64 v41, 0, v41, s[34:35]
	v_exp_f32_e32 v43, v43
	v_mul_f32_e32 v52, 0x3fb8aa3b, v52
	v_sub_f32_e32 v53, v53, v56
	v_add_f32_e32 v59, v59, v41
	;; [unrolled: 5-line block ×10, first 2 shown]
	v_cndmask_b32_e64 v46, 0, v46, s[12:13]
	v_exp_f32_e32 v38, v38
	v_mul_f32_e32 v39, 0x3fb8aa3b, v39
	v_add_f32_e32 v59, v59, v46
	v_cndmask_b32_e64 v47, 0, v47, s[14:15]
	v_exp_f32_e32 v39, v39
	v_add_f32_e32 v59, v59, v47
	v_cndmask_b32_e64 v44, 0, v44, s[8:9]
	v_add_f32_e32 v59, v59, v44
	v_cndmask_b32_e64 v45, 0, v45, s[10:11]
	v_add_f32_e32 v59, v59, v45
	v_cndmask_b32_e32 v38, 0, v38, vcc
	v_add_f32_e32 v59, v59, v38
	v_cndmask_b32_e64 v39, 0, v39, s[6:7]
	v_add_f32_e32 v59, v59, v39
	ds_bpermute_b32 v58, v58, v59
	v_cmp_gt_u32_e32 vcc, 16, v55
	s_waitcnt lgkmcnt(0)
	s_barrier
	v_add_f32_e32 v58, v59, v58
	ds_bpermute_b32 v59, v57, v58
	v_lshlrev_b32_e32 v57, 2, v36
	s_and_saveexec_b64 s[4:5], vcc
	s_cbranch_execz .LBB42_13
; %bb.12:
	s_waitcnt lgkmcnt(0)
	v_add_f32_e32 v55, v58, v59
	v_lshl_or_b32 v58, v37, 6, v57
	ds_write2st64_b32 v58, v56, v55 offset1:1
.LBB42_13:
	s_or_b64 exec, exec, s[4:5]
	s_load_dword s6, s[0:1], 0x94
	s_waitcnt lgkmcnt(0)
	s_barrier
	ds_read2_b32 v[58:59], v57 offset1:16
	ds_read2_b32 v[60:61], v57 offset0:32 offset1:48
	ds_read2_b32 v[62:63], v57 offset0:64 offset1:80
	s_mul_i32 s7, s29, 7
	s_waitcnt lgkmcnt(2)
	v_max3_f32 v55, v58, s43, v59
	s_waitcnt lgkmcnt(1)
	v_max3_f32 v55, v55, v60, v61
	v_sub_f32_e32 v56, v58, v55
	v_mul_f32_e32 v56, 0x3fb8aa3b, v56
	v_exp_f32_e32 v64, v56
	v_sub_f32_e32 v56, v59, v55
	v_mul_f32_e32 v56, 0x3fb8aa3b, v56
	v_exp_f32_e32 v65, v56
	;; [unrolled: 3-line block ×3, first 2 shown]
	ds_read2_b32 v[58:59], v57 offset0:96 offset1:112
	v_sub_f32_e32 v56, v61, v55
	v_mul_f32_e32 v56, 0x3fb8aa3b, v56
	v_exp_f32_e32 v57, v56
	s_waitcnt lgkmcnt(1)
	v_fma_f32 v56, v64, v62, 0
	v_fmac_f32_e32 v56, v65, v63
	s_waitcnt lgkmcnt(0)
	v_fmac_f32_e32 v56, v60, v58
	v_fmac_f32_e32 v56, v57, v59
	v_add_f32_e32 v58, 0x358637bd, v56
	v_div_scale_f32 v59, s[4:5], v58, v58, 1.0
	v_rcp_f32_e32 v61, v59
	s_barrier
	v_fma_f32 v62, -v59, v61, 1.0
	v_fmac_f32_e32 v61, v62, v61
	v_div_scale_f32 v62, vcc, 1.0, v58, 1.0
	v_mul_f32_e32 v63, v62, v61
	v_fma_f32 v66, -v59, v63, v62
	v_fmac_f32_e32 v63, v66, v61
	v_fma_f32 v59, -v59, v63, v62
	v_div_fmas_f32 v59, v59, v61, v63
	v_cmp_eq_u32_e32 vcc, 1, v37
	v_div_fixup_f32 v58, v59, v58, 1.0
	s_nop 0
	v_cndmask_b32_e32 v59, v64, v65, vcc
	v_cmp_eq_u32_e32 vcc, 2, v37
	s_nop 1
	v_cndmask_b32_e32 v59, v59, v60, vcc
	v_cmp_eq_u32_e32 vcc, 3, v37
	v_lshlrev_b32_e32 v37, 11, v37
	s_nop 0
	v_cndmask_b32_e32 v57, v59, v57, vcc
	v_mul_f32_e32 v58, v57, v58
	v_pk_mul_f32 v[40:41], v[58:59], v[40:41] op_sel_hi:[0,1]
	v_cvt_f16_f32_e32 v40, v40
	v_cvt_f16_f32_e32 v41, v41
	v_pk_mul_f32 v[50:51], v[58:59], v[50:51] op_sel_hi:[0,1]
	v_cvt_f16_f32_e32 v57, v50
	v_cvt_f16_f32_e32 v51, v51
	v_pack_b32_f16 v50, v40, v41
	v_pk_mul_f32 v[40:41], v[58:59], v[52:53] op_sel_hi:[0,1]
	v_pk_mul_f32 v[42:43], v[58:59], v[42:43] op_sel_hi:[0,1]
	v_cvt_f16_f32_e32 v42, v42
	v_cvt_f16_f32_e32 v43, v43
	;; [unrolled: 1-line block ×4, first 2 shown]
	v_pack_b32_f16 v51, v57, v51
	v_lshlrev_b32_e32 v57, 3, v54
	v_or3_b32 v40, v37, v35, v57
	v_pack_b32_f16 v42, v42, v43
	v_pack_b32_f16 v43, v52, v41
	ds_write2st64_b64 v40, v[50:51], v[42:43] offset1:1
	v_pk_mul_f32 v[42:43], v[58:59], v[46:47] op_sel_hi:[0,1]
	v_pk_mul_f32 v[46:47], v[58:59], v[48:49] op_sel_hi:[0,1]
	v_cvt_f16_f32_e32 v37, v46
	v_cvt_f16_f32_e32 v41, v47
	;; [unrolled: 1-line block ×4, first 2 shown]
	v_pk_mul_f32 v[38:39], v[58:59], v[38:39] op_sel_hi:[0,1]
	v_pk_mul_f32 v[42:43], v[58:59], v[44:45] op_sel_hi:[0,1]
	v_cvt_f16_f32_e32 v42, v42
	v_cvt_f16_f32_e32 v43, v43
	;; [unrolled: 1-line block ×4, first 2 shown]
	v_pack_b32_f16 v38, v37, v41
	v_pack_b32_f16 v39, v46, v47
	;; [unrolled: 1-line block ×4, first 2 shown]
	v_cmp_gt_u32_e32 vcc, 7, v0
	ds_write2st64_b64 v40, v[38:39], v[42:43] offset0:2 offset1:3
	s_and_saveexec_b64 s[4:5], vcc
	s_cbranch_execz .LBB42_15
; %bb.14:
	s_mov_b32 s43, 0
	v_mov_b32_e32 v37, 0
	v_lshl_add_u64 v[38:39], s[42:43], 0, v[36:37]
	v_mov_b32_e32 v36, s7
	v_mad_u64_u32 v[38:39], s[12:13], s2, v36, v[38:39]
	v_mov_b32_e32 v36, s28
	s_load_dwordx4 s[8:11], s[0:1], 0x58
	s_mul_i32 s3, s3, s7
	v_mad_u64_u32 v[36:37], s[12:13], v38, s6, v[36:37]
	v_add_u32_e32 v39, s3, v39
	v_mov_b32_e32 v38, v37
	v_mad_u64_u32 v[38:39], s[12:13], v39, s6, v[38:39]
	v_mov_b32_e32 v37, v38
	v_lshlrev_b64 v[36:37], 2, v[36:37]
	s_waitcnt lgkmcnt(0)
	v_lshl_add_u64 v[38:39], s[10:11], 0, v[36:37]
	v_lshl_add_u64 v[36:37], s[8:9], 0, v[36:37]
	global_store_dword v[38:39], v55, off
	global_store_dword v[36:37], v56, off
.LBB42_15:
	s_or_b64 exec, exec, s[4:5]
	v_lshl_or_b32 v35, v54, 9, v35
	s_waitcnt lgkmcnt(0)
	s_barrier
	ds_read_b128 v[36:39], v35
	ds_read_b128 v[42:45], v35 offset:16
	s_waitcnt vmcnt(7) lgkmcnt(1)
	v_mfma_f32_16x16x16_f16 v[46:49], v[6:7], v[36:37], 0
	v_cmp_gt_u32_e32 vcc, 64, v0
	s_mov_b32 s3, 0
	s_and_b64 s[4:5], vcc, s[30:31]
	v_mfma_f32_16x16x16_f16 v[6:9], v[8:9], v[38:39], v[46:49]
	s_waitcnt vmcnt(6) lgkmcnt(0)
	v_mfma_f32_16x16x16_f16 v[6:9], v[2:3], v[42:43], v[6:9]
	v_mfma_f32_16x16x16_f16 v[2:5], v[4:5], v[44:45], v[6:9]
	s_nop 5
	ds_read_b128 v[6:9], v35 offset:2048
	ds_read_b128 v[36:39], v35 offset:2064
	s_waitcnt vmcnt(5) lgkmcnt(1)
	v_mfma_f32_16x16x16_f16 v[2:5], v[30:31], v[6:7], v[2:5]
	v_mfma_f32_16x16x16_f16 v[2:5], v[32:33], v[8:9], v[2:5]
	s_waitcnt vmcnt(4) lgkmcnt(0)
	v_mfma_f32_16x16x16_f16 v[2:5], v[26:27], v[36:37], v[2:5]
	v_mfma_f32_16x16x16_f16 v[2:5], v[28:29], v[38:39], v[2:5]
	ds_read_b128 v[6:9], v35 offset:4096
	ds_read_b128 v[26:29], v35 offset:4112
	s_waitcnt vmcnt(3) lgkmcnt(1)
	v_mfma_f32_16x16x16_f16 v[2:5], v[22:23], v[6:7], v[2:5]
	v_mfma_f32_16x16x16_f16 v[2:5], v[24:25], v[8:9], v[2:5]
	s_waitcnt vmcnt(2) lgkmcnt(0)
	v_mfma_f32_16x16x16_f16 v[2:5], v[18:19], v[26:27], v[2:5]
	v_mfma_f32_16x16x16_f16 v[2:5], v[20:21], v[28:29], v[2:5]
	ds_read_b128 v[6:9], v35 offset:6144
	ds_read_b128 v[18:21], v35 offset:6160
	v_mov_b32_e32 v35, 0
	s_waitcnt vmcnt(1) lgkmcnt(0)
	v_mfma_f32_16x16x16_f16 v[2:5], v[14:15], v[6:7], v[2:5]
	s_barrier
	v_mfma_f32_16x16x16_f16 v[2:5], v[16:17], v[8:9], v[2:5]
	s_waitcnt vmcnt(0)
	v_mfma_f32_16x16x16_f16 v[2:5], v[10:11], v[18:19], v[2:5]
	v_mfma_f32_16x16x16_f16 v[2:5], v[12:13], v[20:21], v[2:5]
	s_nop 6
	v_cvt_f16_f32_e32 v2, v2
	v_cvt_f16_f32_e32 v3, v3
	;; [unrolled: 1-line block ×4, first 2 shown]
	v_pack_b32_f16 v2, v2, v3
	v_pack_b32_f16 v3, v4, v5
	ds_write_b64 v40, v[2:3]
	s_waitcnt lgkmcnt(0)
	s_barrier
	s_and_saveexec_b64 s[8:9], s[4:5]
	s_cbranch_execz .LBB42_18
; %bb.16:
	s_load_dwordx2 s[4:5], s[0:1], 0x68
	s_lshl_b32 s0, s6, 6
	s_mul_i32 s1, s7, s2
	s_mul_hi_u32 s7, s1, s0
	s_mul_i32 s6, s1, s0
	v_lshlrev_b32_e32 v0, 10, v0
	s_lshl_b64 s[6:7], s[6:7], 1
	v_and_b32_e32 v0, 0x1800, v0
	v_lshlrev_b32_e32 v2, 5, v54
	v_and_b32_e32 v1, 16, v1
	s_waitcnt lgkmcnt(0)
	s_add_u32 s1, s4, s6
	v_or3_b32 v2, v0, v2, v1
	s_addc_u32 s4, s5, s7
	s_lshl_b32 s2, s28, 6
	s_lshl_b64 s[2:3], s[2:3], 1
	ds_read_b128 v[4:7], v2
	s_add_u32 s2, s1, s2
	s_addc_u32 s3, s4, s3
	v_add_u32_e32 v3, s42, v54
	v_lshl_add_u64 v[0:1], s[2:3], 0, v[34:35]
	v_mad_u64_u32 v[8:9], s[2:3], v3, s0, 0
	v_lshl_add_u64 v[8:9], v[8:9], 1, v[0:1]
	v_cmp_ne_u32_e32 vcc, 3, v54
	s_waitcnt lgkmcnt(0)
	global_store_dwordx4 v[8:9], v[4:7], off
	s_and_b64 exec, exec, vcc
	s_cbranch_execz .LBB42_18
; %bb.17:
	ds_read_b128 v[2:5], v2 offset:128
	v_add3_u32 v6, s42, v54, 4
	v_mad_u64_u32 v[6:7], s[0:1], v6, s0, 0
	v_lshl_add_u64 v[0:1], v[6:7], 1, v[0:1]
	s_waitcnt lgkmcnt(0)
	global_store_dwordx4 v[0:1], v[2:5], off
.LBB42_18:
	s_endpgm
	.section	.rodata,"a",@progbits
	.p2align	6, 0x0
	.amdhsa_kernel _Z39paged_attention_ll4mi_QKV_mfma16_kernelIDF16_DF16_LN4vllm18Fp8KVCacheDataTypeE0EhLi16ELi64ELi256ELb0ELi7EEvPKT_PKT0_S7_ifPKiS9_S9_iPKfiiiPfSC_PS2_PT2_iSB_SB_
		.amdhsa_group_segment_fixed_size 8192
		.amdhsa_private_segment_fixed_size 0
		.amdhsa_kernarg_size 400
		.amdhsa_user_sgpr_count 2
		.amdhsa_user_sgpr_dispatch_ptr 0
		.amdhsa_user_sgpr_queue_ptr 0
		.amdhsa_user_sgpr_kernarg_segment_ptr 1
		.amdhsa_user_sgpr_dispatch_id 0
		.amdhsa_user_sgpr_kernarg_preload_length 0
		.amdhsa_user_sgpr_kernarg_preload_offset 0
		.amdhsa_user_sgpr_private_segment_size 0
		.amdhsa_uses_dynamic_stack 0
		.amdhsa_enable_private_segment 0
		.amdhsa_system_sgpr_workgroup_id_x 1
		.amdhsa_system_sgpr_workgroup_id_y 1
		.amdhsa_system_sgpr_workgroup_id_z 1
		.amdhsa_system_sgpr_workgroup_info 0
		.amdhsa_system_vgpr_workitem_id 0
		.amdhsa_next_free_vgpr 69
		.amdhsa_next_free_sgpr 48
		.amdhsa_accum_offset 72
		.amdhsa_reserve_vcc 1
		.amdhsa_float_round_mode_32 0
		.amdhsa_float_round_mode_16_64 0
		.amdhsa_float_denorm_mode_32 3
		.amdhsa_float_denorm_mode_16_64 3
		.amdhsa_dx10_clamp 1
		.amdhsa_ieee_mode 1
		.amdhsa_fp16_overflow 0
		.amdhsa_tg_split 0
		.amdhsa_exception_fp_ieee_invalid_op 0
		.amdhsa_exception_fp_denorm_src 0
		.amdhsa_exception_fp_ieee_div_zero 0
		.amdhsa_exception_fp_ieee_overflow 0
		.amdhsa_exception_fp_ieee_underflow 0
		.amdhsa_exception_fp_ieee_inexact 0
		.amdhsa_exception_int_div_zero 0
	.end_amdhsa_kernel
	.section	.text._Z39paged_attention_ll4mi_QKV_mfma16_kernelIDF16_DF16_LN4vllm18Fp8KVCacheDataTypeE0EhLi16ELi64ELi256ELb0ELi7EEvPKT_PKT0_S7_ifPKiS9_S9_iPKfiiiPfSC_PS2_PT2_iSB_SB_,"axG",@progbits,_Z39paged_attention_ll4mi_QKV_mfma16_kernelIDF16_DF16_LN4vllm18Fp8KVCacheDataTypeE0EhLi16ELi64ELi256ELb0ELi7EEvPKT_PKT0_S7_ifPKiS9_S9_iPKfiiiPfSC_PS2_PT2_iSB_SB_,comdat
.Lfunc_end42:
	.size	_Z39paged_attention_ll4mi_QKV_mfma16_kernelIDF16_DF16_LN4vllm18Fp8KVCacheDataTypeE0EhLi16ELi64ELi256ELb0ELi7EEvPKT_PKT0_S7_ifPKiS9_S9_iPKfiiiPfSC_PS2_PT2_iSB_SB_, .Lfunc_end42-_Z39paged_attention_ll4mi_QKV_mfma16_kernelIDF16_DF16_LN4vllm18Fp8KVCacheDataTypeE0EhLi16ELi64ELi256ELb0ELi7EEvPKT_PKT0_S7_ifPKiS9_S9_iPKfiiiPfSC_PS2_PT2_iSB_SB_
                                        ; -- End function
	.section	.AMDGPU.csdata,"",@progbits
; Kernel info:
; codeLenInByte = 3804
; NumSgprs: 54
; NumVgprs: 69
; NumAgprs: 0
; TotalNumVgprs: 69
; ScratchSize: 0
; MemoryBound: 0
; FloatMode: 240
; IeeeMode: 1
; LDSByteSize: 8192 bytes/workgroup (compile time only)
; SGPRBlocks: 6
; VGPRBlocks: 8
; NumSGPRsForWavesPerEU: 54
; NumVGPRsForWavesPerEU: 69
; AccumOffset: 72
; Occupancy: 7
; WaveLimiterHint : 1
; COMPUTE_PGM_RSRC2:SCRATCH_EN: 0
; COMPUTE_PGM_RSRC2:USER_SGPR: 2
; COMPUTE_PGM_RSRC2:TRAP_HANDLER: 0
; COMPUTE_PGM_RSRC2:TGID_X_EN: 1
; COMPUTE_PGM_RSRC2:TGID_Y_EN: 1
; COMPUTE_PGM_RSRC2:TGID_Z_EN: 1
; COMPUTE_PGM_RSRC2:TIDIG_COMP_CNT: 0
; COMPUTE_PGM_RSRC3_GFX90A:ACCUM_OFFSET: 17
; COMPUTE_PGM_RSRC3_GFX90A:TG_SPLIT: 0
	.section	.text._Z39paged_attention_ll4mi_QKV_mfma16_kernelIDF16_DF16_LN4vllm18Fp8KVCacheDataTypeE0EhLi16ELi64ELi256ELb0ELi8EEvPKT_PKT0_S7_ifPKiS9_S9_iPKfiiiPfSC_PS2_PT2_iSB_SB_,"axG",@progbits,_Z39paged_attention_ll4mi_QKV_mfma16_kernelIDF16_DF16_LN4vllm18Fp8KVCacheDataTypeE0EhLi16ELi64ELi256ELb0ELi8EEvPKT_PKT0_S7_ifPKiS9_S9_iPKfiiiPfSC_PS2_PT2_iSB_SB_,comdat
	.protected	_Z39paged_attention_ll4mi_QKV_mfma16_kernelIDF16_DF16_LN4vllm18Fp8KVCacheDataTypeE0EhLi16ELi64ELi256ELb0ELi8EEvPKT_PKT0_S7_ifPKiS9_S9_iPKfiiiPfSC_PS2_PT2_iSB_SB_ ; -- Begin function _Z39paged_attention_ll4mi_QKV_mfma16_kernelIDF16_DF16_LN4vllm18Fp8KVCacheDataTypeE0EhLi16ELi64ELi256ELb0ELi8EEvPKT_PKT0_S7_ifPKiS9_S9_iPKfiiiPfSC_PS2_PT2_iSB_SB_
	.globl	_Z39paged_attention_ll4mi_QKV_mfma16_kernelIDF16_DF16_LN4vllm18Fp8KVCacheDataTypeE0EhLi16ELi64ELi256ELb0ELi8EEvPKT_PKT0_S7_ifPKiS9_S9_iPKfiiiPfSC_PS2_PT2_iSB_SB_
	.p2align	8
	.type	_Z39paged_attention_ll4mi_QKV_mfma16_kernelIDF16_DF16_LN4vllm18Fp8KVCacheDataTypeE0EhLi16ELi64ELi256ELb0ELi8EEvPKT_PKT0_S7_ifPKiS9_S9_iPKfiiiPfSC_PS2_PT2_iSB_SB_,@function
_Z39paged_attention_ll4mi_QKV_mfma16_kernelIDF16_DF16_LN4vllm18Fp8KVCacheDataTypeE0EhLi16ELi64ELi256ELb0ELi8EEvPKT_PKT0_S7_ifPKiS9_S9_iPKfiiiPfSC_PS2_PT2_iSB_SB_: ; @_Z39paged_attention_ll4mi_QKV_mfma16_kernelIDF16_DF16_LN4vllm18Fp8KVCacheDataTypeE0EhLi16ELi64ELi256ELb0ELi8EEvPKT_PKT0_S7_ifPKiS9_S9_iPKfiiiPfSC_PS2_PT2_iSB_SB_
; %bb.0:
	s_load_dwordx2 s[12:13], s[0:1], 0x30
	s_mov_b32 s28, s3
	s_mov_b64 s[6:7], 0
	s_waitcnt lgkmcnt(0)
	s_cmp_lg_u64 s[12:13], 0
	s_cselect_b64 s[14:15], -1, 0
	s_and_b64 vcc, exec, s[14:15]
	s_cbranch_vccz .LBB43_7
; %bb.1:
	s_add_i32 s8, s2, 1
	s_mov_b32 s9, 0
	s_lshl_b64 s[10:11], s[8:9], 2
	s_add_u32 s10, s12, s10
	s_mov_b32 s3, s9
	s_addc_u32 s11, s13, s11
	s_lshl_b64 s[8:9], s[2:3], 2
	s_add_u32 s8, s12, s8
	s_addc_u32 s9, s13, s9
	s_load_dword s5, s[10:11], 0x0
	s_load_dword s16, s[8:9], 0x0
	s_waitcnt lgkmcnt(0)
	s_sub_i32 s5, s5, s16
	s_cmp_eq_u32 s5, 1
	s_cselect_b64 s[8:9], -1, 0
	s_andn2_b64 vcc, exec, s[6:7]
	s_cbranch_vccnz .LBB43_3
.LBB43_2:
	s_mov_b32 s3, 0
	s_mov_b64 s[8:9], -1
.LBB43_3:
	s_andn2_b64 vcc, exec, s[8:9]
	s_cbranch_vccnz .LBB43_17
; %bb.4:
	s_load_dwordx2 s[6:7], s[0:1], 0x28
	s_lshl_b64 s[16:17], s[2:3], 2
	s_waitcnt lgkmcnt(0)
	s_add_u32 s6, s6, s16
	s_addc_u32 s7, s7, s17
	s_load_dword s40, s[6:7], 0x0
	s_lshl_b32 s18, s28, 8
	s_waitcnt lgkmcnt(0)
	s_cmp_ge_i32 s18, s40
	s_cbranch_scc1 .LBB43_17
; %bb.5:
	s_load_dwordx2 s[6:7], s[0:1], 0x20
	s_load_dword s5, s[0:1], 0x38
	s_add_i32 s8, s40, 15
	s_ashr_i32 s9, s8, 31
	v_and_b32_e32 v1, 0xcf, v0
	s_lshr_b32 s9, s9, 28
	v_add_u32_e32 v1, s18, v1
	s_add_i32 s8, s8, s9
	v_ashrrev_i32_e32 v2, 31, v1
	s_ashr_i32 s19, s8, 4
	v_lshrrev_b32_e32 v8, 28, v2
	s_add_i32 s19, s19, -1
	s_waitcnt lgkmcnt(0)
	s_mul_i32 s8, s2, s5
	s_mov_b32 s9, 0
	v_add_u32_e32 v2, v1, v8
	s_lshl_b64 s[8:9], s[8:9], 2
	v_ashrrev_i32_e32 v2, 4, v2
	v_mov_b32_e32 v9, s19
	v_cmp_gt_i32_e32 vcc, s40, v1
	s_add_u32 s6, s6, s8
	s_addc_u32 s7, s7, s9
	v_cndmask_b32_e32 v2, v9, v2, vcc
	v_ashrrev_i32_e32 v3, 31, v2
	v_lshl_add_u64 v[4:5], v[2:3], 2, s[6:7]
	v_or_b32_e32 v2, 16, v1
	v_add_u32_e32 v3, v2, v8
	v_ashrrev_i32_e32 v3, 4, v3
	v_cmp_gt_i32_e32 vcc, s40, v2
	s_load_dwordx4 s[8:11], s[0:1], 0x8
	s_nop 0
	v_cndmask_b32_e32 v2, v9, v3, vcc
	v_ashrrev_i32_e32 v3, 31, v2
	v_lshl_add_u64 v[6:7], v[2:3], 2, s[6:7]
	v_or_b32_e32 v2, 32, v1
	v_add_u32_e32 v3, v2, v8
	v_ashrrev_i32_e32 v3, 4, v3
	v_cmp_gt_i32_e32 vcc, s40, v2
	v_or_b32_e32 v1, 48, v1
	s_nop 0
	v_cndmask_b32_e32 v2, v9, v3, vcc
	v_ashrrev_i32_e32 v3, 31, v2
	v_lshl_add_u64 v[12:13], v[2:3], 2, s[6:7]
	v_add_u32_e32 v2, v1, v8
	v_ashrrev_i32_e32 v2, 4, v2
	v_cmp_gt_i32_e32 vcc, s40, v1
	s_nop 1
	v_cndmask_b32_e32 v2, v9, v2, vcc
	v_ashrrev_i32_e32 v3, 31, v2
	v_lshl_add_u64 v[14:15], v[2:3], 2, s[6:7]
	global_load_dword v2, v[4:5], off
	global_load_dword v10, v[6:7], off
	global_load_dword v9, v[12:13], off
	global_load_dword v8, v[14:15], off
	s_andn2_b64 vcc, exec, s[14:15]
	s_cbranch_vccnz .LBB43_8
; %bb.6:
	s_add_u32 s12, s12, s16
	s_addc_u32 s13, s13, s17
	s_load_dword s5, s[12:13], 0x0
	s_branch .LBB43_9
.LBB43_7:
	s_mov_b64 s[8:9], 0
	s_branch .LBB43_2
.LBB43_8:
	s_mov_b32 s5, s2
.LBB43_9:
	s_load_dwordx4 s[44:47], s[0:1], 0x48
	v_and_b32_e32 v55, 15, v0
	s_movk_i32 s12, 0x80
	v_lshlrev_b32_e32 v3, 3, v55
	v_cmp_gt_u32_e32 vcc, s12, v0
	v_cmp_gt_u32_e64 s[30:31], 8, v55
	v_lshrrev_b32_e32 v53, 6, v0
	v_and_b32_e32 v54, 63, v0
	v_bfe_u32 v1, v0, 4, 2
	s_lshl_b32 s29, s4, 3
	s_and_b64 s[14:15], vcc, s[30:31]
	v_lshlrev_b32_e32 v34, 1, v3
	s_and_saveexec_b64 s[12:13], s[14:15]
	s_cbranch_execz .LBB43_11
; %bb.10:
	s_load_dwordx2 s[14:15], s[0:1], 0x0
	s_waitcnt lgkmcnt(0)
	s_ashr_i32 s16, s44, 31
	s_mul_hi_u32 s17, s5, s44
	s_mul_i32 s16, s5, s16
	s_add_i32 s17, s17, s16
	s_mul_i32 s16, s5, s44
	v_lshl_or_b32 v3, v53, 2, v1
	s_lshl_b64 s[16:17], s[16:17], 1
	s_add_u32 s14, s14, s16
	v_add_lshl_u32 v4, v3, s29, 6
	s_addc_u32 s15, s15, s17
	v_ashrrev_i32_e32 v5, 31, v4
	v_lshl_add_u64 v[4:5], v[4:5], 1, s[14:15]
	v_mov_b32_e32 v35, 0
	v_lshl_add_u64 v[4:5], v[4:5], 0, v[34:35]
	global_load_dwordx4 v[4:7], v[4:5], off
	v_and_b32_e32 v11, 3, v0
	v_lshlrev_b32_e32 v12, 9, v55
	v_lshlrev_b32_e32 v3, 5, v3
	;; [unrolled: 1-line block ×3, first 2 shown]
	v_and_b32_e32 v12, 0x1800, v12
	v_or3_b32 v3, v12, v11, v3
	s_waitcnt vmcnt(0)
	ds_write_b128 v3, v[4:7]
.LBB43_11:
	s_or_b64 exec, exec, s[12:13]
	s_waitcnt lgkmcnt(0)
	s_mul_i32 s4, s4, s46
	s_mov_b32 s5, 0
	s_lshl_b64 s[4:5], s[4:5], 1
	s_add_u32 s8, s8, s4
	v_lshlrev_b32_e32 v52, 4, v0
	s_addc_u32 s9, s9, s5
	v_and_b32_e32 v6, 0xf0, v52
	v_mov_b32_e32 v7, 0
	v_lshl_add_u64 v[12:13], s[8:9], 0, v[6:7]
	s_waitcnt vmcnt(3)
	v_mad_i64_i32 v[2:3], s[8:9], v2, s45, 0
	v_lshl_add_u64 v[2:3], v[2:3], 1, v[12:13]
	v_and_b32_e32 v6, 0x300, v52
	v_and_b32_e32 v11, 7, v0
	s_waitcnt vmcnt(2)
	v_mad_i64_i32 v[20:21], s[8:9], v10, s45, 0
	s_waitcnt vmcnt(1)
	v_mad_i64_i32 v[24:25], s[8:9], v9, s45, 0
	v_lshl_add_u64 v[14:15], v[2:3], 0, v[6:7]
	s_waitcnt vmcnt(0)
	v_mad_i64_i32 v[26:27], s[8:9], v8, s45, 0
	v_lshlrev_b32_e32 v8, 5, v11
	v_lshl_add_u64 v[20:21], v[20:21], 1, v[12:13]
	v_lshl_add_u64 v[24:25], v[24:25], 1, v[12:13]
	s_load_dword s33, s[0:1], 0x98
	s_load_dword s12, s[0:1], 0x1c
	s_waitcnt lgkmcnt(0)
	s_barrier
	global_load_dwordx4 v[2:5], v[14:15], off
	v_lshl_or_b32 v8, v1, 9, v8
	v_lshl_add_u64 v[32:33], v[20:21], 0, v[6:7]
	v_lshl_add_u64 v[30:31], v[24:25], 0, v[6:7]
	ds_read_b128 v[16:19], v8
	ds_read_b128 v[8:11], v8 offset:2048
	global_load_dwordx4 v[20:23], v[32:33], off
	v_lshl_add_u64 v[12:13], v[26:27], 1, v[12:13]
	global_load_dwordx4 v[24:27], v[30:31], off
	v_lshl_add_u64 v[28:29], v[12:13], 0, v[6:7]
	global_load_dwordx4 v[12:15], v[14:15], off offset:1024
	s_nop 0
	global_load_dwordx4 v[40:43], v[28:29], off
	global_load_dwordx4 v[44:47], v[32:33], off offset:1024
	global_load_dwordx4 v[60:63], v[28:29], off offset:1024
	v_and_or_b32 v6, v0, 48, s18
	global_load_dwordx4 v[30:33], v[30:31], off offset:1024
	v_mov_b32_e32 v68, s19
	v_cmp_gt_i32_e32 vcc, s40, v6
	v_or_b32_e32 v28, 0x80, v6
	v_ashrrev_i32_e32 v29, 4, v28
	v_lshlrev_b32_e32 v35, 5, v55
	s_add_u32 s4, s10, s4
	s_addc_u32 s5, s11, s5
	s_mov_b32 s42, 0xff7fffff
	v_lshlrev_b32_e32 v55, 2, v55
	s_waitcnt vmcnt(3) lgkmcnt(1)
	v_mfma_f32_16x16x16_f16 v[64:67], v[40:41], v[16:17], 0
	v_mfma_f32_16x16x16_f16 v[36:39], v[2:3], v[16:17], 0
	v_ashrrev_i32_e32 v2, 4, v6
	v_mfma_f32_16x16x16_f16 v[48:51], v[20:21], v[16:17], 0
	v_or_b32_e32 v20, 64, v6
	v_ashrrev_i32_e32 v21, 4, v20
	v_or_b32_e32 v6, 0xc0, v6
	v_mfma_f32_16x16x16_f16 v[56:59], v[24:25], v[16:17], 0
	v_cndmask_b32_e32 v16, v68, v2, vcc
	v_ashrrev_i32_e32 v17, 31, v16
	v_lshl_add_u64 v[16:17], v[16:17], 2, s[6:7]
	v_mfma_f32_16x16x16_f16 v[2:5], v[4:5], v[18:19], v[36:39]
	v_cmp_gt_i32_e32 vcc, s40, v20
	s_nop 1
	global_load_dword v36, v[16:17], off
	v_cndmask_b32_e32 v24, v68, v21, vcc
	v_ashrrev_i32_e32 v25, 31, v24
	v_lshl_add_u64 v[16:17], v[24:25], 2, s[6:7]
	global_load_dword v37, v[16:17], off
	v_cmp_gt_i32_e32 vcc, s40, v28
	v_ashrrev_i32_e32 v38, 4, v6
	s_waitcnt lgkmcnt(0)
	v_mfma_f32_16x16x16_f16 v[2:5], v[12:13], v[8:9], v[2:5]
	v_cndmask_b32_e32 v12, v68, v29, vcc
	v_cmp_gt_i32_e32 vcc, s40, v6
	v_ashrrev_i32_e32 v13, 31, v12
	v_lshl_add_u64 v[12:13], v[12:13], 2, s[6:7]
	v_cndmask_b32_e32 v28, v68, v38, vcc
	v_ashrrev_i32_e32 v29, 31, v28
	v_mfma_f32_16x16x16_f16 v[24:27], v[26:27], v[18:19], v[56:59]
	v_lshl_add_u64 v[28:29], v[28:29], 2, s[6:7]
	s_nop 1
	global_load_dword v56, v[12:13], off
	global_load_dword v57, v[28:29], off
	v_lshl_or_b32 v6, v53, 9, v35
	v_mfma_f32_16x16x16_f16 v[20:23], v[22:23], v[18:19], v[48:51]
	v_lshl_add_u64 v[12:13], s[4:5], 0, v[6:7]
	v_mfma_f32_16x16x16_f16 v[16:19], v[42:43], v[18:19], v[64:67]
	s_waitcnt vmcnt(5)
	v_mfma_f32_16x16x16_f16 v[16:19], v[60:61], v[8:9], v[16:19]
	s_waitcnt vmcnt(4)
	v_mfma_f32_16x16x16_f16 v[24:27], v[30:31], v[8:9], v[24:27]
	v_mfma_f32_16x16x16_f16 v[28:31], v[14:15], v[10:11], v[2:5]
	;; [unrolled: 1-line block ×3, first 2 shown]
	s_waitcnt vmcnt(3)
	s_nop 0
	v_mad_i64_i32 v[2:3], s[4:5], v36, s45, 0
	v_lshl_add_u64 v[14:15], v[2:3], 1, v[12:13]
	global_load_dwordx4 v[6:9], v[14:15], off
	global_load_dwordx4 v[2:5], v[14:15], off offset:16
	v_mfma_f32_16x16x16_f16 v[14:17], v[62:63], v[10:11], v[16:19]
	s_waitcnt vmcnt(4)
	v_mad_i64_i32 v[36:37], s[4:5], v37, s45, 0
	v_lshl_add_u64 v[38:39], v[36:37], 1, v[12:13]
	v_mfma_f32_16x16x16_f16 v[20:23], v[46:47], v[10:11], v[20:23]
	v_pk_mul_f32 v[48:49], s[12:13], v[30:31] op_sel_hi:[0,1]
	s_nop 1
	v_pk_mul_f32 v[42:43], s[12:13], v[14:15] op_sel_hi:[0,1]
	v_and_b32_e32 v14, 0xc0, v0
	v_add_u32_e32 v14, s18, v14
	v_lshl_or_b32 v14, v1, 2, v14
	v_pk_mul_f32 v[36:37], s[12:13], v[16:17] op_sel_hi:[0,1]
	v_or_b32_e32 v17, 1, v14
	v_mfma_f32_16x16x16_f16 v[24:27], v[32:33], v[10:11], v[24:27]
	v_pk_mul_f32 v[10:11], s[12:13], v[28:29] op_sel_hi:[0,1]
	v_mov_b32_e32 v15, 0xff7fffff
	v_cmp_gt_i32_e64 s[4:5], s40, v14
	v_cmp_gt_i32_e64 s[34:35], s40, v17
	v_or_b32_e32 v18, 3, v14
	v_cndmask_b32_e64 v16, v15, v10, s[4:5]
	v_cndmask_b32_e64 v17, v15, v11, s[34:35]
	v_max3_f32 v16, v16, s42, v17
	v_or_b32_e32 v17, 2, v14
	v_cmp_gt_i32_e64 s[36:37], s40, v17
	v_cmp_gt_i32_e64 s[38:39], s40, v18
	v_pk_mul_f32 v[40:41], s[12:13], v[20:21] op_sel_hi:[0,1]
	v_cndmask_b32_e64 v17, v15, v48, s[36:37]
	v_cndmask_b32_e64 v18, v15, v49, s[38:39]
	v_max3_f32 v16, v16, v17, v18
	v_or_b32_e32 v17, 16, v14
	v_or_b32_e32 v18, 17, v14
	v_cmp_gt_i32_e64 s[24:25], s40, v17
	v_cmp_gt_i32_e64 s[26:27], s40, v18
	v_pk_mul_f32 v[50:51], s[12:13], v[22:23] op_sel_hi:[0,1]
	v_cndmask_b32_e64 v17, v15, v40, s[24:25]
	v_cndmask_b32_e64 v18, v15, v41, s[26:27]
	v_max3_f32 v16, v16, v17, v18
	v_or_b32_e32 v17, 18, v14
	;; [unrolled: 8-line block ×4, first 2 shown]
	v_or_b32_e32 v18, 35, v14
	v_cmp_gt_i32_e64 s[12:13], s40, v17
	v_cmp_gt_i32_e64 s[14:15], s40, v18
	global_load_dwordx4 v[30:33], v[38:39], off
	global_load_dwordx4 v[26:29], v[38:39], off offset:16
	v_cndmask_b32_e64 v17, v15, v44, s[12:13]
	v_cndmask_b32_e64 v18, v15, v45, s[14:15]
	v_max3_f32 v16, v16, v17, v18
	v_or_b32_e32 v17, 48, v14
	v_or_b32_e32 v18, 49, v14
	v_cmp_gt_i32_e64 s[8:9], s40, v17
	v_cmp_gt_i32_e64 s[10:11], s40, v18
	s_nop 0
	v_cndmask_b32_e64 v17, v15, v42, s[8:9]
	v_cndmask_b32_e64 v18, v15, v43, s[10:11]
	v_max3_f32 v16, v16, v17, v18
	v_or_b32_e32 v17, 50, v14
	v_or_b32_e32 v14, 51, v14
	v_cmp_gt_i32_e32 vcc, s40, v17
	v_cmp_gt_i32_e64 s[6:7], s40, v14
	s_nop 0
	v_cndmask_b32_e32 v17, v15, v36, vcc
	v_cndmask_b32_e64 v14, v15, v37, s[6:7]
	v_max3_f32 v16, v16, v17, v14
	v_mbcnt_lo_u32_b32 v14, -1, 0
	v_mbcnt_hi_u32_b32 v17, -1, v14
	v_and_b32_e32 v14, 64, v17
	v_add_u32_e32 v18, 64, v14
	v_xor_b32_e32 v14, 32, v17
	v_cmp_lt_i32_e64 s[40:41], v14, v18
	s_nop 1
	v_cndmask_b32_e64 v14, v17, v14, s[40:41]
	v_lshlrev_b32_e32 v58, 2, v14
	ds_bpermute_b32 v19, v58, v16
	s_waitcnt vmcnt(5)
	v_mad_i64_i32 v[14:15], s[40:41], v56, s45, 0
	v_lshl_add_u64 v[14:15], v[14:15], 1, v[12:13]
	s_waitcnt lgkmcnt(0)
	v_max_f32_e32 v19, v19, v19
	v_max_f32_e32 v16, v16, v19
	v_xor_b32_e32 v19, 16, v17
	v_cmp_lt_i32_e64 s[40:41], v19, v18
	s_nop 1
	v_cndmask_b32_e64 v17, v17, v19, s[40:41]
	v_lshlrev_b32_e32 v59, 2, v17
	ds_bpermute_b32 v17, v59, v16
	global_load_dwordx4 v[22:25], v[14:15], off
	global_load_dwordx4 v[18:21], v[14:15], off offset:16
	s_waitcnt vmcnt(6)
	v_mad_i64_i32 v[14:15], s[40:41], v57, s45, 0
	v_lshl_add_u64 v[12:13], v[14:15], 1, v[12:13]
	s_waitcnt lgkmcnt(0)
	v_max_f32_e32 v14, v17, v17
	v_max_f32_e32 v56, v16, v14
	v_sub_f32_e32 v10, v10, v56
	v_mul_f32_e32 v10, 0x3fb8aa3b, v10
	v_exp_f32_e32 v38, v10
	v_sub_f32_e32 v10, v11, v56
	v_mul_f32_e32 v10, 0x3fb8aa3b, v10
	v_exp_f32_e32 v39, v10
	global_load_dwordx4 v[14:17], v[12:13], off
	s_nop 0
	global_load_dwordx4 v[10:13], v[12:13], off offset:16
	v_sub_f32_e32 v48, v48, v56
	v_mul_f32_e32 v48, 0x3fb8aa3b, v48
	v_sub_f32_e32 v49, v49, v56
	v_exp_f32_e32 v48, v48
	v_mul_f32_e32 v49, 0x3fb8aa3b, v49
	v_sub_f32_e32 v40, v40, v56
	v_exp_f32_e32 v49, v49
	v_mul_f32_e32 v40, 0x3fb8aa3b, v40
	v_sub_f32_e32 v41, v41, v56
	v_cndmask_b32_e64 v38, 0, v38, s[4:5]
	v_exp_f32_e32 v40, v40
	v_mul_f32_e32 v41, 0x3fb8aa3b, v41
	v_sub_f32_e32 v50, v50, v56
	v_add_f32_e32 v57, 0, v38
	v_cndmask_b32_e64 v39, 0, v39, s[34:35]
	v_exp_f32_e32 v41, v41
	v_mul_f32_e32 v50, 0x3fb8aa3b, v50
	v_sub_f32_e32 v51, v51, v56
	v_add_f32_e32 v57, v57, v39
	;; [unrolled: 5-line block ×10, first 2 shown]
	v_cndmask_b32_e64 v44, 0, v44, s[12:13]
	v_exp_f32_e32 v36, v36
	v_mul_f32_e32 v37, 0x3fb8aa3b, v37
	v_add_f32_e32 v57, v57, v44
	v_cndmask_b32_e64 v45, 0, v45, s[14:15]
	v_exp_f32_e32 v37, v37
	v_add_f32_e32 v57, v57, v45
	v_cndmask_b32_e64 v42, 0, v42, s[8:9]
	v_add_f32_e32 v57, v57, v42
	v_cndmask_b32_e64 v43, 0, v43, s[10:11]
	v_add_f32_e32 v57, v57, v43
	v_cndmask_b32_e32 v36, 0, v36, vcc
	v_add_f32_e32 v57, v57, v36
	v_cndmask_b32_e64 v37, 0, v37, s[6:7]
	v_add_f32_e32 v57, v57, v37
	ds_bpermute_b32 v58, v58, v57
	v_cmp_gt_u32_e32 vcc, 16, v54
	s_waitcnt lgkmcnt(0)
	s_barrier
	v_add_f32_e32 v57, v57, v58
	ds_bpermute_b32 v58, v59, v57
	s_and_saveexec_b64 s[4:5], vcc
	s_cbranch_execz .LBB43_13
; %bb.12:
	s_waitcnt lgkmcnt(0)
	v_add_f32_e32 v54, v57, v58
	v_lshl_or_b32 v57, v53, 6, v55
	ds_write2st64_b32 v57, v56, v54 offset1:1
.LBB43_13:
	s_or_b64 exec, exec, s[4:5]
	s_load_dword s6, s[0:1], 0x94
	s_waitcnt lgkmcnt(0)
	s_barrier
	ds_read2_b32 v[56:57], v55 offset1:16
	ds_read2_b32 v[58:59], v55 offset0:32 offset1:48
	ds_read2_b32 v[60:61], v55 offset0:64 offset1:80
	s_lshl_b32 s7, s33, 3
	s_waitcnt lgkmcnt(2)
	v_max3_f32 v54, v56, s42, v57
	s_waitcnt lgkmcnt(1)
	v_max3_f32 v54, v54, v58, v59
	v_sub_f32_e32 v56, v56, v54
	v_mul_f32_e32 v56, 0x3fb8aa3b, v56
	v_exp_f32_e32 v62, v56
	v_sub_f32_e32 v56, v57, v54
	v_mul_f32_e32 v56, 0x3fb8aa3b, v56
	v_exp_f32_e32 v63, v56
	;; [unrolled: 3-line block ×3, first 2 shown]
	ds_read2_b32 v[56:57], v55 offset0:96 offset1:112
	v_sub_f32_e32 v55, v59, v54
	v_mul_f32_e32 v55, 0x3fb8aa3b, v55
	v_exp_f32_e32 v59, v55
	s_waitcnt lgkmcnt(1)
	v_fma_f32 v55, v62, v60, 0
	v_fmac_f32_e32 v55, v63, v61
	s_waitcnt lgkmcnt(0)
	v_fmac_f32_e32 v55, v58, v56
	v_fmac_f32_e32 v55, v59, v57
	v_add_f32_e32 v56, 0x358637bd, v55
	v_div_scale_f32 v57, s[4:5], v56, v56, 1.0
	v_rcp_f32_e32 v60, v57
	s_barrier
	v_fma_f32 v61, -v57, v60, 1.0
	v_fmac_f32_e32 v60, v61, v60
	v_div_scale_f32 v61, vcc, 1.0, v56, 1.0
	v_mul_f32_e32 v64, v61, v60
	v_fma_f32 v65, -v57, v64, v61
	v_fmac_f32_e32 v64, v65, v60
	v_fma_f32 v57, -v57, v64, v61
	v_div_fmas_f32 v57, v57, v60, v64
	v_cmp_eq_u32_e32 vcc, 1, v53
	v_div_fixup_f32 v56, v57, v56, 1.0
	s_nop 0
	v_cndmask_b32_e32 v57, v62, v63, vcc
	v_cmp_eq_u32_e32 vcc, 2, v53
	s_nop 1
	v_cndmask_b32_e32 v57, v57, v58, vcc
	v_cmp_eq_u32_e32 vcc, 3, v53
	s_nop 1
	v_cndmask_b32_e32 v57, v57, v59, vcc
	v_mul_f32_e32 v56, v57, v56
	v_pk_mul_f32 v[48:49], v[56:57], v[48:49] op_sel_hi:[0,1]
	v_pk_mul_f32 v[38:39], v[56:57], v[38:39] op_sel_hi:[0,1]
	v_cvt_f16_f32_e32 v57, v48
	v_cvt_f16_f32_e32 v49, v49
	;; [unrolled: 1-line block ×4, first 2 shown]
	v_cmp_gt_u32_e32 vcc, 8, v0
	v_pack_b32_f16 v49, v57, v49
	v_lshlrev_b32_e32 v57, 3, v1
	v_pack_b32_f16 v48, v38, v39
	v_pk_mul_f32 v[38:39], v[56:57], v[50:51] op_sel_hi:[0,1]
	v_pk_mul_f32 v[40:41], v[56:57], v[40:41] op_sel_hi:[0,1]
	v_cvt_f16_f32_e32 v40, v40
	v_cvt_f16_f32_e32 v41, v41
	;; [unrolled: 1-line block ×4, first 2 shown]
	v_lshlrev_b32_e32 v38, 11, v53
	v_or3_b32 v38, v38, v35, v57
	v_pack_b32_f16 v40, v40, v41
	v_pack_b32_f16 v41, v50, v39
	ds_write2st64_b64 v38, v[48:49], v[40:41] offset1:1
	v_pk_mul_f32 v[40:41], v[56:57], v[44:45] op_sel_hi:[0,1]
	v_pk_mul_f32 v[44:45], v[56:57], v[46:47] op_sel_hi:[0,1]
	v_cvt_f16_f32_e32 v39, v44
	v_cvt_f16_f32_e32 v44, v45
	;; [unrolled: 1-line block ×4, first 2 shown]
	v_pk_mul_f32 v[36:37], v[56:57], v[36:37] op_sel_hi:[0,1]
	v_pk_mul_f32 v[40:41], v[56:57], v[42:43] op_sel_hi:[0,1]
	v_cvt_f16_f32_e32 v40, v40
	v_cvt_f16_f32_e32 v41, v41
	;; [unrolled: 1-line block ×4, first 2 shown]
	v_pack_b32_f16 v36, v39, v44
	v_pack_b32_f16 v37, v45, v46
	;; [unrolled: 1-line block ×4, first 2 shown]
	ds_write2st64_b64 v38, v[36:37], v[40:41] offset0:2 offset1:3
	s_and_saveexec_b64 s[4:5], vcc
	s_cbranch_execz .LBB43_15
; %bb.14:
	v_or_b32_e32 v36, s29, v0
	v_mov_b32_e32 v37, 0
	v_mov_b32_e32 v39, s7
	v_mad_u64_u32 v[40:41], s[12:13], s2, v39, v[36:37]
	v_mov_b32_e32 v36, s28
	s_load_dwordx4 s[8:11], s[0:1], 0x58
	s_mul_i32 s3, s3, s7
	v_mad_u64_u32 v[36:37], s[12:13], v40, s6, v[36:37]
	v_add_u32_e32 v39, s3, v41
	v_mov_b32_e32 v40, v37
	v_mad_u64_u32 v[40:41], s[12:13], v39, s6, v[40:41]
	v_mov_b32_e32 v37, v40
	v_lshlrev_b64 v[36:37], 2, v[36:37]
	s_waitcnt lgkmcnt(0)
	v_lshl_add_u64 v[40:41], s[10:11], 0, v[36:37]
	v_lshl_add_u64 v[36:37], s[8:9], 0, v[36:37]
	global_store_dword v[40:41], v54, off
	global_store_dword v[36:37], v55, off
.LBB43_15:
	s_or_b64 exec, exec, s[4:5]
	v_lshl_or_b32 v35, v1, 9, v35
	s_waitcnt lgkmcnt(0)
	s_barrier
	ds_read_b128 v[40:43], v35
	ds_read_b128 v[44:47], v35 offset:16
	s_waitcnt vmcnt(7) lgkmcnt(1)
	v_mfma_f32_16x16x16_f16 v[48:51], v[6:7], v[40:41], 0
	v_cmp_gt_u32_e32 vcc, 64, v0
	s_mov_b32 s3, 0
	s_and_b64 s[4:5], vcc, s[30:31]
	v_mfma_f32_16x16x16_f16 v[6:9], v[8:9], v[42:43], v[48:51]
	s_waitcnt vmcnt(6) lgkmcnt(0)
	v_mfma_f32_16x16x16_f16 v[6:9], v[2:3], v[44:45], v[6:9]
	v_mfma_f32_16x16x16_f16 v[2:5], v[4:5], v[46:47], v[6:9]
	s_nop 5
	ds_read_b128 v[6:9], v35 offset:2048
	ds_read_b128 v[40:43], v35 offset:2064
	s_waitcnt vmcnt(5) lgkmcnt(1)
	v_mfma_f32_16x16x16_f16 v[2:5], v[30:31], v[6:7], v[2:5]
	v_mfma_f32_16x16x16_f16 v[2:5], v[32:33], v[8:9], v[2:5]
	s_waitcnt vmcnt(4) lgkmcnt(0)
	v_mfma_f32_16x16x16_f16 v[2:5], v[26:27], v[40:41], v[2:5]
	v_mfma_f32_16x16x16_f16 v[2:5], v[28:29], v[42:43], v[2:5]
	ds_read_b128 v[6:9], v35 offset:4096
	ds_read_b128 v[26:29], v35 offset:4112
	s_waitcnt vmcnt(3) lgkmcnt(1)
	v_mfma_f32_16x16x16_f16 v[2:5], v[22:23], v[6:7], v[2:5]
	v_mfma_f32_16x16x16_f16 v[2:5], v[24:25], v[8:9], v[2:5]
	s_waitcnt vmcnt(2) lgkmcnt(0)
	v_mfma_f32_16x16x16_f16 v[2:5], v[18:19], v[26:27], v[2:5]
	v_mfma_f32_16x16x16_f16 v[2:5], v[20:21], v[28:29], v[2:5]
	ds_read_b128 v[6:9], v35 offset:6144
	ds_read_b128 v[18:21], v35 offset:6160
	v_mov_b32_e32 v35, 0
	s_waitcnt vmcnt(1) lgkmcnt(0)
	v_mfma_f32_16x16x16_f16 v[2:5], v[14:15], v[6:7], v[2:5]
	s_barrier
	v_mfma_f32_16x16x16_f16 v[2:5], v[16:17], v[8:9], v[2:5]
	s_waitcnt vmcnt(0)
	v_mfma_f32_16x16x16_f16 v[2:5], v[10:11], v[18:19], v[2:5]
	v_mfma_f32_16x16x16_f16 v[2:5], v[12:13], v[20:21], v[2:5]
	s_nop 6
	v_cvt_f16_f32_e32 v2, v2
	v_cvt_f16_f32_e32 v3, v3
	;; [unrolled: 1-line block ×4, first 2 shown]
	v_pack_b32_f16 v2, v2, v3
	v_pack_b32_f16 v3, v4, v5
	ds_write_b64 v38, v[2:3]
	s_waitcnt lgkmcnt(0)
	s_barrier
	s_and_saveexec_b64 s[8:9], s[4:5]
	s_cbranch_execz .LBB43_17
; %bb.16:
	s_load_dwordx2 s[0:1], s[0:1], 0x68
	s_lshl_b32 s6, s6, 6
	s_mul_i32 s2, s7, s2
	s_mul_hi_u32 s5, s2, s6
	s_mul_i32 s4, s2, s6
	s_lshl_b64 s[4:5], s[4:5], 1
	v_lshlrev_b32_e32 v0, 10, v0
	s_waitcnt lgkmcnt(0)
	s_add_u32 s4, s0, s4
	v_and_b32_e32 v0, 0x1800, v0
	v_lshlrev_b32_e32 v2, 5, v1
	v_and_b32_e32 v3, 16, v52
	s_addc_u32 s5, s1, s5
	s_lshl_b32 s2, s28, 6
	v_or3_b32 v0, v0, v2, v3
	s_lshl_b64 s[0:1], s[2:3], 1
	ds_read_b128 v[2:5], v0
	ds_read_b128 v[6:9], v0 offset:128
	s_add_u32 s0, s4, s0
	s_addc_u32 s1, s5, s1
	v_or_b32_e32 v12, s29, v1
	v_lshl_add_u64 v[10:11], s[0:1], 0, v[34:35]
	v_mad_u64_u32 v[0:1], s[0:1], v12, s6, 0
	v_lshl_add_u64 v[0:1], v[0:1], 1, v[10:11]
	s_waitcnt lgkmcnt(1)
	global_store_dwordx4 v[0:1], v[2:5], off
	v_or_b32_e32 v0, 4, v12
	v_mad_u64_u32 v[0:1], s[0:1], v0, s6, 0
	v_lshl_add_u64 v[0:1], v[0:1], 1, v[10:11]
	s_waitcnt lgkmcnt(0)
	global_store_dwordx4 v[0:1], v[6:9], off
.LBB43_17:
	s_endpgm
	.section	.rodata,"a",@progbits
	.p2align	6, 0x0
	.amdhsa_kernel _Z39paged_attention_ll4mi_QKV_mfma16_kernelIDF16_DF16_LN4vllm18Fp8KVCacheDataTypeE0EhLi16ELi64ELi256ELb0ELi8EEvPKT_PKT0_S7_ifPKiS9_S9_iPKfiiiPfSC_PS2_PT2_iSB_SB_
		.amdhsa_group_segment_fixed_size 8192
		.amdhsa_private_segment_fixed_size 0
		.amdhsa_kernarg_size 400
		.amdhsa_user_sgpr_count 2
		.amdhsa_user_sgpr_dispatch_ptr 0
		.amdhsa_user_sgpr_queue_ptr 0
		.amdhsa_user_sgpr_kernarg_segment_ptr 1
		.amdhsa_user_sgpr_dispatch_id 0
		.amdhsa_user_sgpr_kernarg_preload_length 0
		.amdhsa_user_sgpr_kernarg_preload_offset 0
		.amdhsa_user_sgpr_private_segment_size 0
		.amdhsa_uses_dynamic_stack 0
		.amdhsa_enable_private_segment 0
		.amdhsa_system_sgpr_workgroup_id_x 1
		.amdhsa_system_sgpr_workgroup_id_y 1
		.amdhsa_system_sgpr_workgroup_id_z 1
		.amdhsa_system_sgpr_workgroup_info 0
		.amdhsa_system_vgpr_workitem_id 0
		.amdhsa_next_free_vgpr 69
		.amdhsa_next_free_sgpr 48
		.amdhsa_accum_offset 72
		.amdhsa_reserve_vcc 1
		.amdhsa_float_round_mode_32 0
		.amdhsa_float_round_mode_16_64 0
		.amdhsa_float_denorm_mode_32 3
		.amdhsa_float_denorm_mode_16_64 3
		.amdhsa_dx10_clamp 1
		.amdhsa_ieee_mode 1
		.amdhsa_fp16_overflow 0
		.amdhsa_tg_split 0
		.amdhsa_exception_fp_ieee_invalid_op 0
		.amdhsa_exception_fp_denorm_src 0
		.amdhsa_exception_fp_ieee_div_zero 0
		.amdhsa_exception_fp_ieee_overflow 0
		.amdhsa_exception_fp_ieee_underflow 0
		.amdhsa_exception_fp_ieee_inexact 0
		.amdhsa_exception_int_div_zero 0
	.end_amdhsa_kernel
	.section	.text._Z39paged_attention_ll4mi_QKV_mfma16_kernelIDF16_DF16_LN4vllm18Fp8KVCacheDataTypeE0EhLi16ELi64ELi256ELb0ELi8EEvPKT_PKT0_S7_ifPKiS9_S9_iPKfiiiPfSC_PS2_PT2_iSB_SB_,"axG",@progbits,_Z39paged_attention_ll4mi_QKV_mfma16_kernelIDF16_DF16_LN4vllm18Fp8KVCacheDataTypeE0EhLi16ELi64ELi256ELb0ELi8EEvPKT_PKT0_S7_ifPKiS9_S9_iPKfiiiPfSC_PS2_PT2_iSB_SB_,comdat
.Lfunc_end43:
	.size	_Z39paged_attention_ll4mi_QKV_mfma16_kernelIDF16_DF16_LN4vllm18Fp8KVCacheDataTypeE0EhLi16ELi64ELi256ELb0ELi8EEvPKT_PKT0_S7_ifPKiS9_S9_iPKfiiiPfSC_PS2_PT2_iSB_SB_, .Lfunc_end43-_Z39paged_attention_ll4mi_QKV_mfma16_kernelIDF16_DF16_LN4vllm18Fp8KVCacheDataTypeE0EhLi16ELi64ELi256ELb0ELi8EEvPKT_PKT0_S7_ifPKiS9_S9_iPKfiiiPfSC_PS2_PT2_iSB_SB_
                                        ; -- End function
	.section	.AMDGPU.csdata,"",@progbits
; Kernel info:
; codeLenInByte = 3732
; NumSgprs: 54
; NumVgprs: 69
; NumAgprs: 0
; TotalNumVgprs: 69
; ScratchSize: 0
; MemoryBound: 0
; FloatMode: 240
; IeeeMode: 1
; LDSByteSize: 8192 bytes/workgroup (compile time only)
; SGPRBlocks: 6
; VGPRBlocks: 8
; NumSGPRsForWavesPerEU: 54
; NumVGPRsForWavesPerEU: 69
; AccumOffset: 72
; Occupancy: 7
; WaveLimiterHint : 1
; COMPUTE_PGM_RSRC2:SCRATCH_EN: 0
; COMPUTE_PGM_RSRC2:USER_SGPR: 2
; COMPUTE_PGM_RSRC2:TRAP_HANDLER: 0
; COMPUTE_PGM_RSRC2:TGID_X_EN: 1
; COMPUTE_PGM_RSRC2:TGID_Y_EN: 1
; COMPUTE_PGM_RSRC2:TGID_Z_EN: 1
; COMPUTE_PGM_RSRC2:TIDIG_COMP_CNT: 0
; COMPUTE_PGM_RSRC3_GFX90A:ACCUM_OFFSET: 17
; COMPUTE_PGM_RSRC3_GFX90A:TG_SPLIT: 0
	.section	.text._Z39paged_attention_ll4mi_QKV_mfma16_kernelIDF16_DF16_LN4vllm18Fp8KVCacheDataTypeE0EhLi16ELi64ELi256ELb0ELi9EEvPKT_PKT0_S7_ifPKiS9_S9_iPKfiiiPfSC_PS2_PT2_iSB_SB_,"axG",@progbits,_Z39paged_attention_ll4mi_QKV_mfma16_kernelIDF16_DF16_LN4vllm18Fp8KVCacheDataTypeE0EhLi16ELi64ELi256ELb0ELi9EEvPKT_PKT0_S7_ifPKiS9_S9_iPKfiiiPfSC_PS2_PT2_iSB_SB_,comdat
	.protected	_Z39paged_attention_ll4mi_QKV_mfma16_kernelIDF16_DF16_LN4vllm18Fp8KVCacheDataTypeE0EhLi16ELi64ELi256ELb0ELi9EEvPKT_PKT0_S7_ifPKiS9_S9_iPKfiiiPfSC_PS2_PT2_iSB_SB_ ; -- Begin function _Z39paged_attention_ll4mi_QKV_mfma16_kernelIDF16_DF16_LN4vllm18Fp8KVCacheDataTypeE0EhLi16ELi64ELi256ELb0ELi9EEvPKT_PKT0_S7_ifPKiS9_S9_iPKfiiiPfSC_PS2_PT2_iSB_SB_
	.globl	_Z39paged_attention_ll4mi_QKV_mfma16_kernelIDF16_DF16_LN4vllm18Fp8KVCacheDataTypeE0EhLi16ELi64ELi256ELb0ELi9EEvPKT_PKT0_S7_ifPKiS9_S9_iPKfiiiPfSC_PS2_PT2_iSB_SB_
	.p2align	8
	.type	_Z39paged_attention_ll4mi_QKV_mfma16_kernelIDF16_DF16_LN4vllm18Fp8KVCacheDataTypeE0EhLi16ELi64ELi256ELb0ELi9EEvPKT_PKT0_S7_ifPKiS9_S9_iPKfiiiPfSC_PS2_PT2_iSB_SB_,@function
_Z39paged_attention_ll4mi_QKV_mfma16_kernelIDF16_DF16_LN4vllm18Fp8KVCacheDataTypeE0EhLi16ELi64ELi256ELb0ELi9EEvPKT_PKT0_S7_ifPKiS9_S9_iPKfiiiPfSC_PS2_PT2_iSB_SB_: ; @_Z39paged_attention_ll4mi_QKV_mfma16_kernelIDF16_DF16_LN4vllm18Fp8KVCacheDataTypeE0EhLi16ELi64ELi256ELb0ELi9EEvPKT_PKT0_S7_ifPKiS9_S9_iPKfiiiPfSC_PS2_PT2_iSB_SB_
; %bb.0:
	s_load_dwordx2 s[12:13], s[0:1], 0x30
	s_mov_b32 s28, s3
	s_mov_b64 s[6:7], 0
	s_waitcnt lgkmcnt(0)
	s_cmp_lg_u64 s[12:13], 0
	s_cselect_b64 s[14:15], -1, 0
	s_and_b64 vcc, exec, s[14:15]
	s_cbranch_vccz .LBB44_7
; %bb.1:
	s_add_i32 s8, s2, 1
	s_mov_b32 s9, 0
	s_lshl_b64 s[10:11], s[8:9], 2
	s_add_u32 s10, s12, s10
	s_mov_b32 s3, s9
	s_addc_u32 s11, s13, s11
	s_lshl_b64 s[8:9], s[2:3], 2
	s_add_u32 s8, s12, s8
	s_addc_u32 s9, s13, s9
	s_load_dword s5, s[10:11], 0x0
	s_load_dword s16, s[8:9], 0x0
	s_waitcnt lgkmcnt(0)
	s_sub_i32 s5, s5, s16
	s_cmp_eq_u32 s5, 1
	s_cselect_b64 s[8:9], -1, 0
	s_andn2_b64 vcc, exec, s[6:7]
	s_cbranch_vccnz .LBB44_3
.LBB44_2:
	s_mov_b32 s3, 0
	s_mov_b64 s[8:9], -1
.LBB44_3:
	s_andn2_b64 vcc, exec, s[8:9]
	s_cbranch_vccnz .LBB44_18
; %bb.4:
	s_load_dwordx2 s[6:7], s[0:1], 0x28
	s_lshl_b64 s[16:17], s[2:3], 2
	s_waitcnt lgkmcnt(0)
	s_add_u32 s6, s6, s16
	s_addc_u32 s7, s7, s17
	s_load_dword s33, s[6:7], 0x0
	s_lshl_b32 s18, s28, 8
	s_waitcnt lgkmcnt(0)
	s_cmp_ge_i32 s18, s33
	s_cbranch_scc1 .LBB44_18
; %bb.5:
	s_load_dwordx2 s[6:7], s[0:1], 0x20
	s_load_dword s5, s[0:1], 0x38
	s_add_i32 s8, s33, 15
	s_ashr_i32 s9, s8, 31
	v_and_b32_e32 v1, 0xcf, v0
	s_lshr_b32 s9, s9, 28
	v_add_u32_e32 v1, s18, v1
	s_add_i32 s8, s8, s9
	v_ashrrev_i32_e32 v2, 31, v1
	s_ashr_i32 s19, s8, 4
	v_lshrrev_b32_e32 v6, 28, v2
	s_add_i32 s19, s19, -1
	s_waitcnt lgkmcnt(0)
	s_mul_i32 s8, s2, s5
	s_mov_b32 s9, 0
	v_add_u32_e32 v2, v1, v6
	s_lshl_b64 s[8:9], s[8:9], 2
	v_ashrrev_i32_e32 v2, 4, v2
	v_mov_b32_e32 v7, s19
	v_cmp_gt_i32_e32 vcc, s33, v1
	s_add_u32 s6, s6, s8
	s_addc_u32 s7, s7, s9
	v_cndmask_b32_e32 v2, v7, v2, vcc
	v_ashrrev_i32_e32 v3, 31, v2
	v_lshl_add_u64 v[4:5], v[2:3], 2, s[6:7]
	v_or_b32_e32 v2, 16, v1
	v_add_u32_e32 v3, v2, v6
	v_ashrrev_i32_e32 v3, 4, v3
	v_cmp_gt_i32_e32 vcc, s33, v2
	s_load_dwordx4 s[8:11], s[0:1], 0x8
	s_nop 0
	v_cndmask_b32_e32 v2, v7, v3, vcc
	v_ashrrev_i32_e32 v3, 31, v2
	v_lshl_add_u64 v[8:9], v[2:3], 2, s[6:7]
	v_or_b32_e32 v2, 32, v1
	v_add_u32_e32 v3, v2, v6
	v_ashrrev_i32_e32 v3, 4, v3
	v_cmp_gt_i32_e32 vcc, s33, v2
	v_or_b32_e32 v1, 48, v1
	s_nop 0
	v_cndmask_b32_e32 v2, v7, v3, vcc
	v_ashrrev_i32_e32 v3, 31, v2
	v_lshl_add_u64 v[12:13], v[2:3], 2, s[6:7]
	v_add_u32_e32 v2, v1, v6
	v_ashrrev_i32_e32 v2, 4, v2
	v_cmp_gt_i32_e32 vcc, s33, v1
	s_nop 1
	v_cndmask_b32_e32 v2, v7, v2, vcc
	v_ashrrev_i32_e32 v3, 31, v2
	v_lshl_add_u64 v[14:15], v[2:3], 2, s[6:7]
	global_load_dword v2, v[4:5], off
	global_load_dword v6, v[8:9], off
	;; [unrolled: 1-line block ×4, first 2 shown]
	s_andn2_b64 vcc, exec, s[14:15]
	s_cbranch_vccnz .LBB44_8
; %bb.6:
	s_add_u32 s12, s12, s16
	s_addc_u32 s13, s13, s17
	s_load_dword s5, s[12:13], 0x0
	s_branch .LBB44_9
.LBB44_7:
	s_mov_b64 s[8:9], 0
	s_branch .LBB44_2
.LBB44_8:
	s_mov_b32 s5, s2
.LBB44_9:
	s_load_dwordx4 s[44:47], s[0:1], 0x48
	v_lshrrev_b32_e32 v37, 6, v0
	v_bfe_u32 v54, v0, 4, 2
	v_lshl_or_b32 v1, v37, 2, v54
	v_and_b32_e32 v36, 15, v0
	v_lshlrev_b32_e32 v3, 3, v36
	v_cmp_gt_u32_e32 vcc, 9, v1
	v_cmp_gt_u32_e64 s[30:31], 8, v36
	v_and_b32_e32 v55, 63, v0
	s_mul_i32 s42, s4, 9
	s_and_b64 s[14:15], s[30:31], vcc
	v_lshlrev_b32_e32 v34, 1, v3
	s_and_saveexec_b64 s[12:13], s[14:15]
	s_cbranch_execz .LBB44_11
; %bb.10:
	s_load_dwordx2 s[14:15], s[0:1], 0x0
	s_waitcnt lgkmcnt(0)
	s_ashr_i32 s16, s44, 31
	s_mul_hi_u32 s17, s5, s44
	s_mul_i32 s16, s5, s16
	s_add_i32 s17, s17, s16
	s_mul_i32 s16, s5, s44
	s_lshl_b64 s[16:17], s[16:17], 1
	s_add_u32 s14, s14, s16
	v_add_lshl_u32 v4, v1, s42, 6
	s_addc_u32 s15, s15, s17
	v_ashrrev_i32_e32 v5, 31, v4
	v_lshl_add_u64 v[4:5], v[4:5], 1, s[14:15]
	v_mov_b32_e32 v35, 0
	v_lshl_add_u64 v[4:5], v[4:5], 0, v[34:35]
	global_load_dwordx4 v[12:15], v[4:5], off
	v_and_b32_e32 v3, 3, v0
	v_lshlrev_b32_e32 v4, 9, v36
	v_lshlrev_b32_e32 v1, 5, v1
	;; [unrolled: 1-line block ×3, first 2 shown]
	v_and_b32_e32 v4, 0x1800, v4
	v_or3_b32 v1, v4, v3, v1
	s_waitcnt vmcnt(0)
	ds_write_b128 v1, v[12:15]
.LBB44_11:
	s_or_b64 exec, exec, s[12:13]
	s_waitcnt lgkmcnt(0)
	s_mul_i32 s4, s4, s46
	s_mov_b32 s5, 0
	s_lshl_b64 s[4:5], s[4:5], 1
	s_add_u32 s8, s8, s4
	v_lshlrev_b32_e32 v1, 4, v0
	s_addc_u32 s9, s9, s5
	v_and_b32_e32 v30, 0xf0, v1
	v_mov_b32_e32 v31, 0
	v_lshl_add_u64 v[18:19], s[8:9], 0, v[30:31]
	s_waitcnt vmcnt(3)
	v_mad_i64_i32 v[2:3], s[8:9], v2, s45, 0
	v_lshl_add_u64 v[2:3], v[2:3], 1, v[18:19]
	v_and_b32_e32 v30, 0x300, v1
	v_lshl_add_u64 v[14:15], v[2:3], 0, v[30:31]
	s_load_dword s29, s[0:1], 0x98
	s_load_dword s12, s[0:1], 0x1c
	s_waitcnt lgkmcnt(0)
	s_barrier
	global_load_dwordx4 v[2:5], v[14:15], off
	global_load_dwordx4 v[26:29], v[14:15], off offset:1024
	s_waitcnt vmcnt(3)
	v_mad_i64_i32 v[10:11], s[8:9], v10, s45, 0
	v_lshl_add_u64 v[10:11], v[10:11], 1, v[18:19]
	v_lshl_add_u64 v[38:39], v[10:11], 0, v[30:31]
	global_load_dwordx4 v[10:13], v[38:39], off
	global_load_dwordx4 v[56:59], v[38:39], off offset:1024
	v_mad_i64_i32 v[6:7], s[8:9], v6, s45, 0
	v_lshl_add_u64 v[6:7], v[6:7], 1, v[18:19]
	v_lshl_add_u64 v[32:33], v[6:7], 0, v[30:31]
	global_load_dwordx4 v[6:9], v[32:33], off
	global_load_dwordx4 v[46:49], v[32:33], off offset:1024
	s_waitcnt vmcnt(6)
	v_mad_i64_i32 v[16:17], s[8:9], v16, s45, 0
	v_lshl_add_u64 v[16:17], v[16:17], 1, v[18:19]
	v_lshl_add_u64 v[40:41], v[16:17], 0, v[30:31]
	global_load_dwordx4 v[18:21], v[40:41], off
	v_add_u32_e32 v16, -9, v36
	v_cmp_gt_u32_e32 vcc, 9, v36
	global_load_dwordx4 v[38:41], v[40:41], off offset:1024
	v_and_or_b32 v30, v0, 48, s18
	v_cndmask_b32_e32 v16, v16, v36, vcc
	v_lshlrev_b32_e32 v16, 5, v16
	v_lshl_add_u32 v16, v54, 9, v16
	ds_read_b128 v[22:25], v16
	v_mov_b32_e32 v68, s19
	v_cmp_gt_i32_e32 vcc, s33, v30
	v_or_b32_e32 v32, 64, v30
	ds_read_b128 v[14:17], v16 offset:2048
	v_lshlrev_b32_e32 v35, 5, v36
	s_add_u32 s4, s10, s4
	s_addc_u32 s5, s11, s5
	s_mov_b32 s43, 0xff7fffff
	s_waitcnt vmcnt(7) lgkmcnt(1)
	v_mfma_f32_16x16x16_f16 v[42:45], v[2:3], v[22:23], 0
	v_ashrrev_i32_e32 v2, 4, v30
	v_cndmask_b32_e32 v2, v68, v2, vcc
	v_ashrrev_i32_e32 v3, 31, v2
	s_waitcnt vmcnt(5)
	v_mfma_f32_16x16x16_f16 v[60:63], v[10:11], v[22:23], 0
	v_lshl_add_u64 v[10:11], v[2:3], 2, s[6:7]
	v_cmp_gt_i32_e32 vcc, s33, v32
	v_mfma_f32_16x16x16_f16 v[2:5], v[4:5], v[24:25], v[42:45]
	s_nop 2
	global_load_dword v42, v[10:11], off
	s_waitcnt vmcnt(4)
	v_mfma_f32_16x16x16_f16 v[50:53], v[6:7], v[22:23], 0
	v_ashrrev_i32_e32 v6, 4, v32
	v_cndmask_b32_e32 v6, v68, v6, vcc
	v_ashrrev_i32_e32 v7, 31, v6
	v_lshl_add_u64 v[10:11], v[6:7], 2, s[6:7]
	global_load_dword v43, v[10:11], off
	s_waitcnt vmcnt(3)
	v_mfma_f32_16x16x16_f16 v[64:67], v[18:19], v[22:23], 0
	v_or_b32_e32 v22, 0x80, v30
	v_or_b32_e32 v23, 0xc0, v30
	v_ashrrev_i32_e32 v30, 4, v22
	v_cmp_gt_i32_e32 vcc, s33, v22
	v_ashrrev_i32_e32 v32, 4, v23
	v_mfma_f32_16x16x16_f16 v[6:9], v[8:9], v[24:25], v[50:53]
	v_cndmask_b32_e32 v22, v68, v30, vcc
	v_cmp_gt_i32_e32 vcc, s33, v23
	v_ashrrev_i32_e32 v23, 31, v22
	v_mfma_f32_16x16x16_f16 v[10:13], v[12:13], v[24:25], v[60:63]
	v_lshl_or_b32 v30, v37, 9, v35
	v_mfma_f32_16x16x16_f16 v[18:21], v[20:21], v[24:25], v[64:67]
	v_cndmask_b32_e32 v24, v68, v32, vcc
	v_ashrrev_i32_e32 v25, 31, v24
	v_lshl_add_u64 v[32:33], v[24:25], 2, s[6:7]
	s_waitcnt lgkmcnt(0)
	v_mfma_f32_16x16x16_f16 v[2:5], v[26:27], v[14:15], v[2:5]
	v_lshl_add_u64 v[26:27], v[22:23], 2, s[6:7]
	global_load_dword v60, v[26:27], off
	global_load_dword v61, v[32:33], off
	v_mfma_f32_16x16x16_f16 v[6:9], v[46:47], v[14:15], v[6:9]
	v_mfma_f32_16x16x16_f16 v[22:25], v[56:57], v[14:15], v[10:13]
	s_waitcnt vmcnt(4)
	v_mfma_f32_16x16x16_f16 v[18:21], v[38:39], v[14:15], v[18:21]
	s_nop 0
	v_lshl_add_u64 v[10:11], s[4:5], 0, v[30:31]
	s_waitcnt vmcnt(3)
	v_mad_i64_i32 v[26:27], s[4:5], v42, s45, 0
	v_mfma_f32_16x16x16_f16 v[12:15], v[28:29], v[16:17], v[2:5]
	v_lshl_add_u64 v[30:31], v[26:27], 1, v[10:11]
	s_waitcnt vmcnt(2)
	v_mad_i64_i32 v[32:33], s[4:5], v43, s45, 0
	v_mfma_f32_16x16x16_f16 v[26:29], v[48:49], v[16:17], v[6:9]
	s_nop 2
	v_pk_mul_f32 v[50:51], s[12:13], v[14:15] op_sel_hi:[0,1]
	v_pk_mul_f32 v[12:13], s[12:13], v[12:13] op_sel_hi:[0,1]
	v_lshl_add_u64 v[56:57], v[32:33], 1, v[10:11]
	v_mfma_f32_16x16x16_f16 v[22:25], v[58:59], v[16:17], v[22:25]
	global_load_dwordx4 v[6:9], v[30:31], off
	global_load_dwordx4 v[2:5], v[30:31], off offset:16
	v_pk_mul_f32 v[42:43], s[12:13], v[26:27] op_sel_hi:[0,1]
	v_pk_mul_f32 v[52:53], s[12:13], v[28:29] op_sel_hi:[0,1]
	v_mfma_f32_16x16x16_f16 v[14:17], v[40:41], v[16:17], v[18:21]
	s_nop 1
	v_pk_mul_f32 v[48:49], s[12:13], v[22:23] op_sel_hi:[0,1]
	v_pk_mul_f32 v[46:47], s[12:13], v[24:25] op_sel_hi:[0,1]
	global_load_dwordx4 v[30:33], v[56:57], off
	global_load_dwordx4 v[26:29], v[56:57], off offset:16
	s_nop 0
	v_pk_mul_f32 v[44:45], s[12:13], v[14:15] op_sel_hi:[0,1]
	v_and_b32_e32 v14, 0xc0, v0
	v_add_u32_e32 v14, s18, v14
	v_lshl_or_b32 v14, v54, 2, v14
	v_pk_mul_f32 v[38:39], s[12:13], v[16:17] op_sel_hi:[0,1]
	v_or_b32_e32 v17, 1, v14
	v_mov_b32_e32 v15, 0xff7fffff
	v_cmp_gt_i32_e64 s[4:5], s33, v14
	v_cmp_gt_i32_e64 s[34:35], s33, v17
	v_or_b32_e32 v18, 3, v14
	v_cndmask_b32_e64 v16, v15, v12, s[4:5]
	v_cndmask_b32_e64 v17, v15, v13, s[34:35]
	v_max3_f32 v16, v16, s43, v17
	v_or_b32_e32 v17, 2, v14
	v_cmp_gt_i32_e64 s[36:37], s33, v17
	v_cmp_gt_i32_e64 s[38:39], s33, v18
	s_nop 0
	v_cndmask_b32_e64 v17, v15, v50, s[36:37]
	v_cndmask_b32_e64 v18, v15, v51, s[38:39]
	v_max3_f32 v16, v16, v17, v18
	v_or_b32_e32 v17, 16, v14
	v_or_b32_e32 v18, 17, v14
	v_cmp_gt_i32_e64 s[24:25], s33, v17
	v_cmp_gt_i32_e64 s[26:27], s33, v18
	s_nop 0
	v_cndmask_b32_e64 v17, v15, v42, s[24:25]
	v_cndmask_b32_e64 v18, v15, v43, s[26:27]
	v_max3_f32 v16, v16, v17, v18
	v_or_b32_e32 v17, 18, v14
	v_or_b32_e32 v18, 19, v14
	v_cmp_gt_i32_e64 s[20:21], s33, v17
	v_cmp_gt_i32_e64 s[22:23], s33, v18
	s_nop 0
	v_cndmask_b32_e64 v17, v15, v52, s[20:21]
	v_cndmask_b32_e64 v18, v15, v53, s[22:23]
	v_max3_f32 v16, v16, v17, v18
	v_or_b32_e32 v17, 32, v14
	v_or_b32_e32 v18, 33, v14
	v_cmp_gt_i32_e64 s[16:17], s33, v17
	v_cmp_gt_i32_e64 s[18:19], s33, v18
	s_nop 0
	v_cndmask_b32_e64 v17, v15, v48, s[16:17]
	v_cndmask_b32_e64 v18, v15, v49, s[18:19]
	v_max3_f32 v16, v16, v17, v18
	v_or_b32_e32 v17, 34, v14
	v_or_b32_e32 v18, 35, v14
	v_cmp_gt_i32_e64 s[12:13], s33, v17
	v_cmp_gt_i32_e64 s[14:15], s33, v18
	s_nop 0
	v_cndmask_b32_e64 v17, v15, v46, s[12:13]
	v_cndmask_b32_e64 v18, v15, v47, s[14:15]
	v_max3_f32 v16, v16, v17, v18
	v_or_b32_e32 v17, 48, v14
	v_or_b32_e32 v18, 49, v14
	v_cmp_gt_i32_e64 s[8:9], s33, v17
	v_cmp_gt_i32_e64 s[10:11], s33, v18
	s_nop 0
	v_cndmask_b32_e64 v17, v15, v44, s[8:9]
	v_cndmask_b32_e64 v18, v15, v45, s[10:11]
	v_max3_f32 v16, v16, v17, v18
	v_or_b32_e32 v17, 50, v14
	v_or_b32_e32 v14, 51, v14
	v_cmp_gt_i32_e32 vcc, s33, v17
	v_cmp_gt_i32_e64 s[6:7], s33, v14
	s_nop 0
	v_cndmask_b32_e32 v17, v15, v38, vcc
	v_cndmask_b32_e64 v14, v15, v39, s[6:7]
	v_max3_f32 v16, v16, v17, v14
	v_mbcnt_lo_u32_b32 v14, -1, 0
	v_mbcnt_hi_u32_b32 v17, -1, v14
	v_and_b32_e32 v14, 64, v17
	v_add_u32_e32 v18, 64, v14
	v_xor_b32_e32 v14, 32, v17
	v_cmp_lt_i32_e64 s[40:41], v14, v18
	s_nop 1
	v_cndmask_b32_e64 v14, v17, v14, s[40:41]
	v_lshlrev_b32_e32 v58, 2, v14
	ds_bpermute_b32 v19, v58, v16
	s_waitcnt vmcnt(5)
	v_mad_i64_i32 v[14:15], s[40:41], v60, s45, 0
	v_lshl_add_u64 v[14:15], v[14:15], 1, v[10:11]
	s_waitcnt lgkmcnt(0)
	v_max_f32_e32 v19, v19, v19
	v_max_f32_e32 v16, v16, v19
	v_xor_b32_e32 v19, 16, v17
	v_cmp_lt_i32_e64 s[40:41], v19, v18
	s_nop 1
	v_cndmask_b32_e64 v17, v17, v19, s[40:41]
	v_lshlrev_b32_e32 v57, 2, v17
	ds_bpermute_b32 v17, v57, v16
	global_load_dwordx4 v[22:25], v[14:15], off
	global_load_dwordx4 v[18:21], v[14:15], off offset:16
	s_waitcnt vmcnt(6)
	v_mad_i64_i32 v[14:15], s[40:41], v61, s45, 0
	v_lshl_add_u64 v[10:11], v[14:15], 1, v[10:11]
	s_waitcnt lgkmcnt(0)
	v_max_f32_e32 v14, v17, v17
	v_max_f32_e32 v56, v16, v14
	v_sub_f32_e32 v12, v12, v56
	v_mul_f32_e32 v12, 0x3fb8aa3b, v12
	v_exp_f32_e32 v40, v12
	v_sub_f32_e32 v12, v13, v56
	v_mul_f32_e32 v12, 0x3fb8aa3b, v12
	v_exp_f32_e32 v41, v12
	global_load_dwordx4 v[14:17], v[10:11], off
	s_nop 0
	global_load_dwordx4 v[10:13], v[10:11], off offset:16
	v_sub_f32_e32 v50, v50, v56
	v_mul_f32_e32 v50, 0x3fb8aa3b, v50
	v_sub_f32_e32 v51, v51, v56
	v_exp_f32_e32 v50, v50
	v_mul_f32_e32 v51, 0x3fb8aa3b, v51
	v_sub_f32_e32 v42, v42, v56
	v_exp_f32_e32 v51, v51
	v_mul_f32_e32 v42, 0x3fb8aa3b, v42
	v_sub_f32_e32 v43, v43, v56
	v_cndmask_b32_e64 v40, 0, v40, s[4:5]
	v_exp_f32_e32 v42, v42
	v_mul_f32_e32 v43, 0x3fb8aa3b, v43
	v_sub_f32_e32 v52, v52, v56
	v_add_f32_e32 v59, 0, v40
	v_cndmask_b32_e64 v41, 0, v41, s[34:35]
	v_exp_f32_e32 v43, v43
	v_mul_f32_e32 v52, 0x3fb8aa3b, v52
	v_sub_f32_e32 v53, v53, v56
	v_add_f32_e32 v59, v59, v41
	;; [unrolled: 5-line block ×10, first 2 shown]
	v_cndmask_b32_e64 v46, 0, v46, s[12:13]
	v_exp_f32_e32 v38, v38
	v_mul_f32_e32 v39, 0x3fb8aa3b, v39
	v_add_f32_e32 v59, v59, v46
	v_cndmask_b32_e64 v47, 0, v47, s[14:15]
	v_exp_f32_e32 v39, v39
	v_add_f32_e32 v59, v59, v47
	v_cndmask_b32_e64 v44, 0, v44, s[8:9]
	v_add_f32_e32 v59, v59, v44
	v_cndmask_b32_e64 v45, 0, v45, s[10:11]
	v_add_f32_e32 v59, v59, v45
	v_cndmask_b32_e32 v38, 0, v38, vcc
	v_add_f32_e32 v59, v59, v38
	v_cndmask_b32_e64 v39, 0, v39, s[6:7]
	v_add_f32_e32 v59, v59, v39
	ds_bpermute_b32 v58, v58, v59
	v_cmp_gt_u32_e64 s[6:7], 16, v55
	s_waitcnt lgkmcnt(0)
	s_barrier
	v_add_f32_e32 v58, v59, v58
	ds_bpermute_b32 v59, v57, v58
	v_lshlrev_b32_e32 v57, 2, v36
	s_and_saveexec_b64 s[4:5], s[6:7]
	s_cbranch_execz .LBB44_13
; %bb.12:
	s_waitcnt lgkmcnt(0)
	v_add_f32_e32 v55, v58, v59
	v_lshl_or_b32 v58, v37, 6, v57
	ds_write2st64_b32 v58, v56, v55 offset1:1
.LBB44_13:
	s_or_b64 exec, exec, s[4:5]
	s_load_dword s8, s[0:1], 0x94
	s_waitcnt lgkmcnt(0)
	s_barrier
	ds_read2_b32 v[58:59], v57 offset1:16
	ds_read2_b32 v[60:61], v57 offset0:32 offset1:48
	ds_read2_b32 v[62:63], v57 offset0:64 offset1:80
	s_mul_i32 s9, s29, 9
	s_waitcnt lgkmcnt(2)
	v_max3_f32 v55, v58, s43, v59
	s_waitcnt lgkmcnt(1)
	v_max3_f32 v55, v55, v60, v61
	v_sub_f32_e32 v56, v58, v55
	v_mul_f32_e32 v56, 0x3fb8aa3b, v56
	v_exp_f32_e32 v64, v56
	v_sub_f32_e32 v56, v59, v55
	v_mul_f32_e32 v56, 0x3fb8aa3b, v56
	v_exp_f32_e32 v65, v56
	;; [unrolled: 3-line block ×3, first 2 shown]
	ds_read2_b32 v[58:59], v57 offset0:96 offset1:112
	v_sub_f32_e32 v56, v61, v55
	v_mul_f32_e32 v56, 0x3fb8aa3b, v56
	v_exp_f32_e32 v57, v56
	s_waitcnt lgkmcnt(1)
	v_fma_f32 v56, v64, v62, 0
	v_fmac_f32_e32 v56, v65, v63
	s_waitcnt lgkmcnt(0)
	v_fmac_f32_e32 v56, v60, v58
	v_fmac_f32_e32 v56, v57, v59
	v_add_f32_e32 v58, 0x358637bd, v56
	v_div_scale_f32 v59, s[4:5], v58, v58, 1.0
	v_rcp_f32_e32 v61, v59
	s_barrier
	v_fma_f32 v62, -v59, v61, 1.0
	v_fmac_f32_e32 v61, v62, v61
	v_div_scale_f32 v62, vcc, 1.0, v58, 1.0
	v_mul_f32_e32 v63, v62, v61
	v_fma_f32 v66, -v59, v63, v62
	v_fmac_f32_e32 v63, v66, v61
	v_fma_f32 v59, -v59, v63, v62
	v_div_fmas_f32 v59, v59, v61, v63
	v_cmp_eq_u32_e32 vcc, 1, v37
	v_div_fixup_f32 v58, v59, v58, 1.0
	s_nop 0
	v_cndmask_b32_e32 v59, v64, v65, vcc
	v_cmp_eq_u32_e32 vcc, 2, v37
	s_nop 1
	v_cndmask_b32_e32 v59, v59, v60, vcc
	v_cmp_eq_u32_e32 vcc, 3, v37
	v_lshlrev_b32_e32 v37, 11, v37
	s_nop 0
	v_cndmask_b32_e32 v57, v59, v57, vcc
	v_mul_f32_e32 v58, v57, v58
	v_pk_mul_f32 v[40:41], v[58:59], v[40:41] op_sel_hi:[0,1]
	v_cvt_f16_f32_e32 v40, v40
	v_cvt_f16_f32_e32 v41, v41
	v_pk_mul_f32 v[50:51], v[58:59], v[50:51] op_sel_hi:[0,1]
	v_cvt_f16_f32_e32 v57, v50
	v_cvt_f16_f32_e32 v51, v51
	v_pack_b32_f16 v50, v40, v41
	v_pk_mul_f32 v[40:41], v[58:59], v[52:53] op_sel_hi:[0,1]
	v_pk_mul_f32 v[42:43], v[58:59], v[42:43] op_sel_hi:[0,1]
	v_cvt_f16_f32_e32 v42, v42
	v_cvt_f16_f32_e32 v43, v43
	;; [unrolled: 1-line block ×4, first 2 shown]
	v_pack_b32_f16 v51, v57, v51
	v_lshlrev_b32_e32 v57, 3, v54
	v_or3_b32 v40, v37, v35, v57
	v_pack_b32_f16 v42, v42, v43
	v_pack_b32_f16 v43, v52, v41
	ds_write2st64_b64 v40, v[50:51], v[42:43] offset1:1
	v_pk_mul_f32 v[42:43], v[58:59], v[46:47] op_sel_hi:[0,1]
	v_pk_mul_f32 v[46:47], v[58:59], v[48:49] op_sel_hi:[0,1]
	v_cvt_f16_f32_e32 v37, v46
	v_cvt_f16_f32_e32 v41, v47
	v_cvt_f16_f32_e32 v46, v42
	v_cvt_f16_f32_e32 v47, v43
	v_pk_mul_f32 v[38:39], v[58:59], v[38:39] op_sel_hi:[0,1]
	v_pk_mul_f32 v[42:43], v[58:59], v[44:45] op_sel_hi:[0,1]
	v_cvt_f16_f32_e32 v42, v42
	v_cvt_f16_f32_e32 v43, v43
	;; [unrolled: 1-line block ×4, first 2 shown]
	v_pack_b32_f16 v38, v37, v41
	v_pack_b32_f16 v39, v46, v47
	;; [unrolled: 1-line block ×4, first 2 shown]
	v_cmp_gt_u32_e32 vcc, 9, v0
	ds_write2st64_b64 v40, v[38:39], v[42:43] offset0:2 offset1:3
	s_and_saveexec_b64 s[4:5], vcc
	s_cbranch_execz .LBB44_15
; %bb.14:
	s_mov_b32 s43, 0
	v_mov_b32_e32 v37, 0
	v_lshl_add_u64 v[38:39], s[42:43], 0, v[36:37]
	v_mov_b32_e32 v36, s9
	v_mad_u64_u32 v[38:39], s[10:11], s2, v36, v[38:39]
	v_mov_b32_e32 v36, s28
	s_load_dwordx4 s[12:15], s[0:1], 0x58
	s_mul_i32 s3, s3, s9
	v_mad_u64_u32 v[36:37], s[10:11], v38, s8, v[36:37]
	v_add_u32_e32 v39, s3, v39
	v_mov_b32_e32 v38, v37
	v_mad_u64_u32 v[38:39], s[10:11], v39, s8, v[38:39]
	v_mov_b32_e32 v37, v38
	v_lshlrev_b64 v[36:37], 2, v[36:37]
	s_waitcnt lgkmcnt(0)
	v_lshl_add_u64 v[38:39], s[14:15], 0, v[36:37]
	v_lshl_add_u64 v[36:37], s[12:13], 0, v[36:37]
	global_store_dword v[38:39], v55, off
	global_store_dword v[36:37], v56, off
.LBB44_15:
	s_or_b64 exec, exec, s[4:5]
	v_lshl_or_b32 v35, v54, 9, v35
	s_waitcnt lgkmcnt(0)
	s_barrier
	ds_read_b128 v[36:39], v35
	ds_read_b128 v[42:45], v35 offset:16
	s_waitcnt vmcnt(7) lgkmcnt(1)
	v_mfma_f32_16x16x16_f16 v[46:49], v[6:7], v[36:37], 0
	v_cmp_gt_u32_e32 vcc, 64, v0
	s_mov_b32 s3, 0
	s_and_b64 s[4:5], vcc, s[30:31]
	v_mfma_f32_16x16x16_f16 v[6:9], v[8:9], v[38:39], v[46:49]
	s_waitcnt vmcnt(6) lgkmcnt(0)
	v_mfma_f32_16x16x16_f16 v[6:9], v[2:3], v[42:43], v[6:9]
	v_mfma_f32_16x16x16_f16 v[2:5], v[4:5], v[44:45], v[6:9]
	s_nop 5
	ds_read_b128 v[6:9], v35 offset:2048
	ds_read_b128 v[36:39], v35 offset:2064
	s_waitcnt vmcnt(5) lgkmcnt(1)
	v_mfma_f32_16x16x16_f16 v[2:5], v[30:31], v[6:7], v[2:5]
	v_mfma_f32_16x16x16_f16 v[2:5], v[32:33], v[8:9], v[2:5]
	s_waitcnt vmcnt(4) lgkmcnt(0)
	v_mfma_f32_16x16x16_f16 v[2:5], v[26:27], v[36:37], v[2:5]
	v_mfma_f32_16x16x16_f16 v[2:5], v[28:29], v[38:39], v[2:5]
	ds_read_b128 v[6:9], v35 offset:4096
	ds_read_b128 v[26:29], v35 offset:4112
	s_waitcnt vmcnt(3) lgkmcnt(1)
	v_mfma_f32_16x16x16_f16 v[2:5], v[22:23], v[6:7], v[2:5]
	v_mfma_f32_16x16x16_f16 v[2:5], v[24:25], v[8:9], v[2:5]
	s_waitcnt vmcnt(2) lgkmcnt(0)
	v_mfma_f32_16x16x16_f16 v[2:5], v[18:19], v[26:27], v[2:5]
	v_mfma_f32_16x16x16_f16 v[2:5], v[20:21], v[28:29], v[2:5]
	ds_read_b128 v[6:9], v35 offset:6144
	ds_read_b128 v[18:21], v35 offset:6160
	v_mov_b32_e32 v35, 0
	s_waitcnt vmcnt(1) lgkmcnt(0)
	v_mfma_f32_16x16x16_f16 v[2:5], v[14:15], v[6:7], v[2:5]
	s_barrier
	v_mfma_f32_16x16x16_f16 v[2:5], v[16:17], v[8:9], v[2:5]
	s_waitcnt vmcnt(0)
	v_mfma_f32_16x16x16_f16 v[2:5], v[10:11], v[18:19], v[2:5]
	v_mfma_f32_16x16x16_f16 v[2:5], v[12:13], v[20:21], v[2:5]
	s_nop 6
	v_cvt_f16_f32_e32 v2, v2
	v_cvt_f16_f32_e32 v3, v3
	;; [unrolled: 1-line block ×4, first 2 shown]
	v_pack_b32_f16 v2, v2, v3
	v_pack_b32_f16 v3, v4, v5
	ds_write_b64 v40, v[2:3]
	s_waitcnt lgkmcnt(0)
	s_barrier
	s_and_saveexec_b64 s[10:11], s[4:5]
	s_cbranch_execz .LBB44_18
; %bb.16:
	s_load_dwordx2 s[4:5], s[0:1], 0x68
	s_lshl_b32 s0, s8, 6
	s_mul_i32 s1, s9, s2
	s_mul_hi_u32 s9, s1, s0
	s_mul_i32 s8, s1, s0
	v_lshlrev_b32_e32 v0, 10, v0
	s_lshl_b64 s[8:9], s[8:9], 1
	v_and_b32_e32 v0, 0x1800, v0
	v_lshlrev_b32_e32 v2, 5, v54
	v_and_b32_e32 v1, 16, v1
	s_waitcnt lgkmcnt(0)
	s_add_u32 s1, s4, s8
	v_or3_b32 v2, v0, v2, v1
	s_addc_u32 s4, s5, s9
	s_lshl_b32 s2, s28, 6
	s_lshl_b64 s[2:3], s[2:3], 1
	ds_read_b128 v[4:7], v2 offset:128
	ds_read_b128 v[8:11], v2
	s_add_u32 s2, s1, s2
	s_addc_u32 s3, s4, s3
	v_add_u32_e32 v3, s42, v54
	v_lshl_add_u64 v[0:1], s[2:3], 0, v[34:35]
	v_mad_u64_u32 v[12:13], s[2:3], v3, s0, 0
	v_lshl_add_u64 v[12:13], v[12:13], 1, v[0:1]
	v_add_u32_e32 v3, 4, v3
	s_waitcnt lgkmcnt(0)
	global_store_dwordx4 v[12:13], v[8:11], off
	s_nop 1
	v_mad_u64_u32 v[8:9], s[2:3], v3, s0, 0
	v_lshl_add_u64 v[8:9], v[8:9], 1, v[0:1]
	global_store_dwordx4 v[8:9], v[4:7], off
	s_and_b64 exec, exec, s[6:7]
	s_cbranch_execz .LBB44_18
; %bb.17:
	ds_read_b128 v[2:5], v2 offset:256
	v_add3_u32 v6, s42, v54, 8
	v_mad_u64_u32 v[6:7], s[0:1], v6, s0, 0
	v_lshl_add_u64 v[0:1], v[6:7], 1, v[0:1]
	s_waitcnt lgkmcnt(0)
	global_store_dwordx4 v[0:1], v[2:5], off
.LBB44_18:
	s_endpgm
	.section	.rodata,"a",@progbits
	.p2align	6, 0x0
	.amdhsa_kernel _Z39paged_attention_ll4mi_QKV_mfma16_kernelIDF16_DF16_LN4vllm18Fp8KVCacheDataTypeE0EhLi16ELi64ELi256ELb0ELi9EEvPKT_PKT0_S7_ifPKiS9_S9_iPKfiiiPfSC_PS2_PT2_iSB_SB_
		.amdhsa_group_segment_fixed_size 8192
		.amdhsa_private_segment_fixed_size 0
		.amdhsa_kernarg_size 400
		.amdhsa_user_sgpr_count 2
		.amdhsa_user_sgpr_dispatch_ptr 0
		.amdhsa_user_sgpr_queue_ptr 0
		.amdhsa_user_sgpr_kernarg_segment_ptr 1
		.amdhsa_user_sgpr_dispatch_id 0
		.amdhsa_user_sgpr_kernarg_preload_length 0
		.amdhsa_user_sgpr_kernarg_preload_offset 0
		.amdhsa_user_sgpr_private_segment_size 0
		.amdhsa_uses_dynamic_stack 0
		.amdhsa_enable_private_segment 0
		.amdhsa_system_sgpr_workgroup_id_x 1
		.amdhsa_system_sgpr_workgroup_id_y 1
		.amdhsa_system_sgpr_workgroup_id_z 1
		.amdhsa_system_sgpr_workgroup_info 0
		.amdhsa_system_vgpr_workitem_id 0
		.amdhsa_next_free_vgpr 69
		.amdhsa_next_free_sgpr 48
		.amdhsa_accum_offset 72
		.amdhsa_reserve_vcc 1
		.amdhsa_float_round_mode_32 0
		.amdhsa_float_round_mode_16_64 0
		.amdhsa_float_denorm_mode_32 3
		.amdhsa_float_denorm_mode_16_64 3
		.amdhsa_dx10_clamp 1
		.amdhsa_ieee_mode 1
		.amdhsa_fp16_overflow 0
		.amdhsa_tg_split 0
		.amdhsa_exception_fp_ieee_invalid_op 0
		.amdhsa_exception_fp_denorm_src 0
		.amdhsa_exception_fp_ieee_div_zero 0
		.amdhsa_exception_fp_ieee_overflow 0
		.amdhsa_exception_fp_ieee_underflow 0
		.amdhsa_exception_fp_ieee_inexact 0
		.amdhsa_exception_int_div_zero 0
	.end_amdhsa_kernel
	.section	.text._Z39paged_attention_ll4mi_QKV_mfma16_kernelIDF16_DF16_LN4vllm18Fp8KVCacheDataTypeE0EhLi16ELi64ELi256ELb0ELi9EEvPKT_PKT0_S7_ifPKiS9_S9_iPKfiiiPfSC_PS2_PT2_iSB_SB_,"axG",@progbits,_Z39paged_attention_ll4mi_QKV_mfma16_kernelIDF16_DF16_LN4vllm18Fp8KVCacheDataTypeE0EhLi16ELi64ELi256ELb0ELi9EEvPKT_PKT0_S7_ifPKiS9_S9_iPKfiiiPfSC_PS2_PT2_iSB_SB_,comdat
.Lfunc_end44:
	.size	_Z39paged_attention_ll4mi_QKV_mfma16_kernelIDF16_DF16_LN4vllm18Fp8KVCacheDataTypeE0EhLi16ELi64ELi256ELb0ELi9EEvPKT_PKT0_S7_ifPKiS9_S9_iPKfiiiPfSC_PS2_PT2_iSB_SB_, .Lfunc_end44-_Z39paged_attention_ll4mi_QKV_mfma16_kernelIDF16_DF16_LN4vllm18Fp8KVCacheDataTypeE0EhLi16ELi64ELi256ELb0ELi9EEvPKT_PKT0_S7_ifPKiS9_S9_iPKfiiiPfSC_PS2_PT2_iSB_SB_
                                        ; -- End function
	.section	.AMDGPU.csdata,"",@progbits
; Kernel info:
; codeLenInByte = 3824
; NumSgprs: 54
; NumVgprs: 69
; NumAgprs: 0
; TotalNumVgprs: 69
; ScratchSize: 0
; MemoryBound: 0
; FloatMode: 240
; IeeeMode: 1
; LDSByteSize: 8192 bytes/workgroup (compile time only)
; SGPRBlocks: 6
; VGPRBlocks: 8
; NumSGPRsForWavesPerEU: 54
; NumVGPRsForWavesPerEU: 69
; AccumOffset: 72
; Occupancy: 7
; WaveLimiterHint : 1
; COMPUTE_PGM_RSRC2:SCRATCH_EN: 0
; COMPUTE_PGM_RSRC2:USER_SGPR: 2
; COMPUTE_PGM_RSRC2:TRAP_HANDLER: 0
; COMPUTE_PGM_RSRC2:TGID_X_EN: 1
; COMPUTE_PGM_RSRC2:TGID_Y_EN: 1
; COMPUTE_PGM_RSRC2:TGID_Z_EN: 1
; COMPUTE_PGM_RSRC2:TIDIG_COMP_CNT: 0
; COMPUTE_PGM_RSRC3_GFX90A:ACCUM_OFFSET: 17
; COMPUTE_PGM_RSRC3_GFX90A:TG_SPLIT: 0
	.section	.text._Z39paged_attention_ll4mi_QKV_mfma16_kernelIDF16_DF16_LN4vllm18Fp8KVCacheDataTypeE0EhLi16ELi64ELi256ELb0ELi10EEvPKT_PKT0_S7_ifPKiS9_S9_iPKfiiiPfSC_PS2_PT2_iSB_SB_,"axG",@progbits,_Z39paged_attention_ll4mi_QKV_mfma16_kernelIDF16_DF16_LN4vllm18Fp8KVCacheDataTypeE0EhLi16ELi64ELi256ELb0ELi10EEvPKT_PKT0_S7_ifPKiS9_S9_iPKfiiiPfSC_PS2_PT2_iSB_SB_,comdat
	.protected	_Z39paged_attention_ll4mi_QKV_mfma16_kernelIDF16_DF16_LN4vllm18Fp8KVCacheDataTypeE0EhLi16ELi64ELi256ELb0ELi10EEvPKT_PKT0_S7_ifPKiS9_S9_iPKfiiiPfSC_PS2_PT2_iSB_SB_ ; -- Begin function _Z39paged_attention_ll4mi_QKV_mfma16_kernelIDF16_DF16_LN4vllm18Fp8KVCacheDataTypeE0EhLi16ELi64ELi256ELb0ELi10EEvPKT_PKT0_S7_ifPKiS9_S9_iPKfiiiPfSC_PS2_PT2_iSB_SB_
	.globl	_Z39paged_attention_ll4mi_QKV_mfma16_kernelIDF16_DF16_LN4vllm18Fp8KVCacheDataTypeE0EhLi16ELi64ELi256ELb0ELi10EEvPKT_PKT0_S7_ifPKiS9_S9_iPKfiiiPfSC_PS2_PT2_iSB_SB_
	.p2align	8
	.type	_Z39paged_attention_ll4mi_QKV_mfma16_kernelIDF16_DF16_LN4vllm18Fp8KVCacheDataTypeE0EhLi16ELi64ELi256ELb0ELi10EEvPKT_PKT0_S7_ifPKiS9_S9_iPKfiiiPfSC_PS2_PT2_iSB_SB_,@function
_Z39paged_attention_ll4mi_QKV_mfma16_kernelIDF16_DF16_LN4vllm18Fp8KVCacheDataTypeE0EhLi16ELi64ELi256ELb0ELi10EEvPKT_PKT0_S7_ifPKiS9_S9_iPKfiiiPfSC_PS2_PT2_iSB_SB_: ; @_Z39paged_attention_ll4mi_QKV_mfma16_kernelIDF16_DF16_LN4vllm18Fp8KVCacheDataTypeE0EhLi16ELi64ELi256ELb0ELi10EEvPKT_PKT0_S7_ifPKiS9_S9_iPKfiiiPfSC_PS2_PT2_iSB_SB_
; %bb.0:
	s_load_dwordx2 s[12:13], s[0:1], 0x30
	s_mov_b32 s28, s3
	s_mov_b64 s[6:7], 0
	s_waitcnt lgkmcnt(0)
	s_cmp_lg_u64 s[12:13], 0
	s_cselect_b64 s[14:15], -1, 0
	s_and_b64 vcc, exec, s[14:15]
	s_cbranch_vccz .LBB45_7
; %bb.1:
	s_add_i32 s8, s2, 1
	s_mov_b32 s9, 0
	s_lshl_b64 s[10:11], s[8:9], 2
	s_add_u32 s10, s12, s10
	s_mov_b32 s3, s9
	s_addc_u32 s11, s13, s11
	s_lshl_b64 s[8:9], s[2:3], 2
	s_add_u32 s8, s12, s8
	s_addc_u32 s9, s13, s9
	s_load_dword s5, s[10:11], 0x0
	s_load_dword s16, s[8:9], 0x0
	s_waitcnt lgkmcnt(0)
	s_sub_i32 s5, s5, s16
	s_cmp_eq_u32 s5, 1
	s_cselect_b64 s[8:9], -1, 0
	s_andn2_b64 vcc, exec, s[6:7]
	s_cbranch_vccnz .LBB45_3
.LBB45_2:
	s_mov_b32 s3, 0
	s_mov_b64 s[8:9], -1
.LBB45_3:
	s_andn2_b64 vcc, exec, s[8:9]
	s_cbranch_vccnz .LBB45_18
; %bb.4:
	s_load_dwordx2 s[6:7], s[0:1], 0x28
	s_lshl_b64 s[16:17], s[2:3], 2
	s_waitcnt lgkmcnt(0)
	s_add_u32 s6, s6, s16
	s_addc_u32 s7, s7, s17
	s_load_dword s33, s[6:7], 0x0
	s_lshl_b32 s18, s28, 8
	s_waitcnt lgkmcnt(0)
	s_cmp_ge_i32 s18, s33
	s_cbranch_scc1 .LBB45_18
; %bb.5:
	s_load_dwordx2 s[6:7], s[0:1], 0x20
	s_load_dword s5, s[0:1], 0x38
	s_add_i32 s8, s33, 15
	s_ashr_i32 s9, s8, 31
	v_and_b32_e32 v1, 0xcf, v0
	s_lshr_b32 s9, s9, 28
	v_add_u32_e32 v1, s18, v1
	s_add_i32 s8, s8, s9
	v_ashrrev_i32_e32 v2, 31, v1
	s_ashr_i32 s19, s8, 4
	v_lshrrev_b32_e32 v6, 28, v2
	s_add_i32 s19, s19, -1
	s_waitcnt lgkmcnt(0)
	s_mul_i32 s8, s2, s5
	s_mov_b32 s9, 0
	v_add_u32_e32 v2, v1, v6
	s_lshl_b64 s[8:9], s[8:9], 2
	v_ashrrev_i32_e32 v2, 4, v2
	v_mov_b32_e32 v7, s19
	v_cmp_gt_i32_e32 vcc, s33, v1
	s_add_u32 s6, s6, s8
	s_addc_u32 s7, s7, s9
	v_cndmask_b32_e32 v2, v7, v2, vcc
	v_ashrrev_i32_e32 v3, 31, v2
	v_lshl_add_u64 v[4:5], v[2:3], 2, s[6:7]
	v_or_b32_e32 v2, 16, v1
	v_add_u32_e32 v3, v2, v6
	v_ashrrev_i32_e32 v3, 4, v3
	v_cmp_gt_i32_e32 vcc, s33, v2
	s_load_dwordx4 s[8:11], s[0:1], 0x8
	s_nop 0
	v_cndmask_b32_e32 v2, v7, v3, vcc
	v_ashrrev_i32_e32 v3, 31, v2
	v_lshl_add_u64 v[8:9], v[2:3], 2, s[6:7]
	v_or_b32_e32 v2, 32, v1
	v_add_u32_e32 v3, v2, v6
	v_ashrrev_i32_e32 v3, 4, v3
	v_cmp_gt_i32_e32 vcc, s33, v2
	v_or_b32_e32 v1, 48, v1
	s_nop 0
	v_cndmask_b32_e32 v2, v7, v3, vcc
	v_ashrrev_i32_e32 v3, 31, v2
	v_lshl_add_u64 v[12:13], v[2:3], 2, s[6:7]
	v_add_u32_e32 v2, v1, v6
	v_ashrrev_i32_e32 v2, 4, v2
	v_cmp_gt_i32_e32 vcc, s33, v1
	s_nop 1
	v_cndmask_b32_e32 v2, v7, v2, vcc
	v_ashrrev_i32_e32 v3, 31, v2
	v_lshl_add_u64 v[14:15], v[2:3], 2, s[6:7]
	global_load_dword v2, v[4:5], off
	global_load_dword v6, v[8:9], off
	;; [unrolled: 1-line block ×4, first 2 shown]
	s_andn2_b64 vcc, exec, s[14:15]
	s_cbranch_vccnz .LBB45_8
; %bb.6:
	s_add_u32 s12, s12, s16
	s_addc_u32 s13, s13, s17
	s_load_dword s5, s[12:13], 0x0
	s_branch .LBB45_9
.LBB45_7:
	s_mov_b64 s[8:9], 0
	s_branch .LBB45_2
.LBB45_8:
	s_mov_b32 s5, s2
.LBB45_9:
	s_load_dwordx4 s[44:47], s[0:1], 0x48
	v_lshrrev_b32_e32 v37, 6, v0
	v_bfe_u32 v54, v0, 4, 2
	v_lshl_or_b32 v1, v37, 2, v54
	v_and_b32_e32 v36, 15, v0
	v_lshlrev_b32_e32 v3, 3, v36
	v_cmp_gt_u32_e32 vcc, 10, v1
	v_cmp_gt_u32_e64 s[30:31], 8, v36
	v_and_b32_e32 v55, 63, v0
	s_mul_i32 s42, s4, 10
	s_and_b64 s[14:15], s[30:31], vcc
	v_lshlrev_b32_e32 v34, 1, v3
	s_and_saveexec_b64 s[12:13], s[14:15]
	s_cbranch_execz .LBB45_11
; %bb.10:
	s_load_dwordx2 s[14:15], s[0:1], 0x0
	s_waitcnt lgkmcnt(0)
	s_ashr_i32 s16, s44, 31
	s_mul_hi_u32 s17, s5, s44
	s_mul_i32 s16, s5, s16
	s_add_i32 s17, s17, s16
	s_mul_i32 s16, s5, s44
	s_lshl_b64 s[16:17], s[16:17], 1
	s_add_u32 s14, s14, s16
	v_add_lshl_u32 v4, v1, s42, 6
	s_addc_u32 s15, s15, s17
	v_ashrrev_i32_e32 v5, 31, v4
	v_lshl_add_u64 v[4:5], v[4:5], 1, s[14:15]
	v_mov_b32_e32 v35, 0
	v_lshl_add_u64 v[4:5], v[4:5], 0, v[34:35]
	global_load_dwordx4 v[12:15], v[4:5], off
	v_and_b32_e32 v3, 3, v0
	v_lshlrev_b32_e32 v4, 9, v36
	v_lshlrev_b32_e32 v1, 5, v1
	;; [unrolled: 1-line block ×3, first 2 shown]
	v_and_b32_e32 v4, 0x1800, v4
	v_or3_b32 v1, v4, v3, v1
	s_waitcnt vmcnt(0)
	ds_write_b128 v1, v[12:15]
.LBB45_11:
	s_or_b64 exec, exec, s[12:13]
	s_waitcnt lgkmcnt(0)
	s_mul_i32 s4, s4, s46
	s_mov_b32 s5, 0
	s_lshl_b64 s[4:5], s[4:5], 1
	s_add_u32 s8, s8, s4
	v_lshlrev_b32_e32 v1, 4, v0
	s_addc_u32 s9, s9, s5
	v_and_b32_e32 v30, 0xf0, v1
	v_mov_b32_e32 v31, 0
	v_lshl_add_u64 v[18:19], s[8:9], 0, v[30:31]
	s_waitcnt vmcnt(3)
	v_mad_i64_i32 v[2:3], s[8:9], v2, s45, 0
	v_lshl_add_u64 v[2:3], v[2:3], 1, v[18:19]
	v_and_b32_e32 v30, 0x300, v1
	v_lshl_add_u64 v[14:15], v[2:3], 0, v[30:31]
	s_load_dword s29, s[0:1], 0x98
	s_load_dword s12, s[0:1], 0x1c
	s_waitcnt lgkmcnt(0)
	s_barrier
	global_load_dwordx4 v[2:5], v[14:15], off
	global_load_dwordx4 v[26:29], v[14:15], off offset:1024
	s_waitcnt vmcnt(3)
	v_mad_i64_i32 v[10:11], s[8:9], v10, s45, 0
	v_lshl_add_u64 v[10:11], v[10:11], 1, v[18:19]
	v_lshl_add_u64 v[38:39], v[10:11], 0, v[30:31]
	global_load_dwordx4 v[10:13], v[38:39], off
	global_load_dwordx4 v[56:59], v[38:39], off offset:1024
	v_mad_i64_i32 v[6:7], s[8:9], v6, s45, 0
	v_lshl_add_u64 v[6:7], v[6:7], 1, v[18:19]
	v_lshl_add_u64 v[32:33], v[6:7], 0, v[30:31]
	global_load_dwordx4 v[6:9], v[32:33], off
	global_load_dwordx4 v[46:49], v[32:33], off offset:1024
	s_waitcnt vmcnt(6)
	v_mad_i64_i32 v[16:17], s[8:9], v16, s45, 0
	v_lshl_add_u64 v[16:17], v[16:17], 1, v[18:19]
	v_lshl_add_u64 v[40:41], v[16:17], 0, v[30:31]
	global_load_dwordx4 v[18:21], v[40:41], off
	v_add_u32_e32 v16, -10, v36
	v_cmp_gt_u32_e32 vcc, 10, v36
	global_load_dwordx4 v[38:41], v[40:41], off offset:1024
	v_and_or_b32 v30, v0, 48, s18
	v_cndmask_b32_e32 v16, v16, v36, vcc
	v_lshlrev_b32_e32 v16, 5, v16
	v_lshl_add_u32 v16, v54, 9, v16
	ds_read_b128 v[22:25], v16
	v_mov_b32_e32 v68, s19
	v_cmp_gt_i32_e32 vcc, s33, v30
	v_or_b32_e32 v32, 64, v30
	ds_read_b128 v[14:17], v16 offset:2048
	v_lshlrev_b32_e32 v35, 5, v36
	s_add_u32 s4, s10, s4
	s_addc_u32 s5, s11, s5
	s_mov_b32 s43, 0xff7fffff
	s_waitcnt vmcnt(7) lgkmcnt(1)
	v_mfma_f32_16x16x16_f16 v[42:45], v[2:3], v[22:23], 0
	v_ashrrev_i32_e32 v2, 4, v30
	v_cndmask_b32_e32 v2, v68, v2, vcc
	v_ashrrev_i32_e32 v3, 31, v2
	s_waitcnt vmcnt(5)
	v_mfma_f32_16x16x16_f16 v[60:63], v[10:11], v[22:23], 0
	v_lshl_add_u64 v[10:11], v[2:3], 2, s[6:7]
	v_cmp_gt_i32_e32 vcc, s33, v32
	v_mfma_f32_16x16x16_f16 v[2:5], v[4:5], v[24:25], v[42:45]
	s_nop 2
	global_load_dword v42, v[10:11], off
	s_waitcnt vmcnt(4)
	v_mfma_f32_16x16x16_f16 v[50:53], v[6:7], v[22:23], 0
	v_ashrrev_i32_e32 v6, 4, v32
	v_cndmask_b32_e32 v6, v68, v6, vcc
	v_ashrrev_i32_e32 v7, 31, v6
	v_lshl_add_u64 v[10:11], v[6:7], 2, s[6:7]
	global_load_dword v43, v[10:11], off
	s_waitcnt vmcnt(3)
	v_mfma_f32_16x16x16_f16 v[64:67], v[18:19], v[22:23], 0
	v_or_b32_e32 v22, 0x80, v30
	v_or_b32_e32 v23, 0xc0, v30
	v_ashrrev_i32_e32 v30, 4, v22
	v_cmp_gt_i32_e32 vcc, s33, v22
	v_ashrrev_i32_e32 v32, 4, v23
	v_mfma_f32_16x16x16_f16 v[6:9], v[8:9], v[24:25], v[50:53]
	v_cndmask_b32_e32 v22, v68, v30, vcc
	v_cmp_gt_i32_e32 vcc, s33, v23
	v_ashrrev_i32_e32 v23, 31, v22
	v_mfma_f32_16x16x16_f16 v[10:13], v[12:13], v[24:25], v[60:63]
	v_lshl_or_b32 v30, v37, 9, v35
	v_mfma_f32_16x16x16_f16 v[18:21], v[20:21], v[24:25], v[64:67]
	v_cndmask_b32_e32 v24, v68, v32, vcc
	v_ashrrev_i32_e32 v25, 31, v24
	v_lshl_add_u64 v[32:33], v[24:25], 2, s[6:7]
	s_waitcnt lgkmcnt(0)
	v_mfma_f32_16x16x16_f16 v[2:5], v[26:27], v[14:15], v[2:5]
	v_lshl_add_u64 v[26:27], v[22:23], 2, s[6:7]
	global_load_dword v60, v[26:27], off
	global_load_dword v61, v[32:33], off
	v_mfma_f32_16x16x16_f16 v[6:9], v[46:47], v[14:15], v[6:9]
	v_mfma_f32_16x16x16_f16 v[22:25], v[56:57], v[14:15], v[10:13]
	s_waitcnt vmcnt(4)
	v_mfma_f32_16x16x16_f16 v[18:21], v[38:39], v[14:15], v[18:21]
	s_nop 0
	v_lshl_add_u64 v[10:11], s[4:5], 0, v[30:31]
	s_waitcnt vmcnt(3)
	v_mad_i64_i32 v[26:27], s[4:5], v42, s45, 0
	v_mfma_f32_16x16x16_f16 v[12:15], v[28:29], v[16:17], v[2:5]
	v_lshl_add_u64 v[30:31], v[26:27], 1, v[10:11]
	s_waitcnt vmcnt(2)
	v_mad_i64_i32 v[32:33], s[4:5], v43, s45, 0
	v_mfma_f32_16x16x16_f16 v[26:29], v[48:49], v[16:17], v[6:9]
	s_nop 2
	v_pk_mul_f32 v[50:51], s[12:13], v[14:15] op_sel_hi:[0,1]
	v_pk_mul_f32 v[12:13], s[12:13], v[12:13] op_sel_hi:[0,1]
	v_lshl_add_u64 v[56:57], v[32:33], 1, v[10:11]
	v_mfma_f32_16x16x16_f16 v[22:25], v[58:59], v[16:17], v[22:25]
	global_load_dwordx4 v[6:9], v[30:31], off
	global_load_dwordx4 v[2:5], v[30:31], off offset:16
	v_pk_mul_f32 v[42:43], s[12:13], v[26:27] op_sel_hi:[0,1]
	v_pk_mul_f32 v[52:53], s[12:13], v[28:29] op_sel_hi:[0,1]
	v_mfma_f32_16x16x16_f16 v[14:17], v[40:41], v[16:17], v[18:21]
	s_nop 1
	v_pk_mul_f32 v[48:49], s[12:13], v[22:23] op_sel_hi:[0,1]
	v_pk_mul_f32 v[46:47], s[12:13], v[24:25] op_sel_hi:[0,1]
	global_load_dwordx4 v[30:33], v[56:57], off
	global_load_dwordx4 v[26:29], v[56:57], off offset:16
	s_nop 0
	v_pk_mul_f32 v[44:45], s[12:13], v[14:15] op_sel_hi:[0,1]
	v_and_b32_e32 v14, 0xc0, v0
	v_add_u32_e32 v14, s18, v14
	v_lshl_or_b32 v14, v54, 2, v14
	v_pk_mul_f32 v[38:39], s[12:13], v[16:17] op_sel_hi:[0,1]
	v_or_b32_e32 v17, 1, v14
	v_mov_b32_e32 v15, 0xff7fffff
	v_cmp_gt_i32_e64 s[4:5], s33, v14
	v_cmp_gt_i32_e64 s[34:35], s33, v17
	v_or_b32_e32 v18, 3, v14
	v_cndmask_b32_e64 v16, v15, v12, s[4:5]
	v_cndmask_b32_e64 v17, v15, v13, s[34:35]
	v_max3_f32 v16, v16, s43, v17
	v_or_b32_e32 v17, 2, v14
	v_cmp_gt_i32_e64 s[36:37], s33, v17
	v_cmp_gt_i32_e64 s[38:39], s33, v18
	s_nop 0
	v_cndmask_b32_e64 v17, v15, v50, s[36:37]
	v_cndmask_b32_e64 v18, v15, v51, s[38:39]
	v_max3_f32 v16, v16, v17, v18
	v_or_b32_e32 v17, 16, v14
	v_or_b32_e32 v18, 17, v14
	v_cmp_gt_i32_e64 s[24:25], s33, v17
	v_cmp_gt_i32_e64 s[26:27], s33, v18
	s_nop 0
	v_cndmask_b32_e64 v17, v15, v42, s[24:25]
	v_cndmask_b32_e64 v18, v15, v43, s[26:27]
	v_max3_f32 v16, v16, v17, v18
	v_or_b32_e32 v17, 18, v14
	;; [unrolled: 8-line block ×6, first 2 shown]
	v_or_b32_e32 v14, 51, v14
	v_cmp_gt_i32_e32 vcc, s33, v17
	v_cmp_gt_i32_e64 s[6:7], s33, v14
	s_nop 0
	v_cndmask_b32_e32 v17, v15, v38, vcc
	v_cndmask_b32_e64 v14, v15, v39, s[6:7]
	v_max3_f32 v16, v16, v17, v14
	v_mbcnt_lo_u32_b32 v14, -1, 0
	v_mbcnt_hi_u32_b32 v17, -1, v14
	v_and_b32_e32 v14, 64, v17
	v_add_u32_e32 v18, 64, v14
	v_xor_b32_e32 v14, 32, v17
	v_cmp_lt_i32_e64 s[40:41], v14, v18
	s_nop 1
	v_cndmask_b32_e64 v14, v17, v14, s[40:41]
	v_lshlrev_b32_e32 v58, 2, v14
	ds_bpermute_b32 v19, v58, v16
	s_waitcnt vmcnt(5)
	v_mad_i64_i32 v[14:15], s[40:41], v60, s45, 0
	v_lshl_add_u64 v[14:15], v[14:15], 1, v[10:11]
	s_waitcnt lgkmcnt(0)
	v_max_f32_e32 v19, v19, v19
	v_max_f32_e32 v16, v16, v19
	v_xor_b32_e32 v19, 16, v17
	v_cmp_lt_i32_e64 s[40:41], v19, v18
	s_nop 1
	v_cndmask_b32_e64 v17, v17, v19, s[40:41]
	v_lshlrev_b32_e32 v57, 2, v17
	ds_bpermute_b32 v17, v57, v16
	global_load_dwordx4 v[22:25], v[14:15], off
	global_load_dwordx4 v[18:21], v[14:15], off offset:16
	s_waitcnt vmcnt(6)
	v_mad_i64_i32 v[14:15], s[40:41], v61, s45, 0
	v_lshl_add_u64 v[10:11], v[14:15], 1, v[10:11]
	s_waitcnt lgkmcnt(0)
	v_max_f32_e32 v14, v17, v17
	v_max_f32_e32 v56, v16, v14
	v_sub_f32_e32 v12, v12, v56
	v_mul_f32_e32 v12, 0x3fb8aa3b, v12
	v_exp_f32_e32 v40, v12
	v_sub_f32_e32 v12, v13, v56
	v_mul_f32_e32 v12, 0x3fb8aa3b, v12
	v_exp_f32_e32 v41, v12
	global_load_dwordx4 v[14:17], v[10:11], off
	s_nop 0
	global_load_dwordx4 v[10:13], v[10:11], off offset:16
	v_sub_f32_e32 v50, v50, v56
	v_mul_f32_e32 v50, 0x3fb8aa3b, v50
	v_sub_f32_e32 v51, v51, v56
	v_exp_f32_e32 v50, v50
	v_mul_f32_e32 v51, 0x3fb8aa3b, v51
	v_sub_f32_e32 v42, v42, v56
	v_exp_f32_e32 v51, v51
	v_mul_f32_e32 v42, 0x3fb8aa3b, v42
	v_sub_f32_e32 v43, v43, v56
	v_cndmask_b32_e64 v40, 0, v40, s[4:5]
	v_exp_f32_e32 v42, v42
	v_mul_f32_e32 v43, 0x3fb8aa3b, v43
	v_sub_f32_e32 v52, v52, v56
	v_add_f32_e32 v59, 0, v40
	v_cndmask_b32_e64 v41, 0, v41, s[34:35]
	v_exp_f32_e32 v43, v43
	v_mul_f32_e32 v52, 0x3fb8aa3b, v52
	v_sub_f32_e32 v53, v53, v56
	v_add_f32_e32 v59, v59, v41
	;; [unrolled: 5-line block ×10, first 2 shown]
	v_cndmask_b32_e64 v46, 0, v46, s[12:13]
	v_exp_f32_e32 v38, v38
	v_mul_f32_e32 v39, 0x3fb8aa3b, v39
	v_add_f32_e32 v59, v59, v46
	v_cndmask_b32_e64 v47, 0, v47, s[14:15]
	v_exp_f32_e32 v39, v39
	v_add_f32_e32 v59, v59, v47
	v_cndmask_b32_e64 v44, 0, v44, s[8:9]
	v_add_f32_e32 v59, v59, v44
	v_cndmask_b32_e64 v45, 0, v45, s[10:11]
	v_add_f32_e32 v59, v59, v45
	v_cndmask_b32_e32 v38, 0, v38, vcc
	v_add_f32_e32 v59, v59, v38
	v_cndmask_b32_e64 v39, 0, v39, s[6:7]
	v_add_f32_e32 v59, v59, v39
	ds_bpermute_b32 v58, v58, v59
	v_cmp_gt_u32_e32 vcc, 16, v55
	s_waitcnt lgkmcnt(0)
	s_barrier
	v_add_f32_e32 v58, v59, v58
	ds_bpermute_b32 v59, v57, v58
	v_lshlrev_b32_e32 v57, 2, v36
	s_and_saveexec_b64 s[4:5], vcc
	s_cbranch_execz .LBB45_13
; %bb.12:
	s_waitcnt lgkmcnt(0)
	v_add_f32_e32 v55, v58, v59
	v_lshl_or_b32 v58, v37, 6, v57
	ds_write2st64_b32 v58, v56, v55 offset1:1
.LBB45_13:
	s_or_b64 exec, exec, s[4:5]
	s_load_dword s6, s[0:1], 0x94
	s_waitcnt lgkmcnt(0)
	s_barrier
	ds_read2_b32 v[58:59], v57 offset1:16
	ds_read2_b32 v[60:61], v57 offset0:32 offset1:48
	ds_read2_b32 v[62:63], v57 offset0:64 offset1:80
	s_mul_i32 s7, s29, 10
	s_waitcnt lgkmcnt(2)
	v_max3_f32 v55, v58, s43, v59
	s_waitcnt lgkmcnt(1)
	v_max3_f32 v55, v55, v60, v61
	v_sub_f32_e32 v56, v58, v55
	v_mul_f32_e32 v56, 0x3fb8aa3b, v56
	v_exp_f32_e32 v64, v56
	v_sub_f32_e32 v56, v59, v55
	v_mul_f32_e32 v56, 0x3fb8aa3b, v56
	v_exp_f32_e32 v65, v56
	;; [unrolled: 3-line block ×3, first 2 shown]
	ds_read2_b32 v[58:59], v57 offset0:96 offset1:112
	v_sub_f32_e32 v56, v61, v55
	v_mul_f32_e32 v56, 0x3fb8aa3b, v56
	v_exp_f32_e32 v57, v56
	s_waitcnt lgkmcnt(1)
	v_fma_f32 v56, v64, v62, 0
	v_fmac_f32_e32 v56, v65, v63
	s_waitcnt lgkmcnt(0)
	v_fmac_f32_e32 v56, v60, v58
	v_fmac_f32_e32 v56, v57, v59
	v_add_f32_e32 v58, 0x358637bd, v56
	v_div_scale_f32 v59, s[4:5], v58, v58, 1.0
	v_rcp_f32_e32 v61, v59
	s_barrier
	v_fma_f32 v62, -v59, v61, 1.0
	v_fmac_f32_e32 v61, v62, v61
	v_div_scale_f32 v62, vcc, 1.0, v58, 1.0
	v_mul_f32_e32 v63, v62, v61
	v_fma_f32 v66, -v59, v63, v62
	v_fmac_f32_e32 v63, v66, v61
	v_fma_f32 v59, -v59, v63, v62
	v_div_fmas_f32 v59, v59, v61, v63
	v_cmp_eq_u32_e32 vcc, 1, v37
	v_div_fixup_f32 v58, v59, v58, 1.0
	s_nop 0
	v_cndmask_b32_e32 v59, v64, v65, vcc
	v_cmp_eq_u32_e32 vcc, 2, v37
	s_nop 1
	v_cndmask_b32_e32 v59, v59, v60, vcc
	v_cmp_eq_u32_e32 vcc, 3, v37
	v_lshlrev_b32_e32 v37, 11, v37
	s_nop 0
	v_cndmask_b32_e32 v57, v59, v57, vcc
	v_mul_f32_e32 v58, v57, v58
	v_pk_mul_f32 v[40:41], v[58:59], v[40:41] op_sel_hi:[0,1]
	v_cvt_f16_f32_e32 v40, v40
	v_cvt_f16_f32_e32 v41, v41
	v_pk_mul_f32 v[50:51], v[58:59], v[50:51] op_sel_hi:[0,1]
	v_cvt_f16_f32_e32 v57, v50
	v_cvt_f16_f32_e32 v51, v51
	v_pack_b32_f16 v50, v40, v41
	v_pk_mul_f32 v[40:41], v[58:59], v[52:53] op_sel_hi:[0,1]
	v_pk_mul_f32 v[42:43], v[58:59], v[42:43] op_sel_hi:[0,1]
	v_cvt_f16_f32_e32 v42, v42
	v_cvt_f16_f32_e32 v43, v43
	;; [unrolled: 1-line block ×4, first 2 shown]
	v_pack_b32_f16 v51, v57, v51
	v_lshlrev_b32_e32 v57, 3, v54
	v_or3_b32 v40, v37, v35, v57
	v_pack_b32_f16 v42, v42, v43
	v_pack_b32_f16 v43, v52, v41
	ds_write2st64_b64 v40, v[50:51], v[42:43] offset1:1
	v_pk_mul_f32 v[42:43], v[58:59], v[46:47] op_sel_hi:[0,1]
	v_pk_mul_f32 v[46:47], v[58:59], v[48:49] op_sel_hi:[0,1]
	v_cvt_f16_f32_e32 v37, v46
	v_cvt_f16_f32_e32 v41, v47
	;; [unrolled: 1-line block ×4, first 2 shown]
	v_pk_mul_f32 v[38:39], v[58:59], v[38:39] op_sel_hi:[0,1]
	v_pk_mul_f32 v[42:43], v[58:59], v[44:45] op_sel_hi:[0,1]
	v_cvt_f16_f32_e32 v42, v42
	v_cvt_f16_f32_e32 v43, v43
	;; [unrolled: 1-line block ×4, first 2 shown]
	v_pack_b32_f16 v38, v37, v41
	v_pack_b32_f16 v39, v46, v47
	;; [unrolled: 1-line block ×4, first 2 shown]
	v_cmp_gt_u32_e32 vcc, 10, v0
	ds_write2st64_b64 v40, v[38:39], v[42:43] offset0:2 offset1:3
	s_and_saveexec_b64 s[4:5], vcc
	s_cbranch_execz .LBB45_15
; %bb.14:
	s_mov_b32 s43, 0
	v_mov_b32_e32 v37, 0
	v_lshl_add_u64 v[38:39], s[42:43], 0, v[36:37]
	v_mov_b32_e32 v36, s7
	v_mad_u64_u32 v[38:39], s[12:13], s2, v36, v[38:39]
	v_mov_b32_e32 v36, s28
	s_load_dwordx4 s[8:11], s[0:1], 0x58
	s_mul_i32 s3, s3, s7
	v_mad_u64_u32 v[36:37], s[12:13], v38, s6, v[36:37]
	v_add_u32_e32 v39, s3, v39
	v_mov_b32_e32 v38, v37
	v_mad_u64_u32 v[38:39], s[12:13], v39, s6, v[38:39]
	v_mov_b32_e32 v37, v38
	v_lshlrev_b64 v[36:37], 2, v[36:37]
	s_waitcnt lgkmcnt(0)
	v_lshl_add_u64 v[38:39], s[10:11], 0, v[36:37]
	v_lshl_add_u64 v[36:37], s[8:9], 0, v[36:37]
	global_store_dword v[38:39], v55, off
	global_store_dword v[36:37], v56, off
.LBB45_15:
	s_or_b64 exec, exec, s[4:5]
	v_lshl_or_b32 v35, v54, 9, v35
	s_waitcnt lgkmcnt(0)
	s_barrier
	ds_read_b128 v[36:39], v35
	ds_read_b128 v[42:45], v35 offset:16
	s_waitcnt vmcnt(7) lgkmcnt(1)
	v_mfma_f32_16x16x16_f16 v[46:49], v[6:7], v[36:37], 0
	v_cmp_gt_u32_e32 vcc, 64, v0
	s_mov_b32 s3, 0
	s_and_b64 s[4:5], vcc, s[30:31]
	v_mfma_f32_16x16x16_f16 v[6:9], v[8:9], v[38:39], v[46:49]
	s_waitcnt vmcnt(6) lgkmcnt(0)
	v_mfma_f32_16x16x16_f16 v[6:9], v[2:3], v[42:43], v[6:9]
	v_mfma_f32_16x16x16_f16 v[2:5], v[4:5], v[44:45], v[6:9]
	s_nop 5
	ds_read_b128 v[6:9], v35 offset:2048
	ds_read_b128 v[36:39], v35 offset:2064
	s_waitcnt vmcnt(5) lgkmcnt(1)
	v_mfma_f32_16x16x16_f16 v[2:5], v[30:31], v[6:7], v[2:5]
	v_mfma_f32_16x16x16_f16 v[2:5], v[32:33], v[8:9], v[2:5]
	s_waitcnt vmcnt(4) lgkmcnt(0)
	v_mfma_f32_16x16x16_f16 v[2:5], v[26:27], v[36:37], v[2:5]
	v_mfma_f32_16x16x16_f16 v[2:5], v[28:29], v[38:39], v[2:5]
	ds_read_b128 v[6:9], v35 offset:4096
	ds_read_b128 v[26:29], v35 offset:4112
	s_waitcnt vmcnt(3) lgkmcnt(1)
	v_mfma_f32_16x16x16_f16 v[2:5], v[22:23], v[6:7], v[2:5]
	v_mfma_f32_16x16x16_f16 v[2:5], v[24:25], v[8:9], v[2:5]
	s_waitcnt vmcnt(2) lgkmcnt(0)
	v_mfma_f32_16x16x16_f16 v[2:5], v[18:19], v[26:27], v[2:5]
	v_mfma_f32_16x16x16_f16 v[2:5], v[20:21], v[28:29], v[2:5]
	ds_read_b128 v[6:9], v35 offset:6144
	ds_read_b128 v[18:21], v35 offset:6160
	v_mov_b32_e32 v35, 0
	s_waitcnt vmcnt(1) lgkmcnt(0)
	v_mfma_f32_16x16x16_f16 v[2:5], v[14:15], v[6:7], v[2:5]
	s_barrier
	v_mfma_f32_16x16x16_f16 v[2:5], v[16:17], v[8:9], v[2:5]
	s_waitcnt vmcnt(0)
	v_mfma_f32_16x16x16_f16 v[2:5], v[10:11], v[18:19], v[2:5]
	v_mfma_f32_16x16x16_f16 v[2:5], v[12:13], v[20:21], v[2:5]
	s_nop 6
	v_cvt_f16_f32_e32 v2, v2
	v_cvt_f16_f32_e32 v3, v3
	;; [unrolled: 1-line block ×4, first 2 shown]
	v_pack_b32_f16 v2, v2, v3
	v_pack_b32_f16 v3, v4, v5
	ds_write_b64 v40, v[2:3]
	s_waitcnt lgkmcnt(0)
	s_barrier
	s_and_saveexec_b64 s[8:9], s[4:5]
	s_cbranch_execz .LBB45_18
; %bb.16:
	s_load_dwordx2 s[4:5], s[0:1], 0x68
	s_lshl_b32 s0, s6, 6
	s_mul_i32 s1, s7, s2
	s_mul_hi_u32 s7, s1, s0
	s_mul_i32 s6, s1, s0
	v_lshlrev_b32_e32 v0, 10, v0
	s_lshl_b64 s[6:7], s[6:7], 1
	v_and_b32_e32 v0, 0x1800, v0
	v_lshlrev_b32_e32 v2, 5, v54
	v_and_b32_e32 v1, 16, v1
	s_waitcnt lgkmcnt(0)
	s_add_u32 s1, s4, s6
	v_or3_b32 v2, v0, v2, v1
	s_addc_u32 s4, s5, s7
	s_lshl_b32 s2, s28, 6
	s_lshl_b64 s[2:3], s[2:3], 1
	ds_read_b128 v[4:7], v2 offset:128
	ds_read_b128 v[8:11], v2
	s_add_u32 s2, s1, s2
	s_addc_u32 s3, s4, s3
	v_add_u32_e32 v14, s42, v54
	v_lshl_add_u64 v[0:1], s[2:3], 0, v[34:35]
	v_mad_u64_u32 v[12:13], s[2:3], v14, s0, 0
	v_lshl_add_u64 v[12:13], v[12:13], 1, v[0:1]
	s_waitcnt lgkmcnt(0)
	global_store_dwordx4 v[12:13], v[8:11], off
	v_or_b32_e32 v3, 8, v54
	v_cmp_gt_u32_e32 vcc, 10, v3
	v_add_u32_e32 v8, 4, v14
	v_mad_u64_u32 v[8:9], s[2:3], v8, s0, 0
	v_lshl_add_u64 v[8:9], v[8:9], 1, v[0:1]
	global_store_dwordx4 v[8:9], v[4:7], off
	s_and_b64 exec, exec, vcc
	s_cbranch_execz .LBB45_18
; %bb.17:
	ds_read_b128 v[4:7], v2 offset:256
	v_add_u32_e32 v2, s42, v3
	v_mad_u64_u32 v[2:3], s[0:1], v2, s0, 0
	v_lshl_add_u64 v[0:1], v[2:3], 1, v[0:1]
	s_waitcnt lgkmcnt(0)
	global_store_dwordx4 v[0:1], v[4:7], off
.LBB45_18:
	s_endpgm
	.section	.rodata,"a",@progbits
	.p2align	6, 0x0
	.amdhsa_kernel _Z39paged_attention_ll4mi_QKV_mfma16_kernelIDF16_DF16_LN4vllm18Fp8KVCacheDataTypeE0EhLi16ELi64ELi256ELb0ELi10EEvPKT_PKT0_S7_ifPKiS9_S9_iPKfiiiPfSC_PS2_PT2_iSB_SB_
		.amdhsa_group_segment_fixed_size 8192
		.amdhsa_private_segment_fixed_size 0
		.amdhsa_kernarg_size 400
		.amdhsa_user_sgpr_count 2
		.amdhsa_user_sgpr_dispatch_ptr 0
		.amdhsa_user_sgpr_queue_ptr 0
		.amdhsa_user_sgpr_kernarg_segment_ptr 1
		.amdhsa_user_sgpr_dispatch_id 0
		.amdhsa_user_sgpr_kernarg_preload_length 0
		.amdhsa_user_sgpr_kernarg_preload_offset 0
		.amdhsa_user_sgpr_private_segment_size 0
		.amdhsa_uses_dynamic_stack 0
		.amdhsa_enable_private_segment 0
		.amdhsa_system_sgpr_workgroup_id_x 1
		.amdhsa_system_sgpr_workgroup_id_y 1
		.amdhsa_system_sgpr_workgroup_id_z 1
		.amdhsa_system_sgpr_workgroup_info 0
		.amdhsa_system_vgpr_workitem_id 0
		.amdhsa_next_free_vgpr 69
		.amdhsa_next_free_sgpr 48
		.amdhsa_accum_offset 72
		.amdhsa_reserve_vcc 1
		.amdhsa_float_round_mode_32 0
		.amdhsa_float_round_mode_16_64 0
		.amdhsa_float_denorm_mode_32 3
		.amdhsa_float_denorm_mode_16_64 3
		.amdhsa_dx10_clamp 1
		.amdhsa_ieee_mode 1
		.amdhsa_fp16_overflow 0
		.amdhsa_tg_split 0
		.amdhsa_exception_fp_ieee_invalid_op 0
		.amdhsa_exception_fp_denorm_src 0
		.amdhsa_exception_fp_ieee_div_zero 0
		.amdhsa_exception_fp_ieee_overflow 0
		.amdhsa_exception_fp_ieee_underflow 0
		.amdhsa_exception_fp_ieee_inexact 0
		.amdhsa_exception_int_div_zero 0
	.end_amdhsa_kernel
	.section	.text._Z39paged_attention_ll4mi_QKV_mfma16_kernelIDF16_DF16_LN4vllm18Fp8KVCacheDataTypeE0EhLi16ELi64ELi256ELb0ELi10EEvPKT_PKT0_S7_ifPKiS9_S9_iPKfiiiPfSC_PS2_PT2_iSB_SB_,"axG",@progbits,_Z39paged_attention_ll4mi_QKV_mfma16_kernelIDF16_DF16_LN4vllm18Fp8KVCacheDataTypeE0EhLi16ELi64ELi256ELb0ELi10EEvPKT_PKT0_S7_ifPKiS9_S9_iPKfiiiPfSC_PS2_PT2_iSB_SB_,comdat
.Lfunc_end45:
	.size	_Z39paged_attention_ll4mi_QKV_mfma16_kernelIDF16_DF16_LN4vllm18Fp8KVCacheDataTypeE0EhLi16ELi64ELi256ELb0ELi10EEvPKT_PKT0_S7_ifPKiS9_S9_iPKfiiiPfSC_PS2_PT2_iSB_SB_, .Lfunc_end45-_Z39paged_attention_ll4mi_QKV_mfma16_kernelIDF16_DF16_LN4vllm18Fp8KVCacheDataTypeE0EhLi16ELi64ELi256ELb0ELi10EEvPKT_PKT0_S7_ifPKiS9_S9_iPKfiiiPfSC_PS2_PT2_iSB_SB_
                                        ; -- End function
	.section	.AMDGPU.csdata,"",@progbits
; Kernel info:
; codeLenInByte = 3820
; NumSgprs: 54
; NumVgprs: 69
; NumAgprs: 0
; TotalNumVgprs: 69
; ScratchSize: 0
; MemoryBound: 0
; FloatMode: 240
; IeeeMode: 1
; LDSByteSize: 8192 bytes/workgroup (compile time only)
; SGPRBlocks: 6
; VGPRBlocks: 8
; NumSGPRsForWavesPerEU: 54
; NumVGPRsForWavesPerEU: 69
; AccumOffset: 72
; Occupancy: 7
; WaveLimiterHint : 1
; COMPUTE_PGM_RSRC2:SCRATCH_EN: 0
; COMPUTE_PGM_RSRC2:USER_SGPR: 2
; COMPUTE_PGM_RSRC2:TRAP_HANDLER: 0
; COMPUTE_PGM_RSRC2:TGID_X_EN: 1
; COMPUTE_PGM_RSRC2:TGID_Y_EN: 1
; COMPUTE_PGM_RSRC2:TGID_Z_EN: 1
; COMPUTE_PGM_RSRC2:TIDIG_COMP_CNT: 0
; COMPUTE_PGM_RSRC3_GFX90A:ACCUM_OFFSET: 17
; COMPUTE_PGM_RSRC3_GFX90A:TG_SPLIT: 0
	.section	.text._Z39paged_attention_ll4mi_QKV_mfma16_kernelIDF16_DF16_LN4vllm18Fp8KVCacheDataTypeE0EhLi16ELi64ELi256ELb0ELi11EEvPKT_PKT0_S7_ifPKiS9_S9_iPKfiiiPfSC_PS2_PT2_iSB_SB_,"axG",@progbits,_Z39paged_attention_ll4mi_QKV_mfma16_kernelIDF16_DF16_LN4vllm18Fp8KVCacheDataTypeE0EhLi16ELi64ELi256ELb0ELi11EEvPKT_PKT0_S7_ifPKiS9_S9_iPKfiiiPfSC_PS2_PT2_iSB_SB_,comdat
	.protected	_Z39paged_attention_ll4mi_QKV_mfma16_kernelIDF16_DF16_LN4vllm18Fp8KVCacheDataTypeE0EhLi16ELi64ELi256ELb0ELi11EEvPKT_PKT0_S7_ifPKiS9_S9_iPKfiiiPfSC_PS2_PT2_iSB_SB_ ; -- Begin function _Z39paged_attention_ll4mi_QKV_mfma16_kernelIDF16_DF16_LN4vllm18Fp8KVCacheDataTypeE0EhLi16ELi64ELi256ELb0ELi11EEvPKT_PKT0_S7_ifPKiS9_S9_iPKfiiiPfSC_PS2_PT2_iSB_SB_
	.globl	_Z39paged_attention_ll4mi_QKV_mfma16_kernelIDF16_DF16_LN4vllm18Fp8KVCacheDataTypeE0EhLi16ELi64ELi256ELb0ELi11EEvPKT_PKT0_S7_ifPKiS9_S9_iPKfiiiPfSC_PS2_PT2_iSB_SB_
	.p2align	8
	.type	_Z39paged_attention_ll4mi_QKV_mfma16_kernelIDF16_DF16_LN4vllm18Fp8KVCacheDataTypeE0EhLi16ELi64ELi256ELb0ELi11EEvPKT_PKT0_S7_ifPKiS9_S9_iPKfiiiPfSC_PS2_PT2_iSB_SB_,@function
_Z39paged_attention_ll4mi_QKV_mfma16_kernelIDF16_DF16_LN4vllm18Fp8KVCacheDataTypeE0EhLi16ELi64ELi256ELb0ELi11EEvPKT_PKT0_S7_ifPKiS9_S9_iPKfiiiPfSC_PS2_PT2_iSB_SB_: ; @_Z39paged_attention_ll4mi_QKV_mfma16_kernelIDF16_DF16_LN4vllm18Fp8KVCacheDataTypeE0EhLi16ELi64ELi256ELb0ELi11EEvPKT_PKT0_S7_ifPKiS9_S9_iPKfiiiPfSC_PS2_PT2_iSB_SB_
; %bb.0:
	s_load_dwordx2 s[12:13], s[0:1], 0x30
	s_mov_b32 s28, s3
	s_mov_b64 s[6:7], 0
	s_waitcnt lgkmcnt(0)
	s_cmp_lg_u64 s[12:13], 0
	s_cselect_b64 s[14:15], -1, 0
	s_and_b64 vcc, exec, s[14:15]
	s_cbranch_vccz .LBB46_7
; %bb.1:
	s_add_i32 s8, s2, 1
	s_mov_b32 s9, 0
	s_lshl_b64 s[10:11], s[8:9], 2
	s_add_u32 s10, s12, s10
	s_mov_b32 s3, s9
	s_addc_u32 s11, s13, s11
	s_lshl_b64 s[8:9], s[2:3], 2
	s_add_u32 s8, s12, s8
	s_addc_u32 s9, s13, s9
	s_load_dword s5, s[10:11], 0x0
	s_load_dword s16, s[8:9], 0x0
	s_waitcnt lgkmcnt(0)
	s_sub_i32 s5, s5, s16
	s_cmp_eq_u32 s5, 1
	s_cselect_b64 s[8:9], -1, 0
	s_andn2_b64 vcc, exec, s[6:7]
	s_cbranch_vccnz .LBB46_3
.LBB46_2:
	s_mov_b32 s3, 0
	s_mov_b64 s[8:9], -1
.LBB46_3:
	s_andn2_b64 vcc, exec, s[8:9]
	s_cbranch_vccnz .LBB46_18
; %bb.4:
	s_load_dwordx2 s[6:7], s[0:1], 0x28
	s_lshl_b64 s[16:17], s[2:3], 2
	s_waitcnt lgkmcnt(0)
	s_add_u32 s6, s6, s16
	s_addc_u32 s7, s7, s17
	s_load_dword s33, s[6:7], 0x0
	s_lshl_b32 s18, s28, 8
	s_waitcnt lgkmcnt(0)
	s_cmp_ge_i32 s18, s33
	s_cbranch_scc1 .LBB46_18
; %bb.5:
	s_load_dwordx2 s[6:7], s[0:1], 0x20
	s_load_dword s5, s[0:1], 0x38
	s_add_i32 s8, s33, 15
	s_ashr_i32 s9, s8, 31
	v_and_b32_e32 v1, 0xcf, v0
	s_lshr_b32 s9, s9, 28
	v_add_u32_e32 v1, s18, v1
	s_add_i32 s8, s8, s9
	v_ashrrev_i32_e32 v2, 31, v1
	s_ashr_i32 s19, s8, 4
	v_lshrrev_b32_e32 v6, 28, v2
	s_add_i32 s19, s19, -1
	s_waitcnt lgkmcnt(0)
	s_mul_i32 s8, s2, s5
	s_mov_b32 s9, 0
	v_add_u32_e32 v2, v1, v6
	s_lshl_b64 s[8:9], s[8:9], 2
	v_ashrrev_i32_e32 v2, 4, v2
	v_mov_b32_e32 v7, s19
	v_cmp_gt_i32_e32 vcc, s33, v1
	s_add_u32 s6, s6, s8
	s_addc_u32 s7, s7, s9
	v_cndmask_b32_e32 v2, v7, v2, vcc
	v_ashrrev_i32_e32 v3, 31, v2
	v_lshl_add_u64 v[4:5], v[2:3], 2, s[6:7]
	v_or_b32_e32 v2, 16, v1
	v_add_u32_e32 v3, v2, v6
	v_ashrrev_i32_e32 v3, 4, v3
	v_cmp_gt_i32_e32 vcc, s33, v2
	s_load_dwordx4 s[8:11], s[0:1], 0x8
	s_nop 0
	v_cndmask_b32_e32 v2, v7, v3, vcc
	v_ashrrev_i32_e32 v3, 31, v2
	v_lshl_add_u64 v[8:9], v[2:3], 2, s[6:7]
	v_or_b32_e32 v2, 32, v1
	v_add_u32_e32 v3, v2, v6
	v_ashrrev_i32_e32 v3, 4, v3
	v_cmp_gt_i32_e32 vcc, s33, v2
	v_or_b32_e32 v1, 48, v1
	s_nop 0
	v_cndmask_b32_e32 v2, v7, v3, vcc
	v_ashrrev_i32_e32 v3, 31, v2
	v_lshl_add_u64 v[12:13], v[2:3], 2, s[6:7]
	v_add_u32_e32 v2, v1, v6
	v_ashrrev_i32_e32 v2, 4, v2
	v_cmp_gt_i32_e32 vcc, s33, v1
	s_nop 1
	v_cndmask_b32_e32 v2, v7, v2, vcc
	v_ashrrev_i32_e32 v3, 31, v2
	v_lshl_add_u64 v[14:15], v[2:3], 2, s[6:7]
	global_load_dword v2, v[4:5], off
	global_load_dword v6, v[8:9], off
	;; [unrolled: 1-line block ×4, first 2 shown]
	s_andn2_b64 vcc, exec, s[14:15]
	s_cbranch_vccnz .LBB46_8
; %bb.6:
	s_add_u32 s12, s12, s16
	s_addc_u32 s13, s13, s17
	s_load_dword s5, s[12:13], 0x0
	s_branch .LBB46_9
.LBB46_7:
	s_mov_b64 s[8:9], 0
	s_branch .LBB46_2
.LBB46_8:
	s_mov_b32 s5, s2
.LBB46_9:
	s_load_dwordx4 s[44:47], s[0:1], 0x48
	v_lshrrev_b32_e32 v37, 6, v0
	v_bfe_u32 v54, v0, 4, 2
	v_lshl_or_b32 v1, v37, 2, v54
	v_and_b32_e32 v36, 15, v0
	v_lshlrev_b32_e32 v3, 3, v36
	v_cmp_gt_u32_e32 vcc, 11, v1
	v_cmp_gt_u32_e64 s[30:31], 8, v36
	v_and_b32_e32 v55, 63, v0
	s_mul_i32 s42, s4, 11
	s_and_b64 s[14:15], s[30:31], vcc
	v_lshlrev_b32_e32 v34, 1, v3
	s_and_saveexec_b64 s[12:13], s[14:15]
	s_cbranch_execz .LBB46_11
; %bb.10:
	s_load_dwordx2 s[14:15], s[0:1], 0x0
	s_waitcnt lgkmcnt(0)
	s_ashr_i32 s16, s44, 31
	s_mul_hi_u32 s17, s5, s44
	s_mul_i32 s16, s5, s16
	s_add_i32 s17, s17, s16
	s_mul_i32 s16, s5, s44
	s_lshl_b64 s[16:17], s[16:17], 1
	s_add_u32 s14, s14, s16
	v_add_lshl_u32 v4, v1, s42, 6
	s_addc_u32 s15, s15, s17
	v_ashrrev_i32_e32 v5, 31, v4
	v_lshl_add_u64 v[4:5], v[4:5], 1, s[14:15]
	v_mov_b32_e32 v35, 0
	v_lshl_add_u64 v[4:5], v[4:5], 0, v[34:35]
	global_load_dwordx4 v[12:15], v[4:5], off
	v_and_b32_e32 v3, 3, v0
	v_lshlrev_b32_e32 v4, 9, v36
	v_lshlrev_b32_e32 v1, 5, v1
	;; [unrolled: 1-line block ×3, first 2 shown]
	v_and_b32_e32 v4, 0x1800, v4
	v_or3_b32 v1, v4, v3, v1
	s_waitcnt vmcnt(0)
	ds_write_b128 v1, v[12:15]
.LBB46_11:
	s_or_b64 exec, exec, s[12:13]
	s_waitcnt lgkmcnt(0)
	s_mul_i32 s4, s4, s46
	s_mov_b32 s5, 0
	s_lshl_b64 s[4:5], s[4:5], 1
	s_add_u32 s8, s8, s4
	v_lshlrev_b32_e32 v1, 4, v0
	s_addc_u32 s9, s9, s5
	v_and_b32_e32 v30, 0xf0, v1
	v_mov_b32_e32 v31, 0
	v_lshl_add_u64 v[18:19], s[8:9], 0, v[30:31]
	s_waitcnt vmcnt(3)
	v_mad_i64_i32 v[2:3], s[8:9], v2, s45, 0
	v_lshl_add_u64 v[2:3], v[2:3], 1, v[18:19]
	v_and_b32_e32 v30, 0x300, v1
	v_lshl_add_u64 v[14:15], v[2:3], 0, v[30:31]
	s_load_dword s29, s[0:1], 0x98
	s_load_dword s12, s[0:1], 0x1c
	s_waitcnt lgkmcnt(0)
	s_barrier
	global_load_dwordx4 v[2:5], v[14:15], off
	global_load_dwordx4 v[26:29], v[14:15], off offset:1024
	s_waitcnt vmcnt(3)
	v_mad_i64_i32 v[10:11], s[8:9], v10, s45, 0
	v_lshl_add_u64 v[10:11], v[10:11], 1, v[18:19]
	v_lshl_add_u64 v[38:39], v[10:11], 0, v[30:31]
	global_load_dwordx4 v[10:13], v[38:39], off
	global_load_dwordx4 v[56:59], v[38:39], off offset:1024
	v_mad_i64_i32 v[6:7], s[8:9], v6, s45, 0
	v_lshl_add_u64 v[6:7], v[6:7], 1, v[18:19]
	v_lshl_add_u64 v[32:33], v[6:7], 0, v[30:31]
	global_load_dwordx4 v[6:9], v[32:33], off
	global_load_dwordx4 v[46:49], v[32:33], off offset:1024
	s_waitcnt vmcnt(6)
	v_mad_i64_i32 v[16:17], s[8:9], v16, s45, 0
	v_lshl_add_u64 v[16:17], v[16:17], 1, v[18:19]
	v_lshl_add_u64 v[40:41], v[16:17], 0, v[30:31]
	global_load_dwordx4 v[18:21], v[40:41], off
	v_add_u32_e32 v16, -11, v36
	v_cmp_gt_u32_e32 vcc, 11, v36
	global_load_dwordx4 v[38:41], v[40:41], off offset:1024
	v_and_or_b32 v30, v0, 48, s18
	v_cndmask_b32_e32 v16, v16, v36, vcc
	v_lshlrev_b32_e32 v16, 5, v16
	v_lshl_add_u32 v16, v54, 9, v16
	ds_read_b128 v[22:25], v16
	v_mov_b32_e32 v68, s19
	v_cmp_gt_i32_e32 vcc, s33, v30
	v_or_b32_e32 v32, 64, v30
	ds_read_b128 v[14:17], v16 offset:2048
	v_lshlrev_b32_e32 v35, 5, v36
	s_add_u32 s4, s10, s4
	s_addc_u32 s5, s11, s5
	s_mov_b32 s43, 0xff7fffff
	s_waitcnt vmcnt(7) lgkmcnt(1)
	v_mfma_f32_16x16x16_f16 v[42:45], v[2:3], v[22:23], 0
	v_ashrrev_i32_e32 v2, 4, v30
	v_cndmask_b32_e32 v2, v68, v2, vcc
	v_ashrrev_i32_e32 v3, 31, v2
	s_waitcnt vmcnt(5)
	v_mfma_f32_16x16x16_f16 v[60:63], v[10:11], v[22:23], 0
	v_lshl_add_u64 v[10:11], v[2:3], 2, s[6:7]
	v_cmp_gt_i32_e32 vcc, s33, v32
	v_mfma_f32_16x16x16_f16 v[2:5], v[4:5], v[24:25], v[42:45]
	s_nop 2
	global_load_dword v42, v[10:11], off
	s_waitcnt vmcnt(4)
	v_mfma_f32_16x16x16_f16 v[50:53], v[6:7], v[22:23], 0
	v_ashrrev_i32_e32 v6, 4, v32
	v_cndmask_b32_e32 v6, v68, v6, vcc
	v_ashrrev_i32_e32 v7, 31, v6
	v_lshl_add_u64 v[10:11], v[6:7], 2, s[6:7]
	global_load_dword v43, v[10:11], off
	s_waitcnt vmcnt(3)
	v_mfma_f32_16x16x16_f16 v[64:67], v[18:19], v[22:23], 0
	v_or_b32_e32 v22, 0x80, v30
	v_or_b32_e32 v23, 0xc0, v30
	v_ashrrev_i32_e32 v30, 4, v22
	v_cmp_gt_i32_e32 vcc, s33, v22
	v_ashrrev_i32_e32 v32, 4, v23
	v_mfma_f32_16x16x16_f16 v[6:9], v[8:9], v[24:25], v[50:53]
	v_cndmask_b32_e32 v22, v68, v30, vcc
	v_cmp_gt_i32_e32 vcc, s33, v23
	v_ashrrev_i32_e32 v23, 31, v22
	v_mfma_f32_16x16x16_f16 v[10:13], v[12:13], v[24:25], v[60:63]
	v_lshl_or_b32 v30, v37, 9, v35
	v_mfma_f32_16x16x16_f16 v[18:21], v[20:21], v[24:25], v[64:67]
	v_cndmask_b32_e32 v24, v68, v32, vcc
	v_ashrrev_i32_e32 v25, 31, v24
	v_lshl_add_u64 v[32:33], v[24:25], 2, s[6:7]
	s_waitcnt lgkmcnt(0)
	v_mfma_f32_16x16x16_f16 v[2:5], v[26:27], v[14:15], v[2:5]
	v_lshl_add_u64 v[26:27], v[22:23], 2, s[6:7]
	global_load_dword v60, v[26:27], off
	global_load_dword v61, v[32:33], off
	v_mfma_f32_16x16x16_f16 v[6:9], v[46:47], v[14:15], v[6:9]
	v_mfma_f32_16x16x16_f16 v[22:25], v[56:57], v[14:15], v[10:13]
	s_waitcnt vmcnt(4)
	v_mfma_f32_16x16x16_f16 v[18:21], v[38:39], v[14:15], v[18:21]
	s_nop 0
	v_lshl_add_u64 v[10:11], s[4:5], 0, v[30:31]
	s_waitcnt vmcnt(3)
	v_mad_i64_i32 v[26:27], s[4:5], v42, s45, 0
	v_mfma_f32_16x16x16_f16 v[12:15], v[28:29], v[16:17], v[2:5]
	v_lshl_add_u64 v[30:31], v[26:27], 1, v[10:11]
	s_waitcnt vmcnt(2)
	v_mad_i64_i32 v[32:33], s[4:5], v43, s45, 0
	v_mfma_f32_16x16x16_f16 v[26:29], v[48:49], v[16:17], v[6:9]
	s_nop 2
	v_pk_mul_f32 v[50:51], s[12:13], v[14:15] op_sel_hi:[0,1]
	v_pk_mul_f32 v[12:13], s[12:13], v[12:13] op_sel_hi:[0,1]
	v_lshl_add_u64 v[56:57], v[32:33], 1, v[10:11]
	v_mfma_f32_16x16x16_f16 v[22:25], v[58:59], v[16:17], v[22:25]
	global_load_dwordx4 v[6:9], v[30:31], off
	global_load_dwordx4 v[2:5], v[30:31], off offset:16
	v_pk_mul_f32 v[42:43], s[12:13], v[26:27] op_sel_hi:[0,1]
	v_pk_mul_f32 v[52:53], s[12:13], v[28:29] op_sel_hi:[0,1]
	v_mfma_f32_16x16x16_f16 v[14:17], v[40:41], v[16:17], v[18:21]
	s_nop 1
	v_pk_mul_f32 v[48:49], s[12:13], v[22:23] op_sel_hi:[0,1]
	v_pk_mul_f32 v[46:47], s[12:13], v[24:25] op_sel_hi:[0,1]
	global_load_dwordx4 v[30:33], v[56:57], off
	global_load_dwordx4 v[26:29], v[56:57], off offset:16
	s_nop 0
	v_pk_mul_f32 v[44:45], s[12:13], v[14:15] op_sel_hi:[0,1]
	v_and_b32_e32 v14, 0xc0, v0
	v_add_u32_e32 v14, s18, v14
	v_lshl_or_b32 v14, v54, 2, v14
	v_pk_mul_f32 v[38:39], s[12:13], v[16:17] op_sel_hi:[0,1]
	v_or_b32_e32 v17, 1, v14
	v_mov_b32_e32 v15, 0xff7fffff
	v_cmp_gt_i32_e64 s[4:5], s33, v14
	v_cmp_gt_i32_e64 s[34:35], s33, v17
	v_or_b32_e32 v18, 3, v14
	v_cndmask_b32_e64 v16, v15, v12, s[4:5]
	v_cndmask_b32_e64 v17, v15, v13, s[34:35]
	v_max3_f32 v16, v16, s43, v17
	v_or_b32_e32 v17, 2, v14
	v_cmp_gt_i32_e64 s[36:37], s33, v17
	v_cmp_gt_i32_e64 s[38:39], s33, v18
	s_nop 0
	v_cndmask_b32_e64 v17, v15, v50, s[36:37]
	v_cndmask_b32_e64 v18, v15, v51, s[38:39]
	v_max3_f32 v16, v16, v17, v18
	v_or_b32_e32 v17, 16, v14
	v_or_b32_e32 v18, 17, v14
	v_cmp_gt_i32_e64 s[24:25], s33, v17
	v_cmp_gt_i32_e64 s[26:27], s33, v18
	s_nop 0
	v_cndmask_b32_e64 v17, v15, v42, s[24:25]
	v_cndmask_b32_e64 v18, v15, v43, s[26:27]
	v_max3_f32 v16, v16, v17, v18
	v_or_b32_e32 v17, 18, v14
	;; [unrolled: 8-line block ×6, first 2 shown]
	v_or_b32_e32 v14, 51, v14
	v_cmp_gt_i32_e32 vcc, s33, v17
	v_cmp_gt_i32_e64 s[6:7], s33, v14
	s_nop 0
	v_cndmask_b32_e32 v17, v15, v38, vcc
	v_cndmask_b32_e64 v14, v15, v39, s[6:7]
	v_max3_f32 v16, v16, v17, v14
	v_mbcnt_lo_u32_b32 v14, -1, 0
	v_mbcnt_hi_u32_b32 v17, -1, v14
	v_and_b32_e32 v14, 64, v17
	v_add_u32_e32 v18, 64, v14
	v_xor_b32_e32 v14, 32, v17
	v_cmp_lt_i32_e64 s[40:41], v14, v18
	s_nop 1
	v_cndmask_b32_e64 v14, v17, v14, s[40:41]
	v_lshlrev_b32_e32 v58, 2, v14
	ds_bpermute_b32 v19, v58, v16
	s_waitcnt vmcnt(5)
	v_mad_i64_i32 v[14:15], s[40:41], v60, s45, 0
	v_lshl_add_u64 v[14:15], v[14:15], 1, v[10:11]
	s_waitcnt lgkmcnt(0)
	v_max_f32_e32 v19, v19, v19
	v_max_f32_e32 v16, v16, v19
	v_xor_b32_e32 v19, 16, v17
	v_cmp_lt_i32_e64 s[40:41], v19, v18
	s_nop 1
	v_cndmask_b32_e64 v17, v17, v19, s[40:41]
	v_lshlrev_b32_e32 v57, 2, v17
	ds_bpermute_b32 v17, v57, v16
	global_load_dwordx4 v[22:25], v[14:15], off
	global_load_dwordx4 v[18:21], v[14:15], off offset:16
	s_waitcnt vmcnt(6)
	v_mad_i64_i32 v[14:15], s[40:41], v61, s45, 0
	v_lshl_add_u64 v[10:11], v[14:15], 1, v[10:11]
	s_waitcnt lgkmcnt(0)
	v_max_f32_e32 v14, v17, v17
	v_max_f32_e32 v56, v16, v14
	v_sub_f32_e32 v12, v12, v56
	v_mul_f32_e32 v12, 0x3fb8aa3b, v12
	v_exp_f32_e32 v40, v12
	v_sub_f32_e32 v12, v13, v56
	v_mul_f32_e32 v12, 0x3fb8aa3b, v12
	v_exp_f32_e32 v41, v12
	global_load_dwordx4 v[14:17], v[10:11], off
	s_nop 0
	global_load_dwordx4 v[10:13], v[10:11], off offset:16
	v_sub_f32_e32 v50, v50, v56
	v_mul_f32_e32 v50, 0x3fb8aa3b, v50
	v_sub_f32_e32 v51, v51, v56
	v_exp_f32_e32 v50, v50
	v_mul_f32_e32 v51, 0x3fb8aa3b, v51
	v_sub_f32_e32 v42, v42, v56
	v_exp_f32_e32 v51, v51
	v_mul_f32_e32 v42, 0x3fb8aa3b, v42
	v_sub_f32_e32 v43, v43, v56
	v_cndmask_b32_e64 v40, 0, v40, s[4:5]
	v_exp_f32_e32 v42, v42
	v_mul_f32_e32 v43, 0x3fb8aa3b, v43
	v_sub_f32_e32 v52, v52, v56
	v_add_f32_e32 v59, 0, v40
	v_cndmask_b32_e64 v41, 0, v41, s[34:35]
	v_exp_f32_e32 v43, v43
	v_mul_f32_e32 v52, 0x3fb8aa3b, v52
	v_sub_f32_e32 v53, v53, v56
	v_add_f32_e32 v59, v59, v41
	;; [unrolled: 5-line block ×10, first 2 shown]
	v_cndmask_b32_e64 v46, 0, v46, s[12:13]
	v_exp_f32_e32 v38, v38
	v_mul_f32_e32 v39, 0x3fb8aa3b, v39
	v_add_f32_e32 v59, v59, v46
	v_cndmask_b32_e64 v47, 0, v47, s[14:15]
	v_exp_f32_e32 v39, v39
	v_add_f32_e32 v59, v59, v47
	v_cndmask_b32_e64 v44, 0, v44, s[8:9]
	v_add_f32_e32 v59, v59, v44
	v_cndmask_b32_e64 v45, 0, v45, s[10:11]
	v_add_f32_e32 v59, v59, v45
	v_cndmask_b32_e32 v38, 0, v38, vcc
	v_add_f32_e32 v59, v59, v38
	v_cndmask_b32_e64 v39, 0, v39, s[6:7]
	v_add_f32_e32 v59, v59, v39
	ds_bpermute_b32 v58, v58, v59
	v_cmp_gt_u32_e32 vcc, 16, v55
	s_waitcnt lgkmcnt(0)
	s_barrier
	v_add_f32_e32 v58, v59, v58
	ds_bpermute_b32 v59, v57, v58
	v_lshlrev_b32_e32 v57, 2, v36
	s_and_saveexec_b64 s[4:5], vcc
	s_cbranch_execz .LBB46_13
; %bb.12:
	s_waitcnt lgkmcnt(0)
	v_add_f32_e32 v55, v58, v59
	v_lshl_or_b32 v58, v37, 6, v57
	ds_write2st64_b32 v58, v56, v55 offset1:1
.LBB46_13:
	s_or_b64 exec, exec, s[4:5]
	s_load_dword s6, s[0:1], 0x94
	s_waitcnt lgkmcnt(0)
	s_barrier
	ds_read2_b32 v[58:59], v57 offset1:16
	ds_read2_b32 v[60:61], v57 offset0:32 offset1:48
	ds_read2_b32 v[62:63], v57 offset0:64 offset1:80
	s_mul_i32 s7, s29, 11
	s_waitcnt lgkmcnt(2)
	v_max3_f32 v55, v58, s43, v59
	s_waitcnt lgkmcnt(1)
	v_max3_f32 v55, v55, v60, v61
	v_sub_f32_e32 v56, v58, v55
	v_mul_f32_e32 v56, 0x3fb8aa3b, v56
	v_exp_f32_e32 v64, v56
	v_sub_f32_e32 v56, v59, v55
	v_mul_f32_e32 v56, 0x3fb8aa3b, v56
	v_exp_f32_e32 v65, v56
	;; [unrolled: 3-line block ×3, first 2 shown]
	ds_read2_b32 v[58:59], v57 offset0:96 offset1:112
	v_sub_f32_e32 v56, v61, v55
	v_mul_f32_e32 v56, 0x3fb8aa3b, v56
	v_exp_f32_e32 v57, v56
	s_waitcnt lgkmcnt(1)
	v_fma_f32 v56, v64, v62, 0
	v_fmac_f32_e32 v56, v65, v63
	s_waitcnt lgkmcnt(0)
	v_fmac_f32_e32 v56, v60, v58
	v_fmac_f32_e32 v56, v57, v59
	v_add_f32_e32 v58, 0x358637bd, v56
	v_div_scale_f32 v59, s[4:5], v58, v58, 1.0
	v_rcp_f32_e32 v61, v59
	s_barrier
	v_fma_f32 v62, -v59, v61, 1.0
	v_fmac_f32_e32 v61, v62, v61
	v_div_scale_f32 v62, vcc, 1.0, v58, 1.0
	v_mul_f32_e32 v63, v62, v61
	v_fma_f32 v66, -v59, v63, v62
	v_fmac_f32_e32 v63, v66, v61
	v_fma_f32 v59, -v59, v63, v62
	v_div_fmas_f32 v59, v59, v61, v63
	v_cmp_eq_u32_e32 vcc, 1, v37
	v_div_fixup_f32 v58, v59, v58, 1.0
	s_nop 0
	v_cndmask_b32_e32 v59, v64, v65, vcc
	v_cmp_eq_u32_e32 vcc, 2, v37
	s_nop 1
	v_cndmask_b32_e32 v59, v59, v60, vcc
	v_cmp_eq_u32_e32 vcc, 3, v37
	v_lshlrev_b32_e32 v37, 11, v37
	s_nop 0
	v_cndmask_b32_e32 v57, v59, v57, vcc
	v_mul_f32_e32 v58, v57, v58
	v_pk_mul_f32 v[40:41], v[58:59], v[40:41] op_sel_hi:[0,1]
	v_cvt_f16_f32_e32 v40, v40
	v_cvt_f16_f32_e32 v41, v41
	v_pk_mul_f32 v[50:51], v[58:59], v[50:51] op_sel_hi:[0,1]
	v_cvt_f16_f32_e32 v57, v50
	v_cvt_f16_f32_e32 v51, v51
	v_pack_b32_f16 v50, v40, v41
	v_pk_mul_f32 v[40:41], v[58:59], v[52:53] op_sel_hi:[0,1]
	v_pk_mul_f32 v[42:43], v[58:59], v[42:43] op_sel_hi:[0,1]
	v_cvt_f16_f32_e32 v42, v42
	v_cvt_f16_f32_e32 v43, v43
	;; [unrolled: 1-line block ×4, first 2 shown]
	v_pack_b32_f16 v51, v57, v51
	v_lshlrev_b32_e32 v57, 3, v54
	v_or3_b32 v40, v37, v35, v57
	v_pack_b32_f16 v42, v42, v43
	v_pack_b32_f16 v43, v52, v41
	ds_write2st64_b64 v40, v[50:51], v[42:43] offset1:1
	v_pk_mul_f32 v[42:43], v[58:59], v[46:47] op_sel_hi:[0,1]
	v_pk_mul_f32 v[46:47], v[58:59], v[48:49] op_sel_hi:[0,1]
	v_cvt_f16_f32_e32 v37, v46
	v_cvt_f16_f32_e32 v41, v47
	;; [unrolled: 1-line block ×4, first 2 shown]
	v_pk_mul_f32 v[38:39], v[58:59], v[38:39] op_sel_hi:[0,1]
	v_pk_mul_f32 v[42:43], v[58:59], v[44:45] op_sel_hi:[0,1]
	v_cvt_f16_f32_e32 v42, v42
	v_cvt_f16_f32_e32 v43, v43
	v_cvt_f16_f32_e32 v44, v38
	v_cvt_f16_f32_e32 v45, v39
	v_pack_b32_f16 v38, v37, v41
	v_pack_b32_f16 v39, v46, v47
	;; [unrolled: 1-line block ×4, first 2 shown]
	v_cmp_gt_u32_e32 vcc, 11, v0
	ds_write2st64_b64 v40, v[38:39], v[42:43] offset0:2 offset1:3
	s_and_saveexec_b64 s[4:5], vcc
	s_cbranch_execz .LBB46_15
; %bb.14:
	s_mov_b32 s43, 0
	v_mov_b32_e32 v37, 0
	v_lshl_add_u64 v[38:39], s[42:43], 0, v[36:37]
	v_mov_b32_e32 v36, s7
	v_mad_u64_u32 v[38:39], s[12:13], s2, v36, v[38:39]
	v_mov_b32_e32 v36, s28
	s_load_dwordx4 s[8:11], s[0:1], 0x58
	s_mul_i32 s3, s3, s7
	v_mad_u64_u32 v[36:37], s[12:13], v38, s6, v[36:37]
	v_add_u32_e32 v39, s3, v39
	v_mov_b32_e32 v38, v37
	v_mad_u64_u32 v[38:39], s[12:13], v39, s6, v[38:39]
	v_mov_b32_e32 v37, v38
	v_lshlrev_b64 v[36:37], 2, v[36:37]
	s_waitcnt lgkmcnt(0)
	v_lshl_add_u64 v[38:39], s[10:11], 0, v[36:37]
	v_lshl_add_u64 v[36:37], s[8:9], 0, v[36:37]
	global_store_dword v[38:39], v55, off
	global_store_dword v[36:37], v56, off
.LBB46_15:
	s_or_b64 exec, exec, s[4:5]
	v_lshl_or_b32 v35, v54, 9, v35
	s_waitcnt lgkmcnt(0)
	s_barrier
	ds_read_b128 v[36:39], v35
	ds_read_b128 v[42:45], v35 offset:16
	s_waitcnt vmcnt(7) lgkmcnt(1)
	v_mfma_f32_16x16x16_f16 v[46:49], v[6:7], v[36:37], 0
	v_cmp_gt_u32_e32 vcc, 64, v0
	s_mov_b32 s3, 0
	s_and_b64 s[4:5], vcc, s[30:31]
	v_mfma_f32_16x16x16_f16 v[6:9], v[8:9], v[38:39], v[46:49]
	s_waitcnt vmcnt(6) lgkmcnt(0)
	v_mfma_f32_16x16x16_f16 v[6:9], v[2:3], v[42:43], v[6:9]
	v_mfma_f32_16x16x16_f16 v[2:5], v[4:5], v[44:45], v[6:9]
	s_nop 5
	ds_read_b128 v[6:9], v35 offset:2048
	ds_read_b128 v[36:39], v35 offset:2064
	s_waitcnt vmcnt(5) lgkmcnt(1)
	v_mfma_f32_16x16x16_f16 v[2:5], v[30:31], v[6:7], v[2:5]
	v_mfma_f32_16x16x16_f16 v[2:5], v[32:33], v[8:9], v[2:5]
	s_waitcnt vmcnt(4) lgkmcnt(0)
	v_mfma_f32_16x16x16_f16 v[2:5], v[26:27], v[36:37], v[2:5]
	v_mfma_f32_16x16x16_f16 v[2:5], v[28:29], v[38:39], v[2:5]
	ds_read_b128 v[6:9], v35 offset:4096
	ds_read_b128 v[26:29], v35 offset:4112
	s_waitcnt vmcnt(3) lgkmcnt(1)
	v_mfma_f32_16x16x16_f16 v[2:5], v[22:23], v[6:7], v[2:5]
	v_mfma_f32_16x16x16_f16 v[2:5], v[24:25], v[8:9], v[2:5]
	s_waitcnt vmcnt(2) lgkmcnt(0)
	v_mfma_f32_16x16x16_f16 v[2:5], v[18:19], v[26:27], v[2:5]
	v_mfma_f32_16x16x16_f16 v[2:5], v[20:21], v[28:29], v[2:5]
	ds_read_b128 v[6:9], v35 offset:6144
	ds_read_b128 v[18:21], v35 offset:6160
	v_mov_b32_e32 v35, 0
	s_waitcnt vmcnt(1) lgkmcnt(0)
	v_mfma_f32_16x16x16_f16 v[2:5], v[14:15], v[6:7], v[2:5]
	s_barrier
	v_mfma_f32_16x16x16_f16 v[2:5], v[16:17], v[8:9], v[2:5]
	s_waitcnt vmcnt(0)
	v_mfma_f32_16x16x16_f16 v[2:5], v[10:11], v[18:19], v[2:5]
	v_mfma_f32_16x16x16_f16 v[2:5], v[12:13], v[20:21], v[2:5]
	s_nop 6
	v_cvt_f16_f32_e32 v2, v2
	v_cvt_f16_f32_e32 v3, v3
	;; [unrolled: 1-line block ×4, first 2 shown]
	v_pack_b32_f16 v2, v2, v3
	v_pack_b32_f16 v3, v4, v5
	ds_write_b64 v40, v[2:3]
	s_waitcnt lgkmcnt(0)
	s_barrier
	s_and_saveexec_b64 s[8:9], s[4:5]
	s_cbranch_execz .LBB46_18
; %bb.16:
	s_load_dwordx2 s[4:5], s[0:1], 0x68
	s_lshl_b32 s0, s6, 6
	s_mul_i32 s1, s7, s2
	s_mul_hi_u32 s7, s1, s0
	s_mul_i32 s6, s1, s0
	v_lshlrev_b32_e32 v0, 10, v0
	s_lshl_b64 s[6:7], s[6:7], 1
	v_and_b32_e32 v0, 0x1800, v0
	v_lshlrev_b32_e32 v2, 5, v54
	v_and_b32_e32 v1, 16, v1
	s_waitcnt lgkmcnt(0)
	s_add_u32 s1, s4, s6
	v_or3_b32 v2, v0, v2, v1
	s_addc_u32 s4, s5, s7
	s_lshl_b32 s2, s28, 6
	s_lshl_b64 s[2:3], s[2:3], 1
	ds_read_b128 v[4:7], v2 offset:128
	ds_read_b128 v[8:11], v2
	s_add_u32 s2, s1, s2
	s_addc_u32 s3, s4, s3
	v_add_u32_e32 v3, s42, v54
	v_lshl_add_u64 v[0:1], s[2:3], 0, v[34:35]
	v_mad_u64_u32 v[12:13], s[2:3], v3, s0, 0
	v_lshl_add_u64 v[12:13], v[12:13], 1, v[0:1]
	v_add_u32_e32 v3, 4, v3
	s_waitcnt lgkmcnt(0)
	global_store_dwordx4 v[12:13], v[8:11], off
	v_cmp_ne_u32_e32 vcc, 3, v54
	s_nop 0
	v_mad_u64_u32 v[8:9], s[2:3], v3, s0, 0
	v_lshl_add_u64 v[8:9], v[8:9], 1, v[0:1]
	global_store_dwordx4 v[8:9], v[4:7], off
	s_and_b64 exec, exec, vcc
	s_cbranch_execz .LBB46_18
; %bb.17:
	ds_read_b128 v[2:5], v2 offset:256
	v_add3_u32 v6, s42, v54, 8
	v_mad_u64_u32 v[6:7], s[0:1], v6, s0, 0
	v_lshl_add_u64 v[0:1], v[6:7], 1, v[0:1]
	s_waitcnt lgkmcnt(0)
	global_store_dwordx4 v[0:1], v[2:5], off
.LBB46_18:
	s_endpgm
	.section	.rodata,"a",@progbits
	.p2align	6, 0x0
	.amdhsa_kernel _Z39paged_attention_ll4mi_QKV_mfma16_kernelIDF16_DF16_LN4vllm18Fp8KVCacheDataTypeE0EhLi16ELi64ELi256ELb0ELi11EEvPKT_PKT0_S7_ifPKiS9_S9_iPKfiiiPfSC_PS2_PT2_iSB_SB_
		.amdhsa_group_segment_fixed_size 8192
		.amdhsa_private_segment_fixed_size 0
		.amdhsa_kernarg_size 400
		.amdhsa_user_sgpr_count 2
		.amdhsa_user_sgpr_dispatch_ptr 0
		.amdhsa_user_sgpr_queue_ptr 0
		.amdhsa_user_sgpr_kernarg_segment_ptr 1
		.amdhsa_user_sgpr_dispatch_id 0
		.amdhsa_user_sgpr_kernarg_preload_length 0
		.amdhsa_user_sgpr_kernarg_preload_offset 0
		.amdhsa_user_sgpr_private_segment_size 0
		.amdhsa_uses_dynamic_stack 0
		.amdhsa_enable_private_segment 0
		.amdhsa_system_sgpr_workgroup_id_x 1
		.amdhsa_system_sgpr_workgroup_id_y 1
		.amdhsa_system_sgpr_workgroup_id_z 1
		.amdhsa_system_sgpr_workgroup_info 0
		.amdhsa_system_vgpr_workitem_id 0
		.amdhsa_next_free_vgpr 69
		.amdhsa_next_free_sgpr 48
		.amdhsa_accum_offset 72
		.amdhsa_reserve_vcc 1
		.amdhsa_float_round_mode_32 0
		.amdhsa_float_round_mode_16_64 0
		.amdhsa_float_denorm_mode_32 3
		.amdhsa_float_denorm_mode_16_64 3
		.amdhsa_dx10_clamp 1
		.amdhsa_ieee_mode 1
		.amdhsa_fp16_overflow 0
		.amdhsa_tg_split 0
		.amdhsa_exception_fp_ieee_invalid_op 0
		.amdhsa_exception_fp_denorm_src 0
		.amdhsa_exception_fp_ieee_div_zero 0
		.amdhsa_exception_fp_ieee_overflow 0
		.amdhsa_exception_fp_ieee_underflow 0
		.amdhsa_exception_fp_ieee_inexact 0
		.amdhsa_exception_int_div_zero 0
	.end_amdhsa_kernel
	.section	.text._Z39paged_attention_ll4mi_QKV_mfma16_kernelIDF16_DF16_LN4vllm18Fp8KVCacheDataTypeE0EhLi16ELi64ELi256ELb0ELi11EEvPKT_PKT0_S7_ifPKiS9_S9_iPKfiiiPfSC_PS2_PT2_iSB_SB_,"axG",@progbits,_Z39paged_attention_ll4mi_QKV_mfma16_kernelIDF16_DF16_LN4vllm18Fp8KVCacheDataTypeE0EhLi16ELi64ELi256ELb0ELi11EEvPKT_PKT0_S7_ifPKiS9_S9_iPKfiiiPfSC_PS2_PT2_iSB_SB_,comdat
.Lfunc_end46:
	.size	_Z39paged_attention_ll4mi_QKV_mfma16_kernelIDF16_DF16_LN4vllm18Fp8KVCacheDataTypeE0EhLi16ELi64ELi256ELb0ELi11EEvPKT_PKT0_S7_ifPKiS9_S9_iPKfiiiPfSC_PS2_PT2_iSB_SB_, .Lfunc_end46-_Z39paged_attention_ll4mi_QKV_mfma16_kernelIDF16_DF16_LN4vllm18Fp8KVCacheDataTypeE0EhLi16ELi64ELi256ELb0ELi11EEvPKT_PKT0_S7_ifPKiS9_S9_iPKfiiiPfSC_PS2_PT2_iSB_SB_
                                        ; -- End function
	.section	.AMDGPU.csdata,"",@progbits
; Kernel info:
; codeLenInByte = 3824
; NumSgprs: 54
; NumVgprs: 69
; NumAgprs: 0
; TotalNumVgprs: 69
; ScratchSize: 0
; MemoryBound: 0
; FloatMode: 240
; IeeeMode: 1
; LDSByteSize: 8192 bytes/workgroup (compile time only)
; SGPRBlocks: 6
; VGPRBlocks: 8
; NumSGPRsForWavesPerEU: 54
; NumVGPRsForWavesPerEU: 69
; AccumOffset: 72
; Occupancy: 7
; WaveLimiterHint : 1
; COMPUTE_PGM_RSRC2:SCRATCH_EN: 0
; COMPUTE_PGM_RSRC2:USER_SGPR: 2
; COMPUTE_PGM_RSRC2:TRAP_HANDLER: 0
; COMPUTE_PGM_RSRC2:TGID_X_EN: 1
; COMPUTE_PGM_RSRC2:TGID_Y_EN: 1
; COMPUTE_PGM_RSRC2:TGID_Z_EN: 1
; COMPUTE_PGM_RSRC2:TIDIG_COMP_CNT: 0
; COMPUTE_PGM_RSRC3_GFX90A:ACCUM_OFFSET: 17
; COMPUTE_PGM_RSRC3_GFX90A:TG_SPLIT: 0
	.section	.text._Z39paged_attention_ll4mi_QKV_mfma16_kernelIDF16_DF16_LN4vllm18Fp8KVCacheDataTypeE0EhLi16ELi64ELi256ELb0ELi12EEvPKT_PKT0_S7_ifPKiS9_S9_iPKfiiiPfSC_PS2_PT2_iSB_SB_,"axG",@progbits,_Z39paged_attention_ll4mi_QKV_mfma16_kernelIDF16_DF16_LN4vllm18Fp8KVCacheDataTypeE0EhLi16ELi64ELi256ELb0ELi12EEvPKT_PKT0_S7_ifPKiS9_S9_iPKfiiiPfSC_PS2_PT2_iSB_SB_,comdat
	.protected	_Z39paged_attention_ll4mi_QKV_mfma16_kernelIDF16_DF16_LN4vllm18Fp8KVCacheDataTypeE0EhLi16ELi64ELi256ELb0ELi12EEvPKT_PKT0_S7_ifPKiS9_S9_iPKfiiiPfSC_PS2_PT2_iSB_SB_ ; -- Begin function _Z39paged_attention_ll4mi_QKV_mfma16_kernelIDF16_DF16_LN4vllm18Fp8KVCacheDataTypeE0EhLi16ELi64ELi256ELb0ELi12EEvPKT_PKT0_S7_ifPKiS9_S9_iPKfiiiPfSC_PS2_PT2_iSB_SB_
	.globl	_Z39paged_attention_ll4mi_QKV_mfma16_kernelIDF16_DF16_LN4vllm18Fp8KVCacheDataTypeE0EhLi16ELi64ELi256ELb0ELi12EEvPKT_PKT0_S7_ifPKiS9_S9_iPKfiiiPfSC_PS2_PT2_iSB_SB_
	.p2align	8
	.type	_Z39paged_attention_ll4mi_QKV_mfma16_kernelIDF16_DF16_LN4vllm18Fp8KVCacheDataTypeE0EhLi16ELi64ELi256ELb0ELi12EEvPKT_PKT0_S7_ifPKiS9_S9_iPKfiiiPfSC_PS2_PT2_iSB_SB_,@function
_Z39paged_attention_ll4mi_QKV_mfma16_kernelIDF16_DF16_LN4vllm18Fp8KVCacheDataTypeE0EhLi16ELi64ELi256ELb0ELi12EEvPKT_PKT0_S7_ifPKiS9_S9_iPKfiiiPfSC_PS2_PT2_iSB_SB_: ; @_Z39paged_attention_ll4mi_QKV_mfma16_kernelIDF16_DF16_LN4vllm18Fp8KVCacheDataTypeE0EhLi16ELi64ELi256ELb0ELi12EEvPKT_PKT0_S7_ifPKiS9_S9_iPKfiiiPfSC_PS2_PT2_iSB_SB_
; %bb.0:
	s_load_dwordx2 s[12:13], s[0:1], 0x30
	s_mov_b32 s28, s3
	s_mov_b64 s[6:7], 0
	s_waitcnt lgkmcnt(0)
	s_cmp_lg_u64 s[12:13], 0
	s_cselect_b64 s[14:15], -1, 0
	s_and_b64 vcc, exec, s[14:15]
	s_cbranch_vccz .LBB47_7
; %bb.1:
	s_add_i32 s8, s2, 1
	s_mov_b32 s9, 0
	s_lshl_b64 s[10:11], s[8:9], 2
	s_add_u32 s10, s12, s10
	s_mov_b32 s3, s9
	s_addc_u32 s11, s13, s11
	s_lshl_b64 s[8:9], s[2:3], 2
	s_add_u32 s8, s12, s8
	s_addc_u32 s9, s13, s9
	s_load_dword s5, s[10:11], 0x0
	s_load_dword s16, s[8:9], 0x0
	s_waitcnt lgkmcnt(0)
	s_sub_i32 s5, s5, s16
	s_cmp_eq_u32 s5, 1
	s_cselect_b64 s[8:9], -1, 0
	s_andn2_b64 vcc, exec, s[6:7]
	s_cbranch_vccnz .LBB47_3
.LBB47_2:
	s_mov_b32 s3, 0
	s_mov_b64 s[8:9], -1
.LBB47_3:
	s_andn2_b64 vcc, exec, s[8:9]
	s_cbranch_vccnz .LBB47_17
; %bb.4:
	s_load_dwordx2 s[6:7], s[0:1], 0x28
	s_lshl_b64 s[16:17], s[2:3], 2
	s_waitcnt lgkmcnt(0)
	s_add_u32 s6, s6, s16
	s_addc_u32 s7, s7, s17
	s_load_dword s33, s[6:7], 0x0
	s_lshl_b32 s18, s28, 8
	s_waitcnt lgkmcnt(0)
	s_cmp_ge_i32 s18, s33
	s_cbranch_scc1 .LBB47_17
; %bb.5:
	s_load_dwordx2 s[6:7], s[0:1], 0x20
	s_load_dword s5, s[0:1], 0x38
	s_add_i32 s8, s33, 15
	s_ashr_i32 s9, s8, 31
	v_and_b32_e32 v1, 0xcf, v0
	s_lshr_b32 s9, s9, 28
	v_add_u32_e32 v1, s18, v1
	s_add_i32 s8, s8, s9
	v_ashrrev_i32_e32 v2, 31, v1
	s_ashr_i32 s19, s8, 4
	v_lshrrev_b32_e32 v6, 28, v2
	s_add_i32 s19, s19, -1
	s_waitcnt lgkmcnt(0)
	s_mul_i32 s8, s2, s5
	s_mov_b32 s9, 0
	v_add_u32_e32 v2, v1, v6
	s_lshl_b64 s[8:9], s[8:9], 2
	v_ashrrev_i32_e32 v2, 4, v2
	v_mov_b32_e32 v7, s19
	v_cmp_gt_i32_e32 vcc, s33, v1
	s_add_u32 s6, s6, s8
	s_addc_u32 s7, s7, s9
	v_cndmask_b32_e32 v2, v7, v2, vcc
	v_ashrrev_i32_e32 v3, 31, v2
	v_lshl_add_u64 v[4:5], v[2:3], 2, s[6:7]
	v_or_b32_e32 v2, 16, v1
	v_add_u32_e32 v3, v2, v6
	v_ashrrev_i32_e32 v3, 4, v3
	v_cmp_gt_i32_e32 vcc, s33, v2
	s_load_dwordx4 s[8:11], s[0:1], 0x8
	s_nop 0
	v_cndmask_b32_e32 v2, v7, v3, vcc
	v_ashrrev_i32_e32 v3, 31, v2
	v_lshl_add_u64 v[8:9], v[2:3], 2, s[6:7]
	v_or_b32_e32 v2, 32, v1
	v_add_u32_e32 v3, v2, v6
	v_ashrrev_i32_e32 v3, 4, v3
	v_cmp_gt_i32_e32 vcc, s33, v2
	v_or_b32_e32 v1, 48, v1
	s_nop 0
	v_cndmask_b32_e32 v2, v7, v3, vcc
	v_ashrrev_i32_e32 v3, 31, v2
	v_lshl_add_u64 v[12:13], v[2:3], 2, s[6:7]
	v_add_u32_e32 v2, v1, v6
	v_ashrrev_i32_e32 v2, 4, v2
	v_cmp_gt_i32_e32 vcc, s33, v1
	s_nop 1
	v_cndmask_b32_e32 v2, v7, v2, vcc
	v_ashrrev_i32_e32 v3, 31, v2
	v_lshl_add_u64 v[14:15], v[2:3], 2, s[6:7]
	global_load_dword v2, v[4:5], off
	global_load_dword v6, v[8:9], off
	;; [unrolled: 1-line block ×4, first 2 shown]
	s_andn2_b64 vcc, exec, s[14:15]
	s_cbranch_vccnz .LBB47_8
; %bb.6:
	s_add_u32 s12, s12, s16
	s_addc_u32 s13, s13, s17
	s_load_dword s5, s[12:13], 0x0
	s_branch .LBB47_9
.LBB47_7:
	s_mov_b64 s[8:9], 0
	s_branch .LBB47_2
.LBB47_8:
	s_mov_b32 s5, s2
.LBB47_9:
	s_load_dwordx4 s[44:47], s[0:1], 0x48
	v_and_b32_e32 v36, 15, v0
	s_movk_i32 s12, 0xc0
	v_lshlrev_b32_e32 v3, 3, v36
	v_cmp_gt_u32_e32 vcc, s12, v0
	v_cmp_gt_u32_e64 s[30:31], 8, v36
	v_lshrrev_b32_e32 v37, 6, v0
	v_and_b32_e32 v55, 63, v0
	v_bfe_u32 v1, v0, 4, 2
	s_mul_i32 s42, s4, 12
	s_and_b64 s[14:15], vcc, s[30:31]
	v_lshlrev_b32_e32 v34, 1, v3
	s_and_saveexec_b64 s[12:13], s[14:15]
	s_cbranch_execz .LBB47_11
; %bb.10:
	s_load_dwordx2 s[14:15], s[0:1], 0x0
	s_waitcnt lgkmcnt(0)
	s_ashr_i32 s16, s44, 31
	s_mul_hi_u32 s17, s5, s44
	s_mul_i32 s16, s5, s16
	s_add_i32 s17, s17, s16
	s_mul_i32 s16, s5, s44
	v_lshl_or_b32 v3, v37, 2, v1
	s_lshl_b64 s[16:17], s[16:17], 1
	s_add_u32 s14, s14, s16
	v_add_lshl_u32 v4, v3, s42, 6
	s_addc_u32 s15, s15, s17
	v_ashrrev_i32_e32 v5, 31, v4
	v_lshl_add_u64 v[4:5], v[4:5], 1, s[14:15]
	v_mov_b32_e32 v35, 0
	v_lshl_add_u64 v[4:5], v[4:5], 0, v[34:35]
	global_load_dwordx4 v[12:15], v[4:5], off
	v_and_b32_e32 v4, 3, v0
	v_lshlrev_b32_e32 v5, 9, v36
	v_lshlrev_b32_e32 v3, 5, v3
	;; [unrolled: 1-line block ×3, first 2 shown]
	v_and_b32_e32 v5, 0x1800, v5
	v_or3_b32 v3, v5, v4, v3
	s_waitcnt vmcnt(0)
	ds_write_b128 v3, v[12:15]
.LBB47_11:
	s_or_b64 exec, exec, s[12:13]
	s_waitcnt lgkmcnt(0)
	s_mul_i32 s4, s4, s46
	s_mov_b32 s5, 0
	s_lshl_b64 s[4:5], s[4:5], 1
	s_add_u32 s8, s8, s4
	v_lshlrev_b32_e32 v54, 4, v0
	s_addc_u32 s9, s9, s5
	v_and_b32_e32 v30, 0xf0, v54
	v_mov_b32_e32 v31, 0
	v_lshl_add_u64 v[18:19], s[8:9], 0, v[30:31]
	s_waitcnt vmcnt(3)
	v_mad_i64_i32 v[2:3], s[8:9], v2, s45, 0
	v_lshl_add_u64 v[2:3], v[2:3], 1, v[18:19]
	v_and_b32_e32 v30, 0x300, v54
	v_lshl_add_u64 v[14:15], v[2:3], 0, v[30:31]
	s_load_dword s29, s[0:1], 0x98
	s_load_dword s12, s[0:1], 0x1c
	s_waitcnt lgkmcnt(0)
	s_barrier
	global_load_dwordx4 v[2:5], v[14:15], off
	global_load_dwordx4 v[26:29], v[14:15], off offset:1024
	s_waitcnt vmcnt(3)
	v_mad_i64_i32 v[10:11], s[8:9], v10, s45, 0
	v_lshl_add_u64 v[10:11], v[10:11], 1, v[18:19]
	v_lshl_add_u64 v[38:39], v[10:11], 0, v[30:31]
	global_load_dwordx4 v[10:13], v[38:39], off
	global_load_dwordx4 v[56:59], v[38:39], off offset:1024
	v_mad_i64_i32 v[6:7], s[8:9], v6, s45, 0
	v_lshl_add_u64 v[6:7], v[6:7], 1, v[18:19]
	v_lshl_add_u64 v[32:33], v[6:7], 0, v[30:31]
	global_load_dwordx4 v[6:9], v[32:33], off
	global_load_dwordx4 v[46:49], v[32:33], off offset:1024
	s_waitcnt vmcnt(6)
	v_mad_i64_i32 v[16:17], s[8:9], v16, s45, 0
	v_lshl_add_u64 v[16:17], v[16:17], 1, v[18:19]
	v_lshl_add_u64 v[40:41], v[16:17], 0, v[30:31]
	global_load_dwordx4 v[18:21], v[40:41], off
	v_add_u32_e32 v16, -12, v36
	v_cmp_gt_u32_e32 vcc, 12, v36
	global_load_dwordx4 v[38:41], v[40:41], off offset:1024
	v_and_or_b32 v30, v0, 48, s18
	v_cndmask_b32_e32 v16, v16, v36, vcc
	v_lshlrev_b32_e32 v16, 5, v16
	v_lshl_add_u32 v16, v1, 9, v16
	ds_read_b128 v[22:25], v16
	v_mov_b32_e32 v68, s19
	v_cmp_gt_i32_e32 vcc, s33, v30
	v_or_b32_e32 v32, 64, v30
	ds_read_b128 v[14:17], v16 offset:2048
	v_lshlrev_b32_e32 v35, 5, v36
	s_add_u32 s4, s10, s4
	s_addc_u32 s5, s11, s5
	s_mov_b32 s43, 0xff7fffff
	s_waitcnt vmcnt(7) lgkmcnt(1)
	v_mfma_f32_16x16x16_f16 v[42:45], v[2:3], v[22:23], 0
	v_ashrrev_i32_e32 v2, 4, v30
	v_cndmask_b32_e32 v2, v68, v2, vcc
	v_ashrrev_i32_e32 v3, 31, v2
	s_waitcnt vmcnt(5)
	v_mfma_f32_16x16x16_f16 v[60:63], v[10:11], v[22:23], 0
	v_lshl_add_u64 v[10:11], v[2:3], 2, s[6:7]
	v_cmp_gt_i32_e32 vcc, s33, v32
	v_mfma_f32_16x16x16_f16 v[2:5], v[4:5], v[24:25], v[42:45]
	s_nop 2
	global_load_dword v42, v[10:11], off
	s_waitcnt vmcnt(4)
	v_mfma_f32_16x16x16_f16 v[50:53], v[6:7], v[22:23], 0
	v_ashrrev_i32_e32 v6, 4, v32
	v_cndmask_b32_e32 v6, v68, v6, vcc
	v_ashrrev_i32_e32 v7, 31, v6
	v_lshl_add_u64 v[10:11], v[6:7], 2, s[6:7]
	global_load_dword v43, v[10:11], off
	s_waitcnt vmcnt(3)
	v_mfma_f32_16x16x16_f16 v[64:67], v[18:19], v[22:23], 0
	v_or_b32_e32 v22, 0x80, v30
	v_or_b32_e32 v23, 0xc0, v30
	v_ashrrev_i32_e32 v30, 4, v22
	v_cmp_gt_i32_e32 vcc, s33, v22
	v_ashrrev_i32_e32 v32, 4, v23
	v_mfma_f32_16x16x16_f16 v[6:9], v[8:9], v[24:25], v[50:53]
	v_cndmask_b32_e32 v22, v68, v30, vcc
	v_cmp_gt_i32_e32 vcc, s33, v23
	v_ashrrev_i32_e32 v23, 31, v22
	v_mfma_f32_16x16x16_f16 v[10:13], v[12:13], v[24:25], v[60:63]
	v_lshl_or_b32 v30, v37, 9, v35
	v_mfma_f32_16x16x16_f16 v[18:21], v[20:21], v[24:25], v[64:67]
	v_cndmask_b32_e32 v24, v68, v32, vcc
	v_ashrrev_i32_e32 v25, 31, v24
	v_lshl_add_u64 v[32:33], v[24:25], 2, s[6:7]
	s_waitcnt lgkmcnt(0)
	v_mfma_f32_16x16x16_f16 v[2:5], v[26:27], v[14:15], v[2:5]
	v_lshl_add_u64 v[26:27], v[22:23], 2, s[6:7]
	global_load_dword v60, v[26:27], off
	global_load_dword v61, v[32:33], off
	v_mfma_f32_16x16x16_f16 v[6:9], v[46:47], v[14:15], v[6:9]
	v_mfma_f32_16x16x16_f16 v[22:25], v[56:57], v[14:15], v[10:13]
	s_waitcnt vmcnt(4)
	v_mfma_f32_16x16x16_f16 v[18:21], v[38:39], v[14:15], v[18:21]
	s_nop 0
	v_lshl_add_u64 v[10:11], s[4:5], 0, v[30:31]
	s_waitcnt vmcnt(3)
	v_mad_i64_i32 v[26:27], s[4:5], v42, s45, 0
	v_mfma_f32_16x16x16_f16 v[12:15], v[28:29], v[16:17], v[2:5]
	v_lshl_add_u64 v[30:31], v[26:27], 1, v[10:11]
	s_waitcnt vmcnt(2)
	v_mad_i64_i32 v[32:33], s[4:5], v43, s45, 0
	v_mfma_f32_16x16x16_f16 v[26:29], v[48:49], v[16:17], v[6:9]
	s_nop 2
	v_pk_mul_f32 v[50:51], s[12:13], v[14:15] op_sel_hi:[0,1]
	v_pk_mul_f32 v[12:13], s[12:13], v[12:13] op_sel_hi:[0,1]
	v_lshl_add_u64 v[56:57], v[32:33], 1, v[10:11]
	v_mfma_f32_16x16x16_f16 v[22:25], v[58:59], v[16:17], v[22:25]
	global_load_dwordx4 v[6:9], v[30:31], off
	global_load_dwordx4 v[2:5], v[30:31], off offset:16
	v_pk_mul_f32 v[42:43], s[12:13], v[26:27] op_sel_hi:[0,1]
	v_pk_mul_f32 v[52:53], s[12:13], v[28:29] op_sel_hi:[0,1]
	v_mfma_f32_16x16x16_f16 v[14:17], v[40:41], v[16:17], v[18:21]
	s_nop 1
	v_pk_mul_f32 v[48:49], s[12:13], v[22:23] op_sel_hi:[0,1]
	v_pk_mul_f32 v[46:47], s[12:13], v[24:25] op_sel_hi:[0,1]
	global_load_dwordx4 v[30:33], v[56:57], off
	global_load_dwordx4 v[26:29], v[56:57], off offset:16
	s_nop 0
	v_pk_mul_f32 v[44:45], s[12:13], v[14:15] op_sel_hi:[0,1]
	v_and_b32_e32 v14, 0xc0, v0
	v_add_u32_e32 v14, s18, v14
	v_lshl_or_b32 v14, v1, 2, v14
	v_pk_mul_f32 v[38:39], s[12:13], v[16:17] op_sel_hi:[0,1]
	v_or_b32_e32 v17, 1, v14
	v_mov_b32_e32 v15, 0xff7fffff
	v_cmp_gt_i32_e64 s[4:5], s33, v14
	v_cmp_gt_i32_e64 s[34:35], s33, v17
	v_or_b32_e32 v18, 3, v14
	v_cndmask_b32_e64 v16, v15, v12, s[4:5]
	v_cndmask_b32_e64 v17, v15, v13, s[34:35]
	v_max3_f32 v16, v16, s43, v17
	v_or_b32_e32 v17, 2, v14
	v_cmp_gt_i32_e64 s[36:37], s33, v17
	v_cmp_gt_i32_e64 s[38:39], s33, v18
	s_nop 0
	v_cndmask_b32_e64 v17, v15, v50, s[36:37]
	v_cndmask_b32_e64 v18, v15, v51, s[38:39]
	v_max3_f32 v16, v16, v17, v18
	v_or_b32_e32 v17, 16, v14
	v_or_b32_e32 v18, 17, v14
	v_cmp_gt_i32_e64 s[24:25], s33, v17
	v_cmp_gt_i32_e64 s[26:27], s33, v18
	s_nop 0
	v_cndmask_b32_e64 v17, v15, v42, s[24:25]
	v_cndmask_b32_e64 v18, v15, v43, s[26:27]
	v_max3_f32 v16, v16, v17, v18
	v_or_b32_e32 v17, 18, v14
	;; [unrolled: 8-line block ×6, first 2 shown]
	v_or_b32_e32 v14, 51, v14
	v_cmp_gt_i32_e32 vcc, s33, v17
	v_cmp_gt_i32_e64 s[6:7], s33, v14
	s_nop 0
	v_cndmask_b32_e32 v17, v15, v38, vcc
	v_cndmask_b32_e64 v14, v15, v39, s[6:7]
	v_max3_f32 v16, v16, v17, v14
	v_mbcnt_lo_u32_b32 v14, -1, 0
	v_mbcnt_hi_u32_b32 v17, -1, v14
	v_and_b32_e32 v14, 64, v17
	v_add_u32_e32 v18, 64, v14
	v_xor_b32_e32 v14, 32, v17
	v_cmp_lt_i32_e64 s[40:41], v14, v18
	s_nop 1
	v_cndmask_b32_e64 v14, v17, v14, s[40:41]
	v_lshlrev_b32_e32 v58, 2, v14
	ds_bpermute_b32 v19, v58, v16
	s_waitcnt vmcnt(5)
	v_mad_i64_i32 v[14:15], s[40:41], v60, s45, 0
	v_lshl_add_u64 v[14:15], v[14:15], 1, v[10:11]
	s_waitcnt lgkmcnt(0)
	v_max_f32_e32 v19, v19, v19
	v_max_f32_e32 v16, v16, v19
	v_xor_b32_e32 v19, 16, v17
	v_cmp_lt_i32_e64 s[40:41], v19, v18
	s_nop 1
	v_cndmask_b32_e64 v17, v17, v19, s[40:41]
	v_lshlrev_b32_e32 v57, 2, v17
	ds_bpermute_b32 v17, v57, v16
	global_load_dwordx4 v[22:25], v[14:15], off
	global_load_dwordx4 v[18:21], v[14:15], off offset:16
	s_waitcnt vmcnt(6)
	v_mad_i64_i32 v[14:15], s[40:41], v61, s45, 0
	v_lshl_add_u64 v[10:11], v[14:15], 1, v[10:11]
	s_waitcnt lgkmcnt(0)
	v_max_f32_e32 v14, v17, v17
	v_max_f32_e32 v56, v16, v14
	v_sub_f32_e32 v12, v12, v56
	v_mul_f32_e32 v12, 0x3fb8aa3b, v12
	v_exp_f32_e32 v40, v12
	v_sub_f32_e32 v12, v13, v56
	v_mul_f32_e32 v12, 0x3fb8aa3b, v12
	v_exp_f32_e32 v41, v12
	global_load_dwordx4 v[14:17], v[10:11], off
	s_nop 0
	global_load_dwordx4 v[10:13], v[10:11], off offset:16
	v_sub_f32_e32 v50, v50, v56
	v_mul_f32_e32 v50, 0x3fb8aa3b, v50
	v_sub_f32_e32 v51, v51, v56
	v_exp_f32_e32 v50, v50
	v_mul_f32_e32 v51, 0x3fb8aa3b, v51
	v_sub_f32_e32 v42, v42, v56
	v_exp_f32_e32 v51, v51
	v_mul_f32_e32 v42, 0x3fb8aa3b, v42
	v_sub_f32_e32 v43, v43, v56
	v_cndmask_b32_e64 v40, 0, v40, s[4:5]
	v_exp_f32_e32 v42, v42
	v_mul_f32_e32 v43, 0x3fb8aa3b, v43
	v_sub_f32_e32 v52, v52, v56
	v_add_f32_e32 v59, 0, v40
	v_cndmask_b32_e64 v41, 0, v41, s[34:35]
	v_exp_f32_e32 v43, v43
	v_mul_f32_e32 v52, 0x3fb8aa3b, v52
	v_sub_f32_e32 v53, v53, v56
	v_add_f32_e32 v59, v59, v41
	v_cndmask_b32_e64 v50, 0, v50, s[36:37]
	v_exp_f32_e32 v52, v52
	v_mul_f32_e32 v53, 0x3fb8aa3b, v53
	v_sub_f32_e32 v48, v48, v56
	v_add_f32_e32 v59, v59, v50
	v_cndmask_b32_e64 v51, 0, v51, s[38:39]
	v_exp_f32_e32 v53, v53
	v_mul_f32_e32 v48, 0x3fb8aa3b, v48
	v_sub_f32_e32 v49, v49, v56
	v_add_f32_e32 v59, v59, v51
	v_cndmask_b32_e64 v42, 0, v42, s[24:25]
	v_exp_f32_e32 v48, v48
	v_mul_f32_e32 v49, 0x3fb8aa3b, v49
	v_sub_f32_e32 v46, v46, v56
	v_add_f32_e32 v59, v59, v42
	v_cndmask_b32_e64 v43, 0, v43, s[26:27]
	v_exp_f32_e32 v49, v49
	v_mul_f32_e32 v46, 0x3fb8aa3b, v46
	v_sub_f32_e32 v47, v47, v56
	v_add_f32_e32 v59, v59, v43
	v_cndmask_b32_e64 v52, 0, v52, s[20:21]
	v_exp_f32_e32 v46, v46
	v_mul_f32_e32 v47, 0x3fb8aa3b, v47
	v_sub_f32_e32 v44, v44, v56
	v_add_f32_e32 v59, v59, v52
	v_cndmask_b32_e64 v53, 0, v53, s[22:23]
	v_exp_f32_e32 v47, v47
	v_mul_f32_e32 v44, 0x3fb8aa3b, v44
	v_sub_f32_e32 v45, v45, v56
	v_add_f32_e32 v59, v59, v53
	v_cndmask_b32_e64 v48, 0, v48, s[16:17]
	v_exp_f32_e32 v44, v44
	v_mul_f32_e32 v45, 0x3fb8aa3b, v45
	v_sub_f32_e32 v38, v38, v56
	v_add_f32_e32 v59, v59, v48
	v_cndmask_b32_e64 v49, 0, v49, s[18:19]
	v_exp_f32_e32 v45, v45
	v_mul_f32_e32 v38, 0x3fb8aa3b, v38
	v_sub_f32_e32 v39, v39, v56
	v_add_f32_e32 v59, v59, v49
	v_cndmask_b32_e64 v46, 0, v46, s[12:13]
	v_exp_f32_e32 v38, v38
	v_mul_f32_e32 v39, 0x3fb8aa3b, v39
	v_add_f32_e32 v59, v59, v46
	v_cndmask_b32_e64 v47, 0, v47, s[14:15]
	v_exp_f32_e32 v39, v39
	v_add_f32_e32 v59, v59, v47
	v_cndmask_b32_e64 v44, 0, v44, s[8:9]
	v_add_f32_e32 v59, v59, v44
	v_cndmask_b32_e64 v45, 0, v45, s[10:11]
	v_add_f32_e32 v59, v59, v45
	v_cndmask_b32_e32 v38, 0, v38, vcc
	v_add_f32_e32 v59, v59, v38
	v_cndmask_b32_e64 v39, 0, v39, s[6:7]
	v_add_f32_e32 v59, v59, v39
	ds_bpermute_b32 v58, v58, v59
	v_cmp_gt_u32_e32 vcc, 16, v55
	s_waitcnt lgkmcnt(0)
	s_barrier
	v_add_f32_e32 v58, v59, v58
	ds_bpermute_b32 v59, v57, v58
	v_lshlrev_b32_e32 v57, 2, v36
	s_and_saveexec_b64 s[4:5], vcc
	s_cbranch_execz .LBB47_13
; %bb.12:
	s_waitcnt lgkmcnt(0)
	v_add_f32_e32 v55, v58, v59
	v_lshl_or_b32 v58, v37, 6, v57
	ds_write2st64_b32 v58, v56, v55 offset1:1
.LBB47_13:
	s_or_b64 exec, exec, s[4:5]
	s_load_dword s6, s[0:1], 0x94
	s_waitcnt lgkmcnt(0)
	s_barrier
	ds_read2_b32 v[58:59], v57 offset1:16
	ds_read2_b32 v[60:61], v57 offset0:32 offset1:48
	ds_read2_b32 v[62:63], v57 offset0:64 offset1:80
	s_mul_i32 s7, s29, 12
	s_waitcnt lgkmcnt(2)
	v_max3_f32 v55, v58, s43, v59
	s_waitcnt lgkmcnt(1)
	v_max3_f32 v55, v55, v60, v61
	v_sub_f32_e32 v56, v58, v55
	v_mul_f32_e32 v56, 0x3fb8aa3b, v56
	v_exp_f32_e32 v64, v56
	v_sub_f32_e32 v56, v59, v55
	v_mul_f32_e32 v56, 0x3fb8aa3b, v56
	v_exp_f32_e32 v65, v56
	;; [unrolled: 3-line block ×3, first 2 shown]
	ds_read2_b32 v[58:59], v57 offset0:96 offset1:112
	v_sub_f32_e32 v56, v61, v55
	v_mul_f32_e32 v56, 0x3fb8aa3b, v56
	v_exp_f32_e32 v57, v56
	s_waitcnt lgkmcnt(1)
	v_fma_f32 v56, v64, v62, 0
	v_fmac_f32_e32 v56, v65, v63
	s_waitcnt lgkmcnt(0)
	v_fmac_f32_e32 v56, v60, v58
	v_fmac_f32_e32 v56, v57, v59
	v_add_f32_e32 v58, 0x358637bd, v56
	v_div_scale_f32 v59, s[4:5], v58, v58, 1.0
	v_rcp_f32_e32 v61, v59
	s_barrier
	v_fma_f32 v62, -v59, v61, 1.0
	v_fmac_f32_e32 v61, v62, v61
	v_div_scale_f32 v62, vcc, 1.0, v58, 1.0
	v_mul_f32_e32 v63, v62, v61
	v_fma_f32 v66, -v59, v63, v62
	v_fmac_f32_e32 v63, v66, v61
	v_fma_f32 v59, -v59, v63, v62
	v_div_fmas_f32 v59, v59, v61, v63
	v_cmp_eq_u32_e32 vcc, 1, v37
	v_div_fixup_f32 v58, v59, v58, 1.0
	s_nop 0
	v_cndmask_b32_e32 v59, v64, v65, vcc
	v_cmp_eq_u32_e32 vcc, 2, v37
	s_nop 1
	v_cndmask_b32_e32 v59, v59, v60, vcc
	v_cmp_eq_u32_e32 vcc, 3, v37
	v_lshlrev_b32_e32 v37, 11, v37
	s_nop 0
	v_cndmask_b32_e32 v57, v59, v57, vcc
	v_mul_f32_e32 v58, v57, v58
	v_pk_mul_f32 v[40:41], v[58:59], v[40:41] op_sel_hi:[0,1]
	v_cvt_f16_f32_e32 v40, v40
	v_cvt_f16_f32_e32 v41, v41
	v_pk_mul_f32 v[50:51], v[58:59], v[50:51] op_sel_hi:[0,1]
	v_cvt_f16_f32_e32 v57, v50
	v_cvt_f16_f32_e32 v51, v51
	v_pack_b32_f16 v50, v40, v41
	v_pk_mul_f32 v[40:41], v[58:59], v[52:53] op_sel_hi:[0,1]
	v_pk_mul_f32 v[42:43], v[58:59], v[42:43] op_sel_hi:[0,1]
	v_cvt_f16_f32_e32 v42, v42
	v_cvt_f16_f32_e32 v43, v43
	;; [unrolled: 1-line block ×4, first 2 shown]
	v_pack_b32_f16 v51, v57, v51
	v_lshlrev_b32_e32 v57, 3, v1
	v_or3_b32 v40, v37, v35, v57
	v_pack_b32_f16 v42, v42, v43
	v_pack_b32_f16 v43, v52, v41
	ds_write2st64_b64 v40, v[50:51], v[42:43] offset1:1
	v_pk_mul_f32 v[42:43], v[58:59], v[46:47] op_sel_hi:[0,1]
	v_pk_mul_f32 v[46:47], v[58:59], v[48:49] op_sel_hi:[0,1]
	v_cvt_f16_f32_e32 v37, v46
	v_cvt_f16_f32_e32 v41, v47
	;; [unrolled: 1-line block ×4, first 2 shown]
	v_pk_mul_f32 v[38:39], v[58:59], v[38:39] op_sel_hi:[0,1]
	v_pk_mul_f32 v[42:43], v[58:59], v[44:45] op_sel_hi:[0,1]
	v_cvt_f16_f32_e32 v42, v42
	v_cvt_f16_f32_e32 v43, v43
	;; [unrolled: 1-line block ×4, first 2 shown]
	v_pack_b32_f16 v38, v37, v41
	v_pack_b32_f16 v39, v46, v47
	;; [unrolled: 1-line block ×4, first 2 shown]
	v_cmp_gt_u32_e32 vcc, 12, v0
	ds_write2st64_b64 v40, v[38:39], v[42:43] offset0:2 offset1:3
	s_and_saveexec_b64 s[4:5], vcc
	s_cbranch_execz .LBB47_15
; %bb.14:
	s_mov_b32 s43, 0
	v_mov_b32_e32 v37, 0
	v_lshl_add_u64 v[38:39], s[42:43], 0, v[36:37]
	v_mov_b32_e32 v36, s7
	v_mad_u64_u32 v[38:39], s[12:13], s2, v36, v[38:39]
	v_mov_b32_e32 v36, s28
	s_load_dwordx4 s[8:11], s[0:1], 0x58
	s_mul_i32 s3, s3, s7
	v_mad_u64_u32 v[36:37], s[12:13], v38, s6, v[36:37]
	v_add_u32_e32 v39, s3, v39
	v_mov_b32_e32 v38, v37
	v_mad_u64_u32 v[38:39], s[12:13], v39, s6, v[38:39]
	v_mov_b32_e32 v37, v38
	v_lshlrev_b64 v[36:37], 2, v[36:37]
	s_waitcnt lgkmcnt(0)
	v_lshl_add_u64 v[38:39], s[10:11], 0, v[36:37]
	v_lshl_add_u64 v[36:37], s[8:9], 0, v[36:37]
	global_store_dword v[38:39], v55, off
	global_store_dword v[36:37], v56, off
.LBB47_15:
	s_or_b64 exec, exec, s[4:5]
	v_lshl_or_b32 v35, v1, 9, v35
	s_waitcnt lgkmcnt(0)
	s_barrier
	ds_read_b128 v[36:39], v35
	ds_read_b128 v[42:45], v35 offset:16
	s_waitcnt vmcnt(7) lgkmcnt(1)
	v_mfma_f32_16x16x16_f16 v[46:49], v[6:7], v[36:37], 0
	v_cmp_gt_u32_e32 vcc, 64, v0
	s_mov_b32 s3, 0
	s_and_b64 s[4:5], vcc, s[30:31]
	v_mfma_f32_16x16x16_f16 v[6:9], v[8:9], v[38:39], v[46:49]
	s_waitcnt vmcnt(6) lgkmcnt(0)
	v_mfma_f32_16x16x16_f16 v[6:9], v[2:3], v[42:43], v[6:9]
	v_mfma_f32_16x16x16_f16 v[2:5], v[4:5], v[44:45], v[6:9]
	s_nop 5
	ds_read_b128 v[6:9], v35 offset:2048
	ds_read_b128 v[36:39], v35 offset:2064
	s_waitcnt vmcnt(5) lgkmcnt(1)
	v_mfma_f32_16x16x16_f16 v[2:5], v[30:31], v[6:7], v[2:5]
	v_mfma_f32_16x16x16_f16 v[2:5], v[32:33], v[8:9], v[2:5]
	s_waitcnt vmcnt(4) lgkmcnt(0)
	v_mfma_f32_16x16x16_f16 v[2:5], v[26:27], v[36:37], v[2:5]
	v_mfma_f32_16x16x16_f16 v[2:5], v[28:29], v[38:39], v[2:5]
	ds_read_b128 v[6:9], v35 offset:4096
	ds_read_b128 v[26:29], v35 offset:4112
	s_waitcnt vmcnt(3) lgkmcnt(1)
	v_mfma_f32_16x16x16_f16 v[2:5], v[22:23], v[6:7], v[2:5]
	v_mfma_f32_16x16x16_f16 v[2:5], v[24:25], v[8:9], v[2:5]
	s_waitcnt vmcnt(2) lgkmcnt(0)
	v_mfma_f32_16x16x16_f16 v[2:5], v[18:19], v[26:27], v[2:5]
	v_mfma_f32_16x16x16_f16 v[2:5], v[20:21], v[28:29], v[2:5]
	ds_read_b128 v[6:9], v35 offset:6144
	ds_read_b128 v[18:21], v35 offset:6160
	v_mov_b32_e32 v35, 0
	s_waitcnt vmcnt(1) lgkmcnt(0)
	v_mfma_f32_16x16x16_f16 v[2:5], v[14:15], v[6:7], v[2:5]
	s_barrier
	v_mfma_f32_16x16x16_f16 v[2:5], v[16:17], v[8:9], v[2:5]
	s_waitcnt vmcnt(0)
	v_mfma_f32_16x16x16_f16 v[2:5], v[10:11], v[18:19], v[2:5]
	v_mfma_f32_16x16x16_f16 v[2:5], v[12:13], v[20:21], v[2:5]
	s_nop 6
	v_cvt_f16_f32_e32 v2, v2
	v_cvt_f16_f32_e32 v3, v3
	;; [unrolled: 1-line block ×4, first 2 shown]
	v_pack_b32_f16 v2, v2, v3
	v_pack_b32_f16 v3, v4, v5
	ds_write_b64 v40, v[2:3]
	s_waitcnt lgkmcnt(0)
	s_barrier
	s_and_saveexec_b64 s[8:9], s[4:5]
	s_cbranch_execz .LBB47_17
; %bb.16:
	s_load_dwordx2 s[0:1], s[0:1], 0x68
	s_lshl_b32 s6, s6, 6
	s_mul_i32 s2, s7, s2
	s_mul_hi_u32 s5, s2, s6
	s_mul_i32 s4, s2, s6
	s_lshl_b64 s[4:5], s[4:5], 1
	s_waitcnt lgkmcnt(0)
	s_add_u32 s4, s0, s4
	v_lshlrev_b32_e32 v0, 10, v0
	s_addc_u32 s5, s1, s5
	s_lshl_b32 s2, s28, 6
	v_and_b32_e32 v0, 0x1800, v0
	v_lshlrev_b32_e32 v2, 5, v1
	v_and_b32_e32 v3, 16, v54
	s_lshl_b64 s[0:1], s[2:3], 1
	v_or3_b32 v0, v0, v2, v3
	s_add_u32 s0, s4, s0
	ds_read_b128 v[2:5], v0
	ds_read_b128 v[6:9], v0 offset:128
	ds_read_b128 v[10:13], v0 offset:256
	s_addc_u32 s1, s5, s1
	v_or_b32_e32 v16, s42, v1
	v_lshl_add_u64 v[0:1], s[0:1], 0, v[34:35]
	v_mad_u64_u32 v[14:15], s[0:1], v16, s6, 0
	v_lshl_add_u64 v[14:15], v[14:15], 1, v[0:1]
	s_waitcnt lgkmcnt(2)
	global_store_dwordx4 v[14:15], v[2:5], off
	s_nop 1
	v_add_u32_e32 v2, 4, v16
	v_mad_u64_u32 v[2:3], s[0:1], v2, s6, 0
	v_lshl_add_u64 v[2:3], v[2:3], 1, v[0:1]
	s_waitcnt lgkmcnt(1)
	global_store_dwordx4 v[2:3], v[6:9], off
	v_add_u32_e32 v2, 8, v16
	v_mad_u64_u32 v[2:3], s[0:1], v2, s6, 0
	v_lshl_add_u64 v[0:1], v[2:3], 1, v[0:1]
	s_waitcnt lgkmcnt(0)
	global_store_dwordx4 v[0:1], v[10:13], off
.LBB47_17:
	s_endpgm
	.section	.rodata,"a",@progbits
	.p2align	6, 0x0
	.amdhsa_kernel _Z39paged_attention_ll4mi_QKV_mfma16_kernelIDF16_DF16_LN4vllm18Fp8KVCacheDataTypeE0EhLi16ELi64ELi256ELb0ELi12EEvPKT_PKT0_S7_ifPKiS9_S9_iPKfiiiPfSC_PS2_PT2_iSB_SB_
		.amdhsa_group_segment_fixed_size 8192
		.amdhsa_private_segment_fixed_size 0
		.amdhsa_kernarg_size 400
		.amdhsa_user_sgpr_count 2
		.amdhsa_user_sgpr_dispatch_ptr 0
		.amdhsa_user_sgpr_queue_ptr 0
		.amdhsa_user_sgpr_kernarg_segment_ptr 1
		.amdhsa_user_sgpr_dispatch_id 0
		.amdhsa_user_sgpr_kernarg_preload_length 0
		.amdhsa_user_sgpr_kernarg_preload_offset 0
		.amdhsa_user_sgpr_private_segment_size 0
		.amdhsa_uses_dynamic_stack 0
		.amdhsa_enable_private_segment 0
		.amdhsa_system_sgpr_workgroup_id_x 1
		.amdhsa_system_sgpr_workgroup_id_y 1
		.amdhsa_system_sgpr_workgroup_id_z 1
		.amdhsa_system_sgpr_workgroup_info 0
		.amdhsa_system_vgpr_workitem_id 0
		.amdhsa_next_free_vgpr 69
		.amdhsa_next_free_sgpr 48
		.amdhsa_accum_offset 72
		.amdhsa_reserve_vcc 1
		.amdhsa_float_round_mode_32 0
		.amdhsa_float_round_mode_16_64 0
		.amdhsa_float_denorm_mode_32 3
		.amdhsa_float_denorm_mode_16_64 3
		.amdhsa_dx10_clamp 1
		.amdhsa_ieee_mode 1
		.amdhsa_fp16_overflow 0
		.amdhsa_tg_split 0
		.amdhsa_exception_fp_ieee_invalid_op 0
		.amdhsa_exception_fp_denorm_src 0
		.amdhsa_exception_fp_ieee_div_zero 0
		.amdhsa_exception_fp_ieee_overflow 0
		.amdhsa_exception_fp_ieee_underflow 0
		.amdhsa_exception_fp_ieee_inexact 0
		.amdhsa_exception_int_div_zero 0
	.end_amdhsa_kernel
	.section	.text._Z39paged_attention_ll4mi_QKV_mfma16_kernelIDF16_DF16_LN4vllm18Fp8KVCacheDataTypeE0EhLi16ELi64ELi256ELb0ELi12EEvPKT_PKT0_S7_ifPKiS9_S9_iPKfiiiPfSC_PS2_PT2_iSB_SB_,"axG",@progbits,_Z39paged_attention_ll4mi_QKV_mfma16_kernelIDF16_DF16_LN4vllm18Fp8KVCacheDataTypeE0EhLi16ELi64ELi256ELb0ELi12EEvPKT_PKT0_S7_ifPKiS9_S9_iPKfiiiPfSC_PS2_PT2_iSB_SB_,comdat
.Lfunc_end47:
	.size	_Z39paged_attention_ll4mi_QKV_mfma16_kernelIDF16_DF16_LN4vllm18Fp8KVCacheDataTypeE0EhLi16ELi64ELi256ELb0ELi12EEvPKT_PKT0_S7_ifPKiS9_S9_iPKfiiiPfSC_PS2_PT2_iSB_SB_, .Lfunc_end47-_Z39paged_attention_ll4mi_QKV_mfma16_kernelIDF16_DF16_LN4vllm18Fp8KVCacheDataTypeE0EhLi16ELi64ELi256ELb0ELi12EEvPKT_PKT0_S7_ifPKiS9_S9_iPKfiiiPfSC_PS2_PT2_iSB_SB_
                                        ; -- End function
	.section	.AMDGPU.csdata,"",@progbits
; Kernel info:
; codeLenInByte = 3816
; NumSgprs: 54
; NumVgprs: 69
; NumAgprs: 0
; TotalNumVgprs: 69
; ScratchSize: 0
; MemoryBound: 0
; FloatMode: 240
; IeeeMode: 1
; LDSByteSize: 8192 bytes/workgroup (compile time only)
; SGPRBlocks: 6
; VGPRBlocks: 8
; NumSGPRsForWavesPerEU: 54
; NumVGPRsForWavesPerEU: 69
; AccumOffset: 72
; Occupancy: 7
; WaveLimiterHint : 1
; COMPUTE_PGM_RSRC2:SCRATCH_EN: 0
; COMPUTE_PGM_RSRC2:USER_SGPR: 2
; COMPUTE_PGM_RSRC2:TRAP_HANDLER: 0
; COMPUTE_PGM_RSRC2:TGID_X_EN: 1
; COMPUTE_PGM_RSRC2:TGID_Y_EN: 1
; COMPUTE_PGM_RSRC2:TGID_Z_EN: 1
; COMPUTE_PGM_RSRC2:TIDIG_COMP_CNT: 0
; COMPUTE_PGM_RSRC3_GFX90A:ACCUM_OFFSET: 17
; COMPUTE_PGM_RSRC3_GFX90A:TG_SPLIT: 0
	.section	.text._Z39paged_attention_ll4mi_QKV_mfma16_kernelIDF16_DF16_LN4vllm18Fp8KVCacheDataTypeE0EhLi16ELi64ELi256ELb0ELi13EEvPKT_PKT0_S7_ifPKiS9_S9_iPKfiiiPfSC_PS2_PT2_iSB_SB_,"axG",@progbits,_Z39paged_attention_ll4mi_QKV_mfma16_kernelIDF16_DF16_LN4vllm18Fp8KVCacheDataTypeE0EhLi16ELi64ELi256ELb0ELi13EEvPKT_PKT0_S7_ifPKiS9_S9_iPKfiiiPfSC_PS2_PT2_iSB_SB_,comdat
	.protected	_Z39paged_attention_ll4mi_QKV_mfma16_kernelIDF16_DF16_LN4vllm18Fp8KVCacheDataTypeE0EhLi16ELi64ELi256ELb0ELi13EEvPKT_PKT0_S7_ifPKiS9_S9_iPKfiiiPfSC_PS2_PT2_iSB_SB_ ; -- Begin function _Z39paged_attention_ll4mi_QKV_mfma16_kernelIDF16_DF16_LN4vllm18Fp8KVCacheDataTypeE0EhLi16ELi64ELi256ELb0ELi13EEvPKT_PKT0_S7_ifPKiS9_S9_iPKfiiiPfSC_PS2_PT2_iSB_SB_
	.globl	_Z39paged_attention_ll4mi_QKV_mfma16_kernelIDF16_DF16_LN4vllm18Fp8KVCacheDataTypeE0EhLi16ELi64ELi256ELb0ELi13EEvPKT_PKT0_S7_ifPKiS9_S9_iPKfiiiPfSC_PS2_PT2_iSB_SB_
	.p2align	8
	.type	_Z39paged_attention_ll4mi_QKV_mfma16_kernelIDF16_DF16_LN4vllm18Fp8KVCacheDataTypeE0EhLi16ELi64ELi256ELb0ELi13EEvPKT_PKT0_S7_ifPKiS9_S9_iPKfiiiPfSC_PS2_PT2_iSB_SB_,@function
_Z39paged_attention_ll4mi_QKV_mfma16_kernelIDF16_DF16_LN4vllm18Fp8KVCacheDataTypeE0EhLi16ELi64ELi256ELb0ELi13EEvPKT_PKT0_S7_ifPKiS9_S9_iPKfiiiPfSC_PS2_PT2_iSB_SB_: ; @_Z39paged_attention_ll4mi_QKV_mfma16_kernelIDF16_DF16_LN4vllm18Fp8KVCacheDataTypeE0EhLi16ELi64ELi256ELb0ELi13EEvPKT_PKT0_S7_ifPKiS9_S9_iPKfiiiPfSC_PS2_PT2_iSB_SB_
; %bb.0:
	s_load_dwordx2 s[12:13], s[0:1], 0x30
	s_mov_b32 s28, s3
	s_mov_b64 s[6:7], 0
	s_waitcnt lgkmcnt(0)
	s_cmp_lg_u64 s[12:13], 0
	s_cselect_b64 s[14:15], -1, 0
	s_and_b64 vcc, exec, s[14:15]
	s_cbranch_vccz .LBB48_7
; %bb.1:
	s_add_i32 s8, s2, 1
	s_mov_b32 s9, 0
	s_lshl_b64 s[10:11], s[8:9], 2
	s_add_u32 s10, s12, s10
	s_mov_b32 s3, s9
	s_addc_u32 s11, s13, s11
	s_lshl_b64 s[8:9], s[2:3], 2
	s_add_u32 s8, s12, s8
	s_addc_u32 s9, s13, s9
	s_load_dword s5, s[10:11], 0x0
	s_load_dword s16, s[8:9], 0x0
	s_waitcnt lgkmcnt(0)
	s_sub_i32 s5, s5, s16
	s_cmp_eq_u32 s5, 1
	s_cselect_b64 s[8:9], -1, 0
	s_andn2_b64 vcc, exec, s[6:7]
	s_cbranch_vccnz .LBB48_3
.LBB48_2:
	s_mov_b32 s3, 0
	s_mov_b64 s[8:9], -1
.LBB48_3:
	s_andn2_b64 vcc, exec, s[8:9]
	s_cbranch_vccnz .LBB48_18
; %bb.4:
	s_load_dwordx2 s[6:7], s[0:1], 0x28
	s_lshl_b64 s[16:17], s[2:3], 2
	s_waitcnt lgkmcnt(0)
	s_add_u32 s6, s6, s16
	s_addc_u32 s7, s7, s17
	s_load_dword s33, s[6:7], 0x0
	s_lshl_b32 s18, s28, 8
	s_waitcnt lgkmcnt(0)
	s_cmp_ge_i32 s18, s33
	s_cbranch_scc1 .LBB48_18
; %bb.5:
	s_load_dwordx2 s[6:7], s[0:1], 0x20
	s_load_dword s5, s[0:1], 0x38
	s_add_i32 s8, s33, 15
	s_ashr_i32 s9, s8, 31
	v_and_b32_e32 v1, 0xcf, v0
	s_lshr_b32 s9, s9, 28
	v_add_u32_e32 v1, s18, v1
	s_add_i32 s8, s8, s9
	v_ashrrev_i32_e32 v2, 31, v1
	s_ashr_i32 s19, s8, 4
	v_lshrrev_b32_e32 v6, 28, v2
	s_add_i32 s19, s19, -1
	s_waitcnt lgkmcnt(0)
	s_mul_i32 s8, s2, s5
	s_mov_b32 s9, 0
	v_add_u32_e32 v2, v1, v6
	s_lshl_b64 s[8:9], s[8:9], 2
	v_ashrrev_i32_e32 v2, 4, v2
	v_mov_b32_e32 v7, s19
	v_cmp_gt_i32_e32 vcc, s33, v1
	s_add_u32 s6, s6, s8
	s_addc_u32 s7, s7, s9
	v_cndmask_b32_e32 v2, v7, v2, vcc
	v_ashrrev_i32_e32 v3, 31, v2
	v_lshl_add_u64 v[4:5], v[2:3], 2, s[6:7]
	v_or_b32_e32 v2, 16, v1
	v_add_u32_e32 v3, v2, v6
	v_ashrrev_i32_e32 v3, 4, v3
	v_cmp_gt_i32_e32 vcc, s33, v2
	s_load_dwordx4 s[8:11], s[0:1], 0x8
	s_nop 0
	v_cndmask_b32_e32 v2, v7, v3, vcc
	v_ashrrev_i32_e32 v3, 31, v2
	v_lshl_add_u64 v[8:9], v[2:3], 2, s[6:7]
	v_or_b32_e32 v2, 32, v1
	v_add_u32_e32 v3, v2, v6
	v_ashrrev_i32_e32 v3, 4, v3
	v_cmp_gt_i32_e32 vcc, s33, v2
	v_or_b32_e32 v1, 48, v1
	s_nop 0
	v_cndmask_b32_e32 v2, v7, v3, vcc
	v_ashrrev_i32_e32 v3, 31, v2
	v_lshl_add_u64 v[12:13], v[2:3], 2, s[6:7]
	v_add_u32_e32 v2, v1, v6
	v_ashrrev_i32_e32 v2, 4, v2
	v_cmp_gt_i32_e32 vcc, s33, v1
	s_nop 1
	v_cndmask_b32_e32 v2, v7, v2, vcc
	v_ashrrev_i32_e32 v3, 31, v2
	v_lshl_add_u64 v[14:15], v[2:3], 2, s[6:7]
	global_load_dword v2, v[4:5], off
	global_load_dword v6, v[8:9], off
	;; [unrolled: 1-line block ×4, first 2 shown]
	s_andn2_b64 vcc, exec, s[14:15]
	s_cbranch_vccnz .LBB48_8
; %bb.6:
	s_add_u32 s12, s12, s16
	s_addc_u32 s13, s13, s17
	s_load_dword s5, s[12:13], 0x0
	s_branch .LBB48_9
.LBB48_7:
	s_mov_b64 s[8:9], 0
	s_branch .LBB48_2
.LBB48_8:
	s_mov_b32 s5, s2
.LBB48_9:
	s_load_dwordx4 s[44:47], s[0:1], 0x48
	v_lshrrev_b32_e32 v37, 6, v0
	v_bfe_u32 v54, v0, 4, 2
	v_lshl_or_b32 v1, v37, 2, v54
	v_and_b32_e32 v36, 15, v0
	v_lshlrev_b32_e32 v3, 3, v36
	v_cmp_gt_u32_e32 vcc, 13, v1
	v_cmp_gt_u32_e64 s[30:31], 8, v36
	v_and_b32_e32 v55, 63, v0
	s_mul_i32 s42, s4, 13
	s_and_b64 s[14:15], s[30:31], vcc
	v_lshlrev_b32_e32 v34, 1, v3
	s_and_saveexec_b64 s[12:13], s[14:15]
	s_cbranch_execz .LBB48_11
; %bb.10:
	s_load_dwordx2 s[14:15], s[0:1], 0x0
	s_waitcnt lgkmcnt(0)
	s_ashr_i32 s16, s44, 31
	s_mul_hi_u32 s17, s5, s44
	s_mul_i32 s16, s5, s16
	s_add_i32 s17, s17, s16
	s_mul_i32 s16, s5, s44
	s_lshl_b64 s[16:17], s[16:17], 1
	s_add_u32 s14, s14, s16
	v_add_lshl_u32 v4, v1, s42, 6
	s_addc_u32 s15, s15, s17
	v_ashrrev_i32_e32 v5, 31, v4
	v_lshl_add_u64 v[4:5], v[4:5], 1, s[14:15]
	v_mov_b32_e32 v35, 0
	v_lshl_add_u64 v[4:5], v[4:5], 0, v[34:35]
	global_load_dwordx4 v[12:15], v[4:5], off
	v_and_b32_e32 v3, 3, v0
	v_lshlrev_b32_e32 v4, 9, v36
	v_lshlrev_b32_e32 v1, 5, v1
	v_lshlrev_b32_e32 v3, 9, v3
	v_and_b32_e32 v4, 0x1800, v4
	v_or3_b32 v1, v4, v3, v1
	s_waitcnt vmcnt(0)
	ds_write_b128 v1, v[12:15]
.LBB48_11:
	s_or_b64 exec, exec, s[12:13]
	s_waitcnt lgkmcnt(0)
	s_mul_i32 s4, s4, s46
	s_mov_b32 s5, 0
	s_lshl_b64 s[4:5], s[4:5], 1
	s_add_u32 s8, s8, s4
	v_lshlrev_b32_e32 v1, 4, v0
	s_addc_u32 s9, s9, s5
	v_and_b32_e32 v30, 0xf0, v1
	v_mov_b32_e32 v31, 0
	v_lshl_add_u64 v[18:19], s[8:9], 0, v[30:31]
	s_waitcnt vmcnt(3)
	v_mad_i64_i32 v[2:3], s[8:9], v2, s45, 0
	v_lshl_add_u64 v[2:3], v[2:3], 1, v[18:19]
	v_and_b32_e32 v30, 0x300, v1
	v_lshl_add_u64 v[14:15], v[2:3], 0, v[30:31]
	s_load_dword s29, s[0:1], 0x98
	s_load_dword s12, s[0:1], 0x1c
	s_waitcnt lgkmcnt(0)
	s_barrier
	global_load_dwordx4 v[2:5], v[14:15], off
	global_load_dwordx4 v[26:29], v[14:15], off offset:1024
	s_waitcnt vmcnt(3)
	v_mad_i64_i32 v[10:11], s[8:9], v10, s45, 0
	v_lshl_add_u64 v[10:11], v[10:11], 1, v[18:19]
	v_lshl_add_u64 v[38:39], v[10:11], 0, v[30:31]
	global_load_dwordx4 v[10:13], v[38:39], off
	global_load_dwordx4 v[56:59], v[38:39], off offset:1024
	v_mad_i64_i32 v[6:7], s[8:9], v6, s45, 0
	v_lshl_add_u64 v[6:7], v[6:7], 1, v[18:19]
	v_lshl_add_u64 v[32:33], v[6:7], 0, v[30:31]
	global_load_dwordx4 v[6:9], v[32:33], off
	global_load_dwordx4 v[46:49], v[32:33], off offset:1024
	s_waitcnt vmcnt(6)
	v_mad_i64_i32 v[16:17], s[8:9], v16, s45, 0
	v_lshl_add_u64 v[16:17], v[16:17], 1, v[18:19]
	v_lshl_add_u64 v[40:41], v[16:17], 0, v[30:31]
	global_load_dwordx4 v[18:21], v[40:41], off
	v_add_u32_e32 v16, -13, v36
	v_cmp_gt_u32_e32 vcc, 13, v36
	global_load_dwordx4 v[38:41], v[40:41], off offset:1024
	v_and_or_b32 v30, v0, 48, s18
	v_cndmask_b32_e32 v16, v16, v36, vcc
	v_lshlrev_b32_e32 v16, 5, v16
	v_lshl_add_u32 v16, v54, 9, v16
	ds_read_b128 v[22:25], v16
	v_mov_b32_e32 v68, s19
	v_cmp_gt_i32_e32 vcc, s33, v30
	v_or_b32_e32 v32, 64, v30
	ds_read_b128 v[14:17], v16 offset:2048
	v_lshlrev_b32_e32 v35, 5, v36
	s_add_u32 s4, s10, s4
	s_addc_u32 s5, s11, s5
	s_mov_b32 s43, 0xff7fffff
	s_waitcnt vmcnt(7) lgkmcnt(1)
	v_mfma_f32_16x16x16_f16 v[42:45], v[2:3], v[22:23], 0
	v_ashrrev_i32_e32 v2, 4, v30
	v_cndmask_b32_e32 v2, v68, v2, vcc
	v_ashrrev_i32_e32 v3, 31, v2
	s_waitcnt vmcnt(5)
	v_mfma_f32_16x16x16_f16 v[60:63], v[10:11], v[22:23], 0
	v_lshl_add_u64 v[10:11], v[2:3], 2, s[6:7]
	v_cmp_gt_i32_e32 vcc, s33, v32
	v_mfma_f32_16x16x16_f16 v[2:5], v[4:5], v[24:25], v[42:45]
	s_nop 2
	global_load_dword v42, v[10:11], off
	s_waitcnt vmcnt(4)
	v_mfma_f32_16x16x16_f16 v[50:53], v[6:7], v[22:23], 0
	v_ashrrev_i32_e32 v6, 4, v32
	v_cndmask_b32_e32 v6, v68, v6, vcc
	v_ashrrev_i32_e32 v7, 31, v6
	v_lshl_add_u64 v[10:11], v[6:7], 2, s[6:7]
	global_load_dword v43, v[10:11], off
	s_waitcnt vmcnt(3)
	v_mfma_f32_16x16x16_f16 v[64:67], v[18:19], v[22:23], 0
	v_or_b32_e32 v22, 0x80, v30
	v_or_b32_e32 v23, 0xc0, v30
	v_ashrrev_i32_e32 v30, 4, v22
	v_cmp_gt_i32_e32 vcc, s33, v22
	v_ashrrev_i32_e32 v32, 4, v23
	v_mfma_f32_16x16x16_f16 v[6:9], v[8:9], v[24:25], v[50:53]
	v_cndmask_b32_e32 v22, v68, v30, vcc
	v_cmp_gt_i32_e32 vcc, s33, v23
	v_ashrrev_i32_e32 v23, 31, v22
	v_mfma_f32_16x16x16_f16 v[10:13], v[12:13], v[24:25], v[60:63]
	v_lshl_or_b32 v30, v37, 9, v35
	v_mfma_f32_16x16x16_f16 v[18:21], v[20:21], v[24:25], v[64:67]
	v_cndmask_b32_e32 v24, v68, v32, vcc
	v_ashrrev_i32_e32 v25, 31, v24
	v_lshl_add_u64 v[32:33], v[24:25], 2, s[6:7]
	s_waitcnt lgkmcnt(0)
	v_mfma_f32_16x16x16_f16 v[2:5], v[26:27], v[14:15], v[2:5]
	v_lshl_add_u64 v[26:27], v[22:23], 2, s[6:7]
	global_load_dword v60, v[26:27], off
	global_load_dword v61, v[32:33], off
	v_mfma_f32_16x16x16_f16 v[6:9], v[46:47], v[14:15], v[6:9]
	v_mfma_f32_16x16x16_f16 v[22:25], v[56:57], v[14:15], v[10:13]
	s_waitcnt vmcnt(4)
	v_mfma_f32_16x16x16_f16 v[18:21], v[38:39], v[14:15], v[18:21]
	s_nop 0
	v_lshl_add_u64 v[10:11], s[4:5], 0, v[30:31]
	s_waitcnt vmcnt(3)
	v_mad_i64_i32 v[26:27], s[4:5], v42, s45, 0
	v_mfma_f32_16x16x16_f16 v[12:15], v[28:29], v[16:17], v[2:5]
	v_lshl_add_u64 v[30:31], v[26:27], 1, v[10:11]
	s_waitcnt vmcnt(2)
	v_mad_i64_i32 v[32:33], s[4:5], v43, s45, 0
	v_mfma_f32_16x16x16_f16 v[26:29], v[48:49], v[16:17], v[6:9]
	s_nop 2
	v_pk_mul_f32 v[50:51], s[12:13], v[14:15] op_sel_hi:[0,1]
	v_pk_mul_f32 v[12:13], s[12:13], v[12:13] op_sel_hi:[0,1]
	v_lshl_add_u64 v[56:57], v[32:33], 1, v[10:11]
	v_mfma_f32_16x16x16_f16 v[22:25], v[58:59], v[16:17], v[22:25]
	global_load_dwordx4 v[6:9], v[30:31], off
	global_load_dwordx4 v[2:5], v[30:31], off offset:16
	v_pk_mul_f32 v[42:43], s[12:13], v[26:27] op_sel_hi:[0,1]
	v_pk_mul_f32 v[52:53], s[12:13], v[28:29] op_sel_hi:[0,1]
	v_mfma_f32_16x16x16_f16 v[14:17], v[40:41], v[16:17], v[18:21]
	s_nop 1
	v_pk_mul_f32 v[48:49], s[12:13], v[22:23] op_sel_hi:[0,1]
	v_pk_mul_f32 v[46:47], s[12:13], v[24:25] op_sel_hi:[0,1]
	global_load_dwordx4 v[30:33], v[56:57], off
	global_load_dwordx4 v[26:29], v[56:57], off offset:16
	s_nop 0
	v_pk_mul_f32 v[44:45], s[12:13], v[14:15] op_sel_hi:[0,1]
	v_and_b32_e32 v14, 0xc0, v0
	v_add_u32_e32 v14, s18, v14
	v_lshl_or_b32 v14, v54, 2, v14
	v_pk_mul_f32 v[38:39], s[12:13], v[16:17] op_sel_hi:[0,1]
	v_or_b32_e32 v17, 1, v14
	v_mov_b32_e32 v15, 0xff7fffff
	v_cmp_gt_i32_e64 s[4:5], s33, v14
	v_cmp_gt_i32_e64 s[34:35], s33, v17
	v_or_b32_e32 v18, 3, v14
	v_cndmask_b32_e64 v16, v15, v12, s[4:5]
	v_cndmask_b32_e64 v17, v15, v13, s[34:35]
	v_max3_f32 v16, v16, s43, v17
	v_or_b32_e32 v17, 2, v14
	v_cmp_gt_i32_e64 s[36:37], s33, v17
	v_cmp_gt_i32_e64 s[38:39], s33, v18
	s_nop 0
	v_cndmask_b32_e64 v17, v15, v50, s[36:37]
	v_cndmask_b32_e64 v18, v15, v51, s[38:39]
	v_max3_f32 v16, v16, v17, v18
	v_or_b32_e32 v17, 16, v14
	v_or_b32_e32 v18, 17, v14
	v_cmp_gt_i32_e64 s[24:25], s33, v17
	v_cmp_gt_i32_e64 s[26:27], s33, v18
	s_nop 0
	v_cndmask_b32_e64 v17, v15, v42, s[24:25]
	v_cndmask_b32_e64 v18, v15, v43, s[26:27]
	v_max3_f32 v16, v16, v17, v18
	v_or_b32_e32 v17, 18, v14
	v_or_b32_e32 v18, 19, v14
	v_cmp_gt_i32_e64 s[20:21], s33, v17
	v_cmp_gt_i32_e64 s[22:23], s33, v18
	s_nop 0
	v_cndmask_b32_e64 v17, v15, v52, s[20:21]
	v_cndmask_b32_e64 v18, v15, v53, s[22:23]
	v_max3_f32 v16, v16, v17, v18
	v_or_b32_e32 v17, 32, v14
	v_or_b32_e32 v18, 33, v14
	v_cmp_gt_i32_e64 s[16:17], s33, v17
	v_cmp_gt_i32_e64 s[18:19], s33, v18
	s_nop 0
	v_cndmask_b32_e64 v17, v15, v48, s[16:17]
	v_cndmask_b32_e64 v18, v15, v49, s[18:19]
	v_max3_f32 v16, v16, v17, v18
	v_or_b32_e32 v17, 34, v14
	v_or_b32_e32 v18, 35, v14
	v_cmp_gt_i32_e64 s[12:13], s33, v17
	v_cmp_gt_i32_e64 s[14:15], s33, v18
	s_nop 0
	v_cndmask_b32_e64 v17, v15, v46, s[12:13]
	v_cndmask_b32_e64 v18, v15, v47, s[14:15]
	v_max3_f32 v16, v16, v17, v18
	v_or_b32_e32 v17, 48, v14
	v_or_b32_e32 v18, 49, v14
	v_cmp_gt_i32_e64 s[8:9], s33, v17
	v_cmp_gt_i32_e64 s[10:11], s33, v18
	s_nop 0
	v_cndmask_b32_e64 v17, v15, v44, s[8:9]
	v_cndmask_b32_e64 v18, v15, v45, s[10:11]
	v_max3_f32 v16, v16, v17, v18
	v_or_b32_e32 v17, 50, v14
	v_or_b32_e32 v14, 51, v14
	v_cmp_gt_i32_e32 vcc, s33, v17
	v_cmp_gt_i32_e64 s[6:7], s33, v14
	s_nop 0
	v_cndmask_b32_e32 v17, v15, v38, vcc
	v_cndmask_b32_e64 v14, v15, v39, s[6:7]
	v_max3_f32 v16, v16, v17, v14
	v_mbcnt_lo_u32_b32 v14, -1, 0
	v_mbcnt_hi_u32_b32 v17, -1, v14
	v_and_b32_e32 v14, 64, v17
	v_add_u32_e32 v18, 64, v14
	v_xor_b32_e32 v14, 32, v17
	v_cmp_lt_i32_e64 s[40:41], v14, v18
	s_nop 1
	v_cndmask_b32_e64 v14, v17, v14, s[40:41]
	v_lshlrev_b32_e32 v58, 2, v14
	ds_bpermute_b32 v19, v58, v16
	s_waitcnt vmcnt(5)
	v_mad_i64_i32 v[14:15], s[40:41], v60, s45, 0
	v_lshl_add_u64 v[14:15], v[14:15], 1, v[10:11]
	s_waitcnt lgkmcnt(0)
	v_max_f32_e32 v19, v19, v19
	v_max_f32_e32 v16, v16, v19
	v_xor_b32_e32 v19, 16, v17
	v_cmp_lt_i32_e64 s[40:41], v19, v18
	s_nop 1
	v_cndmask_b32_e64 v17, v17, v19, s[40:41]
	v_lshlrev_b32_e32 v57, 2, v17
	ds_bpermute_b32 v17, v57, v16
	global_load_dwordx4 v[22:25], v[14:15], off
	global_load_dwordx4 v[18:21], v[14:15], off offset:16
	s_waitcnt vmcnt(6)
	v_mad_i64_i32 v[14:15], s[40:41], v61, s45, 0
	v_lshl_add_u64 v[10:11], v[14:15], 1, v[10:11]
	s_waitcnt lgkmcnt(0)
	v_max_f32_e32 v14, v17, v17
	v_max_f32_e32 v56, v16, v14
	v_sub_f32_e32 v12, v12, v56
	v_mul_f32_e32 v12, 0x3fb8aa3b, v12
	v_exp_f32_e32 v40, v12
	v_sub_f32_e32 v12, v13, v56
	v_mul_f32_e32 v12, 0x3fb8aa3b, v12
	v_exp_f32_e32 v41, v12
	global_load_dwordx4 v[14:17], v[10:11], off
	s_nop 0
	global_load_dwordx4 v[10:13], v[10:11], off offset:16
	v_sub_f32_e32 v50, v50, v56
	v_mul_f32_e32 v50, 0x3fb8aa3b, v50
	v_sub_f32_e32 v51, v51, v56
	v_exp_f32_e32 v50, v50
	v_mul_f32_e32 v51, 0x3fb8aa3b, v51
	v_sub_f32_e32 v42, v42, v56
	v_exp_f32_e32 v51, v51
	v_mul_f32_e32 v42, 0x3fb8aa3b, v42
	v_sub_f32_e32 v43, v43, v56
	v_cndmask_b32_e64 v40, 0, v40, s[4:5]
	v_exp_f32_e32 v42, v42
	v_mul_f32_e32 v43, 0x3fb8aa3b, v43
	v_sub_f32_e32 v52, v52, v56
	v_add_f32_e32 v59, 0, v40
	v_cndmask_b32_e64 v41, 0, v41, s[34:35]
	v_exp_f32_e32 v43, v43
	v_mul_f32_e32 v52, 0x3fb8aa3b, v52
	v_sub_f32_e32 v53, v53, v56
	v_add_f32_e32 v59, v59, v41
	;; [unrolled: 5-line block ×10, first 2 shown]
	v_cndmask_b32_e64 v46, 0, v46, s[12:13]
	v_exp_f32_e32 v38, v38
	v_mul_f32_e32 v39, 0x3fb8aa3b, v39
	v_add_f32_e32 v59, v59, v46
	v_cndmask_b32_e64 v47, 0, v47, s[14:15]
	v_exp_f32_e32 v39, v39
	v_add_f32_e32 v59, v59, v47
	v_cndmask_b32_e64 v44, 0, v44, s[8:9]
	v_add_f32_e32 v59, v59, v44
	v_cndmask_b32_e64 v45, 0, v45, s[10:11]
	v_add_f32_e32 v59, v59, v45
	v_cndmask_b32_e32 v38, 0, v38, vcc
	v_add_f32_e32 v59, v59, v38
	v_cndmask_b32_e64 v39, 0, v39, s[6:7]
	v_add_f32_e32 v59, v59, v39
	ds_bpermute_b32 v58, v58, v59
	v_cmp_gt_u32_e64 s[6:7], 16, v55
	s_waitcnt lgkmcnt(0)
	s_barrier
	v_add_f32_e32 v58, v59, v58
	ds_bpermute_b32 v59, v57, v58
	v_lshlrev_b32_e32 v57, 2, v36
	s_and_saveexec_b64 s[4:5], s[6:7]
	s_cbranch_execz .LBB48_13
; %bb.12:
	s_waitcnt lgkmcnt(0)
	v_add_f32_e32 v55, v58, v59
	v_lshl_or_b32 v58, v37, 6, v57
	ds_write2st64_b32 v58, v56, v55 offset1:1
.LBB48_13:
	s_or_b64 exec, exec, s[4:5]
	s_load_dword s8, s[0:1], 0x94
	s_waitcnt lgkmcnt(0)
	s_barrier
	ds_read2_b32 v[58:59], v57 offset1:16
	ds_read2_b32 v[60:61], v57 offset0:32 offset1:48
	ds_read2_b32 v[62:63], v57 offset0:64 offset1:80
	s_mul_i32 s9, s29, 13
	s_waitcnt lgkmcnt(2)
	v_max3_f32 v55, v58, s43, v59
	s_waitcnt lgkmcnt(1)
	v_max3_f32 v55, v55, v60, v61
	v_sub_f32_e32 v56, v58, v55
	v_mul_f32_e32 v56, 0x3fb8aa3b, v56
	v_exp_f32_e32 v64, v56
	v_sub_f32_e32 v56, v59, v55
	v_mul_f32_e32 v56, 0x3fb8aa3b, v56
	v_exp_f32_e32 v65, v56
	;; [unrolled: 3-line block ×3, first 2 shown]
	ds_read2_b32 v[58:59], v57 offset0:96 offset1:112
	v_sub_f32_e32 v56, v61, v55
	v_mul_f32_e32 v56, 0x3fb8aa3b, v56
	v_exp_f32_e32 v57, v56
	s_waitcnt lgkmcnt(1)
	v_fma_f32 v56, v64, v62, 0
	v_fmac_f32_e32 v56, v65, v63
	s_waitcnt lgkmcnt(0)
	v_fmac_f32_e32 v56, v60, v58
	v_fmac_f32_e32 v56, v57, v59
	v_add_f32_e32 v58, 0x358637bd, v56
	v_div_scale_f32 v59, s[4:5], v58, v58, 1.0
	v_rcp_f32_e32 v61, v59
	s_barrier
	v_fma_f32 v62, -v59, v61, 1.0
	v_fmac_f32_e32 v61, v62, v61
	v_div_scale_f32 v62, vcc, 1.0, v58, 1.0
	v_mul_f32_e32 v63, v62, v61
	v_fma_f32 v66, -v59, v63, v62
	v_fmac_f32_e32 v63, v66, v61
	v_fma_f32 v59, -v59, v63, v62
	v_div_fmas_f32 v59, v59, v61, v63
	v_cmp_eq_u32_e32 vcc, 1, v37
	v_div_fixup_f32 v58, v59, v58, 1.0
	s_nop 0
	v_cndmask_b32_e32 v59, v64, v65, vcc
	v_cmp_eq_u32_e32 vcc, 2, v37
	s_nop 1
	v_cndmask_b32_e32 v59, v59, v60, vcc
	v_cmp_eq_u32_e32 vcc, 3, v37
	v_lshlrev_b32_e32 v37, 11, v37
	s_nop 0
	v_cndmask_b32_e32 v57, v59, v57, vcc
	v_mul_f32_e32 v58, v57, v58
	v_pk_mul_f32 v[40:41], v[58:59], v[40:41] op_sel_hi:[0,1]
	v_cvt_f16_f32_e32 v40, v40
	v_cvt_f16_f32_e32 v41, v41
	v_pk_mul_f32 v[50:51], v[58:59], v[50:51] op_sel_hi:[0,1]
	v_cvt_f16_f32_e32 v57, v50
	v_cvt_f16_f32_e32 v51, v51
	v_pack_b32_f16 v50, v40, v41
	v_pk_mul_f32 v[40:41], v[58:59], v[52:53] op_sel_hi:[0,1]
	v_pk_mul_f32 v[42:43], v[58:59], v[42:43] op_sel_hi:[0,1]
	v_cvt_f16_f32_e32 v42, v42
	v_cvt_f16_f32_e32 v43, v43
	;; [unrolled: 1-line block ×4, first 2 shown]
	v_pack_b32_f16 v51, v57, v51
	v_lshlrev_b32_e32 v57, 3, v54
	v_or3_b32 v40, v37, v35, v57
	v_pack_b32_f16 v42, v42, v43
	v_pack_b32_f16 v43, v52, v41
	ds_write2st64_b64 v40, v[50:51], v[42:43] offset1:1
	v_pk_mul_f32 v[42:43], v[58:59], v[46:47] op_sel_hi:[0,1]
	v_pk_mul_f32 v[46:47], v[58:59], v[48:49] op_sel_hi:[0,1]
	v_cvt_f16_f32_e32 v37, v46
	v_cvt_f16_f32_e32 v41, v47
	;; [unrolled: 1-line block ×4, first 2 shown]
	v_pk_mul_f32 v[38:39], v[58:59], v[38:39] op_sel_hi:[0,1]
	v_pk_mul_f32 v[42:43], v[58:59], v[44:45] op_sel_hi:[0,1]
	v_cvt_f16_f32_e32 v42, v42
	v_cvt_f16_f32_e32 v43, v43
	v_cvt_f16_f32_e32 v44, v38
	v_cvt_f16_f32_e32 v45, v39
	v_pack_b32_f16 v38, v37, v41
	v_pack_b32_f16 v39, v46, v47
	;; [unrolled: 1-line block ×4, first 2 shown]
	v_cmp_gt_u32_e32 vcc, 13, v0
	ds_write2st64_b64 v40, v[38:39], v[42:43] offset0:2 offset1:3
	s_and_saveexec_b64 s[4:5], vcc
	s_cbranch_execz .LBB48_15
; %bb.14:
	s_mov_b32 s43, 0
	v_mov_b32_e32 v37, 0
	v_lshl_add_u64 v[38:39], s[42:43], 0, v[36:37]
	v_mov_b32_e32 v36, s9
	v_mad_u64_u32 v[38:39], s[10:11], s2, v36, v[38:39]
	v_mov_b32_e32 v36, s28
	s_load_dwordx4 s[12:15], s[0:1], 0x58
	s_mul_i32 s3, s3, s9
	v_mad_u64_u32 v[36:37], s[10:11], v38, s8, v[36:37]
	v_add_u32_e32 v39, s3, v39
	v_mov_b32_e32 v38, v37
	v_mad_u64_u32 v[38:39], s[10:11], v39, s8, v[38:39]
	v_mov_b32_e32 v37, v38
	v_lshlrev_b64 v[36:37], 2, v[36:37]
	s_waitcnt lgkmcnt(0)
	v_lshl_add_u64 v[38:39], s[14:15], 0, v[36:37]
	v_lshl_add_u64 v[36:37], s[12:13], 0, v[36:37]
	global_store_dword v[38:39], v55, off
	global_store_dword v[36:37], v56, off
.LBB48_15:
	s_or_b64 exec, exec, s[4:5]
	v_lshl_or_b32 v35, v54, 9, v35
	s_waitcnt lgkmcnt(0)
	s_barrier
	ds_read_b128 v[36:39], v35
	ds_read_b128 v[42:45], v35 offset:16
	s_waitcnt vmcnt(7) lgkmcnt(1)
	v_mfma_f32_16x16x16_f16 v[46:49], v[6:7], v[36:37], 0
	v_cmp_gt_u32_e32 vcc, 64, v0
	s_mov_b32 s3, 0
	s_and_b64 s[4:5], vcc, s[30:31]
	v_mfma_f32_16x16x16_f16 v[6:9], v[8:9], v[38:39], v[46:49]
	s_waitcnt vmcnt(6) lgkmcnt(0)
	v_mfma_f32_16x16x16_f16 v[6:9], v[2:3], v[42:43], v[6:9]
	v_mfma_f32_16x16x16_f16 v[2:5], v[4:5], v[44:45], v[6:9]
	s_nop 5
	ds_read_b128 v[6:9], v35 offset:2048
	ds_read_b128 v[36:39], v35 offset:2064
	s_waitcnt vmcnt(5) lgkmcnt(1)
	v_mfma_f32_16x16x16_f16 v[2:5], v[30:31], v[6:7], v[2:5]
	v_mfma_f32_16x16x16_f16 v[2:5], v[32:33], v[8:9], v[2:5]
	s_waitcnt vmcnt(4) lgkmcnt(0)
	v_mfma_f32_16x16x16_f16 v[2:5], v[26:27], v[36:37], v[2:5]
	v_mfma_f32_16x16x16_f16 v[2:5], v[28:29], v[38:39], v[2:5]
	ds_read_b128 v[6:9], v35 offset:4096
	ds_read_b128 v[26:29], v35 offset:4112
	s_waitcnt vmcnt(3) lgkmcnt(1)
	v_mfma_f32_16x16x16_f16 v[2:5], v[22:23], v[6:7], v[2:5]
	v_mfma_f32_16x16x16_f16 v[2:5], v[24:25], v[8:9], v[2:5]
	s_waitcnt vmcnt(2) lgkmcnt(0)
	v_mfma_f32_16x16x16_f16 v[2:5], v[18:19], v[26:27], v[2:5]
	v_mfma_f32_16x16x16_f16 v[2:5], v[20:21], v[28:29], v[2:5]
	ds_read_b128 v[6:9], v35 offset:6144
	ds_read_b128 v[18:21], v35 offset:6160
	v_mov_b32_e32 v35, 0
	s_waitcnt vmcnt(1) lgkmcnt(0)
	v_mfma_f32_16x16x16_f16 v[2:5], v[14:15], v[6:7], v[2:5]
	s_barrier
	v_mfma_f32_16x16x16_f16 v[2:5], v[16:17], v[8:9], v[2:5]
	s_waitcnt vmcnt(0)
	v_mfma_f32_16x16x16_f16 v[2:5], v[10:11], v[18:19], v[2:5]
	v_mfma_f32_16x16x16_f16 v[2:5], v[12:13], v[20:21], v[2:5]
	s_nop 6
	v_cvt_f16_f32_e32 v2, v2
	v_cvt_f16_f32_e32 v3, v3
	;; [unrolled: 1-line block ×4, first 2 shown]
	v_pack_b32_f16 v2, v2, v3
	v_pack_b32_f16 v3, v4, v5
	ds_write_b64 v40, v[2:3]
	s_waitcnt lgkmcnt(0)
	s_barrier
	s_and_saveexec_b64 s[10:11], s[4:5]
	s_cbranch_execz .LBB48_18
; %bb.16:
	s_load_dwordx2 s[4:5], s[0:1], 0x68
	s_lshl_b32 s0, s8, 6
	s_mul_i32 s1, s9, s2
	s_mul_hi_u32 s9, s1, s0
	s_mul_i32 s8, s1, s0
	v_lshlrev_b32_e32 v0, 10, v0
	s_lshl_b64 s[8:9], s[8:9], 1
	v_and_b32_e32 v0, 0x1800, v0
	v_lshlrev_b32_e32 v2, 5, v54
	v_and_b32_e32 v1, 16, v1
	s_waitcnt lgkmcnt(0)
	s_add_u32 s1, s4, s8
	v_or3_b32 v2, v0, v2, v1
	s_addc_u32 s4, s5, s9
	s_lshl_b32 s2, s28, 6
	ds_read_b128 v[4:7], v2 offset:256
	s_lshl_b64 s[2:3], s[2:3], 1
	ds_read_b128 v[8:11], v2 offset:128
	ds_read_b128 v[12:15], v2
	s_add_u32 s2, s1, s2
	s_addc_u32 s3, s4, s3
	v_add_u32_e32 v3, s42, v54
	v_lshl_add_u64 v[0:1], s[2:3], 0, v[34:35]
	v_mad_u64_u32 v[16:17], s[2:3], v3, s0, 0
	v_lshl_add_u64 v[16:17], v[16:17], 1, v[0:1]
	s_waitcnt lgkmcnt(0)
	global_store_dwordx4 v[16:17], v[12:15], off
	s_nop 1
	v_add_u32_e32 v12, 4, v3
	v_mad_u64_u32 v[12:13], s[2:3], v12, s0, 0
	v_lshl_add_u64 v[12:13], v[12:13], 1, v[0:1]
	v_add_u32_e32 v3, 8, v3
	global_store_dwordx4 v[12:13], v[8:11], off
	s_nop 1
	v_mad_u64_u32 v[8:9], s[2:3], v3, s0, 0
	v_lshl_add_u64 v[8:9], v[8:9], 1, v[0:1]
	global_store_dwordx4 v[8:9], v[4:7], off
	s_and_b64 exec, exec, s[6:7]
	s_cbranch_execz .LBB48_18
; %bb.17:
	ds_read_b128 v[2:5], v2 offset:384
	v_add3_u32 v6, s42, v54, 12
	v_mad_u64_u32 v[6:7], s[0:1], v6, s0, 0
	v_lshl_add_u64 v[0:1], v[6:7], 1, v[0:1]
	s_waitcnt lgkmcnt(0)
	global_store_dwordx4 v[0:1], v[2:5], off
.LBB48_18:
	s_endpgm
	.section	.rodata,"a",@progbits
	.p2align	6, 0x0
	.amdhsa_kernel _Z39paged_attention_ll4mi_QKV_mfma16_kernelIDF16_DF16_LN4vllm18Fp8KVCacheDataTypeE0EhLi16ELi64ELi256ELb0ELi13EEvPKT_PKT0_S7_ifPKiS9_S9_iPKfiiiPfSC_PS2_PT2_iSB_SB_
		.amdhsa_group_segment_fixed_size 8192
		.amdhsa_private_segment_fixed_size 0
		.amdhsa_kernarg_size 400
		.amdhsa_user_sgpr_count 2
		.amdhsa_user_sgpr_dispatch_ptr 0
		.amdhsa_user_sgpr_queue_ptr 0
		.amdhsa_user_sgpr_kernarg_segment_ptr 1
		.amdhsa_user_sgpr_dispatch_id 0
		.amdhsa_user_sgpr_kernarg_preload_length 0
		.amdhsa_user_sgpr_kernarg_preload_offset 0
		.amdhsa_user_sgpr_private_segment_size 0
		.amdhsa_uses_dynamic_stack 0
		.amdhsa_enable_private_segment 0
		.amdhsa_system_sgpr_workgroup_id_x 1
		.amdhsa_system_sgpr_workgroup_id_y 1
		.amdhsa_system_sgpr_workgroup_id_z 1
		.amdhsa_system_sgpr_workgroup_info 0
		.amdhsa_system_vgpr_workitem_id 0
		.amdhsa_next_free_vgpr 69
		.amdhsa_next_free_sgpr 48
		.amdhsa_accum_offset 72
		.amdhsa_reserve_vcc 1
		.amdhsa_float_round_mode_32 0
		.amdhsa_float_round_mode_16_64 0
		.amdhsa_float_denorm_mode_32 3
		.amdhsa_float_denorm_mode_16_64 3
		.amdhsa_dx10_clamp 1
		.amdhsa_ieee_mode 1
		.amdhsa_fp16_overflow 0
		.amdhsa_tg_split 0
		.amdhsa_exception_fp_ieee_invalid_op 0
		.amdhsa_exception_fp_denorm_src 0
		.amdhsa_exception_fp_ieee_div_zero 0
		.amdhsa_exception_fp_ieee_overflow 0
		.amdhsa_exception_fp_ieee_underflow 0
		.amdhsa_exception_fp_ieee_inexact 0
		.amdhsa_exception_int_div_zero 0
	.end_amdhsa_kernel
	.section	.text._Z39paged_attention_ll4mi_QKV_mfma16_kernelIDF16_DF16_LN4vllm18Fp8KVCacheDataTypeE0EhLi16ELi64ELi256ELb0ELi13EEvPKT_PKT0_S7_ifPKiS9_S9_iPKfiiiPfSC_PS2_PT2_iSB_SB_,"axG",@progbits,_Z39paged_attention_ll4mi_QKV_mfma16_kernelIDF16_DF16_LN4vllm18Fp8KVCacheDataTypeE0EhLi16ELi64ELi256ELb0ELi13EEvPKT_PKT0_S7_ifPKiS9_S9_iPKfiiiPfSC_PS2_PT2_iSB_SB_,comdat
.Lfunc_end48:
	.size	_Z39paged_attention_ll4mi_QKV_mfma16_kernelIDF16_DF16_LN4vllm18Fp8KVCacheDataTypeE0EhLi16ELi64ELi256ELb0ELi13EEvPKT_PKT0_S7_ifPKiS9_S9_iPKfiiiPfSC_PS2_PT2_iSB_SB_, .Lfunc_end48-_Z39paged_attention_ll4mi_QKV_mfma16_kernelIDF16_DF16_LN4vllm18Fp8KVCacheDataTypeE0EhLi16ELi64ELi256ELb0ELi13EEvPKT_PKT0_S7_ifPKiS9_S9_iPKfiiiPfSC_PS2_PT2_iSB_SB_
                                        ; -- End function
	.section	.AMDGPU.csdata,"",@progbits
; Kernel info:
; codeLenInByte = 3864
; NumSgprs: 54
; NumVgprs: 69
; NumAgprs: 0
; TotalNumVgprs: 69
; ScratchSize: 0
; MemoryBound: 0
; FloatMode: 240
; IeeeMode: 1
; LDSByteSize: 8192 bytes/workgroup (compile time only)
; SGPRBlocks: 6
; VGPRBlocks: 8
; NumSGPRsForWavesPerEU: 54
; NumVGPRsForWavesPerEU: 69
; AccumOffset: 72
; Occupancy: 7
; WaveLimiterHint : 1
; COMPUTE_PGM_RSRC2:SCRATCH_EN: 0
; COMPUTE_PGM_RSRC2:USER_SGPR: 2
; COMPUTE_PGM_RSRC2:TRAP_HANDLER: 0
; COMPUTE_PGM_RSRC2:TGID_X_EN: 1
; COMPUTE_PGM_RSRC2:TGID_Y_EN: 1
; COMPUTE_PGM_RSRC2:TGID_Z_EN: 1
; COMPUTE_PGM_RSRC2:TIDIG_COMP_CNT: 0
; COMPUTE_PGM_RSRC3_GFX90A:ACCUM_OFFSET: 17
; COMPUTE_PGM_RSRC3_GFX90A:TG_SPLIT: 0
	.section	.text._Z39paged_attention_ll4mi_QKV_mfma16_kernelIDF16_DF16_LN4vllm18Fp8KVCacheDataTypeE0EhLi16ELi64ELi256ELb0ELi14EEvPKT_PKT0_S7_ifPKiS9_S9_iPKfiiiPfSC_PS2_PT2_iSB_SB_,"axG",@progbits,_Z39paged_attention_ll4mi_QKV_mfma16_kernelIDF16_DF16_LN4vllm18Fp8KVCacheDataTypeE0EhLi16ELi64ELi256ELb0ELi14EEvPKT_PKT0_S7_ifPKiS9_S9_iPKfiiiPfSC_PS2_PT2_iSB_SB_,comdat
	.protected	_Z39paged_attention_ll4mi_QKV_mfma16_kernelIDF16_DF16_LN4vllm18Fp8KVCacheDataTypeE0EhLi16ELi64ELi256ELb0ELi14EEvPKT_PKT0_S7_ifPKiS9_S9_iPKfiiiPfSC_PS2_PT2_iSB_SB_ ; -- Begin function _Z39paged_attention_ll4mi_QKV_mfma16_kernelIDF16_DF16_LN4vllm18Fp8KVCacheDataTypeE0EhLi16ELi64ELi256ELb0ELi14EEvPKT_PKT0_S7_ifPKiS9_S9_iPKfiiiPfSC_PS2_PT2_iSB_SB_
	.globl	_Z39paged_attention_ll4mi_QKV_mfma16_kernelIDF16_DF16_LN4vllm18Fp8KVCacheDataTypeE0EhLi16ELi64ELi256ELb0ELi14EEvPKT_PKT0_S7_ifPKiS9_S9_iPKfiiiPfSC_PS2_PT2_iSB_SB_
	.p2align	8
	.type	_Z39paged_attention_ll4mi_QKV_mfma16_kernelIDF16_DF16_LN4vllm18Fp8KVCacheDataTypeE0EhLi16ELi64ELi256ELb0ELi14EEvPKT_PKT0_S7_ifPKiS9_S9_iPKfiiiPfSC_PS2_PT2_iSB_SB_,@function
_Z39paged_attention_ll4mi_QKV_mfma16_kernelIDF16_DF16_LN4vllm18Fp8KVCacheDataTypeE0EhLi16ELi64ELi256ELb0ELi14EEvPKT_PKT0_S7_ifPKiS9_S9_iPKfiiiPfSC_PS2_PT2_iSB_SB_: ; @_Z39paged_attention_ll4mi_QKV_mfma16_kernelIDF16_DF16_LN4vllm18Fp8KVCacheDataTypeE0EhLi16ELi64ELi256ELb0ELi14EEvPKT_PKT0_S7_ifPKiS9_S9_iPKfiiiPfSC_PS2_PT2_iSB_SB_
; %bb.0:
	s_load_dwordx2 s[12:13], s[0:1], 0x30
	s_mov_b32 s28, s3
	s_mov_b64 s[6:7], 0
	s_waitcnt lgkmcnt(0)
	s_cmp_lg_u64 s[12:13], 0
	s_cselect_b64 s[14:15], -1, 0
	s_and_b64 vcc, exec, s[14:15]
	s_cbranch_vccz .LBB49_7
; %bb.1:
	s_add_i32 s8, s2, 1
	s_mov_b32 s9, 0
	s_lshl_b64 s[10:11], s[8:9], 2
	s_add_u32 s10, s12, s10
	s_mov_b32 s3, s9
	s_addc_u32 s11, s13, s11
	s_lshl_b64 s[8:9], s[2:3], 2
	s_add_u32 s8, s12, s8
	s_addc_u32 s9, s13, s9
	s_load_dword s5, s[10:11], 0x0
	s_load_dword s16, s[8:9], 0x0
	s_waitcnt lgkmcnt(0)
	s_sub_i32 s5, s5, s16
	s_cmp_eq_u32 s5, 1
	s_cselect_b64 s[8:9], -1, 0
	s_andn2_b64 vcc, exec, s[6:7]
	s_cbranch_vccnz .LBB49_3
.LBB49_2:
	s_mov_b32 s3, 0
	s_mov_b64 s[8:9], -1
.LBB49_3:
	s_andn2_b64 vcc, exec, s[8:9]
	s_cbranch_vccnz .LBB49_18
; %bb.4:
	s_load_dwordx2 s[6:7], s[0:1], 0x28
	s_lshl_b64 s[16:17], s[2:3], 2
	s_waitcnt lgkmcnt(0)
	s_add_u32 s6, s6, s16
	s_addc_u32 s7, s7, s17
	s_load_dword s33, s[6:7], 0x0
	s_lshl_b32 s18, s28, 8
	s_waitcnt lgkmcnt(0)
	s_cmp_ge_i32 s18, s33
	s_cbranch_scc1 .LBB49_18
; %bb.5:
	s_load_dwordx2 s[6:7], s[0:1], 0x20
	s_load_dword s5, s[0:1], 0x38
	s_add_i32 s8, s33, 15
	s_ashr_i32 s9, s8, 31
	v_and_b32_e32 v1, 0xcf, v0
	s_lshr_b32 s9, s9, 28
	v_add_u32_e32 v1, s18, v1
	s_add_i32 s8, s8, s9
	v_ashrrev_i32_e32 v2, 31, v1
	s_ashr_i32 s19, s8, 4
	v_lshrrev_b32_e32 v6, 28, v2
	s_add_i32 s19, s19, -1
	s_waitcnt lgkmcnt(0)
	s_mul_i32 s8, s2, s5
	s_mov_b32 s9, 0
	v_add_u32_e32 v2, v1, v6
	s_lshl_b64 s[8:9], s[8:9], 2
	v_ashrrev_i32_e32 v2, 4, v2
	v_mov_b32_e32 v7, s19
	v_cmp_gt_i32_e32 vcc, s33, v1
	s_add_u32 s6, s6, s8
	s_addc_u32 s7, s7, s9
	v_cndmask_b32_e32 v2, v7, v2, vcc
	v_ashrrev_i32_e32 v3, 31, v2
	v_lshl_add_u64 v[4:5], v[2:3], 2, s[6:7]
	v_or_b32_e32 v2, 16, v1
	v_add_u32_e32 v3, v2, v6
	v_ashrrev_i32_e32 v3, 4, v3
	v_cmp_gt_i32_e32 vcc, s33, v2
	s_load_dwordx4 s[8:11], s[0:1], 0x8
	s_nop 0
	v_cndmask_b32_e32 v2, v7, v3, vcc
	v_ashrrev_i32_e32 v3, 31, v2
	v_lshl_add_u64 v[8:9], v[2:3], 2, s[6:7]
	v_or_b32_e32 v2, 32, v1
	v_add_u32_e32 v3, v2, v6
	v_ashrrev_i32_e32 v3, 4, v3
	v_cmp_gt_i32_e32 vcc, s33, v2
	v_or_b32_e32 v1, 48, v1
	s_nop 0
	v_cndmask_b32_e32 v2, v7, v3, vcc
	v_ashrrev_i32_e32 v3, 31, v2
	v_lshl_add_u64 v[12:13], v[2:3], 2, s[6:7]
	v_add_u32_e32 v2, v1, v6
	v_ashrrev_i32_e32 v2, 4, v2
	v_cmp_gt_i32_e32 vcc, s33, v1
	s_nop 1
	v_cndmask_b32_e32 v2, v7, v2, vcc
	v_ashrrev_i32_e32 v3, 31, v2
	v_lshl_add_u64 v[14:15], v[2:3], 2, s[6:7]
	global_load_dword v2, v[4:5], off
	global_load_dword v6, v[8:9], off
	;; [unrolled: 1-line block ×4, first 2 shown]
	s_andn2_b64 vcc, exec, s[14:15]
	s_cbranch_vccnz .LBB49_8
; %bb.6:
	s_add_u32 s12, s12, s16
	s_addc_u32 s13, s13, s17
	s_load_dword s5, s[12:13], 0x0
	s_branch .LBB49_9
.LBB49_7:
	s_mov_b64 s[8:9], 0
	s_branch .LBB49_2
.LBB49_8:
	s_mov_b32 s5, s2
.LBB49_9:
	s_load_dwordx4 s[44:47], s[0:1], 0x48
	v_lshrrev_b32_e32 v37, 6, v0
	v_bfe_u32 v54, v0, 4, 2
	v_lshl_or_b32 v1, v37, 2, v54
	v_and_b32_e32 v36, 15, v0
	v_lshlrev_b32_e32 v3, 3, v36
	v_cmp_gt_u32_e32 vcc, 14, v1
	v_cmp_gt_u32_e64 s[30:31], 8, v36
	v_and_b32_e32 v55, 63, v0
	s_mul_i32 s42, s4, 14
	s_and_b64 s[14:15], s[30:31], vcc
	v_lshlrev_b32_e32 v34, 1, v3
	s_and_saveexec_b64 s[12:13], s[14:15]
	s_cbranch_execz .LBB49_11
; %bb.10:
	s_load_dwordx2 s[14:15], s[0:1], 0x0
	s_waitcnt lgkmcnt(0)
	s_ashr_i32 s16, s44, 31
	s_mul_hi_u32 s17, s5, s44
	s_mul_i32 s16, s5, s16
	s_add_i32 s17, s17, s16
	s_mul_i32 s16, s5, s44
	s_lshl_b64 s[16:17], s[16:17], 1
	s_add_u32 s14, s14, s16
	v_add_lshl_u32 v4, v1, s42, 6
	s_addc_u32 s15, s15, s17
	v_ashrrev_i32_e32 v5, 31, v4
	v_lshl_add_u64 v[4:5], v[4:5], 1, s[14:15]
	v_mov_b32_e32 v35, 0
	v_lshl_add_u64 v[4:5], v[4:5], 0, v[34:35]
	global_load_dwordx4 v[12:15], v[4:5], off
	v_and_b32_e32 v3, 3, v0
	v_lshlrev_b32_e32 v4, 9, v36
	v_lshlrev_b32_e32 v1, 5, v1
	;; [unrolled: 1-line block ×3, first 2 shown]
	v_and_b32_e32 v4, 0x1800, v4
	v_or3_b32 v1, v4, v3, v1
	s_waitcnt vmcnt(0)
	ds_write_b128 v1, v[12:15]
.LBB49_11:
	s_or_b64 exec, exec, s[12:13]
	s_waitcnt lgkmcnt(0)
	s_mul_i32 s4, s4, s46
	s_mov_b32 s5, 0
	s_lshl_b64 s[4:5], s[4:5], 1
	s_add_u32 s8, s8, s4
	v_lshlrev_b32_e32 v1, 4, v0
	s_addc_u32 s9, s9, s5
	v_and_b32_e32 v30, 0xf0, v1
	v_mov_b32_e32 v31, 0
	v_lshl_add_u64 v[18:19], s[8:9], 0, v[30:31]
	s_waitcnt vmcnt(3)
	v_mad_i64_i32 v[2:3], s[8:9], v2, s45, 0
	v_lshl_add_u64 v[2:3], v[2:3], 1, v[18:19]
	v_and_b32_e32 v30, 0x300, v1
	v_lshl_add_u64 v[14:15], v[2:3], 0, v[30:31]
	s_load_dword s29, s[0:1], 0x98
	s_load_dword s12, s[0:1], 0x1c
	s_waitcnt lgkmcnt(0)
	s_barrier
	global_load_dwordx4 v[2:5], v[14:15], off
	global_load_dwordx4 v[26:29], v[14:15], off offset:1024
	s_waitcnt vmcnt(3)
	v_mad_i64_i32 v[10:11], s[8:9], v10, s45, 0
	v_lshl_add_u64 v[10:11], v[10:11], 1, v[18:19]
	v_lshl_add_u64 v[38:39], v[10:11], 0, v[30:31]
	global_load_dwordx4 v[10:13], v[38:39], off
	global_load_dwordx4 v[56:59], v[38:39], off offset:1024
	v_mad_i64_i32 v[6:7], s[8:9], v6, s45, 0
	v_lshl_add_u64 v[6:7], v[6:7], 1, v[18:19]
	v_lshl_add_u64 v[32:33], v[6:7], 0, v[30:31]
	global_load_dwordx4 v[6:9], v[32:33], off
	global_load_dwordx4 v[46:49], v[32:33], off offset:1024
	s_waitcnt vmcnt(6)
	v_mad_i64_i32 v[16:17], s[8:9], v16, s45, 0
	v_lshl_add_u64 v[16:17], v[16:17], 1, v[18:19]
	v_lshl_add_u64 v[40:41], v[16:17], 0, v[30:31]
	global_load_dwordx4 v[18:21], v[40:41], off
	v_add_u32_e32 v16, -14, v36
	v_cmp_gt_u32_e32 vcc, 14, v36
	global_load_dwordx4 v[38:41], v[40:41], off offset:1024
	v_and_or_b32 v30, v0, 48, s18
	v_cndmask_b32_e32 v16, v16, v36, vcc
	v_lshlrev_b32_e32 v16, 5, v16
	v_lshl_add_u32 v16, v54, 9, v16
	ds_read_b128 v[22:25], v16
	v_mov_b32_e32 v68, s19
	v_cmp_gt_i32_e32 vcc, s33, v30
	v_or_b32_e32 v32, 64, v30
	ds_read_b128 v[14:17], v16 offset:2048
	v_lshlrev_b32_e32 v35, 5, v36
	s_add_u32 s4, s10, s4
	s_addc_u32 s5, s11, s5
	s_mov_b32 s43, 0xff7fffff
	s_waitcnt vmcnt(7) lgkmcnt(1)
	v_mfma_f32_16x16x16_f16 v[42:45], v[2:3], v[22:23], 0
	v_ashrrev_i32_e32 v2, 4, v30
	v_cndmask_b32_e32 v2, v68, v2, vcc
	v_ashrrev_i32_e32 v3, 31, v2
	s_waitcnt vmcnt(5)
	v_mfma_f32_16x16x16_f16 v[60:63], v[10:11], v[22:23], 0
	v_lshl_add_u64 v[10:11], v[2:3], 2, s[6:7]
	v_cmp_gt_i32_e32 vcc, s33, v32
	v_mfma_f32_16x16x16_f16 v[2:5], v[4:5], v[24:25], v[42:45]
	s_nop 2
	global_load_dword v42, v[10:11], off
	s_waitcnt vmcnt(4)
	v_mfma_f32_16x16x16_f16 v[50:53], v[6:7], v[22:23], 0
	v_ashrrev_i32_e32 v6, 4, v32
	v_cndmask_b32_e32 v6, v68, v6, vcc
	v_ashrrev_i32_e32 v7, 31, v6
	v_lshl_add_u64 v[10:11], v[6:7], 2, s[6:7]
	global_load_dword v43, v[10:11], off
	s_waitcnt vmcnt(3)
	v_mfma_f32_16x16x16_f16 v[64:67], v[18:19], v[22:23], 0
	v_or_b32_e32 v22, 0x80, v30
	v_or_b32_e32 v23, 0xc0, v30
	v_ashrrev_i32_e32 v30, 4, v22
	v_cmp_gt_i32_e32 vcc, s33, v22
	v_ashrrev_i32_e32 v32, 4, v23
	v_mfma_f32_16x16x16_f16 v[6:9], v[8:9], v[24:25], v[50:53]
	v_cndmask_b32_e32 v22, v68, v30, vcc
	v_cmp_gt_i32_e32 vcc, s33, v23
	v_ashrrev_i32_e32 v23, 31, v22
	v_mfma_f32_16x16x16_f16 v[10:13], v[12:13], v[24:25], v[60:63]
	v_lshl_or_b32 v30, v37, 9, v35
	v_mfma_f32_16x16x16_f16 v[18:21], v[20:21], v[24:25], v[64:67]
	v_cndmask_b32_e32 v24, v68, v32, vcc
	v_ashrrev_i32_e32 v25, 31, v24
	v_lshl_add_u64 v[32:33], v[24:25], 2, s[6:7]
	s_waitcnt lgkmcnt(0)
	v_mfma_f32_16x16x16_f16 v[2:5], v[26:27], v[14:15], v[2:5]
	v_lshl_add_u64 v[26:27], v[22:23], 2, s[6:7]
	global_load_dword v60, v[26:27], off
	global_load_dword v61, v[32:33], off
	v_mfma_f32_16x16x16_f16 v[6:9], v[46:47], v[14:15], v[6:9]
	v_mfma_f32_16x16x16_f16 v[22:25], v[56:57], v[14:15], v[10:13]
	s_waitcnt vmcnt(4)
	v_mfma_f32_16x16x16_f16 v[18:21], v[38:39], v[14:15], v[18:21]
	s_nop 0
	v_lshl_add_u64 v[10:11], s[4:5], 0, v[30:31]
	s_waitcnt vmcnt(3)
	v_mad_i64_i32 v[26:27], s[4:5], v42, s45, 0
	v_mfma_f32_16x16x16_f16 v[12:15], v[28:29], v[16:17], v[2:5]
	v_lshl_add_u64 v[30:31], v[26:27], 1, v[10:11]
	s_waitcnt vmcnt(2)
	v_mad_i64_i32 v[32:33], s[4:5], v43, s45, 0
	v_mfma_f32_16x16x16_f16 v[26:29], v[48:49], v[16:17], v[6:9]
	s_nop 2
	v_pk_mul_f32 v[50:51], s[12:13], v[14:15] op_sel_hi:[0,1]
	v_pk_mul_f32 v[12:13], s[12:13], v[12:13] op_sel_hi:[0,1]
	v_lshl_add_u64 v[56:57], v[32:33], 1, v[10:11]
	v_mfma_f32_16x16x16_f16 v[22:25], v[58:59], v[16:17], v[22:25]
	global_load_dwordx4 v[6:9], v[30:31], off
	global_load_dwordx4 v[2:5], v[30:31], off offset:16
	v_pk_mul_f32 v[42:43], s[12:13], v[26:27] op_sel_hi:[0,1]
	v_pk_mul_f32 v[52:53], s[12:13], v[28:29] op_sel_hi:[0,1]
	v_mfma_f32_16x16x16_f16 v[14:17], v[40:41], v[16:17], v[18:21]
	s_nop 1
	v_pk_mul_f32 v[48:49], s[12:13], v[22:23] op_sel_hi:[0,1]
	v_pk_mul_f32 v[46:47], s[12:13], v[24:25] op_sel_hi:[0,1]
	global_load_dwordx4 v[30:33], v[56:57], off
	global_load_dwordx4 v[26:29], v[56:57], off offset:16
	s_nop 0
	v_pk_mul_f32 v[44:45], s[12:13], v[14:15] op_sel_hi:[0,1]
	v_and_b32_e32 v14, 0xc0, v0
	v_add_u32_e32 v14, s18, v14
	v_lshl_or_b32 v14, v54, 2, v14
	v_pk_mul_f32 v[38:39], s[12:13], v[16:17] op_sel_hi:[0,1]
	v_or_b32_e32 v17, 1, v14
	v_mov_b32_e32 v15, 0xff7fffff
	v_cmp_gt_i32_e64 s[4:5], s33, v14
	v_cmp_gt_i32_e64 s[34:35], s33, v17
	v_or_b32_e32 v18, 3, v14
	v_cndmask_b32_e64 v16, v15, v12, s[4:5]
	v_cndmask_b32_e64 v17, v15, v13, s[34:35]
	v_max3_f32 v16, v16, s43, v17
	v_or_b32_e32 v17, 2, v14
	v_cmp_gt_i32_e64 s[36:37], s33, v17
	v_cmp_gt_i32_e64 s[38:39], s33, v18
	s_nop 0
	v_cndmask_b32_e64 v17, v15, v50, s[36:37]
	v_cndmask_b32_e64 v18, v15, v51, s[38:39]
	v_max3_f32 v16, v16, v17, v18
	v_or_b32_e32 v17, 16, v14
	v_or_b32_e32 v18, 17, v14
	v_cmp_gt_i32_e64 s[24:25], s33, v17
	v_cmp_gt_i32_e64 s[26:27], s33, v18
	s_nop 0
	v_cndmask_b32_e64 v17, v15, v42, s[24:25]
	v_cndmask_b32_e64 v18, v15, v43, s[26:27]
	v_max3_f32 v16, v16, v17, v18
	v_or_b32_e32 v17, 18, v14
	;; [unrolled: 8-line block ×6, first 2 shown]
	v_or_b32_e32 v14, 51, v14
	v_cmp_gt_i32_e32 vcc, s33, v17
	v_cmp_gt_i32_e64 s[6:7], s33, v14
	s_nop 0
	v_cndmask_b32_e32 v17, v15, v38, vcc
	v_cndmask_b32_e64 v14, v15, v39, s[6:7]
	v_max3_f32 v16, v16, v17, v14
	v_mbcnt_lo_u32_b32 v14, -1, 0
	v_mbcnt_hi_u32_b32 v17, -1, v14
	v_and_b32_e32 v14, 64, v17
	v_add_u32_e32 v18, 64, v14
	v_xor_b32_e32 v14, 32, v17
	v_cmp_lt_i32_e64 s[40:41], v14, v18
	s_nop 1
	v_cndmask_b32_e64 v14, v17, v14, s[40:41]
	v_lshlrev_b32_e32 v58, 2, v14
	ds_bpermute_b32 v19, v58, v16
	s_waitcnt vmcnt(5)
	v_mad_i64_i32 v[14:15], s[40:41], v60, s45, 0
	v_lshl_add_u64 v[14:15], v[14:15], 1, v[10:11]
	s_waitcnt lgkmcnt(0)
	v_max_f32_e32 v19, v19, v19
	v_max_f32_e32 v16, v16, v19
	v_xor_b32_e32 v19, 16, v17
	v_cmp_lt_i32_e64 s[40:41], v19, v18
	s_nop 1
	v_cndmask_b32_e64 v17, v17, v19, s[40:41]
	v_lshlrev_b32_e32 v57, 2, v17
	ds_bpermute_b32 v17, v57, v16
	global_load_dwordx4 v[22:25], v[14:15], off
	global_load_dwordx4 v[18:21], v[14:15], off offset:16
	s_waitcnt vmcnt(6)
	v_mad_i64_i32 v[14:15], s[40:41], v61, s45, 0
	v_lshl_add_u64 v[10:11], v[14:15], 1, v[10:11]
	s_waitcnt lgkmcnt(0)
	v_max_f32_e32 v14, v17, v17
	v_max_f32_e32 v56, v16, v14
	v_sub_f32_e32 v12, v12, v56
	v_mul_f32_e32 v12, 0x3fb8aa3b, v12
	v_exp_f32_e32 v40, v12
	v_sub_f32_e32 v12, v13, v56
	v_mul_f32_e32 v12, 0x3fb8aa3b, v12
	v_exp_f32_e32 v41, v12
	global_load_dwordx4 v[14:17], v[10:11], off
	s_nop 0
	global_load_dwordx4 v[10:13], v[10:11], off offset:16
	v_sub_f32_e32 v50, v50, v56
	v_mul_f32_e32 v50, 0x3fb8aa3b, v50
	v_sub_f32_e32 v51, v51, v56
	v_exp_f32_e32 v50, v50
	v_mul_f32_e32 v51, 0x3fb8aa3b, v51
	v_sub_f32_e32 v42, v42, v56
	v_exp_f32_e32 v51, v51
	v_mul_f32_e32 v42, 0x3fb8aa3b, v42
	v_sub_f32_e32 v43, v43, v56
	v_cndmask_b32_e64 v40, 0, v40, s[4:5]
	v_exp_f32_e32 v42, v42
	v_mul_f32_e32 v43, 0x3fb8aa3b, v43
	v_sub_f32_e32 v52, v52, v56
	v_add_f32_e32 v59, 0, v40
	v_cndmask_b32_e64 v41, 0, v41, s[34:35]
	v_exp_f32_e32 v43, v43
	v_mul_f32_e32 v52, 0x3fb8aa3b, v52
	v_sub_f32_e32 v53, v53, v56
	v_add_f32_e32 v59, v59, v41
	;; [unrolled: 5-line block ×10, first 2 shown]
	v_cndmask_b32_e64 v46, 0, v46, s[12:13]
	v_exp_f32_e32 v38, v38
	v_mul_f32_e32 v39, 0x3fb8aa3b, v39
	v_add_f32_e32 v59, v59, v46
	v_cndmask_b32_e64 v47, 0, v47, s[14:15]
	v_exp_f32_e32 v39, v39
	v_add_f32_e32 v59, v59, v47
	v_cndmask_b32_e64 v44, 0, v44, s[8:9]
	v_add_f32_e32 v59, v59, v44
	v_cndmask_b32_e64 v45, 0, v45, s[10:11]
	v_add_f32_e32 v59, v59, v45
	v_cndmask_b32_e32 v38, 0, v38, vcc
	v_add_f32_e32 v59, v59, v38
	v_cndmask_b32_e64 v39, 0, v39, s[6:7]
	v_add_f32_e32 v59, v59, v39
	ds_bpermute_b32 v58, v58, v59
	v_cmp_gt_u32_e32 vcc, 16, v55
	s_waitcnt lgkmcnt(0)
	s_barrier
	v_add_f32_e32 v58, v59, v58
	ds_bpermute_b32 v59, v57, v58
	v_lshlrev_b32_e32 v57, 2, v36
	s_and_saveexec_b64 s[4:5], vcc
	s_cbranch_execz .LBB49_13
; %bb.12:
	s_waitcnt lgkmcnt(0)
	v_add_f32_e32 v55, v58, v59
	v_lshl_or_b32 v58, v37, 6, v57
	ds_write2st64_b32 v58, v56, v55 offset1:1
.LBB49_13:
	s_or_b64 exec, exec, s[4:5]
	s_load_dword s6, s[0:1], 0x94
	s_waitcnt lgkmcnt(0)
	s_barrier
	ds_read2_b32 v[58:59], v57 offset1:16
	ds_read2_b32 v[60:61], v57 offset0:32 offset1:48
	ds_read2_b32 v[62:63], v57 offset0:64 offset1:80
	s_mul_i32 s7, s29, 14
	s_waitcnt lgkmcnt(2)
	v_max3_f32 v55, v58, s43, v59
	s_waitcnt lgkmcnt(1)
	v_max3_f32 v55, v55, v60, v61
	v_sub_f32_e32 v56, v58, v55
	v_mul_f32_e32 v56, 0x3fb8aa3b, v56
	v_exp_f32_e32 v64, v56
	v_sub_f32_e32 v56, v59, v55
	v_mul_f32_e32 v56, 0x3fb8aa3b, v56
	v_exp_f32_e32 v65, v56
	;; [unrolled: 3-line block ×3, first 2 shown]
	ds_read2_b32 v[58:59], v57 offset0:96 offset1:112
	v_sub_f32_e32 v56, v61, v55
	v_mul_f32_e32 v56, 0x3fb8aa3b, v56
	v_exp_f32_e32 v57, v56
	s_waitcnt lgkmcnt(1)
	v_fma_f32 v56, v64, v62, 0
	v_fmac_f32_e32 v56, v65, v63
	s_waitcnt lgkmcnt(0)
	v_fmac_f32_e32 v56, v60, v58
	v_fmac_f32_e32 v56, v57, v59
	v_add_f32_e32 v58, 0x358637bd, v56
	v_div_scale_f32 v59, s[4:5], v58, v58, 1.0
	v_rcp_f32_e32 v61, v59
	s_barrier
	v_fma_f32 v62, -v59, v61, 1.0
	v_fmac_f32_e32 v61, v62, v61
	v_div_scale_f32 v62, vcc, 1.0, v58, 1.0
	v_mul_f32_e32 v63, v62, v61
	v_fma_f32 v66, -v59, v63, v62
	v_fmac_f32_e32 v63, v66, v61
	v_fma_f32 v59, -v59, v63, v62
	v_div_fmas_f32 v59, v59, v61, v63
	v_cmp_eq_u32_e32 vcc, 1, v37
	v_div_fixup_f32 v58, v59, v58, 1.0
	s_nop 0
	v_cndmask_b32_e32 v59, v64, v65, vcc
	v_cmp_eq_u32_e32 vcc, 2, v37
	s_nop 1
	v_cndmask_b32_e32 v59, v59, v60, vcc
	v_cmp_eq_u32_e32 vcc, 3, v37
	v_lshlrev_b32_e32 v37, 11, v37
	s_nop 0
	v_cndmask_b32_e32 v57, v59, v57, vcc
	v_mul_f32_e32 v58, v57, v58
	v_pk_mul_f32 v[40:41], v[58:59], v[40:41] op_sel_hi:[0,1]
	v_cvt_f16_f32_e32 v40, v40
	v_cvt_f16_f32_e32 v41, v41
	v_pk_mul_f32 v[50:51], v[58:59], v[50:51] op_sel_hi:[0,1]
	v_cvt_f16_f32_e32 v57, v50
	v_cvt_f16_f32_e32 v51, v51
	v_pack_b32_f16 v50, v40, v41
	v_pk_mul_f32 v[40:41], v[58:59], v[52:53] op_sel_hi:[0,1]
	v_pk_mul_f32 v[42:43], v[58:59], v[42:43] op_sel_hi:[0,1]
	v_cvt_f16_f32_e32 v42, v42
	v_cvt_f16_f32_e32 v43, v43
	;; [unrolled: 1-line block ×4, first 2 shown]
	v_pack_b32_f16 v51, v57, v51
	v_lshlrev_b32_e32 v57, 3, v54
	v_or3_b32 v40, v37, v35, v57
	v_pack_b32_f16 v42, v42, v43
	v_pack_b32_f16 v43, v52, v41
	ds_write2st64_b64 v40, v[50:51], v[42:43] offset1:1
	v_pk_mul_f32 v[42:43], v[58:59], v[46:47] op_sel_hi:[0,1]
	v_pk_mul_f32 v[46:47], v[58:59], v[48:49] op_sel_hi:[0,1]
	v_cvt_f16_f32_e32 v37, v46
	v_cvt_f16_f32_e32 v41, v47
	;; [unrolled: 1-line block ×4, first 2 shown]
	v_pk_mul_f32 v[38:39], v[58:59], v[38:39] op_sel_hi:[0,1]
	v_pk_mul_f32 v[42:43], v[58:59], v[44:45] op_sel_hi:[0,1]
	v_cvt_f16_f32_e32 v42, v42
	v_cvt_f16_f32_e32 v43, v43
	;; [unrolled: 1-line block ×4, first 2 shown]
	v_pack_b32_f16 v38, v37, v41
	v_pack_b32_f16 v39, v46, v47
	;; [unrolled: 1-line block ×4, first 2 shown]
	v_cmp_gt_u32_e32 vcc, 14, v0
	ds_write2st64_b64 v40, v[38:39], v[42:43] offset0:2 offset1:3
	s_and_saveexec_b64 s[4:5], vcc
	s_cbranch_execz .LBB49_15
; %bb.14:
	s_mov_b32 s43, 0
	v_mov_b32_e32 v37, 0
	v_lshl_add_u64 v[38:39], s[42:43], 0, v[36:37]
	v_mov_b32_e32 v36, s7
	v_mad_u64_u32 v[38:39], s[12:13], s2, v36, v[38:39]
	v_mov_b32_e32 v36, s28
	s_load_dwordx4 s[8:11], s[0:1], 0x58
	s_mul_i32 s3, s3, s7
	v_mad_u64_u32 v[36:37], s[12:13], v38, s6, v[36:37]
	v_add_u32_e32 v39, s3, v39
	v_mov_b32_e32 v38, v37
	v_mad_u64_u32 v[38:39], s[12:13], v39, s6, v[38:39]
	v_mov_b32_e32 v37, v38
	v_lshlrev_b64 v[36:37], 2, v[36:37]
	s_waitcnt lgkmcnt(0)
	v_lshl_add_u64 v[38:39], s[10:11], 0, v[36:37]
	v_lshl_add_u64 v[36:37], s[8:9], 0, v[36:37]
	global_store_dword v[38:39], v55, off
	global_store_dword v[36:37], v56, off
.LBB49_15:
	s_or_b64 exec, exec, s[4:5]
	v_lshl_or_b32 v35, v54, 9, v35
	s_waitcnt lgkmcnt(0)
	s_barrier
	ds_read_b128 v[36:39], v35
	ds_read_b128 v[42:45], v35 offset:16
	s_waitcnt vmcnt(7) lgkmcnt(1)
	v_mfma_f32_16x16x16_f16 v[46:49], v[6:7], v[36:37], 0
	v_cmp_gt_u32_e32 vcc, 64, v0
	s_mov_b32 s3, 0
	s_and_b64 s[4:5], vcc, s[30:31]
	v_mfma_f32_16x16x16_f16 v[6:9], v[8:9], v[38:39], v[46:49]
	s_waitcnt vmcnt(6) lgkmcnt(0)
	v_mfma_f32_16x16x16_f16 v[6:9], v[2:3], v[42:43], v[6:9]
	v_mfma_f32_16x16x16_f16 v[2:5], v[4:5], v[44:45], v[6:9]
	s_nop 5
	ds_read_b128 v[6:9], v35 offset:2048
	ds_read_b128 v[36:39], v35 offset:2064
	s_waitcnt vmcnt(5) lgkmcnt(1)
	v_mfma_f32_16x16x16_f16 v[2:5], v[30:31], v[6:7], v[2:5]
	v_mfma_f32_16x16x16_f16 v[2:5], v[32:33], v[8:9], v[2:5]
	s_waitcnt vmcnt(4) lgkmcnt(0)
	v_mfma_f32_16x16x16_f16 v[2:5], v[26:27], v[36:37], v[2:5]
	v_mfma_f32_16x16x16_f16 v[2:5], v[28:29], v[38:39], v[2:5]
	ds_read_b128 v[6:9], v35 offset:4096
	ds_read_b128 v[26:29], v35 offset:4112
	s_waitcnt vmcnt(3) lgkmcnt(1)
	v_mfma_f32_16x16x16_f16 v[2:5], v[22:23], v[6:7], v[2:5]
	v_mfma_f32_16x16x16_f16 v[2:5], v[24:25], v[8:9], v[2:5]
	s_waitcnt vmcnt(2) lgkmcnt(0)
	v_mfma_f32_16x16x16_f16 v[2:5], v[18:19], v[26:27], v[2:5]
	v_mfma_f32_16x16x16_f16 v[2:5], v[20:21], v[28:29], v[2:5]
	ds_read_b128 v[6:9], v35 offset:6144
	ds_read_b128 v[18:21], v35 offset:6160
	v_mov_b32_e32 v35, 0
	s_waitcnt vmcnt(1) lgkmcnt(0)
	v_mfma_f32_16x16x16_f16 v[2:5], v[14:15], v[6:7], v[2:5]
	s_barrier
	v_mfma_f32_16x16x16_f16 v[2:5], v[16:17], v[8:9], v[2:5]
	s_waitcnt vmcnt(0)
	v_mfma_f32_16x16x16_f16 v[2:5], v[10:11], v[18:19], v[2:5]
	v_mfma_f32_16x16x16_f16 v[2:5], v[12:13], v[20:21], v[2:5]
	s_nop 6
	v_cvt_f16_f32_e32 v2, v2
	v_cvt_f16_f32_e32 v3, v3
	;; [unrolled: 1-line block ×4, first 2 shown]
	v_pack_b32_f16 v2, v2, v3
	v_pack_b32_f16 v3, v4, v5
	ds_write_b64 v40, v[2:3]
	s_waitcnt lgkmcnt(0)
	s_barrier
	s_and_saveexec_b64 s[8:9], s[4:5]
	s_cbranch_execz .LBB49_18
; %bb.16:
	s_load_dwordx2 s[4:5], s[0:1], 0x68
	s_lshl_b32 s0, s6, 6
	s_mul_i32 s1, s7, s2
	s_mul_hi_u32 s7, s1, s0
	s_mul_i32 s6, s1, s0
	v_lshlrev_b32_e32 v0, 10, v0
	s_lshl_b64 s[6:7], s[6:7], 1
	v_and_b32_e32 v0, 0x1800, v0
	v_lshlrev_b32_e32 v2, 5, v54
	v_and_b32_e32 v1, 16, v1
	s_waitcnt lgkmcnt(0)
	s_add_u32 s1, s4, s6
	v_or3_b32 v2, v0, v2, v1
	s_addc_u32 s4, s5, s7
	s_lshl_b32 s2, s28, 6
	ds_read_b128 v[4:7], v2 offset:256
	s_lshl_b64 s[2:3], s[2:3], 1
	ds_read_b128 v[8:11], v2 offset:128
	ds_read_b128 v[12:15], v2
	s_add_u32 s2, s1, s2
	s_addc_u32 s3, s4, s3
	v_add_u32_e32 v18, s42, v54
	v_lshl_add_u64 v[0:1], s[2:3], 0, v[34:35]
	v_mad_u64_u32 v[16:17], s[2:3], v18, s0, 0
	v_lshl_add_u64 v[16:17], v[16:17], 1, v[0:1]
	s_waitcnt lgkmcnt(0)
	global_store_dwordx4 v[16:17], v[12:15], off
	v_or_b32_e32 v3, 12, v54
	v_cmp_gt_u32_e32 vcc, 14, v3
	v_add_u32_e32 v12, 4, v18
	v_mad_u64_u32 v[12:13], s[2:3], v12, s0, 0
	v_lshl_add_u64 v[12:13], v[12:13], 1, v[0:1]
	global_store_dwordx4 v[12:13], v[8:11], off
	s_nop 1
	v_add_u32_e32 v8, 8, v18
	v_mad_u64_u32 v[8:9], s[2:3], v8, s0, 0
	v_lshl_add_u64 v[8:9], v[8:9], 1, v[0:1]
	global_store_dwordx4 v[8:9], v[4:7], off
	s_and_b64 exec, exec, vcc
	s_cbranch_execz .LBB49_18
; %bb.17:
	ds_read_b128 v[4:7], v2 offset:384
	v_add_u32_e32 v2, s42, v3
	v_mad_u64_u32 v[2:3], s[0:1], v2, s0, 0
	v_lshl_add_u64 v[0:1], v[2:3], 1, v[0:1]
	s_waitcnt lgkmcnt(0)
	global_store_dwordx4 v[0:1], v[4:7], off
.LBB49_18:
	s_endpgm
	.section	.rodata,"a",@progbits
	.p2align	6, 0x0
	.amdhsa_kernel _Z39paged_attention_ll4mi_QKV_mfma16_kernelIDF16_DF16_LN4vllm18Fp8KVCacheDataTypeE0EhLi16ELi64ELi256ELb0ELi14EEvPKT_PKT0_S7_ifPKiS9_S9_iPKfiiiPfSC_PS2_PT2_iSB_SB_
		.amdhsa_group_segment_fixed_size 8192
		.amdhsa_private_segment_fixed_size 0
		.amdhsa_kernarg_size 400
		.amdhsa_user_sgpr_count 2
		.amdhsa_user_sgpr_dispatch_ptr 0
		.amdhsa_user_sgpr_queue_ptr 0
		.amdhsa_user_sgpr_kernarg_segment_ptr 1
		.amdhsa_user_sgpr_dispatch_id 0
		.amdhsa_user_sgpr_kernarg_preload_length 0
		.amdhsa_user_sgpr_kernarg_preload_offset 0
		.amdhsa_user_sgpr_private_segment_size 0
		.amdhsa_uses_dynamic_stack 0
		.amdhsa_enable_private_segment 0
		.amdhsa_system_sgpr_workgroup_id_x 1
		.amdhsa_system_sgpr_workgroup_id_y 1
		.amdhsa_system_sgpr_workgroup_id_z 1
		.amdhsa_system_sgpr_workgroup_info 0
		.amdhsa_system_vgpr_workitem_id 0
		.amdhsa_next_free_vgpr 69
		.amdhsa_next_free_sgpr 48
		.amdhsa_accum_offset 72
		.amdhsa_reserve_vcc 1
		.amdhsa_float_round_mode_32 0
		.amdhsa_float_round_mode_16_64 0
		.amdhsa_float_denorm_mode_32 3
		.amdhsa_float_denorm_mode_16_64 3
		.amdhsa_dx10_clamp 1
		.amdhsa_ieee_mode 1
		.amdhsa_fp16_overflow 0
		.amdhsa_tg_split 0
		.amdhsa_exception_fp_ieee_invalid_op 0
		.amdhsa_exception_fp_denorm_src 0
		.amdhsa_exception_fp_ieee_div_zero 0
		.amdhsa_exception_fp_ieee_overflow 0
		.amdhsa_exception_fp_ieee_underflow 0
		.amdhsa_exception_fp_ieee_inexact 0
		.amdhsa_exception_int_div_zero 0
	.end_amdhsa_kernel
	.section	.text._Z39paged_attention_ll4mi_QKV_mfma16_kernelIDF16_DF16_LN4vllm18Fp8KVCacheDataTypeE0EhLi16ELi64ELi256ELb0ELi14EEvPKT_PKT0_S7_ifPKiS9_S9_iPKfiiiPfSC_PS2_PT2_iSB_SB_,"axG",@progbits,_Z39paged_attention_ll4mi_QKV_mfma16_kernelIDF16_DF16_LN4vllm18Fp8KVCacheDataTypeE0EhLi16ELi64ELi256ELb0ELi14EEvPKT_PKT0_S7_ifPKiS9_S9_iPKfiiiPfSC_PS2_PT2_iSB_SB_,comdat
.Lfunc_end49:
	.size	_Z39paged_attention_ll4mi_QKV_mfma16_kernelIDF16_DF16_LN4vllm18Fp8KVCacheDataTypeE0EhLi16ELi64ELi256ELb0ELi14EEvPKT_PKT0_S7_ifPKiS9_S9_iPKfiiiPfSC_PS2_PT2_iSB_SB_, .Lfunc_end49-_Z39paged_attention_ll4mi_QKV_mfma16_kernelIDF16_DF16_LN4vllm18Fp8KVCacheDataTypeE0EhLi16ELi64ELi256ELb0ELi14EEvPKT_PKT0_S7_ifPKiS9_S9_iPKfiiiPfSC_PS2_PT2_iSB_SB_
                                        ; -- End function
	.section	.AMDGPU.csdata,"",@progbits
; Kernel info:
; codeLenInByte = 3860
; NumSgprs: 54
; NumVgprs: 69
; NumAgprs: 0
; TotalNumVgprs: 69
; ScratchSize: 0
; MemoryBound: 0
; FloatMode: 240
; IeeeMode: 1
; LDSByteSize: 8192 bytes/workgroup (compile time only)
; SGPRBlocks: 6
; VGPRBlocks: 8
; NumSGPRsForWavesPerEU: 54
; NumVGPRsForWavesPerEU: 69
; AccumOffset: 72
; Occupancy: 7
; WaveLimiterHint : 1
; COMPUTE_PGM_RSRC2:SCRATCH_EN: 0
; COMPUTE_PGM_RSRC2:USER_SGPR: 2
; COMPUTE_PGM_RSRC2:TRAP_HANDLER: 0
; COMPUTE_PGM_RSRC2:TGID_X_EN: 1
; COMPUTE_PGM_RSRC2:TGID_Y_EN: 1
; COMPUTE_PGM_RSRC2:TGID_Z_EN: 1
; COMPUTE_PGM_RSRC2:TIDIG_COMP_CNT: 0
; COMPUTE_PGM_RSRC3_GFX90A:ACCUM_OFFSET: 17
; COMPUTE_PGM_RSRC3_GFX90A:TG_SPLIT: 0
	.section	.text._Z39paged_attention_ll4mi_QKV_mfma16_kernelIDF16_DF16_LN4vllm18Fp8KVCacheDataTypeE0EhLi16ELi64ELi256ELb0ELi15EEvPKT_PKT0_S7_ifPKiS9_S9_iPKfiiiPfSC_PS2_PT2_iSB_SB_,"axG",@progbits,_Z39paged_attention_ll4mi_QKV_mfma16_kernelIDF16_DF16_LN4vllm18Fp8KVCacheDataTypeE0EhLi16ELi64ELi256ELb0ELi15EEvPKT_PKT0_S7_ifPKiS9_S9_iPKfiiiPfSC_PS2_PT2_iSB_SB_,comdat
	.protected	_Z39paged_attention_ll4mi_QKV_mfma16_kernelIDF16_DF16_LN4vllm18Fp8KVCacheDataTypeE0EhLi16ELi64ELi256ELb0ELi15EEvPKT_PKT0_S7_ifPKiS9_S9_iPKfiiiPfSC_PS2_PT2_iSB_SB_ ; -- Begin function _Z39paged_attention_ll4mi_QKV_mfma16_kernelIDF16_DF16_LN4vllm18Fp8KVCacheDataTypeE0EhLi16ELi64ELi256ELb0ELi15EEvPKT_PKT0_S7_ifPKiS9_S9_iPKfiiiPfSC_PS2_PT2_iSB_SB_
	.globl	_Z39paged_attention_ll4mi_QKV_mfma16_kernelIDF16_DF16_LN4vllm18Fp8KVCacheDataTypeE0EhLi16ELi64ELi256ELb0ELi15EEvPKT_PKT0_S7_ifPKiS9_S9_iPKfiiiPfSC_PS2_PT2_iSB_SB_
	.p2align	8
	.type	_Z39paged_attention_ll4mi_QKV_mfma16_kernelIDF16_DF16_LN4vllm18Fp8KVCacheDataTypeE0EhLi16ELi64ELi256ELb0ELi15EEvPKT_PKT0_S7_ifPKiS9_S9_iPKfiiiPfSC_PS2_PT2_iSB_SB_,@function
_Z39paged_attention_ll4mi_QKV_mfma16_kernelIDF16_DF16_LN4vllm18Fp8KVCacheDataTypeE0EhLi16ELi64ELi256ELb0ELi15EEvPKT_PKT0_S7_ifPKiS9_S9_iPKfiiiPfSC_PS2_PT2_iSB_SB_: ; @_Z39paged_attention_ll4mi_QKV_mfma16_kernelIDF16_DF16_LN4vllm18Fp8KVCacheDataTypeE0EhLi16ELi64ELi256ELb0ELi15EEvPKT_PKT0_S7_ifPKiS9_S9_iPKfiiiPfSC_PS2_PT2_iSB_SB_
; %bb.0:
	s_load_dwordx2 s[12:13], s[0:1], 0x30
	s_mov_b32 s28, s3
	s_mov_b64 s[6:7], 0
	s_waitcnt lgkmcnt(0)
	s_cmp_lg_u64 s[12:13], 0
	s_cselect_b64 s[14:15], -1, 0
	s_and_b64 vcc, exec, s[14:15]
	s_cbranch_vccz .LBB50_7
; %bb.1:
	s_add_i32 s8, s2, 1
	s_mov_b32 s9, 0
	s_lshl_b64 s[10:11], s[8:9], 2
	s_add_u32 s10, s12, s10
	s_mov_b32 s3, s9
	s_addc_u32 s11, s13, s11
	s_lshl_b64 s[8:9], s[2:3], 2
	s_add_u32 s8, s12, s8
	s_addc_u32 s9, s13, s9
	s_load_dword s5, s[10:11], 0x0
	s_load_dword s16, s[8:9], 0x0
	s_waitcnt lgkmcnt(0)
	s_sub_i32 s5, s5, s16
	s_cmp_eq_u32 s5, 1
	s_cselect_b64 s[8:9], -1, 0
	s_andn2_b64 vcc, exec, s[6:7]
	s_cbranch_vccnz .LBB50_3
.LBB50_2:
	s_mov_b32 s3, 0
	s_mov_b64 s[8:9], -1
.LBB50_3:
	s_andn2_b64 vcc, exec, s[8:9]
	s_cbranch_vccnz .LBB50_18
; %bb.4:
	s_load_dwordx2 s[6:7], s[0:1], 0x28
	s_lshl_b64 s[16:17], s[2:3], 2
	s_waitcnt lgkmcnt(0)
	s_add_u32 s6, s6, s16
	s_addc_u32 s7, s7, s17
	s_load_dword s33, s[6:7], 0x0
	s_lshl_b32 s18, s28, 8
	s_waitcnt lgkmcnt(0)
	s_cmp_ge_i32 s18, s33
	s_cbranch_scc1 .LBB50_18
; %bb.5:
	s_load_dwordx2 s[6:7], s[0:1], 0x20
	s_load_dword s5, s[0:1], 0x38
	s_add_i32 s8, s33, 15
	s_ashr_i32 s9, s8, 31
	v_and_b32_e32 v1, 0xcf, v0
	s_lshr_b32 s9, s9, 28
	v_add_u32_e32 v1, s18, v1
	s_add_i32 s8, s8, s9
	v_ashrrev_i32_e32 v2, 31, v1
	s_ashr_i32 s19, s8, 4
	v_lshrrev_b32_e32 v6, 28, v2
	s_add_i32 s19, s19, -1
	s_waitcnt lgkmcnt(0)
	s_mul_i32 s8, s2, s5
	s_mov_b32 s9, 0
	v_add_u32_e32 v2, v1, v6
	s_lshl_b64 s[8:9], s[8:9], 2
	v_ashrrev_i32_e32 v2, 4, v2
	v_mov_b32_e32 v7, s19
	v_cmp_gt_i32_e32 vcc, s33, v1
	s_add_u32 s6, s6, s8
	s_addc_u32 s7, s7, s9
	v_cndmask_b32_e32 v2, v7, v2, vcc
	v_ashrrev_i32_e32 v3, 31, v2
	v_lshl_add_u64 v[4:5], v[2:3], 2, s[6:7]
	v_or_b32_e32 v2, 16, v1
	v_add_u32_e32 v3, v2, v6
	v_ashrrev_i32_e32 v3, 4, v3
	v_cmp_gt_i32_e32 vcc, s33, v2
	s_load_dwordx4 s[8:11], s[0:1], 0x8
	s_nop 0
	v_cndmask_b32_e32 v2, v7, v3, vcc
	v_ashrrev_i32_e32 v3, 31, v2
	v_lshl_add_u64 v[8:9], v[2:3], 2, s[6:7]
	v_or_b32_e32 v2, 32, v1
	v_add_u32_e32 v3, v2, v6
	v_ashrrev_i32_e32 v3, 4, v3
	v_cmp_gt_i32_e32 vcc, s33, v2
	v_or_b32_e32 v1, 48, v1
	s_nop 0
	v_cndmask_b32_e32 v2, v7, v3, vcc
	v_ashrrev_i32_e32 v3, 31, v2
	v_lshl_add_u64 v[12:13], v[2:3], 2, s[6:7]
	v_add_u32_e32 v2, v1, v6
	v_ashrrev_i32_e32 v2, 4, v2
	v_cmp_gt_i32_e32 vcc, s33, v1
	s_nop 1
	v_cndmask_b32_e32 v2, v7, v2, vcc
	v_ashrrev_i32_e32 v3, 31, v2
	v_lshl_add_u64 v[14:15], v[2:3], 2, s[6:7]
	global_load_dword v2, v[4:5], off
	global_load_dword v6, v[8:9], off
	;; [unrolled: 1-line block ×4, first 2 shown]
	s_andn2_b64 vcc, exec, s[14:15]
	s_cbranch_vccnz .LBB50_8
; %bb.6:
	s_add_u32 s12, s12, s16
	s_addc_u32 s13, s13, s17
	s_load_dword s5, s[12:13], 0x0
	s_branch .LBB50_9
.LBB50_7:
	s_mov_b64 s[8:9], 0
	s_branch .LBB50_2
.LBB50_8:
	s_mov_b32 s5, s2
.LBB50_9:
	s_load_dwordx4 s[44:47], s[0:1], 0x48
	v_lshrrev_b32_e32 v37, 6, v0
	v_bfe_u32 v54, v0, 4, 2
	v_lshl_or_b32 v1, v37, 2, v54
	v_and_b32_e32 v36, 15, v0
	v_lshlrev_b32_e32 v3, 3, v36
	v_cmp_gt_u32_e32 vcc, 15, v1
	v_cmp_gt_u32_e64 s[30:31], 8, v36
	v_and_b32_e32 v55, 63, v0
	s_mul_i32 s42, s4, 15
	s_and_b64 s[14:15], s[30:31], vcc
	v_lshlrev_b32_e32 v34, 1, v3
	s_and_saveexec_b64 s[12:13], s[14:15]
	s_cbranch_execz .LBB50_11
; %bb.10:
	s_load_dwordx2 s[14:15], s[0:1], 0x0
	s_waitcnt lgkmcnt(0)
	s_ashr_i32 s16, s44, 31
	s_mul_hi_u32 s17, s5, s44
	s_mul_i32 s16, s5, s16
	s_add_i32 s17, s17, s16
	s_mul_i32 s16, s5, s44
	s_lshl_b64 s[16:17], s[16:17], 1
	s_add_u32 s14, s14, s16
	v_add_lshl_u32 v4, v1, s42, 6
	s_addc_u32 s15, s15, s17
	v_ashrrev_i32_e32 v5, 31, v4
	v_lshl_add_u64 v[4:5], v[4:5], 1, s[14:15]
	v_mov_b32_e32 v35, 0
	v_lshl_add_u64 v[4:5], v[4:5], 0, v[34:35]
	global_load_dwordx4 v[12:15], v[4:5], off
	v_and_b32_e32 v3, 3, v0
	v_lshlrev_b32_e32 v4, 9, v36
	v_lshlrev_b32_e32 v1, 5, v1
	;; [unrolled: 1-line block ×3, first 2 shown]
	v_and_b32_e32 v4, 0x1800, v4
	v_or3_b32 v1, v4, v3, v1
	s_waitcnt vmcnt(0)
	ds_write_b128 v1, v[12:15]
.LBB50_11:
	s_or_b64 exec, exec, s[12:13]
	s_waitcnt lgkmcnt(0)
	s_mov_b32 s5, 0
	s_mul_i32 s4, s4, s46
	s_lshl_b64 s[4:5], s[4:5], 1
	s_add_u32 s8, s8, s4
	v_lshlrev_b32_e32 v1, 4, v0
	v_mov_b32_e32 v31, 0
	s_addc_u32 s9, s9, s5
	v_and_b32_e32 v30, 0xf0, v1
	v_lshl_add_u64 v[18:19], s[8:9], 0, v[30:31]
	s_waitcnt vmcnt(3)
	v_mad_i64_i32 v[2:3], s[8:9], v2, s45, 0
	v_lshl_add_u64 v[2:3], v[2:3], 1, v[18:19]
	v_and_b32_e32 v30, 0x300, v1
	v_lshl_add_u64 v[14:15], v[2:3], 0, v[30:31]
	s_load_dword s29, s[0:1], 0x98
	s_load_dword s12, s[0:1], 0x1c
	s_waitcnt lgkmcnt(0)
	s_barrier
	global_load_dwordx4 v[2:5], v[14:15], off
	global_load_dwordx4 v[26:29], v[14:15], off offset:1024
	s_waitcnt vmcnt(3)
	v_mad_i64_i32 v[10:11], s[8:9], v10, s45, 0
	v_lshl_add_u64 v[10:11], v[10:11], 1, v[18:19]
	v_lshl_add_u64 v[38:39], v[10:11], 0, v[30:31]
	global_load_dwordx4 v[10:13], v[38:39], off
	global_load_dwordx4 v[56:59], v[38:39], off offset:1024
	v_mad_i64_i32 v[6:7], s[8:9], v6, s45, 0
	v_lshl_add_u64 v[6:7], v[6:7], 1, v[18:19]
	v_lshl_add_u64 v[32:33], v[6:7], 0, v[30:31]
	global_load_dwordx4 v[6:9], v[32:33], off
	global_load_dwordx4 v[46:49], v[32:33], off offset:1024
	s_waitcnt vmcnt(6)
	v_mad_i64_i32 v[16:17], s[8:9], v16, s45, 0
	v_lshl_add_u64 v[16:17], v[16:17], 1, v[18:19]
	v_lshl_add_u64 v[40:41], v[16:17], 0, v[30:31]
	global_load_dwordx4 v[18:21], v[40:41], off
	v_cmp_ne_u32_e32 vcc, 15, v36
	global_load_dwordx4 v[38:41], v[40:41], off offset:1024
	v_and_or_b32 v30, v0, 48, s18
	v_cndmask_b32_e32 v16, 0, v36, vcc
	v_lshlrev_b32_e32 v16, 5, v16
	v_lshl_or_b32 v16, v54, 9, v16
	ds_read_b128 v[22:25], v16
	v_mov_b32_e32 v68, s19
	v_cmp_gt_i32_e32 vcc, s33, v30
	v_or_b32_e32 v32, 64, v30
	ds_read_b128 v[14:17], v16 offset:2048
	v_lshlrev_b32_e32 v35, 5, v36
	s_add_u32 s4, s10, s4
	s_addc_u32 s5, s11, s5
	s_mov_b32 s43, 0xff7fffff
	s_waitcnt vmcnt(7) lgkmcnt(1)
	v_mfma_f32_16x16x16_f16 v[42:45], v[2:3], v[22:23], 0
	v_ashrrev_i32_e32 v2, 4, v30
	v_cndmask_b32_e32 v2, v68, v2, vcc
	v_ashrrev_i32_e32 v3, 31, v2
	s_waitcnt vmcnt(5)
	v_mfma_f32_16x16x16_f16 v[60:63], v[10:11], v[22:23], 0
	v_lshl_add_u64 v[10:11], v[2:3], 2, s[6:7]
	v_cmp_gt_i32_e32 vcc, s33, v32
	v_mfma_f32_16x16x16_f16 v[2:5], v[4:5], v[24:25], v[42:45]
	s_nop 2
	global_load_dword v42, v[10:11], off
	s_waitcnt vmcnt(4)
	v_mfma_f32_16x16x16_f16 v[50:53], v[6:7], v[22:23], 0
	v_ashrrev_i32_e32 v6, 4, v32
	v_cndmask_b32_e32 v6, v68, v6, vcc
	v_ashrrev_i32_e32 v7, 31, v6
	v_lshl_add_u64 v[10:11], v[6:7], 2, s[6:7]
	global_load_dword v43, v[10:11], off
	s_waitcnt vmcnt(3)
	v_mfma_f32_16x16x16_f16 v[64:67], v[18:19], v[22:23], 0
	v_or_b32_e32 v22, 0x80, v30
	v_or_b32_e32 v23, 0xc0, v30
	v_ashrrev_i32_e32 v30, 4, v22
	v_cmp_gt_i32_e32 vcc, s33, v22
	v_ashrrev_i32_e32 v32, 4, v23
	v_mfma_f32_16x16x16_f16 v[6:9], v[8:9], v[24:25], v[50:53]
	v_cndmask_b32_e32 v22, v68, v30, vcc
	v_cmp_gt_i32_e32 vcc, s33, v23
	v_ashrrev_i32_e32 v23, 31, v22
	v_mfma_f32_16x16x16_f16 v[10:13], v[12:13], v[24:25], v[60:63]
	v_lshl_or_b32 v30, v37, 9, v35
	v_mfma_f32_16x16x16_f16 v[18:21], v[20:21], v[24:25], v[64:67]
	v_cndmask_b32_e32 v24, v68, v32, vcc
	v_ashrrev_i32_e32 v25, 31, v24
	v_lshl_add_u64 v[32:33], v[24:25], 2, s[6:7]
	s_waitcnt lgkmcnt(0)
	v_mfma_f32_16x16x16_f16 v[2:5], v[26:27], v[14:15], v[2:5]
	v_lshl_add_u64 v[26:27], v[22:23], 2, s[6:7]
	global_load_dword v60, v[26:27], off
	global_load_dword v61, v[32:33], off
	v_mfma_f32_16x16x16_f16 v[6:9], v[46:47], v[14:15], v[6:9]
	v_mfma_f32_16x16x16_f16 v[22:25], v[56:57], v[14:15], v[10:13]
	s_waitcnt vmcnt(4)
	v_mfma_f32_16x16x16_f16 v[18:21], v[38:39], v[14:15], v[18:21]
	s_nop 0
	v_lshl_add_u64 v[10:11], s[4:5], 0, v[30:31]
	s_waitcnt vmcnt(3)
	v_mad_i64_i32 v[26:27], s[4:5], v42, s45, 0
	v_mfma_f32_16x16x16_f16 v[12:15], v[28:29], v[16:17], v[2:5]
	v_lshl_add_u64 v[30:31], v[26:27], 1, v[10:11]
	s_waitcnt vmcnt(2)
	v_mad_i64_i32 v[32:33], s[4:5], v43, s45, 0
	v_mfma_f32_16x16x16_f16 v[26:29], v[48:49], v[16:17], v[6:9]
	s_nop 2
	v_pk_mul_f32 v[50:51], s[12:13], v[14:15] op_sel_hi:[0,1]
	v_pk_mul_f32 v[12:13], s[12:13], v[12:13] op_sel_hi:[0,1]
	v_lshl_add_u64 v[56:57], v[32:33], 1, v[10:11]
	v_mfma_f32_16x16x16_f16 v[22:25], v[58:59], v[16:17], v[22:25]
	global_load_dwordx4 v[6:9], v[30:31], off
	global_load_dwordx4 v[2:5], v[30:31], off offset:16
	v_pk_mul_f32 v[42:43], s[12:13], v[26:27] op_sel_hi:[0,1]
	v_pk_mul_f32 v[52:53], s[12:13], v[28:29] op_sel_hi:[0,1]
	v_mfma_f32_16x16x16_f16 v[14:17], v[40:41], v[16:17], v[18:21]
	s_nop 1
	v_pk_mul_f32 v[48:49], s[12:13], v[22:23] op_sel_hi:[0,1]
	v_pk_mul_f32 v[46:47], s[12:13], v[24:25] op_sel_hi:[0,1]
	global_load_dwordx4 v[30:33], v[56:57], off
	global_load_dwordx4 v[26:29], v[56:57], off offset:16
	s_nop 0
	v_pk_mul_f32 v[44:45], s[12:13], v[14:15] op_sel_hi:[0,1]
	v_and_b32_e32 v14, 0xc0, v0
	v_add_u32_e32 v14, s18, v14
	v_lshl_or_b32 v14, v54, 2, v14
	v_pk_mul_f32 v[38:39], s[12:13], v[16:17] op_sel_hi:[0,1]
	v_or_b32_e32 v17, 1, v14
	v_mov_b32_e32 v15, 0xff7fffff
	v_cmp_gt_i32_e64 s[4:5], s33, v14
	v_cmp_gt_i32_e64 s[34:35], s33, v17
	v_or_b32_e32 v18, 3, v14
	v_cndmask_b32_e64 v16, v15, v12, s[4:5]
	v_cndmask_b32_e64 v17, v15, v13, s[34:35]
	v_max3_f32 v16, v16, s43, v17
	v_or_b32_e32 v17, 2, v14
	v_cmp_gt_i32_e64 s[36:37], s33, v17
	v_cmp_gt_i32_e64 s[38:39], s33, v18
	s_nop 0
	v_cndmask_b32_e64 v17, v15, v50, s[36:37]
	v_cndmask_b32_e64 v18, v15, v51, s[38:39]
	v_max3_f32 v16, v16, v17, v18
	v_or_b32_e32 v17, 16, v14
	v_or_b32_e32 v18, 17, v14
	v_cmp_gt_i32_e64 s[24:25], s33, v17
	v_cmp_gt_i32_e64 s[26:27], s33, v18
	s_nop 0
	v_cndmask_b32_e64 v17, v15, v42, s[24:25]
	v_cndmask_b32_e64 v18, v15, v43, s[26:27]
	v_max3_f32 v16, v16, v17, v18
	v_or_b32_e32 v17, 18, v14
	;; [unrolled: 8-line block ×6, first 2 shown]
	v_or_b32_e32 v14, 51, v14
	v_cmp_gt_i32_e32 vcc, s33, v17
	v_cmp_gt_i32_e64 s[6:7], s33, v14
	s_nop 0
	v_cndmask_b32_e32 v17, v15, v38, vcc
	v_cndmask_b32_e64 v14, v15, v39, s[6:7]
	v_max3_f32 v16, v16, v17, v14
	v_mbcnt_lo_u32_b32 v14, -1, 0
	v_mbcnt_hi_u32_b32 v17, -1, v14
	v_and_b32_e32 v14, 64, v17
	v_add_u32_e32 v18, 64, v14
	v_xor_b32_e32 v14, 32, v17
	v_cmp_lt_i32_e64 s[40:41], v14, v18
	s_nop 1
	v_cndmask_b32_e64 v14, v17, v14, s[40:41]
	v_lshlrev_b32_e32 v58, 2, v14
	ds_bpermute_b32 v19, v58, v16
	s_waitcnt vmcnt(5)
	v_mad_i64_i32 v[14:15], s[40:41], v60, s45, 0
	v_lshl_add_u64 v[14:15], v[14:15], 1, v[10:11]
	s_waitcnt lgkmcnt(0)
	v_max_f32_e32 v19, v19, v19
	v_max_f32_e32 v16, v16, v19
	v_xor_b32_e32 v19, 16, v17
	v_cmp_lt_i32_e64 s[40:41], v19, v18
	s_nop 1
	v_cndmask_b32_e64 v17, v17, v19, s[40:41]
	v_lshlrev_b32_e32 v57, 2, v17
	ds_bpermute_b32 v17, v57, v16
	global_load_dwordx4 v[22:25], v[14:15], off
	global_load_dwordx4 v[18:21], v[14:15], off offset:16
	s_waitcnt vmcnt(6)
	v_mad_i64_i32 v[14:15], s[40:41], v61, s45, 0
	v_lshl_add_u64 v[10:11], v[14:15], 1, v[10:11]
	s_waitcnt lgkmcnt(0)
	v_max_f32_e32 v14, v17, v17
	v_max_f32_e32 v56, v16, v14
	v_sub_f32_e32 v12, v12, v56
	v_mul_f32_e32 v12, 0x3fb8aa3b, v12
	v_exp_f32_e32 v40, v12
	v_sub_f32_e32 v12, v13, v56
	v_mul_f32_e32 v12, 0x3fb8aa3b, v12
	v_exp_f32_e32 v41, v12
	global_load_dwordx4 v[14:17], v[10:11], off
	s_nop 0
	global_load_dwordx4 v[10:13], v[10:11], off offset:16
	v_sub_f32_e32 v50, v50, v56
	v_mul_f32_e32 v50, 0x3fb8aa3b, v50
	v_sub_f32_e32 v51, v51, v56
	v_exp_f32_e32 v50, v50
	v_mul_f32_e32 v51, 0x3fb8aa3b, v51
	v_sub_f32_e32 v42, v42, v56
	v_exp_f32_e32 v51, v51
	v_mul_f32_e32 v42, 0x3fb8aa3b, v42
	v_sub_f32_e32 v43, v43, v56
	v_cndmask_b32_e64 v40, 0, v40, s[4:5]
	v_exp_f32_e32 v42, v42
	v_mul_f32_e32 v43, 0x3fb8aa3b, v43
	v_sub_f32_e32 v52, v52, v56
	v_add_f32_e32 v59, 0, v40
	v_cndmask_b32_e64 v41, 0, v41, s[34:35]
	v_exp_f32_e32 v43, v43
	v_mul_f32_e32 v52, 0x3fb8aa3b, v52
	v_sub_f32_e32 v53, v53, v56
	v_add_f32_e32 v59, v59, v41
	;; [unrolled: 5-line block ×10, first 2 shown]
	v_cndmask_b32_e64 v46, 0, v46, s[12:13]
	v_exp_f32_e32 v38, v38
	v_mul_f32_e32 v39, 0x3fb8aa3b, v39
	v_add_f32_e32 v59, v59, v46
	v_cndmask_b32_e64 v47, 0, v47, s[14:15]
	v_exp_f32_e32 v39, v39
	v_add_f32_e32 v59, v59, v47
	v_cndmask_b32_e64 v44, 0, v44, s[8:9]
	v_add_f32_e32 v59, v59, v44
	v_cndmask_b32_e64 v45, 0, v45, s[10:11]
	v_add_f32_e32 v59, v59, v45
	v_cndmask_b32_e32 v38, 0, v38, vcc
	v_add_f32_e32 v59, v59, v38
	v_cndmask_b32_e64 v39, 0, v39, s[6:7]
	v_add_f32_e32 v59, v59, v39
	ds_bpermute_b32 v58, v58, v59
	v_cmp_gt_u32_e32 vcc, 16, v55
	s_waitcnt lgkmcnt(0)
	s_barrier
	v_add_f32_e32 v58, v59, v58
	ds_bpermute_b32 v59, v57, v58
	v_lshlrev_b32_e32 v57, 2, v36
	s_and_saveexec_b64 s[4:5], vcc
	s_cbranch_execz .LBB50_13
; %bb.12:
	s_waitcnt lgkmcnt(0)
	v_add_f32_e32 v55, v58, v59
	v_lshl_or_b32 v58, v37, 6, v57
	ds_write2st64_b32 v58, v56, v55 offset1:1
.LBB50_13:
	s_or_b64 exec, exec, s[4:5]
	s_load_dword s6, s[0:1], 0x94
	s_waitcnt lgkmcnt(0)
	s_barrier
	ds_read2_b32 v[58:59], v57 offset1:16
	ds_read2_b32 v[60:61], v57 offset0:32 offset1:48
	ds_read2_b32 v[62:63], v57 offset0:64 offset1:80
	s_mul_i32 s7, s29, 15
	s_waitcnt lgkmcnt(2)
	v_max3_f32 v55, v58, s43, v59
	s_waitcnt lgkmcnt(1)
	v_max3_f32 v55, v55, v60, v61
	v_sub_f32_e32 v56, v58, v55
	v_mul_f32_e32 v56, 0x3fb8aa3b, v56
	v_exp_f32_e32 v64, v56
	v_sub_f32_e32 v56, v59, v55
	v_mul_f32_e32 v56, 0x3fb8aa3b, v56
	v_exp_f32_e32 v65, v56
	;; [unrolled: 3-line block ×3, first 2 shown]
	ds_read2_b32 v[58:59], v57 offset0:96 offset1:112
	v_sub_f32_e32 v56, v61, v55
	v_mul_f32_e32 v56, 0x3fb8aa3b, v56
	v_exp_f32_e32 v57, v56
	s_waitcnt lgkmcnt(1)
	v_fma_f32 v56, v64, v62, 0
	v_fmac_f32_e32 v56, v65, v63
	s_waitcnt lgkmcnt(0)
	v_fmac_f32_e32 v56, v60, v58
	v_fmac_f32_e32 v56, v57, v59
	v_add_f32_e32 v58, 0x358637bd, v56
	v_div_scale_f32 v59, s[4:5], v58, v58, 1.0
	v_rcp_f32_e32 v61, v59
	s_barrier
	v_fma_f32 v62, -v59, v61, 1.0
	v_fmac_f32_e32 v61, v62, v61
	v_div_scale_f32 v62, vcc, 1.0, v58, 1.0
	v_mul_f32_e32 v63, v62, v61
	v_fma_f32 v66, -v59, v63, v62
	v_fmac_f32_e32 v63, v66, v61
	v_fma_f32 v59, -v59, v63, v62
	v_div_fmas_f32 v59, v59, v61, v63
	v_cmp_eq_u32_e32 vcc, 1, v37
	v_div_fixup_f32 v58, v59, v58, 1.0
	s_nop 0
	v_cndmask_b32_e32 v59, v64, v65, vcc
	v_cmp_eq_u32_e32 vcc, 2, v37
	s_nop 1
	v_cndmask_b32_e32 v59, v59, v60, vcc
	v_cmp_eq_u32_e32 vcc, 3, v37
	v_lshlrev_b32_e32 v37, 11, v37
	s_nop 0
	v_cndmask_b32_e32 v57, v59, v57, vcc
	v_mul_f32_e32 v58, v57, v58
	v_pk_mul_f32 v[40:41], v[58:59], v[40:41] op_sel_hi:[0,1]
	v_cvt_f16_f32_e32 v40, v40
	v_cvt_f16_f32_e32 v41, v41
	v_pk_mul_f32 v[50:51], v[58:59], v[50:51] op_sel_hi:[0,1]
	v_cvt_f16_f32_e32 v57, v50
	v_cvt_f16_f32_e32 v51, v51
	v_pack_b32_f16 v50, v40, v41
	v_pk_mul_f32 v[40:41], v[58:59], v[52:53] op_sel_hi:[0,1]
	v_pk_mul_f32 v[42:43], v[58:59], v[42:43] op_sel_hi:[0,1]
	v_cvt_f16_f32_e32 v42, v42
	v_cvt_f16_f32_e32 v43, v43
	;; [unrolled: 1-line block ×4, first 2 shown]
	v_pack_b32_f16 v51, v57, v51
	v_lshlrev_b32_e32 v57, 3, v54
	v_or3_b32 v40, v37, v35, v57
	v_pack_b32_f16 v42, v42, v43
	v_pack_b32_f16 v43, v52, v41
	ds_write2st64_b64 v40, v[50:51], v[42:43] offset1:1
	v_pk_mul_f32 v[42:43], v[58:59], v[46:47] op_sel_hi:[0,1]
	v_pk_mul_f32 v[46:47], v[58:59], v[48:49] op_sel_hi:[0,1]
	v_cvt_f16_f32_e32 v37, v46
	v_cvt_f16_f32_e32 v41, v47
	v_cvt_f16_f32_e32 v46, v42
	v_cvt_f16_f32_e32 v47, v43
	v_pk_mul_f32 v[38:39], v[58:59], v[38:39] op_sel_hi:[0,1]
	v_pk_mul_f32 v[42:43], v[58:59], v[44:45] op_sel_hi:[0,1]
	v_cvt_f16_f32_e32 v42, v42
	v_cvt_f16_f32_e32 v43, v43
	;; [unrolled: 1-line block ×4, first 2 shown]
	v_pack_b32_f16 v38, v37, v41
	v_pack_b32_f16 v39, v46, v47
	;; [unrolled: 1-line block ×4, first 2 shown]
	v_cmp_gt_u32_e32 vcc, 15, v0
	ds_write2st64_b64 v40, v[38:39], v[42:43] offset0:2 offset1:3
	s_and_saveexec_b64 s[4:5], vcc
	s_cbranch_execz .LBB50_15
; %bb.14:
	s_mov_b32 s43, 0
	v_mov_b32_e32 v37, 0
	v_lshl_add_u64 v[38:39], s[42:43], 0, v[36:37]
	v_mov_b32_e32 v36, s7
	v_mad_u64_u32 v[38:39], s[12:13], s2, v36, v[38:39]
	v_mov_b32_e32 v36, s28
	s_load_dwordx4 s[8:11], s[0:1], 0x58
	s_mul_i32 s3, s3, s7
	v_mad_u64_u32 v[36:37], s[12:13], v38, s6, v[36:37]
	v_add_u32_e32 v39, s3, v39
	v_mov_b32_e32 v38, v37
	v_mad_u64_u32 v[38:39], s[12:13], v39, s6, v[38:39]
	v_mov_b32_e32 v37, v38
	v_lshlrev_b64 v[36:37], 2, v[36:37]
	s_waitcnt lgkmcnt(0)
	v_lshl_add_u64 v[38:39], s[10:11], 0, v[36:37]
	v_lshl_add_u64 v[36:37], s[8:9], 0, v[36:37]
	global_store_dword v[38:39], v55, off
	global_store_dword v[36:37], v56, off
.LBB50_15:
	s_or_b64 exec, exec, s[4:5]
	v_lshl_or_b32 v35, v54, 9, v35
	s_waitcnt lgkmcnt(0)
	s_barrier
	ds_read_b128 v[36:39], v35
	ds_read_b128 v[42:45], v35 offset:16
	s_waitcnt vmcnt(7) lgkmcnt(1)
	v_mfma_f32_16x16x16_f16 v[46:49], v[6:7], v[36:37], 0
	v_cmp_gt_u32_e32 vcc, 64, v0
	s_mov_b32 s3, 0
	s_and_b64 s[4:5], vcc, s[30:31]
	v_mfma_f32_16x16x16_f16 v[6:9], v[8:9], v[38:39], v[46:49]
	s_waitcnt vmcnt(6) lgkmcnt(0)
	v_mfma_f32_16x16x16_f16 v[6:9], v[2:3], v[42:43], v[6:9]
	v_mfma_f32_16x16x16_f16 v[2:5], v[4:5], v[44:45], v[6:9]
	s_nop 5
	ds_read_b128 v[6:9], v35 offset:2048
	ds_read_b128 v[36:39], v35 offset:2064
	s_waitcnt vmcnt(5) lgkmcnt(1)
	v_mfma_f32_16x16x16_f16 v[2:5], v[30:31], v[6:7], v[2:5]
	v_mfma_f32_16x16x16_f16 v[2:5], v[32:33], v[8:9], v[2:5]
	s_waitcnt vmcnt(4) lgkmcnt(0)
	v_mfma_f32_16x16x16_f16 v[2:5], v[26:27], v[36:37], v[2:5]
	v_mfma_f32_16x16x16_f16 v[2:5], v[28:29], v[38:39], v[2:5]
	ds_read_b128 v[6:9], v35 offset:4096
	ds_read_b128 v[26:29], v35 offset:4112
	s_waitcnt vmcnt(3) lgkmcnt(1)
	v_mfma_f32_16x16x16_f16 v[2:5], v[22:23], v[6:7], v[2:5]
	v_mfma_f32_16x16x16_f16 v[2:5], v[24:25], v[8:9], v[2:5]
	s_waitcnt vmcnt(2) lgkmcnt(0)
	v_mfma_f32_16x16x16_f16 v[2:5], v[18:19], v[26:27], v[2:5]
	v_mfma_f32_16x16x16_f16 v[2:5], v[20:21], v[28:29], v[2:5]
	ds_read_b128 v[6:9], v35 offset:6144
	ds_read_b128 v[18:21], v35 offset:6160
	v_mov_b32_e32 v35, 0
	s_waitcnt vmcnt(1) lgkmcnt(0)
	v_mfma_f32_16x16x16_f16 v[2:5], v[14:15], v[6:7], v[2:5]
	s_barrier
	v_mfma_f32_16x16x16_f16 v[2:5], v[16:17], v[8:9], v[2:5]
	s_waitcnt vmcnt(0)
	v_mfma_f32_16x16x16_f16 v[2:5], v[10:11], v[18:19], v[2:5]
	v_mfma_f32_16x16x16_f16 v[2:5], v[12:13], v[20:21], v[2:5]
	s_nop 6
	v_cvt_f16_f32_e32 v2, v2
	v_cvt_f16_f32_e32 v3, v3
	;; [unrolled: 1-line block ×4, first 2 shown]
	v_pack_b32_f16 v2, v2, v3
	v_pack_b32_f16 v3, v4, v5
	ds_write_b64 v40, v[2:3]
	s_waitcnt lgkmcnt(0)
	s_barrier
	s_and_saveexec_b64 s[8:9], s[4:5]
	s_cbranch_execz .LBB50_18
; %bb.16:
	s_load_dwordx2 s[4:5], s[0:1], 0x68
	s_lshl_b32 s0, s6, 6
	s_mul_i32 s1, s7, s2
	s_mul_hi_u32 s7, s1, s0
	s_mul_i32 s6, s1, s0
	v_lshlrev_b32_e32 v0, 10, v0
	s_lshl_b64 s[6:7], s[6:7], 1
	v_and_b32_e32 v0, 0x1800, v0
	v_lshlrev_b32_e32 v2, 5, v54
	v_and_b32_e32 v1, 16, v1
	s_waitcnt lgkmcnt(0)
	s_add_u32 s1, s4, s6
	v_or3_b32 v2, v0, v2, v1
	s_addc_u32 s4, s5, s7
	s_lshl_b32 s2, s28, 6
	ds_read_b128 v[4:7], v2 offset:256
	s_lshl_b64 s[2:3], s[2:3], 1
	ds_read_b128 v[8:11], v2 offset:128
	ds_read_b128 v[12:15], v2
	s_add_u32 s2, s1, s2
	s_addc_u32 s3, s4, s3
	v_add_u32_e32 v3, s42, v54
	v_lshl_add_u64 v[0:1], s[2:3], 0, v[34:35]
	v_mad_u64_u32 v[16:17], s[2:3], v3, s0, 0
	v_lshl_add_u64 v[16:17], v[16:17], 1, v[0:1]
	s_waitcnt lgkmcnt(0)
	global_store_dwordx4 v[16:17], v[12:15], off
	v_cmp_ne_u32_e32 vcc, 3, v54
	s_nop 0
	v_add_u32_e32 v12, 4, v3
	v_mad_u64_u32 v[12:13], s[2:3], v12, s0, 0
	v_lshl_add_u64 v[12:13], v[12:13], 1, v[0:1]
	v_add_u32_e32 v3, 8, v3
	global_store_dwordx4 v[12:13], v[8:11], off
	s_nop 1
	v_mad_u64_u32 v[8:9], s[2:3], v3, s0, 0
	v_lshl_add_u64 v[8:9], v[8:9], 1, v[0:1]
	global_store_dwordx4 v[8:9], v[4:7], off
	s_and_b64 exec, exec, vcc
	s_cbranch_execz .LBB50_18
; %bb.17:
	ds_read_b128 v[2:5], v2 offset:384
	v_add3_u32 v6, s42, v54, 12
	v_mad_u64_u32 v[6:7], s[0:1], v6, s0, 0
	v_lshl_add_u64 v[0:1], v[6:7], 1, v[0:1]
	s_waitcnt lgkmcnt(0)
	global_store_dwordx4 v[0:1], v[2:5], off
.LBB50_18:
	s_endpgm
	.section	.rodata,"a",@progbits
	.p2align	6, 0x0
	.amdhsa_kernel _Z39paged_attention_ll4mi_QKV_mfma16_kernelIDF16_DF16_LN4vllm18Fp8KVCacheDataTypeE0EhLi16ELi64ELi256ELb0ELi15EEvPKT_PKT0_S7_ifPKiS9_S9_iPKfiiiPfSC_PS2_PT2_iSB_SB_
		.amdhsa_group_segment_fixed_size 8192
		.amdhsa_private_segment_fixed_size 0
		.amdhsa_kernarg_size 400
		.amdhsa_user_sgpr_count 2
		.amdhsa_user_sgpr_dispatch_ptr 0
		.amdhsa_user_sgpr_queue_ptr 0
		.amdhsa_user_sgpr_kernarg_segment_ptr 1
		.amdhsa_user_sgpr_dispatch_id 0
		.amdhsa_user_sgpr_kernarg_preload_length 0
		.amdhsa_user_sgpr_kernarg_preload_offset 0
		.amdhsa_user_sgpr_private_segment_size 0
		.amdhsa_uses_dynamic_stack 0
		.amdhsa_enable_private_segment 0
		.amdhsa_system_sgpr_workgroup_id_x 1
		.amdhsa_system_sgpr_workgroup_id_y 1
		.amdhsa_system_sgpr_workgroup_id_z 1
		.amdhsa_system_sgpr_workgroup_info 0
		.amdhsa_system_vgpr_workitem_id 0
		.amdhsa_next_free_vgpr 69
		.amdhsa_next_free_sgpr 48
		.amdhsa_accum_offset 72
		.amdhsa_reserve_vcc 1
		.amdhsa_float_round_mode_32 0
		.amdhsa_float_round_mode_16_64 0
		.amdhsa_float_denorm_mode_32 3
		.amdhsa_float_denorm_mode_16_64 3
		.amdhsa_dx10_clamp 1
		.amdhsa_ieee_mode 1
		.amdhsa_fp16_overflow 0
		.amdhsa_tg_split 0
		.amdhsa_exception_fp_ieee_invalid_op 0
		.amdhsa_exception_fp_denorm_src 0
		.amdhsa_exception_fp_ieee_div_zero 0
		.amdhsa_exception_fp_ieee_overflow 0
		.amdhsa_exception_fp_ieee_underflow 0
		.amdhsa_exception_fp_ieee_inexact 0
		.amdhsa_exception_int_div_zero 0
	.end_amdhsa_kernel
	.section	.text._Z39paged_attention_ll4mi_QKV_mfma16_kernelIDF16_DF16_LN4vllm18Fp8KVCacheDataTypeE0EhLi16ELi64ELi256ELb0ELi15EEvPKT_PKT0_S7_ifPKiS9_S9_iPKfiiiPfSC_PS2_PT2_iSB_SB_,"axG",@progbits,_Z39paged_attention_ll4mi_QKV_mfma16_kernelIDF16_DF16_LN4vllm18Fp8KVCacheDataTypeE0EhLi16ELi64ELi256ELb0ELi15EEvPKT_PKT0_S7_ifPKiS9_S9_iPKfiiiPfSC_PS2_PT2_iSB_SB_,comdat
.Lfunc_end50:
	.size	_Z39paged_attention_ll4mi_QKV_mfma16_kernelIDF16_DF16_LN4vllm18Fp8KVCacheDataTypeE0EhLi16ELi64ELi256ELb0ELi15EEvPKT_PKT0_S7_ifPKiS9_S9_iPKfiiiPfSC_PS2_PT2_iSB_SB_, .Lfunc_end50-_Z39paged_attention_ll4mi_QKV_mfma16_kernelIDF16_DF16_LN4vllm18Fp8KVCacheDataTypeE0EhLi16ELi64ELi256ELb0ELi15EEvPKT_PKT0_S7_ifPKiS9_S9_iPKfiiiPfSC_PS2_PT2_iSB_SB_
                                        ; -- End function
	.section	.AMDGPU.csdata,"",@progbits
; Kernel info:
; codeLenInByte = 3860
; NumSgprs: 54
; NumVgprs: 69
; NumAgprs: 0
; TotalNumVgprs: 69
; ScratchSize: 0
; MemoryBound: 0
; FloatMode: 240
; IeeeMode: 1
; LDSByteSize: 8192 bytes/workgroup (compile time only)
; SGPRBlocks: 6
; VGPRBlocks: 8
; NumSGPRsForWavesPerEU: 54
; NumVGPRsForWavesPerEU: 69
; AccumOffset: 72
; Occupancy: 7
; WaveLimiterHint : 1
; COMPUTE_PGM_RSRC2:SCRATCH_EN: 0
; COMPUTE_PGM_RSRC2:USER_SGPR: 2
; COMPUTE_PGM_RSRC2:TRAP_HANDLER: 0
; COMPUTE_PGM_RSRC2:TGID_X_EN: 1
; COMPUTE_PGM_RSRC2:TGID_Y_EN: 1
; COMPUTE_PGM_RSRC2:TGID_Z_EN: 1
; COMPUTE_PGM_RSRC2:TIDIG_COMP_CNT: 0
; COMPUTE_PGM_RSRC3_GFX90A:ACCUM_OFFSET: 17
; COMPUTE_PGM_RSRC3_GFX90A:TG_SPLIT: 0
	.section	.text._Z39paged_attention_ll4mi_QKV_mfma16_kernelIDF16_DF16_LN4vllm18Fp8KVCacheDataTypeE0EhLi16ELi64ELi256ELb0ELi16EEvPKT_PKT0_S7_ifPKiS9_S9_iPKfiiiPfSC_PS2_PT2_iSB_SB_,"axG",@progbits,_Z39paged_attention_ll4mi_QKV_mfma16_kernelIDF16_DF16_LN4vllm18Fp8KVCacheDataTypeE0EhLi16ELi64ELi256ELb0ELi16EEvPKT_PKT0_S7_ifPKiS9_S9_iPKfiiiPfSC_PS2_PT2_iSB_SB_,comdat
	.protected	_Z39paged_attention_ll4mi_QKV_mfma16_kernelIDF16_DF16_LN4vllm18Fp8KVCacheDataTypeE0EhLi16ELi64ELi256ELb0ELi16EEvPKT_PKT0_S7_ifPKiS9_S9_iPKfiiiPfSC_PS2_PT2_iSB_SB_ ; -- Begin function _Z39paged_attention_ll4mi_QKV_mfma16_kernelIDF16_DF16_LN4vllm18Fp8KVCacheDataTypeE0EhLi16ELi64ELi256ELb0ELi16EEvPKT_PKT0_S7_ifPKiS9_S9_iPKfiiiPfSC_PS2_PT2_iSB_SB_
	.globl	_Z39paged_attention_ll4mi_QKV_mfma16_kernelIDF16_DF16_LN4vllm18Fp8KVCacheDataTypeE0EhLi16ELi64ELi256ELb0ELi16EEvPKT_PKT0_S7_ifPKiS9_S9_iPKfiiiPfSC_PS2_PT2_iSB_SB_
	.p2align	8
	.type	_Z39paged_attention_ll4mi_QKV_mfma16_kernelIDF16_DF16_LN4vllm18Fp8KVCacheDataTypeE0EhLi16ELi64ELi256ELb0ELi16EEvPKT_PKT0_S7_ifPKiS9_S9_iPKfiiiPfSC_PS2_PT2_iSB_SB_,@function
_Z39paged_attention_ll4mi_QKV_mfma16_kernelIDF16_DF16_LN4vllm18Fp8KVCacheDataTypeE0EhLi16ELi64ELi256ELb0ELi16EEvPKT_PKT0_S7_ifPKiS9_S9_iPKfiiiPfSC_PS2_PT2_iSB_SB_: ; @_Z39paged_attention_ll4mi_QKV_mfma16_kernelIDF16_DF16_LN4vllm18Fp8KVCacheDataTypeE0EhLi16ELi64ELi256ELb0ELi16EEvPKT_PKT0_S7_ifPKiS9_S9_iPKfiiiPfSC_PS2_PT2_iSB_SB_
; %bb.0:
	s_load_dwordx2 s[12:13], s[0:1], 0x30
	s_mov_b32 s28, s3
	s_mov_b64 s[6:7], 0
	s_waitcnt lgkmcnt(0)
	s_cmp_lg_u64 s[12:13], 0
	s_cselect_b64 s[14:15], -1, 0
	s_and_b64 vcc, exec, s[14:15]
	s_cbranch_vccz .LBB51_7
; %bb.1:
	s_add_i32 s8, s2, 1
	s_mov_b32 s9, 0
	s_lshl_b64 s[10:11], s[8:9], 2
	s_add_u32 s10, s12, s10
	s_mov_b32 s3, s9
	s_addc_u32 s11, s13, s11
	s_lshl_b64 s[8:9], s[2:3], 2
	s_add_u32 s8, s12, s8
	s_addc_u32 s9, s13, s9
	s_load_dword s5, s[10:11], 0x0
	s_load_dword s16, s[8:9], 0x0
	s_waitcnt lgkmcnt(0)
	s_sub_i32 s5, s5, s16
	s_cmp_eq_u32 s5, 1
	s_cselect_b64 s[8:9], -1, 0
	s_andn2_b64 vcc, exec, s[6:7]
	s_cbranch_vccnz .LBB51_3
.LBB51_2:
	s_mov_b32 s3, 0
	s_mov_b64 s[8:9], -1
.LBB51_3:
	s_andn2_b64 vcc, exec, s[8:9]
	s_cbranch_vccnz .LBB51_17
; %bb.4:
	s_load_dwordx2 s[6:7], s[0:1], 0x28
	s_lshl_b64 s[16:17], s[2:3], 2
	s_waitcnt lgkmcnt(0)
	s_add_u32 s6, s6, s16
	s_addc_u32 s7, s7, s17
	s_load_dword s40, s[6:7], 0x0
	s_lshl_b32 s18, s28, 8
	s_waitcnt lgkmcnt(0)
	s_cmp_ge_i32 s18, s40
	s_cbranch_scc1 .LBB51_17
; %bb.5:
	s_load_dwordx2 s[6:7], s[0:1], 0x20
	s_load_dword s5, s[0:1], 0x38
	s_add_i32 s8, s40, 15
	s_ashr_i32 s9, s8, 31
	v_and_b32_e32 v1, 0xcf, v0
	s_lshr_b32 s9, s9, 28
	v_add_u32_e32 v1, s18, v1
	s_add_i32 s8, s8, s9
	v_ashrrev_i32_e32 v2, 31, v1
	s_ashr_i32 s19, s8, 4
	v_lshrrev_b32_e32 v8, 28, v2
	s_add_i32 s19, s19, -1
	s_waitcnt lgkmcnt(0)
	s_mul_i32 s8, s2, s5
	s_mov_b32 s9, 0
	v_add_u32_e32 v2, v1, v8
	s_lshl_b64 s[8:9], s[8:9], 2
	v_ashrrev_i32_e32 v2, 4, v2
	v_mov_b32_e32 v9, s19
	v_cmp_gt_i32_e32 vcc, s40, v1
	s_add_u32 s6, s6, s8
	s_addc_u32 s7, s7, s9
	v_cndmask_b32_e32 v2, v9, v2, vcc
	v_ashrrev_i32_e32 v3, 31, v2
	v_lshl_add_u64 v[4:5], v[2:3], 2, s[6:7]
	v_or_b32_e32 v2, 16, v1
	v_add_u32_e32 v3, v2, v8
	v_ashrrev_i32_e32 v3, 4, v3
	v_cmp_gt_i32_e32 vcc, s40, v2
	s_load_dwordx4 s[8:11], s[0:1], 0x8
	s_nop 0
	v_cndmask_b32_e32 v2, v9, v3, vcc
	v_ashrrev_i32_e32 v3, 31, v2
	v_lshl_add_u64 v[6:7], v[2:3], 2, s[6:7]
	v_or_b32_e32 v2, 32, v1
	v_add_u32_e32 v3, v2, v8
	v_ashrrev_i32_e32 v3, 4, v3
	v_cmp_gt_i32_e32 vcc, s40, v2
	v_or_b32_e32 v1, 48, v1
	s_nop 0
	v_cndmask_b32_e32 v2, v9, v3, vcc
	v_ashrrev_i32_e32 v3, 31, v2
	v_lshl_add_u64 v[12:13], v[2:3], 2, s[6:7]
	v_add_u32_e32 v2, v1, v8
	v_ashrrev_i32_e32 v2, 4, v2
	v_cmp_gt_i32_e32 vcc, s40, v1
	s_nop 1
	v_cndmask_b32_e32 v2, v9, v2, vcc
	v_ashrrev_i32_e32 v3, 31, v2
	v_lshl_add_u64 v[14:15], v[2:3], 2, s[6:7]
	global_load_dword v2, v[4:5], off
	global_load_dword v10, v[6:7], off
	;; [unrolled: 1-line block ×4, first 2 shown]
	s_andn2_b64 vcc, exec, s[14:15]
	s_cbranch_vccnz .LBB51_8
; %bb.6:
	s_add_u32 s12, s12, s16
	s_addc_u32 s13, s13, s17
	s_load_dword s5, s[12:13], 0x0
	s_branch .LBB51_9
.LBB51_7:
	s_mov_b64 s[8:9], 0
	s_branch .LBB51_2
.LBB51_8:
	s_mov_b32 s5, s2
.LBB51_9:
	s_load_dwordx4 s[44:47], s[0:1], 0x48
	v_and_b32_e32 v56, 15, v0
	s_movk_i32 s12, 0x100
	v_lshlrev_b32_e32 v3, 3, v56
	v_cmp_gt_u32_e32 vcc, s12, v0
	v_cmp_gt_u32_e64 s[30:31], 8, v56
	v_lshrrev_b32_e32 v53, 6, v0
	v_and_b32_e32 v55, 63, v0
	v_bfe_u32 v1, v0, 4, 2
	s_lshl_b32 s29, s4, 4
	s_and_b64 s[14:15], vcc, s[30:31]
	v_lshlrev_b32_e32 v34, 1, v3
	s_and_saveexec_b64 s[12:13], s[14:15]
	s_cbranch_execz .LBB51_11
; %bb.10:
	s_load_dwordx2 s[14:15], s[0:1], 0x0
	s_waitcnt lgkmcnt(0)
	s_ashr_i32 s16, s44, 31
	s_mul_hi_u32 s17, s5, s44
	s_mul_i32 s16, s5, s16
	s_add_i32 s17, s17, s16
	s_mul_i32 s16, s5, s44
	v_lshl_or_b32 v3, v53, 2, v1
	s_lshl_b64 s[16:17], s[16:17], 1
	s_add_u32 s14, s14, s16
	v_add_lshl_u32 v4, v3, s29, 6
	s_addc_u32 s15, s15, s17
	v_ashrrev_i32_e32 v5, 31, v4
	v_lshl_add_u64 v[4:5], v[4:5], 1, s[14:15]
	v_mov_b32_e32 v35, 0
	v_lshl_add_u64 v[4:5], v[4:5], 0, v[34:35]
	global_load_dwordx4 v[4:7], v[4:5], off
	v_and_b32_e32 v11, 3, v0
	v_lshlrev_b32_e32 v12, 9, v56
	v_lshlrev_b32_e32 v3, 5, v3
	;; [unrolled: 1-line block ×3, first 2 shown]
	v_and_b32_e32 v12, 0x1800, v12
	v_or3_b32 v3, v12, v11, v3
	s_waitcnt vmcnt(0)
	ds_write_b128 v3, v[4:7]
.LBB51_11:
	s_or_b64 exec, exec, s[12:13]
	s_waitcnt lgkmcnt(0)
	s_mul_i32 s4, s4, s46
	s_mov_b32 s5, 0
	s_lshl_b64 s[4:5], s[4:5], 1
	s_add_u32 s8, s8, s4
	v_lshlrev_b32_e32 v52, 4, v0
	s_addc_u32 s9, s9, s5
	v_and_b32_e32 v6, 0xf0, v52
	v_mov_b32_e32 v7, 0
	v_lshl_add_u64 v[12:13], s[8:9], 0, v[6:7]
	s_waitcnt vmcnt(3)
	v_mad_i64_i32 v[2:3], s[8:9], v2, s45, 0
	v_lshl_add_u64 v[2:3], v[2:3], 1, v[12:13]
	v_and_b32_e32 v6, 0x300, v52
	s_waitcnt vmcnt(2)
	v_mad_i64_i32 v[20:21], s[8:9], v10, s45, 0
	s_waitcnt vmcnt(1)
	v_mad_i64_i32 v[24:25], s[8:9], v9, s45, 0
	v_lshl_add_u64 v[14:15], v[2:3], 0, v[6:7]
	v_lshlrev_b32_e32 v54, 5, v56
	v_lshl_add_u64 v[20:21], v[20:21], 1, v[12:13]
	v_lshl_add_u64 v[24:25], v[24:25], 1, v[12:13]
	s_load_dword s33, s[0:1], 0x98
	s_load_dword s12, s[0:1], 0x1c
	s_waitcnt lgkmcnt(0)
	s_barrier
	global_load_dwordx4 v[2:5], v[14:15], off
	s_waitcnt vmcnt(1)
	v_mad_i64_i32 v[26:27], s[8:9], v8, s45, 0
	v_lshl_or_b32 v35, v1, 9, v54
	v_lshl_add_u64 v[32:33], v[20:21], 0, v[6:7]
	v_lshl_add_u64 v[30:31], v[24:25], 0, v[6:7]
	ds_read_b128 v[16:19], v35
	ds_read_b128 v[8:11], v35 offset:2048
	global_load_dwordx4 v[20:23], v[32:33], off
	v_lshl_add_u64 v[12:13], v[26:27], 1, v[12:13]
	global_load_dwordx4 v[24:27], v[30:31], off
	v_lshl_add_u64 v[28:29], v[12:13], 0, v[6:7]
	global_load_dwordx4 v[12:15], v[14:15], off offset:1024
	s_nop 0
	global_load_dwordx4 v[40:43], v[28:29], off
	global_load_dwordx4 v[44:47], v[32:33], off offset:1024
	global_load_dwordx4 v[62:65], v[28:29], off offset:1024
	v_and_or_b32 v6, v0, 48, s18
	global_load_dwordx4 v[30:33], v[30:31], off offset:1024
	v_mov_b32_e32 v57, s19
	v_cmp_gt_i32_e32 vcc, s40, v6
	v_or_b32_e32 v28, 0x80, v6
	v_ashrrev_i32_e32 v29, 4, v28
	s_add_u32 s4, s10, s4
	s_addc_u32 s5, s11, s5
	s_mov_b32 s42, 0xff7fffff
	v_lshlrev_b32_e32 v56, 2, v56
	s_waitcnt vmcnt(3) lgkmcnt(1)
	v_mfma_f32_16x16x16_f16 v[66:69], v[40:41], v[16:17], 0
	v_mfma_f32_16x16x16_f16 v[36:39], v[2:3], v[16:17], 0
	v_ashrrev_i32_e32 v2, 4, v6
	v_mfma_f32_16x16x16_f16 v[48:51], v[20:21], v[16:17], 0
	v_or_b32_e32 v20, 64, v6
	v_ashrrev_i32_e32 v21, 4, v20
	v_or_b32_e32 v6, 0xc0, v6
	v_mfma_f32_16x16x16_f16 v[58:61], v[24:25], v[16:17], 0
	v_cndmask_b32_e32 v16, v57, v2, vcc
	v_ashrrev_i32_e32 v17, 31, v16
	v_lshl_add_u64 v[16:17], v[16:17], 2, s[6:7]
	v_mfma_f32_16x16x16_f16 v[2:5], v[4:5], v[18:19], v[36:39]
	v_cmp_gt_i32_e32 vcc, s40, v20
	s_nop 1
	global_load_dword v36, v[16:17], off
	v_cndmask_b32_e32 v24, v57, v21, vcc
	v_ashrrev_i32_e32 v25, 31, v24
	v_lshl_add_u64 v[16:17], v[24:25], 2, s[6:7]
	global_load_dword v37, v[16:17], off
	v_cmp_gt_i32_e32 vcc, s40, v28
	v_ashrrev_i32_e32 v38, 4, v6
	s_waitcnt lgkmcnt(0)
	v_mfma_f32_16x16x16_f16 v[2:5], v[12:13], v[8:9], v[2:5]
	v_cndmask_b32_e32 v12, v57, v29, vcc
	v_cmp_gt_i32_e32 vcc, s40, v6
	v_ashrrev_i32_e32 v13, 31, v12
	v_lshl_add_u64 v[12:13], v[12:13], 2, s[6:7]
	v_cndmask_b32_e32 v28, v57, v38, vcc
	v_ashrrev_i32_e32 v29, 31, v28
	v_mfma_f32_16x16x16_f16 v[24:27], v[26:27], v[18:19], v[58:61]
	v_lshl_add_u64 v[28:29], v[28:29], 2, s[6:7]
	global_load_dword v57, v[12:13], off
	s_nop 0
	global_load_dword v58, v[28:29], off
	v_lshl_or_b32 v6, v53, 9, v54
	v_mfma_f32_16x16x16_f16 v[20:23], v[22:23], v[18:19], v[48:51]
	v_lshl_add_u64 v[12:13], s[4:5], 0, v[6:7]
	v_mfma_f32_16x16x16_f16 v[16:19], v[42:43], v[18:19], v[66:69]
	s_waitcnt vmcnt(5)
	v_mfma_f32_16x16x16_f16 v[16:19], v[62:63], v[8:9], v[16:19]
	s_waitcnt vmcnt(4)
	v_mfma_f32_16x16x16_f16 v[24:27], v[30:31], v[8:9], v[24:27]
	v_mfma_f32_16x16x16_f16 v[28:31], v[14:15], v[10:11], v[2:5]
	;; [unrolled: 1-line block ×3, first 2 shown]
	s_waitcnt vmcnt(3)
	s_nop 0
	v_mad_i64_i32 v[2:3], s[4:5], v36, s45, 0
	v_lshl_add_u64 v[14:15], v[2:3], 1, v[12:13]
	global_load_dwordx4 v[6:9], v[14:15], off
	global_load_dwordx4 v[2:5], v[14:15], off offset:16
	v_mfma_f32_16x16x16_f16 v[14:17], v[64:65], v[10:11], v[16:19]
	s_waitcnt vmcnt(4)
	v_mad_i64_i32 v[36:37], s[4:5], v37, s45, 0
	v_lshl_add_u64 v[38:39], v[36:37], 1, v[12:13]
	v_mfma_f32_16x16x16_f16 v[20:23], v[46:47], v[10:11], v[20:23]
	v_pk_mul_f32 v[48:49], s[12:13], v[30:31] op_sel_hi:[0,1]
	s_nop 1
	v_pk_mul_f32 v[42:43], s[12:13], v[14:15] op_sel_hi:[0,1]
	v_and_b32_e32 v14, 0xc0, v0
	v_add_u32_e32 v14, s18, v14
	v_lshl_or_b32 v14, v1, 2, v14
	v_pk_mul_f32 v[36:37], s[12:13], v[16:17] op_sel_hi:[0,1]
	v_or_b32_e32 v17, 1, v14
	v_mfma_f32_16x16x16_f16 v[24:27], v[32:33], v[10:11], v[24:27]
	v_pk_mul_f32 v[10:11], s[12:13], v[28:29] op_sel_hi:[0,1]
	v_mov_b32_e32 v15, 0xff7fffff
	v_cmp_gt_i32_e64 s[4:5], s40, v14
	v_cmp_gt_i32_e64 s[34:35], s40, v17
	v_or_b32_e32 v18, 3, v14
	v_cndmask_b32_e64 v16, v15, v10, s[4:5]
	v_cndmask_b32_e64 v17, v15, v11, s[34:35]
	v_max3_f32 v16, v16, s42, v17
	v_or_b32_e32 v17, 2, v14
	v_cmp_gt_i32_e64 s[36:37], s40, v17
	v_cmp_gt_i32_e64 s[38:39], s40, v18
	v_pk_mul_f32 v[40:41], s[12:13], v[20:21] op_sel_hi:[0,1]
	v_cndmask_b32_e64 v17, v15, v48, s[36:37]
	v_cndmask_b32_e64 v18, v15, v49, s[38:39]
	v_max3_f32 v16, v16, v17, v18
	v_or_b32_e32 v17, 16, v14
	v_or_b32_e32 v18, 17, v14
	v_cmp_gt_i32_e64 s[24:25], s40, v17
	v_cmp_gt_i32_e64 s[26:27], s40, v18
	v_pk_mul_f32 v[50:51], s[12:13], v[22:23] op_sel_hi:[0,1]
	v_cndmask_b32_e64 v17, v15, v40, s[24:25]
	v_cndmask_b32_e64 v18, v15, v41, s[26:27]
	v_max3_f32 v16, v16, v17, v18
	v_or_b32_e32 v17, 18, v14
	;; [unrolled: 8-line block ×4, first 2 shown]
	v_or_b32_e32 v18, 35, v14
	v_cmp_gt_i32_e64 s[12:13], s40, v17
	v_cmp_gt_i32_e64 s[14:15], s40, v18
	global_load_dwordx4 v[30:33], v[38:39], off
	global_load_dwordx4 v[26:29], v[38:39], off offset:16
	v_cndmask_b32_e64 v17, v15, v44, s[12:13]
	v_cndmask_b32_e64 v18, v15, v45, s[14:15]
	v_max3_f32 v16, v16, v17, v18
	v_or_b32_e32 v17, 48, v14
	v_or_b32_e32 v18, 49, v14
	v_cmp_gt_i32_e64 s[8:9], s40, v17
	v_cmp_gt_i32_e64 s[10:11], s40, v18
	s_nop 0
	v_cndmask_b32_e64 v17, v15, v42, s[8:9]
	v_cndmask_b32_e64 v18, v15, v43, s[10:11]
	v_max3_f32 v16, v16, v17, v18
	v_or_b32_e32 v17, 50, v14
	v_or_b32_e32 v14, 51, v14
	v_cmp_gt_i32_e32 vcc, s40, v17
	v_cmp_gt_i32_e64 s[6:7], s40, v14
	s_nop 0
	v_cndmask_b32_e32 v17, v15, v36, vcc
	v_cndmask_b32_e64 v14, v15, v37, s[6:7]
	v_max3_f32 v16, v16, v17, v14
	v_mbcnt_lo_u32_b32 v14, -1, 0
	v_mbcnt_hi_u32_b32 v17, -1, v14
	v_and_b32_e32 v14, 64, v17
	v_add_u32_e32 v18, 64, v14
	v_xor_b32_e32 v14, 32, v17
	v_cmp_lt_i32_e64 s[40:41], v14, v18
	s_nop 1
	v_cndmask_b32_e64 v14, v17, v14, s[40:41]
	v_lshlrev_b32_e32 v59, 2, v14
	ds_bpermute_b32 v19, v59, v16
	s_waitcnt vmcnt(5)
	v_mad_i64_i32 v[14:15], s[40:41], v57, s45, 0
	v_lshl_add_u64 v[14:15], v[14:15], 1, v[12:13]
	s_waitcnt lgkmcnt(0)
	v_max_f32_e32 v19, v19, v19
	v_max_f32_e32 v16, v16, v19
	v_xor_b32_e32 v19, 16, v17
	v_cmp_lt_i32_e64 s[40:41], v19, v18
	s_nop 1
	v_cndmask_b32_e64 v17, v17, v19, s[40:41]
	v_lshlrev_b32_e32 v60, 2, v17
	ds_bpermute_b32 v17, v60, v16
	global_load_dwordx4 v[22:25], v[14:15], off
	global_load_dwordx4 v[18:21], v[14:15], off offset:16
	s_waitcnt vmcnt(6)
	v_mad_i64_i32 v[14:15], s[40:41], v58, s45, 0
	v_lshl_add_u64 v[12:13], v[14:15], 1, v[12:13]
	s_waitcnt lgkmcnt(0)
	v_max_f32_e32 v14, v17, v17
	v_max_f32_e32 v57, v16, v14
	v_sub_f32_e32 v10, v10, v57
	v_mul_f32_e32 v10, 0x3fb8aa3b, v10
	v_exp_f32_e32 v38, v10
	v_sub_f32_e32 v10, v11, v57
	v_mul_f32_e32 v10, 0x3fb8aa3b, v10
	v_exp_f32_e32 v39, v10
	global_load_dwordx4 v[14:17], v[12:13], off
	s_nop 0
	global_load_dwordx4 v[10:13], v[12:13], off offset:16
	v_sub_f32_e32 v48, v48, v57
	v_mul_f32_e32 v48, 0x3fb8aa3b, v48
	v_sub_f32_e32 v49, v49, v57
	v_exp_f32_e32 v48, v48
	v_mul_f32_e32 v49, 0x3fb8aa3b, v49
	v_sub_f32_e32 v40, v40, v57
	v_exp_f32_e32 v49, v49
	v_mul_f32_e32 v40, 0x3fb8aa3b, v40
	v_sub_f32_e32 v41, v41, v57
	v_cndmask_b32_e64 v38, 0, v38, s[4:5]
	v_exp_f32_e32 v40, v40
	v_mul_f32_e32 v41, 0x3fb8aa3b, v41
	v_sub_f32_e32 v50, v50, v57
	v_add_f32_e32 v58, 0, v38
	v_cndmask_b32_e64 v39, 0, v39, s[34:35]
	v_exp_f32_e32 v41, v41
	v_mul_f32_e32 v50, 0x3fb8aa3b, v50
	v_sub_f32_e32 v51, v51, v57
	v_add_f32_e32 v58, v58, v39
	v_cndmask_b32_e64 v48, 0, v48, s[36:37]
	v_exp_f32_e32 v50, v50
	v_mul_f32_e32 v51, 0x3fb8aa3b, v51
	v_sub_f32_e32 v46, v46, v57
	v_add_f32_e32 v58, v58, v48
	v_cndmask_b32_e64 v49, 0, v49, s[38:39]
	v_exp_f32_e32 v51, v51
	v_mul_f32_e32 v46, 0x3fb8aa3b, v46
	v_sub_f32_e32 v47, v47, v57
	v_add_f32_e32 v58, v58, v49
	v_cndmask_b32_e64 v40, 0, v40, s[24:25]
	v_exp_f32_e32 v46, v46
	v_mul_f32_e32 v47, 0x3fb8aa3b, v47
	v_sub_f32_e32 v44, v44, v57
	v_add_f32_e32 v58, v58, v40
	v_cndmask_b32_e64 v41, 0, v41, s[26:27]
	v_exp_f32_e32 v47, v47
	v_mul_f32_e32 v44, 0x3fb8aa3b, v44
	v_sub_f32_e32 v45, v45, v57
	v_add_f32_e32 v58, v58, v41
	v_cndmask_b32_e64 v50, 0, v50, s[20:21]
	v_exp_f32_e32 v44, v44
	v_mul_f32_e32 v45, 0x3fb8aa3b, v45
	v_sub_f32_e32 v42, v42, v57
	v_add_f32_e32 v58, v58, v50
	v_cndmask_b32_e64 v51, 0, v51, s[22:23]
	v_exp_f32_e32 v45, v45
	v_mul_f32_e32 v42, 0x3fb8aa3b, v42
	v_sub_f32_e32 v43, v43, v57
	v_add_f32_e32 v58, v58, v51
	v_cndmask_b32_e64 v46, 0, v46, s[16:17]
	v_exp_f32_e32 v42, v42
	v_mul_f32_e32 v43, 0x3fb8aa3b, v43
	v_sub_f32_e32 v36, v36, v57
	v_add_f32_e32 v58, v58, v46
	v_cndmask_b32_e64 v47, 0, v47, s[18:19]
	v_exp_f32_e32 v43, v43
	v_mul_f32_e32 v36, 0x3fb8aa3b, v36
	v_sub_f32_e32 v37, v37, v57
	v_add_f32_e32 v58, v58, v47
	v_cndmask_b32_e64 v44, 0, v44, s[12:13]
	v_exp_f32_e32 v36, v36
	v_mul_f32_e32 v37, 0x3fb8aa3b, v37
	v_add_f32_e32 v58, v58, v44
	v_cndmask_b32_e64 v45, 0, v45, s[14:15]
	v_exp_f32_e32 v37, v37
	v_add_f32_e32 v58, v58, v45
	v_cndmask_b32_e64 v42, 0, v42, s[8:9]
	v_add_f32_e32 v58, v58, v42
	v_cndmask_b32_e64 v43, 0, v43, s[10:11]
	v_add_f32_e32 v58, v58, v43
	v_cndmask_b32_e32 v36, 0, v36, vcc
	v_add_f32_e32 v58, v58, v36
	v_cndmask_b32_e64 v37, 0, v37, s[6:7]
	v_add_f32_e32 v58, v58, v37
	ds_bpermute_b32 v59, v59, v58
	v_cmp_gt_u32_e32 vcc, 16, v55
	s_waitcnt lgkmcnt(0)
	s_barrier
	v_add_f32_e32 v58, v58, v59
	ds_bpermute_b32 v59, v60, v58
	s_and_saveexec_b64 s[4:5], vcc
	s_cbranch_execz .LBB51_13
; %bb.12:
	s_waitcnt lgkmcnt(0)
	v_add_f32_e32 v55, v58, v59
	v_lshl_or_b32 v58, v53, 6, v56
	ds_write2st64_b32 v58, v57, v55 offset1:1
.LBB51_13:
	s_or_b64 exec, exec, s[4:5]
	s_load_dword s6, s[0:1], 0x94
	s_waitcnt lgkmcnt(0)
	s_barrier
	ds_read2_b32 v[58:59], v56 offset1:16
	ds_read2_b32 v[60:61], v56 offset0:32 offset1:48
	ds_read2_b32 v[62:63], v56 offset0:64 offset1:80
	s_lshl_b32 s7, s33, 4
	s_waitcnt lgkmcnt(2)
	v_max3_f32 v55, v58, s42, v59
	s_waitcnt lgkmcnt(1)
	v_max3_f32 v55, v55, v60, v61
	v_sub_f32_e32 v57, v58, v55
	v_sub_f32_e32 v58, v59, v55
	v_mul_f32_e32 v58, 0x3fb8aa3b, v58
	v_mul_f32_e32 v57, 0x3fb8aa3b, v57
	v_exp_f32_e32 v64, v58
	v_sub_f32_e32 v58, v60, v55
	v_exp_f32_e32 v57, v57
	v_mul_f32_e32 v58, 0x3fb8aa3b, v58
	v_exp_f32_e32 v60, v58
	ds_read2_b32 v[58:59], v56 offset0:96 offset1:112
	v_sub_f32_e32 v56, v61, v55
	v_mul_f32_e32 v56, 0x3fb8aa3b, v56
	v_exp_f32_e32 v61, v56
	s_waitcnt lgkmcnt(1)
	v_fma_f32 v56, v57, v62, 0
	v_fmac_f32_e32 v56, v64, v63
	s_waitcnt lgkmcnt(0)
	v_fmac_f32_e32 v56, v60, v58
	v_fmac_f32_e32 v56, v61, v59
	v_add_f32_e32 v58, 0x358637bd, v56
	v_div_scale_f32 v59, s[4:5], v58, v58, 1.0
	v_rcp_f32_e32 v62, v59
	s_barrier
	v_fma_f32 v63, -v59, v62, 1.0
	v_fmac_f32_e32 v62, v63, v62
	v_div_scale_f32 v63, vcc, 1.0, v58, 1.0
	v_mul_f32_e32 v65, v63, v62
	v_fma_f32 v66, -v59, v65, v63
	v_fmac_f32_e32 v65, v66, v62
	v_fma_f32 v59, -v59, v65, v63
	v_div_fmas_f32 v59, v59, v62, v65
	v_cmp_eq_u32_e32 vcc, 1, v53
	v_div_fixup_f32 v58, v59, v58, 1.0
	s_nop 0
	v_cndmask_b32_e32 v57, v57, v64, vcc
	v_cmp_eq_u32_e32 vcc, 2, v53
	s_nop 1
	v_cndmask_b32_e32 v57, v57, v60, vcc
	v_cmp_eq_u32_e32 vcc, 3, v53
	s_nop 1
	v_cndmask_b32_e32 v57, v57, v61, vcc
	v_mul_f32_e32 v58, v57, v58
	v_pk_mul_f32 v[38:39], v[58:59], v[38:39] op_sel_hi:[0,1]
	v_cvt_f16_f32_e32 v38, v38
	v_cvt_f16_f32_e32 v39, v39
	v_pk_mul_f32 v[48:49], v[58:59], v[48:49] op_sel_hi:[0,1]
	v_cvt_f16_f32_e32 v57, v48
	v_cvt_f16_f32_e32 v49, v49
	v_pack_b32_f16 v48, v38, v39
	v_pk_mul_f32 v[38:39], v[58:59], v[50:51] op_sel_hi:[0,1]
	v_pk_mul_f32 v[40:41], v[58:59], v[40:41] op_sel_hi:[0,1]
	v_cvt_f16_f32_e32 v40, v40
	v_cvt_f16_f32_e32 v41, v41
	;; [unrolled: 1-line block ×4, first 2 shown]
	v_pack_b32_f16 v49, v57, v49
	v_lshlrev_b32_e32 v57, 3, v1
	v_lshlrev_b32_e32 v38, 11, v53
	v_or3_b32 v38, v38, v54, v57
	v_pack_b32_f16 v40, v40, v41
	v_pack_b32_f16 v41, v50, v39
	ds_write2st64_b64 v38, v[48:49], v[40:41] offset1:1
	v_pk_mul_f32 v[40:41], v[58:59], v[44:45] op_sel_hi:[0,1]
	v_pk_mul_f32 v[44:45], v[58:59], v[46:47] op_sel_hi:[0,1]
	v_cvt_f16_f32_e32 v39, v44
	v_cvt_f16_f32_e32 v44, v45
	;; [unrolled: 1-line block ×4, first 2 shown]
	v_pk_mul_f32 v[36:37], v[58:59], v[36:37] op_sel_hi:[0,1]
	v_pk_mul_f32 v[40:41], v[58:59], v[42:43] op_sel_hi:[0,1]
	v_cvt_f16_f32_e32 v40, v40
	v_cvt_f16_f32_e32 v41, v41
	;; [unrolled: 1-line block ×4, first 2 shown]
	v_pack_b32_f16 v36, v39, v44
	v_pack_b32_f16 v37, v45, v46
	;; [unrolled: 1-line block ×4, first 2 shown]
	v_cmp_gt_u32_e32 vcc, 16, v0
	ds_write2st64_b64 v38, v[36:37], v[40:41] offset0:2 offset1:3
	s_and_saveexec_b64 s[4:5], vcc
	s_cbranch_execz .LBB51_15
; %bb.14:
	v_or_b32_e32 v36, s29, v0
	v_mov_b32_e32 v37, 0
	v_mov_b32_e32 v39, s7
	v_mad_u64_u32 v[40:41], s[12:13], s2, v39, v[36:37]
	v_mov_b32_e32 v36, s28
	s_load_dwordx4 s[8:11], s[0:1], 0x58
	s_mul_i32 s3, s3, s7
	v_mad_u64_u32 v[36:37], s[12:13], v40, s6, v[36:37]
	v_add_u32_e32 v39, s3, v41
	v_mov_b32_e32 v40, v37
	v_mad_u64_u32 v[40:41], s[12:13], v39, s6, v[40:41]
	v_mov_b32_e32 v37, v40
	v_lshlrev_b64 v[36:37], 2, v[36:37]
	s_waitcnt lgkmcnt(0)
	v_lshl_add_u64 v[40:41], s[10:11], 0, v[36:37]
	v_lshl_add_u64 v[36:37], s[8:9], 0, v[36:37]
	global_store_dword v[40:41], v55, off
	global_store_dword v[36:37], v56, off
.LBB51_15:
	s_or_b64 exec, exec, s[4:5]
	s_waitcnt lgkmcnt(0)
	s_barrier
	ds_read_b128 v[40:43], v35
	ds_read_b128 v[44:47], v35 offset:16
	s_waitcnt vmcnt(7) lgkmcnt(1)
	v_mfma_f32_16x16x16_f16 v[48:51], v[6:7], v[40:41], 0
	v_cmp_gt_u32_e32 vcc, 64, v0
	s_mov_b32 s3, 0
	s_and_b64 s[4:5], vcc, s[30:31]
	v_mfma_f32_16x16x16_f16 v[6:9], v[8:9], v[42:43], v[48:51]
	s_waitcnt vmcnt(6) lgkmcnt(0)
	v_mfma_f32_16x16x16_f16 v[6:9], v[2:3], v[44:45], v[6:9]
	v_mfma_f32_16x16x16_f16 v[2:5], v[4:5], v[46:47], v[6:9]
	s_nop 5
	ds_read_b128 v[6:9], v35 offset:2048
	ds_read_b128 v[40:43], v35 offset:2064
	s_waitcnt vmcnt(5) lgkmcnt(1)
	v_mfma_f32_16x16x16_f16 v[2:5], v[30:31], v[6:7], v[2:5]
	v_mfma_f32_16x16x16_f16 v[2:5], v[32:33], v[8:9], v[2:5]
	s_waitcnt vmcnt(4) lgkmcnt(0)
	v_mfma_f32_16x16x16_f16 v[2:5], v[26:27], v[40:41], v[2:5]
	v_mfma_f32_16x16x16_f16 v[2:5], v[28:29], v[42:43], v[2:5]
	ds_read_b128 v[6:9], v35 offset:4096
	ds_read_b128 v[26:29], v35 offset:4112
	s_waitcnt vmcnt(3) lgkmcnt(1)
	v_mfma_f32_16x16x16_f16 v[2:5], v[22:23], v[6:7], v[2:5]
	v_mfma_f32_16x16x16_f16 v[2:5], v[24:25], v[8:9], v[2:5]
	s_waitcnt vmcnt(2) lgkmcnt(0)
	v_mfma_f32_16x16x16_f16 v[2:5], v[18:19], v[26:27], v[2:5]
	v_mfma_f32_16x16x16_f16 v[2:5], v[20:21], v[28:29], v[2:5]
	ds_read_b128 v[6:9], v35 offset:6144
	ds_read_b128 v[18:21], v35 offset:6160
	v_mov_b32_e32 v35, 0
	s_waitcnt vmcnt(1) lgkmcnt(0)
	v_mfma_f32_16x16x16_f16 v[2:5], v[14:15], v[6:7], v[2:5]
	s_barrier
	v_mfma_f32_16x16x16_f16 v[2:5], v[16:17], v[8:9], v[2:5]
	s_waitcnt vmcnt(0)
	v_mfma_f32_16x16x16_f16 v[2:5], v[10:11], v[18:19], v[2:5]
	v_mfma_f32_16x16x16_f16 v[2:5], v[12:13], v[20:21], v[2:5]
	s_nop 6
	v_cvt_f16_f32_e32 v2, v2
	v_cvt_f16_f32_e32 v3, v3
	;; [unrolled: 1-line block ×4, first 2 shown]
	v_pack_b32_f16 v2, v2, v3
	v_pack_b32_f16 v3, v4, v5
	ds_write_b64 v38, v[2:3]
	s_waitcnt lgkmcnt(0)
	s_barrier
	s_and_saveexec_b64 s[8:9], s[4:5]
	s_cbranch_execz .LBB51_17
; %bb.16:
	s_load_dwordx2 s[0:1], s[0:1], 0x68
	s_lshl_b32 s6, s6, 6
	s_mul_i32 s2, s7, s2
	s_mul_hi_u32 s5, s2, s6
	s_mul_i32 s4, s2, s6
	s_lshl_b64 s[4:5], s[4:5], 1
	s_waitcnt lgkmcnt(0)
	s_add_u32 s4, s0, s4
	s_addc_u32 s5, s1, s5
	s_lshl_b32 s2, s28, 6
	v_lshlrev_b32_e32 v0, 10, v0
	s_lshl_b64 s[0:1], s[2:3], 1
	v_and_b32_e32 v0, 0x1800, v0
	v_lshlrev_b32_e32 v2, 5, v1
	v_and_b32_e32 v3, 16, v52
	s_add_u32 s0, s4, s0
	v_or3_b32 v0, v0, v2, v3
	s_addc_u32 s1, s5, s1
	v_or_b32_e32 v20, s29, v1
	ds_read_b128 v[2:5], v0
	ds_read_b128 v[6:9], v0 offset:128
	ds_read_b128 v[10:13], v0 offset:256
	ds_read_b128 v[14:17], v0 offset:384
	v_lshl_add_u64 v[18:19], s[0:1], 0, v[34:35]
	v_mad_u64_u32 v[0:1], s[0:1], v20, s6, 0
	v_lshl_add_u64 v[0:1], v[0:1], 1, v[18:19]
	s_waitcnt lgkmcnt(3)
	global_store_dwordx4 v[0:1], v[2:5], off
	v_or_b32_e32 v0, 4, v20
	v_mad_u64_u32 v[0:1], s[0:1], v0, s6, 0
	v_lshl_add_u64 v[0:1], v[0:1], 1, v[18:19]
	s_waitcnt lgkmcnt(2)
	global_store_dwordx4 v[0:1], v[6:9], off
	v_or_b32_e32 v0, 8, v20
	;; [unrolled: 5-line block ×3, first 2 shown]
	v_mad_u64_u32 v[0:1], s[0:1], v0, s6, 0
	v_lshl_add_u64 v[0:1], v[0:1], 1, v[18:19]
	s_waitcnt lgkmcnt(0)
	global_store_dwordx4 v[0:1], v[14:17], off
.LBB51_17:
	s_endpgm
	.section	.rodata,"a",@progbits
	.p2align	6, 0x0
	.amdhsa_kernel _Z39paged_attention_ll4mi_QKV_mfma16_kernelIDF16_DF16_LN4vllm18Fp8KVCacheDataTypeE0EhLi16ELi64ELi256ELb0ELi16EEvPKT_PKT0_S7_ifPKiS9_S9_iPKfiiiPfSC_PS2_PT2_iSB_SB_
		.amdhsa_group_segment_fixed_size 8192
		.amdhsa_private_segment_fixed_size 0
		.amdhsa_kernarg_size 400
		.amdhsa_user_sgpr_count 2
		.amdhsa_user_sgpr_dispatch_ptr 0
		.amdhsa_user_sgpr_queue_ptr 0
		.amdhsa_user_sgpr_kernarg_segment_ptr 1
		.amdhsa_user_sgpr_dispatch_id 0
		.amdhsa_user_sgpr_kernarg_preload_length 0
		.amdhsa_user_sgpr_kernarg_preload_offset 0
		.amdhsa_user_sgpr_private_segment_size 0
		.amdhsa_uses_dynamic_stack 0
		.amdhsa_enable_private_segment 0
		.amdhsa_system_sgpr_workgroup_id_x 1
		.amdhsa_system_sgpr_workgroup_id_y 1
		.amdhsa_system_sgpr_workgroup_id_z 1
		.amdhsa_system_sgpr_workgroup_info 0
		.amdhsa_system_vgpr_workitem_id 0
		.amdhsa_next_free_vgpr 70
		.amdhsa_next_free_sgpr 48
		.amdhsa_accum_offset 72
		.amdhsa_reserve_vcc 1
		.amdhsa_float_round_mode_32 0
		.amdhsa_float_round_mode_16_64 0
		.amdhsa_float_denorm_mode_32 3
		.amdhsa_float_denorm_mode_16_64 3
		.amdhsa_dx10_clamp 1
		.amdhsa_ieee_mode 1
		.amdhsa_fp16_overflow 0
		.amdhsa_tg_split 0
		.amdhsa_exception_fp_ieee_invalid_op 0
		.amdhsa_exception_fp_denorm_src 0
		.amdhsa_exception_fp_ieee_div_zero 0
		.amdhsa_exception_fp_ieee_overflow 0
		.amdhsa_exception_fp_ieee_underflow 0
		.amdhsa_exception_fp_ieee_inexact 0
		.amdhsa_exception_int_div_zero 0
	.end_amdhsa_kernel
	.section	.text._Z39paged_attention_ll4mi_QKV_mfma16_kernelIDF16_DF16_LN4vllm18Fp8KVCacheDataTypeE0EhLi16ELi64ELi256ELb0ELi16EEvPKT_PKT0_S7_ifPKiS9_S9_iPKfiiiPfSC_PS2_PT2_iSB_SB_,"axG",@progbits,_Z39paged_attention_ll4mi_QKV_mfma16_kernelIDF16_DF16_LN4vllm18Fp8KVCacheDataTypeE0EhLi16ELi64ELi256ELb0ELi16EEvPKT_PKT0_S7_ifPKiS9_S9_iPKfiiiPfSC_PS2_PT2_iSB_SB_,comdat
.Lfunc_end51:
	.size	_Z39paged_attention_ll4mi_QKV_mfma16_kernelIDF16_DF16_LN4vllm18Fp8KVCacheDataTypeE0EhLi16ELi64ELi256ELb0ELi16EEvPKT_PKT0_S7_ifPKiS9_S9_iPKfiiiPfSC_PS2_PT2_iSB_SB_, .Lfunc_end51-_Z39paged_attention_ll4mi_QKV_mfma16_kernelIDF16_DF16_LN4vllm18Fp8KVCacheDataTypeE0EhLi16ELi64ELi256ELb0ELi16EEvPKT_PKT0_S7_ifPKiS9_S9_iPKfiiiPfSC_PS2_PT2_iSB_SB_
                                        ; -- End function
	.section	.AMDGPU.csdata,"",@progbits
; Kernel info:
; codeLenInByte = 3796
; NumSgprs: 54
; NumVgprs: 70
; NumAgprs: 0
; TotalNumVgprs: 70
; ScratchSize: 0
; MemoryBound: 0
; FloatMode: 240
; IeeeMode: 1
; LDSByteSize: 8192 bytes/workgroup (compile time only)
; SGPRBlocks: 6
; VGPRBlocks: 8
; NumSGPRsForWavesPerEU: 54
; NumVGPRsForWavesPerEU: 70
; AccumOffset: 72
; Occupancy: 7
; WaveLimiterHint : 1
; COMPUTE_PGM_RSRC2:SCRATCH_EN: 0
; COMPUTE_PGM_RSRC2:USER_SGPR: 2
; COMPUTE_PGM_RSRC2:TRAP_HANDLER: 0
; COMPUTE_PGM_RSRC2:TGID_X_EN: 1
; COMPUTE_PGM_RSRC2:TGID_Y_EN: 1
; COMPUTE_PGM_RSRC2:TGID_Z_EN: 1
; COMPUTE_PGM_RSRC2:TIDIG_COMP_CNT: 0
; COMPUTE_PGM_RSRC3_GFX90A:ACCUM_OFFSET: 17
; COMPUTE_PGM_RSRC3_GFX90A:TG_SPLIT: 0
	.section	.text._Z39paged_attention_ll4mi_QKV_mfma16_kernelIDF16_DF16_LN4vllm18Fp8KVCacheDataTypeE0EhLi16ELi64ELi256ELb0ELi1EEvPKT_PKT0_S7_ifPKiS9_S9_iPKfiiiPfSC_PS2_PT2_iSB_SB_,"axG",@progbits,_Z39paged_attention_ll4mi_QKV_mfma16_kernelIDF16_DF16_LN4vllm18Fp8KVCacheDataTypeE0EhLi16ELi64ELi256ELb0ELi1EEvPKT_PKT0_S7_ifPKiS9_S9_iPKfiiiPfSC_PS2_PT2_iSB_SB_,comdat
	.protected	_Z39paged_attention_ll4mi_QKV_mfma16_kernelIDF16_DF16_LN4vllm18Fp8KVCacheDataTypeE0EhLi16ELi64ELi256ELb0ELi1EEvPKT_PKT0_S7_ifPKiS9_S9_iPKfiiiPfSC_PS2_PT2_iSB_SB_ ; -- Begin function _Z39paged_attention_ll4mi_QKV_mfma16_kernelIDF16_DF16_LN4vllm18Fp8KVCacheDataTypeE0EhLi16ELi64ELi256ELb0ELi1EEvPKT_PKT0_S7_ifPKiS9_S9_iPKfiiiPfSC_PS2_PT2_iSB_SB_
	.globl	_Z39paged_attention_ll4mi_QKV_mfma16_kernelIDF16_DF16_LN4vllm18Fp8KVCacheDataTypeE0EhLi16ELi64ELi256ELb0ELi1EEvPKT_PKT0_S7_ifPKiS9_S9_iPKfiiiPfSC_PS2_PT2_iSB_SB_
	.p2align	8
	.type	_Z39paged_attention_ll4mi_QKV_mfma16_kernelIDF16_DF16_LN4vllm18Fp8KVCacheDataTypeE0EhLi16ELi64ELi256ELb0ELi1EEvPKT_PKT0_S7_ifPKiS9_S9_iPKfiiiPfSC_PS2_PT2_iSB_SB_,@function
_Z39paged_attention_ll4mi_QKV_mfma16_kernelIDF16_DF16_LN4vllm18Fp8KVCacheDataTypeE0EhLi16ELi64ELi256ELb0ELi1EEvPKT_PKT0_S7_ifPKiS9_S9_iPKfiiiPfSC_PS2_PT2_iSB_SB_: ; @_Z39paged_attention_ll4mi_QKV_mfma16_kernelIDF16_DF16_LN4vllm18Fp8KVCacheDataTypeE0EhLi16ELi64ELi256ELb0ELi1EEvPKT_PKT0_S7_ifPKiS9_S9_iPKfiiiPfSC_PS2_PT2_iSB_SB_
; %bb.0:
	s_load_dwordx2 s[12:13], s[0:1], 0x30
	s_mov_b32 s5, s3
	s_mov_b64 s[6:7], 0
	s_waitcnt lgkmcnt(0)
	s_cmp_lg_u64 s[12:13], 0
	s_cselect_b64 s[14:15], -1, 0
	s_and_b64 vcc, exec, s[14:15]
	s_cbranch_vccz .LBB52_7
; %bb.1:
	s_add_i32 s8, s2, 1
	s_mov_b32 s9, 0
	s_lshl_b64 s[10:11], s[8:9], 2
	s_add_u32 s10, s12, s10
	s_mov_b32 s3, s9
	s_addc_u32 s11, s13, s11
	s_lshl_b64 s[8:9], s[2:3], 2
	s_add_u32 s8, s12, s8
	s_addc_u32 s9, s13, s9
	s_load_dword s16, s[10:11], 0x0
	s_load_dword s17, s[8:9], 0x0
	s_waitcnt lgkmcnt(0)
	s_sub_i32 s8, s16, s17
	s_cmp_eq_u32 s8, 1
	s_cselect_b64 s[8:9], -1, 0
	s_andn2_b64 vcc, exec, s[6:7]
	s_cbranch_vccnz .LBB52_3
.LBB52_2:
	s_mov_b32 s3, 0
	s_mov_b64 s[8:9], -1
.LBB52_3:
	s_andn2_b64 vcc, exec, s[8:9]
	s_cbranch_vccnz .LBB52_17
; %bb.4:
	s_load_dwordx2 s[6:7], s[0:1], 0x28
	s_lshl_b64 s[16:17], s[2:3], 2
	s_waitcnt lgkmcnt(0)
	s_add_u32 s6, s6, s16
	s_addc_u32 s7, s7, s17
	s_load_dword s33, s[6:7], 0x0
	s_lshl_b32 s18, s5, 8
	s_waitcnt lgkmcnt(0)
	s_cmp_ge_i32 s18, s33
	s_cbranch_scc1 .LBB52_17
; %bb.5:
	s_load_dwordx2 s[6:7], s[0:1], 0x20
	s_load_dword s8, s[0:1], 0x38
	s_add_i32 s9, s33, 15
	s_ashr_i32 s10, s9, 31
	v_and_b32_e32 v1, 0xcf, v0
	s_lshr_b32 s10, s10, 28
	v_add_u32_e32 v1, s18, v1
	s_add_i32 s9, s9, s10
	v_ashrrev_i32_e32 v2, 31, v1
	s_ashr_i32 s19, s9, 4
	v_lshrrev_b32_e32 v10, 28, v2
	s_add_i32 s19, s19, -1
	s_waitcnt lgkmcnt(0)
	s_mul_i32 s8, s2, s8
	s_mov_b32 s9, 0
	v_add_u32_e32 v2, v1, v10
	s_lshl_b64 s[8:9], s[8:9], 2
	v_ashrrev_i32_e32 v2, 4, v2
	v_mov_b32_e32 v11, s19
	v_cmp_gt_i32_e32 vcc, s33, v1
	s_add_u32 s6, s6, s8
	s_addc_u32 s7, s7, s9
	v_cndmask_b32_e32 v2, v11, v2, vcc
	v_ashrrev_i32_e32 v3, 31, v2
	v_lshl_add_u64 v[4:5], v[2:3], 2, s[6:7]
	v_or_b32_e32 v2, 16, v1
	v_add_u32_e32 v3, v2, v10
	v_ashrrev_i32_e32 v3, 4, v3
	v_cmp_gt_i32_e32 vcc, s33, v2
	s_load_dwordx4 s[8:11], s[0:1], 0x8
	s_nop 0
	v_cndmask_b32_e32 v2, v11, v3, vcc
	v_ashrrev_i32_e32 v3, 31, v2
	v_lshl_add_u64 v[6:7], v[2:3], 2, s[6:7]
	v_or_b32_e32 v2, 32, v1
	v_add_u32_e32 v3, v2, v10
	v_ashrrev_i32_e32 v3, 4, v3
	v_cmp_gt_i32_e32 vcc, s33, v2
	v_or_b32_e32 v1, 48, v1
	s_nop 0
	v_cndmask_b32_e32 v2, v11, v3, vcc
	v_ashrrev_i32_e32 v3, 31, v2
	v_lshl_add_u64 v[8:9], v[2:3], 2, s[6:7]
	v_add_u32_e32 v2, v1, v10
	v_ashrrev_i32_e32 v2, 4, v2
	v_cmp_gt_i32_e32 vcc, s33, v1
	s_nop 1
	v_cndmask_b32_e32 v2, v11, v2, vcc
	v_ashrrev_i32_e32 v3, 31, v2
	v_lshl_add_u64 v[12:13], v[2:3], 2, s[6:7]
	global_load_dword v3, v[4:5], off
	global_load_dword v2, v[6:7], off
	;; [unrolled: 1-line block ×4, first 2 shown]
	s_andn2_b64 vcc, exec, s[14:15]
	s_cbranch_vccnz .LBB52_8
; %bb.6:
	s_add_u32 s12, s12, s16
	s_addc_u32 s13, s13, s17
	s_load_dword s14, s[12:13], 0x0
	s_branch .LBB52_9
.LBB52_7:
	s_mov_b64 s[8:9], 0
	s_branch .LBB52_2
.LBB52_8:
	s_mov_b32 s14, s2
.LBB52_9:
	s_load_dwordx4 s[44:47], s[0:1], 0x48
	v_lshrrev_b32_e32 v54, 6, v0
	v_bfe_u32 v52, v0, 4, 2
	v_lshl_or_b32 v1, v54, 2, v52
	v_and_b32_e32 v56, 15, v0
	v_lshlrev_b32_e32 v4, 3, v56
	v_cmp_eq_u32_e32 vcc, 0, v1
	v_cmp_gt_u32_e64 s[28:29], 8, v56
	v_and_b32_e32 v55, 63, v0
	s_and_b64 s[16:17], s[28:29], vcc
	v_lshlrev_b32_e32 v1, 1, v4
	s_and_saveexec_b64 s[12:13], s[16:17]
	s_cbranch_execz .LBB52_11
; %bb.10:
	s_load_dwordx2 s[16:17], s[0:1], 0x0
	s_waitcnt lgkmcnt(0)
	s_ashr_i32 s15, s44, 31
	s_mul_hi_u32 s20, s14, s44
	s_mul_i32 s15, s14, s15
	s_add_i32 s15, s20, s15
	s_mul_i32 s14, s14, s44
	s_lshl_b64 s[14:15], s[14:15], 1
	s_add_u32 s16, s16, s14
	s_addc_u32 s17, s17, s15
	s_lshl_b32 s14, s4, 6
	s_ashr_i32 s15, s14, 31
	s_lshl_b64 s[14:15], s[14:15], 1
	s_add_u32 s14, s16, s14
	s_addc_u32 s15, s17, s15
	global_load_dwordx4 v[4:7], v1, s[14:15]
	v_and_b32_e32 v8, 3, v0
	v_lshlrev_b32_e32 v9, 9, v56
	v_lshlrev_b32_e32 v8, 9, v8
	s_movk_i32 s14, 0x1800
	v_and_or_b32 v8, v9, s14, v8
	s_waitcnt vmcnt(0)
	ds_write_b128 v8, v[4:7]
.LBB52_11:
	s_or_b64 exec, exec, s[12:13]
	s_waitcnt lgkmcnt(0)
	s_mul_i32 s12, s4, s46
	s_mov_b32 s13, 0
	s_lshl_b64 s[12:13], s[12:13], 1
	s_add_u32 s8, s8, s12
	v_lshlrev_b32_e32 v53, 4, v0
	s_addc_u32 s9, s9, s13
	v_and_b32_e32 v34, 0xf0, v53
	v_mov_b32_e32 v35, 0
	v_lshl_add_u64 v[12:13], s[8:9], 0, v[34:35]
	s_waitcnt vmcnt(3)
	v_mad_i64_i32 v[4:5], s[8:9], v3, s45, 0
	s_waitcnt vmcnt(2)
	v_mad_i64_i32 v[6:7], s[8:9], v2, s45, 0
	v_lshl_add_u64 v[4:5], v[4:5], 1, v[12:13]
	v_and_b32_e32 v34, 0x300, v53
	v_lshl_add_u64 v[6:7], v[6:7], 1, v[12:13]
	v_lshl_add_u64 v[14:15], v[4:5], 0, v[34:35]
	;; [unrolled: 1-line block ×3, first 2 shown]
	s_barrier
	global_load_dwordx4 v[2:5], v[14:15], off
	global_load_dwordx4 v[6:9], v[18:19], off
	s_waitcnt vmcnt(3)
	v_mad_i64_i32 v[16:17], s[8:9], v11, s45, 0
	v_lshl_add_u64 v[16:17], v[16:17], 1, v[12:13]
	v_lshl_add_u64 v[36:37], v[16:17], 0, v[34:35]
	global_load_dwordx4 v[22:25], v[36:37], off
	s_waitcnt vmcnt(3)
	v_mad_i64_i32 v[10:11], s[8:9], v10, s45, 0
	global_load_dwordx4 v[14:17], v[14:15], off offset:1024
	v_lshl_add_u64 v[10:11], v[10:11], 1, v[12:13]
	v_lshl_add_u64 v[38:39], v[10:11], 0, v[34:35]
	global_load_dwordx4 v[26:29], v[38:39], off
	v_lshlrev_b32_e32 v10, 9, v52
	ds_read_b128 v[30:33], v10
	ds_read_b128 v[10:13], v10 offset:2048
	global_load_dwordx4 v[18:21], v[18:19], off offset:1024
	v_and_or_b32 v34, v0, 48, s18
	global_load_dwordx4 v[44:47], v[36:37], off offset:1024
	v_mov_b32_e32 v66, s19
	global_load_dwordx4 v[36:39], v[38:39], off offset:1024
	v_cmp_gt_i32_e32 vcc, s33, v34
	s_load_dword s8, s[0:1], 0x1c
	s_mov_b32 s42, 0xff7fffff
	s_add_u32 s10, s10, s12
	s_addc_u32 s11, s11, s13
	v_lshlrev_b32_e32 v57, 5, v56
	v_lshlrev_b32_e32 v56, 2, v56
	s_waitcnt vmcnt(7) lgkmcnt(0)
	v_mfma_f32_16x16x16_f16 v[40:43], v[2:3], v[30:31], 0
	v_ashrrev_i32_e32 v2, 4, v34
	v_cndmask_b32_e32 v2, v66, v2, vcc
	v_ashrrev_i32_e32 v3, 31, v2
	s_waitcnt vmcnt(6)
	v_mfma_f32_16x16x16_f16 v[48:51], v[6:7], v[30:31], 0
	v_or_b32_e32 v6, 64, v34
	v_ashrrev_i32_e32 v7, 4, v6
	v_cmp_gt_i32_e32 vcc, s33, v6
	s_waitcnt vmcnt(5)
	v_mfma_f32_16x16x16_f16 v[58:61], v[22:23], v[30:31], 0
	v_lshl_add_u64 v[22:23], v[2:3], 2, s[6:7]
	v_cndmask_b32_e32 v6, v66, v7, vcc
	v_ashrrev_i32_e32 v7, 31, v6
	v_mfma_f32_16x16x16_f16 v[2:5], v[4:5], v[32:33], v[40:43]
	s_nop 2
	global_load_dword v40, v[22:23], off
	v_lshl_add_u64 v[22:23], v[6:7], 2, s[6:7]
	global_load_dword v41, v[22:23], off
	s_waitcnt vmcnt(5)
	v_mfma_f32_16x16x16_f16 v[62:65], v[26:27], v[30:31], 0
	v_or_b32_e32 v30, 0x80, v34
	v_or_b32_e32 v31, 0xc0, v34
	v_cmp_gt_i32_e32 vcc, s33, v30
	v_mfma_f32_16x16x16_f16 v[6:9], v[8:9], v[32:33], v[48:51]
	v_lshl_or_b32 v34, v54, 9, v57
	v_mfma_f32_16x16x16_f16 v[22:25], v[24:25], v[32:33], v[58:61]
	v_mfma_f32_16x16x16_f16 v[26:29], v[28:29], v[32:33], v[62:65]
	v_ashrrev_i32_e32 v32, 4, v30
	v_ashrrev_i32_e32 v33, 4, v31
	v_and_b32_e32 v60, 0xc0, v0
	v_mfma_f32_16x16x16_f16 v[2:5], v[14:15], v[10:11], v[2:5]
	v_cndmask_b32_e32 v14, v66, v32, vcc
	v_cmp_gt_i32_e32 vcc, s33, v31
	v_ashrrev_i32_e32 v15, 31, v14
	v_lshl_add_u64 v[14:15], v[14:15], 2, s[6:7]
	v_cndmask_b32_e32 v30, v66, v33, vcc
	v_ashrrev_i32_e32 v31, 31, v30
	s_waitcnt vmcnt(4)
	v_mfma_f32_16x16x16_f16 v[6:9], v[18:19], v[10:11], v[6:9]
	v_lshl_add_u64 v[18:19], v[30:31], 2, s[6:7]
	global_load_dword v61, v[14:15], off
	global_load_dword v62, v[18:19], off
	s_waitcnt vmcnt(2)
	v_mad_i64_i32 v[32:33], s[6:7], v41, s45, 0
	v_mfma_f32_16x16x16_f16 v[22:25], v[44:45], v[10:11], v[22:25]
	v_mfma_f32_16x16x16_f16 v[26:29], v[36:37], v[10:11], v[26:29]
	v_lshl_add_u64 v[10:11], s[10:11], 0, v[34:35]
	v_lshl_add_u64 v[58:59], v[32:33], 1, v[10:11]
	v_mfma_f32_16x16x16_f16 v[14:17], v[16:17], v[12:13], v[2:5]
	v_mfma_f32_16x16x16_f16 v[18:21], v[20:21], v[12:13], v[6:9]
	s_nop 1
	v_mad_i64_i32 v[2:3], s[6:7], v40, s45, 0
	v_lshl_add_u64 v[30:31], v[2:3], 1, v[10:11]
	v_mfma_f32_16x16x16_f16 v[22:25], v[46:47], v[12:13], v[22:25]
	s_nop 0
	v_pk_mul_f32 v[46:47], s[8:9], v[16:17] op_sel_hi:[0,1]
	v_pk_mul_f32 v[40:41], s[8:9], v[18:19] op_sel_hi:[0,1]
	;; [unrolled: 1-line block ×3, first 2 shown]
	v_mfma_f32_16x16x16_f16 v[26:29], v[38:39], v[12:13], v[26:29]
	v_pk_mul_f32 v[12:13], s[8:9], v[14:15] op_sel_hi:[0,1]
	v_add_u32_e32 v14, s18, v60
	v_lshl_or_b32 v14, v52, 2, v14
	v_or_b32_e32 v17, 1, v14
	v_mov_b32_e32 v15, 0xff7fffff
	v_cmp_gt_i32_e64 s[30:31], s33, v14
	v_cmp_gt_i32_e64 s[34:35], s33, v17
	v_or_b32_e32 v18, 3, v14
	v_cndmask_b32_e64 v16, v15, v12, s[30:31]
	v_cndmask_b32_e64 v17, v15, v13, s[34:35]
	v_max3_f32 v16, v16, s42, v17
	v_or_b32_e32 v17, 2, v14
	v_cmp_gt_i32_e64 s[36:37], s33, v17
	v_cmp_gt_i32_e64 s[38:39], s33, v18
	v_pk_mul_f32 v[44:45], s[8:9], v[22:23] op_sel_hi:[0,1]
	v_cndmask_b32_e64 v17, v15, v46, s[36:37]
	v_cndmask_b32_e64 v18, v15, v47, s[38:39]
	v_max3_f32 v16, v16, v17, v18
	v_or_b32_e32 v17, 16, v14
	v_or_b32_e32 v18, 17, v14
	v_cmp_gt_i32_e64 s[24:25], s33, v17
	v_cmp_gt_i32_e64 s[26:27], s33, v18
	v_pk_mul_f32 v[48:49], s[8:9], v[24:25] op_sel_hi:[0,1]
	v_cndmask_b32_e64 v17, v15, v40, s[24:25]
	v_cndmask_b32_e64 v18, v15, v41, s[26:27]
	v_max3_f32 v16, v16, v17, v18
	v_or_b32_e32 v17, 18, v14
	;; [unrolled: 8-line block ×4, first 2 shown]
	v_or_b32_e32 v18, 35, v14
	v_cmp_gt_i32_e64 s[12:13], s33, v17
	v_cmp_gt_i32_e64 s[14:15], s33, v18
	global_load_dwordx4 v[6:9], v[30:31], off
	global_load_dwordx4 v[2:5], v[30:31], off offset:16
	v_cndmask_b32_e64 v17, v15, v48, s[12:13]
	v_cndmask_b32_e64 v18, v15, v49, s[14:15]
	v_max3_f32 v16, v16, v17, v18
	v_or_b32_e32 v17, 48, v14
	v_or_b32_e32 v18, 49, v14
	v_cmp_gt_i32_e64 s[8:9], s33, v17
	v_cmp_gt_i32_e64 s[10:11], s33, v18
	global_load_dwordx4 v[30:33], v[58:59], off
	global_load_dwordx4 v[26:29], v[58:59], off offset:16
	v_cndmask_b32_e64 v17, v15, v42, s[8:9]
	v_cndmask_b32_e64 v18, v15, v43, s[10:11]
	v_max3_f32 v16, v16, v17, v18
	v_or_b32_e32 v17, 50, v14
	v_or_b32_e32 v14, 51, v14
	v_cmp_gt_i32_e32 vcc, s33, v17
	v_cmp_gt_i32_e64 s[6:7], s33, v14
	s_nop 0
	v_cndmask_b32_e32 v17, v15, v36, vcc
	v_cndmask_b32_e64 v14, v15, v37, s[6:7]
	v_max3_f32 v16, v16, v17, v14
	v_mbcnt_lo_u32_b32 v14, -1, 0
	v_mbcnt_hi_u32_b32 v17, -1, v14
	v_and_b32_e32 v14, 64, v17
	v_add_u32_e32 v18, 64, v14
	v_xor_b32_e32 v14, 32, v17
	v_cmp_lt_i32_e64 s[40:41], v14, v18
	s_nop 1
	v_cndmask_b32_e64 v14, v17, v14, s[40:41]
	v_lshlrev_b32_e32 v60, 2, v14
	ds_bpermute_b32 v19, v60, v16
	s_waitcnt vmcnt(5)
	v_mad_i64_i32 v[14:15], s[40:41], v61, s45, 0
	v_lshl_add_u64 v[14:15], v[14:15], 1, v[10:11]
	s_waitcnt lgkmcnt(0)
	v_max_f32_e32 v19, v19, v19
	v_max_f32_e32 v16, v16, v19
	v_xor_b32_e32 v19, 16, v17
	v_cmp_lt_i32_e64 s[40:41], v19, v18
	s_nop 1
	v_cndmask_b32_e64 v17, v17, v19, s[40:41]
	v_lshlrev_b32_e32 v59, 2, v17
	ds_bpermute_b32 v17, v59, v16
	global_load_dwordx4 v[22:25], v[14:15], off
	global_load_dwordx4 v[18:21], v[14:15], off offset:16
	s_waitcnt vmcnt(6)
	v_mad_i64_i32 v[14:15], s[40:41], v62, s45, 0
	v_lshl_add_u64 v[10:11], v[14:15], 1, v[10:11]
	s_waitcnt lgkmcnt(0)
	v_max_f32_e32 v14, v17, v17
	v_max_f32_e32 v34, v16, v14
	v_sub_f32_e32 v12, v12, v34
	v_mul_f32_e32 v12, 0x3fb8aa3b, v12
	v_exp_f32_e32 v38, v12
	v_sub_f32_e32 v12, v13, v34
	v_mul_f32_e32 v12, 0x3fb8aa3b, v12
	v_exp_f32_e32 v39, v12
	global_load_dwordx4 v[14:17], v[10:11], off
	s_nop 0
	global_load_dwordx4 v[10:13], v[10:11], off offset:16
	v_sub_f32_e32 v46, v46, v34
	v_mul_f32_e32 v46, 0x3fb8aa3b, v46
	v_sub_f32_e32 v47, v47, v34
	v_exp_f32_e32 v46, v46
	v_mul_f32_e32 v47, 0x3fb8aa3b, v47
	v_sub_f32_e32 v40, v40, v34
	v_exp_f32_e32 v47, v47
	v_mul_f32_e32 v40, 0x3fb8aa3b, v40
	v_sub_f32_e32 v41, v41, v34
	v_cndmask_b32_e64 v38, 0, v38, s[30:31]
	v_exp_f32_e32 v40, v40
	v_mul_f32_e32 v41, 0x3fb8aa3b, v41
	v_sub_f32_e32 v50, v50, v34
	v_add_f32_e32 v58, 0, v38
	v_cndmask_b32_e64 v39, 0, v39, s[34:35]
	v_exp_f32_e32 v41, v41
	v_mul_f32_e32 v50, 0x3fb8aa3b, v50
	v_sub_f32_e32 v51, v51, v34
	v_add_f32_e32 v58, v58, v39
	;; [unrolled: 5-line block ×10, first 2 shown]
	v_cndmask_b32_e64 v48, 0, v48, s[12:13]
	v_exp_f32_e32 v36, v36
	v_mul_f32_e32 v37, 0x3fb8aa3b, v37
	v_add_f32_e32 v58, v58, v48
	v_cndmask_b32_e64 v49, 0, v49, s[14:15]
	v_exp_f32_e32 v37, v37
	v_add_f32_e32 v58, v58, v49
	v_cndmask_b32_e64 v42, 0, v42, s[8:9]
	v_add_f32_e32 v58, v58, v42
	v_cndmask_b32_e64 v43, 0, v43, s[10:11]
	v_add_f32_e32 v58, v58, v43
	v_cndmask_b32_e32 v36, 0, v36, vcc
	v_add_f32_e32 v58, v58, v36
	v_cndmask_b32_e64 v37, 0, v37, s[6:7]
	v_add_f32_e32 v58, v58, v37
	ds_bpermute_b32 v60, v60, v58
	v_cmp_gt_u32_e64 s[6:7], 16, v55
	s_waitcnt lgkmcnt(0)
	s_barrier
	v_add_f32_e32 v58, v58, v60
	ds_bpermute_b32 v59, v59, v58
	s_and_saveexec_b64 s[8:9], s[6:7]
	s_cbranch_execz .LBB52_13
; %bb.12:
	s_waitcnt lgkmcnt(0)
	v_add_f32_e32 v55, v58, v59
	v_lshl_or_b32 v58, v54, 6, v56
	ds_write2st64_b32 v58, v34, v55 offset1:1
.LBB52_13:
	s_or_b64 exec, exec, s[8:9]
	s_load_dwordx2 s[8:9], s[0:1], 0x94
	s_waitcnt lgkmcnt(0)
	s_barrier
	ds_read2_b32 v[58:59], v56 offset1:16
	ds_read2_b32 v[60:61], v56 offset0:32 offset1:48
	ds_read2_b32 v[62:63], v56 offset0:64 offset1:80
	s_waitcnt lgkmcnt(2)
	v_max3_f32 v34, v58, s42, v59
	s_waitcnt lgkmcnt(1)
	v_max3_f32 v55, v34, v60, v61
	v_sub_f32_e32 v34, v58, v55
	v_sub_f32_e32 v58, v59, v55
	v_mul_f32_e32 v58, 0x3fb8aa3b, v58
	v_mul_f32_e32 v34, 0x3fb8aa3b, v34
	v_exp_f32_e32 v64, v58
	v_sub_f32_e32 v58, v60, v55
	v_exp_f32_e32 v34, v34
	v_mul_f32_e32 v58, 0x3fb8aa3b, v58
	v_exp_f32_e32 v60, v58
	ds_read2_b32 v[58:59], v56 offset0:96 offset1:112
	v_sub_f32_e32 v56, v61, v55
	v_mul_f32_e32 v56, 0x3fb8aa3b, v56
	v_exp_f32_e32 v61, v56
	s_waitcnt lgkmcnt(1)
	v_fma_f32 v56, v34, v62, 0
	v_fmac_f32_e32 v56, v64, v63
	s_waitcnt lgkmcnt(0)
	v_fmac_f32_e32 v56, v60, v58
	v_fmac_f32_e32 v56, v61, v59
	v_add_f32_e32 v58, 0x358637bd, v56
	v_div_scale_f32 v59, s[10:11], v58, v58, 1.0
	v_rcp_f32_e32 v62, v59
	s_barrier
	v_fma_f32 v63, -v59, v62, 1.0
	v_fmac_f32_e32 v62, v63, v62
	v_div_scale_f32 v63, vcc, 1.0, v58, 1.0
	v_mul_f32_e32 v65, v63, v62
	v_fma_f32 v66, -v59, v65, v63
	v_fmac_f32_e32 v65, v66, v62
	v_fma_f32 v59, -v59, v65, v63
	v_div_fmas_f32 v59, v59, v62, v65
	v_cmp_eq_u32_e32 vcc, 1, v54
	v_div_fixup_f32 v58, v59, v58, 1.0
	s_nop 0
	v_cndmask_b32_e32 v34, v34, v64, vcc
	v_cmp_eq_u32_e32 vcc, 2, v54
	s_nop 1
	v_cndmask_b32_e32 v34, v34, v60, vcc
	v_cmp_eq_u32_e32 vcc, 3, v54
	s_nop 1
	v_cndmask_b32_e32 v34, v34, v61, vcc
	v_mul_f32_e32 v58, v34, v58
	v_pk_mul_f32 v[46:47], v[58:59], v[46:47] op_sel_hi:[0,1]
	v_pk_mul_f32 v[38:39], v[58:59], v[38:39] op_sel_hi:[0,1]
	v_cvt_f16_f32_e32 v34, v38
	v_cvt_f16_f32_e32 v38, v39
	;; [unrolled: 1-line block ×4, first 2 shown]
	v_pk_mul_f32 v[40:41], v[58:59], v[40:41] op_sel_hi:[0,1]
	v_cvt_f16_f32_e32 v40, v40
	v_cvt_f16_f32_e32 v41, v41
	v_pack_b32_f16 v39, v39, v46
	v_pk_mul_f32 v[46:47], v[58:59], v[50:51] op_sel_hi:[0,1]
	v_cvt_f16_f32_e32 v46, v46
	v_cvt_f16_f32_e32 v47, v47
	v_pack_b32_f16 v38, v34, v38
	v_lshlrev_b32_e32 v34, 3, v52
	v_lshlrev_b32_e32 v50, 11, v54
	v_or3_b32 v34, v50, v57, v34
	v_pack_b32_f16 v40, v40, v41
	v_pack_b32_f16 v41, v46, v47
	ds_write2st64_b64 v34, v[38:39], v[40:41] offset1:1
	v_pk_mul_f32 v[38:39], v[58:59], v[48:49] op_sel_hi:[0,1]
	v_pk_mul_f32 v[40:41], v[58:59], v[44:45] op_sel_hi:[0,1]
	v_cvt_f16_f32_e32 v44, v38
	v_cvt_f16_f32_e32 v45, v39
	v_pk_mul_f32 v[36:37], v[58:59], v[36:37] op_sel_hi:[0,1]
	v_pk_mul_f32 v[38:39], v[58:59], v[42:43] op_sel_hi:[0,1]
	v_cvt_f16_f32_e32 v40, v40
	v_cvt_f16_f32_e32 v41, v41
	;; [unrolled: 1-line block ×6, first 2 shown]
	v_pack_b32_f16 v36, v40, v41
	v_pack_b32_f16 v37, v44, v45
	;; [unrolled: 1-line block ×4, first 2 shown]
	v_cmp_eq_u32_e32 vcc, 0, v0
	ds_write2st64_b64 v34, v[36:37], v[38:39] offset0:2 offset1:3
	s_and_saveexec_b64 s[10:11], vcc
	s_cbranch_execz .LBB52_15
; %bb.14:
	s_mul_i32 s3, s3, s9
	s_mul_hi_u32 s16, s2, s9
	s_add_i32 s16, s16, s3
	s_mul_i32 s3, s2, s9
	s_add_u32 s3, s3, s4
	s_addc_u32 s16, s16, 0
	s_load_dwordx4 s[12:15], s[0:1], 0x58
	s_mul_i32 s16, s16, s8
	s_mul_hi_u32 s17, s3, s8
	s_add_i32 s17, s17, s16
	s_mul_i32 s3, s3, s8
	s_add_u32 s16, s3, s5
	s_addc_u32 s17, s17, 0
	s_lshl_b64 s[16:17], s[16:17], 2
	s_waitcnt lgkmcnt(0)
	s_add_u32 s14, s14, s16
	s_addc_u32 s15, s15, s17
	s_add_u32 s12, s12, s16
	s_addc_u32 s13, s13, s17
	global_store_dword v35, v55, s[14:15]
	global_store_dword v35, v56, s[12:13]
.LBB52_15:
	s_or_b64 exec, exec, s[10:11]
	v_lshl_or_b32 v35, v52, 9, v57
	s_waitcnt lgkmcnt(0)
	s_barrier
	ds_read_b128 v[36:39], v35
	ds_read_b128 v[40:43], v35 offset:16
	s_waitcnt vmcnt(7) lgkmcnt(1)
	v_mfma_f32_16x16x16_f16 v[44:47], v[6:7], v[36:37], 0
	v_cmp_gt_u32_e32 vcc, 64, v0
	s_and_b64 s[10:11], s[28:29], vcc
	s_mov_b32 s3, 0
	v_mfma_f32_16x16x16_f16 v[6:9], v[8:9], v[38:39], v[44:47]
	s_and_b64 s[6:7], s[10:11], s[6:7]
	s_waitcnt vmcnt(6) lgkmcnt(0)
	v_mfma_f32_16x16x16_f16 v[6:9], v[2:3], v[40:41], v[6:9]
	v_mfma_f32_16x16x16_f16 v[2:5], v[4:5], v[42:43], v[6:9]
	s_nop 5
	ds_read_b128 v[6:9], v35 offset:2048
	ds_read_b128 v[36:39], v35 offset:2064
	s_waitcnt vmcnt(5) lgkmcnt(1)
	v_mfma_f32_16x16x16_f16 v[2:5], v[30:31], v[6:7], v[2:5]
	v_mfma_f32_16x16x16_f16 v[2:5], v[32:33], v[8:9], v[2:5]
	s_waitcnt vmcnt(4) lgkmcnt(0)
	v_mfma_f32_16x16x16_f16 v[2:5], v[26:27], v[36:37], v[2:5]
	v_mfma_f32_16x16x16_f16 v[2:5], v[28:29], v[38:39], v[2:5]
	ds_read_b128 v[6:9], v35 offset:4096
	ds_read_b128 v[26:29], v35 offset:4112
	s_waitcnt vmcnt(3) lgkmcnt(1)
	v_mfma_f32_16x16x16_f16 v[2:5], v[22:23], v[6:7], v[2:5]
	v_mfma_f32_16x16x16_f16 v[2:5], v[24:25], v[8:9], v[2:5]
	s_waitcnt vmcnt(2) lgkmcnt(0)
	v_mfma_f32_16x16x16_f16 v[2:5], v[18:19], v[26:27], v[2:5]
	v_mfma_f32_16x16x16_f16 v[2:5], v[20:21], v[28:29], v[2:5]
	ds_read_b128 v[6:9], v35 offset:6144
	ds_read_b128 v[18:21], v35 offset:6160
	s_waitcnt lgkmcnt(0)
	s_barrier
	s_waitcnt vmcnt(1)
	v_mfma_f32_16x16x16_f16 v[2:5], v[14:15], v[6:7], v[2:5]
	v_mfma_f32_16x16x16_f16 v[2:5], v[16:17], v[8:9], v[2:5]
	s_waitcnt vmcnt(0)
	v_mfma_f32_16x16x16_f16 v[2:5], v[10:11], v[18:19], v[2:5]
	v_mfma_f32_16x16x16_f16 v[2:5], v[12:13], v[20:21], v[2:5]
	s_nop 6
	v_cvt_f16_f32_e32 v2, v2
	v_cvt_f16_f32_e32 v3, v3
	;; [unrolled: 1-line block ×4, first 2 shown]
	v_pack_b32_f16 v2, v2, v3
	v_pack_b32_f16 v3, v4, v5
	ds_write_b64 v34, v[2:3]
	s_waitcnt lgkmcnt(0)
	s_barrier
	s_and_saveexec_b64 s[10:11], s[6:7]
	s_cbranch_execz .LBB52_17
; %bb.16:
	s_load_dwordx2 s[0:1], s[0:1], 0x68
	s_mul_i32 s2, s9, s2
	s_lshl_b32 s8, s8, 6
	s_mul_hi_u32 s7, s2, s8
	s_mul_i32 s6, s2, s8
	s_lshl_b64 s[6:7], s[6:7], 1
	v_lshlrev_b32_e32 v0, 10, v0
	s_waitcnt lgkmcnt(0)
	s_add_u32 s6, s0, s6
	v_and_b32_e32 v0, 0x1800, v0
	v_lshlrev_b32_e32 v2, 5, v52
	v_and_b32_e32 v3, 16, v53
	s_addc_u32 s7, s1, s7
	s_lshl_b32 s2, s5, 6
	v_or3_b32 v0, v0, v2, v3
	s_lshl_b64 s[0:1], s[2:3], 1
	ds_read_b128 v[2:5], v0
	s_add_u32 s2, s6, s0
	s_addc_u32 s3, s7, s1
	s_mul_hi_u32 s1, s8, s4
	s_mul_i32 s0, s8, s4
	s_lshl_b64 s[0:1], s[0:1], 1
	s_add_u32 s0, s2, s0
	s_addc_u32 s1, s3, s1
	s_waitcnt lgkmcnt(0)
	global_store_dwordx4 v1, v[2:5], s[0:1]
.LBB52_17:
	s_endpgm
	.section	.rodata,"a",@progbits
	.p2align	6, 0x0
	.amdhsa_kernel _Z39paged_attention_ll4mi_QKV_mfma16_kernelIDF16_DF16_LN4vllm18Fp8KVCacheDataTypeE0EhLi16ELi64ELi256ELb0ELi1EEvPKT_PKT0_S7_ifPKiS9_S9_iPKfiiiPfSC_PS2_PT2_iSB_SB_
		.amdhsa_group_segment_fixed_size 8192
		.amdhsa_private_segment_fixed_size 0
		.amdhsa_kernarg_size 400
		.amdhsa_user_sgpr_count 2
		.amdhsa_user_sgpr_dispatch_ptr 0
		.amdhsa_user_sgpr_queue_ptr 0
		.amdhsa_user_sgpr_kernarg_segment_ptr 1
		.amdhsa_user_sgpr_dispatch_id 0
		.amdhsa_user_sgpr_kernarg_preload_length 0
		.amdhsa_user_sgpr_kernarg_preload_offset 0
		.amdhsa_user_sgpr_private_segment_size 0
		.amdhsa_uses_dynamic_stack 0
		.amdhsa_enable_private_segment 0
		.amdhsa_system_sgpr_workgroup_id_x 1
		.amdhsa_system_sgpr_workgroup_id_y 1
		.amdhsa_system_sgpr_workgroup_id_z 1
		.amdhsa_system_sgpr_workgroup_info 0
		.amdhsa_system_vgpr_workitem_id 0
		.amdhsa_next_free_vgpr 67
		.amdhsa_next_free_sgpr 48
		.amdhsa_accum_offset 68
		.amdhsa_reserve_vcc 1
		.amdhsa_float_round_mode_32 0
		.amdhsa_float_round_mode_16_64 0
		.amdhsa_float_denorm_mode_32 3
		.amdhsa_float_denorm_mode_16_64 3
		.amdhsa_dx10_clamp 1
		.amdhsa_ieee_mode 1
		.amdhsa_fp16_overflow 0
		.amdhsa_tg_split 0
		.amdhsa_exception_fp_ieee_invalid_op 0
		.amdhsa_exception_fp_denorm_src 0
		.amdhsa_exception_fp_ieee_div_zero 0
		.amdhsa_exception_fp_ieee_overflow 0
		.amdhsa_exception_fp_ieee_underflow 0
		.amdhsa_exception_fp_ieee_inexact 0
		.amdhsa_exception_int_div_zero 0
	.end_amdhsa_kernel
	.section	.text._Z39paged_attention_ll4mi_QKV_mfma16_kernelIDF16_DF16_LN4vllm18Fp8KVCacheDataTypeE0EhLi16ELi64ELi256ELb0ELi1EEvPKT_PKT0_S7_ifPKiS9_S9_iPKfiiiPfSC_PS2_PT2_iSB_SB_,"axG",@progbits,_Z39paged_attention_ll4mi_QKV_mfma16_kernelIDF16_DF16_LN4vllm18Fp8KVCacheDataTypeE0EhLi16ELi64ELi256ELb0ELi1EEvPKT_PKT0_S7_ifPKiS9_S9_iPKfiiiPfSC_PS2_PT2_iSB_SB_,comdat
.Lfunc_end52:
	.size	_Z39paged_attention_ll4mi_QKV_mfma16_kernelIDF16_DF16_LN4vllm18Fp8KVCacheDataTypeE0EhLi16ELi64ELi256ELb0ELi1EEvPKT_PKT0_S7_ifPKiS9_S9_iPKfiiiPfSC_PS2_PT2_iSB_SB_, .Lfunc_end52-_Z39paged_attention_ll4mi_QKV_mfma16_kernelIDF16_DF16_LN4vllm18Fp8KVCacheDataTypeE0EhLi16ELi64ELi256ELb0ELi1EEvPKT_PKT0_S7_ifPKiS9_S9_iPKfiiiPfSC_PS2_PT2_iSB_SB_
                                        ; -- End function
	.section	.AMDGPU.csdata,"",@progbits
; Kernel info:
; codeLenInByte = 3612
; NumSgprs: 54
; NumVgprs: 67
; NumAgprs: 0
; TotalNumVgprs: 67
; ScratchSize: 0
; MemoryBound: 0
; FloatMode: 240
; IeeeMode: 1
; LDSByteSize: 8192 bytes/workgroup (compile time only)
; SGPRBlocks: 6
; VGPRBlocks: 8
; NumSGPRsForWavesPerEU: 54
; NumVGPRsForWavesPerEU: 67
; AccumOffset: 68
; Occupancy: 7
; WaveLimiterHint : 1
; COMPUTE_PGM_RSRC2:SCRATCH_EN: 0
; COMPUTE_PGM_RSRC2:USER_SGPR: 2
; COMPUTE_PGM_RSRC2:TRAP_HANDLER: 0
; COMPUTE_PGM_RSRC2:TGID_X_EN: 1
; COMPUTE_PGM_RSRC2:TGID_Y_EN: 1
; COMPUTE_PGM_RSRC2:TGID_Z_EN: 1
; COMPUTE_PGM_RSRC2:TIDIG_COMP_CNT: 0
; COMPUTE_PGM_RSRC3_GFX90A:ACCUM_OFFSET: 16
; COMPUTE_PGM_RSRC3_GFX90A:TG_SPLIT: 0
	.section	.text._Z39paged_attention_ll4mi_QKV_mfma16_kernelIDF16_DF16_LN4vllm18Fp8KVCacheDataTypeE0EhLi16ELi64ELi256ELb0ELi2EEvPKT_PKT0_S7_ifPKiS9_S9_iPKfiiiPfSC_PS2_PT2_iSB_SB_,"axG",@progbits,_Z39paged_attention_ll4mi_QKV_mfma16_kernelIDF16_DF16_LN4vllm18Fp8KVCacheDataTypeE0EhLi16ELi64ELi256ELb0ELi2EEvPKT_PKT0_S7_ifPKiS9_S9_iPKfiiiPfSC_PS2_PT2_iSB_SB_,comdat
	.protected	_Z39paged_attention_ll4mi_QKV_mfma16_kernelIDF16_DF16_LN4vllm18Fp8KVCacheDataTypeE0EhLi16ELi64ELi256ELb0ELi2EEvPKT_PKT0_S7_ifPKiS9_S9_iPKfiiiPfSC_PS2_PT2_iSB_SB_ ; -- Begin function _Z39paged_attention_ll4mi_QKV_mfma16_kernelIDF16_DF16_LN4vllm18Fp8KVCacheDataTypeE0EhLi16ELi64ELi256ELb0ELi2EEvPKT_PKT0_S7_ifPKiS9_S9_iPKfiiiPfSC_PS2_PT2_iSB_SB_
	.globl	_Z39paged_attention_ll4mi_QKV_mfma16_kernelIDF16_DF16_LN4vllm18Fp8KVCacheDataTypeE0EhLi16ELi64ELi256ELb0ELi2EEvPKT_PKT0_S7_ifPKiS9_S9_iPKfiiiPfSC_PS2_PT2_iSB_SB_
	.p2align	8
	.type	_Z39paged_attention_ll4mi_QKV_mfma16_kernelIDF16_DF16_LN4vllm18Fp8KVCacheDataTypeE0EhLi16ELi64ELi256ELb0ELi2EEvPKT_PKT0_S7_ifPKiS9_S9_iPKfiiiPfSC_PS2_PT2_iSB_SB_,@function
_Z39paged_attention_ll4mi_QKV_mfma16_kernelIDF16_DF16_LN4vllm18Fp8KVCacheDataTypeE0EhLi16ELi64ELi256ELb0ELi2EEvPKT_PKT0_S7_ifPKiS9_S9_iPKfiiiPfSC_PS2_PT2_iSB_SB_: ; @_Z39paged_attention_ll4mi_QKV_mfma16_kernelIDF16_DF16_LN4vllm18Fp8KVCacheDataTypeE0EhLi16ELi64ELi256ELb0ELi2EEvPKT_PKT0_S7_ifPKiS9_S9_iPKfiiiPfSC_PS2_PT2_iSB_SB_
; %bb.0:
	s_load_dwordx2 s[12:13], s[0:1], 0x30
	s_mov_b32 s28, s3
	s_mov_b64 s[6:7], 0
	s_waitcnt lgkmcnt(0)
	s_cmp_lg_u64 s[12:13], 0
	s_cselect_b64 s[14:15], -1, 0
	s_and_b64 vcc, exec, s[14:15]
	s_cbranch_vccz .LBB53_7
; %bb.1:
	s_add_i32 s8, s2, 1
	s_mov_b32 s9, 0
	s_lshl_b64 s[10:11], s[8:9], 2
	s_add_u32 s10, s12, s10
	s_mov_b32 s3, s9
	s_addc_u32 s11, s13, s11
	s_lshl_b64 s[8:9], s[2:3], 2
	s_add_u32 s8, s12, s8
	s_addc_u32 s9, s13, s9
	s_load_dword s5, s[10:11], 0x0
	s_load_dword s16, s[8:9], 0x0
	s_waitcnt lgkmcnt(0)
	s_sub_i32 s5, s5, s16
	s_cmp_eq_u32 s5, 1
	s_cselect_b64 s[8:9], -1, 0
	s_andn2_b64 vcc, exec, s[6:7]
	s_cbranch_vccnz .LBB53_3
.LBB53_2:
	s_mov_b32 s3, 0
	s_mov_b64 s[8:9], -1
.LBB53_3:
	s_andn2_b64 vcc, exec, s[8:9]
	s_cbranch_vccnz .LBB53_17
; %bb.4:
	s_load_dwordx2 s[6:7], s[0:1], 0x28
	s_lshl_b64 s[16:17], s[2:3], 2
	s_waitcnt lgkmcnt(0)
	s_add_u32 s6, s6, s16
	s_addc_u32 s7, s7, s17
	s_load_dword s40, s[6:7], 0x0
	s_lshl_b32 s18, s28, 8
	s_waitcnt lgkmcnt(0)
	s_cmp_ge_i32 s18, s40
	s_cbranch_scc1 .LBB53_17
; %bb.5:
	s_load_dwordx2 s[6:7], s[0:1], 0x20
	s_load_dword s5, s[0:1], 0x38
	s_add_i32 s8, s40, 15
	s_ashr_i32 s9, s8, 31
	v_and_b32_e32 v1, 0xcf, v0
	s_lshr_b32 s9, s9, 28
	v_add_u32_e32 v1, s18, v1
	s_add_i32 s8, s8, s9
	v_ashrrev_i32_e32 v2, 31, v1
	s_ashr_i32 s19, s8, 4
	v_lshrrev_b32_e32 v8, 28, v2
	s_add_i32 s19, s19, -1
	s_waitcnt lgkmcnt(0)
	s_mul_i32 s8, s2, s5
	s_mov_b32 s9, 0
	v_add_u32_e32 v2, v1, v8
	s_lshl_b64 s[8:9], s[8:9], 2
	v_ashrrev_i32_e32 v2, 4, v2
	v_mov_b32_e32 v9, s19
	v_cmp_gt_i32_e32 vcc, s40, v1
	s_add_u32 s6, s6, s8
	s_addc_u32 s7, s7, s9
	v_cndmask_b32_e32 v2, v9, v2, vcc
	v_ashrrev_i32_e32 v3, 31, v2
	v_lshl_add_u64 v[4:5], v[2:3], 2, s[6:7]
	v_or_b32_e32 v2, 16, v1
	v_add_u32_e32 v3, v2, v8
	v_ashrrev_i32_e32 v3, 4, v3
	v_cmp_gt_i32_e32 vcc, s40, v2
	s_load_dwordx4 s[8:11], s[0:1], 0x8
	s_nop 0
	v_cndmask_b32_e32 v2, v9, v3, vcc
	v_ashrrev_i32_e32 v3, 31, v2
	v_lshl_add_u64 v[6:7], v[2:3], 2, s[6:7]
	v_or_b32_e32 v2, 32, v1
	v_add_u32_e32 v3, v2, v8
	v_ashrrev_i32_e32 v3, 4, v3
	v_cmp_gt_i32_e32 vcc, s40, v2
	v_or_b32_e32 v1, 48, v1
	s_nop 0
	v_cndmask_b32_e32 v2, v9, v3, vcc
	v_ashrrev_i32_e32 v3, 31, v2
	v_lshl_add_u64 v[12:13], v[2:3], 2, s[6:7]
	v_add_u32_e32 v2, v1, v8
	v_ashrrev_i32_e32 v2, 4, v2
	v_cmp_gt_i32_e32 vcc, s40, v1
	s_nop 1
	v_cndmask_b32_e32 v2, v9, v2, vcc
	v_ashrrev_i32_e32 v3, 31, v2
	v_lshl_add_u64 v[14:15], v[2:3], 2, s[6:7]
	global_load_dword v2, v[4:5], off
	global_load_dword v10, v[6:7], off
	;; [unrolled: 1-line block ×4, first 2 shown]
	s_andn2_b64 vcc, exec, s[14:15]
	s_cbranch_vccnz .LBB53_8
; %bb.6:
	s_add_u32 s12, s12, s16
	s_addc_u32 s13, s13, s17
	s_load_dword s5, s[12:13], 0x0
	s_branch .LBB53_9
.LBB53_7:
	s_mov_b64 s[8:9], 0
	s_branch .LBB53_2
.LBB53_8:
	s_mov_b32 s5, s2
.LBB53_9:
	s_load_dwordx4 s[44:47], s[0:1], 0x48
	v_lshrrev_b32_e32 v54, 6, v0
	v_bfe_u32 v1, v0, 4, 2
	v_lshl_or_b32 v3, v54, 2, v1
	v_and_b32_e32 v55, 15, v0
	v_lshlrev_b32_e32 v4, 3, v55
	v_cmp_gt_u32_e32 vcc, 2, v3
	v_cmp_gt_u32_e64 s[30:31], 8, v55
	v_and_b32_e32 v52, 63, v0
	s_lshl_b32 s29, s4, 1
	s_and_b64 s[14:15], s[30:31], vcc
	v_lshlrev_b32_e32 v34, 1, v4
	s_and_saveexec_b64 s[12:13], s[14:15]
	s_cbranch_execz .LBB53_11
; %bb.10:
	s_load_dwordx2 s[14:15], s[0:1], 0x0
	s_waitcnt lgkmcnt(0)
	s_ashr_i32 s16, s44, 31
	s_mul_hi_u32 s17, s5, s44
	s_mul_i32 s16, s5, s16
	s_add_i32 s17, s17, s16
	s_mul_i32 s16, s5, s44
	s_lshl_b64 s[16:17], s[16:17], 1
	s_add_u32 s14, s14, s16
	v_add_lshl_u32 v4, v1, s29, 6
	s_addc_u32 s15, s15, s17
	v_ashrrev_i32_e32 v5, 31, v4
	v_lshl_add_u64 v[4:5], v[4:5], 1, s[14:15]
	v_mov_b32_e32 v35, 0
	v_lshl_add_u64 v[4:5], v[4:5], 0, v[34:35]
	global_load_dwordx4 v[4:7], v[4:5], off
	v_and_b32_e32 v11, 3, v0
	v_lshlrev_b32_e32 v12, 9, v55
	v_lshlrev_b32_e32 v3, 5, v3
	;; [unrolled: 1-line block ×3, first 2 shown]
	v_and_b32_e32 v12, 0x1800, v12
	v_or3_b32 v3, v12, v11, v3
	s_waitcnt vmcnt(0)
	ds_write_b128 v3, v[4:7]
.LBB53_11:
	s_or_b64 exec, exec, s[12:13]
	s_waitcnt lgkmcnt(0)
	s_mul_i32 s4, s4, s46
	s_mov_b32 s5, 0
	s_lshl_b64 s[4:5], s[4:5], 1
	s_add_u32 s8, s8, s4
	v_lshlrev_b32_e32 v53, 4, v0
	s_addc_u32 s9, s9, s5
	v_and_b32_e32 v6, 0xf0, v53
	v_mov_b32_e32 v7, 0
	v_lshl_add_u64 v[12:13], s[8:9], 0, v[6:7]
	s_waitcnt vmcnt(3)
	v_mad_i64_i32 v[2:3], s[8:9], v2, s45, 0
	v_lshl_add_u64 v[2:3], v[2:3], 1, v[12:13]
	v_and_b32_e32 v6, 0x300, v53
	v_and_b32_e32 v11, 1, v0
	s_waitcnt vmcnt(2)
	v_mad_i64_i32 v[20:21], s[8:9], v10, s45, 0
	s_waitcnt vmcnt(1)
	v_mad_i64_i32 v[24:25], s[8:9], v9, s45, 0
	v_lshl_add_u64 v[14:15], v[2:3], 0, v[6:7]
	s_waitcnt vmcnt(0)
	v_mad_i64_i32 v[26:27], s[8:9], v8, s45, 0
	v_lshlrev_b32_e32 v8, 5, v11
	v_lshl_add_u64 v[20:21], v[20:21], 1, v[12:13]
	v_lshl_add_u64 v[24:25], v[24:25], 1, v[12:13]
	s_load_dword s33, s[0:1], 0x98
	s_load_dword s12, s[0:1], 0x1c
	s_waitcnt lgkmcnt(0)
	s_barrier
	global_load_dwordx4 v[2:5], v[14:15], off
	v_lshl_or_b32 v8, v1, 9, v8
	v_lshl_add_u64 v[32:33], v[20:21], 0, v[6:7]
	v_lshl_add_u64 v[30:31], v[24:25], 0, v[6:7]
	ds_read_b128 v[16:19], v8
	ds_read_b128 v[8:11], v8 offset:2048
	global_load_dwordx4 v[20:23], v[32:33], off
	v_lshl_add_u64 v[12:13], v[26:27], 1, v[12:13]
	global_load_dwordx4 v[24:27], v[30:31], off
	v_lshl_add_u64 v[28:29], v[12:13], 0, v[6:7]
	global_load_dwordx4 v[12:15], v[14:15], off offset:1024
	s_nop 0
	global_load_dwordx4 v[40:43], v[28:29], off
	global_load_dwordx4 v[44:47], v[32:33], off offset:1024
	global_load_dwordx4 v[60:63], v[28:29], off offset:1024
	v_and_or_b32 v6, v0, 48, s18
	global_load_dwordx4 v[30:33], v[30:31], off offset:1024
	v_mov_b32_e32 v68, s19
	v_cmp_gt_i32_e32 vcc, s40, v6
	v_or_b32_e32 v28, 0x80, v6
	v_ashrrev_i32_e32 v29, 4, v28
	v_lshlrev_b32_e32 v35, 5, v55
	s_add_u32 s4, s10, s4
	s_addc_u32 s5, s11, s5
	s_mov_b32 s42, 0xff7fffff
	s_waitcnt vmcnt(3) lgkmcnt(1)
	v_mfma_f32_16x16x16_f16 v[64:67], v[40:41], v[16:17], 0
	v_mfma_f32_16x16x16_f16 v[36:39], v[2:3], v[16:17], 0
	v_ashrrev_i32_e32 v2, 4, v6
	v_mfma_f32_16x16x16_f16 v[48:51], v[20:21], v[16:17], 0
	v_or_b32_e32 v20, 64, v6
	v_ashrrev_i32_e32 v21, 4, v20
	v_or_b32_e32 v6, 0xc0, v6
	v_mfma_f32_16x16x16_f16 v[56:59], v[24:25], v[16:17], 0
	v_cndmask_b32_e32 v16, v68, v2, vcc
	v_ashrrev_i32_e32 v17, 31, v16
	v_lshl_add_u64 v[16:17], v[16:17], 2, s[6:7]
	v_mfma_f32_16x16x16_f16 v[2:5], v[4:5], v[18:19], v[36:39]
	v_cmp_gt_i32_e32 vcc, s40, v20
	s_nop 1
	global_load_dword v36, v[16:17], off
	v_cndmask_b32_e32 v24, v68, v21, vcc
	v_ashrrev_i32_e32 v25, 31, v24
	v_lshl_add_u64 v[16:17], v[24:25], 2, s[6:7]
	global_load_dword v37, v[16:17], off
	v_cmp_gt_i32_e32 vcc, s40, v28
	v_ashrrev_i32_e32 v38, 4, v6
	s_waitcnt lgkmcnt(0)
	v_mfma_f32_16x16x16_f16 v[2:5], v[12:13], v[8:9], v[2:5]
	v_cndmask_b32_e32 v12, v68, v29, vcc
	v_cmp_gt_i32_e32 vcc, s40, v6
	v_ashrrev_i32_e32 v13, 31, v12
	v_lshl_add_u64 v[12:13], v[12:13], 2, s[6:7]
	v_cndmask_b32_e32 v28, v68, v38, vcc
	v_ashrrev_i32_e32 v29, 31, v28
	v_mfma_f32_16x16x16_f16 v[24:27], v[26:27], v[18:19], v[56:59]
	v_lshl_add_u64 v[28:29], v[28:29], 2, s[6:7]
	s_nop 1
	global_load_dword v56, v[12:13], off
	global_load_dword v57, v[28:29], off
	v_lshl_or_b32 v6, v54, 9, v35
	v_mfma_f32_16x16x16_f16 v[20:23], v[22:23], v[18:19], v[48:51]
	v_lshl_add_u64 v[12:13], s[4:5], 0, v[6:7]
	v_mfma_f32_16x16x16_f16 v[16:19], v[42:43], v[18:19], v[64:67]
	s_waitcnt vmcnt(5)
	v_mfma_f32_16x16x16_f16 v[16:19], v[60:61], v[8:9], v[16:19]
	s_waitcnt vmcnt(4)
	v_mfma_f32_16x16x16_f16 v[24:27], v[30:31], v[8:9], v[24:27]
	v_mfma_f32_16x16x16_f16 v[28:31], v[14:15], v[10:11], v[2:5]
	;; [unrolled: 1-line block ×3, first 2 shown]
	s_waitcnt vmcnt(3)
	s_nop 0
	v_mad_i64_i32 v[2:3], s[4:5], v36, s45, 0
	v_lshl_add_u64 v[14:15], v[2:3], 1, v[12:13]
	global_load_dwordx4 v[6:9], v[14:15], off
	global_load_dwordx4 v[2:5], v[14:15], off offset:16
	v_mfma_f32_16x16x16_f16 v[14:17], v[62:63], v[10:11], v[16:19]
	s_waitcnt vmcnt(4)
	v_mad_i64_i32 v[36:37], s[4:5], v37, s45, 0
	v_lshl_add_u64 v[38:39], v[36:37], 1, v[12:13]
	v_mfma_f32_16x16x16_f16 v[20:23], v[46:47], v[10:11], v[20:23]
	v_pk_mul_f32 v[48:49], s[12:13], v[30:31] op_sel_hi:[0,1]
	s_nop 1
	v_pk_mul_f32 v[42:43], s[12:13], v[14:15] op_sel_hi:[0,1]
	v_and_b32_e32 v14, 0xc0, v0
	v_add_u32_e32 v14, s18, v14
	v_lshl_or_b32 v14, v1, 2, v14
	v_pk_mul_f32 v[36:37], s[12:13], v[16:17] op_sel_hi:[0,1]
	v_or_b32_e32 v17, 1, v14
	v_mfma_f32_16x16x16_f16 v[24:27], v[32:33], v[10:11], v[24:27]
	v_pk_mul_f32 v[10:11], s[12:13], v[28:29] op_sel_hi:[0,1]
	v_mov_b32_e32 v15, 0xff7fffff
	v_cmp_gt_i32_e64 s[4:5], s40, v14
	v_cmp_gt_i32_e64 s[34:35], s40, v17
	v_or_b32_e32 v18, 3, v14
	v_cndmask_b32_e64 v16, v15, v10, s[4:5]
	v_cndmask_b32_e64 v17, v15, v11, s[34:35]
	v_max3_f32 v16, v16, s42, v17
	v_or_b32_e32 v17, 2, v14
	v_cmp_gt_i32_e64 s[36:37], s40, v17
	v_cmp_gt_i32_e64 s[38:39], s40, v18
	v_pk_mul_f32 v[40:41], s[12:13], v[20:21] op_sel_hi:[0,1]
	v_cndmask_b32_e64 v17, v15, v48, s[36:37]
	v_cndmask_b32_e64 v18, v15, v49, s[38:39]
	v_max3_f32 v16, v16, v17, v18
	v_or_b32_e32 v17, 16, v14
	v_or_b32_e32 v18, 17, v14
	v_cmp_gt_i32_e64 s[24:25], s40, v17
	v_cmp_gt_i32_e64 s[26:27], s40, v18
	v_pk_mul_f32 v[50:51], s[12:13], v[22:23] op_sel_hi:[0,1]
	v_cndmask_b32_e64 v17, v15, v40, s[24:25]
	v_cndmask_b32_e64 v18, v15, v41, s[26:27]
	v_max3_f32 v16, v16, v17, v18
	v_or_b32_e32 v17, 18, v14
	;; [unrolled: 8-line block ×4, first 2 shown]
	v_or_b32_e32 v18, 35, v14
	v_cmp_gt_i32_e64 s[12:13], s40, v17
	v_cmp_gt_i32_e64 s[14:15], s40, v18
	global_load_dwordx4 v[30:33], v[38:39], off
	global_load_dwordx4 v[26:29], v[38:39], off offset:16
	v_cndmask_b32_e64 v17, v15, v44, s[12:13]
	v_cndmask_b32_e64 v18, v15, v45, s[14:15]
	v_max3_f32 v16, v16, v17, v18
	v_or_b32_e32 v17, 48, v14
	v_or_b32_e32 v18, 49, v14
	v_cmp_gt_i32_e64 s[8:9], s40, v17
	v_cmp_gt_i32_e64 s[10:11], s40, v18
	s_nop 0
	v_cndmask_b32_e64 v17, v15, v42, s[8:9]
	v_cndmask_b32_e64 v18, v15, v43, s[10:11]
	v_max3_f32 v16, v16, v17, v18
	v_or_b32_e32 v17, 50, v14
	v_or_b32_e32 v14, 51, v14
	v_cmp_gt_i32_e32 vcc, s40, v17
	v_cmp_gt_i32_e64 s[6:7], s40, v14
	s_nop 0
	v_cndmask_b32_e32 v17, v15, v36, vcc
	v_cndmask_b32_e64 v14, v15, v37, s[6:7]
	v_max3_f32 v16, v16, v17, v14
	v_mbcnt_lo_u32_b32 v14, -1, 0
	v_mbcnt_hi_u32_b32 v17, -1, v14
	v_and_b32_e32 v14, 64, v17
	v_add_u32_e32 v18, 64, v14
	v_xor_b32_e32 v14, 32, v17
	v_cmp_lt_i32_e64 s[40:41], v14, v18
	s_nop 1
	v_cndmask_b32_e64 v14, v17, v14, s[40:41]
	v_lshlrev_b32_e32 v58, 2, v14
	ds_bpermute_b32 v19, v58, v16
	s_waitcnt vmcnt(5)
	v_mad_i64_i32 v[14:15], s[40:41], v56, s45, 0
	v_lshl_add_u64 v[14:15], v[14:15], 1, v[12:13]
	s_waitcnt lgkmcnt(0)
	v_max_f32_e32 v19, v19, v19
	v_max_f32_e32 v16, v16, v19
	v_xor_b32_e32 v19, 16, v17
	v_cmp_lt_i32_e64 s[40:41], v19, v18
	s_nop 1
	v_cndmask_b32_e64 v17, v17, v19, s[40:41]
	v_lshlrev_b32_e32 v59, 2, v17
	ds_bpermute_b32 v17, v59, v16
	global_load_dwordx4 v[22:25], v[14:15], off
	global_load_dwordx4 v[18:21], v[14:15], off offset:16
	s_waitcnt vmcnt(6)
	v_mad_i64_i32 v[14:15], s[40:41], v57, s45, 0
	v_lshl_add_u64 v[12:13], v[14:15], 1, v[12:13]
	s_waitcnt lgkmcnt(0)
	v_max_f32_e32 v14, v17, v17
	v_max_f32_e32 v56, v16, v14
	v_sub_f32_e32 v10, v10, v56
	v_mul_f32_e32 v10, 0x3fb8aa3b, v10
	v_exp_f32_e32 v38, v10
	v_sub_f32_e32 v10, v11, v56
	v_mul_f32_e32 v10, 0x3fb8aa3b, v10
	v_exp_f32_e32 v39, v10
	global_load_dwordx4 v[14:17], v[12:13], off
	s_nop 0
	global_load_dwordx4 v[10:13], v[12:13], off offset:16
	v_sub_f32_e32 v48, v48, v56
	v_mul_f32_e32 v48, 0x3fb8aa3b, v48
	v_sub_f32_e32 v49, v49, v56
	v_exp_f32_e32 v48, v48
	v_mul_f32_e32 v49, 0x3fb8aa3b, v49
	v_sub_f32_e32 v40, v40, v56
	v_exp_f32_e32 v49, v49
	v_mul_f32_e32 v40, 0x3fb8aa3b, v40
	v_sub_f32_e32 v41, v41, v56
	v_cndmask_b32_e64 v38, 0, v38, s[4:5]
	v_exp_f32_e32 v40, v40
	v_mul_f32_e32 v41, 0x3fb8aa3b, v41
	v_sub_f32_e32 v50, v50, v56
	v_add_f32_e32 v57, 0, v38
	v_cndmask_b32_e64 v39, 0, v39, s[34:35]
	v_exp_f32_e32 v41, v41
	v_mul_f32_e32 v50, 0x3fb8aa3b, v50
	v_sub_f32_e32 v51, v51, v56
	v_add_f32_e32 v57, v57, v39
	;; [unrolled: 5-line block ×10, first 2 shown]
	v_cndmask_b32_e64 v44, 0, v44, s[12:13]
	v_exp_f32_e32 v36, v36
	v_mul_f32_e32 v37, 0x3fb8aa3b, v37
	v_add_f32_e32 v57, v57, v44
	v_cndmask_b32_e64 v45, 0, v45, s[14:15]
	v_exp_f32_e32 v37, v37
	v_add_f32_e32 v57, v57, v45
	v_cndmask_b32_e64 v42, 0, v42, s[8:9]
	v_add_f32_e32 v57, v57, v42
	v_cndmask_b32_e64 v43, 0, v43, s[10:11]
	v_add_f32_e32 v57, v57, v43
	v_cndmask_b32_e32 v36, 0, v36, vcc
	v_add_f32_e32 v57, v57, v36
	v_cndmask_b32_e64 v37, 0, v37, s[6:7]
	v_add_f32_e32 v57, v57, v37
	ds_bpermute_b32 v58, v58, v57
	v_cmp_gt_u32_e32 vcc, 16, v52
	s_waitcnt lgkmcnt(0)
	s_barrier
	v_add_f32_e32 v58, v57, v58
	ds_bpermute_b32 v59, v59, v58
	v_lshlrev_b32_e32 v57, 2, v55
	s_and_saveexec_b64 s[4:5], vcc
	s_cbranch_execz .LBB53_13
; %bb.12:
	s_waitcnt lgkmcnt(0)
	v_add_f32_e32 v55, v58, v59
	v_lshl_or_b32 v58, v54, 6, v57
	ds_write2st64_b32 v58, v56, v55 offset1:1
.LBB53_13:
	s_or_b64 exec, exec, s[4:5]
	s_load_dword s6, s[0:1], 0x94
	s_waitcnt lgkmcnt(0)
	s_barrier
	ds_read2_b32 v[58:59], v57 offset1:16
	ds_read2_b32 v[60:61], v57 offset0:32 offset1:48
	ds_read2_b32 v[62:63], v57 offset0:64 offset1:80
	s_lshl_b32 s7, s33, 1
	s_waitcnt lgkmcnt(2)
	v_max3_f32 v55, v58, s42, v59
	s_waitcnt lgkmcnt(1)
	v_max3_f32 v55, v55, v60, v61
	v_sub_f32_e32 v56, v58, v55
	v_mul_f32_e32 v56, 0x3fb8aa3b, v56
	v_exp_f32_e32 v64, v56
	v_sub_f32_e32 v56, v59, v55
	v_mul_f32_e32 v56, 0x3fb8aa3b, v56
	v_exp_f32_e32 v65, v56
	;; [unrolled: 3-line block ×3, first 2 shown]
	ds_read2_b32 v[58:59], v57 offset0:96 offset1:112
	v_sub_f32_e32 v56, v61, v55
	v_mul_f32_e32 v56, 0x3fb8aa3b, v56
	v_exp_f32_e32 v57, v56
	s_waitcnt lgkmcnt(1)
	v_fma_f32 v56, v64, v62, 0
	v_fmac_f32_e32 v56, v65, v63
	s_waitcnt lgkmcnt(0)
	v_fmac_f32_e32 v56, v60, v58
	v_fmac_f32_e32 v56, v57, v59
	v_add_f32_e32 v58, 0x358637bd, v56
	v_div_scale_f32 v59, s[4:5], v58, v58, 1.0
	v_rcp_f32_e32 v61, v59
	s_barrier
	v_fma_f32 v62, -v59, v61, 1.0
	v_fmac_f32_e32 v61, v62, v61
	v_div_scale_f32 v62, vcc, 1.0, v58, 1.0
	v_mul_f32_e32 v63, v62, v61
	v_fma_f32 v66, -v59, v63, v62
	v_fmac_f32_e32 v63, v66, v61
	v_fma_f32 v59, -v59, v63, v62
	v_div_fmas_f32 v59, v59, v61, v63
	v_cmp_eq_u32_e32 vcc, 1, v54
	v_div_fixup_f32 v58, v59, v58, 1.0
	s_nop 0
	v_cndmask_b32_e32 v59, v64, v65, vcc
	v_cmp_eq_u32_e32 vcc, 2, v54
	s_nop 1
	v_cndmask_b32_e32 v59, v59, v60, vcc
	v_cmp_eq_u32_e32 vcc, 3, v54
	s_nop 1
	v_cndmask_b32_e32 v57, v59, v57, vcc
	v_mul_f32_e32 v58, v57, v58
	v_pk_mul_f32 v[38:39], v[58:59], v[38:39] op_sel_hi:[0,1]
	v_cvt_f16_f32_e32 v38, v38
	v_cvt_f16_f32_e32 v39, v39
	v_pk_mul_f32 v[48:49], v[58:59], v[48:49] op_sel_hi:[0,1]
	v_cvt_f16_f32_e32 v57, v48
	v_cvt_f16_f32_e32 v49, v49
	v_pack_b32_f16 v48, v38, v39
	v_pk_mul_f32 v[38:39], v[58:59], v[50:51] op_sel_hi:[0,1]
	v_pk_mul_f32 v[40:41], v[58:59], v[40:41] op_sel_hi:[0,1]
	v_cvt_f16_f32_e32 v40, v40
	v_cvt_f16_f32_e32 v41, v41
	v_cvt_f16_f32_e32 v50, v38
	v_cvt_f16_f32_e32 v39, v39
	v_pack_b32_f16 v49, v57, v49
	v_lshlrev_b32_e32 v57, 3, v1
	v_lshlrev_b32_e32 v38, 11, v54
	v_or3_b32 v38, v38, v35, v57
	v_pack_b32_f16 v40, v40, v41
	v_pack_b32_f16 v41, v50, v39
	ds_write2st64_b64 v38, v[48:49], v[40:41] offset1:1
	v_pk_mul_f32 v[40:41], v[58:59], v[44:45] op_sel_hi:[0,1]
	v_pk_mul_f32 v[44:45], v[58:59], v[46:47] op_sel_hi:[0,1]
	v_cvt_f16_f32_e32 v39, v44
	v_cvt_f16_f32_e32 v44, v45
	;; [unrolled: 1-line block ×4, first 2 shown]
	v_pk_mul_f32 v[36:37], v[58:59], v[36:37] op_sel_hi:[0,1]
	v_pk_mul_f32 v[40:41], v[58:59], v[42:43] op_sel_hi:[0,1]
	v_cvt_f16_f32_e32 v40, v40
	v_cvt_f16_f32_e32 v41, v41
	;; [unrolled: 1-line block ×4, first 2 shown]
	v_pack_b32_f16 v36, v39, v44
	v_pack_b32_f16 v37, v45, v46
	;; [unrolled: 1-line block ×4, first 2 shown]
	v_cmp_gt_u32_e32 vcc, 2, v0
	ds_write2st64_b64 v38, v[36:37], v[40:41] offset0:2 offset1:3
	s_and_saveexec_b64 s[4:5], vcc
	s_cbranch_execz .LBB53_15
; %bb.14:
	v_or_b32_e32 v36, s29, v0
	v_mov_b32_e32 v37, 0
	v_mov_b32_e32 v39, s7
	v_mad_u64_u32 v[40:41], s[12:13], s2, v39, v[36:37]
	v_mov_b32_e32 v36, s28
	s_load_dwordx4 s[8:11], s[0:1], 0x58
	s_mul_i32 s3, s3, s7
	v_mad_u64_u32 v[36:37], s[12:13], v40, s6, v[36:37]
	v_add_u32_e32 v39, s3, v41
	v_mov_b32_e32 v40, v37
	v_mad_u64_u32 v[40:41], s[12:13], v39, s6, v[40:41]
	v_mov_b32_e32 v37, v40
	v_lshlrev_b64 v[36:37], 2, v[36:37]
	s_waitcnt lgkmcnt(0)
	v_lshl_add_u64 v[40:41], s[10:11], 0, v[36:37]
	v_lshl_add_u64 v[36:37], s[8:9], 0, v[36:37]
	global_store_dword v[40:41], v55, off
	global_store_dword v[36:37], v56, off
.LBB53_15:
	s_or_b64 exec, exec, s[4:5]
	v_lshl_or_b32 v35, v1, 9, v35
	s_waitcnt lgkmcnt(0)
	s_barrier
	ds_read_b128 v[40:43], v35
	ds_read_b128 v[44:47], v35 offset:16
	s_waitcnt vmcnt(7) lgkmcnt(1)
	v_mfma_f32_16x16x16_f16 v[48:51], v[6:7], v[40:41], 0
	v_cmp_gt_u32_e32 vcc, 64, v0
	v_cmp_gt_u32_e64 s[4:5], 32, v52
	s_and_b64 s[4:5], s[4:5], vcc
	v_mfma_f32_16x16x16_f16 v[6:9], v[8:9], v[42:43], v[48:51]
	s_mov_b32 s3, 0
	s_and_b64 s[4:5], s[4:5], s[30:31]
	s_waitcnt vmcnt(6) lgkmcnt(0)
	v_mfma_f32_16x16x16_f16 v[6:9], v[2:3], v[44:45], v[6:9]
	v_mfma_f32_16x16x16_f16 v[2:5], v[4:5], v[46:47], v[6:9]
	s_nop 5
	ds_read_b128 v[6:9], v35 offset:2048
	ds_read_b128 v[40:43], v35 offset:2064
	s_waitcnt vmcnt(5) lgkmcnt(1)
	v_mfma_f32_16x16x16_f16 v[2:5], v[30:31], v[6:7], v[2:5]
	v_mfma_f32_16x16x16_f16 v[2:5], v[32:33], v[8:9], v[2:5]
	s_waitcnt vmcnt(4) lgkmcnt(0)
	v_mfma_f32_16x16x16_f16 v[2:5], v[26:27], v[40:41], v[2:5]
	v_mfma_f32_16x16x16_f16 v[2:5], v[28:29], v[42:43], v[2:5]
	ds_read_b128 v[6:9], v35 offset:4096
	ds_read_b128 v[26:29], v35 offset:4112
	s_waitcnt vmcnt(3) lgkmcnt(1)
	v_mfma_f32_16x16x16_f16 v[2:5], v[22:23], v[6:7], v[2:5]
	v_mfma_f32_16x16x16_f16 v[2:5], v[24:25], v[8:9], v[2:5]
	s_waitcnt vmcnt(2) lgkmcnt(0)
	v_mfma_f32_16x16x16_f16 v[2:5], v[18:19], v[26:27], v[2:5]
	v_mfma_f32_16x16x16_f16 v[2:5], v[20:21], v[28:29], v[2:5]
	ds_read_b128 v[6:9], v35 offset:6144
	ds_read_b128 v[18:21], v35 offset:6160
	v_mov_b32_e32 v35, 0
	s_waitcnt vmcnt(1) lgkmcnt(0)
	v_mfma_f32_16x16x16_f16 v[2:5], v[14:15], v[6:7], v[2:5]
	s_barrier
	v_mfma_f32_16x16x16_f16 v[2:5], v[16:17], v[8:9], v[2:5]
	s_waitcnt vmcnt(0)
	v_mfma_f32_16x16x16_f16 v[2:5], v[10:11], v[18:19], v[2:5]
	v_mfma_f32_16x16x16_f16 v[2:5], v[12:13], v[20:21], v[2:5]
	s_nop 6
	v_cvt_f16_f32_e32 v2, v2
	v_cvt_f16_f32_e32 v3, v3
	;; [unrolled: 1-line block ×4, first 2 shown]
	v_pack_b32_f16 v2, v2, v3
	v_pack_b32_f16 v3, v4, v5
	ds_write_b64 v38, v[2:3]
	s_waitcnt lgkmcnt(0)
	s_barrier
	s_and_saveexec_b64 s[8:9], s[4:5]
	s_cbranch_execz .LBB53_17
; %bb.16:
	s_load_dwordx2 s[0:1], s[0:1], 0x68
	s_mul_i32 s2, s7, s2
	s_lshl_b32 s6, s6, 6
	s_mul_hi_u32 s5, s2, s6
	s_mul_i32 s4, s2, s6
	v_lshlrev_b32_e32 v0, 10, v0
	s_lshl_b64 s[4:5], s[4:5], 1
	v_and_b32_e32 v0, 0x1800, v0
	v_lshlrev_b32_e32 v2, 5, v1
	v_and_b32_e32 v3, 16, v53
	s_waitcnt lgkmcnt(0)
	s_add_u32 s4, s0, s4
	v_or3_b32 v0, v0, v2, v3
	s_addc_u32 s5, s1, s5
	s_lshl_b32 s2, s28, 6
	ds_read_b128 v[2:5], v0
	s_lshl_b64 s[0:1], s[2:3], 1
	s_add_u32 s0, s4, s0
	v_or_b32_e32 v0, s29, v1
	s_addc_u32 s1, s5, s1
	v_mad_u64_u32 v[0:1], s[2:3], s6, v0, 0
	v_lshl_add_u64 v[0:1], v[0:1], 1, s[0:1]
	v_lshl_add_u64 v[0:1], v[0:1], 0, v[34:35]
	s_waitcnt lgkmcnt(0)
	global_store_dwordx4 v[0:1], v[2:5], off
.LBB53_17:
	s_endpgm
	.section	.rodata,"a",@progbits
	.p2align	6, 0x0
	.amdhsa_kernel _Z39paged_attention_ll4mi_QKV_mfma16_kernelIDF16_DF16_LN4vllm18Fp8KVCacheDataTypeE0EhLi16ELi64ELi256ELb0ELi2EEvPKT_PKT0_S7_ifPKiS9_S9_iPKfiiiPfSC_PS2_PT2_iSB_SB_
		.amdhsa_group_segment_fixed_size 8192
		.amdhsa_private_segment_fixed_size 0
		.amdhsa_kernarg_size 400
		.amdhsa_user_sgpr_count 2
		.amdhsa_user_sgpr_dispatch_ptr 0
		.amdhsa_user_sgpr_queue_ptr 0
		.amdhsa_user_sgpr_kernarg_segment_ptr 1
		.amdhsa_user_sgpr_dispatch_id 0
		.amdhsa_user_sgpr_kernarg_preload_length 0
		.amdhsa_user_sgpr_kernarg_preload_offset 0
		.amdhsa_user_sgpr_private_segment_size 0
		.amdhsa_uses_dynamic_stack 0
		.amdhsa_enable_private_segment 0
		.amdhsa_system_sgpr_workgroup_id_x 1
		.amdhsa_system_sgpr_workgroup_id_y 1
		.amdhsa_system_sgpr_workgroup_id_z 1
		.amdhsa_system_sgpr_workgroup_info 0
		.amdhsa_system_vgpr_workitem_id 0
		.amdhsa_next_free_vgpr 69
		.amdhsa_next_free_sgpr 48
		.amdhsa_accum_offset 72
		.amdhsa_reserve_vcc 1
		.amdhsa_float_round_mode_32 0
		.amdhsa_float_round_mode_16_64 0
		.amdhsa_float_denorm_mode_32 3
		.amdhsa_float_denorm_mode_16_64 3
		.amdhsa_dx10_clamp 1
		.amdhsa_ieee_mode 1
		.amdhsa_fp16_overflow 0
		.amdhsa_tg_split 0
		.amdhsa_exception_fp_ieee_invalid_op 0
		.amdhsa_exception_fp_denorm_src 0
		.amdhsa_exception_fp_ieee_div_zero 0
		.amdhsa_exception_fp_ieee_overflow 0
		.amdhsa_exception_fp_ieee_underflow 0
		.amdhsa_exception_fp_ieee_inexact 0
		.amdhsa_exception_int_div_zero 0
	.end_amdhsa_kernel
	.section	.text._Z39paged_attention_ll4mi_QKV_mfma16_kernelIDF16_DF16_LN4vllm18Fp8KVCacheDataTypeE0EhLi16ELi64ELi256ELb0ELi2EEvPKT_PKT0_S7_ifPKiS9_S9_iPKfiiiPfSC_PS2_PT2_iSB_SB_,"axG",@progbits,_Z39paged_attention_ll4mi_QKV_mfma16_kernelIDF16_DF16_LN4vllm18Fp8KVCacheDataTypeE0EhLi16ELi64ELi256ELb0ELi2EEvPKT_PKT0_S7_ifPKiS9_S9_iPKfiiiPfSC_PS2_PT2_iSB_SB_,comdat
.Lfunc_end53:
	.size	_Z39paged_attention_ll4mi_QKV_mfma16_kernelIDF16_DF16_LN4vllm18Fp8KVCacheDataTypeE0EhLi16ELi64ELi256ELb0ELi2EEvPKT_PKT0_S7_ifPKiS9_S9_iPKfiiiPfSC_PS2_PT2_iSB_SB_, .Lfunc_end53-_Z39paged_attention_ll4mi_QKV_mfma16_kernelIDF16_DF16_LN4vllm18Fp8KVCacheDataTypeE0EhLi16ELi64ELi256ELb0ELi2EEvPKT_PKT0_S7_ifPKiS9_S9_iPKfiiiPfSC_PS2_PT2_iSB_SB_
                                        ; -- End function
	.section	.AMDGPU.csdata,"",@progbits
; Kernel info:
; codeLenInByte = 3700
; NumSgprs: 54
; NumVgprs: 69
; NumAgprs: 0
; TotalNumVgprs: 69
; ScratchSize: 0
; MemoryBound: 0
; FloatMode: 240
; IeeeMode: 1
; LDSByteSize: 8192 bytes/workgroup (compile time only)
; SGPRBlocks: 6
; VGPRBlocks: 8
; NumSGPRsForWavesPerEU: 54
; NumVGPRsForWavesPerEU: 69
; AccumOffset: 72
; Occupancy: 7
; WaveLimiterHint : 1
; COMPUTE_PGM_RSRC2:SCRATCH_EN: 0
; COMPUTE_PGM_RSRC2:USER_SGPR: 2
; COMPUTE_PGM_RSRC2:TRAP_HANDLER: 0
; COMPUTE_PGM_RSRC2:TGID_X_EN: 1
; COMPUTE_PGM_RSRC2:TGID_Y_EN: 1
; COMPUTE_PGM_RSRC2:TGID_Z_EN: 1
; COMPUTE_PGM_RSRC2:TIDIG_COMP_CNT: 0
; COMPUTE_PGM_RSRC3_GFX90A:ACCUM_OFFSET: 17
; COMPUTE_PGM_RSRC3_GFX90A:TG_SPLIT: 0
	.section	.text._Z39paged_attention_ll4mi_QKV_mfma16_kernelIDF16_DF16_LN4vllm18Fp8KVCacheDataTypeE0EhLi16ELi64ELi256ELb0ELi3EEvPKT_PKT0_S7_ifPKiS9_S9_iPKfiiiPfSC_PS2_PT2_iSB_SB_,"axG",@progbits,_Z39paged_attention_ll4mi_QKV_mfma16_kernelIDF16_DF16_LN4vllm18Fp8KVCacheDataTypeE0EhLi16ELi64ELi256ELb0ELi3EEvPKT_PKT0_S7_ifPKiS9_S9_iPKfiiiPfSC_PS2_PT2_iSB_SB_,comdat
	.protected	_Z39paged_attention_ll4mi_QKV_mfma16_kernelIDF16_DF16_LN4vllm18Fp8KVCacheDataTypeE0EhLi16ELi64ELi256ELb0ELi3EEvPKT_PKT0_S7_ifPKiS9_S9_iPKfiiiPfSC_PS2_PT2_iSB_SB_ ; -- Begin function _Z39paged_attention_ll4mi_QKV_mfma16_kernelIDF16_DF16_LN4vllm18Fp8KVCacheDataTypeE0EhLi16ELi64ELi256ELb0ELi3EEvPKT_PKT0_S7_ifPKiS9_S9_iPKfiiiPfSC_PS2_PT2_iSB_SB_
	.globl	_Z39paged_attention_ll4mi_QKV_mfma16_kernelIDF16_DF16_LN4vllm18Fp8KVCacheDataTypeE0EhLi16ELi64ELi256ELb0ELi3EEvPKT_PKT0_S7_ifPKiS9_S9_iPKfiiiPfSC_PS2_PT2_iSB_SB_
	.p2align	8
	.type	_Z39paged_attention_ll4mi_QKV_mfma16_kernelIDF16_DF16_LN4vllm18Fp8KVCacheDataTypeE0EhLi16ELi64ELi256ELb0ELi3EEvPKT_PKT0_S7_ifPKiS9_S9_iPKfiiiPfSC_PS2_PT2_iSB_SB_,@function
_Z39paged_attention_ll4mi_QKV_mfma16_kernelIDF16_DF16_LN4vllm18Fp8KVCacheDataTypeE0EhLi16ELi64ELi256ELb0ELi3EEvPKT_PKT0_S7_ifPKiS9_S9_iPKfiiiPfSC_PS2_PT2_iSB_SB_: ; @_Z39paged_attention_ll4mi_QKV_mfma16_kernelIDF16_DF16_LN4vllm18Fp8KVCacheDataTypeE0EhLi16ELi64ELi256ELb0ELi3EEvPKT_PKT0_S7_ifPKiS9_S9_iPKfiiiPfSC_PS2_PT2_iSB_SB_
; %bb.0:
	s_load_dwordx2 s[12:13], s[0:1], 0x30
	s_mov_b32 s28, s3
	s_mov_b64 s[6:7], 0
	s_waitcnt lgkmcnt(0)
	s_cmp_lg_u64 s[12:13], 0
	s_cselect_b64 s[14:15], -1, 0
	s_and_b64 vcc, exec, s[14:15]
	s_cbranch_vccz .LBB54_7
; %bb.1:
	s_add_i32 s8, s2, 1
	s_mov_b32 s9, 0
	s_lshl_b64 s[10:11], s[8:9], 2
	s_add_u32 s10, s12, s10
	s_mov_b32 s3, s9
	s_addc_u32 s11, s13, s11
	s_lshl_b64 s[8:9], s[2:3], 2
	s_add_u32 s8, s12, s8
	s_addc_u32 s9, s13, s9
	s_load_dword s5, s[10:11], 0x0
	s_load_dword s16, s[8:9], 0x0
	s_waitcnt lgkmcnt(0)
	s_sub_i32 s5, s5, s16
	s_cmp_eq_u32 s5, 1
	s_cselect_b64 s[8:9], -1, 0
	s_andn2_b64 vcc, exec, s[6:7]
	s_cbranch_vccnz .LBB54_3
.LBB54_2:
	s_mov_b32 s3, 0
	s_mov_b64 s[8:9], -1
.LBB54_3:
	s_andn2_b64 vcc, exec, s[8:9]
	s_cbranch_vccnz .LBB54_17
; %bb.4:
	s_load_dwordx2 s[6:7], s[0:1], 0x28
	s_lshl_b64 s[16:17], s[2:3], 2
	s_waitcnt lgkmcnt(0)
	s_add_u32 s6, s6, s16
	s_addc_u32 s7, s7, s17
	s_load_dword s33, s[6:7], 0x0
	s_lshl_b32 s18, s28, 8
	s_waitcnt lgkmcnt(0)
	s_cmp_ge_i32 s18, s33
	s_cbranch_scc1 .LBB54_17
; %bb.5:
	s_load_dwordx2 s[6:7], s[0:1], 0x20
	s_load_dword s5, s[0:1], 0x38
	s_add_i32 s8, s33, 15
	s_ashr_i32 s9, s8, 31
	v_and_b32_e32 v1, 0xcf, v0
	s_lshr_b32 s9, s9, 28
	v_add_u32_e32 v1, s18, v1
	s_add_i32 s8, s8, s9
	v_ashrrev_i32_e32 v2, 31, v1
	s_ashr_i32 s19, s8, 4
	v_lshrrev_b32_e32 v10, 28, v2
	s_add_i32 s19, s19, -1
	s_waitcnt lgkmcnt(0)
	s_mul_i32 s8, s2, s5
	s_mov_b32 s9, 0
	v_add_u32_e32 v2, v1, v10
	s_lshl_b64 s[8:9], s[8:9], 2
	v_ashrrev_i32_e32 v2, 4, v2
	v_mov_b32_e32 v11, s19
	v_cmp_gt_i32_e32 vcc, s33, v1
	s_add_u32 s6, s6, s8
	s_addc_u32 s7, s7, s9
	v_cndmask_b32_e32 v2, v11, v2, vcc
	v_ashrrev_i32_e32 v3, 31, v2
	v_lshl_add_u64 v[4:5], v[2:3], 2, s[6:7]
	v_or_b32_e32 v2, 16, v1
	v_add_u32_e32 v3, v2, v10
	v_ashrrev_i32_e32 v3, 4, v3
	v_cmp_gt_i32_e32 vcc, s33, v2
	s_load_dwordx4 s[8:11], s[0:1], 0x8
	s_nop 0
	v_cndmask_b32_e32 v2, v11, v3, vcc
	v_ashrrev_i32_e32 v3, 31, v2
	v_lshl_add_u64 v[6:7], v[2:3], 2, s[6:7]
	v_or_b32_e32 v2, 32, v1
	v_add_u32_e32 v3, v2, v10
	v_ashrrev_i32_e32 v3, 4, v3
	v_cmp_gt_i32_e32 vcc, s33, v2
	v_or_b32_e32 v1, 48, v1
	s_nop 0
	v_cndmask_b32_e32 v2, v11, v3, vcc
	v_ashrrev_i32_e32 v3, 31, v2
	v_lshl_add_u64 v[8:9], v[2:3], 2, s[6:7]
	v_add_u32_e32 v2, v1, v10
	v_ashrrev_i32_e32 v2, 4, v2
	v_cmp_gt_i32_e32 vcc, s33, v1
	s_nop 1
	v_cndmask_b32_e32 v2, v11, v2, vcc
	v_ashrrev_i32_e32 v3, 31, v2
	v_lshl_add_u64 v[12:13], v[2:3], 2, s[6:7]
	global_load_dword v3, v[4:5], off
	global_load_dword v2, v[6:7], off
	;; [unrolled: 1-line block ×4, first 2 shown]
	s_andn2_b64 vcc, exec, s[14:15]
	s_cbranch_vccnz .LBB54_8
; %bb.6:
	s_add_u32 s12, s12, s16
	s_addc_u32 s13, s13, s17
	s_load_dword s5, s[12:13], 0x0
	s_branch .LBB54_9
.LBB54_7:
	s_mov_b64 s[8:9], 0
	s_branch .LBB54_2
.LBB54_8:
	s_mov_b32 s5, s2
.LBB54_9:
	s_load_dwordx4 s[44:47], s[0:1], 0x48
	v_lshrrev_b32_e32 v37, 6, v0
	v_bfe_u32 v54, v0, 4, 2
	v_lshl_or_b32 v4, v37, 2, v54
	v_and_b32_e32 v36, 15, v0
	s_mul_i32 s42, s4, 3
	v_lshlrev_b32_e32 v5, 3, v36
	v_cmp_gt_u32_e32 vcc, 3, v4
	v_cmp_gt_u32_e64 s[30:31], 8, v36
	v_and_b32_e32 v56, 63, v0
	v_add_u32_e32 v1, s42, v54
	s_and_b64 s[14:15], s[30:31], vcc
	v_lshlrev_b32_e32 v34, 1, v5
	s_and_saveexec_b64 s[12:13], s[14:15]
	s_cbranch_execz .LBB54_11
; %bb.10:
	s_load_dwordx2 s[14:15], s[0:1], 0x0
	s_waitcnt lgkmcnt(0)
	s_ashr_i32 s16, s44, 31
	s_mul_hi_u32 s17, s5, s44
	s_mul_i32 s16, s5, s16
	s_add_i32 s17, s17, s16
	s_mul_i32 s16, s5, s44
	s_lshl_b64 s[16:17], s[16:17], 1
	s_add_u32 s14, s14, s16
	v_lshlrev_b32_e32 v6, 6, v1
	s_addc_u32 s15, s15, s17
	v_ashrrev_i32_e32 v7, 31, v6
	v_lshl_add_u64 v[6:7], v[6:7], 1, s[14:15]
	v_mov_b32_e32 v35, 0
	v_lshl_add_u64 v[6:7], v[6:7], 0, v[34:35]
	global_load_dwordx4 v[6:9], v[6:7], off
	v_and_b32_e32 v5, 3, v0
	v_lshlrev_b32_e32 v11, 9, v36
	v_lshlrev_b32_e32 v4, 5, v4
	v_lshlrev_b32_e32 v5, 9, v5
	v_and_b32_e32 v11, 0x1800, v11
	v_or3_b32 v4, v11, v5, v4
	s_waitcnt vmcnt(0)
	ds_write_b128 v4, v[6:9]
.LBB54_11:
	s_or_b64 exec, exec, s[12:13]
	s_waitcnt lgkmcnt(0)
	s_mul_i32 s4, s4, s46
	s_mov_b32 s5, 0
	s_lshl_b64 s[4:5], s[4:5], 1
	s_add_u32 s8, s8, s4
	v_lshlrev_b32_e32 v55, 4, v0
	s_addc_u32 s9, s9, s5
	v_and_b32_e32 v30, 0xf0, v55
	v_mov_b32_e32 v31, 0
	v_lshl_add_u64 v[18:19], s[8:9], 0, v[30:31]
	s_waitcnt vmcnt(3)
	v_mad_i64_i32 v[4:5], s[8:9], v3, s45, 0
	v_lshl_add_u64 v[4:5], v[4:5], 1, v[18:19]
	v_and_b32_e32 v30, 0x300, v55
	s_waitcnt vmcnt(2)
	v_mad_i64_i32 v[2:3], s[8:9], v2, s45, 0
	v_lshl_add_u64 v[14:15], v[4:5], 0, v[30:31]
	v_lshl_add_u64 v[2:3], v[2:3], 1, v[18:19]
	s_load_dword s29, s[0:1], 0x98
	s_load_dword s12, s[0:1], 0x1c
	s_waitcnt lgkmcnt(0)
	s_barrier
	global_load_dwordx4 v[6:9], v[14:15], off
	global_load_dwordx4 v[26:29], v[14:15], off offset:1024
	v_lshl_add_u64 v[32:33], v[2:3], 0, v[30:31]
	global_load_dwordx4 v[2:5], v[32:33], off
	global_load_dwordx4 v[46:49], v[32:33], off offset:1024
	s_waitcnt vmcnt(5)
	v_mad_i64_i32 v[10:11], s[8:9], v10, s45, 0
	v_lshl_add_u64 v[10:11], v[10:11], 1, v[18:19]
	v_lshl_add_u64 v[38:39], v[10:11], 0, v[30:31]
	global_load_dwordx4 v[10:13], v[38:39], off
	global_load_dwordx4 v[58:61], v[38:39], off offset:1024
	s_waitcnt vmcnt(6)
	v_mad_i64_i32 v[16:17], s[8:9], v16, s45, 0
	v_lshl_add_u64 v[16:17], v[16:17], 1, v[18:19]
	v_lshl_add_u64 v[40:41], v[16:17], 0, v[30:31]
	global_load_dwordx4 v[18:21], v[40:41], off
	v_mul_lo_u16_e32 v16, 0x56, v36
	v_mov_b32_e32 v17, 3
	v_mul_lo_u16_sdwa v16, v16, v17 dst_sel:DWORD dst_unused:UNUSED_PAD src0_sel:BYTE_1 src1_sel:DWORD
	v_mov_b32_e32 v22, 5
	v_sub_u16_e32 v16, v36, v16
	v_lshlrev_b32_sdwa v16, v22, v16 dst_sel:DWORD dst_unused:UNUSED_PAD src0_sel:DWORD src1_sel:BYTE_0
	v_lshl_add_u32 v16, v54, 9, v16
	ds_read_b128 v[22:25], v16
	global_load_dwordx4 v[38:41], v[40:41], off offset:1024
	v_and_or_b32 v30, v0, 48, s18
	v_mov_b32_e32 v57, s19
	v_cmp_gt_i32_e32 vcc, s33, v30
	ds_read_b128 v[14:17], v16 offset:2048
	v_lshlrev_b32_e32 v35, 5, v36
	s_add_u32 s4, s10, s4
	s_addc_u32 s5, s11, s5
	s_mov_b32 s43, 0xff7fffff
	s_waitcnt vmcnt(7) lgkmcnt(1)
	v_mfma_f32_16x16x16_f16 v[42:45], v[6:7], v[22:23], 0
	v_ashrrev_i32_e32 v6, 4, v30
	v_or_b32_e32 v7, 64, v30
	s_waitcnt vmcnt(5)
	v_mfma_f32_16x16x16_f16 v[50:53], v[2:3], v[22:23], 0
	v_cndmask_b32_e32 v2, v57, v6, vcc
	v_ashrrev_i32_e32 v3, 31, v2
	v_ashrrev_i32_e32 v6, 4, v7
	v_cmp_gt_i32_e32 vcc, s33, v7
	v_lshl_add_u64 v[2:3], v[2:3], 2, s[6:7]
	s_waitcnt vmcnt(3)
	v_mfma_f32_16x16x16_f16 v[62:65], v[10:11], v[22:23], 0
	v_cndmask_b32_e32 v10, v57, v6, vcc
	v_ashrrev_i32_e32 v11, 31, v10
	v_lshl_add_u64 v[10:11], v[10:11], 2, s[6:7]
	v_mfma_f32_16x16x16_f16 v[6:9], v[8:9], v[24:25], v[42:45]
	s_nop 2
	global_load_dword v42, v[2:3], off
	global_load_dword v43, v[10:11], off
	s_waitcnt vmcnt(3)
	v_mfma_f32_16x16x16_f16 v[66:69], v[18:19], v[22:23], 0
	v_or_b32_e32 v22, 0x80, v30
	v_or_b32_e32 v23, 0xc0, v30
	v_ashrrev_i32_e32 v30, 4, v22
	v_cmp_gt_i32_e32 vcc, s33, v22
	v_ashrrev_i32_e32 v32, 4, v23
	v_mfma_f32_16x16x16_f16 v[2:5], v[4:5], v[24:25], v[50:53]
	v_cndmask_b32_e32 v22, v57, v30, vcc
	v_cmp_gt_i32_e32 vcc, s33, v23
	v_ashrrev_i32_e32 v23, 31, v22
	v_mfma_f32_16x16x16_f16 v[10:13], v[12:13], v[24:25], v[62:65]
	v_lshl_or_b32 v30, v37, 9, v35
	v_mfma_f32_16x16x16_f16 v[18:21], v[20:21], v[24:25], v[66:69]
	v_cndmask_b32_e32 v24, v57, v32, vcc
	v_ashrrev_i32_e32 v25, 31, v24
	v_lshl_add_u64 v[32:33], v[24:25], 2, s[6:7]
	s_waitcnt lgkmcnt(0)
	v_mfma_f32_16x16x16_f16 v[6:9], v[26:27], v[14:15], v[6:9]
	v_lshl_add_u64 v[26:27], v[22:23], 2, s[6:7]
	global_load_dword v57, v[26:27], off
	global_load_dword v62, v[32:33], off
	v_mfma_f32_16x16x16_f16 v[2:5], v[46:47], v[14:15], v[2:5]
	v_mfma_f32_16x16x16_f16 v[22:25], v[58:59], v[14:15], v[10:13]
	s_waitcnt vmcnt(4)
	v_mfma_f32_16x16x16_f16 v[18:21], v[38:39], v[14:15], v[18:21]
	s_nop 0
	v_lshl_add_u64 v[10:11], s[4:5], 0, v[30:31]
	s_waitcnt vmcnt(3)
	v_mad_i64_i32 v[26:27], s[4:5], v42, s45, 0
	v_mfma_f32_16x16x16_f16 v[12:15], v[28:29], v[16:17], v[6:9]
	v_lshl_add_u64 v[30:31], v[26:27], 1, v[10:11]
	s_waitcnt vmcnt(2)
	v_mad_i64_i32 v[32:33], s[4:5], v43, s45, 0
	v_mfma_f32_16x16x16_f16 v[26:29], v[48:49], v[16:17], v[2:5]
	v_lshl_add_u64 v[58:59], v[32:33], 1, v[10:11]
	s_nop 1
	v_pk_mul_f32 v[50:51], s[12:13], v[14:15] op_sel_hi:[0,1]
	v_pk_mul_f32 v[12:13], s[12:13], v[12:13] op_sel_hi:[0,1]
	v_mfma_f32_16x16x16_f16 v[22:25], v[60:61], v[16:17], v[22:25]
	global_load_dwordx4 v[6:9], v[30:31], off
	global_load_dwordx4 v[2:5], v[30:31], off offset:16
	v_pk_mul_f32 v[42:43], s[12:13], v[26:27] op_sel_hi:[0,1]
	v_pk_mul_f32 v[52:53], s[12:13], v[28:29] op_sel_hi:[0,1]
	v_mfma_f32_16x16x16_f16 v[14:17], v[40:41], v[16:17], v[18:21]
	s_nop 1
	v_pk_mul_f32 v[48:49], s[12:13], v[22:23] op_sel_hi:[0,1]
	v_pk_mul_f32 v[46:47], s[12:13], v[24:25] op_sel_hi:[0,1]
	global_load_dwordx4 v[30:33], v[58:59], off
	global_load_dwordx4 v[26:29], v[58:59], off offset:16
	s_nop 0
	v_pk_mul_f32 v[44:45], s[12:13], v[14:15] op_sel_hi:[0,1]
	v_and_b32_e32 v14, 0xc0, v0
	v_add_u32_e32 v14, s18, v14
	v_lshl_or_b32 v14, v54, 2, v14
	v_pk_mul_f32 v[38:39], s[12:13], v[16:17] op_sel_hi:[0,1]
	v_or_b32_e32 v17, 1, v14
	v_mov_b32_e32 v15, 0xff7fffff
	v_cmp_gt_i32_e64 s[4:5], s33, v14
	v_cmp_gt_i32_e64 s[34:35], s33, v17
	v_or_b32_e32 v18, 3, v14
	v_cndmask_b32_e64 v16, v15, v12, s[4:5]
	v_cndmask_b32_e64 v17, v15, v13, s[34:35]
	v_max3_f32 v16, v16, s43, v17
	v_or_b32_e32 v17, 2, v14
	v_cmp_gt_i32_e64 s[36:37], s33, v17
	v_cmp_gt_i32_e64 s[38:39], s33, v18
	s_nop 0
	v_cndmask_b32_e64 v17, v15, v50, s[36:37]
	v_cndmask_b32_e64 v18, v15, v51, s[38:39]
	v_max3_f32 v16, v16, v17, v18
	v_or_b32_e32 v17, 16, v14
	v_or_b32_e32 v18, 17, v14
	v_cmp_gt_i32_e64 s[24:25], s33, v17
	v_cmp_gt_i32_e64 s[26:27], s33, v18
	s_nop 0
	v_cndmask_b32_e64 v17, v15, v42, s[24:25]
	v_cndmask_b32_e64 v18, v15, v43, s[26:27]
	v_max3_f32 v16, v16, v17, v18
	v_or_b32_e32 v17, 18, v14
	;; [unrolled: 8-line block ×6, first 2 shown]
	v_or_b32_e32 v14, 51, v14
	v_cmp_gt_i32_e32 vcc, s33, v17
	v_cmp_gt_i32_e64 s[6:7], s33, v14
	s_nop 0
	v_cndmask_b32_e32 v17, v15, v38, vcc
	v_cndmask_b32_e64 v14, v15, v39, s[6:7]
	v_max3_f32 v16, v16, v17, v14
	v_mbcnt_lo_u32_b32 v14, -1, 0
	v_mbcnt_hi_u32_b32 v17, -1, v14
	v_and_b32_e32 v14, 64, v17
	v_add_u32_e32 v18, 64, v14
	v_xor_b32_e32 v14, 32, v17
	v_cmp_lt_i32_e64 s[40:41], v14, v18
	s_nop 1
	v_cndmask_b32_e64 v14, v17, v14, s[40:41]
	v_lshlrev_b32_e32 v60, 2, v14
	ds_bpermute_b32 v19, v60, v16
	s_waitcnt vmcnt(5)
	v_mad_i64_i32 v[14:15], s[40:41], v57, s45, 0
	v_lshl_add_u64 v[14:15], v[14:15], 1, v[10:11]
	s_waitcnt lgkmcnt(0)
	v_max_f32_e32 v19, v19, v19
	v_max_f32_e32 v16, v16, v19
	v_xor_b32_e32 v19, 16, v17
	v_cmp_lt_i32_e64 s[40:41], v19, v18
	s_nop 1
	v_cndmask_b32_e64 v17, v17, v19, s[40:41]
	v_lshlrev_b32_e32 v58, 2, v17
	ds_bpermute_b32 v17, v58, v16
	global_load_dwordx4 v[22:25], v[14:15], off
	global_load_dwordx4 v[18:21], v[14:15], off offset:16
	s_waitcnt vmcnt(6)
	v_mad_i64_i32 v[14:15], s[40:41], v62, s45, 0
	v_lshl_add_u64 v[10:11], v[14:15], 1, v[10:11]
	s_waitcnt lgkmcnt(0)
	v_max_f32_e32 v14, v17, v17
	v_max_f32_e32 v57, v16, v14
	v_sub_f32_e32 v12, v12, v57
	v_mul_f32_e32 v12, 0x3fb8aa3b, v12
	v_exp_f32_e32 v40, v12
	v_sub_f32_e32 v12, v13, v57
	v_mul_f32_e32 v12, 0x3fb8aa3b, v12
	v_exp_f32_e32 v41, v12
	global_load_dwordx4 v[14:17], v[10:11], off
	s_nop 0
	global_load_dwordx4 v[10:13], v[10:11], off offset:16
	v_sub_f32_e32 v50, v50, v57
	v_mul_f32_e32 v50, 0x3fb8aa3b, v50
	v_sub_f32_e32 v51, v51, v57
	v_exp_f32_e32 v50, v50
	v_mul_f32_e32 v51, 0x3fb8aa3b, v51
	v_sub_f32_e32 v42, v42, v57
	v_exp_f32_e32 v51, v51
	v_mul_f32_e32 v42, 0x3fb8aa3b, v42
	v_sub_f32_e32 v43, v43, v57
	v_cndmask_b32_e64 v40, 0, v40, s[4:5]
	v_exp_f32_e32 v42, v42
	v_mul_f32_e32 v43, 0x3fb8aa3b, v43
	v_sub_f32_e32 v52, v52, v57
	v_add_f32_e32 v59, 0, v40
	v_cndmask_b32_e64 v41, 0, v41, s[34:35]
	v_exp_f32_e32 v43, v43
	v_mul_f32_e32 v52, 0x3fb8aa3b, v52
	v_sub_f32_e32 v53, v53, v57
	v_add_f32_e32 v59, v59, v41
	;; [unrolled: 5-line block ×10, first 2 shown]
	v_cndmask_b32_e64 v46, 0, v46, s[12:13]
	v_exp_f32_e32 v38, v38
	v_mul_f32_e32 v39, 0x3fb8aa3b, v39
	v_add_f32_e32 v59, v59, v46
	v_cndmask_b32_e64 v47, 0, v47, s[14:15]
	v_exp_f32_e32 v39, v39
	v_add_f32_e32 v59, v59, v47
	v_cndmask_b32_e64 v44, 0, v44, s[8:9]
	v_add_f32_e32 v59, v59, v44
	v_cndmask_b32_e64 v45, 0, v45, s[10:11]
	v_add_f32_e32 v59, v59, v45
	v_cndmask_b32_e32 v38, 0, v38, vcc
	v_add_f32_e32 v59, v59, v38
	v_cndmask_b32_e64 v39, 0, v39, s[6:7]
	v_add_f32_e32 v59, v59, v39
	ds_bpermute_b32 v60, v60, v59
	v_cmp_gt_u32_e32 vcc, 16, v56
	s_waitcnt lgkmcnt(0)
	s_barrier
	v_add_f32_e32 v59, v59, v60
	ds_bpermute_b32 v60, v58, v59
	v_lshlrev_b32_e32 v58, 2, v36
	s_and_saveexec_b64 s[4:5], vcc
	s_cbranch_execz .LBB54_13
; %bb.12:
	s_waitcnt lgkmcnt(0)
	v_add_f32_e32 v56, v59, v60
	v_lshl_or_b32 v59, v37, 6, v58
	ds_write2st64_b32 v59, v57, v56 offset1:1
.LBB54_13:
	s_or_b64 exec, exec, s[4:5]
	s_load_dword s6, s[0:1], 0x94
	s_waitcnt lgkmcnt(0)
	s_barrier
	ds_read2_b32 v[60:61], v58 offset1:16
	ds_read2_b32 v[62:63], v58 offset0:32 offset1:48
	ds_read2_b32 v[64:65], v58 offset0:64 offset1:80
	;; [unrolled: 1-line block ×3, first 2 shown]
	s_waitcnt lgkmcnt(0)
	v_max3_f32 v56, v60, s43, v61
	v_max3_f32 v56, v56, v62, v63
	v_sub_f32_e32 v57, v60, v56
	v_mul_f32_e32 v57, 0x3fb8aa3b, v57
	v_exp_f32_e32 v60, v57
	v_sub_f32_e32 v57, v61, v56
	v_mul_f32_e32 v57, 0x3fb8aa3b, v57
	v_exp_f32_e32 v61, v57
	;; [unrolled: 3-line block ×4, first 2 shown]
	v_fma_f32 v57, v60, v64, 0
	v_fmac_f32_e32 v57, v61, v65
	v_fmac_f32_e32 v57, v62, v58
	;; [unrolled: 1-line block ×3, first 2 shown]
	v_add_f32_e32 v58, 0x358637bd, v57
	v_div_scale_f32 v59, s[4:5], v58, v58, 1.0
	v_rcp_f32_e32 v64, v59
	s_barrier
	s_mul_i32 s7, s29, 3
	v_fma_f32 v65, -v59, v64, 1.0
	v_fmac_f32_e32 v64, v65, v64
	v_div_scale_f32 v65, vcc, 1.0, v58, 1.0
	v_mul_f32_e32 v66, v65, v64
	v_fma_f32 v67, -v59, v66, v65
	v_fmac_f32_e32 v66, v67, v64
	v_fma_f32 v59, -v59, v66, v65
	v_div_fmas_f32 v59, v59, v64, v66
	v_cmp_eq_u32_e32 vcc, 1, v37
	v_div_fixup_f32 v58, v59, v58, 1.0
	s_nop 0
	v_cndmask_b32_e32 v59, v60, v61, vcc
	v_cmp_eq_u32_e32 vcc, 2, v37
	s_nop 1
	v_cndmask_b32_e32 v59, v59, v62, vcc
	v_cmp_eq_u32_e32 vcc, 3, v37
	v_lshlrev_b32_e32 v37, 11, v37
	s_nop 0
	v_cndmask_b32_e32 v59, v59, v63, vcc
	v_mul_f32_e32 v58, v59, v58
	v_pk_mul_f32 v[50:51], v[58:59], v[50:51] op_sel_hi:[0,1]
	v_pk_mul_f32 v[40:41], v[58:59], v[40:41] op_sel_hi:[0,1]
	v_cvt_f16_f32_e32 v59, v50
	v_cvt_f16_f32_e32 v51, v51
	;; [unrolled: 1-line block ×4, first 2 shown]
	v_cmp_gt_u32_e32 vcc, 3, v0
	v_pack_b32_f16 v51, v59, v51
	v_lshlrev_b32_e32 v59, 3, v54
	v_pack_b32_f16 v50, v40, v41
	v_pk_mul_f32 v[40:41], v[58:59], v[52:53] op_sel_hi:[0,1]
	v_pk_mul_f32 v[42:43], v[58:59], v[42:43] op_sel_hi:[0,1]
	v_cvt_f16_f32_e32 v42, v42
	v_cvt_f16_f32_e32 v43, v43
	;; [unrolled: 1-line block ×4, first 2 shown]
	v_or3_b32 v40, v37, v35, v59
	v_pack_b32_f16 v42, v42, v43
	v_pk_mul_f32 v[38:39], v[58:59], v[38:39] op_sel_hi:[0,1]
	v_pack_b32_f16 v43, v52, v41
	ds_write2st64_b64 v40, v[50:51], v[42:43] offset1:1
	v_pk_mul_f32 v[42:43], v[58:59], v[46:47] op_sel_hi:[0,1]
	v_pk_mul_f32 v[46:47], v[58:59], v[48:49] op_sel_hi:[0,1]
	v_cvt_f16_f32_e32 v37, v46
	v_cvt_f16_f32_e32 v41, v47
	;; [unrolled: 1-line block ×4, first 2 shown]
	v_pk_mul_f32 v[42:43], v[58:59], v[44:45] op_sel_hi:[0,1]
	v_cvt_f16_f32_e32 v42, v42
	v_cvt_f16_f32_e32 v43, v43
	;; [unrolled: 1-line block ×4, first 2 shown]
	v_pack_b32_f16 v38, v37, v41
	v_pack_b32_f16 v39, v46, v47
	;; [unrolled: 1-line block ×4, first 2 shown]
	ds_write2st64_b64 v40, v[38:39], v[42:43] offset0:2 offset1:3
	s_and_saveexec_b64 s[4:5], vcc
	s_cbranch_execz .LBB54_15
; %bb.14:
	s_mov_b32 s43, 0
	v_mov_b32_e32 v37, 0
	v_lshl_add_u64 v[38:39], s[42:43], 0, v[36:37]
	v_mov_b32_e32 v36, s7
	v_mad_u64_u32 v[38:39], s[12:13], s2, v36, v[38:39]
	v_mov_b32_e32 v36, s28
	s_load_dwordx4 s[8:11], s[0:1], 0x58
	s_mul_i32 s3, s3, s7
	v_mad_u64_u32 v[36:37], s[12:13], v38, s6, v[36:37]
	v_add_u32_e32 v39, s3, v39
	v_mov_b32_e32 v38, v37
	v_mad_u64_u32 v[38:39], s[12:13], v39, s6, v[38:39]
	v_mov_b32_e32 v37, v38
	v_lshlrev_b64 v[36:37], 2, v[36:37]
	s_waitcnt lgkmcnt(0)
	v_lshl_add_u64 v[38:39], s[10:11], 0, v[36:37]
	v_lshl_add_u64 v[36:37], s[8:9], 0, v[36:37]
	global_store_dword v[38:39], v56, off
	global_store_dword v[36:37], v57, off
.LBB54_15:
	s_or_b64 exec, exec, s[4:5]
	v_lshl_or_b32 v35, v54, 9, v35
	s_waitcnt lgkmcnt(0)
	s_barrier
	ds_read_b128 v[36:39], v35
	ds_read_b128 v[42:45], v35 offset:16
	s_waitcnt vmcnt(7) lgkmcnt(1)
	v_mfma_f32_16x16x16_f16 v[46:49], v[6:7], v[36:37], 0
	v_cmp_gt_u32_e32 vcc, 64, v0
	v_cmp_ne_u32_e64 s[4:5], 3, v54
	s_and_b64 s[4:5], s[4:5], vcc
	v_mfma_f32_16x16x16_f16 v[6:9], v[8:9], v[38:39], v[46:49]
	s_mov_b32 s3, 0
	s_and_b64 s[4:5], s[4:5], s[30:31]
	s_waitcnt vmcnt(6) lgkmcnt(0)
	v_mfma_f32_16x16x16_f16 v[6:9], v[2:3], v[42:43], v[6:9]
	v_mfma_f32_16x16x16_f16 v[2:5], v[4:5], v[44:45], v[6:9]
	s_nop 5
	ds_read_b128 v[6:9], v35 offset:2048
	ds_read_b128 v[36:39], v35 offset:2064
	s_waitcnt vmcnt(5) lgkmcnt(1)
	v_mfma_f32_16x16x16_f16 v[2:5], v[30:31], v[6:7], v[2:5]
	v_mfma_f32_16x16x16_f16 v[2:5], v[32:33], v[8:9], v[2:5]
	s_waitcnt vmcnt(4) lgkmcnt(0)
	v_mfma_f32_16x16x16_f16 v[2:5], v[26:27], v[36:37], v[2:5]
	v_mfma_f32_16x16x16_f16 v[2:5], v[28:29], v[38:39], v[2:5]
	ds_read_b128 v[6:9], v35 offset:4096
	ds_read_b128 v[26:29], v35 offset:4112
	s_waitcnt vmcnt(3) lgkmcnt(1)
	v_mfma_f32_16x16x16_f16 v[2:5], v[22:23], v[6:7], v[2:5]
	v_mfma_f32_16x16x16_f16 v[2:5], v[24:25], v[8:9], v[2:5]
	s_waitcnt vmcnt(2) lgkmcnt(0)
	v_mfma_f32_16x16x16_f16 v[2:5], v[18:19], v[26:27], v[2:5]
	v_mfma_f32_16x16x16_f16 v[2:5], v[20:21], v[28:29], v[2:5]
	ds_read_b128 v[6:9], v35 offset:6144
	ds_read_b128 v[18:21], v35 offset:6160
	v_mov_b32_e32 v35, 0
	s_waitcnt vmcnt(1) lgkmcnt(0)
	v_mfma_f32_16x16x16_f16 v[2:5], v[14:15], v[6:7], v[2:5]
	s_barrier
	v_mfma_f32_16x16x16_f16 v[2:5], v[16:17], v[8:9], v[2:5]
	s_waitcnt vmcnt(0)
	v_mfma_f32_16x16x16_f16 v[2:5], v[10:11], v[18:19], v[2:5]
	v_mfma_f32_16x16x16_f16 v[2:5], v[12:13], v[20:21], v[2:5]
	s_nop 6
	v_cvt_f16_f32_e32 v2, v2
	v_cvt_f16_f32_e32 v3, v3
	;; [unrolled: 1-line block ×4, first 2 shown]
	v_pack_b32_f16 v2, v2, v3
	v_pack_b32_f16 v3, v4, v5
	ds_write_b64 v40, v[2:3]
	s_waitcnt lgkmcnt(0)
	s_barrier
	s_and_saveexec_b64 s[8:9], s[4:5]
	s_cbranch_execz .LBB54_17
; %bb.16:
	s_load_dwordx2 s[0:1], s[0:1], 0x68
	s_mul_i32 s2, s7, s2
	s_lshl_b32 s6, s6, 6
	s_mul_hi_u32 s5, s2, s6
	s_mul_i32 s4, s2, s6
	v_lshlrev_b32_e32 v0, 10, v0
	s_lshl_b64 s[4:5], s[4:5], 1
	v_and_b32_e32 v0, 0x1800, v0
	v_lshlrev_b32_e32 v2, 5, v54
	v_and_b32_e32 v3, 16, v55
	s_waitcnt lgkmcnt(0)
	s_add_u32 s4, s0, s4
	v_or3_b32 v0, v0, v2, v3
	s_addc_u32 s5, s1, s5
	s_lshl_b32 s2, s28, 6
	ds_read_b128 v[2:5], v0
	s_lshl_b64 s[0:1], s[2:3], 1
	s_add_u32 s0, s4, s0
	s_addc_u32 s1, s5, s1
	v_mad_u64_u32 v[0:1], s[2:3], s6, v1, 0
	v_lshl_add_u64 v[0:1], v[0:1], 1, s[0:1]
	v_lshl_add_u64 v[0:1], v[0:1], 0, v[34:35]
	s_waitcnt lgkmcnt(0)
	global_store_dwordx4 v[0:1], v[2:5], off
.LBB54_17:
	s_endpgm
	.section	.rodata,"a",@progbits
	.p2align	6, 0x0
	.amdhsa_kernel _Z39paged_attention_ll4mi_QKV_mfma16_kernelIDF16_DF16_LN4vllm18Fp8KVCacheDataTypeE0EhLi16ELi64ELi256ELb0ELi3EEvPKT_PKT0_S7_ifPKiS9_S9_iPKfiiiPfSC_PS2_PT2_iSB_SB_
		.amdhsa_group_segment_fixed_size 8192
		.amdhsa_private_segment_fixed_size 0
		.amdhsa_kernarg_size 400
		.amdhsa_user_sgpr_count 2
		.amdhsa_user_sgpr_dispatch_ptr 0
		.amdhsa_user_sgpr_queue_ptr 0
		.amdhsa_user_sgpr_kernarg_segment_ptr 1
		.amdhsa_user_sgpr_dispatch_id 0
		.amdhsa_user_sgpr_kernarg_preload_length 0
		.amdhsa_user_sgpr_kernarg_preload_offset 0
		.amdhsa_user_sgpr_private_segment_size 0
		.amdhsa_uses_dynamic_stack 0
		.amdhsa_enable_private_segment 0
		.amdhsa_system_sgpr_workgroup_id_x 1
		.amdhsa_system_sgpr_workgroup_id_y 1
		.amdhsa_system_sgpr_workgroup_id_z 1
		.amdhsa_system_sgpr_workgroup_info 0
		.amdhsa_system_vgpr_workitem_id 0
		.amdhsa_next_free_vgpr 70
		.amdhsa_next_free_sgpr 48
		.amdhsa_accum_offset 72
		.amdhsa_reserve_vcc 1
		.amdhsa_float_round_mode_32 0
		.amdhsa_float_round_mode_16_64 0
		.amdhsa_float_denorm_mode_32 3
		.amdhsa_float_denorm_mode_16_64 3
		.amdhsa_dx10_clamp 1
		.amdhsa_ieee_mode 1
		.amdhsa_fp16_overflow 0
		.amdhsa_tg_split 0
		.amdhsa_exception_fp_ieee_invalid_op 0
		.amdhsa_exception_fp_denorm_src 0
		.amdhsa_exception_fp_ieee_div_zero 0
		.amdhsa_exception_fp_ieee_overflow 0
		.amdhsa_exception_fp_ieee_underflow 0
		.amdhsa_exception_fp_ieee_inexact 0
		.amdhsa_exception_int_div_zero 0
	.end_amdhsa_kernel
	.section	.text._Z39paged_attention_ll4mi_QKV_mfma16_kernelIDF16_DF16_LN4vllm18Fp8KVCacheDataTypeE0EhLi16ELi64ELi256ELb0ELi3EEvPKT_PKT0_S7_ifPKiS9_S9_iPKfiiiPfSC_PS2_PT2_iSB_SB_,"axG",@progbits,_Z39paged_attention_ll4mi_QKV_mfma16_kernelIDF16_DF16_LN4vllm18Fp8KVCacheDataTypeE0EhLi16ELi64ELi256ELb0ELi3EEvPKT_PKT0_S7_ifPKiS9_S9_iPKfiiiPfSC_PS2_PT2_iSB_SB_,comdat
.Lfunc_end54:
	.size	_Z39paged_attention_ll4mi_QKV_mfma16_kernelIDF16_DF16_LN4vllm18Fp8KVCacheDataTypeE0EhLi16ELi64ELi256ELb0ELi3EEvPKT_PKT0_S7_ifPKiS9_S9_iPKfiiiPfSC_PS2_PT2_iSB_SB_, .Lfunc_end54-_Z39paged_attention_ll4mi_QKV_mfma16_kernelIDF16_DF16_LN4vllm18Fp8KVCacheDataTypeE0EhLi16ELi64ELi256ELb0ELi3EEvPKT_PKT0_S7_ifPKiS9_S9_iPKfiiiPfSC_PS2_PT2_iSB_SB_
                                        ; -- End function
	.section	.AMDGPU.csdata,"",@progbits
; Kernel info:
; codeLenInByte = 3748
; NumSgprs: 54
; NumVgprs: 70
; NumAgprs: 0
; TotalNumVgprs: 70
; ScratchSize: 0
; MemoryBound: 0
; FloatMode: 240
; IeeeMode: 1
; LDSByteSize: 8192 bytes/workgroup (compile time only)
; SGPRBlocks: 6
; VGPRBlocks: 8
; NumSGPRsForWavesPerEU: 54
; NumVGPRsForWavesPerEU: 70
; AccumOffset: 72
; Occupancy: 7
; WaveLimiterHint : 1
; COMPUTE_PGM_RSRC2:SCRATCH_EN: 0
; COMPUTE_PGM_RSRC2:USER_SGPR: 2
; COMPUTE_PGM_RSRC2:TRAP_HANDLER: 0
; COMPUTE_PGM_RSRC2:TGID_X_EN: 1
; COMPUTE_PGM_RSRC2:TGID_Y_EN: 1
; COMPUTE_PGM_RSRC2:TGID_Z_EN: 1
; COMPUTE_PGM_RSRC2:TIDIG_COMP_CNT: 0
; COMPUTE_PGM_RSRC3_GFX90A:ACCUM_OFFSET: 17
; COMPUTE_PGM_RSRC3_GFX90A:TG_SPLIT: 0
	.section	.text._Z39paged_attention_ll4mi_QKV_mfma16_kernelIDF16_DF16_LN4vllm18Fp8KVCacheDataTypeE0EhLi16ELi64ELi256ELb0ELi4EEvPKT_PKT0_S7_ifPKiS9_S9_iPKfiiiPfSC_PS2_PT2_iSB_SB_,"axG",@progbits,_Z39paged_attention_ll4mi_QKV_mfma16_kernelIDF16_DF16_LN4vllm18Fp8KVCacheDataTypeE0EhLi16ELi64ELi256ELb0ELi4EEvPKT_PKT0_S7_ifPKiS9_S9_iPKfiiiPfSC_PS2_PT2_iSB_SB_,comdat
	.protected	_Z39paged_attention_ll4mi_QKV_mfma16_kernelIDF16_DF16_LN4vllm18Fp8KVCacheDataTypeE0EhLi16ELi64ELi256ELb0ELi4EEvPKT_PKT0_S7_ifPKiS9_S9_iPKfiiiPfSC_PS2_PT2_iSB_SB_ ; -- Begin function _Z39paged_attention_ll4mi_QKV_mfma16_kernelIDF16_DF16_LN4vllm18Fp8KVCacheDataTypeE0EhLi16ELi64ELi256ELb0ELi4EEvPKT_PKT0_S7_ifPKiS9_S9_iPKfiiiPfSC_PS2_PT2_iSB_SB_
	.globl	_Z39paged_attention_ll4mi_QKV_mfma16_kernelIDF16_DF16_LN4vllm18Fp8KVCacheDataTypeE0EhLi16ELi64ELi256ELb0ELi4EEvPKT_PKT0_S7_ifPKiS9_S9_iPKfiiiPfSC_PS2_PT2_iSB_SB_
	.p2align	8
	.type	_Z39paged_attention_ll4mi_QKV_mfma16_kernelIDF16_DF16_LN4vllm18Fp8KVCacheDataTypeE0EhLi16ELi64ELi256ELb0ELi4EEvPKT_PKT0_S7_ifPKiS9_S9_iPKfiiiPfSC_PS2_PT2_iSB_SB_,@function
_Z39paged_attention_ll4mi_QKV_mfma16_kernelIDF16_DF16_LN4vllm18Fp8KVCacheDataTypeE0EhLi16ELi64ELi256ELb0ELi4EEvPKT_PKT0_S7_ifPKiS9_S9_iPKfiiiPfSC_PS2_PT2_iSB_SB_: ; @_Z39paged_attention_ll4mi_QKV_mfma16_kernelIDF16_DF16_LN4vllm18Fp8KVCacheDataTypeE0EhLi16ELi64ELi256ELb0ELi4EEvPKT_PKT0_S7_ifPKiS9_S9_iPKfiiiPfSC_PS2_PT2_iSB_SB_
; %bb.0:
	s_load_dwordx2 s[6:7], s[0:1], 0x30
	s_mov_b32 s26, s3
	s_mov_b64 s[8:9], 0
	s_waitcnt lgkmcnt(0)
	s_cmp_lg_u64 s[6:7], 0
	s_cselect_b64 s[14:15], -1, 0
	s_and_b64 vcc, exec, s[14:15]
	s_cbranch_vccz .LBB55_7
; %bb.1:
	s_add_i32 s10, s2, 1
	s_mov_b32 s11, 0
	s_lshl_b64 s[12:13], s[10:11], 2
	s_add_u32 s12, s6, s12
	s_mov_b32 s3, s11
	s_addc_u32 s13, s7, s13
	s_lshl_b64 s[10:11], s[2:3], 2
	s_add_u32 s10, s6, s10
	s_addc_u32 s11, s7, s11
	s_load_dword s5, s[12:13], 0x0
	s_load_dword s16, s[10:11], 0x0
	s_waitcnt lgkmcnt(0)
	s_sub_i32 s5, s5, s16
	s_cmp_eq_u32 s5, 1
	s_cselect_b64 s[10:11], -1, 0
	s_andn2_b64 vcc, exec, s[8:9]
	s_cbranch_vccnz .LBB55_3
.LBB55_2:
	s_mov_b32 s3, 0
	s_mov_b64 s[10:11], -1
.LBB55_3:
	s_andn2_b64 vcc, exec, s[10:11]
	s_cbranch_vccnz .LBB55_17
; %bb.4:
	s_load_dwordx2 s[8:9], s[0:1], 0x28
	s_lshl_b64 s[16:17], s[2:3], 2
	s_waitcnt lgkmcnt(0)
	s_add_u32 s8, s8, s16
	s_addc_u32 s9, s9, s17
	s_load_dword s38, s[8:9], 0x0
	s_lshl_b32 s18, s26, 8
	s_waitcnt lgkmcnt(0)
	s_cmp_ge_i32 s18, s38
	s_cbranch_scc1 .LBB55_17
; %bb.5:
	s_load_dwordx2 s[8:9], s[0:1], 0x20
	s_load_dword s5, s[0:1], 0x38
	s_add_i32 s10, s38, 15
	s_ashr_i32 s11, s10, 31
	v_and_b32_e32 v1, 0xcf, v0
	s_lshr_b32 s11, s11, 28
	v_add_u32_e32 v1, s18, v1
	s_add_i32 s10, s10, s11
	v_ashrrev_i32_e32 v2, 31, v1
	s_ashr_i32 s19, s10, 4
	v_lshrrev_b32_e32 v8, 28, v2
	s_add_i32 s19, s19, -1
	s_waitcnt lgkmcnt(0)
	s_mul_i32 s10, s2, s5
	s_mov_b32 s11, 0
	v_add_u32_e32 v2, v1, v8
	s_lshl_b64 s[10:11], s[10:11], 2
	v_ashrrev_i32_e32 v2, 4, v2
	v_mov_b32_e32 v9, s19
	v_cmp_gt_i32_e32 vcc, s38, v1
	s_add_u32 s12, s8, s10
	s_addc_u32 s13, s9, s11
	v_cndmask_b32_e32 v2, v9, v2, vcc
	v_ashrrev_i32_e32 v3, 31, v2
	v_lshl_add_u64 v[4:5], v[2:3], 2, s[12:13]
	v_or_b32_e32 v2, 16, v1
	v_add_u32_e32 v3, v2, v8
	v_ashrrev_i32_e32 v3, 4, v3
	v_cmp_gt_i32_e32 vcc, s38, v2
	s_load_dwordx4 s[8:11], s[0:1], 0x8
	s_nop 0
	v_cndmask_b32_e32 v2, v9, v3, vcc
	v_ashrrev_i32_e32 v3, 31, v2
	v_lshl_add_u64 v[6:7], v[2:3], 2, s[12:13]
	v_or_b32_e32 v2, 32, v1
	v_add_u32_e32 v3, v2, v8
	v_ashrrev_i32_e32 v3, 4, v3
	v_cmp_gt_i32_e32 vcc, s38, v2
	v_or_b32_e32 v1, 48, v1
	s_nop 0
	v_cndmask_b32_e32 v2, v9, v3, vcc
	v_ashrrev_i32_e32 v3, 31, v2
	v_lshl_add_u64 v[12:13], v[2:3], 2, s[12:13]
	v_add_u32_e32 v2, v1, v8
	v_ashrrev_i32_e32 v2, 4, v2
	v_cmp_gt_i32_e32 vcc, s38, v1
	s_nop 1
	v_cndmask_b32_e32 v2, v9, v2, vcc
	v_ashrrev_i32_e32 v3, 31, v2
	v_lshl_add_u64 v[14:15], v[2:3], 2, s[12:13]
	global_load_dword v2, v[4:5], off
	global_load_dword v10, v[6:7], off
	;; [unrolled: 1-line block ×4, first 2 shown]
	s_andn2_b64 vcc, exec, s[14:15]
	s_cbranch_vccnz .LBB55_8
; %bb.6:
	s_add_u32 s6, s6, s16
	s_addc_u32 s7, s7, s17
	s_load_dword s5, s[6:7], 0x0
	s_branch .LBB55_9
.LBB55_7:
	s_mov_b64 s[10:11], 0
	s_branch .LBB55_2
.LBB55_8:
	s_mov_b32 s5, s2
.LBB55_9:
	s_load_dwordx4 s[40:43], s[0:1], 0x48
	v_and_b32_e32 v57, 15, v0
	v_bfe_u32 v54, v0, 4, 2
	s_lshl_b32 s27, s4, 2
	v_lshlrev_b32_e32 v3, 3, v57
	v_cmp_gt_u32_e32 vcc, 64, v0
	v_cmp_gt_u32_e64 s[6:7], 8, v57
	v_lshrrev_b32_e32 v55, 6, v0
	v_and_b32_e32 v56, 63, v0
	v_or_b32_e32 v1, s27, v54
	v_and_b32_e32 v11, 3, v0
	s_and_b64 s[44:45], vcc, s[6:7]
	v_lshlrev_b32_e32 v34, 1, v3
	v_lshlrev_b32_e32 v52, 5, v54
	s_and_saveexec_b64 s[6:7], s[44:45]
	s_cbranch_execz .LBB55_11
; %bb.10:
	s_load_dwordx2 s[14:15], s[0:1], 0x0
	s_waitcnt lgkmcnt(0)
	s_ashr_i32 s16, s40, 31
	s_mul_hi_u32 s17, s5, s40
	s_mul_i32 s16, s5, s16
	s_add_i32 s17, s17, s16
	s_mul_i32 s16, s5, s40
	s_lshl_b64 s[16:17], s[16:17], 1
	s_add_u32 s14, s14, s16
	v_lshlrev_b32_e32 v4, 6, v1
	s_addc_u32 s15, s15, s17
	v_ashrrev_i32_e32 v5, 31, v4
	v_lshl_add_u64 v[4:5], v[4:5], 1, s[14:15]
	v_mov_b32_e32 v35, 0
	v_lshl_add_u64 v[4:5], v[4:5], 0, v[34:35]
	global_load_dwordx4 v[4:7], v[4:5], off
	v_lshlrev_b32_e32 v13, 9, v57
	v_lshl_or_b32 v3, v55, 7, v52
	v_lshlrev_b32_e32 v12, 9, v11
	v_and_b32_e32 v13, 0x1800, v13
	v_or3_b32 v3, v13, v12, v3
	s_waitcnt vmcnt(0)
	ds_write_b128 v3, v[4:7]
.LBB55_11:
	s_or_b64 exec, exec, s[6:7]
	s_waitcnt lgkmcnt(0)
	s_mul_i32 s4, s4, s42
	s_mov_b32 s5, 0
	s_lshl_b64 s[4:5], s[4:5], 1
	s_add_u32 s8, s8, s4
	v_lshlrev_b32_e32 v53, 4, v0
	s_addc_u32 s9, s9, s5
	v_and_b32_e32 v6, 0xf0, v53
	v_mov_b32_e32 v7, 0
	v_lshl_add_u64 v[12:13], s[8:9], 0, v[6:7]
	s_waitcnt vmcnt(3)
	v_mad_i64_i32 v[2:3], s[8:9], v2, s41, 0
	v_lshl_add_u64 v[2:3], v[2:3], 1, v[12:13]
	v_and_b32_e32 v6, 0x300, v53
	s_waitcnt vmcnt(2)
	v_mad_i64_i32 v[20:21], s[8:9], v10, s41, 0
	s_waitcnt vmcnt(1)
	v_mad_i64_i32 v[24:25], s[8:9], v9, s41, 0
	v_lshl_add_u64 v[14:15], v[2:3], 0, v[6:7]
	v_lshlrev_b32_e32 v11, 5, v11
	v_lshl_add_u64 v[20:21], v[20:21], 1, v[12:13]
	v_lshl_add_u64 v[24:25], v[24:25], 1, v[12:13]
	s_load_dword s33, s[0:1], 0x98
	s_load_dword s6, s[0:1], 0x1c
	s_waitcnt lgkmcnt(0)
	s_barrier
	global_load_dwordx4 v[2:5], v[14:15], off
	s_waitcnt vmcnt(1)
	v_mad_i64_i32 v[26:27], s[8:9], v8, s41, 0
	v_lshl_or_b32 v8, v54, 9, v11
	v_lshl_add_u64 v[32:33], v[20:21], 0, v[6:7]
	v_lshl_add_u64 v[30:31], v[24:25], 0, v[6:7]
	ds_read_b128 v[16:19], v8
	ds_read_b128 v[8:11], v8 offset:2048
	global_load_dwordx4 v[20:23], v[32:33], off
	v_lshl_add_u64 v[12:13], v[26:27], 1, v[12:13]
	global_load_dwordx4 v[24:27], v[30:31], off
	v_lshl_add_u64 v[28:29], v[12:13], 0, v[6:7]
	global_load_dwordx4 v[12:15], v[14:15], off offset:1024
	s_nop 0
	global_load_dwordx4 v[40:43], v[28:29], off
	global_load_dwordx4 v[44:47], v[32:33], off offset:1024
	global_load_dwordx4 v[62:65], v[28:29], off offset:1024
	v_and_or_b32 v6, v0, 48, s18
	global_load_dwordx4 v[30:33], v[30:31], off offset:1024
	v_mov_b32_e32 v70, s19
	v_cmp_gt_i32_e32 vcc, s38, v6
	v_or_b32_e32 v28, 0x80, v6
	v_ashrrev_i32_e32 v29, 4, v28
	v_lshlrev_b32_e32 v35, 5, v57
	s_add_u32 s4, s10, s4
	s_addc_u32 s5, s11, s5
	s_mov_b32 s40, 0xff7fffff
	v_lshlrev_b32_e32 v57, 2, v57
	s_waitcnt vmcnt(3) lgkmcnt(1)
	v_mfma_f32_16x16x16_f16 v[66:69], v[40:41], v[16:17], 0
	v_mfma_f32_16x16x16_f16 v[36:39], v[2:3], v[16:17], 0
	v_ashrrev_i32_e32 v2, 4, v6
	v_mfma_f32_16x16x16_f16 v[48:51], v[20:21], v[16:17], 0
	v_or_b32_e32 v20, 64, v6
	v_ashrrev_i32_e32 v21, 4, v20
	v_or_b32_e32 v6, 0xc0, v6
	v_mfma_f32_16x16x16_f16 v[58:61], v[24:25], v[16:17], 0
	v_cndmask_b32_e32 v16, v70, v2, vcc
	v_ashrrev_i32_e32 v17, 31, v16
	v_lshl_add_u64 v[16:17], v[16:17], 2, s[12:13]
	v_mfma_f32_16x16x16_f16 v[2:5], v[4:5], v[18:19], v[36:39]
	v_cmp_gt_i32_e32 vcc, s38, v20
	s_nop 1
	global_load_dword v36, v[16:17], off
	v_cndmask_b32_e32 v24, v70, v21, vcc
	v_ashrrev_i32_e32 v25, 31, v24
	v_lshl_add_u64 v[16:17], v[24:25], 2, s[12:13]
	global_load_dword v37, v[16:17], off
	v_cmp_gt_i32_e32 vcc, s38, v28
	v_ashrrev_i32_e32 v38, 4, v6
	s_waitcnt lgkmcnt(0)
	v_mfma_f32_16x16x16_f16 v[2:5], v[12:13], v[8:9], v[2:5]
	v_cndmask_b32_e32 v12, v70, v29, vcc
	v_cmp_gt_i32_e32 vcc, s38, v6
	v_ashrrev_i32_e32 v13, 31, v12
	v_lshl_add_u64 v[12:13], v[12:13], 2, s[12:13]
	v_cndmask_b32_e32 v28, v70, v38, vcc
	v_ashrrev_i32_e32 v29, 31, v28
	v_mfma_f32_16x16x16_f16 v[24:27], v[26:27], v[18:19], v[58:61]
	v_lshl_add_u64 v[28:29], v[28:29], 2, s[12:13]
	s_nop 1
	global_load_dword v58, v[12:13], off
	global_load_dword v59, v[28:29], off
	v_lshl_or_b32 v6, v55, 9, v35
	v_mfma_f32_16x16x16_f16 v[20:23], v[22:23], v[18:19], v[48:51]
	v_lshl_add_u64 v[12:13], s[4:5], 0, v[6:7]
	v_mfma_f32_16x16x16_f16 v[16:19], v[42:43], v[18:19], v[66:69]
	s_waitcnt vmcnt(5)
	v_mfma_f32_16x16x16_f16 v[16:19], v[62:63], v[8:9], v[16:19]
	s_waitcnt vmcnt(4)
	v_mfma_f32_16x16x16_f16 v[24:27], v[30:31], v[8:9], v[24:27]
	v_mfma_f32_16x16x16_f16 v[28:31], v[14:15], v[10:11], v[2:5]
	;; [unrolled: 1-line block ×3, first 2 shown]
	s_waitcnt vmcnt(3)
	s_nop 0
	v_mad_i64_i32 v[2:3], s[4:5], v36, s41, 0
	v_lshl_add_u64 v[14:15], v[2:3], 1, v[12:13]
	global_load_dwordx4 v[6:9], v[14:15], off
	global_load_dwordx4 v[2:5], v[14:15], off offset:16
	v_mfma_f32_16x16x16_f16 v[14:17], v[64:65], v[10:11], v[16:19]
	s_waitcnt vmcnt(4)
	v_mad_i64_i32 v[36:37], s[4:5], v37, s41, 0
	v_lshl_add_u64 v[38:39], v[36:37], 1, v[12:13]
	v_mfma_f32_16x16x16_f16 v[20:23], v[46:47], v[10:11], v[20:23]
	v_pk_mul_f32 v[48:49], s[6:7], v[30:31] op_sel_hi:[0,1]
	s_nop 1
	v_pk_mul_f32 v[42:43], s[6:7], v[14:15] op_sel_hi:[0,1]
	v_and_b32_e32 v14, 0xc0, v0
	v_add_u32_e32 v14, s18, v14
	v_lshl_or_b32 v14, v54, 2, v14
	v_pk_mul_f32 v[36:37], s[6:7], v[16:17] op_sel_hi:[0,1]
	v_or_b32_e32 v17, 1, v14
	v_mfma_f32_16x16x16_f16 v[24:27], v[32:33], v[10:11], v[24:27]
	v_pk_mul_f32 v[10:11], s[6:7], v[28:29] op_sel_hi:[0,1]
	v_mov_b32_e32 v15, 0xff7fffff
	v_cmp_gt_i32_e64 s[28:29], s38, v14
	v_cmp_gt_i32_e64 s[30:31], s38, v17
	v_or_b32_e32 v18, 3, v14
	v_cndmask_b32_e64 v16, v15, v10, s[28:29]
	v_cndmask_b32_e64 v17, v15, v11, s[30:31]
	v_max3_f32 v16, v16, s40, v17
	v_or_b32_e32 v17, 2, v14
	v_cmp_gt_i32_e64 s[34:35], s38, v17
	v_cmp_gt_i32_e64 s[36:37], s38, v18
	v_pk_mul_f32 v[40:41], s[6:7], v[20:21] op_sel_hi:[0,1]
	v_cndmask_b32_e64 v17, v15, v48, s[34:35]
	v_cndmask_b32_e64 v18, v15, v49, s[36:37]
	v_max3_f32 v16, v16, v17, v18
	v_or_b32_e32 v17, 16, v14
	v_or_b32_e32 v18, 17, v14
	v_cmp_gt_i32_e64 s[22:23], s38, v17
	v_cmp_gt_i32_e64 s[24:25], s38, v18
	v_pk_mul_f32 v[50:51], s[6:7], v[22:23] op_sel_hi:[0,1]
	v_cndmask_b32_e64 v17, v15, v40, s[22:23]
	v_cndmask_b32_e64 v18, v15, v41, s[24:25]
	v_max3_f32 v16, v16, v17, v18
	v_or_b32_e32 v17, 18, v14
	;; [unrolled: 8-line block ×4, first 2 shown]
	v_or_b32_e32 v18, 35, v14
	v_cmp_gt_i32_e64 s[10:11], s38, v17
	v_cmp_gt_i32_e64 s[12:13], s38, v18
	global_load_dwordx4 v[30:33], v[38:39], off
	global_load_dwordx4 v[26:29], v[38:39], off offset:16
	v_cndmask_b32_e64 v17, v15, v44, s[10:11]
	v_cndmask_b32_e64 v18, v15, v45, s[12:13]
	v_max3_f32 v16, v16, v17, v18
	v_or_b32_e32 v17, 48, v14
	v_or_b32_e32 v18, 49, v14
	v_cmp_gt_i32_e64 s[6:7], s38, v17
	v_cmp_gt_i32_e64 s[8:9], s38, v18
	s_nop 0
	v_cndmask_b32_e64 v17, v15, v42, s[6:7]
	v_cndmask_b32_e64 v18, v15, v43, s[8:9]
	v_max3_f32 v16, v16, v17, v18
	v_or_b32_e32 v17, 50, v14
	v_or_b32_e32 v14, 51, v14
	v_cmp_gt_i32_e32 vcc, s38, v17
	v_cmp_gt_i32_e64 s[4:5], s38, v14
	s_nop 0
	v_cndmask_b32_e32 v17, v15, v36, vcc
	v_cndmask_b32_e64 v14, v15, v37, s[4:5]
	v_max3_f32 v16, v16, v17, v14
	v_mbcnt_lo_u32_b32 v14, -1, 0
	v_mbcnt_hi_u32_b32 v17, -1, v14
	v_and_b32_e32 v14, 64, v17
	v_add_u32_e32 v18, 64, v14
	v_xor_b32_e32 v14, 32, v17
	v_cmp_lt_i32_e64 s[38:39], v14, v18
	s_nop 1
	v_cndmask_b32_e64 v14, v17, v14, s[38:39]
	v_lshlrev_b32_e32 v60, 2, v14
	ds_bpermute_b32 v19, v60, v16
	s_waitcnt vmcnt(5)
	v_mad_i64_i32 v[14:15], s[38:39], v58, s41, 0
	v_lshl_add_u64 v[14:15], v[14:15], 1, v[12:13]
	s_waitcnt lgkmcnt(0)
	v_max_f32_e32 v19, v19, v19
	v_max_f32_e32 v16, v16, v19
	v_xor_b32_e32 v19, 16, v17
	v_cmp_lt_i32_e64 s[38:39], v19, v18
	s_nop 1
	v_cndmask_b32_e64 v17, v17, v19, s[38:39]
	v_lshlrev_b32_e32 v61, 2, v17
	ds_bpermute_b32 v17, v61, v16
	global_load_dwordx4 v[22:25], v[14:15], off
	global_load_dwordx4 v[18:21], v[14:15], off offset:16
	s_waitcnt vmcnt(6)
	v_mad_i64_i32 v[14:15], s[38:39], v59, s41, 0
	v_lshl_add_u64 v[12:13], v[14:15], 1, v[12:13]
	s_waitcnt lgkmcnt(0)
	v_max_f32_e32 v14, v17, v17
	v_max_f32_e32 v58, v16, v14
	v_sub_f32_e32 v10, v10, v58
	v_mul_f32_e32 v10, 0x3fb8aa3b, v10
	v_exp_f32_e32 v38, v10
	v_sub_f32_e32 v10, v11, v58
	v_mul_f32_e32 v10, 0x3fb8aa3b, v10
	v_exp_f32_e32 v39, v10
	global_load_dwordx4 v[14:17], v[12:13], off
	s_nop 0
	global_load_dwordx4 v[10:13], v[12:13], off offset:16
	v_sub_f32_e32 v48, v48, v58
	v_mul_f32_e32 v48, 0x3fb8aa3b, v48
	v_sub_f32_e32 v49, v49, v58
	v_exp_f32_e32 v48, v48
	v_mul_f32_e32 v49, 0x3fb8aa3b, v49
	v_sub_f32_e32 v40, v40, v58
	v_exp_f32_e32 v49, v49
	v_mul_f32_e32 v40, 0x3fb8aa3b, v40
	v_sub_f32_e32 v41, v41, v58
	v_cndmask_b32_e64 v38, 0, v38, s[28:29]
	v_exp_f32_e32 v40, v40
	v_mul_f32_e32 v41, 0x3fb8aa3b, v41
	v_sub_f32_e32 v50, v50, v58
	v_add_f32_e32 v59, 0, v38
	v_cndmask_b32_e64 v39, 0, v39, s[30:31]
	v_exp_f32_e32 v41, v41
	v_mul_f32_e32 v50, 0x3fb8aa3b, v50
	v_sub_f32_e32 v51, v51, v58
	v_add_f32_e32 v59, v59, v39
	;; [unrolled: 5-line block ×10, first 2 shown]
	v_cndmask_b32_e64 v44, 0, v44, s[10:11]
	v_exp_f32_e32 v36, v36
	v_mul_f32_e32 v37, 0x3fb8aa3b, v37
	v_add_f32_e32 v59, v59, v44
	v_cndmask_b32_e64 v45, 0, v45, s[12:13]
	v_exp_f32_e32 v37, v37
	v_add_f32_e32 v59, v59, v45
	v_cndmask_b32_e64 v42, 0, v42, s[6:7]
	v_add_f32_e32 v59, v59, v42
	v_cndmask_b32_e64 v43, 0, v43, s[8:9]
	v_add_f32_e32 v59, v59, v43
	v_cndmask_b32_e32 v36, 0, v36, vcc
	v_add_f32_e32 v59, v59, v36
	v_cndmask_b32_e64 v37, 0, v37, s[4:5]
	v_add_f32_e32 v59, v59, v37
	ds_bpermute_b32 v60, v60, v59
	v_cmp_gt_u32_e32 vcc, 16, v56
	s_waitcnt lgkmcnt(0)
	s_barrier
	v_add_f32_e32 v59, v59, v60
	ds_bpermute_b32 v60, v61, v59
	s_and_saveexec_b64 s[4:5], vcc
	s_cbranch_execz .LBB55_13
; %bb.12:
	s_waitcnt lgkmcnt(0)
	v_add_f32_e32 v56, v59, v60
	v_lshl_or_b32 v59, v55, 6, v57
	ds_write2st64_b32 v59, v58, v56 offset1:1
.LBB55_13:
	s_or_b64 exec, exec, s[4:5]
	s_load_dword s6, s[0:1], 0x94
	s_waitcnt lgkmcnt(0)
	s_barrier
	ds_read2_b32 v[58:59], v57 offset1:16
	ds_read2_b32 v[60:61], v57 offset0:32 offset1:48
	ds_read2_b32 v[62:63], v57 offset0:64 offset1:80
	s_lshl_b32 s7, s33, 2
	s_waitcnt lgkmcnt(2)
	v_max3_f32 v56, v58, s40, v59
	s_waitcnt lgkmcnt(1)
	v_max3_f32 v56, v56, v60, v61
	v_sub_f32_e32 v58, v58, v56
	v_mul_f32_e32 v58, 0x3fb8aa3b, v58
	v_exp_f32_e32 v64, v58
	v_sub_f32_e32 v58, v59, v56
	v_mul_f32_e32 v58, 0x3fb8aa3b, v58
	v_exp_f32_e32 v65, v58
	;; [unrolled: 3-line block ×3, first 2 shown]
	ds_read2_b32 v[58:59], v57 offset0:96 offset1:112
	v_sub_f32_e32 v57, v61, v56
	v_mul_f32_e32 v57, 0x3fb8aa3b, v57
	v_exp_f32_e32 v61, v57
	s_waitcnt lgkmcnt(1)
	v_fma_f32 v57, v64, v62, 0
	v_fmac_f32_e32 v57, v65, v63
	s_waitcnt lgkmcnt(0)
	v_fmac_f32_e32 v57, v60, v58
	v_fmac_f32_e32 v57, v61, v59
	v_add_f32_e32 v58, 0x358637bd, v57
	v_div_scale_f32 v59, s[4:5], v58, v58, 1.0
	v_rcp_f32_e32 v62, v59
	s_barrier
	v_fma_f32 v63, -v59, v62, 1.0
	v_fmac_f32_e32 v62, v63, v62
	v_div_scale_f32 v63, vcc, 1.0, v58, 1.0
	v_mul_f32_e32 v66, v63, v62
	v_fma_f32 v67, -v59, v66, v63
	v_fmac_f32_e32 v66, v67, v62
	v_fma_f32 v59, -v59, v66, v63
	v_div_fmas_f32 v59, v59, v62, v66
	v_cmp_eq_u32_e32 vcc, 1, v55
	v_div_fixup_f32 v58, v59, v58, 1.0
	s_nop 0
	v_cndmask_b32_e32 v59, v64, v65, vcc
	v_cmp_eq_u32_e32 vcc, 2, v55
	s_nop 1
	v_cndmask_b32_e32 v59, v59, v60, vcc
	v_cmp_eq_u32_e32 vcc, 3, v55
	s_nop 1
	v_cndmask_b32_e32 v59, v59, v61, vcc
	v_mul_f32_e32 v58, v59, v58
	v_pk_mul_f32 v[48:49], v[58:59], v[48:49] op_sel_hi:[0,1]
	v_pk_mul_f32 v[38:39], v[58:59], v[38:39] op_sel_hi:[0,1]
	v_cvt_f16_f32_e32 v59, v48
	v_cvt_f16_f32_e32 v49, v49
	;; [unrolled: 1-line block ×4, first 2 shown]
	v_cmp_gt_u32_e32 vcc, 4, v0
	v_pack_b32_f16 v49, v59, v49
	v_lshlrev_b32_e32 v59, 3, v54
	v_pack_b32_f16 v48, v38, v39
	v_pk_mul_f32 v[38:39], v[58:59], v[50:51] op_sel_hi:[0,1]
	v_pk_mul_f32 v[40:41], v[58:59], v[40:41] op_sel_hi:[0,1]
	v_cvt_f16_f32_e32 v40, v40
	v_cvt_f16_f32_e32 v41, v41
	;; [unrolled: 1-line block ×4, first 2 shown]
	v_lshlrev_b32_e32 v38, 11, v55
	v_or3_b32 v38, v38, v35, v59
	v_pack_b32_f16 v40, v40, v41
	v_pack_b32_f16 v41, v50, v39
	ds_write2st64_b64 v38, v[48:49], v[40:41] offset1:1
	v_pk_mul_f32 v[40:41], v[58:59], v[44:45] op_sel_hi:[0,1]
	v_pk_mul_f32 v[44:45], v[58:59], v[46:47] op_sel_hi:[0,1]
	v_cvt_f16_f32_e32 v39, v44
	v_cvt_f16_f32_e32 v44, v45
	;; [unrolled: 1-line block ×4, first 2 shown]
	v_pk_mul_f32 v[36:37], v[58:59], v[36:37] op_sel_hi:[0,1]
	v_pk_mul_f32 v[40:41], v[58:59], v[42:43] op_sel_hi:[0,1]
	v_cvt_f16_f32_e32 v40, v40
	v_cvt_f16_f32_e32 v41, v41
	;; [unrolled: 1-line block ×4, first 2 shown]
	v_pack_b32_f16 v36, v39, v44
	v_pack_b32_f16 v37, v45, v46
	;; [unrolled: 1-line block ×4, first 2 shown]
	ds_write2st64_b64 v38, v[36:37], v[40:41] offset0:2 offset1:3
	s_and_saveexec_b64 s[4:5], vcc
	s_cbranch_execz .LBB55_15
; %bb.14:
	v_or_b32_e32 v36, s27, v0
	v_mov_b32_e32 v37, 0
	v_mov_b32_e32 v39, s7
	v_mad_u64_u32 v[40:41], s[12:13], s2, v39, v[36:37]
	v_mov_b32_e32 v36, s26
	s_load_dwordx4 s[8:11], s[0:1], 0x58
	s_mul_i32 s3, s3, s7
	v_mad_u64_u32 v[36:37], s[12:13], v40, s6, v[36:37]
	v_add_u32_e32 v39, s3, v41
	v_mov_b32_e32 v40, v37
	v_mad_u64_u32 v[40:41], s[12:13], v39, s6, v[40:41]
	v_mov_b32_e32 v37, v40
	v_lshlrev_b64 v[36:37], 2, v[36:37]
	s_waitcnt lgkmcnt(0)
	v_lshl_add_u64 v[40:41], s[10:11], 0, v[36:37]
	v_lshl_add_u64 v[36:37], s[8:9], 0, v[36:37]
	global_store_dword v[40:41], v56, off
	global_store_dword v[36:37], v57, off
.LBB55_15:
	s_or_b64 exec, exec, s[4:5]
	v_lshl_or_b32 v35, v54, 9, v35
	s_waitcnt lgkmcnt(0)
	s_barrier
	ds_read_b128 v[40:43], v35
	ds_read_b128 v[44:47], v35 offset:16
	s_waitcnt vmcnt(7) lgkmcnt(1)
	v_mfma_f32_16x16x16_f16 v[48:51], v[6:7], v[40:41], 0
	s_mov_b32 s3, 0
	v_mfma_f32_16x16x16_f16 v[6:9], v[8:9], v[42:43], v[48:51]
	s_waitcnt vmcnt(6) lgkmcnt(0)
	v_mfma_f32_16x16x16_f16 v[6:9], v[2:3], v[44:45], v[6:9]
	v_mfma_f32_16x16x16_f16 v[2:5], v[4:5], v[46:47], v[6:9]
	s_nop 5
	ds_read_b128 v[6:9], v35 offset:2048
	ds_read_b128 v[40:43], v35 offset:2064
	s_waitcnt vmcnt(5) lgkmcnt(1)
	v_mfma_f32_16x16x16_f16 v[2:5], v[30:31], v[6:7], v[2:5]
	v_mfma_f32_16x16x16_f16 v[2:5], v[32:33], v[8:9], v[2:5]
	s_waitcnt vmcnt(4) lgkmcnt(0)
	v_mfma_f32_16x16x16_f16 v[2:5], v[26:27], v[40:41], v[2:5]
	v_mfma_f32_16x16x16_f16 v[2:5], v[28:29], v[42:43], v[2:5]
	ds_read_b128 v[6:9], v35 offset:4096
	ds_read_b128 v[26:29], v35 offset:4112
	s_waitcnt vmcnt(3) lgkmcnt(1)
	v_mfma_f32_16x16x16_f16 v[2:5], v[22:23], v[6:7], v[2:5]
	v_mfma_f32_16x16x16_f16 v[2:5], v[24:25], v[8:9], v[2:5]
	s_waitcnt vmcnt(2) lgkmcnt(0)
	v_mfma_f32_16x16x16_f16 v[2:5], v[18:19], v[26:27], v[2:5]
	v_mfma_f32_16x16x16_f16 v[2:5], v[20:21], v[28:29], v[2:5]
	ds_read_b128 v[6:9], v35 offset:6144
	ds_read_b128 v[18:21], v35 offset:6160
	v_mov_b32_e32 v35, 0
	s_waitcnt vmcnt(1) lgkmcnt(0)
	v_mfma_f32_16x16x16_f16 v[2:5], v[14:15], v[6:7], v[2:5]
	s_barrier
	v_mfma_f32_16x16x16_f16 v[2:5], v[16:17], v[8:9], v[2:5]
	s_waitcnt vmcnt(0)
	v_mfma_f32_16x16x16_f16 v[2:5], v[10:11], v[18:19], v[2:5]
	v_mfma_f32_16x16x16_f16 v[2:5], v[12:13], v[20:21], v[2:5]
	s_nop 6
	v_cvt_f16_f32_e32 v2, v2
	v_cvt_f16_f32_e32 v3, v3
	;; [unrolled: 1-line block ×4, first 2 shown]
	v_pack_b32_f16 v2, v2, v3
	v_pack_b32_f16 v3, v4, v5
	ds_write_b64 v38, v[2:3]
	s_waitcnt lgkmcnt(0)
	s_barrier
	s_and_saveexec_b64 s[4:5], s[44:45]
	s_cbranch_execz .LBB55_17
; %bb.16:
	s_load_dwordx2 s[0:1], s[0:1], 0x68
	s_lshl_b32 s6, s6, 6
	s_mul_i32 s2, s7, s2
	s_mul_hi_u32 s5, s2, s6
	s_mul_i32 s4, s2, s6
	v_lshlrev_b32_e32 v0, 10, v0
	s_lshl_b64 s[4:5], s[4:5], 1
	v_and_b32_e32 v0, 0x1800, v0
	v_and_b32_e32 v2, 16, v53
	s_waitcnt lgkmcnt(0)
	s_add_u32 s4, s0, s4
	v_or3_b32 v0, v0, v52, v2
	s_addc_u32 s5, s1, s5
	s_lshl_b32 s2, s26, 6
	ds_read_b128 v[2:5], v0
	s_lshl_b64 s[0:1], s[2:3], 1
	s_add_u32 s0, s4, s0
	s_addc_u32 s1, s5, s1
	v_mad_u64_u32 v[0:1], s[2:3], s6, v1, 0
	v_lshl_add_u64 v[0:1], v[0:1], 1, s[0:1]
	v_lshl_add_u64 v[0:1], v[0:1], 0, v[34:35]
	s_waitcnt lgkmcnt(0)
	global_store_dwordx4 v[0:1], v[2:5], off
.LBB55_17:
	s_endpgm
	.section	.rodata,"a",@progbits
	.p2align	6, 0x0
	.amdhsa_kernel _Z39paged_attention_ll4mi_QKV_mfma16_kernelIDF16_DF16_LN4vllm18Fp8KVCacheDataTypeE0EhLi16ELi64ELi256ELb0ELi4EEvPKT_PKT0_S7_ifPKiS9_S9_iPKfiiiPfSC_PS2_PT2_iSB_SB_
		.amdhsa_group_segment_fixed_size 8192
		.amdhsa_private_segment_fixed_size 0
		.amdhsa_kernarg_size 400
		.amdhsa_user_sgpr_count 2
		.amdhsa_user_sgpr_dispatch_ptr 0
		.amdhsa_user_sgpr_queue_ptr 0
		.amdhsa_user_sgpr_kernarg_segment_ptr 1
		.amdhsa_user_sgpr_dispatch_id 0
		.amdhsa_user_sgpr_kernarg_preload_length 0
		.amdhsa_user_sgpr_kernarg_preload_offset 0
		.amdhsa_user_sgpr_private_segment_size 0
		.amdhsa_uses_dynamic_stack 0
		.amdhsa_enable_private_segment 0
		.amdhsa_system_sgpr_workgroup_id_x 1
		.amdhsa_system_sgpr_workgroup_id_y 1
		.amdhsa_system_sgpr_workgroup_id_z 1
		.amdhsa_system_sgpr_workgroup_info 0
		.amdhsa_system_vgpr_workitem_id 0
		.amdhsa_next_free_vgpr 71
		.amdhsa_next_free_sgpr 46
		.amdhsa_accum_offset 72
		.amdhsa_reserve_vcc 1
		.amdhsa_float_round_mode_32 0
		.amdhsa_float_round_mode_16_64 0
		.amdhsa_float_denorm_mode_32 3
		.amdhsa_float_denorm_mode_16_64 3
		.amdhsa_dx10_clamp 1
		.amdhsa_ieee_mode 1
		.amdhsa_fp16_overflow 0
		.amdhsa_tg_split 0
		.amdhsa_exception_fp_ieee_invalid_op 0
		.amdhsa_exception_fp_denorm_src 0
		.amdhsa_exception_fp_ieee_div_zero 0
		.amdhsa_exception_fp_ieee_overflow 0
		.amdhsa_exception_fp_ieee_underflow 0
		.amdhsa_exception_fp_ieee_inexact 0
		.amdhsa_exception_int_div_zero 0
	.end_amdhsa_kernel
	.section	.text._Z39paged_attention_ll4mi_QKV_mfma16_kernelIDF16_DF16_LN4vllm18Fp8KVCacheDataTypeE0EhLi16ELi64ELi256ELb0ELi4EEvPKT_PKT0_S7_ifPKiS9_S9_iPKfiiiPfSC_PS2_PT2_iSB_SB_,"axG",@progbits,_Z39paged_attention_ll4mi_QKV_mfma16_kernelIDF16_DF16_LN4vllm18Fp8KVCacheDataTypeE0EhLi16ELi64ELi256ELb0ELi4EEvPKT_PKT0_S7_ifPKiS9_S9_iPKfiiiPfSC_PS2_PT2_iSB_SB_,comdat
.Lfunc_end55:
	.size	_Z39paged_attention_ll4mi_QKV_mfma16_kernelIDF16_DF16_LN4vllm18Fp8KVCacheDataTypeE0EhLi16ELi64ELi256ELb0ELi4EEvPKT_PKT0_S7_ifPKiS9_S9_iPKfiiiPfSC_PS2_PT2_iSB_SB_, .Lfunc_end55-_Z39paged_attention_ll4mi_QKV_mfma16_kernelIDF16_DF16_LN4vllm18Fp8KVCacheDataTypeE0EhLi16ELi64ELi256ELb0ELi4EEvPKT_PKT0_S7_ifPKiS9_S9_iPKfiiiPfSC_PS2_PT2_iSB_SB_
                                        ; -- End function
	.section	.AMDGPU.csdata,"",@progbits
; Kernel info:
; codeLenInByte = 3668
; NumSgprs: 52
; NumVgprs: 71
; NumAgprs: 0
; TotalNumVgprs: 71
; ScratchSize: 0
; MemoryBound: 0
; FloatMode: 240
; IeeeMode: 1
; LDSByteSize: 8192 bytes/workgroup (compile time only)
; SGPRBlocks: 6
; VGPRBlocks: 8
; NumSGPRsForWavesPerEU: 52
; NumVGPRsForWavesPerEU: 71
; AccumOffset: 72
; Occupancy: 7
; WaveLimiterHint : 1
; COMPUTE_PGM_RSRC2:SCRATCH_EN: 0
; COMPUTE_PGM_RSRC2:USER_SGPR: 2
; COMPUTE_PGM_RSRC2:TRAP_HANDLER: 0
; COMPUTE_PGM_RSRC2:TGID_X_EN: 1
; COMPUTE_PGM_RSRC2:TGID_Y_EN: 1
; COMPUTE_PGM_RSRC2:TGID_Z_EN: 1
; COMPUTE_PGM_RSRC2:TIDIG_COMP_CNT: 0
; COMPUTE_PGM_RSRC3_GFX90A:ACCUM_OFFSET: 17
; COMPUTE_PGM_RSRC3_GFX90A:TG_SPLIT: 0
	.section	.text._Z38paged_attention_ll4mi_QKV_mfma4_kernelIDF16_DF16_LN4vllm18Fp8KVCacheDataTypeE0EDF16_Li16ELi64ELi256ELb1ELi1EEvPKT_PKT0_S7_ifPKiS9_S9_iPKfiiiPfSC_PS2_PT2_iSB_SB_,"axG",@progbits,_Z38paged_attention_ll4mi_QKV_mfma4_kernelIDF16_DF16_LN4vllm18Fp8KVCacheDataTypeE0EDF16_Li16ELi64ELi256ELb1ELi1EEvPKT_PKT0_S7_ifPKiS9_S9_iPKfiiiPfSC_PS2_PT2_iSB_SB_,comdat
	.protected	_Z38paged_attention_ll4mi_QKV_mfma4_kernelIDF16_DF16_LN4vllm18Fp8KVCacheDataTypeE0EDF16_Li16ELi64ELi256ELb1ELi1EEvPKT_PKT0_S7_ifPKiS9_S9_iPKfiiiPfSC_PS2_PT2_iSB_SB_ ; -- Begin function _Z38paged_attention_ll4mi_QKV_mfma4_kernelIDF16_DF16_LN4vllm18Fp8KVCacheDataTypeE0EDF16_Li16ELi64ELi256ELb1ELi1EEvPKT_PKT0_S7_ifPKiS9_S9_iPKfiiiPfSC_PS2_PT2_iSB_SB_
	.globl	_Z38paged_attention_ll4mi_QKV_mfma4_kernelIDF16_DF16_LN4vllm18Fp8KVCacheDataTypeE0EDF16_Li16ELi64ELi256ELb1ELi1EEvPKT_PKT0_S7_ifPKiS9_S9_iPKfiiiPfSC_PS2_PT2_iSB_SB_
	.p2align	8
	.type	_Z38paged_attention_ll4mi_QKV_mfma4_kernelIDF16_DF16_LN4vllm18Fp8KVCacheDataTypeE0EDF16_Li16ELi64ELi256ELb1ELi1EEvPKT_PKT0_S7_ifPKiS9_S9_iPKfiiiPfSC_PS2_PT2_iSB_SB_,@function
_Z38paged_attention_ll4mi_QKV_mfma4_kernelIDF16_DF16_LN4vllm18Fp8KVCacheDataTypeE0EDF16_Li16ELi64ELi256ELb1ELi1EEvPKT_PKT0_S7_ifPKiS9_S9_iPKfiiiPfSC_PS2_PT2_iSB_SB_: ; @_Z38paged_attention_ll4mi_QKV_mfma4_kernelIDF16_DF16_LN4vllm18Fp8KVCacheDataTypeE0EDF16_Li16ELi64ELi256ELb1ELi1EEvPKT_PKT0_S7_ifPKiS9_S9_iPKfiiiPfSC_PS2_PT2_iSB_SB_
; %bb.0:
	s_load_dwordx2 s[8:9], s[0:1], 0x30
	s_mov_b32 s16, s3
	s_mov_b64 s[6:7], 0
	s_waitcnt lgkmcnt(0)
	s_cmp_lg_u64 s[8:9], 0
	s_cselect_b64 s[10:11], -1, 0
	s_and_b64 vcc, exec, s[10:11]
	s_cbranch_vccz .LBB56_10
; %bb.1:
	s_add_i32 s12, s2, 1
	s_mov_b32 s13, 0
	s_lshl_b64 s[14:15], s[12:13], 2
	s_add_u32 s14, s8, s14
	s_mov_b32 s3, s13
	s_addc_u32 s15, s9, s15
	s_lshl_b64 s[12:13], s[2:3], 2
	s_add_u32 s12, s8, s12
	s_addc_u32 s13, s9, s13
	s_load_dword s5, s[14:15], 0x0
	s_load_dword s17, s[12:13], 0x0
	s_waitcnt lgkmcnt(0)
	s_sub_i32 s5, s5, s17
	s_cmp_eq_u32 s5, 1
	s_cselect_b64 s[12:13], -1, 0
	s_andn2_b64 vcc, exec, s[6:7]
	s_cbranch_vccnz .LBB56_3
.LBB56_2:
	s_mov_b32 s3, 0
	s_mov_b64 s[12:13], -1
.LBB56_3:
	s_andn2_b64 vcc, exec, s[12:13]
	s_cbranch_vccnz .LBB56_25
; %bb.4:
	s_load_dword s5, s[0:1], 0x9c
	s_load_dwordx2 s[6:7], s[0:1], 0x28
	s_add_u32 s20, s0, 0x90
	s_addc_u32 s21, s1, 0
	s_lshl_b64 s[24:25], s[2:3], 2
	s_waitcnt lgkmcnt(0)
	s_and_b32 s5, s5, 0xffff
	s_add_u32 s6, s6, s24
	s_addc_u32 s7, s7, s25
	s_load_dword s3, s[6:7], 0x0
	s_mul_i32 s5, s16, s5
	s_waitcnt lgkmcnt(0)
	s_cmp_ge_i32 s5, s3
	s_cbranch_scc1 .LBB56_25
; %bb.5:
	v_and_b32_e32 v2, 0xc0, v0
	v_add_u32_e32 v2, s5, v2
	v_lshrrev_b32_e32 v1, 6, v0
	v_cmp_gt_i32_e64 s[6:7], s3, v2
	v_cmp_le_i32_e32 vcc, s3, v2
                                        ; implicit-def: $sgpr26
                                        ; implicit-def: $sgpr17
	s_and_saveexec_b64 s[12:13], vcc
	s_xor_b64 s[12:13], exec, s[12:13]
	s_cbranch_execz .LBB56_7
; %bb.6:
	v_mul_u32_u24_e32 v2, 20, v1
	v_or_b32_e32 v2, 0xa00, v2
	v_mov_b32_e32 v3, 0xa50
	v_mov_b32_e32 v4, 0xff7fffff
	v_mad_u32_u24 v3, v1, 20, v3
	ds_write2_b32 v2, v4, v4 offset1:1
	v_mov_b32_e32 v2, 0
	ds_write2_b32 v3, v2, v2 offset1:1
	v_mov_b32_e32 v3, 0xa08
	s_mov_b32 s17, 0xff7fffff
	s_mov_b32 s26, 0
	v_mad_u32_u24 v3, v1, 20, v3
	v_mov_b32_e32 v5, 0xa58
	v_mad_u32_u24 v5, v1, 20, v5
	ds_write2_b32 v3, v4, v4 offset1:1
	ds_write2_b32 v5, v2, v2 offset1:1
                                        ; implicit-def: $vgpr2
.LBB56_7:
	s_or_saveexec_b64 s[22:23], s[12:13]
	s_load_dwordx2 s[18:19], s[0:1], 0x68
	s_load_dwordx4 s[12:15], s[0:1], 0x58
	s_load_dword s33, s[20:21], 0x4
	v_and_b32_e32 v56, 63, v0
	v_and_b32_e32 v57, 3, v0
	v_mov_b32_e32 v37, s26
	v_mov_b32_e32 v40, s17
	;; [unrolled: 1-line block ×5, first 2 shown]
                                        ; implicit-def: $vgpr3
                                        ; implicit-def: $vgpr7
                                        ; implicit-def: $vgpr11
                                        ; implicit-def: $vgpr15
                                        ; implicit-def: $vgpr19
                                        ; implicit-def: $vgpr23
                                        ; implicit-def: $vgpr27
                                        ; implicit-def: $vgpr31
	s_xor_b64 exec, exec, s[22:23]
	s_cbranch_execz .LBB56_19
; %bb.8:
	s_add_i32 s28, s3, 15
	s_ashr_i32 s29, s28, 31
	s_lshr_b32 s29, s29, 28
	v_add_u32_e32 v58, s5, v0
	s_add_i32 s28, s28, s29
	v_ashrrev_i32_e32 v3, 31, v58
	s_load_dwordx2 s[26:27], s[0:1], 0x20
	s_load_dword s17, s[0:1], 0x38
	s_ashr_i32 s28, s28, 4
	v_lshrrev_b32_e32 v3, 28, v3
	s_add_i32 s30, s28, -1
	v_add_u32_e32 v3, v58, v3
	v_ashrrev_i32_e32 v3, 4, v3
	v_mov_b32_e32 v4, s30
	v_cmp_gt_i32_e32 vcc, s3, v58
	s_waitcnt lgkmcnt(0)
	s_mul_i32 s28, s2, s17
	s_mov_b32 s29, 0
	v_cndmask_b32_e32 v4, v4, v3, vcc
	v_ashrrev_i32_e32 v3, 31, v2
	v_lshrrev_b32_e32 v3, 28, v3
	v_add_u32_e32 v2, v2, v3
	s_lshl_b64 s[28:29], s[28:29], 2
	v_ashrrev_i32_e32 v10, 4, v2
	s_add_u32 s26, s26, s28
	v_min_i32_e32 v2, s30, v10
	s_addc_u32 s27, s27, s29
	v_ashrrev_i32_e32 v3, 31, v2
	v_lshl_add_u64 v[6:7], v[2:3], 2, s[26:27]
	v_add_u32_e32 v2, 1, v10
	v_min_i32_e32 v2, s30, v2
	v_ashrrev_i32_e32 v3, 31, v2
	v_lshl_add_u64 v[8:9], v[2:3], 2, s[26:27]
	v_add_u32_e32 v2, 2, v10
	v_min_i32_e32 v2, s30, v2
	v_ashrrev_i32_e32 v3, 31, v2
	v_lshl_add_u64 v[12:13], v[2:3], 2, s[26:27]
	v_add_u32_e32 v2, 3, v10
	v_ashrrev_i32_e32 v5, 31, v4
	v_min_i32_e32 v2, s30, v2
	v_lshl_add_u64 v[4:5], v[4:5], 2, s[26:27]
	v_ashrrev_i32_e32 v3, 31, v2
	v_lshl_add_u64 v[14:15], v[2:3], 2, s[26:27]
	global_load_dword v3, v[4:5], off
	global_load_dword v2, v[6:7], off
	;; [unrolled: 1-line block ×5, first 2 shown]
	s_load_dwordx2 s[28:29], s[0:1], 0x8
	s_andn2_b64 vcc, exec, s[10:11]
	s_cbranch_vccnz .LBB56_11
; %bb.9:
	s_add_u32 s8, s8, s24
	s_addc_u32 s9, s9, s25
	s_load_dword s5, s[8:9], 0x0
	s_branch .LBB56_12
.LBB56_10:
	s_mov_b64 s[12:13], 0
	s_branch .LBB56_2
.LBB56_11:
	s_mov_b32 s5, s2
.LBB56_12:
	s_load_dwordx2 s[24:25], s[0:1], 0x10
	s_load_dwordx4 s[8:11], s[0:1], 0x48
	v_cmp_eq_u32_e32 vcc, 0, v57
	s_mov_b32 s27, 0
	v_mov_b32_e32 v55, 0
	v_mov_b32_e32 v26, 0
	;; [unrolled: 1-line block ×5, first 2 shown]
	s_and_saveexec_b64 s[30:31], vcc
	s_cbranch_execz .LBB56_14
; %bb.13:
	s_load_dwordx2 s[34:35], s[0:1], 0x0
	s_waitcnt lgkmcnt(0)
	s_ashr_i32 s11, s8, 31
	s_mul_hi_u32 s17, s5, s8
	s_mul_i32 s11, s5, s11
	s_add_i32 s37, s17, s11
	s_mul_i32 s36, s5, s8
	s_lshl_b64 s[36:37], s[36:37], 1
	s_add_u32 s5, s34, s36
	s_addc_u32 s8, s35, s37
	s_lshl_b32 s26, s4, 6
	s_lshl_b64 s[34:35], s[26:27], 1
	s_add_u32 s34, s5, s34
	s_addc_u32 s35, s8, s35
	v_lshlrev_b32_e32 v4, 2, v56
	global_load_dwordx4 v[26:29], v4, s[34:35]
.LBB56_14:
	s_or_b64 exec, exec, s[30:31]
	s_waitcnt lgkmcnt(0)
	s_mul_i32 s26, s4, s10
	s_lshl_b64 s[10:11], s[26:27], 1
	s_add_u32 s28, s10, s28
	s_waitcnt vmcnt(4)
	v_mad_i64_i32 v[4:5], s[30:31], v3, s9, 0
	s_addc_u32 s29, s11, s29
	v_and_b32_e32 v3, 15, v0
	v_lshl_add_u64 v[4:5], v[4:5], 1, s[28:29]
	v_lshlrev_b32_e32 v54, 4, v3
	v_lshl_add_u64 v[4:5], v[4:5], 0, v[54:55]
	global_load_dwordx4 v[50:53], v[4:5], off
	global_load_dwordx4 v[46:49], v[4:5], off offset:256
	global_load_dwordx4 v[22:25], v[4:5], off offset:512
	;; [unrolled: 1-line block ×7, first 2 shown]
	v_mov_b32_e32 v54, 0
	s_and_saveexec_b64 s[28:29], vcc
	s_cbranch_execz .LBB56_16
; %bb.15:
	s_load_dwordx2 s[30:31], s[0:1], 0x40
	s_mov_b32 s5, s27
	s_lshl_b64 s[26:27], s[4:5], 2
	v_mov_b32_e32 v55, 1.0
	s_waitcnt lgkmcnt(0)
	s_add_u32 s26, s30, s26
	s_addc_u32 s27, s31, s27
	s_load_dword s5, s[26:27], 0x0
	s_waitcnt lgkmcnt(0)
	v_mov_b32_e32 v54, s5
.LBB56_16:
	s_or_b64 exec, exec, s[28:29]
	s_waitcnt vmcnt(7)
	v_mfma_f32_4x4x4_16b_f16 a[0:3], v[26:27], v[50:51], 0 cbsz:4
	s_add_u32 s10, s24, s10
	v_mul_hi_i32 v3, v2, s9
	v_mfma_f32_4x4x4_16b_f16 a[0:3], v[28:29], v[52:53], a[0:3] cbsz:4
	s_addc_u32 s11, s25, s11
	v_lshlrev_b32_e32 v62, 5, v56
	s_waitcnt vmcnt(6)
	v_mfma_f32_4x4x4_16b_f16 a[0:3], v[26:27], v[46:47], a[0:3] cbsz:4 abid:1
	v_mov_b32_e32 v63, 0
	v_ashrrev_i32_e32 v3, 31, v3
	v_mfma_f32_4x4x4_16b_f16 a[0:3], v[28:29], v[48:49], a[0:3] cbsz:4 abid:1
	v_mul_hi_i32 v11, v10, s9
	v_lshl_add_u64 v[64:65], s[10:11], 0, v[62:63]
	s_waitcnt vmcnt(5)
	v_mfma_f32_4x4x4_16b_f16 a[0:3], v[26:27], v[22:23], a[0:3] cbsz:4 abid:2
	v_lshrrev_b32_e32 v62, 29, v3
	v_ashrrev_i32_e32 v11, 31, v11
	v_mfma_f32_4x4x4_16b_f16 a[0:3], v[28:29], v[24:25], a[0:3] cbsz:4 abid:2
	v_mul_hi_i32 v50, v60, s9
	v_mad_i64_i32 v[2:3], s[10:11], v2, s9, v[62:63]
	s_waitcnt vmcnt(4)
	v_mfma_f32_4x4x4_16b_f16 a[0:3], v[26:27], v[18:19], a[0:3] cbsz:4 abid:3
	v_lshrrev_b32_e32 v62, 29, v11
	v_ashrrev_i32_e32 v50, 31, v50
	v_mfma_f32_4x4x4_16b_f16 a[0:3], v[28:29], v[20:21], a[0:3] cbsz:4 abid:3
	v_mad_i64_i32 v[10:11], s[10:11], v10, s9, v[62:63]
	s_waitcnt vmcnt(3)
	v_mfma_f32_4x4x4_16b_f16 a[0:3], v[26:27], v[42:43], a[0:3] cbsz:4 abid:4
	v_mul_hi_i32 v42, v59, s9
	v_lshrrev_b32_e32 v62, 29, v50
	v_mfma_f32_4x4x4_16b_f16 a[0:3], v[28:29], v[44:45], a[0:3] cbsz:4 abid:4
	v_ashrrev_i32_e32 v42, 31, v42
	s_load_dword s0, s[0:1], 0x1c
	s_waitcnt vmcnt(2)
	v_mfma_f32_4x4x4_16b_f16 a[0:3], v[26:27], v[38:39], a[0:3] cbsz:4 abid:5
	v_mad_i64_i32 v[46:47], s[10:11], v60, s9, v[62:63]
	s_nop 0
	v_mfma_f32_4x4x4_16b_f16 a[0:3], v[28:29], v[40:41], a[0:3] cbsz:4 abid:5
	v_lshrrev_b32_e32 v62, 29, v42
	v_mad_i64_i32 v[38:39], s[8:9], v59, s9, v[62:63]
	s_waitcnt vmcnt(1)
	v_mfma_f32_4x4x4_16b_f16 a[0:3], v[26:27], v[34:35], a[0:3] cbsz:4 abid:6
	v_lshlrev_b64 v[2:3], 1, v[2:3]
	v_lshlrev_b64 v[10:11], 1, v[10:11]
	v_mfma_f32_4x4x4_16b_f16 a[0:3], v[28:29], v[36:37], a[0:3] cbsz:4 abid:6
	v_lshlrev_b64 v[22:23], 1, v[46:47]
	v_lshlrev_b64 v[34:35], 1, v[38:39]
	s_waitcnt vmcnt(0)
	v_mfma_f32_4x4x4_16b_f16 a[0:3], v[26:27], v[30:31], a[0:3] cbsz:4 abid:7
	v_and_b32_e32 v2, -16, v2
	v_and_b32_e32 v10, -16, v10
	v_mfma_f32_4x4x4_16b_f16 a[0:3], v[28:29], v[32:33], a[0:3] cbsz:4 abid:7
	v_and_b32_e32 v22, -16, v22
	v_and_b32_e32 v34, -16, v34
	v_lshl_add_u64 v[12:13], v[64:65], 0, v[2:3]
	v_lshl_add_u64 v[66:67], v[64:65], 0, v[10:11]
	;; [unrolled: 1-line block ×3, first 2 shown]
	v_accvgpr_read_b32 v27, a1
	v_lshl_add_u64 v[34:35], v[64:65], 0, v[34:35]
	v_accvgpr_read_b32 v26, a0
	global_load_dwordx4 v[2:5], v[12:13], off
	global_load_dwordx4 v[6:9], v[12:13], off offset:16
	s_nop 0
	global_load_dwordx4 v[10:13], v[66:67], off
	global_load_dwordx4 v[14:17], v[66:67], off offset:16
	global_load_dwordx4 v[18:21], v[46:47], off
	global_load_dwordx4 v[22:25], v[46:47], off offset:16
	s_waitcnt lgkmcnt(0)
	v_pk_mul_f32 v[36:37], s[0:1], v[26:27] op_sel_hi:[0,1]
	global_load_dwordx4 v[26:29], v[34:35], off
	global_load_dwordx4 v[30:33], v[34:35], off offset:16
	v_accvgpr_read_b32 v35, a3
	v_accvgpr_read_b32 v34, a2
	v_pk_mul_f32 v[34:35], s[0:1], v[34:35] op_sel_hi:[0,1]
	v_mfma_f32_4x4x1_16b_f32 a[0:3], v36, v55, 0
	v_cmp_eq_u32_e32 vcc, 1, v57
	v_mov_b32_e32 v41, 0xff7fffff
	s_nop 0
	v_cndmask_b32_e64 v36, 0, 1.0, vcc
	v_cmp_eq_u32_e32 vcc, 2, v57
	s_nop 0
	v_mfma_f32_4x4x1_16b_f32 a[0:3], v37, v36, a[0:3]
	v_cndmask_b32_e64 v36, 0, 1.0, vcc
	v_cmp_eq_u32_e32 vcc, 3, v57
	s_nop 0
	v_mfma_f32_4x4x1_16b_f32 a[0:3], v34, v36, a[0:3]
	v_cndmask_b32_e64 v34, 0, 1.0, vcc
	s_nop 1
	v_mfma_f32_4x4x1_16b_f32 a[0:3], v35, v34, a[0:3]
	v_and_b32_e32 v34, -4, v58
	v_subrev_u32_e32 v35, s3, v34
	v_add_u32_e32 v36, 1, v35
	v_cvt_f32_i32_e32 v36, v36
	v_add_u32_e32 v37, 2, v35
	v_cvt_f32_i32_e32 v37, v37
	v_accvgpr_read_b32 v38, a0
	v_fma_f32 v36, v54, v36, v38
	v_accvgpr_read_b32 v38, a1
	v_fma_f32 v37, v54, v37, v38
	v_add_u32_e32 v38, 3, v35
	v_cvt_f32_i32_e32 v38, v38
	v_add_u32_e32 v35, 4, v35
	v_max_f32_e32 v40, 0xff7fffff, v36
	v_cmp_gt_i32_e32 vcc, s3, v34
	v_cvt_f32_i32_e32 v35, v35
	v_accvgpr_read_b32 v39, a2
	v_cndmask_b32_e32 v40, v41, v40, vcc
	v_or_b32_e32 v41, 1, v34
	v_max_f32_e32 v42, v40, v37
	v_cmp_gt_i32_e64 s[0:1], s3, v41
	v_fma_f32 v38, v54, v38, v39
	v_or_b32_e32 v34, 2, v34
	v_cndmask_b32_e64 v40, v40, v42, s[0:1]
	v_accvgpr_read_b32 v39, a3
	v_max_f32_e32 v41, v40, v38
	v_cmp_gt_i32_e64 s[8:9], s3, v34
	v_fmac_f32_e32 v39, v54, v35
	v_lshlrev_b32_e32 v35, 2, v0
	v_cndmask_b32_e64 v34, v40, v41, s[8:9]
	v_or_b32_e32 v40, 3, v58
	v_max_f32_e32 v41, v34, v39
	v_cmp_gt_i32_e64 s[10:11], s3, v40
	v_and_or_b32 v35, v35, 48, v57
	s_nop 0
	v_cndmask_b32_e64 v34, v34, v41, s[10:11]
	;;#ASMSTART
	v_nop
 v_nop
 v_max_f32_dpp v34, v34, v34 row_ror:4
	;;#ASMEND
	v_lshlrev_b32_e32 v41, 2, v35
	;;#ASMSTART
	v_nop
 v_nop
 v_max_f32_dpp v34, v34, v34 row_ror:8
	;;#ASMEND
	ds_bpermute_b32 v34, v41, v34
	s_waitcnt lgkmcnt(0)
	;;#ASMSTART
	v_nop
 v_nop
 v_max_f32_dpp v34, v34, v34 row_ror:4
	;;#ASMEND
	s_nop 0
	;;#ASMSTART
	v_nop
 v_nop
 v_max_f32_dpp v40, v34, v34 row_ror:8
	;;#ASMEND
	s_nop 0
	v_sub_f32_e32 v34, v36, v40
	v_mul_f32_e32 v34, 0x3fb8aa3b, v34
	v_sub_f32_e32 v35, v37, v40
	v_exp_f32_e32 v34, v34
	v_mul_f32_e32 v35, 0x3fb8aa3b, v35
	v_sub_f32_e32 v37, v38, v40
	v_exp_f32_e32 v35, v35
	;; [unrolled: 3-line block ×3, first 2 shown]
	v_mul_f32_e32 v38, 0x3fb8aa3b, v38
	v_exp_f32_e32 v38, v38
	v_cndmask_b32_e32 v34, 0, v34, vcc
	v_add_f32_e32 v36, 0, v34
	v_cndmask_b32_e64 v35, 0, v35, s[0:1]
	v_add_f32_e32 v39, v36, v35
	v_cndmask_b32_e64 v36, 0, v37, s[8:9]
	;; [unrolled: 2-line block ×3, first 2 shown]
	v_add_f32_e32 v38, v39, v37
	;;#ASMSTART
	v_nop
 v_nop
 v_add_f32_dpp v38, v38, v38 row_ror:4
	;;#ASMEND
	v_cmp_gt_u32_e32 vcc, 4, v56
	;;#ASMSTART
	v_nop
 v_nop
 v_add_f32_dpp v38, v38, v38 row_ror:8
	;;#ASMEND
	ds_bpermute_b32 v38, v41, v38
	s_waitcnt lgkmcnt(0)
	;;#ASMSTART
	v_nop
 v_nop
 v_add_f32_dpp v38, v38, v38 row_ror:4
	;;#ASMEND
	s_nop 0
	;;#ASMSTART
	v_nop
 v_nop
 v_add_f32_dpp v38, v38, v38 row_ror:8
	;;#ASMEND
	s_and_saveexec_b64 s[0:1], vcc
	s_cbranch_execz .LBB56_18
; %bb.17:
	v_mul_u32_u24_e32 v39, 20, v1
	v_lshl_add_u32 v39, v57, 2, v39
	v_add_u32_e32 v39, 0x800, v39
	ds_write2_b32 v39, v40, v38 offset0:128 offset1:148
.LBB56_18:
	s_or_b64 exec, exec, s[0:1]
.LBB56_19:
	s_or_b64 exec, exec, s[22:23]
	s_waitcnt lgkmcnt(0)
	s_barrier
	s_load_dword s0, s[20:21], 0x8
	v_lshlrev_b32_e32 v38, 2, v57
	v_add_u32_e32 v46, 0x800, v38
	ds_read2_b32 v[38:39], v46 offset0:128 offset1:133
	ds_read2_b32 v[42:43], v46 offset0:138 offset1:143
	s_mul_i32 s1, s33, s2
	s_waitcnt lgkmcnt(0)
	s_mul_i32 s0, s1, s0
	s_mov_b32 s1, 0xff7fffff
	v_max3_f32 v41, v38, s1, v39
	v_max3_f32 v41, v41, v42, v43
	v_sub_f32_e32 v38, v38, v41
	ds_read2_b32 v[44:45], v46 offset0:148 offset1:153
	v_mul_f32_e32 v38, 0x3fb8aa3b, v38
	v_sub_f32_e32 v39, v39, v41
	v_sub_f32_e32 v42, v42, v41
	v_exp_f32_e32 v48, v38
	v_mul_f32_e32 v39, 0x3fb8aa3b, v39
	v_mul_f32_e32 v42, 0x3fb8aa3b, v42
	v_exp_f32_e32 v39, v39
	ds_read2_b32 v[46:47], v46 offset0:158 offset1:163
	v_exp_f32_e32 v49, v42
	v_sub_f32_e32 v42, v43, v41
	v_mul_f32_e32 v42, 0x3fb8aa3b, v42
	v_exp_f32_e32 v43, v42
	s_waitcnt lgkmcnt(1)
	v_fma_f32 v42, v48, v44, 0
	v_fmac_f32_e32 v42, v39, v45
	s_waitcnt lgkmcnt(0)
	v_fmac_f32_e32 v42, v49, v46
	v_mov_b32_e32 v38, 0
	v_fmac_f32_e32 v42, v43, v47
	s_mov_b32 s1, 0
	v_cmp_eq_u32_e32 vcc, 0, v57
	s_and_saveexec_b64 s[2:3], vcc
	s_cbranch_execz .LBB56_21
; %bb.20:
	s_lshl_b64 s[8:9], s[0:1], 2
	s_add_u32 s5, s12, s8
	s_mov_b32 s17, s1
	s_addc_u32 s12, s13, s9
	s_lshl_b64 s[10:11], s[16:17], 2
	s_add_u32 s5, s5, s10
	s_addc_u32 s12, s12, s11
	s_add_u32 s8, s14, s8
	s_addc_u32 s9, s15, s9
	s_add_u32 s13, s8, s10
	s_addc_u32 s14, s9, s11
	s_mul_i32 s8, s33, s4
	s_mov_b32 s9, s1
	s_lshl_b64 s[8:9], s[8:9], 2
	s_add_u32 s10, s5, s8
	s_addc_u32 s11, s12, s9
	s_add_u32 s8, s13, s8
	s_addc_u32 s9, s14, s9
	global_store_dword v38, v41, s[8:9]
	global_store_dword v38, v42, s[10:11]
.LBB56_21:
	s_or_b64 exec, exec, s[2:3]
	v_mov_b32_e32 v39, 0
	s_and_saveexec_b64 s[2:3], s[6:7]
	s_cbranch_execz .LBB56_23
; %bb.22:
	v_add_f32_e32 v38, 0x358637bd, v42
	v_div_scale_f32 v39, s[6:7], v38, v38, 1.0
	v_rcp_f32_e32 v42, v39
	v_div_scale_f32 v43, vcc, 1.0, v38, 1.0
	v_sub_f32_e32 v40, v40, v41
	v_fma_f32 v44, -v39, v42, 1.0
	v_fmac_f32_e32 v42, v44, v42
	v_mul_f32_e32 v44, v43, v42
	v_fma_f32 v45, -v39, v44, v43
	v_mul_f32_e32 v40, 0x3fb8aa3b, v40
	v_fmac_f32_e32 v44, v45, v42
	v_exp_f32_e32 v40, v40
	v_fma_f32 v39, -v39, v44, v43
	v_div_fmas_f32 v39, v39, v42, v44
	v_div_fixup_f32 v38, v39, v38, 1.0
	v_mul_f32_e32 v38, v40, v38
	v_pk_mul_f32 v[36:37], v[36:37], v[38:39] op_sel_hi:[1,0]
	v_pk_mul_f32 v[34:35], v[34:35], v[38:39] op_sel_hi:[1,0]
	v_cvt_f16_f32_e32 v36, v36
	v_cvt_f16_f32_e32 v34, v34
	;; [unrolled: 1-line block ×4, first 2 shown]
	s_mov_b32 s1, 0x5040100
	v_pack_b32_f16 v34, v34, v35
	v_pack_b32_f16 v35, v36, v37
	s_waitcnt vmcnt(7)
	s_nop 0
	v_mfma_f32_4x4x4_16b_f16 a[0:3], v[34:35], v[2:3], 0 cbsz:4
	s_nop 1
	v_mfma_f32_4x4x4_16b_f16 a[0:3], v[34:35], v[4:5], a[0:3] cbsz:4 abid:1
	s_waitcnt vmcnt(6)
	s_nop 0
	v_mfma_f32_4x4x4_16b_f16 a[0:3], v[34:35], v[6:7], a[0:3] cbsz:4 abid:2
	s_nop 1
	v_mfma_f32_4x4x4_16b_f16 a[0:3], v[34:35], v[8:9], a[0:3] cbsz:4 abid:3
	s_waitcnt vmcnt(5)
	s_nop 0
	v_mfma_f32_4x4x4_16b_f16 a[0:3], v[34:35], v[10:11], a[0:3] cbsz:4 abid:4
	;; [unrolled: 5-line block ×7, first 2 shown]
	s_nop 1
	v_mfma_f32_4x4x4_16b_f16 a[0:3], v[34:35], v[32:33], a[0:3] cbsz:4 abid:15
	s_nop 4
	v_accvgpr_read_b32 v2, a0
	v_accvgpr_read_b32 v3, a1
	;; [unrolled: 1-line block ×4, first 2 shown]
	v_cvt_f16_f32_e32 v2, v2
	v_cvt_f16_f32_e32 v3, v3
	;; [unrolled: 1-line block ×4, first 2 shown]
	v_perm_b32 v38, v3, v2, s1
	v_perm_b32 v39, v5, v4, s1
.LBB56_23:
	s_or_b64 exec, exec, s[2:3]
	v_lshlrev_b32_e32 v1, 3, v1
	v_mad_u32_u24 v1, v56, 40, v1
	v_cmp_gt_u32_e32 vcc, 64, v0
	ds_write_b64 v1, v[38:39]
	s_waitcnt lgkmcnt(0)
	s_barrier
	s_and_saveexec_b64 s[2:3], vcc
	s_cbranch_execz .LBB56_25
; %bb.24:
	v_mul_u32_u24_e32 v1, 40, v56
	s_waitcnt vmcnt(7)
	ds_read2_b64 v[2:5], v1 offset1:1
	s_waitcnt vmcnt(6)
	ds_read2_b64 v[6:9], v1 offset0:2 offset1:3
	s_lshl_b32 s0, s0, 6
	s_mov_b32 s1, 0
	s_lshl_b64 s[2:3], s[0:1], 1
	s_add_u32 s2, s18, s2
	s_addc_u32 s3, s19, s3
	s_lshl_b32 s0, s16, 6
	s_lshl_b64 s[0:1], s[0:1], 1
	s_waitcnt lgkmcnt(1)
	v_pk_add_f16 v2, v2, 0
	s_add_u32 s0, s2, s0
	s_mul_i32 s2, s4, s33
	v_pk_add_f16 v2, v2, v4
	s_addc_u32 s1, s3, s1
	v_lshl_or_b32 v0, s2, 6, v0
	v_mov_b32_e32 v1, 0
	s_waitcnt lgkmcnt(0)
	v_pk_add_f16 v2, v2, v6
	v_lshl_add_u64 v[0:1], v[0:1], 1, s[0:1]
	v_pk_add_f16 v2, v2, v8
	global_store_short v[0:1], v2, off
.LBB56_25:
	s_endpgm
	.section	.rodata,"a",@progbits
	.p2align	6, 0x0
	.amdhsa_kernel _Z38paged_attention_ll4mi_QKV_mfma4_kernelIDF16_DF16_LN4vllm18Fp8KVCacheDataTypeE0EDF16_Li16ELi64ELi256ELb1ELi1EEvPKT_PKT0_S7_ifPKiS9_S9_iPKfiiiPfSC_PS2_PT2_iSB_SB_
		.amdhsa_group_segment_fixed_size 2720
		.amdhsa_private_segment_fixed_size 0
		.amdhsa_kernarg_size 400
		.amdhsa_user_sgpr_count 2
		.amdhsa_user_sgpr_dispatch_ptr 0
		.amdhsa_user_sgpr_queue_ptr 0
		.amdhsa_user_sgpr_kernarg_segment_ptr 1
		.amdhsa_user_sgpr_dispatch_id 0
		.amdhsa_user_sgpr_kernarg_preload_length 0
		.amdhsa_user_sgpr_kernarg_preload_offset 0
		.amdhsa_user_sgpr_private_segment_size 0
		.amdhsa_uses_dynamic_stack 0
		.amdhsa_enable_private_segment 0
		.amdhsa_system_sgpr_workgroup_id_x 1
		.amdhsa_system_sgpr_workgroup_id_y 1
		.amdhsa_system_sgpr_workgroup_id_z 1
		.amdhsa_system_sgpr_workgroup_info 0
		.amdhsa_system_vgpr_workitem_id 0
		.amdhsa_next_free_vgpr 72
		.amdhsa_next_free_sgpr 38
		.amdhsa_accum_offset 68
		.amdhsa_reserve_vcc 1
		.amdhsa_float_round_mode_32 0
		.amdhsa_float_round_mode_16_64 0
		.amdhsa_float_denorm_mode_32 3
		.amdhsa_float_denorm_mode_16_64 3
		.amdhsa_dx10_clamp 1
		.amdhsa_ieee_mode 1
		.amdhsa_fp16_overflow 0
		.amdhsa_tg_split 0
		.amdhsa_exception_fp_ieee_invalid_op 0
		.amdhsa_exception_fp_denorm_src 0
		.amdhsa_exception_fp_ieee_div_zero 0
		.amdhsa_exception_fp_ieee_overflow 0
		.amdhsa_exception_fp_ieee_underflow 0
		.amdhsa_exception_fp_ieee_inexact 0
		.amdhsa_exception_int_div_zero 0
	.end_amdhsa_kernel
	.section	.text._Z38paged_attention_ll4mi_QKV_mfma4_kernelIDF16_DF16_LN4vllm18Fp8KVCacheDataTypeE0EDF16_Li16ELi64ELi256ELb1ELi1EEvPKT_PKT0_S7_ifPKiS9_S9_iPKfiiiPfSC_PS2_PT2_iSB_SB_,"axG",@progbits,_Z38paged_attention_ll4mi_QKV_mfma4_kernelIDF16_DF16_LN4vllm18Fp8KVCacheDataTypeE0EDF16_Li16ELi64ELi256ELb1ELi1EEvPKT_PKT0_S7_ifPKiS9_S9_iPKfiiiPfSC_PS2_PT2_iSB_SB_,comdat
.Lfunc_end56:
	.size	_Z38paged_attention_ll4mi_QKV_mfma4_kernelIDF16_DF16_LN4vllm18Fp8KVCacheDataTypeE0EDF16_Li16ELi64ELi256ELb1ELi1EEvPKT_PKT0_S7_ifPKiS9_S9_iPKfiiiPfSC_PS2_PT2_iSB_SB_, .Lfunc_end56-_Z38paged_attention_ll4mi_QKV_mfma4_kernelIDF16_DF16_LN4vllm18Fp8KVCacheDataTypeE0EDF16_Li16ELi64ELi256ELb1ELi1EEvPKT_PKT0_S7_ifPKiS9_S9_iPKfiiiPfSC_PS2_PT2_iSB_SB_
                                        ; -- End function
	.section	.AMDGPU.csdata,"",@progbits
; Kernel info:
; codeLenInByte = 3144
; NumSgprs: 44
; NumVgprs: 68
; NumAgprs: 4
; TotalNumVgprs: 72
; ScratchSize: 0
; MemoryBound: 0
; FloatMode: 240
; IeeeMode: 1
; LDSByteSize: 2720 bytes/workgroup (compile time only)
; SGPRBlocks: 5
; VGPRBlocks: 8
; NumSGPRsForWavesPerEU: 44
; NumVGPRsForWavesPerEU: 72
; AccumOffset: 68
; Occupancy: 7
; WaveLimiterHint : 1
; COMPUTE_PGM_RSRC2:SCRATCH_EN: 0
; COMPUTE_PGM_RSRC2:USER_SGPR: 2
; COMPUTE_PGM_RSRC2:TRAP_HANDLER: 0
; COMPUTE_PGM_RSRC2:TGID_X_EN: 1
; COMPUTE_PGM_RSRC2:TGID_Y_EN: 1
; COMPUTE_PGM_RSRC2:TGID_Z_EN: 1
; COMPUTE_PGM_RSRC2:TIDIG_COMP_CNT: 0
; COMPUTE_PGM_RSRC3_GFX90A:ACCUM_OFFSET: 16
; COMPUTE_PGM_RSRC3_GFX90A:TG_SPLIT: 0
	.section	.text._Z38paged_attention_ll4mi_QKV_mfma4_kernelIDF16_DF16_LN4vllm18Fp8KVCacheDataTypeE0EDF16_Li16ELi64ELi256ELb1ELi2EEvPKT_PKT0_S7_ifPKiS9_S9_iPKfiiiPfSC_PS2_PT2_iSB_SB_,"axG",@progbits,_Z38paged_attention_ll4mi_QKV_mfma4_kernelIDF16_DF16_LN4vllm18Fp8KVCacheDataTypeE0EDF16_Li16ELi64ELi256ELb1ELi2EEvPKT_PKT0_S7_ifPKiS9_S9_iPKfiiiPfSC_PS2_PT2_iSB_SB_,comdat
	.protected	_Z38paged_attention_ll4mi_QKV_mfma4_kernelIDF16_DF16_LN4vllm18Fp8KVCacheDataTypeE0EDF16_Li16ELi64ELi256ELb1ELi2EEvPKT_PKT0_S7_ifPKiS9_S9_iPKfiiiPfSC_PS2_PT2_iSB_SB_ ; -- Begin function _Z38paged_attention_ll4mi_QKV_mfma4_kernelIDF16_DF16_LN4vllm18Fp8KVCacheDataTypeE0EDF16_Li16ELi64ELi256ELb1ELi2EEvPKT_PKT0_S7_ifPKiS9_S9_iPKfiiiPfSC_PS2_PT2_iSB_SB_
	.globl	_Z38paged_attention_ll4mi_QKV_mfma4_kernelIDF16_DF16_LN4vllm18Fp8KVCacheDataTypeE0EDF16_Li16ELi64ELi256ELb1ELi2EEvPKT_PKT0_S7_ifPKiS9_S9_iPKfiiiPfSC_PS2_PT2_iSB_SB_
	.p2align	8
	.type	_Z38paged_attention_ll4mi_QKV_mfma4_kernelIDF16_DF16_LN4vllm18Fp8KVCacheDataTypeE0EDF16_Li16ELi64ELi256ELb1ELi2EEvPKT_PKT0_S7_ifPKiS9_S9_iPKfiiiPfSC_PS2_PT2_iSB_SB_,@function
_Z38paged_attention_ll4mi_QKV_mfma4_kernelIDF16_DF16_LN4vllm18Fp8KVCacheDataTypeE0EDF16_Li16ELi64ELi256ELb1ELi2EEvPKT_PKT0_S7_ifPKiS9_S9_iPKfiiiPfSC_PS2_PT2_iSB_SB_: ; @_Z38paged_attention_ll4mi_QKV_mfma4_kernelIDF16_DF16_LN4vllm18Fp8KVCacheDataTypeE0EDF16_Li16ELi64ELi256ELb1ELi2EEvPKT_PKT0_S7_ifPKiS9_S9_iPKfiiiPfSC_PS2_PT2_iSB_SB_
; %bb.0:
	s_load_dwordx2 s[8:9], s[0:1], 0x30
	s_mov_b32 s16, s3
	s_mov_b64 s[6:7], 0
	s_waitcnt lgkmcnt(0)
	s_cmp_lg_u64 s[8:9], 0
	s_cselect_b64 s[10:11], -1, 0
	s_and_b64 vcc, exec, s[10:11]
	s_cbranch_vccz .LBB57_10
; %bb.1:
	s_add_i32 s12, s2, 1
	s_mov_b32 s13, 0
	s_lshl_b64 s[14:15], s[12:13], 2
	s_add_u32 s14, s8, s14
	s_mov_b32 s3, s13
	s_addc_u32 s15, s9, s15
	s_lshl_b64 s[12:13], s[2:3], 2
	s_add_u32 s12, s8, s12
	s_addc_u32 s13, s9, s13
	s_load_dword s5, s[14:15], 0x0
	s_load_dword s17, s[12:13], 0x0
	s_waitcnt lgkmcnt(0)
	s_sub_i32 s5, s5, s17
	s_cmp_eq_u32 s5, 1
	s_cselect_b64 s[12:13], -1, 0
	s_andn2_b64 vcc, exec, s[6:7]
	s_cbranch_vccnz .LBB57_3
.LBB57_2:
	s_mov_b32 s3, 0
	s_mov_b64 s[12:13], -1
.LBB57_3:
	s_andn2_b64 vcc, exec, s[12:13]
	s_cbranch_vccnz .LBB57_25
; %bb.4:
	s_load_dword s5, s[0:1], 0x9c
	s_load_dwordx2 s[6:7], s[0:1], 0x28
	s_add_u32 s20, s0, 0x90
	s_addc_u32 s21, s1, 0
	s_lshl_b64 s[24:25], s[2:3], 2
	s_waitcnt lgkmcnt(0)
	s_and_b32 s5, s5, 0xffff
	s_add_u32 s6, s6, s24
	s_addc_u32 s7, s7, s25
	s_load_dword s3, s[6:7], 0x0
	s_mul_i32 s5, s16, s5
	s_waitcnt lgkmcnt(0)
	s_cmp_ge_i32 s5, s3
	s_cbranch_scc1 .LBB57_25
; %bb.5:
	v_and_b32_e32 v2, 0xc0, v0
	v_add_u32_e32 v2, s5, v2
	v_lshrrev_b32_e32 v1, 6, v0
	v_cmp_gt_i32_e64 s[6:7], s3, v2
	v_cmp_le_i32_e32 vcc, s3, v2
                                        ; implicit-def: $sgpr26
                                        ; implicit-def: $sgpr17
	s_and_saveexec_b64 s[12:13], vcc
	s_xor_b64 s[12:13], exec, s[12:13]
	s_cbranch_execz .LBB57_7
; %bb.6:
	v_mul_u32_u24_e32 v2, 20, v1
	v_or_b32_e32 v2, 0xa00, v2
	v_mov_b32_e32 v3, 0xa50
	v_mov_b32_e32 v4, 0xff7fffff
	v_mad_u32_u24 v3, v1, 20, v3
	ds_write2_b32 v2, v4, v4 offset1:1
	v_mov_b32_e32 v2, 0
	ds_write2_b32 v3, v2, v2 offset1:1
	v_mov_b32_e32 v3, 0xa08
	s_mov_b32 s17, 0xff7fffff
	s_mov_b32 s26, 0
	v_mad_u32_u24 v3, v1, 20, v3
	v_mov_b32_e32 v5, 0xa58
	v_mad_u32_u24 v5, v1, 20, v5
	ds_write2_b32 v3, v4, v4 offset1:1
	ds_write2_b32 v5, v2, v2 offset1:1
                                        ; implicit-def: $vgpr2
.LBB57_7:
	s_or_saveexec_b64 s[22:23], s[12:13]
	s_load_dwordx2 s[18:19], s[0:1], 0x68
	s_load_dwordx4 s[12:15], s[0:1], 0x58
	s_load_dword s33, s[20:21], 0x4
	v_and_b32_e32 v56, 63, v0
	v_and_b32_e32 v57, 3, v0
	s_lshl_b32 s34, s4, 1
	v_mov_b32_e32 v37, s26
	v_mov_b32_e32 v40, s17
	;; [unrolled: 1-line block ×5, first 2 shown]
                                        ; implicit-def: $vgpr3
                                        ; implicit-def: $vgpr7
                                        ; implicit-def: $vgpr11
                                        ; implicit-def: $vgpr15
                                        ; implicit-def: $vgpr19
                                        ; implicit-def: $vgpr23
                                        ; implicit-def: $vgpr27
                                        ; implicit-def: $vgpr31
	s_xor_b64 exec, exec, s[22:23]
	s_cbranch_execz .LBB57_19
; %bb.8:
	s_add_i32 s28, s3, 15
	s_load_dwordx2 s[26:27], s[0:1], 0x20
	s_load_dword s17, s[0:1], 0x38
	s_ashr_i32 s29, s28, 31
	s_lshr_b32 s29, s29, 28
	v_add_u32_e32 v58, s5, v0
	s_add_i32 s28, s28, s29
	v_ashrrev_i32_e32 v3, 31, v58
	s_ashr_i32 s28, s28, 4
	v_lshrrev_b32_e32 v3, 28, v3
	s_add_i32 s30, s28, -1
	v_add_u32_e32 v3, v58, v3
	s_waitcnt lgkmcnt(0)
	s_mul_i32 s28, s2, s17
	s_mov_b32 s29, 0
	v_ashrrev_i32_e32 v3, 4, v3
	v_mov_b32_e32 v4, s30
	v_cmp_gt_i32_e32 vcc, s3, v58
	s_lshl_b64 s[28:29], s[28:29], 2
	s_add_u32 s26, s26, s28
	v_cndmask_b32_e32 v4, v4, v3, vcc
	v_ashrrev_i32_e32 v3, 31, v2
	v_lshrrev_b32_e32 v3, 28, v3
	s_addc_u32 s27, s27, s29
	v_ashrrev_i32_e32 v5, 31, v4
	v_add_u32_e32 v2, v2, v3
	v_lshl_add_u64 v[6:7], v[4:5], 2, s[26:27]
	v_ashrrev_i32_e32 v4, 4, v2
	v_min_i32_e32 v2, s30, v4
	v_ashrrev_i32_e32 v3, 31, v2
	v_lshl_add_u64 v[8:9], v[2:3], 2, s[26:27]
	v_add_u32_e32 v2, 1, v4
	v_min_i32_e32 v2, s30, v2
	v_ashrrev_i32_e32 v3, 31, v2
	v_lshl_add_u64 v[12:13], v[2:3], 2, s[26:27]
	v_add_u32_e32 v2, 2, v4
	;; [unrolled: 4-line block ×3, first 2 shown]
	v_min_i32_e32 v2, s30, v2
	v_ashrrev_i32_e32 v3, 31, v2
	v_lshl_add_u64 v[16:17], v[2:3], 2, s[26:27]
	global_load_dword v2, v[6:7], off
	global_load_dword v4, v[8:9], off
	;; [unrolled: 1-line block ×5, first 2 shown]
	s_load_dwordx2 s[26:27], s[0:1], 0x8
	s_andn2_b64 vcc, exec, s[10:11]
	s_cbranch_vccnz .LBB57_11
; %bb.9:
	s_add_u32 s8, s8, s24
	s_addc_u32 s9, s9, s25
	s_load_dword s5, s[8:9], 0x0
	s_branch .LBB57_12
.LBB57_10:
	s_mov_b64 s[12:13], 0
	s_branch .LBB57_2
.LBB57_11:
	s_mov_b32 s5, s2
.LBB57_12:
	s_load_dwordx2 s[24:25], s[0:1], 0x10
	s_load_dwordx4 s[8:11], s[0:1], 0x48
	v_cmp_gt_u32_e32 vcc, 2, v57
	s_mov_b32 s29, 0
	v_mov_b32_e32 v3, 0
	v_mov_b32_e32 v32, 0
	;; [unrolled: 1-line block ×5, first 2 shown]
	s_and_saveexec_b64 s[30:31], vcc
	s_cbranch_execz .LBB57_14
; %bb.13:
	s_load_dwordx2 s[36:37], s[0:1], 0x0
	s_waitcnt lgkmcnt(0)
	s_ashr_i32 s11, s8, 31
	s_mul_hi_u32 s17, s5, s8
	s_mul_i32 s11, s5, s11
	s_add_i32 s39, s17, s11
	s_mul_i32 s38, s5, s8
	s_lshl_b64 s[38:39], s[38:39], 1
	s_add_u32 s5, s36, s38
	s_addc_u32 s8, s37, s39
	s_lshl_b32 s28, s4, 7
	s_lshl_b64 s[36:37], s[28:29], 1
	s_add_u32 s36, s5, s36
	v_lshlrev_b32_e32 v5, 3, v57
	v_lshrrev_b32_e32 v6, 2, v56
	s_addc_u32 s37, s8, s37
	v_add_lshl_u32 v5, v5, v6, 4
	global_load_dwordx4 v[32:35], v5, s[36:37]
.LBB57_14:
	s_or_b64 exec, exec, s[30:31]
	s_waitcnt lgkmcnt(0)
	s_mul_i32 s28, s4, s10
	s_lshl_b64 s[4:5], s[28:29], 1
	s_add_u32 s10, s4, s26
	s_waitcnt vmcnt(4)
	v_mad_i64_i32 v[6:7], s[30:31], v2, s9, 0
	s_addc_u32 s11, s5, s27
	v_and_b32_e32 v2, 15, v0
	v_lshl_add_u64 v[6:7], v[6:7], 1, s[10:11]
	v_lshlrev_b32_e32 v2, 4, v2
	v_lshl_add_u64 v[6:7], v[6:7], 0, v[2:3]
	global_load_dwordx4 v[52:55], v[6:7], off
	global_load_dwordx4 v[22:25], v[6:7], off offset:256
	global_load_dwordx4 v[18:21], v[6:7], off offset:512
	;; [unrolled: 1-line block ×7, first 2 shown]
	v_mov_b32_e32 v59, 0
	s_and_saveexec_b64 s[10:11], vcc
	s_cbranch_execz .LBB57_16
; %bb.15:
	s_load_dwordx2 s[26:27], s[0:1], 0x40
	v_or_b32_e32 v6, s34, v57
	v_mov_b32_e32 v7, 0
	s_waitcnt lgkmcnt(0)
	v_lshl_add_u64 v[6:7], v[6:7], 2, s[26:27]
	global_load_dword v59, v[6:7], off
.LBB57_16:
	s_or_b64 exec, exec, s[10:11]
	s_waitcnt vmcnt(7)
	v_mfma_f32_4x4x4_16b_f16 a[0:3], v[32:33], v[52:53], 0 cbsz:4
	s_add_u32 s4, s24, s4
	s_addc_u32 s5, s25, s5
	v_mfma_f32_4x4x4_16b_f16 a[0:3], v[34:35], v[54:55], a[0:3] cbsz:4
	v_lshlrev_b32_e32 v2, 5, v56
	v_lshl_add_u64 v[60:61], s[4:5], 0, v[2:3]
	s_waitcnt vmcnt(6)
	v_mfma_f32_4x4x4_16b_f16 a[0:3], v[32:33], v[22:23], a[0:3] cbsz:4 abid:1
	v_mul_hi_i32 v2, v4, s9
	v_ashrrev_i32_e32 v2, 31, v2
	v_mfma_f32_4x4x4_16b_f16 a[0:3], v[34:35], v[24:25], a[0:3] cbsz:4 abid:1
	v_mul_hi_i32 v11, v10, s9
	v_lshrrev_b32_e32 v62, 29, v2
	s_waitcnt vmcnt(5)
	v_mfma_f32_4x4x4_16b_f16 a[0:3], v[32:33], v[18:19], a[0:3] cbsz:4 abid:2
	v_mov_b32_e32 v63, 0
	v_ashrrev_i32_e32 v11, 31, v11
	v_mfma_f32_4x4x4_16b_f16 a[0:3], v[34:35], v[20:21], a[0:3] cbsz:4 abid:2
	v_mad_i64_i32 v[2:3], s[4:5], v4, s9, v[62:63]
	s_waitcnt vmcnt(4)
	v_mfma_f32_4x4x4_16b_f16 a[0:3], v[32:33], v[48:49], a[0:3] cbsz:4 abid:3
	v_lshrrev_b32_e32 v62, 29, v11
	v_mad_i64_i32 v[10:11], s[4:5], v10, s9, v[62:63]
	v_mfma_f32_4x4x4_16b_f16 a[0:3], v[34:35], v[50:51], a[0:3] cbsz:4 abid:3
	v_mul_hi_i32 v62, v31, s9
	v_ashrrev_i32_e32 v52, 31, v62
	s_waitcnt vmcnt(3)
	v_mfma_f32_4x4x4_16b_f16 a[0:3], v[32:33], v[44:45], a[0:3] cbsz:4 abid:4
	v_lshrrev_b32_e32 v62, 29, v52
	v_mad_i64_i32 v[22:23], s[4:5], v31, s9, v[62:63]
	v_mfma_f32_4x4x4_16b_f16 a[0:3], v[34:35], v[46:47], a[0:3] cbsz:4 abid:4
	v_mul_hi_i32 v31, v30, s9
	v_ashrrev_i32_e32 v31, 31, v31
	s_waitcnt vmcnt(2)
	v_mfma_f32_4x4x4_16b_f16 a[0:3], v[32:33], v[40:41], a[0:3] cbsz:4 abid:5
	v_lshrrev_b32_e32 v62, 29, v31
	v_mad_i64_i32 v[30:31], s[4:5], v30, s9, v[62:63]
	v_mfma_f32_4x4x4_16b_f16 a[0:3], v[34:35], v[42:43], a[0:3] cbsz:4 abid:5
	v_lshlrev_b64 v[2:3], 1, v[2:3]
	v_lshlrev_b64 v[10:11], 1, v[10:11]
	s_waitcnt vmcnt(1)
	v_mfma_f32_4x4x4_16b_f16 a[0:3], v[32:33], v[26:27], a[0:3] cbsz:4 abid:6
	v_lshlrev_b64 v[22:23], 1, v[22:23]
	v_lshlrev_b64 v[30:31], 1, v[30:31]
	v_and_b32_e32 v2, -16, v2
	v_and_b32_e32 v10, -16, v10
	;; [unrolled: 1-line block ×4, first 2 shown]
	v_mfma_f32_4x4x4_16b_f16 a[0:3], v[34:35], v[28:29], a[0:3] cbsz:4 abid:6
	v_lshl_add_u64 v[12:13], v[60:61], 0, v[2:3]
	v_lshl_add_u64 v[64:65], v[60:61], 0, v[10:11]
	;; [unrolled: 1-line block ×4, first 2 shown]
	global_load_dwordx4 v[2:5], v[12:13], off
	global_load_dwordx4 v[6:9], v[12:13], off offset:16
	s_nop 0
	global_load_dwordx4 v[10:13], v[64:65], off
	global_load_dwordx4 v[14:17], v[64:65], off offset:16
	global_load_dwordx4 v[18:21], v[52:53], off
	global_load_dwordx4 v[22:25], v[52:53], off offset:16
	s_waitcnt vmcnt(6)
	v_mfma_f32_4x4x4_16b_f16 a[0:3], v[32:33], v[36:37], a[0:3] cbsz:4 abid:7
	global_load_dwordx4 v[26:29], v[40:41], off
	global_load_dwordx4 v[30:33], v[40:41], off offset:16
	s_load_dword s0, s[0:1], 0x1c
	v_mfma_f32_4x4x4_16b_f16 a[0:3], v[34:35], v[38:39], a[0:3] cbsz:4 abid:7
	v_cmp_eq_u32_e32 vcc, 0, v57
	v_mov_b32_e32 v41, 0xff7fffff
	s_nop 0
	v_cndmask_b32_e64 v38, 0, 1.0, vcc
	v_cmp_eq_u32_e32 vcc, 1, v57
	v_accvgpr_read_b32 v37, a1
	v_accvgpr_read_b32 v36, a0
	s_waitcnt lgkmcnt(0)
	v_pk_mul_f32 v[36:37], s[0:1], v[36:37] op_sel_hi:[0,1]
	v_accvgpr_read_b32 v35, a3
	v_accvgpr_read_b32 v34, a2
	v_pk_mul_f32 v[34:35], s[0:1], v[34:35] op_sel_hi:[0,1]
	v_mfma_f32_4x4x1_16b_f32 a[0:3], v36, v38, 0
	v_cndmask_b32_e64 v36, 0, 1.0, vcc
	v_cmp_eq_u32_e32 vcc, 2, v57
	s_nop 0
	v_mfma_f32_4x4x1_16b_f32 a[0:3], v37, v36, a[0:3]
	v_cndmask_b32_e64 v36, 0, 1.0, vcc
	v_cmp_eq_u32_e32 vcc, 3, v57
	s_nop 0
	v_mfma_f32_4x4x1_16b_f32 a[0:3], v34, v36, a[0:3]
	v_cndmask_b32_e64 v34, 0, 1.0, vcc
	s_nop 1
	v_mfma_f32_4x4x1_16b_f32 a[0:3], v35, v34, a[0:3]
	v_and_b32_e32 v34, -4, v58
	v_subrev_u32_e32 v35, s3, v34
	v_add_u32_e32 v36, 1, v35
	v_cvt_f32_i32_e32 v36, v36
	v_add_u32_e32 v37, 2, v35
	v_cvt_f32_i32_e32 v37, v37
	v_accvgpr_read_b32 v38, a0
	v_fma_f32 v36, v59, v36, v38
	v_accvgpr_read_b32 v38, a1
	v_fma_f32 v37, v59, v37, v38
	v_add_u32_e32 v38, 3, v35
	v_cvt_f32_i32_e32 v38, v38
	v_add_u32_e32 v35, 4, v35
	v_max_f32_e32 v40, 0xff7fffff, v36
	v_cmp_gt_i32_e32 vcc, s3, v34
	v_cvt_f32_i32_e32 v35, v35
	v_accvgpr_read_b32 v39, a2
	v_cndmask_b32_e32 v40, v41, v40, vcc
	v_or_b32_e32 v41, 1, v34
	v_max_f32_e32 v42, v40, v37
	v_cmp_gt_i32_e64 s[0:1], s3, v41
	v_fma_f32 v38, v59, v38, v39
	v_or_b32_e32 v34, 2, v34
	v_cndmask_b32_e64 v40, v40, v42, s[0:1]
	v_accvgpr_read_b32 v39, a3
	v_max_f32_e32 v41, v40, v38
	v_cmp_gt_i32_e64 s[4:5], s3, v34
	v_fmac_f32_e32 v39, v59, v35
	v_lshlrev_b32_e32 v35, 2, v0
	v_cndmask_b32_e64 v34, v40, v41, s[4:5]
	v_or_b32_e32 v40, 3, v58
	v_max_f32_e32 v41, v34, v39
	v_cmp_gt_i32_e64 s[8:9], s3, v40
	v_and_or_b32 v35, v35, 48, v57
	s_nop 0
	v_cndmask_b32_e64 v34, v34, v41, s[8:9]
	;;#ASMSTART
	v_nop
 v_nop
 v_max_f32_dpp v34, v34, v34 row_ror:4
	;;#ASMEND
	v_lshlrev_b32_e32 v41, 2, v35
	;;#ASMSTART
	v_nop
 v_nop
 v_max_f32_dpp v34, v34, v34 row_ror:8
	;;#ASMEND
	ds_bpermute_b32 v34, v41, v34
	s_waitcnt lgkmcnt(0)
	;;#ASMSTART
	v_nop
 v_nop
 v_max_f32_dpp v34, v34, v34 row_ror:4
	;;#ASMEND
	s_nop 0
	;;#ASMSTART
	v_nop
 v_nop
 v_max_f32_dpp v40, v34, v34 row_ror:8
	;;#ASMEND
	s_nop 0
	v_sub_f32_e32 v34, v36, v40
	v_mul_f32_e32 v34, 0x3fb8aa3b, v34
	v_sub_f32_e32 v35, v37, v40
	v_exp_f32_e32 v34, v34
	v_mul_f32_e32 v35, 0x3fb8aa3b, v35
	v_sub_f32_e32 v37, v38, v40
	v_exp_f32_e32 v35, v35
	;; [unrolled: 3-line block ×3, first 2 shown]
	v_mul_f32_e32 v38, 0x3fb8aa3b, v38
	v_exp_f32_e32 v38, v38
	v_cndmask_b32_e32 v34, 0, v34, vcc
	v_add_f32_e32 v36, 0, v34
	v_cndmask_b32_e64 v35, 0, v35, s[0:1]
	v_add_f32_e32 v39, v36, v35
	v_cndmask_b32_e64 v36, 0, v37, s[4:5]
	;; [unrolled: 2-line block ×3, first 2 shown]
	v_add_f32_e32 v38, v39, v37
	;;#ASMSTART
	v_nop
 v_nop
 v_add_f32_dpp v38, v38, v38 row_ror:4
	;;#ASMEND
	v_cmp_gt_u32_e32 vcc, 4, v56
	;;#ASMSTART
	v_nop
 v_nop
 v_add_f32_dpp v38, v38, v38 row_ror:8
	;;#ASMEND
	ds_bpermute_b32 v38, v41, v38
	s_waitcnt lgkmcnt(0)
	;;#ASMSTART
	v_nop
 v_nop
 v_add_f32_dpp v38, v38, v38 row_ror:4
	;;#ASMEND
	s_nop 0
	;;#ASMSTART
	v_nop
 v_nop
 v_add_f32_dpp v38, v38, v38 row_ror:8
	;;#ASMEND
	s_and_saveexec_b64 s[0:1], vcc
	s_cbranch_execz .LBB57_18
; %bb.17:
	v_mul_u32_u24_e32 v39, 20, v1
	v_lshl_add_u32 v39, v57, 2, v39
	v_add_u32_e32 v39, 0x800, v39
	ds_write2_b32 v39, v40, v38 offset0:128 offset1:148
.LBB57_18:
	s_or_b64 exec, exec, s[0:1]
.LBB57_19:
	s_or_b64 exec, exec, s[22:23]
	s_waitcnt lgkmcnt(0)
	s_barrier
	s_load_dword s0, s[20:21], 0x8
	v_lshlrev_b32_e32 v38, 2, v57
	v_add_u32_e32 v46, 0x800, v38
	ds_read2_b32 v[38:39], v46 offset0:128 offset1:133
	ds_read2_b32 v[42:43], v46 offset0:138 offset1:143
	s_mul_i32 s1, s2, s33
	s_waitcnt lgkmcnt(0)
	s_mul_i32 s1, s1, s0
	s_lshl_b32 s0, s1, 1
	s_mov_b32 s1, 0xff7fffff
	v_max3_f32 v41, v38, s1, v39
	v_max3_f32 v41, v41, v42, v43
	v_sub_f32_e32 v38, v38, v41
	v_mul_f32_e32 v38, 0x3fb8aa3b, v38
	ds_read2_b32 v[44:45], v46 offset0:148 offset1:153
	v_exp_f32_e32 v47, v38
	v_sub_f32_e32 v38, v39, v41
	v_sub_f32_e32 v42, v42, v41
	v_mul_f32_e32 v38, 0x3fb8aa3b, v38
	v_mul_f32_e32 v42, 0x3fb8aa3b, v42
	v_exp_f32_e32 v48, v38
	ds_read2_b32 v[38:39], v46 offset0:158 offset1:163
	v_exp_f32_e32 v46, v42
	v_sub_f32_e32 v42, v43, v41
	v_mul_f32_e32 v42, 0x3fb8aa3b, v42
	v_exp_f32_e32 v43, v42
	s_waitcnt lgkmcnt(1)
	v_fma_f32 v42, v47, v44, 0
	v_fmac_f32_e32 v42, v48, v45
	s_waitcnt lgkmcnt(0)
	v_fmac_f32_e32 v42, v46, v38
	v_fmac_f32_e32 v42, v43, v39
	v_cmp_gt_u32_e32 vcc, 2, v57
	s_and_saveexec_b64 s[2:3], vcc
	s_cbranch_execz .LBB57_21
; %bb.20:
	s_mov_b32 s1, 0
	s_lshl_b64 s[4:5], s[0:1], 2
	s_add_u32 s10, s12, s4
	s_mov_b32 s17, s1
	s_addc_u32 s11, s13, s5
	s_lshl_b64 s[8:9], s[16:17], 2
	s_add_u32 s10, s10, s8
	s_addc_u32 s11, s11, s9
	s_add_u32 s1, s14, s4
	s_addc_u32 s5, s15, s5
	v_or_b32_e32 v38, s34, v57
	s_add_u32 s4, s1, s8
	v_mul_lo_u32 v38, s33, v38
	v_mov_b32_e32 v39, 0
	s_addc_u32 s5, s5, s9
	v_lshlrev_b64 v[38:39], 2, v[38:39]
	v_lshl_add_u64 v[44:45], s[10:11], 0, v[38:39]
	v_lshl_add_u64 v[38:39], s[4:5], 0, v[38:39]
	global_store_dword v[38:39], v41, off
	global_store_dword v[44:45], v42, off
.LBB57_21:
	s_or_b64 exec, exec, s[2:3]
	v_mov_b32_e32 v38, 0
	v_mov_b32_e32 v39, 0
	s_and_saveexec_b64 s[2:3], s[6:7]
	s_cbranch_execz .LBB57_23
; %bb.22:
	v_add_f32_e32 v38, 0x358637bd, v42
	v_div_scale_f32 v39, s[4:5], v38, v38, 1.0
	v_rcp_f32_e32 v42, v39
	v_div_scale_f32 v43, vcc, 1.0, v38, 1.0
	v_sub_f32_e32 v40, v40, v41
	v_fma_f32 v44, -v39, v42, 1.0
	v_fmac_f32_e32 v42, v44, v42
	v_mul_f32_e32 v44, v43, v42
	v_fma_f32 v45, -v39, v44, v43
	v_mul_f32_e32 v40, 0x3fb8aa3b, v40
	v_fmac_f32_e32 v44, v45, v42
	v_exp_f32_e32 v40, v40
	v_fma_f32 v39, -v39, v44, v43
	v_div_fmas_f32 v39, v39, v42, v44
	v_div_fixup_f32 v38, v39, v38, 1.0
	v_mul_f32_e32 v38, v40, v38
	v_pk_mul_f32 v[36:37], v[36:37], v[38:39] op_sel_hi:[1,0]
	v_pk_mul_f32 v[34:35], v[34:35], v[38:39] op_sel_hi:[1,0]
	v_cvt_f16_f32_e32 v36, v36
	v_cvt_f16_f32_e32 v34, v34
	;; [unrolled: 1-line block ×4, first 2 shown]
	s_mov_b32 s1, 0x5040100
	v_pack_b32_f16 v34, v34, v35
	v_pack_b32_f16 v35, v36, v37
	s_waitcnt vmcnt(7)
	s_nop 0
	v_mfma_f32_4x4x4_16b_f16 a[0:3], v[34:35], v[2:3], 0 cbsz:4
	s_nop 1
	v_mfma_f32_4x4x4_16b_f16 a[0:3], v[34:35], v[4:5], a[0:3] cbsz:4 abid:1
	s_waitcnt vmcnt(6)
	s_nop 0
	v_mfma_f32_4x4x4_16b_f16 a[0:3], v[34:35], v[6:7], a[0:3] cbsz:4 abid:2
	s_nop 1
	v_mfma_f32_4x4x4_16b_f16 a[0:3], v[34:35], v[8:9], a[0:3] cbsz:4 abid:3
	s_waitcnt vmcnt(5)
	s_nop 0
	v_mfma_f32_4x4x4_16b_f16 a[0:3], v[34:35], v[10:11], a[0:3] cbsz:4 abid:4
	;; [unrolled: 5-line block ×7, first 2 shown]
	s_nop 1
	v_mfma_f32_4x4x4_16b_f16 a[0:3], v[34:35], v[32:33], a[0:3] cbsz:4 abid:15
	s_nop 4
	v_accvgpr_read_b32 v2, a0
	v_accvgpr_read_b32 v3, a1
	;; [unrolled: 1-line block ×4, first 2 shown]
	v_cvt_f16_f32_e32 v2, v2
	v_cvt_f16_f32_e32 v3, v3
	;; [unrolled: 1-line block ×4, first 2 shown]
	v_perm_b32 v38, v3, v2, s1
	v_perm_b32 v39, v5, v4, s1
.LBB57_23:
	s_or_b64 exec, exec, s[2:3]
	v_lshlrev_b32_e32 v1, 3, v1
	v_mad_u32_u24 v1, v56, 40, v1
	v_cmp_gt_u32_e32 vcc, 64, v0
	ds_write_b64 v1, v[38:39]
	s_waitcnt lgkmcnt(0)
	s_barrier
	s_and_saveexec_b64 s[2:3], vcc
	s_cbranch_execz .LBB57_25
; %bb.24:
	s_mov_b32 s1, 0
	s_lshl_b32 s0, s0, 6
	v_mul_u32_u24_e32 v1, 40, v56
	s_lshl_b64 s[2:3], s[0:1], 1
	s_waitcnt vmcnt(7)
	ds_read2_b64 v[2:5], v1 offset1:1
	s_waitcnt vmcnt(6)
	ds_read2_b64 v[6:9], v1 offset0:2 offset1:3
	s_add_u32 s2, s18, s2
	s_addc_u32 s3, s19, s3
	s_lshl_b32 s0, s16, 6
	s_lshl_b64 s[0:1], s[0:1], 1
	s_add_u32 s0, s2, s0
	s_addc_u32 s1, s3, s1
	s_lshl_b32 s2, s33, 6
	s_waitcnt lgkmcnt(1)
	v_pk_add_f16 v1, v2, 0
	s_mul_i32 s3, s2, s34
	v_pk_add_f16 v1, v1, v4
	v_or_b32_e32 v2, s3, v0
	v_mov_b32_e32 v3, 0
	s_add_i32 s3, s3, s2
	s_waitcnt lgkmcnt(0)
	v_pk_add_f16 v1, v1, v6
	v_lshl_add_u64 v[4:5], v[2:3], 1, s[0:1]
	v_or_b32_e32 v2, s3, v0
	v_pk_add_f16 v6, v1, v8
	v_lshl_add_u64 v[0:1], v[2:3], 1, s[0:1]
	global_store_short v[4:5], v6, off
	global_store_short_d16_hi v[0:1], v6, off
.LBB57_25:
	s_endpgm
	.section	.rodata,"a",@progbits
	.p2align	6, 0x0
	.amdhsa_kernel _Z38paged_attention_ll4mi_QKV_mfma4_kernelIDF16_DF16_LN4vllm18Fp8KVCacheDataTypeE0EDF16_Li16ELi64ELi256ELb1ELi2EEvPKT_PKT0_S7_ifPKiS9_S9_iPKfiiiPfSC_PS2_PT2_iSB_SB_
		.amdhsa_group_segment_fixed_size 2720
		.amdhsa_private_segment_fixed_size 0
		.amdhsa_kernarg_size 400
		.amdhsa_user_sgpr_count 2
		.amdhsa_user_sgpr_dispatch_ptr 0
		.amdhsa_user_sgpr_queue_ptr 0
		.amdhsa_user_sgpr_kernarg_segment_ptr 1
		.amdhsa_user_sgpr_dispatch_id 0
		.amdhsa_user_sgpr_kernarg_preload_length 0
		.amdhsa_user_sgpr_kernarg_preload_offset 0
		.amdhsa_user_sgpr_private_segment_size 0
		.amdhsa_uses_dynamic_stack 0
		.amdhsa_enable_private_segment 0
		.amdhsa_system_sgpr_workgroup_id_x 1
		.amdhsa_system_sgpr_workgroup_id_y 1
		.amdhsa_system_sgpr_workgroup_id_z 1
		.amdhsa_system_sgpr_workgroup_info 0
		.amdhsa_system_vgpr_workitem_id 0
		.amdhsa_next_free_vgpr 72
		.amdhsa_next_free_sgpr 40
		.amdhsa_accum_offset 68
		.amdhsa_reserve_vcc 1
		.amdhsa_float_round_mode_32 0
		.amdhsa_float_round_mode_16_64 0
		.amdhsa_float_denorm_mode_32 3
		.amdhsa_float_denorm_mode_16_64 3
		.amdhsa_dx10_clamp 1
		.amdhsa_ieee_mode 1
		.amdhsa_fp16_overflow 0
		.amdhsa_tg_split 0
		.amdhsa_exception_fp_ieee_invalid_op 0
		.amdhsa_exception_fp_denorm_src 0
		.amdhsa_exception_fp_ieee_div_zero 0
		.amdhsa_exception_fp_ieee_overflow 0
		.amdhsa_exception_fp_ieee_underflow 0
		.amdhsa_exception_fp_ieee_inexact 0
		.amdhsa_exception_int_div_zero 0
	.end_amdhsa_kernel
	.section	.text._Z38paged_attention_ll4mi_QKV_mfma4_kernelIDF16_DF16_LN4vllm18Fp8KVCacheDataTypeE0EDF16_Li16ELi64ELi256ELb1ELi2EEvPKT_PKT0_S7_ifPKiS9_S9_iPKfiiiPfSC_PS2_PT2_iSB_SB_,"axG",@progbits,_Z38paged_attention_ll4mi_QKV_mfma4_kernelIDF16_DF16_LN4vllm18Fp8KVCacheDataTypeE0EDF16_Li16ELi64ELi256ELb1ELi2EEvPKT_PKT0_S7_ifPKiS9_S9_iPKfiiiPfSC_PS2_PT2_iSB_SB_,comdat
.Lfunc_end57:
	.size	_Z38paged_attention_ll4mi_QKV_mfma4_kernelIDF16_DF16_LN4vllm18Fp8KVCacheDataTypeE0EDF16_Li16ELi64ELi256ELb1ELi2EEvPKT_PKT0_S7_ifPKiS9_S9_iPKfiiiPfSC_PS2_PT2_iSB_SB_, .Lfunc_end57-_Z38paged_attention_ll4mi_QKV_mfma4_kernelIDF16_DF16_LN4vllm18Fp8KVCacheDataTypeE0EDF16_Li16ELi64ELi256ELb1ELi2EEvPKT_PKT0_S7_ifPKiS9_S9_iPKfiiiPfSC_PS2_PT2_iSB_SB_
                                        ; -- End function
	.section	.AMDGPU.csdata,"",@progbits
; Kernel info:
; codeLenInByte = 3196
; NumSgprs: 46
; NumVgprs: 66
; NumAgprs: 4
; TotalNumVgprs: 72
; ScratchSize: 0
; MemoryBound: 0
; FloatMode: 240
; IeeeMode: 1
; LDSByteSize: 2720 bytes/workgroup (compile time only)
; SGPRBlocks: 5
; VGPRBlocks: 8
; NumSGPRsForWavesPerEU: 46
; NumVGPRsForWavesPerEU: 72
; AccumOffset: 68
; Occupancy: 7
; WaveLimiterHint : 1
; COMPUTE_PGM_RSRC2:SCRATCH_EN: 0
; COMPUTE_PGM_RSRC2:USER_SGPR: 2
; COMPUTE_PGM_RSRC2:TRAP_HANDLER: 0
; COMPUTE_PGM_RSRC2:TGID_X_EN: 1
; COMPUTE_PGM_RSRC2:TGID_Y_EN: 1
; COMPUTE_PGM_RSRC2:TGID_Z_EN: 1
; COMPUTE_PGM_RSRC2:TIDIG_COMP_CNT: 0
; COMPUTE_PGM_RSRC3_GFX90A:ACCUM_OFFSET: 16
; COMPUTE_PGM_RSRC3_GFX90A:TG_SPLIT: 0
	.section	.text._Z38paged_attention_ll4mi_QKV_mfma4_kernelIDF16_DF16_LN4vllm18Fp8KVCacheDataTypeE0EDF16_Li16ELi64ELi256ELb1ELi3EEvPKT_PKT0_S7_ifPKiS9_S9_iPKfiiiPfSC_PS2_PT2_iSB_SB_,"axG",@progbits,_Z38paged_attention_ll4mi_QKV_mfma4_kernelIDF16_DF16_LN4vllm18Fp8KVCacheDataTypeE0EDF16_Li16ELi64ELi256ELb1ELi3EEvPKT_PKT0_S7_ifPKiS9_S9_iPKfiiiPfSC_PS2_PT2_iSB_SB_,comdat
	.protected	_Z38paged_attention_ll4mi_QKV_mfma4_kernelIDF16_DF16_LN4vllm18Fp8KVCacheDataTypeE0EDF16_Li16ELi64ELi256ELb1ELi3EEvPKT_PKT0_S7_ifPKiS9_S9_iPKfiiiPfSC_PS2_PT2_iSB_SB_ ; -- Begin function _Z38paged_attention_ll4mi_QKV_mfma4_kernelIDF16_DF16_LN4vllm18Fp8KVCacheDataTypeE0EDF16_Li16ELi64ELi256ELb1ELi3EEvPKT_PKT0_S7_ifPKiS9_S9_iPKfiiiPfSC_PS2_PT2_iSB_SB_
	.globl	_Z38paged_attention_ll4mi_QKV_mfma4_kernelIDF16_DF16_LN4vllm18Fp8KVCacheDataTypeE0EDF16_Li16ELi64ELi256ELb1ELi3EEvPKT_PKT0_S7_ifPKiS9_S9_iPKfiiiPfSC_PS2_PT2_iSB_SB_
	.p2align	8
	.type	_Z38paged_attention_ll4mi_QKV_mfma4_kernelIDF16_DF16_LN4vllm18Fp8KVCacheDataTypeE0EDF16_Li16ELi64ELi256ELb1ELi3EEvPKT_PKT0_S7_ifPKiS9_S9_iPKfiiiPfSC_PS2_PT2_iSB_SB_,@function
_Z38paged_attention_ll4mi_QKV_mfma4_kernelIDF16_DF16_LN4vllm18Fp8KVCacheDataTypeE0EDF16_Li16ELi64ELi256ELb1ELi3EEvPKT_PKT0_S7_ifPKiS9_S9_iPKfiiiPfSC_PS2_PT2_iSB_SB_: ; @_Z38paged_attention_ll4mi_QKV_mfma4_kernelIDF16_DF16_LN4vllm18Fp8KVCacheDataTypeE0EDF16_Li16ELi64ELi256ELb1ELi3EEvPKT_PKT0_S7_ifPKiS9_S9_iPKfiiiPfSC_PS2_PT2_iSB_SB_
; %bb.0:
	s_load_dwordx2 s[8:9], s[0:1], 0x30
	s_mov_b32 s16, s3
	s_mov_b64 s[6:7], 0
	s_waitcnt lgkmcnt(0)
	s_cmp_lg_u64 s[8:9], 0
	s_cselect_b64 s[10:11], -1, 0
	s_and_b64 vcc, exec, s[10:11]
	s_cbranch_vccz .LBB58_10
; %bb.1:
	s_add_i32 s12, s2, 1
	s_mov_b32 s13, 0
	s_lshl_b64 s[14:15], s[12:13], 2
	s_add_u32 s14, s8, s14
	s_mov_b32 s3, s13
	s_addc_u32 s15, s9, s15
	s_lshl_b64 s[12:13], s[2:3], 2
	s_add_u32 s12, s8, s12
	s_addc_u32 s13, s9, s13
	s_load_dword s5, s[14:15], 0x0
	s_load_dword s17, s[12:13], 0x0
	s_waitcnt lgkmcnt(0)
	s_sub_i32 s5, s5, s17
	s_cmp_eq_u32 s5, 1
	s_cselect_b64 s[12:13], -1, 0
	s_andn2_b64 vcc, exec, s[6:7]
	s_cbranch_vccnz .LBB58_3
.LBB58_2:
	s_mov_b32 s3, 0
	s_mov_b64 s[12:13], -1
.LBB58_3:
	s_andn2_b64 vcc, exec, s[12:13]
	s_cbranch_vccnz .LBB58_25
; %bb.4:
	s_load_dword s5, s[0:1], 0x9c
	s_load_dwordx2 s[6:7], s[0:1], 0x28
	s_add_u32 s20, s0, 0x90
	s_addc_u32 s21, s1, 0
	s_lshl_b64 s[24:25], s[2:3], 2
	s_waitcnt lgkmcnt(0)
	s_and_b32 s5, s5, 0xffff
	s_add_u32 s6, s6, s24
	s_addc_u32 s7, s7, s25
	s_load_dword s3, s[6:7], 0x0
	s_mul_i32 s5, s16, s5
	s_waitcnt lgkmcnt(0)
	s_cmp_ge_i32 s5, s3
	s_cbranch_scc1 .LBB58_25
; %bb.5:
	v_and_b32_e32 v2, 0xc0, v0
	v_add_u32_e32 v2, s5, v2
	v_lshrrev_b32_e32 v1, 6, v0
	v_cmp_gt_i32_e64 s[6:7], s3, v2
	v_cmp_le_i32_e32 vcc, s3, v2
                                        ; implicit-def: $sgpr26
                                        ; implicit-def: $sgpr17
	s_and_saveexec_b64 s[12:13], vcc
	s_xor_b64 s[12:13], exec, s[12:13]
	s_cbranch_execz .LBB58_7
; %bb.6:
	v_mul_u32_u24_e32 v2, 20, v1
	v_or_b32_e32 v2, 0xa00, v2
	v_mov_b32_e32 v3, 0xa50
	v_mov_b32_e32 v4, 0xff7fffff
	v_mad_u32_u24 v3, v1, 20, v3
	ds_write2_b32 v2, v4, v4 offset1:1
	v_mov_b32_e32 v2, 0
	ds_write2_b32 v3, v2, v2 offset1:1
	v_mov_b32_e32 v3, 0xa08
	s_mov_b32 s17, 0xff7fffff
	s_mov_b32 s26, 0
	v_mad_u32_u24 v3, v1, 20, v3
	v_mov_b32_e32 v5, 0xa58
	v_mad_u32_u24 v5, v1, 20, v5
	ds_write2_b32 v3, v4, v4 offset1:1
	ds_write2_b32 v5, v2, v2 offset1:1
                                        ; implicit-def: $vgpr2
.LBB58_7:
	s_or_saveexec_b64 s[22:23], s[12:13]
	s_load_dwordx2 s[18:19], s[0:1], 0x68
	s_load_dwordx4 s[12:15], s[0:1], 0x58
	s_load_dword s33, s[20:21], 0x4
	v_and_b32_e32 v56, 63, v0
	v_and_b32_e32 v57, 3, v0
	s_mul_i32 s34, s4, 3
	v_mov_b32_e32 v37, s26
	v_mov_b32_e32 v40, s17
	;; [unrolled: 1-line block ×5, first 2 shown]
                                        ; implicit-def: $vgpr3
                                        ; implicit-def: $vgpr7
                                        ; implicit-def: $vgpr11
                                        ; implicit-def: $vgpr15
                                        ; implicit-def: $vgpr19
                                        ; implicit-def: $vgpr23
                                        ; implicit-def: $vgpr27
                                        ; implicit-def: $vgpr31
	s_xor_b64 exec, exec, s[22:23]
	s_cbranch_execz .LBB58_19
; %bb.8:
	s_add_i32 s28, s3, 15
	s_load_dwordx2 s[26:27], s[0:1], 0x20
	s_load_dword s17, s[0:1], 0x38
	s_ashr_i32 s29, s28, 31
	s_lshr_b32 s29, s29, 28
	v_add_u32_e32 v58, s5, v0
	s_add_i32 s28, s28, s29
	v_ashrrev_i32_e32 v3, 31, v58
	s_ashr_i32 s28, s28, 4
	v_lshrrev_b32_e32 v3, 28, v3
	s_add_i32 s30, s28, -1
	v_add_u32_e32 v3, v58, v3
	s_waitcnt lgkmcnt(0)
	s_mul_i32 s28, s2, s17
	s_mov_b32 s29, 0
	v_ashrrev_i32_e32 v3, 4, v3
	v_mov_b32_e32 v4, s30
	v_cmp_gt_i32_e32 vcc, s3, v58
	s_lshl_b64 s[28:29], s[28:29], 2
	s_add_u32 s26, s26, s28
	v_cndmask_b32_e32 v4, v4, v3, vcc
	v_ashrrev_i32_e32 v3, 31, v2
	v_lshrrev_b32_e32 v3, 28, v3
	s_addc_u32 s27, s27, s29
	v_ashrrev_i32_e32 v5, 31, v4
	v_add_u32_e32 v2, v2, v3
	v_lshl_add_u64 v[6:7], v[4:5], 2, s[26:27]
	v_ashrrev_i32_e32 v4, 4, v2
	v_min_i32_e32 v2, s30, v4
	v_ashrrev_i32_e32 v3, 31, v2
	v_lshl_add_u64 v[8:9], v[2:3], 2, s[26:27]
	v_add_u32_e32 v2, 1, v4
	v_min_i32_e32 v2, s30, v2
	v_ashrrev_i32_e32 v3, 31, v2
	v_lshl_add_u64 v[12:13], v[2:3], 2, s[26:27]
	v_add_u32_e32 v2, 2, v4
	;; [unrolled: 4-line block ×3, first 2 shown]
	v_min_i32_e32 v2, s30, v2
	v_ashrrev_i32_e32 v3, 31, v2
	v_lshl_add_u64 v[16:17], v[2:3], 2, s[26:27]
	global_load_dword v2, v[6:7], off
	global_load_dword v4, v[8:9], off
	;; [unrolled: 1-line block ×5, first 2 shown]
	s_load_dwordx2 s[26:27], s[0:1], 0x8
	s_andn2_b64 vcc, exec, s[10:11]
	s_cbranch_vccnz .LBB58_11
; %bb.9:
	s_add_u32 s8, s8, s24
	s_addc_u32 s9, s9, s25
	s_load_dword s5, s[8:9], 0x0
	s_branch .LBB58_12
.LBB58_10:
	s_mov_b64 s[12:13], 0
	s_branch .LBB58_2
.LBB58_11:
	s_mov_b32 s5, s2
.LBB58_12:
	s_load_dwordx2 s[24:25], s[0:1], 0x10
	s_load_dwordx4 s[8:11], s[0:1], 0x48
	v_cmp_ne_u32_e32 vcc, 3, v57
	s_mov_b32 s29, 0
	v_mov_b32_e32 v3, 0
	v_mov_b32_e32 v26, 0
	;; [unrolled: 1-line block ×5, first 2 shown]
	s_and_saveexec_b64 s[30:31], vcc
	s_cbranch_execz .LBB58_14
; %bb.13:
	s_load_dwordx2 s[36:37], s[0:1], 0x0
	s_waitcnt lgkmcnt(0)
	s_ashr_i32 s11, s8, 31
	s_mul_hi_u32 s17, s5, s8
	s_mul_i32 s11, s5, s11
	s_add_i32 s39, s17, s11
	s_mul_i32 s38, s5, s8
	s_lshl_b64 s[38:39], s[38:39], 1
	s_add_u32 s5, s36, s38
	s_mul_i32 s28, s4, 0xc0
	s_addc_u32 s8, s37, s39
	s_lshl_b64 s[36:37], s[28:29], 1
	s_add_u32 s36, s5, s36
	v_lshlrev_b32_e32 v5, 3, v57
	v_lshrrev_b32_e32 v6, 2, v56
	s_addc_u32 s37, s8, s37
	v_add_lshl_u32 v5, v5, v6, 4
	global_load_dwordx4 v[26:29], v5, s[36:37]
.LBB58_14:
	s_or_b64 exec, exec, s[30:31]
	s_waitcnt lgkmcnt(0)
	s_mul_i32 s28, s4, s10
	s_lshl_b64 s[4:5], s[28:29], 1
	s_add_u32 s10, s4, s26
	s_waitcnt vmcnt(4)
	v_mad_i64_i32 v[6:7], s[30:31], v2, s9, 0
	s_addc_u32 s11, s5, s27
	v_and_b32_e32 v2, 15, v0
	v_lshl_add_u64 v[6:7], v[6:7], 1, s[10:11]
	v_lshlrev_b32_e32 v2, 4, v2
	v_lshl_add_u64 v[6:7], v[6:7], 0, v[2:3]
	global_load_dwordx4 v[50:53], v[6:7], off
	global_load_dwordx4 v[46:49], v[6:7], off offset:256
	global_load_dwordx4 v[22:25], v[6:7], off offset:512
	global_load_dwordx4 v[18:21], v[6:7], off offset:768
	global_load_dwordx4 v[42:45], v[6:7], off offset:1024
	global_load_dwordx4 v[38:41], v[6:7], off offset:1280
	global_load_dwordx4 v[34:37], v[6:7], off offset:1536
	global_load_dwordx4 v[30:33], v[6:7], off offset:1792
	v_mov_b32_e32 v55, 1.0
	v_mov_b32_e32 v54, 0
	s_and_saveexec_b64 s[10:11], vcc
	s_cbranch_execz .LBB58_16
; %bb.15:
	s_load_dwordx2 s[26:27], s[0:1], 0x40
	v_add_u32_e32 v54, s34, v57
	v_mov_b32_e32 v55, 0
	s_waitcnt lgkmcnt(0)
	v_lshl_add_u64 v[6:7], v[54:55], 2, s[26:27]
	global_load_dword v54, v[6:7], off
.LBB58_16:
	s_or_b64 exec, exec, s[10:11]
	s_waitcnt vmcnt(7)
	v_mfma_f32_4x4x4_16b_f16 a[0:3], v[26:27], v[50:51], 0 cbsz:4
	s_load_dword s0, s[0:1], 0x1c
	s_add_u32 s4, s24, s4
	v_mfma_f32_4x4x4_16b_f16 a[0:3], v[28:29], v[52:53], a[0:3] cbsz:4
	s_addc_u32 s5, s25, s5
	v_lshlrev_b32_e32 v2, 5, v56
	s_waitcnt vmcnt(6)
	v_mfma_f32_4x4x4_16b_f16 a[0:3], v[26:27], v[46:47], a[0:3] cbsz:4 abid:1
	v_lshl_add_u64 v[62:63], s[4:5], 0, v[2:3]
	v_mul_hi_i32 v2, v4, s9
	v_mfma_f32_4x4x4_16b_f16 a[0:3], v[28:29], v[48:49], a[0:3] cbsz:4 abid:1
	v_ashrrev_i32_e32 v2, 31, v2
	v_mul_hi_i32 v11, v10, s9
	s_waitcnt vmcnt(5)
	v_mfma_f32_4x4x4_16b_f16 a[0:3], v[26:27], v[22:23], a[0:3] cbsz:4 abid:2
	v_lshrrev_b32_e32 v64, 29, v2
	v_mov_b32_e32 v65, 0
	v_mfma_f32_4x4x4_16b_f16 a[0:3], v[28:29], v[24:25], a[0:3] cbsz:4 abid:2
	v_ashrrev_i32_e32 v11, 31, v11
	v_mul_hi_i32 v50, v60, s9
	s_waitcnt vmcnt(4)
	v_mfma_f32_4x4x4_16b_f16 a[0:3], v[26:27], v[18:19], a[0:3] cbsz:4 abid:3
	v_mad_i64_i32 v[2:3], s[4:5], v4, s9, v[64:65]
	s_nop 0
	v_mfma_f32_4x4x4_16b_f16 a[0:3], v[28:29], v[20:21], a[0:3] cbsz:4 abid:3
	v_lshrrev_b32_e32 v64, 29, v11
	v_ashrrev_i32_e32 v50, 31, v50
	s_waitcnt vmcnt(3)
	v_mfma_f32_4x4x4_16b_f16 a[0:3], v[26:27], v[42:43], a[0:3] cbsz:4 abid:4
	v_mul_hi_i32 v42, v59, s9
	v_mad_i64_i32 v[10:11], s[4:5], v10, s9, v[64:65]
	v_mfma_f32_4x4x4_16b_f16 a[0:3], v[28:29], v[44:45], a[0:3] cbsz:4 abid:4
	v_lshrrev_b32_e32 v64, 29, v50
	v_ashrrev_i32_e32 v42, 31, v42
	s_waitcnt vmcnt(2)
	v_mfma_f32_4x4x4_16b_f16 a[0:3], v[26:27], v[38:39], a[0:3] cbsz:4 abid:5
	v_cmp_eq_u32_e32 vcc, 0, v57
	v_mad_i64_i32 v[46:47], s[4:5], v60, s9, v[64:65]
	v_mfma_f32_4x4x4_16b_f16 a[0:3], v[28:29], v[40:41], a[0:3] cbsz:4 abid:5
	v_lshrrev_b32_e32 v64, 29, v42
	v_mad_i64_i32 v[38:39], s[4:5], v59, s9, v[64:65]
	s_waitcnt vmcnt(1)
	v_mfma_f32_4x4x4_16b_f16 a[0:3], v[26:27], v[34:35], a[0:3] cbsz:4 abid:6
	v_lshlrev_b64 v[2:3], 1, v[2:3]
	v_lshlrev_b64 v[10:11], 1, v[10:11]
	v_mfma_f32_4x4x4_16b_f16 a[0:3], v[28:29], v[36:37], a[0:3] cbsz:4 abid:6
	v_lshlrev_b64 v[22:23], 1, v[46:47]
	v_lshlrev_b64 v[34:35], 1, v[38:39]
	s_waitcnt vmcnt(0)
	v_mfma_f32_4x4x4_16b_f16 a[0:3], v[26:27], v[30:31], a[0:3] cbsz:4 abid:7
	v_and_b32_e32 v2, -16, v2
	v_and_b32_e32 v10, -16, v10
	v_mfma_f32_4x4x4_16b_f16 a[0:3], v[28:29], v[32:33], a[0:3] cbsz:4 abid:7
	v_and_b32_e32 v22, -16, v22
	v_and_b32_e32 v34, -16, v34
	v_lshl_add_u64 v[12:13], v[62:63], 0, v[2:3]
	v_lshl_add_u64 v[66:67], v[62:63], 0, v[10:11]
	;; [unrolled: 1-line block ×3, first 2 shown]
	v_accvgpr_read_b32 v29, a1
	v_accvgpr_read_b32 v28, a0
	s_waitcnt lgkmcnt(0)
	v_pk_mul_f32 v[28:29], s[0:1], v[28:29] op_sel_hi:[0,1]
	v_accvgpr_read_b32 v27, a3
	v_accvgpr_read_b32 v26, a2
	v_pk_mul_f32 v[36:37], s[0:1], v[26:27] op_sel_hi:[0,1]
	v_cndmask_b32_e64 v26, 0, 1.0, vcc
	v_cmp_eq_u32_e32 vcc, 1, v57
	v_lshl_add_u64 v[34:35], v[62:63], 0, v[34:35]
	v_mfma_f32_4x4x1_16b_f32 a[0:3], v28, v26, 0
	v_cndmask_b32_e64 v26, 0, 1.0, vcc
	v_cmp_eq_u32_e32 vcc, 2, v57
	global_load_dwordx4 v[2:5], v[12:13], off
	global_load_dwordx4 v[6:9], v[12:13], off offset:16
	v_mfma_f32_4x4x1_16b_f32 a[0:3], v29, v26, a[0:3]
	v_cndmask_b32_e64 v26, 0, 1.0, vcc
	global_load_dwordx4 v[10:13], v[66:67], off
	global_load_dwordx4 v[14:17], v[66:67], off offset:16
	global_load_dwordx4 v[18:21], v[46:47], off
	global_load_dwordx4 v[22:25], v[46:47], off offset:16
	v_mfma_f32_4x4x1_16b_f32 a[0:3], v36, v26, a[0:3]
	global_load_dwordx4 v[26:29], v[34:35], off
	global_load_dwordx4 v[30:33], v[34:35], off offset:16
	v_and_b32_e32 v34, -4, v58
	v_subrev_u32_e32 v35, s3, v34
	v_add_u32_e32 v36, 1, v35
	v_mfma_f32_4x4x1_16b_f32 a[0:3], v37, v55, a[0:3]
	v_cvt_f32_i32_e32 v36, v36
	v_add_u32_e32 v37, 2, v35
	v_cvt_f32_i32_e32 v37, v37
	v_mov_b32_e32 v41, 0xff7fffff
	v_accvgpr_read_b32 v38, a0
	v_fma_f32 v36, v54, v36, v38
	v_accvgpr_read_b32 v38, a1
	v_fma_f32 v37, v54, v37, v38
	v_add_u32_e32 v38, 3, v35
	v_cvt_f32_i32_e32 v38, v38
	v_add_u32_e32 v35, 4, v35
	v_max_f32_e32 v40, 0xff7fffff, v36
	v_cmp_gt_i32_e32 vcc, s3, v34
	v_cvt_f32_i32_e32 v35, v35
	v_accvgpr_read_b32 v39, a2
	v_cndmask_b32_e32 v40, v41, v40, vcc
	v_or_b32_e32 v41, 1, v34
	v_max_f32_e32 v42, v40, v37
	v_cmp_gt_i32_e64 s[0:1], s3, v41
	v_fma_f32 v38, v54, v38, v39
	v_or_b32_e32 v34, 2, v34
	v_cndmask_b32_e64 v40, v40, v42, s[0:1]
	v_accvgpr_read_b32 v39, a3
	v_max_f32_e32 v41, v40, v38
	v_cmp_gt_i32_e64 s[4:5], s3, v34
	v_fmac_f32_e32 v39, v54, v35
	v_lshlrev_b32_e32 v35, 2, v0
	v_cndmask_b32_e64 v34, v40, v41, s[4:5]
	v_or_b32_e32 v40, 3, v58
	v_max_f32_e32 v41, v34, v39
	v_cmp_gt_i32_e64 s[8:9], s3, v40
	v_and_or_b32 v35, v35, 48, v57
	s_nop 0
	v_cndmask_b32_e64 v34, v34, v41, s[8:9]
	;;#ASMSTART
	v_nop
 v_nop
 v_max_f32_dpp v34, v34, v34 row_ror:4
	;;#ASMEND
	v_lshlrev_b32_e32 v41, 2, v35
	;;#ASMSTART
	v_nop
 v_nop
 v_max_f32_dpp v34, v34, v34 row_ror:8
	;;#ASMEND
	ds_bpermute_b32 v34, v41, v34
	s_waitcnt lgkmcnt(0)
	;;#ASMSTART
	v_nop
 v_nop
 v_max_f32_dpp v34, v34, v34 row_ror:4
	;;#ASMEND
	s_nop 0
	;;#ASMSTART
	v_nop
 v_nop
 v_max_f32_dpp v40, v34, v34 row_ror:8
	;;#ASMEND
	s_nop 0
	v_sub_f32_e32 v34, v36, v40
	v_mul_f32_e32 v34, 0x3fb8aa3b, v34
	v_sub_f32_e32 v35, v37, v40
	v_exp_f32_e32 v34, v34
	v_mul_f32_e32 v35, 0x3fb8aa3b, v35
	v_sub_f32_e32 v37, v38, v40
	v_exp_f32_e32 v35, v35
	;; [unrolled: 3-line block ×3, first 2 shown]
	v_mul_f32_e32 v38, 0x3fb8aa3b, v38
	v_exp_f32_e32 v38, v38
	v_cndmask_b32_e32 v34, 0, v34, vcc
	v_add_f32_e32 v36, 0, v34
	v_cndmask_b32_e64 v35, 0, v35, s[0:1]
	v_add_f32_e32 v39, v36, v35
	v_cndmask_b32_e64 v36, 0, v37, s[4:5]
	v_add_f32_e32 v39, v39, v36
	v_cndmask_b32_e64 v37, 0, v38, s[8:9]
	v_add_f32_e32 v38, v39, v37
	;;#ASMSTART
	v_nop
 v_nop
 v_add_f32_dpp v38, v38, v38 row_ror:4
	;;#ASMEND
	v_cmp_gt_u32_e32 vcc, 4, v56
	;;#ASMSTART
	v_nop
 v_nop
 v_add_f32_dpp v38, v38, v38 row_ror:8
	;;#ASMEND
	ds_bpermute_b32 v38, v41, v38
	s_waitcnt lgkmcnt(0)
	;;#ASMSTART
	v_nop
 v_nop
 v_add_f32_dpp v38, v38, v38 row_ror:4
	;;#ASMEND
	s_nop 0
	;;#ASMSTART
	v_nop
 v_nop
 v_add_f32_dpp v38, v38, v38 row_ror:8
	;;#ASMEND
	s_and_saveexec_b64 s[0:1], vcc
	s_cbranch_execz .LBB58_18
; %bb.17:
	v_mul_u32_u24_e32 v39, 20, v1
	v_lshl_add_u32 v39, v57, 2, v39
	v_add_u32_e32 v39, 0x800, v39
	ds_write2_b32 v39, v40, v38 offset0:128 offset1:148
.LBB58_18:
	s_or_b64 exec, exec, s[0:1]
.LBB58_19:
	s_or_b64 exec, exec, s[22:23]
	s_waitcnt lgkmcnt(0)
	s_barrier
	s_load_dword s0, s[20:21], 0x8
	v_lshlrev_b32_e32 v38, 2, v57
	v_add_u32_e32 v46, 0x800, v38
	ds_read2_b32 v[38:39], v46 offset0:128 offset1:133
	ds_read2_b32 v[42:43], v46 offset0:138 offset1:143
	s_mul_i32 s1, s2, s33
	s_waitcnt lgkmcnt(0)
	s_mul_i32 s0, s1, s0
	s_mov_b32 s1, 0xff7fffff
	v_max3_f32 v41, v38, s1, v39
	v_max3_f32 v41, v41, v42, v43
	v_sub_f32_e32 v38, v38, v41
	v_mul_f32_e32 v38, 0x3fb8aa3b, v38
	ds_read2_b32 v[44:45], v46 offset0:148 offset1:153
	v_exp_f32_e32 v47, v38
	v_sub_f32_e32 v38, v39, v41
	v_sub_f32_e32 v42, v42, v41
	v_mul_f32_e32 v38, 0x3fb8aa3b, v38
	v_mul_f32_e32 v42, 0x3fb8aa3b, v42
	v_exp_f32_e32 v48, v38
	ds_read2_b32 v[38:39], v46 offset0:158 offset1:163
	v_exp_f32_e32 v46, v42
	v_sub_f32_e32 v42, v43, v41
	v_mul_f32_e32 v42, 0x3fb8aa3b, v42
	v_exp_f32_e32 v43, v42
	s_waitcnt lgkmcnt(1)
	v_fma_f32 v42, v47, v44, 0
	v_fmac_f32_e32 v42, v48, v45
	s_waitcnt lgkmcnt(0)
	v_fmac_f32_e32 v42, v46, v38
	s_mul_i32 s0, s0, 3
	v_fmac_f32_e32 v42, v43, v39
	v_cmp_ne_u32_e32 vcc, 3, v57
	s_and_saveexec_b64 s[2:3], vcc
	s_cbranch_execz .LBB58_21
; %bb.20:
	s_mov_b32 s1, 0
	s_lshl_b64 s[4:5], s[0:1], 2
	s_add_u32 s10, s12, s4
	s_mov_b32 s17, s1
	s_addc_u32 s11, s13, s5
	s_lshl_b64 s[8:9], s[16:17], 2
	s_add_u32 s10, s10, s8
	s_addc_u32 s11, s11, s9
	s_add_u32 s1, s14, s4
	s_addc_u32 s5, s15, s5
	v_add_u32_e32 v38, s34, v57
	s_add_u32 s4, s1, s8
	v_mul_lo_u32 v38, s33, v38
	v_mov_b32_e32 v39, 0
	s_addc_u32 s5, s5, s9
	v_lshlrev_b64 v[38:39], 2, v[38:39]
	v_lshl_add_u64 v[44:45], s[10:11], 0, v[38:39]
	v_lshl_add_u64 v[38:39], s[4:5], 0, v[38:39]
	global_store_dword v[38:39], v41, off
	global_store_dword v[44:45], v42, off
.LBB58_21:
	s_or_b64 exec, exec, s[2:3]
	v_mov_b32_e32 v38, 0
	v_mov_b32_e32 v39, 0
	s_and_saveexec_b64 s[2:3], s[6:7]
	s_cbranch_execz .LBB58_23
; %bb.22:
	v_add_f32_e32 v38, 0x358637bd, v42
	v_div_scale_f32 v39, s[4:5], v38, v38, 1.0
	v_rcp_f32_e32 v42, v39
	v_div_scale_f32 v43, vcc, 1.0, v38, 1.0
	v_sub_f32_e32 v40, v40, v41
	v_fma_f32 v44, -v39, v42, 1.0
	v_fmac_f32_e32 v42, v44, v42
	v_mul_f32_e32 v44, v43, v42
	v_fma_f32 v45, -v39, v44, v43
	v_mul_f32_e32 v40, 0x3fb8aa3b, v40
	v_fmac_f32_e32 v44, v45, v42
	v_exp_f32_e32 v40, v40
	v_fma_f32 v39, -v39, v44, v43
	v_div_fmas_f32 v39, v39, v42, v44
	v_div_fixup_f32 v38, v39, v38, 1.0
	v_mul_f32_e32 v38, v40, v38
	v_pk_mul_f32 v[36:37], v[36:37], v[38:39] op_sel_hi:[1,0]
	v_pk_mul_f32 v[34:35], v[34:35], v[38:39] op_sel_hi:[1,0]
	v_cvt_f16_f32_e32 v36, v36
	v_cvt_f16_f32_e32 v34, v34
	;; [unrolled: 1-line block ×4, first 2 shown]
	s_mov_b32 s1, 0x5040100
	v_pack_b32_f16 v34, v34, v35
	v_pack_b32_f16 v35, v36, v37
	s_waitcnt vmcnt(7)
	s_nop 0
	v_mfma_f32_4x4x4_16b_f16 a[0:3], v[34:35], v[2:3], 0 cbsz:4
	s_nop 1
	v_mfma_f32_4x4x4_16b_f16 a[0:3], v[34:35], v[4:5], a[0:3] cbsz:4 abid:1
	s_waitcnt vmcnt(6)
	s_nop 0
	v_mfma_f32_4x4x4_16b_f16 a[0:3], v[34:35], v[6:7], a[0:3] cbsz:4 abid:2
	s_nop 1
	v_mfma_f32_4x4x4_16b_f16 a[0:3], v[34:35], v[8:9], a[0:3] cbsz:4 abid:3
	s_waitcnt vmcnt(5)
	s_nop 0
	v_mfma_f32_4x4x4_16b_f16 a[0:3], v[34:35], v[10:11], a[0:3] cbsz:4 abid:4
	;; [unrolled: 5-line block ×7, first 2 shown]
	s_nop 1
	v_mfma_f32_4x4x4_16b_f16 a[0:3], v[34:35], v[32:33], a[0:3] cbsz:4 abid:15
	s_nop 4
	v_accvgpr_read_b32 v2, a0
	v_accvgpr_read_b32 v3, a1
	;; [unrolled: 1-line block ×4, first 2 shown]
	v_cvt_f16_f32_e32 v2, v2
	v_cvt_f16_f32_e32 v3, v3
	;; [unrolled: 1-line block ×4, first 2 shown]
	v_perm_b32 v38, v3, v2, s1
	v_perm_b32 v39, v5, v4, s1
.LBB58_23:
	s_or_b64 exec, exec, s[2:3]
	v_lshlrev_b32_e32 v1, 3, v1
	v_mad_u32_u24 v1, v56, 40, v1
	v_cmp_gt_u32_e32 vcc, 64, v0
	ds_write_b64 v1, v[38:39]
	s_waitcnt lgkmcnt(0)
	s_barrier
	s_and_saveexec_b64 s[2:3], vcc
	s_cbranch_execz .LBB58_25
; %bb.24:
	v_mul_u32_u24_e32 v1, 40, v56
	s_waitcnt vmcnt(7)
	ds_read2_b64 v[2:5], v1 offset1:1
	s_waitcnt vmcnt(6)
	ds_read2_b64 v[6:9], v1 offset0:2 offset1:3
	s_mov_b32 s1, 0
	s_lshl_b32 s0, s0, 6
	s_lshl_b64 s[2:3], s[0:1], 1
	s_add_u32 s2, s18, s2
	s_addc_u32 s3, s19, s3
	s_lshl_b32 s0, s16, 6
	s_lshl_b64 s[0:1], s[0:1], 1
	s_waitcnt lgkmcnt(1)
	v_pk_add_f16 v1, v2, 0
	v_pk_add_f16 v2, v3, 0
	s_add_u32 s0, s2, s0
	v_pk_add_f16 v2, v2, v5
	s_addc_u32 s1, s3, s1
	s_lshl_b32 s2, s33, 6
	v_pk_add_f16 v1, v1, v4
	s_waitcnt lgkmcnt(0)
	v_pk_add_f16 v2, v2, v7
	s_mul_i32 s3, s2, s34
	v_pk_add_f16 v1, v1, v6
	v_pk_add_f16 v6, v2, v9
	v_or_b32_e32 v2, s3, v0
	v_mov_b32_e32 v3, 0
	s_add_i32 s3, s3, s2
	v_pk_add_f16 v1, v1, v8
	v_lshl_add_u64 v[4:5], v[2:3], 1, s[0:1]
	v_or_b32_e32 v2, s3, v0
	s_add_i32 s3, s3, s2
	global_store_short v[4:5], v1, off
	v_lshl_add_u64 v[4:5], v[2:3], 1, s[0:1]
	v_or_b32_e32 v2, s3, v0
	global_store_short_d16_hi v[4:5], v1, off
	v_lshl_add_u64 v[0:1], v[2:3], 1, s[0:1]
	global_store_short v[0:1], v6, off
.LBB58_25:
	s_endpgm
	.section	.rodata,"a",@progbits
	.p2align	6, 0x0
	.amdhsa_kernel _Z38paged_attention_ll4mi_QKV_mfma4_kernelIDF16_DF16_LN4vllm18Fp8KVCacheDataTypeE0EDF16_Li16ELi64ELi256ELb1ELi3EEvPKT_PKT0_S7_ifPKiS9_S9_iPKfiiiPfSC_PS2_PT2_iSB_SB_
		.amdhsa_group_segment_fixed_size 2720
		.amdhsa_private_segment_fixed_size 0
		.amdhsa_kernarg_size 400
		.amdhsa_user_sgpr_count 2
		.amdhsa_user_sgpr_dispatch_ptr 0
		.amdhsa_user_sgpr_queue_ptr 0
		.amdhsa_user_sgpr_kernarg_segment_ptr 1
		.amdhsa_user_sgpr_dispatch_id 0
		.amdhsa_user_sgpr_kernarg_preload_length 0
		.amdhsa_user_sgpr_kernarg_preload_offset 0
		.amdhsa_user_sgpr_private_segment_size 0
		.amdhsa_uses_dynamic_stack 0
		.amdhsa_enable_private_segment 0
		.amdhsa_system_sgpr_workgroup_id_x 1
		.amdhsa_system_sgpr_workgroup_id_y 1
		.amdhsa_system_sgpr_workgroup_id_z 1
		.amdhsa_system_sgpr_workgroup_info 0
		.amdhsa_system_vgpr_workitem_id 0
		.amdhsa_next_free_vgpr 72
		.amdhsa_next_free_sgpr 40
		.amdhsa_accum_offset 68
		.amdhsa_reserve_vcc 1
		.amdhsa_float_round_mode_32 0
		.amdhsa_float_round_mode_16_64 0
		.amdhsa_float_denorm_mode_32 3
		.amdhsa_float_denorm_mode_16_64 3
		.amdhsa_dx10_clamp 1
		.amdhsa_ieee_mode 1
		.amdhsa_fp16_overflow 0
		.amdhsa_tg_split 0
		.amdhsa_exception_fp_ieee_invalid_op 0
		.amdhsa_exception_fp_denorm_src 0
		.amdhsa_exception_fp_ieee_div_zero 0
		.amdhsa_exception_fp_ieee_overflow 0
		.amdhsa_exception_fp_ieee_underflow 0
		.amdhsa_exception_fp_ieee_inexact 0
		.amdhsa_exception_int_div_zero 0
	.end_amdhsa_kernel
	.section	.text._Z38paged_attention_ll4mi_QKV_mfma4_kernelIDF16_DF16_LN4vllm18Fp8KVCacheDataTypeE0EDF16_Li16ELi64ELi256ELb1ELi3EEvPKT_PKT0_S7_ifPKiS9_S9_iPKfiiiPfSC_PS2_PT2_iSB_SB_,"axG",@progbits,_Z38paged_attention_ll4mi_QKV_mfma4_kernelIDF16_DF16_LN4vllm18Fp8KVCacheDataTypeE0EDF16_Li16ELi64ELi256ELb1ELi3EEvPKT_PKT0_S7_ifPKiS9_S9_iPKfiiiPfSC_PS2_PT2_iSB_SB_,comdat
.Lfunc_end58:
	.size	_Z38paged_attention_ll4mi_QKV_mfma4_kernelIDF16_DF16_LN4vllm18Fp8KVCacheDataTypeE0EDF16_Li16ELi64ELi256ELb1ELi3EEvPKT_PKT0_S7_ifPKiS9_S9_iPKfiiiPfSC_PS2_PT2_iSB_SB_, .Lfunc_end58-_Z38paged_attention_ll4mi_QKV_mfma4_kernelIDF16_DF16_LN4vllm18Fp8KVCacheDataTypeE0EDF16_Li16ELi64ELi256ELb1ELi3EEvPKT_PKT0_S7_ifPKiS9_S9_iPKfiiiPfSC_PS2_PT2_iSB_SB_
                                        ; -- End function
	.section	.AMDGPU.csdata,"",@progbits
; Kernel info:
; codeLenInByte = 3232
; NumSgprs: 46
; NumVgprs: 68
; NumAgprs: 4
; TotalNumVgprs: 72
; ScratchSize: 0
; MemoryBound: 0
; FloatMode: 240
; IeeeMode: 1
; LDSByteSize: 2720 bytes/workgroup (compile time only)
; SGPRBlocks: 5
; VGPRBlocks: 8
; NumSGPRsForWavesPerEU: 46
; NumVGPRsForWavesPerEU: 72
; AccumOffset: 68
; Occupancy: 7
; WaveLimiterHint : 1
; COMPUTE_PGM_RSRC2:SCRATCH_EN: 0
; COMPUTE_PGM_RSRC2:USER_SGPR: 2
; COMPUTE_PGM_RSRC2:TRAP_HANDLER: 0
; COMPUTE_PGM_RSRC2:TGID_X_EN: 1
; COMPUTE_PGM_RSRC2:TGID_Y_EN: 1
; COMPUTE_PGM_RSRC2:TGID_Z_EN: 1
; COMPUTE_PGM_RSRC2:TIDIG_COMP_CNT: 0
; COMPUTE_PGM_RSRC3_GFX90A:ACCUM_OFFSET: 16
; COMPUTE_PGM_RSRC3_GFX90A:TG_SPLIT: 0
	.section	.text._Z38paged_attention_ll4mi_QKV_mfma4_kernelIDF16_DF16_LN4vllm18Fp8KVCacheDataTypeE0EDF16_Li16ELi64ELi256ELb1ELi4EEvPKT_PKT0_S7_ifPKiS9_S9_iPKfiiiPfSC_PS2_PT2_iSB_SB_,"axG",@progbits,_Z38paged_attention_ll4mi_QKV_mfma4_kernelIDF16_DF16_LN4vllm18Fp8KVCacheDataTypeE0EDF16_Li16ELi64ELi256ELb1ELi4EEvPKT_PKT0_S7_ifPKiS9_S9_iPKfiiiPfSC_PS2_PT2_iSB_SB_,comdat
	.protected	_Z38paged_attention_ll4mi_QKV_mfma4_kernelIDF16_DF16_LN4vllm18Fp8KVCacheDataTypeE0EDF16_Li16ELi64ELi256ELb1ELi4EEvPKT_PKT0_S7_ifPKiS9_S9_iPKfiiiPfSC_PS2_PT2_iSB_SB_ ; -- Begin function _Z38paged_attention_ll4mi_QKV_mfma4_kernelIDF16_DF16_LN4vllm18Fp8KVCacheDataTypeE0EDF16_Li16ELi64ELi256ELb1ELi4EEvPKT_PKT0_S7_ifPKiS9_S9_iPKfiiiPfSC_PS2_PT2_iSB_SB_
	.globl	_Z38paged_attention_ll4mi_QKV_mfma4_kernelIDF16_DF16_LN4vllm18Fp8KVCacheDataTypeE0EDF16_Li16ELi64ELi256ELb1ELi4EEvPKT_PKT0_S7_ifPKiS9_S9_iPKfiiiPfSC_PS2_PT2_iSB_SB_
	.p2align	8
	.type	_Z38paged_attention_ll4mi_QKV_mfma4_kernelIDF16_DF16_LN4vllm18Fp8KVCacheDataTypeE0EDF16_Li16ELi64ELi256ELb1ELi4EEvPKT_PKT0_S7_ifPKiS9_S9_iPKfiiiPfSC_PS2_PT2_iSB_SB_,@function
_Z38paged_attention_ll4mi_QKV_mfma4_kernelIDF16_DF16_LN4vllm18Fp8KVCacheDataTypeE0EDF16_Li16ELi64ELi256ELb1ELi4EEvPKT_PKT0_S7_ifPKiS9_S9_iPKfiiiPfSC_PS2_PT2_iSB_SB_: ; @_Z38paged_attention_ll4mi_QKV_mfma4_kernelIDF16_DF16_LN4vllm18Fp8KVCacheDataTypeE0EDF16_Li16ELi64ELi256ELb1ELi4EEvPKT_PKT0_S7_ifPKiS9_S9_iPKfiiiPfSC_PS2_PT2_iSB_SB_
; %bb.0:
	s_load_dwordx2 s[8:9], s[0:1], 0x30
	s_mov_b32 s20, s3
	s_mov_b64 s[6:7], 0
	s_waitcnt lgkmcnt(0)
	s_cmp_lg_u64 s[8:9], 0
	s_cselect_b64 s[10:11], -1, 0
	s_and_b64 vcc, exec, s[10:11]
	s_cbranch_vccz .LBB59_18
; %bb.1:
	s_add_i32 s12, s2, 1
	s_mov_b32 s13, 0
	s_lshl_b64 s[14:15], s[12:13], 2
	s_add_u32 s14, s8, s14
	s_mov_b32 s3, s13
	s_addc_u32 s15, s9, s15
	s_lshl_b64 s[12:13], s[2:3], 2
	s_add_u32 s12, s8, s12
	s_addc_u32 s13, s9, s13
	s_load_dword s5, s[14:15], 0x0
	s_load_dword s16, s[12:13], 0x0
	s_mov_b64 s[34:35], s[2:3]
	s_waitcnt lgkmcnt(0)
	s_sub_i32 s5, s5, s16
	s_cmp_eq_u32 s5, 1
	s_cselect_b64 s[12:13], -1, 0
	s_andn2_b64 vcc, exec, s[6:7]
	s_cbranch_vccnz .LBB59_3
.LBB59_2:
	s_mov_b32 s3, 0
	s_mov_b64 s[12:13], -1
	s_mov_b64 s[34:35], s[2:3]
.LBB59_3:
	s_andn2_b64 vcc, exec, s[12:13]
	s_cbranch_vccnz .LBB59_17
; %bb.4:
	s_load_dword s3, s[0:1], 0x9c
	s_load_dwordx2 s[6:7], s[0:1], 0x28
	s_add_u32 s24, s0, 0x90
	s_addc_u32 s25, s1, 0
	s_lshl_b64 s[36:37], s[34:35], 2
	s_waitcnt lgkmcnt(0)
	s_and_b32 s5, s3, 0xffff
	s_add_u32 s6, s6, s36
	s_addc_u32 s7, s7, s37
	s_load_dword s3, s[6:7], 0x0
	s_mul_i32 s5, s20, s5
	s_waitcnt lgkmcnt(0)
	s_cmp_ge_i32 s5, s3
	s_cbranch_scc1 .LBB59_17
; %bb.5:
	v_and_b32_e32 v2, 0xc0, v0
	v_and_b32_e32 v41, 3, v0
	s_lshl_b32 s33, s4, 2
	v_add_u32_e32 v4, s5, v2
	v_lshrrev_b32_e32 v1, 6, v0
	v_cmp_gt_i32_e64 s[6:7], s3, v4
	v_cmp_le_i32_e32 vcc, s3, v4
	v_or_b32_e32 v34, s33, v41
                                        ; implicit-def: $sgpr17
                                        ; implicit-def: $sgpr16
	s_and_saveexec_b64 s[12:13], vcc
	s_xor_b64 s[12:13], exec, s[12:13]
	s_cbranch_execz .LBB59_7
; %bb.6:
	v_mul_u32_u24_e32 v2, 20, v1
	v_or_b32_e32 v2, 0xa00, v2
	v_mov_b32_e32 v3, 0xa50
	v_mov_b32_e32 v4, 0xff7fffff
	v_mad_u32_u24 v3, v1, 20, v3
	ds_write2_b32 v2, v4, v4 offset1:1
	v_mov_b32_e32 v2, 0
	ds_write2_b32 v3, v2, v2 offset1:1
	v_mov_b32_e32 v3, 0xa08
	s_mov_b32 s16, 0xff7fffff
	s_mov_b32 s17, 0
	v_mad_u32_u24 v3, v1, 20, v3
	v_mov_b32_e32 v5, 0xa58
	v_or_b32_e32 v34, s33, v41
	v_mad_u32_u24 v5, v1, 20, v5
	ds_write2_b32 v3, v4, v4 offset1:1
	ds_write2_b32 v5, v2, v2 offset1:1
                                        ; implicit-def: $vgpr4
.LBB59_7:
	s_or_saveexec_b64 s[26:27], s[12:13]
	s_load_dwordx2 s[22:23], s[0:1], 0x68
	s_load_dwordx4 s[12:15], s[0:1], 0x58
	s_load_dword s40, s[24:25], 0x4
	v_and_b32_e32 v40, 63, v0
	v_mov_b32_e32 v39, s17
	v_mov_b32_e32 v42, s16
	;; [unrolled: 1-line block ×5, first 2 shown]
                                        ; implicit-def: $vgpr3
                                        ; implicit-def: $vgpr7
                                        ; implicit-def: $vgpr11
                                        ; implicit-def: $vgpr15
                                        ; implicit-def: $vgpr19
                                        ; implicit-def: $vgpr23
                                        ; implicit-def: $vgpr27
                                        ; implicit-def: $vgpr31
	s_xor_b64 exec, exec, s[26:27]
	s_cbranch_execz .LBB59_13
; %bb.8:
	s_add_i32 s19, s3, 15
	s_ashr_i32 s21, s19, 31
	s_lshr_b32 s21, s21, 28
	v_add_u32_e32 v2, s5, v0
	s_add_i32 s19, s19, s21
	v_ashrrev_i32_e32 v3, 31, v2
	s_load_dwordx2 s[16:17], s[0:1], 0x20
	s_load_dword s18, s[0:1], 0x38
	s_ashr_i32 s19, s19, 4
	v_lshrrev_b32_e32 v3, 28, v3
	s_add_i32 s21, s19, -1
	v_add_u32_e32 v3, v2, v3
	v_ashrrev_i32_e32 v3, 4, v3
	v_mov_b32_e32 v5, s21
	v_cmp_gt_i32_e32 vcc, s3, v2
	s_waitcnt lgkmcnt(0)
	s_mul_i32 s38, s2, s18
	s_mov_b32 s39, 0
	v_cndmask_b32_e32 v6, v5, v3, vcc
	v_ashrrev_i32_e32 v3, 31, v4
	v_lshrrev_b32_e32 v3, 28, v3
	v_add_u32_e32 v3, v4, v3
	s_lshl_b64 s[18:19], s[38:39], 2
	v_ashrrev_i32_e32 v3, 4, v3
	s_add_u32 s16, s16, s18
	v_min_i32_e32 v4, s21, v3
	s_addc_u32 s17, s17, s19
	v_ashrrev_i32_e32 v5, 31, v4
	v_lshl_add_u64 v[10:11], v[4:5], 2, s[16:17]
	v_add_u32_e32 v4, 1, v3
	v_min_i32_e32 v4, s21, v4
	v_ashrrev_i32_e32 v5, 31, v4
	v_lshl_add_u64 v[12:13], v[4:5], 2, s[16:17]
	v_add_u32_e32 v4, 2, v3
	v_min_i32_e32 v4, s21, v4
	v_ashrrev_i32_e32 v5, 31, v4
	v_add_u32_e32 v3, 3, v3
	v_ashrrev_i32_e32 v7, 31, v6
	v_lshl_add_u64 v[14:15], v[4:5], 2, s[16:17]
	v_min_i32_e32 v4, s21, v3
	v_lshl_add_u64 v[8:9], v[6:7], 2, s[16:17]
	v_ashrrev_i32_e32 v5, 31, v4
	v_lshl_add_u64 v[16:17], v[4:5], 2, s[16:17]
	global_load_dword v7, v[8:9], off
	global_load_dword v6, v[10:11], off
	;; [unrolled: 1-line block ×5, first 2 shown]
	s_load_dwordx2 s[30:31], s[0:1], 0x40
	s_load_dwordx4 s[16:19], s[0:1], 0x0
	s_load_dwordx2 s[28:29], s[0:1], 0x10
	s_andn2_b64 vcc, exec, s[10:11]
	s_cbranch_vccnz .LBB59_10
; %bb.9:
	s_add_u32 s8, s8, s36
	s_addc_u32 s9, s9, s37
	s_load_dword s38, s[8:9], 0x0
	s_waitcnt lgkmcnt(0)
	s_mov_b64 s[34:35], s[38:39]
.LBB59_10:
	s_load_dwordx4 s[8:11], s[0:1], 0x48
	v_lshrrev_b32_e32 v8, 2, v40
	v_lshlrev_b32_e32 v9, 3, v41
	v_add_lshl_u32 v8, v9, v8, 4
	v_mov_b32_e32 v33, 0
	s_waitcnt lgkmcnt(0)
	s_ashr_i32 s5, s8, 31
	s_mul_hi_u32 s11, s34, s8
	s_mul_i32 s5, s34, s5
	s_mul_i32 s21, s35, s8
	s_add_i32 s5, s11, s5
	s_mul_i32 s36, s34, s8
	s_add_i32 s37, s5, s21
	s_lshl_b64 s[34:35], s[36:37], 1
	s_add_u32 s5, s16, s34
	s_addc_u32 s8, s17, s35
	s_lshl_b32 s38, s4, 8
	s_lshl_b64 s[16:17], s[38:39], 1
	s_add_u32 s16, s5, s16
	s_addc_u32 s17, s8, s17
	global_load_dwordx4 v[36:39], v8, s[16:17]
	s_mul_i32 s38, s4, s10
	s_lshl_b64 s[4:5], s[38:39], 1
	s_add_u32 s10, s4, s18
	s_waitcnt vmcnt(5)
	v_mad_i64_i32 v[8:9], s[16:17], v7, s9, 0
	s_addc_u32 s11, s5, s19
	v_and_b32_e32 v7, 15, v0
	v_lshl_add_u64 v[8:9], v[8:9], 1, s[10:11]
	v_lshlrev_b32_e32 v32, 4, v7
	v_lshl_add_u64 v[46:47], v[8:9], 0, v[32:33]
	global_load_dwordx4 v[8:11], v[46:47], off
	global_load_dwordx4 v[12:15], v[46:47], off offset:256
	global_load_dwordx4 v[16:19], v[46:47], off offset:512
	;; [unrolled: 1-line block ×6, first 2 shown]
	v_mov_b32_e32 v35, v33
	global_load_dwordx4 v[46:49], v[46:47], off offset:1792
	v_lshl_add_u64 v[50:51], v[34:35], 2, s[30:31]
	global_load_dword v70, v[50:51], off
	v_and_b32_e32 v62, -4, v2
	v_lshlrev_b32_e32 v7, 2, v0
	v_or_b32_e32 v64, 3, v2
	s_waitcnt vmcnt(13)
	v_mul_hi_i32 v2, v6, s9
	s_waitcnt vmcnt(11)
	v_mul_hi_i32 v32, v4, s9
	s_add_u32 s4, s28, s4
	v_and_or_b32 v66, v7, 48, v41
	v_mul_hi_i32 v7, v5, s9
	s_waitcnt vmcnt(10)
	v_mul_hi_i32 v50, v3, s9
	v_ashrrev_i32_e32 v2, 31, v2
	v_ashrrev_i32_e32 v54, 31, v32
	s_addc_u32 s5, s29, s5
	v_lshlrev_b32_e32 v32, 5, v40
	v_ashrrev_i32_e32 v52, 31, v7
	v_ashrrev_i32_e32 v55, 31, v50
	v_lshl_add_u64 v[50:51], s[4:5], 0, v[32:33]
	v_lshrrev_b32_e32 v32, 29, v2
	v_mad_i64_i32 v[6:7], s[4:5], v6, s9, v[32:33]
	v_lshrrev_b32_e32 v32, 29, v52
	v_mad_i64_i32 v[52:53], s[4:5], v5, s9, v[32:33]
	v_lshrrev_b32_e32 v32, 29, v54
	v_lshlrev_b64 v[52:53], 1, v[52:53]
	v_mad_i64_i32 v[4:5], s[4:5], v4, s9, v[32:33]
	v_lshrrev_b32_e32 v32, 29, v55
	v_lshlrev_b64 v[6:7], 1, v[6:7]
	v_and_b32_e32 v52, -16, v52
	v_and_b32_e32 v6, -16, v6
	v_lshlrev_b64 v[56:57], 1, v[4:5]
	v_lshl_add_u64 v[54:55], v[50:51], 0, v[6:7]
	v_and_b32_e32 v56, -16, v56
	s_load_dword s0, s[0:1], 0x1c
	v_cmp_eq_u32_e32 vcc, 0, v41
	v_subrev_u32_e32 v65, s3, v62
	v_add_u32_e32 v35, 1, v65
	v_cndmask_b32_e64 v58, 0, 1.0, vcc
	v_cmp_eq_u32_e32 vcc, 1, v41
	v_cvt_f32_i32_e32 v35, v35
	v_add_u32_e32 v69, 2, v65
	v_cndmask_b32_e64 v59, 0, 1.0, vcc
	v_cmp_eq_u32_e32 vcc, 2, v41
	v_mov_b32_e32 v63, 0xff7fffff
	v_or_b32_e32 v67, 1, v62
	v_cndmask_b32_e64 v60, 0, 1.0, vcc
	v_cmp_eq_u32_e32 vcc, 3, v41
	v_or_b32_e32 v68, 2, v62
	s_waitcnt vmcnt(8)
	v_mfma_f32_4x4x4_16b_f16 a[0:3], v[36:37], v[8:9], 0 cbsz:4
	v_cndmask_b32_e64 v61, 0, 1.0, vcc
	s_nop 0
	v_mfma_f32_4x4x4_16b_f16 a[0:3], v[38:39], v[10:11], a[0:3] cbsz:4
	v_mad_i64_i32 v[10:11], s[4:5], v3, s9, v[32:33]
	s_waitcnt vmcnt(7)
	v_mfma_f32_4x4x4_16b_f16 a[0:3], v[36:37], v[12:13], a[0:3] cbsz:4 abid:1
	v_lshl_add_u64 v[32:33], v[50:51], 0, v[52:53]
	v_lshlrev_b64 v[52:53], 1, v[10:11]
	v_mfma_f32_4x4x4_16b_f16 a[0:3], v[38:39], v[14:15], a[0:3] cbsz:4 abid:1
	v_and_b32_e32 v52, -16, v52
	global_load_dwordx4 v[2:5], v[54:55], off
	global_load_dwordx4 v[6:9], v[54:55], off offset:16
	s_waitcnt vmcnt(8)
	v_mfma_f32_4x4x4_16b_f16 a[0:3], v[36:37], v[16:17], a[0:3] cbsz:4 abid:2
	global_load_dwordx4 v[10:13], v[32:33], off
	global_load_dwordx4 v[14:17], v[32:33], off offset:16
	v_mfma_f32_4x4x4_16b_f16 a[0:3], v[38:39], v[18:19], a[0:3] cbsz:4 abid:2
	v_lshl_add_u64 v[32:33], v[50:51], 0, v[56:57]
	v_lshl_add_u64 v[50:51], v[50:51], 0, v[52:53]
	s_waitcnt vmcnt(9)
	v_mfma_f32_4x4x4_16b_f16 a[0:3], v[36:37], v[20:21], a[0:3] cbsz:4 abid:3
	v_cmp_gt_i32_e32 vcc, s3, v62
	v_cmp_gt_i32_e64 s[4:5], s3, v68
	v_mfma_f32_4x4x4_16b_f16 a[0:3], v[38:39], v[22:23], a[0:3] cbsz:4 abid:3
	v_cmp_gt_i32_e64 s[8:9], s3, v64
	s_waitcnt vmcnt(8)
	v_mfma_f32_4x4x4_16b_f16 a[0:3], v[36:37], v[24:25], a[0:3] cbsz:4 abid:4
	global_load_dwordx4 v[18:21], v[32:33], off
	global_load_dwordx4 v[22:25], v[32:33], off offset:16
	v_mfma_f32_4x4x4_16b_f16 a[0:3], v[38:39], v[26:27], a[0:3] cbsz:4 abid:4
	s_waitcnt vmcnt(9)
	s_nop 0
	v_mfma_f32_4x4x4_16b_f16 a[0:3], v[36:37], v[28:29], a[0:3] cbsz:4 abid:5
	s_nop 1
	v_mfma_f32_4x4x4_16b_f16 a[0:3], v[38:39], v[30:31], a[0:3] cbsz:4 abid:5
	global_load_dwordx4 v[26:29], v[50:51], off
	global_load_dwordx4 v[30:33], v[50:51], off offset:16
	s_waitcnt vmcnt(10)
	v_mfma_f32_4x4x4_16b_f16 a[0:3], v[36:37], v[42:43], a[0:3] cbsz:4 abid:6
	v_add_u32_e32 v43, 4, v65
	v_add_u32_e32 v42, 3, v65
	v_mfma_f32_4x4x4_16b_f16 a[0:3], v[38:39], v[44:45], a[0:3] cbsz:4 abid:6
	s_waitcnt vmcnt(9)
	s_nop 0
	v_mfma_f32_4x4x4_16b_f16 a[0:3], v[36:37], v[46:47], a[0:3] cbsz:4 abid:7
	s_nop 1
	v_mfma_f32_4x4x4_16b_f16 a[0:3], v[38:39], v[48:49], a[0:3] cbsz:4 abid:7
	s_nop 4
	v_accvgpr_read_b32 v37, a1
	v_accvgpr_read_b32 v36, a0
	s_waitcnt lgkmcnt(0)
	v_pk_mul_f32 v[36:37], s[0:1], v[36:37] op_sel_hi:[0,1]
	v_accvgpr_read_b32 v39, a3
	v_accvgpr_read_b32 v38, a2
	v_pk_mul_f32 v[38:39], s[0:1], v[38:39] op_sel_hi:[0,1]
	v_mfma_f32_4x4x1_16b_f32 a[0:3], v36, v58, 0
	v_cvt_f32_i32_e32 v36, v69
	s_nop 0
	v_mfma_f32_4x4x1_16b_f32 a[0:3], v37, v59, a[0:3]
	v_cvt_f32_i32_e32 v37, v42
	v_cmp_gt_i32_e64 s[0:1], s3, v67
	v_mfma_f32_4x4x1_16b_f32 a[0:3], v38, v60, a[0:3]
	v_cvt_f32_i32_e32 v38, v43
	s_nop 0
	v_mfma_f32_4x4x1_16b_f32 a[0:3], v39, v61, a[0:3]
	s_nop 3
	v_accvgpr_read_b32 v39, a0
	v_accvgpr_read_b32 v44, a3
	s_waitcnt vmcnt(8)
	v_fma_f32 v35, v70, v35, v39
	v_accvgpr_read_b32 v42, a1
	v_fmac_f32_e32 v44, v70, v38
	v_max_f32_e32 v38, 0xff7fffff, v35
	v_fma_f32 v36, v70, v36, v42
	v_cndmask_b32_e32 v38, v63, v38, vcc
	v_accvgpr_read_b32 v43, a2
	v_max_f32_e32 v39, v38, v36
	v_fma_f32 v37, v70, v37, v43
	v_cndmask_b32_e64 v38, v38, v39, s[0:1]
	v_max_f32_e32 v39, v38, v37
	v_cndmask_b32_e64 v38, v38, v39, s[4:5]
	v_max_f32_e32 v39, v38, v44
	v_cndmask_b32_e64 v38, v38, v39, s[8:9]
	;;#ASMSTART
	v_nop
 v_nop
 v_max_f32_dpp v38, v38, v38 row_ror:4
	;;#ASMEND
	v_lshlrev_b32_e32 v43, 2, v66
	;;#ASMSTART
	v_nop
 v_nop
 v_max_f32_dpp v38, v38, v38 row_ror:8
	;;#ASMEND
	ds_bpermute_b32 v38, v43, v38
	s_waitcnt lgkmcnt(0)
	;;#ASMSTART
	v_nop
 v_nop
 v_max_f32_dpp v38, v38, v38 row_ror:4
	;;#ASMEND
	s_nop 0
	;;#ASMSTART
	v_nop
 v_nop
 v_max_f32_dpp v42, v38, v38 row_ror:8
	;;#ASMEND
	s_nop 0
	v_sub_f32_e32 v36, v36, v42
	v_mul_f32_e32 v36, 0x3fb8aa3b, v36
	v_exp_f32_e32 v38, v36
	v_sub_f32_e32 v35, v35, v42
	v_mul_f32_e32 v35, 0x3fb8aa3b, v35
	v_sub_f32_e32 v36, v37, v42
	v_exp_f32_e32 v35, v35
	v_mul_f32_e32 v39, 0x3fb8aa3b, v36
	v_cndmask_b32_e64 v37, 0, v38, s[0:1]
	v_exp_f32_e32 v38, v39
	v_sub_f32_e32 v39, v44, v42
	v_mul_f32_e32 v39, 0x3fb8aa3b, v39
	v_exp_f32_e32 v39, v39
	v_cndmask_b32_e32 v36, 0, v35, vcc
	v_add_f32_e32 v35, 0, v36
	v_add_f32_e32 v35, v35, v37
	v_cndmask_b32_e64 v38, 0, v38, s[4:5]
	v_add_f32_e32 v35, v35, v38
	v_cndmask_b32_e64 v39, 0, v39, s[8:9]
	v_add_f32_e32 v35, v35, v39
	;;#ASMSTART
	v_nop
 v_nop
 v_add_f32_dpp v35, v35, v35 row_ror:4
	;;#ASMEND
	v_cmp_gt_u32_e32 vcc, 4, v40
	;;#ASMSTART
	v_nop
 v_nop
 v_add_f32_dpp v35, v35, v35 row_ror:8
	;;#ASMEND
	ds_bpermute_b32 v35, v43, v35
	s_waitcnt lgkmcnt(0)
	;;#ASMSTART
	v_nop
 v_nop
 v_add_f32_dpp v35, v35, v35 row_ror:4
	;;#ASMEND
	s_nop 0
	;;#ASMSTART
	v_nop
 v_nop
 v_add_f32_dpp v35, v35, v35 row_ror:8
	;;#ASMEND
	s_and_saveexec_b64 s[0:1], vcc
	s_cbranch_execz .LBB59_12
; %bb.11:
	v_mul_u32_u24_e32 v43, 20, v1
	v_lshl_add_u32 v43, v41, 2, v43
	v_add_u32_e32 v43, 0x800, v43
	ds_write2_b32 v43, v42, v35 offset0:128 offset1:148
.LBB59_12:
	s_or_b64 exec, exec, s[0:1]
.LBB59_13:
	s_or_b64 exec, exec, s[26:27]
	v_lshlrev_b32_e32 v35, 2, v41
	v_add_u32_e32 v35, 0x800, v35
	s_waitcnt lgkmcnt(0)
	s_barrier
	s_load_dword s0, s[24:25], 0x8
	ds_read2_b32 v[44:45], v35 offset0:128 offset1:133
	ds_read2_b32 v[46:47], v35 offset0:138 offset1:143
	s_mov_b32 s4, 0xff7fffff
	s_mul_i32 s1, s2, s40
	ds_read2_b32 v[48:49], v35 offset0:148 offset1:153
	s_waitcnt lgkmcnt(0)
	v_max3_f32 v41, v44, s4, v45
	s_mul_i32 s1, s1, s0
	v_max3_f32 v41, v41, v46, v47
	s_lshl_b32 s0, s1, 2
	s_mov_b32 s1, 0
	v_sub_f32_e32 v43, v44, v41
	v_sub_f32_e32 v44, v45, v41
	s_lshl_b64 s[2:3], s[0:1], 2
	v_mul_f32_e32 v43, 0x3fb8aa3b, v43
	v_mul_f32_e32 v44, 0x3fb8aa3b, v44
	s_mov_b32 s21, s1
	s_add_u32 s1, s12, s2
	v_exp_f32_e32 v43, v43
	v_exp_f32_e32 v50, v44
	ds_read2_b32 v[44:45], v35 offset0:158 offset1:163
	v_sub_f32_e32 v35, v46, v41
	s_addc_u32 s8, s13, s3
	v_mul_f32_e32 v35, 0x3fb8aa3b, v35
	v_sub_f32_e32 v46, v47, v41
	s_add_u32 s4, s14, s2
	v_exp_f32_e32 v35, v35
	v_mul_f32_e32 v46, 0x3fb8aa3b, v46
	s_addc_u32 s5, s15, s3
	s_lshl_b64 s[2:3], s[20:21], 2
	v_exp_f32_e32 v46, v46
	s_add_u32 s4, s4, s2
	v_fma_f32 v43, v43, v48, 0
	s_addc_u32 s5, s5, s3
	v_fmac_f32_e32 v43, v50, v49
	s_waitcnt lgkmcnt(0)
	v_fmac_f32_e32 v43, v35, v44
	s_add_u32 s2, s1, s2
	v_mul_lo_u32 v34, s40, v34
	v_mov_b32_e32 v35, 0
	v_fmac_f32_e32 v43, v46, v45
	s_addc_u32 s3, s8, s3
	v_lshlrev_b64 v[44:45], 2, v[34:35]
	v_lshl_add_u64 v[46:47], s[4:5], 0, v[44:45]
	v_lshl_add_u64 v[44:45], s[2:3], 0, v[44:45]
	v_mov_b32_e32 v34, v35
	global_store_dword v[46:47], v41, off
	global_store_dword v[44:45], v43, off
	s_and_saveexec_b64 s[2:3], s[6:7]
	s_cbranch_execz .LBB59_15
; %bb.14:
	v_add_f32_e32 v34, 0x358637bd, v43
	v_div_scale_f32 v35, s[4:5], v34, v34, 1.0
	v_rcp_f32_e32 v43, v35
	v_div_scale_f32 v44, vcc, 1.0, v34, 1.0
	v_sub_f32_e32 v41, v42, v41
	v_fma_f32 v45, -v35, v43, 1.0
	v_fmac_f32_e32 v43, v45, v43
	v_mul_f32_e32 v45, v44, v43
	v_fma_f32 v46, -v35, v45, v44
	v_mul_f32_e32 v41, 0x3fb8aa3b, v41
	v_fmac_f32_e32 v45, v46, v43
	v_exp_f32_e32 v41, v41
	v_fma_f32 v35, -v35, v45, v44
	v_div_fmas_f32 v35, v35, v43, v45
	v_div_fixup_f32 v34, v35, v34, 1.0
	v_mul_f32_e32 v34, v41, v34
	v_pk_mul_f32 v[38:39], v[38:39], v[34:35] op_sel_hi:[1,0]
	v_pk_mul_f32 v[34:35], v[36:37], v[34:35] op_sel_hi:[1,0]
	v_cvt_f16_f32_e32 v36, v38
	v_cvt_f16_f32_e32 v34, v34
	;; [unrolled: 1-line block ×4, first 2 shown]
	s_mov_b32 s1, 0x5040100
	v_pack_b32_f16 v34, v34, v35
	v_pack_b32_f16 v35, v36, v37
	s_waitcnt vmcnt(9)
	s_nop 0
	v_mfma_f32_4x4x4_16b_f16 a[0:3], v[34:35], v[2:3], 0 cbsz:4
	s_nop 1
	v_mfma_f32_4x4x4_16b_f16 a[0:3], v[34:35], v[4:5], a[0:3] cbsz:4 abid:1
	s_waitcnt vmcnt(8)
	s_nop 0
	v_mfma_f32_4x4x4_16b_f16 a[0:3], v[34:35], v[6:7], a[0:3] cbsz:4 abid:2
	s_nop 1
	v_mfma_f32_4x4x4_16b_f16 a[0:3], v[34:35], v[8:9], a[0:3] cbsz:4 abid:3
	s_waitcnt vmcnt(7)
	s_nop 0
	v_mfma_f32_4x4x4_16b_f16 a[0:3], v[34:35], v[10:11], a[0:3] cbsz:4 abid:4
	;; [unrolled: 5-line block ×7, first 2 shown]
	s_nop 1
	v_mfma_f32_4x4x4_16b_f16 a[0:3], v[34:35], v[32:33], a[0:3] cbsz:4 abid:15
	s_nop 4
	v_accvgpr_read_b32 v2, a0
	v_accvgpr_read_b32 v3, a1
	;; [unrolled: 1-line block ×4, first 2 shown]
	v_cvt_f16_f32_e32 v2, v2
	v_cvt_f16_f32_e32 v3, v3
	;; [unrolled: 1-line block ×4, first 2 shown]
	v_perm_b32 v34, v3, v2, s1
	v_perm_b32 v35, v5, v4, s1
.LBB59_15:
	s_or_b64 exec, exec, s[2:3]
	v_lshlrev_b32_e32 v1, 3, v1
	v_mad_u32_u24 v1, v40, 40, v1
	v_cmp_gt_u32_e32 vcc, 64, v0
	ds_write_b64 v1, v[34:35]
	s_waitcnt lgkmcnt(0)
	s_barrier
	s_and_saveexec_b64 s[2:3], vcc
	s_cbranch_execz .LBB59_17
; %bb.16:
	v_mul_u32_u24_e32 v1, 40, v40
	s_waitcnt vmcnt(9)
	ds_read2_b64 v[2:5], v1 offset1:1
	s_waitcnt vmcnt(8)
	ds_read2_b64 v[6:9], v1 offset0:2 offset1:3
	s_mov_b32 s1, 0
	s_lshl_b32 s0, s0, 6
	s_lshl_b64 s[2:3], s[0:1], 1
	s_add_u32 s2, s22, s2
	s_addc_u32 s3, s23, s3
	s_lshl_b32 s0, s20, 6
	s_lshl_b64 s[0:1], s[0:1], 1
	s_waitcnt lgkmcnt(1)
	v_pk_add_f16 v1, v2, 0
	v_pk_add_f16 v2, v3, 0
	s_add_u32 s0, s2, s0
	v_pk_add_f16 v2, v2, v5
	s_addc_u32 s1, s3, s1
	s_lshl_b32 s2, s40, 6
	v_pk_add_f16 v1, v1, v4
	s_waitcnt lgkmcnt(0)
	v_pk_add_f16 v2, v2, v7
	s_mul_i32 s3, s2, s33
	v_pk_add_f16 v1, v1, v6
	v_pk_add_f16 v6, v2, v9
	v_or_b32_e32 v2, s3, v0
	v_mov_b32_e32 v3, 0
	s_add_i32 s3, s3, s2
	v_pk_add_f16 v1, v1, v8
	v_lshl_add_u64 v[4:5], v[2:3], 1, s[0:1]
	v_or_b32_e32 v2, s3, v0
	s_add_i32 s3, s3, s2
	global_store_short v[4:5], v1, off
	v_lshl_add_u64 v[4:5], v[2:3], 1, s[0:1]
	v_or_b32_e32 v2, s3, v0
	s_add_i32 s3, s3, s2
	global_store_short_d16_hi v[4:5], v1, off
	v_lshl_add_u64 v[4:5], v[2:3], 1, s[0:1]
	v_or_b32_e32 v2, s3, v0
	v_lshl_add_u64 v[0:1], v[2:3], 1, s[0:1]
	global_store_short v[4:5], v6, off
	global_store_short_d16_hi v[0:1], v6, off
.LBB59_17:
	s_endpgm
.LBB59_18:
	s_mov_b64 s[12:13], 0
                                        ; implicit-def: $sgpr34_sgpr35
	s_branch .LBB59_2
	.section	.rodata,"a",@progbits
	.p2align	6, 0x0
	.amdhsa_kernel _Z38paged_attention_ll4mi_QKV_mfma4_kernelIDF16_DF16_LN4vllm18Fp8KVCacheDataTypeE0EDF16_Li16ELi64ELi256ELb1ELi4EEvPKT_PKT0_S7_ifPKiS9_S9_iPKfiiiPfSC_PS2_PT2_iSB_SB_
		.amdhsa_group_segment_fixed_size 2720
		.amdhsa_private_segment_fixed_size 0
		.amdhsa_kernarg_size 400
		.amdhsa_user_sgpr_count 2
		.amdhsa_user_sgpr_dispatch_ptr 0
		.amdhsa_user_sgpr_queue_ptr 0
		.amdhsa_user_sgpr_kernarg_segment_ptr 1
		.amdhsa_user_sgpr_dispatch_id 0
		.amdhsa_user_sgpr_kernarg_preload_length 0
		.amdhsa_user_sgpr_kernarg_preload_offset 0
		.amdhsa_user_sgpr_private_segment_size 0
		.amdhsa_uses_dynamic_stack 0
		.amdhsa_enable_private_segment 0
		.amdhsa_system_sgpr_workgroup_id_x 1
		.amdhsa_system_sgpr_workgroup_id_y 1
		.amdhsa_system_sgpr_workgroup_id_z 1
		.amdhsa_system_sgpr_workgroup_info 0
		.amdhsa_system_vgpr_workitem_id 0
		.amdhsa_next_free_vgpr 76
		.amdhsa_next_free_sgpr 41
		.amdhsa_accum_offset 72
		.amdhsa_reserve_vcc 1
		.amdhsa_float_round_mode_32 0
		.amdhsa_float_round_mode_16_64 0
		.amdhsa_float_denorm_mode_32 3
		.amdhsa_float_denorm_mode_16_64 3
		.amdhsa_dx10_clamp 1
		.amdhsa_ieee_mode 1
		.amdhsa_fp16_overflow 0
		.amdhsa_tg_split 0
		.amdhsa_exception_fp_ieee_invalid_op 0
		.amdhsa_exception_fp_denorm_src 0
		.amdhsa_exception_fp_ieee_div_zero 0
		.amdhsa_exception_fp_ieee_overflow 0
		.amdhsa_exception_fp_ieee_underflow 0
		.amdhsa_exception_fp_ieee_inexact 0
		.amdhsa_exception_int_div_zero 0
	.end_amdhsa_kernel
	.section	.text._Z38paged_attention_ll4mi_QKV_mfma4_kernelIDF16_DF16_LN4vllm18Fp8KVCacheDataTypeE0EDF16_Li16ELi64ELi256ELb1ELi4EEvPKT_PKT0_S7_ifPKiS9_S9_iPKfiiiPfSC_PS2_PT2_iSB_SB_,"axG",@progbits,_Z38paged_attention_ll4mi_QKV_mfma4_kernelIDF16_DF16_LN4vllm18Fp8KVCacheDataTypeE0EDF16_Li16ELi64ELi256ELb1ELi4EEvPKT_PKT0_S7_ifPKiS9_S9_iPKfiiiPfSC_PS2_PT2_iSB_SB_,comdat
.Lfunc_end59:
	.size	_Z38paged_attention_ll4mi_QKV_mfma4_kernelIDF16_DF16_LN4vllm18Fp8KVCacheDataTypeE0EDF16_Li16ELi64ELi256ELb1ELi4EEvPKT_PKT0_S7_ifPKiS9_S9_iPKfiiiPfSC_PS2_PT2_iSB_SB_, .Lfunc_end59-_Z38paged_attention_ll4mi_QKV_mfma4_kernelIDF16_DF16_LN4vllm18Fp8KVCacheDataTypeE0EDF16_Li16ELi64ELi256ELb1ELi4EEvPKT_PKT0_S7_ifPKiS9_S9_iPKfiiiPfSC_PS2_PT2_iSB_SB_
                                        ; -- End function
	.section	.AMDGPU.csdata,"",@progbits
; Kernel info:
; codeLenInByte = 3224
; NumSgprs: 47
; NumVgprs: 71
; NumAgprs: 4
; TotalNumVgprs: 76
; ScratchSize: 0
; MemoryBound: 0
; FloatMode: 240
; IeeeMode: 1
; LDSByteSize: 2720 bytes/workgroup (compile time only)
; SGPRBlocks: 5
; VGPRBlocks: 9
; NumSGPRsForWavesPerEU: 47
; NumVGPRsForWavesPerEU: 76
; AccumOffset: 72
; Occupancy: 6
; WaveLimiterHint : 1
; COMPUTE_PGM_RSRC2:SCRATCH_EN: 0
; COMPUTE_PGM_RSRC2:USER_SGPR: 2
; COMPUTE_PGM_RSRC2:TRAP_HANDLER: 0
; COMPUTE_PGM_RSRC2:TGID_X_EN: 1
; COMPUTE_PGM_RSRC2:TGID_Y_EN: 1
; COMPUTE_PGM_RSRC2:TGID_Z_EN: 1
; COMPUTE_PGM_RSRC2:TIDIG_COMP_CNT: 0
; COMPUTE_PGM_RSRC3_GFX90A:ACCUM_OFFSET: 17
; COMPUTE_PGM_RSRC3_GFX90A:TG_SPLIT: 0
	.section	.text._Z39paged_attention_ll4mi_QKV_mfma16_kernelIDF16_DF16_LN4vllm18Fp8KVCacheDataTypeE0EDF16_Li16ELi64ELi256ELb1ELi5EEvPKT_PKT0_S7_ifPKiS9_S9_iPKfiiiPfSC_PS2_PT2_iSB_SB_,"axG",@progbits,_Z39paged_attention_ll4mi_QKV_mfma16_kernelIDF16_DF16_LN4vllm18Fp8KVCacheDataTypeE0EDF16_Li16ELi64ELi256ELb1ELi5EEvPKT_PKT0_S7_ifPKiS9_S9_iPKfiiiPfSC_PS2_PT2_iSB_SB_,comdat
	.protected	_Z39paged_attention_ll4mi_QKV_mfma16_kernelIDF16_DF16_LN4vllm18Fp8KVCacheDataTypeE0EDF16_Li16ELi64ELi256ELb1ELi5EEvPKT_PKT0_S7_ifPKiS9_S9_iPKfiiiPfSC_PS2_PT2_iSB_SB_ ; -- Begin function _Z39paged_attention_ll4mi_QKV_mfma16_kernelIDF16_DF16_LN4vllm18Fp8KVCacheDataTypeE0EDF16_Li16ELi64ELi256ELb1ELi5EEvPKT_PKT0_S7_ifPKiS9_S9_iPKfiiiPfSC_PS2_PT2_iSB_SB_
	.globl	_Z39paged_attention_ll4mi_QKV_mfma16_kernelIDF16_DF16_LN4vllm18Fp8KVCacheDataTypeE0EDF16_Li16ELi64ELi256ELb1ELi5EEvPKT_PKT0_S7_ifPKiS9_S9_iPKfiiiPfSC_PS2_PT2_iSB_SB_
	.p2align	8
	.type	_Z39paged_attention_ll4mi_QKV_mfma16_kernelIDF16_DF16_LN4vllm18Fp8KVCacheDataTypeE0EDF16_Li16ELi64ELi256ELb1ELi5EEvPKT_PKT0_S7_ifPKiS9_S9_iPKfiiiPfSC_PS2_PT2_iSB_SB_,@function
_Z39paged_attention_ll4mi_QKV_mfma16_kernelIDF16_DF16_LN4vllm18Fp8KVCacheDataTypeE0EDF16_Li16ELi64ELi256ELb1ELi5EEvPKT_PKT0_S7_ifPKiS9_S9_iPKfiiiPfSC_PS2_PT2_iSB_SB_: ; @_Z39paged_attention_ll4mi_QKV_mfma16_kernelIDF16_DF16_LN4vllm18Fp8KVCacheDataTypeE0EDF16_Li16ELi64ELi256ELb1ELi5EEvPKT_PKT0_S7_ifPKiS9_S9_iPKfiiiPfSC_PS2_PT2_iSB_SB_
; %bb.0:
	s_load_dwordx2 s[8:9], s[0:1], 0x30
	s_mov_b32 s28, s3
	s_mov_b64 s[6:7], 0
	s_waitcnt lgkmcnt(0)
	s_cmp_lg_u64 s[8:9], 0
	s_cselect_b64 s[10:11], -1, 0
	s_and_b64 vcc, exec, s[10:11]
	s_cbranch_vccz .LBB60_7
; %bb.1:
	s_add_i32 s12, s2, 1
	s_mov_b32 s13, 0
	s_lshl_b64 s[14:15], s[12:13], 2
	s_add_u32 s14, s8, s14
	s_mov_b32 s3, s13
	s_addc_u32 s15, s9, s15
	s_lshl_b64 s[12:13], s[2:3], 2
	s_add_u32 s12, s8, s12
	s_addc_u32 s13, s9, s13
	s_load_dword s5, s[14:15], 0x0
	s_load_dword s16, s[12:13], 0x0
	s_waitcnt lgkmcnt(0)
	s_sub_i32 s5, s5, s16
	s_cmp_eq_u32 s5, 1
	s_cselect_b64 s[12:13], -1, 0
	s_andn2_b64 vcc, exec, s[6:7]
	s_cbranch_vccnz .LBB60_3
.LBB60_2:
	s_mov_b32 s3, 0
	s_mov_b64 s[12:13], -1
.LBB60_3:
	s_andn2_b64 vcc, exec, s[12:13]
	s_cbranch_vccnz .LBB60_20
; %bb.4:
	s_load_dwordx2 s[6:7], s[0:1], 0x28
	s_lshl_b64 s[14:15], s[2:3], 2
	s_waitcnt lgkmcnt(0)
	s_add_u32 s6, s6, s14
	s_addc_u32 s7, s7, s15
	s_load_dword s29, s[6:7], 0x0
	s_lshl_b32 s16, s28, 8
	s_waitcnt lgkmcnt(0)
	s_cmp_ge_i32 s16, s29
	s_cbranch_scc1 .LBB60_20
; %bb.5:
	s_load_dwordx2 s[6:7], s[0:1], 0x20
	s_load_dword s5, s[0:1], 0x38
	s_add_i32 s12, s29, 15
	s_ashr_i32 s13, s12, 31
	v_and_b32_e32 v1, 0xcf, v0
	s_lshr_b32 s13, s13, 28
	v_add_u32_e32 v1, s16, v1
	s_add_i32 s12, s12, s13
	v_ashrrev_i32_e32 v2, 31, v1
	s_ashr_i32 s17, s12, 4
	v_lshrrev_b32_e32 v6, 28, v2
	s_add_i32 s17, s17, -1
	s_waitcnt lgkmcnt(0)
	s_mul_i32 s12, s2, s5
	s_mov_b32 s13, 0
	v_add_u32_e32 v2, v1, v6
	s_lshl_b64 s[12:13], s[12:13], 2
	v_ashrrev_i32_e32 v2, 4, v2
	v_mov_b32_e32 v7, s17
	v_cmp_gt_i32_e32 vcc, s29, v1
	s_add_u32 s6, s6, s12
	s_addc_u32 s7, s7, s13
	v_cndmask_b32_e32 v2, v7, v2, vcc
	v_ashrrev_i32_e32 v3, 31, v2
	v_lshl_add_u64 v[4:5], v[2:3], 2, s[6:7]
	v_or_b32_e32 v2, 16, v1
	v_add_u32_e32 v3, v2, v6
	v_ashrrev_i32_e32 v3, 4, v3
	v_cmp_gt_i32_e32 vcc, s29, v2
	s_load_dwordx2 s[12:13], s[0:1], 0x8
	s_nop 0
	v_cndmask_b32_e32 v2, v7, v3, vcc
	v_ashrrev_i32_e32 v3, 31, v2
	v_lshl_add_u64 v[8:9], v[2:3], 2, s[6:7]
	v_or_b32_e32 v2, 32, v1
	v_add_u32_e32 v3, v2, v6
	v_ashrrev_i32_e32 v3, 4, v3
	v_cmp_gt_i32_e32 vcc, s29, v2
	v_or_b32_e32 v1, 48, v1
	s_nop 0
	v_cndmask_b32_e32 v2, v7, v3, vcc
	v_ashrrev_i32_e32 v3, 31, v2
	v_lshl_add_u64 v[10:11], v[2:3], 2, s[6:7]
	v_add_u32_e32 v2, v1, v6
	v_ashrrev_i32_e32 v2, 4, v2
	v_cmp_gt_i32_e32 vcc, s29, v1
	s_nop 1
	v_cndmask_b32_e32 v2, v7, v2, vcc
	v_ashrrev_i32_e32 v3, 31, v2
	v_lshl_add_u64 v[12:13], v[2:3], 2, s[6:7]
	global_load_dword v3, v[4:5], off
	global_load_dword v2, v[8:9], off
	;; [unrolled: 1-line block ×4, first 2 shown]
	s_andn2_b64 vcc, exec, s[10:11]
	s_cbranch_vccnz .LBB60_8
; %bb.6:
	s_add_u32 s8, s8, s14
	s_addc_u32 s9, s9, s15
	s_load_dword s5, s[8:9], 0x0
	s_branch .LBB60_9
.LBB60_7:
	s_mov_b64 s[12:13], 0
	s_branch .LBB60_2
.LBB60_8:
	s_mov_b32 s5, s2
.LBB60_9:
	s_load_dwordx2 s[8:9], s[0:1], 0x10
	s_load_dwordx4 s[44:47], s[0:1], 0x48
	v_lshrrev_b32_e32 v45, 6, v0
	v_bfe_u32 v54, v0, 4, 2
	v_lshl_or_b32 v1, v45, 2, v54
	v_and_b32_e32 v44, 15, v0
	v_lshlrev_b32_e32 v4, 3, v44
	v_cmp_gt_u32_e32 vcc, 5, v1
	v_cmp_gt_u32_e64 s[30:31], 8, v44
	s_mul_i32 s42, s4, 5
	s_and_b64 s[14:15], s[30:31], vcc
	v_lshlrev_b32_e32 v42, 1, v4
	s_and_saveexec_b64 s[10:11], s[14:15]
	s_cbranch_execz .LBB60_11
; %bb.10:
	s_load_dwordx2 s[14:15], s[0:1], 0x0
	s_waitcnt lgkmcnt(0)
	s_ashr_i32 s18, s44, 31
	s_mul_hi_u32 s19, s5, s44
	s_mul_i32 s18, s5, s18
	s_add_i32 s19, s19, s18
	s_mul_i32 s18, s5, s44
	s_lshl_b64 s[18:19], s[18:19], 1
	s_add_u32 s14, s14, s18
	v_add_lshl_u32 v4, v1, s42, 6
	s_addc_u32 s15, s15, s19
	v_ashrrev_i32_e32 v5, 31, v4
	v_lshl_add_u64 v[4:5], v[4:5], 1, s[14:15]
	v_mov_b32_e32 v43, 0
	v_lshl_add_u64 v[4:5], v[4:5], 0, v[42:43]
	global_load_dwordx4 v[8:11], v[4:5], off
	v_and_b32_e32 v4, 3, v0
	v_lshlrev_b32_e32 v5, 9, v44
	v_lshlrev_b32_e32 v1, 5, v1
	v_lshlrev_b32_e32 v4, 9, v4
	v_and_b32_e32 v5, 0x1800, v5
	v_or3_b32 v1, v5, v4, v1
	s_waitcnt vmcnt(0)
	ds_write_b128 v1, v[8:11]
.LBB60_11:
	s_or_b64 exec, exec, s[10:11]
	s_waitcnt lgkmcnt(0)
	s_mul_i32 s4, s4, s46
	s_mov_b32 s5, 0
	s_lshl_b64 s[4:5], s[4:5], 1
	s_add_u32 s10, s12, s4
	v_lshlrev_b32_e32 v1, 4, v0
	s_addc_u32 s11, s13, s5
	v_and_b32_e32 v46, 0xf0, v1
	v_mov_b32_e32 v47, 0
	v_lshl_add_u64 v[16:17], s[10:11], 0, v[46:47]
	s_waitcnt vmcnt(3)
	v_mad_i64_i32 v[4:5], s[10:11], v3, s45, 0
	s_waitcnt vmcnt(2)
	v_mad_i64_i32 v[2:3], s[10:11], v2, s45, 0
	;; [unrolled: 2-line block ×3, first 2 shown]
	v_lshl_add_u64 v[4:5], v[4:5], 1, v[16:17]
	v_and_b32_e32 v46, 0x300, v1
	v_lshl_add_u64 v[2:3], v[2:3], 1, v[16:17]
	v_lshl_add_u64 v[6:7], v[6:7], 1, v[16:17]
	s_waitcnt vmcnt(0)
	v_mad_i64_i32 v[14:15], s[10:11], v14, s45, 0
	v_lshl_add_u64 v[4:5], v[4:5], 0, v[46:47]
	v_lshl_add_u64 v[8:9], v[2:3], 0, v[46:47]
	;; [unrolled: 1-line block ×4, first 2 shown]
	s_barrier
	global_load_dwordx4 v[30:33], v[4:5], off
	global_load_dwordx4 v[10:13], v[4:5], off offset:1024
	global_load_dwordx4 v[22:25], v[8:9], off
	s_nop 0
	global_load_dwordx4 v[2:5], v[8:9], off offset:1024
	global_load_dwordx4 v[26:29], v[18:19], off
	s_nop 0
	global_load_dwordx4 v[6:9], v[18:19], off offset:1024
	v_lshl_add_u64 v[18:19], v[14:15], 0, v[46:47]
	global_load_dwordx4 v[34:37], v[18:19], off
	global_load_dwordx4 v[14:17], v[18:19], off offset:1024
	v_mul_lo_u16_e32 v18, 52, v44
	v_mov_b32_e32 v19, 5
	v_mul_lo_u16_sdwa v18, v18, v19 dst_sel:DWORD dst_unused:UNUSED_PAD src0_sel:BYTE_1 src1_sel:DWORD
	v_sub_u16_e32 v18, v44, v18
	v_lshlrev_b32_sdwa v18, v19, v18 dst_sel:DWORD dst_unused:UNUSED_PAD src0_sel:DWORD src1_sel:BYTE_0
	v_lshl_add_u32 v18, v54, 9, v18
	ds_read_b128 v[38:41], v18
	ds_read_b128 v[18:21], v18 offset:2048
	v_and_b32_e32 v55, 63, v0
	v_cmp_gt_u32_e32 vcc, 5, v44
	v_mov_b32_e32 v56, 0
	s_and_saveexec_b64 s[10:11], vcc
	s_cbranch_execz .LBB60_13
; %bb.12:
	s_load_dwordx2 s[12:13], s[0:1], 0x40
	v_add_u32_e32 v48, s42, v44
	v_ashrrev_i32_e32 v49, 31, v48
	s_waitcnt lgkmcnt(0)
	v_lshl_add_u64 v[48:49], v[48:49], 2, s[12:13]
	global_load_dword v56, v[48:49], off
.LBB60_13:
	s_or_b64 exec, exec, s[10:11]
	v_and_or_b32 v46, v0, 48, s16
	v_ashrrev_i32_e32 v43, 4, v46
	v_mov_b32_e32 v57, s17
	v_cmp_gt_i32_e32 vcc, s29, v46
	s_waitcnt vmcnt(5) lgkmcnt(1)
	v_mfma_f32_16x16x16_f16 v[58:61], v[22:23], v[38:39], 0
	s_load_dword s10, s[0:1], 0x1c
	v_cndmask_b32_e32 v48, v57, v43, vcc
	v_ashrrev_i32_e32 v49, 31, v48
	v_or_b32_e32 v43, 64, v46
	v_lshl_add_u64 v[52:53], v[48:49], 2, s[6:7]
	v_mfma_f32_16x16x16_f16 v[48:51], v[30:31], v[38:39], 0
	v_ashrrev_i32_e32 v30, 4, v43
	v_cmp_gt_i32_e32 vcc, s29, v43
	global_load_dword v70, v[52:53], off
	s_waitcnt vmcnt(4)
	v_mfma_f32_16x16x16_f16 v[62:65], v[26:27], v[38:39], 0
	v_cndmask_b32_e32 v30, v57, v30, vcc
	v_ashrrev_i32_e32 v31, 31, v30
	v_lshl_add_u64 v[22:23], v[30:31], 2, s[6:7]
	global_load_dword v71, v[22:23], off
	v_mfma_f32_16x16x16_f16 v[22:25], v[24:25], v[40:41], v[58:61]
	v_and_b32_e32 v26, 0xc0, v0
	s_add_u32 s4, s8, s4
	v_lshlrev_b32_e32 v43, 5, v44
	v_mfma_f32_16x16x16_f16 v[30:33], v[32:33], v[40:41], v[48:51]
	s_addc_u32 s5, s9, s5
	s_mov_b32 s33, 0xff7fffff
	s_waitcnt vmcnt(3)
	v_mfma_f32_16x16x16_f16 v[66:69], v[34:35], v[38:39], 0
	v_or_b32_e32 v38, 0x80, v46
	v_add_u32_e32 v48, s16, v26
	v_or_b32_e32 v39, 0xc0, v46
	v_mfma_f32_16x16x16_f16 v[26:29], v[28:29], v[40:41], v[62:65]
	v_ashrrev_i32_e32 v49, 4, v38
	v_cmp_gt_i32_e32 vcc, s29, v38
	v_ashrrev_i32_e32 v50, 4, v39
	s_waitcnt lgkmcnt(0)
	v_mfma_f32_16x16x16_f16 v[22:25], v[2:3], v[18:19], v[22:25]
	v_cndmask_b32_e32 v38, v57, v49, vcc
	v_cmp_gt_i32_e32 vcc, s29, v39
	v_ashrrev_i32_e32 v39, 31, v38
	v_mfma_f32_16x16x16_f16 v[30:33], v[10:11], v[18:19], v[30:33]
	v_cndmask_b32_e32 v10, v57, v50, vcc
	v_ashrrev_i32_e32 v11, 31, v10
	v_lshl_or_b32 v58, v54, 2, v48
	v_mfma_f32_16x16x16_f16 v[26:29], v[6:7], v[18:19], v[26:29]
	v_lshl_add_u64 v[6:7], v[38:39], 2, s[6:7]
	v_lshl_add_u64 v[38:39], v[10:11], 2, s[6:7]
	v_or_b32_e32 v57, 1, v58
	v_mfma_f32_16x16x16_f16 v[2:5], v[4:5], v[20:21], v[22:25]
	s_nop 2
	global_load_dword v22, v[6:7], off
	global_load_dword v61, v[38:39], off
	v_subrev_u32_e32 v59, s29, v57
	v_cvt_f32_i32_e32 v60, v59
	v_mfma_f32_16x16x16_f16 v[34:37], v[36:37], v[40:41], v[66:69]
	v_pk_mul_f32 v[48:49], s[10:11], v[4:5] op_sel_hi:[0,1]
	v_lshl_or_b32 v46, v45, 9, v43
	v_lshl_add_u64 v[46:47], s[4:5], 0, v[46:47]
	s_waitcnt vmcnt(4)
	v_mfma_f32_16x16x16_f16 v[34:37], v[14:15], v[18:19], v[34:37]
	v_add_u32_e32 v14, 1, v59
	v_add_u32_e32 v15, 2, v59
	v_cvt_f32_i32_e32 v23, v14
	v_cvt_f32_i32_e32 v24, v15
	v_mfma_f32_16x16x16_f16 v[14:17], v[16:17], v[20:21], v[34:37]
	v_add_u32_e32 v18, 3, v59
	v_cvt_f32_i32_e32 v18, v18
	v_pk_mul_f32 v[50:51], s[10:11], v[2:3] op_sel_hi:[0,1]
	v_mfma_f32_16x16x16_f16 v[10:13], v[12:13], v[20:21], v[30:33]
	v_cmp_gt_i32_e64 s[34:35], s29, v57
	s_nop 1
	v_pk_mul_f32 v[36:37], s[10:11], v[14:15] op_sel_hi:[0,1]
	v_add_u32_e32 v15, 19, v59
	v_add_u32_e32 v31, 18, v59
	v_cvt_f32_i32_e32 v14, v31
	v_cvt_f32_i32_e32 v15, v15
	v_mfma_f32_16x16x16_f16 v[6:9], v[8:9], v[20:21], v[26:29]
	v_pk_mul_f32 v[34:35], s[10:11], v[16:17] op_sel_hi:[0,1]
	v_fma_f32 v48, v56, v14, v48
	v_add_u32_e32 v14, 32, v59
	v_fmac_f32_e32 v49, v56, v15
	v_cvt_f32_i32_e32 v14, v14
	v_add_u32_e32 v15, 33, v59
	v_add_u32_e32 v16, 34, v59
	v_cvt_f32_i32_e32 v15, v15
	v_cvt_f32_i32_e32 v16, v16
	v_add_u32_e32 v17, 35, v59
	v_cvt_f32_i32_e32 v17, v17
	v_pk_mul_f32 v[40:41], s[10:11], v[6:7] op_sel_hi:[0,1]
	v_pk_mul_f32 v[38:39], s[10:11], v[8:9] op_sel_hi:[0,1]
	v_fma_f32 v40, v56, v14, v40
	v_add_u32_e32 v14, 48, v59
	v_fmac_f32_e32 v41, v56, v15
	v_fma_f32 v38, v56, v16, v38
	v_cvt_f32_i32_e32 v14, v14
	v_add_u32_e32 v15, 49, v59
	v_add_u32_e32 v16, 50, v59
	v_fmac_f32_e32 v39, v56, v17
	v_cvt_f32_i32_e32 v15, v15
	v_cvt_f32_i32_e32 v16, v16
	v_add_u32_e32 v17, 51, v59
	v_cvt_f32_i32_e32 v17, v17
	v_pk_mul_f32 v[52:53], s[10:11], v[12:13] op_sel_hi:[0,1]
	v_pk_mul_f32 v[10:11], s[10:11], v[10:11] op_sel_hi:[0,1]
	s_waitcnt vmcnt(3)
	v_mad_i64_i32 v[2:3], s[4:5], v70, s45, 0
	s_waitcnt vmcnt(2)
	v_mad_i64_i32 v[12:13], s[4:5], v71, s45, 0
	v_fma_f32 v10, v56, v60, v10
	v_fmac_f32_e32 v11, v56, v23
	v_fma_f32 v36, v56, v14, v36
	v_mov_b32_e32 v14, 0xff7fffff
	v_cmp_gt_i32_e64 s[4:5], s29, v58
	v_add_u32_e32 v19, 16, v59
	v_add_u32_e32 v30, 17, v59
	v_fmac_f32_e32 v37, v56, v15
	v_fma_f32 v34, v56, v16, v34
	v_cndmask_b32_e64 v15, v14, v10, s[4:5]
	v_cndmask_b32_e64 v16, v14, v11, s[34:35]
	v_cvt_f32_i32_e32 v19, v19
	v_cvt_f32_i32_e32 v25, v30
	v_fmac_f32_e32 v35, v56, v17
	v_max3_f32 v15, v15, s33, v16
	v_or_b32_e32 v16, 2, v58
	v_or_b32_e32 v17, 3, v58
	v_fma_f32 v52, v56, v24, v52
	v_fmac_f32_e32 v53, v56, v18
	v_cmp_gt_i32_e64 s[36:37], s29, v16
	v_cmp_gt_i32_e64 s[38:39], s29, v17
	v_fma_f32 v50, v56, v19, v50
	v_cndmask_b32_e64 v16, v14, v52, s[36:37]
	v_cndmask_b32_e64 v17, v14, v53, s[38:39]
	v_max3_f32 v15, v15, v16, v17
	v_or_b32_e32 v16, 16, v58
	v_or_b32_e32 v17, 17, v58
	v_fmac_f32_e32 v51, v56, v25
	v_cmp_gt_i32_e64 s[24:25], s29, v16
	v_cmp_gt_i32_e64 s[26:27], s29, v17
	v_lshl_add_u64 v[2:3], v[2:3], 1, v[46:47]
	v_cndmask_b32_e64 v16, v14, v50, s[24:25]
	v_cndmask_b32_e64 v17, v14, v51, s[26:27]
	v_max3_f32 v15, v15, v16, v17
	v_or_b32_e32 v16, 18, v58
	v_or_b32_e32 v17, 19, v58
	v_cmp_gt_i32_e64 s[20:21], s29, v16
	v_cmp_gt_i32_e64 s[22:23], s29, v17
	v_lshl_add_u64 v[12:13], v[12:13], 1, v[46:47]
	v_cndmask_b32_e64 v16, v14, v48, s[20:21]
	v_cndmask_b32_e64 v17, v14, v49, s[22:23]
	v_max3_f32 v15, v15, v16, v17
	v_or_b32_e32 v16, 32, v58
	v_or_b32_e32 v17, 33, v58
	v_cmp_gt_i32_e64 s[16:17], s29, v16
	v_cmp_gt_i32_e64 s[18:19], s29, v17
	global_load_dwordx4 v[6:9], v[2:3], off
	s_nop 0
	global_load_dwordx4 v[2:5], v[2:3], off offset:16
	v_cndmask_b32_e64 v16, v14, v40, s[16:17]
	v_cndmask_b32_e64 v17, v14, v41, s[18:19]
	v_max3_f32 v15, v15, v16, v17
	v_or_b32_e32 v16, 34, v58
	v_or_b32_e32 v17, 35, v58
	v_cmp_gt_i32_e64 s[12:13], s29, v16
	v_cmp_gt_i32_e64 s[14:15], s29, v17
	global_load_dwordx4 v[30:33], v[12:13], off
	global_load_dwordx4 v[26:29], v[12:13], off offset:16
	v_cndmask_b32_e64 v16, v14, v38, s[12:13]
	v_cndmask_b32_e64 v17, v14, v39, s[14:15]
	v_max3_f32 v15, v15, v16, v17
	v_or_b32_e32 v16, 48, v58
	v_or_b32_e32 v17, 49, v58
	v_cmp_gt_i32_e64 s[8:9], s29, v16
	v_cmp_gt_i32_e64 s[10:11], s29, v17
	s_nop 0
	v_cndmask_b32_e64 v16, v14, v36, s[8:9]
	v_cndmask_b32_e64 v17, v14, v37, s[10:11]
	v_max3_f32 v15, v15, v16, v17
	v_or_b32_e32 v16, 50, v58
	v_or_b32_e32 v17, 51, v58
	v_cmp_gt_i32_e32 vcc, s29, v16
	v_cmp_gt_i32_e64 s[6:7], s29, v17
	s_nop 0
	v_cndmask_b32_e32 v16, v14, v34, vcc
	v_cndmask_b32_e64 v14, v14, v35, s[6:7]
	v_max3_f32 v14, v15, v16, v14
	v_mbcnt_lo_u32_b32 v15, -1, 0
	v_mbcnt_hi_u32_b32 v15, -1, v15
	v_and_b32_e32 v16, 64, v15
	v_add_u32_e32 v16, 64, v16
	v_xor_b32_e32 v17, 32, v15
	v_cmp_lt_i32_e64 s[40:41], v17, v16
	s_nop 1
	v_cndmask_b32_e64 v17, v15, v17, s[40:41]
	v_lshlrev_b32_e32 v57, 2, v17
	ds_bpermute_b32 v17, v57, v14
	s_waitcnt vmcnt(5)
	v_mad_i64_i32 v[12:13], s[40:41], v22, s45, 0
	v_lshl_add_u64 v[12:13], v[12:13], 1, v[46:47]
	global_load_dwordx4 v[22:25], v[12:13], off
	global_load_dwordx4 v[18:21], v[12:13], off offset:16
	s_waitcnt lgkmcnt(0)
	v_max_f32_e32 v17, v17, v17
	v_max_f32_e32 v14, v14, v17
	v_xor_b32_e32 v17, 16, v15
	v_cmp_lt_i32_e64 s[40:41], v17, v16
	s_nop 1
	v_cndmask_b32_e64 v15, v15, v17, s[40:41]
	v_lshlrev_b32_e32 v59, 2, v15
	ds_bpermute_b32 v15, v59, v14
	s_waitcnt vmcnt(6)
	v_mad_i64_i32 v[12:13], s[40:41], v61, s45, 0
	v_lshl_add_u64 v[12:13], v[12:13], 1, v[46:47]
	s_waitcnt lgkmcnt(0)
	v_max_f32_e32 v15, v15, v15
	v_max_f32_e32 v56, v14, v15
	v_sub_f32_e32 v10, v10, v56
	v_mul_f32_e32 v10, 0x3fb8aa3b, v10
	v_exp_f32_e32 v46, v10
	v_sub_f32_e32 v10, v11, v56
	v_mul_f32_e32 v10, 0x3fb8aa3b, v10
	v_exp_f32_e32 v47, v10
	global_load_dwordx4 v[14:17], v[12:13], off
	s_nop 0
	global_load_dwordx4 v[10:13], v[12:13], off offset:16
	v_sub_f32_e32 v52, v52, v56
	v_mul_f32_e32 v52, 0x3fb8aa3b, v52
	v_sub_f32_e32 v53, v53, v56
	v_exp_f32_e32 v52, v52
	v_mul_f32_e32 v53, 0x3fb8aa3b, v53
	v_sub_f32_e32 v50, v50, v56
	v_exp_f32_e32 v53, v53
	v_mul_f32_e32 v50, 0x3fb8aa3b, v50
	v_sub_f32_e32 v51, v51, v56
	v_cndmask_b32_e64 v46, 0, v46, s[4:5]
	v_exp_f32_e32 v50, v50
	v_mul_f32_e32 v51, 0x3fb8aa3b, v51
	v_sub_f32_e32 v48, v48, v56
	v_add_f32_e32 v58, 0, v46
	v_cndmask_b32_e64 v47, 0, v47, s[34:35]
	v_exp_f32_e32 v51, v51
	v_mul_f32_e32 v48, 0x3fb8aa3b, v48
	v_sub_f32_e32 v49, v49, v56
	v_add_f32_e32 v58, v58, v47
	;; [unrolled: 5-line block ×10, first 2 shown]
	v_cndmask_b32_e64 v38, 0, v38, s[12:13]
	v_exp_f32_e32 v34, v34
	v_mul_f32_e32 v35, 0x3fb8aa3b, v35
	v_add_f32_e32 v58, v58, v38
	v_cndmask_b32_e64 v39, 0, v39, s[14:15]
	v_exp_f32_e32 v35, v35
	v_add_f32_e32 v58, v58, v39
	v_cndmask_b32_e64 v36, 0, v36, s[8:9]
	v_add_f32_e32 v58, v58, v36
	v_cndmask_b32_e64 v37, 0, v37, s[10:11]
	v_add_f32_e32 v58, v58, v37
	v_cndmask_b32_e32 v34, 0, v34, vcc
	v_add_f32_e32 v58, v58, v34
	v_cndmask_b32_e64 v35, 0, v35, s[6:7]
	v_add_f32_e32 v58, v58, v35
	ds_bpermute_b32 v57, v57, v58
	s_load_dword s9, s[0:1], 0x98
	v_cmp_gt_u32_e64 s[6:7], 16, v55
	s_waitcnt lgkmcnt(0)
	s_barrier
	v_add_f32_e32 v58, v58, v57
	ds_bpermute_b32 v59, v59, v58
	v_lshlrev_b32_e32 v57, 2, v44
	s_waitcnt lgkmcnt(0)
	s_and_saveexec_b64 s[4:5], s[6:7]
	s_cbranch_execz .LBB60_15
; %bb.14:
	v_add_f32_e32 v55, v58, v59
	v_lshl_or_b32 v58, v45, 6, v57
	ds_write2st64_b32 v58, v56, v55 offset1:1
.LBB60_15:
	s_or_b64 exec, exec, s[4:5]
	s_load_dword s8, s[0:1], 0x94
	s_waitcnt lgkmcnt(0)
	s_barrier
	ds_read2_b32 v[58:59], v57 offset1:16
	ds_read2_b32 v[60:61], v57 offset0:32 offset1:48
	ds_read2_b32 v[62:63], v57 offset0:64 offset1:80
	s_mul_i32 s9, s9, 5
	s_waitcnt lgkmcnt(2)
	v_max3_f32 v55, v58, s33, v59
	s_waitcnt lgkmcnt(1)
	v_max3_f32 v55, v55, v60, v61
	v_sub_f32_e32 v56, v58, v55
	v_mul_f32_e32 v56, 0x3fb8aa3b, v56
	v_exp_f32_e32 v64, v56
	v_sub_f32_e32 v56, v59, v55
	v_mul_f32_e32 v56, 0x3fb8aa3b, v56
	v_exp_f32_e32 v65, v56
	;; [unrolled: 3-line block ×3, first 2 shown]
	ds_read2_b32 v[58:59], v57 offset0:96 offset1:112
	v_sub_f32_e32 v56, v61, v55
	v_mul_f32_e32 v56, 0x3fb8aa3b, v56
	v_exp_f32_e32 v57, v56
	s_waitcnt lgkmcnt(1)
	v_fma_f32 v56, v64, v62, 0
	v_fmac_f32_e32 v56, v65, v63
	s_waitcnt lgkmcnt(0)
	v_fmac_f32_e32 v56, v60, v58
	v_fmac_f32_e32 v56, v57, v59
	v_add_f32_e32 v58, 0x358637bd, v56
	v_div_scale_f32 v59, s[4:5], v58, v58, 1.0
	v_rcp_f32_e32 v61, v59
	s_barrier
	v_fma_f32 v62, -v59, v61, 1.0
	v_fmac_f32_e32 v61, v62, v61
	v_div_scale_f32 v62, vcc, 1.0, v58, 1.0
	v_mul_f32_e32 v63, v62, v61
	v_fma_f32 v66, -v59, v63, v62
	v_fmac_f32_e32 v63, v66, v61
	v_fma_f32 v59, -v59, v63, v62
	v_div_fmas_f32 v59, v59, v61, v63
	v_cmp_eq_u32_e32 vcc, 1, v45
	v_div_fixup_f32 v58, v59, v58, 1.0
	s_nop 0
	v_cndmask_b32_e32 v59, v64, v65, vcc
	v_cmp_eq_u32_e32 vcc, 2, v45
	s_nop 1
	v_cndmask_b32_e32 v59, v59, v60, vcc
	v_cmp_eq_u32_e32 vcc, 3, v45
	v_lshlrev_b32_e32 v45, 11, v45
	s_nop 0
	v_cndmask_b32_e32 v57, v59, v57, vcc
	v_mul_f32_e32 v58, v57, v58
	v_pk_mul_f32 v[46:47], v[58:59], v[46:47] op_sel_hi:[0,1]
	v_cvt_f16_f32_e32 v46, v46
	v_cvt_f16_f32_e32 v47, v47
	v_pk_mul_f32 v[52:53], v[58:59], v[52:53] op_sel_hi:[0,1]
	v_cvt_f16_f32_e32 v57, v52
	v_cvt_f16_f32_e32 v53, v53
	v_pack_b32_f16 v52, v46, v47
	v_pk_mul_f32 v[46:47], v[58:59], v[48:49] op_sel_hi:[0,1]
	v_pk_mul_f32 v[48:49], v[58:59], v[50:51] op_sel_hi:[0,1]
	v_cvt_f16_f32_e32 v48, v48
	v_cvt_f16_f32_e32 v49, v49
	;; [unrolled: 1-line block ×4, first 2 shown]
	v_pack_b32_f16 v53, v57, v53
	v_lshlrev_b32_e32 v57, 3, v54
	v_pk_mul_f32 v[38:39], v[58:59], v[38:39] op_sel_hi:[0,1]
	v_pk_mul_f32 v[40:41], v[58:59], v[40:41] op_sel_hi:[0,1]
	v_pk_mul_f32 v[34:35], v[58:59], v[34:35] op_sel_hi:[0,1]
	v_pk_mul_f32 v[36:37], v[58:59], v[36:37] op_sel_hi:[0,1]
	v_or3_b32 v46, v45, v43, v57
	v_pack_b32_f16 v48, v48, v49
	v_pack_b32_f16 v49, v50, v47
	v_cvt_f16_f32_e32 v40, v40
	v_cvt_f16_f32_e32 v41, v41
	;; [unrolled: 1-line block ×8, first 2 shown]
	v_pack_b32_f16 v34, v40, v41
	v_pack_b32_f16 v35, v38, v39
	;; [unrolled: 1-line block ×4, first 2 shown]
	v_cmp_gt_u32_e32 vcc, 5, v0
	ds_write2st64_b64 v46, v[52:53], v[48:49] offset1:1
	ds_write2st64_b64 v46, v[34:35], v[36:37] offset0:2 offset1:3
	s_and_saveexec_b64 s[4:5], vcc
	s_cbranch_execz .LBB60_17
; %bb.16:
	s_mov_b32 s43, 0
	v_mov_b32_e32 v45, 0
	v_lshl_add_u64 v[34:35], s[42:43], 0, v[44:45]
	v_mov_b32_e32 v36, s9
	v_mad_u64_u32 v[34:35], s[10:11], s2, v36, v[34:35]
	s_mul_i32 s3, s3, s9
	v_mov_b32_e32 v44, s28
	s_load_dwordx4 s[12:15], s[0:1], 0x58
	v_add_u32_e32 v37, s3, v35
	v_mad_u64_u32 v[34:35], s[10:11], v34, s8, v[44:45]
	v_mov_b32_e32 v36, v35
	v_mad_u64_u32 v[36:37], s[10:11], v37, s8, v[36:37]
	v_mov_b32_e32 v35, v36
	v_lshlrev_b64 v[34:35], 2, v[34:35]
	s_waitcnt lgkmcnt(0)
	v_lshl_add_u64 v[36:37], s[14:15], 0, v[34:35]
	v_lshl_add_u64 v[34:35], s[12:13], 0, v[34:35]
	global_store_dword v[36:37], v55, off
	global_store_dword v[34:35], v56, off
.LBB60_17:
	s_or_b64 exec, exec, s[4:5]
	v_lshl_or_b32 v43, v54, 9, v43
	s_waitcnt lgkmcnt(0)
	s_barrier
	ds_read_b128 v[34:37], v43
	ds_read_b128 v[38:41], v43 offset:16
	s_waitcnt vmcnt(7) lgkmcnt(1)
	v_mfma_f32_16x16x16_f16 v[48:51], v[6:7], v[34:35], 0
	v_cmp_gt_u32_e32 vcc, 64, v0
	s_mov_b32 s3, 0
	s_and_b64 s[4:5], vcc, s[30:31]
	v_mfma_f32_16x16x16_f16 v[6:9], v[8:9], v[36:37], v[48:51]
	s_waitcnt vmcnt(6) lgkmcnt(0)
	v_mfma_f32_16x16x16_f16 v[6:9], v[2:3], v[38:39], v[6:9]
	v_mfma_f32_16x16x16_f16 v[2:5], v[4:5], v[40:41], v[6:9]
	s_nop 5
	ds_read_b128 v[6:9], v43 offset:2048
	ds_read_b128 v[34:37], v43 offset:2064
	s_waitcnt vmcnt(5) lgkmcnt(1)
	v_mfma_f32_16x16x16_f16 v[2:5], v[30:31], v[6:7], v[2:5]
	v_mfma_f32_16x16x16_f16 v[2:5], v[32:33], v[8:9], v[2:5]
	s_waitcnt vmcnt(4) lgkmcnt(0)
	v_mfma_f32_16x16x16_f16 v[2:5], v[26:27], v[34:35], v[2:5]
	v_mfma_f32_16x16x16_f16 v[2:5], v[28:29], v[36:37], v[2:5]
	ds_read_b128 v[6:9], v43 offset:4096
	ds_read_b128 v[26:29], v43 offset:4112
	s_waitcnt vmcnt(3) lgkmcnt(1)
	v_mfma_f32_16x16x16_f16 v[2:5], v[22:23], v[6:7], v[2:5]
	v_mfma_f32_16x16x16_f16 v[2:5], v[24:25], v[8:9], v[2:5]
	s_waitcnt vmcnt(2) lgkmcnt(0)
	v_mfma_f32_16x16x16_f16 v[2:5], v[18:19], v[26:27], v[2:5]
	v_mfma_f32_16x16x16_f16 v[2:5], v[20:21], v[28:29], v[2:5]
	ds_read_b128 v[6:9], v43 offset:6144
	ds_read_b128 v[18:21], v43 offset:6160
	v_mov_b32_e32 v43, 0
	s_waitcnt vmcnt(1) lgkmcnt(0)
	v_mfma_f32_16x16x16_f16 v[2:5], v[14:15], v[6:7], v[2:5]
	s_barrier
	v_mfma_f32_16x16x16_f16 v[2:5], v[16:17], v[8:9], v[2:5]
	s_waitcnt vmcnt(0)
	v_mfma_f32_16x16x16_f16 v[2:5], v[10:11], v[18:19], v[2:5]
	v_mfma_f32_16x16x16_f16 v[2:5], v[12:13], v[20:21], v[2:5]
	s_nop 6
	v_cvt_f16_f32_e32 v2, v2
	v_cvt_f16_f32_e32 v3, v3
	;; [unrolled: 1-line block ×4, first 2 shown]
	v_pack_b32_f16 v2, v2, v3
	v_pack_b32_f16 v3, v4, v5
	ds_write_b64 v46, v[2:3]
	s_waitcnt lgkmcnt(0)
	s_barrier
	s_and_saveexec_b64 s[10:11], s[4:5]
	s_cbranch_execz .LBB60_20
; %bb.18:
	s_load_dwordx2 s[4:5], s[0:1], 0x68
	s_lshl_b32 s0, s8, 6
	s_mul_i32 s1, s9, s2
	s_mul_hi_u32 s9, s1, s0
	s_mul_i32 s8, s1, s0
	v_lshlrev_b32_e32 v0, 10, v0
	s_lshl_b64 s[8:9], s[8:9], 1
	v_and_b32_e32 v0, 0x1800, v0
	v_lshlrev_b32_e32 v2, 5, v54
	v_and_b32_e32 v1, 16, v1
	s_waitcnt lgkmcnt(0)
	s_add_u32 s1, s4, s8
	v_or3_b32 v2, v0, v2, v1
	s_addc_u32 s4, s5, s9
	s_lshl_b32 s2, s28, 6
	s_lshl_b64 s[2:3], s[2:3], 1
	ds_read_b128 v[4:7], v2
	s_add_u32 s2, s1, s2
	s_addc_u32 s3, s4, s3
	v_add_u32_e32 v3, s42, v54
	v_lshl_add_u64 v[0:1], s[2:3], 0, v[42:43]
	v_mad_u64_u32 v[8:9], s[2:3], v3, s0, 0
	v_lshl_add_u64 v[8:9], v[8:9], 1, v[0:1]
	s_waitcnt lgkmcnt(0)
	global_store_dwordx4 v[8:9], v[4:7], off
	s_and_b64 exec, exec, s[6:7]
	s_cbranch_execz .LBB60_20
; %bb.19:
	ds_read_b128 v[2:5], v2 offset:128
	v_add3_u32 v6, s42, v54, 4
	v_mad_u64_u32 v[6:7], s[0:1], v6, s0, 0
	v_lshl_add_u64 v[0:1], v[6:7], 1, v[0:1]
	s_waitcnt lgkmcnt(0)
	global_store_dwordx4 v[0:1], v[2:5], off
.LBB60_20:
	s_endpgm
	.section	.rodata,"a",@progbits
	.p2align	6, 0x0
	.amdhsa_kernel _Z39paged_attention_ll4mi_QKV_mfma16_kernelIDF16_DF16_LN4vllm18Fp8KVCacheDataTypeE0EDF16_Li16ELi64ELi256ELb1ELi5EEvPKT_PKT0_S7_ifPKiS9_S9_iPKfiiiPfSC_PS2_PT2_iSB_SB_
		.amdhsa_group_segment_fixed_size 8192
		.amdhsa_private_segment_fixed_size 0
		.amdhsa_kernarg_size 400
		.amdhsa_user_sgpr_count 2
		.amdhsa_user_sgpr_dispatch_ptr 0
		.amdhsa_user_sgpr_queue_ptr 0
		.amdhsa_user_sgpr_kernarg_segment_ptr 1
		.amdhsa_user_sgpr_dispatch_id 0
		.amdhsa_user_sgpr_kernarg_preload_length 0
		.amdhsa_user_sgpr_kernarg_preload_offset 0
		.amdhsa_user_sgpr_private_segment_size 0
		.amdhsa_uses_dynamic_stack 0
		.amdhsa_enable_private_segment 0
		.amdhsa_system_sgpr_workgroup_id_x 1
		.amdhsa_system_sgpr_workgroup_id_y 1
		.amdhsa_system_sgpr_workgroup_id_z 1
		.amdhsa_system_sgpr_workgroup_info 0
		.amdhsa_system_vgpr_workitem_id 0
		.amdhsa_next_free_vgpr 72
		.amdhsa_next_free_sgpr 48
		.amdhsa_accum_offset 72
		.amdhsa_reserve_vcc 1
		.amdhsa_float_round_mode_32 0
		.amdhsa_float_round_mode_16_64 0
		.amdhsa_float_denorm_mode_32 3
		.amdhsa_float_denorm_mode_16_64 3
		.amdhsa_dx10_clamp 1
		.amdhsa_ieee_mode 1
		.amdhsa_fp16_overflow 0
		.amdhsa_tg_split 0
		.amdhsa_exception_fp_ieee_invalid_op 0
		.amdhsa_exception_fp_denorm_src 0
		.amdhsa_exception_fp_ieee_div_zero 0
		.amdhsa_exception_fp_ieee_overflow 0
		.amdhsa_exception_fp_ieee_underflow 0
		.amdhsa_exception_fp_ieee_inexact 0
		.amdhsa_exception_int_div_zero 0
	.end_amdhsa_kernel
	.section	.text._Z39paged_attention_ll4mi_QKV_mfma16_kernelIDF16_DF16_LN4vllm18Fp8KVCacheDataTypeE0EDF16_Li16ELi64ELi256ELb1ELi5EEvPKT_PKT0_S7_ifPKiS9_S9_iPKfiiiPfSC_PS2_PT2_iSB_SB_,"axG",@progbits,_Z39paged_attention_ll4mi_QKV_mfma16_kernelIDF16_DF16_LN4vllm18Fp8KVCacheDataTypeE0EDF16_Li16ELi64ELi256ELb1ELi5EEvPKT_PKT0_S7_ifPKiS9_S9_iPKfiiiPfSC_PS2_PT2_iSB_SB_,comdat
.Lfunc_end60:
	.size	_Z39paged_attention_ll4mi_QKV_mfma16_kernelIDF16_DF16_LN4vllm18Fp8KVCacheDataTypeE0EDF16_Li16ELi64ELi256ELb1ELi5EEvPKT_PKT0_S7_ifPKiS9_S9_iPKfiiiPfSC_PS2_PT2_iSB_SB_, .Lfunc_end60-_Z39paged_attention_ll4mi_QKV_mfma16_kernelIDF16_DF16_LN4vllm18Fp8KVCacheDataTypeE0EDF16_Li16ELi64ELi256ELb1ELi5EEvPKT_PKT0_S7_ifPKiS9_S9_iPKfiiiPfSC_PS2_PT2_iSB_SB_
                                        ; -- End function
	.section	.AMDGPU.csdata,"",@progbits
; Kernel info:
; codeLenInByte = 4060
; NumSgprs: 54
; NumVgprs: 72
; NumAgprs: 0
; TotalNumVgprs: 72
; ScratchSize: 0
; MemoryBound: 0
; FloatMode: 240
; IeeeMode: 1
; LDSByteSize: 8192 bytes/workgroup (compile time only)
; SGPRBlocks: 6
; VGPRBlocks: 8
; NumSGPRsForWavesPerEU: 54
; NumVGPRsForWavesPerEU: 72
; AccumOffset: 72
; Occupancy: 7
; WaveLimiterHint : 1
; COMPUTE_PGM_RSRC2:SCRATCH_EN: 0
; COMPUTE_PGM_RSRC2:USER_SGPR: 2
; COMPUTE_PGM_RSRC2:TRAP_HANDLER: 0
; COMPUTE_PGM_RSRC2:TGID_X_EN: 1
; COMPUTE_PGM_RSRC2:TGID_Y_EN: 1
; COMPUTE_PGM_RSRC2:TGID_Z_EN: 1
; COMPUTE_PGM_RSRC2:TIDIG_COMP_CNT: 0
; COMPUTE_PGM_RSRC3_GFX90A:ACCUM_OFFSET: 17
; COMPUTE_PGM_RSRC3_GFX90A:TG_SPLIT: 0
	.section	.text._Z39paged_attention_ll4mi_QKV_mfma16_kernelIDF16_DF16_LN4vllm18Fp8KVCacheDataTypeE0EDF16_Li16ELi64ELi256ELb1ELi6EEvPKT_PKT0_S7_ifPKiS9_S9_iPKfiiiPfSC_PS2_PT2_iSB_SB_,"axG",@progbits,_Z39paged_attention_ll4mi_QKV_mfma16_kernelIDF16_DF16_LN4vllm18Fp8KVCacheDataTypeE0EDF16_Li16ELi64ELi256ELb1ELi6EEvPKT_PKT0_S7_ifPKiS9_S9_iPKfiiiPfSC_PS2_PT2_iSB_SB_,comdat
	.protected	_Z39paged_attention_ll4mi_QKV_mfma16_kernelIDF16_DF16_LN4vllm18Fp8KVCacheDataTypeE0EDF16_Li16ELi64ELi256ELb1ELi6EEvPKT_PKT0_S7_ifPKiS9_S9_iPKfiiiPfSC_PS2_PT2_iSB_SB_ ; -- Begin function _Z39paged_attention_ll4mi_QKV_mfma16_kernelIDF16_DF16_LN4vllm18Fp8KVCacheDataTypeE0EDF16_Li16ELi64ELi256ELb1ELi6EEvPKT_PKT0_S7_ifPKiS9_S9_iPKfiiiPfSC_PS2_PT2_iSB_SB_
	.globl	_Z39paged_attention_ll4mi_QKV_mfma16_kernelIDF16_DF16_LN4vllm18Fp8KVCacheDataTypeE0EDF16_Li16ELi64ELi256ELb1ELi6EEvPKT_PKT0_S7_ifPKiS9_S9_iPKfiiiPfSC_PS2_PT2_iSB_SB_
	.p2align	8
	.type	_Z39paged_attention_ll4mi_QKV_mfma16_kernelIDF16_DF16_LN4vllm18Fp8KVCacheDataTypeE0EDF16_Li16ELi64ELi256ELb1ELi6EEvPKT_PKT0_S7_ifPKiS9_S9_iPKfiiiPfSC_PS2_PT2_iSB_SB_,@function
_Z39paged_attention_ll4mi_QKV_mfma16_kernelIDF16_DF16_LN4vllm18Fp8KVCacheDataTypeE0EDF16_Li16ELi64ELi256ELb1ELi6EEvPKT_PKT0_S7_ifPKiS9_S9_iPKfiiiPfSC_PS2_PT2_iSB_SB_: ; @_Z39paged_attention_ll4mi_QKV_mfma16_kernelIDF16_DF16_LN4vllm18Fp8KVCacheDataTypeE0EDF16_Li16ELi64ELi256ELb1ELi6EEvPKT_PKT0_S7_ifPKiS9_S9_iPKfiiiPfSC_PS2_PT2_iSB_SB_
; %bb.0:
	s_load_dwordx2 s[8:9], s[0:1], 0x30
	s_mov_b32 s28, s3
	s_mov_b64 s[6:7], 0
	s_waitcnt lgkmcnt(0)
	s_cmp_lg_u64 s[8:9], 0
	s_cselect_b64 s[10:11], -1, 0
	s_and_b64 vcc, exec, s[10:11]
	s_cbranch_vccz .LBB61_7
; %bb.1:
	s_add_i32 s12, s2, 1
	s_mov_b32 s13, 0
	s_lshl_b64 s[14:15], s[12:13], 2
	s_add_u32 s14, s8, s14
	s_mov_b32 s3, s13
	s_addc_u32 s15, s9, s15
	s_lshl_b64 s[12:13], s[2:3], 2
	s_add_u32 s12, s8, s12
	s_addc_u32 s13, s9, s13
	s_load_dword s5, s[14:15], 0x0
	s_load_dword s16, s[12:13], 0x0
	s_waitcnt lgkmcnt(0)
	s_sub_i32 s5, s5, s16
	s_cmp_eq_u32 s5, 1
	s_cselect_b64 s[12:13], -1, 0
	s_andn2_b64 vcc, exec, s[6:7]
	s_cbranch_vccnz .LBB61_3
.LBB61_2:
	s_mov_b32 s3, 0
	s_mov_b64 s[12:13], -1
.LBB61_3:
	s_andn2_b64 vcc, exec, s[12:13]
	s_cbranch_vccnz .LBB61_20
; %bb.4:
	s_load_dwordx2 s[6:7], s[0:1], 0x28
	s_lshl_b64 s[14:15], s[2:3], 2
	s_waitcnt lgkmcnt(0)
	s_add_u32 s6, s6, s14
	s_addc_u32 s7, s7, s15
	s_load_dword s29, s[6:7], 0x0
	s_lshl_b32 s16, s28, 8
	s_waitcnt lgkmcnt(0)
	s_cmp_ge_i32 s16, s29
	s_cbranch_scc1 .LBB61_20
; %bb.5:
	s_load_dwordx2 s[6:7], s[0:1], 0x20
	s_load_dword s5, s[0:1], 0x38
	s_add_i32 s12, s29, 15
	s_ashr_i32 s13, s12, 31
	v_and_b32_e32 v1, 0xcf, v0
	s_lshr_b32 s13, s13, 28
	v_add_u32_e32 v1, s16, v1
	s_add_i32 s12, s12, s13
	v_ashrrev_i32_e32 v2, 31, v1
	s_ashr_i32 s17, s12, 4
	v_lshrrev_b32_e32 v6, 28, v2
	s_add_i32 s17, s17, -1
	s_waitcnt lgkmcnt(0)
	s_mul_i32 s12, s2, s5
	s_mov_b32 s13, 0
	v_add_u32_e32 v2, v1, v6
	s_lshl_b64 s[12:13], s[12:13], 2
	v_ashrrev_i32_e32 v2, 4, v2
	v_mov_b32_e32 v7, s17
	v_cmp_gt_i32_e32 vcc, s29, v1
	s_add_u32 s6, s6, s12
	s_addc_u32 s7, s7, s13
	v_cndmask_b32_e32 v2, v7, v2, vcc
	v_ashrrev_i32_e32 v3, 31, v2
	v_lshl_add_u64 v[4:5], v[2:3], 2, s[6:7]
	v_or_b32_e32 v2, 16, v1
	v_add_u32_e32 v3, v2, v6
	v_ashrrev_i32_e32 v3, 4, v3
	v_cmp_gt_i32_e32 vcc, s29, v2
	s_load_dwordx2 s[12:13], s[0:1], 0x8
	s_nop 0
	v_cndmask_b32_e32 v2, v7, v3, vcc
	v_ashrrev_i32_e32 v3, 31, v2
	v_lshl_add_u64 v[8:9], v[2:3], 2, s[6:7]
	v_or_b32_e32 v2, 32, v1
	v_add_u32_e32 v3, v2, v6
	v_ashrrev_i32_e32 v3, 4, v3
	v_cmp_gt_i32_e32 vcc, s29, v2
	v_or_b32_e32 v1, 48, v1
	s_nop 0
	v_cndmask_b32_e32 v2, v7, v3, vcc
	v_ashrrev_i32_e32 v3, 31, v2
	v_lshl_add_u64 v[10:11], v[2:3], 2, s[6:7]
	v_add_u32_e32 v2, v1, v6
	v_ashrrev_i32_e32 v2, 4, v2
	v_cmp_gt_i32_e32 vcc, s29, v1
	s_nop 1
	v_cndmask_b32_e32 v2, v7, v2, vcc
	v_ashrrev_i32_e32 v3, 31, v2
	v_lshl_add_u64 v[12:13], v[2:3], 2, s[6:7]
	global_load_dword v3, v[4:5], off
	global_load_dword v2, v[8:9], off
	;; [unrolled: 1-line block ×4, first 2 shown]
	s_andn2_b64 vcc, exec, s[10:11]
	s_cbranch_vccnz .LBB61_8
; %bb.6:
	s_add_u32 s8, s8, s14
	s_addc_u32 s9, s9, s15
	s_load_dword s5, s[8:9], 0x0
	s_branch .LBB61_9
.LBB61_7:
	s_mov_b64 s[12:13], 0
	s_branch .LBB61_2
.LBB61_8:
	s_mov_b32 s5, s2
.LBB61_9:
	s_load_dwordx2 s[8:9], s[0:1], 0x10
	s_load_dwordx4 s[44:47], s[0:1], 0x48
	v_lshrrev_b32_e32 v45, 6, v0
	v_bfe_u32 v54, v0, 4, 2
	v_lshl_or_b32 v1, v45, 2, v54
	v_and_b32_e32 v44, 15, v0
	v_lshlrev_b32_e32 v4, 3, v44
	v_cmp_gt_u32_e32 vcc, 6, v1
	v_cmp_gt_u32_e64 s[30:31], 8, v44
	s_mul_i32 s42, s4, 6
	s_and_b64 s[14:15], s[30:31], vcc
	v_lshlrev_b32_e32 v42, 1, v4
	s_and_saveexec_b64 s[10:11], s[14:15]
	s_cbranch_execz .LBB61_11
; %bb.10:
	s_load_dwordx2 s[14:15], s[0:1], 0x0
	s_waitcnt lgkmcnt(0)
	s_ashr_i32 s18, s44, 31
	s_mul_hi_u32 s19, s5, s44
	s_mul_i32 s18, s5, s18
	s_add_i32 s19, s19, s18
	s_mul_i32 s18, s5, s44
	s_lshl_b64 s[18:19], s[18:19], 1
	s_add_u32 s14, s14, s18
	v_add_lshl_u32 v4, v1, s42, 6
	s_addc_u32 s15, s15, s19
	v_ashrrev_i32_e32 v5, 31, v4
	v_lshl_add_u64 v[4:5], v[4:5], 1, s[14:15]
	v_mov_b32_e32 v43, 0
	v_lshl_add_u64 v[4:5], v[4:5], 0, v[42:43]
	global_load_dwordx4 v[8:11], v[4:5], off
	v_and_b32_e32 v4, 3, v0
	v_lshlrev_b32_e32 v5, 9, v44
	v_lshlrev_b32_e32 v1, 5, v1
	;; [unrolled: 1-line block ×3, first 2 shown]
	v_and_b32_e32 v5, 0x1800, v5
	v_or3_b32 v1, v5, v4, v1
	s_waitcnt vmcnt(0)
	ds_write_b128 v1, v[8:11]
.LBB61_11:
	s_or_b64 exec, exec, s[10:11]
	s_waitcnt lgkmcnt(0)
	s_mul_i32 s4, s4, s46
	s_mov_b32 s5, 0
	s_lshl_b64 s[4:5], s[4:5], 1
	s_add_u32 s10, s12, s4
	v_lshlrev_b32_e32 v1, 4, v0
	s_addc_u32 s11, s13, s5
	v_and_b32_e32 v46, 0xf0, v1
	v_mov_b32_e32 v47, 0
	v_lshl_add_u64 v[16:17], s[10:11], 0, v[46:47]
	s_waitcnt vmcnt(3)
	v_mad_i64_i32 v[4:5], s[10:11], v3, s45, 0
	s_waitcnt vmcnt(2)
	v_mad_i64_i32 v[2:3], s[10:11], v2, s45, 0
	s_waitcnt vmcnt(1)
	v_mad_i64_i32 v[6:7], s[10:11], v6, s45, 0
	v_lshl_add_u64 v[4:5], v[4:5], 1, v[16:17]
	v_and_b32_e32 v46, 0x300, v1
	v_lshl_add_u64 v[2:3], v[2:3], 1, v[16:17]
	v_lshl_add_u64 v[6:7], v[6:7], 1, v[16:17]
	s_waitcnt vmcnt(0)
	v_mad_i64_i32 v[14:15], s[10:11], v14, s45, 0
	v_lshl_add_u64 v[4:5], v[4:5], 0, v[46:47]
	v_lshl_add_u64 v[8:9], v[2:3], 0, v[46:47]
	;; [unrolled: 1-line block ×4, first 2 shown]
	s_barrier
	global_load_dwordx4 v[30:33], v[4:5], off
	global_load_dwordx4 v[10:13], v[4:5], off offset:1024
	global_load_dwordx4 v[22:25], v[8:9], off
	s_nop 0
	global_load_dwordx4 v[2:5], v[8:9], off offset:1024
	global_load_dwordx4 v[26:29], v[18:19], off
	s_nop 0
	global_load_dwordx4 v[6:9], v[18:19], off offset:1024
	v_lshl_add_u64 v[18:19], v[14:15], 0, v[46:47]
	global_load_dwordx4 v[34:37], v[18:19], off
	global_load_dwordx4 v[14:17], v[18:19], off offset:1024
	v_mul_lo_u16_e32 v18, 43, v44
	v_mov_b32_e32 v19, 6
	v_mul_lo_u16_sdwa v18, v18, v19 dst_sel:DWORD dst_unused:UNUSED_PAD src0_sel:BYTE_1 src1_sel:DWORD
	v_sub_u16_e32 v18, v44, v18
	v_mov_b32_e32 v19, 5
	v_lshlrev_b32_sdwa v18, v19, v18 dst_sel:DWORD dst_unused:UNUSED_PAD src0_sel:DWORD src1_sel:BYTE_0
	v_lshl_add_u32 v18, v54, 9, v18
	ds_read_b128 v[38:41], v18
	ds_read_b128 v[18:21], v18 offset:2048
	v_and_b32_e32 v55, 63, v0
	v_cmp_gt_u32_e32 vcc, 6, v44
	v_mov_b32_e32 v56, 0
	s_and_saveexec_b64 s[10:11], vcc
	s_cbranch_execz .LBB61_13
; %bb.12:
	s_load_dwordx2 s[12:13], s[0:1], 0x40
	v_add_u32_e32 v48, s42, v44
	v_ashrrev_i32_e32 v49, 31, v48
	s_waitcnt lgkmcnt(0)
	v_lshl_add_u64 v[48:49], v[48:49], 2, s[12:13]
	global_load_dword v56, v[48:49], off
.LBB61_13:
	s_or_b64 exec, exec, s[10:11]
	v_and_or_b32 v46, v0, 48, s16
	v_ashrrev_i32_e32 v43, 4, v46
	v_mov_b32_e32 v57, s17
	v_cmp_gt_i32_e32 vcc, s29, v46
	s_waitcnt vmcnt(5) lgkmcnt(1)
	v_mfma_f32_16x16x16_f16 v[58:61], v[22:23], v[38:39], 0
	s_load_dword s10, s[0:1], 0x1c
	v_cndmask_b32_e32 v48, v57, v43, vcc
	v_ashrrev_i32_e32 v49, 31, v48
	v_or_b32_e32 v43, 64, v46
	v_lshl_add_u64 v[52:53], v[48:49], 2, s[6:7]
	v_mfma_f32_16x16x16_f16 v[48:51], v[30:31], v[38:39], 0
	v_ashrrev_i32_e32 v30, 4, v43
	v_cmp_gt_i32_e32 vcc, s29, v43
	global_load_dword v70, v[52:53], off
	s_waitcnt vmcnt(4)
	v_mfma_f32_16x16x16_f16 v[62:65], v[26:27], v[38:39], 0
	v_cndmask_b32_e32 v30, v57, v30, vcc
	v_ashrrev_i32_e32 v31, 31, v30
	v_lshl_add_u64 v[22:23], v[30:31], 2, s[6:7]
	global_load_dword v71, v[22:23], off
	v_mfma_f32_16x16x16_f16 v[22:25], v[24:25], v[40:41], v[58:61]
	v_and_b32_e32 v26, 0xc0, v0
	s_add_u32 s4, s8, s4
	v_lshlrev_b32_e32 v43, 5, v44
	v_mfma_f32_16x16x16_f16 v[30:33], v[32:33], v[40:41], v[48:51]
	s_addc_u32 s5, s9, s5
	s_mov_b32 s33, 0xff7fffff
	s_waitcnt vmcnt(3)
	v_mfma_f32_16x16x16_f16 v[66:69], v[34:35], v[38:39], 0
	v_or_b32_e32 v38, 0x80, v46
	v_add_u32_e32 v48, s16, v26
	v_or_b32_e32 v39, 0xc0, v46
	v_mfma_f32_16x16x16_f16 v[26:29], v[28:29], v[40:41], v[62:65]
	v_ashrrev_i32_e32 v49, 4, v38
	v_cmp_gt_i32_e32 vcc, s29, v38
	v_ashrrev_i32_e32 v50, 4, v39
	s_waitcnt lgkmcnt(0)
	v_mfma_f32_16x16x16_f16 v[22:25], v[2:3], v[18:19], v[22:25]
	v_cndmask_b32_e32 v38, v57, v49, vcc
	v_cmp_gt_i32_e32 vcc, s29, v39
	v_ashrrev_i32_e32 v39, 31, v38
	v_mfma_f32_16x16x16_f16 v[30:33], v[10:11], v[18:19], v[30:33]
	v_cndmask_b32_e32 v10, v57, v50, vcc
	v_ashrrev_i32_e32 v11, 31, v10
	v_lshl_or_b32 v58, v54, 2, v48
	v_mfma_f32_16x16x16_f16 v[26:29], v[6:7], v[18:19], v[26:29]
	v_lshl_add_u64 v[6:7], v[38:39], 2, s[6:7]
	v_lshl_add_u64 v[38:39], v[10:11], 2, s[6:7]
	v_or_b32_e32 v57, 1, v58
	v_mfma_f32_16x16x16_f16 v[2:5], v[4:5], v[20:21], v[22:25]
	s_nop 2
	global_load_dword v22, v[6:7], off
	global_load_dword v61, v[38:39], off
	v_subrev_u32_e32 v59, s29, v57
	v_cvt_f32_i32_e32 v60, v59
	v_mfma_f32_16x16x16_f16 v[34:37], v[36:37], v[40:41], v[66:69]
	v_pk_mul_f32 v[48:49], s[10:11], v[4:5] op_sel_hi:[0,1]
	v_lshl_or_b32 v46, v45, 9, v43
	v_lshl_add_u64 v[46:47], s[4:5], 0, v[46:47]
	s_waitcnt vmcnt(4)
	v_mfma_f32_16x16x16_f16 v[34:37], v[14:15], v[18:19], v[34:37]
	v_add_u32_e32 v14, 1, v59
	v_add_u32_e32 v15, 2, v59
	v_cvt_f32_i32_e32 v23, v14
	v_cvt_f32_i32_e32 v24, v15
	v_mfma_f32_16x16x16_f16 v[14:17], v[16:17], v[20:21], v[34:37]
	v_add_u32_e32 v18, 3, v59
	v_cvt_f32_i32_e32 v18, v18
	v_pk_mul_f32 v[50:51], s[10:11], v[2:3] op_sel_hi:[0,1]
	v_mfma_f32_16x16x16_f16 v[10:13], v[12:13], v[20:21], v[30:33]
	v_cmp_gt_i32_e64 s[34:35], s29, v57
	s_nop 1
	v_pk_mul_f32 v[36:37], s[10:11], v[14:15] op_sel_hi:[0,1]
	v_add_u32_e32 v15, 19, v59
	v_add_u32_e32 v31, 18, v59
	v_cvt_f32_i32_e32 v14, v31
	v_cvt_f32_i32_e32 v15, v15
	v_mfma_f32_16x16x16_f16 v[6:9], v[8:9], v[20:21], v[26:29]
	v_pk_mul_f32 v[34:35], s[10:11], v[16:17] op_sel_hi:[0,1]
	v_fma_f32 v48, v56, v14, v48
	v_add_u32_e32 v14, 32, v59
	v_fmac_f32_e32 v49, v56, v15
	v_cvt_f32_i32_e32 v14, v14
	v_add_u32_e32 v15, 33, v59
	v_add_u32_e32 v16, 34, v59
	v_cvt_f32_i32_e32 v15, v15
	v_cvt_f32_i32_e32 v16, v16
	v_add_u32_e32 v17, 35, v59
	v_cvt_f32_i32_e32 v17, v17
	v_pk_mul_f32 v[40:41], s[10:11], v[6:7] op_sel_hi:[0,1]
	v_pk_mul_f32 v[38:39], s[10:11], v[8:9] op_sel_hi:[0,1]
	v_fma_f32 v40, v56, v14, v40
	v_add_u32_e32 v14, 48, v59
	v_fmac_f32_e32 v41, v56, v15
	v_fma_f32 v38, v56, v16, v38
	v_cvt_f32_i32_e32 v14, v14
	v_add_u32_e32 v15, 49, v59
	v_add_u32_e32 v16, 50, v59
	v_fmac_f32_e32 v39, v56, v17
	v_cvt_f32_i32_e32 v15, v15
	v_cvt_f32_i32_e32 v16, v16
	v_add_u32_e32 v17, 51, v59
	v_cvt_f32_i32_e32 v17, v17
	v_pk_mul_f32 v[52:53], s[10:11], v[12:13] op_sel_hi:[0,1]
	v_pk_mul_f32 v[10:11], s[10:11], v[10:11] op_sel_hi:[0,1]
	s_waitcnt vmcnt(3)
	v_mad_i64_i32 v[2:3], s[4:5], v70, s45, 0
	s_waitcnt vmcnt(2)
	v_mad_i64_i32 v[12:13], s[4:5], v71, s45, 0
	v_fma_f32 v10, v56, v60, v10
	v_fmac_f32_e32 v11, v56, v23
	v_fma_f32 v36, v56, v14, v36
	v_mov_b32_e32 v14, 0xff7fffff
	v_cmp_gt_i32_e64 s[4:5], s29, v58
	v_add_u32_e32 v19, 16, v59
	v_add_u32_e32 v30, 17, v59
	v_fmac_f32_e32 v37, v56, v15
	v_fma_f32 v34, v56, v16, v34
	v_cndmask_b32_e64 v15, v14, v10, s[4:5]
	v_cndmask_b32_e64 v16, v14, v11, s[34:35]
	v_cvt_f32_i32_e32 v19, v19
	v_cvt_f32_i32_e32 v25, v30
	v_fmac_f32_e32 v35, v56, v17
	v_max3_f32 v15, v15, s33, v16
	v_or_b32_e32 v16, 2, v58
	v_or_b32_e32 v17, 3, v58
	v_fma_f32 v52, v56, v24, v52
	v_fmac_f32_e32 v53, v56, v18
	v_cmp_gt_i32_e64 s[36:37], s29, v16
	v_cmp_gt_i32_e64 s[38:39], s29, v17
	v_fma_f32 v50, v56, v19, v50
	v_cndmask_b32_e64 v16, v14, v52, s[36:37]
	v_cndmask_b32_e64 v17, v14, v53, s[38:39]
	v_max3_f32 v15, v15, v16, v17
	v_or_b32_e32 v16, 16, v58
	v_or_b32_e32 v17, 17, v58
	v_fmac_f32_e32 v51, v56, v25
	v_cmp_gt_i32_e64 s[24:25], s29, v16
	v_cmp_gt_i32_e64 s[26:27], s29, v17
	v_lshl_add_u64 v[2:3], v[2:3], 1, v[46:47]
	v_cndmask_b32_e64 v16, v14, v50, s[24:25]
	v_cndmask_b32_e64 v17, v14, v51, s[26:27]
	v_max3_f32 v15, v15, v16, v17
	v_or_b32_e32 v16, 18, v58
	v_or_b32_e32 v17, 19, v58
	v_cmp_gt_i32_e64 s[20:21], s29, v16
	v_cmp_gt_i32_e64 s[22:23], s29, v17
	v_lshl_add_u64 v[12:13], v[12:13], 1, v[46:47]
	v_cndmask_b32_e64 v16, v14, v48, s[20:21]
	v_cndmask_b32_e64 v17, v14, v49, s[22:23]
	v_max3_f32 v15, v15, v16, v17
	v_or_b32_e32 v16, 32, v58
	v_or_b32_e32 v17, 33, v58
	v_cmp_gt_i32_e64 s[16:17], s29, v16
	v_cmp_gt_i32_e64 s[18:19], s29, v17
	global_load_dwordx4 v[6:9], v[2:3], off
	s_nop 0
	global_load_dwordx4 v[2:5], v[2:3], off offset:16
	v_cndmask_b32_e64 v16, v14, v40, s[16:17]
	v_cndmask_b32_e64 v17, v14, v41, s[18:19]
	v_max3_f32 v15, v15, v16, v17
	v_or_b32_e32 v16, 34, v58
	v_or_b32_e32 v17, 35, v58
	v_cmp_gt_i32_e64 s[12:13], s29, v16
	v_cmp_gt_i32_e64 s[14:15], s29, v17
	global_load_dwordx4 v[30:33], v[12:13], off
	global_load_dwordx4 v[26:29], v[12:13], off offset:16
	v_cndmask_b32_e64 v16, v14, v38, s[12:13]
	v_cndmask_b32_e64 v17, v14, v39, s[14:15]
	v_max3_f32 v15, v15, v16, v17
	v_or_b32_e32 v16, 48, v58
	v_or_b32_e32 v17, 49, v58
	v_cmp_gt_i32_e64 s[8:9], s29, v16
	v_cmp_gt_i32_e64 s[10:11], s29, v17
	s_nop 0
	v_cndmask_b32_e64 v16, v14, v36, s[8:9]
	v_cndmask_b32_e64 v17, v14, v37, s[10:11]
	v_max3_f32 v15, v15, v16, v17
	v_or_b32_e32 v16, 50, v58
	v_or_b32_e32 v17, 51, v58
	v_cmp_gt_i32_e32 vcc, s29, v16
	v_cmp_gt_i32_e64 s[6:7], s29, v17
	s_nop 0
	v_cndmask_b32_e32 v16, v14, v34, vcc
	v_cndmask_b32_e64 v14, v14, v35, s[6:7]
	v_max3_f32 v14, v15, v16, v14
	v_mbcnt_lo_u32_b32 v15, -1, 0
	v_mbcnt_hi_u32_b32 v15, -1, v15
	v_and_b32_e32 v16, 64, v15
	v_add_u32_e32 v16, 64, v16
	v_xor_b32_e32 v17, 32, v15
	v_cmp_lt_i32_e64 s[40:41], v17, v16
	s_nop 1
	v_cndmask_b32_e64 v17, v15, v17, s[40:41]
	v_lshlrev_b32_e32 v57, 2, v17
	ds_bpermute_b32 v17, v57, v14
	s_waitcnt vmcnt(5)
	v_mad_i64_i32 v[12:13], s[40:41], v22, s45, 0
	v_lshl_add_u64 v[12:13], v[12:13], 1, v[46:47]
	global_load_dwordx4 v[22:25], v[12:13], off
	global_load_dwordx4 v[18:21], v[12:13], off offset:16
	s_waitcnt lgkmcnt(0)
	v_max_f32_e32 v17, v17, v17
	v_max_f32_e32 v14, v14, v17
	v_xor_b32_e32 v17, 16, v15
	v_cmp_lt_i32_e64 s[40:41], v17, v16
	s_nop 1
	v_cndmask_b32_e64 v15, v15, v17, s[40:41]
	v_lshlrev_b32_e32 v59, 2, v15
	ds_bpermute_b32 v15, v59, v14
	s_waitcnt vmcnt(6)
	v_mad_i64_i32 v[12:13], s[40:41], v61, s45, 0
	v_lshl_add_u64 v[12:13], v[12:13], 1, v[46:47]
	s_waitcnt lgkmcnt(0)
	v_max_f32_e32 v15, v15, v15
	v_max_f32_e32 v56, v14, v15
	v_sub_f32_e32 v10, v10, v56
	v_mul_f32_e32 v10, 0x3fb8aa3b, v10
	v_exp_f32_e32 v46, v10
	v_sub_f32_e32 v10, v11, v56
	v_mul_f32_e32 v10, 0x3fb8aa3b, v10
	v_exp_f32_e32 v47, v10
	global_load_dwordx4 v[14:17], v[12:13], off
	s_nop 0
	global_load_dwordx4 v[10:13], v[12:13], off offset:16
	v_sub_f32_e32 v52, v52, v56
	v_mul_f32_e32 v52, 0x3fb8aa3b, v52
	v_sub_f32_e32 v53, v53, v56
	v_exp_f32_e32 v52, v52
	v_mul_f32_e32 v53, 0x3fb8aa3b, v53
	v_sub_f32_e32 v50, v50, v56
	v_exp_f32_e32 v53, v53
	v_mul_f32_e32 v50, 0x3fb8aa3b, v50
	v_sub_f32_e32 v51, v51, v56
	v_cndmask_b32_e64 v46, 0, v46, s[4:5]
	v_exp_f32_e32 v50, v50
	v_mul_f32_e32 v51, 0x3fb8aa3b, v51
	v_sub_f32_e32 v48, v48, v56
	v_add_f32_e32 v58, 0, v46
	v_cndmask_b32_e64 v47, 0, v47, s[34:35]
	v_exp_f32_e32 v51, v51
	v_mul_f32_e32 v48, 0x3fb8aa3b, v48
	v_sub_f32_e32 v49, v49, v56
	v_add_f32_e32 v58, v58, v47
	;; [unrolled: 5-line block ×10, first 2 shown]
	v_cndmask_b32_e64 v38, 0, v38, s[12:13]
	v_exp_f32_e32 v34, v34
	v_mul_f32_e32 v35, 0x3fb8aa3b, v35
	v_add_f32_e32 v58, v58, v38
	v_cndmask_b32_e64 v39, 0, v39, s[14:15]
	v_exp_f32_e32 v35, v35
	v_add_f32_e32 v58, v58, v39
	v_cndmask_b32_e64 v36, 0, v36, s[8:9]
	v_add_f32_e32 v58, v58, v36
	v_cndmask_b32_e64 v37, 0, v37, s[10:11]
	v_add_f32_e32 v58, v58, v37
	v_cndmask_b32_e32 v34, 0, v34, vcc
	v_add_f32_e32 v58, v58, v34
	v_cndmask_b32_e64 v35, 0, v35, s[6:7]
	v_add_f32_e32 v58, v58, v35
	ds_bpermute_b32 v57, v57, v58
	s_load_dword s7, s[0:1], 0x98
	v_cmp_gt_u32_e32 vcc, 16, v55
	s_waitcnt lgkmcnt(0)
	s_barrier
	v_add_f32_e32 v58, v58, v57
	ds_bpermute_b32 v59, v59, v58
	v_lshlrev_b32_e32 v57, 2, v44
	s_waitcnt lgkmcnt(0)
	s_and_saveexec_b64 s[4:5], vcc
	s_cbranch_execz .LBB61_15
; %bb.14:
	v_add_f32_e32 v55, v58, v59
	v_lshl_or_b32 v58, v45, 6, v57
	ds_write2st64_b32 v58, v56, v55 offset1:1
.LBB61_15:
	s_or_b64 exec, exec, s[4:5]
	s_load_dword s6, s[0:1], 0x94
	s_waitcnt lgkmcnt(0)
	s_barrier
	ds_read2_b32 v[58:59], v57 offset1:16
	ds_read2_b32 v[60:61], v57 offset0:32 offset1:48
	ds_read2_b32 v[62:63], v57 offset0:64 offset1:80
	s_mul_i32 s7, s7, 6
	s_waitcnt lgkmcnt(2)
	v_max3_f32 v55, v58, s33, v59
	s_waitcnt lgkmcnt(1)
	v_max3_f32 v55, v55, v60, v61
	v_sub_f32_e32 v56, v58, v55
	v_mul_f32_e32 v56, 0x3fb8aa3b, v56
	v_exp_f32_e32 v64, v56
	v_sub_f32_e32 v56, v59, v55
	v_mul_f32_e32 v56, 0x3fb8aa3b, v56
	v_exp_f32_e32 v65, v56
	;; [unrolled: 3-line block ×3, first 2 shown]
	ds_read2_b32 v[58:59], v57 offset0:96 offset1:112
	v_sub_f32_e32 v56, v61, v55
	v_mul_f32_e32 v56, 0x3fb8aa3b, v56
	v_exp_f32_e32 v57, v56
	s_waitcnt lgkmcnt(1)
	v_fma_f32 v56, v64, v62, 0
	v_fmac_f32_e32 v56, v65, v63
	s_waitcnt lgkmcnt(0)
	v_fmac_f32_e32 v56, v60, v58
	v_fmac_f32_e32 v56, v57, v59
	v_add_f32_e32 v58, 0x358637bd, v56
	v_div_scale_f32 v59, s[4:5], v58, v58, 1.0
	v_rcp_f32_e32 v61, v59
	s_barrier
	v_fma_f32 v62, -v59, v61, 1.0
	v_fmac_f32_e32 v61, v62, v61
	v_div_scale_f32 v62, vcc, 1.0, v58, 1.0
	v_mul_f32_e32 v63, v62, v61
	v_fma_f32 v66, -v59, v63, v62
	v_fmac_f32_e32 v63, v66, v61
	v_fma_f32 v59, -v59, v63, v62
	v_div_fmas_f32 v59, v59, v61, v63
	v_cmp_eq_u32_e32 vcc, 1, v45
	v_div_fixup_f32 v58, v59, v58, 1.0
	s_nop 0
	v_cndmask_b32_e32 v59, v64, v65, vcc
	v_cmp_eq_u32_e32 vcc, 2, v45
	s_nop 1
	v_cndmask_b32_e32 v59, v59, v60, vcc
	v_cmp_eq_u32_e32 vcc, 3, v45
	v_lshlrev_b32_e32 v45, 11, v45
	s_nop 0
	v_cndmask_b32_e32 v57, v59, v57, vcc
	v_mul_f32_e32 v58, v57, v58
	v_pk_mul_f32 v[46:47], v[58:59], v[46:47] op_sel_hi:[0,1]
	v_cvt_f16_f32_e32 v46, v46
	v_cvt_f16_f32_e32 v47, v47
	v_pk_mul_f32 v[52:53], v[58:59], v[52:53] op_sel_hi:[0,1]
	v_cvt_f16_f32_e32 v57, v52
	v_cvt_f16_f32_e32 v53, v53
	v_pack_b32_f16 v52, v46, v47
	v_pk_mul_f32 v[46:47], v[58:59], v[48:49] op_sel_hi:[0,1]
	v_pk_mul_f32 v[48:49], v[58:59], v[50:51] op_sel_hi:[0,1]
	v_cvt_f16_f32_e32 v48, v48
	v_cvt_f16_f32_e32 v49, v49
	;; [unrolled: 1-line block ×4, first 2 shown]
	v_pack_b32_f16 v53, v57, v53
	v_lshlrev_b32_e32 v57, 3, v54
	v_pk_mul_f32 v[38:39], v[58:59], v[38:39] op_sel_hi:[0,1]
	v_pk_mul_f32 v[40:41], v[58:59], v[40:41] op_sel_hi:[0,1]
	;; [unrolled: 1-line block ×4, first 2 shown]
	v_or3_b32 v46, v45, v43, v57
	v_pack_b32_f16 v48, v48, v49
	v_pack_b32_f16 v49, v50, v47
	v_cvt_f16_f32_e32 v40, v40
	v_cvt_f16_f32_e32 v41, v41
	;; [unrolled: 1-line block ×8, first 2 shown]
	v_pack_b32_f16 v34, v40, v41
	v_pack_b32_f16 v35, v38, v39
	;; [unrolled: 1-line block ×4, first 2 shown]
	v_cmp_gt_u32_e32 vcc, 6, v0
	ds_write2st64_b64 v46, v[52:53], v[48:49] offset1:1
	ds_write2st64_b64 v46, v[34:35], v[36:37] offset0:2 offset1:3
	s_and_saveexec_b64 s[4:5], vcc
	s_cbranch_execz .LBB61_17
; %bb.16:
	s_mov_b32 s43, 0
	v_mov_b32_e32 v45, 0
	v_lshl_add_u64 v[34:35], s[42:43], 0, v[44:45]
	v_mov_b32_e32 v36, s7
	v_mad_u64_u32 v[34:35], s[12:13], s2, v36, v[34:35]
	s_mul_i32 s3, s3, s7
	v_mov_b32_e32 v44, s28
	s_load_dwordx4 s[8:11], s[0:1], 0x58
	v_add_u32_e32 v37, s3, v35
	v_mad_u64_u32 v[34:35], s[12:13], v34, s6, v[44:45]
	v_mov_b32_e32 v36, v35
	v_mad_u64_u32 v[36:37], s[12:13], v37, s6, v[36:37]
	v_mov_b32_e32 v35, v36
	v_lshlrev_b64 v[34:35], 2, v[34:35]
	s_waitcnt lgkmcnt(0)
	v_lshl_add_u64 v[36:37], s[10:11], 0, v[34:35]
	v_lshl_add_u64 v[34:35], s[8:9], 0, v[34:35]
	global_store_dword v[36:37], v55, off
	global_store_dword v[34:35], v56, off
.LBB61_17:
	s_or_b64 exec, exec, s[4:5]
	v_lshl_or_b32 v43, v54, 9, v43
	s_waitcnt lgkmcnt(0)
	s_barrier
	ds_read_b128 v[34:37], v43
	ds_read_b128 v[38:41], v43 offset:16
	s_waitcnt vmcnt(7) lgkmcnt(1)
	v_mfma_f32_16x16x16_f16 v[48:51], v[6:7], v[34:35], 0
	v_cmp_gt_u32_e32 vcc, 64, v0
	s_mov_b32 s3, 0
	s_and_b64 s[4:5], vcc, s[30:31]
	v_mfma_f32_16x16x16_f16 v[6:9], v[8:9], v[36:37], v[48:51]
	s_waitcnt vmcnt(6) lgkmcnt(0)
	v_mfma_f32_16x16x16_f16 v[6:9], v[2:3], v[38:39], v[6:9]
	v_mfma_f32_16x16x16_f16 v[2:5], v[4:5], v[40:41], v[6:9]
	s_nop 5
	ds_read_b128 v[6:9], v43 offset:2048
	ds_read_b128 v[34:37], v43 offset:2064
	s_waitcnt vmcnt(5) lgkmcnt(1)
	v_mfma_f32_16x16x16_f16 v[2:5], v[30:31], v[6:7], v[2:5]
	v_mfma_f32_16x16x16_f16 v[2:5], v[32:33], v[8:9], v[2:5]
	s_waitcnt vmcnt(4) lgkmcnt(0)
	v_mfma_f32_16x16x16_f16 v[2:5], v[26:27], v[34:35], v[2:5]
	v_mfma_f32_16x16x16_f16 v[2:5], v[28:29], v[36:37], v[2:5]
	ds_read_b128 v[6:9], v43 offset:4096
	ds_read_b128 v[26:29], v43 offset:4112
	s_waitcnt vmcnt(3) lgkmcnt(1)
	v_mfma_f32_16x16x16_f16 v[2:5], v[22:23], v[6:7], v[2:5]
	v_mfma_f32_16x16x16_f16 v[2:5], v[24:25], v[8:9], v[2:5]
	s_waitcnt vmcnt(2) lgkmcnt(0)
	v_mfma_f32_16x16x16_f16 v[2:5], v[18:19], v[26:27], v[2:5]
	v_mfma_f32_16x16x16_f16 v[2:5], v[20:21], v[28:29], v[2:5]
	ds_read_b128 v[6:9], v43 offset:6144
	ds_read_b128 v[18:21], v43 offset:6160
	v_mov_b32_e32 v43, 0
	s_waitcnt vmcnt(1) lgkmcnt(0)
	v_mfma_f32_16x16x16_f16 v[2:5], v[14:15], v[6:7], v[2:5]
	s_barrier
	v_mfma_f32_16x16x16_f16 v[2:5], v[16:17], v[8:9], v[2:5]
	s_waitcnt vmcnt(0)
	v_mfma_f32_16x16x16_f16 v[2:5], v[10:11], v[18:19], v[2:5]
	v_mfma_f32_16x16x16_f16 v[2:5], v[12:13], v[20:21], v[2:5]
	s_nop 6
	v_cvt_f16_f32_e32 v2, v2
	v_cvt_f16_f32_e32 v3, v3
	;; [unrolled: 1-line block ×4, first 2 shown]
	v_pack_b32_f16 v2, v2, v3
	v_pack_b32_f16 v3, v4, v5
	ds_write_b64 v46, v[2:3]
	s_waitcnt lgkmcnt(0)
	s_barrier
	s_and_saveexec_b64 s[8:9], s[4:5]
	s_cbranch_execz .LBB61_20
; %bb.18:
	s_load_dwordx2 s[4:5], s[0:1], 0x68
	s_lshl_b32 s0, s6, 6
	s_mul_i32 s1, s7, s2
	s_mul_hi_u32 s7, s1, s0
	s_mul_i32 s6, s1, s0
	v_lshlrev_b32_e32 v0, 10, v0
	s_lshl_b64 s[6:7], s[6:7], 1
	v_and_b32_e32 v0, 0x1800, v0
	v_lshlrev_b32_e32 v3, 5, v54
	v_and_b32_e32 v1, 16, v1
	s_waitcnt lgkmcnt(0)
	s_add_u32 s1, s4, s6
	v_or3_b32 v3, v0, v3, v1
	s_addc_u32 s4, s5, s7
	s_lshl_b32 s2, s28, 6
	s_lshl_b64 s[2:3], s[2:3], 1
	ds_read_b128 v[4:7], v3
	s_add_u32 s2, s1, s2
	s_addc_u32 s3, s4, s3
	v_add_u32_e32 v8, s42, v54
	v_or_b32_e32 v2, 4, v54
	v_lshl_add_u64 v[0:1], s[2:3], 0, v[42:43]
	v_mad_u64_u32 v[8:9], s[2:3], v8, s0, 0
	v_lshl_add_u64 v[8:9], v[8:9], 1, v[0:1]
	v_cmp_gt_u32_e32 vcc, 6, v2
	s_waitcnt lgkmcnt(0)
	global_store_dwordx4 v[8:9], v[4:7], off
	s_and_b64 exec, exec, vcc
	s_cbranch_execz .LBB61_20
; %bb.19:
	ds_read_b128 v[4:7], v3 offset:128
	v_add_u32_e32 v2, s42, v2
	v_mad_u64_u32 v[2:3], s[0:1], v2, s0, 0
	v_lshl_add_u64 v[0:1], v[2:3], 1, v[0:1]
	s_waitcnt lgkmcnt(0)
	global_store_dwordx4 v[0:1], v[4:7], off
.LBB61_20:
	s_endpgm
	.section	.rodata,"a",@progbits
	.p2align	6, 0x0
	.amdhsa_kernel _Z39paged_attention_ll4mi_QKV_mfma16_kernelIDF16_DF16_LN4vllm18Fp8KVCacheDataTypeE0EDF16_Li16ELi64ELi256ELb1ELi6EEvPKT_PKT0_S7_ifPKiS9_S9_iPKfiiiPfSC_PS2_PT2_iSB_SB_
		.amdhsa_group_segment_fixed_size 8192
		.amdhsa_private_segment_fixed_size 0
		.amdhsa_kernarg_size 400
		.amdhsa_user_sgpr_count 2
		.amdhsa_user_sgpr_dispatch_ptr 0
		.amdhsa_user_sgpr_queue_ptr 0
		.amdhsa_user_sgpr_kernarg_segment_ptr 1
		.amdhsa_user_sgpr_dispatch_id 0
		.amdhsa_user_sgpr_kernarg_preload_length 0
		.amdhsa_user_sgpr_kernarg_preload_offset 0
		.amdhsa_user_sgpr_private_segment_size 0
		.amdhsa_uses_dynamic_stack 0
		.amdhsa_enable_private_segment 0
		.amdhsa_system_sgpr_workgroup_id_x 1
		.amdhsa_system_sgpr_workgroup_id_y 1
		.amdhsa_system_sgpr_workgroup_id_z 1
		.amdhsa_system_sgpr_workgroup_info 0
		.amdhsa_system_vgpr_workitem_id 0
		.amdhsa_next_free_vgpr 72
		.amdhsa_next_free_sgpr 48
		.amdhsa_accum_offset 72
		.amdhsa_reserve_vcc 1
		.amdhsa_float_round_mode_32 0
		.amdhsa_float_round_mode_16_64 0
		.amdhsa_float_denorm_mode_32 3
		.amdhsa_float_denorm_mode_16_64 3
		.amdhsa_dx10_clamp 1
		.amdhsa_ieee_mode 1
		.amdhsa_fp16_overflow 0
		.amdhsa_tg_split 0
		.amdhsa_exception_fp_ieee_invalid_op 0
		.amdhsa_exception_fp_denorm_src 0
		.amdhsa_exception_fp_ieee_div_zero 0
		.amdhsa_exception_fp_ieee_overflow 0
		.amdhsa_exception_fp_ieee_underflow 0
		.amdhsa_exception_fp_ieee_inexact 0
		.amdhsa_exception_int_div_zero 0
	.end_amdhsa_kernel
	.section	.text._Z39paged_attention_ll4mi_QKV_mfma16_kernelIDF16_DF16_LN4vllm18Fp8KVCacheDataTypeE0EDF16_Li16ELi64ELi256ELb1ELi6EEvPKT_PKT0_S7_ifPKiS9_S9_iPKfiiiPfSC_PS2_PT2_iSB_SB_,"axG",@progbits,_Z39paged_attention_ll4mi_QKV_mfma16_kernelIDF16_DF16_LN4vllm18Fp8KVCacheDataTypeE0EDF16_Li16ELi64ELi256ELb1ELi6EEvPKT_PKT0_S7_ifPKiS9_S9_iPKfiiiPfSC_PS2_PT2_iSB_SB_,comdat
.Lfunc_end61:
	.size	_Z39paged_attention_ll4mi_QKV_mfma16_kernelIDF16_DF16_LN4vllm18Fp8KVCacheDataTypeE0EDF16_Li16ELi64ELi256ELb1ELi6EEvPKT_PKT0_S7_ifPKiS9_S9_iPKfiiiPfSC_PS2_PT2_iSB_SB_, .Lfunc_end61-_Z39paged_attention_ll4mi_QKV_mfma16_kernelIDF16_DF16_LN4vllm18Fp8KVCacheDataTypeE0EDF16_Li16ELi64ELi256ELb1ELi6EEvPKT_PKT0_S7_ifPKiS9_S9_iPKfiiiPfSC_PS2_PT2_iSB_SB_
                                        ; -- End function
	.section	.AMDGPU.csdata,"",@progbits
; Kernel info:
; codeLenInByte = 4064
; NumSgprs: 54
; NumVgprs: 72
; NumAgprs: 0
; TotalNumVgprs: 72
; ScratchSize: 0
; MemoryBound: 0
; FloatMode: 240
; IeeeMode: 1
; LDSByteSize: 8192 bytes/workgroup (compile time only)
; SGPRBlocks: 6
; VGPRBlocks: 8
; NumSGPRsForWavesPerEU: 54
; NumVGPRsForWavesPerEU: 72
; AccumOffset: 72
; Occupancy: 7
; WaveLimiterHint : 1
; COMPUTE_PGM_RSRC2:SCRATCH_EN: 0
; COMPUTE_PGM_RSRC2:USER_SGPR: 2
; COMPUTE_PGM_RSRC2:TRAP_HANDLER: 0
; COMPUTE_PGM_RSRC2:TGID_X_EN: 1
; COMPUTE_PGM_RSRC2:TGID_Y_EN: 1
; COMPUTE_PGM_RSRC2:TGID_Z_EN: 1
; COMPUTE_PGM_RSRC2:TIDIG_COMP_CNT: 0
; COMPUTE_PGM_RSRC3_GFX90A:ACCUM_OFFSET: 17
; COMPUTE_PGM_RSRC3_GFX90A:TG_SPLIT: 0
	.section	.text._Z39paged_attention_ll4mi_QKV_mfma16_kernelIDF16_DF16_LN4vllm18Fp8KVCacheDataTypeE0EDF16_Li16ELi64ELi256ELb1ELi7EEvPKT_PKT0_S7_ifPKiS9_S9_iPKfiiiPfSC_PS2_PT2_iSB_SB_,"axG",@progbits,_Z39paged_attention_ll4mi_QKV_mfma16_kernelIDF16_DF16_LN4vllm18Fp8KVCacheDataTypeE0EDF16_Li16ELi64ELi256ELb1ELi7EEvPKT_PKT0_S7_ifPKiS9_S9_iPKfiiiPfSC_PS2_PT2_iSB_SB_,comdat
	.protected	_Z39paged_attention_ll4mi_QKV_mfma16_kernelIDF16_DF16_LN4vllm18Fp8KVCacheDataTypeE0EDF16_Li16ELi64ELi256ELb1ELi7EEvPKT_PKT0_S7_ifPKiS9_S9_iPKfiiiPfSC_PS2_PT2_iSB_SB_ ; -- Begin function _Z39paged_attention_ll4mi_QKV_mfma16_kernelIDF16_DF16_LN4vllm18Fp8KVCacheDataTypeE0EDF16_Li16ELi64ELi256ELb1ELi7EEvPKT_PKT0_S7_ifPKiS9_S9_iPKfiiiPfSC_PS2_PT2_iSB_SB_
	.globl	_Z39paged_attention_ll4mi_QKV_mfma16_kernelIDF16_DF16_LN4vllm18Fp8KVCacheDataTypeE0EDF16_Li16ELi64ELi256ELb1ELi7EEvPKT_PKT0_S7_ifPKiS9_S9_iPKfiiiPfSC_PS2_PT2_iSB_SB_
	.p2align	8
	.type	_Z39paged_attention_ll4mi_QKV_mfma16_kernelIDF16_DF16_LN4vllm18Fp8KVCacheDataTypeE0EDF16_Li16ELi64ELi256ELb1ELi7EEvPKT_PKT0_S7_ifPKiS9_S9_iPKfiiiPfSC_PS2_PT2_iSB_SB_,@function
_Z39paged_attention_ll4mi_QKV_mfma16_kernelIDF16_DF16_LN4vllm18Fp8KVCacheDataTypeE0EDF16_Li16ELi64ELi256ELb1ELi7EEvPKT_PKT0_S7_ifPKiS9_S9_iPKfiiiPfSC_PS2_PT2_iSB_SB_: ; @_Z39paged_attention_ll4mi_QKV_mfma16_kernelIDF16_DF16_LN4vllm18Fp8KVCacheDataTypeE0EDF16_Li16ELi64ELi256ELb1ELi7EEvPKT_PKT0_S7_ifPKiS9_S9_iPKfiiiPfSC_PS2_PT2_iSB_SB_
; %bb.0:
	s_load_dwordx2 s[8:9], s[0:1], 0x30
	s_mov_b32 s28, s3
	s_mov_b64 s[6:7], 0
	s_waitcnt lgkmcnt(0)
	s_cmp_lg_u64 s[8:9], 0
	s_cselect_b64 s[10:11], -1, 0
	s_and_b64 vcc, exec, s[10:11]
	s_cbranch_vccz .LBB62_7
; %bb.1:
	s_add_i32 s12, s2, 1
	s_mov_b32 s13, 0
	s_lshl_b64 s[14:15], s[12:13], 2
	s_add_u32 s14, s8, s14
	s_mov_b32 s3, s13
	s_addc_u32 s15, s9, s15
	s_lshl_b64 s[12:13], s[2:3], 2
	s_add_u32 s12, s8, s12
	s_addc_u32 s13, s9, s13
	s_load_dword s5, s[14:15], 0x0
	s_load_dword s16, s[12:13], 0x0
	s_waitcnt lgkmcnt(0)
	s_sub_i32 s5, s5, s16
	s_cmp_eq_u32 s5, 1
	s_cselect_b64 s[12:13], -1, 0
	s_andn2_b64 vcc, exec, s[6:7]
	s_cbranch_vccnz .LBB62_3
.LBB62_2:
	s_mov_b32 s3, 0
	s_mov_b64 s[12:13], -1
.LBB62_3:
	s_andn2_b64 vcc, exec, s[12:13]
	s_cbranch_vccnz .LBB62_20
; %bb.4:
	s_load_dwordx2 s[6:7], s[0:1], 0x28
	s_lshl_b64 s[14:15], s[2:3], 2
	s_waitcnt lgkmcnt(0)
	s_add_u32 s6, s6, s14
	s_addc_u32 s7, s7, s15
	s_load_dword s29, s[6:7], 0x0
	s_lshl_b32 s16, s28, 8
	s_waitcnt lgkmcnt(0)
	s_cmp_ge_i32 s16, s29
	s_cbranch_scc1 .LBB62_20
; %bb.5:
	s_load_dwordx2 s[6:7], s[0:1], 0x20
	s_load_dword s5, s[0:1], 0x38
	s_add_i32 s12, s29, 15
	s_ashr_i32 s13, s12, 31
	v_and_b32_e32 v1, 0xcf, v0
	s_lshr_b32 s13, s13, 28
	v_add_u32_e32 v1, s16, v1
	s_add_i32 s12, s12, s13
	v_ashrrev_i32_e32 v2, 31, v1
	s_ashr_i32 s17, s12, 4
	v_lshrrev_b32_e32 v6, 28, v2
	s_add_i32 s17, s17, -1
	s_waitcnt lgkmcnt(0)
	s_mul_i32 s12, s2, s5
	s_mov_b32 s13, 0
	v_add_u32_e32 v2, v1, v6
	s_lshl_b64 s[12:13], s[12:13], 2
	v_ashrrev_i32_e32 v2, 4, v2
	v_mov_b32_e32 v7, s17
	v_cmp_gt_i32_e32 vcc, s29, v1
	s_add_u32 s6, s6, s12
	s_addc_u32 s7, s7, s13
	v_cndmask_b32_e32 v2, v7, v2, vcc
	v_ashrrev_i32_e32 v3, 31, v2
	v_lshl_add_u64 v[4:5], v[2:3], 2, s[6:7]
	v_or_b32_e32 v2, 16, v1
	v_add_u32_e32 v3, v2, v6
	v_ashrrev_i32_e32 v3, 4, v3
	v_cmp_gt_i32_e32 vcc, s29, v2
	s_load_dwordx2 s[12:13], s[0:1], 0x8
	s_nop 0
	v_cndmask_b32_e32 v2, v7, v3, vcc
	v_ashrrev_i32_e32 v3, 31, v2
	v_lshl_add_u64 v[8:9], v[2:3], 2, s[6:7]
	v_or_b32_e32 v2, 32, v1
	v_add_u32_e32 v3, v2, v6
	v_ashrrev_i32_e32 v3, 4, v3
	v_cmp_gt_i32_e32 vcc, s29, v2
	v_or_b32_e32 v1, 48, v1
	s_nop 0
	v_cndmask_b32_e32 v2, v7, v3, vcc
	v_ashrrev_i32_e32 v3, 31, v2
	v_lshl_add_u64 v[10:11], v[2:3], 2, s[6:7]
	v_add_u32_e32 v2, v1, v6
	v_ashrrev_i32_e32 v2, 4, v2
	v_cmp_gt_i32_e32 vcc, s29, v1
	s_nop 1
	v_cndmask_b32_e32 v2, v7, v2, vcc
	v_ashrrev_i32_e32 v3, 31, v2
	v_lshl_add_u64 v[12:13], v[2:3], 2, s[6:7]
	global_load_dword v3, v[4:5], off
	global_load_dword v2, v[8:9], off
	;; [unrolled: 1-line block ×4, first 2 shown]
	s_andn2_b64 vcc, exec, s[10:11]
	s_cbranch_vccnz .LBB62_8
; %bb.6:
	s_add_u32 s8, s8, s14
	s_addc_u32 s9, s9, s15
	s_load_dword s5, s[8:9], 0x0
	s_branch .LBB62_9
.LBB62_7:
	s_mov_b64 s[12:13], 0
	s_branch .LBB62_2
.LBB62_8:
	s_mov_b32 s5, s2
.LBB62_9:
	s_load_dwordx2 s[8:9], s[0:1], 0x10
	s_load_dwordx4 s[44:47], s[0:1], 0x48
	v_lshrrev_b32_e32 v45, 6, v0
	v_bfe_u32 v54, v0, 4, 2
	v_lshl_or_b32 v1, v45, 2, v54
	v_and_b32_e32 v44, 15, v0
	v_lshlrev_b32_e32 v4, 3, v44
	v_cmp_gt_u32_e32 vcc, 7, v1
	v_cmp_gt_u32_e64 s[30:31], 8, v44
	s_mul_i32 s42, s4, 7
	s_and_b64 s[14:15], s[30:31], vcc
	v_lshlrev_b32_e32 v42, 1, v4
	s_and_saveexec_b64 s[10:11], s[14:15]
	s_cbranch_execz .LBB62_11
; %bb.10:
	s_load_dwordx2 s[14:15], s[0:1], 0x0
	s_waitcnt lgkmcnt(0)
	s_ashr_i32 s18, s44, 31
	s_mul_hi_u32 s19, s5, s44
	s_mul_i32 s18, s5, s18
	s_add_i32 s19, s19, s18
	s_mul_i32 s18, s5, s44
	s_lshl_b64 s[18:19], s[18:19], 1
	s_add_u32 s14, s14, s18
	v_add_lshl_u32 v4, v1, s42, 6
	s_addc_u32 s15, s15, s19
	v_ashrrev_i32_e32 v5, 31, v4
	v_lshl_add_u64 v[4:5], v[4:5], 1, s[14:15]
	v_mov_b32_e32 v43, 0
	v_lshl_add_u64 v[4:5], v[4:5], 0, v[42:43]
	global_load_dwordx4 v[8:11], v[4:5], off
	v_and_b32_e32 v4, 3, v0
	v_lshlrev_b32_e32 v5, 9, v44
	v_lshlrev_b32_e32 v1, 5, v1
	;; [unrolled: 1-line block ×3, first 2 shown]
	v_and_b32_e32 v5, 0x1800, v5
	v_or3_b32 v1, v5, v4, v1
	s_waitcnt vmcnt(0)
	ds_write_b128 v1, v[8:11]
.LBB62_11:
	s_or_b64 exec, exec, s[10:11]
	s_waitcnt lgkmcnt(0)
	s_mul_i32 s4, s4, s46
	s_mov_b32 s5, 0
	s_lshl_b64 s[4:5], s[4:5], 1
	s_add_u32 s10, s12, s4
	v_lshlrev_b32_e32 v1, 4, v0
	s_addc_u32 s11, s13, s5
	v_and_b32_e32 v46, 0xf0, v1
	v_mov_b32_e32 v47, 0
	v_lshl_add_u64 v[16:17], s[10:11], 0, v[46:47]
	s_waitcnt vmcnt(3)
	v_mad_i64_i32 v[4:5], s[10:11], v3, s45, 0
	s_waitcnt vmcnt(2)
	v_mad_i64_i32 v[2:3], s[10:11], v2, s45, 0
	;; [unrolled: 2-line block ×3, first 2 shown]
	v_lshl_add_u64 v[4:5], v[4:5], 1, v[16:17]
	v_and_b32_e32 v46, 0x300, v1
	v_lshl_add_u64 v[2:3], v[2:3], 1, v[16:17]
	v_lshl_add_u64 v[6:7], v[6:7], 1, v[16:17]
	s_waitcnt vmcnt(0)
	v_mad_i64_i32 v[14:15], s[10:11], v14, s45, 0
	v_lshl_add_u64 v[4:5], v[4:5], 0, v[46:47]
	v_lshl_add_u64 v[8:9], v[2:3], 0, v[46:47]
	v_lshl_add_u64 v[18:19], v[6:7], 0, v[46:47]
	v_lshl_add_u64 v[14:15], v[14:15], 1, v[16:17]
	s_barrier
	global_load_dwordx4 v[30:33], v[4:5], off
	global_load_dwordx4 v[10:13], v[4:5], off offset:1024
	global_load_dwordx4 v[22:25], v[8:9], off
	s_nop 0
	global_load_dwordx4 v[2:5], v[8:9], off offset:1024
	global_load_dwordx4 v[26:29], v[18:19], off
	s_nop 0
	global_load_dwordx4 v[6:9], v[18:19], off offset:1024
	v_lshl_add_u64 v[18:19], v[14:15], 0, v[46:47]
	global_load_dwordx4 v[34:37], v[18:19], off
	global_load_dwordx4 v[14:17], v[18:19], off offset:1024
	v_mul_lo_u16_e32 v18, 37, v44
	v_mov_b32_e32 v19, 7
	v_mul_lo_u16_sdwa v18, v18, v19 dst_sel:DWORD dst_unused:UNUSED_PAD src0_sel:BYTE_1 src1_sel:DWORD
	v_sub_u16_e32 v18, v44, v18
	v_mov_b32_e32 v19, 5
	v_lshlrev_b32_sdwa v18, v19, v18 dst_sel:DWORD dst_unused:UNUSED_PAD src0_sel:DWORD src1_sel:BYTE_0
	v_lshl_add_u32 v18, v54, 9, v18
	ds_read_b128 v[38:41], v18
	ds_read_b128 v[18:21], v18 offset:2048
	v_and_b32_e32 v55, 63, v0
	v_cmp_gt_u32_e32 vcc, 7, v44
	v_mov_b32_e32 v56, 0
	s_and_saveexec_b64 s[10:11], vcc
	s_cbranch_execz .LBB62_13
; %bb.12:
	s_load_dwordx2 s[12:13], s[0:1], 0x40
	v_add_u32_e32 v48, s42, v44
	v_ashrrev_i32_e32 v49, 31, v48
	s_waitcnt lgkmcnt(0)
	v_lshl_add_u64 v[48:49], v[48:49], 2, s[12:13]
	global_load_dword v56, v[48:49], off
.LBB62_13:
	s_or_b64 exec, exec, s[10:11]
	v_and_or_b32 v46, v0, 48, s16
	v_ashrrev_i32_e32 v43, 4, v46
	v_mov_b32_e32 v57, s17
	v_cmp_gt_i32_e32 vcc, s29, v46
	s_waitcnt vmcnt(5) lgkmcnt(1)
	v_mfma_f32_16x16x16_f16 v[58:61], v[22:23], v[38:39], 0
	s_load_dword s10, s[0:1], 0x1c
	v_cndmask_b32_e32 v48, v57, v43, vcc
	v_ashrrev_i32_e32 v49, 31, v48
	v_or_b32_e32 v43, 64, v46
	v_lshl_add_u64 v[52:53], v[48:49], 2, s[6:7]
	v_mfma_f32_16x16x16_f16 v[48:51], v[30:31], v[38:39], 0
	v_ashrrev_i32_e32 v30, 4, v43
	v_cmp_gt_i32_e32 vcc, s29, v43
	global_load_dword v70, v[52:53], off
	s_waitcnt vmcnt(4)
	v_mfma_f32_16x16x16_f16 v[62:65], v[26:27], v[38:39], 0
	v_cndmask_b32_e32 v30, v57, v30, vcc
	v_ashrrev_i32_e32 v31, 31, v30
	v_lshl_add_u64 v[22:23], v[30:31], 2, s[6:7]
	global_load_dword v71, v[22:23], off
	v_mfma_f32_16x16x16_f16 v[22:25], v[24:25], v[40:41], v[58:61]
	v_and_b32_e32 v26, 0xc0, v0
	s_add_u32 s4, s8, s4
	v_lshlrev_b32_e32 v43, 5, v44
	v_mfma_f32_16x16x16_f16 v[30:33], v[32:33], v[40:41], v[48:51]
	s_addc_u32 s5, s9, s5
	s_mov_b32 s33, 0xff7fffff
	s_waitcnt vmcnt(3)
	v_mfma_f32_16x16x16_f16 v[66:69], v[34:35], v[38:39], 0
	v_or_b32_e32 v38, 0x80, v46
	v_add_u32_e32 v48, s16, v26
	v_or_b32_e32 v39, 0xc0, v46
	v_mfma_f32_16x16x16_f16 v[26:29], v[28:29], v[40:41], v[62:65]
	v_ashrrev_i32_e32 v49, 4, v38
	v_cmp_gt_i32_e32 vcc, s29, v38
	v_ashrrev_i32_e32 v50, 4, v39
	s_waitcnt lgkmcnt(0)
	v_mfma_f32_16x16x16_f16 v[22:25], v[2:3], v[18:19], v[22:25]
	v_cndmask_b32_e32 v38, v57, v49, vcc
	v_cmp_gt_i32_e32 vcc, s29, v39
	v_ashrrev_i32_e32 v39, 31, v38
	v_mfma_f32_16x16x16_f16 v[30:33], v[10:11], v[18:19], v[30:33]
	v_cndmask_b32_e32 v10, v57, v50, vcc
	v_ashrrev_i32_e32 v11, 31, v10
	v_lshl_or_b32 v58, v54, 2, v48
	v_mfma_f32_16x16x16_f16 v[26:29], v[6:7], v[18:19], v[26:29]
	v_lshl_add_u64 v[6:7], v[38:39], 2, s[6:7]
	v_lshl_add_u64 v[38:39], v[10:11], 2, s[6:7]
	v_or_b32_e32 v57, 1, v58
	v_mfma_f32_16x16x16_f16 v[2:5], v[4:5], v[20:21], v[22:25]
	s_nop 2
	global_load_dword v22, v[6:7], off
	global_load_dword v61, v[38:39], off
	v_subrev_u32_e32 v59, s29, v57
	v_cvt_f32_i32_e32 v60, v59
	v_mfma_f32_16x16x16_f16 v[34:37], v[36:37], v[40:41], v[66:69]
	v_pk_mul_f32 v[48:49], s[10:11], v[4:5] op_sel_hi:[0,1]
	v_lshl_or_b32 v46, v45, 9, v43
	v_lshl_add_u64 v[46:47], s[4:5], 0, v[46:47]
	s_waitcnt vmcnt(4)
	v_mfma_f32_16x16x16_f16 v[34:37], v[14:15], v[18:19], v[34:37]
	v_add_u32_e32 v14, 1, v59
	v_add_u32_e32 v15, 2, v59
	v_cvt_f32_i32_e32 v23, v14
	v_cvt_f32_i32_e32 v24, v15
	v_mfma_f32_16x16x16_f16 v[14:17], v[16:17], v[20:21], v[34:37]
	v_add_u32_e32 v18, 3, v59
	v_cvt_f32_i32_e32 v18, v18
	v_pk_mul_f32 v[50:51], s[10:11], v[2:3] op_sel_hi:[0,1]
	v_mfma_f32_16x16x16_f16 v[10:13], v[12:13], v[20:21], v[30:33]
	v_cmp_gt_i32_e64 s[34:35], s29, v57
	s_nop 1
	v_pk_mul_f32 v[36:37], s[10:11], v[14:15] op_sel_hi:[0,1]
	v_add_u32_e32 v15, 19, v59
	v_add_u32_e32 v31, 18, v59
	v_cvt_f32_i32_e32 v14, v31
	v_cvt_f32_i32_e32 v15, v15
	v_mfma_f32_16x16x16_f16 v[6:9], v[8:9], v[20:21], v[26:29]
	v_pk_mul_f32 v[34:35], s[10:11], v[16:17] op_sel_hi:[0,1]
	v_fma_f32 v48, v56, v14, v48
	v_add_u32_e32 v14, 32, v59
	v_fmac_f32_e32 v49, v56, v15
	v_cvt_f32_i32_e32 v14, v14
	v_add_u32_e32 v15, 33, v59
	v_add_u32_e32 v16, 34, v59
	v_cvt_f32_i32_e32 v15, v15
	v_cvt_f32_i32_e32 v16, v16
	v_add_u32_e32 v17, 35, v59
	v_cvt_f32_i32_e32 v17, v17
	v_pk_mul_f32 v[40:41], s[10:11], v[6:7] op_sel_hi:[0,1]
	v_pk_mul_f32 v[38:39], s[10:11], v[8:9] op_sel_hi:[0,1]
	v_fma_f32 v40, v56, v14, v40
	v_add_u32_e32 v14, 48, v59
	v_fmac_f32_e32 v41, v56, v15
	v_fma_f32 v38, v56, v16, v38
	v_cvt_f32_i32_e32 v14, v14
	v_add_u32_e32 v15, 49, v59
	v_add_u32_e32 v16, 50, v59
	v_fmac_f32_e32 v39, v56, v17
	v_cvt_f32_i32_e32 v15, v15
	v_cvt_f32_i32_e32 v16, v16
	v_add_u32_e32 v17, 51, v59
	v_cvt_f32_i32_e32 v17, v17
	v_pk_mul_f32 v[52:53], s[10:11], v[12:13] op_sel_hi:[0,1]
	v_pk_mul_f32 v[10:11], s[10:11], v[10:11] op_sel_hi:[0,1]
	s_waitcnt vmcnt(3)
	v_mad_i64_i32 v[2:3], s[4:5], v70, s45, 0
	s_waitcnt vmcnt(2)
	v_mad_i64_i32 v[12:13], s[4:5], v71, s45, 0
	v_fma_f32 v10, v56, v60, v10
	v_fmac_f32_e32 v11, v56, v23
	v_fma_f32 v36, v56, v14, v36
	v_mov_b32_e32 v14, 0xff7fffff
	v_cmp_gt_i32_e64 s[4:5], s29, v58
	v_add_u32_e32 v19, 16, v59
	v_add_u32_e32 v30, 17, v59
	v_fmac_f32_e32 v37, v56, v15
	v_fma_f32 v34, v56, v16, v34
	v_cndmask_b32_e64 v15, v14, v10, s[4:5]
	v_cndmask_b32_e64 v16, v14, v11, s[34:35]
	v_cvt_f32_i32_e32 v19, v19
	v_cvt_f32_i32_e32 v25, v30
	v_fmac_f32_e32 v35, v56, v17
	v_max3_f32 v15, v15, s33, v16
	v_or_b32_e32 v16, 2, v58
	v_or_b32_e32 v17, 3, v58
	v_fma_f32 v52, v56, v24, v52
	v_fmac_f32_e32 v53, v56, v18
	v_cmp_gt_i32_e64 s[36:37], s29, v16
	v_cmp_gt_i32_e64 s[38:39], s29, v17
	v_fma_f32 v50, v56, v19, v50
	v_cndmask_b32_e64 v16, v14, v52, s[36:37]
	v_cndmask_b32_e64 v17, v14, v53, s[38:39]
	v_max3_f32 v15, v15, v16, v17
	v_or_b32_e32 v16, 16, v58
	v_or_b32_e32 v17, 17, v58
	v_fmac_f32_e32 v51, v56, v25
	v_cmp_gt_i32_e64 s[24:25], s29, v16
	v_cmp_gt_i32_e64 s[26:27], s29, v17
	v_lshl_add_u64 v[2:3], v[2:3], 1, v[46:47]
	v_cndmask_b32_e64 v16, v14, v50, s[24:25]
	v_cndmask_b32_e64 v17, v14, v51, s[26:27]
	v_max3_f32 v15, v15, v16, v17
	v_or_b32_e32 v16, 18, v58
	v_or_b32_e32 v17, 19, v58
	v_cmp_gt_i32_e64 s[20:21], s29, v16
	v_cmp_gt_i32_e64 s[22:23], s29, v17
	v_lshl_add_u64 v[12:13], v[12:13], 1, v[46:47]
	v_cndmask_b32_e64 v16, v14, v48, s[20:21]
	v_cndmask_b32_e64 v17, v14, v49, s[22:23]
	v_max3_f32 v15, v15, v16, v17
	v_or_b32_e32 v16, 32, v58
	v_or_b32_e32 v17, 33, v58
	v_cmp_gt_i32_e64 s[16:17], s29, v16
	v_cmp_gt_i32_e64 s[18:19], s29, v17
	global_load_dwordx4 v[6:9], v[2:3], off
	s_nop 0
	global_load_dwordx4 v[2:5], v[2:3], off offset:16
	v_cndmask_b32_e64 v16, v14, v40, s[16:17]
	v_cndmask_b32_e64 v17, v14, v41, s[18:19]
	v_max3_f32 v15, v15, v16, v17
	v_or_b32_e32 v16, 34, v58
	v_or_b32_e32 v17, 35, v58
	v_cmp_gt_i32_e64 s[12:13], s29, v16
	v_cmp_gt_i32_e64 s[14:15], s29, v17
	global_load_dwordx4 v[30:33], v[12:13], off
	global_load_dwordx4 v[26:29], v[12:13], off offset:16
	v_cndmask_b32_e64 v16, v14, v38, s[12:13]
	v_cndmask_b32_e64 v17, v14, v39, s[14:15]
	v_max3_f32 v15, v15, v16, v17
	v_or_b32_e32 v16, 48, v58
	v_or_b32_e32 v17, 49, v58
	v_cmp_gt_i32_e64 s[8:9], s29, v16
	v_cmp_gt_i32_e64 s[10:11], s29, v17
	s_nop 0
	v_cndmask_b32_e64 v16, v14, v36, s[8:9]
	v_cndmask_b32_e64 v17, v14, v37, s[10:11]
	v_max3_f32 v15, v15, v16, v17
	v_or_b32_e32 v16, 50, v58
	v_or_b32_e32 v17, 51, v58
	v_cmp_gt_i32_e32 vcc, s29, v16
	v_cmp_gt_i32_e64 s[6:7], s29, v17
	s_nop 0
	v_cndmask_b32_e32 v16, v14, v34, vcc
	v_cndmask_b32_e64 v14, v14, v35, s[6:7]
	v_max3_f32 v14, v15, v16, v14
	v_mbcnt_lo_u32_b32 v15, -1, 0
	v_mbcnt_hi_u32_b32 v15, -1, v15
	v_and_b32_e32 v16, 64, v15
	v_add_u32_e32 v16, 64, v16
	v_xor_b32_e32 v17, 32, v15
	v_cmp_lt_i32_e64 s[40:41], v17, v16
	s_nop 1
	v_cndmask_b32_e64 v17, v15, v17, s[40:41]
	v_lshlrev_b32_e32 v57, 2, v17
	ds_bpermute_b32 v17, v57, v14
	s_waitcnt vmcnt(5)
	v_mad_i64_i32 v[12:13], s[40:41], v22, s45, 0
	v_lshl_add_u64 v[12:13], v[12:13], 1, v[46:47]
	global_load_dwordx4 v[22:25], v[12:13], off
	global_load_dwordx4 v[18:21], v[12:13], off offset:16
	s_waitcnt lgkmcnt(0)
	v_max_f32_e32 v17, v17, v17
	v_max_f32_e32 v14, v14, v17
	v_xor_b32_e32 v17, 16, v15
	v_cmp_lt_i32_e64 s[40:41], v17, v16
	s_nop 1
	v_cndmask_b32_e64 v15, v15, v17, s[40:41]
	v_lshlrev_b32_e32 v59, 2, v15
	ds_bpermute_b32 v15, v59, v14
	s_waitcnt vmcnt(6)
	v_mad_i64_i32 v[12:13], s[40:41], v61, s45, 0
	v_lshl_add_u64 v[12:13], v[12:13], 1, v[46:47]
	s_waitcnt lgkmcnt(0)
	v_max_f32_e32 v15, v15, v15
	v_max_f32_e32 v56, v14, v15
	v_sub_f32_e32 v10, v10, v56
	v_mul_f32_e32 v10, 0x3fb8aa3b, v10
	v_exp_f32_e32 v46, v10
	v_sub_f32_e32 v10, v11, v56
	v_mul_f32_e32 v10, 0x3fb8aa3b, v10
	v_exp_f32_e32 v47, v10
	global_load_dwordx4 v[14:17], v[12:13], off
	s_nop 0
	global_load_dwordx4 v[10:13], v[12:13], off offset:16
	v_sub_f32_e32 v52, v52, v56
	v_mul_f32_e32 v52, 0x3fb8aa3b, v52
	v_sub_f32_e32 v53, v53, v56
	v_exp_f32_e32 v52, v52
	v_mul_f32_e32 v53, 0x3fb8aa3b, v53
	v_sub_f32_e32 v50, v50, v56
	v_exp_f32_e32 v53, v53
	v_mul_f32_e32 v50, 0x3fb8aa3b, v50
	v_sub_f32_e32 v51, v51, v56
	v_cndmask_b32_e64 v46, 0, v46, s[4:5]
	v_exp_f32_e32 v50, v50
	v_mul_f32_e32 v51, 0x3fb8aa3b, v51
	v_sub_f32_e32 v48, v48, v56
	v_add_f32_e32 v58, 0, v46
	v_cndmask_b32_e64 v47, 0, v47, s[34:35]
	v_exp_f32_e32 v51, v51
	v_mul_f32_e32 v48, 0x3fb8aa3b, v48
	v_sub_f32_e32 v49, v49, v56
	v_add_f32_e32 v58, v58, v47
	;; [unrolled: 5-line block ×10, first 2 shown]
	v_cndmask_b32_e64 v38, 0, v38, s[12:13]
	v_exp_f32_e32 v34, v34
	v_mul_f32_e32 v35, 0x3fb8aa3b, v35
	v_add_f32_e32 v58, v58, v38
	v_cndmask_b32_e64 v39, 0, v39, s[14:15]
	v_exp_f32_e32 v35, v35
	v_add_f32_e32 v58, v58, v39
	v_cndmask_b32_e64 v36, 0, v36, s[8:9]
	v_add_f32_e32 v58, v58, v36
	v_cndmask_b32_e64 v37, 0, v37, s[10:11]
	v_add_f32_e32 v58, v58, v37
	v_cndmask_b32_e32 v34, 0, v34, vcc
	v_add_f32_e32 v58, v58, v34
	v_cndmask_b32_e64 v35, 0, v35, s[6:7]
	v_add_f32_e32 v58, v58, v35
	ds_bpermute_b32 v57, v57, v58
	s_load_dword s7, s[0:1], 0x98
	v_cmp_gt_u32_e32 vcc, 16, v55
	s_waitcnt lgkmcnt(0)
	s_barrier
	v_add_f32_e32 v58, v58, v57
	ds_bpermute_b32 v59, v59, v58
	v_lshlrev_b32_e32 v57, 2, v44
	s_waitcnt lgkmcnt(0)
	s_and_saveexec_b64 s[4:5], vcc
	s_cbranch_execz .LBB62_15
; %bb.14:
	v_add_f32_e32 v55, v58, v59
	v_lshl_or_b32 v58, v45, 6, v57
	ds_write2st64_b32 v58, v56, v55 offset1:1
.LBB62_15:
	s_or_b64 exec, exec, s[4:5]
	s_load_dword s6, s[0:1], 0x94
	s_waitcnt lgkmcnt(0)
	s_barrier
	ds_read2_b32 v[58:59], v57 offset1:16
	ds_read2_b32 v[60:61], v57 offset0:32 offset1:48
	ds_read2_b32 v[62:63], v57 offset0:64 offset1:80
	s_mul_i32 s7, s7, 7
	s_waitcnt lgkmcnt(2)
	v_max3_f32 v55, v58, s33, v59
	s_waitcnt lgkmcnt(1)
	v_max3_f32 v55, v55, v60, v61
	v_sub_f32_e32 v56, v58, v55
	v_mul_f32_e32 v56, 0x3fb8aa3b, v56
	v_exp_f32_e32 v64, v56
	v_sub_f32_e32 v56, v59, v55
	v_mul_f32_e32 v56, 0x3fb8aa3b, v56
	v_exp_f32_e32 v65, v56
	;; [unrolled: 3-line block ×3, first 2 shown]
	ds_read2_b32 v[58:59], v57 offset0:96 offset1:112
	v_sub_f32_e32 v56, v61, v55
	v_mul_f32_e32 v56, 0x3fb8aa3b, v56
	v_exp_f32_e32 v57, v56
	s_waitcnt lgkmcnt(1)
	v_fma_f32 v56, v64, v62, 0
	v_fmac_f32_e32 v56, v65, v63
	s_waitcnt lgkmcnt(0)
	v_fmac_f32_e32 v56, v60, v58
	v_fmac_f32_e32 v56, v57, v59
	v_add_f32_e32 v58, 0x358637bd, v56
	v_div_scale_f32 v59, s[4:5], v58, v58, 1.0
	v_rcp_f32_e32 v61, v59
	s_barrier
	v_fma_f32 v62, -v59, v61, 1.0
	v_fmac_f32_e32 v61, v62, v61
	v_div_scale_f32 v62, vcc, 1.0, v58, 1.0
	v_mul_f32_e32 v63, v62, v61
	v_fma_f32 v66, -v59, v63, v62
	v_fmac_f32_e32 v63, v66, v61
	v_fma_f32 v59, -v59, v63, v62
	v_div_fmas_f32 v59, v59, v61, v63
	v_cmp_eq_u32_e32 vcc, 1, v45
	v_div_fixup_f32 v58, v59, v58, 1.0
	s_nop 0
	v_cndmask_b32_e32 v59, v64, v65, vcc
	v_cmp_eq_u32_e32 vcc, 2, v45
	s_nop 1
	v_cndmask_b32_e32 v59, v59, v60, vcc
	v_cmp_eq_u32_e32 vcc, 3, v45
	v_lshlrev_b32_e32 v45, 11, v45
	s_nop 0
	v_cndmask_b32_e32 v57, v59, v57, vcc
	v_mul_f32_e32 v58, v57, v58
	v_pk_mul_f32 v[46:47], v[58:59], v[46:47] op_sel_hi:[0,1]
	v_cvt_f16_f32_e32 v46, v46
	v_cvt_f16_f32_e32 v47, v47
	v_pk_mul_f32 v[52:53], v[58:59], v[52:53] op_sel_hi:[0,1]
	v_cvt_f16_f32_e32 v57, v52
	v_cvt_f16_f32_e32 v53, v53
	v_pack_b32_f16 v52, v46, v47
	v_pk_mul_f32 v[46:47], v[58:59], v[48:49] op_sel_hi:[0,1]
	v_pk_mul_f32 v[48:49], v[58:59], v[50:51] op_sel_hi:[0,1]
	v_cvt_f16_f32_e32 v48, v48
	v_cvt_f16_f32_e32 v49, v49
	;; [unrolled: 1-line block ×4, first 2 shown]
	v_pack_b32_f16 v53, v57, v53
	v_lshlrev_b32_e32 v57, 3, v54
	v_pk_mul_f32 v[38:39], v[58:59], v[38:39] op_sel_hi:[0,1]
	v_pk_mul_f32 v[40:41], v[58:59], v[40:41] op_sel_hi:[0,1]
	;; [unrolled: 1-line block ×4, first 2 shown]
	v_or3_b32 v46, v45, v43, v57
	v_pack_b32_f16 v48, v48, v49
	v_pack_b32_f16 v49, v50, v47
	v_cvt_f16_f32_e32 v40, v40
	v_cvt_f16_f32_e32 v41, v41
	;; [unrolled: 1-line block ×8, first 2 shown]
	v_pack_b32_f16 v34, v40, v41
	v_pack_b32_f16 v35, v38, v39
	;; [unrolled: 1-line block ×4, first 2 shown]
	v_cmp_gt_u32_e32 vcc, 7, v0
	ds_write2st64_b64 v46, v[52:53], v[48:49] offset1:1
	ds_write2st64_b64 v46, v[34:35], v[36:37] offset0:2 offset1:3
	s_and_saveexec_b64 s[4:5], vcc
	s_cbranch_execz .LBB62_17
; %bb.16:
	s_mov_b32 s43, 0
	v_mov_b32_e32 v45, 0
	v_lshl_add_u64 v[34:35], s[42:43], 0, v[44:45]
	v_mov_b32_e32 v36, s7
	v_mad_u64_u32 v[34:35], s[12:13], s2, v36, v[34:35]
	s_mul_i32 s3, s3, s7
	v_mov_b32_e32 v44, s28
	s_load_dwordx4 s[8:11], s[0:1], 0x58
	v_add_u32_e32 v37, s3, v35
	v_mad_u64_u32 v[34:35], s[12:13], v34, s6, v[44:45]
	v_mov_b32_e32 v36, v35
	v_mad_u64_u32 v[36:37], s[12:13], v37, s6, v[36:37]
	v_mov_b32_e32 v35, v36
	v_lshlrev_b64 v[34:35], 2, v[34:35]
	s_waitcnt lgkmcnt(0)
	v_lshl_add_u64 v[36:37], s[10:11], 0, v[34:35]
	v_lshl_add_u64 v[34:35], s[8:9], 0, v[34:35]
	global_store_dword v[36:37], v55, off
	global_store_dword v[34:35], v56, off
.LBB62_17:
	s_or_b64 exec, exec, s[4:5]
	v_lshl_or_b32 v43, v54, 9, v43
	s_waitcnt lgkmcnt(0)
	s_barrier
	ds_read_b128 v[34:37], v43
	ds_read_b128 v[38:41], v43 offset:16
	s_waitcnt vmcnt(7) lgkmcnt(1)
	v_mfma_f32_16x16x16_f16 v[48:51], v[6:7], v[34:35], 0
	v_cmp_gt_u32_e32 vcc, 64, v0
	s_mov_b32 s3, 0
	s_and_b64 s[4:5], vcc, s[30:31]
	v_mfma_f32_16x16x16_f16 v[6:9], v[8:9], v[36:37], v[48:51]
	s_waitcnt vmcnt(6) lgkmcnt(0)
	v_mfma_f32_16x16x16_f16 v[6:9], v[2:3], v[38:39], v[6:9]
	v_mfma_f32_16x16x16_f16 v[2:5], v[4:5], v[40:41], v[6:9]
	s_nop 5
	ds_read_b128 v[6:9], v43 offset:2048
	ds_read_b128 v[34:37], v43 offset:2064
	s_waitcnt vmcnt(5) lgkmcnt(1)
	v_mfma_f32_16x16x16_f16 v[2:5], v[30:31], v[6:7], v[2:5]
	v_mfma_f32_16x16x16_f16 v[2:5], v[32:33], v[8:9], v[2:5]
	s_waitcnt vmcnt(4) lgkmcnt(0)
	v_mfma_f32_16x16x16_f16 v[2:5], v[26:27], v[34:35], v[2:5]
	v_mfma_f32_16x16x16_f16 v[2:5], v[28:29], v[36:37], v[2:5]
	ds_read_b128 v[6:9], v43 offset:4096
	ds_read_b128 v[26:29], v43 offset:4112
	s_waitcnt vmcnt(3) lgkmcnt(1)
	v_mfma_f32_16x16x16_f16 v[2:5], v[22:23], v[6:7], v[2:5]
	v_mfma_f32_16x16x16_f16 v[2:5], v[24:25], v[8:9], v[2:5]
	s_waitcnt vmcnt(2) lgkmcnt(0)
	v_mfma_f32_16x16x16_f16 v[2:5], v[18:19], v[26:27], v[2:5]
	v_mfma_f32_16x16x16_f16 v[2:5], v[20:21], v[28:29], v[2:5]
	ds_read_b128 v[6:9], v43 offset:6144
	ds_read_b128 v[18:21], v43 offset:6160
	v_mov_b32_e32 v43, 0
	s_waitcnt vmcnt(1) lgkmcnt(0)
	v_mfma_f32_16x16x16_f16 v[2:5], v[14:15], v[6:7], v[2:5]
	s_barrier
	v_mfma_f32_16x16x16_f16 v[2:5], v[16:17], v[8:9], v[2:5]
	s_waitcnt vmcnt(0)
	v_mfma_f32_16x16x16_f16 v[2:5], v[10:11], v[18:19], v[2:5]
	v_mfma_f32_16x16x16_f16 v[2:5], v[12:13], v[20:21], v[2:5]
	s_nop 6
	v_cvt_f16_f32_e32 v2, v2
	v_cvt_f16_f32_e32 v3, v3
	;; [unrolled: 1-line block ×4, first 2 shown]
	v_pack_b32_f16 v2, v2, v3
	v_pack_b32_f16 v3, v4, v5
	ds_write_b64 v46, v[2:3]
	s_waitcnt lgkmcnt(0)
	s_barrier
	s_and_saveexec_b64 s[8:9], s[4:5]
	s_cbranch_execz .LBB62_20
; %bb.18:
	s_load_dwordx2 s[4:5], s[0:1], 0x68
	s_lshl_b32 s0, s6, 6
	s_mul_i32 s1, s7, s2
	s_mul_hi_u32 s7, s1, s0
	s_mul_i32 s6, s1, s0
	v_lshlrev_b32_e32 v0, 10, v0
	s_lshl_b64 s[6:7], s[6:7], 1
	v_and_b32_e32 v0, 0x1800, v0
	v_lshlrev_b32_e32 v2, 5, v54
	v_and_b32_e32 v1, 16, v1
	s_waitcnt lgkmcnt(0)
	s_add_u32 s1, s4, s6
	v_or3_b32 v2, v0, v2, v1
	s_addc_u32 s4, s5, s7
	s_lshl_b32 s2, s28, 6
	s_lshl_b64 s[2:3], s[2:3], 1
	ds_read_b128 v[4:7], v2
	s_add_u32 s2, s1, s2
	s_addc_u32 s3, s4, s3
	v_add_u32_e32 v3, s42, v54
	v_lshl_add_u64 v[0:1], s[2:3], 0, v[42:43]
	v_mad_u64_u32 v[8:9], s[2:3], v3, s0, 0
	v_lshl_add_u64 v[8:9], v[8:9], 1, v[0:1]
	v_cmp_ne_u32_e32 vcc, 3, v54
	s_waitcnt lgkmcnt(0)
	global_store_dwordx4 v[8:9], v[4:7], off
	s_and_b64 exec, exec, vcc
	s_cbranch_execz .LBB62_20
; %bb.19:
	ds_read_b128 v[2:5], v2 offset:128
	v_add3_u32 v6, s42, v54, 4
	v_mad_u64_u32 v[6:7], s[0:1], v6, s0, 0
	v_lshl_add_u64 v[0:1], v[6:7], 1, v[0:1]
	s_waitcnt lgkmcnt(0)
	global_store_dwordx4 v[0:1], v[2:5], off
.LBB62_20:
	s_endpgm
	.section	.rodata,"a",@progbits
	.p2align	6, 0x0
	.amdhsa_kernel _Z39paged_attention_ll4mi_QKV_mfma16_kernelIDF16_DF16_LN4vllm18Fp8KVCacheDataTypeE0EDF16_Li16ELi64ELi256ELb1ELi7EEvPKT_PKT0_S7_ifPKiS9_S9_iPKfiiiPfSC_PS2_PT2_iSB_SB_
		.amdhsa_group_segment_fixed_size 8192
		.amdhsa_private_segment_fixed_size 0
		.amdhsa_kernarg_size 400
		.amdhsa_user_sgpr_count 2
		.amdhsa_user_sgpr_dispatch_ptr 0
		.amdhsa_user_sgpr_queue_ptr 0
		.amdhsa_user_sgpr_kernarg_segment_ptr 1
		.amdhsa_user_sgpr_dispatch_id 0
		.amdhsa_user_sgpr_kernarg_preload_length 0
		.amdhsa_user_sgpr_kernarg_preload_offset 0
		.amdhsa_user_sgpr_private_segment_size 0
		.amdhsa_uses_dynamic_stack 0
		.amdhsa_enable_private_segment 0
		.amdhsa_system_sgpr_workgroup_id_x 1
		.amdhsa_system_sgpr_workgroup_id_y 1
		.amdhsa_system_sgpr_workgroup_id_z 1
		.amdhsa_system_sgpr_workgroup_info 0
		.amdhsa_system_vgpr_workitem_id 0
		.amdhsa_next_free_vgpr 72
		.amdhsa_next_free_sgpr 48
		.amdhsa_accum_offset 72
		.amdhsa_reserve_vcc 1
		.amdhsa_float_round_mode_32 0
		.amdhsa_float_round_mode_16_64 0
		.amdhsa_float_denorm_mode_32 3
		.amdhsa_float_denorm_mode_16_64 3
		.amdhsa_dx10_clamp 1
		.amdhsa_ieee_mode 1
		.amdhsa_fp16_overflow 0
		.amdhsa_tg_split 0
		.amdhsa_exception_fp_ieee_invalid_op 0
		.amdhsa_exception_fp_denorm_src 0
		.amdhsa_exception_fp_ieee_div_zero 0
		.amdhsa_exception_fp_ieee_overflow 0
		.amdhsa_exception_fp_ieee_underflow 0
		.amdhsa_exception_fp_ieee_inexact 0
		.amdhsa_exception_int_div_zero 0
	.end_amdhsa_kernel
	.section	.text._Z39paged_attention_ll4mi_QKV_mfma16_kernelIDF16_DF16_LN4vllm18Fp8KVCacheDataTypeE0EDF16_Li16ELi64ELi256ELb1ELi7EEvPKT_PKT0_S7_ifPKiS9_S9_iPKfiiiPfSC_PS2_PT2_iSB_SB_,"axG",@progbits,_Z39paged_attention_ll4mi_QKV_mfma16_kernelIDF16_DF16_LN4vllm18Fp8KVCacheDataTypeE0EDF16_Li16ELi64ELi256ELb1ELi7EEvPKT_PKT0_S7_ifPKiS9_S9_iPKfiiiPfSC_PS2_PT2_iSB_SB_,comdat
.Lfunc_end62:
	.size	_Z39paged_attention_ll4mi_QKV_mfma16_kernelIDF16_DF16_LN4vllm18Fp8KVCacheDataTypeE0EDF16_Li16ELi64ELi256ELb1ELi7EEvPKT_PKT0_S7_ifPKiS9_S9_iPKfiiiPfSC_PS2_PT2_iSB_SB_, .Lfunc_end62-_Z39paged_attention_ll4mi_QKV_mfma16_kernelIDF16_DF16_LN4vllm18Fp8KVCacheDataTypeE0EDF16_Li16ELi64ELi256ELb1ELi7EEvPKT_PKT0_S7_ifPKiS9_S9_iPKfiiiPfSC_PS2_PT2_iSB_SB_
                                        ; -- End function
	.section	.AMDGPU.csdata,"",@progbits
; Kernel info:
; codeLenInByte = 4064
; NumSgprs: 54
; NumVgprs: 72
; NumAgprs: 0
; TotalNumVgprs: 72
; ScratchSize: 0
; MemoryBound: 0
; FloatMode: 240
; IeeeMode: 1
; LDSByteSize: 8192 bytes/workgroup (compile time only)
; SGPRBlocks: 6
; VGPRBlocks: 8
; NumSGPRsForWavesPerEU: 54
; NumVGPRsForWavesPerEU: 72
; AccumOffset: 72
; Occupancy: 7
; WaveLimiterHint : 1
; COMPUTE_PGM_RSRC2:SCRATCH_EN: 0
; COMPUTE_PGM_RSRC2:USER_SGPR: 2
; COMPUTE_PGM_RSRC2:TRAP_HANDLER: 0
; COMPUTE_PGM_RSRC2:TGID_X_EN: 1
; COMPUTE_PGM_RSRC2:TGID_Y_EN: 1
; COMPUTE_PGM_RSRC2:TGID_Z_EN: 1
; COMPUTE_PGM_RSRC2:TIDIG_COMP_CNT: 0
; COMPUTE_PGM_RSRC3_GFX90A:ACCUM_OFFSET: 17
; COMPUTE_PGM_RSRC3_GFX90A:TG_SPLIT: 0
	.section	.text._Z39paged_attention_ll4mi_QKV_mfma16_kernelIDF16_DF16_LN4vllm18Fp8KVCacheDataTypeE0EDF16_Li16ELi64ELi256ELb1ELi8EEvPKT_PKT0_S7_ifPKiS9_S9_iPKfiiiPfSC_PS2_PT2_iSB_SB_,"axG",@progbits,_Z39paged_attention_ll4mi_QKV_mfma16_kernelIDF16_DF16_LN4vllm18Fp8KVCacheDataTypeE0EDF16_Li16ELi64ELi256ELb1ELi8EEvPKT_PKT0_S7_ifPKiS9_S9_iPKfiiiPfSC_PS2_PT2_iSB_SB_,comdat
	.protected	_Z39paged_attention_ll4mi_QKV_mfma16_kernelIDF16_DF16_LN4vllm18Fp8KVCacheDataTypeE0EDF16_Li16ELi64ELi256ELb1ELi8EEvPKT_PKT0_S7_ifPKiS9_S9_iPKfiiiPfSC_PS2_PT2_iSB_SB_ ; -- Begin function _Z39paged_attention_ll4mi_QKV_mfma16_kernelIDF16_DF16_LN4vllm18Fp8KVCacheDataTypeE0EDF16_Li16ELi64ELi256ELb1ELi8EEvPKT_PKT0_S7_ifPKiS9_S9_iPKfiiiPfSC_PS2_PT2_iSB_SB_
	.globl	_Z39paged_attention_ll4mi_QKV_mfma16_kernelIDF16_DF16_LN4vllm18Fp8KVCacheDataTypeE0EDF16_Li16ELi64ELi256ELb1ELi8EEvPKT_PKT0_S7_ifPKiS9_S9_iPKfiiiPfSC_PS2_PT2_iSB_SB_
	.p2align	8
	.type	_Z39paged_attention_ll4mi_QKV_mfma16_kernelIDF16_DF16_LN4vllm18Fp8KVCacheDataTypeE0EDF16_Li16ELi64ELi256ELb1ELi8EEvPKT_PKT0_S7_ifPKiS9_S9_iPKfiiiPfSC_PS2_PT2_iSB_SB_,@function
_Z39paged_attention_ll4mi_QKV_mfma16_kernelIDF16_DF16_LN4vllm18Fp8KVCacheDataTypeE0EDF16_Li16ELi64ELi256ELb1ELi8EEvPKT_PKT0_S7_ifPKiS9_S9_iPKfiiiPfSC_PS2_PT2_iSB_SB_: ; @_Z39paged_attention_ll4mi_QKV_mfma16_kernelIDF16_DF16_LN4vllm18Fp8KVCacheDataTypeE0EDF16_Li16ELi64ELi256ELb1ELi8EEvPKT_PKT0_S7_ifPKiS9_S9_iPKfiiiPfSC_PS2_PT2_iSB_SB_
; %bb.0:
	s_load_dwordx2 s[8:9], s[0:1], 0x30
	s_mov_b32 s28, s3
	s_mov_b64 s[6:7], 0
	s_waitcnt lgkmcnt(0)
	s_cmp_lg_u64 s[8:9], 0
	s_cselect_b64 s[10:11], -1, 0
	s_and_b64 vcc, exec, s[10:11]
	s_cbranch_vccz .LBB63_7
; %bb.1:
	s_add_i32 s12, s2, 1
	s_mov_b32 s13, 0
	s_lshl_b64 s[14:15], s[12:13], 2
	s_add_u32 s14, s8, s14
	s_mov_b32 s3, s13
	s_addc_u32 s15, s9, s15
	s_lshl_b64 s[12:13], s[2:3], 2
	s_add_u32 s12, s8, s12
	s_addc_u32 s13, s9, s13
	s_load_dword s5, s[14:15], 0x0
	s_load_dword s16, s[12:13], 0x0
	s_waitcnt lgkmcnt(0)
	s_sub_i32 s5, s5, s16
	s_cmp_eq_u32 s5, 1
	s_cselect_b64 s[12:13], -1, 0
	s_andn2_b64 vcc, exec, s[6:7]
	s_cbranch_vccnz .LBB63_3
.LBB63_2:
	s_mov_b32 s3, 0
	s_mov_b64 s[12:13], -1
.LBB63_3:
	s_andn2_b64 vcc, exec, s[12:13]
	s_cbranch_vccnz .LBB63_19
; %bb.4:
	s_load_dwordx2 s[6:7], s[0:1], 0x28
	s_lshl_b64 s[12:13], s[2:3], 2
	s_waitcnt lgkmcnt(0)
	s_add_u32 s6, s6, s12
	s_addc_u32 s7, s7, s13
	s_load_dword s33, s[6:7], 0x0
	s_lshl_b32 s16, s28, 8
	s_waitcnt lgkmcnt(0)
	s_cmp_ge_i32 s16, s33
	s_cbranch_scc1 .LBB63_19
; %bb.5:
	s_load_dwordx2 s[6:7], s[0:1], 0x20
	s_load_dword s5, s[0:1], 0x38
	s_add_i32 s14, s33, 15
	s_ashr_i32 s15, s14, 31
	v_and_b32_e32 v1, 0xcf, v0
	s_lshr_b32 s15, s15, 28
	v_add_u32_e32 v1, s16, v1
	s_add_i32 s14, s14, s15
	v_ashrrev_i32_e32 v2, 31, v1
	s_ashr_i32 s17, s14, 4
	v_lshrrev_b32_e32 v6, 28, v2
	s_add_i32 s17, s17, -1
	s_waitcnt lgkmcnt(0)
	s_mul_i32 s14, s2, s5
	s_mov_b32 s15, 0
	v_add_u32_e32 v2, v1, v6
	s_lshl_b64 s[14:15], s[14:15], 2
	v_ashrrev_i32_e32 v2, 4, v2
	v_mov_b32_e32 v7, s17
	v_cmp_gt_i32_e32 vcc, s33, v1
	s_add_u32 s6, s6, s14
	s_addc_u32 s7, s7, s15
	v_cndmask_b32_e32 v2, v7, v2, vcc
	v_ashrrev_i32_e32 v3, 31, v2
	v_lshl_add_u64 v[4:5], v[2:3], 2, s[6:7]
	v_or_b32_e32 v2, 16, v1
	v_add_u32_e32 v3, v2, v6
	v_ashrrev_i32_e32 v3, 4, v3
	v_cmp_gt_i32_e32 vcc, s33, v2
	s_load_dwordx2 s[14:15], s[0:1], 0x8
	s_nop 0
	v_cndmask_b32_e32 v2, v7, v3, vcc
	v_ashrrev_i32_e32 v3, 31, v2
	v_lshl_add_u64 v[8:9], v[2:3], 2, s[6:7]
	v_or_b32_e32 v2, 32, v1
	v_add_u32_e32 v3, v2, v6
	v_ashrrev_i32_e32 v3, 4, v3
	v_cmp_gt_i32_e32 vcc, s33, v2
	v_or_b32_e32 v1, 48, v1
	s_nop 0
	v_cndmask_b32_e32 v2, v7, v3, vcc
	v_ashrrev_i32_e32 v3, 31, v2
	v_lshl_add_u64 v[10:11], v[2:3], 2, s[6:7]
	v_add_u32_e32 v2, v1, v6
	v_ashrrev_i32_e32 v2, 4, v2
	v_cmp_gt_i32_e32 vcc, s33, v1
	s_nop 1
	v_cndmask_b32_e32 v2, v7, v2, vcc
	v_ashrrev_i32_e32 v3, 31, v2
	v_lshl_add_u64 v[12:13], v[2:3], 2, s[6:7]
	global_load_dword v3, v[4:5], off
	global_load_dword v2, v[8:9], off
	global_load_dword v6, v[10:11], off
	global_load_dword v14, v[12:13], off
	s_andn2_b64 vcc, exec, s[10:11]
	s_cbranch_vccnz .LBB63_8
; %bb.6:
	s_add_u32 s8, s8, s12
	s_addc_u32 s9, s9, s13
	s_load_dword s5, s[8:9], 0x0
	s_branch .LBB63_9
.LBB63_7:
	s_mov_b64 s[12:13], 0
	s_branch .LBB63_2
.LBB63_8:
	s_mov_b32 s5, s2
.LBB63_9:
	s_load_dwordx2 s[8:9], s[0:1], 0x10
	s_load_dwordx4 s[44:47], s[0:1], 0x48
	v_and_b32_e32 v54, 15, v0
	s_movk_i32 s10, 0x80
	v_lshlrev_b32_e32 v4, 3, v54
	v_cmp_gt_u32_e32 vcc, s10, v0
	v_cmp_gt_u32_e64 s[30:31], 8, v54
	v_lshrrev_b32_e32 v53, 6, v0
	v_bfe_u32 v1, v0, 4, 2
	s_lshl_b32 s29, s4, 3
	s_and_b64 s[12:13], vcc, s[30:31]
	v_lshlrev_b32_e32 v42, 1, v4
	s_and_saveexec_b64 s[10:11], s[12:13]
	s_cbranch_execz .LBB63_11
; %bb.10:
	s_load_dwordx2 s[12:13], s[0:1], 0x0
	s_waitcnt lgkmcnt(0)
	s_ashr_i32 s18, s44, 31
	s_mul_hi_u32 s19, s5, s44
	s_mul_i32 s18, s5, s18
	s_add_i32 s19, s19, s18
	s_mul_i32 s18, s5, s44
	v_lshl_or_b32 v7, v53, 2, v1
	s_lshl_b64 s[18:19], s[18:19], 1
	s_add_u32 s12, s12, s18
	v_add_lshl_u32 v4, v7, s29, 6
	s_addc_u32 s13, s13, s19
	v_ashrrev_i32_e32 v5, 31, v4
	v_lshl_add_u64 v[4:5], v[4:5], 1, s[12:13]
	v_mov_b32_e32 v43, 0
	v_lshl_add_u64 v[4:5], v[4:5], 0, v[42:43]
	global_load_dwordx4 v[8:11], v[4:5], off
	v_and_b32_e32 v4, 3, v0
	v_lshlrev_b32_e32 v5, 5, v7
	v_lshlrev_b32_e32 v7, 9, v54
	;; [unrolled: 1-line block ×3, first 2 shown]
	v_and_b32_e32 v7, 0x1800, v7
	v_or3_b32 v4, v7, v4, v5
	s_waitcnt vmcnt(0)
	ds_write_b128 v4, v[8:11]
.LBB63_11:
	s_or_b64 exec, exec, s[10:11]
	s_waitcnt lgkmcnt(0)
	s_mul_i32 s4, s4, s46
	s_mov_b32 s5, 0
	s_lshl_b64 s[4:5], s[4:5], 1
	s_add_u32 s10, s14, s4
	v_lshlrev_b32_e32 v52, 4, v0
	s_addc_u32 s11, s15, s5
	v_and_b32_e32 v44, 0xf0, v52
	v_mov_b32_e32 v45, 0
	v_lshl_add_u64 v[16:17], s[10:11], 0, v[44:45]
	s_waitcnt vmcnt(3)
	v_mad_i64_i32 v[4:5], s[10:11], v3, s45, 0
	s_waitcnt vmcnt(2)
	v_mad_i64_i32 v[2:3], s[10:11], v2, s45, 0
	;; [unrolled: 2-line block ×3, first 2 shown]
	v_lshl_add_u64 v[4:5], v[4:5], 1, v[16:17]
	v_and_b32_e32 v44, 0x300, v52
	v_lshl_add_u64 v[2:3], v[2:3], 1, v[16:17]
	v_lshl_add_u64 v[6:7], v[6:7], 1, v[16:17]
	s_waitcnt vmcnt(0)
	v_mad_i64_i32 v[14:15], s[10:11], v14, s45, 0
	v_lshl_add_u64 v[4:5], v[4:5], 0, v[44:45]
	v_lshl_add_u64 v[8:9], v[2:3], 0, v[44:45]
	;; [unrolled: 1-line block ×4, first 2 shown]
	s_barrier
	global_load_dwordx4 v[30:33], v[4:5], off
	global_load_dwordx4 v[10:13], v[4:5], off offset:1024
	global_load_dwordx4 v[22:25], v[8:9], off
	s_nop 0
	global_load_dwordx4 v[2:5], v[8:9], off offset:1024
	global_load_dwordx4 v[26:29], v[18:19], off
	s_nop 0
	global_load_dwordx4 v[6:9], v[18:19], off offset:1024
	v_lshl_add_u64 v[18:19], v[14:15], 0, v[44:45]
	global_load_dwordx4 v[34:37], v[18:19], off
	global_load_dwordx4 v[14:17], v[18:19], off offset:1024
	v_and_b32_e32 v18, 7, v0
	v_lshlrev_b32_e32 v18, 5, v18
	v_lshl_or_b32 v18, v1, 9, v18
	ds_read_b128 v[38:41], v18
	ds_read_b128 v[18:21], v18 offset:2048
	v_and_b32_e32 v55, 63, v0
	v_mov_b32_e32 v56, 0
	s_and_saveexec_b64 s[10:11], s[30:31]
	s_cbranch_execz .LBB63_13
; %bb.12:
	s_load_dwordx2 s[12:13], s[0:1], 0x40
	v_or_b32_e32 v46, s29, v54
	v_ashrrev_i32_e32 v47, 31, v46
	s_waitcnt lgkmcnt(0)
	v_lshl_add_u64 v[46:47], v[46:47], 2, s[12:13]
	global_load_dword v56, v[46:47], off
.LBB63_13:
	s_or_b64 exec, exec, s[10:11]
	v_and_or_b32 v44, v0, 48, s16
	v_ashrrev_i32_e32 v43, 4, v44
	v_mov_b32_e32 v57, s17
	v_cmp_gt_i32_e32 vcc, s33, v44
	s_waitcnt vmcnt(5) lgkmcnt(1)
	v_mfma_f32_16x16x16_f16 v[58:61], v[22:23], v[38:39], 0
	s_load_dword s10, s[0:1], 0x1c
	v_cndmask_b32_e32 v46, v57, v43, vcc
	v_ashrrev_i32_e32 v47, 31, v46
	v_or_b32_e32 v43, 64, v44
	v_lshl_add_u64 v[50:51], v[46:47], 2, s[6:7]
	v_mfma_f32_16x16x16_f16 v[46:49], v[30:31], v[38:39], 0
	v_ashrrev_i32_e32 v30, 4, v43
	v_cmp_gt_i32_e32 vcc, s33, v43
	global_load_dword v70, v[50:51], off
	s_waitcnt vmcnt(4)
	v_mfma_f32_16x16x16_f16 v[62:65], v[26:27], v[38:39], 0
	v_cndmask_b32_e32 v30, v57, v30, vcc
	v_ashrrev_i32_e32 v31, 31, v30
	v_lshl_add_u64 v[22:23], v[30:31], 2, s[6:7]
	global_load_dword v71, v[22:23], off
	v_mfma_f32_16x16x16_f16 v[22:25], v[24:25], v[40:41], v[58:61]
	v_and_b32_e32 v26, 0xc0, v0
	s_add_u32 s4, s8, s4
	v_lshlrev_b32_e32 v43, 5, v54
	v_mfma_f32_16x16x16_f16 v[30:33], v[32:33], v[40:41], v[46:49]
	s_addc_u32 s5, s9, s5
	s_mov_b32 s42, 0xff7fffff
	s_waitcnt vmcnt(3)
	v_mfma_f32_16x16x16_f16 v[66:69], v[34:35], v[38:39], 0
	v_or_b32_e32 v38, 0x80, v44
	v_add_u32_e32 v46, s16, v26
	v_or_b32_e32 v39, 0xc0, v44
	v_mfma_f32_16x16x16_f16 v[26:29], v[28:29], v[40:41], v[62:65]
	v_ashrrev_i32_e32 v47, 4, v38
	v_cmp_gt_i32_e32 vcc, s33, v38
	v_ashrrev_i32_e32 v48, 4, v39
	s_waitcnt lgkmcnt(0)
	v_mfma_f32_16x16x16_f16 v[22:25], v[2:3], v[18:19], v[22:25]
	v_cndmask_b32_e32 v38, v57, v47, vcc
	v_cmp_gt_i32_e32 vcc, s33, v39
	v_ashrrev_i32_e32 v39, 31, v38
	v_mfma_f32_16x16x16_f16 v[30:33], v[10:11], v[18:19], v[30:33]
	v_cndmask_b32_e32 v10, v57, v48, vcc
	v_ashrrev_i32_e32 v11, 31, v10
	v_lshl_or_b32 v58, v1, 2, v46
	v_mfma_f32_16x16x16_f16 v[26:29], v[6:7], v[18:19], v[26:29]
	v_lshl_add_u64 v[6:7], v[38:39], 2, s[6:7]
	v_lshl_add_u64 v[38:39], v[10:11], 2, s[6:7]
	v_or_b32_e32 v57, 1, v58
	v_mfma_f32_16x16x16_f16 v[2:5], v[4:5], v[20:21], v[22:25]
	s_nop 2
	global_load_dword v22, v[6:7], off
	global_load_dword v61, v[38:39], off
	v_subrev_u32_e32 v59, s33, v57
	v_cvt_f32_i32_e32 v60, v59
	v_mfma_f32_16x16x16_f16 v[34:37], v[36:37], v[40:41], v[66:69]
	v_pk_mul_f32 v[46:47], s[10:11], v[4:5] op_sel_hi:[0,1]
	v_lshl_or_b32 v44, v53, 9, v43
	v_lshl_add_u64 v[44:45], s[4:5], 0, v[44:45]
	s_waitcnt vmcnt(4)
	v_mfma_f32_16x16x16_f16 v[34:37], v[14:15], v[18:19], v[34:37]
	v_add_u32_e32 v14, 1, v59
	v_add_u32_e32 v15, 2, v59
	v_cvt_f32_i32_e32 v23, v14
	v_cvt_f32_i32_e32 v24, v15
	v_mfma_f32_16x16x16_f16 v[14:17], v[16:17], v[20:21], v[34:37]
	v_add_u32_e32 v18, 3, v59
	v_cvt_f32_i32_e32 v18, v18
	v_pk_mul_f32 v[48:49], s[10:11], v[2:3] op_sel_hi:[0,1]
	v_mfma_f32_16x16x16_f16 v[10:13], v[12:13], v[20:21], v[30:33]
	v_cmp_gt_i32_e64 s[34:35], s33, v57
	s_nop 1
	v_pk_mul_f32 v[36:37], s[10:11], v[14:15] op_sel_hi:[0,1]
	v_add_u32_e32 v15, 19, v59
	v_add_u32_e32 v31, 18, v59
	v_cvt_f32_i32_e32 v14, v31
	v_cvt_f32_i32_e32 v15, v15
	v_mfma_f32_16x16x16_f16 v[6:9], v[8:9], v[20:21], v[26:29]
	v_pk_mul_f32 v[34:35], s[10:11], v[16:17] op_sel_hi:[0,1]
	v_fma_f32 v46, v56, v14, v46
	v_add_u32_e32 v14, 32, v59
	v_fmac_f32_e32 v47, v56, v15
	v_cvt_f32_i32_e32 v14, v14
	v_add_u32_e32 v15, 33, v59
	v_add_u32_e32 v16, 34, v59
	v_cvt_f32_i32_e32 v15, v15
	v_cvt_f32_i32_e32 v16, v16
	v_add_u32_e32 v17, 35, v59
	v_cvt_f32_i32_e32 v17, v17
	v_pk_mul_f32 v[40:41], s[10:11], v[6:7] op_sel_hi:[0,1]
	v_pk_mul_f32 v[38:39], s[10:11], v[8:9] op_sel_hi:[0,1]
	v_fma_f32 v40, v56, v14, v40
	v_add_u32_e32 v14, 48, v59
	v_fmac_f32_e32 v41, v56, v15
	v_fma_f32 v38, v56, v16, v38
	v_cvt_f32_i32_e32 v14, v14
	v_add_u32_e32 v15, 49, v59
	v_add_u32_e32 v16, 50, v59
	v_fmac_f32_e32 v39, v56, v17
	v_cvt_f32_i32_e32 v15, v15
	v_cvt_f32_i32_e32 v16, v16
	v_add_u32_e32 v17, 51, v59
	v_cvt_f32_i32_e32 v17, v17
	v_pk_mul_f32 v[50:51], s[10:11], v[12:13] op_sel_hi:[0,1]
	v_pk_mul_f32 v[10:11], s[10:11], v[10:11] op_sel_hi:[0,1]
	s_waitcnt vmcnt(3)
	v_mad_i64_i32 v[2:3], s[4:5], v70, s45, 0
	s_waitcnt vmcnt(2)
	v_mad_i64_i32 v[12:13], s[4:5], v71, s45, 0
	v_fma_f32 v10, v56, v60, v10
	v_fmac_f32_e32 v11, v56, v23
	v_fma_f32 v36, v56, v14, v36
	v_mov_b32_e32 v14, 0xff7fffff
	v_cmp_gt_i32_e64 s[4:5], s33, v58
	v_add_u32_e32 v19, 16, v59
	v_add_u32_e32 v30, 17, v59
	v_fmac_f32_e32 v37, v56, v15
	v_fma_f32 v34, v56, v16, v34
	v_cndmask_b32_e64 v15, v14, v10, s[4:5]
	v_cndmask_b32_e64 v16, v14, v11, s[34:35]
	v_cvt_f32_i32_e32 v19, v19
	v_cvt_f32_i32_e32 v25, v30
	v_fmac_f32_e32 v35, v56, v17
	v_max3_f32 v15, v15, s42, v16
	v_or_b32_e32 v16, 2, v58
	v_or_b32_e32 v17, 3, v58
	v_fma_f32 v50, v56, v24, v50
	v_fmac_f32_e32 v51, v56, v18
	v_cmp_gt_i32_e64 s[36:37], s33, v16
	v_cmp_gt_i32_e64 s[38:39], s33, v17
	v_fma_f32 v48, v56, v19, v48
	v_cndmask_b32_e64 v16, v14, v50, s[36:37]
	v_cndmask_b32_e64 v17, v14, v51, s[38:39]
	v_max3_f32 v15, v15, v16, v17
	v_or_b32_e32 v16, 16, v58
	v_or_b32_e32 v17, 17, v58
	v_fmac_f32_e32 v49, v56, v25
	v_cmp_gt_i32_e64 s[24:25], s33, v16
	v_cmp_gt_i32_e64 s[26:27], s33, v17
	v_lshl_add_u64 v[2:3], v[2:3], 1, v[44:45]
	v_cndmask_b32_e64 v16, v14, v48, s[24:25]
	v_cndmask_b32_e64 v17, v14, v49, s[26:27]
	v_max3_f32 v15, v15, v16, v17
	v_or_b32_e32 v16, 18, v58
	v_or_b32_e32 v17, 19, v58
	v_cmp_gt_i32_e64 s[20:21], s33, v16
	v_cmp_gt_i32_e64 s[22:23], s33, v17
	v_lshl_add_u64 v[12:13], v[12:13], 1, v[44:45]
	v_cndmask_b32_e64 v16, v14, v46, s[20:21]
	v_cndmask_b32_e64 v17, v14, v47, s[22:23]
	v_max3_f32 v15, v15, v16, v17
	v_or_b32_e32 v16, 32, v58
	v_or_b32_e32 v17, 33, v58
	v_cmp_gt_i32_e64 s[16:17], s33, v16
	v_cmp_gt_i32_e64 s[18:19], s33, v17
	global_load_dwordx4 v[6:9], v[2:3], off
	s_nop 0
	global_load_dwordx4 v[2:5], v[2:3], off offset:16
	v_cndmask_b32_e64 v16, v14, v40, s[16:17]
	v_cndmask_b32_e64 v17, v14, v41, s[18:19]
	v_max3_f32 v15, v15, v16, v17
	v_or_b32_e32 v16, 34, v58
	v_or_b32_e32 v17, 35, v58
	v_cmp_gt_i32_e64 s[12:13], s33, v16
	v_cmp_gt_i32_e64 s[14:15], s33, v17
	global_load_dwordx4 v[30:33], v[12:13], off
	global_load_dwordx4 v[26:29], v[12:13], off offset:16
	v_cndmask_b32_e64 v16, v14, v38, s[12:13]
	v_cndmask_b32_e64 v17, v14, v39, s[14:15]
	v_max3_f32 v15, v15, v16, v17
	v_or_b32_e32 v16, 48, v58
	v_or_b32_e32 v17, 49, v58
	v_cmp_gt_i32_e64 s[8:9], s33, v16
	v_cmp_gt_i32_e64 s[10:11], s33, v17
	s_nop 0
	v_cndmask_b32_e64 v16, v14, v36, s[8:9]
	v_cndmask_b32_e64 v17, v14, v37, s[10:11]
	v_max3_f32 v15, v15, v16, v17
	v_or_b32_e32 v16, 50, v58
	v_or_b32_e32 v17, 51, v58
	v_cmp_gt_i32_e32 vcc, s33, v16
	v_cmp_gt_i32_e64 s[6:7], s33, v17
	s_nop 0
	v_cndmask_b32_e32 v16, v14, v34, vcc
	v_cndmask_b32_e64 v14, v14, v35, s[6:7]
	v_max3_f32 v14, v15, v16, v14
	v_mbcnt_lo_u32_b32 v15, -1, 0
	v_mbcnt_hi_u32_b32 v15, -1, v15
	v_and_b32_e32 v16, 64, v15
	v_add_u32_e32 v16, 64, v16
	v_xor_b32_e32 v17, 32, v15
	v_cmp_lt_i32_e64 s[40:41], v17, v16
	s_nop 1
	v_cndmask_b32_e64 v17, v15, v17, s[40:41]
	v_lshlrev_b32_e32 v57, 2, v17
	ds_bpermute_b32 v17, v57, v14
	s_waitcnt vmcnt(5)
	v_mad_i64_i32 v[12:13], s[40:41], v22, s45, 0
	v_lshl_add_u64 v[12:13], v[12:13], 1, v[44:45]
	global_load_dwordx4 v[22:25], v[12:13], off
	global_load_dwordx4 v[18:21], v[12:13], off offset:16
	s_waitcnt lgkmcnt(0)
	v_max_f32_e32 v17, v17, v17
	v_max_f32_e32 v14, v14, v17
	v_xor_b32_e32 v17, 16, v15
	v_cmp_lt_i32_e64 s[40:41], v17, v16
	s_nop 1
	v_cndmask_b32_e64 v15, v15, v17, s[40:41]
	v_lshlrev_b32_e32 v58, 2, v15
	ds_bpermute_b32 v15, v58, v14
	s_waitcnt vmcnt(6)
	v_mad_i64_i32 v[12:13], s[40:41], v61, s45, 0
	v_lshl_add_u64 v[12:13], v[12:13], 1, v[44:45]
	s_waitcnt lgkmcnt(0)
	v_max_f32_e32 v15, v15, v15
	v_max_f32_e32 v56, v14, v15
	v_sub_f32_e32 v10, v10, v56
	v_mul_f32_e32 v10, 0x3fb8aa3b, v10
	v_exp_f32_e32 v44, v10
	v_sub_f32_e32 v10, v11, v56
	v_mul_f32_e32 v10, 0x3fb8aa3b, v10
	v_exp_f32_e32 v45, v10
	global_load_dwordx4 v[14:17], v[12:13], off
	s_nop 0
	global_load_dwordx4 v[10:13], v[12:13], off offset:16
	v_sub_f32_e32 v50, v50, v56
	v_mul_f32_e32 v50, 0x3fb8aa3b, v50
	v_sub_f32_e32 v51, v51, v56
	v_exp_f32_e32 v50, v50
	v_mul_f32_e32 v51, 0x3fb8aa3b, v51
	v_sub_f32_e32 v48, v48, v56
	v_exp_f32_e32 v51, v51
	v_mul_f32_e32 v48, 0x3fb8aa3b, v48
	v_sub_f32_e32 v49, v49, v56
	v_cndmask_b32_e64 v44, 0, v44, s[4:5]
	v_exp_f32_e32 v48, v48
	v_mul_f32_e32 v49, 0x3fb8aa3b, v49
	v_sub_f32_e32 v46, v46, v56
	v_add_f32_e32 v59, 0, v44
	v_cndmask_b32_e64 v45, 0, v45, s[34:35]
	v_exp_f32_e32 v49, v49
	v_mul_f32_e32 v46, 0x3fb8aa3b, v46
	v_sub_f32_e32 v47, v47, v56
	v_add_f32_e32 v59, v59, v45
	;; [unrolled: 5-line block ×10, first 2 shown]
	v_cndmask_b32_e64 v38, 0, v38, s[12:13]
	v_exp_f32_e32 v34, v34
	v_mul_f32_e32 v35, 0x3fb8aa3b, v35
	v_add_f32_e32 v59, v59, v38
	v_cndmask_b32_e64 v39, 0, v39, s[14:15]
	v_exp_f32_e32 v35, v35
	v_add_f32_e32 v59, v59, v39
	v_cndmask_b32_e64 v36, 0, v36, s[8:9]
	v_add_f32_e32 v59, v59, v36
	v_cndmask_b32_e64 v37, 0, v37, s[10:11]
	v_add_f32_e32 v59, v59, v37
	v_cndmask_b32_e32 v34, 0, v34, vcc
	v_add_f32_e32 v59, v59, v34
	v_cndmask_b32_e64 v35, 0, v35, s[6:7]
	v_add_f32_e32 v59, v59, v35
	ds_bpermute_b32 v57, v57, v59
	s_load_dword s7, s[0:1], 0x98
	v_cmp_gt_u32_e32 vcc, 16, v55
	v_lshlrev_b32_e32 v55, 2, v54
	s_waitcnt lgkmcnt(0)
	v_add_f32_e32 v57, v59, v57
	ds_bpermute_b32 v58, v58, v57
	s_barrier
	s_waitcnt lgkmcnt(0)
	s_and_saveexec_b64 s[4:5], vcc
	s_cbranch_execz .LBB63_15
; %bb.14:
	v_add_f32_e32 v54, v57, v58
	v_lshl_or_b32 v57, v53, 6, v55
	ds_write2st64_b32 v57, v56, v54 offset1:1
.LBB63_15:
	s_or_b64 exec, exec, s[4:5]
	s_load_dword s6, s[0:1], 0x94
	s_waitcnt lgkmcnt(0)
	s_barrier
	ds_read2_b32 v[56:57], v55 offset1:16
	ds_read2_b32 v[58:59], v55 offset0:32 offset1:48
	ds_read2_b32 v[60:61], v55 offset0:64 offset1:80
	s_lshl_b32 s7, s7, 3
	s_waitcnt lgkmcnt(2)
	v_max3_f32 v54, v56, s42, v57
	s_waitcnt lgkmcnt(1)
	v_max3_f32 v54, v54, v58, v59
	v_sub_f32_e32 v56, v56, v54
	v_mul_f32_e32 v56, 0x3fb8aa3b, v56
	v_exp_f32_e32 v62, v56
	v_sub_f32_e32 v56, v57, v54
	v_mul_f32_e32 v56, 0x3fb8aa3b, v56
	v_exp_f32_e32 v63, v56
	;; [unrolled: 3-line block ×3, first 2 shown]
	ds_read2_b32 v[56:57], v55 offset0:96 offset1:112
	v_sub_f32_e32 v55, v59, v54
	v_mul_f32_e32 v55, 0x3fb8aa3b, v55
	v_exp_f32_e32 v59, v55
	s_waitcnt lgkmcnt(1)
	v_fma_f32 v55, v62, v60, 0
	v_fmac_f32_e32 v55, v63, v61
	s_waitcnt lgkmcnt(0)
	v_fmac_f32_e32 v55, v58, v56
	v_fmac_f32_e32 v55, v59, v57
	v_add_f32_e32 v56, 0x358637bd, v55
	v_div_scale_f32 v57, s[4:5], v56, v56, 1.0
	v_rcp_f32_e32 v60, v57
	s_barrier
	v_fma_f32 v61, -v57, v60, 1.0
	v_fmac_f32_e32 v60, v61, v60
	v_div_scale_f32 v61, vcc, 1.0, v56, 1.0
	v_mul_f32_e32 v64, v61, v60
	v_fma_f32 v65, -v57, v64, v61
	v_fmac_f32_e32 v64, v65, v60
	v_fma_f32 v57, -v57, v64, v61
	v_div_fmas_f32 v57, v57, v60, v64
	v_cmp_eq_u32_e32 vcc, 1, v53
	v_div_fixup_f32 v56, v57, v56, 1.0
	s_nop 0
	v_cndmask_b32_e32 v57, v62, v63, vcc
	v_cmp_eq_u32_e32 vcc, 2, v53
	s_nop 1
	v_cndmask_b32_e32 v57, v57, v58, vcc
	v_cmp_eq_u32_e32 vcc, 3, v53
	s_nop 1
	v_cndmask_b32_e32 v57, v57, v59, vcc
	v_mul_f32_e32 v56, v57, v56
	v_pk_mul_f32 v[50:51], v[56:57], v[50:51] op_sel_hi:[0,1]
	v_pk_mul_f32 v[44:45], v[56:57], v[44:45] op_sel_hi:[0,1]
	v_cvt_f16_f32_e32 v57, v50
	v_cvt_f16_f32_e32 v51, v51
	;; [unrolled: 1-line block ×4, first 2 shown]
	v_cmp_gt_u32_e32 vcc, 8, v0
	v_pack_b32_f16 v51, v57, v51
	v_lshlrev_b32_e32 v57, 3, v1
	v_pack_b32_f16 v50, v44, v45
	v_pk_mul_f32 v[44:45], v[56:57], v[46:47] op_sel_hi:[0,1]
	v_pk_mul_f32 v[46:47], v[56:57], v[48:49] op_sel_hi:[0,1]
	v_cvt_f16_f32_e32 v46, v46
	v_cvt_f16_f32_e32 v47, v47
	v_cvt_f16_f32_e32 v48, v44
	v_cvt_f16_f32_e32 v45, v45
	v_lshlrev_b32_e32 v44, 11, v53
	v_or3_b32 v44, v44, v43, v57
	v_pack_b32_f16 v46, v46, v47
	v_pack_b32_f16 v47, v48, v45
	v_pk_mul_f32 v[38:39], v[56:57], v[38:39] op_sel_hi:[0,1]
	v_pk_mul_f32 v[40:41], v[56:57], v[40:41] op_sel_hi:[0,1]
	;; [unrolled: 1-line block ×4, first 2 shown]
	ds_write2st64_b64 v44, v[50:51], v[46:47] offset1:1
	v_cvt_f16_f32_e32 v40, v40
	v_cvt_f16_f32_e32 v41, v41
	;; [unrolled: 1-line block ×8, first 2 shown]
	v_pack_b32_f16 v34, v40, v41
	v_pack_b32_f16 v35, v38, v39
	;; [unrolled: 1-line block ×4, first 2 shown]
	ds_write2st64_b64 v44, v[34:35], v[36:37] offset0:2 offset1:3
	s_and_saveexec_b64 s[4:5], vcc
	s_cbranch_execz .LBB63_17
; %bb.16:
	v_or_b32_e32 v34, s29, v0
	v_mov_b32_e32 v35, 0
	v_mov_b32_e32 v36, s7
	v_mad_u64_u32 v[36:37], s[12:13], s2, v36, v[34:35]
	v_mov_b32_e32 v34, s28
	s_load_dwordx4 s[8:11], s[0:1], 0x58
	s_mul_i32 s3, s3, s7
	v_mad_u64_u32 v[34:35], s[12:13], v36, s6, v[34:35]
	v_add_u32_e32 v37, s3, v37
	v_mov_b32_e32 v36, v35
	v_mad_u64_u32 v[36:37], s[12:13], v37, s6, v[36:37]
	v_mov_b32_e32 v35, v36
	v_lshlrev_b64 v[34:35], 2, v[34:35]
	s_waitcnt lgkmcnt(0)
	v_lshl_add_u64 v[36:37], s[10:11], 0, v[34:35]
	v_lshl_add_u64 v[34:35], s[8:9], 0, v[34:35]
	global_store_dword v[36:37], v54, off
	global_store_dword v[34:35], v55, off
.LBB63_17:
	s_or_b64 exec, exec, s[4:5]
	v_lshl_or_b32 v43, v1, 9, v43
	s_waitcnt lgkmcnt(0)
	s_barrier
	ds_read_b128 v[34:37], v43
	ds_read_b128 v[38:41], v43 offset:16
	s_waitcnt vmcnt(7) lgkmcnt(1)
	v_mfma_f32_16x16x16_f16 v[46:49], v[6:7], v[34:35], 0
	v_cmp_gt_u32_e32 vcc, 64, v0
	s_mov_b32 s3, 0
	s_and_b64 s[4:5], vcc, s[30:31]
	v_mfma_f32_16x16x16_f16 v[6:9], v[8:9], v[36:37], v[46:49]
	s_waitcnt vmcnt(6) lgkmcnt(0)
	v_mfma_f32_16x16x16_f16 v[6:9], v[2:3], v[38:39], v[6:9]
	v_mfma_f32_16x16x16_f16 v[2:5], v[4:5], v[40:41], v[6:9]
	s_nop 5
	ds_read_b128 v[6:9], v43 offset:2048
	ds_read_b128 v[34:37], v43 offset:2064
	s_waitcnt vmcnt(5) lgkmcnt(1)
	v_mfma_f32_16x16x16_f16 v[2:5], v[30:31], v[6:7], v[2:5]
	v_mfma_f32_16x16x16_f16 v[2:5], v[32:33], v[8:9], v[2:5]
	s_waitcnt vmcnt(4) lgkmcnt(0)
	v_mfma_f32_16x16x16_f16 v[2:5], v[26:27], v[34:35], v[2:5]
	v_mfma_f32_16x16x16_f16 v[2:5], v[28:29], v[36:37], v[2:5]
	ds_read_b128 v[6:9], v43 offset:4096
	ds_read_b128 v[26:29], v43 offset:4112
	s_waitcnt vmcnt(3) lgkmcnt(1)
	v_mfma_f32_16x16x16_f16 v[2:5], v[22:23], v[6:7], v[2:5]
	v_mfma_f32_16x16x16_f16 v[2:5], v[24:25], v[8:9], v[2:5]
	s_waitcnt vmcnt(2) lgkmcnt(0)
	v_mfma_f32_16x16x16_f16 v[2:5], v[18:19], v[26:27], v[2:5]
	v_mfma_f32_16x16x16_f16 v[2:5], v[20:21], v[28:29], v[2:5]
	ds_read_b128 v[6:9], v43 offset:6144
	ds_read_b128 v[18:21], v43 offset:6160
	v_mov_b32_e32 v43, 0
	s_waitcnt vmcnt(1) lgkmcnt(0)
	v_mfma_f32_16x16x16_f16 v[2:5], v[14:15], v[6:7], v[2:5]
	s_barrier
	v_mfma_f32_16x16x16_f16 v[2:5], v[16:17], v[8:9], v[2:5]
	s_waitcnt vmcnt(0)
	v_mfma_f32_16x16x16_f16 v[2:5], v[10:11], v[18:19], v[2:5]
	v_mfma_f32_16x16x16_f16 v[2:5], v[12:13], v[20:21], v[2:5]
	s_nop 6
	v_cvt_f16_f32_e32 v2, v2
	v_cvt_f16_f32_e32 v3, v3
	;; [unrolled: 1-line block ×4, first 2 shown]
	v_pack_b32_f16 v2, v2, v3
	v_pack_b32_f16 v3, v4, v5
	ds_write_b64 v44, v[2:3]
	s_waitcnt lgkmcnt(0)
	s_barrier
	s_and_saveexec_b64 s[8:9], s[4:5]
	s_cbranch_execz .LBB63_19
; %bb.18:
	s_load_dwordx2 s[0:1], s[0:1], 0x68
	s_lshl_b32 s6, s6, 6
	s_mul_i32 s2, s7, s2
	s_mul_hi_u32 s5, s2, s6
	s_mul_i32 s4, s2, s6
	s_lshl_b64 s[4:5], s[4:5], 1
	v_lshlrev_b32_e32 v0, 10, v0
	s_waitcnt lgkmcnt(0)
	s_add_u32 s4, s0, s4
	v_and_b32_e32 v0, 0x1800, v0
	v_lshlrev_b32_e32 v2, 5, v1
	v_and_b32_e32 v3, 16, v52
	s_addc_u32 s5, s1, s5
	s_lshl_b32 s2, s28, 6
	v_or3_b32 v0, v0, v2, v3
	s_lshl_b64 s[0:1], s[2:3], 1
	ds_read_b128 v[2:5], v0
	ds_read_b128 v[6:9], v0 offset:128
	s_add_u32 s0, s4, s0
	s_addc_u32 s1, s5, s1
	v_or_b32_e32 v12, s29, v1
	v_lshl_add_u64 v[10:11], s[0:1], 0, v[42:43]
	v_mad_u64_u32 v[0:1], s[0:1], v12, s6, 0
	v_lshl_add_u64 v[0:1], v[0:1], 1, v[10:11]
	s_waitcnt lgkmcnt(1)
	global_store_dwordx4 v[0:1], v[2:5], off
	v_or_b32_e32 v0, 4, v12
	v_mad_u64_u32 v[0:1], s[0:1], v0, s6, 0
	v_lshl_add_u64 v[0:1], v[0:1], 1, v[10:11]
	s_waitcnt lgkmcnt(0)
	global_store_dwordx4 v[0:1], v[6:9], off
.LBB63_19:
	s_endpgm
	.section	.rodata,"a",@progbits
	.p2align	6, 0x0
	.amdhsa_kernel _Z39paged_attention_ll4mi_QKV_mfma16_kernelIDF16_DF16_LN4vllm18Fp8KVCacheDataTypeE0EDF16_Li16ELi64ELi256ELb1ELi8EEvPKT_PKT0_S7_ifPKiS9_S9_iPKfiiiPfSC_PS2_PT2_iSB_SB_
		.amdhsa_group_segment_fixed_size 8192
		.amdhsa_private_segment_fixed_size 0
		.amdhsa_kernarg_size 400
		.amdhsa_user_sgpr_count 2
		.amdhsa_user_sgpr_dispatch_ptr 0
		.amdhsa_user_sgpr_queue_ptr 0
		.amdhsa_user_sgpr_kernarg_segment_ptr 1
		.amdhsa_user_sgpr_dispatch_id 0
		.amdhsa_user_sgpr_kernarg_preload_length 0
		.amdhsa_user_sgpr_kernarg_preload_offset 0
		.amdhsa_user_sgpr_private_segment_size 0
		.amdhsa_uses_dynamic_stack 0
		.amdhsa_enable_private_segment 0
		.amdhsa_system_sgpr_workgroup_id_x 1
		.amdhsa_system_sgpr_workgroup_id_y 1
		.amdhsa_system_sgpr_workgroup_id_z 1
		.amdhsa_system_sgpr_workgroup_info 0
		.amdhsa_system_vgpr_workitem_id 0
		.amdhsa_next_free_vgpr 72
		.amdhsa_next_free_sgpr 48
		.amdhsa_accum_offset 72
		.amdhsa_reserve_vcc 1
		.amdhsa_float_round_mode_32 0
		.amdhsa_float_round_mode_16_64 0
		.amdhsa_float_denorm_mode_32 3
		.amdhsa_float_denorm_mode_16_64 3
		.amdhsa_dx10_clamp 1
		.amdhsa_ieee_mode 1
		.amdhsa_fp16_overflow 0
		.amdhsa_tg_split 0
		.amdhsa_exception_fp_ieee_invalid_op 0
		.amdhsa_exception_fp_denorm_src 0
		.amdhsa_exception_fp_ieee_div_zero 0
		.amdhsa_exception_fp_ieee_overflow 0
		.amdhsa_exception_fp_ieee_underflow 0
		.amdhsa_exception_fp_ieee_inexact 0
		.amdhsa_exception_int_div_zero 0
	.end_amdhsa_kernel
	.section	.text._Z39paged_attention_ll4mi_QKV_mfma16_kernelIDF16_DF16_LN4vllm18Fp8KVCacheDataTypeE0EDF16_Li16ELi64ELi256ELb1ELi8EEvPKT_PKT0_S7_ifPKiS9_S9_iPKfiiiPfSC_PS2_PT2_iSB_SB_,"axG",@progbits,_Z39paged_attention_ll4mi_QKV_mfma16_kernelIDF16_DF16_LN4vllm18Fp8KVCacheDataTypeE0EDF16_Li16ELi64ELi256ELb1ELi8EEvPKT_PKT0_S7_ifPKiS9_S9_iPKfiiiPfSC_PS2_PT2_iSB_SB_,comdat
.Lfunc_end63:
	.size	_Z39paged_attention_ll4mi_QKV_mfma16_kernelIDF16_DF16_LN4vllm18Fp8KVCacheDataTypeE0EDF16_Li16ELi64ELi256ELb1ELi8EEvPKT_PKT0_S7_ifPKiS9_S9_iPKfiiiPfSC_PS2_PT2_iSB_SB_, .Lfunc_end63-_Z39paged_attention_ll4mi_QKV_mfma16_kernelIDF16_DF16_LN4vllm18Fp8KVCacheDataTypeE0EDF16_Li16ELi64ELi256ELb1ELi8EEvPKT_PKT0_S7_ifPKiS9_S9_iPKfiiiPfSC_PS2_PT2_iSB_SB_
                                        ; -- End function
	.section	.AMDGPU.csdata,"",@progbits
; Kernel info:
; codeLenInByte = 4016
; NumSgprs: 54
; NumVgprs: 72
; NumAgprs: 0
; TotalNumVgprs: 72
; ScratchSize: 0
; MemoryBound: 0
; FloatMode: 240
; IeeeMode: 1
; LDSByteSize: 8192 bytes/workgroup (compile time only)
; SGPRBlocks: 6
; VGPRBlocks: 8
; NumSGPRsForWavesPerEU: 54
; NumVGPRsForWavesPerEU: 72
; AccumOffset: 72
; Occupancy: 7
; WaveLimiterHint : 1
; COMPUTE_PGM_RSRC2:SCRATCH_EN: 0
; COMPUTE_PGM_RSRC2:USER_SGPR: 2
; COMPUTE_PGM_RSRC2:TRAP_HANDLER: 0
; COMPUTE_PGM_RSRC2:TGID_X_EN: 1
; COMPUTE_PGM_RSRC2:TGID_Y_EN: 1
; COMPUTE_PGM_RSRC2:TGID_Z_EN: 1
; COMPUTE_PGM_RSRC2:TIDIG_COMP_CNT: 0
; COMPUTE_PGM_RSRC3_GFX90A:ACCUM_OFFSET: 17
; COMPUTE_PGM_RSRC3_GFX90A:TG_SPLIT: 0
	.section	.text._Z39paged_attention_ll4mi_QKV_mfma16_kernelIDF16_DF16_LN4vllm18Fp8KVCacheDataTypeE0EDF16_Li16ELi64ELi256ELb1ELi9EEvPKT_PKT0_S7_ifPKiS9_S9_iPKfiiiPfSC_PS2_PT2_iSB_SB_,"axG",@progbits,_Z39paged_attention_ll4mi_QKV_mfma16_kernelIDF16_DF16_LN4vllm18Fp8KVCacheDataTypeE0EDF16_Li16ELi64ELi256ELb1ELi9EEvPKT_PKT0_S7_ifPKiS9_S9_iPKfiiiPfSC_PS2_PT2_iSB_SB_,comdat
	.protected	_Z39paged_attention_ll4mi_QKV_mfma16_kernelIDF16_DF16_LN4vllm18Fp8KVCacheDataTypeE0EDF16_Li16ELi64ELi256ELb1ELi9EEvPKT_PKT0_S7_ifPKiS9_S9_iPKfiiiPfSC_PS2_PT2_iSB_SB_ ; -- Begin function _Z39paged_attention_ll4mi_QKV_mfma16_kernelIDF16_DF16_LN4vllm18Fp8KVCacheDataTypeE0EDF16_Li16ELi64ELi256ELb1ELi9EEvPKT_PKT0_S7_ifPKiS9_S9_iPKfiiiPfSC_PS2_PT2_iSB_SB_
	.globl	_Z39paged_attention_ll4mi_QKV_mfma16_kernelIDF16_DF16_LN4vllm18Fp8KVCacheDataTypeE0EDF16_Li16ELi64ELi256ELb1ELi9EEvPKT_PKT0_S7_ifPKiS9_S9_iPKfiiiPfSC_PS2_PT2_iSB_SB_
	.p2align	8
	.type	_Z39paged_attention_ll4mi_QKV_mfma16_kernelIDF16_DF16_LN4vllm18Fp8KVCacheDataTypeE0EDF16_Li16ELi64ELi256ELb1ELi9EEvPKT_PKT0_S7_ifPKiS9_S9_iPKfiiiPfSC_PS2_PT2_iSB_SB_,@function
_Z39paged_attention_ll4mi_QKV_mfma16_kernelIDF16_DF16_LN4vllm18Fp8KVCacheDataTypeE0EDF16_Li16ELi64ELi256ELb1ELi9EEvPKT_PKT0_S7_ifPKiS9_S9_iPKfiiiPfSC_PS2_PT2_iSB_SB_: ; @_Z39paged_attention_ll4mi_QKV_mfma16_kernelIDF16_DF16_LN4vllm18Fp8KVCacheDataTypeE0EDF16_Li16ELi64ELi256ELb1ELi9EEvPKT_PKT0_S7_ifPKiS9_S9_iPKfiiiPfSC_PS2_PT2_iSB_SB_
; %bb.0:
	s_load_dwordx2 s[8:9], s[0:1], 0x30
	s_mov_b32 s28, s3
	s_mov_b64 s[6:7], 0
	s_waitcnt lgkmcnt(0)
	s_cmp_lg_u64 s[8:9], 0
	s_cselect_b64 s[10:11], -1, 0
	s_and_b64 vcc, exec, s[10:11]
	s_cbranch_vccz .LBB64_7
; %bb.1:
	s_add_i32 s12, s2, 1
	s_mov_b32 s13, 0
	s_lshl_b64 s[14:15], s[12:13], 2
	s_add_u32 s14, s8, s14
	s_mov_b32 s3, s13
	s_addc_u32 s15, s9, s15
	s_lshl_b64 s[12:13], s[2:3], 2
	s_add_u32 s12, s8, s12
	s_addc_u32 s13, s9, s13
	s_load_dword s5, s[14:15], 0x0
	s_load_dword s16, s[12:13], 0x0
	s_waitcnt lgkmcnt(0)
	s_sub_i32 s5, s5, s16
	s_cmp_eq_u32 s5, 1
	s_cselect_b64 s[12:13], -1, 0
	s_andn2_b64 vcc, exec, s[6:7]
	s_cbranch_vccnz .LBB64_3
.LBB64_2:
	s_mov_b32 s3, 0
	s_mov_b64 s[12:13], -1
.LBB64_3:
	s_andn2_b64 vcc, exec, s[12:13]
	s_cbranch_vccnz .LBB64_20
; %bb.4:
	s_load_dwordx2 s[6:7], s[0:1], 0x28
	s_lshl_b64 s[12:13], s[2:3], 2
	s_waitcnt lgkmcnt(0)
	s_add_u32 s6, s6, s12
	s_addc_u32 s7, s7, s13
	s_load_dword s29, s[6:7], 0x0
	s_lshl_b32 s16, s28, 8
	s_waitcnt lgkmcnt(0)
	s_cmp_ge_i32 s16, s29
	s_cbranch_scc1 .LBB64_20
; %bb.5:
	s_load_dwordx2 s[6:7], s[0:1], 0x20
	s_load_dword s5, s[0:1], 0x38
	s_add_i32 s14, s29, 15
	s_ashr_i32 s15, s14, 31
	v_and_b32_e32 v1, 0xcf, v0
	s_lshr_b32 s15, s15, 28
	v_add_u32_e32 v1, s16, v1
	s_add_i32 s14, s14, s15
	v_ashrrev_i32_e32 v2, 31, v1
	s_ashr_i32 s17, s14, 4
	v_lshrrev_b32_e32 v6, 28, v2
	s_add_i32 s17, s17, -1
	s_waitcnt lgkmcnt(0)
	s_mul_i32 s14, s2, s5
	s_mov_b32 s15, 0
	v_add_u32_e32 v2, v1, v6
	s_lshl_b64 s[14:15], s[14:15], 2
	v_ashrrev_i32_e32 v2, 4, v2
	v_mov_b32_e32 v7, s17
	v_cmp_gt_i32_e32 vcc, s29, v1
	s_add_u32 s6, s6, s14
	s_addc_u32 s7, s7, s15
	v_cndmask_b32_e32 v2, v7, v2, vcc
	v_ashrrev_i32_e32 v3, 31, v2
	v_lshl_add_u64 v[4:5], v[2:3], 2, s[6:7]
	v_or_b32_e32 v2, 16, v1
	v_add_u32_e32 v3, v2, v6
	v_ashrrev_i32_e32 v3, 4, v3
	v_cmp_gt_i32_e32 vcc, s29, v2
	s_load_dwordx2 s[14:15], s[0:1], 0x8
	s_nop 0
	v_cndmask_b32_e32 v2, v7, v3, vcc
	v_ashrrev_i32_e32 v3, 31, v2
	v_lshl_add_u64 v[8:9], v[2:3], 2, s[6:7]
	v_or_b32_e32 v2, 32, v1
	v_add_u32_e32 v3, v2, v6
	v_ashrrev_i32_e32 v3, 4, v3
	v_cmp_gt_i32_e32 vcc, s29, v2
	v_or_b32_e32 v1, 48, v1
	s_nop 0
	v_cndmask_b32_e32 v2, v7, v3, vcc
	v_ashrrev_i32_e32 v3, 31, v2
	v_lshl_add_u64 v[10:11], v[2:3], 2, s[6:7]
	v_add_u32_e32 v2, v1, v6
	v_ashrrev_i32_e32 v2, 4, v2
	v_cmp_gt_i32_e32 vcc, s29, v1
	s_nop 1
	v_cndmask_b32_e32 v2, v7, v2, vcc
	v_ashrrev_i32_e32 v3, 31, v2
	v_lshl_add_u64 v[12:13], v[2:3], 2, s[6:7]
	global_load_dword v3, v[4:5], off
	global_load_dword v2, v[8:9], off
	;; [unrolled: 1-line block ×4, first 2 shown]
	s_andn2_b64 vcc, exec, s[10:11]
	s_cbranch_vccnz .LBB64_8
; %bb.6:
	s_add_u32 s8, s8, s12
	s_addc_u32 s9, s9, s13
	s_load_dword s5, s[8:9], 0x0
	s_branch .LBB64_9
.LBB64_7:
	s_mov_b64 s[12:13], 0
	s_branch .LBB64_2
.LBB64_8:
	s_mov_b32 s5, s2
.LBB64_9:
	s_load_dwordx2 s[8:9], s[0:1], 0x10
	s_load_dwordx4 s[44:47], s[0:1], 0x48
	v_lshrrev_b32_e32 v45, 6, v0
	v_bfe_u32 v54, v0, 4, 2
	v_lshl_or_b32 v1, v45, 2, v54
	v_and_b32_e32 v44, 15, v0
	v_lshlrev_b32_e32 v4, 3, v44
	v_cmp_gt_u32_e32 vcc, 9, v1
	v_cmp_gt_u32_e64 s[30:31], 8, v44
	s_mul_i32 s42, s4, 9
	s_and_b64 s[12:13], s[30:31], vcc
	v_lshlrev_b32_e32 v42, 1, v4
	s_and_saveexec_b64 s[10:11], s[12:13]
	s_cbranch_execz .LBB64_11
; %bb.10:
	s_load_dwordx2 s[12:13], s[0:1], 0x0
	s_waitcnt lgkmcnt(0)
	s_ashr_i32 s18, s44, 31
	s_mul_hi_u32 s19, s5, s44
	s_mul_i32 s18, s5, s18
	s_add_i32 s19, s19, s18
	s_mul_i32 s18, s5, s44
	s_lshl_b64 s[18:19], s[18:19], 1
	s_add_u32 s12, s12, s18
	v_add_lshl_u32 v4, v1, s42, 6
	s_addc_u32 s13, s13, s19
	v_ashrrev_i32_e32 v5, 31, v4
	v_lshl_add_u64 v[4:5], v[4:5], 1, s[12:13]
	v_mov_b32_e32 v43, 0
	v_lshl_add_u64 v[4:5], v[4:5], 0, v[42:43]
	global_load_dwordx4 v[8:11], v[4:5], off
	v_and_b32_e32 v4, 3, v0
	v_lshlrev_b32_e32 v5, 9, v44
	v_lshlrev_b32_e32 v1, 5, v1
	;; [unrolled: 1-line block ×3, first 2 shown]
	v_and_b32_e32 v5, 0x1800, v5
	v_or3_b32 v1, v5, v4, v1
	s_waitcnt vmcnt(0)
	ds_write_b128 v1, v[8:11]
.LBB64_11:
	s_or_b64 exec, exec, s[10:11]
	s_waitcnt lgkmcnt(0)
	s_mul_i32 s4, s4, s46
	s_mov_b32 s5, 0
	s_lshl_b64 s[4:5], s[4:5], 1
	s_add_u32 s10, s14, s4
	v_lshlrev_b32_e32 v1, 4, v0
	s_addc_u32 s11, s15, s5
	v_and_b32_e32 v46, 0xf0, v1
	v_mov_b32_e32 v47, 0
	v_lshl_add_u64 v[16:17], s[10:11], 0, v[46:47]
	s_waitcnt vmcnt(3)
	v_mad_i64_i32 v[4:5], s[10:11], v3, s45, 0
	s_waitcnt vmcnt(2)
	v_mad_i64_i32 v[2:3], s[10:11], v2, s45, 0
	;; [unrolled: 2-line block ×3, first 2 shown]
	v_lshl_add_u64 v[4:5], v[4:5], 1, v[16:17]
	v_and_b32_e32 v46, 0x300, v1
	v_lshl_add_u64 v[2:3], v[2:3], 1, v[16:17]
	v_lshl_add_u64 v[6:7], v[6:7], 1, v[16:17]
	s_waitcnt vmcnt(0)
	v_mad_i64_i32 v[14:15], s[10:11], v14, s45, 0
	v_lshl_add_u64 v[4:5], v[4:5], 0, v[46:47]
	v_lshl_add_u64 v[8:9], v[2:3], 0, v[46:47]
	;; [unrolled: 1-line block ×4, first 2 shown]
	s_barrier
	global_load_dwordx4 v[30:33], v[4:5], off
	global_load_dwordx4 v[10:13], v[4:5], off offset:1024
	global_load_dwordx4 v[22:25], v[8:9], off
	s_nop 0
	global_load_dwordx4 v[2:5], v[8:9], off offset:1024
	global_load_dwordx4 v[26:29], v[18:19], off
	s_nop 0
	global_load_dwordx4 v[6:9], v[18:19], off offset:1024
	v_lshl_add_u64 v[18:19], v[14:15], 0, v[46:47]
	global_load_dwordx4 v[34:37], v[18:19], off
	global_load_dwordx4 v[14:17], v[18:19], off offset:1024
	v_add_u32_e32 v18, -9, v44
	v_cmp_gt_u32_e32 vcc, 9, v44
	v_and_b32_e32 v55, 63, v0
	v_mov_b32_e32 v56, 0
	v_cndmask_b32_e32 v18, v18, v44, vcc
	v_lshlrev_b32_e32 v18, 5, v18
	v_lshl_add_u32 v18, v54, 9, v18
	ds_read_b128 v[38:41], v18
	ds_read_b128 v[18:21], v18 offset:2048
	s_and_saveexec_b64 s[10:11], vcc
	s_cbranch_execz .LBB64_13
; %bb.12:
	s_load_dwordx2 s[12:13], s[0:1], 0x40
	v_add_u32_e32 v48, s42, v44
	v_ashrrev_i32_e32 v49, 31, v48
	s_waitcnt lgkmcnt(0)
	v_lshl_add_u64 v[48:49], v[48:49], 2, s[12:13]
	global_load_dword v56, v[48:49], off
.LBB64_13:
	s_or_b64 exec, exec, s[10:11]
	v_and_or_b32 v46, v0, 48, s16
	v_ashrrev_i32_e32 v43, 4, v46
	v_mov_b32_e32 v57, s17
	v_cmp_gt_i32_e32 vcc, s29, v46
	s_waitcnt vmcnt(5) lgkmcnt(1)
	v_mfma_f32_16x16x16_f16 v[58:61], v[22:23], v[38:39], 0
	s_load_dword s10, s[0:1], 0x1c
	v_cndmask_b32_e32 v48, v57, v43, vcc
	v_ashrrev_i32_e32 v49, 31, v48
	v_or_b32_e32 v43, 64, v46
	v_lshl_add_u64 v[52:53], v[48:49], 2, s[6:7]
	v_mfma_f32_16x16x16_f16 v[48:51], v[30:31], v[38:39], 0
	v_ashrrev_i32_e32 v30, 4, v43
	v_cmp_gt_i32_e32 vcc, s29, v43
	global_load_dword v70, v[52:53], off
	s_waitcnt vmcnt(4)
	v_mfma_f32_16x16x16_f16 v[62:65], v[26:27], v[38:39], 0
	v_cndmask_b32_e32 v30, v57, v30, vcc
	v_ashrrev_i32_e32 v31, 31, v30
	v_lshl_add_u64 v[22:23], v[30:31], 2, s[6:7]
	global_load_dword v71, v[22:23], off
	v_mfma_f32_16x16x16_f16 v[22:25], v[24:25], v[40:41], v[58:61]
	v_and_b32_e32 v26, 0xc0, v0
	s_add_u32 s4, s8, s4
	v_lshlrev_b32_e32 v43, 5, v44
	v_mfma_f32_16x16x16_f16 v[30:33], v[32:33], v[40:41], v[48:51]
	s_addc_u32 s5, s9, s5
	s_mov_b32 s33, 0xff7fffff
	s_waitcnt vmcnt(3)
	v_mfma_f32_16x16x16_f16 v[66:69], v[34:35], v[38:39], 0
	v_or_b32_e32 v38, 0x80, v46
	v_add_u32_e32 v48, s16, v26
	v_or_b32_e32 v39, 0xc0, v46
	v_mfma_f32_16x16x16_f16 v[26:29], v[28:29], v[40:41], v[62:65]
	v_ashrrev_i32_e32 v49, 4, v38
	v_cmp_gt_i32_e32 vcc, s29, v38
	v_ashrrev_i32_e32 v50, 4, v39
	s_waitcnt lgkmcnt(0)
	v_mfma_f32_16x16x16_f16 v[22:25], v[2:3], v[18:19], v[22:25]
	v_cndmask_b32_e32 v38, v57, v49, vcc
	v_cmp_gt_i32_e32 vcc, s29, v39
	v_ashrrev_i32_e32 v39, 31, v38
	v_mfma_f32_16x16x16_f16 v[30:33], v[10:11], v[18:19], v[30:33]
	v_cndmask_b32_e32 v10, v57, v50, vcc
	v_ashrrev_i32_e32 v11, 31, v10
	v_lshl_or_b32 v58, v54, 2, v48
	v_mfma_f32_16x16x16_f16 v[26:29], v[6:7], v[18:19], v[26:29]
	v_lshl_add_u64 v[6:7], v[38:39], 2, s[6:7]
	v_lshl_add_u64 v[38:39], v[10:11], 2, s[6:7]
	v_or_b32_e32 v57, 1, v58
	v_mfma_f32_16x16x16_f16 v[2:5], v[4:5], v[20:21], v[22:25]
	s_nop 2
	global_load_dword v22, v[6:7], off
	global_load_dword v61, v[38:39], off
	v_subrev_u32_e32 v59, s29, v57
	v_cvt_f32_i32_e32 v60, v59
	v_mfma_f32_16x16x16_f16 v[34:37], v[36:37], v[40:41], v[66:69]
	v_pk_mul_f32 v[48:49], s[10:11], v[4:5] op_sel_hi:[0,1]
	v_lshl_or_b32 v46, v45, 9, v43
	v_lshl_add_u64 v[46:47], s[4:5], 0, v[46:47]
	s_waitcnt vmcnt(4)
	v_mfma_f32_16x16x16_f16 v[34:37], v[14:15], v[18:19], v[34:37]
	v_add_u32_e32 v14, 1, v59
	v_add_u32_e32 v15, 2, v59
	v_cvt_f32_i32_e32 v23, v14
	v_cvt_f32_i32_e32 v24, v15
	v_mfma_f32_16x16x16_f16 v[14:17], v[16:17], v[20:21], v[34:37]
	v_add_u32_e32 v18, 3, v59
	v_cvt_f32_i32_e32 v18, v18
	v_pk_mul_f32 v[50:51], s[10:11], v[2:3] op_sel_hi:[0,1]
	v_mfma_f32_16x16x16_f16 v[10:13], v[12:13], v[20:21], v[30:33]
	v_cmp_gt_i32_e64 s[34:35], s29, v57
	s_nop 1
	v_pk_mul_f32 v[36:37], s[10:11], v[14:15] op_sel_hi:[0,1]
	v_add_u32_e32 v15, 19, v59
	v_add_u32_e32 v31, 18, v59
	v_cvt_f32_i32_e32 v14, v31
	v_cvt_f32_i32_e32 v15, v15
	v_mfma_f32_16x16x16_f16 v[6:9], v[8:9], v[20:21], v[26:29]
	v_pk_mul_f32 v[34:35], s[10:11], v[16:17] op_sel_hi:[0,1]
	v_fma_f32 v48, v56, v14, v48
	v_add_u32_e32 v14, 32, v59
	v_fmac_f32_e32 v49, v56, v15
	v_cvt_f32_i32_e32 v14, v14
	v_add_u32_e32 v15, 33, v59
	v_add_u32_e32 v16, 34, v59
	v_cvt_f32_i32_e32 v15, v15
	v_cvt_f32_i32_e32 v16, v16
	v_add_u32_e32 v17, 35, v59
	v_cvt_f32_i32_e32 v17, v17
	v_pk_mul_f32 v[40:41], s[10:11], v[6:7] op_sel_hi:[0,1]
	v_pk_mul_f32 v[38:39], s[10:11], v[8:9] op_sel_hi:[0,1]
	v_fma_f32 v40, v56, v14, v40
	v_add_u32_e32 v14, 48, v59
	v_fmac_f32_e32 v41, v56, v15
	v_fma_f32 v38, v56, v16, v38
	v_cvt_f32_i32_e32 v14, v14
	v_add_u32_e32 v15, 49, v59
	v_add_u32_e32 v16, 50, v59
	v_fmac_f32_e32 v39, v56, v17
	v_cvt_f32_i32_e32 v15, v15
	v_cvt_f32_i32_e32 v16, v16
	v_add_u32_e32 v17, 51, v59
	v_cvt_f32_i32_e32 v17, v17
	v_pk_mul_f32 v[52:53], s[10:11], v[12:13] op_sel_hi:[0,1]
	v_pk_mul_f32 v[10:11], s[10:11], v[10:11] op_sel_hi:[0,1]
	s_waitcnt vmcnt(3)
	v_mad_i64_i32 v[2:3], s[4:5], v70, s45, 0
	s_waitcnt vmcnt(2)
	v_mad_i64_i32 v[12:13], s[4:5], v71, s45, 0
	v_fma_f32 v10, v56, v60, v10
	v_fmac_f32_e32 v11, v56, v23
	v_fma_f32 v36, v56, v14, v36
	v_mov_b32_e32 v14, 0xff7fffff
	v_cmp_gt_i32_e64 s[4:5], s29, v58
	v_add_u32_e32 v19, 16, v59
	v_add_u32_e32 v30, 17, v59
	v_fmac_f32_e32 v37, v56, v15
	v_fma_f32 v34, v56, v16, v34
	v_cndmask_b32_e64 v15, v14, v10, s[4:5]
	v_cndmask_b32_e64 v16, v14, v11, s[34:35]
	v_cvt_f32_i32_e32 v19, v19
	v_cvt_f32_i32_e32 v25, v30
	v_fmac_f32_e32 v35, v56, v17
	v_max3_f32 v15, v15, s33, v16
	v_or_b32_e32 v16, 2, v58
	v_or_b32_e32 v17, 3, v58
	v_fma_f32 v52, v56, v24, v52
	v_fmac_f32_e32 v53, v56, v18
	v_cmp_gt_i32_e64 s[36:37], s29, v16
	v_cmp_gt_i32_e64 s[38:39], s29, v17
	v_fma_f32 v50, v56, v19, v50
	v_cndmask_b32_e64 v16, v14, v52, s[36:37]
	v_cndmask_b32_e64 v17, v14, v53, s[38:39]
	v_max3_f32 v15, v15, v16, v17
	v_or_b32_e32 v16, 16, v58
	v_or_b32_e32 v17, 17, v58
	v_fmac_f32_e32 v51, v56, v25
	v_cmp_gt_i32_e64 s[24:25], s29, v16
	v_cmp_gt_i32_e64 s[26:27], s29, v17
	v_lshl_add_u64 v[2:3], v[2:3], 1, v[46:47]
	v_cndmask_b32_e64 v16, v14, v50, s[24:25]
	v_cndmask_b32_e64 v17, v14, v51, s[26:27]
	v_max3_f32 v15, v15, v16, v17
	v_or_b32_e32 v16, 18, v58
	v_or_b32_e32 v17, 19, v58
	v_cmp_gt_i32_e64 s[20:21], s29, v16
	v_cmp_gt_i32_e64 s[22:23], s29, v17
	v_lshl_add_u64 v[12:13], v[12:13], 1, v[46:47]
	v_cndmask_b32_e64 v16, v14, v48, s[20:21]
	v_cndmask_b32_e64 v17, v14, v49, s[22:23]
	v_max3_f32 v15, v15, v16, v17
	v_or_b32_e32 v16, 32, v58
	v_or_b32_e32 v17, 33, v58
	v_cmp_gt_i32_e64 s[16:17], s29, v16
	v_cmp_gt_i32_e64 s[18:19], s29, v17
	global_load_dwordx4 v[6:9], v[2:3], off
	s_nop 0
	global_load_dwordx4 v[2:5], v[2:3], off offset:16
	v_cndmask_b32_e64 v16, v14, v40, s[16:17]
	v_cndmask_b32_e64 v17, v14, v41, s[18:19]
	v_max3_f32 v15, v15, v16, v17
	v_or_b32_e32 v16, 34, v58
	v_or_b32_e32 v17, 35, v58
	v_cmp_gt_i32_e64 s[12:13], s29, v16
	v_cmp_gt_i32_e64 s[14:15], s29, v17
	global_load_dwordx4 v[30:33], v[12:13], off
	global_load_dwordx4 v[26:29], v[12:13], off offset:16
	v_cndmask_b32_e64 v16, v14, v38, s[12:13]
	v_cndmask_b32_e64 v17, v14, v39, s[14:15]
	v_max3_f32 v15, v15, v16, v17
	v_or_b32_e32 v16, 48, v58
	v_or_b32_e32 v17, 49, v58
	v_cmp_gt_i32_e64 s[8:9], s29, v16
	v_cmp_gt_i32_e64 s[10:11], s29, v17
	s_nop 0
	v_cndmask_b32_e64 v16, v14, v36, s[8:9]
	v_cndmask_b32_e64 v17, v14, v37, s[10:11]
	v_max3_f32 v15, v15, v16, v17
	v_or_b32_e32 v16, 50, v58
	v_or_b32_e32 v17, 51, v58
	v_cmp_gt_i32_e32 vcc, s29, v16
	v_cmp_gt_i32_e64 s[6:7], s29, v17
	s_nop 0
	v_cndmask_b32_e32 v16, v14, v34, vcc
	v_cndmask_b32_e64 v14, v14, v35, s[6:7]
	v_max3_f32 v14, v15, v16, v14
	v_mbcnt_lo_u32_b32 v15, -1, 0
	v_mbcnt_hi_u32_b32 v15, -1, v15
	v_and_b32_e32 v16, 64, v15
	v_add_u32_e32 v16, 64, v16
	v_xor_b32_e32 v17, 32, v15
	v_cmp_lt_i32_e64 s[40:41], v17, v16
	s_nop 1
	v_cndmask_b32_e64 v17, v15, v17, s[40:41]
	v_lshlrev_b32_e32 v57, 2, v17
	ds_bpermute_b32 v17, v57, v14
	s_waitcnt vmcnt(5)
	v_mad_i64_i32 v[12:13], s[40:41], v22, s45, 0
	v_lshl_add_u64 v[12:13], v[12:13], 1, v[46:47]
	global_load_dwordx4 v[22:25], v[12:13], off
	global_load_dwordx4 v[18:21], v[12:13], off offset:16
	s_waitcnt lgkmcnt(0)
	v_max_f32_e32 v17, v17, v17
	v_max_f32_e32 v14, v14, v17
	v_xor_b32_e32 v17, 16, v15
	v_cmp_lt_i32_e64 s[40:41], v17, v16
	s_nop 1
	v_cndmask_b32_e64 v15, v15, v17, s[40:41]
	v_lshlrev_b32_e32 v59, 2, v15
	ds_bpermute_b32 v15, v59, v14
	s_waitcnt vmcnt(6)
	v_mad_i64_i32 v[12:13], s[40:41], v61, s45, 0
	v_lshl_add_u64 v[12:13], v[12:13], 1, v[46:47]
	s_waitcnt lgkmcnt(0)
	v_max_f32_e32 v15, v15, v15
	v_max_f32_e32 v56, v14, v15
	v_sub_f32_e32 v10, v10, v56
	v_mul_f32_e32 v10, 0x3fb8aa3b, v10
	v_exp_f32_e32 v46, v10
	v_sub_f32_e32 v10, v11, v56
	v_mul_f32_e32 v10, 0x3fb8aa3b, v10
	v_exp_f32_e32 v47, v10
	global_load_dwordx4 v[14:17], v[12:13], off
	s_nop 0
	global_load_dwordx4 v[10:13], v[12:13], off offset:16
	v_sub_f32_e32 v52, v52, v56
	v_mul_f32_e32 v52, 0x3fb8aa3b, v52
	v_sub_f32_e32 v53, v53, v56
	v_exp_f32_e32 v52, v52
	v_mul_f32_e32 v53, 0x3fb8aa3b, v53
	v_sub_f32_e32 v50, v50, v56
	v_exp_f32_e32 v53, v53
	v_mul_f32_e32 v50, 0x3fb8aa3b, v50
	v_sub_f32_e32 v51, v51, v56
	v_cndmask_b32_e64 v46, 0, v46, s[4:5]
	v_exp_f32_e32 v50, v50
	v_mul_f32_e32 v51, 0x3fb8aa3b, v51
	v_sub_f32_e32 v48, v48, v56
	v_add_f32_e32 v58, 0, v46
	v_cndmask_b32_e64 v47, 0, v47, s[34:35]
	v_exp_f32_e32 v51, v51
	v_mul_f32_e32 v48, 0x3fb8aa3b, v48
	v_sub_f32_e32 v49, v49, v56
	v_add_f32_e32 v58, v58, v47
	;; [unrolled: 5-line block ×10, first 2 shown]
	v_cndmask_b32_e64 v38, 0, v38, s[12:13]
	v_exp_f32_e32 v34, v34
	v_mul_f32_e32 v35, 0x3fb8aa3b, v35
	v_add_f32_e32 v58, v58, v38
	v_cndmask_b32_e64 v39, 0, v39, s[14:15]
	v_exp_f32_e32 v35, v35
	v_add_f32_e32 v58, v58, v39
	v_cndmask_b32_e64 v36, 0, v36, s[8:9]
	v_add_f32_e32 v58, v58, v36
	v_cndmask_b32_e64 v37, 0, v37, s[10:11]
	v_add_f32_e32 v58, v58, v37
	v_cndmask_b32_e32 v34, 0, v34, vcc
	v_add_f32_e32 v58, v58, v34
	v_cndmask_b32_e64 v35, 0, v35, s[6:7]
	v_add_f32_e32 v58, v58, v35
	ds_bpermute_b32 v57, v57, v58
	s_load_dword s9, s[0:1], 0x98
	v_cmp_gt_u32_e64 s[6:7], 16, v55
	s_waitcnt lgkmcnt(0)
	s_barrier
	v_add_f32_e32 v58, v58, v57
	ds_bpermute_b32 v59, v59, v58
	v_lshlrev_b32_e32 v57, 2, v44
	s_waitcnt lgkmcnt(0)
	s_and_saveexec_b64 s[4:5], s[6:7]
	s_cbranch_execz .LBB64_15
; %bb.14:
	v_add_f32_e32 v55, v58, v59
	v_lshl_or_b32 v58, v45, 6, v57
	ds_write2st64_b32 v58, v56, v55 offset1:1
.LBB64_15:
	s_or_b64 exec, exec, s[4:5]
	s_load_dword s8, s[0:1], 0x94
	s_waitcnt lgkmcnt(0)
	s_barrier
	ds_read2_b32 v[58:59], v57 offset1:16
	ds_read2_b32 v[60:61], v57 offset0:32 offset1:48
	ds_read2_b32 v[62:63], v57 offset0:64 offset1:80
	s_mul_i32 s9, s9, 9
	s_waitcnt lgkmcnt(2)
	v_max3_f32 v55, v58, s33, v59
	s_waitcnt lgkmcnt(1)
	v_max3_f32 v55, v55, v60, v61
	v_sub_f32_e32 v56, v58, v55
	v_mul_f32_e32 v56, 0x3fb8aa3b, v56
	v_exp_f32_e32 v64, v56
	v_sub_f32_e32 v56, v59, v55
	v_mul_f32_e32 v56, 0x3fb8aa3b, v56
	v_exp_f32_e32 v65, v56
	;; [unrolled: 3-line block ×3, first 2 shown]
	ds_read2_b32 v[58:59], v57 offset0:96 offset1:112
	v_sub_f32_e32 v56, v61, v55
	v_mul_f32_e32 v56, 0x3fb8aa3b, v56
	v_exp_f32_e32 v57, v56
	s_waitcnt lgkmcnt(1)
	v_fma_f32 v56, v64, v62, 0
	v_fmac_f32_e32 v56, v65, v63
	s_waitcnt lgkmcnt(0)
	v_fmac_f32_e32 v56, v60, v58
	v_fmac_f32_e32 v56, v57, v59
	v_add_f32_e32 v58, 0x358637bd, v56
	v_div_scale_f32 v59, s[4:5], v58, v58, 1.0
	v_rcp_f32_e32 v61, v59
	s_barrier
	v_fma_f32 v62, -v59, v61, 1.0
	v_fmac_f32_e32 v61, v62, v61
	v_div_scale_f32 v62, vcc, 1.0, v58, 1.0
	v_mul_f32_e32 v63, v62, v61
	v_fma_f32 v66, -v59, v63, v62
	v_fmac_f32_e32 v63, v66, v61
	v_fma_f32 v59, -v59, v63, v62
	v_div_fmas_f32 v59, v59, v61, v63
	v_cmp_eq_u32_e32 vcc, 1, v45
	v_div_fixup_f32 v58, v59, v58, 1.0
	s_nop 0
	v_cndmask_b32_e32 v59, v64, v65, vcc
	v_cmp_eq_u32_e32 vcc, 2, v45
	s_nop 1
	v_cndmask_b32_e32 v59, v59, v60, vcc
	v_cmp_eq_u32_e32 vcc, 3, v45
	v_lshlrev_b32_e32 v45, 11, v45
	s_nop 0
	v_cndmask_b32_e32 v57, v59, v57, vcc
	v_mul_f32_e32 v58, v57, v58
	v_pk_mul_f32 v[46:47], v[58:59], v[46:47] op_sel_hi:[0,1]
	v_cvt_f16_f32_e32 v46, v46
	v_cvt_f16_f32_e32 v47, v47
	v_pk_mul_f32 v[52:53], v[58:59], v[52:53] op_sel_hi:[0,1]
	v_cvt_f16_f32_e32 v57, v52
	v_cvt_f16_f32_e32 v53, v53
	v_pack_b32_f16 v52, v46, v47
	v_pk_mul_f32 v[46:47], v[58:59], v[48:49] op_sel_hi:[0,1]
	v_pk_mul_f32 v[48:49], v[58:59], v[50:51] op_sel_hi:[0,1]
	v_cvt_f16_f32_e32 v48, v48
	v_cvt_f16_f32_e32 v49, v49
	;; [unrolled: 1-line block ×4, first 2 shown]
	v_pack_b32_f16 v53, v57, v53
	v_lshlrev_b32_e32 v57, 3, v54
	v_pk_mul_f32 v[38:39], v[58:59], v[38:39] op_sel_hi:[0,1]
	v_pk_mul_f32 v[40:41], v[58:59], v[40:41] op_sel_hi:[0,1]
	;; [unrolled: 1-line block ×4, first 2 shown]
	v_or3_b32 v46, v45, v43, v57
	v_pack_b32_f16 v48, v48, v49
	v_pack_b32_f16 v49, v50, v47
	v_cvt_f16_f32_e32 v40, v40
	v_cvt_f16_f32_e32 v41, v41
	;; [unrolled: 1-line block ×8, first 2 shown]
	v_pack_b32_f16 v34, v40, v41
	v_pack_b32_f16 v35, v38, v39
	;; [unrolled: 1-line block ×4, first 2 shown]
	v_cmp_gt_u32_e32 vcc, 9, v0
	ds_write2st64_b64 v46, v[52:53], v[48:49] offset1:1
	ds_write2st64_b64 v46, v[34:35], v[36:37] offset0:2 offset1:3
	s_and_saveexec_b64 s[4:5], vcc
	s_cbranch_execz .LBB64_17
; %bb.16:
	s_mov_b32 s43, 0
	v_mov_b32_e32 v45, 0
	v_lshl_add_u64 v[34:35], s[42:43], 0, v[44:45]
	v_mov_b32_e32 v36, s9
	v_mad_u64_u32 v[34:35], s[10:11], s2, v36, v[34:35]
	s_mul_i32 s3, s3, s9
	v_mov_b32_e32 v44, s28
	s_load_dwordx4 s[12:15], s[0:1], 0x58
	v_add_u32_e32 v37, s3, v35
	v_mad_u64_u32 v[34:35], s[10:11], v34, s8, v[44:45]
	v_mov_b32_e32 v36, v35
	v_mad_u64_u32 v[36:37], s[10:11], v37, s8, v[36:37]
	v_mov_b32_e32 v35, v36
	v_lshlrev_b64 v[34:35], 2, v[34:35]
	s_waitcnt lgkmcnt(0)
	v_lshl_add_u64 v[36:37], s[14:15], 0, v[34:35]
	v_lshl_add_u64 v[34:35], s[12:13], 0, v[34:35]
	global_store_dword v[36:37], v55, off
	global_store_dword v[34:35], v56, off
.LBB64_17:
	s_or_b64 exec, exec, s[4:5]
	v_lshl_or_b32 v43, v54, 9, v43
	s_waitcnt lgkmcnt(0)
	s_barrier
	ds_read_b128 v[34:37], v43
	ds_read_b128 v[38:41], v43 offset:16
	s_waitcnt vmcnt(7) lgkmcnt(1)
	v_mfma_f32_16x16x16_f16 v[48:51], v[6:7], v[34:35], 0
	v_cmp_gt_u32_e32 vcc, 64, v0
	s_mov_b32 s3, 0
	s_and_b64 s[4:5], vcc, s[30:31]
	v_mfma_f32_16x16x16_f16 v[6:9], v[8:9], v[36:37], v[48:51]
	s_waitcnt vmcnt(6) lgkmcnt(0)
	v_mfma_f32_16x16x16_f16 v[6:9], v[2:3], v[38:39], v[6:9]
	v_mfma_f32_16x16x16_f16 v[2:5], v[4:5], v[40:41], v[6:9]
	s_nop 5
	ds_read_b128 v[6:9], v43 offset:2048
	ds_read_b128 v[34:37], v43 offset:2064
	s_waitcnt vmcnt(5) lgkmcnt(1)
	v_mfma_f32_16x16x16_f16 v[2:5], v[30:31], v[6:7], v[2:5]
	v_mfma_f32_16x16x16_f16 v[2:5], v[32:33], v[8:9], v[2:5]
	s_waitcnt vmcnt(4) lgkmcnt(0)
	v_mfma_f32_16x16x16_f16 v[2:5], v[26:27], v[34:35], v[2:5]
	v_mfma_f32_16x16x16_f16 v[2:5], v[28:29], v[36:37], v[2:5]
	ds_read_b128 v[6:9], v43 offset:4096
	ds_read_b128 v[26:29], v43 offset:4112
	s_waitcnt vmcnt(3) lgkmcnt(1)
	v_mfma_f32_16x16x16_f16 v[2:5], v[22:23], v[6:7], v[2:5]
	v_mfma_f32_16x16x16_f16 v[2:5], v[24:25], v[8:9], v[2:5]
	s_waitcnt vmcnt(2) lgkmcnt(0)
	v_mfma_f32_16x16x16_f16 v[2:5], v[18:19], v[26:27], v[2:5]
	v_mfma_f32_16x16x16_f16 v[2:5], v[20:21], v[28:29], v[2:5]
	ds_read_b128 v[6:9], v43 offset:6144
	ds_read_b128 v[18:21], v43 offset:6160
	v_mov_b32_e32 v43, 0
	s_waitcnt vmcnt(1) lgkmcnt(0)
	v_mfma_f32_16x16x16_f16 v[2:5], v[14:15], v[6:7], v[2:5]
	s_barrier
	v_mfma_f32_16x16x16_f16 v[2:5], v[16:17], v[8:9], v[2:5]
	s_waitcnt vmcnt(0)
	v_mfma_f32_16x16x16_f16 v[2:5], v[10:11], v[18:19], v[2:5]
	v_mfma_f32_16x16x16_f16 v[2:5], v[12:13], v[20:21], v[2:5]
	s_nop 6
	v_cvt_f16_f32_e32 v2, v2
	v_cvt_f16_f32_e32 v3, v3
	;; [unrolled: 1-line block ×4, first 2 shown]
	v_pack_b32_f16 v2, v2, v3
	v_pack_b32_f16 v3, v4, v5
	ds_write_b64 v46, v[2:3]
	s_waitcnt lgkmcnt(0)
	s_barrier
	s_and_saveexec_b64 s[10:11], s[4:5]
	s_cbranch_execz .LBB64_20
; %bb.18:
	s_load_dwordx2 s[4:5], s[0:1], 0x68
	s_lshl_b32 s0, s8, 6
	s_mul_i32 s1, s9, s2
	s_mul_hi_u32 s9, s1, s0
	s_mul_i32 s8, s1, s0
	v_lshlrev_b32_e32 v0, 10, v0
	s_lshl_b64 s[8:9], s[8:9], 1
	v_and_b32_e32 v0, 0x1800, v0
	v_lshlrev_b32_e32 v2, 5, v54
	v_and_b32_e32 v1, 16, v1
	s_waitcnt lgkmcnt(0)
	s_add_u32 s1, s4, s8
	v_or3_b32 v2, v0, v2, v1
	s_addc_u32 s4, s5, s9
	s_lshl_b32 s2, s28, 6
	s_lshl_b64 s[2:3], s[2:3], 1
	ds_read_b128 v[4:7], v2 offset:128
	ds_read_b128 v[8:11], v2
	s_add_u32 s2, s1, s2
	s_addc_u32 s3, s4, s3
	v_add_u32_e32 v3, s42, v54
	v_lshl_add_u64 v[0:1], s[2:3], 0, v[42:43]
	v_mad_u64_u32 v[12:13], s[2:3], v3, s0, 0
	v_lshl_add_u64 v[12:13], v[12:13], 1, v[0:1]
	v_add_u32_e32 v3, 4, v3
	s_waitcnt lgkmcnt(0)
	global_store_dwordx4 v[12:13], v[8:11], off
	s_nop 1
	v_mad_u64_u32 v[8:9], s[2:3], v3, s0, 0
	v_lshl_add_u64 v[8:9], v[8:9], 1, v[0:1]
	global_store_dwordx4 v[8:9], v[4:7], off
	s_and_b64 exec, exec, s[6:7]
	s_cbranch_execz .LBB64_20
; %bb.19:
	ds_read_b128 v[2:5], v2 offset:256
	v_add3_u32 v6, s42, v54, 8
	v_mad_u64_u32 v[6:7], s[0:1], v6, s0, 0
	v_lshl_add_u64 v[0:1], v[6:7], 1, v[0:1]
	s_waitcnt lgkmcnt(0)
	global_store_dwordx4 v[0:1], v[2:5], off
.LBB64_20:
	s_endpgm
	.section	.rodata,"a",@progbits
	.p2align	6, 0x0
	.amdhsa_kernel _Z39paged_attention_ll4mi_QKV_mfma16_kernelIDF16_DF16_LN4vllm18Fp8KVCacheDataTypeE0EDF16_Li16ELi64ELi256ELb1ELi9EEvPKT_PKT0_S7_ifPKiS9_S9_iPKfiiiPfSC_PS2_PT2_iSB_SB_
		.amdhsa_group_segment_fixed_size 8192
		.amdhsa_private_segment_fixed_size 0
		.amdhsa_kernarg_size 400
		.amdhsa_user_sgpr_count 2
		.amdhsa_user_sgpr_dispatch_ptr 0
		.amdhsa_user_sgpr_queue_ptr 0
		.amdhsa_user_sgpr_kernarg_segment_ptr 1
		.amdhsa_user_sgpr_dispatch_id 0
		.amdhsa_user_sgpr_kernarg_preload_length 0
		.amdhsa_user_sgpr_kernarg_preload_offset 0
		.amdhsa_user_sgpr_private_segment_size 0
		.amdhsa_uses_dynamic_stack 0
		.amdhsa_enable_private_segment 0
		.amdhsa_system_sgpr_workgroup_id_x 1
		.amdhsa_system_sgpr_workgroup_id_y 1
		.amdhsa_system_sgpr_workgroup_id_z 1
		.amdhsa_system_sgpr_workgroup_info 0
		.amdhsa_system_vgpr_workitem_id 0
		.amdhsa_next_free_vgpr 72
		.amdhsa_next_free_sgpr 48
		.amdhsa_accum_offset 72
		.amdhsa_reserve_vcc 1
		.amdhsa_float_round_mode_32 0
		.amdhsa_float_round_mode_16_64 0
		.amdhsa_float_denorm_mode_32 3
		.amdhsa_float_denorm_mode_16_64 3
		.amdhsa_dx10_clamp 1
		.amdhsa_ieee_mode 1
		.amdhsa_fp16_overflow 0
		.amdhsa_tg_split 0
		.amdhsa_exception_fp_ieee_invalid_op 0
		.amdhsa_exception_fp_denorm_src 0
		.amdhsa_exception_fp_ieee_div_zero 0
		.amdhsa_exception_fp_ieee_overflow 0
		.amdhsa_exception_fp_ieee_underflow 0
		.amdhsa_exception_fp_ieee_inexact 0
		.amdhsa_exception_int_div_zero 0
	.end_amdhsa_kernel
	.section	.text._Z39paged_attention_ll4mi_QKV_mfma16_kernelIDF16_DF16_LN4vllm18Fp8KVCacheDataTypeE0EDF16_Li16ELi64ELi256ELb1ELi9EEvPKT_PKT0_S7_ifPKiS9_S9_iPKfiiiPfSC_PS2_PT2_iSB_SB_,"axG",@progbits,_Z39paged_attention_ll4mi_QKV_mfma16_kernelIDF16_DF16_LN4vllm18Fp8KVCacheDataTypeE0EDF16_Li16ELi64ELi256ELb1ELi9EEvPKT_PKT0_S7_ifPKiS9_S9_iPKfiiiPfSC_PS2_PT2_iSB_SB_,comdat
.Lfunc_end64:
	.size	_Z39paged_attention_ll4mi_QKV_mfma16_kernelIDF16_DF16_LN4vllm18Fp8KVCacheDataTypeE0EDF16_Li16ELi64ELi256ELb1ELi9EEvPKT_PKT0_S7_ifPKiS9_S9_iPKfiiiPfSC_PS2_PT2_iSB_SB_, .Lfunc_end64-_Z39paged_attention_ll4mi_QKV_mfma16_kernelIDF16_DF16_LN4vllm18Fp8KVCacheDataTypeE0EDF16_Li16ELi64ELi256ELb1ELi9EEvPKT_PKT0_S7_ifPKiS9_S9_iPKfiiiPfSC_PS2_PT2_iSB_SB_
                                        ; -- End function
	.section	.AMDGPU.csdata,"",@progbits
; Kernel info:
; codeLenInByte = 4084
; NumSgprs: 54
; NumVgprs: 72
; NumAgprs: 0
; TotalNumVgprs: 72
; ScratchSize: 0
; MemoryBound: 0
; FloatMode: 240
; IeeeMode: 1
; LDSByteSize: 8192 bytes/workgroup (compile time only)
; SGPRBlocks: 6
; VGPRBlocks: 8
; NumSGPRsForWavesPerEU: 54
; NumVGPRsForWavesPerEU: 72
; AccumOffset: 72
; Occupancy: 7
; WaveLimiterHint : 1
; COMPUTE_PGM_RSRC2:SCRATCH_EN: 0
; COMPUTE_PGM_RSRC2:USER_SGPR: 2
; COMPUTE_PGM_RSRC2:TRAP_HANDLER: 0
; COMPUTE_PGM_RSRC2:TGID_X_EN: 1
; COMPUTE_PGM_RSRC2:TGID_Y_EN: 1
; COMPUTE_PGM_RSRC2:TGID_Z_EN: 1
; COMPUTE_PGM_RSRC2:TIDIG_COMP_CNT: 0
; COMPUTE_PGM_RSRC3_GFX90A:ACCUM_OFFSET: 17
; COMPUTE_PGM_RSRC3_GFX90A:TG_SPLIT: 0
	.section	.text._Z39paged_attention_ll4mi_QKV_mfma16_kernelIDF16_DF16_LN4vllm18Fp8KVCacheDataTypeE0EDF16_Li16ELi64ELi256ELb1ELi10EEvPKT_PKT0_S7_ifPKiS9_S9_iPKfiiiPfSC_PS2_PT2_iSB_SB_,"axG",@progbits,_Z39paged_attention_ll4mi_QKV_mfma16_kernelIDF16_DF16_LN4vllm18Fp8KVCacheDataTypeE0EDF16_Li16ELi64ELi256ELb1ELi10EEvPKT_PKT0_S7_ifPKiS9_S9_iPKfiiiPfSC_PS2_PT2_iSB_SB_,comdat
	.protected	_Z39paged_attention_ll4mi_QKV_mfma16_kernelIDF16_DF16_LN4vllm18Fp8KVCacheDataTypeE0EDF16_Li16ELi64ELi256ELb1ELi10EEvPKT_PKT0_S7_ifPKiS9_S9_iPKfiiiPfSC_PS2_PT2_iSB_SB_ ; -- Begin function _Z39paged_attention_ll4mi_QKV_mfma16_kernelIDF16_DF16_LN4vllm18Fp8KVCacheDataTypeE0EDF16_Li16ELi64ELi256ELb1ELi10EEvPKT_PKT0_S7_ifPKiS9_S9_iPKfiiiPfSC_PS2_PT2_iSB_SB_
	.globl	_Z39paged_attention_ll4mi_QKV_mfma16_kernelIDF16_DF16_LN4vllm18Fp8KVCacheDataTypeE0EDF16_Li16ELi64ELi256ELb1ELi10EEvPKT_PKT0_S7_ifPKiS9_S9_iPKfiiiPfSC_PS2_PT2_iSB_SB_
	.p2align	8
	.type	_Z39paged_attention_ll4mi_QKV_mfma16_kernelIDF16_DF16_LN4vllm18Fp8KVCacheDataTypeE0EDF16_Li16ELi64ELi256ELb1ELi10EEvPKT_PKT0_S7_ifPKiS9_S9_iPKfiiiPfSC_PS2_PT2_iSB_SB_,@function
_Z39paged_attention_ll4mi_QKV_mfma16_kernelIDF16_DF16_LN4vllm18Fp8KVCacheDataTypeE0EDF16_Li16ELi64ELi256ELb1ELi10EEvPKT_PKT0_S7_ifPKiS9_S9_iPKfiiiPfSC_PS2_PT2_iSB_SB_: ; @_Z39paged_attention_ll4mi_QKV_mfma16_kernelIDF16_DF16_LN4vllm18Fp8KVCacheDataTypeE0EDF16_Li16ELi64ELi256ELb1ELi10EEvPKT_PKT0_S7_ifPKiS9_S9_iPKfiiiPfSC_PS2_PT2_iSB_SB_
; %bb.0:
	s_load_dwordx2 s[8:9], s[0:1], 0x30
	s_mov_b32 s28, s3
	s_mov_b64 s[6:7], 0
	s_waitcnt lgkmcnt(0)
	s_cmp_lg_u64 s[8:9], 0
	s_cselect_b64 s[10:11], -1, 0
	s_and_b64 vcc, exec, s[10:11]
	s_cbranch_vccz .LBB65_7
; %bb.1:
	s_add_i32 s12, s2, 1
	s_mov_b32 s13, 0
	s_lshl_b64 s[14:15], s[12:13], 2
	s_add_u32 s14, s8, s14
	s_mov_b32 s3, s13
	s_addc_u32 s15, s9, s15
	s_lshl_b64 s[12:13], s[2:3], 2
	s_add_u32 s12, s8, s12
	s_addc_u32 s13, s9, s13
	s_load_dword s5, s[14:15], 0x0
	s_load_dword s16, s[12:13], 0x0
	s_waitcnt lgkmcnt(0)
	s_sub_i32 s5, s5, s16
	s_cmp_eq_u32 s5, 1
	s_cselect_b64 s[12:13], -1, 0
	s_andn2_b64 vcc, exec, s[6:7]
	s_cbranch_vccnz .LBB65_3
.LBB65_2:
	s_mov_b32 s3, 0
	s_mov_b64 s[12:13], -1
.LBB65_3:
	s_andn2_b64 vcc, exec, s[12:13]
	s_cbranch_vccnz .LBB65_20
; %bb.4:
	s_load_dwordx2 s[6:7], s[0:1], 0x28
	s_lshl_b64 s[12:13], s[2:3], 2
	s_waitcnt lgkmcnt(0)
	s_add_u32 s6, s6, s12
	s_addc_u32 s7, s7, s13
	s_load_dword s29, s[6:7], 0x0
	s_lshl_b32 s16, s28, 8
	s_waitcnt lgkmcnt(0)
	s_cmp_ge_i32 s16, s29
	s_cbranch_scc1 .LBB65_20
; %bb.5:
	s_load_dwordx2 s[6:7], s[0:1], 0x20
	s_load_dword s5, s[0:1], 0x38
	s_add_i32 s14, s29, 15
	s_ashr_i32 s15, s14, 31
	v_and_b32_e32 v1, 0xcf, v0
	s_lshr_b32 s15, s15, 28
	v_add_u32_e32 v1, s16, v1
	s_add_i32 s14, s14, s15
	v_ashrrev_i32_e32 v2, 31, v1
	s_ashr_i32 s17, s14, 4
	v_lshrrev_b32_e32 v6, 28, v2
	s_add_i32 s17, s17, -1
	s_waitcnt lgkmcnt(0)
	s_mul_i32 s14, s2, s5
	s_mov_b32 s15, 0
	v_add_u32_e32 v2, v1, v6
	s_lshl_b64 s[14:15], s[14:15], 2
	v_ashrrev_i32_e32 v2, 4, v2
	v_mov_b32_e32 v7, s17
	v_cmp_gt_i32_e32 vcc, s29, v1
	s_add_u32 s6, s6, s14
	s_addc_u32 s7, s7, s15
	v_cndmask_b32_e32 v2, v7, v2, vcc
	v_ashrrev_i32_e32 v3, 31, v2
	v_lshl_add_u64 v[4:5], v[2:3], 2, s[6:7]
	v_or_b32_e32 v2, 16, v1
	v_add_u32_e32 v3, v2, v6
	v_ashrrev_i32_e32 v3, 4, v3
	v_cmp_gt_i32_e32 vcc, s29, v2
	s_load_dwordx2 s[14:15], s[0:1], 0x8
	s_nop 0
	v_cndmask_b32_e32 v2, v7, v3, vcc
	v_ashrrev_i32_e32 v3, 31, v2
	v_lshl_add_u64 v[8:9], v[2:3], 2, s[6:7]
	v_or_b32_e32 v2, 32, v1
	v_add_u32_e32 v3, v2, v6
	v_ashrrev_i32_e32 v3, 4, v3
	v_cmp_gt_i32_e32 vcc, s29, v2
	v_or_b32_e32 v1, 48, v1
	s_nop 0
	v_cndmask_b32_e32 v2, v7, v3, vcc
	v_ashrrev_i32_e32 v3, 31, v2
	v_lshl_add_u64 v[10:11], v[2:3], 2, s[6:7]
	v_add_u32_e32 v2, v1, v6
	v_ashrrev_i32_e32 v2, 4, v2
	v_cmp_gt_i32_e32 vcc, s29, v1
	s_nop 1
	v_cndmask_b32_e32 v2, v7, v2, vcc
	v_ashrrev_i32_e32 v3, 31, v2
	v_lshl_add_u64 v[12:13], v[2:3], 2, s[6:7]
	global_load_dword v3, v[4:5], off
	global_load_dword v2, v[8:9], off
	;; [unrolled: 1-line block ×4, first 2 shown]
	s_andn2_b64 vcc, exec, s[10:11]
	s_cbranch_vccnz .LBB65_8
; %bb.6:
	s_add_u32 s8, s8, s12
	s_addc_u32 s9, s9, s13
	s_load_dword s5, s[8:9], 0x0
	s_branch .LBB65_9
.LBB65_7:
	s_mov_b64 s[12:13], 0
	s_branch .LBB65_2
.LBB65_8:
	s_mov_b32 s5, s2
.LBB65_9:
	s_load_dwordx2 s[8:9], s[0:1], 0x10
	s_load_dwordx4 s[44:47], s[0:1], 0x48
	v_lshrrev_b32_e32 v45, 6, v0
	v_bfe_u32 v54, v0, 4, 2
	v_lshl_or_b32 v1, v45, 2, v54
	v_and_b32_e32 v44, 15, v0
	v_lshlrev_b32_e32 v4, 3, v44
	v_cmp_gt_u32_e32 vcc, 10, v1
	v_cmp_gt_u32_e64 s[30:31], 8, v44
	s_mul_i32 s42, s4, 10
	s_and_b64 s[12:13], s[30:31], vcc
	v_lshlrev_b32_e32 v42, 1, v4
	s_and_saveexec_b64 s[10:11], s[12:13]
	s_cbranch_execz .LBB65_11
; %bb.10:
	s_load_dwordx2 s[12:13], s[0:1], 0x0
	s_waitcnt lgkmcnt(0)
	s_ashr_i32 s18, s44, 31
	s_mul_hi_u32 s19, s5, s44
	s_mul_i32 s18, s5, s18
	s_add_i32 s19, s19, s18
	s_mul_i32 s18, s5, s44
	s_lshl_b64 s[18:19], s[18:19], 1
	s_add_u32 s12, s12, s18
	v_add_lshl_u32 v4, v1, s42, 6
	s_addc_u32 s13, s13, s19
	v_ashrrev_i32_e32 v5, 31, v4
	v_lshl_add_u64 v[4:5], v[4:5], 1, s[12:13]
	v_mov_b32_e32 v43, 0
	v_lshl_add_u64 v[4:5], v[4:5], 0, v[42:43]
	global_load_dwordx4 v[8:11], v[4:5], off
	v_and_b32_e32 v4, 3, v0
	v_lshlrev_b32_e32 v5, 9, v44
	v_lshlrev_b32_e32 v1, 5, v1
	;; [unrolled: 1-line block ×3, first 2 shown]
	v_and_b32_e32 v5, 0x1800, v5
	v_or3_b32 v1, v5, v4, v1
	s_waitcnt vmcnt(0)
	ds_write_b128 v1, v[8:11]
.LBB65_11:
	s_or_b64 exec, exec, s[10:11]
	s_waitcnt lgkmcnt(0)
	s_mul_i32 s4, s4, s46
	s_mov_b32 s5, 0
	s_lshl_b64 s[4:5], s[4:5], 1
	s_add_u32 s10, s14, s4
	v_lshlrev_b32_e32 v1, 4, v0
	s_addc_u32 s11, s15, s5
	v_and_b32_e32 v46, 0xf0, v1
	v_mov_b32_e32 v47, 0
	v_lshl_add_u64 v[16:17], s[10:11], 0, v[46:47]
	s_waitcnt vmcnt(3)
	v_mad_i64_i32 v[4:5], s[10:11], v3, s45, 0
	s_waitcnt vmcnt(2)
	v_mad_i64_i32 v[2:3], s[10:11], v2, s45, 0
	;; [unrolled: 2-line block ×3, first 2 shown]
	v_lshl_add_u64 v[4:5], v[4:5], 1, v[16:17]
	v_and_b32_e32 v46, 0x300, v1
	v_lshl_add_u64 v[2:3], v[2:3], 1, v[16:17]
	v_lshl_add_u64 v[6:7], v[6:7], 1, v[16:17]
	s_waitcnt vmcnt(0)
	v_mad_i64_i32 v[14:15], s[10:11], v14, s45, 0
	v_lshl_add_u64 v[4:5], v[4:5], 0, v[46:47]
	v_lshl_add_u64 v[8:9], v[2:3], 0, v[46:47]
	;; [unrolled: 1-line block ×4, first 2 shown]
	s_barrier
	global_load_dwordx4 v[30:33], v[4:5], off
	global_load_dwordx4 v[10:13], v[4:5], off offset:1024
	global_load_dwordx4 v[22:25], v[8:9], off
	s_nop 0
	global_load_dwordx4 v[2:5], v[8:9], off offset:1024
	global_load_dwordx4 v[26:29], v[18:19], off
	s_nop 0
	global_load_dwordx4 v[6:9], v[18:19], off offset:1024
	v_lshl_add_u64 v[18:19], v[14:15], 0, v[46:47]
	global_load_dwordx4 v[34:37], v[18:19], off
	global_load_dwordx4 v[14:17], v[18:19], off offset:1024
	v_add_u32_e32 v18, -10, v44
	v_cmp_gt_u32_e32 vcc, 10, v44
	v_and_b32_e32 v55, 63, v0
	v_mov_b32_e32 v56, 0
	v_cndmask_b32_e32 v18, v18, v44, vcc
	v_lshlrev_b32_e32 v18, 5, v18
	v_lshl_add_u32 v18, v54, 9, v18
	ds_read_b128 v[38:41], v18
	ds_read_b128 v[18:21], v18 offset:2048
	s_and_saveexec_b64 s[10:11], vcc
	s_cbranch_execz .LBB65_13
; %bb.12:
	s_load_dwordx2 s[12:13], s[0:1], 0x40
	v_add_u32_e32 v48, s42, v44
	v_ashrrev_i32_e32 v49, 31, v48
	s_waitcnt lgkmcnt(0)
	v_lshl_add_u64 v[48:49], v[48:49], 2, s[12:13]
	global_load_dword v56, v[48:49], off
.LBB65_13:
	s_or_b64 exec, exec, s[10:11]
	v_and_or_b32 v46, v0, 48, s16
	v_ashrrev_i32_e32 v43, 4, v46
	v_mov_b32_e32 v57, s17
	v_cmp_gt_i32_e32 vcc, s29, v46
	s_waitcnt vmcnt(5) lgkmcnt(1)
	v_mfma_f32_16x16x16_f16 v[58:61], v[22:23], v[38:39], 0
	s_load_dword s10, s[0:1], 0x1c
	v_cndmask_b32_e32 v48, v57, v43, vcc
	v_ashrrev_i32_e32 v49, 31, v48
	v_or_b32_e32 v43, 64, v46
	v_lshl_add_u64 v[52:53], v[48:49], 2, s[6:7]
	v_mfma_f32_16x16x16_f16 v[48:51], v[30:31], v[38:39], 0
	v_ashrrev_i32_e32 v30, 4, v43
	v_cmp_gt_i32_e32 vcc, s29, v43
	global_load_dword v70, v[52:53], off
	s_waitcnt vmcnt(4)
	v_mfma_f32_16x16x16_f16 v[62:65], v[26:27], v[38:39], 0
	v_cndmask_b32_e32 v30, v57, v30, vcc
	v_ashrrev_i32_e32 v31, 31, v30
	v_lshl_add_u64 v[22:23], v[30:31], 2, s[6:7]
	global_load_dword v71, v[22:23], off
	v_mfma_f32_16x16x16_f16 v[22:25], v[24:25], v[40:41], v[58:61]
	v_and_b32_e32 v26, 0xc0, v0
	s_add_u32 s4, s8, s4
	v_lshlrev_b32_e32 v43, 5, v44
	v_mfma_f32_16x16x16_f16 v[30:33], v[32:33], v[40:41], v[48:51]
	s_addc_u32 s5, s9, s5
	s_mov_b32 s33, 0xff7fffff
	s_waitcnt vmcnt(3)
	v_mfma_f32_16x16x16_f16 v[66:69], v[34:35], v[38:39], 0
	v_or_b32_e32 v38, 0x80, v46
	v_add_u32_e32 v48, s16, v26
	v_or_b32_e32 v39, 0xc0, v46
	v_mfma_f32_16x16x16_f16 v[26:29], v[28:29], v[40:41], v[62:65]
	v_ashrrev_i32_e32 v49, 4, v38
	v_cmp_gt_i32_e32 vcc, s29, v38
	v_ashrrev_i32_e32 v50, 4, v39
	s_waitcnt lgkmcnt(0)
	v_mfma_f32_16x16x16_f16 v[22:25], v[2:3], v[18:19], v[22:25]
	v_cndmask_b32_e32 v38, v57, v49, vcc
	v_cmp_gt_i32_e32 vcc, s29, v39
	v_ashrrev_i32_e32 v39, 31, v38
	v_mfma_f32_16x16x16_f16 v[30:33], v[10:11], v[18:19], v[30:33]
	v_cndmask_b32_e32 v10, v57, v50, vcc
	v_ashrrev_i32_e32 v11, 31, v10
	v_lshl_or_b32 v58, v54, 2, v48
	v_mfma_f32_16x16x16_f16 v[26:29], v[6:7], v[18:19], v[26:29]
	v_lshl_add_u64 v[6:7], v[38:39], 2, s[6:7]
	v_lshl_add_u64 v[38:39], v[10:11], 2, s[6:7]
	v_or_b32_e32 v57, 1, v58
	v_mfma_f32_16x16x16_f16 v[2:5], v[4:5], v[20:21], v[22:25]
	s_nop 2
	global_load_dword v22, v[6:7], off
	global_load_dword v61, v[38:39], off
	v_subrev_u32_e32 v59, s29, v57
	v_cvt_f32_i32_e32 v60, v59
	v_mfma_f32_16x16x16_f16 v[34:37], v[36:37], v[40:41], v[66:69]
	v_pk_mul_f32 v[48:49], s[10:11], v[4:5] op_sel_hi:[0,1]
	v_lshl_or_b32 v46, v45, 9, v43
	v_lshl_add_u64 v[46:47], s[4:5], 0, v[46:47]
	s_waitcnt vmcnt(4)
	v_mfma_f32_16x16x16_f16 v[34:37], v[14:15], v[18:19], v[34:37]
	v_add_u32_e32 v14, 1, v59
	v_add_u32_e32 v15, 2, v59
	v_cvt_f32_i32_e32 v23, v14
	v_cvt_f32_i32_e32 v24, v15
	v_mfma_f32_16x16x16_f16 v[14:17], v[16:17], v[20:21], v[34:37]
	v_add_u32_e32 v18, 3, v59
	v_cvt_f32_i32_e32 v18, v18
	v_pk_mul_f32 v[50:51], s[10:11], v[2:3] op_sel_hi:[0,1]
	v_mfma_f32_16x16x16_f16 v[10:13], v[12:13], v[20:21], v[30:33]
	v_cmp_gt_i32_e64 s[34:35], s29, v57
	s_nop 1
	v_pk_mul_f32 v[36:37], s[10:11], v[14:15] op_sel_hi:[0,1]
	v_add_u32_e32 v15, 19, v59
	v_add_u32_e32 v31, 18, v59
	v_cvt_f32_i32_e32 v14, v31
	v_cvt_f32_i32_e32 v15, v15
	v_mfma_f32_16x16x16_f16 v[6:9], v[8:9], v[20:21], v[26:29]
	v_pk_mul_f32 v[34:35], s[10:11], v[16:17] op_sel_hi:[0,1]
	v_fma_f32 v48, v56, v14, v48
	v_add_u32_e32 v14, 32, v59
	v_fmac_f32_e32 v49, v56, v15
	v_cvt_f32_i32_e32 v14, v14
	v_add_u32_e32 v15, 33, v59
	v_add_u32_e32 v16, 34, v59
	v_cvt_f32_i32_e32 v15, v15
	v_cvt_f32_i32_e32 v16, v16
	v_add_u32_e32 v17, 35, v59
	v_cvt_f32_i32_e32 v17, v17
	v_pk_mul_f32 v[40:41], s[10:11], v[6:7] op_sel_hi:[0,1]
	v_pk_mul_f32 v[38:39], s[10:11], v[8:9] op_sel_hi:[0,1]
	v_fma_f32 v40, v56, v14, v40
	v_add_u32_e32 v14, 48, v59
	v_fmac_f32_e32 v41, v56, v15
	v_fma_f32 v38, v56, v16, v38
	v_cvt_f32_i32_e32 v14, v14
	v_add_u32_e32 v15, 49, v59
	v_add_u32_e32 v16, 50, v59
	v_fmac_f32_e32 v39, v56, v17
	v_cvt_f32_i32_e32 v15, v15
	v_cvt_f32_i32_e32 v16, v16
	v_add_u32_e32 v17, 51, v59
	v_cvt_f32_i32_e32 v17, v17
	v_pk_mul_f32 v[52:53], s[10:11], v[12:13] op_sel_hi:[0,1]
	v_pk_mul_f32 v[10:11], s[10:11], v[10:11] op_sel_hi:[0,1]
	s_waitcnt vmcnt(3)
	v_mad_i64_i32 v[2:3], s[4:5], v70, s45, 0
	s_waitcnt vmcnt(2)
	v_mad_i64_i32 v[12:13], s[4:5], v71, s45, 0
	v_fma_f32 v10, v56, v60, v10
	v_fmac_f32_e32 v11, v56, v23
	v_fma_f32 v36, v56, v14, v36
	v_mov_b32_e32 v14, 0xff7fffff
	v_cmp_gt_i32_e64 s[4:5], s29, v58
	v_add_u32_e32 v19, 16, v59
	v_add_u32_e32 v30, 17, v59
	v_fmac_f32_e32 v37, v56, v15
	v_fma_f32 v34, v56, v16, v34
	v_cndmask_b32_e64 v15, v14, v10, s[4:5]
	v_cndmask_b32_e64 v16, v14, v11, s[34:35]
	v_cvt_f32_i32_e32 v19, v19
	v_cvt_f32_i32_e32 v25, v30
	v_fmac_f32_e32 v35, v56, v17
	v_max3_f32 v15, v15, s33, v16
	v_or_b32_e32 v16, 2, v58
	v_or_b32_e32 v17, 3, v58
	v_fma_f32 v52, v56, v24, v52
	v_fmac_f32_e32 v53, v56, v18
	v_cmp_gt_i32_e64 s[36:37], s29, v16
	v_cmp_gt_i32_e64 s[38:39], s29, v17
	v_fma_f32 v50, v56, v19, v50
	v_cndmask_b32_e64 v16, v14, v52, s[36:37]
	v_cndmask_b32_e64 v17, v14, v53, s[38:39]
	v_max3_f32 v15, v15, v16, v17
	v_or_b32_e32 v16, 16, v58
	v_or_b32_e32 v17, 17, v58
	v_fmac_f32_e32 v51, v56, v25
	v_cmp_gt_i32_e64 s[24:25], s29, v16
	v_cmp_gt_i32_e64 s[26:27], s29, v17
	v_lshl_add_u64 v[2:3], v[2:3], 1, v[46:47]
	v_cndmask_b32_e64 v16, v14, v50, s[24:25]
	v_cndmask_b32_e64 v17, v14, v51, s[26:27]
	v_max3_f32 v15, v15, v16, v17
	v_or_b32_e32 v16, 18, v58
	v_or_b32_e32 v17, 19, v58
	v_cmp_gt_i32_e64 s[20:21], s29, v16
	v_cmp_gt_i32_e64 s[22:23], s29, v17
	v_lshl_add_u64 v[12:13], v[12:13], 1, v[46:47]
	v_cndmask_b32_e64 v16, v14, v48, s[20:21]
	v_cndmask_b32_e64 v17, v14, v49, s[22:23]
	v_max3_f32 v15, v15, v16, v17
	v_or_b32_e32 v16, 32, v58
	v_or_b32_e32 v17, 33, v58
	v_cmp_gt_i32_e64 s[16:17], s29, v16
	v_cmp_gt_i32_e64 s[18:19], s29, v17
	global_load_dwordx4 v[6:9], v[2:3], off
	s_nop 0
	global_load_dwordx4 v[2:5], v[2:3], off offset:16
	v_cndmask_b32_e64 v16, v14, v40, s[16:17]
	v_cndmask_b32_e64 v17, v14, v41, s[18:19]
	v_max3_f32 v15, v15, v16, v17
	v_or_b32_e32 v16, 34, v58
	v_or_b32_e32 v17, 35, v58
	v_cmp_gt_i32_e64 s[12:13], s29, v16
	v_cmp_gt_i32_e64 s[14:15], s29, v17
	global_load_dwordx4 v[30:33], v[12:13], off
	global_load_dwordx4 v[26:29], v[12:13], off offset:16
	v_cndmask_b32_e64 v16, v14, v38, s[12:13]
	v_cndmask_b32_e64 v17, v14, v39, s[14:15]
	v_max3_f32 v15, v15, v16, v17
	v_or_b32_e32 v16, 48, v58
	v_or_b32_e32 v17, 49, v58
	v_cmp_gt_i32_e64 s[8:9], s29, v16
	v_cmp_gt_i32_e64 s[10:11], s29, v17
	s_nop 0
	v_cndmask_b32_e64 v16, v14, v36, s[8:9]
	v_cndmask_b32_e64 v17, v14, v37, s[10:11]
	v_max3_f32 v15, v15, v16, v17
	v_or_b32_e32 v16, 50, v58
	v_or_b32_e32 v17, 51, v58
	v_cmp_gt_i32_e32 vcc, s29, v16
	v_cmp_gt_i32_e64 s[6:7], s29, v17
	s_nop 0
	v_cndmask_b32_e32 v16, v14, v34, vcc
	v_cndmask_b32_e64 v14, v14, v35, s[6:7]
	v_max3_f32 v14, v15, v16, v14
	v_mbcnt_lo_u32_b32 v15, -1, 0
	v_mbcnt_hi_u32_b32 v15, -1, v15
	v_and_b32_e32 v16, 64, v15
	v_add_u32_e32 v16, 64, v16
	v_xor_b32_e32 v17, 32, v15
	v_cmp_lt_i32_e64 s[40:41], v17, v16
	s_nop 1
	v_cndmask_b32_e64 v17, v15, v17, s[40:41]
	v_lshlrev_b32_e32 v57, 2, v17
	ds_bpermute_b32 v17, v57, v14
	s_waitcnt vmcnt(5)
	v_mad_i64_i32 v[12:13], s[40:41], v22, s45, 0
	v_lshl_add_u64 v[12:13], v[12:13], 1, v[46:47]
	global_load_dwordx4 v[22:25], v[12:13], off
	global_load_dwordx4 v[18:21], v[12:13], off offset:16
	s_waitcnt lgkmcnt(0)
	v_max_f32_e32 v17, v17, v17
	v_max_f32_e32 v14, v14, v17
	v_xor_b32_e32 v17, 16, v15
	v_cmp_lt_i32_e64 s[40:41], v17, v16
	s_nop 1
	v_cndmask_b32_e64 v15, v15, v17, s[40:41]
	v_lshlrev_b32_e32 v59, 2, v15
	ds_bpermute_b32 v15, v59, v14
	s_waitcnt vmcnt(6)
	v_mad_i64_i32 v[12:13], s[40:41], v61, s45, 0
	v_lshl_add_u64 v[12:13], v[12:13], 1, v[46:47]
	s_waitcnt lgkmcnt(0)
	v_max_f32_e32 v15, v15, v15
	v_max_f32_e32 v56, v14, v15
	v_sub_f32_e32 v10, v10, v56
	v_mul_f32_e32 v10, 0x3fb8aa3b, v10
	v_exp_f32_e32 v46, v10
	v_sub_f32_e32 v10, v11, v56
	v_mul_f32_e32 v10, 0x3fb8aa3b, v10
	v_exp_f32_e32 v47, v10
	global_load_dwordx4 v[14:17], v[12:13], off
	s_nop 0
	global_load_dwordx4 v[10:13], v[12:13], off offset:16
	v_sub_f32_e32 v52, v52, v56
	v_mul_f32_e32 v52, 0x3fb8aa3b, v52
	v_sub_f32_e32 v53, v53, v56
	v_exp_f32_e32 v52, v52
	v_mul_f32_e32 v53, 0x3fb8aa3b, v53
	v_sub_f32_e32 v50, v50, v56
	v_exp_f32_e32 v53, v53
	v_mul_f32_e32 v50, 0x3fb8aa3b, v50
	v_sub_f32_e32 v51, v51, v56
	v_cndmask_b32_e64 v46, 0, v46, s[4:5]
	v_exp_f32_e32 v50, v50
	v_mul_f32_e32 v51, 0x3fb8aa3b, v51
	v_sub_f32_e32 v48, v48, v56
	v_add_f32_e32 v58, 0, v46
	v_cndmask_b32_e64 v47, 0, v47, s[34:35]
	v_exp_f32_e32 v51, v51
	v_mul_f32_e32 v48, 0x3fb8aa3b, v48
	v_sub_f32_e32 v49, v49, v56
	v_add_f32_e32 v58, v58, v47
	;; [unrolled: 5-line block ×10, first 2 shown]
	v_cndmask_b32_e64 v38, 0, v38, s[12:13]
	v_exp_f32_e32 v34, v34
	v_mul_f32_e32 v35, 0x3fb8aa3b, v35
	v_add_f32_e32 v58, v58, v38
	v_cndmask_b32_e64 v39, 0, v39, s[14:15]
	v_exp_f32_e32 v35, v35
	v_add_f32_e32 v58, v58, v39
	v_cndmask_b32_e64 v36, 0, v36, s[8:9]
	v_add_f32_e32 v58, v58, v36
	v_cndmask_b32_e64 v37, 0, v37, s[10:11]
	v_add_f32_e32 v58, v58, v37
	v_cndmask_b32_e32 v34, 0, v34, vcc
	v_add_f32_e32 v58, v58, v34
	v_cndmask_b32_e64 v35, 0, v35, s[6:7]
	v_add_f32_e32 v58, v58, v35
	ds_bpermute_b32 v57, v57, v58
	s_load_dword s7, s[0:1], 0x98
	v_cmp_gt_u32_e32 vcc, 16, v55
	s_waitcnt lgkmcnt(0)
	s_barrier
	v_add_f32_e32 v58, v58, v57
	ds_bpermute_b32 v59, v59, v58
	v_lshlrev_b32_e32 v57, 2, v44
	s_waitcnt lgkmcnt(0)
	s_and_saveexec_b64 s[4:5], vcc
	s_cbranch_execz .LBB65_15
; %bb.14:
	v_add_f32_e32 v55, v58, v59
	v_lshl_or_b32 v58, v45, 6, v57
	ds_write2st64_b32 v58, v56, v55 offset1:1
.LBB65_15:
	s_or_b64 exec, exec, s[4:5]
	s_load_dword s6, s[0:1], 0x94
	s_waitcnt lgkmcnt(0)
	s_barrier
	ds_read2_b32 v[58:59], v57 offset1:16
	ds_read2_b32 v[60:61], v57 offset0:32 offset1:48
	ds_read2_b32 v[62:63], v57 offset0:64 offset1:80
	s_mul_i32 s7, s7, 10
	s_waitcnt lgkmcnt(2)
	v_max3_f32 v55, v58, s33, v59
	s_waitcnt lgkmcnt(1)
	v_max3_f32 v55, v55, v60, v61
	v_sub_f32_e32 v56, v58, v55
	v_mul_f32_e32 v56, 0x3fb8aa3b, v56
	v_exp_f32_e32 v64, v56
	v_sub_f32_e32 v56, v59, v55
	v_mul_f32_e32 v56, 0x3fb8aa3b, v56
	v_exp_f32_e32 v65, v56
	v_sub_f32_e32 v56, v60, v55
	v_mul_f32_e32 v56, 0x3fb8aa3b, v56
	v_exp_f32_e32 v60, v56
	ds_read2_b32 v[58:59], v57 offset0:96 offset1:112
	v_sub_f32_e32 v56, v61, v55
	v_mul_f32_e32 v56, 0x3fb8aa3b, v56
	v_exp_f32_e32 v57, v56
	s_waitcnt lgkmcnt(1)
	v_fma_f32 v56, v64, v62, 0
	v_fmac_f32_e32 v56, v65, v63
	s_waitcnt lgkmcnt(0)
	v_fmac_f32_e32 v56, v60, v58
	v_fmac_f32_e32 v56, v57, v59
	v_add_f32_e32 v58, 0x358637bd, v56
	v_div_scale_f32 v59, s[4:5], v58, v58, 1.0
	v_rcp_f32_e32 v61, v59
	s_barrier
	v_fma_f32 v62, -v59, v61, 1.0
	v_fmac_f32_e32 v61, v62, v61
	v_div_scale_f32 v62, vcc, 1.0, v58, 1.0
	v_mul_f32_e32 v63, v62, v61
	v_fma_f32 v66, -v59, v63, v62
	v_fmac_f32_e32 v63, v66, v61
	v_fma_f32 v59, -v59, v63, v62
	v_div_fmas_f32 v59, v59, v61, v63
	v_cmp_eq_u32_e32 vcc, 1, v45
	v_div_fixup_f32 v58, v59, v58, 1.0
	s_nop 0
	v_cndmask_b32_e32 v59, v64, v65, vcc
	v_cmp_eq_u32_e32 vcc, 2, v45
	s_nop 1
	v_cndmask_b32_e32 v59, v59, v60, vcc
	v_cmp_eq_u32_e32 vcc, 3, v45
	v_lshlrev_b32_e32 v45, 11, v45
	s_nop 0
	v_cndmask_b32_e32 v57, v59, v57, vcc
	v_mul_f32_e32 v58, v57, v58
	v_pk_mul_f32 v[46:47], v[58:59], v[46:47] op_sel_hi:[0,1]
	v_cvt_f16_f32_e32 v46, v46
	v_cvt_f16_f32_e32 v47, v47
	v_pk_mul_f32 v[52:53], v[58:59], v[52:53] op_sel_hi:[0,1]
	v_cvt_f16_f32_e32 v57, v52
	v_cvt_f16_f32_e32 v53, v53
	v_pack_b32_f16 v52, v46, v47
	v_pk_mul_f32 v[46:47], v[58:59], v[48:49] op_sel_hi:[0,1]
	v_pk_mul_f32 v[48:49], v[58:59], v[50:51] op_sel_hi:[0,1]
	v_cvt_f16_f32_e32 v48, v48
	v_cvt_f16_f32_e32 v49, v49
	;; [unrolled: 1-line block ×4, first 2 shown]
	v_pack_b32_f16 v53, v57, v53
	v_lshlrev_b32_e32 v57, 3, v54
	v_pk_mul_f32 v[38:39], v[58:59], v[38:39] op_sel_hi:[0,1]
	v_pk_mul_f32 v[40:41], v[58:59], v[40:41] op_sel_hi:[0,1]
	;; [unrolled: 1-line block ×4, first 2 shown]
	v_or3_b32 v46, v45, v43, v57
	v_pack_b32_f16 v48, v48, v49
	v_pack_b32_f16 v49, v50, v47
	v_cvt_f16_f32_e32 v40, v40
	v_cvt_f16_f32_e32 v41, v41
	;; [unrolled: 1-line block ×8, first 2 shown]
	v_pack_b32_f16 v34, v40, v41
	v_pack_b32_f16 v35, v38, v39
	;; [unrolled: 1-line block ×4, first 2 shown]
	v_cmp_gt_u32_e32 vcc, 10, v0
	ds_write2st64_b64 v46, v[52:53], v[48:49] offset1:1
	ds_write2st64_b64 v46, v[34:35], v[36:37] offset0:2 offset1:3
	s_and_saveexec_b64 s[4:5], vcc
	s_cbranch_execz .LBB65_17
; %bb.16:
	s_mov_b32 s43, 0
	v_mov_b32_e32 v45, 0
	v_lshl_add_u64 v[34:35], s[42:43], 0, v[44:45]
	v_mov_b32_e32 v36, s7
	v_mad_u64_u32 v[34:35], s[12:13], s2, v36, v[34:35]
	s_mul_i32 s3, s3, s7
	v_mov_b32_e32 v44, s28
	s_load_dwordx4 s[8:11], s[0:1], 0x58
	v_add_u32_e32 v37, s3, v35
	v_mad_u64_u32 v[34:35], s[12:13], v34, s6, v[44:45]
	v_mov_b32_e32 v36, v35
	v_mad_u64_u32 v[36:37], s[12:13], v37, s6, v[36:37]
	v_mov_b32_e32 v35, v36
	v_lshlrev_b64 v[34:35], 2, v[34:35]
	s_waitcnt lgkmcnt(0)
	v_lshl_add_u64 v[36:37], s[10:11], 0, v[34:35]
	v_lshl_add_u64 v[34:35], s[8:9], 0, v[34:35]
	global_store_dword v[36:37], v55, off
	global_store_dword v[34:35], v56, off
.LBB65_17:
	s_or_b64 exec, exec, s[4:5]
	v_lshl_or_b32 v43, v54, 9, v43
	s_waitcnt lgkmcnt(0)
	s_barrier
	ds_read_b128 v[34:37], v43
	ds_read_b128 v[38:41], v43 offset:16
	s_waitcnt vmcnt(7) lgkmcnt(1)
	v_mfma_f32_16x16x16_f16 v[48:51], v[6:7], v[34:35], 0
	v_cmp_gt_u32_e32 vcc, 64, v0
	s_mov_b32 s3, 0
	s_and_b64 s[4:5], vcc, s[30:31]
	v_mfma_f32_16x16x16_f16 v[6:9], v[8:9], v[36:37], v[48:51]
	s_waitcnt vmcnt(6) lgkmcnt(0)
	v_mfma_f32_16x16x16_f16 v[6:9], v[2:3], v[38:39], v[6:9]
	v_mfma_f32_16x16x16_f16 v[2:5], v[4:5], v[40:41], v[6:9]
	s_nop 5
	ds_read_b128 v[6:9], v43 offset:2048
	ds_read_b128 v[34:37], v43 offset:2064
	s_waitcnt vmcnt(5) lgkmcnt(1)
	v_mfma_f32_16x16x16_f16 v[2:5], v[30:31], v[6:7], v[2:5]
	v_mfma_f32_16x16x16_f16 v[2:5], v[32:33], v[8:9], v[2:5]
	s_waitcnt vmcnt(4) lgkmcnt(0)
	v_mfma_f32_16x16x16_f16 v[2:5], v[26:27], v[34:35], v[2:5]
	v_mfma_f32_16x16x16_f16 v[2:5], v[28:29], v[36:37], v[2:5]
	ds_read_b128 v[6:9], v43 offset:4096
	ds_read_b128 v[26:29], v43 offset:4112
	s_waitcnt vmcnt(3) lgkmcnt(1)
	v_mfma_f32_16x16x16_f16 v[2:5], v[22:23], v[6:7], v[2:5]
	v_mfma_f32_16x16x16_f16 v[2:5], v[24:25], v[8:9], v[2:5]
	s_waitcnt vmcnt(2) lgkmcnt(0)
	v_mfma_f32_16x16x16_f16 v[2:5], v[18:19], v[26:27], v[2:5]
	v_mfma_f32_16x16x16_f16 v[2:5], v[20:21], v[28:29], v[2:5]
	ds_read_b128 v[6:9], v43 offset:6144
	ds_read_b128 v[18:21], v43 offset:6160
	v_mov_b32_e32 v43, 0
	s_waitcnt vmcnt(1) lgkmcnt(0)
	v_mfma_f32_16x16x16_f16 v[2:5], v[14:15], v[6:7], v[2:5]
	s_barrier
	v_mfma_f32_16x16x16_f16 v[2:5], v[16:17], v[8:9], v[2:5]
	s_waitcnt vmcnt(0)
	v_mfma_f32_16x16x16_f16 v[2:5], v[10:11], v[18:19], v[2:5]
	v_mfma_f32_16x16x16_f16 v[2:5], v[12:13], v[20:21], v[2:5]
	s_nop 6
	v_cvt_f16_f32_e32 v2, v2
	v_cvt_f16_f32_e32 v3, v3
	;; [unrolled: 1-line block ×4, first 2 shown]
	v_pack_b32_f16 v2, v2, v3
	v_pack_b32_f16 v3, v4, v5
	ds_write_b64 v46, v[2:3]
	s_waitcnt lgkmcnt(0)
	s_barrier
	s_and_saveexec_b64 s[8:9], s[4:5]
	s_cbranch_execz .LBB65_20
; %bb.18:
	s_load_dwordx2 s[4:5], s[0:1], 0x68
	s_lshl_b32 s0, s6, 6
	s_mul_i32 s1, s7, s2
	s_mul_hi_u32 s7, s1, s0
	s_mul_i32 s6, s1, s0
	v_lshlrev_b32_e32 v0, 10, v0
	s_lshl_b64 s[6:7], s[6:7], 1
	v_and_b32_e32 v0, 0x1800, v0
	v_lshlrev_b32_e32 v2, 5, v54
	v_and_b32_e32 v1, 16, v1
	s_waitcnt lgkmcnt(0)
	s_add_u32 s1, s4, s6
	v_or3_b32 v2, v0, v2, v1
	s_addc_u32 s4, s5, s7
	s_lshl_b32 s2, s28, 6
	s_lshl_b64 s[2:3], s[2:3], 1
	ds_read_b128 v[4:7], v2 offset:128
	ds_read_b128 v[8:11], v2
	s_add_u32 s2, s1, s2
	s_addc_u32 s3, s4, s3
	v_add_u32_e32 v14, s42, v54
	v_lshl_add_u64 v[0:1], s[2:3], 0, v[42:43]
	v_mad_u64_u32 v[12:13], s[2:3], v14, s0, 0
	v_lshl_add_u64 v[12:13], v[12:13], 1, v[0:1]
	s_waitcnt lgkmcnt(0)
	global_store_dwordx4 v[12:13], v[8:11], off
	v_or_b32_e32 v3, 8, v54
	v_cmp_gt_u32_e32 vcc, 10, v3
	v_add_u32_e32 v8, 4, v14
	v_mad_u64_u32 v[8:9], s[2:3], v8, s0, 0
	v_lshl_add_u64 v[8:9], v[8:9], 1, v[0:1]
	global_store_dwordx4 v[8:9], v[4:7], off
	s_and_b64 exec, exec, vcc
	s_cbranch_execz .LBB65_20
; %bb.19:
	ds_read_b128 v[4:7], v2 offset:256
	v_add_u32_e32 v2, s42, v3
	v_mad_u64_u32 v[2:3], s[0:1], v2, s0, 0
	v_lshl_add_u64 v[0:1], v[2:3], 1, v[0:1]
	s_waitcnt lgkmcnt(0)
	global_store_dwordx4 v[0:1], v[4:7], off
.LBB65_20:
	s_endpgm
	.section	.rodata,"a",@progbits
	.p2align	6, 0x0
	.amdhsa_kernel _Z39paged_attention_ll4mi_QKV_mfma16_kernelIDF16_DF16_LN4vllm18Fp8KVCacheDataTypeE0EDF16_Li16ELi64ELi256ELb1ELi10EEvPKT_PKT0_S7_ifPKiS9_S9_iPKfiiiPfSC_PS2_PT2_iSB_SB_
		.amdhsa_group_segment_fixed_size 8192
		.amdhsa_private_segment_fixed_size 0
		.amdhsa_kernarg_size 400
		.amdhsa_user_sgpr_count 2
		.amdhsa_user_sgpr_dispatch_ptr 0
		.amdhsa_user_sgpr_queue_ptr 0
		.amdhsa_user_sgpr_kernarg_segment_ptr 1
		.amdhsa_user_sgpr_dispatch_id 0
		.amdhsa_user_sgpr_kernarg_preload_length 0
		.amdhsa_user_sgpr_kernarg_preload_offset 0
		.amdhsa_user_sgpr_private_segment_size 0
		.amdhsa_uses_dynamic_stack 0
		.amdhsa_enable_private_segment 0
		.amdhsa_system_sgpr_workgroup_id_x 1
		.amdhsa_system_sgpr_workgroup_id_y 1
		.amdhsa_system_sgpr_workgroup_id_z 1
		.amdhsa_system_sgpr_workgroup_info 0
		.amdhsa_system_vgpr_workitem_id 0
		.amdhsa_next_free_vgpr 72
		.amdhsa_next_free_sgpr 48
		.amdhsa_accum_offset 72
		.amdhsa_reserve_vcc 1
		.amdhsa_float_round_mode_32 0
		.amdhsa_float_round_mode_16_64 0
		.amdhsa_float_denorm_mode_32 3
		.amdhsa_float_denorm_mode_16_64 3
		.amdhsa_dx10_clamp 1
		.amdhsa_ieee_mode 1
		.amdhsa_fp16_overflow 0
		.amdhsa_tg_split 0
		.amdhsa_exception_fp_ieee_invalid_op 0
		.amdhsa_exception_fp_denorm_src 0
		.amdhsa_exception_fp_ieee_div_zero 0
		.amdhsa_exception_fp_ieee_overflow 0
		.amdhsa_exception_fp_ieee_underflow 0
		.amdhsa_exception_fp_ieee_inexact 0
		.amdhsa_exception_int_div_zero 0
	.end_amdhsa_kernel
	.section	.text._Z39paged_attention_ll4mi_QKV_mfma16_kernelIDF16_DF16_LN4vllm18Fp8KVCacheDataTypeE0EDF16_Li16ELi64ELi256ELb1ELi10EEvPKT_PKT0_S7_ifPKiS9_S9_iPKfiiiPfSC_PS2_PT2_iSB_SB_,"axG",@progbits,_Z39paged_attention_ll4mi_QKV_mfma16_kernelIDF16_DF16_LN4vllm18Fp8KVCacheDataTypeE0EDF16_Li16ELi64ELi256ELb1ELi10EEvPKT_PKT0_S7_ifPKiS9_S9_iPKfiiiPfSC_PS2_PT2_iSB_SB_,comdat
.Lfunc_end65:
	.size	_Z39paged_attention_ll4mi_QKV_mfma16_kernelIDF16_DF16_LN4vllm18Fp8KVCacheDataTypeE0EDF16_Li16ELi64ELi256ELb1ELi10EEvPKT_PKT0_S7_ifPKiS9_S9_iPKfiiiPfSC_PS2_PT2_iSB_SB_, .Lfunc_end65-_Z39paged_attention_ll4mi_QKV_mfma16_kernelIDF16_DF16_LN4vllm18Fp8KVCacheDataTypeE0EDF16_Li16ELi64ELi256ELb1ELi10EEvPKT_PKT0_S7_ifPKiS9_S9_iPKfiiiPfSC_PS2_PT2_iSB_SB_
                                        ; -- End function
	.section	.AMDGPU.csdata,"",@progbits
; Kernel info:
; codeLenInByte = 4080
; NumSgprs: 54
; NumVgprs: 72
; NumAgprs: 0
; TotalNumVgprs: 72
; ScratchSize: 0
; MemoryBound: 0
; FloatMode: 240
; IeeeMode: 1
; LDSByteSize: 8192 bytes/workgroup (compile time only)
; SGPRBlocks: 6
; VGPRBlocks: 8
; NumSGPRsForWavesPerEU: 54
; NumVGPRsForWavesPerEU: 72
; AccumOffset: 72
; Occupancy: 7
; WaveLimiterHint : 1
; COMPUTE_PGM_RSRC2:SCRATCH_EN: 0
; COMPUTE_PGM_RSRC2:USER_SGPR: 2
; COMPUTE_PGM_RSRC2:TRAP_HANDLER: 0
; COMPUTE_PGM_RSRC2:TGID_X_EN: 1
; COMPUTE_PGM_RSRC2:TGID_Y_EN: 1
; COMPUTE_PGM_RSRC2:TGID_Z_EN: 1
; COMPUTE_PGM_RSRC2:TIDIG_COMP_CNT: 0
; COMPUTE_PGM_RSRC3_GFX90A:ACCUM_OFFSET: 17
; COMPUTE_PGM_RSRC3_GFX90A:TG_SPLIT: 0
	.section	.text._Z39paged_attention_ll4mi_QKV_mfma16_kernelIDF16_DF16_LN4vllm18Fp8KVCacheDataTypeE0EDF16_Li16ELi64ELi256ELb1ELi11EEvPKT_PKT0_S7_ifPKiS9_S9_iPKfiiiPfSC_PS2_PT2_iSB_SB_,"axG",@progbits,_Z39paged_attention_ll4mi_QKV_mfma16_kernelIDF16_DF16_LN4vllm18Fp8KVCacheDataTypeE0EDF16_Li16ELi64ELi256ELb1ELi11EEvPKT_PKT0_S7_ifPKiS9_S9_iPKfiiiPfSC_PS2_PT2_iSB_SB_,comdat
	.protected	_Z39paged_attention_ll4mi_QKV_mfma16_kernelIDF16_DF16_LN4vllm18Fp8KVCacheDataTypeE0EDF16_Li16ELi64ELi256ELb1ELi11EEvPKT_PKT0_S7_ifPKiS9_S9_iPKfiiiPfSC_PS2_PT2_iSB_SB_ ; -- Begin function _Z39paged_attention_ll4mi_QKV_mfma16_kernelIDF16_DF16_LN4vllm18Fp8KVCacheDataTypeE0EDF16_Li16ELi64ELi256ELb1ELi11EEvPKT_PKT0_S7_ifPKiS9_S9_iPKfiiiPfSC_PS2_PT2_iSB_SB_
	.globl	_Z39paged_attention_ll4mi_QKV_mfma16_kernelIDF16_DF16_LN4vllm18Fp8KVCacheDataTypeE0EDF16_Li16ELi64ELi256ELb1ELi11EEvPKT_PKT0_S7_ifPKiS9_S9_iPKfiiiPfSC_PS2_PT2_iSB_SB_
	.p2align	8
	.type	_Z39paged_attention_ll4mi_QKV_mfma16_kernelIDF16_DF16_LN4vllm18Fp8KVCacheDataTypeE0EDF16_Li16ELi64ELi256ELb1ELi11EEvPKT_PKT0_S7_ifPKiS9_S9_iPKfiiiPfSC_PS2_PT2_iSB_SB_,@function
_Z39paged_attention_ll4mi_QKV_mfma16_kernelIDF16_DF16_LN4vllm18Fp8KVCacheDataTypeE0EDF16_Li16ELi64ELi256ELb1ELi11EEvPKT_PKT0_S7_ifPKiS9_S9_iPKfiiiPfSC_PS2_PT2_iSB_SB_: ; @_Z39paged_attention_ll4mi_QKV_mfma16_kernelIDF16_DF16_LN4vllm18Fp8KVCacheDataTypeE0EDF16_Li16ELi64ELi256ELb1ELi11EEvPKT_PKT0_S7_ifPKiS9_S9_iPKfiiiPfSC_PS2_PT2_iSB_SB_
; %bb.0:
	s_load_dwordx2 s[8:9], s[0:1], 0x30
	s_mov_b32 s28, s3
	s_mov_b64 s[6:7], 0
	s_waitcnt lgkmcnt(0)
	s_cmp_lg_u64 s[8:9], 0
	s_cselect_b64 s[10:11], -1, 0
	s_and_b64 vcc, exec, s[10:11]
	s_cbranch_vccz .LBB66_7
; %bb.1:
	s_add_i32 s12, s2, 1
	s_mov_b32 s13, 0
	s_lshl_b64 s[14:15], s[12:13], 2
	s_add_u32 s14, s8, s14
	s_mov_b32 s3, s13
	s_addc_u32 s15, s9, s15
	s_lshl_b64 s[12:13], s[2:3], 2
	s_add_u32 s12, s8, s12
	s_addc_u32 s13, s9, s13
	s_load_dword s5, s[14:15], 0x0
	s_load_dword s16, s[12:13], 0x0
	s_waitcnt lgkmcnt(0)
	s_sub_i32 s5, s5, s16
	s_cmp_eq_u32 s5, 1
	s_cselect_b64 s[12:13], -1, 0
	s_andn2_b64 vcc, exec, s[6:7]
	s_cbranch_vccnz .LBB66_3
.LBB66_2:
	s_mov_b32 s3, 0
	s_mov_b64 s[12:13], -1
.LBB66_3:
	s_andn2_b64 vcc, exec, s[12:13]
	s_cbranch_vccnz .LBB66_20
; %bb.4:
	s_load_dwordx2 s[6:7], s[0:1], 0x28
	s_lshl_b64 s[12:13], s[2:3], 2
	s_waitcnt lgkmcnt(0)
	s_add_u32 s6, s6, s12
	s_addc_u32 s7, s7, s13
	s_load_dword s29, s[6:7], 0x0
	s_lshl_b32 s16, s28, 8
	s_waitcnt lgkmcnt(0)
	s_cmp_ge_i32 s16, s29
	s_cbranch_scc1 .LBB66_20
; %bb.5:
	s_load_dwordx2 s[6:7], s[0:1], 0x20
	s_load_dword s5, s[0:1], 0x38
	s_add_i32 s14, s29, 15
	s_ashr_i32 s15, s14, 31
	v_and_b32_e32 v1, 0xcf, v0
	s_lshr_b32 s15, s15, 28
	v_add_u32_e32 v1, s16, v1
	s_add_i32 s14, s14, s15
	v_ashrrev_i32_e32 v2, 31, v1
	s_ashr_i32 s17, s14, 4
	v_lshrrev_b32_e32 v6, 28, v2
	s_add_i32 s17, s17, -1
	s_waitcnt lgkmcnt(0)
	s_mul_i32 s14, s2, s5
	s_mov_b32 s15, 0
	v_add_u32_e32 v2, v1, v6
	s_lshl_b64 s[14:15], s[14:15], 2
	v_ashrrev_i32_e32 v2, 4, v2
	v_mov_b32_e32 v7, s17
	v_cmp_gt_i32_e32 vcc, s29, v1
	s_add_u32 s6, s6, s14
	s_addc_u32 s7, s7, s15
	v_cndmask_b32_e32 v2, v7, v2, vcc
	v_ashrrev_i32_e32 v3, 31, v2
	v_lshl_add_u64 v[4:5], v[2:3], 2, s[6:7]
	v_or_b32_e32 v2, 16, v1
	v_add_u32_e32 v3, v2, v6
	v_ashrrev_i32_e32 v3, 4, v3
	v_cmp_gt_i32_e32 vcc, s29, v2
	s_load_dwordx2 s[14:15], s[0:1], 0x8
	s_nop 0
	v_cndmask_b32_e32 v2, v7, v3, vcc
	v_ashrrev_i32_e32 v3, 31, v2
	v_lshl_add_u64 v[8:9], v[2:3], 2, s[6:7]
	v_or_b32_e32 v2, 32, v1
	v_add_u32_e32 v3, v2, v6
	v_ashrrev_i32_e32 v3, 4, v3
	v_cmp_gt_i32_e32 vcc, s29, v2
	v_or_b32_e32 v1, 48, v1
	s_nop 0
	v_cndmask_b32_e32 v2, v7, v3, vcc
	v_ashrrev_i32_e32 v3, 31, v2
	v_lshl_add_u64 v[10:11], v[2:3], 2, s[6:7]
	v_add_u32_e32 v2, v1, v6
	v_ashrrev_i32_e32 v2, 4, v2
	v_cmp_gt_i32_e32 vcc, s29, v1
	s_nop 1
	v_cndmask_b32_e32 v2, v7, v2, vcc
	v_ashrrev_i32_e32 v3, 31, v2
	v_lshl_add_u64 v[12:13], v[2:3], 2, s[6:7]
	global_load_dword v3, v[4:5], off
	global_load_dword v2, v[8:9], off
	;; [unrolled: 1-line block ×4, first 2 shown]
	s_andn2_b64 vcc, exec, s[10:11]
	s_cbranch_vccnz .LBB66_8
; %bb.6:
	s_add_u32 s8, s8, s12
	s_addc_u32 s9, s9, s13
	s_load_dword s5, s[8:9], 0x0
	s_branch .LBB66_9
.LBB66_7:
	s_mov_b64 s[12:13], 0
	s_branch .LBB66_2
.LBB66_8:
	s_mov_b32 s5, s2
.LBB66_9:
	s_load_dwordx2 s[8:9], s[0:1], 0x10
	s_load_dwordx4 s[44:47], s[0:1], 0x48
	v_lshrrev_b32_e32 v45, 6, v0
	v_bfe_u32 v54, v0, 4, 2
	v_lshl_or_b32 v1, v45, 2, v54
	v_and_b32_e32 v44, 15, v0
	v_lshlrev_b32_e32 v4, 3, v44
	v_cmp_gt_u32_e32 vcc, 11, v1
	v_cmp_gt_u32_e64 s[30:31], 8, v44
	s_mul_i32 s42, s4, 11
	s_and_b64 s[12:13], s[30:31], vcc
	v_lshlrev_b32_e32 v42, 1, v4
	s_and_saveexec_b64 s[10:11], s[12:13]
	s_cbranch_execz .LBB66_11
; %bb.10:
	s_load_dwordx2 s[12:13], s[0:1], 0x0
	s_waitcnt lgkmcnt(0)
	s_ashr_i32 s18, s44, 31
	s_mul_hi_u32 s19, s5, s44
	s_mul_i32 s18, s5, s18
	s_add_i32 s19, s19, s18
	s_mul_i32 s18, s5, s44
	s_lshl_b64 s[18:19], s[18:19], 1
	s_add_u32 s12, s12, s18
	v_add_lshl_u32 v4, v1, s42, 6
	s_addc_u32 s13, s13, s19
	v_ashrrev_i32_e32 v5, 31, v4
	v_lshl_add_u64 v[4:5], v[4:5], 1, s[12:13]
	v_mov_b32_e32 v43, 0
	v_lshl_add_u64 v[4:5], v[4:5], 0, v[42:43]
	global_load_dwordx4 v[8:11], v[4:5], off
	v_and_b32_e32 v4, 3, v0
	v_lshlrev_b32_e32 v5, 9, v44
	v_lshlrev_b32_e32 v1, 5, v1
	;; [unrolled: 1-line block ×3, first 2 shown]
	v_and_b32_e32 v5, 0x1800, v5
	v_or3_b32 v1, v5, v4, v1
	s_waitcnt vmcnt(0)
	ds_write_b128 v1, v[8:11]
.LBB66_11:
	s_or_b64 exec, exec, s[10:11]
	s_waitcnt lgkmcnt(0)
	s_mul_i32 s4, s4, s46
	s_mov_b32 s5, 0
	s_lshl_b64 s[4:5], s[4:5], 1
	s_add_u32 s10, s14, s4
	v_lshlrev_b32_e32 v1, 4, v0
	s_addc_u32 s11, s15, s5
	v_and_b32_e32 v46, 0xf0, v1
	v_mov_b32_e32 v47, 0
	v_lshl_add_u64 v[16:17], s[10:11], 0, v[46:47]
	s_waitcnt vmcnt(3)
	v_mad_i64_i32 v[4:5], s[10:11], v3, s45, 0
	s_waitcnt vmcnt(2)
	v_mad_i64_i32 v[2:3], s[10:11], v2, s45, 0
	;; [unrolled: 2-line block ×3, first 2 shown]
	v_lshl_add_u64 v[4:5], v[4:5], 1, v[16:17]
	v_and_b32_e32 v46, 0x300, v1
	v_lshl_add_u64 v[2:3], v[2:3], 1, v[16:17]
	v_lshl_add_u64 v[6:7], v[6:7], 1, v[16:17]
	s_waitcnt vmcnt(0)
	v_mad_i64_i32 v[14:15], s[10:11], v14, s45, 0
	v_lshl_add_u64 v[4:5], v[4:5], 0, v[46:47]
	v_lshl_add_u64 v[8:9], v[2:3], 0, v[46:47]
	;; [unrolled: 1-line block ×4, first 2 shown]
	s_barrier
	global_load_dwordx4 v[30:33], v[4:5], off
	global_load_dwordx4 v[10:13], v[4:5], off offset:1024
	global_load_dwordx4 v[22:25], v[8:9], off
	s_nop 0
	global_load_dwordx4 v[2:5], v[8:9], off offset:1024
	global_load_dwordx4 v[26:29], v[18:19], off
	s_nop 0
	global_load_dwordx4 v[6:9], v[18:19], off offset:1024
	v_lshl_add_u64 v[18:19], v[14:15], 0, v[46:47]
	global_load_dwordx4 v[34:37], v[18:19], off
	global_load_dwordx4 v[14:17], v[18:19], off offset:1024
	v_add_u32_e32 v18, -11, v44
	v_cmp_gt_u32_e32 vcc, 11, v44
	v_and_b32_e32 v55, 63, v0
	v_mov_b32_e32 v56, 0
	v_cndmask_b32_e32 v18, v18, v44, vcc
	v_lshlrev_b32_e32 v18, 5, v18
	v_lshl_add_u32 v18, v54, 9, v18
	ds_read_b128 v[38:41], v18
	ds_read_b128 v[18:21], v18 offset:2048
	s_and_saveexec_b64 s[10:11], vcc
	s_cbranch_execz .LBB66_13
; %bb.12:
	s_load_dwordx2 s[12:13], s[0:1], 0x40
	v_add_u32_e32 v48, s42, v44
	v_ashrrev_i32_e32 v49, 31, v48
	s_waitcnt lgkmcnt(0)
	v_lshl_add_u64 v[48:49], v[48:49], 2, s[12:13]
	global_load_dword v56, v[48:49], off
.LBB66_13:
	s_or_b64 exec, exec, s[10:11]
	v_and_or_b32 v46, v0, 48, s16
	v_ashrrev_i32_e32 v43, 4, v46
	v_mov_b32_e32 v57, s17
	v_cmp_gt_i32_e32 vcc, s29, v46
	s_waitcnt vmcnt(5) lgkmcnt(1)
	v_mfma_f32_16x16x16_f16 v[58:61], v[22:23], v[38:39], 0
	s_load_dword s10, s[0:1], 0x1c
	v_cndmask_b32_e32 v48, v57, v43, vcc
	v_ashrrev_i32_e32 v49, 31, v48
	v_or_b32_e32 v43, 64, v46
	v_lshl_add_u64 v[52:53], v[48:49], 2, s[6:7]
	v_mfma_f32_16x16x16_f16 v[48:51], v[30:31], v[38:39], 0
	v_ashrrev_i32_e32 v30, 4, v43
	v_cmp_gt_i32_e32 vcc, s29, v43
	global_load_dword v70, v[52:53], off
	s_waitcnt vmcnt(4)
	v_mfma_f32_16x16x16_f16 v[62:65], v[26:27], v[38:39], 0
	v_cndmask_b32_e32 v30, v57, v30, vcc
	v_ashrrev_i32_e32 v31, 31, v30
	v_lshl_add_u64 v[22:23], v[30:31], 2, s[6:7]
	global_load_dword v71, v[22:23], off
	v_mfma_f32_16x16x16_f16 v[22:25], v[24:25], v[40:41], v[58:61]
	v_and_b32_e32 v26, 0xc0, v0
	s_add_u32 s4, s8, s4
	v_lshlrev_b32_e32 v43, 5, v44
	v_mfma_f32_16x16x16_f16 v[30:33], v[32:33], v[40:41], v[48:51]
	s_addc_u32 s5, s9, s5
	s_mov_b32 s33, 0xff7fffff
	s_waitcnt vmcnt(3)
	v_mfma_f32_16x16x16_f16 v[66:69], v[34:35], v[38:39], 0
	v_or_b32_e32 v38, 0x80, v46
	v_add_u32_e32 v48, s16, v26
	v_or_b32_e32 v39, 0xc0, v46
	v_mfma_f32_16x16x16_f16 v[26:29], v[28:29], v[40:41], v[62:65]
	v_ashrrev_i32_e32 v49, 4, v38
	v_cmp_gt_i32_e32 vcc, s29, v38
	v_ashrrev_i32_e32 v50, 4, v39
	s_waitcnt lgkmcnt(0)
	v_mfma_f32_16x16x16_f16 v[22:25], v[2:3], v[18:19], v[22:25]
	v_cndmask_b32_e32 v38, v57, v49, vcc
	v_cmp_gt_i32_e32 vcc, s29, v39
	v_ashrrev_i32_e32 v39, 31, v38
	v_mfma_f32_16x16x16_f16 v[30:33], v[10:11], v[18:19], v[30:33]
	v_cndmask_b32_e32 v10, v57, v50, vcc
	v_ashrrev_i32_e32 v11, 31, v10
	v_lshl_or_b32 v58, v54, 2, v48
	v_mfma_f32_16x16x16_f16 v[26:29], v[6:7], v[18:19], v[26:29]
	v_lshl_add_u64 v[6:7], v[38:39], 2, s[6:7]
	v_lshl_add_u64 v[38:39], v[10:11], 2, s[6:7]
	v_or_b32_e32 v57, 1, v58
	v_mfma_f32_16x16x16_f16 v[2:5], v[4:5], v[20:21], v[22:25]
	s_nop 2
	global_load_dword v22, v[6:7], off
	global_load_dword v61, v[38:39], off
	v_subrev_u32_e32 v59, s29, v57
	v_cvt_f32_i32_e32 v60, v59
	v_mfma_f32_16x16x16_f16 v[34:37], v[36:37], v[40:41], v[66:69]
	v_pk_mul_f32 v[48:49], s[10:11], v[4:5] op_sel_hi:[0,1]
	v_lshl_or_b32 v46, v45, 9, v43
	v_lshl_add_u64 v[46:47], s[4:5], 0, v[46:47]
	s_waitcnt vmcnt(4)
	v_mfma_f32_16x16x16_f16 v[34:37], v[14:15], v[18:19], v[34:37]
	v_add_u32_e32 v14, 1, v59
	v_add_u32_e32 v15, 2, v59
	v_cvt_f32_i32_e32 v23, v14
	v_cvt_f32_i32_e32 v24, v15
	v_mfma_f32_16x16x16_f16 v[14:17], v[16:17], v[20:21], v[34:37]
	v_add_u32_e32 v18, 3, v59
	v_cvt_f32_i32_e32 v18, v18
	v_pk_mul_f32 v[50:51], s[10:11], v[2:3] op_sel_hi:[0,1]
	v_mfma_f32_16x16x16_f16 v[10:13], v[12:13], v[20:21], v[30:33]
	v_cmp_gt_i32_e64 s[34:35], s29, v57
	s_nop 1
	v_pk_mul_f32 v[36:37], s[10:11], v[14:15] op_sel_hi:[0,1]
	v_add_u32_e32 v15, 19, v59
	v_add_u32_e32 v31, 18, v59
	v_cvt_f32_i32_e32 v14, v31
	v_cvt_f32_i32_e32 v15, v15
	v_mfma_f32_16x16x16_f16 v[6:9], v[8:9], v[20:21], v[26:29]
	v_pk_mul_f32 v[34:35], s[10:11], v[16:17] op_sel_hi:[0,1]
	v_fma_f32 v48, v56, v14, v48
	v_add_u32_e32 v14, 32, v59
	v_fmac_f32_e32 v49, v56, v15
	v_cvt_f32_i32_e32 v14, v14
	v_add_u32_e32 v15, 33, v59
	v_add_u32_e32 v16, 34, v59
	v_cvt_f32_i32_e32 v15, v15
	v_cvt_f32_i32_e32 v16, v16
	v_add_u32_e32 v17, 35, v59
	v_cvt_f32_i32_e32 v17, v17
	v_pk_mul_f32 v[40:41], s[10:11], v[6:7] op_sel_hi:[0,1]
	v_pk_mul_f32 v[38:39], s[10:11], v[8:9] op_sel_hi:[0,1]
	v_fma_f32 v40, v56, v14, v40
	v_add_u32_e32 v14, 48, v59
	v_fmac_f32_e32 v41, v56, v15
	v_fma_f32 v38, v56, v16, v38
	v_cvt_f32_i32_e32 v14, v14
	v_add_u32_e32 v15, 49, v59
	v_add_u32_e32 v16, 50, v59
	v_fmac_f32_e32 v39, v56, v17
	v_cvt_f32_i32_e32 v15, v15
	v_cvt_f32_i32_e32 v16, v16
	v_add_u32_e32 v17, 51, v59
	v_cvt_f32_i32_e32 v17, v17
	v_pk_mul_f32 v[52:53], s[10:11], v[12:13] op_sel_hi:[0,1]
	v_pk_mul_f32 v[10:11], s[10:11], v[10:11] op_sel_hi:[0,1]
	s_waitcnt vmcnt(3)
	v_mad_i64_i32 v[2:3], s[4:5], v70, s45, 0
	s_waitcnt vmcnt(2)
	v_mad_i64_i32 v[12:13], s[4:5], v71, s45, 0
	v_fma_f32 v10, v56, v60, v10
	v_fmac_f32_e32 v11, v56, v23
	v_fma_f32 v36, v56, v14, v36
	v_mov_b32_e32 v14, 0xff7fffff
	v_cmp_gt_i32_e64 s[4:5], s29, v58
	v_add_u32_e32 v19, 16, v59
	v_add_u32_e32 v30, 17, v59
	v_fmac_f32_e32 v37, v56, v15
	v_fma_f32 v34, v56, v16, v34
	v_cndmask_b32_e64 v15, v14, v10, s[4:5]
	v_cndmask_b32_e64 v16, v14, v11, s[34:35]
	v_cvt_f32_i32_e32 v19, v19
	v_cvt_f32_i32_e32 v25, v30
	v_fmac_f32_e32 v35, v56, v17
	v_max3_f32 v15, v15, s33, v16
	v_or_b32_e32 v16, 2, v58
	v_or_b32_e32 v17, 3, v58
	v_fma_f32 v52, v56, v24, v52
	v_fmac_f32_e32 v53, v56, v18
	v_cmp_gt_i32_e64 s[36:37], s29, v16
	v_cmp_gt_i32_e64 s[38:39], s29, v17
	v_fma_f32 v50, v56, v19, v50
	v_cndmask_b32_e64 v16, v14, v52, s[36:37]
	v_cndmask_b32_e64 v17, v14, v53, s[38:39]
	v_max3_f32 v15, v15, v16, v17
	v_or_b32_e32 v16, 16, v58
	v_or_b32_e32 v17, 17, v58
	v_fmac_f32_e32 v51, v56, v25
	v_cmp_gt_i32_e64 s[24:25], s29, v16
	v_cmp_gt_i32_e64 s[26:27], s29, v17
	v_lshl_add_u64 v[2:3], v[2:3], 1, v[46:47]
	v_cndmask_b32_e64 v16, v14, v50, s[24:25]
	v_cndmask_b32_e64 v17, v14, v51, s[26:27]
	v_max3_f32 v15, v15, v16, v17
	v_or_b32_e32 v16, 18, v58
	v_or_b32_e32 v17, 19, v58
	v_cmp_gt_i32_e64 s[20:21], s29, v16
	v_cmp_gt_i32_e64 s[22:23], s29, v17
	v_lshl_add_u64 v[12:13], v[12:13], 1, v[46:47]
	v_cndmask_b32_e64 v16, v14, v48, s[20:21]
	v_cndmask_b32_e64 v17, v14, v49, s[22:23]
	v_max3_f32 v15, v15, v16, v17
	v_or_b32_e32 v16, 32, v58
	v_or_b32_e32 v17, 33, v58
	v_cmp_gt_i32_e64 s[16:17], s29, v16
	v_cmp_gt_i32_e64 s[18:19], s29, v17
	global_load_dwordx4 v[6:9], v[2:3], off
	s_nop 0
	global_load_dwordx4 v[2:5], v[2:3], off offset:16
	v_cndmask_b32_e64 v16, v14, v40, s[16:17]
	v_cndmask_b32_e64 v17, v14, v41, s[18:19]
	v_max3_f32 v15, v15, v16, v17
	v_or_b32_e32 v16, 34, v58
	v_or_b32_e32 v17, 35, v58
	v_cmp_gt_i32_e64 s[12:13], s29, v16
	v_cmp_gt_i32_e64 s[14:15], s29, v17
	global_load_dwordx4 v[30:33], v[12:13], off
	global_load_dwordx4 v[26:29], v[12:13], off offset:16
	v_cndmask_b32_e64 v16, v14, v38, s[12:13]
	v_cndmask_b32_e64 v17, v14, v39, s[14:15]
	v_max3_f32 v15, v15, v16, v17
	v_or_b32_e32 v16, 48, v58
	v_or_b32_e32 v17, 49, v58
	v_cmp_gt_i32_e64 s[8:9], s29, v16
	v_cmp_gt_i32_e64 s[10:11], s29, v17
	s_nop 0
	v_cndmask_b32_e64 v16, v14, v36, s[8:9]
	v_cndmask_b32_e64 v17, v14, v37, s[10:11]
	v_max3_f32 v15, v15, v16, v17
	v_or_b32_e32 v16, 50, v58
	v_or_b32_e32 v17, 51, v58
	v_cmp_gt_i32_e32 vcc, s29, v16
	v_cmp_gt_i32_e64 s[6:7], s29, v17
	s_nop 0
	v_cndmask_b32_e32 v16, v14, v34, vcc
	v_cndmask_b32_e64 v14, v14, v35, s[6:7]
	v_max3_f32 v14, v15, v16, v14
	v_mbcnt_lo_u32_b32 v15, -1, 0
	v_mbcnt_hi_u32_b32 v15, -1, v15
	v_and_b32_e32 v16, 64, v15
	v_add_u32_e32 v16, 64, v16
	v_xor_b32_e32 v17, 32, v15
	v_cmp_lt_i32_e64 s[40:41], v17, v16
	s_nop 1
	v_cndmask_b32_e64 v17, v15, v17, s[40:41]
	v_lshlrev_b32_e32 v57, 2, v17
	ds_bpermute_b32 v17, v57, v14
	s_waitcnt vmcnt(5)
	v_mad_i64_i32 v[12:13], s[40:41], v22, s45, 0
	v_lshl_add_u64 v[12:13], v[12:13], 1, v[46:47]
	global_load_dwordx4 v[22:25], v[12:13], off
	global_load_dwordx4 v[18:21], v[12:13], off offset:16
	s_waitcnt lgkmcnt(0)
	v_max_f32_e32 v17, v17, v17
	v_max_f32_e32 v14, v14, v17
	v_xor_b32_e32 v17, 16, v15
	v_cmp_lt_i32_e64 s[40:41], v17, v16
	s_nop 1
	v_cndmask_b32_e64 v15, v15, v17, s[40:41]
	v_lshlrev_b32_e32 v59, 2, v15
	ds_bpermute_b32 v15, v59, v14
	s_waitcnt vmcnt(6)
	v_mad_i64_i32 v[12:13], s[40:41], v61, s45, 0
	v_lshl_add_u64 v[12:13], v[12:13], 1, v[46:47]
	s_waitcnt lgkmcnt(0)
	v_max_f32_e32 v15, v15, v15
	v_max_f32_e32 v56, v14, v15
	v_sub_f32_e32 v10, v10, v56
	v_mul_f32_e32 v10, 0x3fb8aa3b, v10
	v_exp_f32_e32 v46, v10
	v_sub_f32_e32 v10, v11, v56
	v_mul_f32_e32 v10, 0x3fb8aa3b, v10
	v_exp_f32_e32 v47, v10
	global_load_dwordx4 v[14:17], v[12:13], off
	s_nop 0
	global_load_dwordx4 v[10:13], v[12:13], off offset:16
	v_sub_f32_e32 v52, v52, v56
	v_mul_f32_e32 v52, 0x3fb8aa3b, v52
	v_sub_f32_e32 v53, v53, v56
	v_exp_f32_e32 v52, v52
	v_mul_f32_e32 v53, 0x3fb8aa3b, v53
	v_sub_f32_e32 v50, v50, v56
	v_exp_f32_e32 v53, v53
	v_mul_f32_e32 v50, 0x3fb8aa3b, v50
	v_sub_f32_e32 v51, v51, v56
	v_cndmask_b32_e64 v46, 0, v46, s[4:5]
	v_exp_f32_e32 v50, v50
	v_mul_f32_e32 v51, 0x3fb8aa3b, v51
	v_sub_f32_e32 v48, v48, v56
	v_add_f32_e32 v58, 0, v46
	v_cndmask_b32_e64 v47, 0, v47, s[34:35]
	v_exp_f32_e32 v51, v51
	v_mul_f32_e32 v48, 0x3fb8aa3b, v48
	v_sub_f32_e32 v49, v49, v56
	v_add_f32_e32 v58, v58, v47
	;; [unrolled: 5-line block ×10, first 2 shown]
	v_cndmask_b32_e64 v38, 0, v38, s[12:13]
	v_exp_f32_e32 v34, v34
	v_mul_f32_e32 v35, 0x3fb8aa3b, v35
	v_add_f32_e32 v58, v58, v38
	v_cndmask_b32_e64 v39, 0, v39, s[14:15]
	v_exp_f32_e32 v35, v35
	v_add_f32_e32 v58, v58, v39
	v_cndmask_b32_e64 v36, 0, v36, s[8:9]
	v_add_f32_e32 v58, v58, v36
	v_cndmask_b32_e64 v37, 0, v37, s[10:11]
	v_add_f32_e32 v58, v58, v37
	v_cndmask_b32_e32 v34, 0, v34, vcc
	v_add_f32_e32 v58, v58, v34
	v_cndmask_b32_e64 v35, 0, v35, s[6:7]
	v_add_f32_e32 v58, v58, v35
	ds_bpermute_b32 v57, v57, v58
	s_load_dword s7, s[0:1], 0x98
	v_cmp_gt_u32_e32 vcc, 16, v55
	s_waitcnt lgkmcnt(0)
	s_barrier
	v_add_f32_e32 v58, v58, v57
	ds_bpermute_b32 v59, v59, v58
	v_lshlrev_b32_e32 v57, 2, v44
	s_waitcnt lgkmcnt(0)
	s_and_saveexec_b64 s[4:5], vcc
	s_cbranch_execz .LBB66_15
; %bb.14:
	v_add_f32_e32 v55, v58, v59
	v_lshl_or_b32 v58, v45, 6, v57
	ds_write2st64_b32 v58, v56, v55 offset1:1
.LBB66_15:
	s_or_b64 exec, exec, s[4:5]
	s_load_dword s6, s[0:1], 0x94
	s_waitcnt lgkmcnt(0)
	s_barrier
	ds_read2_b32 v[58:59], v57 offset1:16
	ds_read2_b32 v[60:61], v57 offset0:32 offset1:48
	ds_read2_b32 v[62:63], v57 offset0:64 offset1:80
	s_mul_i32 s7, s7, 11
	s_waitcnt lgkmcnt(2)
	v_max3_f32 v55, v58, s33, v59
	s_waitcnt lgkmcnt(1)
	v_max3_f32 v55, v55, v60, v61
	v_sub_f32_e32 v56, v58, v55
	v_mul_f32_e32 v56, 0x3fb8aa3b, v56
	v_exp_f32_e32 v64, v56
	v_sub_f32_e32 v56, v59, v55
	v_mul_f32_e32 v56, 0x3fb8aa3b, v56
	v_exp_f32_e32 v65, v56
	;; [unrolled: 3-line block ×3, first 2 shown]
	ds_read2_b32 v[58:59], v57 offset0:96 offset1:112
	v_sub_f32_e32 v56, v61, v55
	v_mul_f32_e32 v56, 0x3fb8aa3b, v56
	v_exp_f32_e32 v57, v56
	s_waitcnt lgkmcnt(1)
	v_fma_f32 v56, v64, v62, 0
	v_fmac_f32_e32 v56, v65, v63
	s_waitcnt lgkmcnt(0)
	v_fmac_f32_e32 v56, v60, v58
	v_fmac_f32_e32 v56, v57, v59
	v_add_f32_e32 v58, 0x358637bd, v56
	v_div_scale_f32 v59, s[4:5], v58, v58, 1.0
	v_rcp_f32_e32 v61, v59
	s_barrier
	v_fma_f32 v62, -v59, v61, 1.0
	v_fmac_f32_e32 v61, v62, v61
	v_div_scale_f32 v62, vcc, 1.0, v58, 1.0
	v_mul_f32_e32 v63, v62, v61
	v_fma_f32 v66, -v59, v63, v62
	v_fmac_f32_e32 v63, v66, v61
	v_fma_f32 v59, -v59, v63, v62
	v_div_fmas_f32 v59, v59, v61, v63
	v_cmp_eq_u32_e32 vcc, 1, v45
	v_div_fixup_f32 v58, v59, v58, 1.0
	s_nop 0
	v_cndmask_b32_e32 v59, v64, v65, vcc
	v_cmp_eq_u32_e32 vcc, 2, v45
	s_nop 1
	v_cndmask_b32_e32 v59, v59, v60, vcc
	v_cmp_eq_u32_e32 vcc, 3, v45
	v_lshlrev_b32_e32 v45, 11, v45
	s_nop 0
	v_cndmask_b32_e32 v57, v59, v57, vcc
	v_mul_f32_e32 v58, v57, v58
	v_pk_mul_f32 v[46:47], v[58:59], v[46:47] op_sel_hi:[0,1]
	v_cvt_f16_f32_e32 v46, v46
	v_cvt_f16_f32_e32 v47, v47
	v_pk_mul_f32 v[52:53], v[58:59], v[52:53] op_sel_hi:[0,1]
	v_cvt_f16_f32_e32 v57, v52
	v_cvt_f16_f32_e32 v53, v53
	v_pack_b32_f16 v52, v46, v47
	v_pk_mul_f32 v[46:47], v[58:59], v[48:49] op_sel_hi:[0,1]
	v_pk_mul_f32 v[48:49], v[58:59], v[50:51] op_sel_hi:[0,1]
	v_cvt_f16_f32_e32 v48, v48
	v_cvt_f16_f32_e32 v49, v49
	;; [unrolled: 1-line block ×4, first 2 shown]
	v_pack_b32_f16 v53, v57, v53
	v_lshlrev_b32_e32 v57, 3, v54
	v_pk_mul_f32 v[38:39], v[58:59], v[38:39] op_sel_hi:[0,1]
	v_pk_mul_f32 v[40:41], v[58:59], v[40:41] op_sel_hi:[0,1]
	;; [unrolled: 1-line block ×4, first 2 shown]
	v_or3_b32 v46, v45, v43, v57
	v_pack_b32_f16 v48, v48, v49
	v_pack_b32_f16 v49, v50, v47
	v_cvt_f16_f32_e32 v40, v40
	v_cvt_f16_f32_e32 v41, v41
	;; [unrolled: 1-line block ×8, first 2 shown]
	v_pack_b32_f16 v34, v40, v41
	v_pack_b32_f16 v35, v38, v39
	;; [unrolled: 1-line block ×4, first 2 shown]
	v_cmp_gt_u32_e32 vcc, 11, v0
	ds_write2st64_b64 v46, v[52:53], v[48:49] offset1:1
	ds_write2st64_b64 v46, v[34:35], v[36:37] offset0:2 offset1:3
	s_and_saveexec_b64 s[4:5], vcc
	s_cbranch_execz .LBB66_17
; %bb.16:
	s_mov_b32 s43, 0
	v_mov_b32_e32 v45, 0
	v_lshl_add_u64 v[34:35], s[42:43], 0, v[44:45]
	v_mov_b32_e32 v36, s7
	v_mad_u64_u32 v[34:35], s[12:13], s2, v36, v[34:35]
	s_mul_i32 s3, s3, s7
	v_mov_b32_e32 v44, s28
	s_load_dwordx4 s[8:11], s[0:1], 0x58
	v_add_u32_e32 v37, s3, v35
	v_mad_u64_u32 v[34:35], s[12:13], v34, s6, v[44:45]
	v_mov_b32_e32 v36, v35
	v_mad_u64_u32 v[36:37], s[12:13], v37, s6, v[36:37]
	v_mov_b32_e32 v35, v36
	v_lshlrev_b64 v[34:35], 2, v[34:35]
	s_waitcnt lgkmcnt(0)
	v_lshl_add_u64 v[36:37], s[10:11], 0, v[34:35]
	v_lshl_add_u64 v[34:35], s[8:9], 0, v[34:35]
	global_store_dword v[36:37], v55, off
	global_store_dword v[34:35], v56, off
.LBB66_17:
	s_or_b64 exec, exec, s[4:5]
	v_lshl_or_b32 v43, v54, 9, v43
	s_waitcnt lgkmcnt(0)
	s_barrier
	ds_read_b128 v[34:37], v43
	ds_read_b128 v[38:41], v43 offset:16
	s_waitcnt vmcnt(7) lgkmcnt(1)
	v_mfma_f32_16x16x16_f16 v[48:51], v[6:7], v[34:35], 0
	v_cmp_gt_u32_e32 vcc, 64, v0
	s_mov_b32 s3, 0
	s_and_b64 s[4:5], vcc, s[30:31]
	v_mfma_f32_16x16x16_f16 v[6:9], v[8:9], v[36:37], v[48:51]
	s_waitcnt vmcnt(6) lgkmcnt(0)
	v_mfma_f32_16x16x16_f16 v[6:9], v[2:3], v[38:39], v[6:9]
	v_mfma_f32_16x16x16_f16 v[2:5], v[4:5], v[40:41], v[6:9]
	s_nop 5
	ds_read_b128 v[6:9], v43 offset:2048
	ds_read_b128 v[34:37], v43 offset:2064
	s_waitcnt vmcnt(5) lgkmcnt(1)
	v_mfma_f32_16x16x16_f16 v[2:5], v[30:31], v[6:7], v[2:5]
	v_mfma_f32_16x16x16_f16 v[2:5], v[32:33], v[8:9], v[2:5]
	s_waitcnt vmcnt(4) lgkmcnt(0)
	v_mfma_f32_16x16x16_f16 v[2:5], v[26:27], v[34:35], v[2:5]
	v_mfma_f32_16x16x16_f16 v[2:5], v[28:29], v[36:37], v[2:5]
	ds_read_b128 v[6:9], v43 offset:4096
	ds_read_b128 v[26:29], v43 offset:4112
	s_waitcnt vmcnt(3) lgkmcnt(1)
	v_mfma_f32_16x16x16_f16 v[2:5], v[22:23], v[6:7], v[2:5]
	v_mfma_f32_16x16x16_f16 v[2:5], v[24:25], v[8:9], v[2:5]
	s_waitcnt vmcnt(2) lgkmcnt(0)
	v_mfma_f32_16x16x16_f16 v[2:5], v[18:19], v[26:27], v[2:5]
	v_mfma_f32_16x16x16_f16 v[2:5], v[20:21], v[28:29], v[2:5]
	ds_read_b128 v[6:9], v43 offset:6144
	ds_read_b128 v[18:21], v43 offset:6160
	v_mov_b32_e32 v43, 0
	s_waitcnt vmcnt(1) lgkmcnt(0)
	v_mfma_f32_16x16x16_f16 v[2:5], v[14:15], v[6:7], v[2:5]
	s_barrier
	v_mfma_f32_16x16x16_f16 v[2:5], v[16:17], v[8:9], v[2:5]
	s_waitcnt vmcnt(0)
	v_mfma_f32_16x16x16_f16 v[2:5], v[10:11], v[18:19], v[2:5]
	v_mfma_f32_16x16x16_f16 v[2:5], v[12:13], v[20:21], v[2:5]
	s_nop 6
	v_cvt_f16_f32_e32 v2, v2
	v_cvt_f16_f32_e32 v3, v3
	;; [unrolled: 1-line block ×4, first 2 shown]
	v_pack_b32_f16 v2, v2, v3
	v_pack_b32_f16 v3, v4, v5
	ds_write_b64 v46, v[2:3]
	s_waitcnt lgkmcnt(0)
	s_barrier
	s_and_saveexec_b64 s[8:9], s[4:5]
	s_cbranch_execz .LBB66_20
; %bb.18:
	s_load_dwordx2 s[4:5], s[0:1], 0x68
	s_lshl_b32 s0, s6, 6
	s_mul_i32 s1, s7, s2
	s_mul_hi_u32 s7, s1, s0
	s_mul_i32 s6, s1, s0
	v_lshlrev_b32_e32 v0, 10, v0
	s_lshl_b64 s[6:7], s[6:7], 1
	v_and_b32_e32 v0, 0x1800, v0
	v_lshlrev_b32_e32 v2, 5, v54
	v_and_b32_e32 v1, 16, v1
	s_waitcnt lgkmcnt(0)
	s_add_u32 s1, s4, s6
	v_or3_b32 v2, v0, v2, v1
	s_addc_u32 s4, s5, s7
	s_lshl_b32 s2, s28, 6
	s_lshl_b64 s[2:3], s[2:3], 1
	ds_read_b128 v[4:7], v2 offset:128
	ds_read_b128 v[8:11], v2
	s_add_u32 s2, s1, s2
	s_addc_u32 s3, s4, s3
	v_add_u32_e32 v3, s42, v54
	v_lshl_add_u64 v[0:1], s[2:3], 0, v[42:43]
	v_mad_u64_u32 v[12:13], s[2:3], v3, s0, 0
	v_lshl_add_u64 v[12:13], v[12:13], 1, v[0:1]
	v_add_u32_e32 v3, 4, v3
	s_waitcnt lgkmcnt(0)
	global_store_dwordx4 v[12:13], v[8:11], off
	v_cmp_ne_u32_e32 vcc, 3, v54
	s_nop 0
	v_mad_u64_u32 v[8:9], s[2:3], v3, s0, 0
	v_lshl_add_u64 v[8:9], v[8:9], 1, v[0:1]
	global_store_dwordx4 v[8:9], v[4:7], off
	s_and_b64 exec, exec, vcc
	s_cbranch_execz .LBB66_20
; %bb.19:
	ds_read_b128 v[2:5], v2 offset:256
	v_add3_u32 v6, s42, v54, 8
	v_mad_u64_u32 v[6:7], s[0:1], v6, s0, 0
	v_lshl_add_u64 v[0:1], v[6:7], 1, v[0:1]
	s_waitcnt lgkmcnt(0)
	global_store_dwordx4 v[0:1], v[2:5], off
.LBB66_20:
	s_endpgm
	.section	.rodata,"a",@progbits
	.p2align	6, 0x0
	.amdhsa_kernel _Z39paged_attention_ll4mi_QKV_mfma16_kernelIDF16_DF16_LN4vllm18Fp8KVCacheDataTypeE0EDF16_Li16ELi64ELi256ELb1ELi11EEvPKT_PKT0_S7_ifPKiS9_S9_iPKfiiiPfSC_PS2_PT2_iSB_SB_
		.amdhsa_group_segment_fixed_size 8192
		.amdhsa_private_segment_fixed_size 0
		.amdhsa_kernarg_size 400
		.amdhsa_user_sgpr_count 2
		.amdhsa_user_sgpr_dispatch_ptr 0
		.amdhsa_user_sgpr_queue_ptr 0
		.amdhsa_user_sgpr_kernarg_segment_ptr 1
		.amdhsa_user_sgpr_dispatch_id 0
		.amdhsa_user_sgpr_kernarg_preload_length 0
		.amdhsa_user_sgpr_kernarg_preload_offset 0
		.amdhsa_user_sgpr_private_segment_size 0
		.amdhsa_uses_dynamic_stack 0
		.amdhsa_enable_private_segment 0
		.amdhsa_system_sgpr_workgroup_id_x 1
		.amdhsa_system_sgpr_workgroup_id_y 1
		.amdhsa_system_sgpr_workgroup_id_z 1
		.amdhsa_system_sgpr_workgroup_info 0
		.amdhsa_system_vgpr_workitem_id 0
		.amdhsa_next_free_vgpr 72
		.amdhsa_next_free_sgpr 48
		.amdhsa_accum_offset 72
		.amdhsa_reserve_vcc 1
		.amdhsa_float_round_mode_32 0
		.amdhsa_float_round_mode_16_64 0
		.amdhsa_float_denorm_mode_32 3
		.amdhsa_float_denorm_mode_16_64 3
		.amdhsa_dx10_clamp 1
		.amdhsa_ieee_mode 1
		.amdhsa_fp16_overflow 0
		.amdhsa_tg_split 0
		.amdhsa_exception_fp_ieee_invalid_op 0
		.amdhsa_exception_fp_denorm_src 0
		.amdhsa_exception_fp_ieee_div_zero 0
		.amdhsa_exception_fp_ieee_overflow 0
		.amdhsa_exception_fp_ieee_underflow 0
		.amdhsa_exception_fp_ieee_inexact 0
		.amdhsa_exception_int_div_zero 0
	.end_amdhsa_kernel
	.section	.text._Z39paged_attention_ll4mi_QKV_mfma16_kernelIDF16_DF16_LN4vllm18Fp8KVCacheDataTypeE0EDF16_Li16ELi64ELi256ELb1ELi11EEvPKT_PKT0_S7_ifPKiS9_S9_iPKfiiiPfSC_PS2_PT2_iSB_SB_,"axG",@progbits,_Z39paged_attention_ll4mi_QKV_mfma16_kernelIDF16_DF16_LN4vllm18Fp8KVCacheDataTypeE0EDF16_Li16ELi64ELi256ELb1ELi11EEvPKT_PKT0_S7_ifPKiS9_S9_iPKfiiiPfSC_PS2_PT2_iSB_SB_,comdat
.Lfunc_end66:
	.size	_Z39paged_attention_ll4mi_QKV_mfma16_kernelIDF16_DF16_LN4vllm18Fp8KVCacheDataTypeE0EDF16_Li16ELi64ELi256ELb1ELi11EEvPKT_PKT0_S7_ifPKiS9_S9_iPKfiiiPfSC_PS2_PT2_iSB_SB_, .Lfunc_end66-_Z39paged_attention_ll4mi_QKV_mfma16_kernelIDF16_DF16_LN4vllm18Fp8KVCacheDataTypeE0EDF16_Li16ELi64ELi256ELb1ELi11EEvPKT_PKT0_S7_ifPKiS9_S9_iPKfiiiPfSC_PS2_PT2_iSB_SB_
                                        ; -- End function
	.section	.AMDGPU.csdata,"",@progbits
; Kernel info:
; codeLenInByte = 4084
; NumSgprs: 54
; NumVgprs: 72
; NumAgprs: 0
; TotalNumVgprs: 72
; ScratchSize: 0
; MemoryBound: 0
; FloatMode: 240
; IeeeMode: 1
; LDSByteSize: 8192 bytes/workgroup (compile time only)
; SGPRBlocks: 6
; VGPRBlocks: 8
; NumSGPRsForWavesPerEU: 54
; NumVGPRsForWavesPerEU: 72
; AccumOffset: 72
; Occupancy: 7
; WaveLimiterHint : 1
; COMPUTE_PGM_RSRC2:SCRATCH_EN: 0
; COMPUTE_PGM_RSRC2:USER_SGPR: 2
; COMPUTE_PGM_RSRC2:TRAP_HANDLER: 0
; COMPUTE_PGM_RSRC2:TGID_X_EN: 1
; COMPUTE_PGM_RSRC2:TGID_Y_EN: 1
; COMPUTE_PGM_RSRC2:TGID_Z_EN: 1
; COMPUTE_PGM_RSRC2:TIDIG_COMP_CNT: 0
; COMPUTE_PGM_RSRC3_GFX90A:ACCUM_OFFSET: 17
; COMPUTE_PGM_RSRC3_GFX90A:TG_SPLIT: 0
	.section	.text._Z39paged_attention_ll4mi_QKV_mfma16_kernelIDF16_DF16_LN4vllm18Fp8KVCacheDataTypeE0EDF16_Li16ELi64ELi256ELb1ELi12EEvPKT_PKT0_S7_ifPKiS9_S9_iPKfiiiPfSC_PS2_PT2_iSB_SB_,"axG",@progbits,_Z39paged_attention_ll4mi_QKV_mfma16_kernelIDF16_DF16_LN4vllm18Fp8KVCacheDataTypeE0EDF16_Li16ELi64ELi256ELb1ELi12EEvPKT_PKT0_S7_ifPKiS9_S9_iPKfiiiPfSC_PS2_PT2_iSB_SB_,comdat
	.protected	_Z39paged_attention_ll4mi_QKV_mfma16_kernelIDF16_DF16_LN4vllm18Fp8KVCacheDataTypeE0EDF16_Li16ELi64ELi256ELb1ELi12EEvPKT_PKT0_S7_ifPKiS9_S9_iPKfiiiPfSC_PS2_PT2_iSB_SB_ ; -- Begin function _Z39paged_attention_ll4mi_QKV_mfma16_kernelIDF16_DF16_LN4vllm18Fp8KVCacheDataTypeE0EDF16_Li16ELi64ELi256ELb1ELi12EEvPKT_PKT0_S7_ifPKiS9_S9_iPKfiiiPfSC_PS2_PT2_iSB_SB_
	.globl	_Z39paged_attention_ll4mi_QKV_mfma16_kernelIDF16_DF16_LN4vllm18Fp8KVCacheDataTypeE0EDF16_Li16ELi64ELi256ELb1ELi12EEvPKT_PKT0_S7_ifPKiS9_S9_iPKfiiiPfSC_PS2_PT2_iSB_SB_
	.p2align	8
	.type	_Z39paged_attention_ll4mi_QKV_mfma16_kernelIDF16_DF16_LN4vllm18Fp8KVCacheDataTypeE0EDF16_Li16ELi64ELi256ELb1ELi12EEvPKT_PKT0_S7_ifPKiS9_S9_iPKfiiiPfSC_PS2_PT2_iSB_SB_,@function
_Z39paged_attention_ll4mi_QKV_mfma16_kernelIDF16_DF16_LN4vllm18Fp8KVCacheDataTypeE0EDF16_Li16ELi64ELi256ELb1ELi12EEvPKT_PKT0_S7_ifPKiS9_S9_iPKfiiiPfSC_PS2_PT2_iSB_SB_: ; @_Z39paged_attention_ll4mi_QKV_mfma16_kernelIDF16_DF16_LN4vllm18Fp8KVCacheDataTypeE0EDF16_Li16ELi64ELi256ELb1ELi12EEvPKT_PKT0_S7_ifPKiS9_S9_iPKfiiiPfSC_PS2_PT2_iSB_SB_
; %bb.0:
	s_load_dwordx2 s[8:9], s[0:1], 0x30
	s_mov_b32 s28, s3
	s_mov_b64 s[6:7], 0
	s_waitcnt lgkmcnt(0)
	s_cmp_lg_u64 s[8:9], 0
	s_cselect_b64 s[10:11], -1, 0
	s_and_b64 vcc, exec, s[10:11]
	s_cbranch_vccz .LBB67_7
; %bb.1:
	s_add_i32 s12, s2, 1
	s_mov_b32 s13, 0
	s_lshl_b64 s[14:15], s[12:13], 2
	s_add_u32 s14, s8, s14
	s_mov_b32 s3, s13
	s_addc_u32 s15, s9, s15
	s_lshl_b64 s[12:13], s[2:3], 2
	s_add_u32 s12, s8, s12
	s_addc_u32 s13, s9, s13
	s_load_dword s5, s[14:15], 0x0
	s_load_dword s16, s[12:13], 0x0
	s_waitcnt lgkmcnt(0)
	s_sub_i32 s5, s5, s16
	s_cmp_eq_u32 s5, 1
	s_cselect_b64 s[12:13], -1, 0
	s_andn2_b64 vcc, exec, s[6:7]
	s_cbranch_vccnz .LBB67_3
.LBB67_2:
	s_mov_b32 s3, 0
	s_mov_b64 s[12:13], -1
.LBB67_3:
	s_andn2_b64 vcc, exec, s[12:13]
	s_cbranch_vccnz .LBB67_19
; %bb.4:
	s_load_dwordx2 s[6:7], s[0:1], 0x28
	s_lshl_b64 s[14:15], s[2:3], 2
	s_waitcnt lgkmcnt(0)
	s_add_u32 s6, s6, s14
	s_addc_u32 s7, s7, s15
	s_load_dword s29, s[6:7], 0x0
	s_lshl_b32 s16, s28, 8
	s_waitcnt lgkmcnt(0)
	s_cmp_ge_i32 s16, s29
	s_cbranch_scc1 .LBB67_19
; %bb.5:
	s_load_dwordx2 s[6:7], s[0:1], 0x20
	s_load_dword s5, s[0:1], 0x38
	s_add_i32 s12, s29, 15
	s_ashr_i32 s13, s12, 31
	v_and_b32_e32 v1, 0xcf, v0
	s_lshr_b32 s13, s13, 28
	v_add_u32_e32 v1, s16, v1
	s_add_i32 s12, s12, s13
	v_ashrrev_i32_e32 v2, 31, v1
	s_ashr_i32 s17, s12, 4
	v_lshrrev_b32_e32 v6, 28, v2
	s_add_i32 s17, s17, -1
	s_waitcnt lgkmcnt(0)
	s_mul_i32 s12, s2, s5
	s_mov_b32 s13, 0
	v_add_u32_e32 v2, v1, v6
	s_lshl_b64 s[12:13], s[12:13], 2
	v_ashrrev_i32_e32 v2, 4, v2
	v_mov_b32_e32 v7, s17
	v_cmp_gt_i32_e32 vcc, s29, v1
	s_add_u32 s6, s6, s12
	s_addc_u32 s7, s7, s13
	v_cndmask_b32_e32 v2, v7, v2, vcc
	v_ashrrev_i32_e32 v3, 31, v2
	v_lshl_add_u64 v[4:5], v[2:3], 2, s[6:7]
	v_or_b32_e32 v2, 16, v1
	v_add_u32_e32 v3, v2, v6
	v_ashrrev_i32_e32 v3, 4, v3
	v_cmp_gt_i32_e32 vcc, s29, v2
	s_load_dwordx2 s[12:13], s[0:1], 0x8
	s_nop 0
	v_cndmask_b32_e32 v2, v7, v3, vcc
	v_ashrrev_i32_e32 v3, 31, v2
	v_lshl_add_u64 v[8:9], v[2:3], 2, s[6:7]
	v_or_b32_e32 v2, 32, v1
	v_add_u32_e32 v3, v2, v6
	v_ashrrev_i32_e32 v3, 4, v3
	v_cmp_gt_i32_e32 vcc, s29, v2
	v_or_b32_e32 v1, 48, v1
	s_nop 0
	v_cndmask_b32_e32 v2, v7, v3, vcc
	v_ashrrev_i32_e32 v3, 31, v2
	v_lshl_add_u64 v[10:11], v[2:3], 2, s[6:7]
	v_add_u32_e32 v2, v1, v6
	v_ashrrev_i32_e32 v2, 4, v2
	v_cmp_gt_i32_e32 vcc, s29, v1
	s_nop 1
	v_cndmask_b32_e32 v2, v7, v2, vcc
	v_ashrrev_i32_e32 v3, 31, v2
	v_lshl_add_u64 v[12:13], v[2:3], 2, s[6:7]
	global_load_dword v3, v[4:5], off
	global_load_dword v2, v[8:9], off
	global_load_dword v6, v[10:11], off
	global_load_dword v14, v[12:13], off
	s_andn2_b64 vcc, exec, s[10:11]
	s_cbranch_vccnz .LBB67_8
; %bb.6:
	s_add_u32 s8, s8, s14
	s_addc_u32 s9, s9, s15
	s_load_dword s5, s[8:9], 0x0
	s_branch .LBB67_9
.LBB67_7:
	s_mov_b64 s[12:13], 0
	s_branch .LBB67_2
.LBB67_8:
	s_mov_b32 s5, s2
.LBB67_9:
	s_load_dwordx2 s[8:9], s[0:1], 0x10
	s_load_dwordx4 s[44:47], s[0:1], 0x48
	v_and_b32_e32 v44, 15, v0
	s_movk_i32 s10, 0xc0
	v_lshlrev_b32_e32 v4, 3, v44
	v_cmp_gt_u32_e32 vcc, s10, v0
	v_cmp_gt_u32_e64 s[30:31], 8, v44
	v_lshrrev_b32_e32 v45, 6, v0
	v_bfe_u32 v1, v0, 4, 2
	s_mul_i32 s42, s4, 12
	s_and_b64 s[14:15], vcc, s[30:31]
	v_lshlrev_b32_e32 v42, 1, v4
	s_and_saveexec_b64 s[10:11], s[14:15]
	s_cbranch_execz .LBB67_11
; %bb.10:
	s_load_dwordx2 s[14:15], s[0:1], 0x0
	s_waitcnt lgkmcnt(0)
	s_ashr_i32 s18, s44, 31
	s_mul_hi_u32 s19, s5, s44
	s_mul_i32 s18, s5, s18
	s_add_i32 s19, s19, s18
	s_mul_i32 s18, s5, s44
	v_lshl_or_b32 v7, v45, 2, v1
	s_lshl_b64 s[18:19], s[18:19], 1
	s_add_u32 s14, s14, s18
	v_add_lshl_u32 v4, v7, s42, 6
	s_addc_u32 s15, s15, s19
	v_ashrrev_i32_e32 v5, 31, v4
	v_lshl_add_u64 v[4:5], v[4:5], 1, s[14:15]
	v_mov_b32_e32 v43, 0
	v_lshl_add_u64 v[4:5], v[4:5], 0, v[42:43]
	global_load_dwordx4 v[8:11], v[4:5], off
	v_and_b32_e32 v4, 3, v0
	v_lshlrev_b32_e32 v5, 5, v7
	v_lshlrev_b32_e32 v7, 9, v44
	v_lshlrev_b32_e32 v4, 9, v4
	v_and_b32_e32 v7, 0x1800, v7
	v_or3_b32 v4, v7, v4, v5
	s_waitcnt vmcnt(0)
	ds_write_b128 v4, v[8:11]
.LBB67_11:
	s_or_b64 exec, exec, s[10:11]
	s_waitcnt lgkmcnt(0)
	s_mul_i32 s4, s4, s46
	s_mov_b32 s5, 0
	s_lshl_b64 s[4:5], s[4:5], 1
	s_add_u32 s10, s12, s4
	v_lshlrev_b32_e32 v54, 4, v0
	s_addc_u32 s11, s13, s5
	v_and_b32_e32 v46, 0xf0, v54
	v_mov_b32_e32 v47, 0
	v_lshl_add_u64 v[16:17], s[10:11], 0, v[46:47]
	s_waitcnt vmcnt(3)
	v_mad_i64_i32 v[4:5], s[10:11], v3, s45, 0
	s_waitcnt vmcnt(2)
	v_mad_i64_i32 v[2:3], s[10:11], v2, s45, 0
	;; [unrolled: 2-line block ×3, first 2 shown]
	v_lshl_add_u64 v[4:5], v[4:5], 1, v[16:17]
	v_and_b32_e32 v46, 0x300, v54
	v_lshl_add_u64 v[2:3], v[2:3], 1, v[16:17]
	v_lshl_add_u64 v[6:7], v[6:7], 1, v[16:17]
	s_waitcnt vmcnt(0)
	v_mad_i64_i32 v[14:15], s[10:11], v14, s45, 0
	v_lshl_add_u64 v[4:5], v[4:5], 0, v[46:47]
	v_lshl_add_u64 v[8:9], v[2:3], 0, v[46:47]
	;; [unrolled: 1-line block ×4, first 2 shown]
	s_barrier
	global_load_dwordx4 v[30:33], v[4:5], off
	global_load_dwordx4 v[10:13], v[4:5], off offset:1024
	global_load_dwordx4 v[22:25], v[8:9], off
	s_nop 0
	global_load_dwordx4 v[2:5], v[8:9], off offset:1024
	global_load_dwordx4 v[26:29], v[18:19], off
	s_nop 0
	global_load_dwordx4 v[6:9], v[18:19], off offset:1024
	v_lshl_add_u64 v[18:19], v[14:15], 0, v[46:47]
	global_load_dwordx4 v[34:37], v[18:19], off
	global_load_dwordx4 v[14:17], v[18:19], off offset:1024
	v_add_u32_e32 v18, -12, v44
	v_cmp_gt_u32_e32 vcc, 12, v44
	v_and_b32_e32 v55, 63, v0
	v_mov_b32_e32 v56, 0
	v_cndmask_b32_e32 v18, v18, v44, vcc
	v_lshlrev_b32_e32 v18, 5, v18
	v_lshl_add_u32 v18, v1, 9, v18
	ds_read_b128 v[38:41], v18
	ds_read_b128 v[18:21], v18 offset:2048
	s_and_saveexec_b64 s[10:11], vcc
	s_cbranch_execz .LBB67_13
; %bb.12:
	s_load_dwordx2 s[12:13], s[0:1], 0x40
	v_add_u32_e32 v48, s42, v44
	v_ashrrev_i32_e32 v49, 31, v48
	s_waitcnt lgkmcnt(0)
	v_lshl_add_u64 v[48:49], v[48:49], 2, s[12:13]
	global_load_dword v56, v[48:49], off
.LBB67_13:
	s_or_b64 exec, exec, s[10:11]
	v_and_or_b32 v46, v0, 48, s16
	v_ashrrev_i32_e32 v43, 4, v46
	v_mov_b32_e32 v57, s17
	v_cmp_gt_i32_e32 vcc, s29, v46
	s_waitcnt vmcnt(5) lgkmcnt(1)
	v_mfma_f32_16x16x16_f16 v[58:61], v[22:23], v[38:39], 0
	s_load_dword s10, s[0:1], 0x1c
	v_cndmask_b32_e32 v48, v57, v43, vcc
	v_ashrrev_i32_e32 v49, 31, v48
	v_or_b32_e32 v43, 64, v46
	v_lshl_add_u64 v[52:53], v[48:49], 2, s[6:7]
	v_mfma_f32_16x16x16_f16 v[48:51], v[30:31], v[38:39], 0
	v_ashrrev_i32_e32 v30, 4, v43
	v_cmp_gt_i32_e32 vcc, s29, v43
	global_load_dword v70, v[52:53], off
	s_waitcnt vmcnt(4)
	v_mfma_f32_16x16x16_f16 v[62:65], v[26:27], v[38:39], 0
	v_cndmask_b32_e32 v30, v57, v30, vcc
	v_ashrrev_i32_e32 v31, 31, v30
	v_lshl_add_u64 v[22:23], v[30:31], 2, s[6:7]
	global_load_dword v71, v[22:23], off
	v_mfma_f32_16x16x16_f16 v[22:25], v[24:25], v[40:41], v[58:61]
	v_and_b32_e32 v26, 0xc0, v0
	s_add_u32 s4, s8, s4
	v_lshlrev_b32_e32 v43, 5, v44
	v_mfma_f32_16x16x16_f16 v[30:33], v[32:33], v[40:41], v[48:51]
	s_addc_u32 s5, s9, s5
	s_mov_b32 s33, 0xff7fffff
	s_waitcnt vmcnt(3)
	v_mfma_f32_16x16x16_f16 v[66:69], v[34:35], v[38:39], 0
	v_or_b32_e32 v38, 0x80, v46
	v_add_u32_e32 v48, s16, v26
	v_or_b32_e32 v39, 0xc0, v46
	v_mfma_f32_16x16x16_f16 v[26:29], v[28:29], v[40:41], v[62:65]
	v_ashrrev_i32_e32 v49, 4, v38
	v_cmp_gt_i32_e32 vcc, s29, v38
	v_ashrrev_i32_e32 v50, 4, v39
	s_waitcnt lgkmcnt(0)
	v_mfma_f32_16x16x16_f16 v[22:25], v[2:3], v[18:19], v[22:25]
	v_cndmask_b32_e32 v38, v57, v49, vcc
	v_cmp_gt_i32_e32 vcc, s29, v39
	v_ashrrev_i32_e32 v39, 31, v38
	v_mfma_f32_16x16x16_f16 v[30:33], v[10:11], v[18:19], v[30:33]
	v_cndmask_b32_e32 v10, v57, v50, vcc
	v_ashrrev_i32_e32 v11, 31, v10
	v_lshl_or_b32 v58, v1, 2, v48
	v_mfma_f32_16x16x16_f16 v[26:29], v[6:7], v[18:19], v[26:29]
	v_lshl_add_u64 v[6:7], v[38:39], 2, s[6:7]
	v_lshl_add_u64 v[38:39], v[10:11], 2, s[6:7]
	v_or_b32_e32 v57, 1, v58
	v_mfma_f32_16x16x16_f16 v[2:5], v[4:5], v[20:21], v[22:25]
	s_nop 2
	global_load_dword v22, v[6:7], off
	global_load_dword v61, v[38:39], off
	v_subrev_u32_e32 v59, s29, v57
	v_cvt_f32_i32_e32 v60, v59
	v_mfma_f32_16x16x16_f16 v[34:37], v[36:37], v[40:41], v[66:69]
	v_pk_mul_f32 v[48:49], s[10:11], v[4:5] op_sel_hi:[0,1]
	v_lshl_or_b32 v46, v45, 9, v43
	v_lshl_add_u64 v[46:47], s[4:5], 0, v[46:47]
	s_waitcnt vmcnt(4)
	v_mfma_f32_16x16x16_f16 v[34:37], v[14:15], v[18:19], v[34:37]
	v_add_u32_e32 v14, 1, v59
	v_add_u32_e32 v15, 2, v59
	v_cvt_f32_i32_e32 v23, v14
	v_cvt_f32_i32_e32 v24, v15
	v_mfma_f32_16x16x16_f16 v[14:17], v[16:17], v[20:21], v[34:37]
	v_add_u32_e32 v18, 3, v59
	v_cvt_f32_i32_e32 v18, v18
	v_pk_mul_f32 v[50:51], s[10:11], v[2:3] op_sel_hi:[0,1]
	v_mfma_f32_16x16x16_f16 v[10:13], v[12:13], v[20:21], v[30:33]
	v_cmp_gt_i32_e64 s[34:35], s29, v57
	s_nop 1
	v_pk_mul_f32 v[36:37], s[10:11], v[14:15] op_sel_hi:[0,1]
	v_add_u32_e32 v15, 19, v59
	v_add_u32_e32 v31, 18, v59
	v_cvt_f32_i32_e32 v14, v31
	v_cvt_f32_i32_e32 v15, v15
	v_mfma_f32_16x16x16_f16 v[6:9], v[8:9], v[20:21], v[26:29]
	v_pk_mul_f32 v[34:35], s[10:11], v[16:17] op_sel_hi:[0,1]
	v_fma_f32 v48, v56, v14, v48
	v_add_u32_e32 v14, 32, v59
	v_fmac_f32_e32 v49, v56, v15
	v_cvt_f32_i32_e32 v14, v14
	v_add_u32_e32 v15, 33, v59
	v_add_u32_e32 v16, 34, v59
	v_cvt_f32_i32_e32 v15, v15
	v_cvt_f32_i32_e32 v16, v16
	v_add_u32_e32 v17, 35, v59
	v_cvt_f32_i32_e32 v17, v17
	v_pk_mul_f32 v[40:41], s[10:11], v[6:7] op_sel_hi:[0,1]
	v_pk_mul_f32 v[38:39], s[10:11], v[8:9] op_sel_hi:[0,1]
	v_fma_f32 v40, v56, v14, v40
	v_add_u32_e32 v14, 48, v59
	v_fmac_f32_e32 v41, v56, v15
	v_fma_f32 v38, v56, v16, v38
	v_cvt_f32_i32_e32 v14, v14
	v_add_u32_e32 v15, 49, v59
	v_add_u32_e32 v16, 50, v59
	v_fmac_f32_e32 v39, v56, v17
	v_cvt_f32_i32_e32 v15, v15
	v_cvt_f32_i32_e32 v16, v16
	v_add_u32_e32 v17, 51, v59
	v_cvt_f32_i32_e32 v17, v17
	v_pk_mul_f32 v[52:53], s[10:11], v[12:13] op_sel_hi:[0,1]
	v_pk_mul_f32 v[10:11], s[10:11], v[10:11] op_sel_hi:[0,1]
	s_waitcnt vmcnt(3)
	v_mad_i64_i32 v[2:3], s[4:5], v70, s45, 0
	s_waitcnt vmcnt(2)
	v_mad_i64_i32 v[12:13], s[4:5], v71, s45, 0
	v_fma_f32 v10, v56, v60, v10
	v_fmac_f32_e32 v11, v56, v23
	v_fma_f32 v36, v56, v14, v36
	v_mov_b32_e32 v14, 0xff7fffff
	v_cmp_gt_i32_e64 s[4:5], s29, v58
	v_add_u32_e32 v19, 16, v59
	v_add_u32_e32 v30, 17, v59
	v_fmac_f32_e32 v37, v56, v15
	v_fma_f32 v34, v56, v16, v34
	v_cndmask_b32_e64 v15, v14, v10, s[4:5]
	v_cndmask_b32_e64 v16, v14, v11, s[34:35]
	v_cvt_f32_i32_e32 v19, v19
	v_cvt_f32_i32_e32 v25, v30
	v_fmac_f32_e32 v35, v56, v17
	v_max3_f32 v15, v15, s33, v16
	v_or_b32_e32 v16, 2, v58
	v_or_b32_e32 v17, 3, v58
	v_fma_f32 v52, v56, v24, v52
	v_fmac_f32_e32 v53, v56, v18
	v_cmp_gt_i32_e64 s[36:37], s29, v16
	v_cmp_gt_i32_e64 s[38:39], s29, v17
	v_fma_f32 v50, v56, v19, v50
	v_cndmask_b32_e64 v16, v14, v52, s[36:37]
	v_cndmask_b32_e64 v17, v14, v53, s[38:39]
	v_max3_f32 v15, v15, v16, v17
	v_or_b32_e32 v16, 16, v58
	v_or_b32_e32 v17, 17, v58
	v_fmac_f32_e32 v51, v56, v25
	v_cmp_gt_i32_e64 s[24:25], s29, v16
	v_cmp_gt_i32_e64 s[26:27], s29, v17
	v_lshl_add_u64 v[2:3], v[2:3], 1, v[46:47]
	v_cndmask_b32_e64 v16, v14, v50, s[24:25]
	v_cndmask_b32_e64 v17, v14, v51, s[26:27]
	v_max3_f32 v15, v15, v16, v17
	v_or_b32_e32 v16, 18, v58
	v_or_b32_e32 v17, 19, v58
	v_cmp_gt_i32_e64 s[20:21], s29, v16
	v_cmp_gt_i32_e64 s[22:23], s29, v17
	v_lshl_add_u64 v[12:13], v[12:13], 1, v[46:47]
	v_cndmask_b32_e64 v16, v14, v48, s[20:21]
	v_cndmask_b32_e64 v17, v14, v49, s[22:23]
	v_max3_f32 v15, v15, v16, v17
	v_or_b32_e32 v16, 32, v58
	v_or_b32_e32 v17, 33, v58
	v_cmp_gt_i32_e64 s[16:17], s29, v16
	v_cmp_gt_i32_e64 s[18:19], s29, v17
	global_load_dwordx4 v[6:9], v[2:3], off
	s_nop 0
	global_load_dwordx4 v[2:5], v[2:3], off offset:16
	v_cndmask_b32_e64 v16, v14, v40, s[16:17]
	v_cndmask_b32_e64 v17, v14, v41, s[18:19]
	v_max3_f32 v15, v15, v16, v17
	v_or_b32_e32 v16, 34, v58
	v_or_b32_e32 v17, 35, v58
	v_cmp_gt_i32_e64 s[12:13], s29, v16
	v_cmp_gt_i32_e64 s[14:15], s29, v17
	global_load_dwordx4 v[30:33], v[12:13], off
	global_load_dwordx4 v[26:29], v[12:13], off offset:16
	v_cndmask_b32_e64 v16, v14, v38, s[12:13]
	v_cndmask_b32_e64 v17, v14, v39, s[14:15]
	v_max3_f32 v15, v15, v16, v17
	v_or_b32_e32 v16, 48, v58
	v_or_b32_e32 v17, 49, v58
	v_cmp_gt_i32_e64 s[8:9], s29, v16
	v_cmp_gt_i32_e64 s[10:11], s29, v17
	s_nop 0
	v_cndmask_b32_e64 v16, v14, v36, s[8:9]
	v_cndmask_b32_e64 v17, v14, v37, s[10:11]
	v_max3_f32 v15, v15, v16, v17
	v_or_b32_e32 v16, 50, v58
	v_or_b32_e32 v17, 51, v58
	v_cmp_gt_i32_e32 vcc, s29, v16
	v_cmp_gt_i32_e64 s[6:7], s29, v17
	s_nop 0
	v_cndmask_b32_e32 v16, v14, v34, vcc
	v_cndmask_b32_e64 v14, v14, v35, s[6:7]
	v_max3_f32 v14, v15, v16, v14
	v_mbcnt_lo_u32_b32 v15, -1, 0
	v_mbcnt_hi_u32_b32 v15, -1, v15
	v_and_b32_e32 v16, 64, v15
	v_add_u32_e32 v16, 64, v16
	v_xor_b32_e32 v17, 32, v15
	v_cmp_lt_i32_e64 s[40:41], v17, v16
	s_nop 1
	v_cndmask_b32_e64 v17, v15, v17, s[40:41]
	v_lshlrev_b32_e32 v57, 2, v17
	ds_bpermute_b32 v17, v57, v14
	s_waitcnt vmcnt(5)
	v_mad_i64_i32 v[12:13], s[40:41], v22, s45, 0
	v_lshl_add_u64 v[12:13], v[12:13], 1, v[46:47]
	global_load_dwordx4 v[22:25], v[12:13], off
	global_load_dwordx4 v[18:21], v[12:13], off offset:16
	s_waitcnt lgkmcnt(0)
	v_max_f32_e32 v17, v17, v17
	v_max_f32_e32 v14, v14, v17
	v_xor_b32_e32 v17, 16, v15
	v_cmp_lt_i32_e64 s[40:41], v17, v16
	s_nop 1
	v_cndmask_b32_e64 v15, v15, v17, s[40:41]
	v_lshlrev_b32_e32 v59, 2, v15
	ds_bpermute_b32 v15, v59, v14
	s_waitcnt vmcnt(6)
	v_mad_i64_i32 v[12:13], s[40:41], v61, s45, 0
	v_lshl_add_u64 v[12:13], v[12:13], 1, v[46:47]
	s_waitcnt lgkmcnt(0)
	v_max_f32_e32 v15, v15, v15
	v_max_f32_e32 v56, v14, v15
	v_sub_f32_e32 v10, v10, v56
	v_mul_f32_e32 v10, 0x3fb8aa3b, v10
	v_exp_f32_e32 v46, v10
	v_sub_f32_e32 v10, v11, v56
	v_mul_f32_e32 v10, 0x3fb8aa3b, v10
	v_exp_f32_e32 v47, v10
	global_load_dwordx4 v[14:17], v[12:13], off
	s_nop 0
	global_load_dwordx4 v[10:13], v[12:13], off offset:16
	v_sub_f32_e32 v52, v52, v56
	v_mul_f32_e32 v52, 0x3fb8aa3b, v52
	v_sub_f32_e32 v53, v53, v56
	v_exp_f32_e32 v52, v52
	v_mul_f32_e32 v53, 0x3fb8aa3b, v53
	v_sub_f32_e32 v50, v50, v56
	v_exp_f32_e32 v53, v53
	v_mul_f32_e32 v50, 0x3fb8aa3b, v50
	v_sub_f32_e32 v51, v51, v56
	v_cndmask_b32_e64 v46, 0, v46, s[4:5]
	v_exp_f32_e32 v50, v50
	v_mul_f32_e32 v51, 0x3fb8aa3b, v51
	v_sub_f32_e32 v48, v48, v56
	v_add_f32_e32 v58, 0, v46
	v_cndmask_b32_e64 v47, 0, v47, s[34:35]
	v_exp_f32_e32 v51, v51
	v_mul_f32_e32 v48, 0x3fb8aa3b, v48
	v_sub_f32_e32 v49, v49, v56
	v_add_f32_e32 v58, v58, v47
	v_cndmask_b32_e64 v52, 0, v52, s[36:37]
	v_exp_f32_e32 v48, v48
	v_mul_f32_e32 v49, 0x3fb8aa3b, v49
	v_sub_f32_e32 v40, v40, v56
	v_add_f32_e32 v58, v58, v52
	v_cndmask_b32_e64 v53, 0, v53, s[38:39]
	v_exp_f32_e32 v49, v49
	v_mul_f32_e32 v40, 0x3fb8aa3b, v40
	v_sub_f32_e32 v41, v41, v56
	v_add_f32_e32 v58, v58, v53
	v_cndmask_b32_e64 v50, 0, v50, s[24:25]
	v_exp_f32_e32 v40, v40
	v_mul_f32_e32 v41, 0x3fb8aa3b, v41
	v_sub_f32_e32 v38, v38, v56
	v_add_f32_e32 v58, v58, v50
	v_cndmask_b32_e64 v51, 0, v51, s[26:27]
	v_exp_f32_e32 v41, v41
	v_mul_f32_e32 v38, 0x3fb8aa3b, v38
	v_sub_f32_e32 v39, v39, v56
	v_add_f32_e32 v58, v58, v51
	v_cndmask_b32_e64 v48, 0, v48, s[20:21]
	v_exp_f32_e32 v38, v38
	v_mul_f32_e32 v39, 0x3fb8aa3b, v39
	v_sub_f32_e32 v36, v36, v56
	v_add_f32_e32 v58, v58, v48
	v_cndmask_b32_e64 v49, 0, v49, s[22:23]
	v_exp_f32_e32 v39, v39
	v_mul_f32_e32 v36, 0x3fb8aa3b, v36
	v_sub_f32_e32 v37, v37, v56
	v_add_f32_e32 v58, v58, v49
	v_cndmask_b32_e64 v40, 0, v40, s[16:17]
	v_exp_f32_e32 v36, v36
	v_mul_f32_e32 v37, 0x3fb8aa3b, v37
	v_sub_f32_e32 v34, v34, v56
	v_add_f32_e32 v58, v58, v40
	v_cndmask_b32_e64 v41, 0, v41, s[18:19]
	v_exp_f32_e32 v37, v37
	v_mul_f32_e32 v34, 0x3fb8aa3b, v34
	v_sub_f32_e32 v35, v35, v56
	v_add_f32_e32 v58, v58, v41
	v_cndmask_b32_e64 v38, 0, v38, s[12:13]
	v_exp_f32_e32 v34, v34
	v_mul_f32_e32 v35, 0x3fb8aa3b, v35
	v_add_f32_e32 v58, v58, v38
	v_cndmask_b32_e64 v39, 0, v39, s[14:15]
	v_exp_f32_e32 v35, v35
	v_add_f32_e32 v58, v58, v39
	v_cndmask_b32_e64 v36, 0, v36, s[8:9]
	v_add_f32_e32 v58, v58, v36
	v_cndmask_b32_e64 v37, 0, v37, s[10:11]
	v_add_f32_e32 v58, v58, v37
	v_cndmask_b32_e32 v34, 0, v34, vcc
	v_add_f32_e32 v58, v58, v34
	v_cndmask_b32_e64 v35, 0, v35, s[6:7]
	v_add_f32_e32 v58, v58, v35
	ds_bpermute_b32 v57, v57, v58
	s_load_dword s7, s[0:1], 0x98
	v_cmp_gt_u32_e32 vcc, 16, v55
	s_waitcnt lgkmcnt(0)
	s_barrier
	v_add_f32_e32 v58, v58, v57
	ds_bpermute_b32 v59, v59, v58
	v_lshlrev_b32_e32 v57, 2, v44
	s_waitcnt lgkmcnt(0)
	s_and_saveexec_b64 s[4:5], vcc
	s_cbranch_execz .LBB67_15
; %bb.14:
	v_add_f32_e32 v55, v58, v59
	v_lshl_or_b32 v58, v45, 6, v57
	ds_write2st64_b32 v58, v56, v55 offset1:1
.LBB67_15:
	s_or_b64 exec, exec, s[4:5]
	s_load_dword s6, s[0:1], 0x94
	s_waitcnt lgkmcnt(0)
	s_barrier
	ds_read2_b32 v[58:59], v57 offset1:16
	ds_read2_b32 v[60:61], v57 offset0:32 offset1:48
	ds_read2_b32 v[62:63], v57 offset0:64 offset1:80
	s_mul_i32 s7, s7, 12
	s_waitcnt lgkmcnt(2)
	v_max3_f32 v55, v58, s33, v59
	s_waitcnt lgkmcnt(1)
	v_max3_f32 v55, v55, v60, v61
	v_sub_f32_e32 v56, v58, v55
	v_mul_f32_e32 v56, 0x3fb8aa3b, v56
	v_exp_f32_e32 v64, v56
	v_sub_f32_e32 v56, v59, v55
	v_mul_f32_e32 v56, 0x3fb8aa3b, v56
	v_exp_f32_e32 v65, v56
	;; [unrolled: 3-line block ×3, first 2 shown]
	ds_read2_b32 v[58:59], v57 offset0:96 offset1:112
	v_sub_f32_e32 v56, v61, v55
	v_mul_f32_e32 v56, 0x3fb8aa3b, v56
	v_exp_f32_e32 v57, v56
	s_waitcnt lgkmcnt(1)
	v_fma_f32 v56, v64, v62, 0
	v_fmac_f32_e32 v56, v65, v63
	s_waitcnt lgkmcnt(0)
	v_fmac_f32_e32 v56, v60, v58
	v_fmac_f32_e32 v56, v57, v59
	v_add_f32_e32 v58, 0x358637bd, v56
	v_div_scale_f32 v59, s[4:5], v58, v58, 1.0
	v_rcp_f32_e32 v61, v59
	s_barrier
	v_fma_f32 v62, -v59, v61, 1.0
	v_fmac_f32_e32 v61, v62, v61
	v_div_scale_f32 v62, vcc, 1.0, v58, 1.0
	v_mul_f32_e32 v63, v62, v61
	v_fma_f32 v66, -v59, v63, v62
	v_fmac_f32_e32 v63, v66, v61
	v_fma_f32 v59, -v59, v63, v62
	v_div_fmas_f32 v59, v59, v61, v63
	v_cmp_eq_u32_e32 vcc, 1, v45
	v_div_fixup_f32 v58, v59, v58, 1.0
	s_nop 0
	v_cndmask_b32_e32 v59, v64, v65, vcc
	v_cmp_eq_u32_e32 vcc, 2, v45
	s_nop 1
	v_cndmask_b32_e32 v59, v59, v60, vcc
	v_cmp_eq_u32_e32 vcc, 3, v45
	v_lshlrev_b32_e32 v45, 11, v45
	s_nop 0
	v_cndmask_b32_e32 v57, v59, v57, vcc
	v_mul_f32_e32 v58, v57, v58
	v_pk_mul_f32 v[46:47], v[58:59], v[46:47] op_sel_hi:[0,1]
	v_cvt_f16_f32_e32 v46, v46
	v_cvt_f16_f32_e32 v47, v47
	v_pk_mul_f32 v[52:53], v[58:59], v[52:53] op_sel_hi:[0,1]
	v_cvt_f16_f32_e32 v57, v52
	v_cvt_f16_f32_e32 v53, v53
	v_pack_b32_f16 v52, v46, v47
	v_pk_mul_f32 v[46:47], v[58:59], v[48:49] op_sel_hi:[0,1]
	v_pk_mul_f32 v[48:49], v[58:59], v[50:51] op_sel_hi:[0,1]
	v_cvt_f16_f32_e32 v48, v48
	v_cvt_f16_f32_e32 v49, v49
	v_cvt_f16_f32_e32 v50, v46
	v_cvt_f16_f32_e32 v47, v47
	v_pack_b32_f16 v53, v57, v53
	v_lshlrev_b32_e32 v57, 3, v1
	v_pk_mul_f32 v[38:39], v[58:59], v[38:39] op_sel_hi:[0,1]
	v_pk_mul_f32 v[40:41], v[58:59], v[40:41] op_sel_hi:[0,1]
	v_pk_mul_f32 v[34:35], v[58:59], v[34:35] op_sel_hi:[0,1]
	v_pk_mul_f32 v[36:37], v[58:59], v[36:37] op_sel_hi:[0,1]
	v_or3_b32 v46, v45, v43, v57
	v_pack_b32_f16 v48, v48, v49
	v_pack_b32_f16 v49, v50, v47
	v_cvt_f16_f32_e32 v40, v40
	v_cvt_f16_f32_e32 v41, v41
	;; [unrolled: 1-line block ×8, first 2 shown]
	v_pack_b32_f16 v34, v40, v41
	v_pack_b32_f16 v35, v38, v39
	;; [unrolled: 1-line block ×4, first 2 shown]
	v_cmp_gt_u32_e32 vcc, 12, v0
	ds_write2st64_b64 v46, v[52:53], v[48:49] offset1:1
	ds_write2st64_b64 v46, v[34:35], v[36:37] offset0:2 offset1:3
	s_and_saveexec_b64 s[4:5], vcc
	s_cbranch_execz .LBB67_17
; %bb.16:
	s_mov_b32 s43, 0
	v_mov_b32_e32 v45, 0
	v_lshl_add_u64 v[34:35], s[42:43], 0, v[44:45]
	v_mov_b32_e32 v36, s7
	v_mad_u64_u32 v[34:35], s[12:13], s2, v36, v[34:35]
	s_mul_i32 s3, s3, s7
	v_mov_b32_e32 v44, s28
	s_load_dwordx4 s[8:11], s[0:1], 0x58
	v_add_u32_e32 v37, s3, v35
	v_mad_u64_u32 v[34:35], s[12:13], v34, s6, v[44:45]
	v_mov_b32_e32 v36, v35
	v_mad_u64_u32 v[36:37], s[12:13], v37, s6, v[36:37]
	v_mov_b32_e32 v35, v36
	v_lshlrev_b64 v[34:35], 2, v[34:35]
	s_waitcnt lgkmcnt(0)
	v_lshl_add_u64 v[36:37], s[10:11], 0, v[34:35]
	v_lshl_add_u64 v[34:35], s[8:9], 0, v[34:35]
	global_store_dword v[36:37], v55, off
	global_store_dword v[34:35], v56, off
.LBB67_17:
	s_or_b64 exec, exec, s[4:5]
	v_lshl_or_b32 v43, v1, 9, v43
	s_waitcnt lgkmcnt(0)
	s_barrier
	ds_read_b128 v[34:37], v43
	ds_read_b128 v[38:41], v43 offset:16
	s_waitcnt vmcnt(7) lgkmcnt(1)
	v_mfma_f32_16x16x16_f16 v[48:51], v[6:7], v[34:35], 0
	v_cmp_gt_u32_e32 vcc, 64, v0
	s_mov_b32 s3, 0
	s_and_b64 s[4:5], vcc, s[30:31]
	v_mfma_f32_16x16x16_f16 v[6:9], v[8:9], v[36:37], v[48:51]
	s_waitcnt vmcnt(6) lgkmcnt(0)
	v_mfma_f32_16x16x16_f16 v[6:9], v[2:3], v[38:39], v[6:9]
	v_mfma_f32_16x16x16_f16 v[2:5], v[4:5], v[40:41], v[6:9]
	s_nop 5
	ds_read_b128 v[6:9], v43 offset:2048
	ds_read_b128 v[34:37], v43 offset:2064
	s_waitcnt vmcnt(5) lgkmcnt(1)
	v_mfma_f32_16x16x16_f16 v[2:5], v[30:31], v[6:7], v[2:5]
	v_mfma_f32_16x16x16_f16 v[2:5], v[32:33], v[8:9], v[2:5]
	s_waitcnt vmcnt(4) lgkmcnt(0)
	v_mfma_f32_16x16x16_f16 v[2:5], v[26:27], v[34:35], v[2:5]
	v_mfma_f32_16x16x16_f16 v[2:5], v[28:29], v[36:37], v[2:5]
	ds_read_b128 v[6:9], v43 offset:4096
	ds_read_b128 v[26:29], v43 offset:4112
	s_waitcnt vmcnt(3) lgkmcnt(1)
	v_mfma_f32_16x16x16_f16 v[2:5], v[22:23], v[6:7], v[2:5]
	v_mfma_f32_16x16x16_f16 v[2:5], v[24:25], v[8:9], v[2:5]
	s_waitcnt vmcnt(2) lgkmcnt(0)
	v_mfma_f32_16x16x16_f16 v[2:5], v[18:19], v[26:27], v[2:5]
	v_mfma_f32_16x16x16_f16 v[2:5], v[20:21], v[28:29], v[2:5]
	ds_read_b128 v[6:9], v43 offset:6144
	ds_read_b128 v[18:21], v43 offset:6160
	v_mov_b32_e32 v43, 0
	s_waitcnt vmcnt(1) lgkmcnt(0)
	v_mfma_f32_16x16x16_f16 v[2:5], v[14:15], v[6:7], v[2:5]
	s_barrier
	v_mfma_f32_16x16x16_f16 v[2:5], v[16:17], v[8:9], v[2:5]
	s_waitcnt vmcnt(0)
	v_mfma_f32_16x16x16_f16 v[2:5], v[10:11], v[18:19], v[2:5]
	v_mfma_f32_16x16x16_f16 v[2:5], v[12:13], v[20:21], v[2:5]
	s_nop 6
	v_cvt_f16_f32_e32 v2, v2
	v_cvt_f16_f32_e32 v3, v3
	;; [unrolled: 1-line block ×4, first 2 shown]
	v_pack_b32_f16 v2, v2, v3
	v_pack_b32_f16 v3, v4, v5
	ds_write_b64 v46, v[2:3]
	s_waitcnt lgkmcnt(0)
	s_barrier
	s_and_saveexec_b64 s[8:9], s[4:5]
	s_cbranch_execz .LBB67_19
; %bb.18:
	s_load_dwordx2 s[0:1], s[0:1], 0x68
	s_lshl_b32 s6, s6, 6
	s_mul_i32 s2, s7, s2
	s_mul_hi_u32 s5, s2, s6
	s_mul_i32 s4, s2, s6
	s_lshl_b64 s[4:5], s[4:5], 1
	s_waitcnt lgkmcnt(0)
	s_add_u32 s4, s0, s4
	v_lshlrev_b32_e32 v0, 10, v0
	s_addc_u32 s5, s1, s5
	s_lshl_b32 s2, s28, 6
	v_and_b32_e32 v0, 0x1800, v0
	v_lshlrev_b32_e32 v2, 5, v1
	v_and_b32_e32 v3, 16, v54
	s_lshl_b64 s[0:1], s[2:3], 1
	v_or3_b32 v0, v0, v2, v3
	s_add_u32 s0, s4, s0
	ds_read_b128 v[2:5], v0
	ds_read_b128 v[6:9], v0 offset:128
	ds_read_b128 v[10:13], v0 offset:256
	s_addc_u32 s1, s5, s1
	v_or_b32_e32 v16, s42, v1
	v_lshl_add_u64 v[0:1], s[0:1], 0, v[42:43]
	v_mad_u64_u32 v[14:15], s[0:1], v16, s6, 0
	v_lshl_add_u64 v[14:15], v[14:15], 1, v[0:1]
	s_waitcnt lgkmcnt(2)
	global_store_dwordx4 v[14:15], v[2:5], off
	s_nop 1
	v_add_u32_e32 v2, 4, v16
	v_mad_u64_u32 v[2:3], s[0:1], v2, s6, 0
	v_lshl_add_u64 v[2:3], v[2:3], 1, v[0:1]
	s_waitcnt lgkmcnt(1)
	global_store_dwordx4 v[2:3], v[6:9], off
	v_add_u32_e32 v2, 8, v16
	v_mad_u64_u32 v[2:3], s[0:1], v2, s6, 0
	v_lshl_add_u64 v[0:1], v[2:3], 1, v[0:1]
	s_waitcnt lgkmcnt(0)
	global_store_dwordx4 v[0:1], v[10:13], off
.LBB67_19:
	s_endpgm
	.section	.rodata,"a",@progbits
	.p2align	6, 0x0
	.amdhsa_kernel _Z39paged_attention_ll4mi_QKV_mfma16_kernelIDF16_DF16_LN4vllm18Fp8KVCacheDataTypeE0EDF16_Li16ELi64ELi256ELb1ELi12EEvPKT_PKT0_S7_ifPKiS9_S9_iPKfiiiPfSC_PS2_PT2_iSB_SB_
		.amdhsa_group_segment_fixed_size 8192
		.amdhsa_private_segment_fixed_size 0
		.amdhsa_kernarg_size 400
		.amdhsa_user_sgpr_count 2
		.amdhsa_user_sgpr_dispatch_ptr 0
		.amdhsa_user_sgpr_queue_ptr 0
		.amdhsa_user_sgpr_kernarg_segment_ptr 1
		.amdhsa_user_sgpr_dispatch_id 0
		.amdhsa_user_sgpr_kernarg_preload_length 0
		.amdhsa_user_sgpr_kernarg_preload_offset 0
		.amdhsa_user_sgpr_private_segment_size 0
		.amdhsa_uses_dynamic_stack 0
		.amdhsa_enable_private_segment 0
		.amdhsa_system_sgpr_workgroup_id_x 1
		.amdhsa_system_sgpr_workgroup_id_y 1
		.amdhsa_system_sgpr_workgroup_id_z 1
		.amdhsa_system_sgpr_workgroup_info 0
		.amdhsa_system_vgpr_workitem_id 0
		.amdhsa_next_free_vgpr 72
		.amdhsa_next_free_sgpr 48
		.amdhsa_accum_offset 72
		.amdhsa_reserve_vcc 1
		.amdhsa_float_round_mode_32 0
		.amdhsa_float_round_mode_16_64 0
		.amdhsa_float_denorm_mode_32 3
		.amdhsa_float_denorm_mode_16_64 3
		.amdhsa_dx10_clamp 1
		.amdhsa_ieee_mode 1
		.amdhsa_fp16_overflow 0
		.amdhsa_tg_split 0
		.amdhsa_exception_fp_ieee_invalid_op 0
		.amdhsa_exception_fp_denorm_src 0
		.amdhsa_exception_fp_ieee_div_zero 0
		.amdhsa_exception_fp_ieee_overflow 0
		.amdhsa_exception_fp_ieee_underflow 0
		.amdhsa_exception_fp_ieee_inexact 0
		.amdhsa_exception_int_div_zero 0
	.end_amdhsa_kernel
	.section	.text._Z39paged_attention_ll4mi_QKV_mfma16_kernelIDF16_DF16_LN4vllm18Fp8KVCacheDataTypeE0EDF16_Li16ELi64ELi256ELb1ELi12EEvPKT_PKT0_S7_ifPKiS9_S9_iPKfiiiPfSC_PS2_PT2_iSB_SB_,"axG",@progbits,_Z39paged_attention_ll4mi_QKV_mfma16_kernelIDF16_DF16_LN4vllm18Fp8KVCacheDataTypeE0EDF16_Li16ELi64ELi256ELb1ELi12EEvPKT_PKT0_S7_ifPKiS9_S9_iPKfiiiPfSC_PS2_PT2_iSB_SB_,comdat
.Lfunc_end67:
	.size	_Z39paged_attention_ll4mi_QKV_mfma16_kernelIDF16_DF16_LN4vllm18Fp8KVCacheDataTypeE0EDF16_Li16ELi64ELi256ELb1ELi12EEvPKT_PKT0_S7_ifPKiS9_S9_iPKfiiiPfSC_PS2_PT2_iSB_SB_, .Lfunc_end67-_Z39paged_attention_ll4mi_QKV_mfma16_kernelIDF16_DF16_LN4vllm18Fp8KVCacheDataTypeE0EDF16_Li16ELi64ELi256ELb1ELi12EEvPKT_PKT0_S7_ifPKiS9_S9_iPKfiiiPfSC_PS2_PT2_iSB_SB_
                                        ; -- End function
	.section	.AMDGPU.csdata,"",@progbits
; Kernel info:
; codeLenInByte = 4076
; NumSgprs: 54
; NumVgprs: 72
; NumAgprs: 0
; TotalNumVgprs: 72
; ScratchSize: 0
; MemoryBound: 0
; FloatMode: 240
; IeeeMode: 1
; LDSByteSize: 8192 bytes/workgroup (compile time only)
; SGPRBlocks: 6
; VGPRBlocks: 8
; NumSGPRsForWavesPerEU: 54
; NumVGPRsForWavesPerEU: 72
; AccumOffset: 72
; Occupancy: 7
; WaveLimiterHint : 1
; COMPUTE_PGM_RSRC2:SCRATCH_EN: 0
; COMPUTE_PGM_RSRC2:USER_SGPR: 2
; COMPUTE_PGM_RSRC2:TRAP_HANDLER: 0
; COMPUTE_PGM_RSRC2:TGID_X_EN: 1
; COMPUTE_PGM_RSRC2:TGID_Y_EN: 1
; COMPUTE_PGM_RSRC2:TGID_Z_EN: 1
; COMPUTE_PGM_RSRC2:TIDIG_COMP_CNT: 0
; COMPUTE_PGM_RSRC3_GFX90A:ACCUM_OFFSET: 17
; COMPUTE_PGM_RSRC3_GFX90A:TG_SPLIT: 0
	.section	.text._Z39paged_attention_ll4mi_QKV_mfma16_kernelIDF16_DF16_LN4vllm18Fp8KVCacheDataTypeE0EDF16_Li16ELi64ELi256ELb1ELi13EEvPKT_PKT0_S7_ifPKiS9_S9_iPKfiiiPfSC_PS2_PT2_iSB_SB_,"axG",@progbits,_Z39paged_attention_ll4mi_QKV_mfma16_kernelIDF16_DF16_LN4vllm18Fp8KVCacheDataTypeE0EDF16_Li16ELi64ELi256ELb1ELi13EEvPKT_PKT0_S7_ifPKiS9_S9_iPKfiiiPfSC_PS2_PT2_iSB_SB_,comdat
	.protected	_Z39paged_attention_ll4mi_QKV_mfma16_kernelIDF16_DF16_LN4vllm18Fp8KVCacheDataTypeE0EDF16_Li16ELi64ELi256ELb1ELi13EEvPKT_PKT0_S7_ifPKiS9_S9_iPKfiiiPfSC_PS2_PT2_iSB_SB_ ; -- Begin function _Z39paged_attention_ll4mi_QKV_mfma16_kernelIDF16_DF16_LN4vllm18Fp8KVCacheDataTypeE0EDF16_Li16ELi64ELi256ELb1ELi13EEvPKT_PKT0_S7_ifPKiS9_S9_iPKfiiiPfSC_PS2_PT2_iSB_SB_
	.globl	_Z39paged_attention_ll4mi_QKV_mfma16_kernelIDF16_DF16_LN4vllm18Fp8KVCacheDataTypeE0EDF16_Li16ELi64ELi256ELb1ELi13EEvPKT_PKT0_S7_ifPKiS9_S9_iPKfiiiPfSC_PS2_PT2_iSB_SB_
	.p2align	8
	.type	_Z39paged_attention_ll4mi_QKV_mfma16_kernelIDF16_DF16_LN4vllm18Fp8KVCacheDataTypeE0EDF16_Li16ELi64ELi256ELb1ELi13EEvPKT_PKT0_S7_ifPKiS9_S9_iPKfiiiPfSC_PS2_PT2_iSB_SB_,@function
_Z39paged_attention_ll4mi_QKV_mfma16_kernelIDF16_DF16_LN4vllm18Fp8KVCacheDataTypeE0EDF16_Li16ELi64ELi256ELb1ELi13EEvPKT_PKT0_S7_ifPKiS9_S9_iPKfiiiPfSC_PS2_PT2_iSB_SB_: ; @_Z39paged_attention_ll4mi_QKV_mfma16_kernelIDF16_DF16_LN4vllm18Fp8KVCacheDataTypeE0EDF16_Li16ELi64ELi256ELb1ELi13EEvPKT_PKT0_S7_ifPKiS9_S9_iPKfiiiPfSC_PS2_PT2_iSB_SB_
; %bb.0:
	s_load_dwordx2 s[8:9], s[0:1], 0x30
	s_mov_b32 s28, s3
	s_mov_b64 s[6:7], 0
	s_waitcnt lgkmcnt(0)
	s_cmp_lg_u64 s[8:9], 0
	s_cselect_b64 s[10:11], -1, 0
	s_and_b64 vcc, exec, s[10:11]
	s_cbranch_vccz .LBB68_7
; %bb.1:
	s_add_i32 s12, s2, 1
	s_mov_b32 s13, 0
	s_lshl_b64 s[14:15], s[12:13], 2
	s_add_u32 s14, s8, s14
	s_mov_b32 s3, s13
	s_addc_u32 s15, s9, s15
	s_lshl_b64 s[12:13], s[2:3], 2
	s_add_u32 s12, s8, s12
	s_addc_u32 s13, s9, s13
	s_load_dword s5, s[14:15], 0x0
	s_load_dword s16, s[12:13], 0x0
	s_waitcnt lgkmcnt(0)
	s_sub_i32 s5, s5, s16
	s_cmp_eq_u32 s5, 1
	s_cselect_b64 s[12:13], -1, 0
	s_andn2_b64 vcc, exec, s[6:7]
	s_cbranch_vccnz .LBB68_3
.LBB68_2:
	s_mov_b32 s3, 0
	s_mov_b64 s[12:13], -1
.LBB68_3:
	s_andn2_b64 vcc, exec, s[12:13]
	s_cbranch_vccnz .LBB68_20
; %bb.4:
	s_load_dwordx2 s[6:7], s[0:1], 0x28
	s_lshl_b64 s[12:13], s[2:3], 2
	s_waitcnt lgkmcnt(0)
	s_add_u32 s6, s6, s12
	s_addc_u32 s7, s7, s13
	s_load_dword s29, s[6:7], 0x0
	s_lshl_b32 s16, s28, 8
	s_waitcnt lgkmcnt(0)
	s_cmp_ge_i32 s16, s29
	s_cbranch_scc1 .LBB68_20
; %bb.5:
	s_load_dwordx2 s[6:7], s[0:1], 0x20
	s_load_dword s5, s[0:1], 0x38
	s_add_i32 s14, s29, 15
	s_ashr_i32 s15, s14, 31
	v_and_b32_e32 v1, 0xcf, v0
	s_lshr_b32 s15, s15, 28
	v_add_u32_e32 v1, s16, v1
	s_add_i32 s14, s14, s15
	v_ashrrev_i32_e32 v2, 31, v1
	s_ashr_i32 s17, s14, 4
	v_lshrrev_b32_e32 v6, 28, v2
	s_add_i32 s17, s17, -1
	s_waitcnt lgkmcnt(0)
	s_mul_i32 s14, s2, s5
	s_mov_b32 s15, 0
	v_add_u32_e32 v2, v1, v6
	s_lshl_b64 s[14:15], s[14:15], 2
	v_ashrrev_i32_e32 v2, 4, v2
	v_mov_b32_e32 v7, s17
	v_cmp_gt_i32_e32 vcc, s29, v1
	s_add_u32 s6, s6, s14
	s_addc_u32 s7, s7, s15
	v_cndmask_b32_e32 v2, v7, v2, vcc
	v_ashrrev_i32_e32 v3, 31, v2
	v_lshl_add_u64 v[4:5], v[2:3], 2, s[6:7]
	v_or_b32_e32 v2, 16, v1
	v_add_u32_e32 v3, v2, v6
	v_ashrrev_i32_e32 v3, 4, v3
	v_cmp_gt_i32_e32 vcc, s29, v2
	s_load_dwordx2 s[14:15], s[0:1], 0x8
	s_nop 0
	v_cndmask_b32_e32 v2, v7, v3, vcc
	v_ashrrev_i32_e32 v3, 31, v2
	v_lshl_add_u64 v[8:9], v[2:3], 2, s[6:7]
	v_or_b32_e32 v2, 32, v1
	v_add_u32_e32 v3, v2, v6
	v_ashrrev_i32_e32 v3, 4, v3
	v_cmp_gt_i32_e32 vcc, s29, v2
	v_or_b32_e32 v1, 48, v1
	s_nop 0
	v_cndmask_b32_e32 v2, v7, v3, vcc
	v_ashrrev_i32_e32 v3, 31, v2
	v_lshl_add_u64 v[10:11], v[2:3], 2, s[6:7]
	v_add_u32_e32 v2, v1, v6
	v_ashrrev_i32_e32 v2, 4, v2
	v_cmp_gt_i32_e32 vcc, s29, v1
	s_nop 1
	v_cndmask_b32_e32 v2, v7, v2, vcc
	v_ashrrev_i32_e32 v3, 31, v2
	v_lshl_add_u64 v[12:13], v[2:3], 2, s[6:7]
	global_load_dword v3, v[4:5], off
	global_load_dword v2, v[8:9], off
	;; [unrolled: 1-line block ×4, first 2 shown]
	s_andn2_b64 vcc, exec, s[10:11]
	s_cbranch_vccnz .LBB68_8
; %bb.6:
	s_add_u32 s8, s8, s12
	s_addc_u32 s9, s9, s13
	s_load_dword s5, s[8:9], 0x0
	s_branch .LBB68_9
.LBB68_7:
	s_mov_b64 s[12:13], 0
	s_branch .LBB68_2
.LBB68_8:
	s_mov_b32 s5, s2
.LBB68_9:
	s_load_dwordx2 s[8:9], s[0:1], 0x10
	s_load_dwordx4 s[44:47], s[0:1], 0x48
	v_lshrrev_b32_e32 v45, 6, v0
	v_bfe_u32 v54, v0, 4, 2
	v_lshl_or_b32 v1, v45, 2, v54
	v_and_b32_e32 v44, 15, v0
	v_lshlrev_b32_e32 v4, 3, v44
	v_cmp_gt_u32_e32 vcc, 13, v1
	v_cmp_gt_u32_e64 s[30:31], 8, v44
	s_mul_i32 s42, s4, 13
	s_and_b64 s[12:13], s[30:31], vcc
	v_lshlrev_b32_e32 v42, 1, v4
	s_and_saveexec_b64 s[10:11], s[12:13]
	s_cbranch_execz .LBB68_11
; %bb.10:
	s_load_dwordx2 s[12:13], s[0:1], 0x0
	s_waitcnt lgkmcnt(0)
	s_ashr_i32 s18, s44, 31
	s_mul_hi_u32 s19, s5, s44
	s_mul_i32 s18, s5, s18
	s_add_i32 s19, s19, s18
	s_mul_i32 s18, s5, s44
	s_lshl_b64 s[18:19], s[18:19], 1
	s_add_u32 s12, s12, s18
	v_add_lshl_u32 v4, v1, s42, 6
	s_addc_u32 s13, s13, s19
	v_ashrrev_i32_e32 v5, 31, v4
	v_lshl_add_u64 v[4:5], v[4:5], 1, s[12:13]
	v_mov_b32_e32 v43, 0
	v_lshl_add_u64 v[4:5], v[4:5], 0, v[42:43]
	global_load_dwordx4 v[8:11], v[4:5], off
	v_and_b32_e32 v4, 3, v0
	v_lshlrev_b32_e32 v5, 9, v44
	v_lshlrev_b32_e32 v1, 5, v1
	;; [unrolled: 1-line block ×3, first 2 shown]
	v_and_b32_e32 v5, 0x1800, v5
	v_or3_b32 v1, v5, v4, v1
	s_waitcnt vmcnt(0)
	ds_write_b128 v1, v[8:11]
.LBB68_11:
	s_or_b64 exec, exec, s[10:11]
	s_waitcnt lgkmcnt(0)
	s_mul_i32 s4, s4, s46
	s_mov_b32 s5, 0
	s_lshl_b64 s[4:5], s[4:5], 1
	s_add_u32 s10, s14, s4
	v_lshlrev_b32_e32 v1, 4, v0
	s_addc_u32 s11, s15, s5
	v_and_b32_e32 v46, 0xf0, v1
	v_mov_b32_e32 v47, 0
	v_lshl_add_u64 v[16:17], s[10:11], 0, v[46:47]
	s_waitcnt vmcnt(3)
	v_mad_i64_i32 v[4:5], s[10:11], v3, s45, 0
	s_waitcnt vmcnt(2)
	v_mad_i64_i32 v[2:3], s[10:11], v2, s45, 0
	;; [unrolled: 2-line block ×3, first 2 shown]
	v_lshl_add_u64 v[4:5], v[4:5], 1, v[16:17]
	v_and_b32_e32 v46, 0x300, v1
	v_lshl_add_u64 v[2:3], v[2:3], 1, v[16:17]
	v_lshl_add_u64 v[6:7], v[6:7], 1, v[16:17]
	s_waitcnt vmcnt(0)
	v_mad_i64_i32 v[14:15], s[10:11], v14, s45, 0
	v_lshl_add_u64 v[4:5], v[4:5], 0, v[46:47]
	v_lshl_add_u64 v[8:9], v[2:3], 0, v[46:47]
	;; [unrolled: 1-line block ×4, first 2 shown]
	s_barrier
	global_load_dwordx4 v[30:33], v[4:5], off
	global_load_dwordx4 v[10:13], v[4:5], off offset:1024
	global_load_dwordx4 v[22:25], v[8:9], off
	s_nop 0
	global_load_dwordx4 v[2:5], v[8:9], off offset:1024
	global_load_dwordx4 v[26:29], v[18:19], off
	s_nop 0
	global_load_dwordx4 v[6:9], v[18:19], off offset:1024
	v_lshl_add_u64 v[18:19], v[14:15], 0, v[46:47]
	global_load_dwordx4 v[34:37], v[18:19], off
	global_load_dwordx4 v[14:17], v[18:19], off offset:1024
	v_add_u32_e32 v18, -13, v44
	v_cmp_gt_u32_e32 vcc, 13, v44
	v_and_b32_e32 v55, 63, v0
	v_mov_b32_e32 v56, 0
	v_cndmask_b32_e32 v18, v18, v44, vcc
	v_lshlrev_b32_e32 v18, 5, v18
	v_lshl_add_u32 v18, v54, 9, v18
	ds_read_b128 v[38:41], v18
	ds_read_b128 v[18:21], v18 offset:2048
	s_and_saveexec_b64 s[10:11], vcc
	s_cbranch_execz .LBB68_13
; %bb.12:
	s_load_dwordx2 s[12:13], s[0:1], 0x40
	v_add_u32_e32 v48, s42, v44
	v_ashrrev_i32_e32 v49, 31, v48
	s_waitcnt lgkmcnt(0)
	v_lshl_add_u64 v[48:49], v[48:49], 2, s[12:13]
	global_load_dword v56, v[48:49], off
.LBB68_13:
	s_or_b64 exec, exec, s[10:11]
	v_and_or_b32 v46, v0, 48, s16
	v_ashrrev_i32_e32 v43, 4, v46
	v_mov_b32_e32 v57, s17
	v_cmp_gt_i32_e32 vcc, s29, v46
	s_waitcnt vmcnt(5) lgkmcnt(1)
	v_mfma_f32_16x16x16_f16 v[58:61], v[22:23], v[38:39], 0
	s_load_dword s10, s[0:1], 0x1c
	v_cndmask_b32_e32 v48, v57, v43, vcc
	v_ashrrev_i32_e32 v49, 31, v48
	v_or_b32_e32 v43, 64, v46
	v_lshl_add_u64 v[52:53], v[48:49], 2, s[6:7]
	v_mfma_f32_16x16x16_f16 v[48:51], v[30:31], v[38:39], 0
	v_ashrrev_i32_e32 v30, 4, v43
	v_cmp_gt_i32_e32 vcc, s29, v43
	global_load_dword v70, v[52:53], off
	s_waitcnt vmcnt(4)
	v_mfma_f32_16x16x16_f16 v[62:65], v[26:27], v[38:39], 0
	v_cndmask_b32_e32 v30, v57, v30, vcc
	v_ashrrev_i32_e32 v31, 31, v30
	v_lshl_add_u64 v[22:23], v[30:31], 2, s[6:7]
	global_load_dword v71, v[22:23], off
	v_mfma_f32_16x16x16_f16 v[22:25], v[24:25], v[40:41], v[58:61]
	v_and_b32_e32 v26, 0xc0, v0
	s_add_u32 s4, s8, s4
	v_lshlrev_b32_e32 v43, 5, v44
	v_mfma_f32_16x16x16_f16 v[30:33], v[32:33], v[40:41], v[48:51]
	s_addc_u32 s5, s9, s5
	s_mov_b32 s33, 0xff7fffff
	s_waitcnt vmcnt(3)
	v_mfma_f32_16x16x16_f16 v[66:69], v[34:35], v[38:39], 0
	v_or_b32_e32 v38, 0x80, v46
	v_add_u32_e32 v48, s16, v26
	v_or_b32_e32 v39, 0xc0, v46
	v_mfma_f32_16x16x16_f16 v[26:29], v[28:29], v[40:41], v[62:65]
	v_ashrrev_i32_e32 v49, 4, v38
	v_cmp_gt_i32_e32 vcc, s29, v38
	v_ashrrev_i32_e32 v50, 4, v39
	s_waitcnt lgkmcnt(0)
	v_mfma_f32_16x16x16_f16 v[22:25], v[2:3], v[18:19], v[22:25]
	v_cndmask_b32_e32 v38, v57, v49, vcc
	v_cmp_gt_i32_e32 vcc, s29, v39
	v_ashrrev_i32_e32 v39, 31, v38
	v_mfma_f32_16x16x16_f16 v[30:33], v[10:11], v[18:19], v[30:33]
	v_cndmask_b32_e32 v10, v57, v50, vcc
	v_ashrrev_i32_e32 v11, 31, v10
	v_lshl_or_b32 v58, v54, 2, v48
	v_mfma_f32_16x16x16_f16 v[26:29], v[6:7], v[18:19], v[26:29]
	v_lshl_add_u64 v[6:7], v[38:39], 2, s[6:7]
	v_lshl_add_u64 v[38:39], v[10:11], 2, s[6:7]
	v_or_b32_e32 v57, 1, v58
	v_mfma_f32_16x16x16_f16 v[2:5], v[4:5], v[20:21], v[22:25]
	s_nop 2
	global_load_dword v22, v[6:7], off
	global_load_dword v61, v[38:39], off
	v_subrev_u32_e32 v59, s29, v57
	v_cvt_f32_i32_e32 v60, v59
	v_mfma_f32_16x16x16_f16 v[34:37], v[36:37], v[40:41], v[66:69]
	v_pk_mul_f32 v[48:49], s[10:11], v[4:5] op_sel_hi:[0,1]
	v_lshl_or_b32 v46, v45, 9, v43
	v_lshl_add_u64 v[46:47], s[4:5], 0, v[46:47]
	s_waitcnt vmcnt(4)
	v_mfma_f32_16x16x16_f16 v[34:37], v[14:15], v[18:19], v[34:37]
	v_add_u32_e32 v14, 1, v59
	v_add_u32_e32 v15, 2, v59
	v_cvt_f32_i32_e32 v23, v14
	v_cvt_f32_i32_e32 v24, v15
	v_mfma_f32_16x16x16_f16 v[14:17], v[16:17], v[20:21], v[34:37]
	v_add_u32_e32 v18, 3, v59
	v_cvt_f32_i32_e32 v18, v18
	v_pk_mul_f32 v[50:51], s[10:11], v[2:3] op_sel_hi:[0,1]
	v_mfma_f32_16x16x16_f16 v[10:13], v[12:13], v[20:21], v[30:33]
	v_cmp_gt_i32_e64 s[34:35], s29, v57
	s_nop 1
	v_pk_mul_f32 v[36:37], s[10:11], v[14:15] op_sel_hi:[0,1]
	v_add_u32_e32 v15, 19, v59
	v_add_u32_e32 v31, 18, v59
	v_cvt_f32_i32_e32 v14, v31
	v_cvt_f32_i32_e32 v15, v15
	v_mfma_f32_16x16x16_f16 v[6:9], v[8:9], v[20:21], v[26:29]
	v_pk_mul_f32 v[34:35], s[10:11], v[16:17] op_sel_hi:[0,1]
	v_fma_f32 v48, v56, v14, v48
	v_add_u32_e32 v14, 32, v59
	v_fmac_f32_e32 v49, v56, v15
	v_cvt_f32_i32_e32 v14, v14
	v_add_u32_e32 v15, 33, v59
	v_add_u32_e32 v16, 34, v59
	v_cvt_f32_i32_e32 v15, v15
	v_cvt_f32_i32_e32 v16, v16
	v_add_u32_e32 v17, 35, v59
	v_cvt_f32_i32_e32 v17, v17
	v_pk_mul_f32 v[40:41], s[10:11], v[6:7] op_sel_hi:[0,1]
	v_pk_mul_f32 v[38:39], s[10:11], v[8:9] op_sel_hi:[0,1]
	v_fma_f32 v40, v56, v14, v40
	v_add_u32_e32 v14, 48, v59
	v_fmac_f32_e32 v41, v56, v15
	v_fma_f32 v38, v56, v16, v38
	v_cvt_f32_i32_e32 v14, v14
	v_add_u32_e32 v15, 49, v59
	v_add_u32_e32 v16, 50, v59
	v_fmac_f32_e32 v39, v56, v17
	v_cvt_f32_i32_e32 v15, v15
	v_cvt_f32_i32_e32 v16, v16
	v_add_u32_e32 v17, 51, v59
	v_cvt_f32_i32_e32 v17, v17
	v_pk_mul_f32 v[52:53], s[10:11], v[12:13] op_sel_hi:[0,1]
	v_pk_mul_f32 v[10:11], s[10:11], v[10:11] op_sel_hi:[0,1]
	s_waitcnt vmcnt(3)
	v_mad_i64_i32 v[2:3], s[4:5], v70, s45, 0
	s_waitcnt vmcnt(2)
	v_mad_i64_i32 v[12:13], s[4:5], v71, s45, 0
	v_fma_f32 v10, v56, v60, v10
	v_fmac_f32_e32 v11, v56, v23
	v_fma_f32 v36, v56, v14, v36
	v_mov_b32_e32 v14, 0xff7fffff
	v_cmp_gt_i32_e64 s[4:5], s29, v58
	v_add_u32_e32 v19, 16, v59
	v_add_u32_e32 v30, 17, v59
	v_fmac_f32_e32 v37, v56, v15
	v_fma_f32 v34, v56, v16, v34
	v_cndmask_b32_e64 v15, v14, v10, s[4:5]
	v_cndmask_b32_e64 v16, v14, v11, s[34:35]
	v_cvt_f32_i32_e32 v19, v19
	v_cvt_f32_i32_e32 v25, v30
	v_fmac_f32_e32 v35, v56, v17
	v_max3_f32 v15, v15, s33, v16
	v_or_b32_e32 v16, 2, v58
	v_or_b32_e32 v17, 3, v58
	v_fma_f32 v52, v56, v24, v52
	v_fmac_f32_e32 v53, v56, v18
	v_cmp_gt_i32_e64 s[36:37], s29, v16
	v_cmp_gt_i32_e64 s[38:39], s29, v17
	v_fma_f32 v50, v56, v19, v50
	v_cndmask_b32_e64 v16, v14, v52, s[36:37]
	v_cndmask_b32_e64 v17, v14, v53, s[38:39]
	v_max3_f32 v15, v15, v16, v17
	v_or_b32_e32 v16, 16, v58
	v_or_b32_e32 v17, 17, v58
	v_fmac_f32_e32 v51, v56, v25
	v_cmp_gt_i32_e64 s[24:25], s29, v16
	v_cmp_gt_i32_e64 s[26:27], s29, v17
	v_lshl_add_u64 v[2:3], v[2:3], 1, v[46:47]
	v_cndmask_b32_e64 v16, v14, v50, s[24:25]
	v_cndmask_b32_e64 v17, v14, v51, s[26:27]
	v_max3_f32 v15, v15, v16, v17
	v_or_b32_e32 v16, 18, v58
	v_or_b32_e32 v17, 19, v58
	v_cmp_gt_i32_e64 s[20:21], s29, v16
	v_cmp_gt_i32_e64 s[22:23], s29, v17
	v_lshl_add_u64 v[12:13], v[12:13], 1, v[46:47]
	v_cndmask_b32_e64 v16, v14, v48, s[20:21]
	v_cndmask_b32_e64 v17, v14, v49, s[22:23]
	v_max3_f32 v15, v15, v16, v17
	v_or_b32_e32 v16, 32, v58
	v_or_b32_e32 v17, 33, v58
	v_cmp_gt_i32_e64 s[16:17], s29, v16
	v_cmp_gt_i32_e64 s[18:19], s29, v17
	global_load_dwordx4 v[6:9], v[2:3], off
	s_nop 0
	global_load_dwordx4 v[2:5], v[2:3], off offset:16
	v_cndmask_b32_e64 v16, v14, v40, s[16:17]
	v_cndmask_b32_e64 v17, v14, v41, s[18:19]
	v_max3_f32 v15, v15, v16, v17
	v_or_b32_e32 v16, 34, v58
	v_or_b32_e32 v17, 35, v58
	v_cmp_gt_i32_e64 s[12:13], s29, v16
	v_cmp_gt_i32_e64 s[14:15], s29, v17
	global_load_dwordx4 v[30:33], v[12:13], off
	global_load_dwordx4 v[26:29], v[12:13], off offset:16
	v_cndmask_b32_e64 v16, v14, v38, s[12:13]
	v_cndmask_b32_e64 v17, v14, v39, s[14:15]
	v_max3_f32 v15, v15, v16, v17
	v_or_b32_e32 v16, 48, v58
	v_or_b32_e32 v17, 49, v58
	v_cmp_gt_i32_e64 s[8:9], s29, v16
	v_cmp_gt_i32_e64 s[10:11], s29, v17
	s_nop 0
	v_cndmask_b32_e64 v16, v14, v36, s[8:9]
	v_cndmask_b32_e64 v17, v14, v37, s[10:11]
	v_max3_f32 v15, v15, v16, v17
	v_or_b32_e32 v16, 50, v58
	v_or_b32_e32 v17, 51, v58
	v_cmp_gt_i32_e32 vcc, s29, v16
	v_cmp_gt_i32_e64 s[6:7], s29, v17
	s_nop 0
	v_cndmask_b32_e32 v16, v14, v34, vcc
	v_cndmask_b32_e64 v14, v14, v35, s[6:7]
	v_max3_f32 v14, v15, v16, v14
	v_mbcnt_lo_u32_b32 v15, -1, 0
	v_mbcnt_hi_u32_b32 v15, -1, v15
	v_and_b32_e32 v16, 64, v15
	v_add_u32_e32 v16, 64, v16
	v_xor_b32_e32 v17, 32, v15
	v_cmp_lt_i32_e64 s[40:41], v17, v16
	s_nop 1
	v_cndmask_b32_e64 v17, v15, v17, s[40:41]
	v_lshlrev_b32_e32 v57, 2, v17
	ds_bpermute_b32 v17, v57, v14
	s_waitcnt vmcnt(5)
	v_mad_i64_i32 v[12:13], s[40:41], v22, s45, 0
	v_lshl_add_u64 v[12:13], v[12:13], 1, v[46:47]
	global_load_dwordx4 v[22:25], v[12:13], off
	global_load_dwordx4 v[18:21], v[12:13], off offset:16
	s_waitcnt lgkmcnt(0)
	v_max_f32_e32 v17, v17, v17
	v_max_f32_e32 v14, v14, v17
	v_xor_b32_e32 v17, 16, v15
	v_cmp_lt_i32_e64 s[40:41], v17, v16
	s_nop 1
	v_cndmask_b32_e64 v15, v15, v17, s[40:41]
	v_lshlrev_b32_e32 v59, 2, v15
	ds_bpermute_b32 v15, v59, v14
	s_waitcnt vmcnt(6)
	v_mad_i64_i32 v[12:13], s[40:41], v61, s45, 0
	v_lshl_add_u64 v[12:13], v[12:13], 1, v[46:47]
	s_waitcnt lgkmcnt(0)
	v_max_f32_e32 v15, v15, v15
	v_max_f32_e32 v56, v14, v15
	v_sub_f32_e32 v10, v10, v56
	v_mul_f32_e32 v10, 0x3fb8aa3b, v10
	v_exp_f32_e32 v46, v10
	v_sub_f32_e32 v10, v11, v56
	v_mul_f32_e32 v10, 0x3fb8aa3b, v10
	v_exp_f32_e32 v47, v10
	global_load_dwordx4 v[14:17], v[12:13], off
	s_nop 0
	global_load_dwordx4 v[10:13], v[12:13], off offset:16
	v_sub_f32_e32 v52, v52, v56
	v_mul_f32_e32 v52, 0x3fb8aa3b, v52
	v_sub_f32_e32 v53, v53, v56
	v_exp_f32_e32 v52, v52
	v_mul_f32_e32 v53, 0x3fb8aa3b, v53
	v_sub_f32_e32 v50, v50, v56
	v_exp_f32_e32 v53, v53
	v_mul_f32_e32 v50, 0x3fb8aa3b, v50
	v_sub_f32_e32 v51, v51, v56
	v_cndmask_b32_e64 v46, 0, v46, s[4:5]
	v_exp_f32_e32 v50, v50
	v_mul_f32_e32 v51, 0x3fb8aa3b, v51
	v_sub_f32_e32 v48, v48, v56
	v_add_f32_e32 v58, 0, v46
	v_cndmask_b32_e64 v47, 0, v47, s[34:35]
	v_exp_f32_e32 v51, v51
	v_mul_f32_e32 v48, 0x3fb8aa3b, v48
	v_sub_f32_e32 v49, v49, v56
	v_add_f32_e32 v58, v58, v47
	;; [unrolled: 5-line block ×10, first 2 shown]
	v_cndmask_b32_e64 v38, 0, v38, s[12:13]
	v_exp_f32_e32 v34, v34
	v_mul_f32_e32 v35, 0x3fb8aa3b, v35
	v_add_f32_e32 v58, v58, v38
	v_cndmask_b32_e64 v39, 0, v39, s[14:15]
	v_exp_f32_e32 v35, v35
	v_add_f32_e32 v58, v58, v39
	v_cndmask_b32_e64 v36, 0, v36, s[8:9]
	v_add_f32_e32 v58, v58, v36
	v_cndmask_b32_e64 v37, 0, v37, s[10:11]
	v_add_f32_e32 v58, v58, v37
	v_cndmask_b32_e32 v34, 0, v34, vcc
	v_add_f32_e32 v58, v58, v34
	v_cndmask_b32_e64 v35, 0, v35, s[6:7]
	v_add_f32_e32 v58, v58, v35
	ds_bpermute_b32 v57, v57, v58
	s_load_dword s9, s[0:1], 0x98
	v_cmp_gt_u32_e64 s[6:7], 16, v55
	s_waitcnt lgkmcnt(0)
	s_barrier
	v_add_f32_e32 v58, v58, v57
	ds_bpermute_b32 v59, v59, v58
	v_lshlrev_b32_e32 v57, 2, v44
	s_waitcnt lgkmcnt(0)
	s_and_saveexec_b64 s[4:5], s[6:7]
	s_cbranch_execz .LBB68_15
; %bb.14:
	v_add_f32_e32 v55, v58, v59
	v_lshl_or_b32 v58, v45, 6, v57
	ds_write2st64_b32 v58, v56, v55 offset1:1
.LBB68_15:
	s_or_b64 exec, exec, s[4:5]
	s_load_dword s8, s[0:1], 0x94
	s_waitcnt lgkmcnt(0)
	s_barrier
	ds_read2_b32 v[58:59], v57 offset1:16
	ds_read2_b32 v[60:61], v57 offset0:32 offset1:48
	ds_read2_b32 v[62:63], v57 offset0:64 offset1:80
	s_mul_i32 s9, s9, 13
	s_waitcnt lgkmcnt(2)
	v_max3_f32 v55, v58, s33, v59
	s_waitcnt lgkmcnt(1)
	v_max3_f32 v55, v55, v60, v61
	v_sub_f32_e32 v56, v58, v55
	v_mul_f32_e32 v56, 0x3fb8aa3b, v56
	v_exp_f32_e32 v64, v56
	v_sub_f32_e32 v56, v59, v55
	v_mul_f32_e32 v56, 0x3fb8aa3b, v56
	v_exp_f32_e32 v65, v56
	;; [unrolled: 3-line block ×3, first 2 shown]
	ds_read2_b32 v[58:59], v57 offset0:96 offset1:112
	v_sub_f32_e32 v56, v61, v55
	v_mul_f32_e32 v56, 0x3fb8aa3b, v56
	v_exp_f32_e32 v57, v56
	s_waitcnt lgkmcnt(1)
	v_fma_f32 v56, v64, v62, 0
	v_fmac_f32_e32 v56, v65, v63
	s_waitcnt lgkmcnt(0)
	v_fmac_f32_e32 v56, v60, v58
	v_fmac_f32_e32 v56, v57, v59
	v_add_f32_e32 v58, 0x358637bd, v56
	v_div_scale_f32 v59, s[4:5], v58, v58, 1.0
	v_rcp_f32_e32 v61, v59
	s_barrier
	v_fma_f32 v62, -v59, v61, 1.0
	v_fmac_f32_e32 v61, v62, v61
	v_div_scale_f32 v62, vcc, 1.0, v58, 1.0
	v_mul_f32_e32 v63, v62, v61
	v_fma_f32 v66, -v59, v63, v62
	v_fmac_f32_e32 v63, v66, v61
	v_fma_f32 v59, -v59, v63, v62
	v_div_fmas_f32 v59, v59, v61, v63
	v_cmp_eq_u32_e32 vcc, 1, v45
	v_div_fixup_f32 v58, v59, v58, 1.0
	s_nop 0
	v_cndmask_b32_e32 v59, v64, v65, vcc
	v_cmp_eq_u32_e32 vcc, 2, v45
	s_nop 1
	v_cndmask_b32_e32 v59, v59, v60, vcc
	v_cmp_eq_u32_e32 vcc, 3, v45
	v_lshlrev_b32_e32 v45, 11, v45
	s_nop 0
	v_cndmask_b32_e32 v57, v59, v57, vcc
	v_mul_f32_e32 v58, v57, v58
	v_pk_mul_f32 v[46:47], v[58:59], v[46:47] op_sel_hi:[0,1]
	v_cvt_f16_f32_e32 v46, v46
	v_cvt_f16_f32_e32 v47, v47
	v_pk_mul_f32 v[52:53], v[58:59], v[52:53] op_sel_hi:[0,1]
	v_cvt_f16_f32_e32 v57, v52
	v_cvt_f16_f32_e32 v53, v53
	v_pack_b32_f16 v52, v46, v47
	v_pk_mul_f32 v[46:47], v[58:59], v[48:49] op_sel_hi:[0,1]
	v_pk_mul_f32 v[48:49], v[58:59], v[50:51] op_sel_hi:[0,1]
	v_cvt_f16_f32_e32 v48, v48
	v_cvt_f16_f32_e32 v49, v49
	;; [unrolled: 1-line block ×4, first 2 shown]
	v_pack_b32_f16 v53, v57, v53
	v_lshlrev_b32_e32 v57, 3, v54
	v_pk_mul_f32 v[38:39], v[58:59], v[38:39] op_sel_hi:[0,1]
	v_pk_mul_f32 v[40:41], v[58:59], v[40:41] op_sel_hi:[0,1]
	;; [unrolled: 1-line block ×4, first 2 shown]
	v_or3_b32 v46, v45, v43, v57
	v_pack_b32_f16 v48, v48, v49
	v_pack_b32_f16 v49, v50, v47
	v_cvt_f16_f32_e32 v40, v40
	v_cvt_f16_f32_e32 v41, v41
	;; [unrolled: 1-line block ×8, first 2 shown]
	v_pack_b32_f16 v34, v40, v41
	v_pack_b32_f16 v35, v38, v39
	;; [unrolled: 1-line block ×4, first 2 shown]
	v_cmp_gt_u32_e32 vcc, 13, v0
	ds_write2st64_b64 v46, v[52:53], v[48:49] offset1:1
	ds_write2st64_b64 v46, v[34:35], v[36:37] offset0:2 offset1:3
	s_and_saveexec_b64 s[4:5], vcc
	s_cbranch_execz .LBB68_17
; %bb.16:
	s_mov_b32 s43, 0
	v_mov_b32_e32 v45, 0
	v_lshl_add_u64 v[34:35], s[42:43], 0, v[44:45]
	v_mov_b32_e32 v36, s9
	v_mad_u64_u32 v[34:35], s[10:11], s2, v36, v[34:35]
	s_mul_i32 s3, s3, s9
	v_mov_b32_e32 v44, s28
	s_load_dwordx4 s[12:15], s[0:1], 0x58
	v_add_u32_e32 v37, s3, v35
	v_mad_u64_u32 v[34:35], s[10:11], v34, s8, v[44:45]
	v_mov_b32_e32 v36, v35
	v_mad_u64_u32 v[36:37], s[10:11], v37, s8, v[36:37]
	v_mov_b32_e32 v35, v36
	v_lshlrev_b64 v[34:35], 2, v[34:35]
	s_waitcnt lgkmcnt(0)
	v_lshl_add_u64 v[36:37], s[14:15], 0, v[34:35]
	v_lshl_add_u64 v[34:35], s[12:13], 0, v[34:35]
	global_store_dword v[36:37], v55, off
	global_store_dword v[34:35], v56, off
.LBB68_17:
	s_or_b64 exec, exec, s[4:5]
	v_lshl_or_b32 v43, v54, 9, v43
	s_waitcnt lgkmcnt(0)
	s_barrier
	ds_read_b128 v[34:37], v43
	ds_read_b128 v[38:41], v43 offset:16
	s_waitcnt vmcnt(7) lgkmcnt(1)
	v_mfma_f32_16x16x16_f16 v[48:51], v[6:7], v[34:35], 0
	v_cmp_gt_u32_e32 vcc, 64, v0
	s_mov_b32 s3, 0
	s_and_b64 s[4:5], vcc, s[30:31]
	v_mfma_f32_16x16x16_f16 v[6:9], v[8:9], v[36:37], v[48:51]
	s_waitcnt vmcnt(6) lgkmcnt(0)
	v_mfma_f32_16x16x16_f16 v[6:9], v[2:3], v[38:39], v[6:9]
	v_mfma_f32_16x16x16_f16 v[2:5], v[4:5], v[40:41], v[6:9]
	s_nop 5
	ds_read_b128 v[6:9], v43 offset:2048
	ds_read_b128 v[34:37], v43 offset:2064
	s_waitcnt vmcnt(5) lgkmcnt(1)
	v_mfma_f32_16x16x16_f16 v[2:5], v[30:31], v[6:7], v[2:5]
	v_mfma_f32_16x16x16_f16 v[2:5], v[32:33], v[8:9], v[2:5]
	s_waitcnt vmcnt(4) lgkmcnt(0)
	v_mfma_f32_16x16x16_f16 v[2:5], v[26:27], v[34:35], v[2:5]
	v_mfma_f32_16x16x16_f16 v[2:5], v[28:29], v[36:37], v[2:5]
	ds_read_b128 v[6:9], v43 offset:4096
	ds_read_b128 v[26:29], v43 offset:4112
	s_waitcnt vmcnt(3) lgkmcnt(1)
	v_mfma_f32_16x16x16_f16 v[2:5], v[22:23], v[6:7], v[2:5]
	v_mfma_f32_16x16x16_f16 v[2:5], v[24:25], v[8:9], v[2:5]
	s_waitcnt vmcnt(2) lgkmcnt(0)
	v_mfma_f32_16x16x16_f16 v[2:5], v[18:19], v[26:27], v[2:5]
	v_mfma_f32_16x16x16_f16 v[2:5], v[20:21], v[28:29], v[2:5]
	ds_read_b128 v[6:9], v43 offset:6144
	ds_read_b128 v[18:21], v43 offset:6160
	v_mov_b32_e32 v43, 0
	s_waitcnt vmcnt(1) lgkmcnt(0)
	v_mfma_f32_16x16x16_f16 v[2:5], v[14:15], v[6:7], v[2:5]
	s_barrier
	v_mfma_f32_16x16x16_f16 v[2:5], v[16:17], v[8:9], v[2:5]
	s_waitcnt vmcnt(0)
	v_mfma_f32_16x16x16_f16 v[2:5], v[10:11], v[18:19], v[2:5]
	v_mfma_f32_16x16x16_f16 v[2:5], v[12:13], v[20:21], v[2:5]
	s_nop 6
	v_cvt_f16_f32_e32 v2, v2
	v_cvt_f16_f32_e32 v3, v3
	;; [unrolled: 1-line block ×4, first 2 shown]
	v_pack_b32_f16 v2, v2, v3
	v_pack_b32_f16 v3, v4, v5
	ds_write_b64 v46, v[2:3]
	s_waitcnt lgkmcnt(0)
	s_barrier
	s_and_saveexec_b64 s[10:11], s[4:5]
	s_cbranch_execz .LBB68_20
; %bb.18:
	s_load_dwordx2 s[4:5], s[0:1], 0x68
	s_lshl_b32 s0, s8, 6
	s_mul_i32 s1, s9, s2
	s_mul_hi_u32 s9, s1, s0
	s_mul_i32 s8, s1, s0
	v_lshlrev_b32_e32 v0, 10, v0
	s_lshl_b64 s[8:9], s[8:9], 1
	v_and_b32_e32 v0, 0x1800, v0
	v_lshlrev_b32_e32 v2, 5, v54
	v_and_b32_e32 v1, 16, v1
	s_waitcnt lgkmcnt(0)
	s_add_u32 s1, s4, s8
	v_or3_b32 v2, v0, v2, v1
	s_addc_u32 s4, s5, s9
	s_lshl_b32 s2, s28, 6
	ds_read_b128 v[4:7], v2 offset:256
	s_lshl_b64 s[2:3], s[2:3], 1
	ds_read_b128 v[8:11], v2 offset:128
	ds_read_b128 v[12:15], v2
	s_add_u32 s2, s1, s2
	s_addc_u32 s3, s4, s3
	v_add_u32_e32 v3, s42, v54
	v_lshl_add_u64 v[0:1], s[2:3], 0, v[42:43]
	v_mad_u64_u32 v[16:17], s[2:3], v3, s0, 0
	v_lshl_add_u64 v[16:17], v[16:17], 1, v[0:1]
	s_waitcnt lgkmcnt(0)
	global_store_dwordx4 v[16:17], v[12:15], off
	s_nop 1
	v_add_u32_e32 v12, 4, v3
	v_mad_u64_u32 v[12:13], s[2:3], v12, s0, 0
	v_lshl_add_u64 v[12:13], v[12:13], 1, v[0:1]
	v_add_u32_e32 v3, 8, v3
	global_store_dwordx4 v[12:13], v[8:11], off
	s_nop 1
	v_mad_u64_u32 v[8:9], s[2:3], v3, s0, 0
	v_lshl_add_u64 v[8:9], v[8:9], 1, v[0:1]
	global_store_dwordx4 v[8:9], v[4:7], off
	s_and_b64 exec, exec, s[6:7]
	s_cbranch_execz .LBB68_20
; %bb.19:
	ds_read_b128 v[2:5], v2 offset:384
	v_add3_u32 v6, s42, v54, 12
	v_mad_u64_u32 v[6:7], s[0:1], v6, s0, 0
	v_lshl_add_u64 v[0:1], v[6:7], 1, v[0:1]
	s_waitcnt lgkmcnt(0)
	global_store_dwordx4 v[0:1], v[2:5], off
.LBB68_20:
	s_endpgm
	.section	.rodata,"a",@progbits
	.p2align	6, 0x0
	.amdhsa_kernel _Z39paged_attention_ll4mi_QKV_mfma16_kernelIDF16_DF16_LN4vllm18Fp8KVCacheDataTypeE0EDF16_Li16ELi64ELi256ELb1ELi13EEvPKT_PKT0_S7_ifPKiS9_S9_iPKfiiiPfSC_PS2_PT2_iSB_SB_
		.amdhsa_group_segment_fixed_size 8192
		.amdhsa_private_segment_fixed_size 0
		.amdhsa_kernarg_size 400
		.amdhsa_user_sgpr_count 2
		.amdhsa_user_sgpr_dispatch_ptr 0
		.amdhsa_user_sgpr_queue_ptr 0
		.amdhsa_user_sgpr_kernarg_segment_ptr 1
		.amdhsa_user_sgpr_dispatch_id 0
		.amdhsa_user_sgpr_kernarg_preload_length 0
		.amdhsa_user_sgpr_kernarg_preload_offset 0
		.amdhsa_user_sgpr_private_segment_size 0
		.amdhsa_uses_dynamic_stack 0
		.amdhsa_enable_private_segment 0
		.amdhsa_system_sgpr_workgroup_id_x 1
		.amdhsa_system_sgpr_workgroup_id_y 1
		.amdhsa_system_sgpr_workgroup_id_z 1
		.amdhsa_system_sgpr_workgroup_info 0
		.amdhsa_system_vgpr_workitem_id 0
		.amdhsa_next_free_vgpr 72
		.amdhsa_next_free_sgpr 48
		.amdhsa_accum_offset 72
		.amdhsa_reserve_vcc 1
		.amdhsa_float_round_mode_32 0
		.amdhsa_float_round_mode_16_64 0
		.amdhsa_float_denorm_mode_32 3
		.amdhsa_float_denorm_mode_16_64 3
		.amdhsa_dx10_clamp 1
		.amdhsa_ieee_mode 1
		.amdhsa_fp16_overflow 0
		.amdhsa_tg_split 0
		.amdhsa_exception_fp_ieee_invalid_op 0
		.amdhsa_exception_fp_denorm_src 0
		.amdhsa_exception_fp_ieee_div_zero 0
		.amdhsa_exception_fp_ieee_overflow 0
		.amdhsa_exception_fp_ieee_underflow 0
		.amdhsa_exception_fp_ieee_inexact 0
		.amdhsa_exception_int_div_zero 0
	.end_amdhsa_kernel
	.section	.text._Z39paged_attention_ll4mi_QKV_mfma16_kernelIDF16_DF16_LN4vllm18Fp8KVCacheDataTypeE0EDF16_Li16ELi64ELi256ELb1ELi13EEvPKT_PKT0_S7_ifPKiS9_S9_iPKfiiiPfSC_PS2_PT2_iSB_SB_,"axG",@progbits,_Z39paged_attention_ll4mi_QKV_mfma16_kernelIDF16_DF16_LN4vllm18Fp8KVCacheDataTypeE0EDF16_Li16ELi64ELi256ELb1ELi13EEvPKT_PKT0_S7_ifPKiS9_S9_iPKfiiiPfSC_PS2_PT2_iSB_SB_,comdat
.Lfunc_end68:
	.size	_Z39paged_attention_ll4mi_QKV_mfma16_kernelIDF16_DF16_LN4vllm18Fp8KVCacheDataTypeE0EDF16_Li16ELi64ELi256ELb1ELi13EEvPKT_PKT0_S7_ifPKiS9_S9_iPKfiiiPfSC_PS2_PT2_iSB_SB_, .Lfunc_end68-_Z39paged_attention_ll4mi_QKV_mfma16_kernelIDF16_DF16_LN4vllm18Fp8KVCacheDataTypeE0EDF16_Li16ELi64ELi256ELb1ELi13EEvPKT_PKT0_S7_ifPKiS9_S9_iPKfiiiPfSC_PS2_PT2_iSB_SB_
                                        ; -- End function
	.section	.AMDGPU.csdata,"",@progbits
; Kernel info:
; codeLenInByte = 4124
; NumSgprs: 54
; NumVgprs: 72
; NumAgprs: 0
; TotalNumVgprs: 72
; ScratchSize: 0
; MemoryBound: 0
; FloatMode: 240
; IeeeMode: 1
; LDSByteSize: 8192 bytes/workgroup (compile time only)
; SGPRBlocks: 6
; VGPRBlocks: 8
; NumSGPRsForWavesPerEU: 54
; NumVGPRsForWavesPerEU: 72
; AccumOffset: 72
; Occupancy: 7
; WaveLimiterHint : 1
; COMPUTE_PGM_RSRC2:SCRATCH_EN: 0
; COMPUTE_PGM_RSRC2:USER_SGPR: 2
; COMPUTE_PGM_RSRC2:TRAP_HANDLER: 0
; COMPUTE_PGM_RSRC2:TGID_X_EN: 1
; COMPUTE_PGM_RSRC2:TGID_Y_EN: 1
; COMPUTE_PGM_RSRC2:TGID_Z_EN: 1
; COMPUTE_PGM_RSRC2:TIDIG_COMP_CNT: 0
; COMPUTE_PGM_RSRC3_GFX90A:ACCUM_OFFSET: 17
; COMPUTE_PGM_RSRC3_GFX90A:TG_SPLIT: 0
	.section	.text._Z39paged_attention_ll4mi_QKV_mfma16_kernelIDF16_DF16_LN4vllm18Fp8KVCacheDataTypeE0EDF16_Li16ELi64ELi256ELb1ELi14EEvPKT_PKT0_S7_ifPKiS9_S9_iPKfiiiPfSC_PS2_PT2_iSB_SB_,"axG",@progbits,_Z39paged_attention_ll4mi_QKV_mfma16_kernelIDF16_DF16_LN4vllm18Fp8KVCacheDataTypeE0EDF16_Li16ELi64ELi256ELb1ELi14EEvPKT_PKT0_S7_ifPKiS9_S9_iPKfiiiPfSC_PS2_PT2_iSB_SB_,comdat
	.protected	_Z39paged_attention_ll4mi_QKV_mfma16_kernelIDF16_DF16_LN4vllm18Fp8KVCacheDataTypeE0EDF16_Li16ELi64ELi256ELb1ELi14EEvPKT_PKT0_S7_ifPKiS9_S9_iPKfiiiPfSC_PS2_PT2_iSB_SB_ ; -- Begin function _Z39paged_attention_ll4mi_QKV_mfma16_kernelIDF16_DF16_LN4vllm18Fp8KVCacheDataTypeE0EDF16_Li16ELi64ELi256ELb1ELi14EEvPKT_PKT0_S7_ifPKiS9_S9_iPKfiiiPfSC_PS2_PT2_iSB_SB_
	.globl	_Z39paged_attention_ll4mi_QKV_mfma16_kernelIDF16_DF16_LN4vllm18Fp8KVCacheDataTypeE0EDF16_Li16ELi64ELi256ELb1ELi14EEvPKT_PKT0_S7_ifPKiS9_S9_iPKfiiiPfSC_PS2_PT2_iSB_SB_
	.p2align	8
	.type	_Z39paged_attention_ll4mi_QKV_mfma16_kernelIDF16_DF16_LN4vllm18Fp8KVCacheDataTypeE0EDF16_Li16ELi64ELi256ELb1ELi14EEvPKT_PKT0_S7_ifPKiS9_S9_iPKfiiiPfSC_PS2_PT2_iSB_SB_,@function
_Z39paged_attention_ll4mi_QKV_mfma16_kernelIDF16_DF16_LN4vllm18Fp8KVCacheDataTypeE0EDF16_Li16ELi64ELi256ELb1ELi14EEvPKT_PKT0_S7_ifPKiS9_S9_iPKfiiiPfSC_PS2_PT2_iSB_SB_: ; @_Z39paged_attention_ll4mi_QKV_mfma16_kernelIDF16_DF16_LN4vllm18Fp8KVCacheDataTypeE0EDF16_Li16ELi64ELi256ELb1ELi14EEvPKT_PKT0_S7_ifPKiS9_S9_iPKfiiiPfSC_PS2_PT2_iSB_SB_
; %bb.0:
	s_load_dwordx2 s[8:9], s[0:1], 0x30
	s_mov_b32 s28, s3
	s_mov_b64 s[6:7], 0
	s_waitcnt lgkmcnt(0)
	s_cmp_lg_u64 s[8:9], 0
	s_cselect_b64 s[10:11], -1, 0
	s_and_b64 vcc, exec, s[10:11]
	s_cbranch_vccz .LBB69_7
; %bb.1:
	s_add_i32 s12, s2, 1
	s_mov_b32 s13, 0
	s_lshl_b64 s[14:15], s[12:13], 2
	s_add_u32 s14, s8, s14
	s_mov_b32 s3, s13
	s_addc_u32 s15, s9, s15
	s_lshl_b64 s[12:13], s[2:3], 2
	s_add_u32 s12, s8, s12
	s_addc_u32 s13, s9, s13
	s_load_dword s5, s[14:15], 0x0
	s_load_dword s16, s[12:13], 0x0
	s_waitcnt lgkmcnt(0)
	s_sub_i32 s5, s5, s16
	s_cmp_eq_u32 s5, 1
	s_cselect_b64 s[12:13], -1, 0
	s_andn2_b64 vcc, exec, s[6:7]
	s_cbranch_vccnz .LBB69_3
.LBB69_2:
	s_mov_b32 s3, 0
	s_mov_b64 s[12:13], -1
.LBB69_3:
	s_andn2_b64 vcc, exec, s[12:13]
	s_cbranch_vccnz .LBB69_20
; %bb.4:
	s_load_dwordx2 s[6:7], s[0:1], 0x28
	s_lshl_b64 s[12:13], s[2:3], 2
	s_waitcnt lgkmcnt(0)
	s_add_u32 s6, s6, s12
	s_addc_u32 s7, s7, s13
	s_load_dword s29, s[6:7], 0x0
	s_lshl_b32 s16, s28, 8
	s_waitcnt lgkmcnt(0)
	s_cmp_ge_i32 s16, s29
	s_cbranch_scc1 .LBB69_20
; %bb.5:
	s_load_dwordx2 s[6:7], s[0:1], 0x20
	s_load_dword s5, s[0:1], 0x38
	s_add_i32 s14, s29, 15
	s_ashr_i32 s15, s14, 31
	v_and_b32_e32 v1, 0xcf, v0
	s_lshr_b32 s15, s15, 28
	v_add_u32_e32 v1, s16, v1
	s_add_i32 s14, s14, s15
	v_ashrrev_i32_e32 v2, 31, v1
	s_ashr_i32 s17, s14, 4
	v_lshrrev_b32_e32 v6, 28, v2
	s_add_i32 s17, s17, -1
	s_waitcnt lgkmcnt(0)
	s_mul_i32 s14, s2, s5
	s_mov_b32 s15, 0
	v_add_u32_e32 v2, v1, v6
	s_lshl_b64 s[14:15], s[14:15], 2
	v_ashrrev_i32_e32 v2, 4, v2
	v_mov_b32_e32 v7, s17
	v_cmp_gt_i32_e32 vcc, s29, v1
	s_add_u32 s6, s6, s14
	s_addc_u32 s7, s7, s15
	v_cndmask_b32_e32 v2, v7, v2, vcc
	v_ashrrev_i32_e32 v3, 31, v2
	v_lshl_add_u64 v[4:5], v[2:3], 2, s[6:7]
	v_or_b32_e32 v2, 16, v1
	v_add_u32_e32 v3, v2, v6
	v_ashrrev_i32_e32 v3, 4, v3
	v_cmp_gt_i32_e32 vcc, s29, v2
	s_load_dwordx2 s[14:15], s[0:1], 0x8
	s_nop 0
	v_cndmask_b32_e32 v2, v7, v3, vcc
	v_ashrrev_i32_e32 v3, 31, v2
	v_lshl_add_u64 v[8:9], v[2:3], 2, s[6:7]
	v_or_b32_e32 v2, 32, v1
	v_add_u32_e32 v3, v2, v6
	v_ashrrev_i32_e32 v3, 4, v3
	v_cmp_gt_i32_e32 vcc, s29, v2
	v_or_b32_e32 v1, 48, v1
	s_nop 0
	v_cndmask_b32_e32 v2, v7, v3, vcc
	v_ashrrev_i32_e32 v3, 31, v2
	v_lshl_add_u64 v[10:11], v[2:3], 2, s[6:7]
	v_add_u32_e32 v2, v1, v6
	v_ashrrev_i32_e32 v2, 4, v2
	v_cmp_gt_i32_e32 vcc, s29, v1
	s_nop 1
	v_cndmask_b32_e32 v2, v7, v2, vcc
	v_ashrrev_i32_e32 v3, 31, v2
	v_lshl_add_u64 v[12:13], v[2:3], 2, s[6:7]
	global_load_dword v3, v[4:5], off
	global_load_dword v2, v[8:9], off
	;; [unrolled: 1-line block ×4, first 2 shown]
	s_andn2_b64 vcc, exec, s[10:11]
	s_cbranch_vccnz .LBB69_8
; %bb.6:
	s_add_u32 s8, s8, s12
	s_addc_u32 s9, s9, s13
	s_load_dword s5, s[8:9], 0x0
	s_branch .LBB69_9
.LBB69_7:
	s_mov_b64 s[12:13], 0
	s_branch .LBB69_2
.LBB69_8:
	s_mov_b32 s5, s2
.LBB69_9:
	s_load_dwordx2 s[8:9], s[0:1], 0x10
	s_load_dwordx4 s[44:47], s[0:1], 0x48
	v_lshrrev_b32_e32 v45, 6, v0
	v_bfe_u32 v54, v0, 4, 2
	v_lshl_or_b32 v1, v45, 2, v54
	v_and_b32_e32 v44, 15, v0
	v_lshlrev_b32_e32 v4, 3, v44
	v_cmp_gt_u32_e32 vcc, 14, v1
	v_cmp_gt_u32_e64 s[30:31], 8, v44
	s_mul_i32 s42, s4, 14
	s_and_b64 s[12:13], s[30:31], vcc
	v_lshlrev_b32_e32 v42, 1, v4
	s_and_saveexec_b64 s[10:11], s[12:13]
	s_cbranch_execz .LBB69_11
; %bb.10:
	s_load_dwordx2 s[12:13], s[0:1], 0x0
	s_waitcnt lgkmcnt(0)
	s_ashr_i32 s18, s44, 31
	s_mul_hi_u32 s19, s5, s44
	s_mul_i32 s18, s5, s18
	s_add_i32 s19, s19, s18
	s_mul_i32 s18, s5, s44
	s_lshl_b64 s[18:19], s[18:19], 1
	s_add_u32 s12, s12, s18
	v_add_lshl_u32 v4, v1, s42, 6
	s_addc_u32 s13, s13, s19
	v_ashrrev_i32_e32 v5, 31, v4
	v_lshl_add_u64 v[4:5], v[4:5], 1, s[12:13]
	v_mov_b32_e32 v43, 0
	v_lshl_add_u64 v[4:5], v[4:5], 0, v[42:43]
	global_load_dwordx4 v[8:11], v[4:5], off
	v_and_b32_e32 v4, 3, v0
	v_lshlrev_b32_e32 v5, 9, v44
	v_lshlrev_b32_e32 v1, 5, v1
	;; [unrolled: 1-line block ×3, first 2 shown]
	v_and_b32_e32 v5, 0x1800, v5
	v_or3_b32 v1, v5, v4, v1
	s_waitcnt vmcnt(0)
	ds_write_b128 v1, v[8:11]
.LBB69_11:
	s_or_b64 exec, exec, s[10:11]
	s_waitcnt lgkmcnt(0)
	s_mul_i32 s4, s4, s46
	s_mov_b32 s5, 0
	s_lshl_b64 s[4:5], s[4:5], 1
	s_add_u32 s10, s14, s4
	v_lshlrev_b32_e32 v1, 4, v0
	s_addc_u32 s11, s15, s5
	v_and_b32_e32 v46, 0xf0, v1
	v_mov_b32_e32 v47, 0
	v_lshl_add_u64 v[16:17], s[10:11], 0, v[46:47]
	s_waitcnt vmcnt(3)
	v_mad_i64_i32 v[4:5], s[10:11], v3, s45, 0
	s_waitcnt vmcnt(2)
	v_mad_i64_i32 v[2:3], s[10:11], v2, s45, 0
	;; [unrolled: 2-line block ×3, first 2 shown]
	v_lshl_add_u64 v[4:5], v[4:5], 1, v[16:17]
	v_and_b32_e32 v46, 0x300, v1
	v_lshl_add_u64 v[2:3], v[2:3], 1, v[16:17]
	v_lshl_add_u64 v[6:7], v[6:7], 1, v[16:17]
	s_waitcnt vmcnt(0)
	v_mad_i64_i32 v[14:15], s[10:11], v14, s45, 0
	v_lshl_add_u64 v[4:5], v[4:5], 0, v[46:47]
	v_lshl_add_u64 v[8:9], v[2:3], 0, v[46:47]
	;; [unrolled: 1-line block ×4, first 2 shown]
	s_barrier
	global_load_dwordx4 v[30:33], v[4:5], off
	global_load_dwordx4 v[10:13], v[4:5], off offset:1024
	global_load_dwordx4 v[22:25], v[8:9], off
	s_nop 0
	global_load_dwordx4 v[2:5], v[8:9], off offset:1024
	global_load_dwordx4 v[26:29], v[18:19], off
	s_nop 0
	global_load_dwordx4 v[6:9], v[18:19], off offset:1024
	v_lshl_add_u64 v[18:19], v[14:15], 0, v[46:47]
	global_load_dwordx4 v[34:37], v[18:19], off
	global_load_dwordx4 v[14:17], v[18:19], off offset:1024
	v_add_u32_e32 v18, -14, v44
	v_cmp_gt_u32_e32 vcc, 14, v44
	v_and_b32_e32 v55, 63, v0
	v_mov_b32_e32 v56, 0
	v_cndmask_b32_e32 v18, v18, v44, vcc
	v_lshlrev_b32_e32 v18, 5, v18
	v_lshl_add_u32 v18, v54, 9, v18
	ds_read_b128 v[38:41], v18
	ds_read_b128 v[18:21], v18 offset:2048
	s_and_saveexec_b64 s[10:11], vcc
	s_cbranch_execz .LBB69_13
; %bb.12:
	s_load_dwordx2 s[12:13], s[0:1], 0x40
	v_add_u32_e32 v48, s42, v44
	v_ashrrev_i32_e32 v49, 31, v48
	s_waitcnt lgkmcnt(0)
	v_lshl_add_u64 v[48:49], v[48:49], 2, s[12:13]
	global_load_dword v56, v[48:49], off
.LBB69_13:
	s_or_b64 exec, exec, s[10:11]
	v_and_or_b32 v46, v0, 48, s16
	v_ashrrev_i32_e32 v43, 4, v46
	v_mov_b32_e32 v57, s17
	v_cmp_gt_i32_e32 vcc, s29, v46
	s_waitcnt vmcnt(5) lgkmcnt(1)
	v_mfma_f32_16x16x16_f16 v[58:61], v[22:23], v[38:39], 0
	s_load_dword s10, s[0:1], 0x1c
	v_cndmask_b32_e32 v48, v57, v43, vcc
	v_ashrrev_i32_e32 v49, 31, v48
	v_or_b32_e32 v43, 64, v46
	v_lshl_add_u64 v[52:53], v[48:49], 2, s[6:7]
	v_mfma_f32_16x16x16_f16 v[48:51], v[30:31], v[38:39], 0
	v_ashrrev_i32_e32 v30, 4, v43
	v_cmp_gt_i32_e32 vcc, s29, v43
	global_load_dword v70, v[52:53], off
	s_waitcnt vmcnt(4)
	v_mfma_f32_16x16x16_f16 v[62:65], v[26:27], v[38:39], 0
	v_cndmask_b32_e32 v30, v57, v30, vcc
	v_ashrrev_i32_e32 v31, 31, v30
	v_lshl_add_u64 v[22:23], v[30:31], 2, s[6:7]
	global_load_dword v71, v[22:23], off
	v_mfma_f32_16x16x16_f16 v[22:25], v[24:25], v[40:41], v[58:61]
	v_and_b32_e32 v26, 0xc0, v0
	s_add_u32 s4, s8, s4
	v_lshlrev_b32_e32 v43, 5, v44
	v_mfma_f32_16x16x16_f16 v[30:33], v[32:33], v[40:41], v[48:51]
	s_addc_u32 s5, s9, s5
	s_mov_b32 s33, 0xff7fffff
	s_waitcnt vmcnt(3)
	v_mfma_f32_16x16x16_f16 v[66:69], v[34:35], v[38:39], 0
	v_or_b32_e32 v38, 0x80, v46
	v_add_u32_e32 v48, s16, v26
	v_or_b32_e32 v39, 0xc0, v46
	v_mfma_f32_16x16x16_f16 v[26:29], v[28:29], v[40:41], v[62:65]
	v_ashrrev_i32_e32 v49, 4, v38
	v_cmp_gt_i32_e32 vcc, s29, v38
	v_ashrrev_i32_e32 v50, 4, v39
	s_waitcnt lgkmcnt(0)
	v_mfma_f32_16x16x16_f16 v[22:25], v[2:3], v[18:19], v[22:25]
	v_cndmask_b32_e32 v38, v57, v49, vcc
	v_cmp_gt_i32_e32 vcc, s29, v39
	v_ashrrev_i32_e32 v39, 31, v38
	v_mfma_f32_16x16x16_f16 v[30:33], v[10:11], v[18:19], v[30:33]
	v_cndmask_b32_e32 v10, v57, v50, vcc
	v_ashrrev_i32_e32 v11, 31, v10
	v_lshl_or_b32 v58, v54, 2, v48
	v_mfma_f32_16x16x16_f16 v[26:29], v[6:7], v[18:19], v[26:29]
	v_lshl_add_u64 v[6:7], v[38:39], 2, s[6:7]
	v_lshl_add_u64 v[38:39], v[10:11], 2, s[6:7]
	v_or_b32_e32 v57, 1, v58
	v_mfma_f32_16x16x16_f16 v[2:5], v[4:5], v[20:21], v[22:25]
	s_nop 2
	global_load_dword v22, v[6:7], off
	global_load_dword v61, v[38:39], off
	v_subrev_u32_e32 v59, s29, v57
	v_cvt_f32_i32_e32 v60, v59
	v_mfma_f32_16x16x16_f16 v[34:37], v[36:37], v[40:41], v[66:69]
	v_pk_mul_f32 v[48:49], s[10:11], v[4:5] op_sel_hi:[0,1]
	v_lshl_or_b32 v46, v45, 9, v43
	v_lshl_add_u64 v[46:47], s[4:5], 0, v[46:47]
	s_waitcnt vmcnt(4)
	v_mfma_f32_16x16x16_f16 v[34:37], v[14:15], v[18:19], v[34:37]
	v_add_u32_e32 v14, 1, v59
	v_add_u32_e32 v15, 2, v59
	v_cvt_f32_i32_e32 v23, v14
	v_cvt_f32_i32_e32 v24, v15
	v_mfma_f32_16x16x16_f16 v[14:17], v[16:17], v[20:21], v[34:37]
	v_add_u32_e32 v18, 3, v59
	v_cvt_f32_i32_e32 v18, v18
	v_pk_mul_f32 v[50:51], s[10:11], v[2:3] op_sel_hi:[0,1]
	v_mfma_f32_16x16x16_f16 v[10:13], v[12:13], v[20:21], v[30:33]
	v_cmp_gt_i32_e64 s[34:35], s29, v57
	s_nop 1
	v_pk_mul_f32 v[36:37], s[10:11], v[14:15] op_sel_hi:[0,1]
	v_add_u32_e32 v15, 19, v59
	v_add_u32_e32 v31, 18, v59
	v_cvt_f32_i32_e32 v14, v31
	v_cvt_f32_i32_e32 v15, v15
	v_mfma_f32_16x16x16_f16 v[6:9], v[8:9], v[20:21], v[26:29]
	v_pk_mul_f32 v[34:35], s[10:11], v[16:17] op_sel_hi:[0,1]
	v_fma_f32 v48, v56, v14, v48
	v_add_u32_e32 v14, 32, v59
	v_fmac_f32_e32 v49, v56, v15
	v_cvt_f32_i32_e32 v14, v14
	v_add_u32_e32 v15, 33, v59
	v_add_u32_e32 v16, 34, v59
	v_cvt_f32_i32_e32 v15, v15
	v_cvt_f32_i32_e32 v16, v16
	v_add_u32_e32 v17, 35, v59
	v_cvt_f32_i32_e32 v17, v17
	v_pk_mul_f32 v[40:41], s[10:11], v[6:7] op_sel_hi:[0,1]
	v_pk_mul_f32 v[38:39], s[10:11], v[8:9] op_sel_hi:[0,1]
	v_fma_f32 v40, v56, v14, v40
	v_add_u32_e32 v14, 48, v59
	v_fmac_f32_e32 v41, v56, v15
	v_fma_f32 v38, v56, v16, v38
	v_cvt_f32_i32_e32 v14, v14
	v_add_u32_e32 v15, 49, v59
	v_add_u32_e32 v16, 50, v59
	v_fmac_f32_e32 v39, v56, v17
	v_cvt_f32_i32_e32 v15, v15
	v_cvt_f32_i32_e32 v16, v16
	v_add_u32_e32 v17, 51, v59
	v_cvt_f32_i32_e32 v17, v17
	v_pk_mul_f32 v[52:53], s[10:11], v[12:13] op_sel_hi:[0,1]
	v_pk_mul_f32 v[10:11], s[10:11], v[10:11] op_sel_hi:[0,1]
	s_waitcnt vmcnt(3)
	v_mad_i64_i32 v[2:3], s[4:5], v70, s45, 0
	s_waitcnt vmcnt(2)
	v_mad_i64_i32 v[12:13], s[4:5], v71, s45, 0
	v_fma_f32 v10, v56, v60, v10
	v_fmac_f32_e32 v11, v56, v23
	v_fma_f32 v36, v56, v14, v36
	v_mov_b32_e32 v14, 0xff7fffff
	v_cmp_gt_i32_e64 s[4:5], s29, v58
	v_add_u32_e32 v19, 16, v59
	v_add_u32_e32 v30, 17, v59
	v_fmac_f32_e32 v37, v56, v15
	v_fma_f32 v34, v56, v16, v34
	v_cndmask_b32_e64 v15, v14, v10, s[4:5]
	v_cndmask_b32_e64 v16, v14, v11, s[34:35]
	v_cvt_f32_i32_e32 v19, v19
	v_cvt_f32_i32_e32 v25, v30
	v_fmac_f32_e32 v35, v56, v17
	v_max3_f32 v15, v15, s33, v16
	v_or_b32_e32 v16, 2, v58
	v_or_b32_e32 v17, 3, v58
	v_fma_f32 v52, v56, v24, v52
	v_fmac_f32_e32 v53, v56, v18
	v_cmp_gt_i32_e64 s[36:37], s29, v16
	v_cmp_gt_i32_e64 s[38:39], s29, v17
	v_fma_f32 v50, v56, v19, v50
	v_cndmask_b32_e64 v16, v14, v52, s[36:37]
	v_cndmask_b32_e64 v17, v14, v53, s[38:39]
	v_max3_f32 v15, v15, v16, v17
	v_or_b32_e32 v16, 16, v58
	v_or_b32_e32 v17, 17, v58
	v_fmac_f32_e32 v51, v56, v25
	v_cmp_gt_i32_e64 s[24:25], s29, v16
	v_cmp_gt_i32_e64 s[26:27], s29, v17
	v_lshl_add_u64 v[2:3], v[2:3], 1, v[46:47]
	v_cndmask_b32_e64 v16, v14, v50, s[24:25]
	v_cndmask_b32_e64 v17, v14, v51, s[26:27]
	v_max3_f32 v15, v15, v16, v17
	v_or_b32_e32 v16, 18, v58
	v_or_b32_e32 v17, 19, v58
	v_cmp_gt_i32_e64 s[20:21], s29, v16
	v_cmp_gt_i32_e64 s[22:23], s29, v17
	v_lshl_add_u64 v[12:13], v[12:13], 1, v[46:47]
	v_cndmask_b32_e64 v16, v14, v48, s[20:21]
	v_cndmask_b32_e64 v17, v14, v49, s[22:23]
	v_max3_f32 v15, v15, v16, v17
	v_or_b32_e32 v16, 32, v58
	v_or_b32_e32 v17, 33, v58
	v_cmp_gt_i32_e64 s[16:17], s29, v16
	v_cmp_gt_i32_e64 s[18:19], s29, v17
	global_load_dwordx4 v[6:9], v[2:3], off
	s_nop 0
	global_load_dwordx4 v[2:5], v[2:3], off offset:16
	v_cndmask_b32_e64 v16, v14, v40, s[16:17]
	v_cndmask_b32_e64 v17, v14, v41, s[18:19]
	v_max3_f32 v15, v15, v16, v17
	v_or_b32_e32 v16, 34, v58
	v_or_b32_e32 v17, 35, v58
	v_cmp_gt_i32_e64 s[12:13], s29, v16
	v_cmp_gt_i32_e64 s[14:15], s29, v17
	global_load_dwordx4 v[30:33], v[12:13], off
	global_load_dwordx4 v[26:29], v[12:13], off offset:16
	v_cndmask_b32_e64 v16, v14, v38, s[12:13]
	v_cndmask_b32_e64 v17, v14, v39, s[14:15]
	v_max3_f32 v15, v15, v16, v17
	v_or_b32_e32 v16, 48, v58
	v_or_b32_e32 v17, 49, v58
	v_cmp_gt_i32_e64 s[8:9], s29, v16
	v_cmp_gt_i32_e64 s[10:11], s29, v17
	s_nop 0
	v_cndmask_b32_e64 v16, v14, v36, s[8:9]
	v_cndmask_b32_e64 v17, v14, v37, s[10:11]
	v_max3_f32 v15, v15, v16, v17
	v_or_b32_e32 v16, 50, v58
	v_or_b32_e32 v17, 51, v58
	v_cmp_gt_i32_e32 vcc, s29, v16
	v_cmp_gt_i32_e64 s[6:7], s29, v17
	s_nop 0
	v_cndmask_b32_e32 v16, v14, v34, vcc
	v_cndmask_b32_e64 v14, v14, v35, s[6:7]
	v_max3_f32 v14, v15, v16, v14
	v_mbcnt_lo_u32_b32 v15, -1, 0
	v_mbcnt_hi_u32_b32 v15, -1, v15
	v_and_b32_e32 v16, 64, v15
	v_add_u32_e32 v16, 64, v16
	v_xor_b32_e32 v17, 32, v15
	v_cmp_lt_i32_e64 s[40:41], v17, v16
	s_nop 1
	v_cndmask_b32_e64 v17, v15, v17, s[40:41]
	v_lshlrev_b32_e32 v57, 2, v17
	ds_bpermute_b32 v17, v57, v14
	s_waitcnt vmcnt(5)
	v_mad_i64_i32 v[12:13], s[40:41], v22, s45, 0
	v_lshl_add_u64 v[12:13], v[12:13], 1, v[46:47]
	global_load_dwordx4 v[22:25], v[12:13], off
	global_load_dwordx4 v[18:21], v[12:13], off offset:16
	s_waitcnt lgkmcnt(0)
	v_max_f32_e32 v17, v17, v17
	v_max_f32_e32 v14, v14, v17
	v_xor_b32_e32 v17, 16, v15
	v_cmp_lt_i32_e64 s[40:41], v17, v16
	s_nop 1
	v_cndmask_b32_e64 v15, v15, v17, s[40:41]
	v_lshlrev_b32_e32 v59, 2, v15
	ds_bpermute_b32 v15, v59, v14
	s_waitcnt vmcnt(6)
	v_mad_i64_i32 v[12:13], s[40:41], v61, s45, 0
	v_lshl_add_u64 v[12:13], v[12:13], 1, v[46:47]
	s_waitcnt lgkmcnt(0)
	v_max_f32_e32 v15, v15, v15
	v_max_f32_e32 v56, v14, v15
	v_sub_f32_e32 v10, v10, v56
	v_mul_f32_e32 v10, 0x3fb8aa3b, v10
	v_exp_f32_e32 v46, v10
	v_sub_f32_e32 v10, v11, v56
	v_mul_f32_e32 v10, 0x3fb8aa3b, v10
	v_exp_f32_e32 v47, v10
	global_load_dwordx4 v[14:17], v[12:13], off
	s_nop 0
	global_load_dwordx4 v[10:13], v[12:13], off offset:16
	v_sub_f32_e32 v52, v52, v56
	v_mul_f32_e32 v52, 0x3fb8aa3b, v52
	v_sub_f32_e32 v53, v53, v56
	v_exp_f32_e32 v52, v52
	v_mul_f32_e32 v53, 0x3fb8aa3b, v53
	v_sub_f32_e32 v50, v50, v56
	v_exp_f32_e32 v53, v53
	v_mul_f32_e32 v50, 0x3fb8aa3b, v50
	v_sub_f32_e32 v51, v51, v56
	v_cndmask_b32_e64 v46, 0, v46, s[4:5]
	v_exp_f32_e32 v50, v50
	v_mul_f32_e32 v51, 0x3fb8aa3b, v51
	v_sub_f32_e32 v48, v48, v56
	v_add_f32_e32 v58, 0, v46
	v_cndmask_b32_e64 v47, 0, v47, s[34:35]
	v_exp_f32_e32 v51, v51
	v_mul_f32_e32 v48, 0x3fb8aa3b, v48
	v_sub_f32_e32 v49, v49, v56
	v_add_f32_e32 v58, v58, v47
	;; [unrolled: 5-line block ×10, first 2 shown]
	v_cndmask_b32_e64 v38, 0, v38, s[12:13]
	v_exp_f32_e32 v34, v34
	v_mul_f32_e32 v35, 0x3fb8aa3b, v35
	v_add_f32_e32 v58, v58, v38
	v_cndmask_b32_e64 v39, 0, v39, s[14:15]
	v_exp_f32_e32 v35, v35
	v_add_f32_e32 v58, v58, v39
	v_cndmask_b32_e64 v36, 0, v36, s[8:9]
	v_add_f32_e32 v58, v58, v36
	v_cndmask_b32_e64 v37, 0, v37, s[10:11]
	v_add_f32_e32 v58, v58, v37
	v_cndmask_b32_e32 v34, 0, v34, vcc
	v_add_f32_e32 v58, v58, v34
	v_cndmask_b32_e64 v35, 0, v35, s[6:7]
	v_add_f32_e32 v58, v58, v35
	ds_bpermute_b32 v57, v57, v58
	s_load_dword s7, s[0:1], 0x98
	v_cmp_gt_u32_e32 vcc, 16, v55
	s_waitcnt lgkmcnt(0)
	s_barrier
	v_add_f32_e32 v58, v58, v57
	ds_bpermute_b32 v59, v59, v58
	v_lshlrev_b32_e32 v57, 2, v44
	s_waitcnt lgkmcnt(0)
	s_and_saveexec_b64 s[4:5], vcc
	s_cbranch_execz .LBB69_15
; %bb.14:
	v_add_f32_e32 v55, v58, v59
	v_lshl_or_b32 v58, v45, 6, v57
	ds_write2st64_b32 v58, v56, v55 offset1:1
.LBB69_15:
	s_or_b64 exec, exec, s[4:5]
	s_load_dword s6, s[0:1], 0x94
	s_waitcnt lgkmcnt(0)
	s_barrier
	ds_read2_b32 v[58:59], v57 offset1:16
	ds_read2_b32 v[60:61], v57 offset0:32 offset1:48
	ds_read2_b32 v[62:63], v57 offset0:64 offset1:80
	s_mul_i32 s7, s7, 14
	s_waitcnt lgkmcnt(2)
	v_max3_f32 v55, v58, s33, v59
	s_waitcnt lgkmcnt(1)
	v_max3_f32 v55, v55, v60, v61
	v_sub_f32_e32 v56, v58, v55
	v_mul_f32_e32 v56, 0x3fb8aa3b, v56
	v_exp_f32_e32 v64, v56
	v_sub_f32_e32 v56, v59, v55
	v_mul_f32_e32 v56, 0x3fb8aa3b, v56
	v_exp_f32_e32 v65, v56
	;; [unrolled: 3-line block ×3, first 2 shown]
	ds_read2_b32 v[58:59], v57 offset0:96 offset1:112
	v_sub_f32_e32 v56, v61, v55
	v_mul_f32_e32 v56, 0x3fb8aa3b, v56
	v_exp_f32_e32 v57, v56
	s_waitcnt lgkmcnt(1)
	v_fma_f32 v56, v64, v62, 0
	v_fmac_f32_e32 v56, v65, v63
	s_waitcnt lgkmcnt(0)
	v_fmac_f32_e32 v56, v60, v58
	v_fmac_f32_e32 v56, v57, v59
	v_add_f32_e32 v58, 0x358637bd, v56
	v_div_scale_f32 v59, s[4:5], v58, v58, 1.0
	v_rcp_f32_e32 v61, v59
	s_barrier
	v_fma_f32 v62, -v59, v61, 1.0
	v_fmac_f32_e32 v61, v62, v61
	v_div_scale_f32 v62, vcc, 1.0, v58, 1.0
	v_mul_f32_e32 v63, v62, v61
	v_fma_f32 v66, -v59, v63, v62
	v_fmac_f32_e32 v63, v66, v61
	v_fma_f32 v59, -v59, v63, v62
	v_div_fmas_f32 v59, v59, v61, v63
	v_cmp_eq_u32_e32 vcc, 1, v45
	v_div_fixup_f32 v58, v59, v58, 1.0
	s_nop 0
	v_cndmask_b32_e32 v59, v64, v65, vcc
	v_cmp_eq_u32_e32 vcc, 2, v45
	s_nop 1
	v_cndmask_b32_e32 v59, v59, v60, vcc
	v_cmp_eq_u32_e32 vcc, 3, v45
	v_lshlrev_b32_e32 v45, 11, v45
	s_nop 0
	v_cndmask_b32_e32 v57, v59, v57, vcc
	v_mul_f32_e32 v58, v57, v58
	v_pk_mul_f32 v[46:47], v[58:59], v[46:47] op_sel_hi:[0,1]
	v_cvt_f16_f32_e32 v46, v46
	v_cvt_f16_f32_e32 v47, v47
	v_pk_mul_f32 v[52:53], v[58:59], v[52:53] op_sel_hi:[0,1]
	v_cvt_f16_f32_e32 v57, v52
	v_cvt_f16_f32_e32 v53, v53
	v_pack_b32_f16 v52, v46, v47
	v_pk_mul_f32 v[46:47], v[58:59], v[48:49] op_sel_hi:[0,1]
	v_pk_mul_f32 v[48:49], v[58:59], v[50:51] op_sel_hi:[0,1]
	v_cvt_f16_f32_e32 v48, v48
	v_cvt_f16_f32_e32 v49, v49
	;; [unrolled: 1-line block ×4, first 2 shown]
	v_pack_b32_f16 v53, v57, v53
	v_lshlrev_b32_e32 v57, 3, v54
	v_pk_mul_f32 v[38:39], v[58:59], v[38:39] op_sel_hi:[0,1]
	v_pk_mul_f32 v[40:41], v[58:59], v[40:41] op_sel_hi:[0,1]
	;; [unrolled: 1-line block ×4, first 2 shown]
	v_or3_b32 v46, v45, v43, v57
	v_pack_b32_f16 v48, v48, v49
	v_pack_b32_f16 v49, v50, v47
	v_cvt_f16_f32_e32 v40, v40
	v_cvt_f16_f32_e32 v41, v41
	;; [unrolled: 1-line block ×8, first 2 shown]
	v_pack_b32_f16 v34, v40, v41
	v_pack_b32_f16 v35, v38, v39
	v_pack_b32_f16 v36, v36, v37
	v_pack_b32_f16 v37, v45, v47
	v_cmp_gt_u32_e32 vcc, 14, v0
	ds_write2st64_b64 v46, v[52:53], v[48:49] offset1:1
	ds_write2st64_b64 v46, v[34:35], v[36:37] offset0:2 offset1:3
	s_and_saveexec_b64 s[4:5], vcc
	s_cbranch_execz .LBB69_17
; %bb.16:
	s_mov_b32 s43, 0
	v_mov_b32_e32 v45, 0
	v_lshl_add_u64 v[34:35], s[42:43], 0, v[44:45]
	v_mov_b32_e32 v36, s7
	v_mad_u64_u32 v[34:35], s[12:13], s2, v36, v[34:35]
	s_mul_i32 s3, s3, s7
	v_mov_b32_e32 v44, s28
	s_load_dwordx4 s[8:11], s[0:1], 0x58
	v_add_u32_e32 v37, s3, v35
	v_mad_u64_u32 v[34:35], s[12:13], v34, s6, v[44:45]
	v_mov_b32_e32 v36, v35
	v_mad_u64_u32 v[36:37], s[12:13], v37, s6, v[36:37]
	v_mov_b32_e32 v35, v36
	v_lshlrev_b64 v[34:35], 2, v[34:35]
	s_waitcnt lgkmcnt(0)
	v_lshl_add_u64 v[36:37], s[10:11], 0, v[34:35]
	v_lshl_add_u64 v[34:35], s[8:9], 0, v[34:35]
	global_store_dword v[36:37], v55, off
	global_store_dword v[34:35], v56, off
.LBB69_17:
	s_or_b64 exec, exec, s[4:5]
	v_lshl_or_b32 v43, v54, 9, v43
	s_waitcnt lgkmcnt(0)
	s_barrier
	ds_read_b128 v[34:37], v43
	ds_read_b128 v[38:41], v43 offset:16
	s_waitcnt vmcnt(7) lgkmcnt(1)
	v_mfma_f32_16x16x16_f16 v[48:51], v[6:7], v[34:35], 0
	v_cmp_gt_u32_e32 vcc, 64, v0
	s_mov_b32 s3, 0
	s_and_b64 s[4:5], vcc, s[30:31]
	v_mfma_f32_16x16x16_f16 v[6:9], v[8:9], v[36:37], v[48:51]
	s_waitcnt vmcnt(6) lgkmcnt(0)
	v_mfma_f32_16x16x16_f16 v[6:9], v[2:3], v[38:39], v[6:9]
	v_mfma_f32_16x16x16_f16 v[2:5], v[4:5], v[40:41], v[6:9]
	s_nop 5
	ds_read_b128 v[6:9], v43 offset:2048
	ds_read_b128 v[34:37], v43 offset:2064
	s_waitcnt vmcnt(5) lgkmcnt(1)
	v_mfma_f32_16x16x16_f16 v[2:5], v[30:31], v[6:7], v[2:5]
	v_mfma_f32_16x16x16_f16 v[2:5], v[32:33], v[8:9], v[2:5]
	s_waitcnt vmcnt(4) lgkmcnt(0)
	v_mfma_f32_16x16x16_f16 v[2:5], v[26:27], v[34:35], v[2:5]
	v_mfma_f32_16x16x16_f16 v[2:5], v[28:29], v[36:37], v[2:5]
	ds_read_b128 v[6:9], v43 offset:4096
	ds_read_b128 v[26:29], v43 offset:4112
	s_waitcnt vmcnt(3) lgkmcnt(1)
	v_mfma_f32_16x16x16_f16 v[2:5], v[22:23], v[6:7], v[2:5]
	v_mfma_f32_16x16x16_f16 v[2:5], v[24:25], v[8:9], v[2:5]
	s_waitcnt vmcnt(2) lgkmcnt(0)
	v_mfma_f32_16x16x16_f16 v[2:5], v[18:19], v[26:27], v[2:5]
	v_mfma_f32_16x16x16_f16 v[2:5], v[20:21], v[28:29], v[2:5]
	ds_read_b128 v[6:9], v43 offset:6144
	ds_read_b128 v[18:21], v43 offset:6160
	v_mov_b32_e32 v43, 0
	s_waitcnt vmcnt(1) lgkmcnt(0)
	v_mfma_f32_16x16x16_f16 v[2:5], v[14:15], v[6:7], v[2:5]
	s_barrier
	v_mfma_f32_16x16x16_f16 v[2:5], v[16:17], v[8:9], v[2:5]
	s_waitcnt vmcnt(0)
	v_mfma_f32_16x16x16_f16 v[2:5], v[10:11], v[18:19], v[2:5]
	v_mfma_f32_16x16x16_f16 v[2:5], v[12:13], v[20:21], v[2:5]
	s_nop 6
	v_cvt_f16_f32_e32 v2, v2
	v_cvt_f16_f32_e32 v3, v3
	v_cvt_f16_f32_e32 v4, v4
	v_cvt_f16_f32_e32 v5, v5
	v_pack_b32_f16 v2, v2, v3
	v_pack_b32_f16 v3, v4, v5
	ds_write_b64 v46, v[2:3]
	s_waitcnt lgkmcnt(0)
	s_barrier
	s_and_saveexec_b64 s[8:9], s[4:5]
	s_cbranch_execz .LBB69_20
; %bb.18:
	s_load_dwordx2 s[4:5], s[0:1], 0x68
	s_lshl_b32 s0, s6, 6
	s_mul_i32 s1, s7, s2
	s_mul_hi_u32 s7, s1, s0
	s_mul_i32 s6, s1, s0
	v_lshlrev_b32_e32 v0, 10, v0
	s_lshl_b64 s[6:7], s[6:7], 1
	v_and_b32_e32 v0, 0x1800, v0
	v_lshlrev_b32_e32 v2, 5, v54
	v_and_b32_e32 v1, 16, v1
	s_waitcnt lgkmcnt(0)
	s_add_u32 s1, s4, s6
	v_or3_b32 v2, v0, v2, v1
	s_addc_u32 s4, s5, s7
	s_lshl_b32 s2, s28, 6
	ds_read_b128 v[4:7], v2 offset:256
	s_lshl_b64 s[2:3], s[2:3], 1
	ds_read_b128 v[8:11], v2 offset:128
	ds_read_b128 v[12:15], v2
	s_add_u32 s2, s1, s2
	s_addc_u32 s3, s4, s3
	v_add_u32_e32 v18, s42, v54
	v_lshl_add_u64 v[0:1], s[2:3], 0, v[42:43]
	v_mad_u64_u32 v[16:17], s[2:3], v18, s0, 0
	v_lshl_add_u64 v[16:17], v[16:17], 1, v[0:1]
	s_waitcnt lgkmcnt(0)
	global_store_dwordx4 v[16:17], v[12:15], off
	v_or_b32_e32 v3, 12, v54
	v_cmp_gt_u32_e32 vcc, 14, v3
	v_add_u32_e32 v12, 4, v18
	v_mad_u64_u32 v[12:13], s[2:3], v12, s0, 0
	v_lshl_add_u64 v[12:13], v[12:13], 1, v[0:1]
	global_store_dwordx4 v[12:13], v[8:11], off
	s_nop 1
	v_add_u32_e32 v8, 8, v18
	v_mad_u64_u32 v[8:9], s[2:3], v8, s0, 0
	v_lshl_add_u64 v[8:9], v[8:9], 1, v[0:1]
	global_store_dwordx4 v[8:9], v[4:7], off
	s_and_b64 exec, exec, vcc
	s_cbranch_execz .LBB69_20
; %bb.19:
	ds_read_b128 v[4:7], v2 offset:384
	v_add_u32_e32 v2, s42, v3
	v_mad_u64_u32 v[2:3], s[0:1], v2, s0, 0
	v_lshl_add_u64 v[0:1], v[2:3], 1, v[0:1]
	s_waitcnt lgkmcnt(0)
	global_store_dwordx4 v[0:1], v[4:7], off
.LBB69_20:
	s_endpgm
	.section	.rodata,"a",@progbits
	.p2align	6, 0x0
	.amdhsa_kernel _Z39paged_attention_ll4mi_QKV_mfma16_kernelIDF16_DF16_LN4vllm18Fp8KVCacheDataTypeE0EDF16_Li16ELi64ELi256ELb1ELi14EEvPKT_PKT0_S7_ifPKiS9_S9_iPKfiiiPfSC_PS2_PT2_iSB_SB_
		.amdhsa_group_segment_fixed_size 8192
		.amdhsa_private_segment_fixed_size 0
		.amdhsa_kernarg_size 400
		.amdhsa_user_sgpr_count 2
		.amdhsa_user_sgpr_dispatch_ptr 0
		.amdhsa_user_sgpr_queue_ptr 0
		.amdhsa_user_sgpr_kernarg_segment_ptr 1
		.amdhsa_user_sgpr_dispatch_id 0
		.amdhsa_user_sgpr_kernarg_preload_length 0
		.amdhsa_user_sgpr_kernarg_preload_offset 0
		.amdhsa_user_sgpr_private_segment_size 0
		.amdhsa_uses_dynamic_stack 0
		.amdhsa_enable_private_segment 0
		.amdhsa_system_sgpr_workgroup_id_x 1
		.amdhsa_system_sgpr_workgroup_id_y 1
		.amdhsa_system_sgpr_workgroup_id_z 1
		.amdhsa_system_sgpr_workgroup_info 0
		.amdhsa_system_vgpr_workitem_id 0
		.amdhsa_next_free_vgpr 72
		.amdhsa_next_free_sgpr 48
		.amdhsa_accum_offset 72
		.amdhsa_reserve_vcc 1
		.amdhsa_float_round_mode_32 0
		.amdhsa_float_round_mode_16_64 0
		.amdhsa_float_denorm_mode_32 3
		.amdhsa_float_denorm_mode_16_64 3
		.amdhsa_dx10_clamp 1
		.amdhsa_ieee_mode 1
		.amdhsa_fp16_overflow 0
		.amdhsa_tg_split 0
		.amdhsa_exception_fp_ieee_invalid_op 0
		.amdhsa_exception_fp_denorm_src 0
		.amdhsa_exception_fp_ieee_div_zero 0
		.amdhsa_exception_fp_ieee_overflow 0
		.amdhsa_exception_fp_ieee_underflow 0
		.amdhsa_exception_fp_ieee_inexact 0
		.amdhsa_exception_int_div_zero 0
	.end_amdhsa_kernel
	.section	.text._Z39paged_attention_ll4mi_QKV_mfma16_kernelIDF16_DF16_LN4vllm18Fp8KVCacheDataTypeE0EDF16_Li16ELi64ELi256ELb1ELi14EEvPKT_PKT0_S7_ifPKiS9_S9_iPKfiiiPfSC_PS2_PT2_iSB_SB_,"axG",@progbits,_Z39paged_attention_ll4mi_QKV_mfma16_kernelIDF16_DF16_LN4vllm18Fp8KVCacheDataTypeE0EDF16_Li16ELi64ELi256ELb1ELi14EEvPKT_PKT0_S7_ifPKiS9_S9_iPKfiiiPfSC_PS2_PT2_iSB_SB_,comdat
.Lfunc_end69:
	.size	_Z39paged_attention_ll4mi_QKV_mfma16_kernelIDF16_DF16_LN4vllm18Fp8KVCacheDataTypeE0EDF16_Li16ELi64ELi256ELb1ELi14EEvPKT_PKT0_S7_ifPKiS9_S9_iPKfiiiPfSC_PS2_PT2_iSB_SB_, .Lfunc_end69-_Z39paged_attention_ll4mi_QKV_mfma16_kernelIDF16_DF16_LN4vllm18Fp8KVCacheDataTypeE0EDF16_Li16ELi64ELi256ELb1ELi14EEvPKT_PKT0_S7_ifPKiS9_S9_iPKfiiiPfSC_PS2_PT2_iSB_SB_
                                        ; -- End function
	.section	.AMDGPU.csdata,"",@progbits
; Kernel info:
; codeLenInByte = 4120
; NumSgprs: 54
; NumVgprs: 72
; NumAgprs: 0
; TotalNumVgprs: 72
; ScratchSize: 0
; MemoryBound: 0
; FloatMode: 240
; IeeeMode: 1
; LDSByteSize: 8192 bytes/workgroup (compile time only)
; SGPRBlocks: 6
; VGPRBlocks: 8
; NumSGPRsForWavesPerEU: 54
; NumVGPRsForWavesPerEU: 72
; AccumOffset: 72
; Occupancy: 7
; WaveLimiterHint : 1
; COMPUTE_PGM_RSRC2:SCRATCH_EN: 0
; COMPUTE_PGM_RSRC2:USER_SGPR: 2
; COMPUTE_PGM_RSRC2:TRAP_HANDLER: 0
; COMPUTE_PGM_RSRC2:TGID_X_EN: 1
; COMPUTE_PGM_RSRC2:TGID_Y_EN: 1
; COMPUTE_PGM_RSRC2:TGID_Z_EN: 1
; COMPUTE_PGM_RSRC2:TIDIG_COMP_CNT: 0
; COMPUTE_PGM_RSRC3_GFX90A:ACCUM_OFFSET: 17
; COMPUTE_PGM_RSRC3_GFX90A:TG_SPLIT: 0
	.section	.text._Z39paged_attention_ll4mi_QKV_mfma16_kernelIDF16_DF16_LN4vllm18Fp8KVCacheDataTypeE0EDF16_Li16ELi64ELi256ELb1ELi15EEvPKT_PKT0_S7_ifPKiS9_S9_iPKfiiiPfSC_PS2_PT2_iSB_SB_,"axG",@progbits,_Z39paged_attention_ll4mi_QKV_mfma16_kernelIDF16_DF16_LN4vllm18Fp8KVCacheDataTypeE0EDF16_Li16ELi64ELi256ELb1ELi15EEvPKT_PKT0_S7_ifPKiS9_S9_iPKfiiiPfSC_PS2_PT2_iSB_SB_,comdat
	.protected	_Z39paged_attention_ll4mi_QKV_mfma16_kernelIDF16_DF16_LN4vllm18Fp8KVCacheDataTypeE0EDF16_Li16ELi64ELi256ELb1ELi15EEvPKT_PKT0_S7_ifPKiS9_S9_iPKfiiiPfSC_PS2_PT2_iSB_SB_ ; -- Begin function _Z39paged_attention_ll4mi_QKV_mfma16_kernelIDF16_DF16_LN4vllm18Fp8KVCacheDataTypeE0EDF16_Li16ELi64ELi256ELb1ELi15EEvPKT_PKT0_S7_ifPKiS9_S9_iPKfiiiPfSC_PS2_PT2_iSB_SB_
	.globl	_Z39paged_attention_ll4mi_QKV_mfma16_kernelIDF16_DF16_LN4vllm18Fp8KVCacheDataTypeE0EDF16_Li16ELi64ELi256ELb1ELi15EEvPKT_PKT0_S7_ifPKiS9_S9_iPKfiiiPfSC_PS2_PT2_iSB_SB_
	.p2align	8
	.type	_Z39paged_attention_ll4mi_QKV_mfma16_kernelIDF16_DF16_LN4vllm18Fp8KVCacheDataTypeE0EDF16_Li16ELi64ELi256ELb1ELi15EEvPKT_PKT0_S7_ifPKiS9_S9_iPKfiiiPfSC_PS2_PT2_iSB_SB_,@function
_Z39paged_attention_ll4mi_QKV_mfma16_kernelIDF16_DF16_LN4vllm18Fp8KVCacheDataTypeE0EDF16_Li16ELi64ELi256ELb1ELi15EEvPKT_PKT0_S7_ifPKiS9_S9_iPKfiiiPfSC_PS2_PT2_iSB_SB_: ; @_Z39paged_attention_ll4mi_QKV_mfma16_kernelIDF16_DF16_LN4vllm18Fp8KVCacheDataTypeE0EDF16_Li16ELi64ELi256ELb1ELi15EEvPKT_PKT0_S7_ifPKiS9_S9_iPKfiiiPfSC_PS2_PT2_iSB_SB_
; %bb.0:
	s_load_dwordx2 s[8:9], s[0:1], 0x30
	s_mov_b32 s28, s3
	s_mov_b64 s[6:7], 0
	s_waitcnt lgkmcnt(0)
	s_cmp_lg_u64 s[8:9], 0
	s_cselect_b64 s[10:11], -1, 0
	s_and_b64 vcc, exec, s[10:11]
	s_cbranch_vccz .LBB70_7
; %bb.1:
	s_add_i32 s12, s2, 1
	s_mov_b32 s13, 0
	s_lshl_b64 s[14:15], s[12:13], 2
	s_add_u32 s14, s8, s14
	s_mov_b32 s3, s13
	s_addc_u32 s15, s9, s15
	s_lshl_b64 s[12:13], s[2:3], 2
	s_add_u32 s12, s8, s12
	s_addc_u32 s13, s9, s13
	s_load_dword s5, s[14:15], 0x0
	s_load_dword s16, s[12:13], 0x0
	s_waitcnt lgkmcnt(0)
	s_sub_i32 s5, s5, s16
	s_cmp_eq_u32 s5, 1
	s_cselect_b64 s[12:13], -1, 0
	s_andn2_b64 vcc, exec, s[6:7]
	s_cbranch_vccnz .LBB70_3
.LBB70_2:
	s_mov_b32 s3, 0
	s_mov_b64 s[12:13], -1
.LBB70_3:
	s_andn2_b64 vcc, exec, s[12:13]
	s_cbranch_vccnz .LBB70_20
; %bb.4:
	s_load_dwordx2 s[6:7], s[0:1], 0x28
	s_lshl_b64 s[12:13], s[2:3], 2
	s_waitcnt lgkmcnt(0)
	s_add_u32 s6, s6, s12
	s_addc_u32 s7, s7, s13
	s_load_dword s29, s[6:7], 0x0
	s_lshl_b32 s16, s28, 8
	s_waitcnt lgkmcnt(0)
	s_cmp_ge_i32 s16, s29
	s_cbranch_scc1 .LBB70_20
; %bb.5:
	s_load_dwordx2 s[6:7], s[0:1], 0x20
	s_load_dword s5, s[0:1], 0x38
	s_add_i32 s14, s29, 15
	s_ashr_i32 s15, s14, 31
	v_and_b32_e32 v1, 0xcf, v0
	s_lshr_b32 s15, s15, 28
	v_add_u32_e32 v1, s16, v1
	s_add_i32 s14, s14, s15
	v_ashrrev_i32_e32 v2, 31, v1
	s_ashr_i32 s17, s14, 4
	v_lshrrev_b32_e32 v6, 28, v2
	s_add_i32 s17, s17, -1
	s_waitcnt lgkmcnt(0)
	s_mul_i32 s14, s2, s5
	s_mov_b32 s15, 0
	v_add_u32_e32 v2, v1, v6
	s_lshl_b64 s[14:15], s[14:15], 2
	v_ashrrev_i32_e32 v2, 4, v2
	v_mov_b32_e32 v7, s17
	v_cmp_gt_i32_e32 vcc, s29, v1
	s_add_u32 s6, s6, s14
	s_addc_u32 s7, s7, s15
	v_cndmask_b32_e32 v2, v7, v2, vcc
	v_ashrrev_i32_e32 v3, 31, v2
	v_lshl_add_u64 v[4:5], v[2:3], 2, s[6:7]
	v_or_b32_e32 v2, 16, v1
	v_add_u32_e32 v3, v2, v6
	v_ashrrev_i32_e32 v3, 4, v3
	v_cmp_gt_i32_e32 vcc, s29, v2
	s_load_dwordx2 s[14:15], s[0:1], 0x8
	s_nop 0
	v_cndmask_b32_e32 v2, v7, v3, vcc
	v_ashrrev_i32_e32 v3, 31, v2
	v_lshl_add_u64 v[8:9], v[2:3], 2, s[6:7]
	v_or_b32_e32 v2, 32, v1
	v_add_u32_e32 v3, v2, v6
	v_ashrrev_i32_e32 v3, 4, v3
	v_cmp_gt_i32_e32 vcc, s29, v2
	v_or_b32_e32 v1, 48, v1
	s_nop 0
	v_cndmask_b32_e32 v2, v7, v3, vcc
	v_ashrrev_i32_e32 v3, 31, v2
	v_lshl_add_u64 v[10:11], v[2:3], 2, s[6:7]
	v_add_u32_e32 v2, v1, v6
	v_ashrrev_i32_e32 v2, 4, v2
	v_cmp_gt_i32_e32 vcc, s29, v1
	s_nop 1
	v_cndmask_b32_e32 v2, v7, v2, vcc
	v_ashrrev_i32_e32 v3, 31, v2
	v_lshl_add_u64 v[12:13], v[2:3], 2, s[6:7]
	global_load_dword v3, v[4:5], off
	global_load_dword v2, v[8:9], off
	;; [unrolled: 1-line block ×4, first 2 shown]
	s_andn2_b64 vcc, exec, s[10:11]
	s_cbranch_vccnz .LBB70_8
; %bb.6:
	s_add_u32 s8, s8, s12
	s_addc_u32 s9, s9, s13
	s_load_dword s5, s[8:9], 0x0
	s_branch .LBB70_9
.LBB70_7:
	s_mov_b64 s[12:13], 0
	s_branch .LBB70_2
.LBB70_8:
	s_mov_b32 s5, s2
.LBB70_9:
	s_load_dwordx2 s[8:9], s[0:1], 0x10
	s_load_dwordx4 s[44:47], s[0:1], 0x48
	v_lshrrev_b32_e32 v45, 6, v0
	v_bfe_u32 v54, v0, 4, 2
	v_lshl_or_b32 v1, v45, 2, v54
	v_and_b32_e32 v44, 15, v0
	v_lshlrev_b32_e32 v4, 3, v44
	v_cmp_gt_u32_e32 vcc, 15, v1
	v_cmp_gt_u32_e64 s[30:31], 8, v44
	s_mul_i32 s42, s4, 15
	s_and_b64 s[12:13], s[30:31], vcc
	v_lshlrev_b32_e32 v42, 1, v4
	s_and_saveexec_b64 s[10:11], s[12:13]
	s_cbranch_execz .LBB70_11
; %bb.10:
	s_load_dwordx2 s[12:13], s[0:1], 0x0
	s_waitcnt lgkmcnt(0)
	s_ashr_i32 s18, s44, 31
	s_mul_hi_u32 s19, s5, s44
	s_mul_i32 s18, s5, s18
	s_add_i32 s19, s19, s18
	s_mul_i32 s18, s5, s44
	s_lshl_b64 s[18:19], s[18:19], 1
	s_add_u32 s12, s12, s18
	v_add_lshl_u32 v4, v1, s42, 6
	s_addc_u32 s13, s13, s19
	v_ashrrev_i32_e32 v5, 31, v4
	v_lshl_add_u64 v[4:5], v[4:5], 1, s[12:13]
	v_mov_b32_e32 v43, 0
	v_lshl_add_u64 v[4:5], v[4:5], 0, v[42:43]
	global_load_dwordx4 v[8:11], v[4:5], off
	v_and_b32_e32 v4, 3, v0
	v_lshlrev_b32_e32 v5, 9, v44
	v_lshlrev_b32_e32 v1, 5, v1
	;; [unrolled: 1-line block ×3, first 2 shown]
	v_and_b32_e32 v5, 0x1800, v5
	v_or3_b32 v1, v5, v4, v1
	s_waitcnt vmcnt(0)
	ds_write_b128 v1, v[8:11]
.LBB70_11:
	s_or_b64 exec, exec, s[10:11]
	s_waitcnt lgkmcnt(0)
	s_mov_b32 s5, 0
	s_mul_i32 s4, s4, s46
	s_lshl_b64 s[4:5], s[4:5], 1
	s_add_u32 s10, s14, s4
	v_lshlrev_b32_e32 v1, 4, v0
	v_mov_b32_e32 v47, 0
	s_addc_u32 s11, s15, s5
	v_and_b32_e32 v46, 0xf0, v1
	v_lshl_add_u64 v[16:17], s[10:11], 0, v[46:47]
	s_waitcnt vmcnt(3)
	v_mad_i64_i32 v[4:5], s[10:11], v3, s45, 0
	s_waitcnt vmcnt(2)
	v_mad_i64_i32 v[2:3], s[10:11], v2, s45, 0
	;; [unrolled: 2-line block ×3, first 2 shown]
	v_lshl_add_u64 v[4:5], v[4:5], 1, v[16:17]
	v_and_b32_e32 v46, 0x300, v1
	v_lshl_add_u64 v[2:3], v[2:3], 1, v[16:17]
	v_lshl_add_u64 v[6:7], v[6:7], 1, v[16:17]
	s_waitcnt vmcnt(0)
	v_mad_i64_i32 v[14:15], s[10:11], v14, s45, 0
	v_lshl_add_u64 v[4:5], v[4:5], 0, v[46:47]
	v_lshl_add_u64 v[8:9], v[2:3], 0, v[46:47]
	;; [unrolled: 1-line block ×4, first 2 shown]
	s_barrier
	global_load_dwordx4 v[30:33], v[4:5], off
	global_load_dwordx4 v[10:13], v[4:5], off offset:1024
	global_load_dwordx4 v[22:25], v[8:9], off
	s_nop 0
	global_load_dwordx4 v[2:5], v[8:9], off offset:1024
	global_load_dwordx4 v[26:29], v[18:19], off
	s_nop 0
	global_load_dwordx4 v[6:9], v[18:19], off offset:1024
	v_lshl_add_u64 v[18:19], v[14:15], 0, v[46:47]
	global_load_dwordx4 v[34:37], v[18:19], off
	global_load_dwordx4 v[14:17], v[18:19], off offset:1024
	v_cmp_ne_u32_e32 vcc, 15, v44
	v_and_b32_e32 v55, 63, v0
	v_mov_b32_e32 v56, 0
	v_cndmask_b32_e32 v18, 0, v44, vcc
	v_lshlrev_b32_e32 v18, 5, v18
	v_lshl_or_b32 v18, v54, 9, v18
	ds_read_b128 v[38:41], v18
	ds_read_b128 v[18:21], v18 offset:2048
	s_and_saveexec_b64 s[10:11], vcc
	s_cbranch_execz .LBB70_13
; %bb.12:
	s_load_dwordx2 s[12:13], s[0:1], 0x40
	v_add_u32_e32 v48, s42, v44
	v_ashrrev_i32_e32 v49, 31, v48
	s_waitcnt lgkmcnt(0)
	v_lshl_add_u64 v[48:49], v[48:49], 2, s[12:13]
	global_load_dword v56, v[48:49], off
.LBB70_13:
	s_or_b64 exec, exec, s[10:11]
	v_and_or_b32 v46, v0, 48, s16
	v_ashrrev_i32_e32 v43, 4, v46
	v_mov_b32_e32 v57, s17
	v_cmp_gt_i32_e32 vcc, s29, v46
	s_waitcnt vmcnt(5) lgkmcnt(1)
	v_mfma_f32_16x16x16_f16 v[58:61], v[22:23], v[38:39], 0
	s_load_dword s10, s[0:1], 0x1c
	v_cndmask_b32_e32 v48, v57, v43, vcc
	v_ashrrev_i32_e32 v49, 31, v48
	v_or_b32_e32 v43, 64, v46
	v_lshl_add_u64 v[52:53], v[48:49], 2, s[6:7]
	v_mfma_f32_16x16x16_f16 v[48:51], v[30:31], v[38:39], 0
	v_ashrrev_i32_e32 v30, 4, v43
	v_cmp_gt_i32_e32 vcc, s29, v43
	global_load_dword v70, v[52:53], off
	s_waitcnt vmcnt(4)
	v_mfma_f32_16x16x16_f16 v[62:65], v[26:27], v[38:39], 0
	v_cndmask_b32_e32 v30, v57, v30, vcc
	v_ashrrev_i32_e32 v31, 31, v30
	v_lshl_add_u64 v[22:23], v[30:31], 2, s[6:7]
	global_load_dword v71, v[22:23], off
	v_mfma_f32_16x16x16_f16 v[22:25], v[24:25], v[40:41], v[58:61]
	v_and_b32_e32 v26, 0xc0, v0
	s_add_u32 s4, s8, s4
	v_lshlrev_b32_e32 v43, 5, v44
	v_mfma_f32_16x16x16_f16 v[30:33], v[32:33], v[40:41], v[48:51]
	s_addc_u32 s5, s9, s5
	s_mov_b32 s33, 0xff7fffff
	s_waitcnt vmcnt(3)
	v_mfma_f32_16x16x16_f16 v[66:69], v[34:35], v[38:39], 0
	v_or_b32_e32 v38, 0x80, v46
	v_add_u32_e32 v48, s16, v26
	v_or_b32_e32 v39, 0xc0, v46
	v_mfma_f32_16x16x16_f16 v[26:29], v[28:29], v[40:41], v[62:65]
	v_ashrrev_i32_e32 v49, 4, v38
	v_cmp_gt_i32_e32 vcc, s29, v38
	v_ashrrev_i32_e32 v50, 4, v39
	s_waitcnt lgkmcnt(0)
	v_mfma_f32_16x16x16_f16 v[22:25], v[2:3], v[18:19], v[22:25]
	v_cndmask_b32_e32 v38, v57, v49, vcc
	v_cmp_gt_i32_e32 vcc, s29, v39
	v_ashrrev_i32_e32 v39, 31, v38
	v_mfma_f32_16x16x16_f16 v[30:33], v[10:11], v[18:19], v[30:33]
	v_cndmask_b32_e32 v10, v57, v50, vcc
	v_ashrrev_i32_e32 v11, 31, v10
	v_lshl_or_b32 v58, v54, 2, v48
	v_mfma_f32_16x16x16_f16 v[26:29], v[6:7], v[18:19], v[26:29]
	v_lshl_add_u64 v[6:7], v[38:39], 2, s[6:7]
	v_lshl_add_u64 v[38:39], v[10:11], 2, s[6:7]
	v_or_b32_e32 v57, 1, v58
	v_mfma_f32_16x16x16_f16 v[2:5], v[4:5], v[20:21], v[22:25]
	s_nop 2
	global_load_dword v22, v[6:7], off
	global_load_dword v61, v[38:39], off
	v_subrev_u32_e32 v59, s29, v57
	v_cvt_f32_i32_e32 v60, v59
	v_mfma_f32_16x16x16_f16 v[34:37], v[36:37], v[40:41], v[66:69]
	v_pk_mul_f32 v[48:49], s[10:11], v[4:5] op_sel_hi:[0,1]
	v_lshl_or_b32 v46, v45, 9, v43
	v_lshl_add_u64 v[46:47], s[4:5], 0, v[46:47]
	s_waitcnt vmcnt(4)
	v_mfma_f32_16x16x16_f16 v[34:37], v[14:15], v[18:19], v[34:37]
	v_add_u32_e32 v14, 1, v59
	v_add_u32_e32 v15, 2, v59
	v_cvt_f32_i32_e32 v23, v14
	v_cvt_f32_i32_e32 v24, v15
	v_mfma_f32_16x16x16_f16 v[14:17], v[16:17], v[20:21], v[34:37]
	v_add_u32_e32 v18, 3, v59
	v_cvt_f32_i32_e32 v18, v18
	v_pk_mul_f32 v[50:51], s[10:11], v[2:3] op_sel_hi:[0,1]
	v_mfma_f32_16x16x16_f16 v[10:13], v[12:13], v[20:21], v[30:33]
	v_cmp_gt_i32_e64 s[34:35], s29, v57
	s_nop 1
	v_pk_mul_f32 v[36:37], s[10:11], v[14:15] op_sel_hi:[0,1]
	v_add_u32_e32 v15, 19, v59
	v_add_u32_e32 v31, 18, v59
	v_cvt_f32_i32_e32 v14, v31
	v_cvt_f32_i32_e32 v15, v15
	v_mfma_f32_16x16x16_f16 v[6:9], v[8:9], v[20:21], v[26:29]
	v_pk_mul_f32 v[34:35], s[10:11], v[16:17] op_sel_hi:[0,1]
	v_fma_f32 v48, v56, v14, v48
	v_add_u32_e32 v14, 32, v59
	v_fmac_f32_e32 v49, v56, v15
	v_cvt_f32_i32_e32 v14, v14
	v_add_u32_e32 v15, 33, v59
	v_add_u32_e32 v16, 34, v59
	v_cvt_f32_i32_e32 v15, v15
	v_cvt_f32_i32_e32 v16, v16
	v_add_u32_e32 v17, 35, v59
	v_cvt_f32_i32_e32 v17, v17
	v_pk_mul_f32 v[40:41], s[10:11], v[6:7] op_sel_hi:[0,1]
	v_pk_mul_f32 v[38:39], s[10:11], v[8:9] op_sel_hi:[0,1]
	v_fma_f32 v40, v56, v14, v40
	v_add_u32_e32 v14, 48, v59
	v_fmac_f32_e32 v41, v56, v15
	v_fma_f32 v38, v56, v16, v38
	v_cvt_f32_i32_e32 v14, v14
	v_add_u32_e32 v15, 49, v59
	v_add_u32_e32 v16, 50, v59
	v_fmac_f32_e32 v39, v56, v17
	v_cvt_f32_i32_e32 v15, v15
	v_cvt_f32_i32_e32 v16, v16
	v_add_u32_e32 v17, 51, v59
	v_cvt_f32_i32_e32 v17, v17
	v_pk_mul_f32 v[52:53], s[10:11], v[12:13] op_sel_hi:[0,1]
	v_pk_mul_f32 v[10:11], s[10:11], v[10:11] op_sel_hi:[0,1]
	s_waitcnt vmcnt(3)
	v_mad_i64_i32 v[2:3], s[4:5], v70, s45, 0
	s_waitcnt vmcnt(2)
	v_mad_i64_i32 v[12:13], s[4:5], v71, s45, 0
	v_fma_f32 v10, v56, v60, v10
	v_fmac_f32_e32 v11, v56, v23
	v_fma_f32 v36, v56, v14, v36
	v_mov_b32_e32 v14, 0xff7fffff
	v_cmp_gt_i32_e64 s[4:5], s29, v58
	v_add_u32_e32 v19, 16, v59
	v_add_u32_e32 v30, 17, v59
	v_fmac_f32_e32 v37, v56, v15
	v_fma_f32 v34, v56, v16, v34
	v_cndmask_b32_e64 v15, v14, v10, s[4:5]
	v_cndmask_b32_e64 v16, v14, v11, s[34:35]
	v_cvt_f32_i32_e32 v19, v19
	v_cvt_f32_i32_e32 v25, v30
	v_fmac_f32_e32 v35, v56, v17
	v_max3_f32 v15, v15, s33, v16
	v_or_b32_e32 v16, 2, v58
	v_or_b32_e32 v17, 3, v58
	v_fma_f32 v52, v56, v24, v52
	v_fmac_f32_e32 v53, v56, v18
	v_cmp_gt_i32_e64 s[36:37], s29, v16
	v_cmp_gt_i32_e64 s[38:39], s29, v17
	v_fma_f32 v50, v56, v19, v50
	v_cndmask_b32_e64 v16, v14, v52, s[36:37]
	v_cndmask_b32_e64 v17, v14, v53, s[38:39]
	v_max3_f32 v15, v15, v16, v17
	v_or_b32_e32 v16, 16, v58
	v_or_b32_e32 v17, 17, v58
	v_fmac_f32_e32 v51, v56, v25
	v_cmp_gt_i32_e64 s[24:25], s29, v16
	v_cmp_gt_i32_e64 s[26:27], s29, v17
	v_lshl_add_u64 v[2:3], v[2:3], 1, v[46:47]
	v_cndmask_b32_e64 v16, v14, v50, s[24:25]
	v_cndmask_b32_e64 v17, v14, v51, s[26:27]
	v_max3_f32 v15, v15, v16, v17
	v_or_b32_e32 v16, 18, v58
	v_or_b32_e32 v17, 19, v58
	v_cmp_gt_i32_e64 s[20:21], s29, v16
	v_cmp_gt_i32_e64 s[22:23], s29, v17
	v_lshl_add_u64 v[12:13], v[12:13], 1, v[46:47]
	v_cndmask_b32_e64 v16, v14, v48, s[20:21]
	v_cndmask_b32_e64 v17, v14, v49, s[22:23]
	v_max3_f32 v15, v15, v16, v17
	v_or_b32_e32 v16, 32, v58
	v_or_b32_e32 v17, 33, v58
	v_cmp_gt_i32_e64 s[16:17], s29, v16
	v_cmp_gt_i32_e64 s[18:19], s29, v17
	global_load_dwordx4 v[6:9], v[2:3], off
	s_nop 0
	global_load_dwordx4 v[2:5], v[2:3], off offset:16
	v_cndmask_b32_e64 v16, v14, v40, s[16:17]
	v_cndmask_b32_e64 v17, v14, v41, s[18:19]
	v_max3_f32 v15, v15, v16, v17
	v_or_b32_e32 v16, 34, v58
	v_or_b32_e32 v17, 35, v58
	v_cmp_gt_i32_e64 s[12:13], s29, v16
	v_cmp_gt_i32_e64 s[14:15], s29, v17
	global_load_dwordx4 v[30:33], v[12:13], off
	global_load_dwordx4 v[26:29], v[12:13], off offset:16
	v_cndmask_b32_e64 v16, v14, v38, s[12:13]
	v_cndmask_b32_e64 v17, v14, v39, s[14:15]
	v_max3_f32 v15, v15, v16, v17
	v_or_b32_e32 v16, 48, v58
	v_or_b32_e32 v17, 49, v58
	v_cmp_gt_i32_e64 s[8:9], s29, v16
	v_cmp_gt_i32_e64 s[10:11], s29, v17
	s_nop 0
	v_cndmask_b32_e64 v16, v14, v36, s[8:9]
	v_cndmask_b32_e64 v17, v14, v37, s[10:11]
	v_max3_f32 v15, v15, v16, v17
	v_or_b32_e32 v16, 50, v58
	v_or_b32_e32 v17, 51, v58
	v_cmp_gt_i32_e32 vcc, s29, v16
	v_cmp_gt_i32_e64 s[6:7], s29, v17
	s_nop 0
	v_cndmask_b32_e32 v16, v14, v34, vcc
	v_cndmask_b32_e64 v14, v14, v35, s[6:7]
	v_max3_f32 v14, v15, v16, v14
	v_mbcnt_lo_u32_b32 v15, -1, 0
	v_mbcnt_hi_u32_b32 v15, -1, v15
	v_and_b32_e32 v16, 64, v15
	v_add_u32_e32 v16, 64, v16
	v_xor_b32_e32 v17, 32, v15
	v_cmp_lt_i32_e64 s[40:41], v17, v16
	s_nop 1
	v_cndmask_b32_e64 v17, v15, v17, s[40:41]
	v_lshlrev_b32_e32 v57, 2, v17
	ds_bpermute_b32 v17, v57, v14
	s_waitcnt vmcnt(5)
	v_mad_i64_i32 v[12:13], s[40:41], v22, s45, 0
	v_lshl_add_u64 v[12:13], v[12:13], 1, v[46:47]
	global_load_dwordx4 v[22:25], v[12:13], off
	global_load_dwordx4 v[18:21], v[12:13], off offset:16
	s_waitcnt lgkmcnt(0)
	v_max_f32_e32 v17, v17, v17
	v_max_f32_e32 v14, v14, v17
	v_xor_b32_e32 v17, 16, v15
	v_cmp_lt_i32_e64 s[40:41], v17, v16
	s_nop 1
	v_cndmask_b32_e64 v15, v15, v17, s[40:41]
	v_lshlrev_b32_e32 v59, 2, v15
	ds_bpermute_b32 v15, v59, v14
	s_waitcnt vmcnt(6)
	v_mad_i64_i32 v[12:13], s[40:41], v61, s45, 0
	v_lshl_add_u64 v[12:13], v[12:13], 1, v[46:47]
	s_waitcnt lgkmcnt(0)
	v_max_f32_e32 v15, v15, v15
	v_max_f32_e32 v56, v14, v15
	v_sub_f32_e32 v10, v10, v56
	v_mul_f32_e32 v10, 0x3fb8aa3b, v10
	v_exp_f32_e32 v46, v10
	v_sub_f32_e32 v10, v11, v56
	v_mul_f32_e32 v10, 0x3fb8aa3b, v10
	v_exp_f32_e32 v47, v10
	global_load_dwordx4 v[14:17], v[12:13], off
	s_nop 0
	global_load_dwordx4 v[10:13], v[12:13], off offset:16
	v_sub_f32_e32 v52, v52, v56
	v_mul_f32_e32 v52, 0x3fb8aa3b, v52
	v_sub_f32_e32 v53, v53, v56
	v_exp_f32_e32 v52, v52
	v_mul_f32_e32 v53, 0x3fb8aa3b, v53
	v_sub_f32_e32 v50, v50, v56
	v_exp_f32_e32 v53, v53
	v_mul_f32_e32 v50, 0x3fb8aa3b, v50
	v_sub_f32_e32 v51, v51, v56
	v_cndmask_b32_e64 v46, 0, v46, s[4:5]
	v_exp_f32_e32 v50, v50
	v_mul_f32_e32 v51, 0x3fb8aa3b, v51
	v_sub_f32_e32 v48, v48, v56
	v_add_f32_e32 v58, 0, v46
	v_cndmask_b32_e64 v47, 0, v47, s[34:35]
	v_exp_f32_e32 v51, v51
	v_mul_f32_e32 v48, 0x3fb8aa3b, v48
	v_sub_f32_e32 v49, v49, v56
	v_add_f32_e32 v58, v58, v47
	;; [unrolled: 5-line block ×10, first 2 shown]
	v_cndmask_b32_e64 v38, 0, v38, s[12:13]
	v_exp_f32_e32 v34, v34
	v_mul_f32_e32 v35, 0x3fb8aa3b, v35
	v_add_f32_e32 v58, v58, v38
	v_cndmask_b32_e64 v39, 0, v39, s[14:15]
	v_exp_f32_e32 v35, v35
	v_add_f32_e32 v58, v58, v39
	v_cndmask_b32_e64 v36, 0, v36, s[8:9]
	v_add_f32_e32 v58, v58, v36
	v_cndmask_b32_e64 v37, 0, v37, s[10:11]
	v_add_f32_e32 v58, v58, v37
	v_cndmask_b32_e32 v34, 0, v34, vcc
	v_add_f32_e32 v58, v58, v34
	v_cndmask_b32_e64 v35, 0, v35, s[6:7]
	v_add_f32_e32 v58, v58, v35
	ds_bpermute_b32 v57, v57, v58
	s_load_dword s7, s[0:1], 0x98
	v_cmp_gt_u32_e32 vcc, 16, v55
	s_waitcnt lgkmcnt(0)
	s_barrier
	v_add_f32_e32 v58, v58, v57
	ds_bpermute_b32 v59, v59, v58
	v_lshlrev_b32_e32 v57, 2, v44
	s_waitcnt lgkmcnt(0)
	s_and_saveexec_b64 s[4:5], vcc
	s_cbranch_execz .LBB70_15
; %bb.14:
	v_add_f32_e32 v55, v58, v59
	v_lshl_or_b32 v58, v45, 6, v57
	ds_write2st64_b32 v58, v56, v55 offset1:1
.LBB70_15:
	s_or_b64 exec, exec, s[4:5]
	s_load_dword s6, s[0:1], 0x94
	s_waitcnt lgkmcnt(0)
	s_barrier
	ds_read2_b32 v[58:59], v57 offset1:16
	ds_read2_b32 v[60:61], v57 offset0:32 offset1:48
	ds_read2_b32 v[62:63], v57 offset0:64 offset1:80
	s_mul_i32 s7, s7, 15
	s_waitcnt lgkmcnt(2)
	v_max3_f32 v55, v58, s33, v59
	s_waitcnt lgkmcnt(1)
	v_max3_f32 v55, v55, v60, v61
	v_sub_f32_e32 v56, v58, v55
	v_mul_f32_e32 v56, 0x3fb8aa3b, v56
	v_exp_f32_e32 v64, v56
	v_sub_f32_e32 v56, v59, v55
	v_mul_f32_e32 v56, 0x3fb8aa3b, v56
	v_exp_f32_e32 v65, v56
	;; [unrolled: 3-line block ×3, first 2 shown]
	ds_read2_b32 v[58:59], v57 offset0:96 offset1:112
	v_sub_f32_e32 v56, v61, v55
	v_mul_f32_e32 v56, 0x3fb8aa3b, v56
	v_exp_f32_e32 v57, v56
	s_waitcnt lgkmcnt(1)
	v_fma_f32 v56, v64, v62, 0
	v_fmac_f32_e32 v56, v65, v63
	s_waitcnt lgkmcnt(0)
	v_fmac_f32_e32 v56, v60, v58
	v_fmac_f32_e32 v56, v57, v59
	v_add_f32_e32 v58, 0x358637bd, v56
	v_div_scale_f32 v59, s[4:5], v58, v58, 1.0
	v_rcp_f32_e32 v61, v59
	s_barrier
	v_fma_f32 v62, -v59, v61, 1.0
	v_fmac_f32_e32 v61, v62, v61
	v_div_scale_f32 v62, vcc, 1.0, v58, 1.0
	v_mul_f32_e32 v63, v62, v61
	v_fma_f32 v66, -v59, v63, v62
	v_fmac_f32_e32 v63, v66, v61
	v_fma_f32 v59, -v59, v63, v62
	v_div_fmas_f32 v59, v59, v61, v63
	v_cmp_eq_u32_e32 vcc, 1, v45
	v_div_fixup_f32 v58, v59, v58, 1.0
	s_nop 0
	v_cndmask_b32_e32 v59, v64, v65, vcc
	v_cmp_eq_u32_e32 vcc, 2, v45
	s_nop 1
	v_cndmask_b32_e32 v59, v59, v60, vcc
	v_cmp_eq_u32_e32 vcc, 3, v45
	v_lshlrev_b32_e32 v45, 11, v45
	s_nop 0
	v_cndmask_b32_e32 v57, v59, v57, vcc
	v_mul_f32_e32 v58, v57, v58
	v_pk_mul_f32 v[46:47], v[58:59], v[46:47] op_sel_hi:[0,1]
	v_cvt_f16_f32_e32 v46, v46
	v_cvt_f16_f32_e32 v47, v47
	v_pk_mul_f32 v[52:53], v[58:59], v[52:53] op_sel_hi:[0,1]
	v_cvt_f16_f32_e32 v57, v52
	v_cvt_f16_f32_e32 v53, v53
	v_pack_b32_f16 v52, v46, v47
	v_pk_mul_f32 v[46:47], v[58:59], v[48:49] op_sel_hi:[0,1]
	v_pk_mul_f32 v[48:49], v[58:59], v[50:51] op_sel_hi:[0,1]
	v_cvt_f16_f32_e32 v48, v48
	v_cvt_f16_f32_e32 v49, v49
	;; [unrolled: 1-line block ×4, first 2 shown]
	v_pack_b32_f16 v53, v57, v53
	v_lshlrev_b32_e32 v57, 3, v54
	v_pk_mul_f32 v[38:39], v[58:59], v[38:39] op_sel_hi:[0,1]
	v_pk_mul_f32 v[40:41], v[58:59], v[40:41] op_sel_hi:[0,1]
	;; [unrolled: 1-line block ×4, first 2 shown]
	v_or3_b32 v46, v45, v43, v57
	v_pack_b32_f16 v48, v48, v49
	v_pack_b32_f16 v49, v50, v47
	v_cvt_f16_f32_e32 v40, v40
	v_cvt_f16_f32_e32 v41, v41
	v_cvt_f16_f32_e32 v38, v38
	v_cvt_f16_f32_e32 v39, v39
	v_cvt_f16_f32_e32 v36, v36
	v_cvt_f16_f32_e32 v37, v37
	v_cvt_f16_f32_e32 v45, v34
	v_cvt_f16_f32_e32 v47, v35
	v_pack_b32_f16 v34, v40, v41
	v_pack_b32_f16 v35, v38, v39
	v_pack_b32_f16 v36, v36, v37
	v_pack_b32_f16 v37, v45, v47
	v_cmp_gt_u32_e32 vcc, 15, v0
	ds_write2st64_b64 v46, v[52:53], v[48:49] offset1:1
	ds_write2st64_b64 v46, v[34:35], v[36:37] offset0:2 offset1:3
	s_and_saveexec_b64 s[4:5], vcc
	s_cbranch_execz .LBB70_17
; %bb.16:
	s_mov_b32 s43, 0
	v_mov_b32_e32 v45, 0
	v_lshl_add_u64 v[34:35], s[42:43], 0, v[44:45]
	v_mov_b32_e32 v36, s7
	v_mad_u64_u32 v[34:35], s[12:13], s2, v36, v[34:35]
	s_mul_i32 s3, s3, s7
	v_mov_b32_e32 v44, s28
	s_load_dwordx4 s[8:11], s[0:1], 0x58
	v_add_u32_e32 v37, s3, v35
	v_mad_u64_u32 v[34:35], s[12:13], v34, s6, v[44:45]
	v_mov_b32_e32 v36, v35
	v_mad_u64_u32 v[36:37], s[12:13], v37, s6, v[36:37]
	v_mov_b32_e32 v35, v36
	v_lshlrev_b64 v[34:35], 2, v[34:35]
	s_waitcnt lgkmcnt(0)
	v_lshl_add_u64 v[36:37], s[10:11], 0, v[34:35]
	v_lshl_add_u64 v[34:35], s[8:9], 0, v[34:35]
	global_store_dword v[36:37], v55, off
	global_store_dword v[34:35], v56, off
.LBB70_17:
	s_or_b64 exec, exec, s[4:5]
	v_lshl_or_b32 v43, v54, 9, v43
	s_waitcnt lgkmcnt(0)
	s_barrier
	ds_read_b128 v[34:37], v43
	ds_read_b128 v[38:41], v43 offset:16
	s_waitcnt vmcnt(7) lgkmcnt(1)
	v_mfma_f32_16x16x16_f16 v[48:51], v[6:7], v[34:35], 0
	v_cmp_gt_u32_e32 vcc, 64, v0
	s_mov_b32 s3, 0
	s_and_b64 s[4:5], vcc, s[30:31]
	v_mfma_f32_16x16x16_f16 v[6:9], v[8:9], v[36:37], v[48:51]
	s_waitcnt vmcnt(6) lgkmcnt(0)
	v_mfma_f32_16x16x16_f16 v[6:9], v[2:3], v[38:39], v[6:9]
	v_mfma_f32_16x16x16_f16 v[2:5], v[4:5], v[40:41], v[6:9]
	s_nop 5
	ds_read_b128 v[6:9], v43 offset:2048
	ds_read_b128 v[34:37], v43 offset:2064
	s_waitcnt vmcnt(5) lgkmcnt(1)
	v_mfma_f32_16x16x16_f16 v[2:5], v[30:31], v[6:7], v[2:5]
	v_mfma_f32_16x16x16_f16 v[2:5], v[32:33], v[8:9], v[2:5]
	s_waitcnt vmcnt(4) lgkmcnt(0)
	v_mfma_f32_16x16x16_f16 v[2:5], v[26:27], v[34:35], v[2:5]
	v_mfma_f32_16x16x16_f16 v[2:5], v[28:29], v[36:37], v[2:5]
	ds_read_b128 v[6:9], v43 offset:4096
	ds_read_b128 v[26:29], v43 offset:4112
	s_waitcnt vmcnt(3) lgkmcnt(1)
	v_mfma_f32_16x16x16_f16 v[2:5], v[22:23], v[6:7], v[2:5]
	v_mfma_f32_16x16x16_f16 v[2:5], v[24:25], v[8:9], v[2:5]
	s_waitcnt vmcnt(2) lgkmcnt(0)
	v_mfma_f32_16x16x16_f16 v[2:5], v[18:19], v[26:27], v[2:5]
	v_mfma_f32_16x16x16_f16 v[2:5], v[20:21], v[28:29], v[2:5]
	ds_read_b128 v[6:9], v43 offset:6144
	ds_read_b128 v[18:21], v43 offset:6160
	v_mov_b32_e32 v43, 0
	s_waitcnt vmcnt(1) lgkmcnt(0)
	v_mfma_f32_16x16x16_f16 v[2:5], v[14:15], v[6:7], v[2:5]
	s_barrier
	v_mfma_f32_16x16x16_f16 v[2:5], v[16:17], v[8:9], v[2:5]
	s_waitcnt vmcnt(0)
	v_mfma_f32_16x16x16_f16 v[2:5], v[10:11], v[18:19], v[2:5]
	v_mfma_f32_16x16x16_f16 v[2:5], v[12:13], v[20:21], v[2:5]
	s_nop 6
	v_cvt_f16_f32_e32 v2, v2
	v_cvt_f16_f32_e32 v3, v3
	;; [unrolled: 1-line block ×4, first 2 shown]
	v_pack_b32_f16 v2, v2, v3
	v_pack_b32_f16 v3, v4, v5
	ds_write_b64 v46, v[2:3]
	s_waitcnt lgkmcnt(0)
	s_barrier
	s_and_saveexec_b64 s[8:9], s[4:5]
	s_cbranch_execz .LBB70_20
; %bb.18:
	s_load_dwordx2 s[4:5], s[0:1], 0x68
	s_lshl_b32 s0, s6, 6
	s_mul_i32 s1, s7, s2
	s_mul_hi_u32 s7, s1, s0
	s_mul_i32 s6, s1, s0
	v_lshlrev_b32_e32 v0, 10, v0
	s_lshl_b64 s[6:7], s[6:7], 1
	v_and_b32_e32 v0, 0x1800, v0
	v_lshlrev_b32_e32 v2, 5, v54
	v_and_b32_e32 v1, 16, v1
	s_waitcnt lgkmcnt(0)
	s_add_u32 s1, s4, s6
	v_or3_b32 v2, v0, v2, v1
	s_addc_u32 s4, s5, s7
	s_lshl_b32 s2, s28, 6
	ds_read_b128 v[4:7], v2 offset:256
	s_lshl_b64 s[2:3], s[2:3], 1
	ds_read_b128 v[8:11], v2 offset:128
	ds_read_b128 v[12:15], v2
	s_add_u32 s2, s1, s2
	s_addc_u32 s3, s4, s3
	v_add_u32_e32 v3, s42, v54
	v_lshl_add_u64 v[0:1], s[2:3], 0, v[42:43]
	v_mad_u64_u32 v[16:17], s[2:3], v3, s0, 0
	v_lshl_add_u64 v[16:17], v[16:17], 1, v[0:1]
	s_waitcnt lgkmcnt(0)
	global_store_dwordx4 v[16:17], v[12:15], off
	v_cmp_ne_u32_e32 vcc, 3, v54
	s_nop 0
	v_add_u32_e32 v12, 4, v3
	v_mad_u64_u32 v[12:13], s[2:3], v12, s0, 0
	v_lshl_add_u64 v[12:13], v[12:13], 1, v[0:1]
	v_add_u32_e32 v3, 8, v3
	global_store_dwordx4 v[12:13], v[8:11], off
	s_nop 1
	v_mad_u64_u32 v[8:9], s[2:3], v3, s0, 0
	v_lshl_add_u64 v[8:9], v[8:9], 1, v[0:1]
	global_store_dwordx4 v[8:9], v[4:7], off
	s_and_b64 exec, exec, vcc
	s_cbranch_execz .LBB70_20
; %bb.19:
	ds_read_b128 v[2:5], v2 offset:384
	v_add3_u32 v6, s42, v54, 12
	v_mad_u64_u32 v[6:7], s[0:1], v6, s0, 0
	v_lshl_add_u64 v[0:1], v[6:7], 1, v[0:1]
	s_waitcnt lgkmcnt(0)
	global_store_dwordx4 v[0:1], v[2:5], off
.LBB70_20:
	s_endpgm
	.section	.rodata,"a",@progbits
	.p2align	6, 0x0
	.amdhsa_kernel _Z39paged_attention_ll4mi_QKV_mfma16_kernelIDF16_DF16_LN4vllm18Fp8KVCacheDataTypeE0EDF16_Li16ELi64ELi256ELb1ELi15EEvPKT_PKT0_S7_ifPKiS9_S9_iPKfiiiPfSC_PS2_PT2_iSB_SB_
		.amdhsa_group_segment_fixed_size 8192
		.amdhsa_private_segment_fixed_size 0
		.amdhsa_kernarg_size 400
		.amdhsa_user_sgpr_count 2
		.amdhsa_user_sgpr_dispatch_ptr 0
		.amdhsa_user_sgpr_queue_ptr 0
		.amdhsa_user_sgpr_kernarg_segment_ptr 1
		.amdhsa_user_sgpr_dispatch_id 0
		.amdhsa_user_sgpr_kernarg_preload_length 0
		.amdhsa_user_sgpr_kernarg_preload_offset 0
		.amdhsa_user_sgpr_private_segment_size 0
		.amdhsa_uses_dynamic_stack 0
		.amdhsa_enable_private_segment 0
		.amdhsa_system_sgpr_workgroup_id_x 1
		.amdhsa_system_sgpr_workgroup_id_y 1
		.amdhsa_system_sgpr_workgroup_id_z 1
		.amdhsa_system_sgpr_workgroup_info 0
		.amdhsa_system_vgpr_workitem_id 0
		.amdhsa_next_free_vgpr 72
		.amdhsa_next_free_sgpr 48
		.amdhsa_accum_offset 72
		.amdhsa_reserve_vcc 1
		.amdhsa_float_round_mode_32 0
		.amdhsa_float_round_mode_16_64 0
		.amdhsa_float_denorm_mode_32 3
		.amdhsa_float_denorm_mode_16_64 3
		.amdhsa_dx10_clamp 1
		.amdhsa_ieee_mode 1
		.amdhsa_fp16_overflow 0
		.amdhsa_tg_split 0
		.amdhsa_exception_fp_ieee_invalid_op 0
		.amdhsa_exception_fp_denorm_src 0
		.amdhsa_exception_fp_ieee_div_zero 0
		.amdhsa_exception_fp_ieee_overflow 0
		.amdhsa_exception_fp_ieee_underflow 0
		.amdhsa_exception_fp_ieee_inexact 0
		.amdhsa_exception_int_div_zero 0
	.end_amdhsa_kernel
	.section	.text._Z39paged_attention_ll4mi_QKV_mfma16_kernelIDF16_DF16_LN4vllm18Fp8KVCacheDataTypeE0EDF16_Li16ELi64ELi256ELb1ELi15EEvPKT_PKT0_S7_ifPKiS9_S9_iPKfiiiPfSC_PS2_PT2_iSB_SB_,"axG",@progbits,_Z39paged_attention_ll4mi_QKV_mfma16_kernelIDF16_DF16_LN4vllm18Fp8KVCacheDataTypeE0EDF16_Li16ELi64ELi256ELb1ELi15EEvPKT_PKT0_S7_ifPKiS9_S9_iPKfiiiPfSC_PS2_PT2_iSB_SB_,comdat
.Lfunc_end70:
	.size	_Z39paged_attention_ll4mi_QKV_mfma16_kernelIDF16_DF16_LN4vllm18Fp8KVCacheDataTypeE0EDF16_Li16ELi64ELi256ELb1ELi15EEvPKT_PKT0_S7_ifPKiS9_S9_iPKfiiiPfSC_PS2_PT2_iSB_SB_, .Lfunc_end70-_Z39paged_attention_ll4mi_QKV_mfma16_kernelIDF16_DF16_LN4vllm18Fp8KVCacheDataTypeE0EDF16_Li16ELi64ELi256ELb1ELi15EEvPKT_PKT0_S7_ifPKiS9_S9_iPKfiiiPfSC_PS2_PT2_iSB_SB_
                                        ; -- End function
	.section	.AMDGPU.csdata,"",@progbits
; Kernel info:
; codeLenInByte = 4120
; NumSgprs: 54
; NumVgprs: 72
; NumAgprs: 0
; TotalNumVgprs: 72
; ScratchSize: 0
; MemoryBound: 0
; FloatMode: 240
; IeeeMode: 1
; LDSByteSize: 8192 bytes/workgroup (compile time only)
; SGPRBlocks: 6
; VGPRBlocks: 8
; NumSGPRsForWavesPerEU: 54
; NumVGPRsForWavesPerEU: 72
; AccumOffset: 72
; Occupancy: 7
; WaveLimiterHint : 1
; COMPUTE_PGM_RSRC2:SCRATCH_EN: 0
; COMPUTE_PGM_RSRC2:USER_SGPR: 2
; COMPUTE_PGM_RSRC2:TRAP_HANDLER: 0
; COMPUTE_PGM_RSRC2:TGID_X_EN: 1
; COMPUTE_PGM_RSRC2:TGID_Y_EN: 1
; COMPUTE_PGM_RSRC2:TGID_Z_EN: 1
; COMPUTE_PGM_RSRC2:TIDIG_COMP_CNT: 0
; COMPUTE_PGM_RSRC3_GFX90A:ACCUM_OFFSET: 17
; COMPUTE_PGM_RSRC3_GFX90A:TG_SPLIT: 0
	.section	.text._Z39paged_attention_ll4mi_QKV_mfma16_kernelIDF16_DF16_LN4vllm18Fp8KVCacheDataTypeE0EDF16_Li16ELi64ELi256ELb1ELi16EEvPKT_PKT0_S7_ifPKiS9_S9_iPKfiiiPfSC_PS2_PT2_iSB_SB_,"axG",@progbits,_Z39paged_attention_ll4mi_QKV_mfma16_kernelIDF16_DF16_LN4vllm18Fp8KVCacheDataTypeE0EDF16_Li16ELi64ELi256ELb1ELi16EEvPKT_PKT0_S7_ifPKiS9_S9_iPKfiiiPfSC_PS2_PT2_iSB_SB_,comdat
	.protected	_Z39paged_attention_ll4mi_QKV_mfma16_kernelIDF16_DF16_LN4vllm18Fp8KVCacheDataTypeE0EDF16_Li16ELi64ELi256ELb1ELi16EEvPKT_PKT0_S7_ifPKiS9_S9_iPKfiiiPfSC_PS2_PT2_iSB_SB_ ; -- Begin function _Z39paged_attention_ll4mi_QKV_mfma16_kernelIDF16_DF16_LN4vllm18Fp8KVCacheDataTypeE0EDF16_Li16ELi64ELi256ELb1ELi16EEvPKT_PKT0_S7_ifPKiS9_S9_iPKfiiiPfSC_PS2_PT2_iSB_SB_
	.globl	_Z39paged_attention_ll4mi_QKV_mfma16_kernelIDF16_DF16_LN4vllm18Fp8KVCacheDataTypeE0EDF16_Li16ELi64ELi256ELb1ELi16EEvPKT_PKT0_S7_ifPKiS9_S9_iPKfiiiPfSC_PS2_PT2_iSB_SB_
	.p2align	8
	.type	_Z39paged_attention_ll4mi_QKV_mfma16_kernelIDF16_DF16_LN4vllm18Fp8KVCacheDataTypeE0EDF16_Li16ELi64ELi256ELb1ELi16EEvPKT_PKT0_S7_ifPKiS9_S9_iPKfiiiPfSC_PS2_PT2_iSB_SB_,@function
_Z39paged_attention_ll4mi_QKV_mfma16_kernelIDF16_DF16_LN4vllm18Fp8KVCacheDataTypeE0EDF16_Li16ELi64ELi256ELb1ELi16EEvPKT_PKT0_S7_ifPKiS9_S9_iPKfiiiPfSC_PS2_PT2_iSB_SB_: ; @_Z39paged_attention_ll4mi_QKV_mfma16_kernelIDF16_DF16_LN4vllm18Fp8KVCacheDataTypeE0EDF16_Li16ELi64ELi256ELb1ELi16EEvPKT_PKT0_S7_ifPKiS9_S9_iPKfiiiPfSC_PS2_PT2_iSB_SB_
; %bb.0:
	s_load_dwordx2 s[14:15], s[0:1], 0x30
	s_mov_b32 s28, s3
	s_mov_b64 s[6:7], 0
	s_waitcnt lgkmcnt(0)
	s_cmp_lg_u64 s[14:15], 0
	s_cselect_b64 s[16:17], -1, 0
	s_and_b64 vcc, exec, s[16:17]
	s_cbranch_vccz .LBB71_7
; %bb.1:
	s_add_i32 s8, s2, 1
	s_mov_b32 s9, 0
	s_lshl_b64 s[10:11], s[8:9], 2
	s_add_u32 s10, s14, s10
	s_mov_b32 s3, s9
	s_addc_u32 s11, s15, s11
	s_lshl_b64 s[8:9], s[2:3], 2
	s_add_u32 s8, s14, s8
	s_addc_u32 s9, s15, s9
	s_load_dword s5, s[10:11], 0x0
	s_load_dword s12, s[8:9], 0x0
	s_waitcnt lgkmcnt(0)
	s_sub_i32 s5, s5, s12
	s_cmp_eq_u32 s5, 1
	s_cselect_b64 s[8:9], -1, 0
	s_andn2_b64 vcc, exec, s[6:7]
	s_cbranch_vccnz .LBB71_3
.LBB71_2:
	s_mov_b32 s3, 0
	s_mov_b64 s[8:9], -1
.LBB71_3:
	s_andn2_b64 vcc, exec, s[8:9]
	s_cbranch_vccnz .LBB71_17
; %bb.4:
	s_load_dwordx2 s[6:7], s[0:1], 0x28
	s_lshl_b64 s[18:19], s[2:3], 2
	s_waitcnt lgkmcnt(0)
	s_add_u32 s6, s6, s18
	s_addc_u32 s7, s7, s19
	s_load_dword s40, s[6:7], 0x0
	s_lshl_b32 s20, s28, 8
	s_waitcnt lgkmcnt(0)
	s_cmp_ge_i32 s20, s40
	s_cbranch_scc1 .LBB71_17
; %bb.5:
	s_load_dwordx2 s[6:7], s[0:1], 0x20
	s_load_dword s5, s[0:1], 0x38
	s_add_i32 s8, s40, 15
	s_ashr_i32 s9, s8, 31
	v_and_b32_e32 v1, 0xcf, v0
	s_lshr_b32 s9, s9, 28
	v_add_u32_e32 v1, s20, v1
	s_add_i32 s8, s8, s9
	v_ashrrev_i32_e32 v2, 31, v1
	s_ashr_i32 s21, s8, 4
	v_lshrrev_b32_e32 v10, 28, v2
	s_add_i32 s21, s21, -1
	s_waitcnt lgkmcnt(0)
	s_mul_i32 s8, s2, s5
	s_mov_b32 s9, 0
	v_add_u32_e32 v2, v1, v10
	s_lshl_b64 s[8:9], s[8:9], 2
	v_ashrrev_i32_e32 v2, 4, v2
	v_mov_b32_e32 v11, s21
	v_cmp_gt_i32_e32 vcc, s40, v1
	s_add_u32 s6, s6, s8
	s_addc_u32 s7, s7, s9
	v_cndmask_b32_e32 v2, v11, v2, vcc
	v_ashrrev_i32_e32 v3, 31, v2
	v_lshl_add_u64 v[4:5], v[2:3], 2, s[6:7]
	v_or_b32_e32 v2, 16, v1
	v_add_u32_e32 v3, v2, v10
	v_ashrrev_i32_e32 v3, 4, v3
	v_cmp_gt_i32_e32 vcc, s40, v2
	s_nop 1
	v_cndmask_b32_e32 v2, v11, v3, vcc
	v_ashrrev_i32_e32 v3, 31, v2
	v_lshl_add_u64 v[6:7], v[2:3], 2, s[6:7]
	v_or_b32_e32 v2, 32, v1
	v_add_u32_e32 v3, v2, v10
	v_ashrrev_i32_e32 v3, 4, v3
	v_cmp_gt_i32_e32 vcc, s40, v2
	v_or_b32_e32 v1, 48, v1
	s_nop 0
	v_cndmask_b32_e32 v2, v11, v3, vcc
	v_ashrrev_i32_e32 v3, 31, v2
	v_lshl_add_u64 v[8:9], v[2:3], 2, s[6:7]
	v_add_u32_e32 v2, v1, v10
	v_ashrrev_i32_e32 v2, 4, v2
	v_cmp_gt_i32_e32 vcc, s40, v1
	s_nop 1
	v_cndmask_b32_e32 v2, v11, v2, vcc
	v_ashrrev_i32_e32 v3, 31, v2
	v_lshl_add_u64 v[12:13], v[2:3], 2, s[6:7]
	global_load_dword v3, v[4:5], off
	global_load_dword v2, v[6:7], off
	;; [unrolled: 1-line block ×4, first 2 shown]
	s_load_dwordx2 s[12:13], s[0:1], 0x40
	s_load_dwordx4 s[8:11], s[0:1], 0x8
	s_andn2_b64 vcc, exec, s[16:17]
	s_cbranch_vccnz .LBB71_8
; %bb.6:
	s_add_u32 s14, s14, s18
	s_addc_u32 s15, s15, s19
	s_load_dword s5, s[14:15], 0x0
	s_branch .LBB71_9
.LBB71_7:
	s_mov_b64 s[8:9], 0
	s_branch .LBB71_2
.LBB71_8:
	s_mov_b32 s5, s2
.LBB71_9:
	s_load_dwordx4 s[44:47], s[0:1], 0x48
	v_and_b32_e32 v57, 15, v0
	s_movk_i32 s14, 0x100
	v_lshlrev_b32_e32 v4, 3, v57
	v_cmp_gt_u32_e32 vcc, s14, v0
	v_cmp_gt_u32_e64 s[30:31], 8, v57
	v_lshrrev_b32_e32 v55, 6, v0
	v_and_b32_e32 v56, 63, v0
	v_bfe_u32 v1, v0, 4, 2
	s_lshl_b32 s29, s4, 4
	s_and_b64 s[16:17], vcc, s[30:31]
	v_lshlrev_b32_e32 v38, 1, v4
	s_and_saveexec_b64 s[14:15], s[16:17]
	s_cbranch_execz .LBB71_11
; %bb.10:
	s_load_dwordx2 s[16:17], s[0:1], 0x0
	s_waitcnt lgkmcnt(0)
	s_ashr_i32 s18, s44, 31
	s_mul_hi_u32 s19, s5, s44
	s_mul_i32 s18, s5, s18
	s_add_i32 s19, s19, s18
	s_mul_i32 s18, s5, s44
	v_lshl_or_b32 v8, v55, 2, v1
	s_lshl_b64 s[18:19], s[18:19], 1
	s_add_u32 s16, s16, s18
	v_add_lshl_u32 v4, v8, s29, 6
	s_addc_u32 s17, s17, s19
	v_ashrrev_i32_e32 v5, 31, v4
	v_lshl_add_u64 v[4:5], v[4:5], 1, s[16:17]
	v_mov_b32_e32 v39, 0
	v_lshl_add_u64 v[4:5], v[4:5], 0, v[38:39]
	global_load_dwordx4 v[4:7], v[4:5], off
	v_and_b32_e32 v9, 3, v0
	v_lshlrev_b32_e32 v11, 9, v57
	v_lshlrev_b32_e32 v8, 5, v8
	;; [unrolled: 1-line block ×3, first 2 shown]
	v_and_b32_e32 v11, 0x1800, v11
	v_or3_b32 v8, v11, v9, v8
	s_waitcnt vmcnt(0)
	ds_write_b128 v8, v[4:7]
.LBB71_11:
	s_or_b64 exec, exec, s[14:15]
	s_waitcnt lgkmcnt(0)
	s_mul_i32 s4, s4, s46
	s_mov_b32 s5, 0
	s_lshl_b64 s[4:5], s[4:5], 1
	s_add_u32 s8, s8, s4
	v_lshlrev_b32_e32 v54, 4, v0
	s_addc_u32 s9, s9, s5
	v_and_b32_e32 v40, 0xf0, v54
	v_mov_b32_e32 v41, 0
	v_lshl_add_u64 v[16:17], s[8:9], 0, v[40:41]
	s_waitcnt vmcnt(3)
	v_mad_i64_i32 v[4:5], s[8:9], v3, s45, 0
	v_lshl_add_u64 v[4:5], v[4:5], 1, v[16:17]
	v_and_b32_e32 v40, 0x300, v54
	s_waitcnt vmcnt(2)
	v_mad_i64_i32 v[2:3], s[8:9], v2, s45, 0
	v_lshl_add_u64 v[18:19], v[4:5], 0, v[40:41]
	v_lshl_add_u64 v[2:3], v[2:3], 1, v[16:17]
	s_waitcnt vmcnt(1)
	v_mad_i64_i32 v[10:11], s[8:9], v10, s45, 0
	s_waitcnt vmcnt(0)
	v_mad_i64_i32 v[14:15], s[8:9], v14, s45, 0
	s_load_dword s33, s[0:1], 0x98
	s_load_dword s14, s[0:1], 0x1c
	s_waitcnt lgkmcnt(0)
	s_barrier
	global_load_dwordx4 v[6:9], v[18:19], off
	global_load_dwordx4 v[22:25], v[18:19], off offset:1024
	v_lshl_add_u64 v[20:21], v[2:3], 0, v[40:41]
	v_lshl_add_u64 v[10:11], v[10:11], 1, v[16:17]
	v_lshl_add_u64 v[14:15], v[14:15], 1, v[16:17]
	global_load_dwordx4 v[2:5], v[20:21], off
	global_load_dwordx4 v[30:33], v[20:21], off offset:1024
	v_lshl_add_u64 v[26:27], v[10:11], 0, v[40:41]
	v_lshl_add_u64 v[42:43], v[14:15], 0, v[40:41]
	global_load_dwordx4 v[10:13], v[26:27], off
	global_load_dwordx4 v[14:17], v[42:43], off
	v_lshlrev_b32_e32 v58, 5, v57
	v_lshl_or_b32 v39, v1, 9, v58
	ds_read_b128 v[34:37], v39
	ds_read_b128 v[18:21], v39 offset:2048
	global_load_dwordx4 v[26:29], v[26:27], off offset:1024
	v_and_or_b32 v40, v0, 48, s20
	global_load_dwordx4 v[50:53], v[42:43], off offset:1024
	v_mov_b32_e32 v59, s21
	v_ashrrev_i32_e32 v44, 4, v40
	v_cmp_gt_i32_e32 vcc, s40, v40
	v_or_b32_e32 v64, 64, v40
	v_or_b32_e32 v42, 0x80, v40
	v_cndmask_b32_e32 v48, v59, v44, vcc
	v_ashrrev_i32_e32 v49, 31, v48
	v_cmp_gt_i32_e32 vcc, s40, v64
	v_or_b32_e32 v40, 0xc0, v40
	v_ashrrev_i32_e32 v43, 4, v42
	s_add_u32 s4, s10, s4
	s_addc_u32 s5, s11, s5
	s_mov_b32 s42, 0xff7fffff
	s_waitcnt vmcnt(7) lgkmcnt(1)
	v_mfma_f32_16x16x16_f16 v[44:47], v[6:7], v[34:35], 0
	v_ashrrev_i32_e32 v6, 4, v64
	s_waitcnt vmcnt(5)
	v_mfma_f32_16x16x16_f16 v[60:63], v[2:3], v[34:35], 0
	v_cndmask_b32_e32 v2, v59, v6, vcc
	v_lshl_add_u64 v[6:7], v[48:49], 2, s[6:7]
	global_load_dword v48, v[6:7], off
	s_waitcnt vmcnt(4)
	v_mfma_f32_16x16x16_f16 v[64:67], v[10:11], v[34:35], 0
	v_ashrrev_i32_e32 v3, 31, v2
	v_lshl_add_u64 v[2:3], v[2:3], 2, s[6:7]
	global_load_dword v49, v[2:3], off
	s_waitcnt vmcnt(4)
	v_mfma_f32_16x16x16_f16 v[68:71], v[14:15], v[34:35], 0
	v_or_b32_e32 v34, s29, v57
	v_ashrrev_i32_e32 v35, 31, v34
	v_lshl_add_u64 v[10:11], v[34:35], 2, s[12:13]
	global_load_dword v35, v[10:11], off
	v_mfma_f32_16x16x16_f16 v[6:9], v[8:9], v[36:37], v[44:47]
	v_cmp_gt_i32_e32 vcc, s40, v42
	v_lshlrev_b32_e32 v57, 2, v57
	v_mfma_f32_16x16x16_f16 v[2:5], v[4:5], v[36:37], v[60:63]
	v_ashrrev_i32_e32 v44, 4, v40
	v_mfma_f32_16x16x16_f16 v[10:13], v[12:13], v[36:37], v[64:67]
	v_mfma_f32_16x16x16_f16 v[14:17], v[16:17], v[36:37], v[68:71]
	v_cndmask_b32_e32 v36, v59, v43, vcc
	v_cmp_gt_i32_e32 vcc, s40, v40
	v_ashrrev_i32_e32 v37, 31, v36
	s_waitcnt lgkmcnt(0)
	v_mfma_f32_16x16x16_f16 v[6:9], v[22:23], v[18:19], v[6:9]
	v_cndmask_b32_e32 v42, v59, v44, vcc
	v_ashrrev_i32_e32 v43, 31, v42
	v_lshl_add_u64 v[22:23], v[36:37], 2, s[6:7]
	v_mfma_f32_16x16x16_f16 v[2:5], v[30:31], v[18:19], v[2:5]
	v_lshl_add_u64 v[30:31], v[42:43], 2, s[6:7]
	global_load_dword v59, v[22:23], off
	global_load_dword v60, v[30:31], off
	v_lshl_or_b32 v40, v55, 9, v58
	s_waitcnt vmcnt(6)
	v_mfma_f32_16x16x16_f16 v[42:45], v[26:27], v[18:19], v[10:13]
	s_waitcnt vmcnt(5)
	v_mfma_f32_16x16x16_f16 v[16:19], v[50:51], v[18:19], v[14:17]
	s_nop 0
	v_lshl_add_u64 v[10:11], s[4:5], 0, v[40:41]
	s_waitcnt vmcnt(4)
	v_mad_i64_i32 v[12:13], s[4:5], v48, s45, 0
	v_mfma_f32_16x16x16_f16 v[16:19], v[52:53], v[20:21], v[16:19]
	v_lshl_add_u64 v[12:13], v[12:13], 1, v[10:11]
	s_waitcnt vmcnt(3)
	v_mad_i64_i32 v[14:15], s[4:5], v49, s45, 0
	v_mfma_f32_16x16x16_f16 v[22:25], v[24:25], v[20:21], v[6:9]
	v_lshl_add_u64 v[14:15], v[14:15], 1, v[10:11]
	s_nop 1
	v_pk_mul_f32 v[40:41], s[14:15], v[16:17] op_sel_hi:[0,1]
	v_and_b32_e32 v16, 0xc0, v0
	v_add_u32_e32 v16, s20, v16
	v_lshl_or_b32 v16, v1, 2, v16
	v_or_b32_e32 v17, 1, v16
	v_pk_mul_f32 v[36:37], s[14:15], v[18:19] op_sel_hi:[0,1]
	v_subrev_u32_e32 v18, s40, v17
	v_mfma_f32_16x16x16_f16 v[30:33], v[32:33], v[20:21], v[2:5]
	v_cvt_f32_i32_e32 v19, v18
	global_load_dwordx4 v[6:9], v[12:13], off
	s_nop 0
	global_load_dwordx4 v[2:5], v[12:13], off offset:16
	v_pk_mul_f32 v[50:51], s[14:15], v[24:25] op_sel_hi:[0,1]
	v_mfma_f32_16x16x16_f16 v[26:29], v[28:29], v[20:21], v[42:45]
	v_add_u32_e32 v20, 1, v18
	v_add_u32_e32 v21, 2, v18
	v_cvt_f32_i32_e32 v20, v20
	v_cvt_f32_i32_e32 v21, v21
	v_pk_mul_f32 v[12:13], s[14:15], v[22:23] op_sel_hi:[0,1]
	v_add_u32_e32 v22, 3, v18
	s_waitcnt vmcnt(4)
	v_fma_f32 v12, v35, v19, v12
	v_fmac_f32_e32 v13, v35, v20
	v_fma_f32 v50, v35, v21, v50
	v_add_u32_e32 v19, 16, v18
	v_add_u32_e32 v20, 17, v18
	;; [unrolled: 1-line block ×3, first 2 shown]
	v_cvt_f32_i32_e32 v22, v22
	v_cvt_f32_i32_e32 v19, v19
	;; [unrolled: 1-line block ×4, first 2 shown]
	v_pk_mul_f32 v[46:47], s[14:15], v[32:33] op_sel_hi:[0,1]
	v_pk_mul_f32 v[48:49], s[14:15], v[30:31] op_sel_hi:[0,1]
	v_fmac_f32_e32 v51, v35, v22
	v_add_u32_e32 v22, 19, v18
	v_fma_f32 v48, v35, v19, v48
	v_fmac_f32_e32 v49, v35, v20
	v_fma_f32 v46, v35, v21, v46
	v_add_u32_e32 v19, 32, v18
	v_add_u32_e32 v20, 33, v18
	;; [unrolled: 1-line block ×3, first 2 shown]
	v_cvt_f32_i32_e32 v22, v22
	v_cvt_f32_i32_e32 v19, v19
	;; [unrolled: 1-line block ×4, first 2 shown]
	v_pk_mul_f32 v[42:43], s[14:15], v[28:29] op_sel_hi:[0,1]
	v_pk_mul_f32 v[44:45], s[14:15], v[26:27] op_sel_hi:[0,1]
	v_fmac_f32_e32 v47, v35, v22
	v_add_u32_e32 v22, 35, v18
	v_fma_f32 v44, v35, v19, v44
	v_fmac_f32_e32 v45, v35, v20
	v_fma_f32 v42, v35, v21, v42
	v_add_u32_e32 v19, 48, v18
	v_add_u32_e32 v20, 49, v18
	;; [unrolled: 1-line block ×4, first 2 shown]
	v_cvt_f32_i32_e32 v18, v18
	v_cvt_f32_i32_e32 v19, v19
	;; [unrolled: 1-line block ×3, first 2 shown]
	v_cmp_gt_i32_e64 s[4:5], s40, v16
	v_fmac_f32_e32 v37, v35, v18
	v_mov_b32_e32 v18, 0xff7fffff
	v_cmp_gt_i32_e64 s[34:35], s40, v17
	v_fma_f32 v40, v35, v19, v40
	v_cndmask_b32_e64 v19, v18, v12, s[4:5]
	v_cndmask_b32_e64 v17, v18, v13, s[34:35]
	v_fmac_f32_e32 v41, v35, v20
	v_max3_f32 v17, v19, s42, v17
	v_or_b32_e32 v19, 2, v16
	v_or_b32_e32 v20, 3, v16
	v_cmp_gt_i32_e64 s[36:37], s40, v19
	v_cmp_gt_i32_e64 s[38:39], s40, v20
	v_cvt_f32_i32_e32 v22, v22
	v_cndmask_b32_e64 v19, v18, v50, s[36:37]
	v_cndmask_b32_e64 v20, v18, v51, s[38:39]
	v_max3_f32 v17, v17, v19, v20
	v_or_b32_e32 v19, 16, v16
	v_or_b32_e32 v20, 17, v16
	v_cmp_gt_i32_e64 s[24:25], s40, v19
	v_cmp_gt_i32_e64 s[26:27], s40, v20
	v_fmac_f32_e32 v43, v35, v22
	v_cndmask_b32_e64 v19, v18, v48, s[24:25]
	v_cndmask_b32_e64 v20, v18, v49, s[26:27]
	v_max3_f32 v17, v17, v19, v20
	v_or_b32_e32 v19, 18, v16
	v_or_b32_e32 v20, 19, v16
	v_cmp_gt_i32_e64 s[20:21], s40, v19
	v_cmp_gt_i32_e64 s[22:23], s40, v20
	v_cvt_f32_i32_e32 v21, v21
	v_cndmask_b32_e64 v19, v18, v46, s[20:21]
	v_cndmask_b32_e64 v20, v18, v47, s[22:23]
	v_max3_f32 v17, v17, v19, v20
	v_or_b32_e32 v19, 32, v16
	v_or_b32_e32 v20, 33, v16
	v_cmp_gt_i32_e64 s[16:17], s40, v19
	v_cmp_gt_i32_e64 s[18:19], s40, v20
	v_fma_f32 v36, v35, v21, v36
	v_cndmask_b32_e64 v19, v18, v44, s[16:17]
	v_cndmask_b32_e64 v20, v18, v45, s[18:19]
	v_max3_f32 v17, v17, v19, v20
	v_or_b32_e32 v19, 34, v16
	v_or_b32_e32 v20, 35, v16
	v_cmp_gt_i32_e64 s[12:13], s40, v19
	v_cmp_gt_i32_e64 s[14:15], s40, v20
	global_load_dwordx4 v[30:33], v[14:15], off
	global_load_dwordx4 v[26:29], v[14:15], off offset:16
	v_cndmask_b32_e64 v19, v18, v42, s[12:13]
	v_cndmask_b32_e64 v20, v18, v43, s[14:15]
	v_max3_f32 v17, v17, v19, v20
	v_or_b32_e32 v19, 48, v16
	v_or_b32_e32 v20, 49, v16
	v_cmp_gt_i32_e64 s[8:9], s40, v19
	v_cmp_gt_i32_e64 s[10:11], s40, v20
	s_nop 0
	v_cndmask_b32_e64 v19, v18, v40, s[8:9]
	v_cndmask_b32_e64 v20, v18, v41, s[10:11]
	v_max3_f32 v17, v17, v19, v20
	v_or_b32_e32 v19, 50, v16
	v_or_b32_e32 v16, 51, v16
	v_cmp_gt_i32_e32 vcc, s40, v19
	v_cmp_gt_i32_e64 s[6:7], s40, v16
	s_nop 0
	v_cndmask_b32_e32 v19, v18, v36, vcc
	v_cndmask_b32_e64 v16, v18, v37, s[6:7]
	v_max3_f32 v16, v17, v19, v16
	v_mbcnt_lo_u32_b32 v17, -1, 0
	v_mbcnt_hi_u32_b32 v17, -1, v17
	v_and_b32_e32 v18, 64, v17
	v_add_u32_e32 v18, 64, v18
	v_xor_b32_e32 v19, 32, v17
	v_cmp_lt_i32_e64 s[40:41], v19, v18
	s_nop 1
	v_cndmask_b32_e64 v19, v17, v19, s[40:41]
	v_lshlrev_b32_e32 v61, 2, v19
	ds_bpermute_b32 v19, v61, v16
	s_waitcnt vmcnt(5)
	v_mad_i64_i32 v[14:15], s[40:41], v59, s45, 0
	v_lshl_add_u64 v[14:15], v[14:15], 1, v[10:11]
	s_waitcnt lgkmcnt(0)
	v_max_f32_e32 v19, v19, v19
	v_max_f32_e32 v16, v16, v19
	v_xor_b32_e32 v19, 16, v17
	v_cmp_lt_i32_e64 s[40:41], v19, v18
	s_nop 1
	v_cndmask_b32_e64 v17, v17, v19, s[40:41]
	v_lshlrev_b32_e32 v62, 2, v17
	ds_bpermute_b32 v17, v62, v16
	global_load_dwordx4 v[22:25], v[14:15], off
	global_load_dwordx4 v[18:21], v[14:15], off offset:16
	s_waitcnt vmcnt(6)
	v_mad_i64_i32 v[14:15], s[40:41], v60, s45, 0
	v_lshl_add_u64 v[10:11], v[14:15], 1, v[10:11]
	s_waitcnt lgkmcnt(0)
	v_max_f32_e32 v14, v17, v17
	v_max_f32_e32 v35, v16, v14
	v_sub_f32_e32 v12, v12, v35
	v_mul_f32_e32 v12, 0x3fb8aa3b, v12
	v_exp_f32_e32 v52, v12
	v_sub_f32_e32 v12, v13, v35
	v_mul_f32_e32 v12, 0x3fb8aa3b, v12
	v_exp_f32_e32 v53, v12
	global_load_dwordx4 v[14:17], v[10:11], off
	s_nop 0
	global_load_dwordx4 v[10:13], v[10:11], off offset:16
	v_sub_f32_e32 v50, v50, v35
	v_mul_f32_e32 v50, 0x3fb8aa3b, v50
	v_sub_f32_e32 v51, v51, v35
	v_exp_f32_e32 v50, v50
	v_mul_f32_e32 v51, 0x3fb8aa3b, v51
	v_sub_f32_e32 v48, v48, v35
	v_exp_f32_e32 v51, v51
	v_mul_f32_e32 v48, 0x3fb8aa3b, v48
	v_sub_f32_e32 v49, v49, v35
	v_cndmask_b32_e64 v52, 0, v52, s[4:5]
	v_exp_f32_e32 v48, v48
	v_mul_f32_e32 v49, 0x3fb8aa3b, v49
	v_sub_f32_e32 v46, v46, v35
	v_add_f32_e32 v59, 0, v52
	v_cndmask_b32_e64 v53, 0, v53, s[34:35]
	v_exp_f32_e32 v49, v49
	v_mul_f32_e32 v46, 0x3fb8aa3b, v46
	v_sub_f32_e32 v47, v47, v35
	v_add_f32_e32 v59, v59, v53
	;; [unrolled: 5-line block ×10, first 2 shown]
	v_cndmask_b32_e64 v42, 0, v42, s[12:13]
	v_exp_f32_e32 v36, v36
	v_mul_f32_e32 v37, 0x3fb8aa3b, v37
	v_add_f32_e32 v59, v59, v42
	v_cndmask_b32_e64 v43, 0, v43, s[14:15]
	v_exp_f32_e32 v37, v37
	v_add_f32_e32 v59, v59, v43
	v_cndmask_b32_e64 v40, 0, v40, s[8:9]
	v_add_f32_e32 v59, v59, v40
	v_cndmask_b32_e64 v41, 0, v41, s[10:11]
	v_add_f32_e32 v59, v59, v41
	v_cndmask_b32_e32 v36, 0, v36, vcc
	v_add_f32_e32 v59, v59, v36
	v_cndmask_b32_e64 v37, 0, v37, s[6:7]
	v_add_f32_e32 v59, v59, v37
	ds_bpermute_b32 v60, v61, v59
	v_cmp_gt_u32_e32 vcc, 16, v56
	s_waitcnt lgkmcnt(0)
	s_barrier
	v_add_f32_e32 v59, v59, v60
	ds_bpermute_b32 v60, v62, v59
	s_and_saveexec_b64 s[4:5], vcc
	s_cbranch_execz .LBB71_13
; %bb.12:
	s_waitcnt lgkmcnt(0)
	v_add_f32_e32 v56, v59, v60
	v_lshl_or_b32 v59, v55, 6, v57
	ds_write2st64_b32 v59, v35, v56 offset1:1
.LBB71_13:
	s_or_b64 exec, exec, s[4:5]
	s_load_dword s6, s[0:1], 0x94
	s_waitcnt lgkmcnt(0)
	s_barrier
	ds_read2_b32 v[60:61], v57 offset1:16
	ds_read2_b32 v[62:63], v57 offset0:32 offset1:48
	ds_read2_b32 v[64:65], v57 offset0:64 offset1:80
	s_lshl_b32 s7, s33, 4
	s_waitcnt lgkmcnt(2)
	v_max3_f32 v35, v60, s42, v61
	s_waitcnt lgkmcnt(1)
	v_max3_f32 v56, v35, v62, v63
	v_sub_f32_e32 v35, v60, v56
	v_mul_f32_e32 v35, 0x3fb8aa3b, v35
	v_sub_f32_e32 v59, v61, v56
	v_sub_f32_e32 v60, v62, v56
	v_exp_f32_e32 v35, v35
	v_mul_f32_e32 v59, 0x3fb8aa3b, v59
	v_mul_f32_e32 v60, 0x3fb8aa3b, v60
	v_exp_f32_e32 v59, v59
	v_exp_f32_e32 v62, v60
	ds_read2_b32 v[60:61], v57 offset0:96 offset1:112
	v_sub_f32_e32 v57, v63, v56
	v_mul_f32_e32 v57, 0x3fb8aa3b, v57
	v_exp_f32_e32 v63, v57
	s_waitcnt lgkmcnt(1)
	v_fma_f32 v57, v35, v64, 0
	v_fmac_f32_e32 v57, v59, v65
	s_waitcnt lgkmcnt(0)
	v_fmac_f32_e32 v57, v62, v60
	v_fmac_f32_e32 v57, v63, v61
	v_add_f32_e32 v60, 0x358637bd, v57
	v_div_scale_f32 v61, s[4:5], v60, v60, 1.0
	v_rcp_f32_e32 v64, v61
	s_barrier
	v_fma_f32 v65, -v61, v64, 1.0
	v_fmac_f32_e32 v64, v65, v64
	v_div_scale_f32 v65, vcc, 1.0, v60, 1.0
	v_mul_f32_e32 v66, v65, v64
	v_fma_f32 v67, -v61, v66, v65
	v_fmac_f32_e32 v66, v67, v64
	v_fma_f32 v61, -v61, v66, v65
	v_div_fmas_f32 v61, v61, v64, v66
	v_cmp_eq_u32_e32 vcc, 1, v55
	v_div_fixup_f32 v60, v61, v60, 1.0
	s_nop 0
	v_cndmask_b32_e32 v35, v35, v59, vcc
	v_cmp_eq_u32_e32 vcc, 2, v55
	s_nop 1
	v_cndmask_b32_e32 v35, v35, v62, vcc
	v_cmp_eq_u32_e32 vcc, 3, v55
	s_nop 1
	v_cndmask_b32_e32 v35, v35, v63, vcc
	v_mul_f32_e32 v60, v35, v60
	v_pk_mul_f32 v[52:53], v[60:61], v[52:53] op_sel_hi:[0,1]
	v_cvt_f16_f32_e32 v35, v52
	v_cvt_f16_f32_e32 v52, v53
	v_pk_mul_f32 v[50:51], v[60:61], v[50:51] op_sel_hi:[0,1]
	v_pk_mul_f32 v[46:47], v[60:61], v[46:47] op_sel_hi:[0,1]
	;; [unrolled: 1-line block ×3, first 2 shown]
	v_cvt_f16_f32_e32 v53, v50
	v_pack_b32_f16 v50, v35, v52
	v_cvt_f16_f32_e32 v48, v48
	v_cvt_f16_f32_e32 v49, v49
	;; [unrolled: 1-line block ×4, first 2 shown]
	v_lshlrev_b32_e32 v35, 3, v1
	v_lshlrev_b32_e32 v46, 11, v55
	v_pk_mul_f32 v[42:43], v[60:61], v[42:43] op_sel_hi:[0,1]
	v_pk_mul_f32 v[44:45], v[60:61], v[44:45] op_sel_hi:[0,1]
	;; [unrolled: 1-line block ×4, first 2 shown]
	v_cvt_f16_f32_e32 v51, v51
	v_or3_b32 v46, v46, v58, v35
	v_pack_b32_f16 v48, v48, v49
	v_pack_b32_f16 v49, v52, v47
	v_cvt_f16_f32_e32 v35, v44
	v_cvt_f16_f32_e32 v44, v45
	v_cvt_f16_f32_e32 v42, v42
	v_cvt_f16_f32_e32 v43, v43
	v_cvt_f16_f32_e32 v40, v40
	v_cvt_f16_f32_e32 v41, v41
	v_cvt_f16_f32_e32 v45, v36
	v_cvt_f16_f32_e32 v47, v37
	v_pack_b32_f16 v51, v53, v51
	v_pack_b32_f16 v36, v35, v44
	;; [unrolled: 1-line block ×5, first 2 shown]
	v_cmp_gt_u32_e32 vcc, 16, v0
	ds_write2st64_b64 v46, v[50:51], v[48:49] offset1:1
	ds_write2st64_b64 v46, v[36:37], v[40:41] offset0:2 offset1:3
	s_and_saveexec_b64 s[4:5], vcc
	s_cbranch_execz .LBB71_15
; %bb.14:
	v_mov_b32_e32 v35, 0
	v_mov_b32_e32 v36, s7
	v_mad_u64_u32 v[36:37], s[12:13], s2, v36, v[34:35]
	v_mov_b32_e32 v34, s28
	s_load_dwordx4 s[8:11], s[0:1], 0x58
	s_mul_i32 s3, s3, s7
	v_mad_u64_u32 v[34:35], s[12:13], v36, s6, v[34:35]
	v_add_u32_e32 v37, s3, v37
	v_mov_b32_e32 v36, v35
	v_mad_u64_u32 v[36:37], s[12:13], v37, s6, v[36:37]
	v_mov_b32_e32 v35, v36
	v_lshlrev_b64 v[34:35], 2, v[34:35]
	s_waitcnt lgkmcnt(0)
	v_lshl_add_u64 v[36:37], s[10:11], 0, v[34:35]
	v_lshl_add_u64 v[34:35], s[8:9], 0, v[34:35]
	global_store_dword v[36:37], v56, off
	global_store_dword v[34:35], v57, off
.LBB71_15:
	s_or_b64 exec, exec, s[4:5]
	s_waitcnt lgkmcnt(0)
	s_barrier
	ds_read_b128 v[34:37], v39
	ds_read_b128 v[40:43], v39 offset:16
	s_waitcnt vmcnt(7) lgkmcnt(1)
	v_mfma_f32_16x16x16_f16 v[48:51], v[6:7], v[34:35], 0
	v_cmp_gt_u32_e32 vcc, 64, v0
	s_mov_b32 s3, 0
	s_and_b64 s[4:5], vcc, s[30:31]
	v_mfma_f32_16x16x16_f16 v[6:9], v[8:9], v[36:37], v[48:51]
	s_waitcnt vmcnt(6) lgkmcnt(0)
	v_mfma_f32_16x16x16_f16 v[6:9], v[2:3], v[40:41], v[6:9]
	v_mfma_f32_16x16x16_f16 v[2:5], v[4:5], v[42:43], v[6:9]
	s_nop 5
	ds_read_b128 v[6:9], v39 offset:2048
	ds_read_b128 v[34:37], v39 offset:2064
	s_waitcnt vmcnt(5) lgkmcnt(1)
	v_mfma_f32_16x16x16_f16 v[2:5], v[30:31], v[6:7], v[2:5]
	v_mfma_f32_16x16x16_f16 v[2:5], v[32:33], v[8:9], v[2:5]
	s_waitcnt vmcnt(4) lgkmcnt(0)
	v_mfma_f32_16x16x16_f16 v[2:5], v[26:27], v[34:35], v[2:5]
	v_mfma_f32_16x16x16_f16 v[2:5], v[28:29], v[36:37], v[2:5]
	ds_read_b128 v[6:9], v39 offset:4096
	ds_read_b128 v[26:29], v39 offset:4112
	s_waitcnt vmcnt(3) lgkmcnt(1)
	v_mfma_f32_16x16x16_f16 v[2:5], v[22:23], v[6:7], v[2:5]
	v_mfma_f32_16x16x16_f16 v[2:5], v[24:25], v[8:9], v[2:5]
	s_waitcnt vmcnt(2) lgkmcnt(0)
	v_mfma_f32_16x16x16_f16 v[2:5], v[18:19], v[26:27], v[2:5]
	v_mfma_f32_16x16x16_f16 v[2:5], v[20:21], v[28:29], v[2:5]
	ds_read_b128 v[6:9], v39 offset:6144
	ds_read_b128 v[18:21], v39 offset:6160
	v_mov_b32_e32 v39, 0
	s_waitcnt vmcnt(1) lgkmcnt(0)
	v_mfma_f32_16x16x16_f16 v[2:5], v[14:15], v[6:7], v[2:5]
	s_barrier
	v_mfma_f32_16x16x16_f16 v[2:5], v[16:17], v[8:9], v[2:5]
	s_waitcnt vmcnt(0)
	v_mfma_f32_16x16x16_f16 v[2:5], v[10:11], v[18:19], v[2:5]
	v_mfma_f32_16x16x16_f16 v[2:5], v[12:13], v[20:21], v[2:5]
	s_nop 6
	v_cvt_f16_f32_e32 v2, v2
	v_cvt_f16_f32_e32 v3, v3
	v_cvt_f16_f32_e32 v4, v4
	v_cvt_f16_f32_e32 v5, v5
	v_pack_b32_f16 v2, v2, v3
	v_pack_b32_f16 v3, v4, v5
	ds_write_b64 v46, v[2:3]
	s_waitcnt lgkmcnt(0)
	s_barrier
	s_and_saveexec_b64 s[8:9], s[4:5]
	s_cbranch_execz .LBB71_17
; %bb.16:
	s_load_dwordx2 s[0:1], s[0:1], 0x68
	s_lshl_b32 s6, s6, 6
	s_mul_i32 s2, s7, s2
	s_mul_hi_u32 s5, s2, s6
	s_mul_i32 s4, s2, s6
	s_lshl_b64 s[4:5], s[4:5], 1
	s_waitcnt lgkmcnt(0)
	s_add_u32 s4, s0, s4
	s_addc_u32 s5, s1, s5
	s_lshl_b32 s2, s28, 6
	v_lshlrev_b32_e32 v0, 10, v0
	s_lshl_b64 s[0:1], s[2:3], 1
	v_and_b32_e32 v0, 0x1800, v0
	v_lshlrev_b32_e32 v2, 5, v1
	v_and_b32_e32 v3, 16, v54
	s_add_u32 s0, s4, s0
	v_or3_b32 v0, v0, v2, v3
	s_addc_u32 s1, s5, s1
	v_or_b32_e32 v20, s29, v1
	ds_read_b128 v[2:5], v0
	ds_read_b128 v[6:9], v0 offset:128
	ds_read_b128 v[10:13], v0 offset:256
	;; [unrolled: 1-line block ×3, first 2 shown]
	v_lshl_add_u64 v[18:19], s[0:1], 0, v[38:39]
	v_mad_u64_u32 v[0:1], s[0:1], v20, s6, 0
	v_lshl_add_u64 v[0:1], v[0:1], 1, v[18:19]
	s_waitcnt lgkmcnt(3)
	global_store_dwordx4 v[0:1], v[2:5], off
	v_or_b32_e32 v0, 4, v20
	v_mad_u64_u32 v[0:1], s[0:1], v0, s6, 0
	v_lshl_add_u64 v[0:1], v[0:1], 1, v[18:19]
	s_waitcnt lgkmcnt(2)
	global_store_dwordx4 v[0:1], v[6:9], off
	v_or_b32_e32 v0, 8, v20
	;; [unrolled: 5-line block ×3, first 2 shown]
	v_mad_u64_u32 v[0:1], s[0:1], v0, s6, 0
	v_lshl_add_u64 v[0:1], v[0:1], 1, v[18:19]
	s_waitcnt lgkmcnt(0)
	global_store_dwordx4 v[0:1], v[14:17], off
.LBB71_17:
	s_endpgm
	.section	.rodata,"a",@progbits
	.p2align	6, 0x0
	.amdhsa_kernel _Z39paged_attention_ll4mi_QKV_mfma16_kernelIDF16_DF16_LN4vllm18Fp8KVCacheDataTypeE0EDF16_Li16ELi64ELi256ELb1ELi16EEvPKT_PKT0_S7_ifPKiS9_S9_iPKfiiiPfSC_PS2_PT2_iSB_SB_
		.amdhsa_group_segment_fixed_size 8192
		.amdhsa_private_segment_fixed_size 0
		.amdhsa_kernarg_size 400
		.amdhsa_user_sgpr_count 2
		.amdhsa_user_sgpr_dispatch_ptr 0
		.amdhsa_user_sgpr_queue_ptr 0
		.amdhsa_user_sgpr_kernarg_segment_ptr 1
		.amdhsa_user_sgpr_dispatch_id 0
		.amdhsa_user_sgpr_kernarg_preload_length 0
		.amdhsa_user_sgpr_kernarg_preload_offset 0
		.amdhsa_user_sgpr_private_segment_size 0
		.amdhsa_uses_dynamic_stack 0
		.amdhsa_enable_private_segment 0
		.amdhsa_system_sgpr_workgroup_id_x 1
		.amdhsa_system_sgpr_workgroup_id_y 1
		.amdhsa_system_sgpr_workgroup_id_z 1
		.amdhsa_system_sgpr_workgroup_info 0
		.amdhsa_system_vgpr_workitem_id 0
		.amdhsa_next_free_vgpr 72
		.amdhsa_next_free_sgpr 48
		.amdhsa_accum_offset 72
		.amdhsa_reserve_vcc 1
		.amdhsa_float_round_mode_32 0
		.amdhsa_float_round_mode_16_64 0
		.amdhsa_float_denorm_mode_32 3
		.amdhsa_float_denorm_mode_16_64 3
		.amdhsa_dx10_clamp 1
		.amdhsa_ieee_mode 1
		.amdhsa_fp16_overflow 0
		.amdhsa_tg_split 0
		.amdhsa_exception_fp_ieee_invalid_op 0
		.amdhsa_exception_fp_denorm_src 0
		.amdhsa_exception_fp_ieee_div_zero 0
		.amdhsa_exception_fp_ieee_overflow 0
		.amdhsa_exception_fp_ieee_underflow 0
		.amdhsa_exception_fp_ieee_inexact 0
		.amdhsa_exception_int_div_zero 0
	.end_amdhsa_kernel
	.section	.text._Z39paged_attention_ll4mi_QKV_mfma16_kernelIDF16_DF16_LN4vllm18Fp8KVCacheDataTypeE0EDF16_Li16ELi64ELi256ELb1ELi16EEvPKT_PKT0_S7_ifPKiS9_S9_iPKfiiiPfSC_PS2_PT2_iSB_SB_,"axG",@progbits,_Z39paged_attention_ll4mi_QKV_mfma16_kernelIDF16_DF16_LN4vllm18Fp8KVCacheDataTypeE0EDF16_Li16ELi64ELi256ELb1ELi16EEvPKT_PKT0_S7_ifPKiS9_S9_iPKfiiiPfSC_PS2_PT2_iSB_SB_,comdat
.Lfunc_end71:
	.size	_Z39paged_attention_ll4mi_QKV_mfma16_kernelIDF16_DF16_LN4vllm18Fp8KVCacheDataTypeE0EDF16_Li16ELi64ELi256ELb1ELi16EEvPKT_PKT0_S7_ifPKiS9_S9_iPKfiiiPfSC_PS2_PT2_iSB_SB_, .Lfunc_end71-_Z39paged_attention_ll4mi_QKV_mfma16_kernelIDF16_DF16_LN4vllm18Fp8KVCacheDataTypeE0EDF16_Li16ELi64ELi256ELb1ELi16EEvPKT_PKT0_S7_ifPKiS9_S9_iPKfiiiPfSC_PS2_PT2_iSB_SB_
                                        ; -- End function
	.section	.AMDGPU.csdata,"",@progbits
; Kernel info:
; codeLenInByte = 4056
; NumSgprs: 54
; NumVgprs: 72
; NumAgprs: 0
; TotalNumVgprs: 72
; ScratchSize: 0
; MemoryBound: 0
; FloatMode: 240
; IeeeMode: 1
; LDSByteSize: 8192 bytes/workgroup (compile time only)
; SGPRBlocks: 6
; VGPRBlocks: 8
; NumSGPRsForWavesPerEU: 54
; NumVGPRsForWavesPerEU: 72
; AccumOffset: 72
; Occupancy: 7
; WaveLimiterHint : 1
; COMPUTE_PGM_RSRC2:SCRATCH_EN: 0
; COMPUTE_PGM_RSRC2:USER_SGPR: 2
; COMPUTE_PGM_RSRC2:TRAP_HANDLER: 0
; COMPUTE_PGM_RSRC2:TGID_X_EN: 1
; COMPUTE_PGM_RSRC2:TGID_Y_EN: 1
; COMPUTE_PGM_RSRC2:TGID_Z_EN: 1
; COMPUTE_PGM_RSRC2:TIDIG_COMP_CNT: 0
; COMPUTE_PGM_RSRC3_GFX90A:ACCUM_OFFSET: 17
; COMPUTE_PGM_RSRC3_GFX90A:TG_SPLIT: 0
	.section	.text._Z35paged_attention_ll4mi_reduce_kernelIDF16_DF16_Li64ELi64ELi256ELi1EEvPT0_PKfS3_PKT_PKiS8_iS3_,"axG",@progbits,_Z35paged_attention_ll4mi_reduce_kernelIDF16_DF16_Li64ELi64ELi256ELi1EEvPT0_PKfS3_PKT_PKiS8_iS3_,comdat
	.protected	_Z35paged_attention_ll4mi_reduce_kernelIDF16_DF16_Li64ELi64ELi256ELi1EEvPT0_PKfS3_PKT_PKiS8_iS3_ ; -- Begin function _Z35paged_attention_ll4mi_reduce_kernelIDF16_DF16_Li64ELi64ELi256ELi1EEvPT0_PKfS3_PKT_PKiS8_iS3_
	.globl	_Z35paged_attention_ll4mi_reduce_kernelIDF16_DF16_Li64ELi64ELi256ELi1EEvPT0_PKfS3_PKT_PKiS8_iS3_
	.p2align	8
	.type	_Z35paged_attention_ll4mi_reduce_kernelIDF16_DF16_Li64ELi64ELi256ELi1EEvPT0_PKfS3_PKT_PKiS8_iS3_,@function
_Z35paged_attention_ll4mi_reduce_kernelIDF16_DF16_Li64ELi64ELi256ELi1EEvPT0_PKfS3_PKT_PKiS8_iS3_: ; @_Z35paged_attention_ll4mi_reduce_kernelIDF16_DF16_Li64ELi64ELi256ELi1EEvPT0_PKfS3_PKT_PKiS8_iS3_
; %bb.0:
	s_load_dwordx2 s[14:15], s[0:1], 0x28
	s_mov_b32 s12, s3
	s_mov_b64 s[4:5], 0
	s_waitcnt lgkmcnt(0)
	s_cmp_lg_u64 s[14:15], 0
	s_cselect_b64 s[16:17], -1, 0
	s_and_b64 vcc, exec, s[16:17]
	s_cbranch_vccz .LBB72_19
; %bb.1:
	s_add_i32 s6, s12, 1
	s_mov_b32 s7, 0
	s_lshl_b64 s[8:9], s[6:7], 2
	s_add_u32 s8, s14, s8
	s_mov_b32 s13, s7
	s_addc_u32 s9, s15, s9
	s_lshl_b64 s[6:7], s[12:13], 2
	s_add_u32 s6, s14, s6
	s_addc_u32 s7, s15, s7
	s_load_dword s3, s[8:9], 0x0
	s_load_dword s10, s[6:7], 0x0
	s_waitcnt lgkmcnt(0)
	s_sub_i32 s3, s3, s10
	s_cmp_eq_u32 s3, 1
	s_cselect_b64 s[6:7], -1, 0
	s_andn2_b64 vcc, exec, s[4:5]
	s_cbranch_vccnz .LBB72_3
.LBB72_2:
	s_mov_b32 s13, 0
	s_mov_b64 s[6:7], -1
.LBB72_3:
	s_andn2_b64 vcc, exec, s[6:7]
	s_cbranch_vccz .LBB72_5
; %bb.4:
	s_endpgm
.LBB72_5:
	s_load_dwordx4 s[8:11], s[0:1], 0x18
	s_load_dword s20, s[0:1], 0x30
	s_lshl_b64 s[18:19], s[12:13], 2
	v_cmp_lt_u32_e32 vcc, 63, v0
	s_waitcnt lgkmcnt(0)
	s_add_u32 s4, s10, s18
	s_addc_u32 s5, s11, s19
	s_load_dword s24, s[4:5], 0x0
	s_load_dword s3, s[0:1], 0x40
	s_mul_i32 s10, s2, s20
	s_mul_i32 s6, s12, s20
	s_waitcnt lgkmcnt(0)
	s_add_i32 s7, s24, 0xff
	s_ashr_i32 s4, s7, 31
	s_lshr_b32 s4, s4, 24
	s_add_i32 s7, s7, s4
	s_and_saveexec_b64 s[4:5], vcc
	s_xor_b64 s[4:5], exec, s[4:5]
	s_or_saveexec_b64 s[20:21], s[4:5]
	s_ashr_i32 s25, s7, 8
	v_mov_b32_e32 v1, s10
	s_mul_i32 s22, s6, s3
	s_xor_b64 exec, exec, s[20:21]
	s_cbranch_execz .LBB72_9
; %bb.6:
	s_load_dwordx4 s[4:7], s[0:1], 0x8
	s_mov_b32 s23, 0
	s_lshl_b64 s[26:27], s[22:23], 2
	s_mov_b32 s11, s23
	v_cmp_gt_u32_e32 vcc, s25, v0
	s_waitcnt lgkmcnt(0)
	s_add_u32 s23, s6, s26
	s_addc_u32 s29, s7, s27
	s_lshl_b64 s[6:7], s[10:11], 2
	s_add_u32 s28, s23, s6
	s_addc_u32 s29, s29, s7
	s_add_i32 s11, s25, -1
	v_mov_b32_e32 v1, s11
	v_cndmask_b32_e32 v2, v1, v0, vcc
	v_ashrrev_i32_e32 v3, 31, v2
	v_lshlrev_b64 v[2:3], 2, v[2:3]
	v_lshl_add_u64 v[4:5], s[28:29], 0, v[2:3]
	global_load_dword v1, v[4:5], off
	s_add_u32 s4, s4, s26
	s_addc_u32 s5, s5, s27
	s_add_u32 s4, s4, s6
	s_addc_u32 s5, s5, s7
	v_lshl_add_u64 v[2:3], s[4:5], 0, v[2:3]
	global_load_dword v2, v[2:3], off
	v_mbcnt_lo_u32_b32 v3, -1, 0
	v_mbcnt_hi_u32_b32 v3, -1, v3
	v_and_b32_e32 v4, 64, v3
	v_xor_b32_e32 v5, 32, v3
	v_add_u32_e32 v4, 64, v4
	v_cmp_lt_i32_e64 s[4:5], v5, v4
	v_xor_b32_e32 v6, 16, v3
	v_xor_b32_e32 v9, 8, v3
	v_cndmask_b32_e64 v5, v3, v5, s[4:5]
	v_lshlrev_b32_e32 v5, 2, v5
	v_cmp_lt_i32_e64 s[4:5], v6, v4
	v_xor_b32_e32 v10, 4, v3
	v_xor_b32_e32 v11, 2, v3
	v_cndmask_b32_e64 v6, v3, v6, s[4:5]
	v_lshlrev_b32_e32 v6, 2, v6
	v_cmp_lt_i32_e64 s[4:5], v9, v4
	v_xor_b32_e32 v12, 1, v3
	s_mov_b32 s6, 0x42b17218
	v_cndmask_b32_e64 v9, v3, v9, s[4:5]
	v_lshlrev_b32_e32 v9, 2, v9
	v_cmp_lt_i32_e64 s[4:5], v10, v4
	s_waitcnt vmcnt(1)
	ds_bpermute_b32 v7, v5, v1
	v_max_f32_e32 v8, v1, v1
	v_cndmask_b32_e64 v10, v3, v10, s[4:5]
	v_lshlrev_b32_e32 v10, 2, v10
	v_cmp_lt_i32_e64 s[4:5], v11, v4
	s_waitcnt lgkmcnt(0)
	v_max_f32_e32 v7, v7, v7
	v_max_f32_e32 v7, v8, v7
	ds_bpermute_b32 v8, v6, v7
	v_cndmask_b32_e64 v11, v3, v11, s[4:5]
	v_lshlrev_b32_e32 v11, 2, v11
	v_cmp_lt_i32_e64 s[4:5], v12, v4
	s_waitcnt lgkmcnt(0)
	v_max_f32_e32 v8, v8, v8
	v_max_f32_e32 v7, v7, v8
	ds_bpermute_b32 v8, v9, v7
	v_cndmask_b32_e64 v3, v3, v12, s[4:5]
	v_lshlrev_b32_e32 v3, 2, v3
	s_mov_b32 s4, 0x3fb8aa3b
	s_waitcnt lgkmcnt(0)
	v_max_f32_e32 v8, v8, v8
	v_max_f32_e32 v7, v7, v8
	ds_bpermute_b32 v8, v10, v7
	s_waitcnt lgkmcnt(0)
	v_max_f32_e32 v8, v8, v8
	v_max_f32_e32 v7, v7, v8
	ds_bpermute_b32 v8, v11, v7
	;; [unrolled: 4-line block ×3, first 2 shown]
	s_waitcnt lgkmcnt(0)
	v_max_f32_e32 v7, v7, v7
	v_max_f32_e32 v4, v4, v7
	v_sub_f32_e32 v1, v1, v4
	v_mul_f32_e32 v4, 0x3fb8aa3b, v1
	v_fma_f32 v7, v1, s4, -v4
	v_rndne_f32_e32 v8, v4
	v_fmamk_f32 v7, v1, 0x32a5705f, v7
	v_sub_f32_e32 v4, v4, v8
	v_add_f32_e32 v4, v4, v7
	v_cvt_i32_f32_e32 v8, v8
	v_exp_f32_e32 v4, v4
	s_mov_b32 s4, 0xc2ce8ed0
	v_cmp_ngt_f32_e64 s[4:5], s4, v1
	v_mov_b32_e32 v7, 0x7f800000
	v_ldexp_f32 v4, v4, v8
	v_cndmask_b32_e64 v4, 0, v4, s[4:5]
	v_cmp_nlt_f32_e64 s[4:5], s6, v1
	s_nop 1
	v_cndmask_b32_e64 v1, v7, v4, s[4:5]
	v_cndmask_b32_e32 v1, 0, v1, vcc
	s_waitcnt vmcnt(0)
	v_mul_f32_e32 v4, v1, v2
	ds_bpermute_b32 v1, v5, v4
	v_cmp_eq_u32_e32 vcc, 0, v0
	s_waitcnt lgkmcnt(0)
	v_add_f32_e32 v1, v4, v1
	ds_bpermute_b32 v2, v6, v1
	s_waitcnt lgkmcnt(0)
	v_add_f32_e32 v1, v1, v2
	ds_bpermute_b32 v2, v9, v1
	;; [unrolled: 3-line block ×5, first 2 shown]
	v_lshlrev_b32_e32 v3, 2, v0
	ds_write_b32 v3, v4
	s_and_saveexec_b64 s[4:5], vcc
	s_cbranch_execz .LBB72_8
; %bb.7:
	s_waitcnt lgkmcnt(1)
	v_add_f32_e32 v1, v1, v2
	v_mov_b32_e32 v2, 0
	ds_write_b32 v2, v1 offset:256
.LBB72_8:
	s_or_b64 exec, exec, s[4:5]
	v_mov_b32_e32 v1, s10
.LBB72_9:
	s_or_b64 exec, exec, s[20:21]
	s_lshl_b32 s4, s22, 6
	s_mov_b32 s5, 0
	s_lshl_b64 s[4:5], s[4:5], 1
	s_add_u32 s4, s8, s4
	s_waitcnt lgkmcnt(1)
	v_lshlrev_b32_e32 v2, 6, v1
	v_mov_b32_e32 v3, 0
	s_addc_u32 s5, s9, s5
	v_lshl_add_u64 v[4:5], v[2:3], 1, s[4:5]
	s_lshl_b32 s4, s25, 6
	s_sub_i32 s6, s4, 64
	s_cmp_lt_i32 s24, 1
	s_cselect_b32 s4, s6, 0
	v_lshlrev_b32_e32 v2, 1, v0
	s_ashr_i32 s5, s4, 31
	v_lshl_add_u64 v[0:1], v[4:5], 0, v[2:3]
	s_cmpk_lt_i32 s24, 0x101
	v_lshl_add_u64 v[12:13], s[4:5], 1, v[0:1]
	s_cselect_b32 s4, s6, 64
	s_ashr_i32 s5, s4, 31
	s_cmpk_lt_i32 s24, 0x201
	v_lshl_add_u64 v[14:15], s[4:5], 1, v[0:1]
	s_cselect_b32 s4, s6, 0x80
	s_ashr_i32 s5, s4, 31
	;; [unrolled: 4-line block ×8, first 2 shown]
	s_cmpk_lt_i32 s24, 0x901
	global_load_ushort v4, v[12:13], off
	global_load_ushort v5, v[14:15], off
	;; [unrolled: 1-line block ×8, first 2 shown]
	v_lshl_add_u64 v[20:21], s[4:5], 1, v[0:1]
	s_cselect_b32 s4, s6, 0x240
	s_ashr_i32 s5, s4, 31
	s_cmpk_lt_i32 s24, 0xa01
	v_lshl_add_u64 v[22:23], s[4:5], 1, v[0:1]
	s_cselect_b32 s4, s6, 0x280
	s_ashr_i32 s5, s4, 31
	s_cmpk_lt_i32 s24, 0xb01
	;; [unrolled: 4-line block ×6, first 2 shown]
	v_lshl_add_u64 v[32:33], s[4:5], 1, v[0:1]
	s_cselect_b32 s4, s6, 0x3c0
	s_ashr_i32 s5, s4, 31
	v_lshl_add_u64 v[34:35], s[4:5], 1, v[0:1]
	global_load_ushort v13, v[20:21], off
	global_load_ushort v14, v[22:23], off
	;; [unrolled: 1-line block ×8, first 2 shown]
	s_cmpk_gt_i32 s24, 0x1000
	s_cselect_b64 s[4:5], -1, 0
	s_cmpk_lt_i32 s24, 0x1001
	v_mov_b32_e32 v36, 0
	v_mov_b32_e32 v37, 0
	;; [unrolled: 1-line block ×48, first 2 shown]
	s_waitcnt lgkmcnt(0)
	; wave barrier
	s_waitcnt lgkmcnt(0)
	s_cbranch_scc1 .LBB72_12
; %bb.10:
	s_cmpk_lt_u32 s24, 0x1101
	s_cselect_b32 s8, s6, 0x440
	s_ashr_i32 s9, s8, 31
	s_cmpk_lt_u32 s24, 0x1201
	v_lshl_add_u64 v[28:29], s[8:9], 1, v[0:1]
	s_cselect_b32 s8, s6, 0x480
	s_ashr_i32 s9, s8, 31
	s_cmpk_lt_u32 s24, 0x1301
	v_lshl_add_u64 v[30:31], s[8:9], 1, v[0:1]
	;; [unrolled: 4-line block ×7, first 2 shown]
	s_cselect_b32 s8, s6, 0x600
	s_ashr_i32 s9, s8, 31
	s_cmpk_lt_u32 s24, 0x1901
	global_load_ushort v27, v[0:1], off offset:2048
	global_load_ushort v26, v[28:29], off
	global_load_ushort v25, v[30:31], off
	;; [unrolled: 1-line block ×7, first 2 shown]
	v_lshl_add_u64 v[36:37], s[8:9], 1, v[0:1]
	s_cselect_b32 s8, s6, 0x640
	s_ashr_i32 s9, s8, 31
	s_cmpk_lt_u32 s24, 0x1a01
	v_lshl_add_u64 v[38:39], s[8:9], 1, v[0:1]
	s_cselect_b32 s8, s6, 0x680
	s_ashr_i32 s9, s8, 31
	s_cmpk_lt_u32 s24, 0x1b01
	;; [unrolled: 4-line block ×6, first 2 shown]
	v_lshl_add_u64 v[48:49], s[8:9], 1, v[0:1]
	s_cselect_b32 s8, s6, 0x7c0
	s_ashr_i32 s9, s8, 31
	v_lshl_add_u64 v[50:51], s[8:9], 1, v[0:1]
	global_load_ushort v35, v[36:37], off
	global_load_ushort v34, v[38:39], off
	;; [unrolled: 1-line block ×8, first 2 shown]
	s_cmpk_lt_u32 s24, 0x2001
	v_mov_b32_e32 v67, 0
	v_mov_b32_e32 v66, 0
	v_mov_b32_e32 v65, 0
	v_mov_b32_e32 v64, 0
	v_mov_b32_e32 v63, 0
	v_mov_b32_e32 v62, 0
	v_mov_b32_e32 v61, 0
	v_mov_b32_e32 v60, 0
	v_mov_b32_e32 v59, 0
	v_mov_b32_e32 v58, 0
	v_mov_b32_e32 v57, 0
	v_mov_b32_e32 v56, 0
	v_mov_b32_e32 v55, 0
	v_mov_b32_e32 v54, 0
	v_mov_b32_e32 v53, 0
	v_mov_b32_e32 v52, 0
	v_mov_b32_e32 v51, 0
	v_mov_b32_e32 v50, 0
	v_mov_b32_e32 v49, 0
	v_mov_b32_e32 v48, 0
	v_mov_b32_e32 v47, 0
	v_mov_b32_e32 v46, 0
	v_mov_b32_e32 v45, 0
	v_mov_b32_e32 v44, 0
	v_mov_b32_e32 v43, 0
	v_mov_b32_e32 v42, 0
	v_mov_b32_e32 v41, 0
	v_mov_b32_e32 v40, 0
	v_mov_b32_e32 v39, 0
	v_mov_b32_e32 v38, 0
	v_mov_b32_e32 v37, 0
	v_mov_b32_e32 v36, 0
	s_cbranch_scc1 .LBB72_12
; %bb.11:
	s_cmpk_lt_u32 s24, 0x2101
	s_cselect_b32 s8, s6, 0x840
	s_ashr_i32 s9, s8, 31
	s_cmpk_lt_u32 s24, 0x2201
	v_lshl_add_u64 v[38:39], s[8:9], 1, v[0:1]
	s_cselect_b32 s8, s6, 0x880
	s_ashr_i32 s9, s8, 31
	s_cmpk_lt_u32 s24, 0x2301
	v_lshl_add_u64 v[40:41], s[8:9], 1, v[0:1]
	;; [unrolled: 4-line block ×7, first 2 shown]
	s_cselect_b32 s8, s6, 0xa00
	v_add_co_u32_e32 v36, vcc, 0x1000, v0
	s_ashr_i32 s9, s8, 31
	s_nop 0
	v_addc_co_u32_e32 v37, vcc, 0, v1, vcc
	s_cmpk_lt_u32 s24, 0x2901
	global_load_ushort v52, v[36:37], off
	global_load_ushort v53, v[38:39], off
	;; [unrolled: 1-line block ×8, first 2 shown]
	v_lshl_add_u64 v[36:37], s[8:9], 1, v[0:1]
	s_cselect_b32 s8, s6, 0xa40
	s_ashr_i32 s9, s8, 31
	s_cmpk_lt_u32 s24, 0x2a01
	v_lshl_add_u64 v[38:39], s[8:9], 1, v[0:1]
	s_cselect_b32 s8, s6, 0xa80
	s_ashr_i32 s9, s8, 31
	s_cmpk_lt_u32 s24, 0x2b01
	;; [unrolled: 4-line block ×8, first 2 shown]
	global_load_ushort v68, v[36:37], off
	global_load_ushort v69, v[38:39], off
	;; [unrolled: 1-line block ×8, first 2 shown]
	v_lshl_add_u64 v[36:37], s[8:9], 1, v[0:1]
	s_cselect_b32 s8, s6, 0xc40
	s_ashr_i32 s9, s8, 31
	s_cmpk_lt_u32 s24, 0x3201
	v_lshl_add_u64 v[38:39], s[8:9], 1, v[0:1]
	s_cselect_b32 s8, s6, 0xc80
	s_ashr_i32 s9, s8, 31
	s_cmpk_lt_u32 s24, 0x3301
	;; [unrolled: 4-line block ×8, first 2 shown]
	global_load_ushort v76, v[36:37], off
	global_load_ushort v77, v[38:39], off
	global_load_ushort v78, v[40:41], off
	global_load_ushort v79, v[42:43], off
	global_load_ushort v80, v[44:45], off
	global_load_ushort v81, v[46:47], off
	global_load_ushort v82, v[48:49], off
	global_load_ushort v83, v[50:51], off
	v_lshl_add_u64 v[36:37], s[8:9], 1, v[0:1]
	s_cselect_b32 s8, s6, 0xe40
	s_ashr_i32 s9, s8, 31
	s_cmpk_lt_u32 s24, 0x3a01
	v_lshl_add_u64 v[38:39], s[8:9], 1, v[0:1]
	s_cselect_b32 s8, s6, 0xe80
	s_ashr_i32 s9, s8, 31
	s_cmpk_lt_u32 s24, 0x3b01
	;; [unrolled: 4-line block ×6, first 2 shown]
	s_cselect_b32 s6, s6, 0xfc0
	s_ashr_i32 s7, s6, 31
	v_lshl_add_u64 v[48:49], s[8:9], 1, v[0:1]
	v_lshl_add_u64 v[0:1], s[6:7], 1, v[0:1]
	global_load_ushort v84, v[36:37], off
	global_load_ushort v85, v[38:39], off
	;; [unrolled: 1-line block ×8, first 2 shown]
	s_waitcnt vmcnt(31)
	v_cvt_f32_f16_e32 v67, v52
	s_waitcnt vmcnt(30)
	v_cvt_f32_f16_e32 v66, v53
	;; [unrolled: 2-line block ×32, first 2 shown]
.LBB72_12:
	ds_read_b128 v[68:71], v3
	ds_read_b128 v[72:75], v3 offset:16
	ds_read_b128 v[76:79], v3 offset:32
	;; [unrolled: 1-line block ×3, first 2 shown]
	s_load_dwordx2 s[6:7], s[0:1], 0x38
	s_andn2_b64 vcc, exec, s[4:5]
	s_waitcnt vmcnt(15) lgkmcnt(0)
	v_fma_mix_f32 v0, v68, v4, 0 op_sel_hi:[0,1,0]
	s_waitcnt vmcnt(14)
	v_fma_mix_f32 v0, v69, v5, v0 op_sel_hi:[0,1,0]
	s_waitcnt vmcnt(13)
	;; [unrolled: 2-line block ×15, first 2 shown]
	v_fma_mix_f32 v0, v83, v12, v0 op_sel_hi:[0,1,0]
	s_cbranch_vccnz .LBB72_15
; %bb.13:
	ds_read_b128 v[4:7], v3 offset:64
	ds_read_b128 v[8:11], v3 offset:80
	;; [unrolled: 1-line block ×4, first 2 shown]
	s_cmpk_lt_u32 s24, 0x2001
	s_waitcnt lgkmcnt(3)
	v_fma_mix_f32 v0, v4, v27, v0 op_sel_hi:[0,1,0]
	v_fma_mix_f32 v0, v5, v26, v0 op_sel_hi:[0,1,0]
	v_fma_mix_f32 v0, v6, v25, v0 op_sel_hi:[0,1,0]
	v_fma_mix_f32 v0, v7, v24, v0 op_sel_hi:[0,1,0]
	s_waitcnt lgkmcnt(2)
	v_fma_mix_f32 v0, v8, v23, v0 op_sel_hi:[0,1,0]
	v_fma_mix_f32 v0, v9, v22, v0 op_sel_hi:[0,1,0]
	v_fma_mix_f32 v0, v10, v21, v0 op_sel_hi:[0,1,0]
	v_fma_mix_f32 v0, v11, v20, v0 op_sel_hi:[0,1,0]
	;; [unrolled: 5-line block ×4, first 2 shown]
	s_cbranch_scc1 .LBB72_15
; %bb.14:
	v_mov_b32_e32 v1, 0
	ds_read_b128 v[4:7], v1 offset:128
	ds_read_b128 v[8:11], v1 offset:144
	;; [unrolled: 1-line block ×4, first 2 shown]
	s_waitcnt lgkmcnt(3)
	v_fmac_f32_e32 v0, v4, v67
	v_fmac_f32_e32 v0, v5, v66
	v_fmac_f32_e32 v0, v6, v65
	v_fmac_f32_e32 v0, v7, v64
	s_waitcnt lgkmcnt(2)
	v_fmac_f32_e32 v0, v8, v63
	v_fmac_f32_e32 v0, v9, v62
	v_fmac_f32_e32 v0, v10, v61
	v_fmac_f32_e32 v0, v11, v60
	;; [unrolled: 5-line block ×3, first 2 shown]
	ds_read_b128 v[4:7], v1 offset:192
	ds_read_b128 v[8:11], v1 offset:208
	s_waitcnt lgkmcnt(2)
	v_fmac_f32_e32 v0, v16, v55
	v_fmac_f32_e32 v0, v17, v54
	;; [unrolled: 1-line block ×4, first 2 shown]
	s_waitcnt lgkmcnt(1)
	v_fmac_f32_e32 v0, v4, v51
	v_fmac_f32_e32 v0, v5, v50
	;; [unrolled: 1-line block ×4, first 2 shown]
	ds_read_b128 v[4:7], v1 offset:224
	s_waitcnt lgkmcnt(1)
	v_fmac_f32_e32 v0, v8, v47
	v_fmac_f32_e32 v0, v9, v46
	;; [unrolled: 1-line block ×4, first 2 shown]
	ds_read_b128 v[8:11], v1 offset:240
	s_waitcnt lgkmcnt(1)
	v_fmac_f32_e32 v0, v4, v43
	v_fmac_f32_e32 v0, v5, v42
	;; [unrolled: 1-line block ×4, first 2 shown]
	s_waitcnt lgkmcnt(0)
	v_fmac_f32_e32 v0, v8, v39
	v_fmac_f32_e32 v0, v9, v38
	;; [unrolled: 1-line block ×4, first 2 shown]
.LBB72_15:
	s_load_dwordx2 s[0:1], s[0:1], 0x0
	ds_read_b32 v3, v3 offset:256
	s_cmp_eq_u64 s[6:7], 0
	s_cbranch_scc1 .LBB72_20
; %bb.16:
	s_load_dword s6, s[6:7], 0x0
	s_waitcnt lgkmcnt(0)
	v_div_scale_f32 v1, s[4:5], s6, s6, 1.0
	v_rcp_f32_e32 v4, v1
	v_div_scale_f32 v5, vcc, 1.0, s6, 1.0
	v_fma_f32 v6, -v1, v4, 1.0
	v_fmac_f32_e32 v4, v6, v4
	v_mul_f32_e32 v6, v5, v4
	v_fma_f32 v7, -v1, v6, v5
	v_fmac_f32_e32 v6, v7, v4
	v_fma_f32 v1, -v1, v6, v5
	v_div_fmas_f32 v1, v1, v4, v6
	v_div_fixup_f32 v1, v1, s6, 1.0
	s_andn2_b64 vcc, exec, s[16:17]
	s_cbranch_vccnz .LBB72_18
.LBB72_17:
	s_add_u32 s4, s14, s18
	s_addc_u32 s5, s15, s19
	s_load_dword s12, s[4:5], 0x0
	s_mov_b32 s13, 0
.LBB72_18:
	s_waitcnt lgkmcnt(0)
	v_add_f32_e32 v3, 0x358637bd, v3
	v_div_scale_f32 v4, s[4:5], v3, v3, 1.0
	v_rcp_f32_e32 v5, v4
	v_div_scale_f32 v6, vcc, 1.0, v3, 1.0
	s_mul_i32 s4, s3, s13
	v_fma_f32 v7, -v4, v5, 1.0
	v_fmac_f32_e32 v5, v7, v5
	v_mul_f32_e32 v7, v6, v5
	v_fma_f32 v8, -v4, v7, v6
	s_mul_hi_u32 s5, s3, s12
	v_fmac_f32_e32 v7, v8, v5
	s_add_i32 s5, s5, s4
	s_mul_i32 s4, s3, s12
	v_fma_f32 v4, -v4, v7, v6
	s_lshl_b64 s[4:5], s[4:5], 7
	v_div_fmas_f32 v4, v4, v5, v7
	s_add_u32 s4, s0, s4
	s_mov_b32 s3, 0
	v_div_fixup_f32 v3, v4, v3, 1.0
	s_addc_u32 s5, s1, s5
	s_lshl_b64 s[0:1], s[2:3], 7
	v_mul_f32_e32 v0, v0, v3
	s_add_u32 s0, s4, s0
	s_addc_u32 s1, s5, s1
	v_fma_mixlo_f16 v0, v0, v1, 0
	global_store_short v2, v0, s[0:1]
	s_endpgm
.LBB72_19:
	s_mov_b64 s[6:7], 0
	s_branch .LBB72_2
.LBB72_20:
	v_mov_b32_e32 v1, 1.0
	s_andn2_b64 vcc, exec, s[16:17]
	s_cbranch_vccz .LBB72_17
	s_branch .LBB72_18
	.section	.rodata,"a",@progbits
	.p2align	6, 0x0
	.amdhsa_kernel _Z35paged_attention_ll4mi_reduce_kernelIDF16_DF16_Li64ELi64ELi256ELi1EEvPT0_PKfS3_PKT_PKiS8_iS3_
		.amdhsa_group_segment_fixed_size 260
		.amdhsa_private_segment_fixed_size 0
		.amdhsa_kernarg_size 320
		.amdhsa_user_sgpr_count 2
		.amdhsa_user_sgpr_dispatch_ptr 0
		.amdhsa_user_sgpr_queue_ptr 0
		.amdhsa_user_sgpr_kernarg_segment_ptr 1
		.amdhsa_user_sgpr_dispatch_id 0
		.amdhsa_user_sgpr_kernarg_preload_length 0
		.amdhsa_user_sgpr_kernarg_preload_offset 0
		.amdhsa_user_sgpr_private_segment_size 0
		.amdhsa_uses_dynamic_stack 0
		.amdhsa_enable_private_segment 0
		.amdhsa_system_sgpr_workgroup_id_x 1
		.amdhsa_system_sgpr_workgroup_id_y 1
		.amdhsa_system_sgpr_workgroup_id_z 0
		.amdhsa_system_sgpr_workgroup_info 0
		.amdhsa_system_vgpr_workitem_id 0
		.amdhsa_next_free_vgpr 92
		.amdhsa_next_free_sgpr 30
		.amdhsa_accum_offset 92
		.amdhsa_reserve_vcc 1
		.amdhsa_float_round_mode_32 0
		.amdhsa_float_round_mode_16_64 0
		.amdhsa_float_denorm_mode_32 3
		.amdhsa_float_denorm_mode_16_64 3
		.amdhsa_dx10_clamp 1
		.amdhsa_ieee_mode 1
		.amdhsa_fp16_overflow 0
		.amdhsa_tg_split 0
		.amdhsa_exception_fp_ieee_invalid_op 0
		.amdhsa_exception_fp_denorm_src 0
		.amdhsa_exception_fp_ieee_div_zero 0
		.amdhsa_exception_fp_ieee_overflow 0
		.amdhsa_exception_fp_ieee_underflow 0
		.amdhsa_exception_fp_ieee_inexact 0
		.amdhsa_exception_int_div_zero 0
	.end_amdhsa_kernel
	.section	.text._Z35paged_attention_ll4mi_reduce_kernelIDF16_DF16_Li64ELi64ELi256ELi1EEvPT0_PKfS3_PKT_PKiS8_iS3_,"axG",@progbits,_Z35paged_attention_ll4mi_reduce_kernelIDF16_DF16_Li64ELi64ELi256ELi1EEvPT0_PKfS3_PKT_PKiS8_iS3_,comdat
.Lfunc_end72:
	.size	_Z35paged_attention_ll4mi_reduce_kernelIDF16_DF16_Li64ELi64ELi256ELi1EEvPT0_PKfS3_PKT_PKiS8_iS3_, .Lfunc_end72-_Z35paged_attention_ll4mi_reduce_kernelIDF16_DF16_Li64ELi64ELi256ELi1EEvPT0_PKfS3_PKT_PKiS8_iS3_
                                        ; -- End function
	.section	.AMDGPU.csdata,"",@progbits
; Kernel info:
; codeLenInByte = 4584
; NumSgprs: 36
; NumVgprs: 92
; NumAgprs: 0
; TotalNumVgprs: 92
; ScratchSize: 0
; MemoryBound: 0
; FloatMode: 240
; IeeeMode: 1
; LDSByteSize: 260 bytes/workgroup (compile time only)
; SGPRBlocks: 4
; VGPRBlocks: 11
; NumSGPRsForWavesPerEU: 36
; NumVGPRsForWavesPerEU: 92
; AccumOffset: 92
; Occupancy: 5
; WaveLimiterHint : 1
; COMPUTE_PGM_RSRC2:SCRATCH_EN: 0
; COMPUTE_PGM_RSRC2:USER_SGPR: 2
; COMPUTE_PGM_RSRC2:TRAP_HANDLER: 0
; COMPUTE_PGM_RSRC2:TGID_X_EN: 1
; COMPUTE_PGM_RSRC2:TGID_Y_EN: 1
; COMPUTE_PGM_RSRC2:TGID_Z_EN: 0
; COMPUTE_PGM_RSRC2:TIDIG_COMP_CNT: 0
; COMPUTE_PGM_RSRC3_GFX90A:ACCUM_OFFSET: 22
; COMPUTE_PGM_RSRC3_GFX90A:TG_SPLIT: 0
	.section	.text._Z35paged_attention_ll4mi_reduce_kernelIDF16_DF16_Li64ELi64ELi256ELi2EEvPT0_PKfS3_PKT_PKiS8_iS3_,"axG",@progbits,_Z35paged_attention_ll4mi_reduce_kernelIDF16_DF16_Li64ELi64ELi256ELi2EEvPT0_PKfS3_PKT_PKiS8_iS3_,comdat
	.protected	_Z35paged_attention_ll4mi_reduce_kernelIDF16_DF16_Li64ELi64ELi256ELi2EEvPT0_PKfS3_PKT_PKiS8_iS3_ ; -- Begin function _Z35paged_attention_ll4mi_reduce_kernelIDF16_DF16_Li64ELi64ELi256ELi2EEvPT0_PKfS3_PKT_PKiS8_iS3_
	.globl	_Z35paged_attention_ll4mi_reduce_kernelIDF16_DF16_Li64ELi64ELi256ELi2EEvPT0_PKfS3_PKT_PKiS8_iS3_
	.p2align	8
	.type	_Z35paged_attention_ll4mi_reduce_kernelIDF16_DF16_Li64ELi64ELi256ELi2EEvPT0_PKfS3_PKT_PKiS8_iS3_,@function
_Z35paged_attention_ll4mi_reduce_kernelIDF16_DF16_Li64ELi64ELi256ELi2EEvPT0_PKfS3_PKT_PKiS8_iS3_: ; @_Z35paged_attention_ll4mi_reduce_kernelIDF16_DF16_Li64ELi64ELi256ELi2EEvPT0_PKfS3_PKT_PKiS8_iS3_
; %bb.0:
	s_load_dwordx2 s[18:19], s[0:1], 0x28
	s_mov_b32 s16, s3
	s_mov_b64 s[4:5], 0
	s_waitcnt lgkmcnt(0)
	s_cmp_lg_u64 s[18:19], 0
	s_cselect_b64 s[20:21], -1, 0
	s_and_b64 vcc, exec, s[20:21]
	s_cbranch_vccz .LBB73_21
; %bb.1:
	s_add_i32 s6, s16, 1
	s_mov_b32 s7, 0
	s_lshl_b64 s[8:9], s[6:7], 2
	s_add_u32 s8, s18, s8
	s_mov_b32 s17, s7
	s_addc_u32 s9, s19, s9
	s_lshl_b64 s[6:7], s[16:17], 2
	s_add_u32 s6, s18, s6
	s_addc_u32 s7, s19, s7
	s_load_dword s3, s[8:9], 0x0
	s_load_dword s10, s[6:7], 0x0
	s_waitcnt lgkmcnt(0)
	s_sub_i32 s3, s3, s10
	s_cmp_eq_u32 s3, 1
	s_cselect_b64 s[6:7], -1, 0
	s_andn2_b64 vcc, exec, s[4:5]
	s_cbranch_vccnz .LBB73_3
.LBB73_2:
	s_mov_b32 s17, 0
	s_mov_b64 s[6:7], -1
.LBB73_3:
	s_andn2_b64 vcc, exec, s[6:7]
	s_cbranch_vccz .LBB73_5
; %bb.4:
	s_endpgm
.LBB73_5:
	s_load_dwordx4 s[8:11], s[0:1], 0x18
	s_load_dword s12, s[0:1], 0x30
	s_lshl_b64 s[22:23], s[16:17], 2
	v_cmp_lt_u32_e32 vcc, 63, v0
	s_waitcnt lgkmcnt(0)
	s_add_u32 s4, s10, s22
	s_addc_u32 s5, s11, s23
	s_load_dword s28, s[4:5], 0x0
	s_load_dword s3, s[0:1], 0x40
	s_mul_i32 s10, s2, s12
	s_mul_i32 s6, s16, s12
	s_waitcnt lgkmcnt(0)
	s_add_i32 s7, s28, 0xff
	s_ashr_i32 s4, s7, 31
	s_lshr_b32 s4, s4, 24
	s_add_i32 s7, s7, s4
	s_and_saveexec_b64 s[4:5], vcc
	s_xor_b64 s[4:5], exec, s[4:5]
	s_or_saveexec_b64 s[24:25], s[4:5]
	s_ashr_i32 s29, s7, 8
	v_mov_b32_e32 v1, s10
	s_mul_i32 s26, s6, s3
	s_xor_b64 exec, exec, s[24:25]
	s_cbranch_execz .LBB73_9
; %bb.6:
	s_load_dwordx4 s[12:15], s[0:1], 0x8
	s_mov_b32 s27, 0
	s_add_i32 s4, s29, -1
	v_or_b32_e32 v3, 64, v0
	s_lshl_b64 s[30:31], s[26:27], 2
	s_mov_b32 s11, s27
	v_mov_b32_e32 v1, s4
	v_cmp_gt_u32_e64 s[4:5], s29, v3
	s_waitcnt lgkmcnt(0)
	s_add_u32 s6, s14, s30
	v_cmp_gt_u32_e32 vcc, s29, v0
	v_cndmask_b32_e64 v4, v1, v3, s[4:5]
	s_addc_u32 s7, s15, s31
	s_lshl_b64 s[14:15], s[10:11], 2
	v_cndmask_b32_e32 v2, v1, v0, vcc
	s_add_u32 s6, s6, s14
	v_ashrrev_i32_e32 v5, 31, v4
	s_addc_u32 s7, s7, s15
	v_ashrrev_i32_e32 v3, 31, v2
	v_lshlrev_b64 v[4:5], 2, v[4:5]
	v_lshlrev_b64 v[2:3], 2, v[2:3]
	v_lshl_add_u64 v[8:9], s[6:7], 0, v[4:5]
	v_lshl_add_u64 v[6:7], s[6:7], 0, v[2:3]
	global_load_dword v1, v[8:9], off
	global_load_dword v10, v[6:7], off
	v_mbcnt_lo_u32_b32 v6, -1, 0
	v_mbcnt_hi_u32_b32 v6, -1, v6
	v_and_b32_e32 v7, 64, v6
	v_xor_b32_e32 v8, 32, v6
	v_add_u32_e32 v7, 64, v7
	v_cmp_lt_i32_e64 s[6:7], v8, v7
	v_xor_b32_e32 v12, 4, v6
	v_xor_b32_e32 v13, 2, v6
	v_cndmask_b32_e64 v8, v6, v8, s[6:7]
	s_add_u32 s6, s12, s30
	s_addc_u32 s7, s13, s31
	s_add_u32 s6, s6, s14
	s_addc_u32 s7, s7, s15
	v_lshl_add_u64 v[2:3], s[6:7], 0, v[2:3]
	v_lshl_add_u64 v[4:5], s[6:7], 0, v[4:5]
	global_load_dword v9, v[2:3], off
	global_load_dword v11, v[4:5], off
	v_lshlrev_b32_e32 v2, 2, v8
	v_xor_b32_e32 v5, 16, v6
	v_cmp_lt_i32_e64 s[6:7], v5, v7
	v_xor_b32_e32 v8, 8, v6
	v_xor_b32_e32 v14, 1, v6
	v_cndmask_b32_e64 v5, v6, v5, s[6:7]
	v_lshlrev_b32_e32 v5, 2, v5
	v_cmp_lt_i32_e64 s[6:7], v8, v7
	s_mov_b32 s11, 0xc2ce8ed0
	s_mov_b32 s12, 0x42b17218
	v_cndmask_b32_e64 v8, v6, v8, s[6:7]
	v_lshlrev_b32_e32 v8, 2, v8
	v_cmp_lt_i32_e64 s[6:7], v12, v7
	s_waitcnt vmcnt(3)
	v_max_f32_e32 v3, v1, v1
	s_waitcnt vmcnt(2)
	v_max_f32_e32 v4, v10, v10
	v_max_f32_e32 v3, v4, v3
	ds_bpermute_b32 v4, v2, v3
	v_cndmask_b32_e64 v12, v6, v12, s[6:7]
	v_lshlrev_b32_e32 v12, 2, v12
	v_cmp_lt_i32_e64 s[6:7], v13, v7
	s_waitcnt lgkmcnt(0)
	v_max_f32_e32 v4, v4, v4
	v_max_f32_e32 v3, v3, v4
	ds_bpermute_b32 v4, v5, v3
	v_cndmask_b32_e64 v13, v6, v13, s[6:7]
	v_lshlrev_b32_e32 v13, 2, v13
	v_cmp_lt_i32_e64 s[6:7], v14, v7
	s_waitcnt lgkmcnt(0)
	v_max_f32_e32 v4, v4, v4
	v_max_f32_e32 v3, v3, v4
	ds_bpermute_b32 v4, v8, v3
	v_cndmask_b32_e64 v6, v6, v14, s[6:7]
	v_lshlrev_b32_e32 v6, 2, v6
	s_mov_b32 s6, 0x3fb8aa3b
	s_waitcnt lgkmcnt(0)
	v_max_f32_e32 v4, v4, v4
	v_max_f32_e32 v3, v3, v4
	ds_bpermute_b32 v4, v12, v3
	s_waitcnt lgkmcnt(0)
	v_max_f32_e32 v4, v4, v4
	v_max_f32_e32 v3, v3, v4
	ds_bpermute_b32 v4, v13, v3
	;; [unrolled: 4-line block ×3, first 2 shown]
	s_waitcnt lgkmcnt(0)
	v_max_f32_e32 v4, v4, v4
	v_max_f32_e32 v3, v3, v4
	v_sub_f32_e32 v4, v10, v3
	v_sub_f32_e32 v1, v1, v3
	v_mul_f32_e32 v3, 0x3fb8aa3b, v4
	v_mul_f32_e32 v7, 0x3fb8aa3b, v1
	v_fma_f32 v10, v4, s6, -v3
	v_rndne_f32_e32 v14, v3
	v_fma_f32 v15, v1, s6, -v7
	v_rndne_f32_e32 v16, v7
	v_fmac_f32_e32 v10, 0x32a5705f, v4
	v_sub_f32_e32 v3, v3, v14
	v_fmac_f32_e32 v15, 0x32a5705f, v1
	v_sub_f32_e32 v7, v7, v16
	v_add_f32_e32 v3, v3, v10
	v_cvt_i32_f32_e32 v14, v14
	v_add_f32_e32 v7, v7, v15
	v_exp_f32_e32 v3, v3
	v_cvt_i32_f32_e32 v16, v16
	v_exp_f32_e32 v7, v7
	v_cmp_ngt_f32_e64 s[6:7], s11, v4
	v_ldexp_f32 v3, v3, v14
	v_mov_b32_e32 v10, 0x7f800000
	v_ldexp_f32 v7, v7, v16
	v_cndmask_b32_e64 v3, 0, v3, s[6:7]
	v_cmp_ngt_f32_e64 s[6:7], s11, v1
	v_lshlrev_b32_e32 v15, 2, v0
	s_nop 0
	v_cndmask_b32_e64 v7, 0, v7, s[6:7]
	v_cmp_nlt_f32_e64 s[6:7], s12, v4
	s_nop 1
	v_cndmask_b32_e64 v3, v10, v3, s[6:7]
	v_cmp_nlt_f32_e64 s[6:7], s12, v1
	v_cndmask_b32_e32 v3, 0, v3, vcc
	s_waitcnt vmcnt(1)
	v_mul_f32_e32 v3, v9, v3
	v_cndmask_b32_e64 v1, v10, v7, s[6:7]
	v_cndmask_b32_e64 v1, 0, v1, s[4:5]
	s_waitcnt vmcnt(0)
	v_mul_f32_e32 v4, v11, v1
	ds_write2st64_b32 v15, v3, v4 offset1:1
	v_fmac_f32_e32 v3, v11, v1
	ds_bpermute_b32 v1, v2, v3
	v_cmp_eq_u32_e32 vcc, 0, v0
	s_waitcnt lgkmcnt(0)
	v_add_f32_e32 v1, v3, v1
	ds_bpermute_b32 v2, v5, v1
	s_waitcnt lgkmcnt(0)
	v_add_f32_e32 v1, v1, v2
	ds_bpermute_b32 v2, v8, v1
	;; [unrolled: 3-line block ×5, first 2 shown]
	s_and_saveexec_b64 s[4:5], vcc
	s_cbranch_execz .LBB73_8
; %bb.7:
	s_waitcnt lgkmcnt(0)
	v_add_f32_e32 v1, v1, v2
	v_mov_b32_e32 v2, 0
	ds_write_b32 v2, v1 offset:512
.LBB73_8:
	s_or_b64 exec, exec, s[4:5]
	v_mov_b32_e32 v1, s10
.LBB73_9:
	s_or_b64 exec, exec, s[24:25]
	s_lshl_b32 s4, s26, 6
	s_mov_b32 s5, 0
	s_lshl_b64 s[4:5], s[4:5], 1
	s_add_u32 s4, s8, s4
	s_waitcnt lgkmcnt(0)
	v_lshlrev_b32_e32 v2, 6, v1
	v_mov_b32_e32 v3, 0
	s_addc_u32 s5, s9, s5
	v_lshl_add_u64 v[4:5], v[2:3], 1, s[4:5]
	s_lshl_b32 s4, s29, 6
	s_sub_i32 s6, s4, 64
	s_cmp_lt_i32 s28, 1
	s_cselect_b32 s4, s6, 0
	v_lshlrev_b32_e32 v2, 1, v0
	s_ashr_i32 s5, s4, 31
	v_lshl_add_u64 v[0:1], v[4:5], 0, v[2:3]
	s_cmpk_lt_i32 s28, 0x101
	v_lshl_add_u64 v[12:13], s[4:5], 1, v[0:1]
	s_cselect_b32 s4, s6, 64
	s_ashr_i32 s5, s4, 31
	s_cmpk_lt_i32 s28, 0x201
	v_lshl_add_u64 v[14:15], s[4:5], 1, v[0:1]
	s_cselect_b32 s4, s6, 0x80
	s_ashr_i32 s5, s4, 31
	s_cmpk_lt_i32 s28, 0x301
	v_lshl_add_u64 v[16:17], s[4:5], 1, v[0:1]
	s_cselect_b32 s4, s6, 0xc0
	s_ashr_i32 s5, s4, 31
	s_cmpk_lt_i32 s28, 0x401
	v_lshl_add_u64 v[18:19], s[4:5], 1, v[0:1]
	s_cselect_b32 s4, s6, 0x100
	s_ashr_i32 s5, s4, 31
	s_cmpk_lt_i32 s28, 0x501
	v_lshl_add_u64 v[20:21], s[4:5], 1, v[0:1]
	s_cselect_b32 s4, s6, 0x140
	s_ashr_i32 s5, s4, 31
	s_cmpk_lt_i32 s28, 0x601
	v_lshl_add_u64 v[22:23], s[4:5], 1, v[0:1]
	s_cselect_b32 s4, s6, 0x180
	s_ashr_i32 s5, s4, 31
	s_cmpk_lt_i32 s28, 0x701
	v_lshl_add_u64 v[24:25], s[4:5], 1, v[0:1]
	s_cselect_b32 s4, s6, 0x1c0
	s_ashr_i32 s5, s4, 31
	s_cmpk_lt_i32 s28, 0x801
	v_lshl_add_u64 v[26:27], s[4:5], 1, v[0:1]
	s_cselect_b32 s4, s6, 0x200
	s_ashr_i32 s5, s4, 31
	s_cmpk_lt_i32 s28, 0x901
	global_load_ushort v4, v[12:13], off
	global_load_ushort v5, v[14:15], off
	;; [unrolled: 1-line block ×8, first 2 shown]
	v_lshl_add_u64 v[20:21], s[4:5], 1, v[0:1]
	s_cselect_b32 s4, s6, 0x240
	s_ashr_i32 s5, s4, 31
	s_cmpk_lt_i32 s28, 0xa01
	v_lshl_add_u64 v[22:23], s[4:5], 1, v[0:1]
	s_cselect_b32 s4, s6, 0x280
	s_ashr_i32 s5, s4, 31
	s_cmpk_lt_i32 s28, 0xb01
	;; [unrolled: 4-line block ×6, first 2 shown]
	v_lshl_add_u64 v[32:33], s[4:5], 1, v[0:1]
	s_cselect_b32 s4, s6, 0x3c0
	s_ashr_i32 s5, s4, 31
	v_lshl_add_u64 v[34:35], s[4:5], 1, v[0:1]
	global_load_ushort v13, v[20:21], off
	global_load_ushort v14, v[22:23], off
	;; [unrolled: 1-line block ×8, first 2 shown]
	s_cmpk_gt_i32 s28, 0x1000
	s_cselect_b64 s[4:5], -1, 0
	s_cmpk_lt_i32 s28, 0x1001
	v_mov_b32_e32 v36, 0
	v_mov_b32_e32 v37, 0
	v_mov_b32_e32 v38, 0
	v_mov_b32_e32 v39, 0
	v_mov_b32_e32 v40, 0
	v_mov_b32_e32 v41, 0
	v_mov_b32_e32 v42, 0
	v_mov_b32_e32 v43, 0
	v_mov_b32_e32 v44, 0
	v_mov_b32_e32 v45, 0
	v_mov_b32_e32 v46, 0
	v_mov_b32_e32 v47, 0
	v_mov_b32_e32 v48, 0
	v_mov_b32_e32 v49, 0
	v_mov_b32_e32 v50, 0
	v_mov_b32_e32 v51, 0
	v_mov_b32_e32 v52, 0
	v_mov_b32_e32 v53, 0
	v_mov_b32_e32 v54, 0
	v_mov_b32_e32 v55, 0
	v_mov_b32_e32 v56, 0
	v_mov_b32_e32 v57, 0
	v_mov_b32_e32 v58, 0
	v_mov_b32_e32 v59, 0
	v_mov_b32_e32 v60, 0
	v_mov_b32_e32 v61, 0
	v_mov_b32_e32 v62, 0
	v_mov_b32_e32 v63, 0
	v_mov_b32_e32 v64, 0
	v_mov_b32_e32 v65, 0
	v_mov_b32_e32 v66, 0
	v_mov_b32_e32 v67, 0
	v_mov_b32_e32 v28, 0
	v_mov_b32_e32 v29, 0
	v_mov_b32_e32 v30, 0
	v_mov_b32_e32 v31, 0
	v_mov_b32_e32 v32, 0
	v_mov_b32_e32 v33, 0
	v_mov_b32_e32 v34, 0
	v_mov_b32_e32 v35, 0
	v_mov_b32_e32 v20, 0
	v_mov_b32_e32 v21, 0
	v_mov_b32_e32 v22, 0
	v_mov_b32_e32 v23, 0
	v_mov_b32_e32 v24, 0
	v_mov_b32_e32 v25, 0
	v_mov_b32_e32 v26, 0
	v_mov_b32_e32 v27, 0
	s_waitcnt lgkmcnt(0)
	; wave barrier
	s_cbranch_scc1 .LBB73_12
; %bb.10:
	s_cmpk_lt_u32 s28, 0x1101
	s_cselect_b32 s8, s6, 0x440
	s_ashr_i32 s9, s8, 31
	s_cmpk_lt_u32 s28, 0x1201
	v_lshl_add_u64 v[28:29], s[8:9], 1, v[0:1]
	s_cselect_b32 s8, s6, 0x480
	s_ashr_i32 s9, s8, 31
	s_cmpk_lt_u32 s28, 0x1301
	v_lshl_add_u64 v[30:31], s[8:9], 1, v[0:1]
	;; [unrolled: 4-line block ×7, first 2 shown]
	s_cselect_b32 s8, s6, 0x600
	s_ashr_i32 s9, s8, 31
	s_cmpk_lt_u32 s28, 0x1901
	global_load_ushort v27, v[0:1], off offset:2048
	global_load_ushort v26, v[28:29], off
	global_load_ushort v25, v[30:31], off
	;; [unrolled: 1-line block ×7, first 2 shown]
	v_lshl_add_u64 v[36:37], s[8:9], 1, v[0:1]
	s_cselect_b32 s8, s6, 0x640
	s_ashr_i32 s9, s8, 31
	s_cmpk_lt_u32 s28, 0x1a01
	v_lshl_add_u64 v[38:39], s[8:9], 1, v[0:1]
	s_cselect_b32 s8, s6, 0x680
	s_ashr_i32 s9, s8, 31
	s_cmpk_lt_u32 s28, 0x1b01
	v_lshl_add_u64 v[40:41], s[8:9], 1, v[0:1]
	s_cselect_b32 s8, s6, 0x6c0
	s_ashr_i32 s9, s8, 31
	s_cmpk_lt_u32 s28, 0x1c01
	v_lshl_add_u64 v[42:43], s[8:9], 1, v[0:1]
	s_cselect_b32 s8, s6, 0x700
	s_ashr_i32 s9, s8, 31
	s_cmpk_lt_u32 s28, 0x1d01
	v_lshl_add_u64 v[44:45], s[8:9], 1, v[0:1]
	s_cselect_b32 s8, s6, 0x740
	s_ashr_i32 s9, s8, 31
	s_cmpk_lt_u32 s28, 0x1e01
	v_lshl_add_u64 v[46:47], s[8:9], 1, v[0:1]
	s_cselect_b32 s8, s6, 0x780
	s_ashr_i32 s9, s8, 31
	s_cmpk_lt_u32 s28, 0x1f01
	v_lshl_add_u64 v[48:49], s[8:9], 1, v[0:1]
	s_cselect_b32 s8, s6, 0x7c0
	s_ashr_i32 s9, s8, 31
	v_lshl_add_u64 v[50:51], s[8:9], 1, v[0:1]
	global_load_ushort v35, v[36:37], off
	global_load_ushort v34, v[38:39], off
	;; [unrolled: 1-line block ×8, first 2 shown]
	s_cmpk_lt_u32 s28, 0x2001
	v_mov_b32_e32 v67, 0
	v_mov_b32_e32 v66, 0
	;; [unrolled: 1-line block ×32, first 2 shown]
	s_cbranch_scc1 .LBB73_12
; %bb.11:
	s_cmpk_lt_u32 s28, 0x2101
	s_cselect_b32 s8, s6, 0x840
	s_ashr_i32 s9, s8, 31
	s_cmpk_lt_u32 s28, 0x2201
	v_lshl_add_u64 v[38:39], s[8:9], 1, v[0:1]
	s_cselect_b32 s8, s6, 0x880
	s_ashr_i32 s9, s8, 31
	s_cmpk_lt_u32 s28, 0x2301
	v_lshl_add_u64 v[40:41], s[8:9], 1, v[0:1]
	;; [unrolled: 4-line block ×7, first 2 shown]
	s_cselect_b32 s8, s6, 0xa00
	v_add_co_u32_e32 v36, vcc, 0x1000, v0
	s_ashr_i32 s9, s8, 31
	s_nop 0
	v_addc_co_u32_e32 v37, vcc, 0, v1, vcc
	s_cmpk_lt_u32 s28, 0x2901
	global_load_ushort v52, v[36:37], off
	global_load_ushort v53, v[38:39], off
	global_load_ushort v54, v[40:41], off
	global_load_ushort v55, v[42:43], off
	global_load_ushort v56, v[44:45], off
	global_load_ushort v57, v[46:47], off
	global_load_ushort v58, v[48:49], off
	global_load_ushort v59, v[50:51], off
	v_lshl_add_u64 v[36:37], s[8:9], 1, v[0:1]
	s_cselect_b32 s8, s6, 0xa40
	s_ashr_i32 s9, s8, 31
	s_cmpk_lt_u32 s28, 0x2a01
	v_lshl_add_u64 v[38:39], s[8:9], 1, v[0:1]
	s_cselect_b32 s8, s6, 0xa80
	s_ashr_i32 s9, s8, 31
	s_cmpk_lt_u32 s28, 0x2b01
	;; [unrolled: 4-line block ×8, first 2 shown]
	global_load_ushort v68, v[36:37], off
	global_load_ushort v69, v[38:39], off
	;; [unrolled: 1-line block ×8, first 2 shown]
	v_lshl_add_u64 v[36:37], s[8:9], 1, v[0:1]
	s_cselect_b32 s8, s6, 0xc40
	s_ashr_i32 s9, s8, 31
	s_cmpk_lt_u32 s28, 0x3201
	v_lshl_add_u64 v[38:39], s[8:9], 1, v[0:1]
	s_cselect_b32 s8, s6, 0xc80
	s_ashr_i32 s9, s8, 31
	s_cmpk_lt_u32 s28, 0x3301
	v_lshl_add_u64 v[40:41], s[8:9], 1, v[0:1]
	s_cselect_b32 s8, s6, 0xcc0
	s_ashr_i32 s9, s8, 31
	s_cmpk_lt_u32 s28, 0x3401
	v_lshl_add_u64 v[42:43], s[8:9], 1, v[0:1]
	s_cselect_b32 s8, s6, 0xd00
	s_ashr_i32 s9, s8, 31
	s_cmpk_lt_u32 s28, 0x3501
	v_lshl_add_u64 v[44:45], s[8:9], 1, v[0:1]
	s_cselect_b32 s8, s6, 0xd40
	s_ashr_i32 s9, s8, 31
	s_cmpk_lt_u32 s28, 0x3601
	v_lshl_add_u64 v[46:47], s[8:9], 1, v[0:1]
	s_cselect_b32 s8, s6, 0xd80
	s_ashr_i32 s9, s8, 31
	s_cmpk_lt_u32 s28, 0x3701
	v_lshl_add_u64 v[48:49], s[8:9], 1, v[0:1]
	s_cselect_b32 s8, s6, 0xdc0
	s_ashr_i32 s9, s8, 31
	s_cmpk_lt_u32 s28, 0x3801
	v_lshl_add_u64 v[50:51], s[8:9], 1, v[0:1]
	s_cselect_b32 s8, s6, 0xe00
	s_ashr_i32 s9, s8, 31
	s_cmpk_lt_u32 s28, 0x3901
	global_load_ushort v76, v[36:37], off
	global_load_ushort v77, v[38:39], off
	;; [unrolled: 1-line block ×8, first 2 shown]
	v_lshl_add_u64 v[36:37], s[8:9], 1, v[0:1]
	s_cselect_b32 s8, s6, 0xe40
	s_ashr_i32 s9, s8, 31
	s_cmpk_lt_u32 s28, 0x3a01
	v_lshl_add_u64 v[38:39], s[8:9], 1, v[0:1]
	s_cselect_b32 s8, s6, 0xe80
	s_ashr_i32 s9, s8, 31
	s_cmpk_lt_u32 s28, 0x3b01
	;; [unrolled: 4-line block ×6, first 2 shown]
	v_lshl_add_u64 v[48:49], s[8:9], 1, v[0:1]
	s_cselect_b32 s8, s6, 0xfc0
	s_ashr_i32 s9, s8, 31
	v_lshl_add_u64 v[50:51], s[8:9], 1, v[0:1]
	global_load_ushort v84, v[36:37], off
	global_load_ushort v85, v[38:39], off
	global_load_ushort v86, v[40:41], off
	global_load_ushort v87, v[42:43], off
	global_load_ushort v88, v[44:45], off
	global_load_ushort v89, v[46:47], off
	global_load_ushort v90, v[48:49], off
	global_load_ushort v91, v[50:51], off
	s_waitcnt vmcnt(31)
	v_cvt_f32_f16_e32 v67, v52
	s_waitcnt vmcnt(30)
	v_cvt_f32_f16_e32 v66, v53
	;; [unrolled: 2-line block ×32, first 2 shown]
.LBB73_12:
	ds_read_b128 v[68:71], v3
	ds_read_b128 v[72:75], v3 offset:16
	ds_read_b128 v[76:79], v3 offset:32
	;; [unrolled: 1-line block ×3, first 2 shown]
	s_andn2_b64 vcc, exec, s[4:5]
	s_waitcnt vmcnt(15) lgkmcnt(3)
	v_fma_mix_f32 v4, v68, v4, 0 op_sel_hi:[0,1,0]
	s_waitcnt vmcnt(14)
	v_fma_mix_f32 v4, v69, v5, v4 op_sel_hi:[0,1,0]
	s_waitcnt vmcnt(13)
	v_fma_mix_f32 v4, v70, v6, v4 op_sel_hi:[0,1,0]
	s_waitcnt vmcnt(12)
	v_fma_mix_f32 v4, v71, v7, v4 op_sel_hi:[0,1,0]
	s_waitcnt vmcnt(11) lgkmcnt(2)
	v_fma_mix_f32 v4, v72, v8, v4 op_sel_hi:[0,1,0]
	s_waitcnt vmcnt(10)
	v_fma_mix_f32 v4, v73, v9, v4 op_sel_hi:[0,1,0]
	s_waitcnt vmcnt(9)
	v_fma_mix_f32 v4, v74, v10, v4 op_sel_hi:[0,1,0]
	s_waitcnt vmcnt(8)
	v_fma_mix_f32 v4, v75, v11, v4 op_sel_hi:[0,1,0]
	;; [unrolled: 8-line block ×4, first 2 shown]
	s_cbranch_vccnz .LBB73_15
; %bb.13:
	ds_read_b128 v[6:9], v3 offset:64
	ds_read_b128 v[10:13], v3 offset:80
	;; [unrolled: 1-line block ×4, first 2 shown]
	s_cmpk_lt_u32 s28, 0x2001
	s_waitcnt lgkmcnt(3)
	v_fma_mix_f32 v3, v6, v27, v4 op_sel_hi:[0,1,0]
	v_fma_mix_f32 v3, v7, v26, v3 op_sel_hi:[0,1,0]
	v_fma_mix_f32 v3, v8, v25, v3 op_sel_hi:[0,1,0]
	v_fma_mix_f32 v3, v9, v24, v3 op_sel_hi:[0,1,0]
	s_waitcnt lgkmcnt(2)
	v_fma_mix_f32 v3, v10, v23, v3 op_sel_hi:[0,1,0]
	v_fma_mix_f32 v3, v11, v22, v3 op_sel_hi:[0,1,0]
	v_fma_mix_f32 v3, v12, v21, v3 op_sel_hi:[0,1,0]
	v_fma_mix_f32 v3, v13, v20, v3 op_sel_hi:[0,1,0]
	;; [unrolled: 5-line block ×4, first 2 shown]
	s_cbranch_scc1 .LBB73_15
; %bb.14:
	v_mov_b32_e32 v3, 0
	ds_read_b128 v[6:9], v3 offset:128
	ds_read_b128 v[10:13], v3 offset:144
	;; [unrolled: 1-line block ×4, first 2 shown]
	s_waitcnt lgkmcnt(3)
	v_fmac_f32_e32 v4, v6, v67
	v_fmac_f32_e32 v4, v7, v66
	v_fmac_f32_e32 v4, v8, v65
	v_fmac_f32_e32 v4, v9, v64
	s_waitcnt lgkmcnt(2)
	v_fmac_f32_e32 v4, v10, v63
	v_fmac_f32_e32 v4, v11, v62
	v_fmac_f32_e32 v4, v12, v61
	v_fmac_f32_e32 v4, v13, v60
	;; [unrolled: 5-line block ×3, first 2 shown]
	ds_read_b128 v[6:9], v3 offset:192
	ds_read_b128 v[10:13], v3 offset:208
	s_waitcnt lgkmcnt(2)
	v_fmac_f32_e32 v4, v18, v55
	v_fmac_f32_e32 v4, v19, v54
	;; [unrolled: 1-line block ×4, first 2 shown]
	s_waitcnt lgkmcnt(1)
	v_fmac_f32_e32 v4, v6, v51
	v_fmac_f32_e32 v4, v7, v50
	;; [unrolled: 1-line block ×4, first 2 shown]
	ds_read_b128 v[6:9], v3 offset:224
	s_waitcnt lgkmcnt(1)
	v_fmac_f32_e32 v4, v10, v47
	v_fmac_f32_e32 v4, v11, v46
	;; [unrolled: 1-line block ×4, first 2 shown]
	ds_read_b128 v[10:13], v3 offset:240
	s_waitcnt lgkmcnt(1)
	v_fmac_f32_e32 v4, v6, v43
	v_fmac_f32_e32 v4, v7, v42
	v_fmac_f32_e32 v4, v8, v41
	v_fmac_f32_e32 v4, v9, v40
	s_waitcnt lgkmcnt(0)
	v_fmac_f32_e32 v4, v10, v39
	v_fmac_f32_e32 v4, v11, v38
	;; [unrolled: 1-line block ×4, first 2 shown]
.LBB73_15:
	s_load_dwordx2 s[4:5], s[0:1], 0x38
	s_cmpk_lt_i32 s28, 0x4001
	s_cbranch_scc1 .LBB73_17
; %bb.16:
	s_cmpk_lt_u32 s28, 0x4101
	s_cselect_b32 s8, s6, 0x1040
	s_ashr_i32 s9, s8, 31
	s_cmpk_lt_u32 s28, 0x4201
	v_lshl_add_u64 v[14:15], s[8:9], 1, v[0:1]
	s_cselect_b32 s8, s6, 0x1080
	s_ashr_i32 s9, s8, 31
	s_cmpk_lt_u32 s28, 0x4301
	v_lshl_add_u64 v[16:17], s[8:9], 1, v[0:1]
	;; [unrolled: 4-line block ×7, first 2 shown]
	s_cselect_b32 s8, s6, 0x1200
	v_add_co_u32_e32 v12, vcc, 0x2000, v0
	s_ashr_i32 s9, s8, 31
	s_nop 0
	v_addc_co_u32_e32 v13, vcc, 0, v1, vcc
	s_cmpk_lt_u32 s28, 0x4901
	global_load_ushort v3, v[12:13], off
	global_load_ushort v5, v[14:15], off
	global_load_ushort v6, v[16:17], off
	global_load_ushort v7, v[18:19], off
	global_load_ushort v8, v[20:21], off
	global_load_ushort v9, v[22:23], off
	global_load_ushort v10, v[24:25], off
	global_load_ushort v11, v[26:27], off
	v_lshl_add_u64 v[12:13], s[8:9], 1, v[0:1]
	s_cselect_b32 s8, s6, 0x1240
	s_ashr_i32 s9, s8, 31
	s_cmpk_lt_u32 s28, 0x4a01
	v_lshl_add_u64 v[14:15], s[8:9], 1, v[0:1]
	s_cselect_b32 s8, s6, 0x1280
	s_ashr_i32 s9, s8, 31
	s_cmpk_lt_u32 s28, 0x4b01
	v_lshl_add_u64 v[16:17], s[8:9], 1, v[0:1]
	s_cselect_b32 s8, s6, 0x12c0
	s_ashr_i32 s9, s8, 31
	s_cmpk_lt_u32 s28, 0x4c01
	v_lshl_add_u64 v[18:19], s[8:9], 1, v[0:1]
	s_cselect_b32 s8, s6, 0x1300
	s_ashr_i32 s9, s8, 31
	s_cmpk_lt_u32 s28, 0x4d01
	v_lshl_add_u64 v[20:21], s[8:9], 1, v[0:1]
	s_cselect_b32 s8, s6, 0x1340
	s_ashr_i32 s9, s8, 31
	s_cmpk_lt_u32 s28, 0x4e01
	v_lshl_add_u64 v[22:23], s[8:9], 1, v[0:1]
	s_cselect_b32 s8, s6, 0x1380
	s_ashr_i32 s9, s8, 31
	s_cmpk_lt_u32 s28, 0x4f01
	v_lshl_add_u64 v[24:25], s[8:9], 1, v[0:1]
	s_cselect_b32 s8, s6, 0x13c0
	s_ashr_i32 s9, s8, 31
	s_cmpk_lt_u32 s28, 0x5001
	v_lshl_add_u64 v[26:27], s[8:9], 1, v[0:1]
	s_cselect_b32 s8, s6, 0x1400
	s_ashr_i32 s9, s8, 31
	s_cmpk_lt_u32 s28, 0x5101
	global_load_ushort v28, v[12:13], off
	global_load_ushort v29, v[14:15], off
	global_load_ushort v30, v[16:17], off
	global_load_ushort v31, v[18:19], off
	global_load_ushort v32, v[20:21], off
	global_load_ushort v33, v[22:23], off
	global_load_ushort v34, v[24:25], off
	global_load_ushort v35, v[26:27], off
	v_lshl_add_u64 v[12:13], s[8:9], 1, v[0:1]
	s_cselect_b32 s8, s6, 0x1440
	s_ashr_i32 s9, s8, 31
	s_cmpk_lt_u32 s28, 0x5201
	v_lshl_add_u64 v[14:15], s[8:9], 1, v[0:1]
	s_cselect_b32 s8, s6, 0x1480
	s_ashr_i32 s9, s8, 31
	s_cmpk_lt_u32 s28, 0x5301
	v_lshl_add_u64 v[16:17], s[8:9], 1, v[0:1]
	s_cselect_b32 s8, s6, 0x14c0
	s_ashr_i32 s9, s8, 31
	s_cmpk_lt_u32 s28, 0x5401
	v_lshl_add_u64 v[18:19], s[8:9], 1, v[0:1]
	s_cselect_b32 s8, s6, 0x1500
	s_ashr_i32 s9, s8, 31
	s_cmpk_lt_u32 s28, 0x5501
	v_lshl_add_u64 v[20:21], s[8:9], 1, v[0:1]
	s_cselect_b32 s8, s6, 0x1540
	s_ashr_i32 s9, s8, 31
	s_cmpk_lt_u32 s28, 0x5601
	v_lshl_add_u64 v[22:23], s[8:9], 1, v[0:1]
	s_cselect_b32 s8, s6, 0x1580
	s_ashr_i32 s9, s8, 31
	s_cmpk_lt_u32 s28, 0x5701
	v_lshl_add_u64 v[24:25], s[8:9], 1, v[0:1]
	s_cselect_b32 s8, s6, 0x15c0
	s_ashr_i32 s9, s8, 31
	s_cmpk_lt_u32 s28, 0x5801
	v_lshl_add_u64 v[26:27], s[8:9], 1, v[0:1]
	s_cselect_b32 s8, s6, 0x1600
	s_ashr_i32 s9, s8, 31
	;; [unrolled: 40-line block ×6, first 2 shown]
	s_cmpk_lt_u32 s28, 0x7901
	global_load_ushort v68, v[12:13], off
	global_load_ushort v69, v[14:15], off
	;; [unrolled: 1-line block ×8, first 2 shown]
	v_lshl_add_u64 v[12:13], s[8:9], 1, v[0:1]
	s_cselect_b32 s8, s6, 0x1e40
	s_ashr_i32 s9, s8, 31
	s_cmpk_lt_u32 s28, 0x7a01
	v_lshl_add_u64 v[14:15], s[8:9], 1, v[0:1]
	s_cselect_b32 s8, s6, 0x1e80
	s_ashr_i32 s9, s8, 31
	s_cmpk_lt_u32 s28, 0x7b01
	;; [unrolled: 4-line block ×6, first 2 shown]
	s_cselect_b32 s6, s6, 0x1fc0
	s_ashr_i32 s7, s6, 31
	v_lshl_add_u64 v[24:25], s[8:9], 1, v[0:1]
	v_lshl_add_u64 v[0:1], s[6:7], 1, v[0:1]
	global_load_ushort v76, v[12:13], off
	global_load_ushort v77, v[14:15], off
	;; [unrolled: 1-line block ×8, first 2 shown]
	v_mov_b32_e32 v0, 0
	ds_read_b128 v[12:15], v0 offset:256
	ds_read_b128 v[16:19], v0 offset:272
	;; [unrolled: 1-line block ×4, first 2 shown]
	s_waitcnt vmcnt(62) lgkmcnt(0)
	v_fma_mix_f32 v1, v12, v3, v4 op_sel_hi:[0,1,0]
	v_fma_mix_f32 v1, v13, v5, v1 op_sel_hi:[0,1,0]
	s_waitcnt vmcnt(61)
	v_fma_mix_f32 v1, v14, v6, v1 op_sel_hi:[0,1,0]
	s_waitcnt vmcnt(60)
	;; [unrolled: 2-line block ×10, first 2 shown]
	v_fma_mix_f32 v1, v23, v31, v1 op_sel_hi:[0,1,0]
	ds_read_b128 v[4:7], v0 offset:320
	ds_read_b128 v[8:11], v0 offset:336
	s_waitcnt vmcnt(51)
	v_fma_mix_f32 v1, v24, v32, v1 op_sel_hi:[0,1,0]
	s_waitcnt vmcnt(50)
	v_fma_mix_f32 v1, v25, v33, v1 op_sel_hi:[0,1,0]
	;; [unrolled: 2-line block ×4, first 2 shown]
	s_waitcnt vmcnt(47) lgkmcnt(1)
	v_fma_mix_f32 v1, v4, v36, v1 op_sel_hi:[0,1,0]
	s_waitcnt vmcnt(46)
	v_fma_mix_f32 v1, v5, v37, v1 op_sel_hi:[0,1,0]
	s_waitcnt vmcnt(45)
	v_fma_mix_f32 v1, v6, v38, v1 op_sel_hi:[0,1,0]
	s_waitcnt vmcnt(44)
	v_fma_mix_f32 v1, v7, v39, v1 op_sel_hi:[0,1,0]
	ds_read_b128 v[4:7], v0 offset:352
	s_waitcnt vmcnt(43) lgkmcnt(1)
	v_fma_mix_f32 v1, v8, v40, v1 op_sel_hi:[0,1,0]
	s_waitcnt vmcnt(42)
	v_fma_mix_f32 v1, v9, v41, v1 op_sel_hi:[0,1,0]
	s_waitcnt vmcnt(41)
	v_fma_mix_f32 v1, v10, v42, v1 op_sel_hi:[0,1,0]
	s_waitcnt vmcnt(40)
	v_fma_mix_f32 v1, v11, v43, v1 op_sel_hi:[0,1,0]
	ds_read_b128 v[8:11], v0 offset:368
	s_waitcnt vmcnt(39) lgkmcnt(1)
	v_fma_mix_f32 v1, v4, v44, v1 op_sel_hi:[0,1,0]
	s_waitcnt vmcnt(38)
	v_fma_mix_f32 v1, v5, v45, v1 op_sel_hi:[0,1,0]
	s_waitcnt vmcnt(37)
	v_fma_mix_f32 v1, v6, v46, v1 op_sel_hi:[0,1,0]
	s_waitcnt vmcnt(36)
	v_fma_mix_f32 v1, v7, v47, v1 op_sel_hi:[0,1,0]
	ds_read_b128 v[4:7], v0 offset:384
	s_waitcnt vmcnt(35) lgkmcnt(1)
	v_fma_mix_f32 v1, v8, v48, v1 op_sel_hi:[0,1,0]
	s_waitcnt vmcnt(34)
	v_fma_mix_f32 v1, v9, v49, v1 op_sel_hi:[0,1,0]
	s_waitcnt vmcnt(33)
	v_fma_mix_f32 v1, v10, v50, v1 op_sel_hi:[0,1,0]
	s_waitcnt vmcnt(32)
	v_fma_mix_f32 v1, v11, v51, v1 op_sel_hi:[0,1,0]
	ds_read_b128 v[8:11], v0 offset:400
	s_waitcnt vmcnt(31) lgkmcnt(1)
	v_fma_mix_f32 v1, v4, v52, v1 op_sel_hi:[0,1,0]
	s_waitcnt vmcnt(30)
	v_fma_mix_f32 v1, v5, v53, v1 op_sel_hi:[0,1,0]
	s_waitcnt vmcnt(29)
	v_fma_mix_f32 v1, v6, v54, v1 op_sel_hi:[0,1,0]
	s_waitcnt vmcnt(28)
	v_fma_mix_f32 v1, v7, v55, v1 op_sel_hi:[0,1,0]
	ds_read_b128 v[4:7], v0 offset:416
	s_waitcnt vmcnt(27) lgkmcnt(1)
	v_fma_mix_f32 v1, v8, v56, v1 op_sel_hi:[0,1,0]
	s_waitcnt vmcnt(26)
	v_fma_mix_f32 v1, v9, v57, v1 op_sel_hi:[0,1,0]
	s_waitcnt vmcnt(25)
	v_fma_mix_f32 v1, v10, v58, v1 op_sel_hi:[0,1,0]
	s_waitcnt vmcnt(24)
	v_fma_mix_f32 v1, v11, v59, v1 op_sel_hi:[0,1,0]
	ds_read_b128 v[8:11], v0 offset:432
	s_waitcnt vmcnt(23) lgkmcnt(1)
	v_fma_mix_f32 v1, v4, v60, v1 op_sel_hi:[0,1,0]
	s_waitcnt vmcnt(22)
	v_fma_mix_f32 v1, v5, v61, v1 op_sel_hi:[0,1,0]
	s_waitcnt vmcnt(21)
	v_fma_mix_f32 v1, v6, v62, v1 op_sel_hi:[0,1,0]
	s_waitcnt vmcnt(20)
	v_fma_mix_f32 v1, v7, v63, v1 op_sel_hi:[0,1,0]
	ds_read_b128 v[4:7], v0 offset:448
	s_waitcnt vmcnt(19) lgkmcnt(1)
	v_fma_mix_f32 v1, v8, v64, v1 op_sel_hi:[0,1,0]
	s_waitcnt vmcnt(18)
	v_fma_mix_f32 v1, v9, v65, v1 op_sel_hi:[0,1,0]
	s_waitcnt vmcnt(17)
	v_fma_mix_f32 v1, v10, v66, v1 op_sel_hi:[0,1,0]
	s_waitcnt vmcnt(16)
	v_fma_mix_f32 v1, v11, v67, v1 op_sel_hi:[0,1,0]
	ds_read_b128 v[8:11], v0 offset:464
	s_waitcnt vmcnt(15) lgkmcnt(1)
	v_fma_mix_f32 v1, v4, v68, v1 op_sel_hi:[0,1,0]
	s_waitcnt vmcnt(14)
	v_fma_mix_f32 v1, v5, v69, v1 op_sel_hi:[0,1,0]
	s_waitcnt vmcnt(13)
	v_fma_mix_f32 v1, v6, v70, v1 op_sel_hi:[0,1,0]
	s_waitcnt vmcnt(12)
	v_fma_mix_f32 v1, v7, v71, v1 op_sel_hi:[0,1,0]
	ds_read_b128 v[4:7], v0 offset:480
	s_waitcnt vmcnt(11) lgkmcnt(1)
	v_fma_mix_f32 v1, v8, v72, v1 op_sel_hi:[0,1,0]
	s_waitcnt vmcnt(10)
	v_fma_mix_f32 v1, v9, v73, v1 op_sel_hi:[0,1,0]
	s_waitcnt vmcnt(9)
	v_fma_mix_f32 v1, v10, v74, v1 op_sel_hi:[0,1,0]
	s_waitcnt vmcnt(8)
	v_fma_mix_f32 v1, v11, v75, v1 op_sel_hi:[0,1,0]
	ds_read_b128 v[8:11], v0 offset:496
	s_waitcnt vmcnt(7) lgkmcnt(1)
	v_fma_mix_f32 v0, v4, v76, v1 op_sel_hi:[0,1,0]
	s_waitcnt vmcnt(6)
	v_fma_mix_f32 v0, v5, v77, v0 op_sel_hi:[0,1,0]
	s_waitcnt vmcnt(5)
	;; [unrolled: 2-line block ×3, first 2 shown]
	v_fma_mix_f32 v0, v7, v79, v0 op_sel_hi:[0,1,0]
	s_waitcnt vmcnt(3) lgkmcnt(0)
	v_fma_mix_f32 v0, v8, v80, v0 op_sel_hi:[0,1,0]
	s_waitcnt vmcnt(2)
	v_fma_mix_f32 v0, v9, v81, v0 op_sel_hi:[0,1,0]
	s_waitcnt vmcnt(1)
	;; [unrolled: 2-line block ×3, first 2 shown]
	v_fma_mix_f32 v4, v11, v83, v0 op_sel_hi:[0,1,0]
.LBB73_17:
	v_mov_b32_e32 v0, 0
	s_load_dwordx2 s[0:1], s[0:1], 0x0
	ds_read_b32 v1, v0 offset:512
	s_waitcnt lgkmcnt(0)
	s_cmp_eq_u64 s[4:5], 0
	s_cbranch_scc1 .LBB73_22
; %bb.18:
	s_load_dword s6, s[4:5], 0x0
	s_waitcnt lgkmcnt(0)
	v_div_scale_f32 v0, s[4:5], s6, s6, 1.0
	v_rcp_f32_e32 v3, v0
	v_div_scale_f32 v5, vcc, 1.0, s6, 1.0
	v_fma_f32 v6, -v0, v3, 1.0
	v_fmac_f32_e32 v3, v6, v3
	v_mul_f32_e32 v6, v5, v3
	v_fma_f32 v7, -v0, v6, v5
	v_fmac_f32_e32 v6, v7, v3
	v_fma_f32 v0, -v0, v6, v5
	v_div_fmas_f32 v0, v0, v3, v6
	v_div_fixup_f32 v0, v0, s6, 1.0
	s_andn2_b64 vcc, exec, s[20:21]
	s_cbranch_vccnz .LBB73_20
.LBB73_19:
	s_add_u32 s4, s18, s22
	s_addc_u32 s5, s19, s23
	s_load_dword s16, s[4:5], 0x0
	s_mov_b32 s17, 0
.LBB73_20:
	v_add_f32_e32 v1, 0x358637bd, v1
	v_div_scale_f32 v3, s[4:5], v1, v1, 1.0
	v_rcp_f32_e32 v5, v3
	v_div_scale_f32 v6, vcc, 1.0, v1, 1.0
	s_mul_i32 s4, s3, s17
	v_fma_f32 v7, -v3, v5, 1.0
	v_fmac_f32_e32 v5, v7, v5
	v_mul_f32_e32 v7, v6, v5
	v_fma_f32 v8, -v3, v7, v6
	s_waitcnt lgkmcnt(0)
	s_mul_hi_u32 s5, s3, s16
	v_fmac_f32_e32 v7, v8, v5
	s_add_i32 s5, s5, s4
	s_mul_i32 s4, s3, s16
	v_fma_f32 v3, -v3, v7, v6
	s_lshl_b64 s[4:5], s[4:5], 7
	v_div_fmas_f32 v3, v3, v5, v7
	s_add_u32 s4, s0, s4
	s_mov_b32 s3, 0
	v_div_fixup_f32 v1, v3, v1, 1.0
	s_addc_u32 s5, s1, s5
	s_lshl_b64 s[0:1], s[2:3], 7
	v_mul_f32_e32 v1, v4, v1
	s_add_u32 s0, s4, s0
	s_addc_u32 s1, s5, s1
	v_fma_mixlo_f16 v0, v1, v0, 0
	global_store_short v2, v0, s[0:1]
	s_endpgm
.LBB73_21:
	s_mov_b64 s[6:7], 0
	s_branch .LBB73_2
.LBB73_22:
	v_mov_b32_e32 v0, 1.0
	s_andn2_b64 vcc, exec, s[20:21]
	s_cbranch_vccz .LBB73_19
	s_branch .LBB73_20
	.section	.rodata,"a",@progbits
	.p2align	6, 0x0
	.amdhsa_kernel _Z35paged_attention_ll4mi_reduce_kernelIDF16_DF16_Li64ELi64ELi256ELi2EEvPT0_PKfS3_PKT_PKiS8_iS3_
		.amdhsa_group_segment_fixed_size 516
		.amdhsa_private_segment_fixed_size 0
		.amdhsa_kernarg_size 320
		.amdhsa_user_sgpr_count 2
		.amdhsa_user_sgpr_dispatch_ptr 0
		.amdhsa_user_sgpr_queue_ptr 0
		.amdhsa_user_sgpr_kernarg_segment_ptr 1
		.amdhsa_user_sgpr_dispatch_id 0
		.amdhsa_user_sgpr_kernarg_preload_length 0
		.amdhsa_user_sgpr_kernarg_preload_offset 0
		.amdhsa_user_sgpr_private_segment_size 0
		.amdhsa_uses_dynamic_stack 0
		.amdhsa_enable_private_segment 0
		.amdhsa_system_sgpr_workgroup_id_x 1
		.amdhsa_system_sgpr_workgroup_id_y 1
		.amdhsa_system_sgpr_workgroup_id_z 0
		.amdhsa_system_sgpr_workgroup_info 0
		.amdhsa_system_vgpr_workitem_id 0
		.amdhsa_next_free_vgpr 92
		.amdhsa_next_free_sgpr 32
		.amdhsa_accum_offset 92
		.amdhsa_reserve_vcc 1
		.amdhsa_float_round_mode_32 0
		.amdhsa_float_round_mode_16_64 0
		.amdhsa_float_denorm_mode_32 3
		.amdhsa_float_denorm_mode_16_64 3
		.amdhsa_dx10_clamp 1
		.amdhsa_ieee_mode 1
		.amdhsa_fp16_overflow 0
		.amdhsa_tg_split 0
		.amdhsa_exception_fp_ieee_invalid_op 0
		.amdhsa_exception_fp_denorm_src 0
		.amdhsa_exception_fp_ieee_div_zero 0
		.amdhsa_exception_fp_ieee_overflow 0
		.amdhsa_exception_fp_ieee_underflow 0
		.amdhsa_exception_fp_ieee_inexact 0
		.amdhsa_exception_int_div_zero 0
	.end_amdhsa_kernel
	.section	.text._Z35paged_attention_ll4mi_reduce_kernelIDF16_DF16_Li64ELi64ELi256ELi2EEvPT0_PKfS3_PKT_PKiS8_iS3_,"axG",@progbits,_Z35paged_attention_ll4mi_reduce_kernelIDF16_DF16_Li64ELi64ELi256ELi2EEvPT0_PKfS3_PKT_PKiS8_iS3_,comdat
.Lfunc_end73:
	.size	_Z35paged_attention_ll4mi_reduce_kernelIDF16_DF16_Li64ELi64ELi256ELi2EEvPT0_PKfS3_PKT_PKiS8_iS3_, .Lfunc_end73-_Z35paged_attention_ll4mi_reduce_kernelIDF16_DF16_Li64ELi64ELi256ELi2EEvPT0_PKfS3_PKT_PKiS8_iS3_
                                        ; -- End function
	.section	.AMDGPU.csdata,"",@progbits
; Kernel info:
; codeLenInByte = 7720
; NumSgprs: 38
; NumVgprs: 92
; NumAgprs: 0
; TotalNumVgprs: 92
; ScratchSize: 0
; MemoryBound: 0
; FloatMode: 240
; IeeeMode: 1
; LDSByteSize: 516 bytes/workgroup (compile time only)
; SGPRBlocks: 4
; VGPRBlocks: 11
; NumSGPRsForWavesPerEU: 38
; NumVGPRsForWavesPerEU: 92
; AccumOffset: 92
; Occupancy: 5
; WaveLimiterHint : 1
; COMPUTE_PGM_RSRC2:SCRATCH_EN: 0
; COMPUTE_PGM_RSRC2:USER_SGPR: 2
; COMPUTE_PGM_RSRC2:TRAP_HANDLER: 0
; COMPUTE_PGM_RSRC2:TGID_X_EN: 1
; COMPUTE_PGM_RSRC2:TGID_Y_EN: 1
; COMPUTE_PGM_RSRC2:TGID_Z_EN: 0
; COMPUTE_PGM_RSRC2:TIDIG_COMP_CNT: 0
; COMPUTE_PGM_RSRC3_GFX90A:ACCUM_OFFSET: 22
; COMPUTE_PGM_RSRC3_GFX90A:TG_SPLIT: 0
	.section	.text._Z35paged_attention_ll4mi_reduce_kernelIDF16_DF16_Li64ELi64ELi256ELi3EEvPT0_PKfS3_PKT_PKiS8_iS3_,"axG",@progbits,_Z35paged_attention_ll4mi_reduce_kernelIDF16_DF16_Li64ELi64ELi256ELi3EEvPT0_PKfS3_PKT_PKiS8_iS3_,comdat
	.protected	_Z35paged_attention_ll4mi_reduce_kernelIDF16_DF16_Li64ELi64ELi256ELi3EEvPT0_PKfS3_PKT_PKiS8_iS3_ ; -- Begin function _Z35paged_attention_ll4mi_reduce_kernelIDF16_DF16_Li64ELi64ELi256ELi3EEvPT0_PKfS3_PKT_PKiS8_iS3_
	.globl	_Z35paged_attention_ll4mi_reduce_kernelIDF16_DF16_Li64ELi64ELi256ELi3EEvPT0_PKfS3_PKT_PKiS8_iS3_
	.p2align	8
	.type	_Z35paged_attention_ll4mi_reduce_kernelIDF16_DF16_Li64ELi64ELi256ELi3EEvPT0_PKfS3_PKT_PKiS8_iS3_,@function
_Z35paged_attention_ll4mi_reduce_kernelIDF16_DF16_Li64ELi64ELi256ELi3EEvPT0_PKfS3_PKT_PKiS8_iS3_: ; @_Z35paged_attention_ll4mi_reduce_kernelIDF16_DF16_Li64ELi64ELi256ELi3EEvPT0_PKfS3_PKT_PKiS8_iS3_
; %bb.0:
	s_load_dwordx2 s[20:21], s[0:1], 0x28
	s_mov_b32 s10, s3
	s_mov_b64 s[4:5], 0
	s_waitcnt lgkmcnt(0)
	s_cmp_lg_u64 s[20:21], 0
	s_cselect_b64 s[22:23], -1, 0
	s_and_b64 vcc, exec, s[22:23]
	s_cbranch_vccz .LBB74_23
; %bb.1:
	s_add_i32 s6, s10, 1
	s_mov_b32 s7, 0
	s_lshl_b64 s[8:9], s[6:7], 2
	s_add_u32 s8, s20, s8
	s_mov_b32 s11, s7
	s_addc_u32 s9, s21, s9
	s_lshl_b64 s[6:7], s[10:11], 2
	s_add_u32 s6, s20, s6
	s_addc_u32 s7, s21, s7
	s_load_dword s3, s[8:9], 0x0
	s_load_dword s12, s[6:7], 0x0
	s_waitcnt lgkmcnt(0)
	s_sub_i32 s3, s3, s12
	s_cmp_eq_u32 s3, 1
	s_cselect_b64 s[6:7], -1, 0
	s_andn2_b64 vcc, exec, s[4:5]
	s_cbranch_vccnz .LBB74_3
.LBB74_2:
	s_mov_b32 s11, 0
	s_mov_b64 s[6:7], -1
.LBB74_3:
	s_andn2_b64 vcc, exec, s[6:7]
	s_cbranch_vccz .LBB74_5
; %bb.4:
	s_endpgm
.LBB74_5:
	s_load_dwordx4 s[12:15], s[0:1], 0x18
	s_load_dword s8, s[0:1], 0x30
	s_lshl_b64 s[24:25], s[10:11], 2
	v_cmp_lt_u32_e32 vcc, 63, v0
	s_waitcnt lgkmcnt(0)
	s_add_u32 s4, s14, s24
	s_addc_u32 s5, s15, s25
	s_load_dword s30, s[4:5], 0x0
	s_load_dword s3, s[0:1], 0x40
	s_mul_i32 s14, s2, s8
	s_mul_i32 s6, s10, s8
	s_waitcnt lgkmcnt(0)
	s_add_i32 s7, s30, 0xff
	s_ashr_i32 s4, s7, 31
	s_lshr_b32 s4, s4, 24
	s_add_i32 s7, s7, s4
	s_and_saveexec_b64 s[4:5], vcc
	s_xor_b64 s[4:5], exec, s[4:5]
	s_or_saveexec_b64 s[26:27], s[4:5]
	s_ashr_i32 s31, s7, 8
	v_mov_b32_e32 v1, s14
	s_mul_i32 s28, s6, s3
	s_xor_b64 exec, exec, s[26:27]
	s_cbranch_execz .LBB74_9
; %bb.6:
	s_load_dwordx4 s[16:19], s[0:1], 0x8
	s_mov_b32 s29, 0
	s_add_i32 s4, s31, -1
	v_or_b32_e32 v3, 64, v0
	v_mov_b32_e32 v1, s4
	v_cmp_gt_u32_e64 s[4:5], s31, v3
	s_lshl_b64 s[34:35], s[28:29], 2
	s_mov_b32 s15, s29
	v_cmp_gt_u32_e32 vcc, s31, v0
	v_cndmask_b32_e64 v4, v1, v3, s[4:5]
	v_or_b32_e32 v3, 0x80, v0
	s_waitcnt lgkmcnt(0)
	s_add_u32 s8, s18, s34
	v_cndmask_b32_e32 v2, v1, v0, vcc
	v_cmp_gt_u32_e64 s[6:7], s31, v3
	s_addc_u32 s9, s19, s35
	s_lshl_b64 s[18:19], s[14:15], 2
	v_cndmask_b32_e64 v6, v1, v3, s[6:7]
	s_add_u32 s8, s8, s18
	v_ashrrev_i32_e32 v3, 31, v2
	s_addc_u32 s9, s9, s19
	v_lshlrev_b64 v[2:3], 2, v[2:3]
	v_ashrrev_i32_e32 v5, 31, v4
	v_ashrrev_i32_e32 v7, 31, v6
	v_lshl_add_u64 v[8:9], s[8:9], 0, v[2:3]
	v_lshlrev_b64 v[4:5], 2, v[4:5]
	v_lshlrev_b64 v[6:7], 2, v[6:7]
	v_lshl_add_u64 v[10:11], s[8:9], 0, v[4:5]
	v_lshl_add_u64 v[12:13], s[8:9], 0, v[6:7]
	global_load_dword v1, v[8:9], off
	global_load_dword v14, v[10:11], off
	;; [unrolled: 1-line block ×3, first 2 shown]
	v_mbcnt_lo_u32_b32 v8, -1, 0
	v_mbcnt_hi_u32_b32 v8, -1, v8
	v_and_b32_e32 v9, 64, v8
	v_xor_b32_e32 v10, 32, v8
	v_add_u32_e32 v9, 64, v9
	v_xor_b32_e32 v11, 16, v8
	v_cmp_lt_i32_e64 s[8:9], v10, v9
	v_xor_b32_e32 v12, 8, v8
	s_mov_b32 s15, 0xc2ce8ed0
	v_cndmask_b32_e64 v10, v8, v10, s[8:9]
	v_cmp_lt_i32_e64 s[8:9], v11, v9
	v_lshlrev_b32_e32 v10, 2, v10
	s_waitcnt vmcnt(0)
	v_max3_f32 v13, v1, v14, v15
	v_cndmask_b32_e64 v11, v8, v11, s[8:9]
	v_cmp_lt_i32_e64 s[8:9], v12, v9
	ds_bpermute_b32 v16, v10, v13
	v_lshlrev_b32_e32 v11, 2, v11
	v_cndmask_b32_e64 v12, v8, v12, s[8:9]
	s_add_u32 s8, s16, s34
	s_addc_u32 s9, s17, s35
	s_add_u32 s8, s8, s18
	s_addc_u32 s9, s9, s19
	v_lshl_add_u64 v[2:3], s[8:9], 0, v[2:3]
	v_lshl_add_u64 v[4:5], s[8:9], 0, v[4:5]
	global_load_dword v17, v[2:3], off
	global_load_dword v18, v[4:5], off
	v_lshl_add_u64 v[2:3], s[8:9], 0, v[6:7]
	global_load_dword v3, v[2:3], off
	s_waitcnt lgkmcnt(0)
	v_max_f32_e32 v16, v16, v16
	v_max_f32_e32 v13, v13, v16
	ds_bpermute_b32 v16, v11, v13
	v_lshlrev_b32_e32 v12, 2, v12
	v_xor_b32_e32 v5, 4, v8
	v_cmp_lt_i32_e64 s[8:9], v5, v9
	v_xor_b32_e32 v6, 2, v8
	s_waitcnt lgkmcnt(0)
	v_max_f32_e32 v2, v16, v16
	v_max_f32_e32 v2, v13, v2
	ds_bpermute_b32 v4, v12, v2
	v_cndmask_b32_e64 v5, v8, v5, s[8:9]
	v_lshlrev_b32_e32 v5, 2, v5
	v_cmp_lt_i32_e64 s[8:9], v6, v9
	v_xor_b32_e32 v7, 1, v8
	s_waitcnt lgkmcnt(0)
	v_max_f32_e32 v4, v4, v4
	v_max_f32_e32 v2, v2, v4
	ds_bpermute_b32 v4, v5, v2
	v_cndmask_b32_e64 v6, v8, v6, s[8:9]
	v_lshlrev_b32_e32 v6, 2, v6
	v_cmp_lt_i32_e64 s[8:9], v7, v9
	s_mov_b32 s16, 0x42b17218
	s_waitcnt lgkmcnt(0)
	v_max_f32_e32 v4, v4, v4
	v_max_f32_e32 v2, v2, v4
	ds_bpermute_b32 v4, v6, v2
	v_cndmask_b32_e64 v7, v8, v7, s[8:9]
	v_lshlrev_b32_e32 v7, 2, v7
	s_mov_b32 s8, 0x3fb8aa3b
	v_mov_b32_e32 v8, 0x7f800000
	s_waitcnt lgkmcnt(0)
	v_max_f32_e32 v4, v4, v4
	v_max_f32_e32 v2, v2, v4
	ds_bpermute_b32 v4, v7, v2
	s_waitcnt lgkmcnt(0)
	v_max_f32_e32 v4, v4, v4
	v_max_f32_e32 v2, v2, v4
	v_sub_f32_e32 v1, v1, v2
	v_sub_f32_e32 v4, v14, v2
	v_mul_f32_e32 v9, 0x3fb8aa3b, v1
	v_sub_f32_e32 v2, v15, v2
	v_mul_f32_e32 v13, 0x3fb8aa3b, v4
	v_fma_f32 v15, v1, s8, -v9
	v_rndne_f32_e32 v16, v9
	v_mul_f32_e32 v14, 0x3fb8aa3b, v2
	v_fma_f32 v19, v4, s8, -v13
	v_rndne_f32_e32 v20, v13
	v_fmac_f32_e32 v15, 0x32a5705f, v1
	v_sub_f32_e32 v9, v9, v16
	v_fma_f32 v21, v2, s8, -v14
	v_rndne_f32_e32 v22, v14
	v_fmac_f32_e32 v19, 0x32a5705f, v4
	v_sub_f32_e32 v13, v13, v20
	v_add_f32_e32 v9, v9, v15
	v_cvt_i32_f32_e32 v16, v16
	v_fmac_f32_e32 v21, 0x32a5705f, v2
	v_sub_f32_e32 v14, v14, v22
	v_add_f32_e32 v13, v13, v19
	v_exp_f32_e32 v9, v9
	v_cvt_i32_f32_e32 v20, v20
	v_add_f32_e32 v14, v14, v21
	v_exp_f32_e32 v13, v13
	v_cvt_i32_f32_e32 v22, v22
	v_exp_f32_e32 v14, v14
	v_ldexp_f32 v9, v9, v16
	v_cmp_ngt_f32_e64 s[8:9], s15, v1
	v_ldexp_f32 v13, v13, v20
	v_ldexp_f32 v14, v14, v22
	v_cndmask_b32_e64 v9, 0, v9, s[8:9]
	v_cmp_ngt_f32_e64 s[8:9], s15, v4
	v_lshlrev_b32_e32 v15, 2, v0
	s_nop 0
	v_cndmask_b32_e64 v13, 0, v13, s[8:9]
	v_cmp_ngt_f32_e64 s[8:9], s15, v2
	s_nop 1
	v_cndmask_b32_e64 v14, 0, v14, s[8:9]
	v_cmp_nlt_f32_e64 s[8:9], s16, v1
	s_nop 1
	v_cndmask_b32_e64 v1, v8, v9, s[8:9]
	v_cmp_nlt_f32_e64 s[8:9], s16, v4
	v_cndmask_b32_e32 v1, 0, v1, vcc
	s_waitcnt vmcnt(2)
	v_mul_f32_e32 v1, v17, v1
	v_cndmask_b32_e64 v4, v8, v13, s[8:9]
	v_cmp_nlt_f32_e64 s[8:9], s16, v2
	v_cndmask_b32_e64 v4, 0, v4, s[4:5]
	v_cmp_eq_u32_e32 vcc, 0, v0
	v_cndmask_b32_e64 v2, v8, v14, s[8:9]
	v_cndmask_b32_e64 v8, 0, v2, s[6:7]
	s_waitcnt vmcnt(1)
	v_mul_f32_e32 v2, v18, v4
	ds_write2st64_b32 v15, v1, v2 offset1:1
	v_fmac_f32_e32 v1, v18, v4
	s_waitcnt vmcnt(0)
	v_fmac_f32_e32 v1, v3, v8
	ds_bpermute_b32 v2, v10, v1
	v_mul_f32_e32 v3, v3, v8
	ds_write_b32 v15, v3 offset:512
	s_waitcnt lgkmcnt(1)
	v_add_f32_e32 v1, v1, v2
	ds_bpermute_b32 v2, v11, v1
	s_waitcnt lgkmcnt(0)
	v_add_f32_e32 v1, v1, v2
	ds_bpermute_b32 v2, v12, v1
	;; [unrolled: 3-line block ×5, first 2 shown]
	s_and_saveexec_b64 s[4:5], vcc
	s_cbranch_execz .LBB74_8
; %bb.7:
	s_waitcnt lgkmcnt(0)
	v_add_f32_e32 v1, v1, v2
	v_mov_b32_e32 v2, 0
	ds_write_b32 v2, v1 offset:768
.LBB74_8:
	s_or_b64 exec, exec, s[4:5]
	v_mov_b32_e32 v1, s14
.LBB74_9:
	s_or_b64 exec, exec, s[26:27]
	s_lshl_b32 s4, s28, 6
	s_mov_b32 s5, 0
	s_lshl_b64 s[4:5], s[4:5], 1
	s_add_u32 s4, s12, s4
	s_waitcnt lgkmcnt(0)
	v_lshlrev_b32_e32 v2, 6, v1
	v_mov_b32_e32 v3, 0
	s_addc_u32 s5, s13, s5
	v_lshl_add_u64 v[4:5], v[2:3], 1, s[4:5]
	s_lshl_b32 s4, s31, 6
	s_sub_i32 s6, s4, 64
	s_cmp_lt_i32 s30, 1
	s_cselect_b32 s4, s6, 0
	v_lshlrev_b32_e32 v2, 1, v0
	s_ashr_i32 s5, s4, 31
	v_lshl_add_u64 v[0:1], v[4:5], 0, v[2:3]
	s_cmpk_lt_i32 s30, 0x101
	v_lshl_add_u64 v[12:13], s[4:5], 1, v[0:1]
	s_cselect_b32 s4, s6, 64
	s_ashr_i32 s5, s4, 31
	s_cmpk_lt_i32 s30, 0x201
	v_lshl_add_u64 v[14:15], s[4:5], 1, v[0:1]
	s_cselect_b32 s4, s6, 0x80
	s_ashr_i32 s5, s4, 31
	;; [unrolled: 4-line block ×8, first 2 shown]
	s_cmpk_lt_i32 s30, 0x901
	global_load_ushort v4, v[12:13], off
	global_load_ushort v5, v[14:15], off
	;; [unrolled: 1-line block ×8, first 2 shown]
	v_lshl_add_u64 v[20:21], s[4:5], 1, v[0:1]
	s_cselect_b32 s4, s6, 0x240
	s_ashr_i32 s5, s4, 31
	s_cmpk_lt_i32 s30, 0xa01
	v_lshl_add_u64 v[22:23], s[4:5], 1, v[0:1]
	s_cselect_b32 s4, s6, 0x280
	s_ashr_i32 s5, s4, 31
	s_cmpk_lt_i32 s30, 0xb01
	;; [unrolled: 4-line block ×6, first 2 shown]
	v_lshl_add_u64 v[32:33], s[4:5], 1, v[0:1]
	s_cselect_b32 s4, s6, 0x3c0
	s_ashr_i32 s5, s4, 31
	v_lshl_add_u64 v[34:35], s[4:5], 1, v[0:1]
	global_load_ushort v13, v[20:21], off
	global_load_ushort v14, v[22:23], off
	;; [unrolled: 1-line block ×8, first 2 shown]
	s_cmpk_gt_i32 s30, 0x1000
	s_cselect_b64 s[4:5], -1, 0
	s_cmpk_lt_i32 s30, 0x1001
	v_mov_b32_e32 v36, 0
	v_mov_b32_e32 v37, 0
	;; [unrolled: 1-line block ×48, first 2 shown]
	s_waitcnt lgkmcnt(0)
	; wave barrier
	s_cbranch_scc1 .LBB74_12
; %bb.10:
	s_cmpk_lt_u32 s30, 0x1101
	s_cselect_b32 s8, s6, 0x440
	s_ashr_i32 s9, s8, 31
	s_cmpk_lt_u32 s30, 0x1201
	v_lshl_add_u64 v[28:29], s[8:9], 1, v[0:1]
	s_cselect_b32 s8, s6, 0x480
	s_ashr_i32 s9, s8, 31
	s_cmpk_lt_u32 s30, 0x1301
	v_lshl_add_u64 v[30:31], s[8:9], 1, v[0:1]
	;; [unrolled: 4-line block ×7, first 2 shown]
	s_cselect_b32 s8, s6, 0x600
	s_ashr_i32 s9, s8, 31
	s_cmpk_lt_u32 s30, 0x1901
	global_load_ushort v27, v[0:1], off offset:2048
	global_load_ushort v26, v[28:29], off
	global_load_ushort v25, v[30:31], off
	;; [unrolled: 1-line block ×7, first 2 shown]
	v_lshl_add_u64 v[36:37], s[8:9], 1, v[0:1]
	s_cselect_b32 s8, s6, 0x640
	s_ashr_i32 s9, s8, 31
	s_cmpk_lt_u32 s30, 0x1a01
	v_lshl_add_u64 v[38:39], s[8:9], 1, v[0:1]
	s_cselect_b32 s8, s6, 0x680
	s_ashr_i32 s9, s8, 31
	s_cmpk_lt_u32 s30, 0x1b01
	v_lshl_add_u64 v[40:41], s[8:9], 1, v[0:1]
	s_cselect_b32 s8, s6, 0x6c0
	s_ashr_i32 s9, s8, 31
	s_cmpk_lt_u32 s30, 0x1c01
	v_lshl_add_u64 v[42:43], s[8:9], 1, v[0:1]
	s_cselect_b32 s8, s6, 0x700
	s_ashr_i32 s9, s8, 31
	s_cmpk_lt_u32 s30, 0x1d01
	v_lshl_add_u64 v[44:45], s[8:9], 1, v[0:1]
	s_cselect_b32 s8, s6, 0x740
	s_ashr_i32 s9, s8, 31
	s_cmpk_lt_u32 s30, 0x1e01
	v_lshl_add_u64 v[46:47], s[8:9], 1, v[0:1]
	s_cselect_b32 s8, s6, 0x780
	s_ashr_i32 s9, s8, 31
	s_cmpk_lt_u32 s30, 0x1f01
	v_lshl_add_u64 v[48:49], s[8:9], 1, v[0:1]
	s_cselect_b32 s8, s6, 0x7c0
	s_ashr_i32 s9, s8, 31
	v_lshl_add_u64 v[50:51], s[8:9], 1, v[0:1]
	global_load_ushort v35, v[36:37], off
	global_load_ushort v34, v[38:39], off
	;; [unrolled: 1-line block ×8, first 2 shown]
	s_cmpk_lt_u32 s30, 0x2001
	v_mov_b32_e32 v67, 0
	v_mov_b32_e32 v66, 0
	;; [unrolled: 1-line block ×32, first 2 shown]
	s_cbranch_scc1 .LBB74_12
; %bb.11:
	s_cmpk_lt_u32 s30, 0x2101
	s_cselect_b32 s8, s6, 0x840
	s_ashr_i32 s9, s8, 31
	s_cmpk_lt_u32 s30, 0x2201
	v_lshl_add_u64 v[38:39], s[8:9], 1, v[0:1]
	s_cselect_b32 s8, s6, 0x880
	s_ashr_i32 s9, s8, 31
	s_cmpk_lt_u32 s30, 0x2301
	v_lshl_add_u64 v[40:41], s[8:9], 1, v[0:1]
	;; [unrolled: 4-line block ×7, first 2 shown]
	s_cselect_b32 s8, s6, 0xa00
	v_add_co_u32_e32 v36, vcc, 0x1000, v0
	s_ashr_i32 s9, s8, 31
	s_nop 0
	v_addc_co_u32_e32 v37, vcc, 0, v1, vcc
	s_cmpk_lt_u32 s30, 0x2901
	global_load_ushort v52, v[36:37], off
	global_load_ushort v53, v[38:39], off
	;; [unrolled: 1-line block ×8, first 2 shown]
	v_lshl_add_u64 v[36:37], s[8:9], 1, v[0:1]
	s_cselect_b32 s8, s6, 0xa40
	s_ashr_i32 s9, s8, 31
	s_cmpk_lt_u32 s30, 0x2a01
	v_lshl_add_u64 v[38:39], s[8:9], 1, v[0:1]
	s_cselect_b32 s8, s6, 0xa80
	s_ashr_i32 s9, s8, 31
	s_cmpk_lt_u32 s30, 0x2b01
	;; [unrolled: 4-line block ×8, first 2 shown]
	global_load_ushort v68, v[36:37], off
	global_load_ushort v69, v[38:39], off
	;; [unrolled: 1-line block ×8, first 2 shown]
	v_lshl_add_u64 v[36:37], s[8:9], 1, v[0:1]
	s_cselect_b32 s8, s6, 0xc40
	s_ashr_i32 s9, s8, 31
	s_cmpk_lt_u32 s30, 0x3201
	v_lshl_add_u64 v[38:39], s[8:9], 1, v[0:1]
	s_cselect_b32 s8, s6, 0xc80
	s_ashr_i32 s9, s8, 31
	s_cmpk_lt_u32 s30, 0x3301
	;; [unrolled: 4-line block ×8, first 2 shown]
	global_load_ushort v76, v[36:37], off
	global_load_ushort v77, v[38:39], off
	;; [unrolled: 1-line block ×8, first 2 shown]
	v_lshl_add_u64 v[36:37], s[8:9], 1, v[0:1]
	s_cselect_b32 s8, s6, 0xe40
	s_ashr_i32 s9, s8, 31
	s_cmpk_lt_u32 s30, 0x3a01
	v_lshl_add_u64 v[38:39], s[8:9], 1, v[0:1]
	s_cselect_b32 s8, s6, 0xe80
	s_ashr_i32 s9, s8, 31
	s_cmpk_lt_u32 s30, 0x3b01
	;; [unrolled: 4-line block ×6, first 2 shown]
	v_lshl_add_u64 v[48:49], s[8:9], 1, v[0:1]
	s_cselect_b32 s8, s6, 0xfc0
	s_ashr_i32 s9, s8, 31
	v_lshl_add_u64 v[50:51], s[8:9], 1, v[0:1]
	global_load_ushort v84, v[36:37], off
	global_load_ushort v85, v[38:39], off
	global_load_ushort v86, v[40:41], off
	global_load_ushort v87, v[42:43], off
	global_load_ushort v88, v[44:45], off
	global_load_ushort v89, v[46:47], off
	global_load_ushort v90, v[48:49], off
	global_load_ushort v91, v[50:51], off
	s_waitcnt vmcnt(31)
	v_cvt_f32_f16_e32 v67, v52
	s_waitcnt vmcnt(30)
	v_cvt_f32_f16_e32 v66, v53
	;; [unrolled: 2-line block ×32, first 2 shown]
.LBB74_12:
	ds_read_b128 v[68:71], v3
	ds_read_b128 v[72:75], v3 offset:16
	ds_read_b128 v[76:79], v3 offset:32
	ds_read_b128 v[80:83], v3 offset:48
	s_andn2_b64 vcc, exec, s[4:5]
	s_waitcnt vmcnt(15) lgkmcnt(3)
	v_fma_mix_f32 v4, v68, v4, 0 op_sel_hi:[0,1,0]
	s_waitcnt vmcnt(14)
	v_fma_mix_f32 v4, v69, v5, v4 op_sel_hi:[0,1,0]
	s_waitcnt vmcnt(13)
	v_fma_mix_f32 v4, v70, v6, v4 op_sel_hi:[0,1,0]
	s_waitcnt vmcnt(12)
	v_fma_mix_f32 v4, v71, v7, v4 op_sel_hi:[0,1,0]
	s_waitcnt vmcnt(11) lgkmcnt(2)
	v_fma_mix_f32 v4, v72, v8, v4 op_sel_hi:[0,1,0]
	s_waitcnt vmcnt(10)
	v_fma_mix_f32 v4, v73, v9, v4 op_sel_hi:[0,1,0]
	s_waitcnt vmcnt(9)
	v_fma_mix_f32 v4, v74, v10, v4 op_sel_hi:[0,1,0]
	s_waitcnt vmcnt(8)
	v_fma_mix_f32 v4, v75, v11, v4 op_sel_hi:[0,1,0]
	;; [unrolled: 8-line block ×4, first 2 shown]
	s_cbranch_vccnz .LBB74_15
; %bb.13:
	ds_read_b128 v[6:9], v3 offset:64
	ds_read_b128 v[10:13], v3 offset:80
	ds_read_b128 v[14:17], v3 offset:96
	ds_read_b128 v[68:71], v3 offset:112
	s_cmpk_lt_u32 s30, 0x2001
	s_waitcnt lgkmcnt(3)
	v_fma_mix_f32 v3, v6, v27, v4 op_sel_hi:[0,1,0]
	v_fma_mix_f32 v3, v7, v26, v3 op_sel_hi:[0,1,0]
	v_fma_mix_f32 v3, v8, v25, v3 op_sel_hi:[0,1,0]
	v_fma_mix_f32 v3, v9, v24, v3 op_sel_hi:[0,1,0]
	s_waitcnt lgkmcnt(2)
	v_fma_mix_f32 v3, v10, v23, v3 op_sel_hi:[0,1,0]
	v_fma_mix_f32 v3, v11, v22, v3 op_sel_hi:[0,1,0]
	v_fma_mix_f32 v3, v12, v21, v3 op_sel_hi:[0,1,0]
	v_fma_mix_f32 v3, v13, v20, v3 op_sel_hi:[0,1,0]
	;; [unrolled: 5-line block ×4, first 2 shown]
	s_cbranch_scc1 .LBB74_15
; %bb.14:
	v_mov_b32_e32 v3, 0
	ds_read_b128 v[6:9], v3 offset:128
	ds_read_b128 v[10:13], v3 offset:144
	ds_read_b128 v[14:17], v3 offset:160
	ds_read_b128 v[18:21], v3 offset:176
	s_waitcnt lgkmcnt(3)
	v_fmac_f32_e32 v4, v6, v67
	v_fmac_f32_e32 v4, v7, v66
	v_fmac_f32_e32 v4, v8, v65
	v_fmac_f32_e32 v4, v9, v64
	s_waitcnt lgkmcnt(2)
	v_fmac_f32_e32 v4, v10, v63
	v_fmac_f32_e32 v4, v11, v62
	v_fmac_f32_e32 v4, v12, v61
	v_fmac_f32_e32 v4, v13, v60
	;; [unrolled: 5-line block ×3, first 2 shown]
	ds_read_b128 v[6:9], v3 offset:192
	ds_read_b128 v[10:13], v3 offset:208
	s_waitcnt lgkmcnt(2)
	v_fmac_f32_e32 v4, v18, v55
	v_fmac_f32_e32 v4, v19, v54
	;; [unrolled: 1-line block ×4, first 2 shown]
	s_waitcnt lgkmcnt(1)
	v_fmac_f32_e32 v4, v6, v51
	v_fmac_f32_e32 v4, v7, v50
	;; [unrolled: 1-line block ×4, first 2 shown]
	ds_read_b128 v[6:9], v3 offset:224
	s_waitcnt lgkmcnt(1)
	v_fmac_f32_e32 v4, v10, v47
	v_fmac_f32_e32 v4, v11, v46
	;; [unrolled: 1-line block ×4, first 2 shown]
	ds_read_b128 v[10:13], v3 offset:240
	s_waitcnt lgkmcnt(1)
	v_fmac_f32_e32 v4, v6, v43
	v_fmac_f32_e32 v4, v7, v42
	;; [unrolled: 1-line block ×4, first 2 shown]
	s_waitcnt lgkmcnt(0)
	v_fmac_f32_e32 v4, v10, v39
	v_fmac_f32_e32 v4, v11, v38
	;; [unrolled: 1-line block ×4, first 2 shown]
.LBB74_15:
	s_cmpk_lt_i32 s30, 0x4001
	s_cbranch_scc1 .LBB74_17
; %bb.16:
	s_cmpk_lt_i32 s30, 0x4101
	s_cselect_b32 s4, s6, 0x1040
	s_ashr_i32 s5, s4, 31
	s_cmpk_lt_i32 s30, 0x4201
	v_lshl_add_u64 v[14:15], s[4:5], 1, v[0:1]
	s_cselect_b32 s4, s6, 0x1080
	s_ashr_i32 s5, s4, 31
	s_cmpk_lt_i32 s30, 0x4301
	v_lshl_add_u64 v[16:17], s[4:5], 1, v[0:1]
	s_cselect_b32 s4, s6, 0x10c0
	s_ashr_i32 s5, s4, 31
	s_cmpk_lt_i32 s30, 0x4401
	v_lshl_add_u64 v[18:19], s[4:5], 1, v[0:1]
	s_cselect_b32 s4, s6, 0x1100
	s_ashr_i32 s5, s4, 31
	s_cmpk_lt_i32 s30, 0x4501
	v_lshl_add_u64 v[20:21], s[4:5], 1, v[0:1]
	s_cselect_b32 s4, s6, 0x1140
	s_ashr_i32 s5, s4, 31
	s_cmpk_lt_i32 s30, 0x4601
	v_lshl_add_u64 v[22:23], s[4:5], 1, v[0:1]
	s_cselect_b32 s4, s6, 0x1180
	s_ashr_i32 s5, s4, 31
	s_cmpk_lt_i32 s30, 0x4701
	v_lshl_add_u64 v[24:25], s[4:5], 1, v[0:1]
	s_cselect_b32 s4, s6, 0x11c0
	s_ashr_i32 s5, s4, 31
	s_cmpk_lt_i32 s30, 0x4801
	v_lshl_add_u64 v[26:27], s[4:5], 1, v[0:1]
	s_cselect_b32 s4, s6, 0x1200
	v_add_co_u32_e32 v12, vcc, 0x2000, v0
	s_ashr_i32 s5, s4, 31
	s_nop 0
	v_addc_co_u32_e32 v13, vcc, 0, v1, vcc
	s_cmpk_lt_i32 s30, 0x4901
	global_load_ushort v3, v[12:13], off
	global_load_ushort v5, v[14:15], off
	global_load_ushort v6, v[16:17], off
	global_load_ushort v7, v[18:19], off
	global_load_ushort v8, v[20:21], off
	global_load_ushort v9, v[22:23], off
	global_load_ushort v10, v[24:25], off
	global_load_ushort v11, v[26:27], off
	v_lshl_add_u64 v[12:13], s[4:5], 1, v[0:1]
	s_cselect_b32 s4, s6, 0x1240
	s_ashr_i32 s5, s4, 31
	s_cmpk_lt_i32 s30, 0x4a01
	v_lshl_add_u64 v[14:15], s[4:5], 1, v[0:1]
	s_cselect_b32 s4, s6, 0x1280
	s_ashr_i32 s5, s4, 31
	s_cmpk_lt_i32 s30, 0x4b01
	v_lshl_add_u64 v[16:17], s[4:5], 1, v[0:1]
	s_cselect_b32 s4, s6, 0x12c0
	s_ashr_i32 s5, s4, 31
	s_cmpk_lt_i32 s30, 0x4c01
	v_lshl_add_u64 v[18:19], s[4:5], 1, v[0:1]
	s_cselect_b32 s4, s6, 0x1300
	s_ashr_i32 s5, s4, 31
	s_cmpk_lt_i32 s30, 0x4d01
	v_lshl_add_u64 v[20:21], s[4:5], 1, v[0:1]
	s_cselect_b32 s4, s6, 0x1340
	s_ashr_i32 s5, s4, 31
	s_cmpk_lt_i32 s30, 0x4e01
	v_lshl_add_u64 v[22:23], s[4:5], 1, v[0:1]
	s_cselect_b32 s4, s6, 0x1380
	s_ashr_i32 s5, s4, 31
	s_cmpk_lt_i32 s30, 0x4f01
	v_lshl_add_u64 v[24:25], s[4:5], 1, v[0:1]
	s_cselect_b32 s4, s6, 0x13c0
	s_ashr_i32 s5, s4, 31
	s_cmpk_lt_i32 s30, 0x5001
	v_lshl_add_u64 v[26:27], s[4:5], 1, v[0:1]
	s_cselect_b32 s4, s6, 0x1400
	s_ashr_i32 s5, s4, 31
	s_cmpk_lt_i32 s30, 0x5101
	global_load_ushort v28, v[12:13], off
	global_load_ushort v29, v[14:15], off
	global_load_ushort v30, v[16:17], off
	global_load_ushort v31, v[18:19], off
	global_load_ushort v32, v[20:21], off
	global_load_ushort v33, v[22:23], off
	global_load_ushort v34, v[24:25], off
	global_load_ushort v35, v[26:27], off
	v_lshl_add_u64 v[12:13], s[4:5], 1, v[0:1]
	s_cselect_b32 s4, s6, 0x1440
	s_ashr_i32 s5, s4, 31
	s_cmpk_lt_i32 s30, 0x5201
	v_lshl_add_u64 v[14:15], s[4:5], 1, v[0:1]
	s_cselect_b32 s4, s6, 0x1480
	s_ashr_i32 s5, s4, 31
	s_cmpk_lt_i32 s30, 0x5301
	v_lshl_add_u64 v[16:17], s[4:5], 1, v[0:1]
	s_cselect_b32 s4, s6, 0x14c0
	s_ashr_i32 s5, s4, 31
	s_cmpk_lt_i32 s30, 0x5401
	v_lshl_add_u64 v[18:19], s[4:5], 1, v[0:1]
	s_cselect_b32 s4, s6, 0x1500
	s_ashr_i32 s5, s4, 31
	s_cmpk_lt_i32 s30, 0x5501
	v_lshl_add_u64 v[20:21], s[4:5], 1, v[0:1]
	s_cselect_b32 s4, s6, 0x1540
	s_ashr_i32 s5, s4, 31
	s_cmpk_lt_i32 s30, 0x5601
	v_lshl_add_u64 v[22:23], s[4:5], 1, v[0:1]
	s_cselect_b32 s4, s6, 0x1580
	s_ashr_i32 s5, s4, 31
	s_cmpk_lt_i32 s30, 0x5701
	v_lshl_add_u64 v[24:25], s[4:5], 1, v[0:1]
	s_cselect_b32 s4, s6, 0x15c0
	s_ashr_i32 s5, s4, 31
	s_cmpk_lt_i32 s30, 0x5801
	v_lshl_add_u64 v[26:27], s[4:5], 1, v[0:1]
	s_cselect_b32 s4, s6, 0x1600
	s_ashr_i32 s5, s4, 31
	;; [unrolled: 40-line block ×6, first 2 shown]
	s_cmpk_lt_i32 s30, 0x7901
	global_load_ushort v68, v[12:13], off
	global_load_ushort v69, v[14:15], off
	;; [unrolled: 1-line block ×8, first 2 shown]
	v_lshl_add_u64 v[12:13], s[4:5], 1, v[0:1]
	s_cselect_b32 s4, s6, 0x1e40
	s_ashr_i32 s5, s4, 31
	s_cmpk_lt_i32 s30, 0x7a01
	v_lshl_add_u64 v[14:15], s[4:5], 1, v[0:1]
	s_cselect_b32 s4, s6, 0x1e80
	s_ashr_i32 s5, s4, 31
	s_cmpk_lt_i32 s30, 0x7b01
	;; [unrolled: 4-line block ×6, first 2 shown]
	v_lshl_add_u64 v[24:25], s[4:5], 1, v[0:1]
	s_cselect_b32 s4, s6, 0x1fc0
	s_ashr_i32 s5, s4, 31
	v_lshl_add_u64 v[26:27], s[4:5], 1, v[0:1]
	global_load_ushort v76, v[12:13], off
	global_load_ushort v77, v[14:15], off
	global_load_ushort v78, v[16:17], off
	global_load_ushort v79, v[18:19], off
	global_load_ushort v80, v[20:21], off
	global_load_ushort v81, v[22:23], off
	global_load_ushort v82, v[24:25], off
	global_load_ushort v83, v[26:27], off
	v_mov_b32_e32 v84, 0
	ds_read_b128 v[12:15], v84 offset:256
	ds_read_b128 v[16:19], v84 offset:272
	ds_read_b128 v[20:23], v84 offset:288
	ds_read_b128 v[24:27], v84 offset:304
	s_waitcnt vmcnt(62) lgkmcnt(3)
	v_fma_mix_f32 v3, v12, v3, v4 op_sel_hi:[0,1,0]
	v_fma_mix_f32 v3, v13, v5, v3 op_sel_hi:[0,1,0]
	s_waitcnt vmcnt(61)
	v_fma_mix_f32 v3, v14, v6, v3 op_sel_hi:[0,1,0]
	s_waitcnt vmcnt(60)
	v_fma_mix_f32 v3, v15, v7, v3 op_sel_hi:[0,1,0]
	s_waitcnt vmcnt(59) lgkmcnt(2)
	v_fma_mix_f32 v3, v16, v8, v3 op_sel_hi:[0,1,0]
	s_waitcnt vmcnt(58)
	v_fma_mix_f32 v3, v17, v9, v3 op_sel_hi:[0,1,0]
	s_waitcnt vmcnt(57)
	v_fma_mix_f32 v3, v18, v10, v3 op_sel_hi:[0,1,0]
	s_waitcnt vmcnt(56)
	v_fma_mix_f32 v3, v19, v11, v3 op_sel_hi:[0,1,0]
	s_waitcnt vmcnt(55) lgkmcnt(1)
	v_fma_mix_f32 v3, v20, v28, v3 op_sel_hi:[0,1,0]
	s_waitcnt vmcnt(54)
	v_fma_mix_f32 v3, v21, v29, v3 op_sel_hi:[0,1,0]
	s_waitcnt vmcnt(53)
	;; [unrolled: 2-line block ×3, first 2 shown]
	v_fma_mix_f32 v3, v23, v31, v3 op_sel_hi:[0,1,0]
	ds_read_b128 v[4:7], v84 offset:320
	ds_read_b128 v[8:11], v84 offset:336
	s_waitcnt vmcnt(51) lgkmcnt(2)
	v_fma_mix_f32 v3, v24, v32, v3 op_sel_hi:[0,1,0]
	s_waitcnt vmcnt(50)
	v_fma_mix_f32 v3, v25, v33, v3 op_sel_hi:[0,1,0]
	s_waitcnt vmcnt(49)
	;; [unrolled: 2-line block ×3, first 2 shown]
	v_fma_mix_f32 v3, v27, v35, v3 op_sel_hi:[0,1,0]
	s_waitcnt vmcnt(47) lgkmcnt(1)
	v_fma_mix_f32 v3, v4, v36, v3 op_sel_hi:[0,1,0]
	s_waitcnt vmcnt(46)
	v_fma_mix_f32 v3, v5, v37, v3 op_sel_hi:[0,1,0]
	s_waitcnt vmcnt(45)
	v_fma_mix_f32 v3, v6, v38, v3 op_sel_hi:[0,1,0]
	s_waitcnt vmcnt(44)
	v_fma_mix_f32 v3, v7, v39, v3 op_sel_hi:[0,1,0]
	ds_read_b128 v[4:7], v84 offset:352
	s_waitcnt vmcnt(43) lgkmcnt(1)
	v_fma_mix_f32 v3, v8, v40, v3 op_sel_hi:[0,1,0]
	s_waitcnt vmcnt(42)
	v_fma_mix_f32 v3, v9, v41, v3 op_sel_hi:[0,1,0]
	s_waitcnt vmcnt(41)
	v_fma_mix_f32 v3, v10, v42, v3 op_sel_hi:[0,1,0]
	s_waitcnt vmcnt(40)
	v_fma_mix_f32 v3, v11, v43, v3 op_sel_hi:[0,1,0]
	ds_read_b128 v[8:11], v84 offset:368
	;; [unrolled: 9-line block ×10, first 2 shown]
	s_waitcnt vmcnt(7) lgkmcnt(1)
	v_fma_mix_f32 v3, v4, v76, v3 op_sel_hi:[0,1,0]
	s_waitcnt vmcnt(6)
	v_fma_mix_f32 v3, v5, v77, v3 op_sel_hi:[0,1,0]
	s_waitcnt vmcnt(5)
	;; [unrolled: 2-line block ×3, first 2 shown]
	v_fma_mix_f32 v3, v7, v79, v3 op_sel_hi:[0,1,0]
	s_waitcnt vmcnt(3) lgkmcnt(0)
	v_fma_mix_f32 v3, v8, v80, v3 op_sel_hi:[0,1,0]
	s_waitcnt vmcnt(2)
	v_fma_mix_f32 v3, v9, v81, v3 op_sel_hi:[0,1,0]
	s_waitcnt vmcnt(1)
	;; [unrolled: 2-line block ×3, first 2 shown]
	v_fma_mix_f32 v4, v11, v83, v3 op_sel_hi:[0,1,0]
.LBB74_17:
	s_load_dwordx2 s[4:5], s[0:1], 0x38
	s_cmp_lt_i32 s30, 0x8001
	s_cbranch_scc1 .LBB74_19
; %bb.18:
	s_cmp_lt_i32 s30, 0x8101
	s_cselect_b32 s8, s6, 0x2040
	s_ashr_i32 s9, s8, 31
	s_cmp_lt_i32 s30, 0x8201
	v_lshl_add_u64 v[14:15], s[8:9], 1, v[0:1]
	s_cselect_b32 s8, s6, 0x2080
	s_ashr_i32 s9, s8, 31
	s_cmp_lt_i32 s30, 0x8301
	v_lshl_add_u64 v[16:17], s[8:9], 1, v[0:1]
	;; [unrolled: 4-line block ×7, first 2 shown]
	s_cselect_b32 s8, s6, 0x2200
	v_add_co_u32_e32 v12, vcc, 0x4000, v0
	s_ashr_i32 s9, s8, 31
	s_nop 0
	v_addc_co_u32_e32 v13, vcc, 0, v1, vcc
	s_cmp_lt_i32 s30, 0x8901
	global_load_ushort v3, v[12:13], off
	global_load_ushort v5, v[14:15], off
	global_load_ushort v6, v[16:17], off
	global_load_ushort v7, v[18:19], off
	global_load_ushort v8, v[20:21], off
	global_load_ushort v9, v[22:23], off
	global_load_ushort v10, v[24:25], off
	global_load_ushort v11, v[26:27], off
	v_lshl_add_u64 v[12:13], s[8:9], 1, v[0:1]
	s_cselect_b32 s8, s6, 0x2240
	s_ashr_i32 s9, s8, 31
	s_cmp_lt_i32 s30, 0x8a01
	v_lshl_add_u64 v[14:15], s[8:9], 1, v[0:1]
	s_cselect_b32 s8, s6, 0x2280
	s_ashr_i32 s9, s8, 31
	s_cmp_lt_i32 s30, 0x8b01
	v_lshl_add_u64 v[16:17], s[8:9], 1, v[0:1]
	s_cselect_b32 s8, s6, 0x22c0
	s_ashr_i32 s9, s8, 31
	s_cmp_lt_i32 s30, 0x8c01
	v_lshl_add_u64 v[18:19], s[8:9], 1, v[0:1]
	s_cselect_b32 s8, s6, 0x2300
	s_ashr_i32 s9, s8, 31
	s_cmp_lt_i32 s30, 0x8d01
	v_lshl_add_u64 v[20:21], s[8:9], 1, v[0:1]
	s_cselect_b32 s8, s6, 0x2340
	s_ashr_i32 s9, s8, 31
	s_cmp_lt_i32 s30, 0x8e01
	v_lshl_add_u64 v[22:23], s[8:9], 1, v[0:1]
	s_cselect_b32 s8, s6, 0x2380
	s_ashr_i32 s9, s8, 31
	s_cmp_lt_i32 s30, 0x8f01
	v_lshl_add_u64 v[24:25], s[8:9], 1, v[0:1]
	s_cselect_b32 s8, s6, 0x23c0
	s_ashr_i32 s9, s8, 31
	s_cmp_lt_i32 s30, 0x9001
	v_lshl_add_u64 v[26:27], s[8:9], 1, v[0:1]
	s_cselect_b32 s8, s6, 0x2400
	s_ashr_i32 s9, s8, 31
	s_cmp_lt_i32 s30, 0x9101
	global_load_ushort v28, v[12:13], off
	global_load_ushort v29, v[14:15], off
	global_load_ushort v30, v[16:17], off
	global_load_ushort v31, v[18:19], off
	global_load_ushort v32, v[20:21], off
	global_load_ushort v33, v[22:23], off
	global_load_ushort v34, v[24:25], off
	global_load_ushort v35, v[26:27], off
	v_lshl_add_u64 v[12:13], s[8:9], 1, v[0:1]
	s_cselect_b32 s8, s6, 0x2440
	s_ashr_i32 s9, s8, 31
	s_cmp_lt_i32 s30, 0x9201
	v_lshl_add_u64 v[14:15], s[8:9], 1, v[0:1]
	s_cselect_b32 s8, s6, 0x2480
	s_ashr_i32 s9, s8, 31
	s_cmp_lt_i32 s30, 0x9301
	v_lshl_add_u64 v[16:17], s[8:9], 1, v[0:1]
	s_cselect_b32 s8, s6, 0x24c0
	s_ashr_i32 s9, s8, 31
	s_cmp_lt_i32 s30, 0x9401
	v_lshl_add_u64 v[18:19], s[8:9], 1, v[0:1]
	s_cselect_b32 s8, s6, 0x2500
	s_ashr_i32 s9, s8, 31
	s_cmp_lt_i32 s30, 0x9501
	v_lshl_add_u64 v[20:21], s[8:9], 1, v[0:1]
	s_cselect_b32 s8, s6, 0x2540
	s_ashr_i32 s9, s8, 31
	s_cmp_lt_i32 s30, 0x9601
	v_lshl_add_u64 v[22:23], s[8:9], 1, v[0:1]
	s_cselect_b32 s8, s6, 0x2580
	s_ashr_i32 s9, s8, 31
	s_cmp_lt_i32 s30, 0x9701
	v_lshl_add_u64 v[24:25], s[8:9], 1, v[0:1]
	s_cselect_b32 s8, s6, 0x25c0
	s_ashr_i32 s9, s8, 31
	s_cmp_lt_i32 s30, 0x9801
	v_lshl_add_u64 v[26:27], s[8:9], 1, v[0:1]
	s_cselect_b32 s8, s6, 0x2600
	s_ashr_i32 s9, s8, 31
	;; [unrolled: 40-line block ×6, first 2 shown]
	s_cmp_lt_i32 s30, 0xb901
	global_load_ushort v68, v[12:13], off
	global_load_ushort v69, v[14:15], off
	;; [unrolled: 1-line block ×8, first 2 shown]
	v_lshl_add_u64 v[12:13], s[8:9], 1, v[0:1]
	s_cselect_b32 s8, s6, 0x2e40
	s_ashr_i32 s9, s8, 31
	s_cmp_lt_i32 s30, 0xba01
	v_lshl_add_u64 v[14:15], s[8:9], 1, v[0:1]
	s_cselect_b32 s8, s6, 0x2e80
	s_ashr_i32 s9, s8, 31
	s_cmp_lt_i32 s30, 0xbb01
	;; [unrolled: 4-line block ×6, first 2 shown]
	s_cselect_b32 s6, s6, 0x2fc0
	s_ashr_i32 s7, s6, 31
	v_lshl_add_u64 v[24:25], s[8:9], 1, v[0:1]
	v_lshl_add_u64 v[0:1], s[6:7], 1, v[0:1]
	global_load_ushort v76, v[12:13], off
	global_load_ushort v77, v[14:15], off
	global_load_ushort v78, v[16:17], off
	global_load_ushort v79, v[18:19], off
	global_load_ushort v80, v[20:21], off
	global_load_ushort v81, v[22:23], off
	global_load_ushort v82, v[24:25], off
	global_load_ushort v83, v[0:1], off
	v_mov_b32_e32 v0, 0
	ds_read_b128 v[12:15], v0 offset:512
	ds_read_b128 v[16:19], v0 offset:528
	;; [unrolled: 1-line block ×4, first 2 shown]
	s_waitcnt vmcnt(62) lgkmcnt(0)
	v_fma_mix_f32 v1, v12, v3, v4 op_sel_hi:[0,1,0]
	v_fma_mix_f32 v1, v13, v5, v1 op_sel_hi:[0,1,0]
	s_waitcnt vmcnt(61)
	v_fma_mix_f32 v1, v14, v6, v1 op_sel_hi:[0,1,0]
	s_waitcnt vmcnt(60)
	;; [unrolled: 2-line block ×10, first 2 shown]
	v_fma_mix_f32 v1, v23, v31, v1 op_sel_hi:[0,1,0]
	ds_read_b128 v[4:7], v0 offset:576
	ds_read_b128 v[8:11], v0 offset:592
	s_waitcnt vmcnt(51)
	v_fma_mix_f32 v1, v24, v32, v1 op_sel_hi:[0,1,0]
	s_waitcnt vmcnt(50)
	v_fma_mix_f32 v1, v25, v33, v1 op_sel_hi:[0,1,0]
	;; [unrolled: 2-line block ×4, first 2 shown]
	s_waitcnt vmcnt(47) lgkmcnt(1)
	v_fma_mix_f32 v1, v4, v36, v1 op_sel_hi:[0,1,0]
	s_waitcnt vmcnt(46)
	v_fma_mix_f32 v1, v5, v37, v1 op_sel_hi:[0,1,0]
	s_waitcnt vmcnt(45)
	v_fma_mix_f32 v1, v6, v38, v1 op_sel_hi:[0,1,0]
	s_waitcnt vmcnt(44)
	v_fma_mix_f32 v1, v7, v39, v1 op_sel_hi:[0,1,0]
	ds_read_b128 v[4:7], v0 offset:608
	s_waitcnt vmcnt(43) lgkmcnt(1)
	v_fma_mix_f32 v1, v8, v40, v1 op_sel_hi:[0,1,0]
	s_waitcnt vmcnt(42)
	v_fma_mix_f32 v1, v9, v41, v1 op_sel_hi:[0,1,0]
	s_waitcnt vmcnt(41)
	v_fma_mix_f32 v1, v10, v42, v1 op_sel_hi:[0,1,0]
	s_waitcnt vmcnt(40)
	v_fma_mix_f32 v1, v11, v43, v1 op_sel_hi:[0,1,0]
	ds_read_b128 v[8:11], v0 offset:624
	;; [unrolled: 9-line block ×10, first 2 shown]
	s_waitcnt vmcnt(7) lgkmcnt(1)
	v_fma_mix_f32 v0, v4, v76, v1 op_sel_hi:[0,1,0]
	s_waitcnt vmcnt(6)
	v_fma_mix_f32 v0, v5, v77, v0 op_sel_hi:[0,1,0]
	s_waitcnt vmcnt(5)
	;; [unrolled: 2-line block ×3, first 2 shown]
	v_fma_mix_f32 v0, v7, v79, v0 op_sel_hi:[0,1,0]
	s_waitcnt vmcnt(3) lgkmcnt(0)
	v_fma_mix_f32 v0, v8, v80, v0 op_sel_hi:[0,1,0]
	s_waitcnt vmcnt(2)
	v_fma_mix_f32 v0, v9, v81, v0 op_sel_hi:[0,1,0]
	s_waitcnt vmcnt(1)
	;; [unrolled: 2-line block ×3, first 2 shown]
	v_fma_mix_f32 v4, v11, v83, v0 op_sel_hi:[0,1,0]
.LBB74_19:
	v_mov_b32_e32 v0, 0
	s_load_dwordx2 s[0:1], s[0:1], 0x0
	ds_read_b32 v1, v0 offset:768
	s_waitcnt lgkmcnt(0)
	s_cmp_eq_u64 s[4:5], 0
	s_cbranch_scc1 .LBB74_24
; %bb.20:
	s_load_dword s6, s[4:5], 0x0
	s_waitcnt lgkmcnt(0)
	v_div_scale_f32 v0, s[4:5], s6, s6, 1.0
	v_rcp_f32_e32 v3, v0
	v_div_scale_f32 v5, vcc, 1.0, s6, 1.0
	v_fma_f32 v6, -v0, v3, 1.0
	v_fmac_f32_e32 v3, v6, v3
	v_mul_f32_e32 v6, v5, v3
	v_fma_f32 v7, -v0, v6, v5
	v_fmac_f32_e32 v6, v7, v3
	v_fma_f32 v0, -v0, v6, v5
	v_div_fmas_f32 v0, v0, v3, v6
	v_div_fixup_f32 v0, v0, s6, 1.0
	s_andn2_b64 vcc, exec, s[22:23]
	s_cbranch_vccnz .LBB74_22
.LBB74_21:
	s_add_u32 s4, s20, s24
	s_addc_u32 s5, s21, s25
	s_load_dword s10, s[4:5], 0x0
	s_mov_b32 s11, 0
.LBB74_22:
	v_add_f32_e32 v1, 0x358637bd, v1
	v_div_scale_f32 v3, s[4:5], v1, v1, 1.0
	v_rcp_f32_e32 v5, v3
	v_div_scale_f32 v6, vcc, 1.0, v1, 1.0
	s_mul_i32 s4, s3, s11
	v_fma_f32 v7, -v3, v5, 1.0
	v_fmac_f32_e32 v5, v7, v5
	v_mul_f32_e32 v7, v6, v5
	v_fma_f32 v8, -v3, v7, v6
	s_waitcnt lgkmcnt(0)
	s_mul_hi_u32 s5, s3, s10
	v_fmac_f32_e32 v7, v8, v5
	s_add_i32 s5, s5, s4
	s_mul_i32 s4, s3, s10
	v_fma_f32 v3, -v3, v7, v6
	s_lshl_b64 s[4:5], s[4:5], 7
	v_div_fmas_f32 v3, v3, v5, v7
	s_add_u32 s4, s0, s4
	s_mov_b32 s3, 0
	v_div_fixup_f32 v1, v3, v1, 1.0
	s_addc_u32 s5, s1, s5
	s_lshl_b64 s[0:1], s[2:3], 7
	v_mul_f32_e32 v1, v4, v1
	s_add_u32 s0, s4, s0
	s_addc_u32 s1, s5, s1
	v_fma_mixlo_f16 v0, v1, v0, 0
	global_store_short v2, v0, s[0:1]
	s_endpgm
.LBB74_23:
	s_mov_b64 s[6:7], 0
	s_branch .LBB74_2
.LBB74_24:
	v_mov_b32_e32 v0, 1.0
	s_andn2_b64 vcc, exec, s[22:23]
	s_cbranch_vccz .LBB74_21
	s_branch .LBB74_22
	.section	.rodata,"a",@progbits
	.p2align	6, 0x0
	.amdhsa_kernel _Z35paged_attention_ll4mi_reduce_kernelIDF16_DF16_Li64ELi64ELi256ELi3EEvPT0_PKfS3_PKT_PKiS8_iS3_
		.amdhsa_group_segment_fixed_size 772
		.amdhsa_private_segment_fixed_size 0
		.amdhsa_kernarg_size 320
		.amdhsa_user_sgpr_count 2
		.amdhsa_user_sgpr_dispatch_ptr 0
		.amdhsa_user_sgpr_queue_ptr 0
		.amdhsa_user_sgpr_kernarg_segment_ptr 1
		.amdhsa_user_sgpr_dispatch_id 0
		.amdhsa_user_sgpr_kernarg_preload_length 0
		.amdhsa_user_sgpr_kernarg_preload_offset 0
		.amdhsa_user_sgpr_private_segment_size 0
		.amdhsa_uses_dynamic_stack 0
		.amdhsa_enable_private_segment 0
		.amdhsa_system_sgpr_workgroup_id_x 1
		.amdhsa_system_sgpr_workgroup_id_y 1
		.amdhsa_system_sgpr_workgroup_id_z 0
		.amdhsa_system_sgpr_workgroup_info 0
		.amdhsa_system_vgpr_workitem_id 0
		.amdhsa_next_free_vgpr 92
		.amdhsa_next_free_sgpr 36
		.amdhsa_accum_offset 92
		.amdhsa_reserve_vcc 1
		.amdhsa_float_round_mode_32 0
		.amdhsa_float_round_mode_16_64 0
		.amdhsa_float_denorm_mode_32 3
		.amdhsa_float_denorm_mode_16_64 3
		.amdhsa_dx10_clamp 1
		.amdhsa_ieee_mode 1
		.amdhsa_fp16_overflow 0
		.amdhsa_tg_split 0
		.amdhsa_exception_fp_ieee_invalid_op 0
		.amdhsa_exception_fp_denorm_src 0
		.amdhsa_exception_fp_ieee_div_zero 0
		.amdhsa_exception_fp_ieee_overflow 0
		.amdhsa_exception_fp_ieee_underflow 0
		.amdhsa_exception_fp_ieee_inexact 0
		.amdhsa_exception_int_div_zero 0
	.end_amdhsa_kernel
	.section	.text._Z35paged_attention_ll4mi_reduce_kernelIDF16_DF16_Li64ELi64ELi256ELi3EEvPT0_PKfS3_PKT_PKiS8_iS3_,"axG",@progbits,_Z35paged_attention_ll4mi_reduce_kernelIDF16_DF16_Li64ELi64ELi256ELi3EEvPT0_PKfS3_PKT_PKiS8_iS3_,comdat
.Lfunc_end74:
	.size	_Z35paged_attention_ll4mi_reduce_kernelIDF16_DF16_Li64ELi64ELi256ELi3EEvPT0_PKfS3_PKT_PKiS8_iS3_, .Lfunc_end74-_Z35paged_attention_ll4mi_reduce_kernelIDF16_DF16_Li64ELi64ELi256ELi3EEvPT0_PKfS3_PKT_PKiS8_iS3_
                                        ; -- End function
	.section	.AMDGPU.csdata,"",@progbits
; Kernel info:
; codeLenInByte = 11100
; NumSgprs: 42
; NumVgprs: 92
; NumAgprs: 0
; TotalNumVgprs: 92
; ScratchSize: 0
; MemoryBound: 0
; FloatMode: 240
; IeeeMode: 1
; LDSByteSize: 772 bytes/workgroup (compile time only)
; SGPRBlocks: 5
; VGPRBlocks: 11
; NumSGPRsForWavesPerEU: 42
; NumVGPRsForWavesPerEU: 92
; AccumOffset: 92
; Occupancy: 5
; WaveLimiterHint : 1
; COMPUTE_PGM_RSRC2:SCRATCH_EN: 0
; COMPUTE_PGM_RSRC2:USER_SGPR: 2
; COMPUTE_PGM_RSRC2:TRAP_HANDLER: 0
; COMPUTE_PGM_RSRC2:TGID_X_EN: 1
; COMPUTE_PGM_RSRC2:TGID_Y_EN: 1
; COMPUTE_PGM_RSRC2:TGID_Z_EN: 0
; COMPUTE_PGM_RSRC2:TIDIG_COMP_CNT: 0
; COMPUTE_PGM_RSRC3_GFX90A:ACCUM_OFFSET: 22
; COMPUTE_PGM_RSRC3_GFX90A:TG_SPLIT: 0
	.section	.text._Z35paged_attention_ll4mi_reduce_kernelIDF16_DF16_Li64ELi64ELi256ELi4EEvPT0_PKfS3_PKT_PKiS8_iS3_,"axG",@progbits,_Z35paged_attention_ll4mi_reduce_kernelIDF16_DF16_Li64ELi64ELi256ELi4EEvPT0_PKfS3_PKT_PKiS8_iS3_,comdat
	.protected	_Z35paged_attention_ll4mi_reduce_kernelIDF16_DF16_Li64ELi64ELi256ELi4EEvPT0_PKfS3_PKT_PKiS8_iS3_ ; -- Begin function _Z35paged_attention_ll4mi_reduce_kernelIDF16_DF16_Li64ELi64ELi256ELi4EEvPT0_PKfS3_PKT_PKiS8_iS3_
	.globl	_Z35paged_attention_ll4mi_reduce_kernelIDF16_DF16_Li64ELi64ELi256ELi4EEvPT0_PKfS3_PKT_PKiS8_iS3_
	.p2align	8
	.type	_Z35paged_attention_ll4mi_reduce_kernelIDF16_DF16_Li64ELi64ELi256ELi4EEvPT0_PKfS3_PKT_PKiS8_iS3_,@function
_Z35paged_attention_ll4mi_reduce_kernelIDF16_DF16_Li64ELi64ELi256ELi4EEvPT0_PKfS3_PKT_PKiS8_iS3_: ; @_Z35paged_attention_ll4mi_reduce_kernelIDF16_DF16_Li64ELi64ELi256ELi4EEvPT0_PKfS3_PKT_PKiS8_iS3_
; %bb.0:
	s_load_dwordx2 s[22:23], s[0:1], 0x28
	s_mov_b32 s20, s3
	s_mov_b64 s[4:5], 0
	s_waitcnt lgkmcnt(0)
	s_cmp_lg_u64 s[22:23], 0
	s_cselect_b64 s[24:25], -1, 0
	s_and_b64 vcc, exec, s[24:25]
	s_cbranch_vccz .LBB75_23
; %bb.1:
	s_add_i32 s6, s20, 1
	s_mov_b32 s7, 0
	s_lshl_b64 s[8:9], s[6:7], 2
	s_add_u32 s8, s22, s8
	s_mov_b32 s21, s7
	s_addc_u32 s9, s23, s9
	s_lshl_b64 s[6:7], s[20:21], 2
	s_add_u32 s6, s22, s6
	s_addc_u32 s7, s23, s7
	s_load_dword s3, s[8:9], 0x0
	s_load_dword s10, s[6:7], 0x0
	s_waitcnt lgkmcnt(0)
	s_sub_i32 s3, s3, s10
	s_cmp_eq_u32 s3, 1
	s_cselect_b64 s[6:7], -1, 0
	s_andn2_b64 vcc, exec, s[4:5]
	s_cbranch_vccnz .LBB75_3
.LBB75_2:
	s_mov_b32 s21, 0
	s_mov_b64 s[6:7], -1
.LBB75_3:
	s_andn2_b64 vcc, exec, s[6:7]
	s_cbranch_vccz .LBB75_5
; %bb.4:
	s_endpgm
.LBB75_5:
	s_load_dwordx4 s[12:15], s[0:1], 0x18
	s_load_dword s8, s[0:1], 0x30
	s_lshl_b64 s[26:27], s[20:21], 2
	v_cmp_lt_u32_e32 vcc, 63, v0
	s_waitcnt lgkmcnt(0)
	s_add_u32 s4, s14, s26
	s_addc_u32 s5, s15, s27
	s_load_dword s34, s[4:5], 0x0
	s_load_dword s3, s[0:1], 0x40
	s_mul_i32 s14, s2, s8
	s_mul_i32 s6, s20, s8
	s_waitcnt lgkmcnt(0)
	s_add_i32 s7, s34, 0xff
	s_ashr_i32 s4, s7, 31
	s_lshr_b32 s4, s4, 24
	s_add_i32 s7, s7, s4
	s_and_saveexec_b64 s[4:5], vcc
	s_xor_b64 s[4:5], exec, s[4:5]
	s_or_saveexec_b64 s[28:29], s[4:5]
	s_ashr_i32 s33, s7, 8
	v_mov_b32_e32 v1, s14
	s_mul_i32 s30, s6, s3
	s_xor_b64 exec, exec, s[28:29]
	s_cbranch_execz .LBB75_9
; %bb.6:
	s_load_dwordx4 s[16:19], s[0:1], 0x8
	s_add_i32 s4, s33, -1
	v_or_b32_e32 v3, 64, v0
	v_mov_b32_e32 v1, s4
	v_cmp_gt_u32_e64 s[8:9], s33, v3
	s_mov_b32 s31, 0
	s_lshl_b64 s[36:37], s[30:31], 2
	v_cndmask_b32_e64 v4, v1, v3, s[8:9]
	v_or_b32_e32 v3, 0x80, v0
	v_cmp_gt_u32_e64 s[4:5], s33, v3
	s_mov_b32 s15, s31
	v_cmp_gt_u32_e64 s[6:7], s33, v0
	v_cndmask_b32_e64 v6, v1, v3, s[4:5]
	v_or_b32_e32 v3, 0xc0, v0
	s_waitcnt lgkmcnt(0)
	s_add_u32 s10, s18, s36
	v_cndmask_b32_e64 v2, v1, v0, s[6:7]
	v_cmp_gt_u32_e32 vcc, s33, v3
	s_addc_u32 s11, s19, s37
	s_lshl_b64 s[18:19], s[14:15], 2
	v_cndmask_b32_e32 v8, v1, v3, vcc
	s_add_u32 s10, s10, s18
	v_ashrrev_i32_e32 v3, 31, v2
	s_addc_u32 s11, s11, s19
	v_lshlrev_b64 v[2:3], 2, v[2:3]
	v_ashrrev_i32_e32 v5, 31, v4
	v_lshl_add_u64 v[10:11], s[10:11], 0, v[2:3]
	v_lshlrev_b64 v[4:5], 2, v[4:5]
	v_ashrrev_i32_e32 v7, 31, v6
	v_lshl_add_u64 v[12:13], s[10:11], 0, v[4:5]
	v_lshlrev_b64 v[6:7], 2, v[6:7]
	v_ashrrev_i32_e32 v9, 31, v8
	global_load_dword v1, v[10:11], off
	global_load_dword v16, v[12:13], off
	v_lshl_add_u64 v[14:15], s[10:11], 0, v[6:7]
	v_lshlrev_b64 v[8:9], 2, v[8:9]
	v_lshl_add_u64 v[10:11], s[10:11], 0, v[8:9]
	global_load_dword v12, v[14:15], off
	global_load_dword v13, v[10:11], off
	v_mbcnt_lo_u32_b32 v10, -1, 0
	v_mbcnt_hi_u32_b32 v10, -1, v10
	v_and_b32_e32 v11, 64, v10
	v_xor_b32_e32 v14, 32, v10
	v_add_u32_e32 v11, 64, v11
	v_cmp_lt_i32_e64 s[10:11], v14, v11
	v_xor_b32_e32 v15, 16, v10
	v_xor_b32_e32 v17, 8, v10
	v_cndmask_b32_e64 v14, v10, v14, s[10:11]
	v_cmp_lt_i32_e64 s[10:11], v15, v11
	v_lshlrev_b32_e32 v14, 2, v14
	v_xor_b32_e32 v18, 4, v10
	v_cndmask_b32_e64 v15, v10, v15, s[10:11]
	s_add_u32 s10, s16, s36
	s_addc_u32 s11, s17, s37
	s_add_u32 s16, s10, s18
	s_addc_u32 s17, s11, s19
	v_lshl_add_u64 v[2:3], s[16:17], 0, v[2:3]
	v_lshl_add_u64 v[4:5], s[16:17], 0, v[4:5]
	global_load_dword v22, v[2:3], off
	global_load_dword v23, v[4:5], off
	v_lshlrev_b32_e32 v15, 2, v15
	v_cmp_lt_i32_e64 s[10:11], v17, v11
	v_xor_b32_e32 v19, 2, v10
	s_mov_b32 s15, 0x3fb8aa3b
	v_cndmask_b32_e64 v4, v10, v17, s[10:11]
	v_lshlrev_b32_e32 v17, 2, v4
	v_cmp_lt_i32_e64 s[10:11], v18, v11
	s_waitcnt vmcnt(5)
	v_max_f32_e32 v21, v1, v1
	s_waitcnt vmcnt(4)
	v_max_f32_e32 v20, v16, v16
	v_max_f32_e32 v20, v21, v20
	v_cndmask_b32_e64 v5, v10, v18, s[10:11]
	v_cmp_lt_i32_e64 s[10:11], v19, v11
	s_waitcnt vmcnt(2)
	v_max3_f32 v20, v20, v12, v13
	ds_bpermute_b32 v21, v14, v20
	v_cndmask_b32_e64 v4, v10, v19, s[10:11]
	v_lshlrev_b32_e32 v18, 2, v5
	v_lshlrev_b32_e32 v19, 2, v4
	v_lshl_add_u64 v[4:5], s[16:17], 0, v[8:9]
	s_waitcnt lgkmcnt(0)
	v_max_f32_e32 v2, v21, v21
	v_max_f32_e32 v2, v20, v2
	ds_bpermute_b32 v3, v15, v2
	s_waitcnt lgkmcnt(0)
	v_max_f32_e32 v3, v3, v3
	v_max_f32_e32 v2, v2, v3
	ds_bpermute_b32 v3, v17, v2
	s_waitcnt lgkmcnt(0)
	v_max_f32_e32 v3, v3, v3
	v_max_f32_e32 v20, v2, v3
	v_lshl_add_u64 v[2:3], s[16:17], 0, v[6:7]
	global_load_dword v6, v[2:3], off
	global_load_dword v7, v[4:5], off
	ds_bpermute_b32 v21, v18, v20
	v_xor_b32_e32 v4, 1, v10
	v_cmp_lt_i32_e64 s[10:11], v4, v11
	s_mov_b32 s16, 0xc2ce8ed0
	s_mov_b32 s17, 0x42b17218
	s_waitcnt lgkmcnt(0)
	v_max_f32_e32 v2, v21, v21
	v_max_f32_e32 v2, v20, v2
	ds_bpermute_b32 v3, v19, v2
	v_cndmask_b32_e64 v4, v10, v4, s[10:11]
	v_lshlrev_b32_e32 v4, 2, v4
	v_mov_b32_e32 v5, 0x7f800000
	s_waitcnt lgkmcnt(0)
	v_max_f32_e32 v3, v3, v3
	v_max_f32_e32 v2, v2, v3
	ds_bpermute_b32 v3, v4, v2
	s_waitcnt lgkmcnt(0)
	v_max_f32_e32 v3, v3, v3
	v_max_f32_e32 v2, v2, v3
	v_sub_f32_e32 v1, v1, v2
	v_sub_f32_e32 v3, v16, v2
	v_mul_f32_e32 v9, 0x3fb8aa3b, v1
	v_sub_f32_e32 v8, v12, v2
	v_mul_f32_e32 v10, 0x3fb8aa3b, v3
	v_fma_f32 v12, v1, s15, -v9
	v_rndne_f32_e32 v16, v9
	v_mul_f32_e32 v11, 0x3fb8aa3b, v8
	v_fma_f32 v20, v3, s15, -v10
	v_rndne_f32_e32 v21, v10
	v_fmac_f32_e32 v12, 0x32a5705f, v1
	v_sub_f32_e32 v9, v9, v16
	v_fma_f32 v24, v8, s15, -v11
	v_rndne_f32_e32 v25, v11
	v_fmac_f32_e32 v20, 0x32a5705f, v3
	v_sub_f32_e32 v10, v10, v21
	v_add_f32_e32 v9, v9, v12
	v_cvt_i32_f32_e32 v16, v16
	v_fmac_f32_e32 v24, 0x32a5705f, v8
	v_sub_f32_e32 v11, v11, v25
	v_add_f32_e32 v10, v10, v20
	v_exp_f32_e32 v9, v9
	v_cvt_i32_f32_e32 v21, v21
	v_add_f32_e32 v11, v11, v24
	v_exp_f32_e32 v10, v10
	v_cvt_i32_f32_e32 v25, v25
	v_exp_f32_e32 v11, v11
	v_ldexp_f32 v9, v9, v16
	v_cmp_ngt_f32_e64 s[10:11], s16, v1
	v_ldexp_f32 v10, v10, v21
	v_ldexp_f32 v11, v11, v25
	v_cndmask_b32_e64 v9, 0, v9, s[10:11]
	v_cmp_ngt_f32_e64 s[10:11], s16, v3
	v_sub_f32_e32 v2, v13, v2
	s_nop 0
	v_cndmask_b32_e64 v10, 0, v10, s[10:11]
	v_cmp_ngt_f32_e64 s[10:11], s16, v8
	s_nop 1
	v_cndmask_b32_e64 v11, 0, v11, s[10:11]
	v_cmp_nlt_f32_e64 s[10:11], s17, v1
	s_nop 1
	v_cndmask_b32_e64 v1, v5, v9, s[10:11]
	v_cmp_nlt_f32_e64 s[10:11], s17, v3
	v_cndmask_b32_e64 v1, 0, v1, s[6:7]
	v_cmp_nlt_f32_e64 s[6:7], s17, v8
	v_cndmask_b32_e64 v3, v5, v10, s[10:11]
	v_mul_f32_e32 v10, 0x3fb8aa3b, v2
	v_fma_f32 v12, v2, s15, -v10
	v_rndne_f32_e32 v13, v10
	v_fmac_f32_e32 v12, 0x32a5705f, v2
	v_sub_f32_e32 v10, v10, v13
	v_add_f32_e32 v10, v10, v12
	v_exp_f32_e32 v10, v10
	v_cvt_i32_f32_e32 v12, v13
	v_cndmask_b32_e64 v8, v5, v11, s[6:7]
	v_cndmask_b32_e64 v8, 0, v8, s[4:5]
	v_cmp_ngt_f32_e64 s[4:5], s16, v2
	v_ldexp_f32 v10, v10, v12
	v_cndmask_b32_e64 v3, 0, v3, s[8:9]
	v_cndmask_b32_e64 v10, 0, v10, s[4:5]
	v_cmp_nlt_f32_e64 s[4:5], s17, v2
	s_waitcnt vmcnt(3)
	v_mul_f32_e32 v1, v22, v1
	s_waitcnt vmcnt(2)
	v_mul_f32_e32 v9, v23, v3
	v_cndmask_b32_e64 v2, v5, v10, s[4:5]
	v_lshlrev_b32_e32 v10, 2, v0
	ds_write2st64_b32 v10, v1, v9 offset1:1
	v_fmac_f32_e32 v1, v23, v3
	v_cndmask_b32_e32 v5, 0, v2, vcc
	s_waitcnt vmcnt(1)
	v_fmac_f32_e32 v1, v6, v8
	s_waitcnt vmcnt(0)
	v_fmac_f32_e32 v1, v7, v5
	ds_bpermute_b32 v2, v14, v1
	v_mul_f32_e32 v3, v6, v8
	v_cmp_eq_u32_e32 vcc, 0, v0
	s_waitcnt lgkmcnt(0)
	v_add_f32_e32 v1, v1, v2
	ds_bpermute_b32 v2, v15, v1
	s_waitcnt lgkmcnt(0)
	v_add_f32_e32 v1, v1, v2
	ds_bpermute_b32 v2, v17, v1
	;; [unrolled: 3-line block ×5, first 2 shown]
	v_mul_f32_e32 v4, v7, v5
	ds_write2st64_b32 v10, v3, v4 offset0:2 offset1:3
	s_and_saveexec_b64 s[4:5], vcc
	s_cbranch_execz .LBB75_8
; %bb.7:
	s_waitcnt lgkmcnt(1)
	v_add_f32_e32 v1, v1, v2
	v_mov_b32_e32 v2, 0
	ds_write_b32 v2, v1 offset:1024
.LBB75_8:
	s_or_b64 exec, exec, s[4:5]
	v_mov_b32_e32 v1, s14
.LBB75_9:
	s_or_b64 exec, exec, s[28:29]
	s_lshl_b32 s4, s30, 6
	s_mov_b32 s5, 0
	s_lshl_b64 s[4:5], s[4:5], 1
	s_add_u32 s4, s12, s4
	s_addc_u32 s5, s13, s5
	s_lshl_b32 s10, s33, 6
	s_sub_i32 s11, s10, 64
	s_waitcnt lgkmcnt(1)
	v_lshlrev_b32_e32 v2, 6, v1
	v_mov_b32_e32 v3, 0
	s_cmp_lt_i32 s34, 1
	v_lshl_add_u64 v[4:5], v[2:3], 1, s[4:5]
	s_cselect_b32 s4, s11, 0
	v_lshlrev_b32_e32 v2, 1, v0
	s_ashr_i32 s5, s4, 31
	v_lshl_add_u64 v[0:1], v[4:5], 0, v[2:3]
	s_cmpk_lt_i32 s34, 0x101
	v_lshl_add_u64 v[12:13], s[4:5], 1, v[0:1]
	s_cselect_b32 s4, s11, 64
	s_ashr_i32 s5, s4, 31
	s_cmpk_lt_i32 s34, 0x201
	v_lshl_add_u64 v[14:15], s[4:5], 1, v[0:1]
	s_cselect_b32 s4, s11, 0x80
	s_ashr_i32 s5, s4, 31
	s_cmpk_lt_i32 s34, 0x301
	v_lshl_add_u64 v[16:17], s[4:5], 1, v[0:1]
	s_cselect_b32 s4, s11, 0xc0
	s_ashr_i32 s5, s4, 31
	s_cmpk_lt_i32 s34, 0x401
	v_lshl_add_u64 v[18:19], s[4:5], 1, v[0:1]
	s_cselect_b32 s4, s11, 0x100
	s_ashr_i32 s5, s4, 31
	s_cmpk_lt_i32 s34, 0x501
	v_lshl_add_u64 v[20:21], s[4:5], 1, v[0:1]
	s_cselect_b32 s4, s11, 0x140
	s_ashr_i32 s5, s4, 31
	s_cmpk_lt_i32 s34, 0x601
	v_lshl_add_u64 v[22:23], s[4:5], 1, v[0:1]
	s_cselect_b32 s4, s11, 0x180
	s_ashr_i32 s5, s4, 31
	s_cmpk_lt_i32 s34, 0x701
	v_lshl_add_u64 v[24:25], s[4:5], 1, v[0:1]
	s_cselect_b32 s4, s11, 0x1c0
	s_ashr_i32 s5, s4, 31
	s_cmpk_lt_i32 s34, 0x801
	v_lshl_add_u64 v[26:27], s[4:5], 1, v[0:1]
	s_cselect_b32 s4, s11, 0x200
	s_ashr_i32 s5, s4, 31
	s_cmpk_lt_i32 s34, 0x901
	global_load_ushort v4, v[12:13], off
	global_load_ushort v5, v[14:15], off
	;; [unrolled: 1-line block ×8, first 2 shown]
	v_lshl_add_u64 v[20:21], s[4:5], 1, v[0:1]
	s_cselect_b32 s4, s11, 0x240
	s_ashr_i32 s5, s4, 31
	s_cmpk_lt_i32 s34, 0xa01
	v_lshl_add_u64 v[22:23], s[4:5], 1, v[0:1]
	s_cselect_b32 s4, s11, 0x280
	s_ashr_i32 s5, s4, 31
	s_cmpk_lt_i32 s34, 0xb01
	v_lshl_add_u64 v[24:25], s[4:5], 1, v[0:1]
	s_cselect_b32 s4, s11, 0x2c0
	s_ashr_i32 s5, s4, 31
	s_cmpk_lt_i32 s34, 0xc01
	v_lshl_add_u64 v[26:27], s[4:5], 1, v[0:1]
	s_cselect_b32 s4, s11, 0x300
	s_ashr_i32 s5, s4, 31
	s_cmpk_lt_i32 s34, 0xd01
	v_lshl_add_u64 v[28:29], s[4:5], 1, v[0:1]
	s_cselect_b32 s4, s11, 0x340
	s_ashr_i32 s5, s4, 31
	s_cmpk_lt_i32 s34, 0xe01
	v_lshl_add_u64 v[30:31], s[4:5], 1, v[0:1]
	s_cselect_b32 s4, s11, 0x380
	s_ashr_i32 s5, s4, 31
	s_cmpk_lt_i32 s34, 0xf01
	v_lshl_add_u64 v[32:33], s[4:5], 1, v[0:1]
	s_cselect_b32 s4, s11, 0x3c0
	s_ashr_i32 s5, s4, 31
	v_lshl_add_u64 v[34:35], s[4:5], 1, v[0:1]
	global_load_ushort v12, v[20:21], off
	global_load_ushort v13, v[22:23], off
	;; [unrolled: 1-line block ×8, first 2 shown]
	s_cmpk_gt_i32 s34, 0x1000
	s_cselect_b64 s[8:9], -1, 0
	s_cmpk_lt_i32 s34, 0x1001
	v_mov_b32_e32 v36, 0
	v_mov_b32_e32 v37, 0
	;; [unrolled: 1-line block ×48, first 2 shown]
	s_waitcnt lgkmcnt(0)
	; wave barrier
	s_waitcnt lgkmcnt(0)
	s_cbranch_scc1 .LBB75_12
; %bb.10:
	s_cmpk_lt_u32 s34, 0x1101
	s_cselect_b32 s4, s11, 0x440
	s_ashr_i32 s5, s4, 31
	s_cmpk_lt_u32 s34, 0x1201
	v_lshl_add_u64 v[28:29], s[4:5], 1, v[0:1]
	s_cselect_b32 s4, s11, 0x480
	s_ashr_i32 s5, s4, 31
	s_cmpk_lt_u32 s34, 0x1301
	v_lshl_add_u64 v[30:31], s[4:5], 1, v[0:1]
	;; [unrolled: 4-line block ×7, first 2 shown]
	s_cselect_b32 s4, s11, 0x600
	s_ashr_i32 s5, s4, 31
	s_cmpk_lt_u32 s34, 0x1901
	global_load_ushort v27, v[0:1], off offset:2048
	global_load_ushort v26, v[28:29], off
	global_load_ushort v25, v[30:31], off
	;; [unrolled: 1-line block ×7, first 2 shown]
	v_lshl_add_u64 v[36:37], s[4:5], 1, v[0:1]
	s_cselect_b32 s4, s11, 0x640
	s_ashr_i32 s5, s4, 31
	s_cmpk_lt_u32 s34, 0x1a01
	v_lshl_add_u64 v[38:39], s[4:5], 1, v[0:1]
	s_cselect_b32 s4, s11, 0x680
	s_ashr_i32 s5, s4, 31
	s_cmpk_lt_u32 s34, 0x1b01
	;; [unrolled: 4-line block ×6, first 2 shown]
	v_lshl_add_u64 v[48:49], s[4:5], 1, v[0:1]
	s_cselect_b32 s4, s11, 0x7c0
	s_ashr_i32 s5, s4, 31
	v_lshl_add_u64 v[50:51], s[4:5], 1, v[0:1]
	global_load_ushort v35, v[36:37], off
	global_load_ushort v34, v[38:39], off
	;; [unrolled: 1-line block ×8, first 2 shown]
	s_cmpk_lt_u32 s34, 0x2001
	v_mov_b32_e32 v67, 0
	v_mov_b32_e32 v66, 0
	;; [unrolled: 1-line block ×32, first 2 shown]
	s_cbranch_scc1 .LBB75_12
; %bb.11:
	s_cmpk_lt_u32 s34, 0x2101
	s_cselect_b32 s4, s11, 0x840
	s_ashr_i32 s5, s4, 31
	s_cmpk_lt_u32 s34, 0x2201
	v_lshl_add_u64 v[38:39], s[4:5], 1, v[0:1]
	s_cselect_b32 s4, s11, 0x880
	s_ashr_i32 s5, s4, 31
	s_cmpk_lt_u32 s34, 0x2301
	v_lshl_add_u64 v[40:41], s[4:5], 1, v[0:1]
	;; [unrolled: 4-line block ×7, first 2 shown]
	s_cselect_b32 s4, s11, 0xa00
	v_add_co_u32_e32 v36, vcc, 0x1000, v0
	s_ashr_i32 s5, s4, 31
	s_nop 0
	v_addc_co_u32_e32 v37, vcc, 0, v1, vcc
	s_cmpk_lt_u32 s34, 0x2901
	global_load_ushort v52, v[36:37], off
	global_load_ushort v53, v[38:39], off
	;; [unrolled: 1-line block ×8, first 2 shown]
	v_lshl_add_u64 v[36:37], s[4:5], 1, v[0:1]
	s_cselect_b32 s4, s11, 0xa40
	s_ashr_i32 s5, s4, 31
	s_cmpk_lt_u32 s34, 0x2a01
	v_lshl_add_u64 v[38:39], s[4:5], 1, v[0:1]
	s_cselect_b32 s4, s11, 0xa80
	s_ashr_i32 s5, s4, 31
	s_cmpk_lt_u32 s34, 0x2b01
	;; [unrolled: 4-line block ×8, first 2 shown]
	global_load_ushort v68, v[36:37], off
	global_load_ushort v69, v[38:39], off
	;; [unrolled: 1-line block ×8, first 2 shown]
	v_lshl_add_u64 v[36:37], s[4:5], 1, v[0:1]
	s_cselect_b32 s4, s11, 0xc40
	s_ashr_i32 s5, s4, 31
	s_cmpk_lt_u32 s34, 0x3201
	v_lshl_add_u64 v[38:39], s[4:5], 1, v[0:1]
	s_cselect_b32 s4, s11, 0xc80
	s_ashr_i32 s5, s4, 31
	s_cmpk_lt_u32 s34, 0x3301
	;; [unrolled: 4-line block ×8, first 2 shown]
	global_load_ushort v76, v[36:37], off
	global_load_ushort v77, v[38:39], off
	;; [unrolled: 1-line block ×8, first 2 shown]
	v_lshl_add_u64 v[36:37], s[4:5], 1, v[0:1]
	s_cselect_b32 s4, s11, 0xe40
	s_ashr_i32 s5, s4, 31
	s_cmpk_lt_u32 s34, 0x3a01
	v_lshl_add_u64 v[38:39], s[4:5], 1, v[0:1]
	s_cselect_b32 s4, s11, 0xe80
	s_ashr_i32 s5, s4, 31
	s_cmpk_lt_u32 s34, 0x3b01
	;; [unrolled: 4-line block ×6, first 2 shown]
	v_lshl_add_u64 v[48:49], s[4:5], 1, v[0:1]
	s_cselect_b32 s4, s11, 0xfc0
	s_ashr_i32 s5, s4, 31
	v_lshl_add_u64 v[50:51], s[4:5], 1, v[0:1]
	global_load_ushort v84, v[36:37], off
	global_load_ushort v85, v[38:39], off
	;; [unrolled: 1-line block ×8, first 2 shown]
	s_waitcnt vmcnt(31)
	v_cvt_f32_f16_e32 v67, v52
	s_waitcnt vmcnt(30)
	v_cvt_f32_f16_e32 v66, v53
	;; [unrolled: 2-line block ×32, first 2 shown]
.LBB75_12:
	ds_read_b128 v[68:71], v3
	s_load_dwordx2 s[4:5], s[0:1], 0x0
	s_load_dwordx2 s[6:7], s[0:1], 0x38
	ds_read_b128 v[72:75], v3 offset:16
	ds_read_b128 v[76:79], v3 offset:32
	;; [unrolled: 1-line block ×3, first 2 shown]
	s_and_b64 vcc, exec, s[8:9]
	s_waitcnt vmcnt(15) lgkmcnt(0)
	v_fma_mix_f32 v4, v68, v4, 0 op_sel_hi:[0,1,0]
	s_waitcnt vmcnt(14)
	v_fma_mix_f32 v4, v69, v5, v4 op_sel_hi:[0,1,0]
	s_waitcnt vmcnt(13)
	;; [unrolled: 2-line block ×15, first 2 shown]
	v_fma_mix_f32 v4, v83, v19, v4 op_sel_hi:[0,1,0]
	s_cbranch_vccz .LBB75_15
; %bb.13:
	ds_read_b128 v[6:9], v3 offset:64
	ds_read_b128 v[10:13], v3 offset:80
	;; [unrolled: 1-line block ×4, first 2 shown]
	s_cmpk_lt_u32 s34, 0x2001
	s_waitcnt lgkmcnt(3)
	v_fma_mix_f32 v3, v6, v27, v4 op_sel_hi:[0,1,0]
	v_fma_mix_f32 v3, v7, v26, v3 op_sel_hi:[0,1,0]
	v_fma_mix_f32 v3, v8, v25, v3 op_sel_hi:[0,1,0]
	v_fma_mix_f32 v3, v9, v24, v3 op_sel_hi:[0,1,0]
	s_waitcnt lgkmcnt(2)
	v_fma_mix_f32 v3, v10, v23, v3 op_sel_hi:[0,1,0]
	v_fma_mix_f32 v3, v11, v22, v3 op_sel_hi:[0,1,0]
	v_fma_mix_f32 v3, v12, v21, v3 op_sel_hi:[0,1,0]
	v_fma_mix_f32 v3, v13, v20, v3 op_sel_hi:[0,1,0]
	;; [unrolled: 5-line block ×4, first 2 shown]
	s_cbranch_scc1 .LBB75_15
; %bb.14:
	v_mov_b32_e32 v3, 0
	ds_read_b128 v[6:9], v3 offset:128
	ds_read_b128 v[10:13], v3 offset:144
	ds_read_b128 v[14:17], v3 offset:160
	ds_read_b128 v[18:21], v3 offset:176
	s_waitcnt lgkmcnt(3)
	v_fmac_f32_e32 v4, v6, v67
	v_fmac_f32_e32 v4, v7, v66
	v_fmac_f32_e32 v4, v8, v65
	v_fmac_f32_e32 v4, v9, v64
	s_waitcnt lgkmcnt(2)
	v_fmac_f32_e32 v4, v10, v63
	v_fmac_f32_e32 v4, v11, v62
	v_fmac_f32_e32 v4, v12, v61
	v_fmac_f32_e32 v4, v13, v60
	;; [unrolled: 5-line block ×3, first 2 shown]
	ds_read_b128 v[6:9], v3 offset:192
	ds_read_b128 v[10:13], v3 offset:208
	s_waitcnt lgkmcnt(2)
	v_fmac_f32_e32 v4, v18, v55
	v_fmac_f32_e32 v4, v19, v54
	v_fmac_f32_e32 v4, v20, v53
	v_fmac_f32_e32 v4, v21, v52
	s_waitcnt lgkmcnt(1)
	v_fmac_f32_e32 v4, v6, v51
	v_fmac_f32_e32 v4, v7, v50
	;; [unrolled: 1-line block ×4, first 2 shown]
	ds_read_b128 v[6:9], v3 offset:224
	s_waitcnt lgkmcnt(1)
	v_fmac_f32_e32 v4, v10, v47
	v_fmac_f32_e32 v4, v11, v46
	;; [unrolled: 1-line block ×4, first 2 shown]
	ds_read_b128 v[10:13], v3 offset:240
	s_waitcnt lgkmcnt(1)
	v_fmac_f32_e32 v4, v6, v43
	v_fmac_f32_e32 v4, v7, v42
	;; [unrolled: 1-line block ×4, first 2 shown]
	s_waitcnt lgkmcnt(0)
	v_fmac_f32_e32 v4, v10, v39
	v_fmac_f32_e32 v4, v11, v38
	;; [unrolled: 1-line block ×4, first 2 shown]
.LBB75_15:
	s_movk_i32 s0, 0x1fc0
	s_movk_i32 s1, 0x100
	s_mov_b32 s8, 64
	s_branch .LBB75_17
.LBB75_16:                              ;   in Loop: Header=BB75_17 Depth=1
	s_addk_i32 s0, 0x1000
	s_addk_i32 s1, 0x100
	s_add_i32 s8, s8, 64
	s_cmpk_eq_i32 s0, 0x4fc0
	s_cbranch_scc1 .LBB75_19
.LBB75_17:                              ; =>This Inner Loop Header: Depth=1
	s_cmp_le_i32 s33, s8
	s_cbranch_scc1 .LBB75_16
; %bb.18:                               ;   in Loop: Header=BB75_17 Depth=1
	s_add_i32 s9, s0, 0xfffff040
	s_cmp_lt_i32 s9, s10
	s_cselect_b32 s12, s9, s11
	s_ashr_i32 s13, s12, 31
	s_add_i32 s9, s0, 0xfffff080
	s_cmp_lt_i32 s9, s10
	v_lshl_add_u64 v[12:13], s[12:13], 1, v[0:1]
	s_cselect_b32 s12, s9, s11
	s_ashr_i32 s13, s12, 31
	s_add_i32 s9, s0, 0xfffff0c0
	s_cmp_lt_i32 s9, s10
	v_lshl_add_u64 v[14:15], s[12:13], 1, v[0:1]
	;; [unrolled: 5-line block ×8, first 2 shown]
	s_cselect_b32 s12, s9, s11
	s_ashr_i32 s13, s12, 31
	s_add_i32 s9, s0, 0xfffff280
	s_cmp_lt_i32 s9, s10
	global_load_ushort v3, v[12:13], off
	global_load_ushort v5, v[14:15], off
	global_load_ushort v6, v[16:17], off
	global_load_ushort v7, v[18:19], off
	global_load_ushort v8, v[20:21], off
	global_load_ushort v9, v[22:23], off
	global_load_ushort v10, v[24:25], off
	global_load_ushort v11, v[26:27], off
	v_lshl_add_u64 v[12:13], s[12:13], 1, v[0:1]
	s_cselect_b32 s12, s9, s11
	s_ashr_i32 s13, s12, 31
	s_add_i32 s9, s0, 0xfffff2c0
	s_cmp_lt_i32 s9, s10
	v_lshl_add_u64 v[14:15], s[12:13], 1, v[0:1]
	s_cselect_b32 s12, s9, s11
	s_ashr_i32 s13, s12, 31
	s_add_i32 s9, s0, 0xfffff300
	s_cmp_lt_i32 s9, s10
	v_lshl_add_u64 v[16:17], s[12:13], 1, v[0:1]
	s_cselect_b32 s12, s9, s11
	s_ashr_i32 s13, s12, 31
	s_add_i32 s9, s0, 0xfffff340
	s_cmp_lt_i32 s9, s10
	v_lshl_add_u64 v[18:19], s[12:13], 1, v[0:1]
	s_cselect_b32 s12, s9, s11
	s_ashr_i32 s13, s12, 31
	s_add_i32 s9, s0, 0xfffff380
	s_cmp_lt_i32 s9, s10
	v_lshl_add_u64 v[20:21], s[12:13], 1, v[0:1]
	s_cselect_b32 s12, s9, s11
	s_ashr_i32 s13, s12, 31
	s_add_i32 s9, s0, 0xfffff3c0
	s_cmp_lt_i32 s9, s10
	v_lshl_add_u64 v[22:23], s[12:13], 1, v[0:1]
	s_cselect_b32 s12, s9, s11
	s_ashr_i32 s13, s12, 31
	s_add_i32 s9, s0, 0xfffff400
	s_cmp_lt_i32 s9, s10
	v_lshl_add_u64 v[24:25], s[12:13], 1, v[0:1]
	s_cselect_b32 s12, s9, s11
	s_ashr_i32 s13, s12, 31
	s_add_i32 s9, s0, 0xfffff440
	s_cmp_lt_i32 s9, s10
	v_lshl_add_u64 v[26:27], s[12:13], 1, v[0:1]
	s_cselect_b32 s12, s9, s11
	s_ashr_i32 s13, s12, 31
	s_add_i32 s9, s0, 0xfffff480
	s_cmp_lt_i32 s9, s10
	global_load_ushort v28, v[12:13], off
	global_load_ushort v29, v[14:15], off
	global_load_ushort v30, v[16:17], off
	global_load_ushort v31, v[18:19], off
	global_load_ushort v32, v[20:21], off
	global_load_ushort v33, v[22:23], off
	global_load_ushort v34, v[24:25], off
	global_load_ushort v35, v[26:27], off
	v_lshl_add_u64 v[12:13], s[12:13], 1, v[0:1]
	s_cselect_b32 s12, s9, s11
	s_ashr_i32 s13, s12, 31
	s_add_i32 s9, s0, 0xfffff4c0
	s_cmp_lt_i32 s9, s10
	v_lshl_add_u64 v[14:15], s[12:13], 1, v[0:1]
	s_cselect_b32 s12, s9, s11
	s_ashr_i32 s13, s12, 31
	s_add_i32 s9, s0, 0xfffff500
	s_cmp_lt_i32 s9, s10
	v_lshl_add_u64 v[16:17], s[12:13], 1, v[0:1]
	s_cselect_b32 s12, s9, s11
	s_ashr_i32 s13, s12, 31
	s_add_i32 s9, s0, 0xfffff540
	s_cmp_lt_i32 s9, s10
	v_lshl_add_u64 v[18:19], s[12:13], 1, v[0:1]
	s_cselect_b32 s12, s9, s11
	s_ashr_i32 s13, s12, 31
	s_add_i32 s9, s0, 0xfffff580
	s_cmp_lt_i32 s9, s10
	v_lshl_add_u64 v[20:21], s[12:13], 1, v[0:1]
	s_cselect_b32 s12, s9, s11
	s_ashr_i32 s13, s12, 31
	s_add_i32 s9, s0, 0xfffff5c0
	s_cmp_lt_i32 s9, s10
	v_lshl_add_u64 v[22:23], s[12:13], 1, v[0:1]
	s_cselect_b32 s12, s9, s11
	s_ashr_i32 s13, s12, 31
	s_add_i32 s9, s0, 0xfffff600
	s_cmp_lt_i32 s9, s10
	v_lshl_add_u64 v[24:25], s[12:13], 1, v[0:1]
	s_cselect_b32 s12, s9, s11
	s_ashr_i32 s13, s12, 31
	s_add_i32 s9, s0, 0xfffff640
	s_cmp_lt_i32 s9, s10
	v_lshl_add_u64 v[26:27], s[12:13], 1, v[0:1]
	;; [unrolled: 48-line block ×6, first 2 shown]
	s_cselect_b32 s12, s9, s11
	s_ashr_i32 s13, s12, 31
	s_add_i32 s9, s0, 0xfffffe80
	s_cmp_lt_i32 s9, s10
	global_load_ushort v68, v[12:13], off
	global_load_ushort v69, v[14:15], off
	;; [unrolled: 1-line block ×8, first 2 shown]
	v_lshl_add_u64 v[12:13], s[12:13], 1, v[0:1]
	s_cselect_b32 s12, s9, s11
	s_ashr_i32 s13, s12, 31
	s_add_i32 s9, s0, 0xfffffec0
	s_cmp_lt_i32 s9, s10
	v_lshl_add_u64 v[14:15], s[12:13], 1, v[0:1]
	s_cselect_b32 s12, s9, s11
	s_ashr_i32 s13, s12, 31
	s_add_i32 s9, s0, 0xffffff00
	s_cmp_lt_i32 s9, s10
	;; [unrolled: 5-line block ×4, first 2 shown]
	v_lshl_add_u64 v[20:21], s[12:13], 1, v[0:1]
	s_cselect_b32 s12, s9, s11
	s_ashr_i32 s13, s12, 31
	s_sub_i32 s9, s0, 64
	s_cmp_lt_i32 s9, s10
	v_lshl_add_u64 v[22:23], s[12:13], 1, v[0:1]
	s_cselect_b32 s12, s9, s11
	s_ashr_i32 s13, s12, 31
	s_cmp_lt_i32 s0, s10
	v_lshl_add_u64 v[24:25], s[12:13], 1, v[0:1]
	s_cselect_b32 s12, s0, s11
	s_ashr_i32 s13, s12, 31
	v_lshl_add_u64 v[26:27], s[12:13], 1, v[0:1]
	global_load_ushort v76, v[12:13], off
	global_load_ushort v77, v[14:15], off
	global_load_ushort v78, v[16:17], off
	global_load_ushort v79, v[18:19], off
	global_load_ushort v80, v[20:21], off
	global_load_ushort v81, v[22:23], off
	global_load_ushort v82, v[24:25], off
	global_load_ushort v83, v[26:27], off
	v_mov_b32_e32 v84, s1
	ds_read_b128 v[12:15], v84
	ds_read_b128 v[16:19], v84 offset:16
	ds_read_b128 v[20:23], v84 offset:32
	;; [unrolled: 1-line block ×3, first 2 shown]
	s_waitcnt vmcnt(62) lgkmcnt(3)
	v_fma_mix_f32 v3, v12, v3, v4 op_sel_hi:[0,1,0]
	v_fma_mix_f32 v3, v13, v5, v3 op_sel_hi:[0,1,0]
	s_waitcnt vmcnt(61)
	v_fma_mix_f32 v3, v14, v6, v3 op_sel_hi:[0,1,0]
	s_waitcnt vmcnt(60)
	v_fma_mix_f32 v3, v15, v7, v3 op_sel_hi:[0,1,0]
	s_waitcnt vmcnt(59) lgkmcnt(2)
	v_fma_mix_f32 v3, v16, v8, v3 op_sel_hi:[0,1,0]
	s_waitcnt vmcnt(58)
	v_fma_mix_f32 v3, v17, v9, v3 op_sel_hi:[0,1,0]
	s_waitcnt vmcnt(57)
	;; [unrolled: 2-line block ×3, first 2 shown]
	v_fma_mix_f32 v3, v19, v11, v3 op_sel_hi:[0,1,0]
	s_waitcnt vmcnt(55) lgkmcnt(1)
	v_fma_mix_f32 v3, v20, v28, v3 op_sel_hi:[0,1,0]
	s_waitcnt vmcnt(54)
	v_fma_mix_f32 v3, v21, v29, v3 op_sel_hi:[0,1,0]
	s_waitcnt vmcnt(53)
	;; [unrolled: 2-line block ×3, first 2 shown]
	v_fma_mix_f32 v3, v23, v31, v3 op_sel_hi:[0,1,0]
	ds_read_b128 v[4:7], v84 offset:64
	ds_read_b128 v[8:11], v84 offset:80
	s_waitcnt vmcnt(51) lgkmcnt(2)
	v_fma_mix_f32 v3, v24, v32, v3 op_sel_hi:[0,1,0]
	s_waitcnt vmcnt(50)
	v_fma_mix_f32 v3, v25, v33, v3 op_sel_hi:[0,1,0]
	s_waitcnt vmcnt(49)
	;; [unrolled: 2-line block ×3, first 2 shown]
	v_fma_mix_f32 v3, v27, v35, v3 op_sel_hi:[0,1,0]
	s_waitcnt vmcnt(47) lgkmcnt(1)
	v_fma_mix_f32 v3, v4, v36, v3 op_sel_hi:[0,1,0]
	s_waitcnt vmcnt(46)
	v_fma_mix_f32 v3, v5, v37, v3 op_sel_hi:[0,1,0]
	s_waitcnt vmcnt(45)
	v_fma_mix_f32 v3, v6, v38, v3 op_sel_hi:[0,1,0]
	s_waitcnt vmcnt(44)
	v_fma_mix_f32 v3, v7, v39, v3 op_sel_hi:[0,1,0]
	ds_read_b128 v[4:7], v84 offset:96
	s_waitcnt vmcnt(43) lgkmcnt(1)
	v_fma_mix_f32 v3, v8, v40, v3 op_sel_hi:[0,1,0]
	s_waitcnt vmcnt(42)
	v_fma_mix_f32 v3, v9, v41, v3 op_sel_hi:[0,1,0]
	s_waitcnt vmcnt(41)
	v_fma_mix_f32 v3, v10, v42, v3 op_sel_hi:[0,1,0]
	s_waitcnt vmcnt(40)
	v_fma_mix_f32 v3, v11, v43, v3 op_sel_hi:[0,1,0]
	ds_read_b128 v[8:11], v84 offset:112
	s_waitcnt vmcnt(39) lgkmcnt(1)
	v_fma_mix_f32 v3, v4, v44, v3 op_sel_hi:[0,1,0]
	s_waitcnt vmcnt(38)
	v_fma_mix_f32 v3, v5, v45, v3 op_sel_hi:[0,1,0]
	s_waitcnt vmcnt(37)
	v_fma_mix_f32 v3, v6, v46, v3 op_sel_hi:[0,1,0]
	s_waitcnt vmcnt(36)
	v_fma_mix_f32 v3, v7, v47, v3 op_sel_hi:[0,1,0]
	ds_read_b128 v[4:7], v84 offset:128
	s_waitcnt vmcnt(35) lgkmcnt(1)
	v_fma_mix_f32 v3, v8, v48, v3 op_sel_hi:[0,1,0]
	s_waitcnt vmcnt(34)
	v_fma_mix_f32 v3, v9, v49, v3 op_sel_hi:[0,1,0]
	s_waitcnt vmcnt(33)
	v_fma_mix_f32 v3, v10, v50, v3 op_sel_hi:[0,1,0]
	s_waitcnt vmcnt(32)
	v_fma_mix_f32 v3, v11, v51, v3 op_sel_hi:[0,1,0]
	ds_read_b128 v[8:11], v84 offset:144
	s_waitcnt vmcnt(31) lgkmcnt(1)
	v_fma_mix_f32 v3, v4, v52, v3 op_sel_hi:[0,1,0]
	s_waitcnt vmcnt(30)
	v_fma_mix_f32 v3, v5, v53, v3 op_sel_hi:[0,1,0]
	s_waitcnt vmcnt(29)
	v_fma_mix_f32 v3, v6, v54, v3 op_sel_hi:[0,1,0]
	s_waitcnt vmcnt(28)
	v_fma_mix_f32 v3, v7, v55, v3 op_sel_hi:[0,1,0]
	ds_read_b128 v[4:7], v84 offset:160
	s_waitcnt vmcnt(27) lgkmcnt(1)
	v_fma_mix_f32 v3, v8, v56, v3 op_sel_hi:[0,1,0]
	s_waitcnt vmcnt(26)
	v_fma_mix_f32 v3, v9, v57, v3 op_sel_hi:[0,1,0]
	s_waitcnt vmcnt(25)
	v_fma_mix_f32 v3, v10, v58, v3 op_sel_hi:[0,1,0]
	s_waitcnt vmcnt(24)
	v_fma_mix_f32 v3, v11, v59, v3 op_sel_hi:[0,1,0]
	ds_read_b128 v[8:11], v84 offset:176
	s_waitcnt vmcnt(23) lgkmcnt(1)
	v_fma_mix_f32 v3, v4, v60, v3 op_sel_hi:[0,1,0]
	s_waitcnt vmcnt(22)
	v_fma_mix_f32 v3, v5, v61, v3 op_sel_hi:[0,1,0]
	s_waitcnt vmcnt(21)
	v_fma_mix_f32 v3, v6, v62, v3 op_sel_hi:[0,1,0]
	s_waitcnt vmcnt(20)
	v_fma_mix_f32 v3, v7, v63, v3 op_sel_hi:[0,1,0]
	ds_read_b128 v[4:7], v84 offset:192
	s_waitcnt vmcnt(19) lgkmcnt(1)
	v_fma_mix_f32 v3, v8, v64, v3 op_sel_hi:[0,1,0]
	s_waitcnt vmcnt(18)
	v_fma_mix_f32 v3, v9, v65, v3 op_sel_hi:[0,1,0]
	s_waitcnt vmcnt(17)
	v_fma_mix_f32 v3, v10, v66, v3 op_sel_hi:[0,1,0]
	s_waitcnt vmcnt(16)
	v_fma_mix_f32 v3, v11, v67, v3 op_sel_hi:[0,1,0]
	ds_read_b128 v[8:11], v84 offset:208
	s_waitcnt vmcnt(15) lgkmcnt(1)
	v_fma_mix_f32 v3, v4, v68, v3 op_sel_hi:[0,1,0]
	s_waitcnt vmcnt(14)
	v_fma_mix_f32 v3, v5, v69, v3 op_sel_hi:[0,1,0]
	s_waitcnt vmcnt(13)
	v_fma_mix_f32 v3, v6, v70, v3 op_sel_hi:[0,1,0]
	s_waitcnt vmcnt(12)
	v_fma_mix_f32 v3, v7, v71, v3 op_sel_hi:[0,1,0]
	ds_read_b128 v[4:7], v84 offset:224
	s_waitcnt vmcnt(11) lgkmcnt(1)
	v_fma_mix_f32 v3, v8, v72, v3 op_sel_hi:[0,1,0]
	s_waitcnt vmcnt(10)
	v_fma_mix_f32 v3, v9, v73, v3 op_sel_hi:[0,1,0]
	s_waitcnt vmcnt(9)
	v_fma_mix_f32 v3, v10, v74, v3 op_sel_hi:[0,1,0]
	s_waitcnt vmcnt(8)
	v_fma_mix_f32 v3, v11, v75, v3 op_sel_hi:[0,1,0]
	ds_read_b128 v[8:11], v84 offset:240
	s_waitcnt vmcnt(7) lgkmcnt(1)
	v_fma_mix_f32 v3, v4, v76, v3 op_sel_hi:[0,1,0]
	s_waitcnt vmcnt(6)
	v_fma_mix_f32 v3, v5, v77, v3 op_sel_hi:[0,1,0]
	s_waitcnt vmcnt(5)
	;; [unrolled: 2-line block ×3, first 2 shown]
	v_fma_mix_f32 v3, v7, v79, v3 op_sel_hi:[0,1,0]
	s_waitcnt vmcnt(3) lgkmcnt(0)
	v_fma_mix_f32 v3, v8, v80, v3 op_sel_hi:[0,1,0]
	s_waitcnt vmcnt(2)
	v_fma_mix_f32 v3, v9, v81, v3 op_sel_hi:[0,1,0]
	s_waitcnt vmcnt(1)
	;; [unrolled: 2-line block ×3, first 2 shown]
	v_fma_mix_f32 v4, v11, v83, v3 op_sel_hi:[0,1,0]
	s_branch .LBB75_16
.LBB75_19:
	v_mov_b32_e32 v0, 0
	ds_read_b32 v1, v0 offset:1024
	s_cmp_lg_u64 s[6:7], 0
	s_cbranch_scc0 .LBB75_24
; %bb.20:
	s_load_dword s6, s[6:7], 0x0
	s_waitcnt lgkmcnt(0)
	v_div_scale_f32 v0, s[0:1], s6, s6, 1.0
	v_rcp_f32_e32 v3, v0
	v_div_scale_f32 v5, vcc, 1.0, s6, 1.0
	v_fma_f32 v6, -v0, v3, 1.0
	v_fmac_f32_e32 v3, v6, v3
	v_mul_f32_e32 v6, v5, v3
	v_fma_f32 v7, -v0, v6, v5
	v_fmac_f32_e32 v6, v7, v3
	v_fma_f32 v0, -v0, v6, v5
	v_div_fmas_f32 v0, v0, v3, v6
	v_div_fixup_f32 v0, v0, s6, 1.0
	s_andn2_b64 vcc, exec, s[24:25]
	s_cbranch_vccnz .LBB75_22
.LBB75_21:
	s_add_u32 s0, s22, s26
	s_addc_u32 s1, s23, s27
	s_load_dword s20, s[0:1], 0x0
	s_mov_b32 s21, 0
.LBB75_22:
	s_waitcnt lgkmcnt(0)
	v_add_f32_e32 v1, 0x358637bd, v1
	v_div_scale_f32 v3, s[0:1], v1, v1, 1.0
	v_rcp_f32_e32 v5, v3
	v_div_scale_f32 v6, vcc, 1.0, v1, 1.0
	s_mul_i32 s0, s3, s21
	v_fma_f32 v7, -v3, v5, 1.0
	v_fmac_f32_e32 v5, v7, v5
	v_mul_f32_e32 v7, v6, v5
	v_fma_f32 v8, -v3, v7, v6
	s_mul_hi_u32 s1, s3, s20
	v_fmac_f32_e32 v7, v8, v5
	s_add_i32 s1, s1, s0
	s_mul_i32 s0, s3, s20
	v_fma_f32 v3, -v3, v7, v6
	s_lshl_b64 s[0:1], s[0:1], 7
	v_div_fmas_f32 v3, v3, v5, v7
	s_add_u32 s4, s4, s0
	s_mov_b32 s3, 0
	v_div_fixup_f32 v1, v3, v1, 1.0
	s_addc_u32 s5, s5, s1
	s_lshl_b64 s[0:1], s[2:3], 7
	v_mul_f32_e32 v1, v4, v1
	s_add_u32 s0, s4, s0
	s_addc_u32 s1, s5, s1
	v_fma_mixlo_f16 v0, v1, v0, 0
	global_store_short v2, v0, s[0:1]
	s_endpgm
.LBB75_23:
	s_mov_b64 s[6:7], 0
	s_branch .LBB75_2
.LBB75_24:
	v_mov_b32_e32 v0, 1.0
	s_andn2_b64 vcc, exec, s[24:25]
	s_cbranch_vccz .LBB75_21
	s_branch .LBB75_22
	.section	.rodata,"a",@progbits
	.p2align	6, 0x0
	.amdhsa_kernel _Z35paged_attention_ll4mi_reduce_kernelIDF16_DF16_Li64ELi64ELi256ELi4EEvPT0_PKfS3_PKT_PKiS8_iS3_
		.amdhsa_group_segment_fixed_size 1028
		.amdhsa_private_segment_fixed_size 0
		.amdhsa_kernarg_size 320
		.amdhsa_user_sgpr_count 2
		.amdhsa_user_sgpr_dispatch_ptr 0
		.amdhsa_user_sgpr_queue_ptr 0
		.amdhsa_user_sgpr_kernarg_segment_ptr 1
		.amdhsa_user_sgpr_dispatch_id 0
		.amdhsa_user_sgpr_kernarg_preload_length 0
		.amdhsa_user_sgpr_kernarg_preload_offset 0
		.amdhsa_user_sgpr_private_segment_size 0
		.amdhsa_uses_dynamic_stack 0
		.amdhsa_enable_private_segment 0
		.amdhsa_system_sgpr_workgroup_id_x 1
		.amdhsa_system_sgpr_workgroup_id_y 1
		.amdhsa_system_sgpr_workgroup_id_z 0
		.amdhsa_system_sgpr_workgroup_info 0
		.amdhsa_system_vgpr_workitem_id 0
		.amdhsa_next_free_vgpr 92
		.amdhsa_next_free_sgpr 38
		.amdhsa_accum_offset 92
		.amdhsa_reserve_vcc 1
		.amdhsa_float_round_mode_32 0
		.amdhsa_float_round_mode_16_64 0
		.amdhsa_float_denorm_mode_32 3
		.amdhsa_float_denorm_mode_16_64 3
		.amdhsa_dx10_clamp 1
		.amdhsa_ieee_mode 1
		.amdhsa_fp16_overflow 0
		.amdhsa_tg_split 0
		.amdhsa_exception_fp_ieee_invalid_op 0
		.amdhsa_exception_fp_denorm_src 0
		.amdhsa_exception_fp_ieee_div_zero 0
		.amdhsa_exception_fp_ieee_overflow 0
		.amdhsa_exception_fp_ieee_underflow 0
		.amdhsa_exception_fp_ieee_inexact 0
		.amdhsa_exception_int_div_zero 0
	.end_amdhsa_kernel
	.section	.text._Z35paged_attention_ll4mi_reduce_kernelIDF16_DF16_Li64ELi64ELi256ELi4EEvPT0_PKfS3_PKT_PKiS8_iS3_,"axG",@progbits,_Z35paged_attention_ll4mi_reduce_kernelIDF16_DF16_Li64ELi64ELi256ELi4EEvPT0_PKfS3_PKT_PKiS8_iS3_,comdat
.Lfunc_end75:
	.size	_Z35paged_attention_ll4mi_reduce_kernelIDF16_DF16_Li64ELi64ELi256ELi4EEvPT0_PKfS3_PKT_PKiS8_iS3_, .Lfunc_end75-_Z35paged_attention_ll4mi_reduce_kernelIDF16_DF16_Li64ELi64ELi256ELi4EEvPT0_PKfS3_PKT_PKiS8_iS3_
                                        ; -- End function
	.section	.AMDGPU.csdata,"",@progbits
; Kernel info:
; codeLenInByte = 8388
; NumSgprs: 44
; NumVgprs: 92
; NumAgprs: 0
; TotalNumVgprs: 92
; ScratchSize: 0
; MemoryBound: 0
; FloatMode: 240
; IeeeMode: 1
; LDSByteSize: 1028 bytes/workgroup (compile time only)
; SGPRBlocks: 5
; VGPRBlocks: 11
; NumSGPRsForWavesPerEU: 44
; NumVGPRsForWavesPerEU: 92
; AccumOffset: 92
; Occupancy: 5
; WaveLimiterHint : 1
; COMPUTE_PGM_RSRC2:SCRATCH_EN: 0
; COMPUTE_PGM_RSRC2:USER_SGPR: 2
; COMPUTE_PGM_RSRC2:TRAP_HANDLER: 0
; COMPUTE_PGM_RSRC2:TGID_X_EN: 1
; COMPUTE_PGM_RSRC2:TGID_Y_EN: 1
; COMPUTE_PGM_RSRC2:TGID_Z_EN: 0
; COMPUTE_PGM_RSRC2:TIDIG_COMP_CNT: 0
; COMPUTE_PGM_RSRC3_GFX90A:ACCUM_OFFSET: 22
; COMPUTE_PGM_RSRC3_GFX90A:TG_SPLIT: 0
	.section	.text._Z35paged_attention_ll4mi_reduce_kernelIDF16_DF16_Li64ELi64ELi256ELi5EEvPT0_PKfS3_PKT_PKiS8_iS3_,"axG",@progbits,_Z35paged_attention_ll4mi_reduce_kernelIDF16_DF16_Li64ELi64ELi256ELi5EEvPT0_PKfS3_PKT_PKiS8_iS3_,comdat
	.protected	_Z35paged_attention_ll4mi_reduce_kernelIDF16_DF16_Li64ELi64ELi256ELi5EEvPT0_PKfS3_PKT_PKiS8_iS3_ ; -- Begin function _Z35paged_attention_ll4mi_reduce_kernelIDF16_DF16_Li64ELi64ELi256ELi5EEvPT0_PKfS3_PKT_PKiS8_iS3_
	.globl	_Z35paged_attention_ll4mi_reduce_kernelIDF16_DF16_Li64ELi64ELi256ELi5EEvPT0_PKfS3_PKT_PKiS8_iS3_
	.p2align	8
	.type	_Z35paged_attention_ll4mi_reduce_kernelIDF16_DF16_Li64ELi64ELi256ELi5EEvPT0_PKfS3_PKT_PKiS8_iS3_,@function
_Z35paged_attention_ll4mi_reduce_kernelIDF16_DF16_Li64ELi64ELi256ELi5EEvPT0_PKfS3_PKT_PKiS8_iS3_: ; @_Z35paged_attention_ll4mi_reduce_kernelIDF16_DF16_Li64ELi64ELi256ELi5EEvPT0_PKfS3_PKT_PKiS8_iS3_
; %bb.0:
	s_load_dwordx2 s[24:25], s[0:1], 0x28
	s_mov_b32 s14, s3
	s_mov_b64 s[4:5], 0
	s_waitcnt lgkmcnt(0)
	s_cmp_lg_u64 s[24:25], 0
	s_cselect_b64 s[26:27], -1, 0
	s_and_b64 vcc, exec, s[26:27]
	s_cbranch_vccz .LBB76_23
; %bb.1:
	s_add_i32 s6, s14, 1
	s_mov_b32 s7, 0
	s_lshl_b64 s[8:9], s[6:7], 2
	s_add_u32 s8, s24, s8
	s_mov_b32 s15, s7
	s_addc_u32 s9, s25, s9
	s_lshl_b64 s[6:7], s[14:15], 2
	s_add_u32 s6, s24, s6
	s_addc_u32 s7, s25, s7
	s_load_dword s3, s[8:9], 0x0
	s_load_dword s10, s[6:7], 0x0
	s_waitcnt lgkmcnt(0)
	s_sub_i32 s3, s3, s10
	s_cmp_eq_u32 s3, 1
	s_cselect_b64 s[6:7], -1, 0
	s_andn2_b64 vcc, exec, s[4:5]
	s_cbranch_vccnz .LBB76_3
.LBB76_2:
	s_mov_b32 s15, 0
	s_mov_b64 s[6:7], -1
.LBB76_3:
	s_andn2_b64 vcc, exec, s[6:7]
	s_cbranch_vccz .LBB76_5
; %bb.4:
	s_endpgm
.LBB76_5:
	s_load_dwordx4 s[16:19], s[0:1], 0x18
	s_load_dword s8, s[0:1], 0x30
	s_lshl_b64 s[28:29], s[14:15], 2
	v_cmp_lt_u32_e32 vcc, 63, v0
	s_waitcnt lgkmcnt(0)
	s_add_u32 s4, s18, s28
	s_addc_u32 s5, s19, s29
	s_load_dword s38, s[4:5], 0x0
	s_load_dword s3, s[0:1], 0x40
	s_mul_i32 s18, s2, s8
	s_mul_i32 s6, s14, s8
	s_waitcnt lgkmcnt(0)
	s_add_i32 s7, s38, 0xff
	s_ashr_i32 s4, s7, 31
	s_lshr_b32 s4, s4, 24
	s_add_i32 s7, s7, s4
	s_and_saveexec_b64 s[4:5], vcc
	s_xor_b64 s[4:5], exec, s[4:5]
	s_or_saveexec_b64 s[30:31], s[4:5]
	s_ashr_i32 s33, s7, 8
	v_mov_b32_e32 v1, s18
	s_mul_i32 s34, s6, s3
	s_xor_b64 exec, exec, s[30:31]
	s_cbranch_execz .LBB76_9
; %bb.6:
	s_add_i32 s4, s33, -1
	v_or_b32_e32 v3, 64, v0
	s_load_dwordx4 s[20:23], s[0:1], 0x8
	v_mov_b32_e32 v1, s4
	v_cmp_gt_u32_e64 s[8:9], s33, v3
	s_mov_b32 s35, 0
	s_lshl_b64 s[36:37], s[34:35], 2
	v_cndmask_b32_e64 v4, v1, v3, s[8:9]
	v_or_b32_e32 v3, 0x80, v0
	v_cmp_gt_u32_e64 s[6:7], s33, v3
	s_mov_b32 s19, s35
	v_cmp_gt_u32_e64 s[10:11], s33, v0
	v_cndmask_b32_e64 v6, v1, v3, s[6:7]
	v_or_b32_e32 v3, 0xc0, v0
	v_cmp_gt_u32_e64 s[4:5], s33, v3
	s_waitcnt lgkmcnt(0)
	s_add_u32 s12, s22, s36
	v_cndmask_b32_e64 v2, v1, v0, s[10:11]
	v_cndmask_b32_e64 v8, v1, v3, s[4:5]
	v_or_b32_e32 v3, 0x100, v0
	v_cmp_gt_u32_e32 vcc, s33, v3
	s_addc_u32 s13, s23, s37
	s_lshl_b64 s[22:23], s[18:19], 2
	v_cndmask_b32_e32 v10, v1, v3, vcc
	s_add_u32 s12, s12, s22
	v_ashrrev_i32_e32 v3, 31, v2
	s_addc_u32 s13, s13, s23
	v_lshlrev_b64 v[2:3], 2, v[2:3]
	v_ashrrev_i32_e32 v5, 31, v4
	v_ashrrev_i32_e32 v7, 31, v6
	;; [unrolled: 1-line block ×4, first 2 shown]
	v_lshl_add_u64 v[12:13], s[12:13], 0, v[2:3]
	v_lshlrev_b64 v[4:5], 2, v[4:5]
	v_lshlrev_b64 v[6:7], 2, v[6:7]
	;; [unrolled: 1-line block ×4, first 2 shown]
	v_lshl_add_u64 v[14:15], s[12:13], 0, v[4:5]
	v_lshl_add_u64 v[16:17], s[12:13], 0, v[6:7]
	;; [unrolled: 1-line block ×4, first 2 shown]
	global_load_dword v1, v[12:13], off
	global_load_dword v22, v[14:15], off
	;; [unrolled: 1-line block ×5, first 2 shown]
	v_mbcnt_lo_u32_b32 v12, -1, 0
	v_mbcnt_hi_u32_b32 v12, -1, v12
	v_and_b32_e32 v14, 64, v12
	v_xor_b32_e32 v15, 32, v12
	v_add_u32_e32 v14, 64, v14
	v_cmp_lt_i32_e64 s[12:13], v15, v14
	v_xor_b32_e32 v16, 16, v12
	v_xor_b32_e32 v17, 8, v12
	v_cndmask_b32_e64 v15, v12, v15, s[12:13]
	s_add_u32 s12, s20, s36
	s_addc_u32 s13, s21, s37
	s_add_u32 s20, s12, s22
	s_addc_u32 s21, s13, s23
	v_lshl_add_u64 v[2:3], s[20:21], 0, v[2:3]
	global_load_dword v18, v[2:3], off
	v_lshlrev_b32_e32 v15, 2, v15
	v_cmp_lt_i32_e64 s[12:13], v16, v14
	s_mov_b32 s19, 0x3fb8aa3b
	s_mov_b32 s35, 0xc2ce8ed0
	v_cndmask_b32_e64 v16, v12, v16, s[12:13]
	v_lshlrev_b32_e32 v16, 2, v16
	v_cmp_lt_i32_e64 s[12:13], v17, v14
	s_mov_b32 s39, 0x42b17218
	v_mov_b32_e32 v13, 0x7f800000
	s_waitcnt vmcnt(3)
	v_max3_f32 v2, v1, v22, v23
	s_waitcnt vmcnt(1)
	v_max3_f32 v19, v2, v24, v25
	ds_bpermute_b32 v20, v15, v19
	v_lshl_add_u64 v[2:3], s[20:21], 0, v[4:5]
	global_load_dword v21, v[2:3], off
	v_cndmask_b32_e64 v5, v12, v17, s[12:13]
	v_lshlrev_b32_e32 v17, 2, v5
	s_waitcnt lgkmcnt(0)
	v_max_f32_e32 v2, v20, v20
	v_max_f32_e32 v2, v19, v2
	ds_bpermute_b32 v3, v16, v2
	v_xor_b32_e32 v4, 4, v12
	v_cmp_lt_i32_e64 s[12:13], v4, v14
	v_xor_b32_e32 v5, 2, v12
	s_waitcnt lgkmcnt(0)
	v_max_f32_e32 v3, v3, v3
	v_max_f32_e32 v2, v2, v3
	ds_bpermute_b32 v3, v17, v2
	v_cndmask_b32_e64 v4, v12, v4, s[12:13]
	v_lshlrev_b32_e32 v19, 2, v4
	v_cmp_lt_i32_e64 s[12:13], v5, v14
	v_xor_b32_e32 v4, 1, v12
	s_waitcnt lgkmcnt(0)
	v_max_f32_e32 v3, v3, v3
	v_max_f32_e32 v2, v2, v3
	ds_bpermute_b32 v3, v19, v2
	v_cndmask_b32_e64 v5, v12, v5, s[12:13]
	v_lshlrev_b32_e32 v20, 2, v5
	v_cmp_lt_i32_e64 s[12:13], v4, v14
	s_waitcnt lgkmcnt(0)
	v_max_f32_e32 v3, v3, v3
	v_max_f32_e32 v26, v2, v3
	ds_bpermute_b32 v27, v20, v26
	v_cndmask_b32_e64 v2, v12, v4, s[12:13]
	v_lshlrev_b32_e32 v12, 2, v2
	v_lshl_add_u64 v[2:3], s[20:21], 0, v[6:7]
	v_lshl_add_u64 v[4:5], s[20:21], 0, v[8:9]
	s_waitcnt lgkmcnt(0)
	v_max_f32_e32 v6, v27, v27
	v_max_f32_e32 v8, v26, v6
	v_lshl_add_u64 v[6:7], s[20:21], 0, v[10:11]
	global_load_dword v10, v[2:3], off
	global_load_dword v11, v[4:5], off
	global_load_dword v14, v[6:7], off
	ds_bpermute_b32 v9, v12, v8
	s_waitcnt lgkmcnt(0)
	v_max_f32_e32 v2, v9, v9
	v_max_f32_e32 v2, v8, v2
	v_sub_f32_e32 v1, v1, v2
	v_sub_f32_e32 v3, v22, v2
	v_mul_f32_e32 v5, 0x3fb8aa3b, v1
	v_mul_f32_e32 v6, 0x3fb8aa3b, v3
	v_fma_f32 v8, v1, s19, -v5
	v_rndne_f32_e32 v9, v5
	v_sub_f32_e32 v4, v23, v2
	v_fma_f32 v22, v3, s19, -v6
	v_rndne_f32_e32 v23, v6
	v_fmac_f32_e32 v8, 0x32a5705f, v1
	v_sub_f32_e32 v5, v5, v9
	v_fmac_f32_e32 v22, 0x32a5705f, v3
	v_sub_f32_e32 v6, v6, v23
	v_add_f32_e32 v5, v5, v8
	v_cvt_i32_f32_e32 v9, v9
	v_add_f32_e32 v6, v6, v22
	v_exp_f32_e32 v5, v5
	v_mul_f32_e32 v7, 0x3fb8aa3b, v4
	v_cvt_i32_f32_e32 v23, v23
	v_exp_f32_e32 v6, v6
	v_fma_f32 v26, v4, s19, -v7
	v_rndne_f32_e32 v27, v7
	v_fmac_f32_e32 v26, 0x32a5705f, v4
	v_sub_f32_e32 v7, v7, v27
	v_add_f32_e32 v7, v7, v26
	v_ldexp_f32 v5, v5, v9
	v_cmp_ngt_f32_e64 s[12:13], s35, v1
	v_cvt_i32_f32_e32 v27, v27
	v_exp_f32_e32 v7, v7
	v_ldexp_f32 v6, v6, v23
	v_cndmask_b32_e64 v5, 0, v5, s[12:13]
	v_cmp_ngt_f32_e64 s[12:13], s35, v3
	s_nop 1
	v_cndmask_b32_e64 v6, 0, v6, s[12:13]
	v_cmp_nlt_f32_e64 s[12:13], s39, v1
	s_nop 1
	v_cndmask_b32_e64 v1, v13, v5, s[12:13]
	v_cndmask_b32_e64 v1, 0, v1, s[10:11]
	v_cmp_nlt_f32_e64 s[10:11], s39, v3
	s_waitcnt vmcnt(4)
	v_mul_f32_e32 v1, v18, v1
	v_cndmask_b32_e64 v3, v13, v6, s[10:11]
	v_ldexp_f32 v6, v7, v27
	v_sub_f32_e32 v7, v24, v2
	v_mul_f32_e32 v8, 0x3fb8aa3b, v7
	v_fma_f32 v9, v7, s19, -v8
	v_rndne_f32_e32 v18, v8
	v_fmac_f32_e32 v9, 0x32a5705f, v7
	v_sub_f32_e32 v8, v8, v18
	v_add_f32_e32 v8, v8, v9
	v_exp_f32_e32 v8, v8
	v_cvt_i32_f32_e32 v9, v18
	v_cndmask_b32_e64 v3, 0, v3, s[8:9]
	v_cmp_ngt_f32_e64 s[8:9], s35, v4
	v_sub_f32_e32 v2, v25, v2
	s_waitcnt vmcnt(3)
	v_mul_f32_e32 v5, v21, v3
	v_cndmask_b32_e64 v6, 0, v6, s[8:9]
	v_cmp_nlt_f32_e64 s[8:9], s39, v4
	s_nop 1
	v_cndmask_b32_e64 v4, v13, v6, s[8:9]
	v_ldexp_f32 v6, v8, v9
	v_mul_f32_e32 v8, 0x3fb8aa3b, v2
	v_fma_f32 v9, v2, s19, -v8
	v_rndne_f32_e32 v18, v8
	v_fmac_f32_e32 v9, 0x32a5705f, v2
	v_sub_f32_e32 v8, v8, v18
	v_add_f32_e32 v8, v8, v9
	v_exp_f32_e32 v8, v8
	v_cvt_i32_f32_e32 v9, v18
	v_cndmask_b32_e64 v4, 0, v4, s[6:7]
	v_cmp_ngt_f32_e64 s[6:7], s35, v7
	s_nop 1
	v_cndmask_b32_e64 v6, 0, v6, s[6:7]
	v_cmp_nlt_f32_e64 s[6:7], s39, v7
	v_ldexp_f32 v7, v8, v9
	v_lshlrev_b32_e32 v8, 2, v0
	v_cndmask_b32_e64 v6, v13, v6, s[6:7]
	v_cndmask_b32_e64 v6, 0, v6, s[4:5]
	v_cmp_ngt_f32_e64 s[4:5], s35, v2
	ds_write2st64_b32 v8, v1, v5 offset1:1
	v_fmac_f32_e32 v1, v21, v3
	v_cndmask_b32_e64 v7, 0, v7, s[4:5]
	v_cmp_nlt_f32_e64 s[4:5], s39, v2
	s_waitcnt vmcnt(2)
	v_fmac_f32_e32 v1, v10, v4
	s_waitcnt vmcnt(1)
	v_fmac_f32_e32 v1, v11, v6
	v_cndmask_b32_e64 v2, v13, v7, s[4:5]
	v_cndmask_b32_e32 v7, 0, v2, vcc
	s_waitcnt vmcnt(0)
	v_fmac_f32_e32 v1, v14, v7
	ds_bpermute_b32 v2, v15, v1
	v_mul_f32_e32 v3, v10, v4
	v_mul_f32_e32 v4, v11, v6
	v_cmp_eq_u32_e32 vcc, 0, v0
	v_mul_f32_e32 v5, v14, v7
	s_waitcnt lgkmcnt(0)
	v_add_f32_e32 v1, v1, v2
	ds_bpermute_b32 v2, v16, v1
	ds_write2st64_b32 v8, v3, v4 offset0:2 offset1:3
	ds_write_b32 v8, v5 offset:1024
	s_waitcnt lgkmcnt(2)
	v_add_f32_e32 v1, v1, v2
	ds_bpermute_b32 v2, v17, v1
	s_waitcnt lgkmcnt(0)
	v_add_f32_e32 v1, v1, v2
	ds_bpermute_b32 v2, v19, v1
	;; [unrolled: 3-line block ×4, first 2 shown]
	s_and_saveexec_b64 s[4:5], vcc
	s_cbranch_execz .LBB76_8
; %bb.7:
	s_waitcnt lgkmcnt(0)
	v_add_f32_e32 v1, v1, v2
	v_mov_b32_e32 v2, 0
	ds_write_b32 v2, v1 offset:1280
.LBB76_8:
	s_or_b64 exec, exec, s[4:5]
	v_mov_b32_e32 v1, s18
.LBB76_9:
	s_or_b64 exec, exec, s[30:31]
	s_lshl_b32 s4, s34, 6
	s_mov_b32 s5, 0
	s_lshl_b64 s[4:5], s[4:5], 1
	s_add_u32 s4, s16, s4
	s_addc_u32 s5, s17, s5
	s_lshl_b32 s10, s33, 6
	s_sub_i32 s11, s10, 64
	s_waitcnt lgkmcnt(0)
	v_lshlrev_b32_e32 v2, 6, v1
	v_mov_b32_e32 v3, 0
	s_cmp_lt_i32 s38, 1
	v_lshl_add_u64 v[4:5], v[2:3], 1, s[4:5]
	s_cselect_b32 s4, s11, 0
	v_lshlrev_b32_e32 v2, 1, v0
	s_ashr_i32 s5, s4, 31
	v_lshl_add_u64 v[0:1], v[4:5], 0, v[2:3]
	s_cmpk_lt_i32 s38, 0x101
	v_lshl_add_u64 v[12:13], s[4:5], 1, v[0:1]
	s_cselect_b32 s4, s11, 64
	s_ashr_i32 s5, s4, 31
	s_cmpk_lt_i32 s38, 0x201
	v_lshl_add_u64 v[14:15], s[4:5], 1, v[0:1]
	s_cselect_b32 s4, s11, 0x80
	s_ashr_i32 s5, s4, 31
	;; [unrolled: 4-line block ×8, first 2 shown]
	s_cmpk_lt_i32 s38, 0x901
	global_load_ushort v4, v[12:13], off
	global_load_ushort v5, v[14:15], off
	global_load_ushort v6, v[16:17], off
	global_load_ushort v7, v[18:19], off
	global_load_ushort v8, v[20:21], off
	global_load_ushort v9, v[22:23], off
	global_load_ushort v10, v[24:25], off
	global_load_ushort v11, v[26:27], off
	v_lshl_add_u64 v[20:21], s[4:5], 1, v[0:1]
	s_cselect_b32 s4, s11, 0x240
	s_ashr_i32 s5, s4, 31
	s_cmpk_lt_i32 s38, 0xa01
	v_lshl_add_u64 v[22:23], s[4:5], 1, v[0:1]
	s_cselect_b32 s4, s11, 0x280
	s_ashr_i32 s5, s4, 31
	s_cmpk_lt_i32 s38, 0xb01
	;; [unrolled: 4-line block ×6, first 2 shown]
	v_lshl_add_u64 v[32:33], s[4:5], 1, v[0:1]
	s_cselect_b32 s4, s11, 0x3c0
	s_ashr_i32 s5, s4, 31
	v_lshl_add_u64 v[34:35], s[4:5], 1, v[0:1]
	global_load_ushort v12, v[20:21], off
	global_load_ushort v13, v[22:23], off
	;; [unrolled: 1-line block ×8, first 2 shown]
	s_cmpk_gt_i32 s38, 0x1000
	s_cselect_b64 s[8:9], -1, 0
	s_cmpk_lt_i32 s38, 0x1001
	v_mov_b32_e32 v36, 0
	v_mov_b32_e32 v37, 0
	;; [unrolled: 1-line block ×48, first 2 shown]
	s_waitcnt lgkmcnt(0)
	; wave barrier
	s_cbranch_scc1 .LBB76_12
; %bb.10:
	s_cmpk_lt_u32 s38, 0x1101
	s_cselect_b32 s4, s11, 0x440
	s_ashr_i32 s5, s4, 31
	s_cmpk_lt_u32 s38, 0x1201
	v_lshl_add_u64 v[28:29], s[4:5], 1, v[0:1]
	s_cselect_b32 s4, s11, 0x480
	s_ashr_i32 s5, s4, 31
	s_cmpk_lt_u32 s38, 0x1301
	v_lshl_add_u64 v[30:31], s[4:5], 1, v[0:1]
	;; [unrolled: 4-line block ×7, first 2 shown]
	s_cselect_b32 s4, s11, 0x600
	s_ashr_i32 s5, s4, 31
	s_cmpk_lt_u32 s38, 0x1901
	global_load_ushort v27, v[0:1], off offset:2048
	global_load_ushort v26, v[28:29], off
	global_load_ushort v25, v[30:31], off
	;; [unrolled: 1-line block ×7, first 2 shown]
	v_lshl_add_u64 v[36:37], s[4:5], 1, v[0:1]
	s_cselect_b32 s4, s11, 0x640
	s_ashr_i32 s5, s4, 31
	s_cmpk_lt_u32 s38, 0x1a01
	v_lshl_add_u64 v[38:39], s[4:5], 1, v[0:1]
	s_cselect_b32 s4, s11, 0x680
	s_ashr_i32 s5, s4, 31
	s_cmpk_lt_u32 s38, 0x1b01
	;; [unrolled: 4-line block ×6, first 2 shown]
	v_lshl_add_u64 v[48:49], s[4:5], 1, v[0:1]
	s_cselect_b32 s4, s11, 0x7c0
	s_ashr_i32 s5, s4, 31
	v_lshl_add_u64 v[50:51], s[4:5], 1, v[0:1]
	global_load_ushort v35, v[36:37], off
	global_load_ushort v34, v[38:39], off
	;; [unrolled: 1-line block ×8, first 2 shown]
	s_cmpk_lt_u32 s38, 0x2001
	v_mov_b32_e32 v67, 0
	v_mov_b32_e32 v66, 0
	;; [unrolled: 1-line block ×32, first 2 shown]
	s_cbranch_scc1 .LBB76_12
; %bb.11:
	s_cmpk_lt_u32 s38, 0x2101
	s_cselect_b32 s4, s11, 0x840
	s_ashr_i32 s5, s4, 31
	s_cmpk_lt_u32 s38, 0x2201
	v_lshl_add_u64 v[38:39], s[4:5], 1, v[0:1]
	s_cselect_b32 s4, s11, 0x880
	s_ashr_i32 s5, s4, 31
	s_cmpk_lt_u32 s38, 0x2301
	v_lshl_add_u64 v[40:41], s[4:5], 1, v[0:1]
	;; [unrolled: 4-line block ×7, first 2 shown]
	s_cselect_b32 s4, s11, 0xa00
	v_add_co_u32_e32 v36, vcc, 0x1000, v0
	s_ashr_i32 s5, s4, 31
	s_nop 0
	v_addc_co_u32_e32 v37, vcc, 0, v1, vcc
	s_cmpk_lt_u32 s38, 0x2901
	global_load_ushort v52, v[36:37], off
	global_load_ushort v53, v[38:39], off
	;; [unrolled: 1-line block ×8, first 2 shown]
	v_lshl_add_u64 v[36:37], s[4:5], 1, v[0:1]
	s_cselect_b32 s4, s11, 0xa40
	s_ashr_i32 s5, s4, 31
	s_cmpk_lt_u32 s38, 0x2a01
	v_lshl_add_u64 v[38:39], s[4:5], 1, v[0:1]
	s_cselect_b32 s4, s11, 0xa80
	s_ashr_i32 s5, s4, 31
	s_cmpk_lt_u32 s38, 0x2b01
	;; [unrolled: 4-line block ×8, first 2 shown]
	global_load_ushort v68, v[36:37], off
	global_load_ushort v69, v[38:39], off
	;; [unrolled: 1-line block ×8, first 2 shown]
	v_lshl_add_u64 v[36:37], s[4:5], 1, v[0:1]
	s_cselect_b32 s4, s11, 0xc40
	s_ashr_i32 s5, s4, 31
	s_cmpk_lt_u32 s38, 0x3201
	v_lshl_add_u64 v[38:39], s[4:5], 1, v[0:1]
	s_cselect_b32 s4, s11, 0xc80
	s_ashr_i32 s5, s4, 31
	s_cmpk_lt_u32 s38, 0x3301
	;; [unrolled: 4-line block ×8, first 2 shown]
	global_load_ushort v76, v[36:37], off
	global_load_ushort v77, v[38:39], off
	;; [unrolled: 1-line block ×8, first 2 shown]
	v_lshl_add_u64 v[36:37], s[4:5], 1, v[0:1]
	s_cselect_b32 s4, s11, 0xe40
	s_ashr_i32 s5, s4, 31
	s_cmpk_lt_u32 s38, 0x3a01
	v_lshl_add_u64 v[38:39], s[4:5], 1, v[0:1]
	s_cselect_b32 s4, s11, 0xe80
	s_ashr_i32 s5, s4, 31
	s_cmpk_lt_u32 s38, 0x3b01
	;; [unrolled: 4-line block ×6, first 2 shown]
	v_lshl_add_u64 v[48:49], s[4:5], 1, v[0:1]
	s_cselect_b32 s4, s11, 0xfc0
	s_ashr_i32 s5, s4, 31
	v_lshl_add_u64 v[50:51], s[4:5], 1, v[0:1]
	global_load_ushort v84, v[36:37], off
	global_load_ushort v85, v[38:39], off
	;; [unrolled: 1-line block ×8, first 2 shown]
	s_waitcnt vmcnt(31)
	v_cvt_f32_f16_e32 v67, v52
	s_waitcnt vmcnt(30)
	v_cvt_f32_f16_e32 v66, v53
	;; [unrolled: 2-line block ×32, first 2 shown]
.LBB76_12:
	ds_read_b128 v[68:71], v3
	s_load_dwordx2 s[4:5], s[0:1], 0x0
	s_load_dwordx2 s[6:7], s[0:1], 0x38
	ds_read_b128 v[72:75], v3 offset:16
	ds_read_b128 v[76:79], v3 offset:32
	ds_read_b128 v[80:83], v3 offset:48
	s_and_b64 vcc, exec, s[8:9]
	s_waitcnt vmcnt(15) lgkmcnt(0)
	v_fma_mix_f32 v4, v68, v4, 0 op_sel_hi:[0,1,0]
	s_waitcnt vmcnt(14)
	v_fma_mix_f32 v4, v69, v5, v4 op_sel_hi:[0,1,0]
	s_waitcnt vmcnt(13)
	;; [unrolled: 2-line block ×15, first 2 shown]
	v_fma_mix_f32 v4, v83, v19, v4 op_sel_hi:[0,1,0]
	s_cbranch_vccz .LBB76_15
; %bb.13:
	ds_read_b128 v[6:9], v3 offset:64
	ds_read_b128 v[10:13], v3 offset:80
	;; [unrolled: 1-line block ×4, first 2 shown]
	s_cmpk_lt_u32 s38, 0x2001
	s_waitcnt lgkmcnt(3)
	v_fma_mix_f32 v3, v6, v27, v4 op_sel_hi:[0,1,0]
	v_fma_mix_f32 v3, v7, v26, v3 op_sel_hi:[0,1,0]
	v_fma_mix_f32 v3, v8, v25, v3 op_sel_hi:[0,1,0]
	v_fma_mix_f32 v3, v9, v24, v3 op_sel_hi:[0,1,0]
	s_waitcnt lgkmcnt(2)
	v_fma_mix_f32 v3, v10, v23, v3 op_sel_hi:[0,1,0]
	v_fma_mix_f32 v3, v11, v22, v3 op_sel_hi:[0,1,0]
	v_fma_mix_f32 v3, v12, v21, v3 op_sel_hi:[0,1,0]
	v_fma_mix_f32 v3, v13, v20, v3 op_sel_hi:[0,1,0]
	s_waitcnt lgkmcnt(1)
	v_fma_mix_f32 v3, v14, v35, v3 op_sel_hi:[0,1,0]
	v_fma_mix_f32 v3, v15, v34, v3 op_sel_hi:[0,1,0]
	v_fma_mix_f32 v3, v16, v33, v3 op_sel_hi:[0,1,0]
	v_fma_mix_f32 v3, v17, v32, v3 op_sel_hi:[0,1,0]
	s_waitcnt lgkmcnt(0)
	v_fma_mix_f32 v3, v68, v31, v3 op_sel_hi:[0,1,0]
	v_fma_mix_f32 v3, v69, v30, v3 op_sel_hi:[0,1,0]
	v_fma_mix_f32 v3, v70, v29, v3 op_sel_hi:[0,1,0]
	v_fma_mix_f32 v4, v71, v28, v3 op_sel_hi:[0,1,0]
	s_cbranch_scc1 .LBB76_15
; %bb.14:
	v_mov_b32_e32 v3, 0
	ds_read_b128 v[6:9], v3 offset:128
	ds_read_b128 v[10:13], v3 offset:144
	;; [unrolled: 1-line block ×4, first 2 shown]
	s_waitcnt lgkmcnt(3)
	v_fmac_f32_e32 v4, v6, v67
	v_fmac_f32_e32 v4, v7, v66
	v_fmac_f32_e32 v4, v8, v65
	v_fmac_f32_e32 v4, v9, v64
	s_waitcnt lgkmcnt(2)
	v_fmac_f32_e32 v4, v10, v63
	v_fmac_f32_e32 v4, v11, v62
	v_fmac_f32_e32 v4, v12, v61
	v_fmac_f32_e32 v4, v13, v60
	;; [unrolled: 5-line block ×3, first 2 shown]
	ds_read_b128 v[6:9], v3 offset:192
	ds_read_b128 v[10:13], v3 offset:208
	s_waitcnt lgkmcnt(2)
	v_fmac_f32_e32 v4, v18, v55
	v_fmac_f32_e32 v4, v19, v54
	;; [unrolled: 1-line block ×4, first 2 shown]
	s_waitcnt lgkmcnt(1)
	v_fmac_f32_e32 v4, v6, v51
	v_fmac_f32_e32 v4, v7, v50
	;; [unrolled: 1-line block ×4, first 2 shown]
	ds_read_b128 v[6:9], v3 offset:224
	s_waitcnt lgkmcnt(1)
	v_fmac_f32_e32 v4, v10, v47
	v_fmac_f32_e32 v4, v11, v46
	v_fmac_f32_e32 v4, v12, v45
	v_fmac_f32_e32 v4, v13, v44
	ds_read_b128 v[10:13], v3 offset:240
	s_waitcnt lgkmcnt(1)
	v_fmac_f32_e32 v4, v6, v43
	v_fmac_f32_e32 v4, v7, v42
	;; [unrolled: 1-line block ×4, first 2 shown]
	s_waitcnt lgkmcnt(0)
	v_fmac_f32_e32 v4, v10, v39
	v_fmac_f32_e32 v4, v11, v38
	;; [unrolled: 1-line block ×4, first 2 shown]
.LBB76_15:
	s_movk_i32 s0, 0x1fc0
	s_movk_i32 s1, 0x100
	s_mov_b32 s8, 64
	s_branch .LBB76_17
.LBB76_16:                              ;   in Loop: Header=BB76_17 Depth=1
	s_addk_i32 s0, 0x1000
	s_addk_i32 s1, 0x100
	s_add_i32 s8, s8, 64
	s_cmpk_eq_i32 s0, 0x5fc0
	s_cbranch_scc1 .LBB76_19
.LBB76_17:                              ; =>This Inner Loop Header: Depth=1
	s_cmp_le_i32 s33, s8
	s_cbranch_scc1 .LBB76_16
; %bb.18:                               ;   in Loop: Header=BB76_17 Depth=1
	s_add_i32 s9, s0, 0xfffff040
	s_cmp_lt_i32 s9, s10
	s_cselect_b32 s12, s9, s11
	s_ashr_i32 s13, s12, 31
	s_add_i32 s9, s0, 0xfffff080
	s_cmp_lt_i32 s9, s10
	v_lshl_add_u64 v[12:13], s[12:13], 1, v[0:1]
	s_cselect_b32 s12, s9, s11
	s_ashr_i32 s13, s12, 31
	s_add_i32 s9, s0, 0xfffff0c0
	s_cmp_lt_i32 s9, s10
	v_lshl_add_u64 v[14:15], s[12:13], 1, v[0:1]
	;; [unrolled: 5-line block ×8, first 2 shown]
	s_cselect_b32 s12, s9, s11
	s_ashr_i32 s13, s12, 31
	s_add_i32 s9, s0, 0xfffff280
	s_cmp_lt_i32 s9, s10
	global_load_ushort v3, v[12:13], off
	global_load_ushort v5, v[14:15], off
	global_load_ushort v6, v[16:17], off
	global_load_ushort v7, v[18:19], off
	global_load_ushort v8, v[20:21], off
	global_load_ushort v9, v[22:23], off
	global_load_ushort v10, v[24:25], off
	global_load_ushort v11, v[26:27], off
	v_lshl_add_u64 v[12:13], s[12:13], 1, v[0:1]
	s_cselect_b32 s12, s9, s11
	s_ashr_i32 s13, s12, 31
	s_add_i32 s9, s0, 0xfffff2c0
	s_cmp_lt_i32 s9, s10
	v_lshl_add_u64 v[14:15], s[12:13], 1, v[0:1]
	s_cselect_b32 s12, s9, s11
	s_ashr_i32 s13, s12, 31
	s_add_i32 s9, s0, 0xfffff300
	s_cmp_lt_i32 s9, s10
	v_lshl_add_u64 v[16:17], s[12:13], 1, v[0:1]
	s_cselect_b32 s12, s9, s11
	s_ashr_i32 s13, s12, 31
	s_add_i32 s9, s0, 0xfffff340
	s_cmp_lt_i32 s9, s10
	v_lshl_add_u64 v[18:19], s[12:13], 1, v[0:1]
	s_cselect_b32 s12, s9, s11
	s_ashr_i32 s13, s12, 31
	s_add_i32 s9, s0, 0xfffff380
	s_cmp_lt_i32 s9, s10
	v_lshl_add_u64 v[20:21], s[12:13], 1, v[0:1]
	s_cselect_b32 s12, s9, s11
	s_ashr_i32 s13, s12, 31
	s_add_i32 s9, s0, 0xfffff3c0
	s_cmp_lt_i32 s9, s10
	v_lshl_add_u64 v[22:23], s[12:13], 1, v[0:1]
	s_cselect_b32 s12, s9, s11
	s_ashr_i32 s13, s12, 31
	s_add_i32 s9, s0, 0xfffff400
	s_cmp_lt_i32 s9, s10
	v_lshl_add_u64 v[24:25], s[12:13], 1, v[0:1]
	s_cselect_b32 s12, s9, s11
	s_ashr_i32 s13, s12, 31
	s_add_i32 s9, s0, 0xfffff440
	s_cmp_lt_i32 s9, s10
	v_lshl_add_u64 v[26:27], s[12:13], 1, v[0:1]
	s_cselect_b32 s12, s9, s11
	s_ashr_i32 s13, s12, 31
	s_add_i32 s9, s0, 0xfffff480
	s_cmp_lt_i32 s9, s10
	global_load_ushort v28, v[12:13], off
	global_load_ushort v29, v[14:15], off
	global_load_ushort v30, v[16:17], off
	global_load_ushort v31, v[18:19], off
	global_load_ushort v32, v[20:21], off
	global_load_ushort v33, v[22:23], off
	global_load_ushort v34, v[24:25], off
	global_load_ushort v35, v[26:27], off
	v_lshl_add_u64 v[12:13], s[12:13], 1, v[0:1]
	s_cselect_b32 s12, s9, s11
	s_ashr_i32 s13, s12, 31
	s_add_i32 s9, s0, 0xfffff4c0
	s_cmp_lt_i32 s9, s10
	v_lshl_add_u64 v[14:15], s[12:13], 1, v[0:1]
	s_cselect_b32 s12, s9, s11
	s_ashr_i32 s13, s12, 31
	s_add_i32 s9, s0, 0xfffff500
	s_cmp_lt_i32 s9, s10
	v_lshl_add_u64 v[16:17], s[12:13], 1, v[0:1]
	s_cselect_b32 s12, s9, s11
	s_ashr_i32 s13, s12, 31
	s_add_i32 s9, s0, 0xfffff540
	s_cmp_lt_i32 s9, s10
	v_lshl_add_u64 v[18:19], s[12:13], 1, v[0:1]
	s_cselect_b32 s12, s9, s11
	s_ashr_i32 s13, s12, 31
	s_add_i32 s9, s0, 0xfffff580
	s_cmp_lt_i32 s9, s10
	v_lshl_add_u64 v[20:21], s[12:13], 1, v[0:1]
	s_cselect_b32 s12, s9, s11
	s_ashr_i32 s13, s12, 31
	s_add_i32 s9, s0, 0xfffff5c0
	s_cmp_lt_i32 s9, s10
	v_lshl_add_u64 v[22:23], s[12:13], 1, v[0:1]
	s_cselect_b32 s12, s9, s11
	s_ashr_i32 s13, s12, 31
	s_add_i32 s9, s0, 0xfffff600
	s_cmp_lt_i32 s9, s10
	v_lshl_add_u64 v[24:25], s[12:13], 1, v[0:1]
	s_cselect_b32 s12, s9, s11
	s_ashr_i32 s13, s12, 31
	s_add_i32 s9, s0, 0xfffff640
	s_cmp_lt_i32 s9, s10
	v_lshl_add_u64 v[26:27], s[12:13], 1, v[0:1]
	;; [unrolled: 48-line block ×6, first 2 shown]
	s_cselect_b32 s12, s9, s11
	s_ashr_i32 s13, s12, 31
	s_add_i32 s9, s0, 0xfffffe80
	s_cmp_lt_i32 s9, s10
	global_load_ushort v68, v[12:13], off
	global_load_ushort v69, v[14:15], off
	;; [unrolled: 1-line block ×8, first 2 shown]
	v_lshl_add_u64 v[12:13], s[12:13], 1, v[0:1]
	s_cselect_b32 s12, s9, s11
	s_ashr_i32 s13, s12, 31
	s_add_i32 s9, s0, 0xfffffec0
	s_cmp_lt_i32 s9, s10
	v_lshl_add_u64 v[14:15], s[12:13], 1, v[0:1]
	s_cselect_b32 s12, s9, s11
	s_ashr_i32 s13, s12, 31
	s_add_i32 s9, s0, 0xffffff00
	s_cmp_lt_i32 s9, s10
	;; [unrolled: 5-line block ×4, first 2 shown]
	v_lshl_add_u64 v[20:21], s[12:13], 1, v[0:1]
	s_cselect_b32 s12, s9, s11
	s_ashr_i32 s13, s12, 31
	s_sub_i32 s9, s0, 64
	s_cmp_lt_i32 s9, s10
	v_lshl_add_u64 v[22:23], s[12:13], 1, v[0:1]
	s_cselect_b32 s12, s9, s11
	s_ashr_i32 s13, s12, 31
	s_cmp_lt_i32 s0, s10
	v_lshl_add_u64 v[24:25], s[12:13], 1, v[0:1]
	s_cselect_b32 s12, s0, s11
	s_ashr_i32 s13, s12, 31
	v_lshl_add_u64 v[26:27], s[12:13], 1, v[0:1]
	global_load_ushort v76, v[12:13], off
	global_load_ushort v77, v[14:15], off
	;; [unrolled: 1-line block ×8, first 2 shown]
	v_mov_b32_e32 v84, s1
	ds_read_b128 v[12:15], v84
	ds_read_b128 v[16:19], v84 offset:16
	ds_read_b128 v[20:23], v84 offset:32
	;; [unrolled: 1-line block ×3, first 2 shown]
	s_waitcnt vmcnt(62) lgkmcnt(3)
	v_fma_mix_f32 v3, v12, v3, v4 op_sel_hi:[0,1,0]
	v_fma_mix_f32 v3, v13, v5, v3 op_sel_hi:[0,1,0]
	s_waitcnt vmcnt(61)
	v_fma_mix_f32 v3, v14, v6, v3 op_sel_hi:[0,1,0]
	s_waitcnt vmcnt(60)
	v_fma_mix_f32 v3, v15, v7, v3 op_sel_hi:[0,1,0]
	s_waitcnt vmcnt(59) lgkmcnt(2)
	v_fma_mix_f32 v3, v16, v8, v3 op_sel_hi:[0,1,0]
	s_waitcnt vmcnt(58)
	v_fma_mix_f32 v3, v17, v9, v3 op_sel_hi:[0,1,0]
	s_waitcnt vmcnt(57)
	v_fma_mix_f32 v3, v18, v10, v3 op_sel_hi:[0,1,0]
	s_waitcnt vmcnt(56)
	v_fma_mix_f32 v3, v19, v11, v3 op_sel_hi:[0,1,0]
	s_waitcnt vmcnt(55) lgkmcnt(1)
	v_fma_mix_f32 v3, v20, v28, v3 op_sel_hi:[0,1,0]
	s_waitcnt vmcnt(54)
	v_fma_mix_f32 v3, v21, v29, v3 op_sel_hi:[0,1,0]
	s_waitcnt vmcnt(53)
	;; [unrolled: 2-line block ×3, first 2 shown]
	v_fma_mix_f32 v3, v23, v31, v3 op_sel_hi:[0,1,0]
	ds_read_b128 v[4:7], v84 offset:64
	ds_read_b128 v[8:11], v84 offset:80
	s_waitcnt vmcnt(51) lgkmcnt(2)
	v_fma_mix_f32 v3, v24, v32, v3 op_sel_hi:[0,1,0]
	s_waitcnt vmcnt(50)
	v_fma_mix_f32 v3, v25, v33, v3 op_sel_hi:[0,1,0]
	s_waitcnt vmcnt(49)
	v_fma_mix_f32 v3, v26, v34, v3 op_sel_hi:[0,1,0]
	s_waitcnt vmcnt(48)
	v_fma_mix_f32 v3, v27, v35, v3 op_sel_hi:[0,1,0]
	s_waitcnt vmcnt(47) lgkmcnt(1)
	v_fma_mix_f32 v3, v4, v36, v3 op_sel_hi:[0,1,0]
	s_waitcnt vmcnt(46)
	v_fma_mix_f32 v3, v5, v37, v3 op_sel_hi:[0,1,0]
	s_waitcnt vmcnt(45)
	v_fma_mix_f32 v3, v6, v38, v3 op_sel_hi:[0,1,0]
	s_waitcnt vmcnt(44)
	v_fma_mix_f32 v3, v7, v39, v3 op_sel_hi:[0,1,0]
	ds_read_b128 v[4:7], v84 offset:96
	s_waitcnt vmcnt(43) lgkmcnt(1)
	v_fma_mix_f32 v3, v8, v40, v3 op_sel_hi:[0,1,0]
	s_waitcnt vmcnt(42)
	v_fma_mix_f32 v3, v9, v41, v3 op_sel_hi:[0,1,0]
	s_waitcnt vmcnt(41)
	v_fma_mix_f32 v3, v10, v42, v3 op_sel_hi:[0,1,0]
	s_waitcnt vmcnt(40)
	v_fma_mix_f32 v3, v11, v43, v3 op_sel_hi:[0,1,0]
	ds_read_b128 v[8:11], v84 offset:112
	;; [unrolled: 9-line block ×10, first 2 shown]
	s_waitcnt vmcnt(7) lgkmcnt(1)
	v_fma_mix_f32 v3, v4, v76, v3 op_sel_hi:[0,1,0]
	s_waitcnt vmcnt(6)
	v_fma_mix_f32 v3, v5, v77, v3 op_sel_hi:[0,1,0]
	s_waitcnt vmcnt(5)
	;; [unrolled: 2-line block ×3, first 2 shown]
	v_fma_mix_f32 v3, v7, v79, v3 op_sel_hi:[0,1,0]
	s_waitcnt vmcnt(3) lgkmcnt(0)
	v_fma_mix_f32 v3, v8, v80, v3 op_sel_hi:[0,1,0]
	s_waitcnt vmcnt(2)
	v_fma_mix_f32 v3, v9, v81, v3 op_sel_hi:[0,1,0]
	s_waitcnt vmcnt(1)
	;; [unrolled: 2-line block ×3, first 2 shown]
	v_fma_mix_f32 v4, v11, v83, v3 op_sel_hi:[0,1,0]
	s_branch .LBB76_16
.LBB76_19:
	v_mov_b32_e32 v0, 0
	ds_read_b32 v1, v0 offset:1280
	s_cmp_lg_u64 s[6:7], 0
	s_cbranch_scc0 .LBB76_24
; %bb.20:
	s_load_dword s6, s[6:7], 0x0
	s_waitcnt lgkmcnt(0)
	v_div_scale_f32 v0, s[0:1], s6, s6, 1.0
	v_rcp_f32_e32 v3, v0
	v_div_scale_f32 v5, vcc, 1.0, s6, 1.0
	v_fma_f32 v6, -v0, v3, 1.0
	v_fmac_f32_e32 v3, v6, v3
	v_mul_f32_e32 v6, v5, v3
	v_fma_f32 v7, -v0, v6, v5
	v_fmac_f32_e32 v6, v7, v3
	v_fma_f32 v0, -v0, v6, v5
	v_div_fmas_f32 v0, v0, v3, v6
	v_div_fixup_f32 v0, v0, s6, 1.0
	s_andn2_b64 vcc, exec, s[26:27]
	s_cbranch_vccnz .LBB76_22
.LBB76_21:
	s_add_u32 s0, s24, s28
	s_addc_u32 s1, s25, s29
	s_load_dword s14, s[0:1], 0x0
	s_mov_b32 s15, 0
.LBB76_22:
	s_waitcnt lgkmcnt(0)
	v_add_f32_e32 v1, 0x358637bd, v1
	v_div_scale_f32 v3, s[0:1], v1, v1, 1.0
	v_rcp_f32_e32 v5, v3
	v_div_scale_f32 v6, vcc, 1.0, v1, 1.0
	s_mul_i32 s0, s3, s15
	v_fma_f32 v7, -v3, v5, 1.0
	v_fmac_f32_e32 v5, v7, v5
	v_mul_f32_e32 v7, v6, v5
	v_fma_f32 v8, -v3, v7, v6
	s_mul_hi_u32 s1, s3, s14
	v_fmac_f32_e32 v7, v8, v5
	s_add_i32 s1, s1, s0
	s_mul_i32 s0, s3, s14
	v_fma_f32 v3, -v3, v7, v6
	s_lshl_b64 s[0:1], s[0:1], 7
	v_div_fmas_f32 v3, v3, v5, v7
	s_add_u32 s4, s4, s0
	s_mov_b32 s3, 0
	v_div_fixup_f32 v1, v3, v1, 1.0
	s_addc_u32 s5, s5, s1
	s_lshl_b64 s[0:1], s[2:3], 7
	v_mul_f32_e32 v1, v4, v1
	s_add_u32 s0, s4, s0
	s_addc_u32 s1, s5, s1
	v_fma_mixlo_f16 v0, v1, v0, 0
	global_store_short v2, v0, s[0:1]
	s_endpgm
.LBB76_23:
	s_mov_b64 s[6:7], 0
	s_branch .LBB76_2
.LBB76_24:
	v_mov_b32_e32 v0, 1.0
	s_andn2_b64 vcc, exec, s[26:27]
	s_cbranch_vccz .LBB76_21
	s_branch .LBB76_22
	.section	.rodata,"a",@progbits
	.p2align	6, 0x0
	.amdhsa_kernel _Z35paged_attention_ll4mi_reduce_kernelIDF16_DF16_Li64ELi64ELi256ELi5EEvPT0_PKfS3_PKT_PKiS8_iS3_
		.amdhsa_group_segment_fixed_size 1284
		.amdhsa_private_segment_fixed_size 0
		.amdhsa_kernarg_size 320
		.amdhsa_user_sgpr_count 2
		.amdhsa_user_sgpr_dispatch_ptr 0
		.amdhsa_user_sgpr_queue_ptr 0
		.amdhsa_user_sgpr_kernarg_segment_ptr 1
		.amdhsa_user_sgpr_dispatch_id 0
		.amdhsa_user_sgpr_kernarg_preload_length 0
		.amdhsa_user_sgpr_kernarg_preload_offset 0
		.amdhsa_user_sgpr_private_segment_size 0
		.amdhsa_uses_dynamic_stack 0
		.amdhsa_enable_private_segment 0
		.amdhsa_system_sgpr_workgroup_id_x 1
		.amdhsa_system_sgpr_workgroup_id_y 1
		.amdhsa_system_sgpr_workgroup_id_z 0
		.amdhsa_system_sgpr_workgroup_info 0
		.amdhsa_system_vgpr_workitem_id 0
		.amdhsa_next_free_vgpr 92
		.amdhsa_next_free_sgpr 40
		.amdhsa_accum_offset 92
		.amdhsa_reserve_vcc 1
		.amdhsa_float_round_mode_32 0
		.amdhsa_float_round_mode_16_64 0
		.amdhsa_float_denorm_mode_32 3
		.amdhsa_float_denorm_mode_16_64 3
		.amdhsa_dx10_clamp 1
		.amdhsa_ieee_mode 1
		.amdhsa_fp16_overflow 0
		.amdhsa_tg_split 0
		.amdhsa_exception_fp_ieee_invalid_op 0
		.amdhsa_exception_fp_denorm_src 0
		.amdhsa_exception_fp_ieee_div_zero 0
		.amdhsa_exception_fp_ieee_overflow 0
		.amdhsa_exception_fp_ieee_underflow 0
		.amdhsa_exception_fp_ieee_inexact 0
		.amdhsa_exception_int_div_zero 0
	.end_amdhsa_kernel
	.section	.text._Z35paged_attention_ll4mi_reduce_kernelIDF16_DF16_Li64ELi64ELi256ELi5EEvPT0_PKfS3_PKT_PKiS8_iS3_,"axG",@progbits,_Z35paged_attention_ll4mi_reduce_kernelIDF16_DF16_Li64ELi64ELi256ELi5EEvPT0_PKfS3_PKT_PKiS8_iS3_,comdat
.Lfunc_end76:
	.size	_Z35paged_attention_ll4mi_reduce_kernelIDF16_DF16_Li64ELi64ELi256ELi5EEvPT0_PKfS3_PKT_PKiS8_iS3_, .Lfunc_end76-_Z35paged_attention_ll4mi_reduce_kernelIDF16_DF16_Li64ELi64ELi256ELi5EEvPT0_PKfS3_PKT_PKiS8_iS3_
                                        ; -- End function
	.section	.AMDGPU.csdata,"",@progbits
; Kernel info:
; codeLenInByte = 8564
; NumSgprs: 46
; NumVgprs: 92
; NumAgprs: 0
; TotalNumVgprs: 92
; ScratchSize: 0
; MemoryBound: 0
; FloatMode: 240
; IeeeMode: 1
; LDSByteSize: 1284 bytes/workgroup (compile time only)
; SGPRBlocks: 5
; VGPRBlocks: 11
; NumSGPRsForWavesPerEU: 46
; NumVGPRsForWavesPerEU: 92
; AccumOffset: 92
; Occupancy: 5
; WaveLimiterHint : 1
; COMPUTE_PGM_RSRC2:SCRATCH_EN: 0
; COMPUTE_PGM_RSRC2:USER_SGPR: 2
; COMPUTE_PGM_RSRC2:TRAP_HANDLER: 0
; COMPUTE_PGM_RSRC2:TGID_X_EN: 1
; COMPUTE_PGM_RSRC2:TGID_Y_EN: 1
; COMPUTE_PGM_RSRC2:TGID_Z_EN: 0
; COMPUTE_PGM_RSRC2:TIDIG_COMP_CNT: 0
; COMPUTE_PGM_RSRC3_GFX90A:ACCUM_OFFSET: 22
; COMPUTE_PGM_RSRC3_GFX90A:TG_SPLIT: 0
	.section	.text._Z35paged_attention_ll4mi_reduce_kernelIDF16_DF16_Li64ELi64ELi256ELi6EEvPT0_PKfS3_PKT_PKiS8_iS3_,"axG",@progbits,_Z35paged_attention_ll4mi_reduce_kernelIDF16_DF16_Li64ELi64ELi256ELi6EEvPT0_PKfS3_PKT_PKiS8_iS3_,comdat
	.protected	_Z35paged_attention_ll4mi_reduce_kernelIDF16_DF16_Li64ELi64ELi256ELi6EEvPT0_PKfS3_PKT_PKiS8_iS3_ ; -- Begin function _Z35paged_attention_ll4mi_reduce_kernelIDF16_DF16_Li64ELi64ELi256ELi6EEvPT0_PKfS3_PKT_PKiS8_iS3_
	.globl	_Z35paged_attention_ll4mi_reduce_kernelIDF16_DF16_Li64ELi64ELi256ELi6EEvPT0_PKfS3_PKT_PKiS8_iS3_
	.p2align	8
	.type	_Z35paged_attention_ll4mi_reduce_kernelIDF16_DF16_Li64ELi64ELi256ELi6EEvPT0_PKfS3_PKT_PKiS8_iS3_,@function
_Z35paged_attention_ll4mi_reduce_kernelIDF16_DF16_Li64ELi64ELi256ELi6EEvPT0_PKfS3_PKT_PKiS8_iS3_: ; @_Z35paged_attention_ll4mi_reduce_kernelIDF16_DF16_Li64ELi64ELi256ELi6EEvPT0_PKfS3_PKT_PKiS8_iS3_
; %bb.0:
	s_load_dwordx2 s[26:27], s[0:1], 0x28
	s_mov_b32 s24, s3
	s_mov_b64 s[4:5], 0
	s_waitcnt lgkmcnt(0)
	s_cmp_lg_u64 s[26:27], 0
	s_cselect_b64 s[28:29], -1, 0
	s_and_b64 vcc, exec, s[28:29]
	s_cbranch_vccz .LBB77_23
; %bb.1:
	s_add_i32 s6, s24, 1
	s_mov_b32 s7, 0
	s_lshl_b64 s[8:9], s[6:7], 2
	s_add_u32 s8, s26, s8
	s_mov_b32 s25, s7
	s_addc_u32 s9, s27, s9
	s_lshl_b64 s[6:7], s[24:25], 2
	s_add_u32 s6, s26, s6
	s_addc_u32 s7, s27, s7
	s_load_dword s3, s[8:9], 0x0
	s_load_dword s10, s[6:7], 0x0
	s_waitcnt lgkmcnt(0)
	s_sub_i32 s3, s3, s10
	s_cmp_eq_u32 s3, 1
	s_cselect_b64 s[6:7], -1, 0
	s_andn2_b64 vcc, exec, s[4:5]
	s_cbranch_vccnz .LBB77_3
.LBB77_2:
	s_mov_b32 s25, 0
	s_mov_b64 s[6:7], -1
.LBB77_3:
	s_andn2_b64 vcc, exec, s[6:7]
	s_cbranch_vccz .LBB77_5
; %bb.4:
	s_endpgm
.LBB77_5:
	s_load_dwordx4 s[16:19], s[0:1], 0x18
	s_load_dword s8, s[0:1], 0x30
	s_lshl_b64 s[30:31], s[24:25], 2
	v_cmp_lt_u32_e32 vcc, 63, v0
	s_waitcnt lgkmcnt(0)
	s_add_u32 s4, s18, s30
	s_addc_u32 s5, s19, s31
	s_load_dword s38, s[4:5], 0x0
	s_load_dword s3, s[0:1], 0x40
	s_mul_i32 s18, s2, s8
	s_mul_i32 s6, s24, s8
	s_waitcnt lgkmcnt(0)
	s_add_i32 s7, s38, 0xff
	s_ashr_i32 s4, s7, 31
	s_lshr_b32 s4, s4, 24
	s_add_i32 s7, s7, s4
	s_and_saveexec_b64 s[4:5], vcc
	s_xor_b64 s[4:5], exec, s[4:5]
	s_or_saveexec_b64 s[34:35], s[4:5]
	s_ashr_i32 s33, s7, 8
	v_mov_b32_e32 v1, s18
	s_mul_i32 s36, s6, s3
	s_xor_b64 exec, exec, s[34:35]
	s_cbranch_execz .LBB77_9
; %bb.6:
	s_add_i32 s4, s33, -1
	v_or_b32_e32 v3, 64, v0
	v_mov_b32_e32 v1, s4
	v_cmp_gt_u32_e64 s[10:11], s33, v3
	s_load_dwordx4 s[20:23], s[0:1], 0x8
	s_mov_b32 s37, 0
	v_cndmask_b32_e64 v4, v1, v3, s[10:11]
	v_or_b32_e32 v3, 0x80, v0
	v_cmp_gt_u32_e64 s[8:9], s33, v3
	s_lshl_b64 s[14:15], s[36:37], 2
	s_mov_b32 s19, s37
	v_cndmask_b32_e64 v6, v1, v3, s[8:9]
	v_or_b32_e32 v3, 0xc0, v0
	v_cmp_gt_u32_e64 s[6:7], s33, v3
	v_cmp_gt_u32_e64 s[12:13], s33, v0
	s_waitcnt lgkmcnt(0)
	s_add_u32 s37, s22, s14
	v_cndmask_b32_e64 v8, v1, v3, s[6:7]
	v_or_b32_e32 v3, 0x100, v0
	v_cmp_gt_u32_e64 s[4:5], s33, v3
	v_cndmask_b32_e64 v2, v1, v0, s[12:13]
	s_addc_u32 s39, s23, s15
	v_cndmask_b32_e64 v10, v1, v3, s[4:5]
	v_or_b32_e32 v3, 0x140, v0
	v_cmp_gt_u32_e32 vcc, s33, v3
	s_lshl_b64 s[22:23], s[18:19], 2
	s_add_u32 s40, s37, s22
	v_cndmask_b32_e32 v12, v1, v3, vcc
	v_ashrrev_i32_e32 v3, 31, v2
	s_addc_u32 s41, s39, s23
	v_lshlrev_b64 v[2:3], 2, v[2:3]
	v_ashrrev_i32_e32 v5, 31, v4
	v_ashrrev_i32_e32 v7, 31, v6
	v_ashrrev_i32_e32 v9, 31, v8
	v_ashrrev_i32_e32 v11, 31, v10
	v_ashrrev_i32_e32 v13, 31, v12
	v_lshl_add_u64 v[14:15], s[40:41], 0, v[2:3]
	v_lshlrev_b64 v[4:5], 2, v[4:5]
	v_lshlrev_b64 v[6:7], 2, v[6:7]
	;; [unrolled: 1-line block ×5, first 2 shown]
	v_lshl_add_u64 v[16:17], s[40:41], 0, v[4:5]
	v_lshl_add_u64 v[18:19], s[40:41], 0, v[6:7]
	;; [unrolled: 1-line block ×5, first 2 shown]
	global_load_dword v1, v[14:15], off
	global_load_dword v26, v[16:17], off
	;; [unrolled: 1-line block ×6, first 2 shown]
	v_mbcnt_lo_u32_b32 v14, -1, 0
	s_add_u32 s14, s20, s14
	v_mbcnt_hi_u32_b32 v14, -1, v14
	s_addc_u32 s15, s21, s15
	v_and_b32_e32 v15, 64, v14
	s_add_u32 s20, s14, s22
	v_xor_b32_e32 v16, 32, v14
	v_add_u32_e32 v15, 64, v15
	s_addc_u32 s21, s15, s23
	v_lshl_add_u64 v[2:3], s[20:21], 0, v[2:3]
	v_cmp_lt_i32_e64 s[14:15], v16, v15
	global_load_dword v20, v[2:3], off
	v_xor_b32_e32 v17, 16, v14
	v_cndmask_b32_e64 v2, v14, v16, s[14:15]
	v_lshlrev_b32_e32 v16, 2, v2
	v_cmp_lt_i32_e64 s[14:15], v17, v15
	v_xor_b32_e32 v18, 8, v14
	v_xor_b32_e32 v19, 4, v14
	s_mov_b32 s19, 0x3fb8aa3b
	s_mov_b32 s37, 0xc2ce8ed0
	s_waitcnt vmcnt(6)
	v_max_f32_e32 v3, v1, v1
	s_waitcnt vmcnt(5)
	v_max_f32_e32 v2, v26, v26
	v_max_f32_e32 v2, v3, v2
	s_waitcnt vmcnt(3)
	v_max3_f32 v2, v2, v27, v28
	s_waitcnt vmcnt(1)
	v_max3_f32 v21, v2, v29, v30
	ds_bpermute_b32 v22, v16, v21
	v_cndmask_b32_e64 v2, v14, v17, s[14:15]
	v_lshlrev_b32_e32 v17, 2, v2
	v_lshl_add_u64 v[2:3], s[20:21], 0, v[4:5]
	global_load_dword v23, v[2:3], off
	s_waitcnt lgkmcnt(0)
	v_max_f32_e32 v2, v22, v22
	v_max_f32_e32 v2, v21, v2
	ds_bpermute_b32 v3, v17, v2
	v_cmp_lt_i32_e64 s[14:15], v18, v15
	v_xor_b32_e32 v4, 2, v14
	s_waitcnt lgkmcnt(0)
	v_max_f32_e32 v3, v3, v3
	v_cndmask_b32_e64 v5, v14, v18, s[14:15]
	v_lshlrev_b32_e32 v18, 2, v5
	v_max_f32_e32 v5, v2, v3
	ds_bpermute_b32 v21, v18, v5
	v_cmp_lt_i32_e64 s[14:15], v19, v15
	s_nop 1
	v_cndmask_b32_e64 v2, v14, v19, s[14:15]
	v_lshlrev_b32_e32 v19, 2, v2
	v_lshl_add_u64 v[2:3], s[20:21], 0, v[6:7]
	global_load_dword v6, v[2:3], off
	s_waitcnt lgkmcnt(0)
	v_max_f32_e32 v2, v21, v21
	v_max_f32_e32 v2, v5, v2
	ds_bpermute_b32 v3, v19, v2
	v_xor_b32_e32 v5, 1, v14
	v_cmp_lt_i32_e64 s[14:15], v4, v15
	s_waitcnt lgkmcnt(0)
	v_max_f32_e32 v3, v3, v3
	v_cndmask_b32_e64 v4, v14, v4, s[14:15]
	v_cmp_lt_i32_e64 s[14:15], v5, v15
	v_max_f32_e32 v21, v2, v3
	v_lshlrev_b32_e32 v7, 2, v4
	v_cndmask_b32_e64 v2, v14, v5, s[14:15]
	v_lshlrev_b32_e32 v14, 2, v2
	v_lshl_add_u64 v[2:3], s[20:21], 0, v[8:9]
	v_lshl_add_u64 v[4:5], s[20:21], 0, v[10:11]
	global_load_dword v10, v[2:3], off
	v_lshl_add_u64 v[2:3], s[20:21], 0, v[12:13]
	global_load_dword v11, v[4:5], off
	global_load_dword v12, v[2:3], off
	ds_bpermute_b32 v22, v7, v21
	s_mov_b32 s20, 0x42b17218
	s_waitcnt lgkmcnt(0)
	v_max_f32_e32 v8, v22, v22
	v_max_f32_e32 v8, v21, v8
	ds_bpermute_b32 v9, v14, v8
	s_waitcnt lgkmcnt(0)
	v_max_f32_e32 v2, v9, v9
	v_max_f32_e32 v2, v8, v2
	v_sub_f32_e32 v1, v1, v2
	v_mul_f32_e32 v4, 0x3fb8aa3b, v1
	v_fma_f32 v8, v1, s19, -v4
	v_rndne_f32_e32 v9, v4
	v_sub_f32_e32 v3, v26, v2
	v_fmac_f32_e32 v8, 0x32a5705f, v1
	v_sub_f32_e32 v4, v4, v9
	v_mul_f32_e32 v5, 0x3fb8aa3b, v3
	v_add_f32_e32 v4, v4, v8
	v_fma_f32 v13, v3, s19, -v5
	v_rndne_f32_e32 v15, v5
	v_cvt_i32_f32_e32 v9, v9
	v_exp_f32_e32 v4, v4
	v_fmac_f32_e32 v13, 0x32a5705f, v3
	v_sub_f32_e32 v5, v5, v15
	v_add_f32_e32 v5, v5, v13
	v_cvt_i32_f32_e32 v15, v15
	v_exp_f32_e32 v5, v5
	v_ldexp_f32 v4, v4, v9
	v_cmp_ngt_f32_e64 s[14:15], s37, v1
	v_mov_b32_e32 v8, 0x7f800000
	v_ldexp_f32 v5, v5, v15
	v_cndmask_b32_e64 v4, 0, v4, s[14:15]
	v_cmp_nlt_f32_e64 s[14:15], s20, v1
	s_nop 1
	v_cndmask_b32_e64 v1, v8, v4, s[14:15]
	v_cndmask_b32_e64 v1, 0, v1, s[12:13]
	v_cmp_ngt_f32_e64 s[12:13], s37, v3
	s_waitcnt vmcnt(5)
	v_mul_f32_e32 v4, v20, v1
	v_cndmask_b32_e64 v1, 0, v5, s[12:13]
	v_sub_f32_e32 v5, v27, v2
	v_mul_f32_e32 v9, 0x3fb8aa3b, v5
	v_fma_f32 v13, v5, s19, -v9
	v_rndne_f32_e32 v15, v9
	v_fmac_f32_e32 v13, 0x32a5705f, v5
	v_sub_f32_e32 v9, v9, v15
	v_add_f32_e32 v9, v9, v13
	v_exp_f32_e32 v9, v9
	v_cvt_i32_f32_e32 v13, v15
	v_cmp_nlt_f32_e64 s[12:13], s20, v3
	s_nop 1
	v_cndmask_b32_e64 v1, v8, v1, s[12:13]
	v_cndmask_b32_e64 v1, 0, v1, s[10:11]
	s_waitcnt vmcnt(4)
	v_mul_f32_e32 v3, v23, v1
	v_ldexp_f32 v1, v9, v13
	v_sub_f32_e32 v9, v28, v2
	v_mul_f32_e32 v13, 0x3fb8aa3b, v9
	v_fma_f32 v15, v9, s19, -v13
	v_rndne_f32_e32 v20, v13
	v_fmac_f32_e32 v15, 0x32a5705f, v9
	v_sub_f32_e32 v13, v13, v20
	v_cmp_ngt_f32_e64 s[10:11], s37, v5
	v_add_f32_e32 v13, v13, v15
	v_exp_f32_e32 v13, v13
	v_cndmask_b32_e64 v1, 0, v1, s[10:11]
	v_cvt_i32_f32_e32 v15, v20
	v_cmp_nlt_f32_e64 s[10:11], s20, v5
	s_nop 1
	v_cndmask_b32_e64 v1, v8, v1, s[10:11]
	v_cndmask_b32_e64 v1, 0, v1, s[8:9]
	s_waitcnt vmcnt(3)
	v_mul_f32_e32 v5, v6, v1
	v_sub_f32_e32 v6, v29, v2
	v_ldexp_f32 v1, v13, v15
	v_mul_f32_e32 v13, 0x3fb8aa3b, v6
	v_fma_f32 v15, v6, s19, -v13
	v_rndne_f32_e32 v20, v13
	v_fmac_f32_e32 v15, 0x32a5705f, v6
	v_sub_f32_e32 v13, v13, v20
	v_cmp_ngt_f32_e64 s[8:9], s37, v9
	v_add_f32_e32 v13, v13, v15
	v_exp_f32_e32 v13, v13
	v_cndmask_b32_e64 v1, 0, v1, s[8:9]
	v_cvt_i32_f32_e32 v15, v20
	v_cmp_nlt_f32_e64 s[8:9], s20, v9
	v_sub_f32_e32 v2, v30, v2
	s_nop 0
	v_cndmask_b32_e64 v1, v8, v1, s[8:9]
	v_cndmask_b32_e64 v1, 0, v1, s[6:7]
	s_waitcnt vmcnt(2)
	v_mul_f32_e32 v9, v10, v1
	v_mul_f32_e32 v10, 0x3fb8aa3b, v2
	v_ldexp_f32 v1, v13, v15
	v_fma_f32 v13, v2, s19, -v10
	v_rndne_f32_e32 v15, v10
	v_fmac_f32_e32 v13, 0x32a5705f, v2
	v_sub_f32_e32 v10, v10, v15
	v_add_f32_e32 v10, v10, v13
	v_cmp_ngt_f32_e64 s[6:7], s37, v6
	v_exp_f32_e32 v10, v10
	v_cvt_i32_f32_e32 v13, v15
	v_cndmask_b32_e64 v1, 0, v1, s[6:7]
	v_cmp_nlt_f32_e64 s[6:7], s20, v6
	s_nop 1
	v_cndmask_b32_e64 v1, v8, v1, s[6:7]
	v_cndmask_b32_e64 v1, 0, v1, s[4:5]
	s_waitcnt vmcnt(1)
	v_mul_f32_e32 v6, v11, v1
	v_ldexp_f32 v1, v10, v13
	v_cmp_ngt_f32_e64 s[4:5], s37, v2
	s_nop 1
	v_cndmask_b32_e64 v1, 0, v1, s[4:5]
	v_cmp_nlt_f32_e64 s[4:5], s20, v2
	s_nop 1
	v_cndmask_b32_e64 v1, v8, v1, s[4:5]
	v_cndmask_b32_e32 v1, 0, v1, vcc
	s_waitcnt vmcnt(0)
	v_mul_f32_e32 v8, v12, v1
	v_add_f32_e32 v1, v4, v3
	v_add_f32_e32 v1, v1, v5
	;; [unrolled: 1-line block ×5, first 2 shown]
	ds_bpermute_b32 v2, v16, v1
	v_cmp_eq_u32_e32 vcc, 0, v0
	s_waitcnt lgkmcnt(0)
	v_add_f32_e32 v1, v1, v2
	ds_bpermute_b32 v2, v17, v1
	s_waitcnt lgkmcnt(0)
	v_add_f32_e32 v1, v1, v2
	ds_bpermute_b32 v2, v18, v1
	;; [unrolled: 3-line block ×4, first 2 shown]
	v_lshlrev_b32_e32 v7, 2, v0
	ds_write2st64_b32 v7, v4, v3 offset1:1
	ds_write2st64_b32 v7, v5, v9 offset0:2 offset1:3
	ds_write2st64_b32 v7, v6, v8 offset0:4 offset1:5
	s_waitcnt lgkmcnt(3)
	v_add_f32_e32 v1, v1, v2
	ds_bpermute_b32 v2, v14, v1
	s_and_saveexec_b64 s[4:5], vcc
	s_cbranch_execz .LBB77_8
; %bb.7:
	s_waitcnt lgkmcnt(0)
	v_add_f32_e32 v1, v1, v2
	v_mov_b32_e32 v2, 0
	ds_write_b32 v2, v1 offset:1536
.LBB77_8:
	s_or_b64 exec, exec, s[4:5]
	v_mov_b32_e32 v1, s18
.LBB77_9:
	s_or_b64 exec, exec, s[34:35]
	s_lshl_b32 s4, s36, 6
	s_mov_b32 s5, 0
	s_lshl_b64 s[4:5], s[4:5], 1
	s_add_u32 s4, s16, s4
	s_addc_u32 s5, s17, s5
	s_lshl_b32 s10, s33, 6
	s_sub_i32 s11, s10, 64
	s_waitcnt lgkmcnt(0)
	v_lshlrev_b32_e32 v2, 6, v1
	v_mov_b32_e32 v3, 0
	s_cmp_lt_i32 s38, 1
	v_lshl_add_u64 v[4:5], v[2:3], 1, s[4:5]
	s_cselect_b32 s4, s11, 0
	v_lshlrev_b32_e32 v2, 1, v0
	s_ashr_i32 s5, s4, 31
	v_lshl_add_u64 v[0:1], v[4:5], 0, v[2:3]
	s_cmpk_lt_i32 s38, 0x101
	v_lshl_add_u64 v[12:13], s[4:5], 1, v[0:1]
	s_cselect_b32 s4, s11, 64
	s_ashr_i32 s5, s4, 31
	s_cmpk_lt_i32 s38, 0x201
	v_lshl_add_u64 v[14:15], s[4:5], 1, v[0:1]
	s_cselect_b32 s4, s11, 0x80
	s_ashr_i32 s5, s4, 31
	;; [unrolled: 4-line block ×8, first 2 shown]
	s_cmpk_lt_i32 s38, 0x901
	global_load_ushort v4, v[12:13], off
	global_load_ushort v5, v[14:15], off
	;; [unrolled: 1-line block ×8, first 2 shown]
	v_lshl_add_u64 v[20:21], s[4:5], 1, v[0:1]
	s_cselect_b32 s4, s11, 0x240
	s_ashr_i32 s5, s4, 31
	s_cmpk_lt_i32 s38, 0xa01
	v_lshl_add_u64 v[22:23], s[4:5], 1, v[0:1]
	s_cselect_b32 s4, s11, 0x280
	s_ashr_i32 s5, s4, 31
	s_cmpk_lt_i32 s38, 0xb01
	;; [unrolled: 4-line block ×6, first 2 shown]
	v_lshl_add_u64 v[32:33], s[4:5], 1, v[0:1]
	s_cselect_b32 s4, s11, 0x3c0
	s_ashr_i32 s5, s4, 31
	v_lshl_add_u64 v[34:35], s[4:5], 1, v[0:1]
	global_load_ushort v12, v[20:21], off
	global_load_ushort v13, v[22:23], off
	;; [unrolled: 1-line block ×8, first 2 shown]
	s_cmpk_gt_i32 s38, 0x1000
	s_cselect_b64 s[8:9], -1, 0
	s_cmpk_lt_i32 s38, 0x1001
	v_mov_b32_e32 v36, 0
	v_mov_b32_e32 v37, 0
	;; [unrolled: 1-line block ×48, first 2 shown]
	s_waitcnt lgkmcnt(0)
	; wave barrier
	s_cbranch_scc1 .LBB77_12
; %bb.10:
	s_cmpk_lt_u32 s38, 0x1101
	s_cselect_b32 s4, s11, 0x440
	s_ashr_i32 s5, s4, 31
	s_cmpk_lt_u32 s38, 0x1201
	v_lshl_add_u64 v[28:29], s[4:5], 1, v[0:1]
	s_cselect_b32 s4, s11, 0x480
	s_ashr_i32 s5, s4, 31
	s_cmpk_lt_u32 s38, 0x1301
	v_lshl_add_u64 v[30:31], s[4:5], 1, v[0:1]
	;; [unrolled: 4-line block ×7, first 2 shown]
	s_cselect_b32 s4, s11, 0x600
	s_ashr_i32 s5, s4, 31
	s_cmpk_lt_u32 s38, 0x1901
	global_load_ushort v27, v[0:1], off offset:2048
	global_load_ushort v26, v[28:29], off
	global_load_ushort v25, v[30:31], off
	;; [unrolled: 1-line block ×7, first 2 shown]
	v_lshl_add_u64 v[36:37], s[4:5], 1, v[0:1]
	s_cselect_b32 s4, s11, 0x640
	s_ashr_i32 s5, s4, 31
	s_cmpk_lt_u32 s38, 0x1a01
	v_lshl_add_u64 v[38:39], s[4:5], 1, v[0:1]
	s_cselect_b32 s4, s11, 0x680
	s_ashr_i32 s5, s4, 31
	s_cmpk_lt_u32 s38, 0x1b01
	;; [unrolled: 4-line block ×6, first 2 shown]
	v_lshl_add_u64 v[48:49], s[4:5], 1, v[0:1]
	s_cselect_b32 s4, s11, 0x7c0
	s_ashr_i32 s5, s4, 31
	v_lshl_add_u64 v[50:51], s[4:5], 1, v[0:1]
	global_load_ushort v35, v[36:37], off
	global_load_ushort v34, v[38:39], off
	;; [unrolled: 1-line block ×8, first 2 shown]
	s_cmpk_lt_u32 s38, 0x2001
	v_mov_b32_e32 v67, 0
	v_mov_b32_e32 v66, 0
	;; [unrolled: 1-line block ×32, first 2 shown]
	s_cbranch_scc1 .LBB77_12
; %bb.11:
	s_cmpk_lt_u32 s38, 0x2101
	s_cselect_b32 s4, s11, 0x840
	s_ashr_i32 s5, s4, 31
	s_cmpk_lt_u32 s38, 0x2201
	v_lshl_add_u64 v[38:39], s[4:5], 1, v[0:1]
	s_cselect_b32 s4, s11, 0x880
	s_ashr_i32 s5, s4, 31
	s_cmpk_lt_u32 s38, 0x2301
	v_lshl_add_u64 v[40:41], s[4:5], 1, v[0:1]
	;; [unrolled: 4-line block ×7, first 2 shown]
	s_cselect_b32 s4, s11, 0xa00
	v_add_co_u32_e32 v36, vcc, 0x1000, v0
	s_ashr_i32 s5, s4, 31
	s_nop 0
	v_addc_co_u32_e32 v37, vcc, 0, v1, vcc
	s_cmpk_lt_u32 s38, 0x2901
	global_load_ushort v52, v[36:37], off
	global_load_ushort v53, v[38:39], off
	;; [unrolled: 1-line block ×8, first 2 shown]
	v_lshl_add_u64 v[36:37], s[4:5], 1, v[0:1]
	s_cselect_b32 s4, s11, 0xa40
	s_ashr_i32 s5, s4, 31
	s_cmpk_lt_u32 s38, 0x2a01
	v_lshl_add_u64 v[38:39], s[4:5], 1, v[0:1]
	s_cselect_b32 s4, s11, 0xa80
	s_ashr_i32 s5, s4, 31
	s_cmpk_lt_u32 s38, 0x2b01
	;; [unrolled: 4-line block ×8, first 2 shown]
	global_load_ushort v68, v[36:37], off
	global_load_ushort v69, v[38:39], off
	;; [unrolled: 1-line block ×8, first 2 shown]
	v_lshl_add_u64 v[36:37], s[4:5], 1, v[0:1]
	s_cselect_b32 s4, s11, 0xc40
	s_ashr_i32 s5, s4, 31
	s_cmpk_lt_u32 s38, 0x3201
	v_lshl_add_u64 v[38:39], s[4:5], 1, v[0:1]
	s_cselect_b32 s4, s11, 0xc80
	s_ashr_i32 s5, s4, 31
	s_cmpk_lt_u32 s38, 0x3301
	;; [unrolled: 4-line block ×8, first 2 shown]
	global_load_ushort v76, v[36:37], off
	global_load_ushort v77, v[38:39], off
	;; [unrolled: 1-line block ×8, first 2 shown]
	v_lshl_add_u64 v[36:37], s[4:5], 1, v[0:1]
	s_cselect_b32 s4, s11, 0xe40
	s_ashr_i32 s5, s4, 31
	s_cmpk_lt_u32 s38, 0x3a01
	v_lshl_add_u64 v[38:39], s[4:5], 1, v[0:1]
	s_cselect_b32 s4, s11, 0xe80
	s_ashr_i32 s5, s4, 31
	s_cmpk_lt_u32 s38, 0x3b01
	;; [unrolled: 4-line block ×6, first 2 shown]
	v_lshl_add_u64 v[48:49], s[4:5], 1, v[0:1]
	s_cselect_b32 s4, s11, 0xfc0
	s_ashr_i32 s5, s4, 31
	v_lshl_add_u64 v[50:51], s[4:5], 1, v[0:1]
	global_load_ushort v84, v[36:37], off
	global_load_ushort v85, v[38:39], off
	global_load_ushort v86, v[40:41], off
	global_load_ushort v87, v[42:43], off
	global_load_ushort v88, v[44:45], off
	global_load_ushort v89, v[46:47], off
	global_load_ushort v90, v[48:49], off
	global_load_ushort v91, v[50:51], off
	s_waitcnt vmcnt(31)
	v_cvt_f32_f16_e32 v67, v52
	s_waitcnt vmcnt(30)
	v_cvt_f32_f16_e32 v66, v53
	;; [unrolled: 2-line block ×32, first 2 shown]
.LBB77_12:
	ds_read_b128 v[68:71], v3
	s_load_dwordx2 s[4:5], s[0:1], 0x0
	s_load_dwordx2 s[6:7], s[0:1], 0x38
	ds_read_b128 v[72:75], v3 offset:16
	ds_read_b128 v[76:79], v3 offset:32
	;; [unrolled: 1-line block ×3, first 2 shown]
	s_and_b64 vcc, exec, s[8:9]
	s_waitcnt vmcnt(15) lgkmcnt(0)
	v_fma_mix_f32 v4, v68, v4, 0 op_sel_hi:[0,1,0]
	s_waitcnt vmcnt(14)
	v_fma_mix_f32 v4, v69, v5, v4 op_sel_hi:[0,1,0]
	s_waitcnt vmcnt(13)
	;; [unrolled: 2-line block ×15, first 2 shown]
	v_fma_mix_f32 v4, v83, v19, v4 op_sel_hi:[0,1,0]
	s_cbranch_vccz .LBB77_15
; %bb.13:
	ds_read_b128 v[6:9], v3 offset:64
	ds_read_b128 v[10:13], v3 offset:80
	;; [unrolled: 1-line block ×4, first 2 shown]
	s_cmpk_lt_u32 s38, 0x2001
	s_waitcnt lgkmcnt(3)
	v_fma_mix_f32 v3, v6, v27, v4 op_sel_hi:[0,1,0]
	v_fma_mix_f32 v3, v7, v26, v3 op_sel_hi:[0,1,0]
	v_fma_mix_f32 v3, v8, v25, v3 op_sel_hi:[0,1,0]
	v_fma_mix_f32 v3, v9, v24, v3 op_sel_hi:[0,1,0]
	s_waitcnt lgkmcnt(2)
	v_fma_mix_f32 v3, v10, v23, v3 op_sel_hi:[0,1,0]
	v_fma_mix_f32 v3, v11, v22, v3 op_sel_hi:[0,1,0]
	v_fma_mix_f32 v3, v12, v21, v3 op_sel_hi:[0,1,0]
	v_fma_mix_f32 v3, v13, v20, v3 op_sel_hi:[0,1,0]
	;; [unrolled: 5-line block ×4, first 2 shown]
	s_cbranch_scc1 .LBB77_15
; %bb.14:
	v_mov_b32_e32 v3, 0
	ds_read_b128 v[6:9], v3 offset:128
	ds_read_b128 v[10:13], v3 offset:144
	ds_read_b128 v[14:17], v3 offset:160
	ds_read_b128 v[18:21], v3 offset:176
	s_waitcnt lgkmcnt(3)
	v_fmac_f32_e32 v4, v6, v67
	v_fmac_f32_e32 v4, v7, v66
	v_fmac_f32_e32 v4, v8, v65
	v_fmac_f32_e32 v4, v9, v64
	s_waitcnt lgkmcnt(2)
	v_fmac_f32_e32 v4, v10, v63
	v_fmac_f32_e32 v4, v11, v62
	v_fmac_f32_e32 v4, v12, v61
	v_fmac_f32_e32 v4, v13, v60
	;; [unrolled: 5-line block ×3, first 2 shown]
	ds_read_b128 v[6:9], v3 offset:192
	ds_read_b128 v[10:13], v3 offset:208
	s_waitcnt lgkmcnt(2)
	v_fmac_f32_e32 v4, v18, v55
	v_fmac_f32_e32 v4, v19, v54
	;; [unrolled: 1-line block ×4, first 2 shown]
	s_waitcnt lgkmcnt(1)
	v_fmac_f32_e32 v4, v6, v51
	v_fmac_f32_e32 v4, v7, v50
	;; [unrolled: 1-line block ×4, first 2 shown]
	ds_read_b128 v[6:9], v3 offset:224
	s_waitcnt lgkmcnt(1)
	v_fmac_f32_e32 v4, v10, v47
	v_fmac_f32_e32 v4, v11, v46
	;; [unrolled: 1-line block ×4, first 2 shown]
	ds_read_b128 v[10:13], v3 offset:240
	s_waitcnt lgkmcnt(1)
	v_fmac_f32_e32 v4, v6, v43
	v_fmac_f32_e32 v4, v7, v42
	v_fmac_f32_e32 v4, v8, v41
	v_fmac_f32_e32 v4, v9, v40
	s_waitcnt lgkmcnt(0)
	v_fmac_f32_e32 v4, v10, v39
	v_fmac_f32_e32 v4, v11, v38
	;; [unrolled: 1-line block ×4, first 2 shown]
.LBB77_15:
	s_movk_i32 s0, 0x1fc0
	s_movk_i32 s1, 0x100
	s_mov_b32 s8, 64
	s_branch .LBB77_17
.LBB77_16:                              ;   in Loop: Header=BB77_17 Depth=1
	s_addk_i32 s0, 0x1000
	s_addk_i32 s1, 0x100
	s_add_i32 s8, s8, 64
	s_cmpk_eq_i32 s0, 0x6fc0
	s_cbranch_scc1 .LBB77_19
.LBB77_17:                              ; =>This Inner Loop Header: Depth=1
	s_cmp_le_i32 s33, s8
	s_cbranch_scc1 .LBB77_16
; %bb.18:                               ;   in Loop: Header=BB77_17 Depth=1
	s_add_i32 s9, s0, 0xfffff040
	s_cmp_lt_i32 s9, s10
	s_cselect_b32 s12, s9, s11
	s_ashr_i32 s13, s12, 31
	s_add_i32 s9, s0, 0xfffff080
	s_cmp_lt_i32 s9, s10
	v_lshl_add_u64 v[12:13], s[12:13], 1, v[0:1]
	s_cselect_b32 s12, s9, s11
	s_ashr_i32 s13, s12, 31
	s_add_i32 s9, s0, 0xfffff0c0
	s_cmp_lt_i32 s9, s10
	v_lshl_add_u64 v[14:15], s[12:13], 1, v[0:1]
	;; [unrolled: 5-line block ×8, first 2 shown]
	s_cselect_b32 s12, s9, s11
	s_ashr_i32 s13, s12, 31
	s_add_i32 s9, s0, 0xfffff280
	s_cmp_lt_i32 s9, s10
	global_load_ushort v3, v[12:13], off
	global_load_ushort v5, v[14:15], off
	global_load_ushort v6, v[16:17], off
	global_load_ushort v7, v[18:19], off
	global_load_ushort v8, v[20:21], off
	global_load_ushort v9, v[22:23], off
	global_load_ushort v10, v[24:25], off
	global_load_ushort v11, v[26:27], off
	v_lshl_add_u64 v[12:13], s[12:13], 1, v[0:1]
	s_cselect_b32 s12, s9, s11
	s_ashr_i32 s13, s12, 31
	s_add_i32 s9, s0, 0xfffff2c0
	s_cmp_lt_i32 s9, s10
	v_lshl_add_u64 v[14:15], s[12:13], 1, v[0:1]
	s_cselect_b32 s12, s9, s11
	s_ashr_i32 s13, s12, 31
	s_add_i32 s9, s0, 0xfffff300
	s_cmp_lt_i32 s9, s10
	v_lshl_add_u64 v[16:17], s[12:13], 1, v[0:1]
	s_cselect_b32 s12, s9, s11
	s_ashr_i32 s13, s12, 31
	s_add_i32 s9, s0, 0xfffff340
	s_cmp_lt_i32 s9, s10
	v_lshl_add_u64 v[18:19], s[12:13], 1, v[0:1]
	s_cselect_b32 s12, s9, s11
	s_ashr_i32 s13, s12, 31
	s_add_i32 s9, s0, 0xfffff380
	s_cmp_lt_i32 s9, s10
	v_lshl_add_u64 v[20:21], s[12:13], 1, v[0:1]
	s_cselect_b32 s12, s9, s11
	s_ashr_i32 s13, s12, 31
	s_add_i32 s9, s0, 0xfffff3c0
	s_cmp_lt_i32 s9, s10
	v_lshl_add_u64 v[22:23], s[12:13], 1, v[0:1]
	s_cselect_b32 s12, s9, s11
	s_ashr_i32 s13, s12, 31
	s_add_i32 s9, s0, 0xfffff400
	s_cmp_lt_i32 s9, s10
	v_lshl_add_u64 v[24:25], s[12:13], 1, v[0:1]
	s_cselect_b32 s12, s9, s11
	s_ashr_i32 s13, s12, 31
	s_add_i32 s9, s0, 0xfffff440
	s_cmp_lt_i32 s9, s10
	v_lshl_add_u64 v[26:27], s[12:13], 1, v[0:1]
	s_cselect_b32 s12, s9, s11
	s_ashr_i32 s13, s12, 31
	s_add_i32 s9, s0, 0xfffff480
	s_cmp_lt_i32 s9, s10
	global_load_ushort v28, v[12:13], off
	global_load_ushort v29, v[14:15], off
	global_load_ushort v30, v[16:17], off
	global_load_ushort v31, v[18:19], off
	global_load_ushort v32, v[20:21], off
	global_load_ushort v33, v[22:23], off
	global_load_ushort v34, v[24:25], off
	global_load_ushort v35, v[26:27], off
	v_lshl_add_u64 v[12:13], s[12:13], 1, v[0:1]
	s_cselect_b32 s12, s9, s11
	s_ashr_i32 s13, s12, 31
	s_add_i32 s9, s0, 0xfffff4c0
	s_cmp_lt_i32 s9, s10
	v_lshl_add_u64 v[14:15], s[12:13], 1, v[0:1]
	s_cselect_b32 s12, s9, s11
	s_ashr_i32 s13, s12, 31
	s_add_i32 s9, s0, 0xfffff500
	s_cmp_lt_i32 s9, s10
	v_lshl_add_u64 v[16:17], s[12:13], 1, v[0:1]
	s_cselect_b32 s12, s9, s11
	s_ashr_i32 s13, s12, 31
	s_add_i32 s9, s0, 0xfffff540
	s_cmp_lt_i32 s9, s10
	v_lshl_add_u64 v[18:19], s[12:13], 1, v[0:1]
	s_cselect_b32 s12, s9, s11
	s_ashr_i32 s13, s12, 31
	s_add_i32 s9, s0, 0xfffff580
	s_cmp_lt_i32 s9, s10
	v_lshl_add_u64 v[20:21], s[12:13], 1, v[0:1]
	s_cselect_b32 s12, s9, s11
	s_ashr_i32 s13, s12, 31
	s_add_i32 s9, s0, 0xfffff5c0
	s_cmp_lt_i32 s9, s10
	v_lshl_add_u64 v[22:23], s[12:13], 1, v[0:1]
	s_cselect_b32 s12, s9, s11
	s_ashr_i32 s13, s12, 31
	s_add_i32 s9, s0, 0xfffff600
	s_cmp_lt_i32 s9, s10
	v_lshl_add_u64 v[24:25], s[12:13], 1, v[0:1]
	s_cselect_b32 s12, s9, s11
	s_ashr_i32 s13, s12, 31
	s_add_i32 s9, s0, 0xfffff640
	s_cmp_lt_i32 s9, s10
	v_lshl_add_u64 v[26:27], s[12:13], 1, v[0:1]
	;; [unrolled: 48-line block ×6, first 2 shown]
	s_cselect_b32 s12, s9, s11
	s_ashr_i32 s13, s12, 31
	s_add_i32 s9, s0, 0xfffffe80
	s_cmp_lt_i32 s9, s10
	global_load_ushort v68, v[12:13], off
	global_load_ushort v69, v[14:15], off
	;; [unrolled: 1-line block ×8, first 2 shown]
	v_lshl_add_u64 v[12:13], s[12:13], 1, v[0:1]
	s_cselect_b32 s12, s9, s11
	s_ashr_i32 s13, s12, 31
	s_add_i32 s9, s0, 0xfffffec0
	s_cmp_lt_i32 s9, s10
	v_lshl_add_u64 v[14:15], s[12:13], 1, v[0:1]
	s_cselect_b32 s12, s9, s11
	s_ashr_i32 s13, s12, 31
	s_add_i32 s9, s0, 0xffffff00
	s_cmp_lt_i32 s9, s10
	;; [unrolled: 5-line block ×4, first 2 shown]
	v_lshl_add_u64 v[20:21], s[12:13], 1, v[0:1]
	s_cselect_b32 s12, s9, s11
	s_ashr_i32 s13, s12, 31
	s_sub_i32 s9, s0, 64
	s_cmp_lt_i32 s9, s10
	v_lshl_add_u64 v[22:23], s[12:13], 1, v[0:1]
	s_cselect_b32 s12, s9, s11
	s_ashr_i32 s13, s12, 31
	s_cmp_lt_i32 s0, s10
	v_lshl_add_u64 v[24:25], s[12:13], 1, v[0:1]
	s_cselect_b32 s12, s0, s11
	s_ashr_i32 s13, s12, 31
	v_lshl_add_u64 v[26:27], s[12:13], 1, v[0:1]
	global_load_ushort v76, v[12:13], off
	global_load_ushort v77, v[14:15], off
	;; [unrolled: 1-line block ×8, first 2 shown]
	v_mov_b32_e32 v84, s1
	ds_read_b128 v[12:15], v84
	ds_read_b128 v[16:19], v84 offset:16
	ds_read_b128 v[20:23], v84 offset:32
	;; [unrolled: 1-line block ×3, first 2 shown]
	s_waitcnt vmcnt(62) lgkmcnt(3)
	v_fma_mix_f32 v3, v12, v3, v4 op_sel_hi:[0,1,0]
	v_fma_mix_f32 v3, v13, v5, v3 op_sel_hi:[0,1,0]
	s_waitcnt vmcnt(61)
	v_fma_mix_f32 v3, v14, v6, v3 op_sel_hi:[0,1,0]
	s_waitcnt vmcnt(60)
	v_fma_mix_f32 v3, v15, v7, v3 op_sel_hi:[0,1,0]
	s_waitcnt vmcnt(59) lgkmcnt(2)
	v_fma_mix_f32 v3, v16, v8, v3 op_sel_hi:[0,1,0]
	s_waitcnt vmcnt(58)
	v_fma_mix_f32 v3, v17, v9, v3 op_sel_hi:[0,1,0]
	s_waitcnt vmcnt(57)
	;; [unrolled: 2-line block ×3, first 2 shown]
	v_fma_mix_f32 v3, v19, v11, v3 op_sel_hi:[0,1,0]
	s_waitcnt vmcnt(55) lgkmcnt(1)
	v_fma_mix_f32 v3, v20, v28, v3 op_sel_hi:[0,1,0]
	s_waitcnt vmcnt(54)
	v_fma_mix_f32 v3, v21, v29, v3 op_sel_hi:[0,1,0]
	s_waitcnt vmcnt(53)
	;; [unrolled: 2-line block ×3, first 2 shown]
	v_fma_mix_f32 v3, v23, v31, v3 op_sel_hi:[0,1,0]
	ds_read_b128 v[4:7], v84 offset:64
	ds_read_b128 v[8:11], v84 offset:80
	s_waitcnt vmcnt(51) lgkmcnt(2)
	v_fma_mix_f32 v3, v24, v32, v3 op_sel_hi:[0,1,0]
	s_waitcnt vmcnt(50)
	v_fma_mix_f32 v3, v25, v33, v3 op_sel_hi:[0,1,0]
	s_waitcnt vmcnt(49)
	;; [unrolled: 2-line block ×3, first 2 shown]
	v_fma_mix_f32 v3, v27, v35, v3 op_sel_hi:[0,1,0]
	s_waitcnt vmcnt(47) lgkmcnt(1)
	v_fma_mix_f32 v3, v4, v36, v3 op_sel_hi:[0,1,0]
	s_waitcnt vmcnt(46)
	v_fma_mix_f32 v3, v5, v37, v3 op_sel_hi:[0,1,0]
	s_waitcnt vmcnt(45)
	v_fma_mix_f32 v3, v6, v38, v3 op_sel_hi:[0,1,0]
	s_waitcnt vmcnt(44)
	v_fma_mix_f32 v3, v7, v39, v3 op_sel_hi:[0,1,0]
	ds_read_b128 v[4:7], v84 offset:96
	s_waitcnt vmcnt(43) lgkmcnt(1)
	v_fma_mix_f32 v3, v8, v40, v3 op_sel_hi:[0,1,0]
	s_waitcnt vmcnt(42)
	v_fma_mix_f32 v3, v9, v41, v3 op_sel_hi:[0,1,0]
	s_waitcnt vmcnt(41)
	v_fma_mix_f32 v3, v10, v42, v3 op_sel_hi:[0,1,0]
	s_waitcnt vmcnt(40)
	v_fma_mix_f32 v3, v11, v43, v3 op_sel_hi:[0,1,0]
	ds_read_b128 v[8:11], v84 offset:112
	;; [unrolled: 9-line block ×10, first 2 shown]
	s_waitcnt vmcnt(7) lgkmcnt(1)
	v_fma_mix_f32 v3, v4, v76, v3 op_sel_hi:[0,1,0]
	s_waitcnt vmcnt(6)
	v_fma_mix_f32 v3, v5, v77, v3 op_sel_hi:[0,1,0]
	s_waitcnt vmcnt(5)
	v_fma_mix_f32 v3, v6, v78, v3 op_sel_hi:[0,1,0]
	s_waitcnt vmcnt(4)
	v_fma_mix_f32 v3, v7, v79, v3 op_sel_hi:[0,1,0]
	s_waitcnt vmcnt(3) lgkmcnt(0)
	v_fma_mix_f32 v3, v8, v80, v3 op_sel_hi:[0,1,0]
	s_waitcnt vmcnt(2)
	v_fma_mix_f32 v3, v9, v81, v3 op_sel_hi:[0,1,0]
	s_waitcnt vmcnt(1)
	;; [unrolled: 2-line block ×3, first 2 shown]
	v_fma_mix_f32 v4, v11, v83, v3 op_sel_hi:[0,1,0]
	s_branch .LBB77_16
.LBB77_19:
	v_mov_b32_e32 v0, 0
	ds_read_b32 v1, v0 offset:1536
	s_cmp_lg_u64 s[6:7], 0
	s_cbranch_scc0 .LBB77_24
; %bb.20:
	s_load_dword s6, s[6:7], 0x0
	s_waitcnt lgkmcnt(0)
	v_div_scale_f32 v0, s[0:1], s6, s6, 1.0
	v_rcp_f32_e32 v3, v0
	v_div_scale_f32 v5, vcc, 1.0, s6, 1.0
	v_fma_f32 v6, -v0, v3, 1.0
	v_fmac_f32_e32 v3, v6, v3
	v_mul_f32_e32 v6, v5, v3
	v_fma_f32 v7, -v0, v6, v5
	v_fmac_f32_e32 v6, v7, v3
	v_fma_f32 v0, -v0, v6, v5
	v_div_fmas_f32 v0, v0, v3, v6
	v_div_fixup_f32 v0, v0, s6, 1.0
	s_andn2_b64 vcc, exec, s[28:29]
	s_cbranch_vccnz .LBB77_22
.LBB77_21:
	s_add_u32 s0, s26, s30
	s_addc_u32 s1, s27, s31
	s_load_dword s24, s[0:1], 0x0
	s_mov_b32 s25, 0
.LBB77_22:
	s_waitcnt lgkmcnt(0)
	v_add_f32_e32 v1, 0x358637bd, v1
	v_div_scale_f32 v3, s[0:1], v1, v1, 1.0
	v_rcp_f32_e32 v5, v3
	v_div_scale_f32 v6, vcc, 1.0, v1, 1.0
	s_mul_i32 s0, s3, s25
	v_fma_f32 v7, -v3, v5, 1.0
	v_fmac_f32_e32 v5, v7, v5
	v_mul_f32_e32 v7, v6, v5
	v_fma_f32 v8, -v3, v7, v6
	s_mul_hi_u32 s1, s3, s24
	v_fmac_f32_e32 v7, v8, v5
	s_add_i32 s1, s1, s0
	s_mul_i32 s0, s3, s24
	v_fma_f32 v3, -v3, v7, v6
	s_lshl_b64 s[0:1], s[0:1], 7
	v_div_fmas_f32 v3, v3, v5, v7
	s_add_u32 s4, s4, s0
	s_mov_b32 s3, 0
	v_div_fixup_f32 v1, v3, v1, 1.0
	s_addc_u32 s5, s5, s1
	s_lshl_b64 s[0:1], s[2:3], 7
	v_mul_f32_e32 v1, v4, v1
	s_add_u32 s0, s4, s0
	s_addc_u32 s1, s5, s1
	v_fma_mixlo_f16 v0, v1, v0, 0
	global_store_short v2, v0, s[0:1]
	s_endpgm
.LBB77_23:
	s_mov_b64 s[6:7], 0
	s_branch .LBB77_2
.LBB77_24:
	v_mov_b32_e32 v0, 1.0
	s_andn2_b64 vcc, exec, s[28:29]
	s_cbranch_vccz .LBB77_21
	s_branch .LBB77_22
	.section	.rodata,"a",@progbits
	.p2align	6, 0x0
	.amdhsa_kernel _Z35paged_attention_ll4mi_reduce_kernelIDF16_DF16_Li64ELi64ELi256ELi6EEvPT0_PKfS3_PKT_PKiS8_iS3_
		.amdhsa_group_segment_fixed_size 1540
		.amdhsa_private_segment_fixed_size 0
		.amdhsa_kernarg_size 320
		.amdhsa_user_sgpr_count 2
		.amdhsa_user_sgpr_dispatch_ptr 0
		.amdhsa_user_sgpr_queue_ptr 0
		.amdhsa_user_sgpr_kernarg_segment_ptr 1
		.amdhsa_user_sgpr_dispatch_id 0
		.amdhsa_user_sgpr_kernarg_preload_length 0
		.amdhsa_user_sgpr_kernarg_preload_offset 0
		.amdhsa_user_sgpr_private_segment_size 0
		.amdhsa_uses_dynamic_stack 0
		.amdhsa_enable_private_segment 0
		.amdhsa_system_sgpr_workgroup_id_x 1
		.amdhsa_system_sgpr_workgroup_id_y 1
		.amdhsa_system_sgpr_workgroup_id_z 0
		.amdhsa_system_sgpr_workgroup_info 0
		.amdhsa_system_vgpr_workitem_id 0
		.amdhsa_next_free_vgpr 92
		.amdhsa_next_free_sgpr 42
		.amdhsa_accum_offset 92
		.amdhsa_reserve_vcc 1
		.amdhsa_float_round_mode_32 0
		.amdhsa_float_round_mode_16_64 0
		.amdhsa_float_denorm_mode_32 3
		.amdhsa_float_denorm_mode_16_64 3
		.amdhsa_dx10_clamp 1
		.amdhsa_ieee_mode 1
		.amdhsa_fp16_overflow 0
		.amdhsa_tg_split 0
		.amdhsa_exception_fp_ieee_invalid_op 0
		.amdhsa_exception_fp_denorm_src 0
		.amdhsa_exception_fp_ieee_div_zero 0
		.amdhsa_exception_fp_ieee_overflow 0
		.amdhsa_exception_fp_ieee_underflow 0
		.amdhsa_exception_fp_ieee_inexact 0
		.amdhsa_exception_int_div_zero 0
	.end_amdhsa_kernel
	.section	.text._Z35paged_attention_ll4mi_reduce_kernelIDF16_DF16_Li64ELi64ELi256ELi6EEvPT0_PKfS3_PKT_PKiS8_iS3_,"axG",@progbits,_Z35paged_attention_ll4mi_reduce_kernelIDF16_DF16_Li64ELi64ELi256ELi6EEvPT0_PKfS3_PKT_PKiS8_iS3_,comdat
.Lfunc_end77:
	.size	_Z35paged_attention_ll4mi_reduce_kernelIDF16_DF16_Li64ELi64ELi256ELi6EEvPT0_PKfS3_PKT_PKiS8_iS3_, .Lfunc_end77-_Z35paged_attention_ll4mi_reduce_kernelIDF16_DF16_Li64ELi64ELi256ELi6EEvPT0_PKfS3_PKT_PKiS8_iS3_
                                        ; -- End function
	.section	.AMDGPU.csdata,"",@progbits
; Kernel info:
; codeLenInByte = 8776
; NumSgprs: 48
; NumVgprs: 92
; NumAgprs: 0
; TotalNumVgprs: 92
; ScratchSize: 0
; MemoryBound: 0
; FloatMode: 240
; IeeeMode: 1
; LDSByteSize: 1540 bytes/workgroup (compile time only)
; SGPRBlocks: 5
; VGPRBlocks: 11
; NumSGPRsForWavesPerEU: 48
; NumVGPRsForWavesPerEU: 92
; AccumOffset: 92
; Occupancy: 5
; WaveLimiterHint : 1
; COMPUTE_PGM_RSRC2:SCRATCH_EN: 0
; COMPUTE_PGM_RSRC2:USER_SGPR: 2
; COMPUTE_PGM_RSRC2:TRAP_HANDLER: 0
; COMPUTE_PGM_RSRC2:TGID_X_EN: 1
; COMPUTE_PGM_RSRC2:TGID_Y_EN: 1
; COMPUTE_PGM_RSRC2:TGID_Z_EN: 0
; COMPUTE_PGM_RSRC2:TIDIG_COMP_CNT: 0
; COMPUTE_PGM_RSRC3_GFX90A:ACCUM_OFFSET: 22
; COMPUTE_PGM_RSRC3_GFX90A:TG_SPLIT: 0
	.section	.text._Z35paged_attention_ll4mi_reduce_kernelIDF16_DF16_Li64ELi64ELi256ELi7EEvPT0_PKfS3_PKT_PKiS8_iS3_,"axG",@progbits,_Z35paged_attention_ll4mi_reduce_kernelIDF16_DF16_Li64ELi64ELi256ELi7EEvPT0_PKfS3_PKT_PKiS8_iS3_,comdat
	.protected	_Z35paged_attention_ll4mi_reduce_kernelIDF16_DF16_Li64ELi64ELi256ELi7EEvPT0_PKfS3_PKT_PKiS8_iS3_ ; -- Begin function _Z35paged_attention_ll4mi_reduce_kernelIDF16_DF16_Li64ELi64ELi256ELi7EEvPT0_PKfS3_PKT_PKiS8_iS3_
	.globl	_Z35paged_attention_ll4mi_reduce_kernelIDF16_DF16_Li64ELi64ELi256ELi7EEvPT0_PKfS3_PKT_PKiS8_iS3_
	.p2align	8
	.type	_Z35paged_attention_ll4mi_reduce_kernelIDF16_DF16_Li64ELi64ELi256ELi7EEvPT0_PKfS3_PKT_PKiS8_iS3_,@function
_Z35paged_attention_ll4mi_reduce_kernelIDF16_DF16_Li64ELi64ELi256ELi7EEvPT0_PKfS3_PKT_PKiS8_iS3_: ; @_Z35paged_attention_ll4mi_reduce_kernelIDF16_DF16_Li64ELi64ELi256ELi7EEvPT0_PKfS3_PKT_PKiS8_iS3_
; %bb.0:
	s_load_dwordx2 s[26:27], s[0:1], 0x28
	s_mov_b32 s24, s3
	s_mov_b64 s[4:5], 0
	s_waitcnt lgkmcnt(0)
	s_cmp_lg_u64 s[26:27], 0
	s_cselect_b64 s[28:29], -1, 0
	s_and_b64 vcc, exec, s[28:29]
	s_cbranch_vccz .LBB78_23
; %bb.1:
	s_add_i32 s6, s24, 1
	s_mov_b32 s7, 0
	s_lshl_b64 s[8:9], s[6:7], 2
	s_add_u32 s8, s26, s8
	s_mov_b32 s25, s7
	s_addc_u32 s9, s27, s9
	s_lshl_b64 s[6:7], s[24:25], 2
	s_add_u32 s6, s26, s6
	s_addc_u32 s7, s27, s7
	s_load_dword s3, s[8:9], 0x0
	s_load_dword s10, s[6:7], 0x0
	s_waitcnt lgkmcnt(0)
	s_sub_i32 s3, s3, s10
	s_cmp_eq_u32 s3, 1
	s_cselect_b64 s[6:7], -1, 0
	s_andn2_b64 vcc, exec, s[4:5]
	s_cbranch_vccnz .LBB78_3
.LBB78_2:
	s_mov_b32 s25, 0
	s_mov_b64 s[6:7], -1
.LBB78_3:
	s_andn2_b64 vcc, exec, s[6:7]
	s_cbranch_vccz .LBB78_5
; %bb.4:
	s_endpgm
.LBB78_5:
	s_load_dwordx4 s[20:23], s[0:1], 0x18
	s_load_dword s8, s[0:1], 0x30
	s_lshl_b64 s[30:31], s[24:25], 2
	v_cmp_lt_u32_e32 vcc, 63, v0
	s_waitcnt lgkmcnt(0)
	s_add_u32 s4, s22, s30
	s_addc_u32 s5, s23, s31
	s_load_dword s40, s[4:5], 0x0
	s_load_dword s3, s[0:1], 0x40
	s_mul_i32 s22, s2, s8
	s_mul_i32 s6, s24, s8
	s_waitcnt lgkmcnt(0)
	s_add_i32 s7, s40, 0xff
	s_ashr_i32 s4, s7, 31
	s_lshr_b32 s4, s4, 24
	s_add_i32 s7, s7, s4
	s_and_saveexec_b64 s[4:5], vcc
	s_xor_b64 s[4:5], exec, s[4:5]
	s_or_saveexec_b64 s[34:35], s[4:5]
	s_ashr_i32 s33, s7, 8
	v_mov_b32_e32 v1, s22
	s_mul_i32 s36, s6, s3
	s_xor_b64 exec, exec, s[34:35]
	s_cbranch_execz .LBB78_9
; %bb.6:
	s_add_i32 s4, s33, -1
	v_or_b32_e32 v3, 64, v0
	v_mov_b32_e32 v1, s4
	v_cmp_gt_u32_e64 s[12:13], s33, v3
	s_load_dwordx4 s[16:19], s[0:1], 0x8
	s_mov_b32 s37, 0
	v_cndmask_b32_e64 v4, v1, v3, s[12:13]
	v_or_b32_e32 v3, 0x80, v0
	v_cmp_gt_u32_e64 s[10:11], s33, v3
	s_lshl_b64 s[38:39], s[36:37], 2
	s_mov_b32 s23, s37
	v_cndmask_b32_e64 v6, v1, v3, s[10:11]
	v_or_b32_e32 v3, 0xc0, v0
	v_cmp_gt_u32_e64 s[8:9], s33, v3
	v_cmp_gt_u32_e64 s[14:15], s33, v0
	s_waitcnt lgkmcnt(0)
	s_add_u32 s37, s18, s38
	v_cndmask_b32_e64 v8, v1, v3, s[8:9]
	v_or_b32_e32 v3, 0x100, v0
	v_cmp_gt_u32_e64 s[6:7], s33, v3
	v_cndmask_b32_e64 v2, v1, v0, s[14:15]
	s_addc_u32 s41, s19, s39
	v_cndmask_b32_e64 v10, v1, v3, s[6:7]
	v_or_b32_e32 v3, 0x140, v0
	v_cmp_gt_u32_e64 s[4:5], s33, v3
	s_lshl_b64 s[18:19], s[22:23], 2
	s_add_u32 s42, s37, s18
	v_cndmask_b32_e64 v12, v1, v3, s[4:5]
	v_or_b32_e32 v3, 0x180, v0
	v_cmp_gt_u32_e32 vcc, s33, v3
	s_addc_u32 s43, s41, s19
	v_ashrrev_i32_e32 v5, 31, v4
	v_cndmask_b32_e32 v14, v1, v3, vcc
	v_ashrrev_i32_e32 v3, 31, v2
	v_lshlrev_b64 v[2:3], 2, v[2:3]
	v_ashrrev_i32_e32 v7, 31, v6
	v_ashrrev_i32_e32 v9, 31, v8
	;; [unrolled: 1-line block ×5, first 2 shown]
	v_lshl_add_u64 v[16:17], s[42:43], 0, v[2:3]
	v_lshlrev_b64 v[4:5], 2, v[4:5]
	v_lshlrev_b64 v[6:7], 2, v[6:7]
	;; [unrolled: 1-line block ×6, first 2 shown]
	v_lshl_add_u64 v[18:19], s[42:43], 0, v[4:5]
	v_lshl_add_u64 v[20:21], s[42:43], 0, v[6:7]
	v_lshl_add_u64 v[22:23], s[42:43], 0, v[8:9]
	v_lshl_add_u64 v[24:25], s[42:43], 0, v[10:11]
	v_lshl_add_u64 v[26:27], s[42:43], 0, v[12:13]
	v_lshl_add_u64 v[28:29], s[42:43], 0, v[14:15]
	global_load_dword v1, v[16:17], off
	global_load_dword v30, v[18:19], off
	;; [unrolled: 1-line block ×7, first 2 shown]
	v_mbcnt_lo_u32_b32 v16, -1, 0
	s_add_u32 s16, s16, s38
	v_mbcnt_hi_u32_b32 v16, -1, v16
	s_addc_u32 s17, s17, s39
	v_and_b32_e32 v18, 64, v16
	s_add_u32 s18, s16, s18
	v_xor_b32_e32 v19, 32, v16
	s_addc_u32 s19, s17, s19
	v_add_u32_e32 v18, 64, v18
	v_lshl_add_u64 v[2:3], s[18:19], 0, v[2:3]
	v_cmp_lt_i32_e64 s[16:17], v19, v18
	global_load_dword v22, v[2:3], off
	v_xor_b32_e32 v20, 16, v16
	v_cndmask_b32_e64 v2, v16, v19, s[16:17]
	v_lshlrev_b32_e32 v19, 2, v2
	v_cmp_lt_i32_e64 s[16:17], v20, v18
	v_xor_b32_e32 v21, 8, v16
	v_xor_b32_e32 v23, 4, v16
	;; [unrolled: 1-line block ×3, first 2 shown]
	s_mov_b32 s41, 0x3fb8aa3b
	s_mov_b32 s23, 0xc2ce8ed0
	;; [unrolled: 1-line block ×3, first 2 shown]
	v_mov_b32_e32 v17, 0x7f800000
	s_waitcnt vmcnt(5)
	v_max3_f32 v2, v1, v30, v31
	s_waitcnt vmcnt(3)
	v_max3_f32 v2, v2, v32, v33
	;; [unrolled: 2-line block ×3, first 2 shown]
	ds_bpermute_b32 v26, v19, v25
	v_cndmask_b32_e64 v2, v16, v20, s[16:17]
	v_lshlrev_b32_e32 v20, 2, v2
	v_lshl_add_u64 v[2:3], s[18:19], 0, v[4:5]
	global_load_dword v27, v[2:3], off
	s_waitcnt lgkmcnt(0)
	v_max_f32_e32 v2, v26, v26
	v_max_f32_e32 v2, v25, v2
	ds_bpermute_b32 v3, v20, v2
	v_cmp_lt_i32_e64 s[16:17], v21, v18
	v_xor_b32_e32 v4, 1, v16
	s_waitcnt lgkmcnt(0)
	v_max_f32_e32 v3, v3, v3
	v_cndmask_b32_e64 v5, v16, v21, s[16:17]
	v_lshlrev_b32_e32 v21, 2, v5
	v_max_f32_e32 v5, v2, v3
	ds_bpermute_b32 v25, v21, v5
	v_cmp_lt_i32_e64 s[16:17], v23, v18
	s_nop 1
	v_cndmask_b32_e64 v2, v16, v23, s[16:17]
	v_lshlrev_b32_e32 v23, 2, v2
	v_lshl_add_u64 v[2:3], s[18:19], 0, v[6:7]
	global_load_dword v26, v[2:3], off
	s_waitcnt lgkmcnt(0)
	v_max_f32_e32 v2, v25, v25
	v_max_f32_e32 v2, v5, v2
	ds_bpermute_b32 v3, v23, v2
	v_cmp_lt_i32_e64 s[16:17], v24, v18
	v_lshl_add_u64 v[6:7], s[18:19], 0, v[12:13]
	s_waitcnt lgkmcnt(0)
	v_max_f32_e32 v3, v3, v3
	v_cndmask_b32_e64 v5, v16, v24, s[16:17]
	v_cmp_lt_i32_e64 s[16:17], v4, v18
	v_max_f32_e32 v18, v2, v3
	v_lshl_add_u64 v[2:3], s[18:19], 0, v[8:9]
	global_load_dword v9, v[2:3], off
	v_cndmask_b32_e64 v4, v16, v4, s[16:17]
	v_lshlrev_b32_e32 v16, 2, v5
	v_lshlrev_b32_e32 v25, 2, v4
	v_lshl_add_u64 v[4:5], s[18:19], 0, v[10:11]
	v_lshl_add_u64 v[2:3], s[18:19], 0, v[14:15]
	global_load_dword v11, v[4:5], off
	global_load_dword v12, v[6:7], off
	;; [unrolled: 1-line block ×3, first 2 shown]
	ds_bpermute_b32 v24, v16, v18
	s_waitcnt lgkmcnt(0)
	v_max_f32_e32 v8, v24, v24
	v_max_f32_e32 v8, v18, v8
	ds_bpermute_b32 v10, v25, v8
	s_waitcnt lgkmcnt(0)
	v_max_f32_e32 v2, v10, v10
	v_max_f32_e32 v2, v8, v2
	v_sub_f32_e32 v1, v1, v2
	v_mul_f32_e32 v4, 0x3fb8aa3b, v1
	v_fma_f32 v5, v1, s41, -v4
	v_rndne_f32_e32 v6, v4
	v_fmac_f32_e32 v5, 0x32a5705f, v1
	v_sub_f32_e32 v4, v4, v6
	v_add_f32_e32 v4, v4, v5
	v_cvt_i32_f32_e32 v6, v6
	v_exp_f32_e32 v4, v4
	v_sub_f32_e32 v3, v30, v2
	v_mul_f32_e32 v5, 0x3fb8aa3b, v3
	v_fma_f32 v7, v3, s41, -v5
	v_ldexp_f32 v4, v4, v6
	v_rndne_f32_e32 v6, v5
	v_fmac_f32_e32 v7, 0x32a5705f, v3
	v_sub_f32_e32 v5, v5, v6
	v_add_f32_e32 v5, v5, v7
	v_exp_f32_e32 v5, v5
	v_cvt_i32_f32_e32 v6, v6
	v_cmp_ngt_f32_e64 s[16:17], s23, v1
	s_nop 1
	v_cndmask_b32_e64 v4, 0, v4, s[16:17]
	v_cmp_nlt_f32_e64 s[16:17], s37, v1
	s_nop 1
	v_cndmask_b32_e64 v1, v17, v4, s[16:17]
	v_ldexp_f32 v4, v5, v6
	v_sub_f32_e32 v5, v31, v2
	v_mul_f32_e32 v6, 0x3fb8aa3b, v5
	v_fma_f32 v7, v5, s41, -v6
	v_rndne_f32_e32 v8, v6
	v_fmac_f32_e32 v7, 0x32a5705f, v5
	v_sub_f32_e32 v6, v6, v8
	v_add_f32_e32 v6, v6, v7
	v_exp_f32_e32 v6, v6
	v_cvt_i32_f32_e32 v7, v8
	v_cndmask_b32_e64 v1, 0, v1, s[14:15]
	v_cmp_ngt_f32_e64 s[14:15], s23, v3
	s_waitcnt vmcnt(6)
	v_mul_f32_e32 v1, v22, v1
	v_cndmask_b32_e64 v4, 0, v4, s[14:15]
	v_cmp_nlt_f32_e64 s[14:15], s37, v3
	s_nop 1
	v_cndmask_b32_e64 v3, v17, v4, s[14:15]
	v_ldexp_f32 v4, v6, v7
	v_sub_f32_e32 v6, v32, v2
	v_mul_f32_e32 v7, 0x3fb8aa3b, v6
	v_fma_f32 v8, v6, s41, -v7
	v_rndne_f32_e32 v10, v7
	v_fmac_f32_e32 v8, 0x32a5705f, v6
	v_sub_f32_e32 v7, v7, v10
	v_add_f32_e32 v7, v7, v8
	v_exp_f32_e32 v7, v7
	v_cvt_i32_f32_e32 v8, v10
	v_cndmask_b32_e64 v3, 0, v3, s[12:13]
	v_cmp_ngt_f32_e64 s[12:13], s23, v5
	s_waitcnt vmcnt(5)
	v_mul_f32_e32 v3, v27, v3
	v_cndmask_b32_e64 v4, 0, v4, s[12:13]
	v_cmp_nlt_f32_e64 s[12:13], s37, v5
	v_ldexp_f32 v5, v7, v8
	v_sub_f32_e32 v7, v33, v2
	v_mul_f32_e32 v8, 0x3fb8aa3b, v7
	v_fma_f32 v10, v7, s41, -v8
	v_rndne_f32_e32 v14, v8
	v_fmac_f32_e32 v10, 0x32a5705f, v7
	v_sub_f32_e32 v8, v8, v14
	v_add_f32_e32 v8, v8, v10
	v_cndmask_b32_e64 v4, v17, v4, s[12:13]
	v_exp_f32_e32 v8, v8
	v_cvt_i32_f32_e32 v10, v14
	v_cndmask_b32_e64 v4, 0, v4, s[10:11]
	v_cmp_ngt_f32_e64 s[10:11], s23, v6
	s_waitcnt vmcnt(4)
	v_mul_f32_e32 v4, v26, v4
	v_cndmask_b32_e64 v5, 0, v5, s[10:11]
	v_cmp_nlt_f32_e64 s[10:11], s37, v6
	v_ldexp_f32 v6, v8, v10
	v_sub_f32_e32 v8, v34, v2
	v_cndmask_b32_e64 v5, v17, v5, s[10:11]
	v_cndmask_b32_e64 v5, 0, v5, s[8:9]
	s_waitcnt vmcnt(3)
	v_mul_f32_e32 v5, v9, v5
	v_mul_f32_e32 v9, 0x3fb8aa3b, v8
	v_fma_f32 v10, v8, s41, -v9
	v_rndne_f32_e32 v14, v9
	v_fmac_f32_e32 v10, 0x32a5705f, v8
	v_sub_f32_e32 v9, v9, v14
	v_add_f32_e32 v9, v9, v10
	v_exp_f32_e32 v9, v9
	v_cvt_i32_f32_e32 v10, v14
	v_cmp_ngt_f32_e64 s[8:9], s23, v7
	v_sub_f32_e32 v2, v35, v2
	s_nop 0
	v_cndmask_b32_e64 v6, 0, v6, s[8:9]
	v_cmp_nlt_f32_e64 s[8:9], s37, v7
	v_ldexp_f32 v7, v9, v10
	v_mul_f32_e32 v9, 0x3fb8aa3b, v2
	v_cndmask_b32_e64 v6, v17, v6, s[8:9]
	v_cndmask_b32_e64 v6, 0, v6, s[6:7]
	s_waitcnt vmcnt(2)
	v_mul_f32_e32 v6, v11, v6
	v_fma_f32 v10, v2, s41, -v9
	v_rndne_f32_e32 v11, v9
	v_fmac_f32_e32 v10, 0x32a5705f, v2
	v_sub_f32_e32 v9, v9, v11
	v_add_f32_e32 v9, v9, v10
	v_exp_f32_e32 v9, v9
	v_cvt_i32_f32_e32 v10, v11
	v_cmp_ngt_f32_e64 s[6:7], s23, v8
	v_lshlrev_b32_e32 v11, 2, v0
	ds_write2st64_b32 v11, v1, v3 offset1:1
	v_cndmask_b32_e64 v7, 0, v7, s[6:7]
	v_cmp_nlt_f32_e64 s[6:7], s37, v8
	v_ldexp_f32 v8, v9, v10
	s_nop 0
	v_cndmask_b32_e64 v7, v17, v7, s[6:7]
	v_cndmask_b32_e64 v7, 0, v7, s[4:5]
	v_cmp_ngt_f32_e64 s[4:5], s23, v2
	s_waitcnt vmcnt(1)
	v_mul_f32_e32 v7, v12, v7
	v_cndmask_b32_e64 v8, 0, v8, s[4:5]
	v_cmp_nlt_f32_e64 s[4:5], s37, v2
	s_nop 1
	v_cndmask_b32_e64 v2, v17, v8, s[4:5]
	v_add_f32_e32 v8, v1, v3
	v_add_f32_e32 v8, v8, v4
	;; [unrolled: 1-line block ×4, first 2 shown]
	v_cndmask_b32_e32 v2, 0, v2, vcc
	v_add_f32_e32 v8, v8, v7
	s_waitcnt vmcnt(0)
	v_fmac_f32_e32 v8, v13, v2
	ds_bpermute_b32 v9, v19, v8
	v_mul_f32_e32 v10, v13, v2
	v_cmp_eq_u32_e32 vcc, 0, v0
	ds_write2st64_b32 v11, v4, v5 offset0:2 offset1:3
	ds_write2st64_b32 v11, v6, v7 offset0:4 offset1:5
	ds_write_b32 v11, v10 offset:1536
	s_waitcnt lgkmcnt(3)
	v_add_f32_e32 v8, v8, v9
	ds_bpermute_b32 v9, v20, v8
	s_waitcnt lgkmcnt(0)
	v_add_f32_e32 v8, v8, v9
	ds_bpermute_b32 v9, v21, v8
	;; [unrolled: 3-line block ×5, first 2 shown]
	s_and_saveexec_b64 s[4:5], vcc
	s_cbranch_execz .LBB78_8
; %bb.7:
	s_waitcnt lgkmcnt(0)
	v_add_f32_e32 v1, v1, v2
	v_mov_b32_e32 v2, 0
	ds_write_b32 v2, v1 offset:1792
.LBB78_8:
	s_or_b64 exec, exec, s[4:5]
	v_mov_b32_e32 v1, s22
.LBB78_9:
	s_or_b64 exec, exec, s[34:35]
	s_lshl_b32 s4, s36, 6
	s_mov_b32 s5, 0
	s_lshl_b64 s[4:5], s[4:5], 1
	s_add_u32 s4, s20, s4
	s_addc_u32 s5, s21, s5
	s_lshl_b32 s10, s33, 6
	s_sub_i32 s11, s10, 64
	s_waitcnt lgkmcnt(0)
	v_lshlrev_b32_e32 v2, 6, v1
	v_mov_b32_e32 v3, 0
	s_cmp_lt_i32 s40, 1
	v_lshl_add_u64 v[4:5], v[2:3], 1, s[4:5]
	s_cselect_b32 s4, s11, 0
	v_lshlrev_b32_e32 v2, 1, v0
	s_ashr_i32 s5, s4, 31
	v_lshl_add_u64 v[0:1], v[4:5], 0, v[2:3]
	s_cmpk_lt_i32 s40, 0x101
	v_lshl_add_u64 v[12:13], s[4:5], 1, v[0:1]
	s_cselect_b32 s4, s11, 64
	s_ashr_i32 s5, s4, 31
	s_cmpk_lt_i32 s40, 0x201
	v_lshl_add_u64 v[14:15], s[4:5], 1, v[0:1]
	s_cselect_b32 s4, s11, 0x80
	s_ashr_i32 s5, s4, 31
	;; [unrolled: 4-line block ×8, first 2 shown]
	s_cmpk_lt_i32 s40, 0x901
	global_load_ushort v4, v[12:13], off
	global_load_ushort v5, v[14:15], off
	;; [unrolled: 1-line block ×8, first 2 shown]
	v_lshl_add_u64 v[20:21], s[4:5], 1, v[0:1]
	s_cselect_b32 s4, s11, 0x240
	s_ashr_i32 s5, s4, 31
	s_cmpk_lt_i32 s40, 0xa01
	v_lshl_add_u64 v[22:23], s[4:5], 1, v[0:1]
	s_cselect_b32 s4, s11, 0x280
	s_ashr_i32 s5, s4, 31
	s_cmpk_lt_i32 s40, 0xb01
	;; [unrolled: 4-line block ×6, first 2 shown]
	v_lshl_add_u64 v[32:33], s[4:5], 1, v[0:1]
	s_cselect_b32 s4, s11, 0x3c0
	s_ashr_i32 s5, s4, 31
	v_lshl_add_u64 v[34:35], s[4:5], 1, v[0:1]
	global_load_ushort v12, v[20:21], off
	global_load_ushort v13, v[22:23], off
	;; [unrolled: 1-line block ×8, first 2 shown]
	s_cmpk_gt_i32 s40, 0x1000
	s_cselect_b64 s[8:9], -1, 0
	s_cmpk_lt_i32 s40, 0x1001
	v_mov_b32_e32 v36, 0
	v_mov_b32_e32 v37, 0
	;; [unrolled: 1-line block ×48, first 2 shown]
	s_waitcnt lgkmcnt(0)
	; wave barrier
	s_cbranch_scc1 .LBB78_12
; %bb.10:
	s_cmpk_lt_u32 s40, 0x1101
	s_cselect_b32 s4, s11, 0x440
	s_ashr_i32 s5, s4, 31
	s_cmpk_lt_u32 s40, 0x1201
	v_lshl_add_u64 v[28:29], s[4:5], 1, v[0:1]
	s_cselect_b32 s4, s11, 0x480
	s_ashr_i32 s5, s4, 31
	s_cmpk_lt_u32 s40, 0x1301
	v_lshl_add_u64 v[30:31], s[4:5], 1, v[0:1]
	;; [unrolled: 4-line block ×7, first 2 shown]
	s_cselect_b32 s4, s11, 0x600
	s_ashr_i32 s5, s4, 31
	s_cmpk_lt_u32 s40, 0x1901
	global_load_ushort v27, v[0:1], off offset:2048
	global_load_ushort v26, v[28:29], off
	global_load_ushort v25, v[30:31], off
	;; [unrolled: 1-line block ×7, first 2 shown]
	v_lshl_add_u64 v[36:37], s[4:5], 1, v[0:1]
	s_cselect_b32 s4, s11, 0x640
	s_ashr_i32 s5, s4, 31
	s_cmpk_lt_u32 s40, 0x1a01
	v_lshl_add_u64 v[38:39], s[4:5], 1, v[0:1]
	s_cselect_b32 s4, s11, 0x680
	s_ashr_i32 s5, s4, 31
	s_cmpk_lt_u32 s40, 0x1b01
	;; [unrolled: 4-line block ×6, first 2 shown]
	v_lshl_add_u64 v[48:49], s[4:5], 1, v[0:1]
	s_cselect_b32 s4, s11, 0x7c0
	s_ashr_i32 s5, s4, 31
	v_lshl_add_u64 v[50:51], s[4:5], 1, v[0:1]
	global_load_ushort v35, v[36:37], off
	global_load_ushort v34, v[38:39], off
	;; [unrolled: 1-line block ×8, first 2 shown]
	s_cmpk_lt_u32 s40, 0x2001
	v_mov_b32_e32 v67, 0
	v_mov_b32_e32 v66, 0
	;; [unrolled: 1-line block ×32, first 2 shown]
	s_cbranch_scc1 .LBB78_12
; %bb.11:
	s_cmpk_lt_u32 s40, 0x2101
	s_cselect_b32 s4, s11, 0x840
	s_ashr_i32 s5, s4, 31
	s_cmpk_lt_u32 s40, 0x2201
	v_lshl_add_u64 v[38:39], s[4:5], 1, v[0:1]
	s_cselect_b32 s4, s11, 0x880
	s_ashr_i32 s5, s4, 31
	s_cmpk_lt_u32 s40, 0x2301
	v_lshl_add_u64 v[40:41], s[4:5], 1, v[0:1]
	;; [unrolled: 4-line block ×7, first 2 shown]
	s_cselect_b32 s4, s11, 0xa00
	v_add_co_u32_e32 v36, vcc, 0x1000, v0
	s_ashr_i32 s5, s4, 31
	s_nop 0
	v_addc_co_u32_e32 v37, vcc, 0, v1, vcc
	s_cmpk_lt_u32 s40, 0x2901
	global_load_ushort v52, v[36:37], off
	global_load_ushort v53, v[38:39], off
	;; [unrolled: 1-line block ×8, first 2 shown]
	v_lshl_add_u64 v[36:37], s[4:5], 1, v[0:1]
	s_cselect_b32 s4, s11, 0xa40
	s_ashr_i32 s5, s4, 31
	s_cmpk_lt_u32 s40, 0x2a01
	v_lshl_add_u64 v[38:39], s[4:5], 1, v[0:1]
	s_cselect_b32 s4, s11, 0xa80
	s_ashr_i32 s5, s4, 31
	s_cmpk_lt_u32 s40, 0x2b01
	;; [unrolled: 4-line block ×8, first 2 shown]
	global_load_ushort v68, v[36:37], off
	global_load_ushort v69, v[38:39], off
	global_load_ushort v70, v[40:41], off
	global_load_ushort v71, v[42:43], off
	global_load_ushort v72, v[44:45], off
	global_load_ushort v73, v[46:47], off
	global_load_ushort v74, v[48:49], off
	global_load_ushort v75, v[50:51], off
	v_lshl_add_u64 v[36:37], s[4:5], 1, v[0:1]
	s_cselect_b32 s4, s11, 0xc40
	s_ashr_i32 s5, s4, 31
	s_cmpk_lt_u32 s40, 0x3201
	v_lshl_add_u64 v[38:39], s[4:5], 1, v[0:1]
	s_cselect_b32 s4, s11, 0xc80
	s_ashr_i32 s5, s4, 31
	s_cmpk_lt_u32 s40, 0x3301
	;; [unrolled: 4-line block ×8, first 2 shown]
	global_load_ushort v76, v[36:37], off
	global_load_ushort v77, v[38:39], off
	;; [unrolled: 1-line block ×8, first 2 shown]
	v_lshl_add_u64 v[36:37], s[4:5], 1, v[0:1]
	s_cselect_b32 s4, s11, 0xe40
	s_ashr_i32 s5, s4, 31
	s_cmpk_lt_u32 s40, 0x3a01
	v_lshl_add_u64 v[38:39], s[4:5], 1, v[0:1]
	s_cselect_b32 s4, s11, 0xe80
	s_ashr_i32 s5, s4, 31
	s_cmpk_lt_u32 s40, 0x3b01
	;; [unrolled: 4-line block ×6, first 2 shown]
	v_lshl_add_u64 v[48:49], s[4:5], 1, v[0:1]
	s_cselect_b32 s4, s11, 0xfc0
	s_ashr_i32 s5, s4, 31
	v_lshl_add_u64 v[50:51], s[4:5], 1, v[0:1]
	global_load_ushort v84, v[36:37], off
	global_load_ushort v85, v[38:39], off
	;; [unrolled: 1-line block ×8, first 2 shown]
	s_waitcnt vmcnt(31)
	v_cvt_f32_f16_e32 v67, v52
	s_waitcnt vmcnt(30)
	v_cvt_f32_f16_e32 v66, v53
	;; [unrolled: 2-line block ×32, first 2 shown]
.LBB78_12:
	ds_read_b128 v[68:71], v3
	s_load_dwordx2 s[4:5], s[0:1], 0x0
	s_load_dwordx2 s[6:7], s[0:1], 0x38
	ds_read_b128 v[72:75], v3 offset:16
	ds_read_b128 v[76:79], v3 offset:32
	;; [unrolled: 1-line block ×3, first 2 shown]
	s_and_b64 vcc, exec, s[8:9]
	s_waitcnt vmcnt(15) lgkmcnt(0)
	v_fma_mix_f32 v4, v68, v4, 0 op_sel_hi:[0,1,0]
	s_waitcnt vmcnt(14)
	v_fma_mix_f32 v4, v69, v5, v4 op_sel_hi:[0,1,0]
	s_waitcnt vmcnt(13)
	;; [unrolled: 2-line block ×15, first 2 shown]
	v_fma_mix_f32 v4, v83, v19, v4 op_sel_hi:[0,1,0]
	s_cbranch_vccz .LBB78_15
; %bb.13:
	ds_read_b128 v[6:9], v3 offset:64
	ds_read_b128 v[10:13], v3 offset:80
	ds_read_b128 v[14:17], v3 offset:96
	ds_read_b128 v[68:71], v3 offset:112
	s_cmpk_lt_u32 s40, 0x2001
	s_waitcnt lgkmcnt(3)
	v_fma_mix_f32 v3, v6, v27, v4 op_sel_hi:[0,1,0]
	v_fma_mix_f32 v3, v7, v26, v3 op_sel_hi:[0,1,0]
	v_fma_mix_f32 v3, v8, v25, v3 op_sel_hi:[0,1,0]
	v_fma_mix_f32 v3, v9, v24, v3 op_sel_hi:[0,1,0]
	s_waitcnt lgkmcnt(2)
	v_fma_mix_f32 v3, v10, v23, v3 op_sel_hi:[0,1,0]
	v_fma_mix_f32 v3, v11, v22, v3 op_sel_hi:[0,1,0]
	v_fma_mix_f32 v3, v12, v21, v3 op_sel_hi:[0,1,0]
	v_fma_mix_f32 v3, v13, v20, v3 op_sel_hi:[0,1,0]
	;; [unrolled: 5-line block ×4, first 2 shown]
	s_cbranch_scc1 .LBB78_15
; %bb.14:
	v_mov_b32_e32 v3, 0
	ds_read_b128 v[6:9], v3 offset:128
	ds_read_b128 v[10:13], v3 offset:144
	;; [unrolled: 1-line block ×4, first 2 shown]
	s_waitcnt lgkmcnt(3)
	v_fmac_f32_e32 v4, v6, v67
	v_fmac_f32_e32 v4, v7, v66
	v_fmac_f32_e32 v4, v8, v65
	v_fmac_f32_e32 v4, v9, v64
	s_waitcnt lgkmcnt(2)
	v_fmac_f32_e32 v4, v10, v63
	v_fmac_f32_e32 v4, v11, v62
	v_fmac_f32_e32 v4, v12, v61
	v_fmac_f32_e32 v4, v13, v60
	;; [unrolled: 5-line block ×3, first 2 shown]
	ds_read_b128 v[6:9], v3 offset:192
	ds_read_b128 v[10:13], v3 offset:208
	s_waitcnt lgkmcnt(2)
	v_fmac_f32_e32 v4, v18, v55
	v_fmac_f32_e32 v4, v19, v54
	;; [unrolled: 1-line block ×4, first 2 shown]
	s_waitcnt lgkmcnt(1)
	v_fmac_f32_e32 v4, v6, v51
	v_fmac_f32_e32 v4, v7, v50
	;; [unrolled: 1-line block ×4, first 2 shown]
	ds_read_b128 v[6:9], v3 offset:224
	s_waitcnt lgkmcnt(1)
	v_fmac_f32_e32 v4, v10, v47
	v_fmac_f32_e32 v4, v11, v46
	;; [unrolled: 1-line block ×4, first 2 shown]
	ds_read_b128 v[10:13], v3 offset:240
	s_waitcnt lgkmcnt(1)
	v_fmac_f32_e32 v4, v6, v43
	v_fmac_f32_e32 v4, v7, v42
	;; [unrolled: 1-line block ×4, first 2 shown]
	s_waitcnt lgkmcnt(0)
	v_fmac_f32_e32 v4, v10, v39
	v_fmac_f32_e32 v4, v11, v38
	;; [unrolled: 1-line block ×4, first 2 shown]
.LBB78_15:
	s_movk_i32 s0, 0x1fc0
	s_movk_i32 s1, 0x100
	s_mov_b32 s8, 64
	s_branch .LBB78_17
.LBB78_16:                              ;   in Loop: Header=BB78_17 Depth=1
	s_addk_i32 s0, 0x1000
	s_addk_i32 s1, 0x100
	s_add_i32 s8, s8, 64
	s_cmpk_eq_i32 s0, 0x7fc0
	s_cbranch_scc1 .LBB78_19
.LBB78_17:                              ; =>This Inner Loop Header: Depth=1
	s_cmp_le_i32 s33, s8
	s_cbranch_scc1 .LBB78_16
; %bb.18:                               ;   in Loop: Header=BB78_17 Depth=1
	s_add_i32 s9, s0, 0xfffff040
	s_cmp_lt_i32 s9, s10
	s_cselect_b32 s12, s9, s11
	s_ashr_i32 s13, s12, 31
	s_add_i32 s9, s0, 0xfffff080
	s_cmp_lt_i32 s9, s10
	v_lshl_add_u64 v[12:13], s[12:13], 1, v[0:1]
	s_cselect_b32 s12, s9, s11
	s_ashr_i32 s13, s12, 31
	s_add_i32 s9, s0, 0xfffff0c0
	s_cmp_lt_i32 s9, s10
	v_lshl_add_u64 v[14:15], s[12:13], 1, v[0:1]
	;; [unrolled: 5-line block ×8, first 2 shown]
	s_cselect_b32 s12, s9, s11
	s_ashr_i32 s13, s12, 31
	s_add_i32 s9, s0, 0xfffff280
	s_cmp_lt_i32 s9, s10
	global_load_ushort v3, v[12:13], off
	global_load_ushort v5, v[14:15], off
	global_load_ushort v6, v[16:17], off
	global_load_ushort v7, v[18:19], off
	global_load_ushort v8, v[20:21], off
	global_load_ushort v9, v[22:23], off
	global_load_ushort v10, v[24:25], off
	global_load_ushort v11, v[26:27], off
	v_lshl_add_u64 v[12:13], s[12:13], 1, v[0:1]
	s_cselect_b32 s12, s9, s11
	s_ashr_i32 s13, s12, 31
	s_add_i32 s9, s0, 0xfffff2c0
	s_cmp_lt_i32 s9, s10
	v_lshl_add_u64 v[14:15], s[12:13], 1, v[0:1]
	s_cselect_b32 s12, s9, s11
	s_ashr_i32 s13, s12, 31
	s_add_i32 s9, s0, 0xfffff300
	s_cmp_lt_i32 s9, s10
	v_lshl_add_u64 v[16:17], s[12:13], 1, v[0:1]
	s_cselect_b32 s12, s9, s11
	s_ashr_i32 s13, s12, 31
	s_add_i32 s9, s0, 0xfffff340
	s_cmp_lt_i32 s9, s10
	v_lshl_add_u64 v[18:19], s[12:13], 1, v[0:1]
	s_cselect_b32 s12, s9, s11
	s_ashr_i32 s13, s12, 31
	s_add_i32 s9, s0, 0xfffff380
	s_cmp_lt_i32 s9, s10
	v_lshl_add_u64 v[20:21], s[12:13], 1, v[0:1]
	s_cselect_b32 s12, s9, s11
	s_ashr_i32 s13, s12, 31
	s_add_i32 s9, s0, 0xfffff3c0
	s_cmp_lt_i32 s9, s10
	v_lshl_add_u64 v[22:23], s[12:13], 1, v[0:1]
	s_cselect_b32 s12, s9, s11
	s_ashr_i32 s13, s12, 31
	s_add_i32 s9, s0, 0xfffff400
	s_cmp_lt_i32 s9, s10
	v_lshl_add_u64 v[24:25], s[12:13], 1, v[0:1]
	s_cselect_b32 s12, s9, s11
	s_ashr_i32 s13, s12, 31
	s_add_i32 s9, s0, 0xfffff440
	s_cmp_lt_i32 s9, s10
	v_lshl_add_u64 v[26:27], s[12:13], 1, v[0:1]
	s_cselect_b32 s12, s9, s11
	s_ashr_i32 s13, s12, 31
	s_add_i32 s9, s0, 0xfffff480
	s_cmp_lt_i32 s9, s10
	global_load_ushort v28, v[12:13], off
	global_load_ushort v29, v[14:15], off
	global_load_ushort v30, v[16:17], off
	global_load_ushort v31, v[18:19], off
	global_load_ushort v32, v[20:21], off
	global_load_ushort v33, v[22:23], off
	global_load_ushort v34, v[24:25], off
	global_load_ushort v35, v[26:27], off
	v_lshl_add_u64 v[12:13], s[12:13], 1, v[0:1]
	s_cselect_b32 s12, s9, s11
	s_ashr_i32 s13, s12, 31
	s_add_i32 s9, s0, 0xfffff4c0
	s_cmp_lt_i32 s9, s10
	v_lshl_add_u64 v[14:15], s[12:13], 1, v[0:1]
	s_cselect_b32 s12, s9, s11
	s_ashr_i32 s13, s12, 31
	s_add_i32 s9, s0, 0xfffff500
	s_cmp_lt_i32 s9, s10
	v_lshl_add_u64 v[16:17], s[12:13], 1, v[0:1]
	s_cselect_b32 s12, s9, s11
	s_ashr_i32 s13, s12, 31
	s_add_i32 s9, s0, 0xfffff540
	s_cmp_lt_i32 s9, s10
	v_lshl_add_u64 v[18:19], s[12:13], 1, v[0:1]
	s_cselect_b32 s12, s9, s11
	s_ashr_i32 s13, s12, 31
	s_add_i32 s9, s0, 0xfffff580
	s_cmp_lt_i32 s9, s10
	v_lshl_add_u64 v[20:21], s[12:13], 1, v[0:1]
	s_cselect_b32 s12, s9, s11
	s_ashr_i32 s13, s12, 31
	s_add_i32 s9, s0, 0xfffff5c0
	s_cmp_lt_i32 s9, s10
	v_lshl_add_u64 v[22:23], s[12:13], 1, v[0:1]
	s_cselect_b32 s12, s9, s11
	s_ashr_i32 s13, s12, 31
	s_add_i32 s9, s0, 0xfffff600
	s_cmp_lt_i32 s9, s10
	v_lshl_add_u64 v[24:25], s[12:13], 1, v[0:1]
	s_cselect_b32 s12, s9, s11
	s_ashr_i32 s13, s12, 31
	s_add_i32 s9, s0, 0xfffff640
	s_cmp_lt_i32 s9, s10
	v_lshl_add_u64 v[26:27], s[12:13], 1, v[0:1]
	;; [unrolled: 48-line block ×6, first 2 shown]
	s_cselect_b32 s12, s9, s11
	s_ashr_i32 s13, s12, 31
	s_add_i32 s9, s0, 0xfffffe80
	s_cmp_lt_i32 s9, s10
	global_load_ushort v68, v[12:13], off
	global_load_ushort v69, v[14:15], off
	;; [unrolled: 1-line block ×8, first 2 shown]
	v_lshl_add_u64 v[12:13], s[12:13], 1, v[0:1]
	s_cselect_b32 s12, s9, s11
	s_ashr_i32 s13, s12, 31
	s_add_i32 s9, s0, 0xfffffec0
	s_cmp_lt_i32 s9, s10
	v_lshl_add_u64 v[14:15], s[12:13], 1, v[0:1]
	s_cselect_b32 s12, s9, s11
	s_ashr_i32 s13, s12, 31
	s_add_i32 s9, s0, 0xffffff00
	s_cmp_lt_i32 s9, s10
	;; [unrolled: 5-line block ×4, first 2 shown]
	v_lshl_add_u64 v[20:21], s[12:13], 1, v[0:1]
	s_cselect_b32 s12, s9, s11
	s_ashr_i32 s13, s12, 31
	s_sub_i32 s9, s0, 64
	s_cmp_lt_i32 s9, s10
	v_lshl_add_u64 v[22:23], s[12:13], 1, v[0:1]
	s_cselect_b32 s12, s9, s11
	s_ashr_i32 s13, s12, 31
	s_cmp_lt_i32 s0, s10
	v_lshl_add_u64 v[24:25], s[12:13], 1, v[0:1]
	s_cselect_b32 s12, s0, s11
	s_ashr_i32 s13, s12, 31
	v_lshl_add_u64 v[26:27], s[12:13], 1, v[0:1]
	global_load_ushort v76, v[12:13], off
	global_load_ushort v77, v[14:15], off
	;; [unrolled: 1-line block ×8, first 2 shown]
	v_mov_b32_e32 v84, s1
	ds_read_b128 v[12:15], v84
	ds_read_b128 v[16:19], v84 offset:16
	ds_read_b128 v[20:23], v84 offset:32
	;; [unrolled: 1-line block ×3, first 2 shown]
	s_waitcnt vmcnt(62) lgkmcnt(3)
	v_fma_mix_f32 v3, v12, v3, v4 op_sel_hi:[0,1,0]
	v_fma_mix_f32 v3, v13, v5, v3 op_sel_hi:[0,1,0]
	s_waitcnt vmcnt(61)
	v_fma_mix_f32 v3, v14, v6, v3 op_sel_hi:[0,1,0]
	s_waitcnt vmcnt(60)
	v_fma_mix_f32 v3, v15, v7, v3 op_sel_hi:[0,1,0]
	s_waitcnt vmcnt(59) lgkmcnt(2)
	v_fma_mix_f32 v3, v16, v8, v3 op_sel_hi:[0,1,0]
	s_waitcnt vmcnt(58)
	v_fma_mix_f32 v3, v17, v9, v3 op_sel_hi:[0,1,0]
	s_waitcnt vmcnt(57)
	;; [unrolled: 2-line block ×3, first 2 shown]
	v_fma_mix_f32 v3, v19, v11, v3 op_sel_hi:[0,1,0]
	s_waitcnt vmcnt(55) lgkmcnt(1)
	v_fma_mix_f32 v3, v20, v28, v3 op_sel_hi:[0,1,0]
	s_waitcnt vmcnt(54)
	v_fma_mix_f32 v3, v21, v29, v3 op_sel_hi:[0,1,0]
	s_waitcnt vmcnt(53)
	;; [unrolled: 2-line block ×3, first 2 shown]
	v_fma_mix_f32 v3, v23, v31, v3 op_sel_hi:[0,1,0]
	ds_read_b128 v[4:7], v84 offset:64
	ds_read_b128 v[8:11], v84 offset:80
	s_waitcnt vmcnt(51) lgkmcnt(2)
	v_fma_mix_f32 v3, v24, v32, v3 op_sel_hi:[0,1,0]
	s_waitcnt vmcnt(50)
	v_fma_mix_f32 v3, v25, v33, v3 op_sel_hi:[0,1,0]
	s_waitcnt vmcnt(49)
	v_fma_mix_f32 v3, v26, v34, v3 op_sel_hi:[0,1,0]
	s_waitcnt vmcnt(48)
	v_fma_mix_f32 v3, v27, v35, v3 op_sel_hi:[0,1,0]
	s_waitcnt vmcnt(47) lgkmcnt(1)
	v_fma_mix_f32 v3, v4, v36, v3 op_sel_hi:[0,1,0]
	s_waitcnt vmcnt(46)
	v_fma_mix_f32 v3, v5, v37, v3 op_sel_hi:[0,1,0]
	s_waitcnt vmcnt(45)
	v_fma_mix_f32 v3, v6, v38, v3 op_sel_hi:[0,1,0]
	s_waitcnt vmcnt(44)
	v_fma_mix_f32 v3, v7, v39, v3 op_sel_hi:[0,1,0]
	ds_read_b128 v[4:7], v84 offset:96
	s_waitcnt vmcnt(43) lgkmcnt(1)
	v_fma_mix_f32 v3, v8, v40, v3 op_sel_hi:[0,1,0]
	s_waitcnt vmcnt(42)
	v_fma_mix_f32 v3, v9, v41, v3 op_sel_hi:[0,1,0]
	s_waitcnt vmcnt(41)
	v_fma_mix_f32 v3, v10, v42, v3 op_sel_hi:[0,1,0]
	s_waitcnt vmcnt(40)
	v_fma_mix_f32 v3, v11, v43, v3 op_sel_hi:[0,1,0]
	ds_read_b128 v[8:11], v84 offset:112
	;; [unrolled: 9-line block ×10, first 2 shown]
	s_waitcnt vmcnt(7) lgkmcnt(1)
	v_fma_mix_f32 v3, v4, v76, v3 op_sel_hi:[0,1,0]
	s_waitcnt vmcnt(6)
	v_fma_mix_f32 v3, v5, v77, v3 op_sel_hi:[0,1,0]
	s_waitcnt vmcnt(5)
	;; [unrolled: 2-line block ×3, first 2 shown]
	v_fma_mix_f32 v3, v7, v79, v3 op_sel_hi:[0,1,0]
	s_waitcnt vmcnt(3) lgkmcnt(0)
	v_fma_mix_f32 v3, v8, v80, v3 op_sel_hi:[0,1,0]
	s_waitcnt vmcnt(2)
	v_fma_mix_f32 v3, v9, v81, v3 op_sel_hi:[0,1,0]
	s_waitcnt vmcnt(1)
	;; [unrolled: 2-line block ×3, first 2 shown]
	v_fma_mix_f32 v4, v11, v83, v3 op_sel_hi:[0,1,0]
	s_branch .LBB78_16
.LBB78_19:
	v_mov_b32_e32 v0, 0
	ds_read_b32 v1, v0 offset:1792
	s_cmp_lg_u64 s[6:7], 0
	s_cbranch_scc0 .LBB78_24
; %bb.20:
	s_load_dword s6, s[6:7], 0x0
	s_waitcnt lgkmcnt(0)
	v_div_scale_f32 v0, s[0:1], s6, s6, 1.0
	v_rcp_f32_e32 v3, v0
	v_div_scale_f32 v5, vcc, 1.0, s6, 1.0
	v_fma_f32 v6, -v0, v3, 1.0
	v_fmac_f32_e32 v3, v6, v3
	v_mul_f32_e32 v6, v5, v3
	v_fma_f32 v7, -v0, v6, v5
	v_fmac_f32_e32 v6, v7, v3
	v_fma_f32 v0, -v0, v6, v5
	v_div_fmas_f32 v0, v0, v3, v6
	v_div_fixup_f32 v0, v0, s6, 1.0
	s_andn2_b64 vcc, exec, s[28:29]
	s_cbranch_vccnz .LBB78_22
.LBB78_21:
	s_add_u32 s0, s26, s30
	s_addc_u32 s1, s27, s31
	s_load_dword s24, s[0:1], 0x0
	s_mov_b32 s25, 0
.LBB78_22:
	s_waitcnt lgkmcnt(0)
	v_add_f32_e32 v1, 0x358637bd, v1
	v_div_scale_f32 v3, s[0:1], v1, v1, 1.0
	v_rcp_f32_e32 v5, v3
	v_div_scale_f32 v6, vcc, 1.0, v1, 1.0
	s_mul_i32 s0, s3, s25
	v_fma_f32 v7, -v3, v5, 1.0
	v_fmac_f32_e32 v5, v7, v5
	v_mul_f32_e32 v7, v6, v5
	v_fma_f32 v8, -v3, v7, v6
	s_mul_hi_u32 s1, s3, s24
	v_fmac_f32_e32 v7, v8, v5
	s_add_i32 s1, s1, s0
	s_mul_i32 s0, s3, s24
	v_fma_f32 v3, -v3, v7, v6
	s_lshl_b64 s[0:1], s[0:1], 7
	v_div_fmas_f32 v3, v3, v5, v7
	s_add_u32 s4, s4, s0
	s_mov_b32 s3, 0
	v_div_fixup_f32 v1, v3, v1, 1.0
	s_addc_u32 s5, s5, s1
	s_lshl_b64 s[0:1], s[2:3], 7
	v_mul_f32_e32 v1, v4, v1
	s_add_u32 s0, s4, s0
	s_addc_u32 s1, s5, s1
	v_fma_mixlo_f16 v0, v1, v0, 0
	global_store_short v2, v0, s[0:1]
	s_endpgm
.LBB78_23:
	s_mov_b64 s[6:7], 0
	s_branch .LBB78_2
.LBB78_24:
	v_mov_b32_e32 v0, 1.0
	s_andn2_b64 vcc, exec, s[28:29]
	s_cbranch_vccz .LBB78_21
	s_branch .LBB78_22
	.section	.rodata,"a",@progbits
	.p2align	6, 0x0
	.amdhsa_kernel _Z35paged_attention_ll4mi_reduce_kernelIDF16_DF16_Li64ELi64ELi256ELi7EEvPT0_PKfS3_PKT_PKiS8_iS3_
		.amdhsa_group_segment_fixed_size 1796
		.amdhsa_private_segment_fixed_size 0
		.amdhsa_kernarg_size 320
		.amdhsa_user_sgpr_count 2
		.amdhsa_user_sgpr_dispatch_ptr 0
		.amdhsa_user_sgpr_queue_ptr 0
		.amdhsa_user_sgpr_kernarg_segment_ptr 1
		.amdhsa_user_sgpr_dispatch_id 0
		.amdhsa_user_sgpr_kernarg_preload_length 0
		.amdhsa_user_sgpr_kernarg_preload_offset 0
		.amdhsa_user_sgpr_private_segment_size 0
		.amdhsa_uses_dynamic_stack 0
		.amdhsa_enable_private_segment 0
		.amdhsa_system_sgpr_workgroup_id_x 1
		.amdhsa_system_sgpr_workgroup_id_y 1
		.amdhsa_system_sgpr_workgroup_id_z 0
		.amdhsa_system_sgpr_workgroup_info 0
		.amdhsa_system_vgpr_workitem_id 0
		.amdhsa_next_free_vgpr 92
		.amdhsa_next_free_sgpr 44
		.amdhsa_accum_offset 92
		.amdhsa_reserve_vcc 1
		.amdhsa_float_round_mode_32 0
		.amdhsa_float_round_mode_16_64 0
		.amdhsa_float_denorm_mode_32 3
		.amdhsa_float_denorm_mode_16_64 3
		.amdhsa_dx10_clamp 1
		.amdhsa_ieee_mode 1
		.amdhsa_fp16_overflow 0
		.amdhsa_tg_split 0
		.amdhsa_exception_fp_ieee_invalid_op 0
		.amdhsa_exception_fp_denorm_src 0
		.amdhsa_exception_fp_ieee_div_zero 0
		.amdhsa_exception_fp_ieee_overflow 0
		.amdhsa_exception_fp_ieee_underflow 0
		.amdhsa_exception_fp_ieee_inexact 0
		.amdhsa_exception_int_div_zero 0
	.end_amdhsa_kernel
	.section	.text._Z35paged_attention_ll4mi_reduce_kernelIDF16_DF16_Li64ELi64ELi256ELi7EEvPT0_PKfS3_PKT_PKiS8_iS3_,"axG",@progbits,_Z35paged_attention_ll4mi_reduce_kernelIDF16_DF16_Li64ELi64ELi256ELi7EEvPT0_PKfS3_PKT_PKiS8_iS3_,comdat
.Lfunc_end78:
	.size	_Z35paged_attention_ll4mi_reduce_kernelIDF16_DF16_Li64ELi64ELi256ELi7EEvPT0_PKfS3_PKT_PKiS8_iS3_, .Lfunc_end78-_Z35paged_attention_ll4mi_reduce_kernelIDF16_DF16_Li64ELi64ELi256ELi7EEvPT0_PKfS3_PKT_PKiS8_iS3_
                                        ; -- End function
	.section	.AMDGPU.csdata,"",@progbits
; Kernel info:
; codeLenInByte = 8948
; NumSgprs: 50
; NumVgprs: 92
; NumAgprs: 0
; TotalNumVgprs: 92
; ScratchSize: 0
; MemoryBound: 0
; FloatMode: 240
; IeeeMode: 1
; LDSByteSize: 1796 bytes/workgroup (compile time only)
; SGPRBlocks: 6
; VGPRBlocks: 11
; NumSGPRsForWavesPerEU: 50
; NumVGPRsForWavesPerEU: 92
; AccumOffset: 92
; Occupancy: 5
; WaveLimiterHint : 1
; COMPUTE_PGM_RSRC2:SCRATCH_EN: 0
; COMPUTE_PGM_RSRC2:USER_SGPR: 2
; COMPUTE_PGM_RSRC2:TRAP_HANDLER: 0
; COMPUTE_PGM_RSRC2:TGID_X_EN: 1
; COMPUTE_PGM_RSRC2:TGID_Y_EN: 1
; COMPUTE_PGM_RSRC2:TGID_Z_EN: 0
; COMPUTE_PGM_RSRC2:TIDIG_COMP_CNT: 0
; COMPUTE_PGM_RSRC3_GFX90A:ACCUM_OFFSET: 22
; COMPUTE_PGM_RSRC3_GFX90A:TG_SPLIT: 0
	.section	.text._Z35paged_attention_ll4mi_reduce_kernelIDF16_DF16_Li64ELi64ELi256ELi8EEvPT0_PKfS3_PKT_PKiS8_iS3_,"axG",@progbits,_Z35paged_attention_ll4mi_reduce_kernelIDF16_DF16_Li64ELi64ELi256ELi8EEvPT0_PKfS3_PKT_PKiS8_iS3_,comdat
	.protected	_Z35paged_attention_ll4mi_reduce_kernelIDF16_DF16_Li64ELi64ELi256ELi8EEvPT0_PKfS3_PKT_PKiS8_iS3_ ; -- Begin function _Z35paged_attention_ll4mi_reduce_kernelIDF16_DF16_Li64ELi64ELi256ELi8EEvPT0_PKfS3_PKT_PKiS8_iS3_
	.globl	_Z35paged_attention_ll4mi_reduce_kernelIDF16_DF16_Li64ELi64ELi256ELi8EEvPT0_PKfS3_PKT_PKiS8_iS3_
	.p2align	8
	.type	_Z35paged_attention_ll4mi_reduce_kernelIDF16_DF16_Li64ELi64ELi256ELi8EEvPT0_PKfS3_PKT_PKiS8_iS3_,@function
_Z35paged_attention_ll4mi_reduce_kernelIDF16_DF16_Li64ELi64ELi256ELi8EEvPT0_PKfS3_PKT_PKiS8_iS3_: ; @_Z35paged_attention_ll4mi_reduce_kernelIDF16_DF16_Li64ELi64ELi256ELi8EEvPT0_PKfS3_PKT_PKiS8_iS3_
; %bb.0:
	s_load_dwordx2 s[30:31], s[0:1], 0x28
	s_mov_b32 s28, s3
	s_mov_b64 s[4:5], 0
	s_waitcnt lgkmcnt(0)
	s_cmp_lg_u64 s[30:31], 0
	s_cselect_b64 s[34:35], -1, 0
	s_and_b64 vcc, exec, s[34:35]
	s_cbranch_vccz .LBB79_23
; %bb.1:
	s_add_i32 s6, s28, 1
	s_mov_b32 s7, 0
	s_lshl_b64 s[8:9], s[6:7], 2
	s_add_u32 s8, s30, s8
	s_mov_b32 s29, s7
	s_addc_u32 s9, s31, s9
	s_lshl_b64 s[6:7], s[28:29], 2
	s_add_u32 s6, s30, s6
	s_addc_u32 s7, s31, s7
	s_load_dword s3, s[8:9], 0x0
	s_load_dword s10, s[6:7], 0x0
	s_waitcnt lgkmcnt(0)
	s_sub_i32 s3, s3, s10
	s_cmp_eq_u32 s3, 1
	s_cselect_b64 s[6:7], -1, 0
	s_andn2_b64 vcc, exec, s[4:5]
	s_cbranch_vccnz .LBB79_3
.LBB79_2:
	s_mov_b32 s29, 0
	s_mov_b64 s[6:7], -1
.LBB79_3:
	s_andn2_b64 vcc, exec, s[6:7]
	s_cbranch_vccz .LBB79_5
; %bb.4:
	s_endpgm
.LBB79_5:
	s_load_dwordx4 s[20:23], s[0:1], 0x18
	s_load_dword s8, s[0:1], 0x30
	s_lshl_b64 s[36:37], s[28:29], 2
	v_cmp_lt_u32_e32 vcc, 63, v0
	s_waitcnt lgkmcnt(0)
	s_add_u32 s4, s22, s36
	s_addc_u32 s5, s23, s37
	s_load_dword s44, s[4:5], 0x0
	s_load_dword s3, s[0:1], 0x40
	s_mul_i32 s22, s2, s8
	s_mul_i32 s6, s28, s8
	s_waitcnt lgkmcnt(0)
	s_add_i32 s7, s44, 0xff
	s_ashr_i32 s4, s7, 31
	s_lshr_b32 s4, s4, 24
	s_add_i32 s7, s7, s4
	s_and_saveexec_b64 s[4:5], vcc
	s_xor_b64 s[4:5], exec, s[4:5]
	s_or_saveexec_b64 s[38:39], s[4:5]
	s_ashr_i32 s33, s7, 8
	v_mov_b32_e32 v1, s22
	s_mul_i32 s40, s6, s3
	s_xor_b64 exec, exec, s[38:39]
	s_cbranch_execz .LBB79_9
; %bb.6:
	s_add_i32 s4, s33, -1
	v_or_b32_e32 v3, 64, v0
	v_mov_b32_e32 v1, s4
	v_cmp_gt_u32_e64 s[14:15], s33, v3
	s_load_dwordx4 s[24:27], s[0:1], 0x8
	s_mov_b32 s41, 0
	v_cndmask_b32_e64 v4, v1, v3, s[14:15]
	v_or_b32_e32 v3, 0x80, v0
	v_cmp_gt_u32_e64 s[12:13], s33, v3
	s_lshl_b64 s[42:43], s[40:41], 2
	s_mov_b32 s23, s41
	v_cndmask_b32_e64 v6, v1, v3, s[12:13]
	v_or_b32_e32 v3, 0xc0, v0
	v_cmp_gt_u32_e64 s[10:11], s33, v3
	v_cmp_gt_u32_e64 s[16:17], s33, v0
	s_waitcnt lgkmcnt(0)
	s_add_u32 s18, s26, s42
	v_cndmask_b32_e64 v8, v1, v3, s[10:11]
	v_or_b32_e32 v3, 0x100, v0
	v_cmp_gt_u32_e64 s[8:9], s33, v3
	v_cndmask_b32_e64 v2, v1, v0, s[16:17]
	s_addc_u32 s19, s27, s43
	v_cndmask_b32_e64 v10, v1, v3, s[8:9]
	v_or_b32_e32 v3, 0x140, v0
	v_cmp_gt_u32_e64 s[6:7], s33, v3
	s_lshl_b64 s[26:27], s[22:23], 2
	s_add_u32 s18, s18, s26
	v_cndmask_b32_e64 v12, v1, v3, s[6:7]
	v_or_b32_e32 v3, 0x180, v0
	v_cmp_gt_u32_e64 s[4:5], s33, v3
	s_addc_u32 s19, s19, s27
	v_ashrrev_i32_e32 v5, 31, v4
	v_cndmask_b32_e64 v14, v1, v3, s[4:5]
	v_or_b32_e32 v3, 0x1c0, v0
	v_cmp_gt_u32_e32 vcc, s33, v3
	v_ashrrev_i32_e32 v7, 31, v6
	v_ashrrev_i32_e32 v9, 31, v8
	v_cndmask_b32_e32 v16, v1, v3, vcc
	v_ashrrev_i32_e32 v3, 31, v2
	v_lshlrev_b64 v[2:3], 2, v[2:3]
	v_ashrrev_i32_e32 v11, 31, v10
	v_ashrrev_i32_e32 v13, 31, v12
	;; [unrolled: 1-line block ×4, first 2 shown]
	v_lshl_add_u64 v[18:19], s[18:19], 0, v[2:3]
	v_lshlrev_b64 v[4:5], 2, v[4:5]
	v_lshlrev_b64 v[6:7], 2, v[6:7]
	;; [unrolled: 1-line block ×7, first 2 shown]
	v_lshl_add_u64 v[20:21], s[18:19], 0, v[4:5]
	v_lshl_add_u64 v[22:23], s[18:19], 0, v[6:7]
	;; [unrolled: 1-line block ×7, first 2 shown]
	global_load_dword v1, v[18:19], off
	global_load_dword v34, v[20:21], off
	;; [unrolled: 1-line block ×8, first 2 shown]
	v_mbcnt_lo_u32_b32 v18, -1, 0
	v_mbcnt_hi_u32_b32 v18, -1, v18
	v_and_b32_e32 v19, 64, v18
	v_xor_b32_e32 v20, 32, v18
	v_add_u32_e32 v19, 64, v19
	v_cmp_lt_i32_e64 s[18:19], v20, v19
	v_xor_b32_e32 v21, 16, v18
	v_xor_b32_e32 v22, 8, v18
	v_cndmask_b32_e64 v20, v18, v20, s[18:19]
	s_add_u32 s18, s24, s42
	s_addc_u32 s19, s25, s43
	s_add_u32 s24, s18, s26
	s_addc_u32 s25, s19, s27
	v_lshl_add_u64 v[2:3], s[24:25], 0, v[2:3]
	global_load_dword v24, v[2:3], off
	v_lshlrev_b32_e32 v20, 2, v20
	v_cmp_lt_i32_e64 s[18:19], v21, v19
	v_xor_b32_e32 v23, 4, v18
	v_xor_b32_e32 v25, 2, v18
	v_cndmask_b32_e64 v21, v18, v21, s[18:19]
	v_lshlrev_b32_e32 v21, 2, v21
	v_cmp_lt_i32_e64 s[18:19], v22, v19
	s_mov_b32 s23, 0x3fb8aa3b
	s_waitcnt vmcnt(8)
	v_max_f32_e32 v3, v1, v1
	s_waitcnt vmcnt(7)
	v_max_f32_e32 v2, v34, v34
	v_max_f32_e32 v2, v3, v2
	s_waitcnt vmcnt(5)
	v_max3_f32 v2, v2, v35, v36
	s_waitcnt vmcnt(3)
	v_max3_f32 v2, v2, v37, v38
	;; [unrolled: 2-line block ×3, first 2 shown]
	ds_bpermute_b32 v3, v20, v2
	s_waitcnt lgkmcnt(0)
	v_max_f32_e32 v3, v3, v3
	v_max_f32_e32 v26, v2, v3
	ds_bpermute_b32 v27, v21, v26
	v_cndmask_b32_e64 v2, v18, v22, s[18:19]
	v_lshlrev_b32_e32 v22, 2, v2
	v_lshl_add_u64 v[2:3], s[24:25], 0, v[4:5]
	global_load_dword v28, v[2:3], off
	s_waitcnt lgkmcnt(0)
	v_max_f32_e32 v2, v27, v27
	v_max_f32_e32 v2, v26, v2
	ds_bpermute_b32 v3, v22, v2
	v_cmp_lt_i32_e64 s[18:19], v23, v19
	v_xor_b32_e32 v4, 1, v18
	s_waitcnt lgkmcnt(0)
	v_max_f32_e32 v3, v3, v3
	v_cndmask_b32_e64 v5, v18, v23, s[18:19]
	v_lshlrev_b32_e32 v23, 2, v5
	v_max_f32_e32 v5, v2, v3
	ds_bpermute_b32 v26, v23, v5
	v_cmp_lt_i32_e64 s[18:19], v25, v19
	s_nop 1
	v_cndmask_b32_e64 v2, v18, v25, s[18:19]
	v_lshlrev_b32_e32 v25, 2, v2
	v_lshl_add_u64 v[2:3], s[24:25], 0, v[6:7]
	global_load_dword v27, v[2:3], off
	s_waitcnt lgkmcnt(0)
	v_max_f32_e32 v2, v26, v26
	v_max_f32_e32 v5, v5, v2
	ds_bpermute_b32 v6, v25, v5
	v_cmp_lt_i32_e64 s[18:19], v4, v19
	s_nop 1
	v_cndmask_b32_e64 v2, v18, v4, s[18:19]
	s_waitcnt lgkmcnt(0)
	v_max_f32_e32 v4, v6, v6
	v_lshlrev_b32_e32 v18, 2, v2
	v_lshl_add_u64 v[2:3], s[24:25], 0, v[8:9]
	v_max_f32_e32 v19, v5, v4
	ds_bpermute_b32 v26, v18, v19
	global_load_dword v2, v[2:3], off
	v_lshl_add_u64 v[6:7], s[24:25], 0, v[12:13]
	v_lshl_add_u64 v[8:9], s[24:25], 0, v[14:15]
	;; [unrolled: 1-line block ×3, first 2 shown]
	s_waitcnt lgkmcnt(0)
	v_max_f32_e32 v12, v26, v26
	v_max_f32_e32 v12, v19, v12
	v_sub_f32_e32 v1, v1, v12
	v_mul_f32_e32 v3, 0x3fb8aa3b, v1
	v_fma_f32 v13, v1, s23, -v3
	v_rndne_f32_e32 v14, v3
	v_fmac_f32_e32 v13, 0x32a5705f, v1
	v_sub_f32_e32 v3, v3, v14
	v_lshl_add_u64 v[10:11], s[24:25], 0, v[16:17]
	v_add_f32_e32 v3, v3, v13
	v_cvt_i32_f32_e32 v13, v14
	global_load_dword v14, v[4:5], off
	global_load_dword v15, v[6:7], off
	;; [unrolled: 1-line block ×4, first 2 shown]
	v_sub_f32_e32 v5, v34, v12
	v_mul_f32_e32 v6, 0x3fb8aa3b, v5
	v_fma_f32 v7, v5, s23, -v6
	v_rndne_f32_e32 v8, v6
	v_exp_f32_e32 v3, v3
	v_fmac_f32_e32 v7, 0x32a5705f, v5
	v_sub_f32_e32 v6, v6, v8
	v_add_f32_e32 v6, v6, v7
	v_exp_f32_e32 v6, v6
	v_cvt_i32_f32_e32 v7, v8
	s_mov_b32 s24, 0xc2ce8ed0
	v_ldexp_f32 v3, v3, v13
	v_cmp_ngt_f32_e64 s[18:19], s24, v1
	s_mov_b32 s25, 0x42b17218
	v_mov_b32_e32 v4, 0x7f800000
	v_cndmask_b32_e64 v3, 0, v3, s[18:19]
	v_cmp_nlt_f32_e64 s[18:19], s25, v1
	s_nop 1
	v_cndmask_b32_e64 v1, v4, v3, s[18:19]
	v_ldexp_f32 v3, v6, v7
	v_sub_f32_e32 v6, v35, v12
	v_mul_f32_e32 v7, 0x3fb8aa3b, v6
	v_fma_f32 v8, v6, s23, -v7
	v_rndne_f32_e32 v9, v7
	v_fmac_f32_e32 v8, 0x32a5705f, v6
	v_sub_f32_e32 v7, v7, v9
	v_add_f32_e32 v7, v7, v8
	v_exp_f32_e32 v7, v7
	v_cvt_i32_f32_e32 v8, v9
	v_cndmask_b32_e64 v1, 0, v1, s[16:17]
	v_cmp_ngt_f32_e64 s[16:17], s24, v5
	s_waitcnt vmcnt(7)
	v_mul_f32_e32 v1, v24, v1
	v_cndmask_b32_e64 v3, 0, v3, s[16:17]
	v_cmp_nlt_f32_e64 s[16:17], s25, v5
	v_ldexp_f32 v5, v7, v8
	v_sub_f32_e32 v7, v36, v12
	v_mul_f32_e32 v8, 0x3fb8aa3b, v7
	v_fma_f32 v9, v7, s23, -v8
	v_rndne_f32_e32 v10, v8
	v_fmac_f32_e32 v9, 0x32a5705f, v7
	v_sub_f32_e32 v8, v8, v10
	v_add_f32_e32 v8, v8, v9
	v_exp_f32_e32 v8, v8
	v_cvt_i32_f32_e32 v9, v10
	v_cndmask_b32_e64 v3, v4, v3, s[16:17]
	v_cndmask_b32_e64 v3, 0, v3, s[14:15]
	v_cmp_ngt_f32_e64 s[14:15], s24, v6
	s_waitcnt vmcnt(6)
	v_mul_f32_e32 v3, v28, v3
	v_cndmask_b32_e64 v5, 0, v5, s[14:15]
	v_cmp_nlt_f32_e64 s[14:15], s25, v6
	v_ldexp_f32 v6, v8, v9
	v_sub_f32_e32 v8, v37, v12
	v_mul_f32_e32 v9, 0x3fb8aa3b, v8
	v_fma_f32 v10, v8, s23, -v9
	v_rndne_f32_e32 v11, v9
	v_fmac_f32_e32 v10, 0x32a5705f, v8
	v_sub_f32_e32 v9, v9, v11
	v_cndmask_b32_e64 v5, v4, v5, s[14:15]
	v_add_f32_e32 v9, v9, v10
	v_cndmask_b32_e64 v5, 0, v5, s[12:13]
	v_cmp_ngt_f32_e64 s[12:13], s24, v7
	v_exp_f32_e32 v9, v9
	v_cvt_i32_f32_e32 v10, v11
	v_cndmask_b32_e64 v6, 0, v6, s[12:13]
	v_cmp_nlt_f32_e64 s[12:13], s25, v7
	v_sub_f32_e32 v7, v38, v12
	s_waitcnt vmcnt(5)
	v_mul_f32_e32 v5, v27, v5
	v_cndmask_b32_e64 v6, v4, v6, s[12:13]
	v_cndmask_b32_e64 v6, 0, v6, s[10:11]
	s_waitcnt vmcnt(4)
	v_mul_f32_e32 v6, v2, v6
	v_ldexp_f32 v2, v9, v10
	v_mul_f32_e32 v9, 0x3fb8aa3b, v7
	v_fma_f32 v10, v7, s23, -v9
	v_rndne_f32_e32 v11, v9
	v_fmac_f32_e32 v10, 0x32a5705f, v7
	v_sub_f32_e32 v9, v9, v11
	v_add_f32_e32 v9, v9, v10
	v_cmp_ngt_f32_e64 s[10:11], s24, v8
	v_exp_f32_e32 v9, v9
	v_cvt_i32_f32_e32 v10, v11
	v_cndmask_b32_e64 v2, 0, v2, s[10:11]
	v_cmp_nlt_f32_e64 s[10:11], s25, v8
	s_nop 1
	v_cndmask_b32_e64 v2, v4, v2, s[10:11]
	v_cndmask_b32_e64 v2, 0, v2, s[8:9]
	s_waitcnt vmcnt(3)
	v_mul_f32_e32 v8, v14, v2
	v_ldexp_f32 v2, v9, v10
	v_sub_f32_e32 v9, v39, v12
	v_mul_f32_e32 v10, 0x3fb8aa3b, v9
	v_fma_f32 v11, v9, s23, -v10
	v_rndne_f32_e32 v13, v10
	v_fmac_f32_e32 v11, 0x32a5705f, v9
	v_sub_f32_e32 v10, v10, v13
	v_add_f32_e32 v10, v10, v11
	v_cmp_ngt_f32_e64 s[8:9], s24, v7
	v_exp_f32_e32 v10, v10
	v_cvt_i32_f32_e32 v11, v13
	v_cndmask_b32_e64 v2, 0, v2, s[8:9]
	v_cmp_nlt_f32_e64 s[8:9], s25, v7
	s_nop 1
	v_cndmask_b32_e64 v2, v4, v2, s[8:9]
	v_cndmask_b32_e64 v2, 0, v2, s[6:7]
	s_waitcnt vmcnt(2)
	v_mul_f32_e32 v7, v15, v2
	v_ldexp_f32 v2, v10, v11
	v_sub_f32_e32 v10, v40, v12
	v_mul_f32_e32 v11, 0x3fb8aa3b, v10
	v_fma_f32 v12, v10, s23, -v11
	v_rndne_f32_e32 v13, v11
	v_fmac_f32_e32 v12, 0x32a5705f, v10
	v_sub_f32_e32 v11, v11, v13
	v_add_f32_e32 v11, v11, v12
	v_exp_f32_e32 v11, v11
	v_cvt_i32_f32_e32 v12, v13
	v_cmp_ngt_f32_e64 s[6:7], s24, v9
	s_nop 1
	v_cndmask_b32_e64 v2, 0, v2, s[6:7]
	v_cmp_nlt_f32_e64 s[6:7], s25, v9
	v_ldexp_f32 v9, v11, v12
	v_lshlrev_b32_e32 v12, 2, v0
	v_cndmask_b32_e64 v2, v4, v2, s[6:7]
	v_cndmask_b32_e64 v2, 0, v2, s[4:5]
	v_cmp_ngt_f32_e64 s[4:5], s24, v10
	ds_write2st64_b32 v12, v1, v3 offset1:1
	s_waitcnt vmcnt(1)
	v_mul_f32_e32 v11, v16, v2
	v_cndmask_b32_e64 v9, 0, v9, s[4:5]
	v_cmp_nlt_f32_e64 s[4:5], s25, v10
	s_nop 1
	v_cndmask_b32_e64 v4, v4, v9, s[4:5]
	v_add_f32_e32 v9, v1, v3
	v_add_f32_e32 v9, v9, v5
	;; [unrolled: 1-line block ×5, first 2 shown]
	v_cndmask_b32_e32 v4, 0, v4, vcc
	v_fmac_f32_e32 v9, v16, v2
	s_waitcnt vmcnt(0)
	v_fmac_f32_e32 v9, v17, v4
	ds_bpermute_b32 v10, v20, v9
	v_cmp_eq_u32_e32 vcc, 0, v0
	v_mul_f32_e32 v4, v17, v4
	ds_write2st64_b32 v12, v5, v6 offset0:2 offset1:3
	ds_write2st64_b32 v12, v8, v7 offset0:4 offset1:5
	;; [unrolled: 1-line block ×3, first 2 shown]
	s_waitcnt lgkmcnt(3)
	v_add_f32_e32 v9, v9, v10
	ds_bpermute_b32 v10, v21, v9
	s_waitcnt lgkmcnt(0)
	v_add_f32_e32 v9, v9, v10
	ds_bpermute_b32 v10, v22, v9
	;; [unrolled: 3-line block ×5, first 2 shown]
	s_and_saveexec_b64 s[4:5], vcc
	s_cbranch_execz .LBB79_8
; %bb.7:
	s_waitcnt lgkmcnt(0)
	v_add_f32_e32 v1, v1, v2
	v_mov_b32_e32 v2, 0
	ds_write_b32 v2, v1 offset:2048
.LBB79_8:
	s_or_b64 exec, exec, s[4:5]
	v_mov_b32_e32 v1, s22
.LBB79_9:
	s_or_b64 exec, exec, s[38:39]
	s_lshl_b32 s4, s40, 6
	s_mov_b32 s5, 0
	s_lshl_b64 s[4:5], s[4:5], 1
	s_add_u32 s4, s20, s4
	s_addc_u32 s5, s21, s5
	s_lshl_b32 s10, s33, 6
	s_sub_i32 s11, s10, 64
	s_waitcnt lgkmcnt(0)
	v_lshlrev_b32_e32 v2, 6, v1
	v_mov_b32_e32 v3, 0
	s_cmp_lt_i32 s44, 1
	v_lshl_add_u64 v[4:5], v[2:3], 1, s[4:5]
	s_cselect_b32 s4, s11, 0
	v_lshlrev_b32_e32 v2, 1, v0
	s_ashr_i32 s5, s4, 31
	v_lshl_add_u64 v[0:1], v[4:5], 0, v[2:3]
	s_cmpk_lt_i32 s44, 0x101
	v_lshl_add_u64 v[12:13], s[4:5], 1, v[0:1]
	s_cselect_b32 s4, s11, 64
	s_ashr_i32 s5, s4, 31
	s_cmpk_lt_i32 s44, 0x201
	v_lshl_add_u64 v[14:15], s[4:5], 1, v[0:1]
	s_cselect_b32 s4, s11, 0x80
	s_ashr_i32 s5, s4, 31
	;; [unrolled: 4-line block ×8, first 2 shown]
	s_cmpk_lt_i32 s44, 0x901
	global_load_ushort v4, v[12:13], off
	global_load_ushort v5, v[14:15], off
	;; [unrolled: 1-line block ×8, first 2 shown]
	v_lshl_add_u64 v[20:21], s[4:5], 1, v[0:1]
	s_cselect_b32 s4, s11, 0x240
	s_ashr_i32 s5, s4, 31
	s_cmpk_lt_i32 s44, 0xa01
	v_lshl_add_u64 v[22:23], s[4:5], 1, v[0:1]
	s_cselect_b32 s4, s11, 0x280
	s_ashr_i32 s5, s4, 31
	s_cmpk_lt_i32 s44, 0xb01
	;; [unrolled: 4-line block ×6, first 2 shown]
	v_lshl_add_u64 v[32:33], s[4:5], 1, v[0:1]
	s_cselect_b32 s4, s11, 0x3c0
	s_ashr_i32 s5, s4, 31
	v_lshl_add_u64 v[34:35], s[4:5], 1, v[0:1]
	global_load_ushort v12, v[20:21], off
	global_load_ushort v13, v[22:23], off
	;; [unrolled: 1-line block ×8, first 2 shown]
	s_cmpk_gt_i32 s44, 0x1000
	s_cselect_b64 s[8:9], -1, 0
	s_cmpk_lt_i32 s44, 0x1001
	v_mov_b32_e32 v36, 0
	v_mov_b32_e32 v37, 0
	;; [unrolled: 1-line block ×48, first 2 shown]
	s_waitcnt lgkmcnt(0)
	; wave barrier
	s_cbranch_scc1 .LBB79_12
; %bb.10:
	s_cmpk_lt_u32 s44, 0x1101
	s_cselect_b32 s4, s11, 0x440
	s_ashr_i32 s5, s4, 31
	s_cmpk_lt_u32 s44, 0x1201
	v_lshl_add_u64 v[28:29], s[4:5], 1, v[0:1]
	s_cselect_b32 s4, s11, 0x480
	s_ashr_i32 s5, s4, 31
	s_cmpk_lt_u32 s44, 0x1301
	v_lshl_add_u64 v[30:31], s[4:5], 1, v[0:1]
	;; [unrolled: 4-line block ×7, first 2 shown]
	s_cselect_b32 s4, s11, 0x600
	s_ashr_i32 s5, s4, 31
	s_cmpk_lt_u32 s44, 0x1901
	global_load_ushort v27, v[0:1], off offset:2048
	global_load_ushort v26, v[28:29], off
	global_load_ushort v25, v[30:31], off
	;; [unrolled: 1-line block ×7, first 2 shown]
	v_lshl_add_u64 v[36:37], s[4:5], 1, v[0:1]
	s_cselect_b32 s4, s11, 0x640
	s_ashr_i32 s5, s4, 31
	s_cmpk_lt_u32 s44, 0x1a01
	v_lshl_add_u64 v[38:39], s[4:5], 1, v[0:1]
	s_cselect_b32 s4, s11, 0x680
	s_ashr_i32 s5, s4, 31
	s_cmpk_lt_u32 s44, 0x1b01
	;; [unrolled: 4-line block ×6, first 2 shown]
	v_lshl_add_u64 v[48:49], s[4:5], 1, v[0:1]
	s_cselect_b32 s4, s11, 0x7c0
	s_ashr_i32 s5, s4, 31
	v_lshl_add_u64 v[50:51], s[4:5], 1, v[0:1]
	global_load_ushort v35, v[36:37], off
	global_load_ushort v34, v[38:39], off
	;; [unrolled: 1-line block ×8, first 2 shown]
	s_cmpk_lt_u32 s44, 0x2001
	v_mov_b32_e32 v67, 0
	v_mov_b32_e32 v66, 0
	;; [unrolled: 1-line block ×32, first 2 shown]
	s_cbranch_scc1 .LBB79_12
; %bb.11:
	s_cmpk_lt_u32 s44, 0x2101
	s_cselect_b32 s4, s11, 0x840
	s_ashr_i32 s5, s4, 31
	s_cmpk_lt_u32 s44, 0x2201
	v_lshl_add_u64 v[38:39], s[4:5], 1, v[0:1]
	s_cselect_b32 s4, s11, 0x880
	s_ashr_i32 s5, s4, 31
	s_cmpk_lt_u32 s44, 0x2301
	v_lshl_add_u64 v[40:41], s[4:5], 1, v[0:1]
	;; [unrolled: 4-line block ×7, first 2 shown]
	s_cselect_b32 s4, s11, 0xa00
	v_add_co_u32_e32 v36, vcc, 0x1000, v0
	s_ashr_i32 s5, s4, 31
	s_nop 0
	v_addc_co_u32_e32 v37, vcc, 0, v1, vcc
	s_cmpk_lt_u32 s44, 0x2901
	global_load_ushort v52, v[36:37], off
	global_load_ushort v53, v[38:39], off
	;; [unrolled: 1-line block ×8, first 2 shown]
	v_lshl_add_u64 v[36:37], s[4:5], 1, v[0:1]
	s_cselect_b32 s4, s11, 0xa40
	s_ashr_i32 s5, s4, 31
	s_cmpk_lt_u32 s44, 0x2a01
	v_lshl_add_u64 v[38:39], s[4:5], 1, v[0:1]
	s_cselect_b32 s4, s11, 0xa80
	s_ashr_i32 s5, s4, 31
	s_cmpk_lt_u32 s44, 0x2b01
	;; [unrolled: 4-line block ×8, first 2 shown]
	global_load_ushort v68, v[36:37], off
	global_load_ushort v69, v[38:39], off
	;; [unrolled: 1-line block ×8, first 2 shown]
	v_lshl_add_u64 v[36:37], s[4:5], 1, v[0:1]
	s_cselect_b32 s4, s11, 0xc40
	s_ashr_i32 s5, s4, 31
	s_cmpk_lt_u32 s44, 0x3201
	v_lshl_add_u64 v[38:39], s[4:5], 1, v[0:1]
	s_cselect_b32 s4, s11, 0xc80
	s_ashr_i32 s5, s4, 31
	s_cmpk_lt_u32 s44, 0x3301
	;; [unrolled: 4-line block ×8, first 2 shown]
	global_load_ushort v76, v[36:37], off
	global_load_ushort v77, v[38:39], off
	;; [unrolled: 1-line block ×8, first 2 shown]
	v_lshl_add_u64 v[36:37], s[4:5], 1, v[0:1]
	s_cselect_b32 s4, s11, 0xe40
	s_ashr_i32 s5, s4, 31
	s_cmpk_lt_u32 s44, 0x3a01
	v_lshl_add_u64 v[38:39], s[4:5], 1, v[0:1]
	s_cselect_b32 s4, s11, 0xe80
	s_ashr_i32 s5, s4, 31
	s_cmpk_lt_u32 s44, 0x3b01
	;; [unrolled: 4-line block ×6, first 2 shown]
	v_lshl_add_u64 v[48:49], s[4:5], 1, v[0:1]
	s_cselect_b32 s4, s11, 0xfc0
	s_ashr_i32 s5, s4, 31
	v_lshl_add_u64 v[50:51], s[4:5], 1, v[0:1]
	global_load_ushort v84, v[36:37], off
	global_load_ushort v85, v[38:39], off
	;; [unrolled: 1-line block ×8, first 2 shown]
	s_waitcnt vmcnt(31)
	v_cvt_f32_f16_e32 v67, v52
	s_waitcnt vmcnt(30)
	v_cvt_f32_f16_e32 v66, v53
	;; [unrolled: 2-line block ×32, first 2 shown]
.LBB79_12:
	ds_read_b128 v[68:71], v3
	s_load_dwordx2 s[4:5], s[0:1], 0x0
	s_load_dwordx2 s[6:7], s[0:1], 0x38
	ds_read_b128 v[72:75], v3 offset:16
	ds_read_b128 v[76:79], v3 offset:32
	;; [unrolled: 1-line block ×3, first 2 shown]
	s_and_b64 vcc, exec, s[8:9]
	s_waitcnt vmcnt(15) lgkmcnt(0)
	v_fma_mix_f32 v4, v68, v4, 0 op_sel_hi:[0,1,0]
	s_waitcnt vmcnt(14)
	v_fma_mix_f32 v4, v69, v5, v4 op_sel_hi:[0,1,0]
	s_waitcnt vmcnt(13)
	;; [unrolled: 2-line block ×15, first 2 shown]
	v_fma_mix_f32 v4, v83, v19, v4 op_sel_hi:[0,1,0]
	s_cbranch_vccz .LBB79_15
; %bb.13:
	ds_read_b128 v[6:9], v3 offset:64
	ds_read_b128 v[10:13], v3 offset:80
	;; [unrolled: 1-line block ×4, first 2 shown]
	s_cmpk_lt_u32 s44, 0x2001
	s_waitcnt lgkmcnt(3)
	v_fma_mix_f32 v3, v6, v27, v4 op_sel_hi:[0,1,0]
	v_fma_mix_f32 v3, v7, v26, v3 op_sel_hi:[0,1,0]
	v_fma_mix_f32 v3, v8, v25, v3 op_sel_hi:[0,1,0]
	v_fma_mix_f32 v3, v9, v24, v3 op_sel_hi:[0,1,0]
	s_waitcnt lgkmcnt(2)
	v_fma_mix_f32 v3, v10, v23, v3 op_sel_hi:[0,1,0]
	v_fma_mix_f32 v3, v11, v22, v3 op_sel_hi:[0,1,0]
	v_fma_mix_f32 v3, v12, v21, v3 op_sel_hi:[0,1,0]
	v_fma_mix_f32 v3, v13, v20, v3 op_sel_hi:[0,1,0]
	;; [unrolled: 5-line block ×4, first 2 shown]
	s_cbranch_scc1 .LBB79_15
; %bb.14:
	v_mov_b32_e32 v3, 0
	ds_read_b128 v[6:9], v3 offset:128
	ds_read_b128 v[10:13], v3 offset:144
	;; [unrolled: 1-line block ×4, first 2 shown]
	s_waitcnt lgkmcnt(3)
	v_fmac_f32_e32 v4, v6, v67
	v_fmac_f32_e32 v4, v7, v66
	v_fmac_f32_e32 v4, v8, v65
	v_fmac_f32_e32 v4, v9, v64
	s_waitcnt lgkmcnt(2)
	v_fmac_f32_e32 v4, v10, v63
	v_fmac_f32_e32 v4, v11, v62
	v_fmac_f32_e32 v4, v12, v61
	v_fmac_f32_e32 v4, v13, v60
	;; [unrolled: 5-line block ×3, first 2 shown]
	ds_read_b128 v[6:9], v3 offset:192
	ds_read_b128 v[10:13], v3 offset:208
	s_waitcnt lgkmcnt(2)
	v_fmac_f32_e32 v4, v18, v55
	v_fmac_f32_e32 v4, v19, v54
	;; [unrolled: 1-line block ×4, first 2 shown]
	s_waitcnt lgkmcnt(1)
	v_fmac_f32_e32 v4, v6, v51
	v_fmac_f32_e32 v4, v7, v50
	;; [unrolled: 1-line block ×4, first 2 shown]
	ds_read_b128 v[6:9], v3 offset:224
	s_waitcnt lgkmcnt(1)
	v_fmac_f32_e32 v4, v10, v47
	v_fmac_f32_e32 v4, v11, v46
	;; [unrolled: 1-line block ×4, first 2 shown]
	ds_read_b128 v[10:13], v3 offset:240
	s_waitcnt lgkmcnt(1)
	v_fmac_f32_e32 v4, v6, v43
	v_fmac_f32_e32 v4, v7, v42
	;; [unrolled: 1-line block ×4, first 2 shown]
	s_waitcnt lgkmcnt(0)
	v_fmac_f32_e32 v4, v10, v39
	v_fmac_f32_e32 v4, v11, v38
	;; [unrolled: 1-line block ×4, first 2 shown]
.LBB79_15:
	s_movk_i32 s0, 0x1fc0
	s_movk_i32 s1, 0x100
	s_mov_b32 s8, 64
	s_branch .LBB79_17
.LBB79_16:                              ;   in Loop: Header=BB79_17 Depth=1
	s_addk_i32 s0, 0x1000
	s_addk_i32 s1, 0x100
	s_add_i32 s8, s8, 64
	s_cmpk_eq_u32 s0, 0x8fc0
	s_cbranch_scc1 .LBB79_19
.LBB79_17:                              ; =>This Inner Loop Header: Depth=1
	s_cmp_le_i32 s33, s8
	s_cbranch_scc1 .LBB79_16
; %bb.18:                               ;   in Loop: Header=BB79_17 Depth=1
	s_add_i32 s9, s0, 0xfffff040
	s_cmp_lt_i32 s9, s10
	s_cselect_b32 s12, s9, s11
	s_ashr_i32 s13, s12, 31
	s_add_i32 s9, s0, 0xfffff080
	s_cmp_lt_i32 s9, s10
	v_lshl_add_u64 v[12:13], s[12:13], 1, v[0:1]
	s_cselect_b32 s12, s9, s11
	s_ashr_i32 s13, s12, 31
	s_add_i32 s9, s0, 0xfffff0c0
	s_cmp_lt_i32 s9, s10
	v_lshl_add_u64 v[14:15], s[12:13], 1, v[0:1]
	;; [unrolled: 5-line block ×8, first 2 shown]
	s_cselect_b32 s12, s9, s11
	s_ashr_i32 s13, s12, 31
	s_add_i32 s9, s0, 0xfffff280
	s_cmp_lt_i32 s9, s10
	global_load_ushort v3, v[12:13], off
	global_load_ushort v5, v[14:15], off
	global_load_ushort v6, v[16:17], off
	global_load_ushort v7, v[18:19], off
	global_load_ushort v8, v[20:21], off
	global_load_ushort v9, v[22:23], off
	global_load_ushort v10, v[24:25], off
	global_load_ushort v11, v[26:27], off
	v_lshl_add_u64 v[12:13], s[12:13], 1, v[0:1]
	s_cselect_b32 s12, s9, s11
	s_ashr_i32 s13, s12, 31
	s_add_i32 s9, s0, 0xfffff2c0
	s_cmp_lt_i32 s9, s10
	v_lshl_add_u64 v[14:15], s[12:13], 1, v[0:1]
	s_cselect_b32 s12, s9, s11
	s_ashr_i32 s13, s12, 31
	s_add_i32 s9, s0, 0xfffff300
	s_cmp_lt_i32 s9, s10
	v_lshl_add_u64 v[16:17], s[12:13], 1, v[0:1]
	s_cselect_b32 s12, s9, s11
	s_ashr_i32 s13, s12, 31
	s_add_i32 s9, s0, 0xfffff340
	s_cmp_lt_i32 s9, s10
	v_lshl_add_u64 v[18:19], s[12:13], 1, v[0:1]
	s_cselect_b32 s12, s9, s11
	s_ashr_i32 s13, s12, 31
	s_add_i32 s9, s0, 0xfffff380
	s_cmp_lt_i32 s9, s10
	v_lshl_add_u64 v[20:21], s[12:13], 1, v[0:1]
	s_cselect_b32 s12, s9, s11
	s_ashr_i32 s13, s12, 31
	s_add_i32 s9, s0, 0xfffff3c0
	s_cmp_lt_i32 s9, s10
	v_lshl_add_u64 v[22:23], s[12:13], 1, v[0:1]
	s_cselect_b32 s12, s9, s11
	s_ashr_i32 s13, s12, 31
	s_add_i32 s9, s0, 0xfffff400
	s_cmp_lt_i32 s9, s10
	v_lshl_add_u64 v[24:25], s[12:13], 1, v[0:1]
	s_cselect_b32 s12, s9, s11
	s_ashr_i32 s13, s12, 31
	s_add_i32 s9, s0, 0xfffff440
	s_cmp_lt_i32 s9, s10
	v_lshl_add_u64 v[26:27], s[12:13], 1, v[0:1]
	s_cselect_b32 s12, s9, s11
	s_ashr_i32 s13, s12, 31
	s_add_i32 s9, s0, 0xfffff480
	s_cmp_lt_i32 s9, s10
	global_load_ushort v28, v[12:13], off
	global_load_ushort v29, v[14:15], off
	global_load_ushort v30, v[16:17], off
	global_load_ushort v31, v[18:19], off
	global_load_ushort v32, v[20:21], off
	global_load_ushort v33, v[22:23], off
	global_load_ushort v34, v[24:25], off
	global_load_ushort v35, v[26:27], off
	v_lshl_add_u64 v[12:13], s[12:13], 1, v[0:1]
	s_cselect_b32 s12, s9, s11
	s_ashr_i32 s13, s12, 31
	s_add_i32 s9, s0, 0xfffff4c0
	s_cmp_lt_i32 s9, s10
	v_lshl_add_u64 v[14:15], s[12:13], 1, v[0:1]
	s_cselect_b32 s12, s9, s11
	s_ashr_i32 s13, s12, 31
	s_add_i32 s9, s0, 0xfffff500
	s_cmp_lt_i32 s9, s10
	v_lshl_add_u64 v[16:17], s[12:13], 1, v[0:1]
	s_cselect_b32 s12, s9, s11
	s_ashr_i32 s13, s12, 31
	s_add_i32 s9, s0, 0xfffff540
	s_cmp_lt_i32 s9, s10
	v_lshl_add_u64 v[18:19], s[12:13], 1, v[0:1]
	s_cselect_b32 s12, s9, s11
	s_ashr_i32 s13, s12, 31
	s_add_i32 s9, s0, 0xfffff580
	s_cmp_lt_i32 s9, s10
	v_lshl_add_u64 v[20:21], s[12:13], 1, v[0:1]
	s_cselect_b32 s12, s9, s11
	s_ashr_i32 s13, s12, 31
	s_add_i32 s9, s0, 0xfffff5c0
	s_cmp_lt_i32 s9, s10
	v_lshl_add_u64 v[22:23], s[12:13], 1, v[0:1]
	s_cselect_b32 s12, s9, s11
	s_ashr_i32 s13, s12, 31
	s_add_i32 s9, s0, 0xfffff600
	s_cmp_lt_i32 s9, s10
	v_lshl_add_u64 v[24:25], s[12:13], 1, v[0:1]
	s_cselect_b32 s12, s9, s11
	s_ashr_i32 s13, s12, 31
	s_add_i32 s9, s0, 0xfffff640
	s_cmp_lt_i32 s9, s10
	v_lshl_add_u64 v[26:27], s[12:13], 1, v[0:1]
	;; [unrolled: 48-line block ×6, first 2 shown]
	s_cselect_b32 s12, s9, s11
	s_ashr_i32 s13, s12, 31
	s_add_i32 s9, s0, 0xfffffe80
	s_cmp_lt_i32 s9, s10
	global_load_ushort v68, v[12:13], off
	global_load_ushort v69, v[14:15], off
	;; [unrolled: 1-line block ×8, first 2 shown]
	v_lshl_add_u64 v[12:13], s[12:13], 1, v[0:1]
	s_cselect_b32 s12, s9, s11
	s_ashr_i32 s13, s12, 31
	s_add_i32 s9, s0, 0xfffffec0
	s_cmp_lt_i32 s9, s10
	v_lshl_add_u64 v[14:15], s[12:13], 1, v[0:1]
	s_cselect_b32 s12, s9, s11
	s_ashr_i32 s13, s12, 31
	s_add_i32 s9, s0, 0xffffff00
	s_cmp_lt_i32 s9, s10
	;; [unrolled: 5-line block ×4, first 2 shown]
	v_lshl_add_u64 v[20:21], s[12:13], 1, v[0:1]
	s_cselect_b32 s12, s9, s11
	s_ashr_i32 s13, s12, 31
	s_sub_i32 s9, s0, 64
	s_cmp_lt_i32 s9, s10
	v_lshl_add_u64 v[22:23], s[12:13], 1, v[0:1]
	s_cselect_b32 s12, s9, s11
	s_ashr_i32 s13, s12, 31
	s_cmp_lt_i32 s0, s10
	v_lshl_add_u64 v[24:25], s[12:13], 1, v[0:1]
	s_cselect_b32 s12, s0, s11
	s_ashr_i32 s13, s12, 31
	v_lshl_add_u64 v[26:27], s[12:13], 1, v[0:1]
	global_load_ushort v76, v[12:13], off
	global_load_ushort v77, v[14:15], off
	;; [unrolled: 1-line block ×8, first 2 shown]
	v_mov_b32_e32 v84, s1
	ds_read_b128 v[12:15], v84
	ds_read_b128 v[16:19], v84 offset:16
	ds_read_b128 v[20:23], v84 offset:32
	;; [unrolled: 1-line block ×3, first 2 shown]
	s_waitcnt vmcnt(62) lgkmcnt(3)
	v_fma_mix_f32 v3, v12, v3, v4 op_sel_hi:[0,1,0]
	v_fma_mix_f32 v3, v13, v5, v3 op_sel_hi:[0,1,0]
	s_waitcnt vmcnt(61)
	v_fma_mix_f32 v3, v14, v6, v3 op_sel_hi:[0,1,0]
	s_waitcnt vmcnt(60)
	v_fma_mix_f32 v3, v15, v7, v3 op_sel_hi:[0,1,0]
	s_waitcnt vmcnt(59) lgkmcnt(2)
	v_fma_mix_f32 v3, v16, v8, v3 op_sel_hi:[0,1,0]
	s_waitcnt vmcnt(58)
	v_fma_mix_f32 v3, v17, v9, v3 op_sel_hi:[0,1,0]
	s_waitcnt vmcnt(57)
	v_fma_mix_f32 v3, v18, v10, v3 op_sel_hi:[0,1,0]
	s_waitcnt vmcnt(56)
	v_fma_mix_f32 v3, v19, v11, v3 op_sel_hi:[0,1,0]
	s_waitcnt vmcnt(55) lgkmcnt(1)
	v_fma_mix_f32 v3, v20, v28, v3 op_sel_hi:[0,1,0]
	s_waitcnt vmcnt(54)
	v_fma_mix_f32 v3, v21, v29, v3 op_sel_hi:[0,1,0]
	s_waitcnt vmcnt(53)
	v_fma_mix_f32 v3, v22, v30, v3 op_sel_hi:[0,1,0]
	s_waitcnt vmcnt(52)
	v_fma_mix_f32 v3, v23, v31, v3 op_sel_hi:[0,1,0]
	ds_read_b128 v[4:7], v84 offset:64
	ds_read_b128 v[8:11], v84 offset:80
	s_waitcnt vmcnt(51) lgkmcnt(2)
	v_fma_mix_f32 v3, v24, v32, v3 op_sel_hi:[0,1,0]
	s_waitcnt vmcnt(50)
	v_fma_mix_f32 v3, v25, v33, v3 op_sel_hi:[0,1,0]
	s_waitcnt vmcnt(49)
	;; [unrolled: 2-line block ×3, first 2 shown]
	v_fma_mix_f32 v3, v27, v35, v3 op_sel_hi:[0,1,0]
	s_waitcnt vmcnt(47) lgkmcnt(1)
	v_fma_mix_f32 v3, v4, v36, v3 op_sel_hi:[0,1,0]
	s_waitcnt vmcnt(46)
	v_fma_mix_f32 v3, v5, v37, v3 op_sel_hi:[0,1,0]
	s_waitcnt vmcnt(45)
	v_fma_mix_f32 v3, v6, v38, v3 op_sel_hi:[0,1,0]
	s_waitcnt vmcnt(44)
	v_fma_mix_f32 v3, v7, v39, v3 op_sel_hi:[0,1,0]
	ds_read_b128 v[4:7], v84 offset:96
	s_waitcnt vmcnt(43) lgkmcnt(1)
	v_fma_mix_f32 v3, v8, v40, v3 op_sel_hi:[0,1,0]
	s_waitcnt vmcnt(42)
	v_fma_mix_f32 v3, v9, v41, v3 op_sel_hi:[0,1,0]
	s_waitcnt vmcnt(41)
	v_fma_mix_f32 v3, v10, v42, v3 op_sel_hi:[0,1,0]
	s_waitcnt vmcnt(40)
	v_fma_mix_f32 v3, v11, v43, v3 op_sel_hi:[0,1,0]
	ds_read_b128 v[8:11], v84 offset:112
	;; [unrolled: 9-line block ×10, first 2 shown]
	s_waitcnt vmcnt(7) lgkmcnt(1)
	v_fma_mix_f32 v3, v4, v76, v3 op_sel_hi:[0,1,0]
	s_waitcnt vmcnt(6)
	v_fma_mix_f32 v3, v5, v77, v3 op_sel_hi:[0,1,0]
	s_waitcnt vmcnt(5)
	;; [unrolled: 2-line block ×3, first 2 shown]
	v_fma_mix_f32 v3, v7, v79, v3 op_sel_hi:[0,1,0]
	s_waitcnt vmcnt(3) lgkmcnt(0)
	v_fma_mix_f32 v3, v8, v80, v3 op_sel_hi:[0,1,0]
	s_waitcnt vmcnt(2)
	v_fma_mix_f32 v3, v9, v81, v3 op_sel_hi:[0,1,0]
	s_waitcnt vmcnt(1)
	;; [unrolled: 2-line block ×3, first 2 shown]
	v_fma_mix_f32 v4, v11, v83, v3 op_sel_hi:[0,1,0]
	s_branch .LBB79_16
.LBB79_19:
	v_mov_b32_e32 v0, 0
	ds_read_b32 v1, v0 offset:2048
	s_cmp_lg_u64 s[6:7], 0
	s_cbranch_scc0 .LBB79_24
; %bb.20:
	s_load_dword s6, s[6:7], 0x0
	s_waitcnt lgkmcnt(0)
	v_div_scale_f32 v0, s[0:1], s6, s6, 1.0
	v_rcp_f32_e32 v3, v0
	v_div_scale_f32 v5, vcc, 1.0, s6, 1.0
	v_fma_f32 v6, -v0, v3, 1.0
	v_fmac_f32_e32 v3, v6, v3
	v_mul_f32_e32 v6, v5, v3
	v_fma_f32 v7, -v0, v6, v5
	v_fmac_f32_e32 v6, v7, v3
	v_fma_f32 v0, -v0, v6, v5
	v_div_fmas_f32 v0, v0, v3, v6
	v_div_fixup_f32 v0, v0, s6, 1.0
	s_andn2_b64 vcc, exec, s[34:35]
	s_cbranch_vccnz .LBB79_22
.LBB79_21:
	s_add_u32 s0, s30, s36
	s_addc_u32 s1, s31, s37
	s_load_dword s28, s[0:1], 0x0
	s_mov_b32 s29, 0
.LBB79_22:
	s_waitcnt lgkmcnt(0)
	v_add_f32_e32 v1, 0x358637bd, v1
	v_div_scale_f32 v3, s[0:1], v1, v1, 1.0
	v_rcp_f32_e32 v5, v3
	v_div_scale_f32 v6, vcc, 1.0, v1, 1.0
	s_mul_i32 s0, s3, s29
	v_fma_f32 v7, -v3, v5, 1.0
	v_fmac_f32_e32 v5, v7, v5
	v_mul_f32_e32 v7, v6, v5
	v_fma_f32 v8, -v3, v7, v6
	s_mul_hi_u32 s1, s3, s28
	v_fmac_f32_e32 v7, v8, v5
	s_add_i32 s1, s1, s0
	s_mul_i32 s0, s3, s28
	v_fma_f32 v3, -v3, v7, v6
	s_lshl_b64 s[0:1], s[0:1], 7
	v_div_fmas_f32 v3, v3, v5, v7
	s_add_u32 s4, s4, s0
	s_mov_b32 s3, 0
	v_div_fixup_f32 v1, v3, v1, 1.0
	s_addc_u32 s5, s5, s1
	s_lshl_b64 s[0:1], s[2:3], 7
	v_mul_f32_e32 v1, v4, v1
	s_add_u32 s0, s4, s0
	s_addc_u32 s1, s5, s1
	v_fma_mixlo_f16 v0, v1, v0, 0
	global_store_short v2, v0, s[0:1]
	s_endpgm
.LBB79_23:
	s_mov_b64 s[6:7], 0
	s_branch .LBB79_2
.LBB79_24:
	v_mov_b32_e32 v0, 1.0
	s_andn2_b64 vcc, exec, s[34:35]
	s_cbranch_vccz .LBB79_21
	s_branch .LBB79_22
	.section	.rodata,"a",@progbits
	.p2align	6, 0x0
	.amdhsa_kernel _Z35paged_attention_ll4mi_reduce_kernelIDF16_DF16_Li64ELi64ELi256ELi8EEvPT0_PKfS3_PKT_PKiS8_iS3_
		.amdhsa_group_segment_fixed_size 2052
		.amdhsa_private_segment_fixed_size 0
		.amdhsa_kernarg_size 320
		.amdhsa_user_sgpr_count 2
		.amdhsa_user_sgpr_dispatch_ptr 0
		.amdhsa_user_sgpr_queue_ptr 0
		.amdhsa_user_sgpr_kernarg_segment_ptr 1
		.amdhsa_user_sgpr_dispatch_id 0
		.amdhsa_user_sgpr_kernarg_preload_length 0
		.amdhsa_user_sgpr_kernarg_preload_offset 0
		.amdhsa_user_sgpr_private_segment_size 0
		.amdhsa_uses_dynamic_stack 0
		.amdhsa_enable_private_segment 0
		.amdhsa_system_sgpr_workgroup_id_x 1
		.amdhsa_system_sgpr_workgroup_id_y 1
		.amdhsa_system_sgpr_workgroup_id_z 0
		.amdhsa_system_sgpr_workgroup_info 0
		.amdhsa_system_vgpr_workitem_id 0
		.amdhsa_next_free_vgpr 92
		.amdhsa_next_free_sgpr 45
		.amdhsa_accum_offset 92
		.amdhsa_reserve_vcc 1
		.amdhsa_float_round_mode_32 0
		.amdhsa_float_round_mode_16_64 0
		.amdhsa_float_denorm_mode_32 3
		.amdhsa_float_denorm_mode_16_64 3
		.amdhsa_dx10_clamp 1
		.amdhsa_ieee_mode 1
		.amdhsa_fp16_overflow 0
		.amdhsa_tg_split 0
		.amdhsa_exception_fp_ieee_invalid_op 0
		.amdhsa_exception_fp_denorm_src 0
		.amdhsa_exception_fp_ieee_div_zero 0
		.amdhsa_exception_fp_ieee_overflow 0
		.amdhsa_exception_fp_ieee_underflow 0
		.amdhsa_exception_fp_ieee_inexact 0
		.amdhsa_exception_int_div_zero 0
	.end_amdhsa_kernel
	.section	.text._Z35paged_attention_ll4mi_reduce_kernelIDF16_DF16_Li64ELi64ELi256ELi8EEvPT0_PKfS3_PKT_PKiS8_iS3_,"axG",@progbits,_Z35paged_attention_ll4mi_reduce_kernelIDF16_DF16_Li64ELi64ELi256ELi8EEvPT0_PKfS3_PKT_PKiS8_iS3_,comdat
.Lfunc_end79:
	.size	_Z35paged_attention_ll4mi_reduce_kernelIDF16_DF16_Li64ELi64ELi256ELi8EEvPT0_PKfS3_PKT_PKiS8_iS3_, .Lfunc_end79-_Z35paged_attention_ll4mi_reduce_kernelIDF16_DF16_Li64ELi64ELi256ELi8EEvPT0_PKfS3_PKT_PKiS8_iS3_
                                        ; -- End function
	.section	.AMDGPU.csdata,"",@progbits
; Kernel info:
; codeLenInByte = 9144
; NumSgprs: 51
; NumVgprs: 92
; NumAgprs: 0
; TotalNumVgprs: 92
; ScratchSize: 0
; MemoryBound: 0
; FloatMode: 240
; IeeeMode: 1
; LDSByteSize: 2052 bytes/workgroup (compile time only)
; SGPRBlocks: 6
; VGPRBlocks: 11
; NumSGPRsForWavesPerEU: 51
; NumVGPRsForWavesPerEU: 92
; AccumOffset: 92
; Occupancy: 5
; WaveLimiterHint : 1
; COMPUTE_PGM_RSRC2:SCRATCH_EN: 0
; COMPUTE_PGM_RSRC2:USER_SGPR: 2
; COMPUTE_PGM_RSRC2:TRAP_HANDLER: 0
; COMPUTE_PGM_RSRC2:TGID_X_EN: 1
; COMPUTE_PGM_RSRC2:TGID_Y_EN: 1
; COMPUTE_PGM_RSRC2:TGID_Z_EN: 0
; COMPUTE_PGM_RSRC2:TIDIG_COMP_CNT: 0
; COMPUTE_PGM_RSRC3_GFX90A:ACCUM_OFFSET: 22
; COMPUTE_PGM_RSRC3_GFX90A:TG_SPLIT: 0
	.section	.text._Z39paged_attention_ll4mi_QKV_mfma16_kernelIDF16_DF16_LN4vllm18Fp8KVCacheDataTypeE0EDF16_Li16ELi64ELi256ELb1ELi1EEvPKT_PKT0_S7_ifPKiS9_S9_iPKfiiiPfSC_PS2_PT2_iSB_SB_,"axG",@progbits,_Z39paged_attention_ll4mi_QKV_mfma16_kernelIDF16_DF16_LN4vllm18Fp8KVCacheDataTypeE0EDF16_Li16ELi64ELi256ELb1ELi1EEvPKT_PKT0_S7_ifPKiS9_S9_iPKfiiiPfSC_PS2_PT2_iSB_SB_,comdat
	.protected	_Z39paged_attention_ll4mi_QKV_mfma16_kernelIDF16_DF16_LN4vllm18Fp8KVCacheDataTypeE0EDF16_Li16ELi64ELi256ELb1ELi1EEvPKT_PKT0_S7_ifPKiS9_S9_iPKfiiiPfSC_PS2_PT2_iSB_SB_ ; -- Begin function _Z39paged_attention_ll4mi_QKV_mfma16_kernelIDF16_DF16_LN4vllm18Fp8KVCacheDataTypeE0EDF16_Li16ELi64ELi256ELb1ELi1EEvPKT_PKT0_S7_ifPKiS9_S9_iPKfiiiPfSC_PS2_PT2_iSB_SB_
	.globl	_Z39paged_attention_ll4mi_QKV_mfma16_kernelIDF16_DF16_LN4vllm18Fp8KVCacheDataTypeE0EDF16_Li16ELi64ELi256ELb1ELi1EEvPKT_PKT0_S7_ifPKiS9_S9_iPKfiiiPfSC_PS2_PT2_iSB_SB_
	.p2align	8
	.type	_Z39paged_attention_ll4mi_QKV_mfma16_kernelIDF16_DF16_LN4vllm18Fp8KVCacheDataTypeE0EDF16_Li16ELi64ELi256ELb1ELi1EEvPKT_PKT0_S7_ifPKiS9_S9_iPKfiiiPfSC_PS2_PT2_iSB_SB_,@function
_Z39paged_attention_ll4mi_QKV_mfma16_kernelIDF16_DF16_LN4vllm18Fp8KVCacheDataTypeE0EDF16_Li16ELi64ELi256ELb1ELi1EEvPKT_PKT0_S7_ifPKiS9_S9_iPKfiiiPfSC_PS2_PT2_iSB_SB_: ; @_Z39paged_attention_ll4mi_QKV_mfma16_kernelIDF16_DF16_LN4vllm18Fp8KVCacheDataTypeE0EDF16_Li16ELi64ELi256ELb1ELi1EEvPKT_PKT0_S7_ifPKiS9_S9_iPKfiiiPfSC_PS2_PT2_iSB_SB_
; %bb.0:
	s_load_dwordx2 s[6:7], s[0:1], 0x30
	s_mov_b32 s30, s3
	s_mov_b64 s[8:9], 0
	s_waitcnt lgkmcnt(0)
	s_cmp_lg_u64 s[6:7], 0
	s_cselect_b64 s[10:11], -1, 0
	s_and_b64 vcc, exec, s[10:11]
	s_cbranch_vccz .LBB80_7
; %bb.1:
	s_add_i32 s12, s2, 1
	s_mov_b32 s13, 0
	s_lshl_b64 s[14:15], s[12:13], 2
	s_add_u32 s14, s6, s14
	s_mov_b32 s3, s13
	s_addc_u32 s15, s7, s15
	s_lshl_b64 s[12:13], s[2:3], 2
	s_add_u32 s12, s6, s12
	s_addc_u32 s13, s7, s13
	s_load_dword s5, s[14:15], 0x0
	s_load_dword s16, s[12:13], 0x0
	s_waitcnt lgkmcnt(0)
	s_sub_i32 s5, s5, s16
	s_cmp_eq_u32 s5, 1
	s_cselect_b64 s[12:13], -1, 0
	s_andn2_b64 vcc, exec, s[8:9]
	s_cbranch_vccnz .LBB80_3
.LBB80_2:
	s_mov_b32 s3, 0
	s_mov_b64 s[12:13], -1
.LBB80_3:
	s_andn2_b64 vcc, exec, s[12:13]
	s_cbranch_vccnz .LBB80_19
; %bb.4:
	s_load_dwordx2 s[8:9], s[0:1], 0x28
	s_lshl_b64 s[12:13], s[2:3], 2
	s_waitcnt lgkmcnt(0)
	s_add_u32 s8, s8, s12
	s_addc_u32 s9, s9, s13
	s_load_dword s31, s[8:9], 0x0
	s_lshl_b32 s16, s30, 8
	s_waitcnt lgkmcnt(0)
	s_cmp_ge_i32 s16, s31
	s_cbranch_scc1 .LBB80_19
; %bb.5:
	s_load_dwordx2 s[8:9], s[0:1], 0x20
	s_load_dword s5, s[0:1], 0x38
	s_add_i32 s14, s31, 15
	s_ashr_i32 s15, s14, 31
	v_and_b32_e32 v1, 0xcf, v0
	s_lshr_b32 s15, s15, 28
	v_add_u32_e32 v1, s16, v1
	s_add_i32 s14, s14, s15
	v_ashrrev_i32_e32 v2, 31, v1
	s_ashr_i32 s17, s14, 4
	v_lshrrev_b32_e32 v6, 28, v2
	s_add_i32 s17, s17, -1
	s_waitcnt lgkmcnt(0)
	s_mul_i32 s14, s2, s5
	s_mov_b32 s15, 0
	v_add_u32_e32 v2, v1, v6
	s_lshl_b64 s[14:15], s[14:15], 2
	v_ashrrev_i32_e32 v2, 4, v2
	v_mov_b32_e32 v7, s17
	v_cmp_gt_i32_e32 vcc, s31, v1
	s_add_u32 s8, s8, s14
	s_addc_u32 s9, s9, s15
	v_cndmask_b32_e32 v2, v7, v2, vcc
	v_ashrrev_i32_e32 v3, 31, v2
	v_lshl_add_u64 v[4:5], v[2:3], 2, s[8:9]
	v_or_b32_e32 v2, 16, v1
	v_add_u32_e32 v3, v2, v6
	v_ashrrev_i32_e32 v3, 4, v3
	v_cmp_gt_i32_e32 vcc, s31, v2
	s_load_dwordx2 s[14:15], s[0:1], 0x8
	s_nop 0
	v_cndmask_b32_e32 v2, v7, v3, vcc
	v_ashrrev_i32_e32 v3, 31, v2
	v_lshl_add_u64 v[8:9], v[2:3], 2, s[8:9]
	v_or_b32_e32 v2, 32, v1
	v_add_u32_e32 v3, v2, v6
	v_ashrrev_i32_e32 v3, 4, v3
	v_cmp_gt_i32_e32 vcc, s31, v2
	v_or_b32_e32 v1, 48, v1
	s_nop 0
	v_cndmask_b32_e32 v2, v7, v3, vcc
	v_ashrrev_i32_e32 v3, 31, v2
	v_lshl_add_u64 v[10:11], v[2:3], 2, s[8:9]
	v_add_u32_e32 v2, v1, v6
	v_ashrrev_i32_e32 v2, 4, v2
	v_cmp_gt_i32_e32 vcc, s31, v1
	s_nop 1
	v_cndmask_b32_e32 v2, v7, v2, vcc
	v_ashrrev_i32_e32 v3, 31, v2
	v_lshl_add_u64 v[12:13], v[2:3], 2, s[8:9]
	global_load_dword v3, v[4:5], off
	global_load_dword v2, v[8:9], off
	;; [unrolled: 1-line block ×4, first 2 shown]
	s_andn2_b64 vcc, exec, s[10:11]
	s_cbranch_vccnz .LBB80_8
; %bb.6:
	s_add_u32 s6, s6, s12
	s_addc_u32 s7, s7, s13
	s_load_dword s5, s[6:7], 0x0
	s_branch .LBB80_9
.LBB80_7:
	s_mov_b64 s[12:13], 0
	s_branch .LBB80_2
.LBB80_8:
	s_mov_b32 s5, s2
.LBB80_9:
	s_load_dwordx2 s[10:11], s[0:1], 0x10
	s_load_dwordx4 s[44:47], s[0:1], 0x48
	v_lshrrev_b32_e32 v52, 6, v0
	v_bfe_u32 v50, v0, 4, 2
	v_lshl_or_b32 v1, v52, 2, v50
	v_and_b32_e32 v53, 15, v0
	v_lshlrev_b32_e32 v4, 3, v53
	v_cmp_eq_u32_e32 vcc, 0, v1
	v_cmp_gt_u32_e64 s[6:7], 8, v53
	s_and_b64 s[18:19], s[6:7], vcc
	v_lshlrev_b32_e32 v1, 1, v4
	s_and_saveexec_b64 s[12:13], s[18:19]
	s_cbranch_execz .LBB80_11
; %bb.10:
	s_load_dwordx2 s[18:19], s[0:1], 0x0
	s_waitcnt lgkmcnt(0)
	s_ashr_i32 s20, s44, 31
	s_mul_hi_u32 s21, s5, s44
	s_mul_i32 s20, s5, s20
	s_add_i32 s21, s21, s20
	s_mul_i32 s20, s5, s44
	s_lshl_b64 s[20:21], s[20:21], 1
	s_add_u32 s5, s18, s20
	s_addc_u32 s20, s19, s21
	s_lshl_b32 s18, s4, 6
	s_ashr_i32 s19, s18, 31
	s_lshl_b64 s[18:19], s[18:19], 1
	s_add_u32 s18, s5, s18
	s_addc_u32 s19, s20, s19
	global_load_dwordx4 v[8:11], v1, s[18:19]
	v_and_b32_e32 v4, 3, v0
	v_lshlrev_b32_e32 v5, 9, v53
	v_lshlrev_b32_e32 v4, 9, v4
	s_movk_i32 s5, 0x1800
	v_and_or_b32 v4, v5, s5, v4
	s_waitcnt vmcnt(0)
	ds_write_b128 v4, v[8:11]
.LBB80_11:
	s_or_b64 exec, exec, s[12:13]
	s_waitcnt lgkmcnt(0)
	s_mul_i32 s12, s4, s46
	s_mov_b32 s13, 0
	s_lshl_b64 s[12:13], s[12:13], 1
	s_add_u32 s14, s14, s12
	v_lshlrev_b32_e32 v51, 4, v0
	s_addc_u32 s15, s15, s13
	v_and_b32_e32 v42, 0xf0, v51
	v_mov_b32_e32 v43, 0
	v_lshl_add_u64 v[16:17], s[14:15], 0, v[42:43]
	s_waitcnt vmcnt(3)
	v_mad_i64_i32 v[4:5], s[14:15], v3, s45, 0
	s_waitcnt vmcnt(2)
	v_mad_i64_i32 v[2:3], s[14:15], v2, s45, 0
	;; [unrolled: 2-line block ×3, first 2 shown]
	v_lshl_add_u64 v[4:5], v[4:5], 1, v[16:17]
	v_and_b32_e32 v42, 0x300, v51
	v_lshl_add_u64 v[2:3], v[2:3], 1, v[16:17]
	v_lshl_add_u64 v[6:7], v[6:7], 1, v[16:17]
	s_waitcnt vmcnt(0)
	v_mad_i64_i32 v[14:15], s[14:15], v14, s45, 0
	v_lshl_add_u64 v[4:5], v[4:5], 0, v[42:43]
	v_lshl_add_u64 v[8:9], v[2:3], 0, v[42:43]
	v_lshl_add_u64 v[18:19], v[6:7], 0, v[42:43]
	v_lshl_add_u64 v[14:15], v[14:15], 1, v[16:17]
	s_barrier
	global_load_dwordx4 v[30:33], v[4:5], off
	global_load_dwordx4 v[10:13], v[4:5], off offset:1024
	global_load_dwordx4 v[22:25], v[8:9], off
	s_nop 0
	global_load_dwordx4 v[2:5], v[8:9], off offset:1024
	global_load_dwordx4 v[26:29], v[18:19], off
	s_nop 0
	global_load_dwordx4 v[6:9], v[18:19], off offset:1024
	v_lshl_add_u64 v[18:19], v[14:15], 0, v[42:43]
	global_load_dwordx4 v[34:37], v[18:19], off
	global_load_dwordx4 v[14:17], v[18:19], off offset:1024
	v_lshlrev_b32_e32 v18, 9, v50
	ds_read_b128 v[38:41], v18
	ds_read_b128 v[18:21], v18 offset:2048
	v_and_b32_e32 v55, 63, v0
	v_cmp_eq_u32_e32 vcc, 0, v53
	v_mov_b32_e32 v56, 0
	s_and_saveexec_b64 s[14:15], vcc
	s_cbranch_execz .LBB80_13
; %bb.12:
	s_load_dwordx2 s[18:19], s[0:1], 0x40
	s_ashr_i32 s5, s4, 31
	s_lshl_b64 s[20:21], s[4:5], 2
	s_waitcnt lgkmcnt(0)
	s_add_u32 s18, s18, s20
	s_addc_u32 s19, s19, s21
	s_load_dword s5, s[18:19], 0x0
	s_waitcnt lgkmcnt(0)
	v_mov_b32_e32 v56, s5
.LBB80_13:
	s_or_b64 exec, exec, s[14:15]
	v_and_or_b32 v42, v0, 48, s16
	v_ashrrev_i32_e32 v44, 4, v42
	v_mov_b32_e32 v57, s17
	v_cmp_gt_i32_e32 vcc, s31, v42
	v_or_b32_e32 v54, 64, v42
	s_waitcnt vmcnt(5) lgkmcnt(1)
	v_mfma_f32_16x16x16_f16 v[58:61], v[22:23], v[38:39], 0
	v_cndmask_b32_e32 v44, v57, v44, vcc
	v_ashrrev_i32_e32 v45, 31, v44
	v_lshl_add_u64 v[48:49], v[44:45], 2, s[8:9]
	v_mfma_f32_16x16x16_f16 v[44:47], v[30:31], v[38:39], 0
	v_ashrrev_i32_e32 v30, 4, v54
	v_cmp_gt_i32_e32 vcc, s31, v54
	global_load_dword v70, v[48:49], off
	s_waitcnt vmcnt(4)
	v_mfma_f32_16x16x16_f16 v[62:65], v[26:27], v[38:39], 0
	v_cndmask_b32_e32 v30, v57, v30, vcc
	v_ashrrev_i32_e32 v31, 31, v30
	v_lshl_add_u64 v[22:23], v[30:31], 2, s[8:9]
	global_load_dword v71, v[22:23], off
	v_mfma_f32_16x16x16_f16 v[22:25], v[24:25], v[40:41], v[58:61]
	v_and_b32_e32 v26, 0xc0, v0
	s_load_dword s14, s[0:1], 0x1c
	s_mov_b32 s5, 0xff7fffff
	v_mfma_f32_16x16x16_f16 v[30:33], v[32:33], v[40:41], v[44:47]
	s_add_u32 s10, s10, s12
	v_lshlrev_b32_e32 v54, 5, v53
	s_addc_u32 s11, s11, s13
	s_waitcnt vmcnt(3)
	v_mfma_f32_16x16x16_f16 v[66:69], v[34:35], v[38:39], 0
	v_or_b32_e32 v38, 0x80, v42
	v_add_u32_e32 v44, s16, v26
	v_or_b32_e32 v39, 0xc0, v42
	v_mfma_f32_16x16x16_f16 v[26:29], v[28:29], v[40:41], v[62:65]
	v_ashrrev_i32_e32 v45, 4, v38
	v_cmp_gt_i32_e32 vcc, s31, v38
	v_ashrrev_i32_e32 v46, 4, v39
	s_waitcnt lgkmcnt(0)
	v_mfma_f32_16x16x16_f16 v[22:25], v[2:3], v[18:19], v[22:25]
	v_cndmask_b32_e32 v38, v57, v45, vcc
	v_cmp_gt_i32_e32 vcc, s31, v39
	v_ashrrev_i32_e32 v39, 31, v38
	v_mfma_f32_16x16x16_f16 v[30:33], v[10:11], v[18:19], v[30:33]
	v_cndmask_b32_e32 v10, v57, v46, vcc
	v_ashrrev_i32_e32 v11, 31, v10
	v_lshl_or_b32 v58, v50, 2, v44
	v_mfma_f32_16x16x16_f16 v[26:29], v[6:7], v[18:19], v[26:29]
	v_lshl_add_u64 v[6:7], v[38:39], 2, s[8:9]
	v_lshl_add_u64 v[38:39], v[10:11], 2, s[8:9]
	v_or_b32_e32 v57, 1, v58
	v_mfma_f32_16x16x16_f16 v[2:5], v[4:5], v[20:21], v[22:25]
	s_nop 2
	global_load_dword v22, v[6:7], off
	global_load_dword v61, v[38:39], off
	v_subrev_u32_e32 v59, s31, v57
	v_cvt_f32_i32_e32 v60, v59
	v_mfma_f32_16x16x16_f16 v[34:37], v[36:37], v[40:41], v[66:69]
	v_pk_mul_f32 v[44:45], s[14:15], v[4:5] op_sel_hi:[0,1]
	v_cmp_gt_i32_e64 s[34:35], s31, v58
	v_cmp_gt_i32_e64 s[36:37], s31, v57
	s_waitcnt vmcnt(4)
	v_mfma_f32_16x16x16_f16 v[34:37], v[14:15], v[18:19], v[34:37]
	v_add_u32_e32 v14, 1, v59
	v_add_u32_e32 v15, 2, v59
	v_cvt_f32_i32_e32 v23, v14
	v_cvt_f32_i32_e32 v24, v15
	v_mfma_f32_16x16x16_f16 v[14:17], v[16:17], v[20:21], v[34:37]
	v_add_u32_e32 v18, 3, v59
	v_cvt_f32_i32_e32 v18, v18
	v_add_u32_e32 v19, 16, v59
	v_mfma_f32_16x16x16_f16 v[10:13], v[12:13], v[20:21], v[30:33]
	v_cvt_f32_i32_e32 v19, v19
	s_nop 1
	v_pk_mul_f32 v[36:37], s[14:15], v[14:15] op_sel_hi:[0,1]
	v_add_u32_e32 v15, 19, v59
	v_add_u32_e32 v31, 18, v59
	v_cvt_f32_i32_e32 v14, v31
	v_cvt_f32_i32_e32 v15, v15
	v_mfma_f32_16x16x16_f16 v[6:9], v[8:9], v[20:21], v[26:29]
	v_pk_mul_f32 v[34:35], s[14:15], v[16:17] op_sel_hi:[0,1]
	v_fma_f32 v44, v56, v14, v44
	v_add_u32_e32 v14, 32, v59
	v_fmac_f32_e32 v45, v56, v15
	v_cvt_f32_i32_e32 v14, v14
	v_add_u32_e32 v15, 33, v59
	v_add_u32_e32 v16, 34, v59
	v_cvt_f32_i32_e32 v15, v15
	v_cvt_f32_i32_e32 v16, v16
	v_add_u32_e32 v17, 35, v59
	v_cvt_f32_i32_e32 v17, v17
	v_pk_mul_f32 v[40:41], s[14:15], v[6:7] op_sel_hi:[0,1]
	v_pk_mul_f32 v[38:39], s[14:15], v[8:9] op_sel_hi:[0,1]
	v_fma_f32 v40, v56, v14, v40
	v_add_u32_e32 v14, 48, v59
	v_fmac_f32_e32 v41, v56, v15
	v_fma_f32 v38, v56, v16, v38
	v_cvt_f32_i32_e32 v14, v14
	v_add_u32_e32 v15, 49, v59
	v_add_u32_e32 v16, 50, v59
	v_fmac_f32_e32 v39, v56, v17
	v_cvt_f32_i32_e32 v15, v15
	v_cvt_f32_i32_e32 v16, v16
	v_add_u32_e32 v17, 51, v59
	v_cvt_f32_i32_e32 v17, v17
	v_pk_mul_f32 v[10:11], s[14:15], v[10:11] op_sel_hi:[0,1]
	v_fma_f32 v10, v56, v60, v10
	v_fmac_f32_e32 v11, v56, v23
	v_fma_f32 v36, v56, v14, v36
	v_mov_b32_e32 v14, 0xff7fffff
	v_add_u32_e32 v30, 17, v59
	v_fmac_f32_e32 v37, v56, v15
	v_fma_f32 v34, v56, v16, v34
	v_cndmask_b32_e64 v15, v14, v10, s[34:35]
	v_cndmask_b32_e64 v16, v14, v11, s[36:37]
	v_cvt_f32_i32_e32 v25, v30
	v_pk_mul_f32 v[48:49], s[14:15], v[12:13] op_sel_hi:[0,1]
	v_fmac_f32_e32 v35, v56, v17
	v_max3_f32 v15, v15, s5, v16
	v_or_b32_e32 v16, 2, v58
	v_or_b32_e32 v17, 3, v58
	v_fma_f32 v48, v56, v24, v48
	v_fmac_f32_e32 v49, v56, v18
	v_cmp_gt_i32_e64 s[38:39], s31, v16
	v_cmp_gt_i32_e64 s[40:41], s31, v17
	v_pk_mul_f32 v[46:47], s[14:15], v[2:3] op_sel_hi:[0,1]
	v_cndmask_b32_e64 v16, v14, v48, s[38:39]
	v_cndmask_b32_e64 v17, v14, v49, s[40:41]
	v_max3_f32 v15, v15, v16, v17
	v_or_b32_e32 v16, 16, v58
	v_or_b32_e32 v17, 17, v58
	v_fma_f32 v46, v56, v19, v46
	v_fmac_f32_e32 v47, v56, v25
	v_cmp_gt_i32_e64 s[26:27], s31, v16
	v_cmp_gt_i32_e64 s[28:29], s31, v17
	v_lshl_or_b32 v42, v52, 9, v54
	v_cndmask_b32_e64 v16, v14, v46, s[26:27]
	v_cndmask_b32_e64 v17, v14, v47, s[28:29]
	v_max3_f32 v15, v15, v16, v17
	v_or_b32_e32 v16, 18, v58
	v_or_b32_e32 v17, 19, v58
	v_cmp_gt_i32_e64 s[22:23], s31, v16
	v_cmp_gt_i32_e64 s[24:25], s31, v17
	v_lshl_add_u64 v[42:43], s[10:11], 0, v[42:43]
	v_cndmask_b32_e64 v16, v14, v44, s[22:23]
	v_cndmask_b32_e64 v17, v14, v45, s[24:25]
	v_max3_f32 v15, v15, v16, v17
	v_or_b32_e32 v16, 32, v58
	v_or_b32_e32 v17, 33, v58
	v_cmp_gt_i32_e64 s[18:19], s31, v16
	v_cmp_gt_i32_e64 s[20:21], s31, v17
	s_waitcnt vmcnt(3)
	v_mad_i64_i32 v[2:3], s[8:9], v70, s45, 0
	v_cndmask_b32_e64 v16, v14, v40, s[18:19]
	v_cndmask_b32_e64 v17, v14, v41, s[20:21]
	v_max3_f32 v15, v15, v16, v17
	v_or_b32_e32 v16, 34, v58
	v_or_b32_e32 v17, 35, v58
	v_cmp_gt_i32_e64 s[14:15], s31, v16
	v_cmp_gt_i32_e64 s[16:17], s31, v17
	s_waitcnt vmcnt(2)
	v_mad_i64_i32 v[12:13], s[8:9], v71, s45, 0
	v_cndmask_b32_e64 v16, v14, v38, s[14:15]
	v_cndmask_b32_e64 v17, v14, v39, s[16:17]
	v_max3_f32 v15, v15, v16, v17
	v_or_b32_e32 v16, 48, v58
	v_or_b32_e32 v17, 49, v58
	v_cmp_gt_i32_e64 s[10:11], s31, v16
	v_cmp_gt_i32_e64 s[12:13], s31, v17
	v_lshl_add_u64 v[2:3], v[2:3], 1, v[42:43]
	v_cndmask_b32_e64 v16, v14, v36, s[10:11]
	v_cndmask_b32_e64 v17, v14, v37, s[12:13]
	v_max3_f32 v15, v15, v16, v17
	v_or_b32_e32 v16, 50, v58
	v_or_b32_e32 v17, 51, v58
	v_cmp_gt_i32_e32 vcc, s31, v16
	v_cmp_gt_i32_e64 s[8:9], s31, v17
	v_lshl_add_u64 v[12:13], v[12:13], 1, v[42:43]
	v_cndmask_b32_e32 v16, v14, v34, vcc
	v_cndmask_b32_e64 v14, v14, v35, s[8:9]
	v_max3_f32 v14, v15, v16, v14
	v_mbcnt_lo_u32_b32 v15, -1, 0
	v_mbcnt_hi_u32_b32 v15, -1, v15
	v_and_b32_e32 v16, 64, v15
	v_add_u32_e32 v16, 64, v16
	v_xor_b32_e32 v17, 32, v15
	v_cmp_lt_i32_e64 s[42:43], v17, v16
	global_load_dwordx4 v[6:9], v[2:3], off
	s_nop 0
	global_load_dwordx4 v[2:5], v[2:3], off offset:16
	v_cndmask_b32_e64 v17, v15, v17, s[42:43]
	v_lshlrev_b32_e32 v57, 2, v17
	ds_bpermute_b32 v17, v57, v14
	global_load_dwordx4 v[30:33], v[12:13], off
	global_load_dwordx4 v[26:29], v[12:13], off offset:16
	s_waitcnt vmcnt(5)
	v_mad_i64_i32 v[12:13], s[42:43], v22, s45, 0
	v_lshl_add_u64 v[12:13], v[12:13], 1, v[42:43]
	s_waitcnt lgkmcnt(0)
	v_max_f32_e32 v17, v17, v17
	v_max_f32_e32 v14, v14, v17
	v_xor_b32_e32 v17, 16, v15
	v_cmp_lt_i32_e64 s[42:43], v17, v16
	global_load_dwordx4 v[22:25], v[12:13], off
	global_load_dwordx4 v[18:21], v[12:13], off offset:16
	v_cndmask_b32_e64 v15, v15, v17, s[42:43]
	v_lshlrev_b32_e32 v58, 2, v15
	ds_bpermute_b32 v15, v58, v14
	s_waitcnt vmcnt(6)
	v_mad_i64_i32 v[12:13], s[42:43], v61, s45, 0
	v_lshl_add_u64 v[12:13], v[12:13], 1, v[42:43]
	s_waitcnt lgkmcnt(0)
	v_max_f32_e32 v15, v15, v15
	v_max_f32_e32 v56, v14, v15
	v_sub_f32_e32 v10, v10, v56
	v_mul_f32_e32 v10, 0x3fb8aa3b, v10
	v_exp_f32_e32 v42, v10
	v_sub_f32_e32 v10, v11, v56
	v_mul_f32_e32 v10, 0x3fb8aa3b, v10
	v_exp_f32_e32 v43, v10
	global_load_dwordx4 v[14:17], v[12:13], off
	s_nop 0
	global_load_dwordx4 v[10:13], v[12:13], off offset:16
	v_sub_f32_e32 v48, v48, v56
	v_mul_f32_e32 v48, 0x3fb8aa3b, v48
	v_sub_f32_e32 v49, v49, v56
	v_exp_f32_e32 v48, v48
	v_mul_f32_e32 v49, 0x3fb8aa3b, v49
	v_sub_f32_e32 v46, v46, v56
	v_exp_f32_e32 v49, v49
	v_mul_f32_e32 v46, 0x3fb8aa3b, v46
	v_sub_f32_e32 v47, v47, v56
	v_cndmask_b32_e64 v42, 0, v42, s[34:35]
	v_exp_f32_e32 v46, v46
	v_mul_f32_e32 v47, 0x3fb8aa3b, v47
	v_sub_f32_e32 v44, v44, v56
	v_add_f32_e32 v59, 0, v42
	v_cndmask_b32_e64 v43, 0, v43, s[36:37]
	v_exp_f32_e32 v47, v47
	v_mul_f32_e32 v44, 0x3fb8aa3b, v44
	v_sub_f32_e32 v45, v45, v56
	v_add_f32_e32 v59, v59, v43
	;; [unrolled: 5-line block ×10, first 2 shown]
	v_cndmask_b32_e64 v38, 0, v38, s[14:15]
	v_exp_f32_e32 v34, v34
	v_mul_f32_e32 v35, 0x3fb8aa3b, v35
	v_add_f32_e32 v59, v59, v38
	v_cndmask_b32_e64 v39, 0, v39, s[16:17]
	v_exp_f32_e32 v35, v35
	v_add_f32_e32 v59, v59, v39
	v_cndmask_b32_e64 v36, 0, v36, s[10:11]
	v_add_f32_e32 v59, v59, v36
	v_cndmask_b32_e64 v37, 0, v37, s[12:13]
	v_add_f32_e32 v59, v59, v37
	v_cndmask_b32_e32 v34, 0, v34, vcc
	v_add_f32_e32 v59, v59, v34
	v_cndmask_b32_e64 v35, 0, v35, s[8:9]
	v_add_f32_e32 v59, v59, v35
	ds_bpermute_b32 v57, v57, v59
	v_cmp_gt_u32_e64 s[8:9], 16, v55
	v_lshlrev_b32_e32 v55, 2, v53
	s_waitcnt lgkmcnt(0)
	s_barrier
	v_add_f32_e32 v57, v59, v57
	ds_bpermute_b32 v58, v58, v57
	s_waitcnt lgkmcnt(0)
	s_and_saveexec_b64 s[10:11], s[8:9]
	s_cbranch_execz .LBB80_15
; %bb.14:
	v_add_f32_e32 v53, v57, v58
	v_lshl_or_b32 v57, v52, 6, v55
	ds_write2st64_b32 v57, v56, v53 offset1:1
.LBB80_15:
	s_or_b64 exec, exec, s[10:11]
	s_load_dwordx2 s[10:11], s[0:1], 0x94
	s_waitcnt lgkmcnt(0)
	s_barrier
	ds_read2_b32 v[56:57], v55 offset1:16
	ds_read2_b32 v[58:59], v55 offset0:32 offset1:48
	ds_read2_b32 v[60:61], v55 offset0:64 offset1:80
	s_waitcnt lgkmcnt(2)
	v_max3_f32 v53, v56, s5, v57
	s_waitcnt lgkmcnt(1)
	v_max3_f32 v53, v53, v58, v59
	v_sub_f32_e32 v56, v56, v53
	v_mul_f32_e32 v56, 0x3fb8aa3b, v56
	v_exp_f32_e32 v62, v56
	v_sub_f32_e32 v56, v57, v53
	v_mul_f32_e32 v56, 0x3fb8aa3b, v56
	v_exp_f32_e32 v63, v56
	;; [unrolled: 3-line block ×3, first 2 shown]
	ds_read2_b32 v[56:57], v55 offset0:96 offset1:112
	v_sub_f32_e32 v55, v59, v53
	v_mul_f32_e32 v55, 0x3fb8aa3b, v55
	v_exp_f32_e32 v59, v55
	s_waitcnt lgkmcnt(1)
	v_fma_f32 v55, v62, v60, 0
	v_fmac_f32_e32 v55, v63, v61
	s_waitcnt lgkmcnt(0)
	v_fmac_f32_e32 v55, v58, v56
	v_fmac_f32_e32 v55, v59, v57
	v_add_f32_e32 v57, 0x358637bd, v55
	v_div_scale_f32 v60, s[12:13], v57, v57, 1.0
	v_rcp_f32_e32 v61, v60
	s_barrier
	v_fma_f32 v64, -v60, v61, 1.0
	v_fmac_f32_e32 v61, v64, v61
	v_div_scale_f32 v64, vcc, 1.0, v57, 1.0
	v_mul_f32_e32 v65, v64, v61
	v_fma_f32 v66, -v60, v65, v64
	v_fmac_f32_e32 v65, v66, v61
	v_fma_f32 v60, -v60, v65, v64
	v_div_fmas_f32 v60, v60, v61, v65
	v_cmp_eq_u32_e32 vcc, 1, v52
	v_div_fixup_f32 v57, v60, v57, 1.0
	v_mov_b32_e32 v56, 0
	v_cndmask_b32_e32 v60, v62, v63, vcc
	v_cmp_eq_u32_e32 vcc, 2, v52
	s_nop 1
	v_cndmask_b32_e32 v58, v60, v58, vcc
	v_cmp_eq_u32_e32 vcc, 3, v52
	s_nop 1
	v_cndmask_b32_e32 v58, v58, v59, vcc
	v_mul_f32_e32 v58, v58, v57
	v_pk_mul_f32 v[42:43], v[58:59], v[42:43] op_sel_hi:[0,1]
	v_cvt_f16_f32_e32 v42, v42
	v_cvt_f16_f32_e32 v43, v43
	v_pk_mul_f32 v[48:49], v[58:59], v[48:49] op_sel_hi:[0,1]
	v_cvt_f16_f32_e32 v57, v48
	v_cvt_f16_f32_e32 v49, v49
	v_pack_b32_f16 v48, v42, v43
	v_pk_mul_f32 v[42:43], v[58:59], v[44:45] op_sel_hi:[0,1]
	v_pk_mul_f32 v[44:45], v[58:59], v[46:47] op_sel_hi:[0,1]
	v_cvt_f16_f32_e32 v44, v44
	v_cvt_f16_f32_e32 v45, v45
	;; [unrolled: 1-line block ×4, first 2 shown]
	v_pack_b32_f16 v49, v57, v49
	v_lshlrev_b32_e32 v57, 3, v50
	v_lshlrev_b32_e32 v42, 11, v52
	v_or3_b32 v42, v42, v54, v57
	v_pack_b32_f16 v44, v44, v45
	v_pack_b32_f16 v45, v46, v43
	v_pk_mul_f32 v[38:39], v[58:59], v[38:39] op_sel_hi:[0,1]
	v_pk_mul_f32 v[40:41], v[58:59], v[40:41] op_sel_hi:[0,1]
	;; [unrolled: 1-line block ×4, first 2 shown]
	ds_write2st64_b64 v42, v[48:49], v[44:45] offset1:1
	v_cvt_f16_f32_e32 v40, v40
	v_cvt_f16_f32_e32 v41, v41
	;; [unrolled: 1-line block ×8, first 2 shown]
	v_pack_b32_f16 v34, v40, v41
	v_pack_b32_f16 v35, v38, v39
	;; [unrolled: 1-line block ×4, first 2 shown]
	v_cmp_eq_u32_e32 vcc, 0, v0
	ds_write2st64_b64 v42, v[34:35], v[36:37] offset0:2 offset1:3
	s_and_saveexec_b64 s[12:13], vcc
	s_cbranch_execz .LBB80_17
; %bb.16:
	s_mul_i32 s3, s3, s11
	s_mul_hi_u32 s5, s2, s11
	s_add_i32 s5, s5, s3
	s_mul_i32 s3, s2, s11
	s_add_u32 s3, s3, s4
	s_addc_u32 s5, s5, 0
	s_load_dwordx4 s[16:19], s[0:1], 0x58
	s_mul_i32 s5, s5, s10
	s_mul_hi_u32 s14, s3, s10
	s_add_i32 s5, s14, s5
	s_mul_i32 s3, s3, s10
	s_add_u32 s14, s3, s30
	s_addc_u32 s15, s5, 0
	s_lshl_b64 s[14:15], s[14:15], 2
	s_waitcnt lgkmcnt(0)
	s_add_u32 s18, s18, s14
	s_addc_u32 s19, s19, s15
	s_add_u32 s14, s16, s14
	s_addc_u32 s15, s17, s15
	global_store_dword v56, v53, s[18:19]
	global_store_dword v56, v55, s[14:15]
.LBB80_17:
	s_or_b64 exec, exec, s[12:13]
	v_lshl_or_b32 v43, v50, 9, v54
	s_waitcnt lgkmcnt(0)
	s_barrier
	ds_read_b128 v[34:37], v43
	ds_read_b128 v[38:41], v43 offset:16
	s_waitcnt vmcnt(7) lgkmcnt(1)
	v_mfma_f32_16x16x16_f16 v[44:47], v[6:7], v[34:35], 0
	v_cmp_gt_u32_e32 vcc, 64, v0
	s_and_b64 s[6:7], s[6:7], vcc
	s_mov_b32 s3, 0
	v_mfma_f32_16x16x16_f16 v[6:9], v[8:9], v[36:37], v[44:47]
	s_and_b64 s[6:7], s[6:7], s[8:9]
	s_waitcnt vmcnt(6) lgkmcnt(0)
	v_mfma_f32_16x16x16_f16 v[6:9], v[2:3], v[38:39], v[6:9]
	v_mfma_f32_16x16x16_f16 v[2:5], v[4:5], v[40:41], v[6:9]
	s_nop 5
	ds_read_b128 v[6:9], v43 offset:2048
	ds_read_b128 v[34:37], v43 offset:2064
	s_waitcnt vmcnt(5) lgkmcnt(1)
	v_mfma_f32_16x16x16_f16 v[2:5], v[30:31], v[6:7], v[2:5]
	v_mfma_f32_16x16x16_f16 v[2:5], v[32:33], v[8:9], v[2:5]
	s_waitcnt vmcnt(4) lgkmcnt(0)
	v_mfma_f32_16x16x16_f16 v[2:5], v[26:27], v[34:35], v[2:5]
	v_mfma_f32_16x16x16_f16 v[2:5], v[28:29], v[36:37], v[2:5]
	ds_read_b128 v[6:9], v43 offset:4096
	ds_read_b128 v[26:29], v43 offset:4112
	s_waitcnt vmcnt(3) lgkmcnt(1)
	v_mfma_f32_16x16x16_f16 v[2:5], v[22:23], v[6:7], v[2:5]
	v_mfma_f32_16x16x16_f16 v[2:5], v[24:25], v[8:9], v[2:5]
	s_waitcnt vmcnt(2) lgkmcnt(0)
	v_mfma_f32_16x16x16_f16 v[2:5], v[18:19], v[26:27], v[2:5]
	v_mfma_f32_16x16x16_f16 v[2:5], v[20:21], v[28:29], v[2:5]
	ds_read_b128 v[6:9], v43 offset:6144
	ds_read_b128 v[18:21], v43 offset:6160
	s_waitcnt lgkmcnt(0)
	s_barrier
	s_waitcnt vmcnt(1)
	v_mfma_f32_16x16x16_f16 v[2:5], v[14:15], v[6:7], v[2:5]
	v_mfma_f32_16x16x16_f16 v[2:5], v[16:17], v[8:9], v[2:5]
	s_waitcnt vmcnt(0)
	v_mfma_f32_16x16x16_f16 v[2:5], v[10:11], v[18:19], v[2:5]
	v_mfma_f32_16x16x16_f16 v[2:5], v[12:13], v[20:21], v[2:5]
	s_nop 6
	v_cvt_f16_f32_e32 v2, v2
	v_cvt_f16_f32_e32 v3, v3
	;; [unrolled: 1-line block ×4, first 2 shown]
	v_pack_b32_f16 v2, v2, v3
	v_pack_b32_f16 v3, v4, v5
	ds_write_b64 v42, v[2:3]
	s_waitcnt lgkmcnt(0)
	s_barrier
	s_and_saveexec_b64 s[8:9], s[6:7]
	s_cbranch_execz .LBB80_19
; %bb.18:
	s_load_dwordx2 s[0:1], s[0:1], 0x68
	s_mul_i32 s2, s11, s2
	s_lshl_b32 s5, s10, 6
	s_mul_hi_u32 s7, s2, s5
	s_mul_i32 s6, s2, s5
	s_lshl_b64 s[6:7], s[6:7], 1
	v_lshlrev_b32_e32 v0, 10, v0
	s_waitcnt lgkmcnt(0)
	s_add_u32 s6, s0, s6
	v_and_b32_e32 v0, 0x1800, v0
	v_lshlrev_b32_e32 v2, 5, v50
	v_and_b32_e32 v3, 16, v51
	s_addc_u32 s7, s1, s7
	s_lshl_b32 s2, s30, 6
	v_or3_b32 v0, v0, v2, v3
	s_lshl_b64 s[0:1], s[2:3], 1
	ds_read_b128 v[2:5], v0
	s_add_u32 s2, s6, s0
	s_addc_u32 s3, s7, s1
	s_mul_hi_u32 s1, s5, s4
	s_mul_i32 s0, s5, s4
	s_lshl_b64 s[0:1], s[0:1], 1
	s_add_u32 s0, s2, s0
	s_addc_u32 s1, s3, s1
	s_waitcnt lgkmcnt(0)
	global_store_dwordx4 v1, v[2:5], s[0:1]
.LBB80_19:
	s_endpgm
	.section	.rodata,"a",@progbits
	.p2align	6, 0x0
	.amdhsa_kernel _Z39paged_attention_ll4mi_QKV_mfma16_kernelIDF16_DF16_LN4vllm18Fp8KVCacheDataTypeE0EDF16_Li16ELi64ELi256ELb1ELi1EEvPKT_PKT0_S7_ifPKiS9_S9_iPKfiiiPfSC_PS2_PT2_iSB_SB_
		.amdhsa_group_segment_fixed_size 8192
		.amdhsa_private_segment_fixed_size 0
		.amdhsa_kernarg_size 400
		.amdhsa_user_sgpr_count 2
		.amdhsa_user_sgpr_dispatch_ptr 0
		.amdhsa_user_sgpr_queue_ptr 0
		.amdhsa_user_sgpr_kernarg_segment_ptr 1
		.amdhsa_user_sgpr_dispatch_id 0
		.amdhsa_user_sgpr_kernarg_preload_length 0
		.amdhsa_user_sgpr_kernarg_preload_offset 0
		.amdhsa_user_sgpr_private_segment_size 0
		.amdhsa_uses_dynamic_stack 0
		.amdhsa_enable_private_segment 0
		.amdhsa_system_sgpr_workgroup_id_x 1
		.amdhsa_system_sgpr_workgroup_id_y 1
		.amdhsa_system_sgpr_workgroup_id_z 1
		.amdhsa_system_sgpr_workgroup_info 0
		.amdhsa_system_vgpr_workitem_id 0
		.amdhsa_next_free_vgpr 72
		.amdhsa_next_free_sgpr 48
		.amdhsa_accum_offset 72
		.amdhsa_reserve_vcc 1
		.amdhsa_float_round_mode_32 0
		.amdhsa_float_round_mode_16_64 0
		.amdhsa_float_denorm_mode_32 3
		.amdhsa_float_denorm_mode_16_64 3
		.amdhsa_dx10_clamp 1
		.amdhsa_ieee_mode 1
		.amdhsa_fp16_overflow 0
		.amdhsa_tg_split 0
		.amdhsa_exception_fp_ieee_invalid_op 0
		.amdhsa_exception_fp_denorm_src 0
		.amdhsa_exception_fp_ieee_div_zero 0
		.amdhsa_exception_fp_ieee_overflow 0
		.amdhsa_exception_fp_ieee_underflow 0
		.amdhsa_exception_fp_ieee_inexact 0
		.amdhsa_exception_int_div_zero 0
	.end_amdhsa_kernel
	.section	.text._Z39paged_attention_ll4mi_QKV_mfma16_kernelIDF16_DF16_LN4vllm18Fp8KVCacheDataTypeE0EDF16_Li16ELi64ELi256ELb1ELi1EEvPKT_PKT0_S7_ifPKiS9_S9_iPKfiiiPfSC_PS2_PT2_iSB_SB_,"axG",@progbits,_Z39paged_attention_ll4mi_QKV_mfma16_kernelIDF16_DF16_LN4vllm18Fp8KVCacheDataTypeE0EDF16_Li16ELi64ELi256ELb1ELi1EEvPKT_PKT0_S7_ifPKiS9_S9_iPKfiiiPfSC_PS2_PT2_iSB_SB_,comdat
.Lfunc_end80:
	.size	_Z39paged_attention_ll4mi_QKV_mfma16_kernelIDF16_DF16_LN4vllm18Fp8KVCacheDataTypeE0EDF16_Li16ELi64ELi256ELb1ELi1EEvPKT_PKT0_S7_ifPKiS9_S9_iPKfiiiPfSC_PS2_PT2_iSB_SB_, .Lfunc_end80-_Z39paged_attention_ll4mi_QKV_mfma16_kernelIDF16_DF16_LN4vllm18Fp8KVCacheDataTypeE0EDF16_Li16ELi64ELi256ELb1ELi1EEvPKT_PKT0_S7_ifPKiS9_S9_iPKfiiiPfSC_PS2_PT2_iSB_SB_
                                        ; -- End function
	.section	.AMDGPU.csdata,"",@progbits
; Kernel info:
; codeLenInByte = 3908
; NumSgprs: 54
; NumVgprs: 72
; NumAgprs: 0
; TotalNumVgprs: 72
; ScratchSize: 0
; MemoryBound: 0
; FloatMode: 240
; IeeeMode: 1
; LDSByteSize: 8192 bytes/workgroup (compile time only)
; SGPRBlocks: 6
; VGPRBlocks: 8
; NumSGPRsForWavesPerEU: 54
; NumVGPRsForWavesPerEU: 72
; AccumOffset: 72
; Occupancy: 7
; WaveLimiterHint : 1
; COMPUTE_PGM_RSRC2:SCRATCH_EN: 0
; COMPUTE_PGM_RSRC2:USER_SGPR: 2
; COMPUTE_PGM_RSRC2:TRAP_HANDLER: 0
; COMPUTE_PGM_RSRC2:TGID_X_EN: 1
; COMPUTE_PGM_RSRC2:TGID_Y_EN: 1
; COMPUTE_PGM_RSRC2:TGID_Z_EN: 1
; COMPUTE_PGM_RSRC2:TIDIG_COMP_CNT: 0
; COMPUTE_PGM_RSRC3_GFX90A:ACCUM_OFFSET: 17
; COMPUTE_PGM_RSRC3_GFX90A:TG_SPLIT: 0
	.section	.text._Z39paged_attention_ll4mi_QKV_mfma16_kernelIDF16_DF16_LN4vllm18Fp8KVCacheDataTypeE0EDF16_Li16ELi64ELi256ELb1ELi2EEvPKT_PKT0_S7_ifPKiS9_S9_iPKfiiiPfSC_PS2_PT2_iSB_SB_,"axG",@progbits,_Z39paged_attention_ll4mi_QKV_mfma16_kernelIDF16_DF16_LN4vllm18Fp8KVCacheDataTypeE0EDF16_Li16ELi64ELi256ELb1ELi2EEvPKT_PKT0_S7_ifPKiS9_S9_iPKfiiiPfSC_PS2_PT2_iSB_SB_,comdat
	.protected	_Z39paged_attention_ll4mi_QKV_mfma16_kernelIDF16_DF16_LN4vllm18Fp8KVCacheDataTypeE0EDF16_Li16ELi64ELi256ELb1ELi2EEvPKT_PKT0_S7_ifPKiS9_S9_iPKfiiiPfSC_PS2_PT2_iSB_SB_ ; -- Begin function _Z39paged_attention_ll4mi_QKV_mfma16_kernelIDF16_DF16_LN4vllm18Fp8KVCacheDataTypeE0EDF16_Li16ELi64ELi256ELb1ELi2EEvPKT_PKT0_S7_ifPKiS9_S9_iPKfiiiPfSC_PS2_PT2_iSB_SB_
	.globl	_Z39paged_attention_ll4mi_QKV_mfma16_kernelIDF16_DF16_LN4vllm18Fp8KVCacheDataTypeE0EDF16_Li16ELi64ELi256ELb1ELi2EEvPKT_PKT0_S7_ifPKiS9_S9_iPKfiiiPfSC_PS2_PT2_iSB_SB_
	.p2align	8
	.type	_Z39paged_attention_ll4mi_QKV_mfma16_kernelIDF16_DF16_LN4vllm18Fp8KVCacheDataTypeE0EDF16_Li16ELi64ELi256ELb1ELi2EEvPKT_PKT0_S7_ifPKiS9_S9_iPKfiiiPfSC_PS2_PT2_iSB_SB_,@function
_Z39paged_attention_ll4mi_QKV_mfma16_kernelIDF16_DF16_LN4vllm18Fp8KVCacheDataTypeE0EDF16_Li16ELi64ELi256ELb1ELi2EEvPKT_PKT0_S7_ifPKiS9_S9_iPKfiiiPfSC_PS2_PT2_iSB_SB_: ; @_Z39paged_attention_ll4mi_QKV_mfma16_kernelIDF16_DF16_LN4vllm18Fp8KVCacheDataTypeE0EDF16_Li16ELi64ELi256ELb1ELi2EEvPKT_PKT0_S7_ifPKiS9_S9_iPKfiiiPfSC_PS2_PT2_iSB_SB_
; %bb.0:
	s_load_dwordx2 s[8:9], s[0:1], 0x30
	s_mov_b32 s28, s3
	s_mov_b64 s[6:7], 0
	s_waitcnt lgkmcnt(0)
	s_cmp_lg_u64 s[8:9], 0
	s_cselect_b64 s[10:11], -1, 0
	s_and_b64 vcc, exec, s[10:11]
	s_cbranch_vccz .LBB81_7
; %bb.1:
	s_add_i32 s12, s2, 1
	s_mov_b32 s13, 0
	s_lshl_b64 s[14:15], s[12:13], 2
	s_add_u32 s14, s8, s14
	s_mov_b32 s3, s13
	s_addc_u32 s15, s9, s15
	s_lshl_b64 s[12:13], s[2:3], 2
	s_add_u32 s12, s8, s12
	s_addc_u32 s13, s9, s13
	s_load_dword s5, s[14:15], 0x0
	s_load_dword s16, s[12:13], 0x0
	s_waitcnt lgkmcnt(0)
	s_sub_i32 s5, s5, s16
	s_cmp_eq_u32 s5, 1
	s_cselect_b64 s[12:13], -1, 0
	s_andn2_b64 vcc, exec, s[6:7]
	s_cbranch_vccnz .LBB81_3
.LBB81_2:
	s_mov_b32 s3, 0
	s_mov_b64 s[12:13], -1
.LBB81_3:
	s_andn2_b64 vcc, exec, s[12:13]
	s_cbranch_vccnz .LBB81_19
; %bb.4:
	s_load_dwordx2 s[6:7], s[0:1], 0x28
	s_lshl_b64 s[12:13], s[2:3], 2
	s_waitcnt lgkmcnt(0)
	s_add_u32 s6, s6, s12
	s_addc_u32 s7, s7, s13
	s_load_dword s33, s[6:7], 0x0
	s_lshl_b32 s16, s28, 8
	s_waitcnt lgkmcnt(0)
	s_cmp_ge_i32 s16, s33
	s_cbranch_scc1 .LBB81_19
; %bb.5:
	s_load_dwordx2 s[6:7], s[0:1], 0x20
	s_load_dword s5, s[0:1], 0x38
	s_add_i32 s14, s33, 15
	s_ashr_i32 s15, s14, 31
	v_and_b32_e32 v1, 0xcf, v0
	s_lshr_b32 s15, s15, 28
	v_add_u32_e32 v1, s16, v1
	s_add_i32 s14, s14, s15
	v_ashrrev_i32_e32 v2, 31, v1
	s_ashr_i32 s17, s14, 4
	v_lshrrev_b32_e32 v6, 28, v2
	s_add_i32 s17, s17, -1
	s_waitcnt lgkmcnt(0)
	s_mul_i32 s14, s2, s5
	s_mov_b32 s15, 0
	v_add_u32_e32 v2, v1, v6
	s_lshl_b64 s[14:15], s[14:15], 2
	v_ashrrev_i32_e32 v2, 4, v2
	v_mov_b32_e32 v7, s17
	v_cmp_gt_i32_e32 vcc, s33, v1
	s_add_u32 s6, s6, s14
	s_addc_u32 s7, s7, s15
	v_cndmask_b32_e32 v2, v7, v2, vcc
	v_ashrrev_i32_e32 v3, 31, v2
	v_lshl_add_u64 v[4:5], v[2:3], 2, s[6:7]
	v_or_b32_e32 v2, 16, v1
	v_add_u32_e32 v3, v2, v6
	v_ashrrev_i32_e32 v3, 4, v3
	v_cmp_gt_i32_e32 vcc, s33, v2
	s_load_dwordx2 s[14:15], s[0:1], 0x8
	s_nop 0
	v_cndmask_b32_e32 v2, v7, v3, vcc
	v_ashrrev_i32_e32 v3, 31, v2
	v_lshl_add_u64 v[8:9], v[2:3], 2, s[6:7]
	v_or_b32_e32 v2, 32, v1
	v_add_u32_e32 v3, v2, v6
	v_ashrrev_i32_e32 v3, 4, v3
	v_cmp_gt_i32_e32 vcc, s33, v2
	v_or_b32_e32 v1, 48, v1
	s_nop 0
	v_cndmask_b32_e32 v2, v7, v3, vcc
	v_ashrrev_i32_e32 v3, 31, v2
	v_lshl_add_u64 v[10:11], v[2:3], 2, s[6:7]
	v_add_u32_e32 v2, v1, v6
	v_ashrrev_i32_e32 v2, 4, v2
	v_cmp_gt_i32_e32 vcc, s33, v1
	s_nop 1
	v_cndmask_b32_e32 v2, v7, v2, vcc
	v_ashrrev_i32_e32 v3, 31, v2
	v_lshl_add_u64 v[12:13], v[2:3], 2, s[6:7]
	global_load_dword v3, v[4:5], off
	global_load_dword v2, v[8:9], off
	;; [unrolled: 1-line block ×4, first 2 shown]
	s_andn2_b64 vcc, exec, s[10:11]
	s_cbranch_vccnz .LBB81_8
; %bb.6:
	s_add_u32 s8, s8, s12
	s_addc_u32 s9, s9, s13
	s_load_dword s5, s[8:9], 0x0
	s_branch .LBB81_9
.LBB81_7:
	s_mov_b64 s[12:13], 0
	s_branch .LBB81_2
.LBB81_8:
	s_mov_b32 s5, s2
.LBB81_9:
	s_load_dwordx2 s[8:9], s[0:1], 0x10
	s_load_dwordx4 s[44:47], s[0:1], 0x48
	v_lshrrev_b32_e32 v54, 6, v0
	v_bfe_u32 v1, v0, 4, 2
	v_lshl_or_b32 v4, v54, 2, v1
	v_and_b32_e32 v55, 15, v0
	v_lshlrev_b32_e32 v5, 3, v55
	v_cmp_gt_u32_e32 vcc, 2, v4
	v_cmp_gt_u32_e64 s[30:31], 8, v55
	s_lshl_b32 s29, s4, 1
	s_and_b64 s[12:13], s[30:31], vcc
	v_lshlrev_b32_e32 v42, 1, v5
	s_and_saveexec_b64 s[10:11], s[12:13]
	s_cbranch_execz .LBB81_11
; %bb.10:
	s_load_dwordx2 s[12:13], s[0:1], 0x0
	s_waitcnt lgkmcnt(0)
	s_ashr_i32 s18, s44, 31
	s_mul_hi_u32 s19, s5, s44
	s_mul_i32 s18, s5, s18
	s_add_i32 s19, s19, s18
	s_mul_i32 s18, s5, s44
	s_lshl_b64 s[18:19], s[18:19], 1
	s_add_u32 s12, s12, s18
	v_add_lshl_u32 v8, v1, s29, 6
	s_addc_u32 s13, s13, s19
	v_ashrrev_i32_e32 v9, 31, v8
	v_lshl_add_u64 v[8:9], v[8:9], 1, s[12:13]
	v_mov_b32_e32 v43, 0
	v_lshl_add_u64 v[8:9], v[8:9], 0, v[42:43]
	global_load_dwordx4 v[8:11], v[8:9], off
	v_and_b32_e32 v5, 3, v0
	v_lshlrev_b32_e32 v7, 9, v55
	v_lshlrev_b32_e32 v4, 5, v4
	;; [unrolled: 1-line block ×3, first 2 shown]
	v_and_b32_e32 v7, 0x1800, v7
	v_or3_b32 v4, v7, v5, v4
	s_waitcnt vmcnt(0)
	ds_write_b128 v4, v[8:11]
.LBB81_11:
	s_or_b64 exec, exec, s[10:11]
	s_waitcnt lgkmcnt(0)
	s_mul_i32 s4, s4, s46
	s_mov_b32 s5, 0
	s_lshl_b64 s[4:5], s[4:5], 1
	s_add_u32 s10, s14, s4
	v_lshlrev_b32_e32 v52, 4, v0
	s_addc_u32 s11, s15, s5
	v_and_b32_e32 v44, 0xf0, v52
	v_mov_b32_e32 v45, 0
	v_lshl_add_u64 v[16:17], s[10:11], 0, v[44:45]
	s_waitcnt vmcnt(3)
	v_mad_i64_i32 v[4:5], s[10:11], v3, s45, 0
	s_waitcnt vmcnt(2)
	v_mad_i64_i32 v[2:3], s[10:11], v2, s45, 0
	;; [unrolled: 2-line block ×3, first 2 shown]
	v_lshl_add_u64 v[4:5], v[4:5], 1, v[16:17]
	v_and_b32_e32 v44, 0x300, v52
	v_lshl_add_u64 v[2:3], v[2:3], 1, v[16:17]
	v_lshl_add_u64 v[6:7], v[6:7], 1, v[16:17]
	s_waitcnt vmcnt(0)
	v_mad_i64_i32 v[14:15], s[10:11], v14, s45, 0
	v_lshl_add_u64 v[4:5], v[4:5], 0, v[44:45]
	v_lshl_add_u64 v[8:9], v[2:3], 0, v[44:45]
	;; [unrolled: 1-line block ×4, first 2 shown]
	s_barrier
	global_load_dwordx4 v[30:33], v[4:5], off
	global_load_dwordx4 v[10:13], v[4:5], off offset:1024
	global_load_dwordx4 v[22:25], v[8:9], off
	s_nop 0
	global_load_dwordx4 v[2:5], v[8:9], off offset:1024
	global_load_dwordx4 v[26:29], v[18:19], off
	s_nop 0
	global_load_dwordx4 v[6:9], v[18:19], off offset:1024
	v_lshl_add_u64 v[18:19], v[14:15], 0, v[44:45]
	global_load_dwordx4 v[34:37], v[18:19], off
	global_load_dwordx4 v[14:17], v[18:19], off offset:1024
	v_and_b32_e32 v18, 1, v0
	v_lshlrev_b32_e32 v18, 5, v18
	v_lshl_or_b32 v18, v1, 9, v18
	ds_read_b128 v[38:41], v18
	ds_read_b128 v[18:21], v18 offset:2048
	v_and_b32_e32 v53, 63, v0
	v_cmp_gt_u32_e32 vcc, 2, v55
	v_mov_b32_e32 v56, 0
	s_and_saveexec_b64 s[10:11], vcc
	s_cbranch_execz .LBB81_13
; %bb.12:
	s_load_dwordx2 s[12:13], s[0:1], 0x40
	v_or_b32_e32 v46, s29, v55
	v_ashrrev_i32_e32 v47, 31, v46
	s_waitcnt lgkmcnt(0)
	v_lshl_add_u64 v[46:47], v[46:47], 2, s[12:13]
	global_load_dword v56, v[46:47], off
.LBB81_13:
	s_or_b64 exec, exec, s[10:11]
	v_and_or_b32 v44, v0, 48, s16
	v_ashrrev_i32_e32 v43, 4, v44
	v_mov_b32_e32 v57, s17
	v_cmp_gt_i32_e32 vcc, s33, v44
	s_waitcnt vmcnt(5) lgkmcnt(1)
	v_mfma_f32_16x16x16_f16 v[58:61], v[22:23], v[38:39], 0
	s_load_dword s10, s[0:1], 0x1c
	v_cndmask_b32_e32 v46, v57, v43, vcc
	v_ashrrev_i32_e32 v47, 31, v46
	v_or_b32_e32 v43, 64, v44
	v_lshl_add_u64 v[50:51], v[46:47], 2, s[6:7]
	v_mfma_f32_16x16x16_f16 v[46:49], v[30:31], v[38:39], 0
	v_ashrrev_i32_e32 v30, 4, v43
	v_cmp_gt_i32_e32 vcc, s33, v43
	global_load_dword v70, v[50:51], off
	s_waitcnt vmcnt(4)
	v_mfma_f32_16x16x16_f16 v[62:65], v[26:27], v[38:39], 0
	v_cndmask_b32_e32 v30, v57, v30, vcc
	v_ashrrev_i32_e32 v31, 31, v30
	v_lshl_add_u64 v[22:23], v[30:31], 2, s[6:7]
	global_load_dword v71, v[22:23], off
	v_mfma_f32_16x16x16_f16 v[22:25], v[24:25], v[40:41], v[58:61]
	v_and_b32_e32 v26, 0xc0, v0
	s_add_u32 s4, s8, s4
	v_lshlrev_b32_e32 v43, 5, v55
	v_mfma_f32_16x16x16_f16 v[30:33], v[32:33], v[40:41], v[46:49]
	s_addc_u32 s5, s9, s5
	s_mov_b32 s42, 0xff7fffff
	s_waitcnt vmcnt(3)
	v_mfma_f32_16x16x16_f16 v[66:69], v[34:35], v[38:39], 0
	v_or_b32_e32 v38, 0x80, v44
	v_add_u32_e32 v46, s16, v26
	v_or_b32_e32 v39, 0xc0, v44
	v_mfma_f32_16x16x16_f16 v[26:29], v[28:29], v[40:41], v[62:65]
	v_ashrrev_i32_e32 v47, 4, v38
	v_cmp_gt_i32_e32 vcc, s33, v38
	v_ashrrev_i32_e32 v48, 4, v39
	s_waitcnt lgkmcnt(0)
	v_mfma_f32_16x16x16_f16 v[22:25], v[2:3], v[18:19], v[22:25]
	v_cndmask_b32_e32 v38, v57, v47, vcc
	v_cmp_gt_i32_e32 vcc, s33, v39
	v_ashrrev_i32_e32 v39, 31, v38
	v_mfma_f32_16x16x16_f16 v[30:33], v[10:11], v[18:19], v[30:33]
	v_cndmask_b32_e32 v10, v57, v48, vcc
	v_ashrrev_i32_e32 v11, 31, v10
	v_lshl_or_b32 v58, v1, 2, v46
	v_mfma_f32_16x16x16_f16 v[26:29], v[6:7], v[18:19], v[26:29]
	v_lshl_add_u64 v[6:7], v[38:39], 2, s[6:7]
	v_lshl_add_u64 v[38:39], v[10:11], 2, s[6:7]
	v_or_b32_e32 v57, 1, v58
	v_mfma_f32_16x16x16_f16 v[2:5], v[4:5], v[20:21], v[22:25]
	s_nop 2
	global_load_dword v22, v[6:7], off
	global_load_dword v61, v[38:39], off
	v_subrev_u32_e32 v59, s33, v57
	v_cvt_f32_i32_e32 v60, v59
	v_mfma_f32_16x16x16_f16 v[34:37], v[36:37], v[40:41], v[66:69]
	v_pk_mul_f32 v[46:47], s[10:11], v[4:5] op_sel_hi:[0,1]
	v_lshl_or_b32 v44, v54, 9, v43
	v_lshl_add_u64 v[44:45], s[4:5], 0, v[44:45]
	s_waitcnt vmcnt(4)
	v_mfma_f32_16x16x16_f16 v[34:37], v[14:15], v[18:19], v[34:37]
	v_add_u32_e32 v14, 1, v59
	v_add_u32_e32 v15, 2, v59
	v_cvt_f32_i32_e32 v23, v14
	v_cvt_f32_i32_e32 v24, v15
	v_mfma_f32_16x16x16_f16 v[14:17], v[16:17], v[20:21], v[34:37]
	v_add_u32_e32 v18, 3, v59
	v_cvt_f32_i32_e32 v18, v18
	v_pk_mul_f32 v[48:49], s[10:11], v[2:3] op_sel_hi:[0,1]
	v_mfma_f32_16x16x16_f16 v[10:13], v[12:13], v[20:21], v[30:33]
	v_cmp_gt_i32_e64 s[34:35], s33, v57
	s_nop 1
	v_pk_mul_f32 v[36:37], s[10:11], v[14:15] op_sel_hi:[0,1]
	v_add_u32_e32 v15, 19, v59
	v_add_u32_e32 v31, 18, v59
	v_cvt_f32_i32_e32 v14, v31
	v_cvt_f32_i32_e32 v15, v15
	v_mfma_f32_16x16x16_f16 v[6:9], v[8:9], v[20:21], v[26:29]
	v_pk_mul_f32 v[34:35], s[10:11], v[16:17] op_sel_hi:[0,1]
	v_fma_f32 v46, v56, v14, v46
	v_add_u32_e32 v14, 32, v59
	v_fmac_f32_e32 v47, v56, v15
	v_cvt_f32_i32_e32 v14, v14
	v_add_u32_e32 v15, 33, v59
	v_add_u32_e32 v16, 34, v59
	v_cvt_f32_i32_e32 v15, v15
	v_cvt_f32_i32_e32 v16, v16
	v_add_u32_e32 v17, 35, v59
	v_cvt_f32_i32_e32 v17, v17
	v_pk_mul_f32 v[40:41], s[10:11], v[6:7] op_sel_hi:[0,1]
	v_pk_mul_f32 v[38:39], s[10:11], v[8:9] op_sel_hi:[0,1]
	v_fma_f32 v40, v56, v14, v40
	v_add_u32_e32 v14, 48, v59
	v_fmac_f32_e32 v41, v56, v15
	v_fma_f32 v38, v56, v16, v38
	v_cvt_f32_i32_e32 v14, v14
	v_add_u32_e32 v15, 49, v59
	v_add_u32_e32 v16, 50, v59
	v_fmac_f32_e32 v39, v56, v17
	v_cvt_f32_i32_e32 v15, v15
	v_cvt_f32_i32_e32 v16, v16
	v_add_u32_e32 v17, 51, v59
	v_cvt_f32_i32_e32 v17, v17
	v_pk_mul_f32 v[50:51], s[10:11], v[12:13] op_sel_hi:[0,1]
	v_pk_mul_f32 v[10:11], s[10:11], v[10:11] op_sel_hi:[0,1]
	s_waitcnt vmcnt(3)
	v_mad_i64_i32 v[2:3], s[4:5], v70, s45, 0
	s_waitcnt vmcnt(2)
	v_mad_i64_i32 v[12:13], s[4:5], v71, s45, 0
	v_fma_f32 v10, v56, v60, v10
	v_fmac_f32_e32 v11, v56, v23
	v_fma_f32 v36, v56, v14, v36
	v_mov_b32_e32 v14, 0xff7fffff
	v_cmp_gt_i32_e64 s[4:5], s33, v58
	v_add_u32_e32 v19, 16, v59
	v_add_u32_e32 v30, 17, v59
	v_fmac_f32_e32 v37, v56, v15
	v_fma_f32 v34, v56, v16, v34
	v_cndmask_b32_e64 v15, v14, v10, s[4:5]
	v_cndmask_b32_e64 v16, v14, v11, s[34:35]
	v_cvt_f32_i32_e32 v19, v19
	v_cvt_f32_i32_e32 v25, v30
	v_fmac_f32_e32 v35, v56, v17
	v_max3_f32 v15, v15, s42, v16
	v_or_b32_e32 v16, 2, v58
	v_or_b32_e32 v17, 3, v58
	v_fma_f32 v50, v56, v24, v50
	v_fmac_f32_e32 v51, v56, v18
	v_cmp_gt_i32_e64 s[36:37], s33, v16
	v_cmp_gt_i32_e64 s[38:39], s33, v17
	v_fma_f32 v48, v56, v19, v48
	v_cndmask_b32_e64 v16, v14, v50, s[36:37]
	v_cndmask_b32_e64 v17, v14, v51, s[38:39]
	v_max3_f32 v15, v15, v16, v17
	v_or_b32_e32 v16, 16, v58
	v_or_b32_e32 v17, 17, v58
	v_fmac_f32_e32 v49, v56, v25
	v_cmp_gt_i32_e64 s[24:25], s33, v16
	v_cmp_gt_i32_e64 s[26:27], s33, v17
	v_lshl_add_u64 v[2:3], v[2:3], 1, v[44:45]
	v_cndmask_b32_e64 v16, v14, v48, s[24:25]
	v_cndmask_b32_e64 v17, v14, v49, s[26:27]
	v_max3_f32 v15, v15, v16, v17
	v_or_b32_e32 v16, 18, v58
	v_or_b32_e32 v17, 19, v58
	v_cmp_gt_i32_e64 s[20:21], s33, v16
	v_cmp_gt_i32_e64 s[22:23], s33, v17
	v_lshl_add_u64 v[12:13], v[12:13], 1, v[44:45]
	v_cndmask_b32_e64 v16, v14, v46, s[20:21]
	v_cndmask_b32_e64 v17, v14, v47, s[22:23]
	v_max3_f32 v15, v15, v16, v17
	v_or_b32_e32 v16, 32, v58
	v_or_b32_e32 v17, 33, v58
	v_cmp_gt_i32_e64 s[16:17], s33, v16
	v_cmp_gt_i32_e64 s[18:19], s33, v17
	global_load_dwordx4 v[6:9], v[2:3], off
	s_nop 0
	global_load_dwordx4 v[2:5], v[2:3], off offset:16
	v_cndmask_b32_e64 v16, v14, v40, s[16:17]
	v_cndmask_b32_e64 v17, v14, v41, s[18:19]
	v_max3_f32 v15, v15, v16, v17
	v_or_b32_e32 v16, 34, v58
	v_or_b32_e32 v17, 35, v58
	v_cmp_gt_i32_e64 s[12:13], s33, v16
	v_cmp_gt_i32_e64 s[14:15], s33, v17
	global_load_dwordx4 v[30:33], v[12:13], off
	global_load_dwordx4 v[26:29], v[12:13], off offset:16
	v_cndmask_b32_e64 v16, v14, v38, s[12:13]
	v_cndmask_b32_e64 v17, v14, v39, s[14:15]
	v_max3_f32 v15, v15, v16, v17
	v_or_b32_e32 v16, 48, v58
	v_or_b32_e32 v17, 49, v58
	v_cmp_gt_i32_e64 s[8:9], s33, v16
	v_cmp_gt_i32_e64 s[10:11], s33, v17
	s_nop 0
	v_cndmask_b32_e64 v16, v14, v36, s[8:9]
	v_cndmask_b32_e64 v17, v14, v37, s[10:11]
	v_max3_f32 v15, v15, v16, v17
	v_or_b32_e32 v16, 50, v58
	v_or_b32_e32 v17, 51, v58
	v_cmp_gt_i32_e32 vcc, s33, v16
	v_cmp_gt_i32_e64 s[6:7], s33, v17
	s_nop 0
	v_cndmask_b32_e32 v16, v14, v34, vcc
	v_cndmask_b32_e64 v14, v14, v35, s[6:7]
	v_max3_f32 v14, v15, v16, v14
	v_mbcnt_lo_u32_b32 v15, -1, 0
	v_mbcnt_hi_u32_b32 v15, -1, v15
	v_and_b32_e32 v16, 64, v15
	v_add_u32_e32 v16, 64, v16
	v_xor_b32_e32 v17, 32, v15
	v_cmp_lt_i32_e64 s[40:41], v17, v16
	s_nop 1
	v_cndmask_b32_e64 v17, v15, v17, s[40:41]
	v_lshlrev_b32_e32 v57, 2, v17
	ds_bpermute_b32 v17, v57, v14
	s_waitcnt vmcnt(5)
	v_mad_i64_i32 v[12:13], s[40:41], v22, s45, 0
	v_lshl_add_u64 v[12:13], v[12:13], 1, v[44:45]
	global_load_dwordx4 v[22:25], v[12:13], off
	global_load_dwordx4 v[18:21], v[12:13], off offset:16
	s_waitcnt lgkmcnt(0)
	v_max_f32_e32 v17, v17, v17
	v_max_f32_e32 v14, v14, v17
	v_xor_b32_e32 v17, 16, v15
	v_cmp_lt_i32_e64 s[40:41], v17, v16
	s_nop 1
	v_cndmask_b32_e64 v15, v15, v17, s[40:41]
	v_lshlrev_b32_e32 v59, 2, v15
	ds_bpermute_b32 v15, v59, v14
	s_waitcnt vmcnt(6)
	v_mad_i64_i32 v[12:13], s[40:41], v61, s45, 0
	v_lshl_add_u64 v[12:13], v[12:13], 1, v[44:45]
	s_waitcnt lgkmcnt(0)
	v_max_f32_e32 v15, v15, v15
	v_max_f32_e32 v56, v14, v15
	v_sub_f32_e32 v10, v10, v56
	v_mul_f32_e32 v10, 0x3fb8aa3b, v10
	v_exp_f32_e32 v44, v10
	v_sub_f32_e32 v10, v11, v56
	v_mul_f32_e32 v10, 0x3fb8aa3b, v10
	v_exp_f32_e32 v45, v10
	global_load_dwordx4 v[14:17], v[12:13], off
	s_nop 0
	global_load_dwordx4 v[10:13], v[12:13], off offset:16
	v_sub_f32_e32 v50, v50, v56
	v_mul_f32_e32 v50, 0x3fb8aa3b, v50
	v_sub_f32_e32 v51, v51, v56
	v_exp_f32_e32 v50, v50
	v_mul_f32_e32 v51, 0x3fb8aa3b, v51
	v_sub_f32_e32 v48, v48, v56
	v_exp_f32_e32 v51, v51
	v_mul_f32_e32 v48, 0x3fb8aa3b, v48
	v_sub_f32_e32 v49, v49, v56
	v_cndmask_b32_e64 v44, 0, v44, s[4:5]
	v_exp_f32_e32 v48, v48
	v_mul_f32_e32 v49, 0x3fb8aa3b, v49
	v_sub_f32_e32 v46, v46, v56
	v_add_f32_e32 v58, 0, v44
	v_cndmask_b32_e64 v45, 0, v45, s[34:35]
	v_exp_f32_e32 v49, v49
	v_mul_f32_e32 v46, 0x3fb8aa3b, v46
	v_sub_f32_e32 v47, v47, v56
	v_add_f32_e32 v58, v58, v45
	;; [unrolled: 5-line block ×10, first 2 shown]
	v_cndmask_b32_e64 v38, 0, v38, s[12:13]
	v_exp_f32_e32 v34, v34
	v_mul_f32_e32 v35, 0x3fb8aa3b, v35
	v_add_f32_e32 v58, v58, v38
	v_cndmask_b32_e64 v39, 0, v39, s[14:15]
	v_exp_f32_e32 v35, v35
	v_add_f32_e32 v58, v58, v39
	v_cndmask_b32_e64 v36, 0, v36, s[8:9]
	v_add_f32_e32 v58, v58, v36
	v_cndmask_b32_e64 v37, 0, v37, s[10:11]
	v_add_f32_e32 v58, v58, v37
	v_cndmask_b32_e32 v34, 0, v34, vcc
	v_add_f32_e32 v58, v58, v34
	v_cndmask_b32_e64 v35, 0, v35, s[6:7]
	v_add_f32_e32 v58, v58, v35
	ds_bpermute_b32 v57, v57, v58
	s_load_dword s7, s[0:1], 0x98
	v_cmp_gt_u32_e32 vcc, 16, v53
	s_waitcnt lgkmcnt(0)
	s_barrier
	v_add_f32_e32 v58, v58, v57
	ds_bpermute_b32 v59, v59, v58
	v_lshlrev_b32_e32 v57, 2, v55
	s_waitcnt lgkmcnt(0)
	s_and_saveexec_b64 s[4:5], vcc
	s_cbranch_execz .LBB81_15
; %bb.14:
	v_add_f32_e32 v55, v58, v59
	v_lshl_or_b32 v58, v54, 6, v57
	ds_write2st64_b32 v58, v56, v55 offset1:1
.LBB81_15:
	s_or_b64 exec, exec, s[4:5]
	s_load_dword s6, s[0:1], 0x94
	s_waitcnt lgkmcnt(0)
	s_barrier
	ds_read2_b32 v[58:59], v57 offset1:16
	ds_read2_b32 v[60:61], v57 offset0:32 offset1:48
	ds_read2_b32 v[62:63], v57 offset0:64 offset1:80
	s_lshl_b32 s7, s7, 1
	s_waitcnt lgkmcnt(2)
	v_max3_f32 v55, v58, s42, v59
	s_waitcnt lgkmcnt(1)
	v_max3_f32 v55, v55, v60, v61
	v_sub_f32_e32 v56, v58, v55
	v_mul_f32_e32 v56, 0x3fb8aa3b, v56
	v_exp_f32_e32 v64, v56
	v_sub_f32_e32 v56, v59, v55
	v_mul_f32_e32 v56, 0x3fb8aa3b, v56
	v_exp_f32_e32 v65, v56
	;; [unrolled: 3-line block ×3, first 2 shown]
	ds_read2_b32 v[58:59], v57 offset0:96 offset1:112
	v_sub_f32_e32 v56, v61, v55
	v_mul_f32_e32 v56, 0x3fb8aa3b, v56
	v_exp_f32_e32 v57, v56
	s_waitcnt lgkmcnt(1)
	v_fma_f32 v56, v64, v62, 0
	v_fmac_f32_e32 v56, v65, v63
	s_waitcnt lgkmcnt(0)
	v_fmac_f32_e32 v56, v60, v58
	v_fmac_f32_e32 v56, v57, v59
	v_add_f32_e32 v58, 0x358637bd, v56
	v_div_scale_f32 v59, s[4:5], v58, v58, 1.0
	v_rcp_f32_e32 v61, v59
	s_barrier
	v_fma_f32 v62, -v59, v61, 1.0
	v_fmac_f32_e32 v61, v62, v61
	v_div_scale_f32 v62, vcc, 1.0, v58, 1.0
	v_mul_f32_e32 v63, v62, v61
	v_fma_f32 v66, -v59, v63, v62
	v_fmac_f32_e32 v63, v66, v61
	v_fma_f32 v59, -v59, v63, v62
	v_div_fmas_f32 v59, v59, v61, v63
	v_cmp_eq_u32_e32 vcc, 1, v54
	v_div_fixup_f32 v58, v59, v58, 1.0
	s_nop 0
	v_cndmask_b32_e32 v59, v64, v65, vcc
	v_cmp_eq_u32_e32 vcc, 2, v54
	s_nop 1
	v_cndmask_b32_e32 v59, v59, v60, vcc
	v_cmp_eq_u32_e32 vcc, 3, v54
	s_nop 1
	v_cndmask_b32_e32 v57, v59, v57, vcc
	v_mul_f32_e32 v58, v57, v58
	v_pk_mul_f32 v[44:45], v[58:59], v[44:45] op_sel_hi:[0,1]
	v_cvt_f16_f32_e32 v44, v44
	v_cvt_f16_f32_e32 v45, v45
	v_pk_mul_f32 v[50:51], v[58:59], v[50:51] op_sel_hi:[0,1]
	v_cvt_f16_f32_e32 v57, v50
	v_cvt_f16_f32_e32 v51, v51
	v_pack_b32_f16 v50, v44, v45
	v_pk_mul_f32 v[44:45], v[58:59], v[46:47] op_sel_hi:[0,1]
	v_pk_mul_f32 v[46:47], v[58:59], v[48:49] op_sel_hi:[0,1]
	v_cvt_f16_f32_e32 v46, v46
	v_cvt_f16_f32_e32 v47, v47
	;; [unrolled: 1-line block ×4, first 2 shown]
	v_pack_b32_f16 v51, v57, v51
	v_lshlrev_b32_e32 v57, 3, v1
	v_lshlrev_b32_e32 v44, 11, v54
	v_or3_b32 v44, v44, v43, v57
	v_pack_b32_f16 v46, v46, v47
	v_pack_b32_f16 v47, v48, v45
	v_pk_mul_f32 v[38:39], v[58:59], v[38:39] op_sel_hi:[0,1]
	v_pk_mul_f32 v[40:41], v[58:59], v[40:41] op_sel_hi:[0,1]
	;; [unrolled: 1-line block ×4, first 2 shown]
	ds_write2st64_b64 v44, v[50:51], v[46:47] offset1:1
	v_cvt_f16_f32_e32 v40, v40
	v_cvt_f16_f32_e32 v41, v41
	;; [unrolled: 1-line block ×8, first 2 shown]
	v_pack_b32_f16 v34, v40, v41
	v_pack_b32_f16 v35, v38, v39
	;; [unrolled: 1-line block ×4, first 2 shown]
	v_cmp_gt_u32_e32 vcc, 2, v0
	ds_write2st64_b64 v44, v[34:35], v[36:37] offset0:2 offset1:3
	s_and_saveexec_b64 s[4:5], vcc
	s_cbranch_execz .LBB81_17
; %bb.16:
	v_or_b32_e32 v34, s29, v0
	v_mov_b32_e32 v35, 0
	v_mov_b32_e32 v36, s7
	v_mad_u64_u32 v[36:37], s[12:13], s2, v36, v[34:35]
	v_mov_b32_e32 v34, s28
	s_load_dwordx4 s[8:11], s[0:1], 0x58
	s_mul_i32 s3, s3, s7
	v_mad_u64_u32 v[34:35], s[12:13], v36, s6, v[34:35]
	v_add_u32_e32 v37, s3, v37
	v_mov_b32_e32 v36, v35
	v_mad_u64_u32 v[36:37], s[12:13], v37, s6, v[36:37]
	v_mov_b32_e32 v35, v36
	v_lshlrev_b64 v[34:35], 2, v[34:35]
	s_waitcnt lgkmcnt(0)
	v_lshl_add_u64 v[36:37], s[10:11], 0, v[34:35]
	v_lshl_add_u64 v[34:35], s[8:9], 0, v[34:35]
	global_store_dword v[36:37], v55, off
	global_store_dword v[34:35], v56, off
.LBB81_17:
	s_or_b64 exec, exec, s[4:5]
	v_lshl_or_b32 v43, v1, 9, v43
	s_waitcnt lgkmcnt(0)
	s_barrier
	ds_read_b128 v[34:37], v43
	ds_read_b128 v[38:41], v43 offset:16
	s_waitcnt vmcnt(7) lgkmcnt(1)
	v_mfma_f32_16x16x16_f16 v[46:49], v[6:7], v[34:35], 0
	v_cmp_gt_u32_e32 vcc, 64, v0
	v_cmp_gt_u32_e64 s[4:5], 32, v53
	s_and_b64 s[4:5], s[4:5], vcc
	v_mfma_f32_16x16x16_f16 v[6:9], v[8:9], v[36:37], v[46:49]
	s_mov_b32 s3, 0
	s_and_b64 s[4:5], s[4:5], s[30:31]
	s_waitcnt vmcnt(6) lgkmcnt(0)
	v_mfma_f32_16x16x16_f16 v[6:9], v[2:3], v[38:39], v[6:9]
	v_mfma_f32_16x16x16_f16 v[2:5], v[4:5], v[40:41], v[6:9]
	s_nop 5
	ds_read_b128 v[6:9], v43 offset:2048
	ds_read_b128 v[34:37], v43 offset:2064
	s_waitcnt vmcnt(5) lgkmcnt(1)
	v_mfma_f32_16x16x16_f16 v[2:5], v[30:31], v[6:7], v[2:5]
	v_mfma_f32_16x16x16_f16 v[2:5], v[32:33], v[8:9], v[2:5]
	s_waitcnt vmcnt(4) lgkmcnt(0)
	v_mfma_f32_16x16x16_f16 v[2:5], v[26:27], v[34:35], v[2:5]
	v_mfma_f32_16x16x16_f16 v[2:5], v[28:29], v[36:37], v[2:5]
	ds_read_b128 v[6:9], v43 offset:4096
	ds_read_b128 v[26:29], v43 offset:4112
	s_waitcnt vmcnt(3) lgkmcnt(1)
	v_mfma_f32_16x16x16_f16 v[2:5], v[22:23], v[6:7], v[2:5]
	v_mfma_f32_16x16x16_f16 v[2:5], v[24:25], v[8:9], v[2:5]
	s_waitcnt vmcnt(2) lgkmcnt(0)
	v_mfma_f32_16x16x16_f16 v[2:5], v[18:19], v[26:27], v[2:5]
	v_mfma_f32_16x16x16_f16 v[2:5], v[20:21], v[28:29], v[2:5]
	ds_read_b128 v[6:9], v43 offset:6144
	ds_read_b128 v[18:21], v43 offset:6160
	v_mov_b32_e32 v43, 0
	s_waitcnt vmcnt(1) lgkmcnt(0)
	v_mfma_f32_16x16x16_f16 v[2:5], v[14:15], v[6:7], v[2:5]
	s_barrier
	v_mfma_f32_16x16x16_f16 v[2:5], v[16:17], v[8:9], v[2:5]
	s_waitcnt vmcnt(0)
	v_mfma_f32_16x16x16_f16 v[2:5], v[10:11], v[18:19], v[2:5]
	v_mfma_f32_16x16x16_f16 v[2:5], v[12:13], v[20:21], v[2:5]
	s_nop 6
	v_cvt_f16_f32_e32 v2, v2
	v_cvt_f16_f32_e32 v3, v3
	;; [unrolled: 1-line block ×4, first 2 shown]
	v_pack_b32_f16 v2, v2, v3
	v_pack_b32_f16 v3, v4, v5
	ds_write_b64 v44, v[2:3]
	s_waitcnt lgkmcnt(0)
	s_barrier
	s_and_saveexec_b64 s[8:9], s[4:5]
	s_cbranch_execz .LBB81_19
; %bb.18:
	s_load_dwordx2 s[0:1], s[0:1], 0x68
	s_mul_i32 s2, s7, s2
	s_lshl_b32 s6, s6, 6
	s_mul_hi_u32 s5, s2, s6
	s_mul_i32 s4, s2, s6
	v_lshlrev_b32_e32 v0, 10, v0
	s_lshl_b64 s[4:5], s[4:5], 1
	v_and_b32_e32 v0, 0x1800, v0
	v_lshlrev_b32_e32 v2, 5, v1
	v_and_b32_e32 v3, 16, v52
	s_waitcnt lgkmcnt(0)
	s_add_u32 s4, s0, s4
	v_or3_b32 v0, v0, v2, v3
	s_addc_u32 s5, s1, s5
	s_lshl_b32 s2, s28, 6
	ds_read_b128 v[2:5], v0
	s_lshl_b64 s[0:1], s[2:3], 1
	s_add_u32 s0, s4, s0
	v_or_b32_e32 v0, s29, v1
	s_addc_u32 s1, s5, s1
	v_mad_u64_u32 v[0:1], s[2:3], s6, v0, 0
	v_lshl_add_u64 v[0:1], v[0:1], 1, s[0:1]
	v_lshl_add_u64 v[0:1], v[0:1], 0, v[42:43]
	s_waitcnt lgkmcnt(0)
	global_store_dwordx4 v[0:1], v[2:5], off
.LBB81_19:
	s_endpgm
	.section	.rodata,"a",@progbits
	.p2align	6, 0x0
	.amdhsa_kernel _Z39paged_attention_ll4mi_QKV_mfma16_kernelIDF16_DF16_LN4vllm18Fp8KVCacheDataTypeE0EDF16_Li16ELi64ELi256ELb1ELi2EEvPKT_PKT0_S7_ifPKiS9_S9_iPKfiiiPfSC_PS2_PT2_iSB_SB_
		.amdhsa_group_segment_fixed_size 8192
		.amdhsa_private_segment_fixed_size 0
		.amdhsa_kernarg_size 400
		.amdhsa_user_sgpr_count 2
		.amdhsa_user_sgpr_dispatch_ptr 0
		.amdhsa_user_sgpr_queue_ptr 0
		.amdhsa_user_sgpr_kernarg_segment_ptr 1
		.amdhsa_user_sgpr_dispatch_id 0
		.amdhsa_user_sgpr_kernarg_preload_length 0
		.amdhsa_user_sgpr_kernarg_preload_offset 0
		.amdhsa_user_sgpr_private_segment_size 0
		.amdhsa_uses_dynamic_stack 0
		.amdhsa_enable_private_segment 0
		.amdhsa_system_sgpr_workgroup_id_x 1
		.amdhsa_system_sgpr_workgroup_id_y 1
		.amdhsa_system_sgpr_workgroup_id_z 1
		.amdhsa_system_sgpr_workgroup_info 0
		.amdhsa_system_vgpr_workitem_id 0
		.amdhsa_next_free_vgpr 72
		.amdhsa_next_free_sgpr 48
		.amdhsa_accum_offset 72
		.amdhsa_reserve_vcc 1
		.amdhsa_float_round_mode_32 0
		.amdhsa_float_round_mode_16_64 0
		.amdhsa_float_denorm_mode_32 3
		.amdhsa_float_denorm_mode_16_64 3
		.amdhsa_dx10_clamp 1
		.amdhsa_ieee_mode 1
		.amdhsa_fp16_overflow 0
		.amdhsa_tg_split 0
		.amdhsa_exception_fp_ieee_invalid_op 0
		.amdhsa_exception_fp_denorm_src 0
		.amdhsa_exception_fp_ieee_div_zero 0
		.amdhsa_exception_fp_ieee_overflow 0
		.amdhsa_exception_fp_ieee_underflow 0
		.amdhsa_exception_fp_ieee_inexact 0
		.amdhsa_exception_int_div_zero 0
	.end_amdhsa_kernel
	.section	.text._Z39paged_attention_ll4mi_QKV_mfma16_kernelIDF16_DF16_LN4vllm18Fp8KVCacheDataTypeE0EDF16_Li16ELi64ELi256ELb1ELi2EEvPKT_PKT0_S7_ifPKiS9_S9_iPKfiiiPfSC_PS2_PT2_iSB_SB_,"axG",@progbits,_Z39paged_attention_ll4mi_QKV_mfma16_kernelIDF16_DF16_LN4vllm18Fp8KVCacheDataTypeE0EDF16_Li16ELi64ELi256ELb1ELi2EEvPKT_PKT0_S7_ifPKiS9_S9_iPKfiiiPfSC_PS2_PT2_iSB_SB_,comdat
.Lfunc_end81:
	.size	_Z39paged_attention_ll4mi_QKV_mfma16_kernelIDF16_DF16_LN4vllm18Fp8KVCacheDataTypeE0EDF16_Li16ELi64ELi256ELb1ELi2EEvPKT_PKT0_S7_ifPKiS9_S9_iPKfiiiPfSC_PS2_PT2_iSB_SB_, .Lfunc_end81-_Z39paged_attention_ll4mi_QKV_mfma16_kernelIDF16_DF16_LN4vllm18Fp8KVCacheDataTypeE0EDF16_Li16ELi64ELi256ELb1ELi2EEvPKT_PKT0_S7_ifPKiS9_S9_iPKfiiiPfSC_PS2_PT2_iSB_SB_
                                        ; -- End function
	.section	.AMDGPU.csdata,"",@progbits
; Kernel info:
; codeLenInByte = 3988
; NumSgprs: 54
; NumVgprs: 72
; NumAgprs: 0
; TotalNumVgprs: 72
; ScratchSize: 0
; MemoryBound: 0
; FloatMode: 240
; IeeeMode: 1
; LDSByteSize: 8192 bytes/workgroup (compile time only)
; SGPRBlocks: 6
; VGPRBlocks: 8
; NumSGPRsForWavesPerEU: 54
; NumVGPRsForWavesPerEU: 72
; AccumOffset: 72
; Occupancy: 7
; WaveLimiterHint : 1
; COMPUTE_PGM_RSRC2:SCRATCH_EN: 0
; COMPUTE_PGM_RSRC2:USER_SGPR: 2
; COMPUTE_PGM_RSRC2:TRAP_HANDLER: 0
; COMPUTE_PGM_RSRC2:TGID_X_EN: 1
; COMPUTE_PGM_RSRC2:TGID_Y_EN: 1
; COMPUTE_PGM_RSRC2:TGID_Z_EN: 1
; COMPUTE_PGM_RSRC2:TIDIG_COMP_CNT: 0
; COMPUTE_PGM_RSRC3_GFX90A:ACCUM_OFFSET: 17
; COMPUTE_PGM_RSRC3_GFX90A:TG_SPLIT: 0
	.section	.text._Z39paged_attention_ll4mi_QKV_mfma16_kernelIDF16_DF16_LN4vllm18Fp8KVCacheDataTypeE0EDF16_Li16ELi64ELi256ELb1ELi3EEvPKT_PKT0_S7_ifPKiS9_S9_iPKfiiiPfSC_PS2_PT2_iSB_SB_,"axG",@progbits,_Z39paged_attention_ll4mi_QKV_mfma16_kernelIDF16_DF16_LN4vllm18Fp8KVCacheDataTypeE0EDF16_Li16ELi64ELi256ELb1ELi3EEvPKT_PKT0_S7_ifPKiS9_S9_iPKfiiiPfSC_PS2_PT2_iSB_SB_,comdat
	.protected	_Z39paged_attention_ll4mi_QKV_mfma16_kernelIDF16_DF16_LN4vllm18Fp8KVCacheDataTypeE0EDF16_Li16ELi64ELi256ELb1ELi3EEvPKT_PKT0_S7_ifPKiS9_S9_iPKfiiiPfSC_PS2_PT2_iSB_SB_ ; -- Begin function _Z39paged_attention_ll4mi_QKV_mfma16_kernelIDF16_DF16_LN4vllm18Fp8KVCacheDataTypeE0EDF16_Li16ELi64ELi256ELb1ELi3EEvPKT_PKT0_S7_ifPKiS9_S9_iPKfiiiPfSC_PS2_PT2_iSB_SB_
	.globl	_Z39paged_attention_ll4mi_QKV_mfma16_kernelIDF16_DF16_LN4vllm18Fp8KVCacheDataTypeE0EDF16_Li16ELi64ELi256ELb1ELi3EEvPKT_PKT0_S7_ifPKiS9_S9_iPKfiiiPfSC_PS2_PT2_iSB_SB_
	.p2align	8
	.type	_Z39paged_attention_ll4mi_QKV_mfma16_kernelIDF16_DF16_LN4vllm18Fp8KVCacheDataTypeE0EDF16_Li16ELi64ELi256ELb1ELi3EEvPKT_PKT0_S7_ifPKiS9_S9_iPKfiiiPfSC_PS2_PT2_iSB_SB_,@function
_Z39paged_attention_ll4mi_QKV_mfma16_kernelIDF16_DF16_LN4vllm18Fp8KVCacheDataTypeE0EDF16_Li16ELi64ELi256ELb1ELi3EEvPKT_PKT0_S7_ifPKiS9_S9_iPKfiiiPfSC_PS2_PT2_iSB_SB_: ; @_Z39paged_attention_ll4mi_QKV_mfma16_kernelIDF16_DF16_LN4vllm18Fp8KVCacheDataTypeE0EDF16_Li16ELi64ELi256ELb1ELi3EEvPKT_PKT0_S7_ifPKiS9_S9_iPKfiiiPfSC_PS2_PT2_iSB_SB_
; %bb.0:
	s_load_dwordx2 s[8:9], s[0:1], 0x30
	s_mov_b32 s28, s3
	s_mov_b64 s[6:7], 0
	s_waitcnt lgkmcnt(0)
	s_cmp_lg_u64 s[8:9], 0
	s_cselect_b64 s[10:11], -1, 0
	s_and_b64 vcc, exec, s[10:11]
	s_cbranch_vccz .LBB82_7
; %bb.1:
	s_add_i32 s12, s2, 1
	s_mov_b32 s13, 0
	s_lshl_b64 s[14:15], s[12:13], 2
	s_add_u32 s14, s8, s14
	s_mov_b32 s3, s13
	s_addc_u32 s15, s9, s15
	s_lshl_b64 s[12:13], s[2:3], 2
	s_add_u32 s12, s8, s12
	s_addc_u32 s13, s9, s13
	s_load_dword s5, s[14:15], 0x0
	s_load_dword s16, s[12:13], 0x0
	s_waitcnt lgkmcnt(0)
	s_sub_i32 s5, s5, s16
	s_cmp_eq_u32 s5, 1
	s_cselect_b64 s[12:13], -1, 0
	s_andn2_b64 vcc, exec, s[6:7]
	s_cbranch_vccnz .LBB82_3
.LBB82_2:
	s_mov_b32 s3, 0
	s_mov_b64 s[12:13], -1
.LBB82_3:
	s_andn2_b64 vcc, exec, s[12:13]
	s_cbranch_vccnz .LBB82_19
; %bb.4:
	s_load_dwordx2 s[6:7], s[0:1], 0x28
	s_lshl_b64 s[14:15], s[2:3], 2
	s_waitcnt lgkmcnt(0)
	s_add_u32 s6, s6, s14
	s_addc_u32 s7, s7, s15
	s_load_dword s29, s[6:7], 0x0
	s_lshl_b32 s16, s28, 8
	s_waitcnt lgkmcnt(0)
	s_cmp_ge_i32 s16, s29
	s_cbranch_scc1 .LBB82_19
; %bb.5:
	s_load_dwordx2 s[6:7], s[0:1], 0x20
	s_load_dword s5, s[0:1], 0x38
	s_add_i32 s12, s29, 15
	s_ashr_i32 s13, s12, 31
	v_and_b32_e32 v1, 0xcf, v0
	s_lshr_b32 s13, s13, 28
	v_add_u32_e32 v1, s16, v1
	s_add_i32 s12, s12, s13
	v_ashrrev_i32_e32 v2, 31, v1
	s_ashr_i32 s17, s12, 4
	v_lshrrev_b32_e32 v6, 28, v2
	s_add_i32 s17, s17, -1
	s_waitcnt lgkmcnt(0)
	s_mul_i32 s12, s2, s5
	s_mov_b32 s13, 0
	v_add_u32_e32 v2, v1, v6
	s_lshl_b64 s[12:13], s[12:13], 2
	v_ashrrev_i32_e32 v2, 4, v2
	v_mov_b32_e32 v7, s17
	v_cmp_gt_i32_e32 vcc, s29, v1
	s_add_u32 s6, s6, s12
	s_addc_u32 s7, s7, s13
	v_cndmask_b32_e32 v2, v7, v2, vcc
	v_ashrrev_i32_e32 v3, 31, v2
	v_lshl_add_u64 v[4:5], v[2:3], 2, s[6:7]
	v_or_b32_e32 v2, 16, v1
	v_add_u32_e32 v3, v2, v6
	v_ashrrev_i32_e32 v3, 4, v3
	v_cmp_gt_i32_e32 vcc, s29, v2
	s_load_dwordx2 s[12:13], s[0:1], 0x8
	s_nop 0
	v_cndmask_b32_e32 v2, v7, v3, vcc
	v_ashrrev_i32_e32 v3, 31, v2
	v_lshl_add_u64 v[8:9], v[2:3], 2, s[6:7]
	v_or_b32_e32 v2, 32, v1
	v_add_u32_e32 v3, v2, v6
	v_ashrrev_i32_e32 v3, 4, v3
	v_cmp_gt_i32_e32 vcc, s29, v2
	v_or_b32_e32 v1, 48, v1
	s_nop 0
	v_cndmask_b32_e32 v2, v7, v3, vcc
	v_ashrrev_i32_e32 v3, 31, v2
	v_lshl_add_u64 v[10:11], v[2:3], 2, s[6:7]
	v_add_u32_e32 v2, v1, v6
	v_ashrrev_i32_e32 v2, 4, v2
	v_cmp_gt_i32_e32 vcc, s29, v1
	s_nop 1
	v_cndmask_b32_e32 v2, v7, v2, vcc
	v_ashrrev_i32_e32 v3, 31, v2
	v_lshl_add_u64 v[12:13], v[2:3], 2, s[6:7]
	global_load_dword v3, v[4:5], off
	global_load_dword v2, v[8:9], off
	;; [unrolled: 1-line block ×4, first 2 shown]
	s_andn2_b64 vcc, exec, s[10:11]
	s_cbranch_vccnz .LBB82_8
; %bb.6:
	s_add_u32 s8, s8, s14
	s_addc_u32 s9, s9, s15
	s_load_dword s5, s[8:9], 0x0
	s_branch .LBB82_9
.LBB82_7:
	s_mov_b64 s[12:13], 0
	s_branch .LBB82_2
.LBB82_8:
	s_mov_b32 s5, s2
.LBB82_9:
	s_load_dwordx2 s[8:9], s[0:1], 0x10
	s_load_dwordx4 s[44:47], s[0:1], 0x48
	v_lshrrev_b32_e32 v45, 6, v0
	v_bfe_u32 v54, v0, 4, 2
	v_lshl_or_b32 v4, v45, 2, v54
	v_and_b32_e32 v44, 15, v0
	s_mul_i32 s42, s4, 3
	v_lshlrev_b32_e32 v5, 3, v44
	v_cmp_gt_u32_e32 vcc, 3, v4
	v_cmp_gt_u32_e64 s[30:31], 8, v44
	v_add_u32_e32 v1, s42, v54
	s_and_b64 s[14:15], s[30:31], vcc
	v_lshlrev_b32_e32 v42, 1, v5
	s_and_saveexec_b64 s[10:11], s[14:15]
	s_cbranch_execz .LBB82_11
; %bb.10:
	s_load_dwordx2 s[14:15], s[0:1], 0x0
	s_waitcnt lgkmcnt(0)
	s_ashr_i32 s18, s44, 31
	s_mul_hi_u32 s19, s5, s44
	s_mul_i32 s18, s5, s18
	s_add_i32 s19, s19, s18
	s_mul_i32 s18, s5, s44
	s_lshl_b64 s[18:19], s[18:19], 1
	s_add_u32 s14, s14, s18
	v_lshlrev_b32_e32 v8, 6, v1
	s_addc_u32 s15, s15, s19
	v_ashrrev_i32_e32 v9, 31, v8
	v_lshl_add_u64 v[8:9], v[8:9], 1, s[14:15]
	v_mov_b32_e32 v43, 0
	v_lshl_add_u64 v[8:9], v[8:9], 0, v[42:43]
	global_load_dwordx4 v[8:11], v[8:9], off
	v_and_b32_e32 v5, 3, v0
	v_lshlrev_b32_e32 v7, 9, v44
	v_lshlrev_b32_e32 v4, 5, v4
	;; [unrolled: 1-line block ×3, first 2 shown]
	v_and_b32_e32 v7, 0x1800, v7
	v_or3_b32 v4, v7, v5, v4
	s_waitcnt vmcnt(0)
	ds_write_b128 v4, v[8:11]
.LBB82_11:
	s_or_b64 exec, exec, s[10:11]
	s_waitcnt lgkmcnt(0)
	s_mul_i32 s4, s4, s46
	s_mov_b32 s5, 0
	s_lshl_b64 s[4:5], s[4:5], 1
	s_add_u32 s10, s12, s4
	v_lshlrev_b32_e32 v55, 4, v0
	s_addc_u32 s11, s13, s5
	v_and_b32_e32 v46, 0xf0, v55
	v_mov_b32_e32 v47, 0
	v_lshl_add_u64 v[16:17], s[10:11], 0, v[46:47]
	s_waitcnt vmcnt(3)
	v_mad_i64_i32 v[4:5], s[10:11], v3, s45, 0
	s_waitcnt vmcnt(2)
	v_mad_i64_i32 v[2:3], s[10:11], v2, s45, 0
	;; [unrolled: 2-line block ×3, first 2 shown]
	v_lshl_add_u64 v[4:5], v[4:5], 1, v[16:17]
	v_and_b32_e32 v46, 0x300, v55
	v_lshl_add_u64 v[2:3], v[2:3], 1, v[16:17]
	v_lshl_add_u64 v[6:7], v[6:7], 1, v[16:17]
	s_waitcnt vmcnt(0)
	v_mad_i64_i32 v[14:15], s[10:11], v14, s45, 0
	v_lshl_add_u64 v[4:5], v[4:5], 0, v[46:47]
	v_lshl_add_u64 v[8:9], v[2:3], 0, v[46:47]
	;; [unrolled: 1-line block ×4, first 2 shown]
	s_barrier
	global_load_dwordx4 v[30:33], v[4:5], off
	global_load_dwordx4 v[10:13], v[4:5], off offset:1024
	global_load_dwordx4 v[22:25], v[8:9], off
	s_nop 0
	global_load_dwordx4 v[2:5], v[8:9], off offset:1024
	global_load_dwordx4 v[26:29], v[18:19], off
	s_nop 0
	global_load_dwordx4 v[6:9], v[18:19], off offset:1024
	v_lshl_add_u64 v[18:19], v[14:15], 0, v[46:47]
	global_load_dwordx4 v[34:37], v[18:19], off
	global_load_dwordx4 v[14:17], v[18:19], off offset:1024
	v_mul_lo_u16_e32 v18, 0x56, v44
	v_mov_b32_e32 v19, 3
	v_mul_lo_u16_sdwa v18, v18, v19 dst_sel:DWORD dst_unused:UNUSED_PAD src0_sel:BYTE_1 src1_sel:DWORD
	v_sub_u16_e32 v18, v44, v18
	v_mov_b32_e32 v19, 5
	v_lshlrev_b32_sdwa v18, v19, v18 dst_sel:DWORD dst_unused:UNUSED_PAD src0_sel:DWORD src1_sel:BYTE_0
	v_lshl_add_u32 v18, v54, 9, v18
	ds_read_b128 v[38:41], v18
	ds_read_b128 v[18:21], v18 offset:2048
	v_and_b32_e32 v56, 63, v0
	v_cmp_gt_u32_e32 vcc, 3, v44
	v_mov_b32_e32 v57, 0
	s_and_saveexec_b64 s[10:11], vcc
	s_cbranch_execz .LBB82_13
; %bb.12:
	s_load_dwordx2 s[12:13], s[0:1], 0x40
	v_add_u32_e32 v48, s42, v44
	v_ashrrev_i32_e32 v49, 31, v48
	s_waitcnt lgkmcnt(0)
	v_lshl_add_u64 v[48:49], v[48:49], 2, s[12:13]
	global_load_dword v57, v[48:49], off
.LBB82_13:
	s_or_b64 exec, exec, s[10:11]
	v_and_or_b32 v46, v0, 48, s16
	v_ashrrev_i32_e32 v43, 4, v46
	v_mov_b32_e32 v70, s17
	v_cmp_gt_i32_e32 vcc, s29, v46
	s_waitcnt vmcnt(5) lgkmcnt(1)
	v_mfma_f32_16x16x16_f16 v[58:61], v[22:23], v[38:39], 0
	s_load_dword s10, s[0:1], 0x1c
	v_cndmask_b32_e32 v48, v70, v43, vcc
	v_ashrrev_i32_e32 v49, 31, v48
	v_or_b32_e32 v43, 64, v46
	v_lshl_add_u64 v[52:53], v[48:49], 2, s[6:7]
	v_mfma_f32_16x16x16_f16 v[48:51], v[30:31], v[38:39], 0
	v_ashrrev_i32_e32 v30, 4, v43
	v_cmp_gt_i32_e32 vcc, s29, v43
	global_load_dword v71, v[52:53], off
	s_waitcnt vmcnt(4)
	v_mfma_f32_16x16x16_f16 v[62:65], v[26:27], v[38:39], 0
	v_cndmask_b32_e32 v30, v70, v30, vcc
	v_ashrrev_i32_e32 v31, 31, v30
	v_lshl_add_u64 v[22:23], v[30:31], 2, s[6:7]
	global_load_dword v72, v[22:23], off
	v_mfma_f32_16x16x16_f16 v[22:25], v[24:25], v[40:41], v[58:61]
	v_and_b32_e32 v26, 0xc0, v0
	s_add_u32 s4, s8, s4
	v_lshlrev_b32_e32 v43, 5, v44
	v_mfma_f32_16x16x16_f16 v[30:33], v[32:33], v[40:41], v[48:51]
	s_addc_u32 s5, s9, s5
	s_mov_b32 s33, 0xff7fffff
	s_waitcnt vmcnt(3)
	v_mfma_f32_16x16x16_f16 v[66:69], v[34:35], v[38:39], 0
	v_or_b32_e32 v38, 0x80, v46
	v_add_u32_e32 v48, s16, v26
	v_or_b32_e32 v39, 0xc0, v46
	v_mfma_f32_16x16x16_f16 v[26:29], v[28:29], v[40:41], v[62:65]
	v_ashrrev_i32_e32 v49, 4, v38
	v_cmp_gt_i32_e32 vcc, s29, v38
	v_ashrrev_i32_e32 v50, 4, v39
	s_waitcnt lgkmcnt(0)
	v_mfma_f32_16x16x16_f16 v[22:25], v[2:3], v[18:19], v[22:25]
	v_cndmask_b32_e32 v38, v70, v49, vcc
	v_cmp_gt_i32_e32 vcc, s29, v39
	v_ashrrev_i32_e32 v39, 31, v38
	v_mfma_f32_16x16x16_f16 v[30:33], v[10:11], v[18:19], v[30:33]
	v_cndmask_b32_e32 v10, v70, v50, vcc
	v_ashrrev_i32_e32 v11, 31, v10
	v_lshl_or_b32 v58, v54, 2, v48
	v_mfma_f32_16x16x16_f16 v[26:29], v[6:7], v[18:19], v[26:29]
	v_lshl_add_u64 v[6:7], v[38:39], 2, s[6:7]
	v_lshl_add_u64 v[38:39], v[10:11], 2, s[6:7]
	v_or_b32_e32 v59, 1, v58
	v_mfma_f32_16x16x16_f16 v[2:5], v[4:5], v[20:21], v[22:25]
	s_nop 2
	global_load_dword v22, v[6:7], off
	global_load_dword v62, v[38:39], off
	v_subrev_u32_e32 v60, s29, v59
	v_cvt_f32_i32_e32 v61, v60
	v_mfma_f32_16x16x16_f16 v[34:37], v[36:37], v[40:41], v[66:69]
	v_pk_mul_f32 v[48:49], s[10:11], v[4:5] op_sel_hi:[0,1]
	v_lshl_or_b32 v46, v45, 9, v43
	v_lshl_add_u64 v[46:47], s[4:5], 0, v[46:47]
	s_waitcnt vmcnt(4)
	v_mfma_f32_16x16x16_f16 v[34:37], v[14:15], v[18:19], v[34:37]
	v_add_u32_e32 v14, 1, v60
	v_add_u32_e32 v15, 2, v60
	v_cvt_f32_i32_e32 v23, v14
	v_cvt_f32_i32_e32 v24, v15
	v_mfma_f32_16x16x16_f16 v[14:17], v[16:17], v[20:21], v[34:37]
	v_add_u32_e32 v18, 3, v60
	v_cvt_f32_i32_e32 v18, v18
	v_pk_mul_f32 v[50:51], s[10:11], v[2:3] op_sel_hi:[0,1]
	v_mfma_f32_16x16x16_f16 v[10:13], v[12:13], v[20:21], v[30:33]
	v_cmp_gt_i32_e64 s[34:35], s29, v59
	s_nop 1
	v_pk_mul_f32 v[36:37], s[10:11], v[14:15] op_sel_hi:[0,1]
	v_add_u32_e32 v15, 19, v60
	v_add_u32_e32 v31, 18, v60
	v_cvt_f32_i32_e32 v14, v31
	v_cvt_f32_i32_e32 v15, v15
	v_mfma_f32_16x16x16_f16 v[6:9], v[8:9], v[20:21], v[26:29]
	v_pk_mul_f32 v[34:35], s[10:11], v[16:17] op_sel_hi:[0,1]
	v_fma_f32 v48, v57, v14, v48
	v_add_u32_e32 v14, 32, v60
	v_fmac_f32_e32 v49, v57, v15
	v_cvt_f32_i32_e32 v14, v14
	v_add_u32_e32 v15, 33, v60
	v_add_u32_e32 v16, 34, v60
	v_cvt_f32_i32_e32 v15, v15
	v_cvt_f32_i32_e32 v16, v16
	v_add_u32_e32 v17, 35, v60
	v_cvt_f32_i32_e32 v17, v17
	v_pk_mul_f32 v[40:41], s[10:11], v[6:7] op_sel_hi:[0,1]
	v_pk_mul_f32 v[38:39], s[10:11], v[8:9] op_sel_hi:[0,1]
	v_fma_f32 v40, v57, v14, v40
	v_add_u32_e32 v14, 48, v60
	v_fmac_f32_e32 v41, v57, v15
	v_fma_f32 v38, v57, v16, v38
	v_cvt_f32_i32_e32 v14, v14
	v_add_u32_e32 v15, 49, v60
	v_add_u32_e32 v16, 50, v60
	v_fmac_f32_e32 v39, v57, v17
	v_cvt_f32_i32_e32 v15, v15
	v_cvt_f32_i32_e32 v16, v16
	v_add_u32_e32 v17, 51, v60
	v_cvt_f32_i32_e32 v17, v17
	v_pk_mul_f32 v[52:53], s[10:11], v[12:13] op_sel_hi:[0,1]
	v_pk_mul_f32 v[10:11], s[10:11], v[10:11] op_sel_hi:[0,1]
	s_waitcnt vmcnt(3)
	v_mad_i64_i32 v[2:3], s[4:5], v71, s45, 0
	s_waitcnt vmcnt(2)
	v_mad_i64_i32 v[12:13], s[4:5], v72, s45, 0
	v_fma_f32 v10, v57, v61, v10
	v_fmac_f32_e32 v11, v57, v23
	v_fma_f32 v36, v57, v14, v36
	v_mov_b32_e32 v14, 0xff7fffff
	v_cmp_gt_i32_e64 s[4:5], s29, v58
	v_add_u32_e32 v19, 16, v60
	v_add_u32_e32 v30, 17, v60
	v_fmac_f32_e32 v37, v57, v15
	v_fma_f32 v34, v57, v16, v34
	v_cndmask_b32_e64 v15, v14, v10, s[4:5]
	v_cndmask_b32_e64 v16, v14, v11, s[34:35]
	v_cvt_f32_i32_e32 v19, v19
	v_cvt_f32_i32_e32 v25, v30
	v_fmac_f32_e32 v35, v57, v17
	v_max3_f32 v15, v15, s33, v16
	v_or_b32_e32 v16, 2, v58
	v_or_b32_e32 v17, 3, v58
	v_fma_f32 v52, v57, v24, v52
	v_fmac_f32_e32 v53, v57, v18
	v_cmp_gt_i32_e64 s[36:37], s29, v16
	v_cmp_gt_i32_e64 s[38:39], s29, v17
	v_fma_f32 v50, v57, v19, v50
	v_cndmask_b32_e64 v16, v14, v52, s[36:37]
	v_cndmask_b32_e64 v17, v14, v53, s[38:39]
	v_max3_f32 v15, v15, v16, v17
	v_or_b32_e32 v16, 16, v58
	v_or_b32_e32 v17, 17, v58
	v_fmac_f32_e32 v51, v57, v25
	v_cmp_gt_i32_e64 s[24:25], s29, v16
	v_cmp_gt_i32_e64 s[26:27], s29, v17
	v_lshl_add_u64 v[2:3], v[2:3], 1, v[46:47]
	v_cndmask_b32_e64 v16, v14, v50, s[24:25]
	v_cndmask_b32_e64 v17, v14, v51, s[26:27]
	v_max3_f32 v15, v15, v16, v17
	v_or_b32_e32 v16, 18, v58
	v_or_b32_e32 v17, 19, v58
	v_cmp_gt_i32_e64 s[20:21], s29, v16
	v_cmp_gt_i32_e64 s[22:23], s29, v17
	v_lshl_add_u64 v[12:13], v[12:13], 1, v[46:47]
	v_cndmask_b32_e64 v16, v14, v48, s[20:21]
	v_cndmask_b32_e64 v17, v14, v49, s[22:23]
	v_max3_f32 v15, v15, v16, v17
	v_or_b32_e32 v16, 32, v58
	v_or_b32_e32 v17, 33, v58
	v_cmp_gt_i32_e64 s[16:17], s29, v16
	v_cmp_gt_i32_e64 s[18:19], s29, v17
	global_load_dwordx4 v[6:9], v[2:3], off
	s_nop 0
	global_load_dwordx4 v[2:5], v[2:3], off offset:16
	v_cndmask_b32_e64 v16, v14, v40, s[16:17]
	v_cndmask_b32_e64 v17, v14, v41, s[18:19]
	v_max3_f32 v15, v15, v16, v17
	v_or_b32_e32 v16, 34, v58
	v_or_b32_e32 v17, 35, v58
	v_cmp_gt_i32_e64 s[12:13], s29, v16
	v_cmp_gt_i32_e64 s[14:15], s29, v17
	global_load_dwordx4 v[30:33], v[12:13], off
	global_load_dwordx4 v[26:29], v[12:13], off offset:16
	v_cndmask_b32_e64 v16, v14, v38, s[12:13]
	v_cndmask_b32_e64 v17, v14, v39, s[14:15]
	v_max3_f32 v15, v15, v16, v17
	v_or_b32_e32 v16, 48, v58
	v_or_b32_e32 v17, 49, v58
	v_cmp_gt_i32_e64 s[8:9], s29, v16
	v_cmp_gt_i32_e64 s[10:11], s29, v17
	s_nop 0
	v_cndmask_b32_e64 v16, v14, v36, s[8:9]
	v_cndmask_b32_e64 v17, v14, v37, s[10:11]
	v_max3_f32 v15, v15, v16, v17
	v_or_b32_e32 v16, 50, v58
	v_or_b32_e32 v17, 51, v58
	v_cmp_gt_i32_e32 vcc, s29, v16
	v_cmp_gt_i32_e64 s[6:7], s29, v17
	s_nop 0
	v_cndmask_b32_e32 v16, v14, v34, vcc
	v_cndmask_b32_e64 v14, v14, v35, s[6:7]
	v_max3_f32 v14, v15, v16, v14
	v_mbcnt_lo_u32_b32 v15, -1, 0
	v_mbcnt_hi_u32_b32 v15, -1, v15
	v_and_b32_e32 v16, 64, v15
	v_add_u32_e32 v16, 64, v16
	v_xor_b32_e32 v17, 32, v15
	v_cmp_lt_i32_e64 s[40:41], v17, v16
	s_nop 1
	v_cndmask_b32_e64 v17, v15, v17, s[40:41]
	v_lshlrev_b32_e32 v58, 2, v17
	ds_bpermute_b32 v17, v58, v14
	s_waitcnt vmcnt(5)
	v_mad_i64_i32 v[12:13], s[40:41], v22, s45, 0
	v_lshl_add_u64 v[12:13], v[12:13], 1, v[46:47]
	global_load_dwordx4 v[22:25], v[12:13], off
	global_load_dwordx4 v[18:21], v[12:13], off offset:16
	s_waitcnt lgkmcnt(0)
	v_max_f32_e32 v17, v17, v17
	v_max_f32_e32 v14, v14, v17
	v_xor_b32_e32 v17, 16, v15
	v_cmp_lt_i32_e64 s[40:41], v17, v16
	s_nop 1
	v_cndmask_b32_e64 v15, v15, v17, s[40:41]
	v_lshlrev_b32_e32 v60, 2, v15
	ds_bpermute_b32 v15, v60, v14
	s_waitcnt vmcnt(6)
	v_mad_i64_i32 v[12:13], s[40:41], v62, s45, 0
	v_lshl_add_u64 v[12:13], v[12:13], 1, v[46:47]
	s_waitcnt lgkmcnt(0)
	v_max_f32_e32 v15, v15, v15
	v_max_f32_e32 v57, v14, v15
	v_sub_f32_e32 v10, v10, v57
	v_mul_f32_e32 v10, 0x3fb8aa3b, v10
	v_exp_f32_e32 v46, v10
	v_sub_f32_e32 v10, v11, v57
	v_mul_f32_e32 v10, 0x3fb8aa3b, v10
	v_exp_f32_e32 v47, v10
	global_load_dwordx4 v[14:17], v[12:13], off
	s_nop 0
	global_load_dwordx4 v[10:13], v[12:13], off offset:16
	v_sub_f32_e32 v52, v52, v57
	v_mul_f32_e32 v52, 0x3fb8aa3b, v52
	v_sub_f32_e32 v53, v53, v57
	v_exp_f32_e32 v52, v52
	v_mul_f32_e32 v53, 0x3fb8aa3b, v53
	v_sub_f32_e32 v50, v50, v57
	v_exp_f32_e32 v53, v53
	v_mul_f32_e32 v50, 0x3fb8aa3b, v50
	v_sub_f32_e32 v51, v51, v57
	v_cndmask_b32_e64 v46, 0, v46, s[4:5]
	v_exp_f32_e32 v50, v50
	v_mul_f32_e32 v51, 0x3fb8aa3b, v51
	v_sub_f32_e32 v48, v48, v57
	v_add_f32_e32 v59, 0, v46
	v_cndmask_b32_e64 v47, 0, v47, s[34:35]
	v_exp_f32_e32 v51, v51
	v_mul_f32_e32 v48, 0x3fb8aa3b, v48
	v_sub_f32_e32 v49, v49, v57
	v_add_f32_e32 v59, v59, v47
	;; [unrolled: 5-line block ×10, first 2 shown]
	v_cndmask_b32_e64 v38, 0, v38, s[12:13]
	v_exp_f32_e32 v34, v34
	v_mul_f32_e32 v35, 0x3fb8aa3b, v35
	v_add_f32_e32 v59, v59, v38
	v_cndmask_b32_e64 v39, 0, v39, s[14:15]
	v_exp_f32_e32 v35, v35
	v_add_f32_e32 v59, v59, v39
	v_cndmask_b32_e64 v36, 0, v36, s[8:9]
	v_add_f32_e32 v59, v59, v36
	v_cndmask_b32_e64 v37, 0, v37, s[10:11]
	v_add_f32_e32 v59, v59, v37
	v_cndmask_b32_e32 v34, 0, v34, vcc
	v_add_f32_e32 v59, v59, v34
	v_cndmask_b32_e64 v35, 0, v35, s[6:7]
	v_add_f32_e32 v59, v59, v35
	ds_bpermute_b32 v58, v58, v59
	s_load_dword s7, s[0:1], 0x98
	v_cmp_gt_u32_e32 vcc, 16, v56
	s_waitcnt lgkmcnt(0)
	s_barrier
	v_add_f32_e32 v59, v59, v58
	ds_bpermute_b32 v60, v60, v59
	v_lshlrev_b32_e32 v58, 2, v44
	s_waitcnt lgkmcnt(0)
	s_and_saveexec_b64 s[4:5], vcc
	s_cbranch_execz .LBB82_15
; %bb.14:
	v_add_f32_e32 v56, v59, v60
	v_lshl_or_b32 v59, v45, 6, v58
	ds_write2st64_b32 v59, v57, v56 offset1:1
.LBB82_15:
	s_or_b64 exec, exec, s[4:5]
	s_load_dword s6, s[0:1], 0x94
	s_waitcnt lgkmcnt(0)
	s_barrier
	ds_read2_b32 v[60:61], v58 offset1:16
	ds_read2_b32 v[62:63], v58 offset0:32 offset1:48
	ds_read2_b32 v[64:65], v58 offset0:64 offset1:80
	;; [unrolled: 1-line block ×3, first 2 shown]
	s_mul_i32 s7, s7, 3
	s_waitcnt lgkmcnt(3)
	v_max3_f32 v56, v60, s33, v61
	s_waitcnt lgkmcnt(2)
	v_max3_f32 v56, v56, v62, v63
	v_sub_f32_e32 v57, v60, v56
	v_mul_f32_e32 v57, 0x3fb8aa3b, v57
	v_exp_f32_e32 v60, v57
	v_sub_f32_e32 v57, v61, v56
	v_mul_f32_e32 v57, 0x3fb8aa3b, v57
	v_exp_f32_e32 v61, v57
	;; [unrolled: 3-line block ×4, first 2 shown]
	s_waitcnt lgkmcnt(1)
	v_fma_f32 v57, v60, v64, 0
	v_fmac_f32_e32 v57, v61, v65
	s_waitcnt lgkmcnt(0)
	v_fmac_f32_e32 v57, v62, v58
	v_fmac_f32_e32 v57, v63, v59
	v_add_f32_e32 v58, 0x358637bd, v57
	v_div_scale_f32 v59, s[4:5], v58, v58, 1.0
	v_rcp_f32_e32 v64, v59
	s_barrier
	v_fma_f32 v65, -v59, v64, 1.0
	v_fmac_f32_e32 v64, v65, v64
	v_div_scale_f32 v65, vcc, 1.0, v58, 1.0
	v_mul_f32_e32 v66, v65, v64
	v_fma_f32 v67, -v59, v66, v65
	v_fmac_f32_e32 v66, v67, v64
	v_fma_f32 v59, -v59, v66, v65
	v_div_fmas_f32 v59, v59, v64, v66
	v_cmp_eq_u32_e32 vcc, 1, v45
	v_div_fixup_f32 v58, v59, v58, 1.0
	s_nop 0
	v_cndmask_b32_e32 v59, v60, v61, vcc
	v_cmp_eq_u32_e32 vcc, 2, v45
	s_nop 1
	v_cndmask_b32_e32 v59, v59, v62, vcc
	v_cmp_eq_u32_e32 vcc, 3, v45
	v_lshlrev_b32_e32 v45, 11, v45
	s_nop 0
	v_cndmask_b32_e32 v59, v59, v63, vcc
	v_mul_f32_e32 v58, v59, v58
	v_pk_mul_f32 v[52:53], v[58:59], v[52:53] op_sel_hi:[0,1]
	v_pk_mul_f32 v[46:47], v[58:59], v[46:47] op_sel_hi:[0,1]
	v_cvt_f16_f32_e32 v59, v52
	v_cvt_f16_f32_e32 v53, v53
	;; [unrolled: 1-line block ×4, first 2 shown]
	v_cmp_gt_u32_e32 vcc, 3, v0
	v_pack_b32_f16 v53, v59, v53
	v_lshlrev_b32_e32 v59, 3, v54
	v_pack_b32_f16 v52, v46, v47
	v_pk_mul_f32 v[46:47], v[58:59], v[48:49] op_sel_hi:[0,1]
	v_pk_mul_f32 v[48:49], v[58:59], v[50:51] op_sel_hi:[0,1]
	v_cvt_f16_f32_e32 v48, v48
	v_cvt_f16_f32_e32 v49, v49
	v_cvt_f16_f32_e32 v50, v46
	v_cvt_f16_f32_e32 v47, v47
	v_pk_mul_f32 v[38:39], v[58:59], v[38:39] op_sel_hi:[0,1]
	v_pk_mul_f32 v[40:41], v[58:59], v[40:41] op_sel_hi:[0,1]
	;; [unrolled: 1-line block ×4, first 2 shown]
	v_or3_b32 v46, v45, v43, v59
	v_pack_b32_f16 v48, v48, v49
	v_pack_b32_f16 v49, v50, v47
	v_cvt_f16_f32_e32 v40, v40
	v_cvt_f16_f32_e32 v41, v41
	;; [unrolled: 1-line block ×8, first 2 shown]
	v_pack_b32_f16 v34, v40, v41
	v_pack_b32_f16 v35, v38, v39
	;; [unrolled: 1-line block ×4, first 2 shown]
	ds_write2st64_b64 v46, v[52:53], v[48:49] offset1:1
	ds_write2st64_b64 v46, v[34:35], v[36:37] offset0:2 offset1:3
	s_and_saveexec_b64 s[4:5], vcc
	s_cbranch_execz .LBB82_17
; %bb.16:
	s_mov_b32 s43, 0
	v_mov_b32_e32 v45, 0
	v_lshl_add_u64 v[34:35], s[42:43], 0, v[44:45]
	v_mov_b32_e32 v36, s7
	v_mad_u64_u32 v[34:35], s[12:13], s2, v36, v[34:35]
	s_mul_i32 s3, s3, s7
	v_mov_b32_e32 v44, s28
	s_load_dwordx4 s[8:11], s[0:1], 0x58
	v_add_u32_e32 v37, s3, v35
	v_mad_u64_u32 v[34:35], s[12:13], v34, s6, v[44:45]
	v_mov_b32_e32 v36, v35
	v_mad_u64_u32 v[36:37], s[12:13], v37, s6, v[36:37]
	v_mov_b32_e32 v35, v36
	v_lshlrev_b64 v[34:35], 2, v[34:35]
	s_waitcnt lgkmcnt(0)
	v_lshl_add_u64 v[36:37], s[10:11], 0, v[34:35]
	v_lshl_add_u64 v[34:35], s[8:9], 0, v[34:35]
	global_store_dword v[36:37], v56, off
	global_store_dword v[34:35], v57, off
.LBB82_17:
	s_or_b64 exec, exec, s[4:5]
	v_lshl_or_b32 v43, v54, 9, v43
	s_waitcnt lgkmcnt(0)
	s_barrier
	ds_read_b128 v[34:37], v43
	ds_read_b128 v[38:41], v43 offset:16
	s_waitcnt vmcnt(7) lgkmcnt(1)
	v_mfma_f32_16x16x16_f16 v[48:51], v[6:7], v[34:35], 0
	v_cmp_gt_u32_e32 vcc, 64, v0
	v_cmp_ne_u32_e64 s[4:5], 3, v54
	s_and_b64 s[4:5], s[4:5], vcc
	v_mfma_f32_16x16x16_f16 v[6:9], v[8:9], v[36:37], v[48:51]
	s_mov_b32 s3, 0
	s_and_b64 s[4:5], s[4:5], s[30:31]
	s_waitcnt vmcnt(6) lgkmcnt(0)
	v_mfma_f32_16x16x16_f16 v[6:9], v[2:3], v[38:39], v[6:9]
	v_mfma_f32_16x16x16_f16 v[2:5], v[4:5], v[40:41], v[6:9]
	s_nop 5
	ds_read_b128 v[6:9], v43 offset:2048
	ds_read_b128 v[34:37], v43 offset:2064
	s_waitcnt vmcnt(5) lgkmcnt(1)
	v_mfma_f32_16x16x16_f16 v[2:5], v[30:31], v[6:7], v[2:5]
	v_mfma_f32_16x16x16_f16 v[2:5], v[32:33], v[8:9], v[2:5]
	s_waitcnt vmcnt(4) lgkmcnt(0)
	v_mfma_f32_16x16x16_f16 v[2:5], v[26:27], v[34:35], v[2:5]
	v_mfma_f32_16x16x16_f16 v[2:5], v[28:29], v[36:37], v[2:5]
	ds_read_b128 v[6:9], v43 offset:4096
	ds_read_b128 v[26:29], v43 offset:4112
	s_waitcnt vmcnt(3) lgkmcnt(1)
	v_mfma_f32_16x16x16_f16 v[2:5], v[22:23], v[6:7], v[2:5]
	v_mfma_f32_16x16x16_f16 v[2:5], v[24:25], v[8:9], v[2:5]
	s_waitcnt vmcnt(2) lgkmcnt(0)
	v_mfma_f32_16x16x16_f16 v[2:5], v[18:19], v[26:27], v[2:5]
	v_mfma_f32_16x16x16_f16 v[2:5], v[20:21], v[28:29], v[2:5]
	ds_read_b128 v[6:9], v43 offset:6144
	ds_read_b128 v[18:21], v43 offset:6160
	v_mov_b32_e32 v43, 0
	s_waitcnt vmcnt(1) lgkmcnt(0)
	v_mfma_f32_16x16x16_f16 v[2:5], v[14:15], v[6:7], v[2:5]
	s_barrier
	v_mfma_f32_16x16x16_f16 v[2:5], v[16:17], v[8:9], v[2:5]
	s_waitcnt vmcnt(0)
	v_mfma_f32_16x16x16_f16 v[2:5], v[10:11], v[18:19], v[2:5]
	v_mfma_f32_16x16x16_f16 v[2:5], v[12:13], v[20:21], v[2:5]
	s_nop 6
	v_cvt_f16_f32_e32 v2, v2
	v_cvt_f16_f32_e32 v3, v3
	;; [unrolled: 1-line block ×4, first 2 shown]
	v_pack_b32_f16 v2, v2, v3
	v_pack_b32_f16 v3, v4, v5
	ds_write_b64 v46, v[2:3]
	s_waitcnt lgkmcnt(0)
	s_barrier
	s_and_saveexec_b64 s[8:9], s[4:5]
	s_cbranch_execz .LBB82_19
; %bb.18:
	s_load_dwordx2 s[0:1], s[0:1], 0x68
	s_mul_i32 s2, s7, s2
	s_lshl_b32 s6, s6, 6
	s_mul_hi_u32 s5, s2, s6
	s_mul_i32 s4, s2, s6
	v_lshlrev_b32_e32 v0, 10, v0
	s_lshl_b64 s[4:5], s[4:5], 1
	v_and_b32_e32 v0, 0x1800, v0
	v_lshlrev_b32_e32 v2, 5, v54
	v_and_b32_e32 v3, 16, v55
	s_waitcnt lgkmcnt(0)
	s_add_u32 s4, s0, s4
	v_or3_b32 v0, v0, v2, v3
	s_addc_u32 s5, s1, s5
	s_lshl_b32 s2, s28, 6
	ds_read_b128 v[2:5], v0
	s_lshl_b64 s[0:1], s[2:3], 1
	s_add_u32 s0, s4, s0
	s_addc_u32 s1, s5, s1
	v_mad_u64_u32 v[0:1], s[2:3], s6, v1, 0
	v_lshl_add_u64 v[0:1], v[0:1], 1, s[0:1]
	v_lshl_add_u64 v[0:1], v[0:1], 0, v[42:43]
	s_waitcnt lgkmcnt(0)
	global_store_dwordx4 v[0:1], v[2:5], off
.LBB82_19:
	s_endpgm
	.section	.rodata,"a",@progbits
	.p2align	6, 0x0
	.amdhsa_kernel _Z39paged_attention_ll4mi_QKV_mfma16_kernelIDF16_DF16_LN4vllm18Fp8KVCacheDataTypeE0EDF16_Li16ELi64ELi256ELb1ELi3EEvPKT_PKT0_S7_ifPKiS9_S9_iPKfiiiPfSC_PS2_PT2_iSB_SB_
		.amdhsa_group_segment_fixed_size 8192
		.amdhsa_private_segment_fixed_size 0
		.amdhsa_kernarg_size 400
		.amdhsa_user_sgpr_count 2
		.amdhsa_user_sgpr_dispatch_ptr 0
		.amdhsa_user_sgpr_queue_ptr 0
		.amdhsa_user_sgpr_kernarg_segment_ptr 1
		.amdhsa_user_sgpr_dispatch_id 0
		.amdhsa_user_sgpr_kernarg_preload_length 0
		.amdhsa_user_sgpr_kernarg_preload_offset 0
		.amdhsa_user_sgpr_private_segment_size 0
		.amdhsa_uses_dynamic_stack 0
		.amdhsa_enable_private_segment 0
		.amdhsa_system_sgpr_workgroup_id_x 1
		.amdhsa_system_sgpr_workgroup_id_y 1
		.amdhsa_system_sgpr_workgroup_id_z 1
		.amdhsa_system_sgpr_workgroup_info 0
		.amdhsa_system_vgpr_workitem_id 0
		.amdhsa_next_free_vgpr 73
		.amdhsa_next_free_sgpr 48
		.amdhsa_accum_offset 76
		.amdhsa_reserve_vcc 1
		.amdhsa_float_round_mode_32 0
		.amdhsa_float_round_mode_16_64 0
		.amdhsa_float_denorm_mode_32 3
		.amdhsa_float_denorm_mode_16_64 3
		.amdhsa_dx10_clamp 1
		.amdhsa_ieee_mode 1
		.amdhsa_fp16_overflow 0
		.amdhsa_tg_split 0
		.amdhsa_exception_fp_ieee_invalid_op 0
		.amdhsa_exception_fp_denorm_src 0
		.amdhsa_exception_fp_ieee_div_zero 0
		.amdhsa_exception_fp_ieee_overflow 0
		.amdhsa_exception_fp_ieee_underflow 0
		.amdhsa_exception_fp_ieee_inexact 0
		.amdhsa_exception_int_div_zero 0
	.end_amdhsa_kernel
	.section	.text._Z39paged_attention_ll4mi_QKV_mfma16_kernelIDF16_DF16_LN4vllm18Fp8KVCacheDataTypeE0EDF16_Li16ELi64ELi256ELb1ELi3EEvPKT_PKT0_S7_ifPKiS9_S9_iPKfiiiPfSC_PS2_PT2_iSB_SB_,"axG",@progbits,_Z39paged_attention_ll4mi_QKV_mfma16_kernelIDF16_DF16_LN4vllm18Fp8KVCacheDataTypeE0EDF16_Li16ELi64ELi256ELb1ELi3EEvPKT_PKT0_S7_ifPKiS9_S9_iPKfiiiPfSC_PS2_PT2_iSB_SB_,comdat
.Lfunc_end82:
	.size	_Z39paged_attention_ll4mi_QKV_mfma16_kernelIDF16_DF16_LN4vllm18Fp8KVCacheDataTypeE0EDF16_Li16ELi64ELi256ELb1ELi3EEvPKT_PKT0_S7_ifPKiS9_S9_iPKfiiiPfSC_PS2_PT2_iSB_SB_, .Lfunc_end82-_Z39paged_attention_ll4mi_QKV_mfma16_kernelIDF16_DF16_LN4vllm18Fp8KVCacheDataTypeE0EDF16_Li16ELi64ELi256ELb1ELi3EEvPKT_PKT0_S7_ifPKiS9_S9_iPKfiiiPfSC_PS2_PT2_iSB_SB_
                                        ; -- End function
	.section	.AMDGPU.csdata,"",@progbits
; Kernel info:
; codeLenInByte = 4020
; NumSgprs: 54
; NumVgprs: 73
; NumAgprs: 0
; TotalNumVgprs: 73
; ScratchSize: 0
; MemoryBound: 0
; FloatMode: 240
; IeeeMode: 1
; LDSByteSize: 8192 bytes/workgroup (compile time only)
; SGPRBlocks: 6
; VGPRBlocks: 9
; NumSGPRsForWavesPerEU: 54
; NumVGPRsForWavesPerEU: 73
; AccumOffset: 76
; Occupancy: 6
; WaveLimiterHint : 1
; COMPUTE_PGM_RSRC2:SCRATCH_EN: 0
; COMPUTE_PGM_RSRC2:USER_SGPR: 2
; COMPUTE_PGM_RSRC2:TRAP_HANDLER: 0
; COMPUTE_PGM_RSRC2:TGID_X_EN: 1
; COMPUTE_PGM_RSRC2:TGID_Y_EN: 1
; COMPUTE_PGM_RSRC2:TGID_Z_EN: 1
; COMPUTE_PGM_RSRC2:TIDIG_COMP_CNT: 0
; COMPUTE_PGM_RSRC3_GFX90A:ACCUM_OFFSET: 18
; COMPUTE_PGM_RSRC3_GFX90A:TG_SPLIT: 0
	.section	.text._Z39paged_attention_ll4mi_QKV_mfma16_kernelIDF16_DF16_LN4vllm18Fp8KVCacheDataTypeE0EDF16_Li16ELi64ELi256ELb1ELi4EEvPKT_PKT0_S7_ifPKiS9_S9_iPKfiiiPfSC_PS2_PT2_iSB_SB_,"axG",@progbits,_Z39paged_attention_ll4mi_QKV_mfma16_kernelIDF16_DF16_LN4vllm18Fp8KVCacheDataTypeE0EDF16_Li16ELi64ELi256ELb1ELi4EEvPKT_PKT0_S7_ifPKiS9_S9_iPKfiiiPfSC_PS2_PT2_iSB_SB_,comdat
	.protected	_Z39paged_attention_ll4mi_QKV_mfma16_kernelIDF16_DF16_LN4vllm18Fp8KVCacheDataTypeE0EDF16_Li16ELi64ELi256ELb1ELi4EEvPKT_PKT0_S7_ifPKiS9_S9_iPKfiiiPfSC_PS2_PT2_iSB_SB_ ; -- Begin function _Z39paged_attention_ll4mi_QKV_mfma16_kernelIDF16_DF16_LN4vllm18Fp8KVCacheDataTypeE0EDF16_Li16ELi64ELi256ELb1ELi4EEvPKT_PKT0_S7_ifPKiS9_S9_iPKfiiiPfSC_PS2_PT2_iSB_SB_
	.globl	_Z39paged_attention_ll4mi_QKV_mfma16_kernelIDF16_DF16_LN4vllm18Fp8KVCacheDataTypeE0EDF16_Li16ELi64ELi256ELb1ELi4EEvPKT_PKT0_S7_ifPKiS9_S9_iPKfiiiPfSC_PS2_PT2_iSB_SB_
	.p2align	8
	.type	_Z39paged_attention_ll4mi_QKV_mfma16_kernelIDF16_DF16_LN4vllm18Fp8KVCacheDataTypeE0EDF16_Li16ELi64ELi256ELb1ELi4EEvPKT_PKT0_S7_ifPKiS9_S9_iPKfiiiPfSC_PS2_PT2_iSB_SB_,@function
_Z39paged_attention_ll4mi_QKV_mfma16_kernelIDF16_DF16_LN4vllm18Fp8KVCacheDataTypeE0EDF16_Li16ELi64ELi256ELb1ELi4EEvPKT_PKT0_S7_ifPKiS9_S9_iPKfiiiPfSC_PS2_PT2_iSB_SB_: ; @_Z39paged_attention_ll4mi_QKV_mfma16_kernelIDF16_DF16_LN4vllm18Fp8KVCacheDataTypeE0EDF16_Li16ELi64ELi256ELb1ELi4EEvPKT_PKT0_S7_ifPKiS9_S9_iPKfiiiPfSC_PS2_PT2_iSB_SB_
; %bb.0:
	s_load_dwordx2 s[6:7], s[0:1], 0x30
	s_mov_b32 s26, s3
	s_mov_b64 s[8:9], 0
	s_waitcnt lgkmcnt(0)
	s_cmp_lg_u64 s[6:7], 0
	s_cselect_b64 s[10:11], -1, 0
	s_and_b64 vcc, exec, s[10:11]
	s_cbranch_vccz .LBB83_7
; %bb.1:
	s_add_i32 s12, s2, 1
	s_mov_b32 s13, 0
	s_lshl_b64 s[14:15], s[12:13], 2
	s_add_u32 s14, s6, s14
	s_mov_b32 s3, s13
	s_addc_u32 s15, s7, s15
	s_lshl_b64 s[12:13], s[2:3], 2
	s_add_u32 s12, s6, s12
	s_addc_u32 s13, s7, s13
	s_load_dword s5, s[14:15], 0x0
	s_load_dword s16, s[12:13], 0x0
	s_waitcnt lgkmcnt(0)
	s_sub_i32 s5, s5, s16
	s_cmp_eq_u32 s5, 1
	s_cselect_b64 s[12:13], -1, 0
	s_andn2_b64 vcc, exec, s[8:9]
	s_cbranch_vccnz .LBB83_3
.LBB83_2:
	s_mov_b32 s3, 0
	s_mov_b64 s[12:13], -1
.LBB83_3:
	s_andn2_b64 vcc, exec, s[12:13]
	s_cbranch_vccnz .LBB83_19
; %bb.4:
	s_load_dwordx2 s[8:9], s[0:1], 0x28
	s_lshl_b64 s[12:13], s[2:3], 2
	s_waitcnt lgkmcnt(0)
	s_add_u32 s8, s8, s12
	s_addc_u32 s9, s9, s13
	s_load_dword s33, s[8:9], 0x0
	s_lshl_b32 s16, s26, 8
	s_waitcnt lgkmcnt(0)
	s_cmp_ge_i32 s16, s33
	s_cbranch_scc1 .LBB83_19
; %bb.5:
	s_load_dwordx2 s[8:9], s[0:1], 0x20
	s_load_dword s5, s[0:1], 0x38
	s_add_i32 s14, s33, 15
	s_ashr_i32 s15, s14, 31
	v_and_b32_e32 v1, 0xcf, v0
	s_lshr_b32 s15, s15, 28
	v_add_u32_e32 v1, s16, v1
	s_add_i32 s14, s14, s15
	v_ashrrev_i32_e32 v2, 31, v1
	s_ashr_i32 s17, s14, 4
	v_lshrrev_b32_e32 v6, 28, v2
	s_add_i32 s17, s17, -1
	s_waitcnt lgkmcnt(0)
	s_mul_i32 s14, s2, s5
	s_mov_b32 s15, 0
	v_add_u32_e32 v2, v1, v6
	s_lshl_b64 s[14:15], s[14:15], 2
	v_ashrrev_i32_e32 v2, 4, v2
	v_mov_b32_e32 v7, s17
	v_cmp_gt_i32_e32 vcc, s33, v1
	s_add_u32 s8, s8, s14
	s_addc_u32 s9, s9, s15
	v_cndmask_b32_e32 v2, v7, v2, vcc
	v_ashrrev_i32_e32 v3, 31, v2
	v_lshl_add_u64 v[4:5], v[2:3], 2, s[8:9]
	v_or_b32_e32 v2, 16, v1
	v_add_u32_e32 v3, v2, v6
	v_ashrrev_i32_e32 v3, 4, v3
	v_cmp_gt_i32_e32 vcc, s33, v2
	s_load_dwordx2 s[14:15], s[0:1], 0x8
	s_nop 0
	v_cndmask_b32_e32 v2, v7, v3, vcc
	v_ashrrev_i32_e32 v3, 31, v2
	v_lshl_add_u64 v[8:9], v[2:3], 2, s[8:9]
	v_or_b32_e32 v2, 32, v1
	v_add_u32_e32 v3, v2, v6
	v_ashrrev_i32_e32 v3, 4, v3
	v_cmp_gt_i32_e32 vcc, s33, v2
	v_or_b32_e32 v1, 48, v1
	s_nop 0
	v_cndmask_b32_e32 v2, v7, v3, vcc
	v_ashrrev_i32_e32 v3, 31, v2
	v_lshl_add_u64 v[10:11], v[2:3], 2, s[8:9]
	v_add_u32_e32 v2, v1, v6
	v_ashrrev_i32_e32 v2, 4, v2
	v_cmp_gt_i32_e32 vcc, s33, v1
	s_nop 1
	v_cndmask_b32_e32 v2, v7, v2, vcc
	v_ashrrev_i32_e32 v3, 31, v2
	v_lshl_add_u64 v[12:13], v[2:3], 2, s[8:9]
	global_load_dword v3, v[4:5], off
	global_load_dword v2, v[8:9], off
	;; [unrolled: 1-line block ×4, first 2 shown]
	s_andn2_b64 vcc, exec, s[10:11]
	s_cbranch_vccnz .LBB83_8
; %bb.6:
	s_add_u32 s6, s6, s12
	s_addc_u32 s7, s7, s13
	s_load_dword s5, s[6:7], 0x0
	s_branch .LBB83_9
.LBB83_7:
	s_mov_b64 s[12:13], 0
	s_branch .LBB83_2
.LBB83_8:
	s_mov_b32 s5, s2
.LBB83_9:
	s_load_dwordx2 s[10:11], s[0:1], 0x10
	s_load_dwordx4 s[40:43], s[0:1], 0x48
	v_and_b32_e32 v56, 15, v0
	v_bfe_u32 v54, v0, 4, 2
	s_lshl_b32 s27, s4, 2
	v_lshlrev_b32_e32 v4, 3, v56
	v_cmp_gt_u32_e32 vcc, 64, v0
	v_cmp_gt_u32_e64 s[6:7], 8, v56
	v_lshrrev_b32_e32 v55, 6, v0
	v_or_b32_e32 v1, s27, v54
	v_and_b32_e32 v18, 3, v0
	s_and_b64 s[44:45], vcc, s[6:7]
	v_lshlrev_b32_e32 v42, 1, v4
	v_lshlrev_b32_e32 v52, 5, v54
	s_and_saveexec_b64 s[6:7], s[44:45]
	s_cbranch_execz .LBB83_11
; %bb.10:
	s_load_dwordx2 s[12:13], s[0:1], 0x0
	s_waitcnt lgkmcnt(0)
	s_ashr_i32 s18, s40, 31
	s_mul_hi_u32 s19, s5, s40
	s_mul_i32 s18, s5, s18
	s_add_i32 s19, s19, s18
	s_mul_i32 s18, s5, s40
	s_lshl_b64 s[18:19], s[18:19], 1
	s_add_u32 s12, s12, s18
	v_lshlrev_b32_e32 v4, 6, v1
	s_addc_u32 s13, s13, s19
	v_ashrrev_i32_e32 v5, 31, v4
	v_lshl_add_u64 v[4:5], v[4:5], 1, s[12:13]
	v_mov_b32_e32 v43, 0
	v_lshl_add_u64 v[4:5], v[4:5], 0, v[42:43]
	global_load_dwordx4 v[8:11], v[4:5], off
	v_lshlrev_b32_e32 v7, 9, v56
	v_lshl_or_b32 v4, v55, 7, v52
	v_lshlrev_b32_e32 v5, 9, v18
	v_and_b32_e32 v7, 0x1800, v7
	v_or3_b32 v4, v7, v5, v4
	s_waitcnt vmcnt(0)
	ds_write_b128 v4, v[8:11]
.LBB83_11:
	s_or_b64 exec, exec, s[6:7]
	s_waitcnt lgkmcnt(0)
	s_mul_i32 s4, s4, s42
	s_mov_b32 s5, 0
	s_lshl_b64 s[4:5], s[4:5], 1
	s_add_u32 s6, s14, s4
	v_lshlrev_b32_e32 v53, 4, v0
	s_addc_u32 s7, s15, s5
	v_and_b32_e32 v44, 0xf0, v53
	v_mov_b32_e32 v45, 0
	v_lshl_add_u64 v[16:17], s[6:7], 0, v[44:45]
	s_waitcnt vmcnt(3)
	v_mad_i64_i32 v[4:5], s[6:7], v3, s41, 0
	s_waitcnt vmcnt(2)
	v_mad_i64_i32 v[2:3], s[6:7], v2, s41, 0
	;; [unrolled: 2-line block ×3, first 2 shown]
	v_lshl_add_u64 v[4:5], v[4:5], 1, v[16:17]
	v_and_b32_e32 v44, 0x300, v53
	v_lshl_add_u64 v[2:3], v[2:3], 1, v[16:17]
	v_lshl_add_u64 v[6:7], v[6:7], 1, v[16:17]
	s_waitcnt vmcnt(0)
	v_mad_i64_i32 v[14:15], s[6:7], v14, s41, 0
	v_lshl_add_u64 v[4:5], v[4:5], 0, v[44:45]
	v_lshl_add_u64 v[8:9], v[2:3], 0, v[44:45]
	;; [unrolled: 1-line block ×4, first 2 shown]
	s_barrier
	global_load_dwordx4 v[30:33], v[4:5], off
	global_load_dwordx4 v[10:13], v[4:5], off offset:1024
	global_load_dwordx4 v[22:25], v[8:9], off
	s_nop 0
	global_load_dwordx4 v[2:5], v[8:9], off offset:1024
	global_load_dwordx4 v[26:29], v[20:21], off
	s_nop 0
	global_load_dwordx4 v[6:9], v[20:21], off offset:1024
	v_lshl_add_u64 v[20:21], v[14:15], 0, v[44:45]
	global_load_dwordx4 v[34:37], v[20:21], off
	global_load_dwordx4 v[14:17], v[20:21], off offset:1024
	v_lshlrev_b32_e32 v18, 5, v18
	v_lshl_or_b32 v18, v54, 9, v18
	ds_read_b128 v[38:41], v18
	ds_read_b128 v[18:21], v18 offset:2048
	v_and_b32_e32 v57, 63, v0
	v_cmp_gt_u32_e32 vcc, 4, v56
	v_mov_b32_e32 v58, 0
	s_and_saveexec_b64 s[6:7], vcc
	s_cbranch_execz .LBB83_13
; %bb.12:
	s_load_dwordx2 s[12:13], s[0:1], 0x40
	v_or_b32_e32 v46, s27, v56
	v_ashrrev_i32_e32 v47, 31, v46
	s_waitcnt lgkmcnt(0)
	v_lshl_add_u64 v[46:47], v[46:47], 2, s[12:13]
	global_load_dword v58, v[46:47], off
.LBB83_13:
	s_or_b64 exec, exec, s[6:7]
	v_and_or_b32 v44, v0, 48, s16
	v_ashrrev_i32_e32 v43, 4, v44
	v_mov_b32_e32 v59, s17
	v_cmp_gt_i32_e32 vcc, s33, v44
	s_waitcnt vmcnt(5) lgkmcnt(1)
	v_mfma_f32_16x16x16_f16 v[60:63], v[22:23], v[38:39], 0
	s_load_dword s6, s[0:1], 0x1c
	v_cndmask_b32_e32 v46, v59, v43, vcc
	v_ashrrev_i32_e32 v47, 31, v46
	v_or_b32_e32 v43, 64, v44
	v_lshl_add_u64 v[50:51], v[46:47], 2, s[8:9]
	v_mfma_f32_16x16x16_f16 v[46:49], v[30:31], v[38:39], 0
	v_ashrrev_i32_e32 v30, 4, v43
	v_cmp_gt_i32_e32 vcc, s33, v43
	global_load_dword v72, v[50:51], off
	s_waitcnt vmcnt(4)
	v_mfma_f32_16x16x16_f16 v[64:67], v[26:27], v[38:39], 0
	v_cndmask_b32_e32 v30, v59, v30, vcc
	v_ashrrev_i32_e32 v31, 31, v30
	v_lshl_add_u64 v[22:23], v[30:31], 2, s[8:9]
	global_load_dword v73, v[22:23], off
	v_mfma_f32_16x16x16_f16 v[22:25], v[24:25], v[40:41], v[60:63]
	v_and_b32_e32 v26, 0xc0, v0
	s_mov_b32 s40, 0xff7fffff
	s_add_u32 s4, s10, s4
	v_mfma_f32_16x16x16_f16 v[30:33], v[32:33], v[40:41], v[46:49]
	s_addc_u32 s5, s11, s5
	v_lshlrev_b32_e32 v43, 5, v56
	s_waitcnt vmcnt(3)
	v_mfma_f32_16x16x16_f16 v[68:71], v[34:35], v[38:39], 0
	v_or_b32_e32 v38, 0x80, v44
	v_add_u32_e32 v46, s16, v26
	v_or_b32_e32 v39, 0xc0, v44
	v_mfma_f32_16x16x16_f16 v[26:29], v[28:29], v[40:41], v[64:67]
	v_ashrrev_i32_e32 v47, 4, v38
	v_cmp_gt_i32_e32 vcc, s33, v38
	v_ashrrev_i32_e32 v48, 4, v39
	s_waitcnt lgkmcnt(0)
	v_mfma_f32_16x16x16_f16 v[22:25], v[2:3], v[18:19], v[22:25]
	v_cndmask_b32_e32 v38, v59, v47, vcc
	v_cmp_gt_i32_e32 vcc, s33, v39
	v_ashrrev_i32_e32 v39, 31, v38
	v_mfma_f32_16x16x16_f16 v[30:33], v[10:11], v[18:19], v[30:33]
	v_cndmask_b32_e32 v10, v59, v48, vcc
	v_ashrrev_i32_e32 v11, 31, v10
	v_lshl_or_b32 v60, v54, 2, v46
	v_mfma_f32_16x16x16_f16 v[26:29], v[6:7], v[18:19], v[26:29]
	v_lshl_add_u64 v[6:7], v[38:39], 2, s[8:9]
	v_lshl_add_u64 v[38:39], v[10:11], 2, s[8:9]
	v_or_b32_e32 v59, 1, v60
	v_mfma_f32_16x16x16_f16 v[2:5], v[4:5], v[20:21], v[22:25]
	s_nop 2
	global_load_dword v22, v[6:7], off
	global_load_dword v63, v[38:39], off
	v_subrev_u32_e32 v61, s33, v59
	v_cvt_f32_i32_e32 v62, v61
	v_mfma_f32_16x16x16_f16 v[34:37], v[36:37], v[40:41], v[68:71]
	v_pk_mul_f32 v[46:47], s[6:7], v[4:5] op_sel_hi:[0,1]
	v_cmp_gt_i32_e64 s[28:29], s33, v60
	v_cmp_gt_i32_e64 s[30:31], s33, v59
	s_waitcnt vmcnt(4)
	v_mfma_f32_16x16x16_f16 v[34:37], v[14:15], v[18:19], v[34:37]
	v_add_u32_e32 v14, 1, v61
	v_add_u32_e32 v15, 2, v61
	v_cvt_f32_i32_e32 v23, v14
	v_cvt_f32_i32_e32 v24, v15
	v_mfma_f32_16x16x16_f16 v[14:17], v[16:17], v[20:21], v[34:37]
	v_add_u32_e32 v18, 3, v61
	v_cvt_f32_i32_e32 v18, v18
	v_add_u32_e32 v19, 16, v61
	v_mfma_f32_16x16x16_f16 v[10:13], v[12:13], v[20:21], v[30:33]
	v_cvt_f32_i32_e32 v19, v19
	s_nop 1
	v_pk_mul_f32 v[36:37], s[6:7], v[14:15] op_sel_hi:[0,1]
	v_add_u32_e32 v15, 19, v61
	v_add_u32_e32 v31, 18, v61
	v_cvt_f32_i32_e32 v14, v31
	v_cvt_f32_i32_e32 v15, v15
	v_mfma_f32_16x16x16_f16 v[6:9], v[8:9], v[20:21], v[26:29]
	v_pk_mul_f32 v[34:35], s[6:7], v[16:17] op_sel_hi:[0,1]
	v_fma_f32 v46, v58, v14, v46
	v_add_u32_e32 v14, 32, v61
	v_fmac_f32_e32 v47, v58, v15
	v_cvt_f32_i32_e32 v14, v14
	v_add_u32_e32 v15, 33, v61
	v_add_u32_e32 v16, 34, v61
	v_cvt_f32_i32_e32 v15, v15
	v_cvt_f32_i32_e32 v16, v16
	v_add_u32_e32 v17, 35, v61
	v_cvt_f32_i32_e32 v17, v17
	v_pk_mul_f32 v[40:41], s[6:7], v[6:7] op_sel_hi:[0,1]
	v_pk_mul_f32 v[38:39], s[6:7], v[8:9] op_sel_hi:[0,1]
	v_fma_f32 v40, v58, v14, v40
	v_add_u32_e32 v14, 48, v61
	v_fmac_f32_e32 v41, v58, v15
	v_fma_f32 v38, v58, v16, v38
	v_cvt_f32_i32_e32 v14, v14
	v_add_u32_e32 v15, 49, v61
	v_add_u32_e32 v16, 50, v61
	v_fmac_f32_e32 v39, v58, v17
	v_cvt_f32_i32_e32 v15, v15
	v_cvt_f32_i32_e32 v16, v16
	v_add_u32_e32 v17, 51, v61
	v_cvt_f32_i32_e32 v17, v17
	v_pk_mul_f32 v[10:11], s[6:7], v[10:11] op_sel_hi:[0,1]
	v_fma_f32 v10, v58, v62, v10
	v_fmac_f32_e32 v11, v58, v23
	v_fma_f32 v36, v58, v14, v36
	v_mov_b32_e32 v14, 0xff7fffff
	v_add_u32_e32 v30, 17, v61
	v_fmac_f32_e32 v37, v58, v15
	v_fma_f32 v34, v58, v16, v34
	v_cndmask_b32_e64 v15, v14, v10, s[28:29]
	v_cndmask_b32_e64 v16, v14, v11, s[30:31]
	v_cvt_f32_i32_e32 v25, v30
	v_pk_mul_f32 v[50:51], s[6:7], v[12:13] op_sel_hi:[0,1]
	v_fmac_f32_e32 v35, v58, v17
	v_max3_f32 v15, v15, s40, v16
	v_or_b32_e32 v16, 2, v60
	v_or_b32_e32 v17, 3, v60
	v_fma_f32 v50, v58, v24, v50
	v_fmac_f32_e32 v51, v58, v18
	v_cmp_gt_i32_e64 s[34:35], s33, v16
	v_cmp_gt_i32_e64 s[36:37], s33, v17
	v_pk_mul_f32 v[48:49], s[6:7], v[2:3] op_sel_hi:[0,1]
	v_cndmask_b32_e64 v16, v14, v50, s[34:35]
	v_cndmask_b32_e64 v17, v14, v51, s[36:37]
	v_max3_f32 v15, v15, v16, v17
	v_or_b32_e32 v16, 16, v60
	v_or_b32_e32 v17, 17, v60
	v_fma_f32 v48, v58, v19, v48
	v_fmac_f32_e32 v49, v58, v25
	v_cmp_gt_i32_e64 s[22:23], s33, v16
	v_cmp_gt_i32_e64 s[24:25], s33, v17
	v_lshl_or_b32 v44, v55, 9, v43
	v_cndmask_b32_e64 v16, v14, v48, s[22:23]
	v_cndmask_b32_e64 v17, v14, v49, s[24:25]
	v_max3_f32 v15, v15, v16, v17
	v_or_b32_e32 v16, 18, v60
	v_or_b32_e32 v17, 19, v60
	v_cmp_gt_i32_e64 s[18:19], s33, v16
	v_cmp_gt_i32_e64 s[20:21], s33, v17
	v_lshl_add_u64 v[44:45], s[4:5], 0, v[44:45]
	v_cndmask_b32_e64 v16, v14, v46, s[18:19]
	v_cndmask_b32_e64 v17, v14, v47, s[20:21]
	v_max3_f32 v15, v15, v16, v17
	v_or_b32_e32 v16, 32, v60
	v_or_b32_e32 v17, 33, v60
	v_cmp_gt_i32_e64 s[14:15], s33, v16
	v_cmp_gt_i32_e64 s[16:17], s33, v17
	s_waitcnt vmcnt(3)
	v_mad_i64_i32 v[2:3], s[4:5], v72, s41, 0
	v_cndmask_b32_e64 v16, v14, v40, s[14:15]
	v_cndmask_b32_e64 v17, v14, v41, s[16:17]
	v_max3_f32 v15, v15, v16, v17
	v_or_b32_e32 v16, 34, v60
	v_or_b32_e32 v17, 35, v60
	v_cmp_gt_i32_e64 s[10:11], s33, v16
	v_cmp_gt_i32_e64 s[12:13], s33, v17
	s_waitcnt vmcnt(2)
	v_mad_i64_i32 v[12:13], s[4:5], v73, s41, 0
	v_cndmask_b32_e64 v16, v14, v38, s[10:11]
	v_cndmask_b32_e64 v17, v14, v39, s[12:13]
	v_max3_f32 v15, v15, v16, v17
	v_or_b32_e32 v16, 48, v60
	v_or_b32_e32 v17, 49, v60
	v_cmp_gt_i32_e64 s[6:7], s33, v16
	v_cmp_gt_i32_e64 s[8:9], s33, v17
	v_lshl_add_u64 v[2:3], v[2:3], 1, v[44:45]
	v_cndmask_b32_e64 v16, v14, v36, s[6:7]
	v_cndmask_b32_e64 v17, v14, v37, s[8:9]
	v_max3_f32 v15, v15, v16, v17
	v_or_b32_e32 v16, 50, v60
	v_or_b32_e32 v17, 51, v60
	v_cmp_gt_i32_e32 vcc, s33, v16
	v_cmp_gt_i32_e64 s[4:5], s33, v17
	v_lshl_add_u64 v[12:13], v[12:13], 1, v[44:45]
	v_cndmask_b32_e32 v16, v14, v34, vcc
	v_cndmask_b32_e64 v14, v14, v35, s[4:5]
	v_max3_f32 v14, v15, v16, v14
	v_mbcnt_lo_u32_b32 v15, -1, 0
	v_mbcnt_hi_u32_b32 v15, -1, v15
	v_and_b32_e32 v16, 64, v15
	v_add_u32_e32 v16, 64, v16
	v_xor_b32_e32 v17, 32, v15
	v_cmp_lt_i32_e64 s[38:39], v17, v16
	global_load_dwordx4 v[6:9], v[2:3], off
	s_nop 0
	global_load_dwordx4 v[2:5], v[2:3], off offset:16
	v_cndmask_b32_e64 v17, v15, v17, s[38:39]
	v_lshlrev_b32_e32 v59, 2, v17
	ds_bpermute_b32 v17, v59, v14
	global_load_dwordx4 v[30:33], v[12:13], off
	global_load_dwordx4 v[26:29], v[12:13], off offset:16
	s_waitcnt vmcnt(5)
	v_mad_i64_i32 v[12:13], s[38:39], v22, s41, 0
	v_lshl_add_u64 v[12:13], v[12:13], 1, v[44:45]
	s_waitcnt lgkmcnt(0)
	v_max_f32_e32 v17, v17, v17
	v_max_f32_e32 v14, v14, v17
	v_xor_b32_e32 v17, 16, v15
	v_cmp_lt_i32_e64 s[38:39], v17, v16
	global_load_dwordx4 v[22:25], v[12:13], off
	global_load_dwordx4 v[18:21], v[12:13], off offset:16
	v_cndmask_b32_e64 v15, v15, v17, s[38:39]
	v_lshlrev_b32_e32 v60, 2, v15
	ds_bpermute_b32 v15, v60, v14
	s_waitcnt vmcnt(6)
	v_mad_i64_i32 v[12:13], s[38:39], v63, s41, 0
	v_lshl_add_u64 v[12:13], v[12:13], 1, v[44:45]
	s_waitcnt lgkmcnt(0)
	v_max_f32_e32 v15, v15, v15
	v_max_f32_e32 v58, v14, v15
	v_sub_f32_e32 v10, v10, v58
	v_mul_f32_e32 v10, 0x3fb8aa3b, v10
	v_exp_f32_e32 v44, v10
	v_sub_f32_e32 v10, v11, v58
	v_mul_f32_e32 v10, 0x3fb8aa3b, v10
	v_exp_f32_e32 v45, v10
	global_load_dwordx4 v[14:17], v[12:13], off
	s_nop 0
	global_load_dwordx4 v[10:13], v[12:13], off offset:16
	v_sub_f32_e32 v50, v50, v58
	v_mul_f32_e32 v50, 0x3fb8aa3b, v50
	v_sub_f32_e32 v51, v51, v58
	v_exp_f32_e32 v50, v50
	v_mul_f32_e32 v51, 0x3fb8aa3b, v51
	v_sub_f32_e32 v48, v48, v58
	v_exp_f32_e32 v51, v51
	v_mul_f32_e32 v48, 0x3fb8aa3b, v48
	v_sub_f32_e32 v49, v49, v58
	v_cndmask_b32_e64 v44, 0, v44, s[28:29]
	v_exp_f32_e32 v48, v48
	v_mul_f32_e32 v49, 0x3fb8aa3b, v49
	v_sub_f32_e32 v46, v46, v58
	v_add_f32_e32 v61, 0, v44
	v_cndmask_b32_e64 v45, 0, v45, s[30:31]
	v_exp_f32_e32 v49, v49
	v_mul_f32_e32 v46, 0x3fb8aa3b, v46
	v_sub_f32_e32 v47, v47, v58
	v_add_f32_e32 v61, v61, v45
	;; [unrolled: 5-line block ×10, first 2 shown]
	v_cndmask_b32_e64 v38, 0, v38, s[10:11]
	v_exp_f32_e32 v34, v34
	v_mul_f32_e32 v35, 0x3fb8aa3b, v35
	v_add_f32_e32 v61, v61, v38
	v_cndmask_b32_e64 v39, 0, v39, s[12:13]
	v_exp_f32_e32 v35, v35
	v_add_f32_e32 v61, v61, v39
	v_cndmask_b32_e64 v36, 0, v36, s[6:7]
	v_add_f32_e32 v61, v61, v36
	v_cndmask_b32_e64 v37, 0, v37, s[8:9]
	v_add_f32_e32 v61, v61, v37
	v_cndmask_b32_e32 v34, 0, v34, vcc
	v_add_f32_e32 v61, v61, v34
	v_cndmask_b32_e64 v35, 0, v35, s[4:5]
	v_add_f32_e32 v61, v61, v35
	ds_bpermute_b32 v59, v59, v61
	s_load_dword s7, s[0:1], 0x98
	v_cmp_gt_u32_e32 vcc, 16, v57
	v_lshlrev_b32_e32 v57, 2, v56
	s_waitcnt lgkmcnt(0)
	v_add_f32_e32 v59, v61, v59
	ds_bpermute_b32 v60, v60, v59
	s_barrier
	s_waitcnt lgkmcnt(0)
	s_and_saveexec_b64 s[4:5], vcc
	s_cbranch_execz .LBB83_15
; %bb.14:
	v_add_f32_e32 v56, v59, v60
	v_lshl_or_b32 v59, v55, 6, v57
	ds_write2st64_b32 v59, v58, v56 offset1:1
.LBB83_15:
	s_or_b64 exec, exec, s[4:5]
	s_load_dword s6, s[0:1], 0x94
	s_waitcnt lgkmcnt(0)
	s_barrier
	ds_read2_b32 v[58:59], v57 offset1:16
	ds_read2_b32 v[60:61], v57 offset0:32 offset1:48
	ds_read2_b32 v[62:63], v57 offset0:64 offset1:80
	s_lshl_b32 s7, s7, 2
	s_waitcnt lgkmcnt(2)
	v_max3_f32 v56, v58, s40, v59
	s_waitcnt lgkmcnt(1)
	v_max3_f32 v56, v56, v60, v61
	v_sub_f32_e32 v58, v58, v56
	v_mul_f32_e32 v58, 0x3fb8aa3b, v58
	v_exp_f32_e32 v64, v58
	v_sub_f32_e32 v58, v59, v56
	v_mul_f32_e32 v58, 0x3fb8aa3b, v58
	v_exp_f32_e32 v65, v58
	;; [unrolled: 3-line block ×3, first 2 shown]
	ds_read2_b32 v[58:59], v57 offset0:96 offset1:112
	v_sub_f32_e32 v57, v61, v56
	v_mul_f32_e32 v57, 0x3fb8aa3b, v57
	v_exp_f32_e32 v61, v57
	s_waitcnt lgkmcnt(1)
	v_fma_f32 v57, v64, v62, 0
	v_fmac_f32_e32 v57, v65, v63
	s_waitcnt lgkmcnt(0)
	v_fmac_f32_e32 v57, v60, v58
	v_fmac_f32_e32 v57, v61, v59
	v_add_f32_e32 v58, 0x358637bd, v57
	v_div_scale_f32 v59, s[4:5], v58, v58, 1.0
	v_rcp_f32_e32 v62, v59
	s_barrier
	v_fma_f32 v63, -v59, v62, 1.0
	v_fmac_f32_e32 v62, v63, v62
	v_div_scale_f32 v63, vcc, 1.0, v58, 1.0
	v_mul_f32_e32 v66, v63, v62
	v_fma_f32 v67, -v59, v66, v63
	v_fmac_f32_e32 v66, v67, v62
	v_fma_f32 v59, -v59, v66, v63
	v_div_fmas_f32 v59, v59, v62, v66
	v_cmp_eq_u32_e32 vcc, 1, v55
	v_div_fixup_f32 v58, v59, v58, 1.0
	s_nop 0
	v_cndmask_b32_e32 v59, v64, v65, vcc
	v_cmp_eq_u32_e32 vcc, 2, v55
	s_nop 1
	v_cndmask_b32_e32 v59, v59, v60, vcc
	v_cmp_eq_u32_e32 vcc, 3, v55
	s_nop 1
	v_cndmask_b32_e32 v59, v59, v61, vcc
	v_mul_f32_e32 v58, v59, v58
	v_pk_mul_f32 v[50:51], v[58:59], v[50:51] op_sel_hi:[0,1]
	v_pk_mul_f32 v[44:45], v[58:59], v[44:45] op_sel_hi:[0,1]
	v_cvt_f16_f32_e32 v59, v50
	v_cvt_f16_f32_e32 v51, v51
	;; [unrolled: 1-line block ×4, first 2 shown]
	v_cmp_gt_u32_e32 vcc, 4, v0
	v_pack_b32_f16 v51, v59, v51
	v_lshlrev_b32_e32 v59, 3, v54
	v_pack_b32_f16 v50, v44, v45
	v_pk_mul_f32 v[44:45], v[58:59], v[46:47] op_sel_hi:[0,1]
	v_pk_mul_f32 v[46:47], v[58:59], v[48:49] op_sel_hi:[0,1]
	v_cvt_f16_f32_e32 v46, v46
	v_cvt_f16_f32_e32 v47, v47
	;; [unrolled: 1-line block ×4, first 2 shown]
	v_lshlrev_b32_e32 v44, 11, v55
	v_or3_b32 v44, v44, v43, v59
	v_pack_b32_f16 v46, v46, v47
	v_pack_b32_f16 v47, v48, v45
	v_pk_mul_f32 v[38:39], v[58:59], v[38:39] op_sel_hi:[0,1]
	v_pk_mul_f32 v[40:41], v[58:59], v[40:41] op_sel_hi:[0,1]
	;; [unrolled: 1-line block ×4, first 2 shown]
	ds_write2st64_b64 v44, v[50:51], v[46:47] offset1:1
	v_cvt_f16_f32_e32 v40, v40
	v_cvt_f16_f32_e32 v41, v41
	;; [unrolled: 1-line block ×8, first 2 shown]
	v_pack_b32_f16 v34, v40, v41
	v_pack_b32_f16 v35, v38, v39
	;; [unrolled: 1-line block ×4, first 2 shown]
	ds_write2st64_b64 v44, v[34:35], v[36:37] offset0:2 offset1:3
	s_and_saveexec_b64 s[4:5], vcc
	s_cbranch_execz .LBB83_17
; %bb.16:
	v_or_b32_e32 v34, s27, v0
	v_mov_b32_e32 v35, 0
	v_mov_b32_e32 v36, s7
	v_mad_u64_u32 v[36:37], s[12:13], s2, v36, v[34:35]
	v_mov_b32_e32 v34, s26
	s_load_dwordx4 s[8:11], s[0:1], 0x58
	s_mul_i32 s3, s3, s7
	v_mad_u64_u32 v[34:35], s[12:13], v36, s6, v[34:35]
	v_add_u32_e32 v37, s3, v37
	v_mov_b32_e32 v36, v35
	v_mad_u64_u32 v[36:37], s[12:13], v37, s6, v[36:37]
	v_mov_b32_e32 v35, v36
	v_lshlrev_b64 v[34:35], 2, v[34:35]
	s_waitcnt lgkmcnt(0)
	v_lshl_add_u64 v[36:37], s[10:11], 0, v[34:35]
	v_lshl_add_u64 v[34:35], s[8:9], 0, v[34:35]
	global_store_dword v[36:37], v56, off
	global_store_dword v[34:35], v57, off
.LBB83_17:
	s_or_b64 exec, exec, s[4:5]
	v_lshl_or_b32 v43, v54, 9, v43
	s_waitcnt lgkmcnt(0)
	s_barrier
	ds_read_b128 v[34:37], v43
	ds_read_b128 v[38:41], v43 offset:16
	s_waitcnt vmcnt(7) lgkmcnt(1)
	v_mfma_f32_16x16x16_f16 v[46:49], v[6:7], v[34:35], 0
	s_mov_b32 s3, 0
	v_mfma_f32_16x16x16_f16 v[6:9], v[8:9], v[36:37], v[46:49]
	s_waitcnt vmcnt(6) lgkmcnt(0)
	v_mfma_f32_16x16x16_f16 v[6:9], v[2:3], v[38:39], v[6:9]
	v_mfma_f32_16x16x16_f16 v[2:5], v[4:5], v[40:41], v[6:9]
	s_nop 5
	ds_read_b128 v[6:9], v43 offset:2048
	ds_read_b128 v[34:37], v43 offset:2064
	s_waitcnt vmcnt(5) lgkmcnt(1)
	v_mfma_f32_16x16x16_f16 v[2:5], v[30:31], v[6:7], v[2:5]
	v_mfma_f32_16x16x16_f16 v[2:5], v[32:33], v[8:9], v[2:5]
	s_waitcnt vmcnt(4) lgkmcnt(0)
	v_mfma_f32_16x16x16_f16 v[2:5], v[26:27], v[34:35], v[2:5]
	v_mfma_f32_16x16x16_f16 v[2:5], v[28:29], v[36:37], v[2:5]
	ds_read_b128 v[6:9], v43 offset:4096
	ds_read_b128 v[26:29], v43 offset:4112
	s_waitcnt vmcnt(3) lgkmcnt(1)
	v_mfma_f32_16x16x16_f16 v[2:5], v[22:23], v[6:7], v[2:5]
	v_mfma_f32_16x16x16_f16 v[2:5], v[24:25], v[8:9], v[2:5]
	s_waitcnt vmcnt(2) lgkmcnt(0)
	v_mfma_f32_16x16x16_f16 v[2:5], v[18:19], v[26:27], v[2:5]
	v_mfma_f32_16x16x16_f16 v[2:5], v[20:21], v[28:29], v[2:5]
	ds_read_b128 v[6:9], v43 offset:6144
	ds_read_b128 v[18:21], v43 offset:6160
	v_mov_b32_e32 v43, 0
	s_waitcnt vmcnt(1) lgkmcnt(0)
	v_mfma_f32_16x16x16_f16 v[2:5], v[14:15], v[6:7], v[2:5]
	s_barrier
	v_mfma_f32_16x16x16_f16 v[2:5], v[16:17], v[8:9], v[2:5]
	s_waitcnt vmcnt(0)
	v_mfma_f32_16x16x16_f16 v[2:5], v[10:11], v[18:19], v[2:5]
	v_mfma_f32_16x16x16_f16 v[2:5], v[12:13], v[20:21], v[2:5]
	s_nop 6
	v_cvt_f16_f32_e32 v2, v2
	v_cvt_f16_f32_e32 v3, v3
	;; [unrolled: 1-line block ×4, first 2 shown]
	v_pack_b32_f16 v2, v2, v3
	v_pack_b32_f16 v3, v4, v5
	ds_write_b64 v44, v[2:3]
	s_waitcnt lgkmcnt(0)
	s_barrier
	s_and_saveexec_b64 s[4:5], s[44:45]
	s_cbranch_execz .LBB83_19
; %bb.18:
	s_load_dwordx2 s[0:1], s[0:1], 0x68
	s_lshl_b32 s6, s6, 6
	s_mul_i32 s2, s7, s2
	s_mul_hi_u32 s5, s2, s6
	s_mul_i32 s4, s2, s6
	v_lshlrev_b32_e32 v0, 10, v0
	s_lshl_b64 s[4:5], s[4:5], 1
	v_and_b32_e32 v0, 0x1800, v0
	v_and_b32_e32 v2, 16, v53
	s_waitcnt lgkmcnt(0)
	s_add_u32 s4, s0, s4
	v_or3_b32 v0, v0, v52, v2
	s_addc_u32 s5, s1, s5
	s_lshl_b32 s2, s26, 6
	ds_read_b128 v[2:5], v0
	s_lshl_b64 s[0:1], s[2:3], 1
	s_add_u32 s0, s4, s0
	s_addc_u32 s1, s5, s1
	v_mad_u64_u32 v[0:1], s[2:3], s6, v1, 0
	v_lshl_add_u64 v[0:1], v[0:1], 1, s[0:1]
	v_lshl_add_u64 v[0:1], v[0:1], 0, v[42:43]
	s_waitcnt lgkmcnt(0)
	global_store_dwordx4 v[0:1], v[2:5], off
.LBB83_19:
	s_endpgm
	.section	.rodata,"a",@progbits
	.p2align	6, 0x0
	.amdhsa_kernel _Z39paged_attention_ll4mi_QKV_mfma16_kernelIDF16_DF16_LN4vllm18Fp8KVCacheDataTypeE0EDF16_Li16ELi64ELi256ELb1ELi4EEvPKT_PKT0_S7_ifPKiS9_S9_iPKfiiiPfSC_PS2_PT2_iSB_SB_
		.amdhsa_group_segment_fixed_size 8192
		.amdhsa_private_segment_fixed_size 0
		.amdhsa_kernarg_size 400
		.amdhsa_user_sgpr_count 2
		.amdhsa_user_sgpr_dispatch_ptr 0
		.amdhsa_user_sgpr_queue_ptr 0
		.amdhsa_user_sgpr_kernarg_segment_ptr 1
		.amdhsa_user_sgpr_dispatch_id 0
		.amdhsa_user_sgpr_kernarg_preload_length 0
		.amdhsa_user_sgpr_kernarg_preload_offset 0
		.amdhsa_user_sgpr_private_segment_size 0
		.amdhsa_uses_dynamic_stack 0
		.amdhsa_enable_private_segment 0
		.amdhsa_system_sgpr_workgroup_id_x 1
		.amdhsa_system_sgpr_workgroup_id_y 1
		.amdhsa_system_sgpr_workgroup_id_z 1
		.amdhsa_system_sgpr_workgroup_info 0
		.amdhsa_system_vgpr_workitem_id 0
		.amdhsa_next_free_vgpr 74
		.amdhsa_next_free_sgpr 46
		.amdhsa_accum_offset 76
		.amdhsa_reserve_vcc 1
		.amdhsa_float_round_mode_32 0
		.amdhsa_float_round_mode_16_64 0
		.amdhsa_float_denorm_mode_32 3
		.amdhsa_float_denorm_mode_16_64 3
		.amdhsa_dx10_clamp 1
		.amdhsa_ieee_mode 1
		.amdhsa_fp16_overflow 0
		.amdhsa_tg_split 0
		.amdhsa_exception_fp_ieee_invalid_op 0
		.amdhsa_exception_fp_denorm_src 0
		.amdhsa_exception_fp_ieee_div_zero 0
		.amdhsa_exception_fp_ieee_overflow 0
		.amdhsa_exception_fp_ieee_underflow 0
		.amdhsa_exception_fp_ieee_inexact 0
		.amdhsa_exception_int_div_zero 0
	.end_amdhsa_kernel
	.section	.text._Z39paged_attention_ll4mi_QKV_mfma16_kernelIDF16_DF16_LN4vllm18Fp8KVCacheDataTypeE0EDF16_Li16ELi64ELi256ELb1ELi4EEvPKT_PKT0_S7_ifPKiS9_S9_iPKfiiiPfSC_PS2_PT2_iSB_SB_,"axG",@progbits,_Z39paged_attention_ll4mi_QKV_mfma16_kernelIDF16_DF16_LN4vllm18Fp8KVCacheDataTypeE0EDF16_Li16ELi64ELi256ELb1ELi4EEvPKT_PKT0_S7_ifPKiS9_S9_iPKfiiiPfSC_PS2_PT2_iSB_SB_,comdat
.Lfunc_end83:
	.size	_Z39paged_attention_ll4mi_QKV_mfma16_kernelIDF16_DF16_LN4vllm18Fp8KVCacheDataTypeE0EDF16_Li16ELi64ELi256ELb1ELi4EEvPKT_PKT0_S7_ifPKiS9_S9_iPKfiiiPfSC_PS2_PT2_iSB_SB_, .Lfunc_end83-_Z39paged_attention_ll4mi_QKV_mfma16_kernelIDF16_DF16_LN4vllm18Fp8KVCacheDataTypeE0EDF16_Li16ELi64ELi256ELb1ELi4EEvPKT_PKT0_S7_ifPKiS9_S9_iPKfiiiPfSC_PS2_PT2_iSB_SB_
                                        ; -- End function
	.section	.AMDGPU.csdata,"",@progbits
; Kernel info:
; codeLenInByte = 3940
; NumSgprs: 52
; NumVgprs: 74
; NumAgprs: 0
; TotalNumVgprs: 74
; ScratchSize: 0
; MemoryBound: 0
; FloatMode: 240
; IeeeMode: 1
; LDSByteSize: 8192 bytes/workgroup (compile time only)
; SGPRBlocks: 6
; VGPRBlocks: 9
; NumSGPRsForWavesPerEU: 52
; NumVGPRsForWavesPerEU: 74
; AccumOffset: 76
; Occupancy: 6
; WaveLimiterHint : 1
; COMPUTE_PGM_RSRC2:SCRATCH_EN: 0
; COMPUTE_PGM_RSRC2:USER_SGPR: 2
; COMPUTE_PGM_RSRC2:TRAP_HANDLER: 0
; COMPUTE_PGM_RSRC2:TGID_X_EN: 1
; COMPUTE_PGM_RSRC2:TGID_Y_EN: 1
; COMPUTE_PGM_RSRC2:TGID_Z_EN: 1
; COMPUTE_PGM_RSRC2:TIDIG_COMP_CNT: 0
; COMPUTE_PGM_RSRC3_GFX90A:ACCUM_OFFSET: 18
; COMPUTE_PGM_RSRC3_GFX90A:TG_SPLIT: 0
	.section	.text._Z35paged_attention_ll4mi_reduce_kernelIDF16_DF16_Li64ELi64ELi256ELi9EEvPT0_PKfS3_PKT_PKiS8_iS3_,"axG",@progbits,_Z35paged_attention_ll4mi_reduce_kernelIDF16_DF16_Li64ELi64ELi256ELi9EEvPT0_PKfS3_PKT_PKiS8_iS3_,comdat
	.protected	_Z35paged_attention_ll4mi_reduce_kernelIDF16_DF16_Li64ELi64ELi256ELi9EEvPT0_PKfS3_PKT_PKiS8_iS3_ ; -- Begin function _Z35paged_attention_ll4mi_reduce_kernelIDF16_DF16_Li64ELi64ELi256ELi9EEvPT0_PKfS3_PKT_PKiS8_iS3_
	.globl	_Z35paged_attention_ll4mi_reduce_kernelIDF16_DF16_Li64ELi64ELi256ELi9EEvPT0_PKfS3_PKT_PKiS8_iS3_
	.p2align	8
	.type	_Z35paged_attention_ll4mi_reduce_kernelIDF16_DF16_Li64ELi64ELi256ELi9EEvPT0_PKfS3_PKT_PKiS8_iS3_,@function
_Z35paged_attention_ll4mi_reduce_kernelIDF16_DF16_Li64ELi64ELi256ELi9EEvPT0_PKfS3_PKT_PKiS8_iS3_: ; @_Z35paged_attention_ll4mi_reduce_kernelIDF16_DF16_Li64ELi64ELi256ELi9EEvPT0_PKfS3_PKT_PKiS8_iS3_
; %bb.0:
	s_load_dwordx2 s[34:35], s[0:1], 0x28
	s_mov_b32 s22, s3
	s_mov_b64 s[4:5], 0
	s_waitcnt lgkmcnt(0)
	s_cmp_lg_u64 s[34:35], 0
	s_cselect_b64 s[36:37], -1, 0
	s_and_b64 vcc, exec, s[36:37]
	s_cbranch_vccz .LBB84_23
; %bb.1:
	s_add_i32 s6, s22, 1
	s_mov_b32 s7, 0
	s_lshl_b64 s[8:9], s[6:7], 2
	s_add_u32 s8, s34, s8
	s_mov_b32 s23, s7
	s_addc_u32 s9, s35, s9
	s_lshl_b64 s[6:7], s[22:23], 2
	s_add_u32 s6, s34, s6
	s_addc_u32 s7, s35, s7
	s_load_dword s3, s[8:9], 0x0
	s_load_dword s10, s[6:7], 0x0
	s_waitcnt lgkmcnt(0)
	s_sub_i32 s3, s3, s10
	s_cmp_eq_u32 s3, 1
	s_cselect_b64 s[6:7], -1, 0
	s_andn2_b64 vcc, exec, s[4:5]
	s_cbranch_vccnz .LBB84_3
.LBB84_2:
	s_mov_b32 s23, 0
	s_mov_b64 s[6:7], -1
.LBB84_3:
	s_andn2_b64 vcc, exec, s[6:7]
	s_cbranch_vccz .LBB84_5
; %bb.4:
	s_endpgm
.LBB84_5:
	s_load_dwordx4 s[24:27], s[0:1], 0x18
	s_load_dword s8, s[0:1], 0x30
	s_lshl_b64 s[38:39], s[22:23], 2
	v_cmp_lt_u32_e32 vcc, 63, v0
	s_waitcnt lgkmcnt(0)
	s_add_u32 s4, s26, s38
	s_addc_u32 s5, s27, s39
	s_load_dword s46, s[4:5], 0x0
	s_load_dword s3, s[0:1], 0x40
	s_mul_i32 s26, s2, s8
	s_mul_i32 s6, s22, s8
	s_waitcnt lgkmcnt(0)
	s_add_i32 s7, s46, 0xff
	s_ashr_i32 s4, s7, 31
	s_lshr_b32 s4, s4, 24
	s_add_i32 s7, s7, s4
	s_and_saveexec_b64 s[4:5], vcc
	s_xor_b64 s[4:5], exec, s[4:5]
	s_or_saveexec_b64 s[40:41], s[4:5]
	s_ashr_i32 s33, s7, 8
	v_mov_b32_e32 v1, s26
	s_mul_i32 s42, s6, s3
	s_xor_b64 exec, exec, s[40:41]
	s_cbranch_execz .LBB84_9
; %bb.6:
	s_add_i32 s4, s33, -1
	v_or_b32_e32 v3, 64, v0
	v_mov_b32_e32 v1, s4
	v_cmp_gt_u32_e64 s[16:17], s33, v3
	s_load_dwordx4 s[28:31], s[0:1], 0x8
	s_mov_b32 s43, 0
	v_cndmask_b32_e64 v4, v1, v3, s[16:17]
	v_or_b32_e32 v3, 0x80, v0
	v_cmp_gt_u32_e64 s[14:15], s33, v3
	s_lshl_b64 s[44:45], s[42:43], 2
	s_mov_b32 s27, s43
	v_cndmask_b32_e64 v6, v1, v3, s[14:15]
	v_or_b32_e32 v3, 0xc0, v0
	v_cmp_gt_u32_e64 s[12:13], s33, v3
	v_cmp_gt_u32_e64 s[18:19], s33, v0
	s_waitcnt lgkmcnt(0)
	s_add_u32 s20, s30, s44
	v_cndmask_b32_e64 v8, v1, v3, s[12:13]
	v_or_b32_e32 v3, 0x100, v0
	v_cmp_gt_u32_e64 s[10:11], s33, v3
	v_cndmask_b32_e64 v2, v1, v0, s[18:19]
	s_addc_u32 s21, s31, s45
	v_cndmask_b32_e64 v10, v1, v3, s[10:11]
	v_or_b32_e32 v3, 0x140, v0
	v_cmp_gt_u32_e64 s[8:9], s33, v3
	s_lshl_b64 s[30:31], s[26:27], 2
	s_add_u32 s20, s20, s30
	v_cndmask_b32_e64 v12, v1, v3, s[8:9]
	v_or_b32_e32 v3, 0x180, v0
	v_cmp_gt_u32_e64 s[6:7], s33, v3
	s_addc_u32 s21, s21, s31
	v_ashrrev_i32_e32 v5, 31, v4
	v_cndmask_b32_e64 v14, v1, v3, s[6:7]
	v_or_b32_e32 v3, 0x1c0, v0
	v_cmp_gt_u32_e64 s[4:5], s33, v3
	v_ashrrev_i32_e32 v7, 31, v6
	v_ashrrev_i32_e32 v9, 31, v8
	v_cndmask_b32_e64 v16, v1, v3, s[4:5]
	v_or_b32_e32 v3, 0x200, v0
	v_cmp_gt_u32_e32 vcc, s33, v3
	v_ashrrev_i32_e32 v11, 31, v10
	v_ashrrev_i32_e32 v13, 31, v12
	v_cndmask_b32_e32 v18, v1, v3, vcc
	v_ashrrev_i32_e32 v3, 31, v2
	v_lshlrev_b64 v[2:3], 2, v[2:3]
	v_ashrrev_i32_e32 v15, 31, v14
	v_ashrrev_i32_e32 v17, 31, v16
	;; [unrolled: 1-line block ×3, first 2 shown]
	v_lshl_add_u64 v[20:21], s[20:21], 0, v[2:3]
	v_lshlrev_b64 v[4:5], 2, v[4:5]
	v_lshlrev_b64 v[6:7], 2, v[6:7]
	;; [unrolled: 1-line block ×8, first 2 shown]
	v_lshl_add_u64 v[22:23], s[20:21], 0, v[4:5]
	v_lshl_add_u64 v[24:25], s[20:21], 0, v[6:7]
	v_lshl_add_u64 v[26:27], s[20:21], 0, v[8:9]
	v_lshl_add_u64 v[28:29], s[20:21], 0, v[10:11]
	v_lshl_add_u64 v[30:31], s[20:21], 0, v[12:13]
	v_lshl_add_u64 v[32:33], s[20:21], 0, v[14:15]
	v_lshl_add_u64 v[34:35], s[20:21], 0, v[16:17]
	global_load_dword v1, v[20:21], off
	global_load_dword v36, v[22:23], off
	;; [unrolled: 1-line block ×8, first 2 shown]
	v_lshl_add_u64 v[20:21], s[20:21], 0, v[18:19]
	global_load_dword v20, v[20:21], off
	v_mbcnt_lo_u32_b32 v21, -1, 0
	v_mbcnt_hi_u32_b32 v21, -1, v21
	v_and_b32_e32 v22, 64, v21
	v_xor_b32_e32 v23, 32, v21
	v_add_u32_e32 v22, 64, v22
	v_cmp_lt_i32_e64 s[20:21], v23, v22
	v_xor_b32_e32 v24, 16, v21
	v_xor_b32_e32 v25, 8, v21
	v_cndmask_b32_e64 v23, v21, v23, s[20:21]
	s_add_u32 s20, s28, s44
	s_addc_u32 s21, s29, s45
	s_add_u32 s28, s20, s30
	s_addc_u32 s29, s21, s31
	v_lshl_add_u64 v[2:3], s[28:29], 0, v[2:3]
	global_load_dword v27, v[2:3], off
	v_lshlrev_b32_e32 v23, 2, v23
	v_cmp_lt_i32_e64 s[20:21], v24, v22
	v_xor_b32_e32 v26, 4, v21
	v_xor_b32_e32 v28, 2, v21
	v_cndmask_b32_e64 v24, v21, v24, s[20:21]
	v_lshlrev_b32_e32 v24, 2, v24
	v_cmp_lt_i32_e64 s[20:21], v25, v22
	s_mov_b32 s27, 0x3fb8aa3b
	s_waitcnt vmcnt(7)
	v_max3_f32 v2, v1, v36, v37
	s_waitcnt vmcnt(5)
	v_max3_f32 v2, v2, v38, v39
	;; [unrolled: 2-line block ×4, first 2 shown]
	ds_bpermute_b32 v3, v23, v2
	s_waitcnt lgkmcnt(0)
	v_max_f32_e32 v3, v3, v3
	v_max_f32_e32 v29, v2, v3
	ds_bpermute_b32 v30, v24, v29
	v_cndmask_b32_e64 v2, v21, v25, s[20:21]
	v_lshlrev_b32_e32 v25, 2, v2
	v_lshl_add_u64 v[2:3], s[28:29], 0, v[4:5]
	v_cmp_lt_i32_e64 s[20:21], v26, v22
	s_waitcnt lgkmcnt(0)
	v_max_f32_e32 v4, v30, v30
	v_max_f32_e32 v4, v29, v4
	ds_bpermute_b32 v5, v25, v4
	global_load_dword v29, v[2:3], off
	v_cndmask_b32_e64 v2, v21, v26, s[20:21]
	v_lshlrev_b32_e32 v26, 2, v2
	v_cmp_lt_i32_e64 s[20:21], v28, v22
	s_waitcnt lgkmcnt(0)
	v_max_f32_e32 v2, v5, v5
	v_max_f32_e32 v2, v4, v2
	ds_bpermute_b32 v3, v26, v2
	v_cndmask_b32_e64 v5, v21, v28, s[20:21]
	v_lshlrev_b32_e32 v28, 2, v5
	v_xor_b32_e32 v4, 1, v21
	v_cmp_lt_i32_e64 s[20:21], v4, v22
	s_waitcnt lgkmcnt(0)
	v_max_f32_e32 v3, v3, v3
	v_max_f32_e32 v5, v2, v3
	ds_bpermute_b32 v30, v28, v5
	v_lshl_add_u64 v[2:3], s[28:29], 0, v[6:7]
	global_load_dword v31, v[2:3], off
	v_cndmask_b32_e64 v2, v21, v4, s[20:21]
	v_lshlrev_b32_e32 v22, 2, v2
	s_waitcnt lgkmcnt(0)
	v_max_f32_e32 v3, v30, v30
	v_max_f32_e32 v21, v5, v3
	v_lshl_add_u64 v[2:3], s[28:29], 0, v[8:9]
	v_lshl_add_u64 v[8:9], s[28:29], 0, v[14:15]
	global_load_dword v14, v[2:3], off
	ds_bpermute_b32 v30, v22, v21
	v_lshl_add_u64 v[6:7], s[28:29], 0, v[12:13]
	v_lshl_add_u64 v[4:5], s[28:29], 0, v[10:11]
	;; [unrolled: 1-line block ×3, first 2 shown]
	s_waitcnt lgkmcnt(0)
	v_max_f32_e32 v12, v30, v30
	v_max_f32_e32 v12, v21, v12
	v_sub_f32_e32 v1, v1, v12
	v_mul_f32_e32 v13, 0x3fb8aa3b, v1
	v_fma_f32 v2, v1, s27, -v13
	v_rndne_f32_e32 v3, v13
	v_fmac_f32_e32 v2, 0x32a5705f, v1
	v_sub_f32_e32 v13, v13, v3
	v_add_f32_e32 v2, v13, v2
	global_load_dword v16, v[4:5], off
	global_load_dword v17, v[6:7], off
	;; [unrolled: 1-line block ×4, first 2 shown]
	v_exp_f32_e32 v13, v2
	v_cvt_i32_f32_e32 v15, v3
	v_lshl_add_u64 v[2:3], s[28:29], 0, v[18:19]
	global_load_dword v2, v[2:3], off
	v_sub_f32_e32 v5, v36, v12
	v_mul_f32_e32 v6, 0x3fb8aa3b, v5
	v_fma_f32 v7, v5, s27, -v6
	v_rndne_f32_e32 v8, v6
	v_fmac_f32_e32 v7, 0x32a5705f, v5
	v_sub_f32_e32 v6, v6, v8
	v_add_f32_e32 v6, v6, v7
	v_exp_f32_e32 v6, v6
	v_cvt_i32_f32_e32 v7, v8
	s_mov_b32 s28, 0xc2ce8ed0
	v_ldexp_f32 v3, v13, v15
	v_cmp_ngt_f32_e64 s[20:21], s28, v1
	s_mov_b32 s29, 0x42b17218
	v_mov_b32_e32 v4, 0x7f800000
	v_cndmask_b32_e64 v3, 0, v3, s[20:21]
	v_cmp_nlt_f32_e64 s[20:21], s29, v1
	s_nop 1
	v_cndmask_b32_e64 v1, v4, v3, s[20:21]
	v_ldexp_f32 v3, v6, v7
	v_sub_f32_e32 v6, v37, v12
	v_mul_f32_e32 v7, 0x3fb8aa3b, v6
	v_fma_f32 v8, v6, s27, -v7
	v_rndne_f32_e32 v9, v7
	v_fmac_f32_e32 v8, 0x32a5705f, v6
	v_sub_f32_e32 v7, v7, v9
	v_add_f32_e32 v7, v7, v8
	v_exp_f32_e32 v7, v7
	v_cvt_i32_f32_e32 v8, v9
	v_cndmask_b32_e64 v1, 0, v1, s[18:19]
	v_cmp_ngt_f32_e64 s[18:19], s28, v5
	s_waitcnt vmcnt(8)
	v_mul_f32_e32 v1, v27, v1
	v_cndmask_b32_e64 v3, 0, v3, s[18:19]
	v_cmp_nlt_f32_e64 s[18:19], s29, v5
	v_ldexp_f32 v5, v7, v8
	v_sub_f32_e32 v7, v38, v12
	v_mul_f32_e32 v8, 0x3fb8aa3b, v7
	v_fma_f32 v9, v7, s27, -v8
	v_rndne_f32_e32 v10, v8
	v_fmac_f32_e32 v9, 0x32a5705f, v7
	v_sub_f32_e32 v8, v8, v10
	v_add_f32_e32 v8, v8, v9
	v_exp_f32_e32 v8, v8
	v_cvt_i32_f32_e32 v9, v10
	v_cndmask_b32_e64 v3, v4, v3, s[18:19]
	v_cndmask_b32_e64 v3, 0, v3, s[16:17]
	v_cmp_ngt_f32_e64 s[16:17], s28, v6
	s_waitcnt vmcnt(7)
	v_mul_f32_e32 v3, v29, v3
	v_cndmask_b32_e64 v5, 0, v5, s[16:17]
	v_cmp_nlt_f32_e64 s[16:17], s29, v6
	v_ldexp_f32 v6, v8, v9
	v_sub_f32_e32 v8, v39, v12
	v_mul_f32_e32 v9, 0x3fb8aa3b, v8
	v_fma_f32 v10, v8, s27, -v9
	v_rndne_f32_e32 v11, v9
	v_fmac_f32_e32 v10, 0x32a5705f, v8
	v_sub_f32_e32 v9, v9, v11
	v_add_f32_e32 v9, v9, v10
	v_exp_f32_e32 v9, v9
	v_cvt_i32_f32_e32 v10, v11
	v_cndmask_b32_e64 v5, v4, v5, s[16:17]
	;; [unrolled: 17-line block ×5, first 2 shown]
	v_cndmask_b32_e64 v8, 0, v8, s[8:9]
	v_cmp_ngt_f32_e64 s[8:9], s28, v10
	v_sub_f32_e32 v12, v20, v12
	s_waitcnt vmcnt(3)
	v_mul_f32_e32 v8, v17, v8
	v_cndmask_b32_e64 v9, 0, v9, s[8:9]
	v_cmp_nlt_f32_e64 s[8:9], s29, v10
	v_ldexp_f32 v10, v13, v14
	v_mul_f32_e32 v13, 0x3fb8aa3b, v12
	v_fma_f32 v14, v12, s27, -v13
	v_rndne_f32_e32 v15, v13
	v_fmac_f32_e32 v14, 0x32a5705f, v12
	v_sub_f32_e32 v13, v13, v15
	v_add_f32_e32 v13, v13, v14
	v_cndmask_b32_e64 v9, v4, v9, s[8:9]
	v_exp_f32_e32 v13, v13
	v_cvt_i32_f32_e32 v14, v15
	v_cndmask_b32_e64 v9, 0, v9, s[6:7]
	v_cmp_ngt_f32_e64 s[6:7], s28, v11
	s_nop 1
	v_cndmask_b32_e64 v10, 0, v10, s[6:7]
	v_cmp_nlt_f32_e64 s[6:7], s29, v11
	v_ldexp_f32 v11, v13, v14
	v_lshlrev_b32_e32 v13, 2, v0
	v_cndmask_b32_e64 v10, v4, v10, s[6:7]
	v_cndmask_b32_e64 v10, 0, v10, s[4:5]
	v_cmp_ngt_f32_e64 s[4:5], s28, v12
	ds_write2st64_b32 v13, v1, v3 offset1:1
	ds_write2st64_b32 v13, v5, v6 offset0:2 offset1:3
	v_cndmask_b32_e64 v11, 0, v11, s[4:5]
	v_cmp_nlt_f32_e64 s[4:5], s29, v12
	s_nop 1
	v_cndmask_b32_e64 v4, v4, v11, s[4:5]
	v_add_f32_e32 v11, v1, v3
	v_add_f32_e32 v11, v11, v5
	v_add_f32_e32 v11, v11, v6
	v_add_f32_e32 v11, v11, v7
	v_add_f32_e32 v11, v11, v8
	s_waitcnt vmcnt(2)
	v_fmac_f32_e32 v11, v21, v9
	v_cndmask_b32_e32 v4, 0, v4, vcc
	s_waitcnt vmcnt(1)
	v_fmac_f32_e32 v11, v30, v10
	s_waitcnt vmcnt(0)
	v_fmac_f32_e32 v11, v2, v4
	ds_bpermute_b32 v12, v23, v11
	v_mul_f32_e32 v4, v2, v4
	v_cmp_eq_u32_e32 vcc, 0, v0
	v_mul_f32_e32 v9, v21, v9
	v_mul_f32_e32 v10, v30, v10
	s_waitcnt lgkmcnt(0)
	v_add_f32_e32 v11, v11, v12
	ds_bpermute_b32 v12, v24, v11
	ds_write2st64_b32 v13, v7, v8 offset0:4 offset1:5
	ds_write2st64_b32 v13, v9, v10 offset0:6 offset1:7
	ds_write_b32 v13, v4 offset:2048
	s_waitcnt lgkmcnt(3)
	v_add_f32_e32 v11, v11, v12
	ds_bpermute_b32 v12, v25, v11
	s_waitcnt lgkmcnt(0)
	v_add_f32_e32 v11, v11, v12
	ds_bpermute_b32 v12, v26, v11
	;; [unrolled: 3-line block ×4, first 2 shown]
	s_and_saveexec_b64 s[4:5], vcc
	s_cbranch_execz .LBB84_8
; %bb.7:
	s_waitcnt lgkmcnt(0)
	v_add_f32_e32 v1, v1, v2
	v_mov_b32_e32 v2, 0
	ds_write_b32 v2, v1 offset:2304
.LBB84_8:
	s_or_b64 exec, exec, s[4:5]
	v_mov_b32_e32 v1, s26
.LBB84_9:
	s_or_b64 exec, exec, s[40:41]
	s_lshl_b32 s4, s42, 6
	s_mov_b32 s5, 0
	s_lshl_b64 s[4:5], s[4:5], 1
	s_add_u32 s4, s24, s4
	s_addc_u32 s5, s25, s5
	s_lshl_b32 s10, s33, 6
	s_sub_i32 s11, s10, 64
	s_waitcnt lgkmcnt(0)
	v_lshlrev_b32_e32 v2, 6, v1
	v_mov_b32_e32 v3, 0
	s_cmp_lt_i32 s46, 1
	v_lshl_add_u64 v[4:5], v[2:3], 1, s[4:5]
	s_cselect_b32 s4, s11, 0
	v_lshlrev_b32_e32 v2, 1, v0
	s_ashr_i32 s5, s4, 31
	v_lshl_add_u64 v[0:1], v[4:5], 0, v[2:3]
	s_cmpk_lt_i32 s46, 0x101
	v_lshl_add_u64 v[12:13], s[4:5], 1, v[0:1]
	s_cselect_b32 s4, s11, 64
	s_ashr_i32 s5, s4, 31
	s_cmpk_lt_i32 s46, 0x201
	v_lshl_add_u64 v[14:15], s[4:5], 1, v[0:1]
	s_cselect_b32 s4, s11, 0x80
	s_ashr_i32 s5, s4, 31
	;; [unrolled: 4-line block ×8, first 2 shown]
	s_cmpk_lt_i32 s46, 0x901
	global_load_ushort v4, v[12:13], off
	global_load_ushort v5, v[14:15], off
	;; [unrolled: 1-line block ×8, first 2 shown]
	v_lshl_add_u64 v[20:21], s[4:5], 1, v[0:1]
	s_cselect_b32 s4, s11, 0x240
	s_ashr_i32 s5, s4, 31
	s_cmpk_lt_i32 s46, 0xa01
	v_lshl_add_u64 v[22:23], s[4:5], 1, v[0:1]
	s_cselect_b32 s4, s11, 0x280
	s_ashr_i32 s5, s4, 31
	s_cmpk_lt_i32 s46, 0xb01
	;; [unrolled: 4-line block ×6, first 2 shown]
	v_lshl_add_u64 v[32:33], s[4:5], 1, v[0:1]
	s_cselect_b32 s4, s11, 0x3c0
	s_ashr_i32 s5, s4, 31
	v_lshl_add_u64 v[34:35], s[4:5], 1, v[0:1]
	global_load_ushort v12, v[20:21], off
	global_load_ushort v13, v[22:23], off
	global_load_ushort v14, v[24:25], off
	global_load_ushort v15, v[26:27], off
	global_load_ushort v16, v[28:29], off
	global_load_ushort v17, v[30:31], off
	global_load_ushort v18, v[32:33], off
	global_load_ushort v19, v[34:35], off
	s_cmpk_gt_i32 s46, 0x1000
	s_cselect_b64 s[8:9], -1, 0
	s_cmpk_lt_i32 s46, 0x1001
	v_mov_b32_e32 v36, 0
	v_mov_b32_e32 v37, 0
	;; [unrolled: 1-line block ×48, first 2 shown]
	s_waitcnt lgkmcnt(0)
	; wave barrier
	s_cbranch_scc1 .LBB84_12
; %bb.10:
	s_cmpk_lt_u32 s46, 0x1101
	s_cselect_b32 s4, s11, 0x440
	s_ashr_i32 s5, s4, 31
	s_cmpk_lt_u32 s46, 0x1201
	v_lshl_add_u64 v[28:29], s[4:5], 1, v[0:1]
	s_cselect_b32 s4, s11, 0x480
	s_ashr_i32 s5, s4, 31
	s_cmpk_lt_u32 s46, 0x1301
	v_lshl_add_u64 v[30:31], s[4:5], 1, v[0:1]
	;; [unrolled: 4-line block ×7, first 2 shown]
	s_cselect_b32 s4, s11, 0x600
	s_ashr_i32 s5, s4, 31
	s_cmpk_lt_u32 s46, 0x1901
	global_load_ushort v27, v[0:1], off offset:2048
	global_load_ushort v26, v[28:29], off
	global_load_ushort v25, v[30:31], off
	;; [unrolled: 1-line block ×7, first 2 shown]
	v_lshl_add_u64 v[36:37], s[4:5], 1, v[0:1]
	s_cselect_b32 s4, s11, 0x640
	s_ashr_i32 s5, s4, 31
	s_cmpk_lt_u32 s46, 0x1a01
	v_lshl_add_u64 v[38:39], s[4:5], 1, v[0:1]
	s_cselect_b32 s4, s11, 0x680
	s_ashr_i32 s5, s4, 31
	s_cmpk_lt_u32 s46, 0x1b01
	;; [unrolled: 4-line block ×6, first 2 shown]
	v_lshl_add_u64 v[48:49], s[4:5], 1, v[0:1]
	s_cselect_b32 s4, s11, 0x7c0
	s_ashr_i32 s5, s4, 31
	v_lshl_add_u64 v[50:51], s[4:5], 1, v[0:1]
	global_load_ushort v35, v[36:37], off
	global_load_ushort v34, v[38:39], off
	;; [unrolled: 1-line block ×8, first 2 shown]
	s_cmpk_lt_u32 s46, 0x2001
	v_mov_b32_e32 v67, 0
	v_mov_b32_e32 v66, 0
	v_mov_b32_e32 v65, 0
	v_mov_b32_e32 v64, 0
	v_mov_b32_e32 v63, 0
	v_mov_b32_e32 v62, 0
	v_mov_b32_e32 v61, 0
	v_mov_b32_e32 v60, 0
	v_mov_b32_e32 v59, 0
	v_mov_b32_e32 v58, 0
	v_mov_b32_e32 v57, 0
	v_mov_b32_e32 v56, 0
	v_mov_b32_e32 v55, 0
	v_mov_b32_e32 v54, 0
	v_mov_b32_e32 v53, 0
	v_mov_b32_e32 v52, 0
	v_mov_b32_e32 v51, 0
	v_mov_b32_e32 v50, 0
	v_mov_b32_e32 v49, 0
	v_mov_b32_e32 v48, 0
	v_mov_b32_e32 v47, 0
	v_mov_b32_e32 v46, 0
	v_mov_b32_e32 v45, 0
	v_mov_b32_e32 v44, 0
	v_mov_b32_e32 v43, 0
	v_mov_b32_e32 v42, 0
	v_mov_b32_e32 v41, 0
	v_mov_b32_e32 v40, 0
	v_mov_b32_e32 v39, 0
	v_mov_b32_e32 v38, 0
	v_mov_b32_e32 v37, 0
	v_mov_b32_e32 v36, 0
	s_cbranch_scc1 .LBB84_12
; %bb.11:
	s_cmpk_lt_u32 s46, 0x2101
	s_cselect_b32 s4, s11, 0x840
	s_ashr_i32 s5, s4, 31
	s_cmpk_lt_u32 s46, 0x2201
	v_lshl_add_u64 v[38:39], s[4:5], 1, v[0:1]
	s_cselect_b32 s4, s11, 0x880
	s_ashr_i32 s5, s4, 31
	s_cmpk_lt_u32 s46, 0x2301
	v_lshl_add_u64 v[40:41], s[4:5], 1, v[0:1]
	;; [unrolled: 4-line block ×7, first 2 shown]
	s_cselect_b32 s4, s11, 0xa00
	v_add_co_u32_e32 v36, vcc, 0x1000, v0
	s_ashr_i32 s5, s4, 31
	s_nop 0
	v_addc_co_u32_e32 v37, vcc, 0, v1, vcc
	s_cmpk_lt_u32 s46, 0x2901
	global_load_ushort v52, v[36:37], off
	global_load_ushort v53, v[38:39], off
	global_load_ushort v54, v[40:41], off
	global_load_ushort v55, v[42:43], off
	global_load_ushort v56, v[44:45], off
	global_load_ushort v57, v[46:47], off
	global_load_ushort v58, v[48:49], off
	global_load_ushort v59, v[50:51], off
	v_lshl_add_u64 v[36:37], s[4:5], 1, v[0:1]
	s_cselect_b32 s4, s11, 0xa40
	s_ashr_i32 s5, s4, 31
	s_cmpk_lt_u32 s46, 0x2a01
	v_lshl_add_u64 v[38:39], s[4:5], 1, v[0:1]
	s_cselect_b32 s4, s11, 0xa80
	s_ashr_i32 s5, s4, 31
	s_cmpk_lt_u32 s46, 0x2b01
	;; [unrolled: 4-line block ×8, first 2 shown]
	global_load_ushort v68, v[36:37], off
	global_load_ushort v69, v[38:39], off
	;; [unrolled: 1-line block ×8, first 2 shown]
	v_lshl_add_u64 v[36:37], s[4:5], 1, v[0:1]
	s_cselect_b32 s4, s11, 0xc40
	s_ashr_i32 s5, s4, 31
	s_cmpk_lt_u32 s46, 0x3201
	v_lshl_add_u64 v[38:39], s[4:5], 1, v[0:1]
	s_cselect_b32 s4, s11, 0xc80
	s_ashr_i32 s5, s4, 31
	s_cmpk_lt_u32 s46, 0x3301
	;; [unrolled: 4-line block ×8, first 2 shown]
	global_load_ushort v76, v[36:37], off
	global_load_ushort v77, v[38:39], off
	;; [unrolled: 1-line block ×8, first 2 shown]
	v_lshl_add_u64 v[36:37], s[4:5], 1, v[0:1]
	s_cselect_b32 s4, s11, 0xe40
	s_ashr_i32 s5, s4, 31
	s_cmpk_lt_u32 s46, 0x3a01
	v_lshl_add_u64 v[38:39], s[4:5], 1, v[0:1]
	s_cselect_b32 s4, s11, 0xe80
	s_ashr_i32 s5, s4, 31
	s_cmpk_lt_u32 s46, 0x3b01
	;; [unrolled: 4-line block ×6, first 2 shown]
	v_lshl_add_u64 v[48:49], s[4:5], 1, v[0:1]
	s_cselect_b32 s4, s11, 0xfc0
	s_ashr_i32 s5, s4, 31
	v_lshl_add_u64 v[50:51], s[4:5], 1, v[0:1]
	global_load_ushort v84, v[36:37], off
	global_load_ushort v85, v[38:39], off
	;; [unrolled: 1-line block ×8, first 2 shown]
	s_waitcnt vmcnt(31)
	v_cvt_f32_f16_e32 v67, v52
	s_waitcnt vmcnt(30)
	v_cvt_f32_f16_e32 v66, v53
	;; [unrolled: 2-line block ×32, first 2 shown]
.LBB84_12:
	ds_read_b128 v[68:71], v3
	s_load_dwordx2 s[4:5], s[0:1], 0x0
	s_load_dwordx2 s[6:7], s[0:1], 0x38
	ds_read_b128 v[72:75], v3 offset:16
	ds_read_b128 v[76:79], v3 offset:32
	;; [unrolled: 1-line block ×3, first 2 shown]
	s_and_b64 vcc, exec, s[8:9]
	s_waitcnt vmcnt(15) lgkmcnt(0)
	v_fma_mix_f32 v4, v68, v4, 0 op_sel_hi:[0,1,0]
	s_waitcnt vmcnt(14)
	v_fma_mix_f32 v4, v69, v5, v4 op_sel_hi:[0,1,0]
	s_waitcnt vmcnt(13)
	;; [unrolled: 2-line block ×15, first 2 shown]
	v_fma_mix_f32 v4, v83, v19, v4 op_sel_hi:[0,1,0]
	s_cbranch_vccz .LBB84_15
; %bb.13:
	ds_read_b128 v[6:9], v3 offset:64
	ds_read_b128 v[10:13], v3 offset:80
	;; [unrolled: 1-line block ×4, first 2 shown]
	s_cmpk_lt_u32 s46, 0x2001
	s_waitcnt lgkmcnt(3)
	v_fma_mix_f32 v3, v6, v27, v4 op_sel_hi:[0,1,0]
	v_fma_mix_f32 v3, v7, v26, v3 op_sel_hi:[0,1,0]
	v_fma_mix_f32 v3, v8, v25, v3 op_sel_hi:[0,1,0]
	v_fma_mix_f32 v3, v9, v24, v3 op_sel_hi:[0,1,0]
	s_waitcnt lgkmcnt(2)
	v_fma_mix_f32 v3, v10, v23, v3 op_sel_hi:[0,1,0]
	v_fma_mix_f32 v3, v11, v22, v3 op_sel_hi:[0,1,0]
	v_fma_mix_f32 v3, v12, v21, v3 op_sel_hi:[0,1,0]
	v_fma_mix_f32 v3, v13, v20, v3 op_sel_hi:[0,1,0]
	;; [unrolled: 5-line block ×4, first 2 shown]
	s_cbranch_scc1 .LBB84_15
; %bb.14:
	v_mov_b32_e32 v3, 0
	ds_read_b128 v[6:9], v3 offset:128
	ds_read_b128 v[10:13], v3 offset:144
	;; [unrolled: 1-line block ×4, first 2 shown]
	s_waitcnt lgkmcnt(3)
	v_fmac_f32_e32 v4, v6, v67
	v_fmac_f32_e32 v4, v7, v66
	v_fmac_f32_e32 v4, v8, v65
	v_fmac_f32_e32 v4, v9, v64
	s_waitcnt lgkmcnt(2)
	v_fmac_f32_e32 v4, v10, v63
	v_fmac_f32_e32 v4, v11, v62
	v_fmac_f32_e32 v4, v12, v61
	v_fmac_f32_e32 v4, v13, v60
	;; [unrolled: 5-line block ×3, first 2 shown]
	ds_read_b128 v[6:9], v3 offset:192
	ds_read_b128 v[10:13], v3 offset:208
	s_waitcnt lgkmcnt(2)
	v_fmac_f32_e32 v4, v18, v55
	v_fmac_f32_e32 v4, v19, v54
	;; [unrolled: 1-line block ×4, first 2 shown]
	s_waitcnt lgkmcnt(1)
	v_fmac_f32_e32 v4, v6, v51
	v_fmac_f32_e32 v4, v7, v50
	;; [unrolled: 1-line block ×4, first 2 shown]
	ds_read_b128 v[6:9], v3 offset:224
	s_waitcnt lgkmcnt(1)
	v_fmac_f32_e32 v4, v10, v47
	v_fmac_f32_e32 v4, v11, v46
	;; [unrolled: 1-line block ×4, first 2 shown]
	ds_read_b128 v[10:13], v3 offset:240
	s_waitcnt lgkmcnt(1)
	v_fmac_f32_e32 v4, v6, v43
	v_fmac_f32_e32 v4, v7, v42
	;; [unrolled: 1-line block ×4, first 2 shown]
	s_waitcnt lgkmcnt(0)
	v_fmac_f32_e32 v4, v10, v39
	v_fmac_f32_e32 v4, v11, v38
	;; [unrolled: 1-line block ×4, first 2 shown]
.LBB84_15:
	s_movk_i32 s0, 0x1fc0
	s_movk_i32 s1, 0x100
	s_mov_b32 s8, 64
	s_branch .LBB84_17
.LBB84_16:                              ;   in Loop: Header=BB84_17 Depth=1
	s_addk_i32 s0, 0x1000
	s_addk_i32 s1, 0x100
	s_add_i32 s8, s8, 64
	s_cmpk_eq_u32 s0, 0x9fc0
	s_cbranch_scc1 .LBB84_19
.LBB84_17:                              ; =>This Inner Loop Header: Depth=1
	s_cmp_le_i32 s33, s8
	s_cbranch_scc1 .LBB84_16
; %bb.18:                               ;   in Loop: Header=BB84_17 Depth=1
	s_add_i32 s9, s0, 0xfffff040
	s_cmp_lt_i32 s9, s10
	s_cselect_b32 s12, s9, s11
	s_ashr_i32 s13, s12, 31
	s_add_i32 s9, s0, 0xfffff080
	s_cmp_lt_i32 s9, s10
	v_lshl_add_u64 v[12:13], s[12:13], 1, v[0:1]
	s_cselect_b32 s12, s9, s11
	s_ashr_i32 s13, s12, 31
	s_add_i32 s9, s0, 0xfffff0c0
	s_cmp_lt_i32 s9, s10
	v_lshl_add_u64 v[14:15], s[12:13], 1, v[0:1]
	;; [unrolled: 5-line block ×8, first 2 shown]
	s_cselect_b32 s12, s9, s11
	s_ashr_i32 s13, s12, 31
	s_add_i32 s9, s0, 0xfffff280
	s_cmp_lt_i32 s9, s10
	global_load_ushort v3, v[12:13], off
	global_load_ushort v5, v[14:15], off
	global_load_ushort v6, v[16:17], off
	global_load_ushort v7, v[18:19], off
	global_load_ushort v8, v[20:21], off
	global_load_ushort v9, v[22:23], off
	global_load_ushort v10, v[24:25], off
	global_load_ushort v11, v[26:27], off
	v_lshl_add_u64 v[12:13], s[12:13], 1, v[0:1]
	s_cselect_b32 s12, s9, s11
	s_ashr_i32 s13, s12, 31
	s_add_i32 s9, s0, 0xfffff2c0
	s_cmp_lt_i32 s9, s10
	v_lshl_add_u64 v[14:15], s[12:13], 1, v[0:1]
	s_cselect_b32 s12, s9, s11
	s_ashr_i32 s13, s12, 31
	s_add_i32 s9, s0, 0xfffff300
	s_cmp_lt_i32 s9, s10
	v_lshl_add_u64 v[16:17], s[12:13], 1, v[0:1]
	s_cselect_b32 s12, s9, s11
	s_ashr_i32 s13, s12, 31
	s_add_i32 s9, s0, 0xfffff340
	s_cmp_lt_i32 s9, s10
	v_lshl_add_u64 v[18:19], s[12:13], 1, v[0:1]
	s_cselect_b32 s12, s9, s11
	s_ashr_i32 s13, s12, 31
	s_add_i32 s9, s0, 0xfffff380
	s_cmp_lt_i32 s9, s10
	v_lshl_add_u64 v[20:21], s[12:13], 1, v[0:1]
	s_cselect_b32 s12, s9, s11
	s_ashr_i32 s13, s12, 31
	s_add_i32 s9, s0, 0xfffff3c0
	s_cmp_lt_i32 s9, s10
	v_lshl_add_u64 v[22:23], s[12:13], 1, v[0:1]
	s_cselect_b32 s12, s9, s11
	s_ashr_i32 s13, s12, 31
	s_add_i32 s9, s0, 0xfffff400
	s_cmp_lt_i32 s9, s10
	v_lshl_add_u64 v[24:25], s[12:13], 1, v[0:1]
	s_cselect_b32 s12, s9, s11
	s_ashr_i32 s13, s12, 31
	s_add_i32 s9, s0, 0xfffff440
	s_cmp_lt_i32 s9, s10
	v_lshl_add_u64 v[26:27], s[12:13], 1, v[0:1]
	s_cselect_b32 s12, s9, s11
	s_ashr_i32 s13, s12, 31
	s_add_i32 s9, s0, 0xfffff480
	s_cmp_lt_i32 s9, s10
	global_load_ushort v28, v[12:13], off
	global_load_ushort v29, v[14:15], off
	global_load_ushort v30, v[16:17], off
	global_load_ushort v31, v[18:19], off
	global_load_ushort v32, v[20:21], off
	global_load_ushort v33, v[22:23], off
	global_load_ushort v34, v[24:25], off
	global_load_ushort v35, v[26:27], off
	v_lshl_add_u64 v[12:13], s[12:13], 1, v[0:1]
	s_cselect_b32 s12, s9, s11
	s_ashr_i32 s13, s12, 31
	s_add_i32 s9, s0, 0xfffff4c0
	s_cmp_lt_i32 s9, s10
	v_lshl_add_u64 v[14:15], s[12:13], 1, v[0:1]
	s_cselect_b32 s12, s9, s11
	s_ashr_i32 s13, s12, 31
	s_add_i32 s9, s0, 0xfffff500
	s_cmp_lt_i32 s9, s10
	v_lshl_add_u64 v[16:17], s[12:13], 1, v[0:1]
	s_cselect_b32 s12, s9, s11
	s_ashr_i32 s13, s12, 31
	s_add_i32 s9, s0, 0xfffff540
	s_cmp_lt_i32 s9, s10
	v_lshl_add_u64 v[18:19], s[12:13], 1, v[0:1]
	s_cselect_b32 s12, s9, s11
	s_ashr_i32 s13, s12, 31
	s_add_i32 s9, s0, 0xfffff580
	s_cmp_lt_i32 s9, s10
	v_lshl_add_u64 v[20:21], s[12:13], 1, v[0:1]
	s_cselect_b32 s12, s9, s11
	s_ashr_i32 s13, s12, 31
	s_add_i32 s9, s0, 0xfffff5c0
	s_cmp_lt_i32 s9, s10
	v_lshl_add_u64 v[22:23], s[12:13], 1, v[0:1]
	s_cselect_b32 s12, s9, s11
	s_ashr_i32 s13, s12, 31
	s_add_i32 s9, s0, 0xfffff600
	s_cmp_lt_i32 s9, s10
	v_lshl_add_u64 v[24:25], s[12:13], 1, v[0:1]
	s_cselect_b32 s12, s9, s11
	s_ashr_i32 s13, s12, 31
	s_add_i32 s9, s0, 0xfffff640
	s_cmp_lt_i32 s9, s10
	v_lshl_add_u64 v[26:27], s[12:13], 1, v[0:1]
	;; [unrolled: 48-line block ×6, first 2 shown]
	s_cselect_b32 s12, s9, s11
	s_ashr_i32 s13, s12, 31
	s_add_i32 s9, s0, 0xfffffe80
	s_cmp_lt_i32 s9, s10
	global_load_ushort v68, v[12:13], off
	global_load_ushort v69, v[14:15], off
	;; [unrolled: 1-line block ×8, first 2 shown]
	v_lshl_add_u64 v[12:13], s[12:13], 1, v[0:1]
	s_cselect_b32 s12, s9, s11
	s_ashr_i32 s13, s12, 31
	s_add_i32 s9, s0, 0xfffffec0
	s_cmp_lt_i32 s9, s10
	v_lshl_add_u64 v[14:15], s[12:13], 1, v[0:1]
	s_cselect_b32 s12, s9, s11
	s_ashr_i32 s13, s12, 31
	s_add_i32 s9, s0, 0xffffff00
	s_cmp_lt_i32 s9, s10
	;; [unrolled: 5-line block ×4, first 2 shown]
	v_lshl_add_u64 v[20:21], s[12:13], 1, v[0:1]
	s_cselect_b32 s12, s9, s11
	s_ashr_i32 s13, s12, 31
	s_sub_i32 s9, s0, 64
	s_cmp_lt_i32 s9, s10
	v_lshl_add_u64 v[22:23], s[12:13], 1, v[0:1]
	s_cselect_b32 s12, s9, s11
	s_ashr_i32 s13, s12, 31
	s_cmp_lt_i32 s0, s10
	v_lshl_add_u64 v[24:25], s[12:13], 1, v[0:1]
	s_cselect_b32 s12, s0, s11
	s_ashr_i32 s13, s12, 31
	v_lshl_add_u64 v[26:27], s[12:13], 1, v[0:1]
	global_load_ushort v76, v[12:13], off
	global_load_ushort v77, v[14:15], off
	;; [unrolled: 1-line block ×8, first 2 shown]
	v_mov_b32_e32 v84, s1
	ds_read_b128 v[12:15], v84
	ds_read_b128 v[16:19], v84 offset:16
	ds_read_b128 v[20:23], v84 offset:32
	;; [unrolled: 1-line block ×3, first 2 shown]
	s_waitcnt vmcnt(62) lgkmcnt(3)
	v_fma_mix_f32 v3, v12, v3, v4 op_sel_hi:[0,1,0]
	v_fma_mix_f32 v3, v13, v5, v3 op_sel_hi:[0,1,0]
	s_waitcnt vmcnt(61)
	v_fma_mix_f32 v3, v14, v6, v3 op_sel_hi:[0,1,0]
	s_waitcnt vmcnt(60)
	v_fma_mix_f32 v3, v15, v7, v3 op_sel_hi:[0,1,0]
	s_waitcnt vmcnt(59) lgkmcnt(2)
	v_fma_mix_f32 v3, v16, v8, v3 op_sel_hi:[0,1,0]
	s_waitcnt vmcnt(58)
	v_fma_mix_f32 v3, v17, v9, v3 op_sel_hi:[0,1,0]
	s_waitcnt vmcnt(57)
	;; [unrolled: 2-line block ×3, first 2 shown]
	v_fma_mix_f32 v3, v19, v11, v3 op_sel_hi:[0,1,0]
	s_waitcnt vmcnt(55) lgkmcnt(1)
	v_fma_mix_f32 v3, v20, v28, v3 op_sel_hi:[0,1,0]
	s_waitcnt vmcnt(54)
	v_fma_mix_f32 v3, v21, v29, v3 op_sel_hi:[0,1,0]
	s_waitcnt vmcnt(53)
	;; [unrolled: 2-line block ×3, first 2 shown]
	v_fma_mix_f32 v3, v23, v31, v3 op_sel_hi:[0,1,0]
	ds_read_b128 v[4:7], v84 offset:64
	ds_read_b128 v[8:11], v84 offset:80
	s_waitcnt vmcnt(51) lgkmcnt(2)
	v_fma_mix_f32 v3, v24, v32, v3 op_sel_hi:[0,1,0]
	s_waitcnt vmcnt(50)
	v_fma_mix_f32 v3, v25, v33, v3 op_sel_hi:[0,1,0]
	s_waitcnt vmcnt(49)
	;; [unrolled: 2-line block ×3, first 2 shown]
	v_fma_mix_f32 v3, v27, v35, v3 op_sel_hi:[0,1,0]
	s_waitcnt vmcnt(47) lgkmcnt(1)
	v_fma_mix_f32 v3, v4, v36, v3 op_sel_hi:[0,1,0]
	s_waitcnt vmcnt(46)
	v_fma_mix_f32 v3, v5, v37, v3 op_sel_hi:[0,1,0]
	s_waitcnt vmcnt(45)
	v_fma_mix_f32 v3, v6, v38, v3 op_sel_hi:[0,1,0]
	s_waitcnt vmcnt(44)
	v_fma_mix_f32 v3, v7, v39, v3 op_sel_hi:[0,1,0]
	ds_read_b128 v[4:7], v84 offset:96
	s_waitcnt vmcnt(43) lgkmcnt(1)
	v_fma_mix_f32 v3, v8, v40, v3 op_sel_hi:[0,1,0]
	s_waitcnt vmcnt(42)
	v_fma_mix_f32 v3, v9, v41, v3 op_sel_hi:[0,1,0]
	s_waitcnt vmcnt(41)
	v_fma_mix_f32 v3, v10, v42, v3 op_sel_hi:[0,1,0]
	s_waitcnt vmcnt(40)
	v_fma_mix_f32 v3, v11, v43, v3 op_sel_hi:[0,1,0]
	ds_read_b128 v[8:11], v84 offset:112
	s_waitcnt vmcnt(39) lgkmcnt(1)
	v_fma_mix_f32 v3, v4, v44, v3 op_sel_hi:[0,1,0]
	s_waitcnt vmcnt(38)
	v_fma_mix_f32 v3, v5, v45, v3 op_sel_hi:[0,1,0]
	s_waitcnt vmcnt(37)
	v_fma_mix_f32 v3, v6, v46, v3 op_sel_hi:[0,1,0]
	s_waitcnt vmcnt(36)
	v_fma_mix_f32 v3, v7, v47, v3 op_sel_hi:[0,1,0]
	ds_read_b128 v[4:7], v84 offset:128
	s_waitcnt vmcnt(35) lgkmcnt(1)
	v_fma_mix_f32 v3, v8, v48, v3 op_sel_hi:[0,1,0]
	s_waitcnt vmcnt(34)
	v_fma_mix_f32 v3, v9, v49, v3 op_sel_hi:[0,1,0]
	s_waitcnt vmcnt(33)
	v_fma_mix_f32 v3, v10, v50, v3 op_sel_hi:[0,1,0]
	s_waitcnt vmcnt(32)
	v_fma_mix_f32 v3, v11, v51, v3 op_sel_hi:[0,1,0]
	ds_read_b128 v[8:11], v84 offset:144
	s_waitcnt vmcnt(31) lgkmcnt(1)
	v_fma_mix_f32 v3, v4, v52, v3 op_sel_hi:[0,1,0]
	s_waitcnt vmcnt(30)
	v_fma_mix_f32 v3, v5, v53, v3 op_sel_hi:[0,1,0]
	s_waitcnt vmcnt(29)
	v_fma_mix_f32 v3, v6, v54, v3 op_sel_hi:[0,1,0]
	s_waitcnt vmcnt(28)
	v_fma_mix_f32 v3, v7, v55, v3 op_sel_hi:[0,1,0]
	ds_read_b128 v[4:7], v84 offset:160
	s_waitcnt vmcnt(27) lgkmcnt(1)
	v_fma_mix_f32 v3, v8, v56, v3 op_sel_hi:[0,1,0]
	s_waitcnt vmcnt(26)
	v_fma_mix_f32 v3, v9, v57, v3 op_sel_hi:[0,1,0]
	s_waitcnt vmcnt(25)
	v_fma_mix_f32 v3, v10, v58, v3 op_sel_hi:[0,1,0]
	s_waitcnt vmcnt(24)
	v_fma_mix_f32 v3, v11, v59, v3 op_sel_hi:[0,1,0]
	ds_read_b128 v[8:11], v84 offset:176
	s_waitcnt vmcnt(23) lgkmcnt(1)
	v_fma_mix_f32 v3, v4, v60, v3 op_sel_hi:[0,1,0]
	s_waitcnt vmcnt(22)
	v_fma_mix_f32 v3, v5, v61, v3 op_sel_hi:[0,1,0]
	s_waitcnt vmcnt(21)
	v_fma_mix_f32 v3, v6, v62, v3 op_sel_hi:[0,1,0]
	s_waitcnt vmcnt(20)
	v_fma_mix_f32 v3, v7, v63, v3 op_sel_hi:[0,1,0]
	ds_read_b128 v[4:7], v84 offset:192
	s_waitcnt vmcnt(19) lgkmcnt(1)
	v_fma_mix_f32 v3, v8, v64, v3 op_sel_hi:[0,1,0]
	s_waitcnt vmcnt(18)
	v_fma_mix_f32 v3, v9, v65, v3 op_sel_hi:[0,1,0]
	s_waitcnt vmcnt(17)
	v_fma_mix_f32 v3, v10, v66, v3 op_sel_hi:[0,1,0]
	s_waitcnt vmcnt(16)
	v_fma_mix_f32 v3, v11, v67, v3 op_sel_hi:[0,1,0]
	ds_read_b128 v[8:11], v84 offset:208
	s_waitcnt vmcnt(15) lgkmcnt(1)
	v_fma_mix_f32 v3, v4, v68, v3 op_sel_hi:[0,1,0]
	s_waitcnt vmcnt(14)
	v_fma_mix_f32 v3, v5, v69, v3 op_sel_hi:[0,1,0]
	s_waitcnt vmcnt(13)
	v_fma_mix_f32 v3, v6, v70, v3 op_sel_hi:[0,1,0]
	s_waitcnt vmcnt(12)
	v_fma_mix_f32 v3, v7, v71, v3 op_sel_hi:[0,1,0]
	ds_read_b128 v[4:7], v84 offset:224
	s_waitcnt vmcnt(11) lgkmcnt(1)
	v_fma_mix_f32 v3, v8, v72, v3 op_sel_hi:[0,1,0]
	s_waitcnt vmcnt(10)
	v_fma_mix_f32 v3, v9, v73, v3 op_sel_hi:[0,1,0]
	s_waitcnt vmcnt(9)
	v_fma_mix_f32 v3, v10, v74, v3 op_sel_hi:[0,1,0]
	s_waitcnt vmcnt(8)
	v_fma_mix_f32 v3, v11, v75, v3 op_sel_hi:[0,1,0]
	ds_read_b128 v[8:11], v84 offset:240
	s_waitcnt vmcnt(7) lgkmcnt(1)
	v_fma_mix_f32 v3, v4, v76, v3 op_sel_hi:[0,1,0]
	s_waitcnt vmcnt(6)
	v_fma_mix_f32 v3, v5, v77, v3 op_sel_hi:[0,1,0]
	s_waitcnt vmcnt(5)
	;; [unrolled: 2-line block ×3, first 2 shown]
	v_fma_mix_f32 v3, v7, v79, v3 op_sel_hi:[0,1,0]
	s_waitcnt vmcnt(3) lgkmcnt(0)
	v_fma_mix_f32 v3, v8, v80, v3 op_sel_hi:[0,1,0]
	s_waitcnt vmcnt(2)
	v_fma_mix_f32 v3, v9, v81, v3 op_sel_hi:[0,1,0]
	s_waitcnt vmcnt(1)
	;; [unrolled: 2-line block ×3, first 2 shown]
	v_fma_mix_f32 v4, v11, v83, v3 op_sel_hi:[0,1,0]
	s_branch .LBB84_16
.LBB84_19:
	v_mov_b32_e32 v0, 0
	ds_read_b32 v1, v0 offset:2304
	s_cmp_lg_u64 s[6:7], 0
	s_cbranch_scc0 .LBB84_24
; %bb.20:
	s_load_dword s6, s[6:7], 0x0
	s_waitcnt lgkmcnt(0)
	v_div_scale_f32 v0, s[0:1], s6, s6, 1.0
	v_rcp_f32_e32 v3, v0
	v_div_scale_f32 v5, vcc, 1.0, s6, 1.0
	v_fma_f32 v6, -v0, v3, 1.0
	v_fmac_f32_e32 v3, v6, v3
	v_mul_f32_e32 v6, v5, v3
	v_fma_f32 v7, -v0, v6, v5
	v_fmac_f32_e32 v6, v7, v3
	v_fma_f32 v0, -v0, v6, v5
	v_div_fmas_f32 v0, v0, v3, v6
	v_div_fixup_f32 v0, v0, s6, 1.0
	s_andn2_b64 vcc, exec, s[36:37]
	s_cbranch_vccnz .LBB84_22
.LBB84_21:
	s_add_u32 s0, s34, s38
	s_addc_u32 s1, s35, s39
	s_load_dword s22, s[0:1], 0x0
	s_mov_b32 s23, 0
.LBB84_22:
	s_waitcnt lgkmcnt(0)
	v_add_f32_e32 v1, 0x358637bd, v1
	v_div_scale_f32 v3, s[0:1], v1, v1, 1.0
	v_rcp_f32_e32 v5, v3
	v_div_scale_f32 v6, vcc, 1.0, v1, 1.0
	s_mul_i32 s0, s3, s23
	v_fma_f32 v7, -v3, v5, 1.0
	v_fmac_f32_e32 v5, v7, v5
	v_mul_f32_e32 v7, v6, v5
	v_fma_f32 v8, -v3, v7, v6
	s_mul_hi_u32 s1, s3, s22
	v_fmac_f32_e32 v7, v8, v5
	s_add_i32 s1, s1, s0
	s_mul_i32 s0, s3, s22
	v_fma_f32 v3, -v3, v7, v6
	s_lshl_b64 s[0:1], s[0:1], 7
	v_div_fmas_f32 v3, v3, v5, v7
	s_add_u32 s4, s4, s0
	s_mov_b32 s3, 0
	v_div_fixup_f32 v1, v3, v1, 1.0
	s_addc_u32 s5, s5, s1
	s_lshl_b64 s[0:1], s[2:3], 7
	v_mul_f32_e32 v1, v4, v1
	s_add_u32 s0, s4, s0
	s_addc_u32 s1, s5, s1
	v_fma_mixlo_f16 v0, v1, v0, 0
	global_store_short v2, v0, s[0:1]
	s_endpgm
.LBB84_23:
	s_mov_b64 s[6:7], 0
	s_branch .LBB84_2
.LBB84_24:
	v_mov_b32_e32 v0, 1.0
	s_andn2_b64 vcc, exec, s[36:37]
	s_cbranch_vccz .LBB84_21
	s_branch .LBB84_22
	.section	.rodata,"a",@progbits
	.p2align	6, 0x0
	.amdhsa_kernel _Z35paged_attention_ll4mi_reduce_kernelIDF16_DF16_Li64ELi64ELi256ELi9EEvPT0_PKfS3_PKT_PKiS8_iS3_
		.amdhsa_group_segment_fixed_size 2308
		.amdhsa_private_segment_fixed_size 0
		.amdhsa_kernarg_size 320
		.amdhsa_user_sgpr_count 2
		.amdhsa_user_sgpr_dispatch_ptr 0
		.amdhsa_user_sgpr_queue_ptr 0
		.amdhsa_user_sgpr_kernarg_segment_ptr 1
		.amdhsa_user_sgpr_dispatch_id 0
		.amdhsa_user_sgpr_kernarg_preload_length 0
		.amdhsa_user_sgpr_kernarg_preload_offset 0
		.amdhsa_user_sgpr_private_segment_size 0
		.amdhsa_uses_dynamic_stack 0
		.amdhsa_enable_private_segment 0
		.amdhsa_system_sgpr_workgroup_id_x 1
		.amdhsa_system_sgpr_workgroup_id_y 1
		.amdhsa_system_sgpr_workgroup_id_z 0
		.amdhsa_system_sgpr_workgroup_info 0
		.amdhsa_system_vgpr_workitem_id 0
		.amdhsa_next_free_vgpr 92
		.amdhsa_next_free_sgpr 47
		.amdhsa_accum_offset 92
		.amdhsa_reserve_vcc 1
		.amdhsa_float_round_mode_32 0
		.amdhsa_float_round_mode_16_64 0
		.amdhsa_float_denorm_mode_32 3
		.amdhsa_float_denorm_mode_16_64 3
		.amdhsa_dx10_clamp 1
		.amdhsa_ieee_mode 1
		.amdhsa_fp16_overflow 0
		.amdhsa_tg_split 0
		.amdhsa_exception_fp_ieee_invalid_op 0
		.amdhsa_exception_fp_denorm_src 0
		.amdhsa_exception_fp_ieee_div_zero 0
		.amdhsa_exception_fp_ieee_overflow 0
		.amdhsa_exception_fp_ieee_underflow 0
		.amdhsa_exception_fp_ieee_inexact 0
		.amdhsa_exception_int_div_zero 0
	.end_amdhsa_kernel
	.section	.text._Z35paged_attention_ll4mi_reduce_kernelIDF16_DF16_Li64ELi64ELi256ELi9EEvPT0_PKfS3_PKT_PKiS8_iS3_,"axG",@progbits,_Z35paged_attention_ll4mi_reduce_kernelIDF16_DF16_Li64ELi64ELi256ELi9EEvPT0_PKfS3_PKT_PKiS8_iS3_,comdat
.Lfunc_end84:
	.size	_Z35paged_attention_ll4mi_reduce_kernelIDF16_DF16_Li64ELi64ELi256ELi9EEvPT0_PKfS3_PKT_PKiS8_iS3_, .Lfunc_end84-_Z35paged_attention_ll4mi_reduce_kernelIDF16_DF16_Li64ELi64ELi256ELi9EEvPT0_PKfS3_PKT_PKiS8_iS3_
                                        ; -- End function
	.section	.AMDGPU.csdata,"",@progbits
; Kernel info:
; codeLenInByte = 9304
; NumSgprs: 53
; NumVgprs: 92
; NumAgprs: 0
; TotalNumVgprs: 92
; ScratchSize: 0
; MemoryBound: 0
; FloatMode: 240
; IeeeMode: 1
; LDSByteSize: 2308 bytes/workgroup (compile time only)
; SGPRBlocks: 6
; VGPRBlocks: 11
; NumSGPRsForWavesPerEU: 53
; NumVGPRsForWavesPerEU: 92
; AccumOffset: 92
; Occupancy: 5
; WaveLimiterHint : 1
; COMPUTE_PGM_RSRC2:SCRATCH_EN: 0
; COMPUTE_PGM_RSRC2:USER_SGPR: 2
; COMPUTE_PGM_RSRC2:TRAP_HANDLER: 0
; COMPUTE_PGM_RSRC2:TGID_X_EN: 1
; COMPUTE_PGM_RSRC2:TGID_Y_EN: 1
; COMPUTE_PGM_RSRC2:TGID_Z_EN: 0
; COMPUTE_PGM_RSRC2:TIDIG_COMP_CNT: 0
; COMPUTE_PGM_RSRC3_GFX90A:ACCUM_OFFSET: 22
; COMPUTE_PGM_RSRC3_GFX90A:TG_SPLIT: 0
	.section	.text._Z35paged_attention_ll4mi_reduce_kernelIDF16_DF16_Li64ELi64ELi256ELi10EEvPT0_PKfS3_PKT_PKiS8_iS3_,"axG",@progbits,_Z35paged_attention_ll4mi_reduce_kernelIDF16_DF16_Li64ELi64ELi256ELi10EEvPT0_PKfS3_PKT_PKiS8_iS3_,comdat
	.protected	_Z35paged_attention_ll4mi_reduce_kernelIDF16_DF16_Li64ELi64ELi256ELi10EEvPT0_PKfS3_PKT_PKiS8_iS3_ ; -- Begin function _Z35paged_attention_ll4mi_reduce_kernelIDF16_DF16_Li64ELi64ELi256ELi10EEvPT0_PKfS3_PKT_PKiS8_iS3_
	.globl	_Z35paged_attention_ll4mi_reduce_kernelIDF16_DF16_Li64ELi64ELi256ELi10EEvPT0_PKfS3_PKT_PKiS8_iS3_
	.p2align	8
	.type	_Z35paged_attention_ll4mi_reduce_kernelIDF16_DF16_Li64ELi64ELi256ELi10EEvPT0_PKfS3_PKT_PKiS8_iS3_,@function
_Z35paged_attention_ll4mi_reduce_kernelIDF16_DF16_Li64ELi64ELi256ELi10EEvPT0_PKfS3_PKT_PKiS8_iS3_: ; @_Z35paged_attention_ll4mi_reduce_kernelIDF16_DF16_Li64ELi64ELi256ELi10EEvPT0_PKfS3_PKT_PKiS8_iS3_
; %bb.0:
	s_load_dwordx2 s[36:37], s[0:1], 0x28
	s_mov_b32 s34, s3
	s_mov_b64 s[4:5], 0
	s_waitcnt lgkmcnt(0)
	s_cmp_lg_u64 s[36:37], 0
	s_cselect_b64 s[38:39], -1, 0
	s_and_b64 vcc, exec, s[38:39]
	s_cbranch_vccz .LBB85_23
; %bb.1:
	s_add_i32 s6, s34, 1
	s_mov_b32 s7, 0
	s_lshl_b64 s[8:9], s[6:7], 2
	s_add_u32 s8, s36, s8
	s_mov_b32 s35, s7
	s_addc_u32 s9, s37, s9
	s_lshl_b64 s[6:7], s[34:35], 2
	s_add_u32 s6, s36, s6
	s_addc_u32 s7, s37, s7
	s_load_dword s3, s[8:9], 0x0
	s_load_dword s10, s[6:7], 0x0
	s_waitcnt lgkmcnt(0)
	s_sub_i32 s3, s3, s10
	s_cmp_eq_u32 s3, 1
	s_cselect_b64 s[6:7], -1, 0
	s_andn2_b64 vcc, exec, s[4:5]
	s_cbranch_vccnz .LBB85_3
.LBB85_2:
	s_mov_b32 s35, 0
	s_mov_b64 s[6:7], -1
.LBB85_3:
	s_andn2_b64 vcc, exec, s[6:7]
	s_cbranch_vccz .LBB85_5
; %bb.4:
	s_endpgm
.LBB85_5:
	s_load_dwordx4 s[24:27], s[0:1], 0x18
	s_load_dword s8, s[0:1], 0x30
	s_lshl_b64 s[40:41], s[34:35], 2
	v_cmp_lt_u32_e32 vcc, 63, v0
	s_waitcnt lgkmcnt(0)
	s_add_u32 s4, s26, s40
	s_addc_u32 s5, s27, s41
	s_load_dword s48, s[4:5], 0x0
	s_load_dword s3, s[0:1], 0x40
	s_mul_i32 s26, s2, s8
	s_mul_i32 s6, s34, s8
	s_waitcnt lgkmcnt(0)
	s_add_i32 s7, s48, 0xff
	s_ashr_i32 s4, s7, 31
	s_lshr_b32 s4, s4, 24
	s_add_i32 s7, s7, s4
	s_and_saveexec_b64 s[4:5], vcc
	s_xor_b64 s[4:5], exec, s[4:5]
	s_or_saveexec_b64 s[42:43], s[4:5]
	s_ashr_i32 s33, s7, 8
	v_mov_b32_e32 v1, s26
	s_mul_i32 s44, s6, s3
	s_xor_b64 exec, exec, s[42:43]
	s_cbranch_execz .LBB85_9
; %bb.6:
	s_add_i32 s4, s33, -1
	v_or_b32_e32 v3, 64, v0
	v_mov_b32_e32 v1, s4
	v_cmp_gt_u32_e64 s[18:19], s33, v3
	s_load_dwordx4 s[28:31], s[0:1], 0x8
	s_mov_b32 s45, 0
	v_cndmask_b32_e64 v4, v1, v3, s[18:19]
	v_or_b32_e32 v3, 0x80, v0
	v_cmp_gt_u32_e64 s[16:17], s33, v3
	s_lshl_b64 s[46:47], s[44:45], 2
	s_mov_b32 s27, s45
	v_cndmask_b32_e64 v6, v1, v3, s[16:17]
	v_or_b32_e32 v3, 0xc0, v0
	v_cmp_gt_u32_e64 s[14:15], s33, v3
	v_cmp_gt_u32_e64 s[20:21], s33, v0
	s_waitcnt lgkmcnt(0)
	s_add_u32 s22, s30, s46
	v_cndmask_b32_e64 v8, v1, v3, s[14:15]
	v_or_b32_e32 v3, 0x100, v0
	v_cmp_gt_u32_e64 s[12:13], s33, v3
	v_cndmask_b32_e64 v2, v1, v0, s[20:21]
	s_addc_u32 s23, s31, s47
	v_cndmask_b32_e64 v10, v1, v3, s[12:13]
	v_or_b32_e32 v3, 0x140, v0
	v_cmp_gt_u32_e64 s[10:11], s33, v3
	s_lshl_b64 s[30:31], s[26:27], 2
	s_add_u32 s22, s22, s30
	v_cndmask_b32_e64 v12, v1, v3, s[10:11]
	v_or_b32_e32 v3, 0x180, v0
	v_cmp_gt_u32_e64 s[8:9], s33, v3
	s_addc_u32 s23, s23, s31
	v_ashrrev_i32_e32 v5, 31, v4
	v_cndmask_b32_e64 v14, v1, v3, s[8:9]
	v_or_b32_e32 v3, 0x1c0, v0
	v_cmp_gt_u32_e64 s[6:7], s33, v3
	v_ashrrev_i32_e32 v7, 31, v6
	v_ashrrev_i32_e32 v9, 31, v8
	v_cndmask_b32_e64 v16, v1, v3, s[6:7]
	v_or_b32_e32 v3, 0x200, v0
	v_cmp_gt_u32_e64 s[4:5], s33, v3
	v_ashrrev_i32_e32 v11, 31, v10
	v_ashrrev_i32_e32 v13, 31, v12
	v_cndmask_b32_e64 v18, v1, v3, s[4:5]
	v_or_b32_e32 v3, 0x240, v0
	v_cmp_gt_u32_e32 vcc, s33, v3
	v_ashrrev_i32_e32 v15, 31, v14
	v_ashrrev_i32_e32 v17, 31, v16
	v_cndmask_b32_e32 v20, v1, v3, vcc
	v_ashrrev_i32_e32 v3, 31, v2
	v_lshlrev_b64 v[2:3], 2, v[2:3]
	v_ashrrev_i32_e32 v19, 31, v18
	v_lshl_add_u64 v[22:23], s[22:23], 0, v[2:3]
	v_lshlrev_b64 v[4:5], 2, v[4:5]
	v_lshlrev_b64 v[6:7], 2, v[6:7]
	;; [unrolled: 1-line block ×8, first 2 shown]
	v_ashrrev_i32_e32 v21, 31, v20
	v_lshl_add_u64 v[24:25], s[22:23], 0, v[4:5]
	v_lshl_add_u64 v[26:27], s[22:23], 0, v[6:7]
	;; [unrolled: 1-line block ×7, first 2 shown]
	global_load_dword v1, v[22:23], off
	global_load_dword v38, v[24:25], off
	global_load_dword v39, v[26:27], off
	global_load_dword v40, v[28:29], off
	global_load_dword v41, v[30:31], off
	global_load_dword v42, v[32:33], off
	global_load_dword v43, v[34:35], off
	global_load_dword v44, v[36:37], off
	v_lshl_add_u64 v[22:23], s[22:23], 0, v[18:19]
	v_lshlrev_b64 v[20:21], 2, v[20:21]
	v_lshl_add_u64 v[24:25], s[22:23], 0, v[20:21]
	global_load_dword v26, v[22:23], off
	global_load_dword v27, v[24:25], off
	v_mbcnt_lo_u32_b32 v22, -1, 0
	v_mbcnt_hi_u32_b32 v22, -1, v22
	v_and_b32_e32 v23, 64, v22
	v_xor_b32_e32 v24, 32, v22
	v_add_u32_e32 v23, 64, v23
	v_cmp_lt_i32_e64 s[22:23], v24, v23
	v_xor_b32_e32 v25, 16, v22
	v_xor_b32_e32 v30, 8, v22
	v_cndmask_b32_e64 v24, v22, v24, s[22:23]
	v_lshlrev_b32_e32 v24, 2, v24
	v_cmp_lt_i32_e64 s[22:23], v25, v23
	s_mov_b32 s27, 0x3fb8aa3b
	s_waitcnt vmcnt(9)
	v_max_f32_e32 v29, v1, v1
	s_waitcnt vmcnt(8)
	v_max_f32_e32 v28, v38, v38
	v_max_f32_e32 v28, v29, v28
	s_waitcnt vmcnt(6)
	v_max3_f32 v28, v28, v39, v40
	v_cndmask_b32_e64 v25, v22, v25, s[22:23]
	s_waitcnt vmcnt(4)
	v_max3_f32 v28, v28, v41, v42
	v_lshlrev_b32_e32 v25, 2, v25
	s_waitcnt vmcnt(2)
	v_max3_f32 v28, v28, v43, v44
	v_cmp_lt_i32_e64 s[22:23], v30, v23
	s_waitcnt vmcnt(0)
	v_max3_f32 v28, v28, v26, v27
	ds_bpermute_b32 v29, v24, v28
	v_cndmask_b32_e64 v30, v22, v30, s[22:23]
	v_lshlrev_b32_e32 v30, 2, v30
	s_add_u32 s22, s28, s46
	s_addc_u32 s23, s29, s47
	s_waitcnt lgkmcnt(0)
	v_max_f32_e32 v29, v29, v29
	v_max_f32_e32 v28, v28, v29
	ds_bpermute_b32 v29, v25, v28
	s_add_u32 s28, s22, s30
	s_addc_u32 s29, s23, s31
	v_lshl_add_u64 v[2:3], s[28:29], 0, v[2:3]
	global_load_dword v31, v[2:3], off
	s_waitcnt lgkmcnt(0)
	v_max_f32_e32 v29, v29, v29
	v_max_f32_e32 v28, v28, v29
	ds_bpermute_b32 v29, v30, v28
	s_waitcnt lgkmcnt(0)
	v_max_f32_e32 v2, v29, v29
	v_max_f32_e32 v28, v28, v2
	v_xor_b32_e32 v2, 4, v22
	v_cmp_lt_i32_e64 s[22:23], v2, v23
	s_nop 1
	v_cndmask_b32_e64 v2, v22, v2, s[22:23]
	v_lshlrev_b32_e32 v29, 2, v2
	ds_bpermute_b32 v2, v29, v28
	s_waitcnt lgkmcnt(0)
	v_max_f32_e32 v32, v2, v2
	v_lshl_add_u64 v[2:3], s[28:29], 0, v[4:5]
	global_load_dword v33, v[2:3], off
	v_xor_b32_e32 v3, 2, v22
	v_cmp_lt_i32_e64 s[22:23], v3, v23
	v_max_f32_e32 v2, v28, v32
	v_xor_b32_e32 v4, 1, v22
	v_cndmask_b32_e64 v3, v22, v3, s[22:23]
	v_lshlrev_b32_e32 v28, 2, v3
	ds_bpermute_b32 v3, v28, v2
	v_cmp_lt_i32_e64 s[22:23], v4, v23
	s_waitcnt lgkmcnt(0)
	v_max_f32_e32 v3, v3, v3
	v_max_f32_e32 v32, v2, v3
	v_lshl_add_u64 v[2:3], s[28:29], 0, v[6:7]
	global_load_dword v34, v[2:3], off
	v_cndmask_b32_e64 v2, v22, v4, s[22:23]
	v_lshlrev_b32_e32 v22, 2, v2
	v_lshl_add_u64 v[2:3], s[28:29], 0, v[8:9]
	v_lshl_add_u64 v[4:5], s[28:29], 0, v[10:11]
	;; [unrolled: 1-line block ×5, first 2 shown]
	global_load_dword v12, v[2:3], off
	global_load_dword v13, v[4:5], off
	;; [unrolled: 1-line block ×5, first 2 shown]
	ds_bpermute_b32 v23, v22, v32
	v_lshl_add_u64 v[2:3], s[28:29], 0, v[18:19]
	s_waitcnt lgkmcnt(0)
	v_max_f32_e32 v4, v23, v23
	v_max_f32_e32 v6, v32, v4
	v_sub_f32_e32 v1, v1, v6
	v_mul_f32_e32 v4, 0x3fb8aa3b, v1
	v_fma_f32 v5, v1, s27, -v4
	v_rndne_f32_e32 v7, v4
	v_fmac_f32_e32 v5, 0x32a5705f, v1
	v_sub_f32_e32 v4, v4, v7
	v_add_f32_e32 v4, v4, v5
	v_exp_f32_e32 v8, v4
	v_cvt_i32_f32_e32 v7, v7
	v_lshl_add_u64 v[4:5], s[28:29], 0, v[20:21]
	global_load_dword v9, v[2:3], off
	global_load_dword v10, v[4:5], off
	v_sub_f32_e32 v4, v38, v6
	v_mul_f32_e32 v5, 0x3fb8aa3b, v4
	v_ldexp_f32 v2, v8, v7
	v_fma_f32 v7, v4, s27, -v5
	v_rndne_f32_e32 v8, v5
	v_fmac_f32_e32 v7, 0x32a5705f, v4
	v_sub_f32_e32 v5, v5, v8
	v_add_f32_e32 v5, v5, v7
	v_exp_f32_e32 v5, v5
	v_cvt_i32_f32_e32 v7, v8
	s_mov_b32 s28, 0xc2ce8ed0
	v_cmp_ngt_f32_e64 s[22:23], s28, v1
	s_mov_b32 s29, 0x42b17218
	v_mov_b32_e32 v3, 0x7f800000
	v_cndmask_b32_e64 v2, 0, v2, s[22:23]
	v_cmp_nlt_f32_e64 s[22:23], s29, v1
	s_nop 1
	v_cndmask_b32_e64 v1, v3, v2, s[22:23]
	v_ldexp_f32 v2, v5, v7
	v_sub_f32_e32 v5, v39, v6
	v_mul_f32_e32 v7, 0x3fb8aa3b, v5
	v_fma_f32 v8, v5, s27, -v7
	v_rndne_f32_e32 v11, v7
	v_fmac_f32_e32 v8, 0x32a5705f, v5
	v_sub_f32_e32 v7, v7, v11
	v_add_f32_e32 v7, v7, v8
	v_exp_f32_e32 v7, v7
	v_cvt_i32_f32_e32 v8, v11
	v_cndmask_b32_e64 v1, 0, v1, s[20:21]
	v_cmp_ngt_f32_e64 s[20:21], s28, v4
	s_waitcnt vmcnt(9)
	v_mul_f32_e32 v1, v31, v1
	v_cndmask_b32_e64 v2, 0, v2, s[20:21]
	v_cmp_nlt_f32_e64 s[20:21], s29, v4
	v_ldexp_f32 v4, v7, v8
	v_sub_f32_e32 v7, v40, v6
	v_mul_f32_e32 v8, 0x3fb8aa3b, v7
	v_fma_f32 v11, v7, s27, -v8
	v_rndne_f32_e32 v17, v8
	v_fmac_f32_e32 v11, 0x32a5705f, v7
	v_sub_f32_e32 v8, v8, v17
	v_add_f32_e32 v8, v8, v11
	v_exp_f32_e32 v8, v8
	v_cvt_i32_f32_e32 v11, v17
	v_cndmask_b32_e64 v2, v3, v2, s[20:21]
	v_cndmask_b32_e64 v2, 0, v2, s[18:19]
	v_cmp_ngt_f32_e64 s[18:19], s28, v5
	s_waitcnt vmcnt(8)
	v_mul_f32_e32 v2, v33, v2
	v_cndmask_b32_e64 v4, 0, v4, s[18:19]
	v_cmp_nlt_f32_e64 s[18:19], s29, v5
	v_ldexp_f32 v5, v8, v11
	v_sub_f32_e32 v8, v41, v6
	v_mul_f32_e32 v11, 0x3fb8aa3b, v8
	v_fma_f32 v17, v8, s27, -v11
	v_rndne_f32_e32 v18, v11
	v_fmac_f32_e32 v17, 0x32a5705f, v8
	v_sub_f32_e32 v11, v11, v18
	v_add_f32_e32 v11, v11, v17
	v_cndmask_b32_e64 v4, v3, v4, s[18:19]
	v_exp_f32_e32 v11, v11
	v_cvt_i32_f32_e32 v17, v18
	v_cndmask_b32_e64 v4, 0, v4, s[16:17]
	v_cmp_ngt_f32_e64 s[16:17], s28, v7
	s_waitcnt vmcnt(7)
	v_mul_f32_e32 v4, v34, v4
	v_cndmask_b32_e64 v5, 0, v5, s[16:17]
	v_cmp_nlt_f32_e64 s[16:17], s29, v7
	v_ldexp_f32 v7, v11, v17
	v_sub_f32_e32 v11, v42, v6
	v_cndmask_b32_e64 v5, v3, v5, s[16:17]
	v_cndmask_b32_e64 v5, 0, v5, s[14:15]
	s_waitcnt vmcnt(6)
	v_mul_f32_e32 v5, v12, v5
	v_mul_f32_e32 v12, 0x3fb8aa3b, v11
	v_fma_f32 v17, v11, s27, -v12
	v_rndne_f32_e32 v18, v12
	v_fmac_f32_e32 v17, 0x32a5705f, v11
	v_sub_f32_e32 v12, v12, v18
	v_add_f32_e32 v12, v12, v17
	v_exp_f32_e32 v12, v12
	v_cvt_i32_f32_e32 v17, v18
	v_cmp_ngt_f32_e64 s[14:15], s28, v8
	s_nop 1
	v_cndmask_b32_e64 v7, 0, v7, s[14:15]
	v_cmp_nlt_f32_e64 s[14:15], s29, v8
	v_ldexp_f32 v8, v12, v17
	v_sub_f32_e32 v12, v43, v6
	v_cndmask_b32_e64 v7, v3, v7, s[14:15]
	v_cndmask_b32_e64 v7, 0, v7, s[12:13]
	s_waitcnt vmcnt(5)
	v_mul_f32_e32 v7, v13, v7
	v_mul_f32_e32 v13, 0x3fb8aa3b, v12
	v_fma_f32 v17, v12, s27, -v13
	v_rndne_f32_e32 v18, v13
	v_fmac_f32_e32 v17, 0x32a5705f, v12
	v_sub_f32_e32 v13, v13, v18
	v_add_f32_e32 v13, v13, v17
	v_exp_f32_e32 v13, v13
	v_cvt_i32_f32_e32 v17, v18
	v_cmp_ngt_f32_e64 s[12:13], s28, v11
	s_nop 1
	;; [unrolled: 18-line block ×3, first 2 shown]
	v_cndmask_b32_e64 v11, 0, v11, s[10:11]
	v_cmp_nlt_f32_e64 s[10:11], s29, v12
	v_ldexp_f32 v12, v14, v17
	v_sub_f32_e32 v14, v26, v6
	v_mul_f32_e32 v17, 0x3fb8aa3b, v14
	v_fma_f32 v18, v14, s27, -v17
	v_rndne_f32_e32 v19, v17
	v_fmac_f32_e32 v18, 0x32a5705f, v14
	v_sub_f32_e32 v17, v17, v19
	v_add_f32_e32 v17, v17, v18
	v_exp_f32_e32 v17, v17
	v_cvt_i32_f32_e32 v18, v19
	v_cndmask_b32_e64 v11, v3, v11, s[10:11]
	v_cndmask_b32_e64 v11, 0, v11, s[8:9]
	v_cmp_ngt_f32_e64 s[8:9], s28, v13
	v_sub_f32_e32 v6, v27, v6
	s_nop 0
	v_cndmask_b32_e64 v12, 0, v12, s[8:9]
	v_cmp_nlt_f32_e64 s[8:9], s29, v13
	v_ldexp_f32 v13, v17, v18
	v_mul_f32_e32 v17, 0x3fb8aa3b, v6
	v_fma_f32 v18, v6, s27, -v17
	v_rndne_f32_e32 v19, v17
	v_fmac_f32_e32 v18, 0x32a5705f, v6
	v_sub_f32_e32 v17, v17, v19
	v_add_f32_e32 v17, v17, v18
	v_cndmask_b32_e64 v12, v3, v12, s[8:9]
	v_exp_f32_e32 v17, v17
	v_cvt_i32_f32_e32 v18, v19
	v_cndmask_b32_e64 v12, 0, v12, s[6:7]
	v_cmp_ngt_f32_e64 s[6:7], s28, v14
	s_nop 1
	v_cndmask_b32_e64 v13, 0, v13, s[6:7]
	v_cmp_nlt_f32_e64 s[6:7], s29, v14
	v_ldexp_f32 v14, v17, v18
	s_nop 0
	v_cndmask_b32_e64 v13, v3, v13, s[6:7]
	v_cndmask_b32_e64 v13, 0, v13, s[4:5]
	v_cmp_ngt_f32_e64 s[4:5], s28, v6
	s_nop 1
	v_cndmask_b32_e64 v14, 0, v14, s[4:5]
	v_cmp_nlt_f32_e64 s[4:5], s29, v6
	v_add_f32_e32 v6, v1, v2
	v_add_f32_e32 v6, v6, v4
	v_add_f32_e32 v6, v6, v5
	v_add_f32_e32 v6, v6, v7
	v_add_f32_e32 v6, v6, v8
	s_waitcnt vmcnt(3)
	v_fmac_f32_e32 v6, v15, v11
	v_cndmask_b32_e64 v3, v3, v14, s[4:5]
	s_waitcnt vmcnt(2)
	v_fmac_f32_e32 v6, v16, v12
	v_cndmask_b32_e32 v3, 0, v3, vcc
	s_waitcnt vmcnt(1)
	v_fmac_f32_e32 v6, v9, v13
	s_waitcnt vmcnt(0)
	v_fmac_f32_e32 v6, v10, v3
	ds_bpermute_b32 v14, v24, v6
	v_mul_f32_e32 v9, v9, v13
	v_mul_f32_e32 v3, v10, v3
	v_lshlrev_b32_e32 v10, 2, v0
	ds_write2st64_b32 v10, v1, v2 offset1:1
	ds_write2st64_b32 v10, v4, v5 offset0:2 offset1:3
	s_waitcnt lgkmcnt(2)
	v_add_f32_e32 v6, v6, v14
	ds_bpermute_b32 v14, v25, v6
	v_cmp_eq_u32_e32 vcc, 0, v0
	v_mul_f32_e32 v11, v15, v11
	v_mul_f32_e32 v12, v16, v12
	ds_write2st64_b32 v10, v7, v8 offset0:4 offset1:5
	ds_write2st64_b32 v10, v11, v12 offset0:6 offset1:7
	;; [unrolled: 1-line block ×3, first 2 shown]
	s_waitcnt lgkmcnt(3)
	v_add_f32_e32 v6, v6, v14
	ds_bpermute_b32 v14, v30, v6
	s_waitcnt lgkmcnt(0)
	v_add_f32_e32 v6, v6, v14
	ds_bpermute_b32 v14, v29, v6
	;; [unrolled: 3-line block ×4, first 2 shown]
	s_and_saveexec_b64 s[4:5], vcc
	s_cbranch_execz .LBB85_8
; %bb.7:
	s_waitcnt lgkmcnt(0)
	v_add_f32_e32 v1, v1, v2
	v_mov_b32_e32 v2, 0
	ds_write_b32 v2, v1 offset:2560
.LBB85_8:
	s_or_b64 exec, exec, s[4:5]
	v_mov_b32_e32 v1, s26
.LBB85_9:
	s_or_b64 exec, exec, s[42:43]
	s_lshl_b32 s4, s44, 6
	s_mov_b32 s5, 0
	s_lshl_b64 s[4:5], s[4:5], 1
	s_add_u32 s4, s24, s4
	s_addc_u32 s5, s25, s5
	s_lshl_b32 s10, s33, 6
	s_sub_i32 s11, s10, 64
	s_waitcnt lgkmcnt(0)
	v_lshlrev_b32_e32 v2, 6, v1
	v_mov_b32_e32 v3, 0
	s_cmp_lt_i32 s48, 1
	v_lshl_add_u64 v[4:5], v[2:3], 1, s[4:5]
	s_cselect_b32 s4, s11, 0
	v_lshlrev_b32_e32 v2, 1, v0
	s_ashr_i32 s5, s4, 31
	v_lshl_add_u64 v[0:1], v[4:5], 0, v[2:3]
	s_cmpk_lt_i32 s48, 0x101
	v_lshl_add_u64 v[12:13], s[4:5], 1, v[0:1]
	s_cselect_b32 s4, s11, 64
	s_ashr_i32 s5, s4, 31
	s_cmpk_lt_i32 s48, 0x201
	v_lshl_add_u64 v[14:15], s[4:5], 1, v[0:1]
	s_cselect_b32 s4, s11, 0x80
	s_ashr_i32 s5, s4, 31
	;; [unrolled: 4-line block ×8, first 2 shown]
	s_cmpk_lt_i32 s48, 0x901
	global_load_ushort v4, v[12:13], off
	global_load_ushort v5, v[14:15], off
	;; [unrolled: 1-line block ×8, first 2 shown]
	v_lshl_add_u64 v[20:21], s[4:5], 1, v[0:1]
	s_cselect_b32 s4, s11, 0x240
	s_ashr_i32 s5, s4, 31
	s_cmpk_lt_i32 s48, 0xa01
	v_lshl_add_u64 v[22:23], s[4:5], 1, v[0:1]
	s_cselect_b32 s4, s11, 0x280
	s_ashr_i32 s5, s4, 31
	s_cmpk_lt_i32 s48, 0xb01
	;; [unrolled: 4-line block ×6, first 2 shown]
	v_lshl_add_u64 v[32:33], s[4:5], 1, v[0:1]
	s_cselect_b32 s4, s11, 0x3c0
	s_ashr_i32 s5, s4, 31
	v_lshl_add_u64 v[34:35], s[4:5], 1, v[0:1]
	global_load_ushort v12, v[20:21], off
	global_load_ushort v13, v[22:23], off
	global_load_ushort v14, v[24:25], off
	global_load_ushort v15, v[26:27], off
	global_load_ushort v16, v[28:29], off
	global_load_ushort v17, v[30:31], off
	global_load_ushort v18, v[32:33], off
	global_load_ushort v19, v[34:35], off
	s_cmpk_gt_i32 s48, 0x1000
	s_cselect_b64 s[8:9], -1, 0
	s_cmpk_lt_i32 s48, 0x1001
	v_mov_b32_e32 v36, 0
	v_mov_b32_e32 v37, 0
	;; [unrolled: 1-line block ×48, first 2 shown]
	s_waitcnt lgkmcnt(0)
	; wave barrier
	s_cbranch_scc1 .LBB85_12
; %bb.10:
	s_cmpk_lt_u32 s48, 0x1101
	s_cselect_b32 s4, s11, 0x440
	s_ashr_i32 s5, s4, 31
	s_cmpk_lt_u32 s48, 0x1201
	v_lshl_add_u64 v[28:29], s[4:5], 1, v[0:1]
	s_cselect_b32 s4, s11, 0x480
	s_ashr_i32 s5, s4, 31
	s_cmpk_lt_u32 s48, 0x1301
	v_lshl_add_u64 v[30:31], s[4:5], 1, v[0:1]
	;; [unrolled: 4-line block ×7, first 2 shown]
	s_cselect_b32 s4, s11, 0x600
	s_ashr_i32 s5, s4, 31
	s_cmpk_lt_u32 s48, 0x1901
	global_load_ushort v27, v[0:1], off offset:2048
	global_load_ushort v26, v[28:29], off
	global_load_ushort v25, v[30:31], off
	;; [unrolled: 1-line block ×7, first 2 shown]
	v_lshl_add_u64 v[36:37], s[4:5], 1, v[0:1]
	s_cselect_b32 s4, s11, 0x640
	s_ashr_i32 s5, s4, 31
	s_cmpk_lt_u32 s48, 0x1a01
	v_lshl_add_u64 v[38:39], s[4:5], 1, v[0:1]
	s_cselect_b32 s4, s11, 0x680
	s_ashr_i32 s5, s4, 31
	s_cmpk_lt_u32 s48, 0x1b01
	;; [unrolled: 4-line block ×6, first 2 shown]
	v_lshl_add_u64 v[48:49], s[4:5], 1, v[0:1]
	s_cselect_b32 s4, s11, 0x7c0
	s_ashr_i32 s5, s4, 31
	v_lshl_add_u64 v[50:51], s[4:5], 1, v[0:1]
	global_load_ushort v35, v[36:37], off
	global_load_ushort v34, v[38:39], off
	;; [unrolled: 1-line block ×8, first 2 shown]
	s_cmpk_lt_u32 s48, 0x2001
	v_mov_b32_e32 v67, 0
	v_mov_b32_e32 v66, 0
	;; [unrolled: 1-line block ×32, first 2 shown]
	s_cbranch_scc1 .LBB85_12
; %bb.11:
	s_cmpk_lt_u32 s48, 0x2101
	s_cselect_b32 s4, s11, 0x840
	s_ashr_i32 s5, s4, 31
	s_cmpk_lt_u32 s48, 0x2201
	v_lshl_add_u64 v[38:39], s[4:5], 1, v[0:1]
	s_cselect_b32 s4, s11, 0x880
	s_ashr_i32 s5, s4, 31
	s_cmpk_lt_u32 s48, 0x2301
	v_lshl_add_u64 v[40:41], s[4:5], 1, v[0:1]
	s_cselect_b32 s4, s11, 0x8c0
	s_ashr_i32 s5, s4, 31
	s_cmpk_lt_u32 s48, 0x2401
	v_lshl_add_u64 v[42:43], s[4:5], 1, v[0:1]
	s_cselect_b32 s4, s11, 0x900
	s_ashr_i32 s5, s4, 31
	s_cmpk_lt_u32 s48, 0x2501
	v_lshl_add_u64 v[44:45], s[4:5], 1, v[0:1]
	s_cselect_b32 s4, s11, 0x940
	s_ashr_i32 s5, s4, 31
	s_cmpk_lt_u32 s48, 0x2601
	v_lshl_add_u64 v[46:47], s[4:5], 1, v[0:1]
	s_cselect_b32 s4, s11, 0x980
	s_ashr_i32 s5, s4, 31
	s_cmpk_lt_u32 s48, 0x2701
	v_lshl_add_u64 v[48:49], s[4:5], 1, v[0:1]
	s_cselect_b32 s4, s11, 0x9c0
	s_ashr_i32 s5, s4, 31
	s_cmpk_lt_u32 s48, 0x2801
	v_lshl_add_u64 v[50:51], s[4:5], 1, v[0:1]
	s_cselect_b32 s4, s11, 0xa00
	v_add_co_u32_e32 v36, vcc, 0x1000, v0
	s_ashr_i32 s5, s4, 31
	s_nop 0
	v_addc_co_u32_e32 v37, vcc, 0, v1, vcc
	s_cmpk_lt_u32 s48, 0x2901
	global_load_ushort v52, v[36:37], off
	global_load_ushort v53, v[38:39], off
	;; [unrolled: 1-line block ×8, first 2 shown]
	v_lshl_add_u64 v[36:37], s[4:5], 1, v[0:1]
	s_cselect_b32 s4, s11, 0xa40
	s_ashr_i32 s5, s4, 31
	s_cmpk_lt_u32 s48, 0x2a01
	v_lshl_add_u64 v[38:39], s[4:5], 1, v[0:1]
	s_cselect_b32 s4, s11, 0xa80
	s_ashr_i32 s5, s4, 31
	s_cmpk_lt_u32 s48, 0x2b01
	;; [unrolled: 4-line block ×8, first 2 shown]
	global_load_ushort v68, v[36:37], off
	global_load_ushort v69, v[38:39], off
	;; [unrolled: 1-line block ×8, first 2 shown]
	v_lshl_add_u64 v[36:37], s[4:5], 1, v[0:1]
	s_cselect_b32 s4, s11, 0xc40
	s_ashr_i32 s5, s4, 31
	s_cmpk_lt_u32 s48, 0x3201
	v_lshl_add_u64 v[38:39], s[4:5], 1, v[0:1]
	s_cselect_b32 s4, s11, 0xc80
	s_ashr_i32 s5, s4, 31
	s_cmpk_lt_u32 s48, 0x3301
	v_lshl_add_u64 v[40:41], s[4:5], 1, v[0:1]
	s_cselect_b32 s4, s11, 0xcc0
	s_ashr_i32 s5, s4, 31
	s_cmpk_lt_u32 s48, 0x3401
	v_lshl_add_u64 v[42:43], s[4:5], 1, v[0:1]
	s_cselect_b32 s4, s11, 0xd00
	s_ashr_i32 s5, s4, 31
	s_cmpk_lt_u32 s48, 0x3501
	v_lshl_add_u64 v[44:45], s[4:5], 1, v[0:1]
	s_cselect_b32 s4, s11, 0xd40
	s_ashr_i32 s5, s4, 31
	s_cmpk_lt_u32 s48, 0x3601
	v_lshl_add_u64 v[46:47], s[4:5], 1, v[0:1]
	s_cselect_b32 s4, s11, 0xd80
	s_ashr_i32 s5, s4, 31
	s_cmpk_lt_u32 s48, 0x3701
	v_lshl_add_u64 v[48:49], s[4:5], 1, v[0:1]
	s_cselect_b32 s4, s11, 0xdc0
	s_ashr_i32 s5, s4, 31
	s_cmpk_lt_u32 s48, 0x3801
	v_lshl_add_u64 v[50:51], s[4:5], 1, v[0:1]
	s_cselect_b32 s4, s11, 0xe00
	s_ashr_i32 s5, s4, 31
	s_cmpk_lt_u32 s48, 0x3901
	global_load_ushort v76, v[36:37], off
	global_load_ushort v77, v[38:39], off
	;; [unrolled: 1-line block ×8, first 2 shown]
	v_lshl_add_u64 v[36:37], s[4:5], 1, v[0:1]
	s_cselect_b32 s4, s11, 0xe40
	s_ashr_i32 s5, s4, 31
	s_cmpk_lt_u32 s48, 0x3a01
	v_lshl_add_u64 v[38:39], s[4:5], 1, v[0:1]
	s_cselect_b32 s4, s11, 0xe80
	s_ashr_i32 s5, s4, 31
	s_cmpk_lt_u32 s48, 0x3b01
	v_lshl_add_u64 v[40:41], s[4:5], 1, v[0:1]
	s_cselect_b32 s4, s11, 0xec0
	s_ashr_i32 s5, s4, 31
	s_cmpk_lt_u32 s48, 0x3c01
	v_lshl_add_u64 v[42:43], s[4:5], 1, v[0:1]
	s_cselect_b32 s4, s11, 0xf00
	s_ashr_i32 s5, s4, 31
	s_cmpk_lt_u32 s48, 0x3d01
	v_lshl_add_u64 v[44:45], s[4:5], 1, v[0:1]
	s_cselect_b32 s4, s11, 0xf40
	s_ashr_i32 s5, s4, 31
	s_cmpk_lt_u32 s48, 0x3e01
	v_lshl_add_u64 v[46:47], s[4:5], 1, v[0:1]
	s_cselect_b32 s4, s11, 0xf80
	s_ashr_i32 s5, s4, 31
	s_cmpk_lt_u32 s48, 0x3f01
	v_lshl_add_u64 v[48:49], s[4:5], 1, v[0:1]
	s_cselect_b32 s4, s11, 0xfc0
	s_ashr_i32 s5, s4, 31
	v_lshl_add_u64 v[50:51], s[4:5], 1, v[0:1]
	global_load_ushort v84, v[36:37], off
	global_load_ushort v85, v[38:39], off
	;; [unrolled: 1-line block ×8, first 2 shown]
	s_waitcnt vmcnt(31)
	v_cvt_f32_f16_e32 v67, v52
	s_waitcnt vmcnt(30)
	v_cvt_f32_f16_e32 v66, v53
	;; [unrolled: 2-line block ×32, first 2 shown]
.LBB85_12:
	ds_read_b128 v[68:71], v3
	s_load_dwordx2 s[4:5], s[0:1], 0x0
	s_load_dwordx2 s[6:7], s[0:1], 0x38
	ds_read_b128 v[72:75], v3 offset:16
	ds_read_b128 v[76:79], v3 offset:32
	;; [unrolled: 1-line block ×3, first 2 shown]
	s_and_b64 vcc, exec, s[8:9]
	s_waitcnt vmcnt(15) lgkmcnt(0)
	v_fma_mix_f32 v4, v68, v4, 0 op_sel_hi:[0,1,0]
	s_waitcnt vmcnt(14)
	v_fma_mix_f32 v4, v69, v5, v4 op_sel_hi:[0,1,0]
	s_waitcnt vmcnt(13)
	;; [unrolled: 2-line block ×15, first 2 shown]
	v_fma_mix_f32 v4, v83, v19, v4 op_sel_hi:[0,1,0]
	s_cbranch_vccz .LBB85_15
; %bb.13:
	ds_read_b128 v[6:9], v3 offset:64
	ds_read_b128 v[10:13], v3 offset:80
	ds_read_b128 v[14:17], v3 offset:96
	ds_read_b128 v[68:71], v3 offset:112
	s_cmpk_lt_u32 s48, 0x2001
	s_waitcnt lgkmcnt(3)
	v_fma_mix_f32 v3, v6, v27, v4 op_sel_hi:[0,1,0]
	v_fma_mix_f32 v3, v7, v26, v3 op_sel_hi:[0,1,0]
	v_fma_mix_f32 v3, v8, v25, v3 op_sel_hi:[0,1,0]
	v_fma_mix_f32 v3, v9, v24, v3 op_sel_hi:[0,1,0]
	s_waitcnt lgkmcnt(2)
	v_fma_mix_f32 v3, v10, v23, v3 op_sel_hi:[0,1,0]
	v_fma_mix_f32 v3, v11, v22, v3 op_sel_hi:[0,1,0]
	v_fma_mix_f32 v3, v12, v21, v3 op_sel_hi:[0,1,0]
	v_fma_mix_f32 v3, v13, v20, v3 op_sel_hi:[0,1,0]
	;; [unrolled: 5-line block ×4, first 2 shown]
	s_cbranch_scc1 .LBB85_15
; %bb.14:
	v_mov_b32_e32 v3, 0
	ds_read_b128 v[6:9], v3 offset:128
	ds_read_b128 v[10:13], v3 offset:144
	ds_read_b128 v[14:17], v3 offset:160
	ds_read_b128 v[18:21], v3 offset:176
	s_waitcnt lgkmcnt(3)
	v_fmac_f32_e32 v4, v6, v67
	v_fmac_f32_e32 v4, v7, v66
	v_fmac_f32_e32 v4, v8, v65
	v_fmac_f32_e32 v4, v9, v64
	s_waitcnt lgkmcnt(2)
	v_fmac_f32_e32 v4, v10, v63
	v_fmac_f32_e32 v4, v11, v62
	v_fmac_f32_e32 v4, v12, v61
	v_fmac_f32_e32 v4, v13, v60
	;; [unrolled: 5-line block ×3, first 2 shown]
	ds_read_b128 v[6:9], v3 offset:192
	ds_read_b128 v[10:13], v3 offset:208
	s_waitcnt lgkmcnt(2)
	v_fmac_f32_e32 v4, v18, v55
	v_fmac_f32_e32 v4, v19, v54
	;; [unrolled: 1-line block ×4, first 2 shown]
	s_waitcnt lgkmcnt(1)
	v_fmac_f32_e32 v4, v6, v51
	v_fmac_f32_e32 v4, v7, v50
	;; [unrolled: 1-line block ×4, first 2 shown]
	ds_read_b128 v[6:9], v3 offset:224
	s_waitcnt lgkmcnt(1)
	v_fmac_f32_e32 v4, v10, v47
	v_fmac_f32_e32 v4, v11, v46
	;; [unrolled: 1-line block ×4, first 2 shown]
	ds_read_b128 v[10:13], v3 offset:240
	s_waitcnt lgkmcnt(1)
	v_fmac_f32_e32 v4, v6, v43
	v_fmac_f32_e32 v4, v7, v42
	;; [unrolled: 1-line block ×4, first 2 shown]
	s_waitcnt lgkmcnt(0)
	v_fmac_f32_e32 v4, v10, v39
	v_fmac_f32_e32 v4, v11, v38
	;; [unrolled: 1-line block ×4, first 2 shown]
.LBB85_15:
	s_movk_i32 s0, 0x1fc0
	s_movk_i32 s1, 0x100
	s_mov_b32 s8, 64
	s_branch .LBB85_17
.LBB85_16:                              ;   in Loop: Header=BB85_17 Depth=1
	s_addk_i32 s0, 0x1000
	s_addk_i32 s1, 0x100
	s_add_i32 s8, s8, 64
	s_cmpk_eq_u32 s0, 0xafc0
	s_cbranch_scc1 .LBB85_19
.LBB85_17:                              ; =>This Inner Loop Header: Depth=1
	s_cmp_le_i32 s33, s8
	s_cbranch_scc1 .LBB85_16
; %bb.18:                               ;   in Loop: Header=BB85_17 Depth=1
	s_add_i32 s9, s0, 0xfffff040
	s_cmp_lt_i32 s9, s10
	s_cselect_b32 s12, s9, s11
	s_ashr_i32 s13, s12, 31
	s_add_i32 s9, s0, 0xfffff080
	s_cmp_lt_i32 s9, s10
	v_lshl_add_u64 v[12:13], s[12:13], 1, v[0:1]
	s_cselect_b32 s12, s9, s11
	s_ashr_i32 s13, s12, 31
	s_add_i32 s9, s0, 0xfffff0c0
	s_cmp_lt_i32 s9, s10
	v_lshl_add_u64 v[14:15], s[12:13], 1, v[0:1]
	;; [unrolled: 5-line block ×8, first 2 shown]
	s_cselect_b32 s12, s9, s11
	s_ashr_i32 s13, s12, 31
	s_add_i32 s9, s0, 0xfffff280
	s_cmp_lt_i32 s9, s10
	global_load_ushort v3, v[12:13], off
	global_load_ushort v5, v[14:15], off
	global_load_ushort v6, v[16:17], off
	global_load_ushort v7, v[18:19], off
	global_load_ushort v8, v[20:21], off
	global_load_ushort v9, v[22:23], off
	global_load_ushort v10, v[24:25], off
	global_load_ushort v11, v[26:27], off
	v_lshl_add_u64 v[12:13], s[12:13], 1, v[0:1]
	s_cselect_b32 s12, s9, s11
	s_ashr_i32 s13, s12, 31
	s_add_i32 s9, s0, 0xfffff2c0
	s_cmp_lt_i32 s9, s10
	v_lshl_add_u64 v[14:15], s[12:13], 1, v[0:1]
	s_cselect_b32 s12, s9, s11
	s_ashr_i32 s13, s12, 31
	s_add_i32 s9, s0, 0xfffff300
	s_cmp_lt_i32 s9, s10
	v_lshl_add_u64 v[16:17], s[12:13], 1, v[0:1]
	s_cselect_b32 s12, s9, s11
	s_ashr_i32 s13, s12, 31
	s_add_i32 s9, s0, 0xfffff340
	s_cmp_lt_i32 s9, s10
	v_lshl_add_u64 v[18:19], s[12:13], 1, v[0:1]
	s_cselect_b32 s12, s9, s11
	s_ashr_i32 s13, s12, 31
	s_add_i32 s9, s0, 0xfffff380
	s_cmp_lt_i32 s9, s10
	v_lshl_add_u64 v[20:21], s[12:13], 1, v[0:1]
	s_cselect_b32 s12, s9, s11
	s_ashr_i32 s13, s12, 31
	s_add_i32 s9, s0, 0xfffff3c0
	s_cmp_lt_i32 s9, s10
	v_lshl_add_u64 v[22:23], s[12:13], 1, v[0:1]
	s_cselect_b32 s12, s9, s11
	s_ashr_i32 s13, s12, 31
	s_add_i32 s9, s0, 0xfffff400
	s_cmp_lt_i32 s9, s10
	v_lshl_add_u64 v[24:25], s[12:13], 1, v[0:1]
	s_cselect_b32 s12, s9, s11
	s_ashr_i32 s13, s12, 31
	s_add_i32 s9, s0, 0xfffff440
	s_cmp_lt_i32 s9, s10
	v_lshl_add_u64 v[26:27], s[12:13], 1, v[0:1]
	s_cselect_b32 s12, s9, s11
	s_ashr_i32 s13, s12, 31
	s_add_i32 s9, s0, 0xfffff480
	s_cmp_lt_i32 s9, s10
	global_load_ushort v28, v[12:13], off
	global_load_ushort v29, v[14:15], off
	global_load_ushort v30, v[16:17], off
	global_load_ushort v31, v[18:19], off
	global_load_ushort v32, v[20:21], off
	global_load_ushort v33, v[22:23], off
	global_load_ushort v34, v[24:25], off
	global_load_ushort v35, v[26:27], off
	v_lshl_add_u64 v[12:13], s[12:13], 1, v[0:1]
	s_cselect_b32 s12, s9, s11
	s_ashr_i32 s13, s12, 31
	s_add_i32 s9, s0, 0xfffff4c0
	s_cmp_lt_i32 s9, s10
	v_lshl_add_u64 v[14:15], s[12:13], 1, v[0:1]
	s_cselect_b32 s12, s9, s11
	s_ashr_i32 s13, s12, 31
	s_add_i32 s9, s0, 0xfffff500
	s_cmp_lt_i32 s9, s10
	v_lshl_add_u64 v[16:17], s[12:13], 1, v[0:1]
	s_cselect_b32 s12, s9, s11
	s_ashr_i32 s13, s12, 31
	s_add_i32 s9, s0, 0xfffff540
	s_cmp_lt_i32 s9, s10
	v_lshl_add_u64 v[18:19], s[12:13], 1, v[0:1]
	s_cselect_b32 s12, s9, s11
	s_ashr_i32 s13, s12, 31
	s_add_i32 s9, s0, 0xfffff580
	s_cmp_lt_i32 s9, s10
	v_lshl_add_u64 v[20:21], s[12:13], 1, v[0:1]
	s_cselect_b32 s12, s9, s11
	s_ashr_i32 s13, s12, 31
	s_add_i32 s9, s0, 0xfffff5c0
	s_cmp_lt_i32 s9, s10
	v_lshl_add_u64 v[22:23], s[12:13], 1, v[0:1]
	s_cselect_b32 s12, s9, s11
	s_ashr_i32 s13, s12, 31
	s_add_i32 s9, s0, 0xfffff600
	s_cmp_lt_i32 s9, s10
	v_lshl_add_u64 v[24:25], s[12:13], 1, v[0:1]
	s_cselect_b32 s12, s9, s11
	s_ashr_i32 s13, s12, 31
	s_add_i32 s9, s0, 0xfffff640
	s_cmp_lt_i32 s9, s10
	v_lshl_add_u64 v[26:27], s[12:13], 1, v[0:1]
	;; [unrolled: 48-line block ×6, first 2 shown]
	s_cselect_b32 s12, s9, s11
	s_ashr_i32 s13, s12, 31
	s_add_i32 s9, s0, 0xfffffe80
	s_cmp_lt_i32 s9, s10
	global_load_ushort v68, v[12:13], off
	global_load_ushort v69, v[14:15], off
	global_load_ushort v70, v[16:17], off
	global_load_ushort v71, v[18:19], off
	global_load_ushort v72, v[20:21], off
	global_load_ushort v73, v[22:23], off
	global_load_ushort v74, v[24:25], off
	global_load_ushort v75, v[26:27], off
	v_lshl_add_u64 v[12:13], s[12:13], 1, v[0:1]
	s_cselect_b32 s12, s9, s11
	s_ashr_i32 s13, s12, 31
	s_add_i32 s9, s0, 0xfffffec0
	s_cmp_lt_i32 s9, s10
	v_lshl_add_u64 v[14:15], s[12:13], 1, v[0:1]
	s_cselect_b32 s12, s9, s11
	s_ashr_i32 s13, s12, 31
	s_add_i32 s9, s0, 0xffffff00
	s_cmp_lt_i32 s9, s10
	;; [unrolled: 5-line block ×4, first 2 shown]
	v_lshl_add_u64 v[20:21], s[12:13], 1, v[0:1]
	s_cselect_b32 s12, s9, s11
	s_ashr_i32 s13, s12, 31
	s_sub_i32 s9, s0, 64
	s_cmp_lt_i32 s9, s10
	v_lshl_add_u64 v[22:23], s[12:13], 1, v[0:1]
	s_cselect_b32 s12, s9, s11
	s_ashr_i32 s13, s12, 31
	s_cmp_lt_i32 s0, s10
	v_lshl_add_u64 v[24:25], s[12:13], 1, v[0:1]
	s_cselect_b32 s12, s0, s11
	s_ashr_i32 s13, s12, 31
	v_lshl_add_u64 v[26:27], s[12:13], 1, v[0:1]
	global_load_ushort v76, v[12:13], off
	global_load_ushort v77, v[14:15], off
	;; [unrolled: 1-line block ×8, first 2 shown]
	v_mov_b32_e32 v84, s1
	ds_read_b128 v[12:15], v84
	ds_read_b128 v[16:19], v84 offset:16
	ds_read_b128 v[20:23], v84 offset:32
	;; [unrolled: 1-line block ×3, first 2 shown]
	s_waitcnt vmcnt(62) lgkmcnt(3)
	v_fma_mix_f32 v3, v12, v3, v4 op_sel_hi:[0,1,0]
	v_fma_mix_f32 v3, v13, v5, v3 op_sel_hi:[0,1,0]
	s_waitcnt vmcnt(61)
	v_fma_mix_f32 v3, v14, v6, v3 op_sel_hi:[0,1,0]
	s_waitcnt vmcnt(60)
	v_fma_mix_f32 v3, v15, v7, v3 op_sel_hi:[0,1,0]
	s_waitcnt vmcnt(59) lgkmcnt(2)
	v_fma_mix_f32 v3, v16, v8, v3 op_sel_hi:[0,1,0]
	s_waitcnt vmcnt(58)
	v_fma_mix_f32 v3, v17, v9, v3 op_sel_hi:[0,1,0]
	s_waitcnt vmcnt(57)
	;; [unrolled: 2-line block ×3, first 2 shown]
	v_fma_mix_f32 v3, v19, v11, v3 op_sel_hi:[0,1,0]
	s_waitcnt vmcnt(55) lgkmcnt(1)
	v_fma_mix_f32 v3, v20, v28, v3 op_sel_hi:[0,1,0]
	s_waitcnt vmcnt(54)
	v_fma_mix_f32 v3, v21, v29, v3 op_sel_hi:[0,1,0]
	s_waitcnt vmcnt(53)
	;; [unrolled: 2-line block ×3, first 2 shown]
	v_fma_mix_f32 v3, v23, v31, v3 op_sel_hi:[0,1,0]
	ds_read_b128 v[4:7], v84 offset:64
	ds_read_b128 v[8:11], v84 offset:80
	s_waitcnt vmcnt(51) lgkmcnt(2)
	v_fma_mix_f32 v3, v24, v32, v3 op_sel_hi:[0,1,0]
	s_waitcnt vmcnt(50)
	v_fma_mix_f32 v3, v25, v33, v3 op_sel_hi:[0,1,0]
	s_waitcnt vmcnt(49)
	;; [unrolled: 2-line block ×3, first 2 shown]
	v_fma_mix_f32 v3, v27, v35, v3 op_sel_hi:[0,1,0]
	s_waitcnt vmcnt(47) lgkmcnt(1)
	v_fma_mix_f32 v3, v4, v36, v3 op_sel_hi:[0,1,0]
	s_waitcnt vmcnt(46)
	v_fma_mix_f32 v3, v5, v37, v3 op_sel_hi:[0,1,0]
	s_waitcnt vmcnt(45)
	v_fma_mix_f32 v3, v6, v38, v3 op_sel_hi:[0,1,0]
	s_waitcnt vmcnt(44)
	v_fma_mix_f32 v3, v7, v39, v3 op_sel_hi:[0,1,0]
	ds_read_b128 v[4:7], v84 offset:96
	s_waitcnt vmcnt(43) lgkmcnt(1)
	v_fma_mix_f32 v3, v8, v40, v3 op_sel_hi:[0,1,0]
	s_waitcnt vmcnt(42)
	v_fma_mix_f32 v3, v9, v41, v3 op_sel_hi:[0,1,0]
	s_waitcnt vmcnt(41)
	v_fma_mix_f32 v3, v10, v42, v3 op_sel_hi:[0,1,0]
	s_waitcnt vmcnt(40)
	v_fma_mix_f32 v3, v11, v43, v3 op_sel_hi:[0,1,0]
	ds_read_b128 v[8:11], v84 offset:112
	;; [unrolled: 9-line block ×10, first 2 shown]
	s_waitcnt vmcnt(7) lgkmcnt(1)
	v_fma_mix_f32 v3, v4, v76, v3 op_sel_hi:[0,1,0]
	s_waitcnt vmcnt(6)
	v_fma_mix_f32 v3, v5, v77, v3 op_sel_hi:[0,1,0]
	s_waitcnt vmcnt(5)
	;; [unrolled: 2-line block ×3, first 2 shown]
	v_fma_mix_f32 v3, v7, v79, v3 op_sel_hi:[0,1,0]
	s_waitcnt vmcnt(3) lgkmcnt(0)
	v_fma_mix_f32 v3, v8, v80, v3 op_sel_hi:[0,1,0]
	s_waitcnt vmcnt(2)
	v_fma_mix_f32 v3, v9, v81, v3 op_sel_hi:[0,1,0]
	s_waitcnt vmcnt(1)
	;; [unrolled: 2-line block ×3, first 2 shown]
	v_fma_mix_f32 v4, v11, v83, v3 op_sel_hi:[0,1,0]
	s_branch .LBB85_16
.LBB85_19:
	v_mov_b32_e32 v0, 0
	ds_read_b32 v1, v0 offset:2560
	s_cmp_lg_u64 s[6:7], 0
	s_cbranch_scc0 .LBB85_24
; %bb.20:
	s_load_dword s6, s[6:7], 0x0
	s_waitcnt lgkmcnt(0)
	v_div_scale_f32 v0, s[0:1], s6, s6, 1.0
	v_rcp_f32_e32 v3, v0
	v_div_scale_f32 v5, vcc, 1.0, s6, 1.0
	v_fma_f32 v6, -v0, v3, 1.0
	v_fmac_f32_e32 v3, v6, v3
	v_mul_f32_e32 v6, v5, v3
	v_fma_f32 v7, -v0, v6, v5
	v_fmac_f32_e32 v6, v7, v3
	v_fma_f32 v0, -v0, v6, v5
	v_div_fmas_f32 v0, v0, v3, v6
	v_div_fixup_f32 v0, v0, s6, 1.0
	s_andn2_b64 vcc, exec, s[38:39]
	s_cbranch_vccnz .LBB85_22
.LBB85_21:
	s_add_u32 s0, s36, s40
	s_addc_u32 s1, s37, s41
	s_load_dword s34, s[0:1], 0x0
	s_mov_b32 s35, 0
.LBB85_22:
	s_waitcnt lgkmcnt(0)
	v_add_f32_e32 v1, 0x358637bd, v1
	v_div_scale_f32 v3, s[0:1], v1, v1, 1.0
	v_rcp_f32_e32 v5, v3
	v_div_scale_f32 v6, vcc, 1.0, v1, 1.0
	s_mul_i32 s0, s3, s35
	v_fma_f32 v7, -v3, v5, 1.0
	v_fmac_f32_e32 v5, v7, v5
	v_mul_f32_e32 v7, v6, v5
	v_fma_f32 v8, -v3, v7, v6
	s_mul_hi_u32 s1, s3, s34
	v_fmac_f32_e32 v7, v8, v5
	s_add_i32 s1, s1, s0
	s_mul_i32 s0, s3, s34
	v_fma_f32 v3, -v3, v7, v6
	s_lshl_b64 s[0:1], s[0:1], 7
	v_div_fmas_f32 v3, v3, v5, v7
	s_add_u32 s4, s4, s0
	s_mov_b32 s3, 0
	v_div_fixup_f32 v1, v3, v1, 1.0
	s_addc_u32 s5, s5, s1
	s_lshl_b64 s[0:1], s[2:3], 7
	v_mul_f32_e32 v1, v4, v1
	s_add_u32 s0, s4, s0
	s_addc_u32 s1, s5, s1
	v_fma_mixlo_f16 v0, v1, v0, 0
	global_store_short v2, v0, s[0:1]
	s_endpgm
.LBB85_23:
	s_mov_b64 s[6:7], 0
	s_branch .LBB85_2
.LBB85_24:
	v_mov_b32_e32 v0, 1.0
	s_andn2_b64 vcc, exec, s[38:39]
	s_cbranch_vccz .LBB85_21
	s_branch .LBB85_22
	.section	.rodata,"a",@progbits
	.p2align	6, 0x0
	.amdhsa_kernel _Z35paged_attention_ll4mi_reduce_kernelIDF16_DF16_Li64ELi64ELi256ELi10EEvPT0_PKfS3_PKT_PKiS8_iS3_
		.amdhsa_group_segment_fixed_size 2564
		.amdhsa_private_segment_fixed_size 0
		.amdhsa_kernarg_size 320
		.amdhsa_user_sgpr_count 2
		.amdhsa_user_sgpr_dispatch_ptr 0
		.amdhsa_user_sgpr_queue_ptr 0
		.amdhsa_user_sgpr_kernarg_segment_ptr 1
		.amdhsa_user_sgpr_dispatch_id 0
		.amdhsa_user_sgpr_kernarg_preload_length 0
		.amdhsa_user_sgpr_kernarg_preload_offset 0
		.amdhsa_user_sgpr_private_segment_size 0
		.amdhsa_uses_dynamic_stack 0
		.amdhsa_enable_private_segment 0
		.amdhsa_system_sgpr_workgroup_id_x 1
		.amdhsa_system_sgpr_workgroup_id_y 1
		.amdhsa_system_sgpr_workgroup_id_z 0
		.amdhsa_system_sgpr_workgroup_info 0
		.amdhsa_system_vgpr_workitem_id 0
		.amdhsa_next_free_vgpr 92
		.amdhsa_next_free_sgpr 49
		.amdhsa_accum_offset 92
		.amdhsa_reserve_vcc 1
		.amdhsa_float_round_mode_32 0
		.amdhsa_float_round_mode_16_64 0
		.amdhsa_float_denorm_mode_32 3
		.amdhsa_float_denorm_mode_16_64 3
		.amdhsa_dx10_clamp 1
		.amdhsa_ieee_mode 1
		.amdhsa_fp16_overflow 0
		.amdhsa_tg_split 0
		.amdhsa_exception_fp_ieee_invalid_op 0
		.amdhsa_exception_fp_denorm_src 0
		.amdhsa_exception_fp_ieee_div_zero 0
		.amdhsa_exception_fp_ieee_overflow 0
		.amdhsa_exception_fp_ieee_underflow 0
		.amdhsa_exception_fp_ieee_inexact 0
		.amdhsa_exception_int_div_zero 0
	.end_amdhsa_kernel
	.section	.text._Z35paged_attention_ll4mi_reduce_kernelIDF16_DF16_Li64ELi64ELi256ELi10EEvPT0_PKfS3_PKT_PKiS8_iS3_,"axG",@progbits,_Z35paged_attention_ll4mi_reduce_kernelIDF16_DF16_Li64ELi64ELi256ELi10EEvPT0_PKfS3_PKT_PKiS8_iS3_,comdat
.Lfunc_end85:
	.size	_Z35paged_attention_ll4mi_reduce_kernelIDF16_DF16_Li64ELi64ELi256ELi10EEvPT0_PKfS3_PKT_PKiS8_iS3_, .Lfunc_end85-_Z35paged_attention_ll4mi_reduce_kernelIDF16_DF16_Li64ELi64ELi256ELi10EEvPT0_PKfS3_PKT_PKiS8_iS3_
                                        ; -- End function
	.section	.AMDGPU.csdata,"",@progbits
; Kernel info:
; codeLenInByte = 9524
; NumSgprs: 55
; NumVgprs: 92
; NumAgprs: 0
; TotalNumVgprs: 92
; ScratchSize: 0
; MemoryBound: 0
; FloatMode: 240
; IeeeMode: 1
; LDSByteSize: 2564 bytes/workgroup (compile time only)
; SGPRBlocks: 6
; VGPRBlocks: 11
; NumSGPRsForWavesPerEU: 55
; NumVGPRsForWavesPerEU: 92
; AccumOffset: 92
; Occupancy: 5
; WaveLimiterHint : 1
; COMPUTE_PGM_RSRC2:SCRATCH_EN: 0
; COMPUTE_PGM_RSRC2:USER_SGPR: 2
; COMPUTE_PGM_RSRC2:TRAP_HANDLER: 0
; COMPUTE_PGM_RSRC2:TGID_X_EN: 1
; COMPUTE_PGM_RSRC2:TGID_Y_EN: 1
; COMPUTE_PGM_RSRC2:TGID_Z_EN: 0
; COMPUTE_PGM_RSRC2:TIDIG_COMP_CNT: 0
; COMPUTE_PGM_RSRC3_GFX90A:ACCUM_OFFSET: 22
; COMPUTE_PGM_RSRC3_GFX90A:TG_SPLIT: 0
	.section	.text._Z35paged_attention_ll4mi_reduce_kernelIDF16_DF16_Li64ELi64ELi256ELi11EEvPT0_PKfS3_PKT_PKiS8_iS3_,"axG",@progbits,_Z35paged_attention_ll4mi_reduce_kernelIDF16_DF16_Li64ELi64ELi256ELi11EEvPT0_PKfS3_PKT_PKiS8_iS3_,comdat
	.protected	_Z35paged_attention_ll4mi_reduce_kernelIDF16_DF16_Li64ELi64ELi256ELi11EEvPT0_PKfS3_PKT_PKiS8_iS3_ ; -- Begin function _Z35paged_attention_ll4mi_reduce_kernelIDF16_DF16_Li64ELi64ELi256ELi11EEvPT0_PKfS3_PKT_PKiS8_iS3_
	.globl	_Z35paged_attention_ll4mi_reduce_kernelIDF16_DF16_Li64ELi64ELi256ELi11EEvPT0_PKfS3_PKT_PKiS8_iS3_
	.p2align	8
	.type	_Z35paged_attention_ll4mi_reduce_kernelIDF16_DF16_Li64ELi64ELi256ELi11EEvPT0_PKfS3_PKT_PKiS8_iS3_,@function
_Z35paged_attention_ll4mi_reduce_kernelIDF16_DF16_Li64ELi64ELi256ELi11EEvPT0_PKfS3_PKT_PKiS8_iS3_: ; @_Z35paged_attention_ll4mi_reduce_kernelIDF16_DF16_Li64ELi64ELi256ELi11EEvPT0_PKfS3_PKT_PKiS8_iS3_
; %bb.0:
	s_load_dwordx2 s[34:35], s[0:1], 0x28
	s_mov_b32 s26, s3
	s_mov_b64 s[4:5], 0
	s_waitcnt lgkmcnt(0)
	s_cmp_lg_u64 s[34:35], 0
	s_cselect_b64 s[40:41], -1, 0
	s_and_b64 vcc, exec, s[40:41]
	s_cbranch_vccz .LBB86_23
; %bb.1:
	s_add_i32 s6, s26, 1
	s_mov_b32 s7, 0
	s_lshl_b64 s[8:9], s[6:7], 2
	s_add_u32 s8, s34, s8
	s_mov_b32 s27, s7
	s_addc_u32 s9, s35, s9
	s_lshl_b64 s[6:7], s[26:27], 2
	s_add_u32 s6, s34, s6
	s_addc_u32 s7, s35, s7
	s_load_dword s3, s[8:9], 0x0
	s_load_dword s10, s[6:7], 0x0
	s_waitcnt lgkmcnt(0)
	s_sub_i32 s3, s3, s10
	s_cmp_eq_u32 s3, 1
	s_cselect_b64 s[6:7], -1, 0
	s_andn2_b64 vcc, exec, s[4:5]
	s_cbranch_vccnz .LBB86_3
.LBB86_2:
	s_mov_b32 s27, 0
	s_mov_b64 s[6:7], -1
.LBB86_3:
	s_andn2_b64 vcc, exec, s[6:7]
	s_cbranch_vccz .LBB86_5
; %bb.4:
	s_endpgm
.LBB86_5:
	s_load_dwordx4 s[28:31], s[0:1], 0x18
	s_load_dword s8, s[0:1], 0x30
	s_lshl_b64 s[42:43], s[26:27], 2
	v_cmp_lt_u32_e32 vcc, 63, v0
	s_waitcnt lgkmcnt(0)
	s_add_u32 s4, s30, s42
	s_addc_u32 s5, s31, s43
	s_load_dword s50, s[4:5], 0x0
	s_load_dword s3, s[0:1], 0x40
	s_mul_i32 s30, s2, s8
	s_mul_i32 s6, s26, s8
	s_waitcnt lgkmcnt(0)
	s_add_i32 s7, s50, 0xff
	s_ashr_i32 s4, s7, 31
	s_lshr_b32 s4, s4, 24
	s_add_i32 s7, s7, s4
	s_and_saveexec_b64 s[4:5], vcc
	s_xor_b64 s[4:5], exec, s[4:5]
	s_or_saveexec_b64 s[44:45], s[4:5]
	s_ashr_i32 s33, s7, 8
	v_mov_b32_e32 v1, s30
	s_mul_i32 s46, s6, s3
	s_xor_b64 exec, exec, s[44:45]
	s_cbranch_execz .LBB86_9
; %bb.6:
	s_add_i32 s4, s33, -1
	v_or_b32_e32 v3, 64, v0
	v_mov_b32_e32 v1, s4
	v_cmp_gt_u32_e64 s[20:21], s33, v3
	s_load_dwordx4 s[36:39], s[0:1], 0x8
	s_mov_b32 s47, 0
	v_cndmask_b32_e64 v4, v1, v3, s[20:21]
	v_or_b32_e32 v3, 0x80, v0
	v_cmp_gt_u32_e64 s[18:19], s33, v3
	s_lshl_b64 s[48:49], s[46:47], 2
	s_mov_b32 s31, s47
	v_cndmask_b32_e64 v6, v1, v3, s[18:19]
	v_or_b32_e32 v3, 0xc0, v0
	v_cmp_gt_u32_e64 s[16:17], s33, v3
	v_cmp_gt_u32_e64 s[22:23], s33, v0
	s_waitcnt lgkmcnt(0)
	s_add_u32 s24, s38, s48
	v_cndmask_b32_e64 v8, v1, v3, s[16:17]
	v_or_b32_e32 v3, 0x100, v0
	v_cmp_gt_u32_e64 s[14:15], s33, v3
	v_cndmask_b32_e64 v2, v1, v0, s[22:23]
	s_addc_u32 s25, s39, s49
	v_cndmask_b32_e64 v10, v1, v3, s[14:15]
	v_or_b32_e32 v3, 0x140, v0
	v_cmp_gt_u32_e64 s[12:13], s33, v3
	s_lshl_b64 s[38:39], s[30:31], 2
	s_add_u32 s24, s24, s38
	v_cndmask_b32_e64 v12, v1, v3, s[12:13]
	v_or_b32_e32 v3, 0x180, v0
	v_cmp_gt_u32_e64 s[10:11], s33, v3
	v_ashrrev_i32_e32 v9, 31, v8
	v_ashrrev_i32_e32 v11, 31, v10
	v_cndmask_b32_e64 v14, v1, v3, s[10:11]
	v_or_b32_e32 v3, 0x1c0, v0
	v_cmp_gt_u32_e64 s[8:9], s33, v3
	v_ashrrev_i32_e32 v13, 31, v12
	s_addc_u32 s25, s25, s39
	v_cndmask_b32_e64 v16, v1, v3, s[8:9]
	v_or_b32_e32 v3, 0x200, v0
	v_cmp_gt_u32_e64 s[6:7], s33, v3
	v_ashrrev_i32_e32 v5, 31, v4
	v_ashrrev_i32_e32 v7, 31, v6
	v_cndmask_b32_e64 v18, v1, v3, s[6:7]
	v_or_b32_e32 v3, 0x240, v0
	v_cmp_gt_u32_e64 s[4:5], s33, v3
	v_lshlrev_b64 v[8:9], 2, v[8:9]
	v_lshlrev_b64 v[10:11], 2, v[10:11]
	v_cndmask_b32_e64 v20, v1, v3, s[4:5]
	v_or_b32_e32 v3, 0x280, v0
	v_cmp_gt_u32_e32 vcc, s33, v3
	v_lshlrev_b64 v[12:13], 2, v[12:13]
	v_ashrrev_i32_e32 v15, 31, v14
	v_cndmask_b32_e32 v22, v1, v3, vcc
	v_ashrrev_i32_e32 v3, 31, v2
	v_lshlrev_b64 v[2:3], 2, v[2:3]
	v_ashrrev_i32_e32 v17, 31, v16
	v_ashrrev_i32_e32 v19, 31, v18
	v_lshl_add_u64 v[24:25], s[24:25], 0, v[2:3]
	v_lshlrev_b64 v[4:5], 2, v[4:5]
	v_lshlrev_b64 v[6:7], 2, v[6:7]
	v_lshl_add_u64 v[30:31], s[24:25], 0, v[8:9]
	v_lshl_add_u64 v[32:33], s[24:25], 0, v[10:11]
	;; [unrolled: 1-line block ×3, first 2 shown]
	v_lshlrev_b64 v[14:15], 2, v[14:15]
	v_lshlrev_b64 v[16:17], 2, v[16:17]
	;; [unrolled: 1-line block ×3, first 2 shown]
	v_ashrrev_i32_e32 v21, 31, v20
	v_ashrrev_i32_e32 v23, 31, v22
	v_lshl_add_u64 v[26:27], s[24:25], 0, v[4:5]
	v_lshl_add_u64 v[28:29], s[24:25], 0, v[6:7]
	;; [unrolled: 1-line block ×4, first 2 shown]
	global_load_dword v1, v[24:25], off
	global_load_dword v40, v[26:27], off
	;; [unrolled: 1-line block ×3, first 2 shown]
	s_nop 0
	global_load_dword v30, v[30:31], off
	s_nop 0
	global_load_dword v31, v[32:33], off
	;; [unrolled: 2-line block ×3, first 2 shown]
	global_load_dword v33, v[36:37], off
	s_nop 0
	global_load_dword v34, v[38:39], off
	v_lshl_add_u64 v[24:25], s[24:25], 0, v[18:19]
	v_lshlrev_b64 v[20:21], 2, v[20:21]
	v_lshlrev_b64 v[22:23], 2, v[22:23]
	v_lshl_add_u64 v[26:27], s[24:25], 0, v[20:21]
	v_lshl_add_u64 v[28:29], s[24:25], 0, v[22:23]
	global_load_dword v24, v[24:25], off
	s_nop 0
	global_load_dword v25, v[26:27], off
	global_load_dword v35, v[28:29], off
	v_mbcnt_lo_u32_b32 v26, -1, 0
	v_mbcnt_hi_u32_b32 v26, -1, v26
	v_and_b32_e32 v27, 64, v26
	v_add_u32_e32 v27, 64, v27
	v_xor_b32_e32 v29, 32, v26
	v_cmp_lt_i32_e64 s[24:25], v29, v27
	v_xor_b32_e32 v42, 2, v26
	s_mov_b32 s31, 0x3fb8aa3b
	v_cndmask_b32_e64 v29, v26, v29, s[24:25]
	v_lshlrev_b32_e32 v29, 2, v29
	s_waitcnt vmcnt(8)
	v_max3_f32 v28, v1, v40, v41
	s_waitcnt vmcnt(6)
	v_max3_f32 v28, v28, v30, v31
	;; [unrolled: 2-line block ×5, first 2 shown]
	ds_bpermute_b32 v36, v29, v28
	s_waitcnt lgkmcnt(0)
	v_max_f32_e32 v36, v36, v36
	v_max_f32_e32 v28, v28, v36
	v_xor_b32_e32 v36, 16, v26
	v_cmp_lt_i32_e64 s[24:25], v36, v27
	s_nop 1
	v_cndmask_b32_e64 v36, v26, v36, s[24:25]
	v_lshlrev_b32_e32 v36, 2, v36
	ds_bpermute_b32 v37, v36, v28
	s_waitcnt lgkmcnt(0)
	v_max_f32_e32 v37, v37, v37
	v_max_f32_e32 v28, v28, v37
	v_xor_b32_e32 v37, 8, v26
	v_cmp_lt_i32_e64 s[24:25], v37, v27
	s_nop 1
	v_cndmask_b32_e64 v37, v26, v37, s[24:25]
	s_add_u32 s24, s36, s48
	v_lshlrev_b32_e32 v37, 2, v37
	s_addc_u32 s25, s37, s49
	ds_bpermute_b32 v38, v37, v28
	s_add_u32 s36, s24, s38
	s_addc_u32 s37, s25, s39
	v_lshl_add_u64 v[2:3], s[36:37], 0, v[2:3]
	global_load_dword v39, v[2:3], off
	v_xor_b32_e32 v3, 4, v26
	v_cmp_lt_i32_e64 s[24:25], v3, v27
	s_waitcnt lgkmcnt(0)
	v_max_f32_e32 v2, v38, v38
	v_max_f32_e32 v2, v28, v2
	v_cndmask_b32_e64 v3, v26, v3, s[24:25]
	v_lshlrev_b32_e32 v28, 2, v3
	ds_bpermute_b32 v3, v28, v2
	v_cmp_lt_i32_e64 s[24:25], v42, v27
	s_waitcnt lgkmcnt(0)
	v_max_f32_e32 v3, v3, v3
	v_max_f32_e32 v38, v2, v3
	v_lshl_add_u64 v[2:3], s[36:37], 0, v[4:5]
	global_load_dword v43, v[2:3], off
	v_cndmask_b32_e64 v2, v26, v42, s[24:25]
	v_lshlrev_b32_e32 v42, 2, v2
	ds_bpermute_b32 v2, v42, v38
	v_lshl_add_u64 v[4:5], s[36:37], 0, v[10:11]
	v_lshl_add_u64 v[10:11], s[36:37], 0, v[16:17]
	s_waitcnt lgkmcnt(0)
	v_max_f32_e32 v2, v2, v2
	v_max_f32_e32 v38, v38, v2
	v_xor_b32_e32 v2, 1, v26
	v_cmp_lt_i32_e64 s[24:25], v2, v27
	s_nop 1
	v_cndmask_b32_e64 v2, v26, v2, s[24:25]
	v_lshlrev_b32_e32 v26, 2, v2
	v_lshl_add_u64 v[2:3], s[36:37], 0, v[6:7]
	global_load_dword v27, v[2:3], off
	v_lshl_add_u64 v[2:3], s[36:37], 0, v[8:9]
	v_lshl_add_u64 v[6:7], s[36:37], 0, v[12:13]
	;; [unrolled: 1-line block ×3, first 2 shown]
	global_load_dword v12, v[2:3], off
	global_load_dword v13, v[4:5], off
	;; [unrolled: 1-line block ×5, first 2 shown]
	ds_bpermute_b32 v44, v26, v38
	v_lshl_add_u64 v[2:3], s[36:37], 0, v[18:19]
	v_lshl_add_u64 v[4:5], s[36:37], 0, v[20:21]
	;; [unrolled: 1-line block ×3, first 2 shown]
	s_mov_b32 s36, 0xc2ce8ed0
	s_waitcnt lgkmcnt(0)
	v_max_f32_e32 v8, v44, v44
	v_max_f32_e32 v8, v38, v8
	v_sub_f32_e32 v1, v1, v8
	v_mul_f32_e32 v9, 0x3fb8aa3b, v1
	v_fma_f32 v10, v1, s31, -v9
	v_rndne_f32_e32 v11, v9
	v_fmac_f32_e32 v10, 0x32a5705f, v1
	v_sub_f32_e32 v9, v9, v11
	v_add_f32_e32 v9, v9, v10
	v_cvt_i32_f32_e32 v10, v11
	global_load_dword v11, v[2:3], off
	global_load_dword v17, v[4:5], off
	;; [unrolled: 1-line block ×3, first 2 shown]
	v_sub_f32_e32 v4, v40, v8
	v_mul_f32_e32 v5, 0x3fb8aa3b, v4
	v_fma_f32 v6, v4, s31, -v5
	v_rndne_f32_e32 v7, v5
	v_exp_f32_e32 v9, v9
	v_fmac_f32_e32 v6, 0x32a5705f, v4
	v_sub_f32_e32 v5, v5, v7
	v_add_f32_e32 v5, v5, v6
	v_exp_f32_e32 v5, v5
	v_cvt_i32_f32_e32 v6, v7
	v_ldexp_f32 v2, v9, v10
	v_cmp_ngt_f32_e64 s[24:25], s36, v1
	s_mov_b32 s37, 0x42b17218
	v_mov_b32_e32 v3, 0x7f800000
	v_cndmask_b32_e64 v2, 0, v2, s[24:25]
	v_cmp_nlt_f32_e64 s[24:25], s37, v1
	s_nop 1
	v_cndmask_b32_e64 v1, v3, v2, s[24:25]
	v_ldexp_f32 v2, v5, v6
	v_sub_f32_e32 v5, v41, v8
	v_mul_f32_e32 v6, 0x3fb8aa3b, v5
	v_fma_f32 v7, v5, s31, -v6
	v_rndne_f32_e32 v9, v6
	v_fmac_f32_e32 v7, 0x32a5705f, v5
	v_sub_f32_e32 v6, v6, v9
	v_add_f32_e32 v6, v6, v7
	v_exp_f32_e32 v6, v6
	v_cvt_i32_f32_e32 v7, v9
	v_cndmask_b32_e64 v1, 0, v1, s[22:23]
	v_cmp_ngt_f32_e64 s[22:23], s36, v4
	s_waitcnt vmcnt(10)
	v_mul_f32_e32 v1, v39, v1
	v_cndmask_b32_e64 v2, 0, v2, s[22:23]
	v_cmp_nlt_f32_e64 s[22:23], s37, v4
	v_ldexp_f32 v4, v6, v7
	v_sub_f32_e32 v6, v30, v8
	v_mul_f32_e32 v7, 0x3fb8aa3b, v6
	v_fma_f32 v9, v6, s31, -v7
	v_rndne_f32_e32 v10, v7
	v_fmac_f32_e32 v9, 0x32a5705f, v6
	v_sub_f32_e32 v7, v7, v10
	v_add_f32_e32 v7, v7, v9
	v_exp_f32_e32 v7, v7
	v_cvt_i32_f32_e32 v9, v10
	v_cndmask_b32_e64 v2, v3, v2, s[22:23]
	v_cndmask_b32_e64 v2, 0, v2, s[20:21]
	v_cmp_ngt_f32_e64 s[20:21], s36, v5
	s_waitcnt vmcnt(9)
	v_mul_f32_e32 v2, v43, v2
	v_cndmask_b32_e64 v4, 0, v4, s[20:21]
	v_cmp_nlt_f32_e64 s[20:21], s37, v5
	v_ldexp_f32 v5, v7, v9
	v_sub_f32_e32 v7, v31, v8
	v_mul_f32_e32 v9, 0x3fb8aa3b, v7
	v_fma_f32 v10, v7, s31, -v9
	v_rndne_f32_e32 v19, v9
	v_fmac_f32_e32 v10, 0x32a5705f, v7
	v_sub_f32_e32 v9, v9, v19
	v_add_f32_e32 v9, v9, v10
	v_exp_f32_e32 v9, v9
	v_cvt_i32_f32_e32 v10, v19
	v_cndmask_b32_e64 v4, v3, v4, s[20:21]
	v_cndmask_b32_e64 v4, 0, v4, s[18:19]
	v_cmp_ngt_f32_e64 s[18:19], s36, v6
	s_waitcnt vmcnt(8)
	v_mul_f32_e32 v4, v27, v4
	v_cndmask_b32_e64 v5, 0, v5, s[18:19]
	v_cmp_nlt_f32_e64 s[18:19], s37, v6
	v_ldexp_f32 v6, v9, v10
	v_sub_f32_e32 v9, v32, v8
	v_cndmask_b32_e64 v5, v3, v5, s[18:19]
	v_cndmask_b32_e64 v5, 0, v5, s[16:17]
	v_mul_f32_e32 v10, 0x3fb8aa3b, v9
	s_waitcnt vmcnt(7)
	v_mul_f32_e32 v5, v12, v5
	v_fma_f32 v12, v9, s31, -v10
	v_rndne_f32_e32 v19, v10
	v_fmac_f32_e32 v12, 0x32a5705f, v9
	v_sub_f32_e32 v10, v10, v19
	v_add_f32_e32 v10, v10, v12
	v_exp_f32_e32 v10, v10
	v_cvt_i32_f32_e32 v12, v19
	v_cmp_ngt_f32_e64 s[16:17], s36, v7
	s_nop 1
	v_cndmask_b32_e64 v6, 0, v6, s[16:17]
	v_cmp_nlt_f32_e64 s[16:17], s37, v7
	v_ldexp_f32 v7, v10, v12
	v_sub_f32_e32 v10, v33, v8
	v_cndmask_b32_e64 v6, v3, v6, s[16:17]
	v_cndmask_b32_e64 v6, 0, v6, s[14:15]
	v_mul_f32_e32 v12, 0x3fb8aa3b, v10
	s_waitcnt vmcnt(6)
	v_mul_f32_e32 v6, v13, v6
	v_fma_f32 v13, v10, s31, -v12
	v_rndne_f32_e32 v19, v12
	v_fmac_f32_e32 v13, 0x32a5705f, v10
	v_sub_f32_e32 v12, v12, v19
	v_add_f32_e32 v12, v12, v13
	v_exp_f32_e32 v12, v12
	v_cvt_i32_f32_e32 v13, v19
	v_cmp_ngt_f32_e64 s[14:15], s36, v9
	s_nop 1
	;; [unrolled: 18-line block ×4, first 2 shown]
	v_cndmask_b32_e64 v10, 0, v10, s[10:11]
	v_cmp_nlt_f32_e64 s[10:11], s37, v12
	v_ldexp_f32 v12, v14, v15
	v_sub_f32_e32 v14, v25, v8
	v_cndmask_b32_e64 v10, v3, v10, s[10:11]
	v_cndmask_b32_e64 v10, 0, v10, s[8:9]
	v_mul_f32_e32 v15, 0x3fb8aa3b, v14
	s_waitcnt vmcnt(3)
	v_mul_f32_e32 v10, v16, v10
	v_fma_f32 v16, v14, s31, -v15
	v_rndne_f32_e32 v19, v15
	v_fmac_f32_e32 v16, 0x32a5705f, v14
	v_sub_f32_e32 v15, v15, v19
	v_add_f32_e32 v15, v15, v16
	v_cmp_ngt_f32_e64 s[8:9], s36, v13
	v_exp_f32_e32 v15, v15
	v_cvt_i32_f32_e32 v16, v19
	v_cndmask_b32_e64 v12, 0, v12, s[8:9]
	v_cmp_nlt_f32_e64 s[8:9], s37, v13
	v_sub_f32_e32 v8, v35, v8
	v_mul_f32_e32 v13, 0x3fb8aa3b, v8
	v_cndmask_b32_e64 v12, v3, v12, s[8:9]
	v_cndmask_b32_e64 v12, 0, v12, s[6:7]
	s_waitcnt vmcnt(2)
	v_mul_f32_e32 v11, v11, v12
	v_ldexp_f32 v12, v15, v16
	v_fma_f32 v15, v8, s31, -v13
	v_rndne_f32_e32 v16, v13
	v_fmac_f32_e32 v15, 0x32a5705f, v8
	v_sub_f32_e32 v13, v13, v16
	v_add_f32_e32 v13, v13, v15
	v_exp_f32_e32 v13, v13
	v_cvt_i32_f32_e32 v15, v16
	v_cmp_ngt_f32_e64 s[6:7], s36, v14
	v_ldexp_f32 v13, v13, v15
	s_nop 0
	v_cndmask_b32_e64 v12, 0, v12, s[6:7]
	v_cmp_nlt_f32_e64 s[6:7], s37, v14
	v_lshlrev_b32_e32 v14, 2, v0
	ds_write2st64_b32 v14, v1, v2 offset1:1
	ds_write2st64_b32 v14, v4, v5 offset0:2 offset1:3
	ds_write2st64_b32 v14, v6, v7 offset0:4 offset1:5
	v_cndmask_b32_e64 v12, v3, v12, s[6:7]
	v_cndmask_b32_e64 v12, 0, v12, s[4:5]
	v_cmp_ngt_f32_e64 s[4:5], s36, v8
	s_waitcnt vmcnt(1)
	v_mul_f32_e32 v12, v17, v12
	v_cndmask_b32_e64 v13, 0, v13, s[4:5]
	v_cmp_nlt_f32_e64 s[4:5], s37, v8
	v_add_f32_e32 v8, v1, v2
	v_add_f32_e32 v8, v8, v4
	;; [unrolled: 1-line block ×6, first 2 shown]
	v_cndmask_b32_e64 v3, v3, v13, s[4:5]
	v_add_f32_e32 v8, v8, v10
	v_cndmask_b32_e32 v3, 0, v3, vcc
	v_add_f32_e32 v8, v8, v11
	s_waitcnt vmcnt(0)
	v_mul_f32_e32 v3, v18, v3
	v_add_f32_e32 v8, v8, v12
	v_add_f32_e32 v8, v8, v3
	ds_bpermute_b32 v13, v29, v8
	v_cmp_eq_u32_e32 vcc, 0, v0
	ds_write2st64_b32 v14, v9, v10 offset0:6 offset1:7
	ds_write2st64_b32 v14, v11, v12 offset0:8 offset1:9
	ds_write_b32 v14, v3 offset:2560
	s_waitcnt lgkmcnt(3)
	v_add_f32_e32 v8, v8, v13
	ds_bpermute_b32 v13, v36, v8
	s_waitcnt lgkmcnt(0)
	v_add_f32_e32 v8, v8, v13
	ds_bpermute_b32 v13, v37, v8
	;; [unrolled: 3-line block ×5, first 2 shown]
	s_and_saveexec_b64 s[4:5], vcc
	s_cbranch_execz .LBB86_8
; %bb.7:
	s_waitcnt lgkmcnt(0)
	v_add_f32_e32 v1, v1, v2
	v_mov_b32_e32 v2, 0
	ds_write_b32 v2, v1 offset:2816
.LBB86_8:
	s_or_b64 exec, exec, s[4:5]
	v_mov_b32_e32 v1, s30
.LBB86_9:
	s_or_b64 exec, exec, s[44:45]
	s_lshl_b32 s4, s46, 6
	s_mov_b32 s5, 0
	s_lshl_b64 s[4:5], s[4:5], 1
	s_add_u32 s4, s28, s4
	s_addc_u32 s5, s29, s5
	s_lshl_b32 s10, s33, 6
	s_sub_i32 s11, s10, 64
	s_waitcnt lgkmcnt(0)
	v_lshlrev_b32_e32 v2, 6, v1
	v_mov_b32_e32 v3, 0
	s_cmp_lt_i32 s50, 1
	v_lshl_add_u64 v[4:5], v[2:3], 1, s[4:5]
	s_cselect_b32 s4, s11, 0
	v_lshlrev_b32_e32 v2, 1, v0
	s_ashr_i32 s5, s4, 31
	v_lshl_add_u64 v[0:1], v[4:5], 0, v[2:3]
	s_cmpk_lt_i32 s50, 0x101
	v_lshl_add_u64 v[12:13], s[4:5], 1, v[0:1]
	s_cselect_b32 s4, s11, 64
	s_ashr_i32 s5, s4, 31
	s_cmpk_lt_i32 s50, 0x201
	v_lshl_add_u64 v[14:15], s[4:5], 1, v[0:1]
	s_cselect_b32 s4, s11, 0x80
	s_ashr_i32 s5, s4, 31
	;; [unrolled: 4-line block ×8, first 2 shown]
	s_cmpk_lt_i32 s50, 0x901
	global_load_ushort v4, v[12:13], off
	global_load_ushort v5, v[14:15], off
	;; [unrolled: 1-line block ×8, first 2 shown]
	v_lshl_add_u64 v[20:21], s[4:5], 1, v[0:1]
	s_cselect_b32 s4, s11, 0x240
	s_ashr_i32 s5, s4, 31
	s_cmpk_lt_i32 s50, 0xa01
	v_lshl_add_u64 v[22:23], s[4:5], 1, v[0:1]
	s_cselect_b32 s4, s11, 0x280
	s_ashr_i32 s5, s4, 31
	s_cmpk_lt_i32 s50, 0xb01
	;; [unrolled: 4-line block ×6, first 2 shown]
	v_lshl_add_u64 v[32:33], s[4:5], 1, v[0:1]
	s_cselect_b32 s4, s11, 0x3c0
	s_ashr_i32 s5, s4, 31
	v_lshl_add_u64 v[34:35], s[4:5], 1, v[0:1]
	global_load_ushort v12, v[20:21], off
	global_load_ushort v13, v[22:23], off
	;; [unrolled: 1-line block ×8, first 2 shown]
	s_cmpk_gt_i32 s50, 0x1000
	s_cselect_b64 s[8:9], -1, 0
	s_cmpk_lt_i32 s50, 0x1001
	v_mov_b32_e32 v36, 0
	v_mov_b32_e32 v37, 0
	;; [unrolled: 1-line block ×48, first 2 shown]
	s_waitcnt lgkmcnt(0)
	; wave barrier
	s_cbranch_scc1 .LBB86_12
; %bb.10:
	s_cmpk_lt_u32 s50, 0x1101
	s_cselect_b32 s4, s11, 0x440
	s_ashr_i32 s5, s4, 31
	s_cmpk_lt_u32 s50, 0x1201
	v_lshl_add_u64 v[28:29], s[4:5], 1, v[0:1]
	s_cselect_b32 s4, s11, 0x480
	s_ashr_i32 s5, s4, 31
	s_cmpk_lt_u32 s50, 0x1301
	v_lshl_add_u64 v[30:31], s[4:5], 1, v[0:1]
	;; [unrolled: 4-line block ×7, first 2 shown]
	s_cselect_b32 s4, s11, 0x600
	s_ashr_i32 s5, s4, 31
	s_cmpk_lt_u32 s50, 0x1901
	global_load_ushort v27, v[0:1], off offset:2048
	global_load_ushort v26, v[28:29], off
	global_load_ushort v25, v[30:31], off
	;; [unrolled: 1-line block ×7, first 2 shown]
	v_lshl_add_u64 v[36:37], s[4:5], 1, v[0:1]
	s_cselect_b32 s4, s11, 0x640
	s_ashr_i32 s5, s4, 31
	s_cmpk_lt_u32 s50, 0x1a01
	v_lshl_add_u64 v[38:39], s[4:5], 1, v[0:1]
	s_cselect_b32 s4, s11, 0x680
	s_ashr_i32 s5, s4, 31
	s_cmpk_lt_u32 s50, 0x1b01
	v_lshl_add_u64 v[40:41], s[4:5], 1, v[0:1]
	s_cselect_b32 s4, s11, 0x6c0
	s_ashr_i32 s5, s4, 31
	s_cmpk_lt_u32 s50, 0x1c01
	v_lshl_add_u64 v[42:43], s[4:5], 1, v[0:1]
	s_cselect_b32 s4, s11, 0x700
	s_ashr_i32 s5, s4, 31
	s_cmpk_lt_u32 s50, 0x1d01
	v_lshl_add_u64 v[44:45], s[4:5], 1, v[0:1]
	s_cselect_b32 s4, s11, 0x740
	s_ashr_i32 s5, s4, 31
	s_cmpk_lt_u32 s50, 0x1e01
	v_lshl_add_u64 v[46:47], s[4:5], 1, v[0:1]
	s_cselect_b32 s4, s11, 0x780
	s_ashr_i32 s5, s4, 31
	s_cmpk_lt_u32 s50, 0x1f01
	v_lshl_add_u64 v[48:49], s[4:5], 1, v[0:1]
	s_cselect_b32 s4, s11, 0x7c0
	s_ashr_i32 s5, s4, 31
	v_lshl_add_u64 v[50:51], s[4:5], 1, v[0:1]
	global_load_ushort v35, v[36:37], off
	global_load_ushort v34, v[38:39], off
	;; [unrolled: 1-line block ×8, first 2 shown]
	s_cmpk_lt_u32 s50, 0x2001
	v_mov_b32_e32 v67, 0
	v_mov_b32_e32 v66, 0
	;; [unrolled: 1-line block ×32, first 2 shown]
	s_cbranch_scc1 .LBB86_12
; %bb.11:
	s_cmpk_lt_u32 s50, 0x2101
	s_cselect_b32 s4, s11, 0x840
	s_ashr_i32 s5, s4, 31
	s_cmpk_lt_u32 s50, 0x2201
	v_lshl_add_u64 v[38:39], s[4:5], 1, v[0:1]
	s_cselect_b32 s4, s11, 0x880
	s_ashr_i32 s5, s4, 31
	s_cmpk_lt_u32 s50, 0x2301
	v_lshl_add_u64 v[40:41], s[4:5], 1, v[0:1]
	;; [unrolled: 4-line block ×7, first 2 shown]
	s_cselect_b32 s4, s11, 0xa00
	v_add_co_u32_e32 v36, vcc, 0x1000, v0
	s_ashr_i32 s5, s4, 31
	s_nop 0
	v_addc_co_u32_e32 v37, vcc, 0, v1, vcc
	s_cmpk_lt_u32 s50, 0x2901
	global_load_ushort v52, v[36:37], off
	global_load_ushort v53, v[38:39], off
	;; [unrolled: 1-line block ×8, first 2 shown]
	v_lshl_add_u64 v[36:37], s[4:5], 1, v[0:1]
	s_cselect_b32 s4, s11, 0xa40
	s_ashr_i32 s5, s4, 31
	s_cmpk_lt_u32 s50, 0x2a01
	v_lshl_add_u64 v[38:39], s[4:5], 1, v[0:1]
	s_cselect_b32 s4, s11, 0xa80
	s_ashr_i32 s5, s4, 31
	s_cmpk_lt_u32 s50, 0x2b01
	;; [unrolled: 4-line block ×8, first 2 shown]
	global_load_ushort v68, v[36:37], off
	global_load_ushort v69, v[38:39], off
	;; [unrolled: 1-line block ×8, first 2 shown]
	v_lshl_add_u64 v[36:37], s[4:5], 1, v[0:1]
	s_cselect_b32 s4, s11, 0xc40
	s_ashr_i32 s5, s4, 31
	s_cmpk_lt_u32 s50, 0x3201
	v_lshl_add_u64 v[38:39], s[4:5], 1, v[0:1]
	s_cselect_b32 s4, s11, 0xc80
	s_ashr_i32 s5, s4, 31
	s_cmpk_lt_u32 s50, 0x3301
	v_lshl_add_u64 v[40:41], s[4:5], 1, v[0:1]
	s_cselect_b32 s4, s11, 0xcc0
	s_ashr_i32 s5, s4, 31
	s_cmpk_lt_u32 s50, 0x3401
	v_lshl_add_u64 v[42:43], s[4:5], 1, v[0:1]
	s_cselect_b32 s4, s11, 0xd00
	s_ashr_i32 s5, s4, 31
	s_cmpk_lt_u32 s50, 0x3501
	v_lshl_add_u64 v[44:45], s[4:5], 1, v[0:1]
	s_cselect_b32 s4, s11, 0xd40
	s_ashr_i32 s5, s4, 31
	s_cmpk_lt_u32 s50, 0x3601
	v_lshl_add_u64 v[46:47], s[4:5], 1, v[0:1]
	s_cselect_b32 s4, s11, 0xd80
	s_ashr_i32 s5, s4, 31
	s_cmpk_lt_u32 s50, 0x3701
	v_lshl_add_u64 v[48:49], s[4:5], 1, v[0:1]
	s_cselect_b32 s4, s11, 0xdc0
	s_ashr_i32 s5, s4, 31
	s_cmpk_lt_u32 s50, 0x3801
	v_lshl_add_u64 v[50:51], s[4:5], 1, v[0:1]
	s_cselect_b32 s4, s11, 0xe00
	s_ashr_i32 s5, s4, 31
	s_cmpk_lt_u32 s50, 0x3901
	global_load_ushort v76, v[36:37], off
	global_load_ushort v77, v[38:39], off
	;; [unrolled: 1-line block ×8, first 2 shown]
	v_lshl_add_u64 v[36:37], s[4:5], 1, v[0:1]
	s_cselect_b32 s4, s11, 0xe40
	s_ashr_i32 s5, s4, 31
	s_cmpk_lt_u32 s50, 0x3a01
	v_lshl_add_u64 v[38:39], s[4:5], 1, v[0:1]
	s_cselect_b32 s4, s11, 0xe80
	s_ashr_i32 s5, s4, 31
	s_cmpk_lt_u32 s50, 0x3b01
	;; [unrolled: 4-line block ×6, first 2 shown]
	v_lshl_add_u64 v[48:49], s[4:5], 1, v[0:1]
	s_cselect_b32 s4, s11, 0xfc0
	s_ashr_i32 s5, s4, 31
	v_lshl_add_u64 v[50:51], s[4:5], 1, v[0:1]
	global_load_ushort v84, v[36:37], off
	global_load_ushort v85, v[38:39], off
	global_load_ushort v86, v[40:41], off
	global_load_ushort v87, v[42:43], off
	global_load_ushort v88, v[44:45], off
	global_load_ushort v89, v[46:47], off
	global_load_ushort v90, v[48:49], off
	global_load_ushort v91, v[50:51], off
	s_waitcnt vmcnt(31)
	v_cvt_f32_f16_e32 v67, v52
	s_waitcnt vmcnt(30)
	v_cvt_f32_f16_e32 v66, v53
	;; [unrolled: 2-line block ×32, first 2 shown]
.LBB86_12:
	ds_read_b128 v[68:71], v3
	s_load_dwordx2 s[4:5], s[0:1], 0x0
	s_load_dwordx2 s[6:7], s[0:1], 0x38
	ds_read_b128 v[72:75], v3 offset:16
	ds_read_b128 v[76:79], v3 offset:32
	;; [unrolled: 1-line block ×3, first 2 shown]
	s_and_b64 vcc, exec, s[8:9]
	s_waitcnt vmcnt(15) lgkmcnt(0)
	v_fma_mix_f32 v4, v68, v4, 0 op_sel_hi:[0,1,0]
	s_waitcnt vmcnt(14)
	v_fma_mix_f32 v4, v69, v5, v4 op_sel_hi:[0,1,0]
	s_waitcnt vmcnt(13)
	;; [unrolled: 2-line block ×15, first 2 shown]
	v_fma_mix_f32 v4, v83, v19, v4 op_sel_hi:[0,1,0]
	s_cbranch_vccz .LBB86_15
; %bb.13:
	ds_read_b128 v[6:9], v3 offset:64
	ds_read_b128 v[10:13], v3 offset:80
	;; [unrolled: 1-line block ×4, first 2 shown]
	s_cmpk_lt_u32 s50, 0x2001
	s_waitcnt lgkmcnt(3)
	v_fma_mix_f32 v3, v6, v27, v4 op_sel_hi:[0,1,0]
	v_fma_mix_f32 v3, v7, v26, v3 op_sel_hi:[0,1,0]
	v_fma_mix_f32 v3, v8, v25, v3 op_sel_hi:[0,1,0]
	v_fma_mix_f32 v3, v9, v24, v3 op_sel_hi:[0,1,0]
	s_waitcnt lgkmcnt(2)
	v_fma_mix_f32 v3, v10, v23, v3 op_sel_hi:[0,1,0]
	v_fma_mix_f32 v3, v11, v22, v3 op_sel_hi:[0,1,0]
	v_fma_mix_f32 v3, v12, v21, v3 op_sel_hi:[0,1,0]
	v_fma_mix_f32 v3, v13, v20, v3 op_sel_hi:[0,1,0]
	;; [unrolled: 5-line block ×4, first 2 shown]
	s_cbranch_scc1 .LBB86_15
; %bb.14:
	v_mov_b32_e32 v3, 0
	ds_read_b128 v[6:9], v3 offset:128
	ds_read_b128 v[10:13], v3 offset:144
	;; [unrolled: 1-line block ×4, first 2 shown]
	s_waitcnt lgkmcnt(3)
	v_fmac_f32_e32 v4, v6, v67
	v_fmac_f32_e32 v4, v7, v66
	v_fmac_f32_e32 v4, v8, v65
	v_fmac_f32_e32 v4, v9, v64
	s_waitcnt lgkmcnt(2)
	v_fmac_f32_e32 v4, v10, v63
	v_fmac_f32_e32 v4, v11, v62
	v_fmac_f32_e32 v4, v12, v61
	v_fmac_f32_e32 v4, v13, v60
	;; [unrolled: 5-line block ×3, first 2 shown]
	ds_read_b128 v[6:9], v3 offset:192
	ds_read_b128 v[10:13], v3 offset:208
	s_waitcnt lgkmcnt(2)
	v_fmac_f32_e32 v4, v18, v55
	v_fmac_f32_e32 v4, v19, v54
	;; [unrolled: 1-line block ×4, first 2 shown]
	s_waitcnt lgkmcnt(1)
	v_fmac_f32_e32 v4, v6, v51
	v_fmac_f32_e32 v4, v7, v50
	;; [unrolled: 1-line block ×4, first 2 shown]
	ds_read_b128 v[6:9], v3 offset:224
	s_waitcnt lgkmcnt(1)
	v_fmac_f32_e32 v4, v10, v47
	v_fmac_f32_e32 v4, v11, v46
	;; [unrolled: 1-line block ×4, first 2 shown]
	ds_read_b128 v[10:13], v3 offset:240
	s_waitcnt lgkmcnt(1)
	v_fmac_f32_e32 v4, v6, v43
	v_fmac_f32_e32 v4, v7, v42
	;; [unrolled: 1-line block ×4, first 2 shown]
	s_waitcnt lgkmcnt(0)
	v_fmac_f32_e32 v4, v10, v39
	v_fmac_f32_e32 v4, v11, v38
	;; [unrolled: 1-line block ×4, first 2 shown]
.LBB86_15:
	s_movk_i32 s0, 0x1fc0
	s_movk_i32 s1, 0x100
	s_mov_b32 s8, 64
	s_branch .LBB86_17
.LBB86_16:                              ;   in Loop: Header=BB86_17 Depth=1
	s_addk_i32 s0, 0x1000
	s_addk_i32 s1, 0x100
	s_add_i32 s8, s8, 64
	s_cmpk_eq_u32 s0, 0xbfc0
	s_cbranch_scc1 .LBB86_19
.LBB86_17:                              ; =>This Inner Loop Header: Depth=1
	s_cmp_le_i32 s33, s8
	s_cbranch_scc1 .LBB86_16
; %bb.18:                               ;   in Loop: Header=BB86_17 Depth=1
	s_add_i32 s9, s0, 0xfffff040
	s_cmp_lt_i32 s9, s10
	s_cselect_b32 s12, s9, s11
	s_ashr_i32 s13, s12, 31
	s_add_i32 s9, s0, 0xfffff080
	s_cmp_lt_i32 s9, s10
	v_lshl_add_u64 v[12:13], s[12:13], 1, v[0:1]
	s_cselect_b32 s12, s9, s11
	s_ashr_i32 s13, s12, 31
	s_add_i32 s9, s0, 0xfffff0c0
	s_cmp_lt_i32 s9, s10
	v_lshl_add_u64 v[14:15], s[12:13], 1, v[0:1]
	;; [unrolled: 5-line block ×8, first 2 shown]
	s_cselect_b32 s12, s9, s11
	s_ashr_i32 s13, s12, 31
	s_add_i32 s9, s0, 0xfffff280
	s_cmp_lt_i32 s9, s10
	global_load_ushort v3, v[12:13], off
	global_load_ushort v5, v[14:15], off
	global_load_ushort v6, v[16:17], off
	global_load_ushort v7, v[18:19], off
	global_load_ushort v8, v[20:21], off
	global_load_ushort v9, v[22:23], off
	global_load_ushort v10, v[24:25], off
	global_load_ushort v11, v[26:27], off
	v_lshl_add_u64 v[12:13], s[12:13], 1, v[0:1]
	s_cselect_b32 s12, s9, s11
	s_ashr_i32 s13, s12, 31
	s_add_i32 s9, s0, 0xfffff2c0
	s_cmp_lt_i32 s9, s10
	v_lshl_add_u64 v[14:15], s[12:13], 1, v[0:1]
	s_cselect_b32 s12, s9, s11
	s_ashr_i32 s13, s12, 31
	s_add_i32 s9, s0, 0xfffff300
	s_cmp_lt_i32 s9, s10
	v_lshl_add_u64 v[16:17], s[12:13], 1, v[0:1]
	s_cselect_b32 s12, s9, s11
	s_ashr_i32 s13, s12, 31
	s_add_i32 s9, s0, 0xfffff340
	s_cmp_lt_i32 s9, s10
	v_lshl_add_u64 v[18:19], s[12:13], 1, v[0:1]
	s_cselect_b32 s12, s9, s11
	s_ashr_i32 s13, s12, 31
	s_add_i32 s9, s0, 0xfffff380
	s_cmp_lt_i32 s9, s10
	v_lshl_add_u64 v[20:21], s[12:13], 1, v[0:1]
	s_cselect_b32 s12, s9, s11
	s_ashr_i32 s13, s12, 31
	s_add_i32 s9, s0, 0xfffff3c0
	s_cmp_lt_i32 s9, s10
	v_lshl_add_u64 v[22:23], s[12:13], 1, v[0:1]
	s_cselect_b32 s12, s9, s11
	s_ashr_i32 s13, s12, 31
	s_add_i32 s9, s0, 0xfffff400
	s_cmp_lt_i32 s9, s10
	v_lshl_add_u64 v[24:25], s[12:13], 1, v[0:1]
	s_cselect_b32 s12, s9, s11
	s_ashr_i32 s13, s12, 31
	s_add_i32 s9, s0, 0xfffff440
	s_cmp_lt_i32 s9, s10
	v_lshl_add_u64 v[26:27], s[12:13], 1, v[0:1]
	s_cselect_b32 s12, s9, s11
	s_ashr_i32 s13, s12, 31
	s_add_i32 s9, s0, 0xfffff480
	s_cmp_lt_i32 s9, s10
	global_load_ushort v28, v[12:13], off
	global_load_ushort v29, v[14:15], off
	global_load_ushort v30, v[16:17], off
	global_load_ushort v31, v[18:19], off
	global_load_ushort v32, v[20:21], off
	global_load_ushort v33, v[22:23], off
	global_load_ushort v34, v[24:25], off
	global_load_ushort v35, v[26:27], off
	v_lshl_add_u64 v[12:13], s[12:13], 1, v[0:1]
	s_cselect_b32 s12, s9, s11
	s_ashr_i32 s13, s12, 31
	s_add_i32 s9, s0, 0xfffff4c0
	s_cmp_lt_i32 s9, s10
	v_lshl_add_u64 v[14:15], s[12:13], 1, v[0:1]
	s_cselect_b32 s12, s9, s11
	s_ashr_i32 s13, s12, 31
	s_add_i32 s9, s0, 0xfffff500
	s_cmp_lt_i32 s9, s10
	v_lshl_add_u64 v[16:17], s[12:13], 1, v[0:1]
	s_cselect_b32 s12, s9, s11
	s_ashr_i32 s13, s12, 31
	s_add_i32 s9, s0, 0xfffff540
	s_cmp_lt_i32 s9, s10
	v_lshl_add_u64 v[18:19], s[12:13], 1, v[0:1]
	s_cselect_b32 s12, s9, s11
	s_ashr_i32 s13, s12, 31
	s_add_i32 s9, s0, 0xfffff580
	s_cmp_lt_i32 s9, s10
	v_lshl_add_u64 v[20:21], s[12:13], 1, v[0:1]
	s_cselect_b32 s12, s9, s11
	s_ashr_i32 s13, s12, 31
	s_add_i32 s9, s0, 0xfffff5c0
	s_cmp_lt_i32 s9, s10
	v_lshl_add_u64 v[22:23], s[12:13], 1, v[0:1]
	s_cselect_b32 s12, s9, s11
	s_ashr_i32 s13, s12, 31
	s_add_i32 s9, s0, 0xfffff600
	s_cmp_lt_i32 s9, s10
	v_lshl_add_u64 v[24:25], s[12:13], 1, v[0:1]
	s_cselect_b32 s12, s9, s11
	s_ashr_i32 s13, s12, 31
	s_add_i32 s9, s0, 0xfffff640
	s_cmp_lt_i32 s9, s10
	v_lshl_add_u64 v[26:27], s[12:13], 1, v[0:1]
	;; [unrolled: 48-line block ×6, first 2 shown]
	s_cselect_b32 s12, s9, s11
	s_ashr_i32 s13, s12, 31
	s_add_i32 s9, s0, 0xfffffe80
	s_cmp_lt_i32 s9, s10
	global_load_ushort v68, v[12:13], off
	global_load_ushort v69, v[14:15], off
	global_load_ushort v70, v[16:17], off
	global_load_ushort v71, v[18:19], off
	global_load_ushort v72, v[20:21], off
	global_load_ushort v73, v[22:23], off
	global_load_ushort v74, v[24:25], off
	global_load_ushort v75, v[26:27], off
	v_lshl_add_u64 v[12:13], s[12:13], 1, v[0:1]
	s_cselect_b32 s12, s9, s11
	s_ashr_i32 s13, s12, 31
	s_add_i32 s9, s0, 0xfffffec0
	s_cmp_lt_i32 s9, s10
	v_lshl_add_u64 v[14:15], s[12:13], 1, v[0:1]
	s_cselect_b32 s12, s9, s11
	s_ashr_i32 s13, s12, 31
	s_add_i32 s9, s0, 0xffffff00
	s_cmp_lt_i32 s9, s10
	;; [unrolled: 5-line block ×4, first 2 shown]
	v_lshl_add_u64 v[20:21], s[12:13], 1, v[0:1]
	s_cselect_b32 s12, s9, s11
	s_ashr_i32 s13, s12, 31
	s_sub_i32 s9, s0, 64
	s_cmp_lt_i32 s9, s10
	v_lshl_add_u64 v[22:23], s[12:13], 1, v[0:1]
	s_cselect_b32 s12, s9, s11
	s_ashr_i32 s13, s12, 31
	s_cmp_lt_i32 s0, s10
	v_lshl_add_u64 v[24:25], s[12:13], 1, v[0:1]
	s_cselect_b32 s12, s0, s11
	s_ashr_i32 s13, s12, 31
	v_lshl_add_u64 v[26:27], s[12:13], 1, v[0:1]
	global_load_ushort v76, v[12:13], off
	global_load_ushort v77, v[14:15], off
	;; [unrolled: 1-line block ×8, first 2 shown]
	v_mov_b32_e32 v84, s1
	ds_read_b128 v[12:15], v84
	ds_read_b128 v[16:19], v84 offset:16
	ds_read_b128 v[20:23], v84 offset:32
	;; [unrolled: 1-line block ×3, first 2 shown]
	s_waitcnt vmcnt(62) lgkmcnt(3)
	v_fma_mix_f32 v3, v12, v3, v4 op_sel_hi:[0,1,0]
	v_fma_mix_f32 v3, v13, v5, v3 op_sel_hi:[0,1,0]
	s_waitcnt vmcnt(61)
	v_fma_mix_f32 v3, v14, v6, v3 op_sel_hi:[0,1,0]
	s_waitcnt vmcnt(60)
	v_fma_mix_f32 v3, v15, v7, v3 op_sel_hi:[0,1,0]
	s_waitcnt vmcnt(59) lgkmcnt(2)
	v_fma_mix_f32 v3, v16, v8, v3 op_sel_hi:[0,1,0]
	s_waitcnt vmcnt(58)
	v_fma_mix_f32 v3, v17, v9, v3 op_sel_hi:[0,1,0]
	s_waitcnt vmcnt(57)
	;; [unrolled: 2-line block ×3, first 2 shown]
	v_fma_mix_f32 v3, v19, v11, v3 op_sel_hi:[0,1,0]
	s_waitcnt vmcnt(55) lgkmcnt(1)
	v_fma_mix_f32 v3, v20, v28, v3 op_sel_hi:[0,1,0]
	s_waitcnt vmcnt(54)
	v_fma_mix_f32 v3, v21, v29, v3 op_sel_hi:[0,1,0]
	s_waitcnt vmcnt(53)
	;; [unrolled: 2-line block ×3, first 2 shown]
	v_fma_mix_f32 v3, v23, v31, v3 op_sel_hi:[0,1,0]
	ds_read_b128 v[4:7], v84 offset:64
	ds_read_b128 v[8:11], v84 offset:80
	s_waitcnt vmcnt(51) lgkmcnt(2)
	v_fma_mix_f32 v3, v24, v32, v3 op_sel_hi:[0,1,0]
	s_waitcnt vmcnt(50)
	v_fma_mix_f32 v3, v25, v33, v3 op_sel_hi:[0,1,0]
	s_waitcnt vmcnt(49)
	;; [unrolled: 2-line block ×3, first 2 shown]
	v_fma_mix_f32 v3, v27, v35, v3 op_sel_hi:[0,1,0]
	s_waitcnt vmcnt(47) lgkmcnt(1)
	v_fma_mix_f32 v3, v4, v36, v3 op_sel_hi:[0,1,0]
	s_waitcnt vmcnt(46)
	v_fma_mix_f32 v3, v5, v37, v3 op_sel_hi:[0,1,0]
	s_waitcnt vmcnt(45)
	v_fma_mix_f32 v3, v6, v38, v3 op_sel_hi:[0,1,0]
	s_waitcnt vmcnt(44)
	v_fma_mix_f32 v3, v7, v39, v3 op_sel_hi:[0,1,0]
	ds_read_b128 v[4:7], v84 offset:96
	s_waitcnt vmcnt(43) lgkmcnt(1)
	v_fma_mix_f32 v3, v8, v40, v3 op_sel_hi:[0,1,0]
	s_waitcnt vmcnt(42)
	v_fma_mix_f32 v3, v9, v41, v3 op_sel_hi:[0,1,0]
	s_waitcnt vmcnt(41)
	v_fma_mix_f32 v3, v10, v42, v3 op_sel_hi:[0,1,0]
	s_waitcnt vmcnt(40)
	v_fma_mix_f32 v3, v11, v43, v3 op_sel_hi:[0,1,0]
	ds_read_b128 v[8:11], v84 offset:112
	s_waitcnt vmcnt(39) lgkmcnt(1)
	v_fma_mix_f32 v3, v4, v44, v3 op_sel_hi:[0,1,0]
	s_waitcnt vmcnt(38)
	v_fma_mix_f32 v3, v5, v45, v3 op_sel_hi:[0,1,0]
	s_waitcnt vmcnt(37)
	v_fma_mix_f32 v3, v6, v46, v3 op_sel_hi:[0,1,0]
	s_waitcnt vmcnt(36)
	v_fma_mix_f32 v3, v7, v47, v3 op_sel_hi:[0,1,0]
	ds_read_b128 v[4:7], v84 offset:128
	s_waitcnt vmcnt(35) lgkmcnt(1)
	v_fma_mix_f32 v3, v8, v48, v3 op_sel_hi:[0,1,0]
	s_waitcnt vmcnt(34)
	v_fma_mix_f32 v3, v9, v49, v3 op_sel_hi:[0,1,0]
	s_waitcnt vmcnt(33)
	v_fma_mix_f32 v3, v10, v50, v3 op_sel_hi:[0,1,0]
	s_waitcnt vmcnt(32)
	v_fma_mix_f32 v3, v11, v51, v3 op_sel_hi:[0,1,0]
	ds_read_b128 v[8:11], v84 offset:144
	s_waitcnt vmcnt(31) lgkmcnt(1)
	v_fma_mix_f32 v3, v4, v52, v3 op_sel_hi:[0,1,0]
	s_waitcnt vmcnt(30)
	v_fma_mix_f32 v3, v5, v53, v3 op_sel_hi:[0,1,0]
	s_waitcnt vmcnt(29)
	v_fma_mix_f32 v3, v6, v54, v3 op_sel_hi:[0,1,0]
	s_waitcnt vmcnt(28)
	v_fma_mix_f32 v3, v7, v55, v3 op_sel_hi:[0,1,0]
	ds_read_b128 v[4:7], v84 offset:160
	s_waitcnt vmcnt(27) lgkmcnt(1)
	v_fma_mix_f32 v3, v8, v56, v3 op_sel_hi:[0,1,0]
	s_waitcnt vmcnt(26)
	v_fma_mix_f32 v3, v9, v57, v3 op_sel_hi:[0,1,0]
	s_waitcnt vmcnt(25)
	v_fma_mix_f32 v3, v10, v58, v3 op_sel_hi:[0,1,0]
	s_waitcnt vmcnt(24)
	v_fma_mix_f32 v3, v11, v59, v3 op_sel_hi:[0,1,0]
	ds_read_b128 v[8:11], v84 offset:176
	s_waitcnt vmcnt(23) lgkmcnt(1)
	v_fma_mix_f32 v3, v4, v60, v3 op_sel_hi:[0,1,0]
	s_waitcnt vmcnt(22)
	v_fma_mix_f32 v3, v5, v61, v3 op_sel_hi:[0,1,0]
	s_waitcnt vmcnt(21)
	v_fma_mix_f32 v3, v6, v62, v3 op_sel_hi:[0,1,0]
	s_waitcnt vmcnt(20)
	v_fma_mix_f32 v3, v7, v63, v3 op_sel_hi:[0,1,0]
	ds_read_b128 v[4:7], v84 offset:192
	s_waitcnt vmcnt(19) lgkmcnt(1)
	v_fma_mix_f32 v3, v8, v64, v3 op_sel_hi:[0,1,0]
	s_waitcnt vmcnt(18)
	v_fma_mix_f32 v3, v9, v65, v3 op_sel_hi:[0,1,0]
	s_waitcnt vmcnt(17)
	v_fma_mix_f32 v3, v10, v66, v3 op_sel_hi:[0,1,0]
	s_waitcnt vmcnt(16)
	v_fma_mix_f32 v3, v11, v67, v3 op_sel_hi:[0,1,0]
	ds_read_b128 v[8:11], v84 offset:208
	s_waitcnt vmcnt(15) lgkmcnt(1)
	v_fma_mix_f32 v3, v4, v68, v3 op_sel_hi:[0,1,0]
	s_waitcnt vmcnt(14)
	v_fma_mix_f32 v3, v5, v69, v3 op_sel_hi:[0,1,0]
	s_waitcnt vmcnt(13)
	v_fma_mix_f32 v3, v6, v70, v3 op_sel_hi:[0,1,0]
	s_waitcnt vmcnt(12)
	v_fma_mix_f32 v3, v7, v71, v3 op_sel_hi:[0,1,0]
	ds_read_b128 v[4:7], v84 offset:224
	s_waitcnt vmcnt(11) lgkmcnt(1)
	v_fma_mix_f32 v3, v8, v72, v3 op_sel_hi:[0,1,0]
	s_waitcnt vmcnt(10)
	v_fma_mix_f32 v3, v9, v73, v3 op_sel_hi:[0,1,0]
	s_waitcnt vmcnt(9)
	v_fma_mix_f32 v3, v10, v74, v3 op_sel_hi:[0,1,0]
	s_waitcnt vmcnt(8)
	v_fma_mix_f32 v3, v11, v75, v3 op_sel_hi:[0,1,0]
	ds_read_b128 v[8:11], v84 offset:240
	s_waitcnt vmcnt(7) lgkmcnt(1)
	v_fma_mix_f32 v3, v4, v76, v3 op_sel_hi:[0,1,0]
	s_waitcnt vmcnt(6)
	v_fma_mix_f32 v3, v5, v77, v3 op_sel_hi:[0,1,0]
	s_waitcnt vmcnt(5)
	;; [unrolled: 2-line block ×3, first 2 shown]
	v_fma_mix_f32 v3, v7, v79, v3 op_sel_hi:[0,1,0]
	s_waitcnt vmcnt(3) lgkmcnt(0)
	v_fma_mix_f32 v3, v8, v80, v3 op_sel_hi:[0,1,0]
	s_waitcnt vmcnt(2)
	v_fma_mix_f32 v3, v9, v81, v3 op_sel_hi:[0,1,0]
	s_waitcnt vmcnt(1)
	;; [unrolled: 2-line block ×3, first 2 shown]
	v_fma_mix_f32 v4, v11, v83, v3 op_sel_hi:[0,1,0]
	s_branch .LBB86_16
.LBB86_19:
	v_mov_b32_e32 v0, 0
	ds_read_b32 v1, v0 offset:2816
	s_cmp_lg_u64 s[6:7], 0
	s_cbranch_scc0 .LBB86_24
; %bb.20:
	s_load_dword s6, s[6:7], 0x0
	s_waitcnt lgkmcnt(0)
	v_div_scale_f32 v0, s[0:1], s6, s6, 1.0
	v_rcp_f32_e32 v3, v0
	v_div_scale_f32 v5, vcc, 1.0, s6, 1.0
	v_fma_f32 v6, -v0, v3, 1.0
	v_fmac_f32_e32 v3, v6, v3
	v_mul_f32_e32 v6, v5, v3
	v_fma_f32 v7, -v0, v6, v5
	v_fmac_f32_e32 v6, v7, v3
	v_fma_f32 v0, -v0, v6, v5
	v_div_fmas_f32 v0, v0, v3, v6
	v_div_fixup_f32 v0, v0, s6, 1.0
	s_andn2_b64 vcc, exec, s[40:41]
	s_cbranch_vccnz .LBB86_22
.LBB86_21:
	s_add_u32 s0, s34, s42
	s_addc_u32 s1, s35, s43
	s_load_dword s26, s[0:1], 0x0
	s_mov_b32 s27, 0
.LBB86_22:
	s_waitcnt lgkmcnt(0)
	v_add_f32_e32 v1, 0x358637bd, v1
	v_div_scale_f32 v3, s[0:1], v1, v1, 1.0
	v_rcp_f32_e32 v5, v3
	v_div_scale_f32 v6, vcc, 1.0, v1, 1.0
	s_mul_i32 s0, s3, s27
	v_fma_f32 v7, -v3, v5, 1.0
	v_fmac_f32_e32 v5, v7, v5
	v_mul_f32_e32 v7, v6, v5
	v_fma_f32 v8, -v3, v7, v6
	s_mul_hi_u32 s1, s3, s26
	v_fmac_f32_e32 v7, v8, v5
	s_add_i32 s1, s1, s0
	s_mul_i32 s0, s3, s26
	v_fma_f32 v3, -v3, v7, v6
	s_lshl_b64 s[0:1], s[0:1], 7
	v_div_fmas_f32 v3, v3, v5, v7
	s_add_u32 s4, s4, s0
	s_mov_b32 s3, 0
	v_div_fixup_f32 v1, v3, v1, 1.0
	s_addc_u32 s5, s5, s1
	s_lshl_b64 s[0:1], s[2:3], 7
	v_mul_f32_e32 v1, v4, v1
	s_add_u32 s0, s4, s0
	s_addc_u32 s1, s5, s1
	v_fma_mixlo_f16 v0, v1, v0, 0
	global_store_short v2, v0, s[0:1]
	s_endpgm
.LBB86_23:
	s_mov_b64 s[6:7], 0
	s_branch .LBB86_2
.LBB86_24:
	v_mov_b32_e32 v0, 1.0
	s_andn2_b64 vcc, exec, s[40:41]
	s_cbranch_vccz .LBB86_21
	s_branch .LBB86_22
	.section	.rodata,"a",@progbits
	.p2align	6, 0x0
	.amdhsa_kernel _Z35paged_attention_ll4mi_reduce_kernelIDF16_DF16_Li64ELi64ELi256ELi11EEvPT0_PKfS3_PKT_PKiS8_iS3_
		.amdhsa_group_segment_fixed_size 2820
		.amdhsa_private_segment_fixed_size 0
		.amdhsa_kernarg_size 320
		.amdhsa_user_sgpr_count 2
		.amdhsa_user_sgpr_dispatch_ptr 0
		.amdhsa_user_sgpr_queue_ptr 0
		.amdhsa_user_sgpr_kernarg_segment_ptr 1
		.amdhsa_user_sgpr_dispatch_id 0
		.amdhsa_user_sgpr_kernarg_preload_length 0
		.amdhsa_user_sgpr_kernarg_preload_offset 0
		.amdhsa_user_sgpr_private_segment_size 0
		.amdhsa_uses_dynamic_stack 0
		.amdhsa_enable_private_segment 0
		.amdhsa_system_sgpr_workgroup_id_x 1
		.amdhsa_system_sgpr_workgroup_id_y 1
		.amdhsa_system_sgpr_workgroup_id_z 0
		.amdhsa_system_sgpr_workgroup_info 0
		.amdhsa_system_vgpr_workitem_id 0
		.amdhsa_next_free_vgpr 92
		.amdhsa_next_free_sgpr 51
		.amdhsa_accum_offset 92
		.amdhsa_reserve_vcc 1
		.amdhsa_float_round_mode_32 0
		.amdhsa_float_round_mode_16_64 0
		.amdhsa_float_denorm_mode_32 3
		.amdhsa_float_denorm_mode_16_64 3
		.amdhsa_dx10_clamp 1
		.amdhsa_ieee_mode 1
		.amdhsa_fp16_overflow 0
		.amdhsa_tg_split 0
		.amdhsa_exception_fp_ieee_invalid_op 0
		.amdhsa_exception_fp_denorm_src 0
		.amdhsa_exception_fp_ieee_div_zero 0
		.amdhsa_exception_fp_ieee_overflow 0
		.amdhsa_exception_fp_ieee_underflow 0
		.amdhsa_exception_fp_ieee_inexact 0
		.amdhsa_exception_int_div_zero 0
	.end_amdhsa_kernel
	.section	.text._Z35paged_attention_ll4mi_reduce_kernelIDF16_DF16_Li64ELi64ELi256ELi11EEvPT0_PKfS3_PKT_PKiS8_iS3_,"axG",@progbits,_Z35paged_attention_ll4mi_reduce_kernelIDF16_DF16_Li64ELi64ELi256ELi11EEvPT0_PKfS3_PKT_PKiS8_iS3_,comdat
.Lfunc_end86:
	.size	_Z35paged_attention_ll4mi_reduce_kernelIDF16_DF16_Li64ELi64ELi256ELi11EEvPT0_PKfS3_PKT_PKiS8_iS3_, .Lfunc_end86-_Z35paged_attention_ll4mi_reduce_kernelIDF16_DF16_Li64ELi64ELi256ELi11EEvPT0_PKfS3_PKT_PKiS8_iS3_
                                        ; -- End function
	.section	.AMDGPU.csdata,"",@progbits
; Kernel info:
; codeLenInByte = 9720
; NumSgprs: 57
; NumVgprs: 92
; NumAgprs: 0
; TotalNumVgprs: 92
; ScratchSize: 0
; MemoryBound: 0
; FloatMode: 240
; IeeeMode: 1
; LDSByteSize: 2820 bytes/workgroup (compile time only)
; SGPRBlocks: 7
; VGPRBlocks: 11
; NumSGPRsForWavesPerEU: 57
; NumVGPRsForWavesPerEU: 92
; AccumOffset: 92
; Occupancy: 5
; WaveLimiterHint : 1
; COMPUTE_PGM_RSRC2:SCRATCH_EN: 0
; COMPUTE_PGM_RSRC2:USER_SGPR: 2
; COMPUTE_PGM_RSRC2:TRAP_HANDLER: 0
; COMPUTE_PGM_RSRC2:TGID_X_EN: 1
; COMPUTE_PGM_RSRC2:TGID_Y_EN: 1
; COMPUTE_PGM_RSRC2:TGID_Z_EN: 0
; COMPUTE_PGM_RSRC2:TIDIG_COMP_CNT: 0
; COMPUTE_PGM_RSRC3_GFX90A:ACCUM_OFFSET: 22
; COMPUTE_PGM_RSRC3_GFX90A:TG_SPLIT: 0
	.section	.text._Z35paged_attention_ll4mi_reduce_kernelIDF16_DF16_Li64ELi64ELi256ELi12EEvPT0_PKfS3_PKT_PKiS8_iS3_,"axG",@progbits,_Z35paged_attention_ll4mi_reduce_kernelIDF16_DF16_Li64ELi64ELi256ELi12EEvPT0_PKfS3_PKT_PKiS8_iS3_,comdat
	.protected	_Z35paged_attention_ll4mi_reduce_kernelIDF16_DF16_Li64ELi64ELi256ELi12EEvPT0_PKfS3_PKT_PKiS8_iS3_ ; -- Begin function _Z35paged_attention_ll4mi_reduce_kernelIDF16_DF16_Li64ELi64ELi256ELi12EEvPT0_PKfS3_PKT_PKiS8_iS3_
	.globl	_Z35paged_attention_ll4mi_reduce_kernelIDF16_DF16_Li64ELi64ELi256ELi12EEvPT0_PKfS3_PKT_PKiS8_iS3_
	.p2align	8
	.type	_Z35paged_attention_ll4mi_reduce_kernelIDF16_DF16_Li64ELi64ELi256ELi12EEvPT0_PKfS3_PKT_PKiS8_iS3_,@function
_Z35paged_attention_ll4mi_reduce_kernelIDF16_DF16_Li64ELi64ELi256ELi12EEvPT0_PKfS3_PKT_PKiS8_iS3_: ; @_Z35paged_attention_ll4mi_reduce_kernelIDF16_DF16_Li64ELi64ELi256ELi12EEvPT0_PKfS3_PKT_PKiS8_iS3_
; %bb.0:
	s_load_dwordx2 s[40:41], s[0:1], 0x28
	s_mov_b32 s34, s3
	s_mov_b64 s[4:5], 0
	s_waitcnt lgkmcnt(0)
	s_cmp_lg_u64 s[40:41], 0
	s_cselect_b64 s[42:43], -1, 0
	s_and_b64 vcc, exec, s[42:43]
	s_cbranch_vccz .LBB87_23
; %bb.1:
	s_add_i32 s6, s34, 1
	s_mov_b32 s7, 0
	s_lshl_b64 s[8:9], s[6:7], 2
	s_add_u32 s8, s40, s8
	s_mov_b32 s35, s7
	s_addc_u32 s9, s41, s9
	s_lshl_b64 s[6:7], s[34:35], 2
	s_add_u32 s6, s40, s6
	s_addc_u32 s7, s41, s7
	s_load_dword s3, s[8:9], 0x0
	s_load_dword s10, s[6:7], 0x0
	s_waitcnt lgkmcnt(0)
	s_sub_i32 s3, s3, s10
	s_cmp_eq_u32 s3, 1
	s_cselect_b64 s[6:7], -1, 0
	s_andn2_b64 vcc, exec, s[4:5]
	s_cbranch_vccnz .LBB87_3
.LBB87_2:
	s_mov_b32 s35, 0
	s_mov_b64 s[6:7], -1
.LBB87_3:
	s_andn2_b64 vcc, exec, s[6:7]
	s_cbranch_vccz .LBB87_5
; %bb.4:
	s_endpgm
.LBB87_5:
	s_load_dwordx4 s[28:31], s[0:1], 0x18
	s_load_dword s8, s[0:1], 0x30
	s_lshl_b64 s[44:45], s[34:35], 2
	v_cmp_lt_u32_e32 vcc, 63, v0
	s_waitcnt lgkmcnt(0)
	s_add_u32 s4, s30, s44
	s_addc_u32 s5, s31, s45
	s_load_dword s52, s[4:5], 0x0
	s_load_dword s3, s[0:1], 0x40
	s_mul_i32 s30, s2, s8
	s_mul_i32 s6, s34, s8
	s_waitcnt lgkmcnt(0)
	s_add_i32 s7, s52, 0xff
	s_ashr_i32 s4, s7, 31
	s_lshr_b32 s4, s4, 24
	s_add_i32 s7, s7, s4
	s_and_saveexec_b64 s[4:5], vcc
	s_xor_b64 s[4:5], exec, s[4:5]
	s_or_saveexec_b64 s[46:47], s[4:5]
	s_ashr_i32 s33, s7, 8
	v_mov_b32_e32 v1, s30
	s_mul_i32 s48, s6, s3
	s_xor_b64 exec, exec, s[46:47]
	s_cbranch_execz .LBB87_9
; %bb.6:
	s_add_i32 s4, s33, -1
	v_or_b32_e32 v3, 64, v0
	v_mov_b32_e32 v1, s4
	v_cmp_gt_u32_e64 s[22:23], s33, v3
	s_load_dwordx4 s[36:39], s[0:1], 0x8
	s_mov_b32 s49, 0
	v_cndmask_b32_e64 v4, v1, v3, s[22:23]
	v_or_b32_e32 v3, 0x80, v0
	v_cmp_gt_u32_e64 s[20:21], s33, v3
	s_lshl_b64 s[50:51], s[48:49], 2
	s_mov_b32 s31, s49
	v_cndmask_b32_e64 v6, v1, v3, s[20:21]
	v_or_b32_e32 v3, 0xc0, v0
	v_cmp_gt_u32_e64 s[18:19], s33, v3
	v_cmp_gt_u32_e64 s[24:25], s33, v0
	s_waitcnt lgkmcnt(0)
	s_add_u32 s26, s38, s50
	v_cndmask_b32_e64 v8, v1, v3, s[18:19]
	v_or_b32_e32 v3, 0x100, v0
	v_cmp_gt_u32_e64 s[16:17], s33, v3
	v_cndmask_b32_e64 v2, v1, v0, s[24:25]
	s_addc_u32 s27, s39, s51
	v_cndmask_b32_e64 v10, v1, v3, s[16:17]
	v_or_b32_e32 v3, 0x140, v0
	v_cmp_gt_u32_e64 s[14:15], s33, v3
	s_lshl_b64 s[38:39], s[30:31], 2
	s_add_u32 s26, s26, s38
	v_cndmask_b32_e64 v12, v1, v3, s[14:15]
	v_or_b32_e32 v3, 0x180, v0
	v_cmp_gt_u32_e64 s[12:13], s33, v3
	v_ashrrev_i32_e32 v11, 31, v10
	v_ashrrev_i32_e32 v13, 31, v12
	v_cndmask_b32_e64 v14, v1, v3, s[12:13]
	v_or_b32_e32 v3, 0x1c0, v0
	v_cmp_gt_u32_e64 s[10:11], s33, v3
	s_addc_u32 s27, s27, s39
	v_ashrrev_i32_e32 v5, 31, v4
	v_cndmask_b32_e64 v16, v1, v3, s[10:11]
	v_or_b32_e32 v3, 0x200, v0
	v_cmp_gt_u32_e64 s[8:9], s33, v3
	v_ashrrev_i32_e32 v7, 31, v6
	v_ashrrev_i32_e32 v9, 31, v8
	v_cndmask_b32_e64 v18, v1, v3, s[8:9]
	v_or_b32_e32 v3, 0x240, v0
	v_cmp_gt_u32_e64 s[6:7], s33, v3
	v_lshlrev_b64 v[10:11], 2, v[10:11]
	v_lshlrev_b64 v[12:13], 2, v[12:13]
	v_cndmask_b32_e64 v20, v1, v3, s[6:7]
	v_or_b32_e32 v3, 0x280, v0
	v_cmp_gt_u32_e64 s[4:5], s33, v3
	v_ashrrev_i32_e32 v15, 31, v14
	v_ashrrev_i32_e32 v17, 31, v16
	v_cndmask_b32_e64 v22, v1, v3, s[4:5]
	v_or_b32_e32 v3, 0x2c0, v0
	v_cmp_gt_u32_e32 vcc, s33, v3
	v_lshlrev_b64 v[4:5], 2, v[4:5]
	v_lshlrev_b64 v[6:7], 2, v[6:7]
	v_cndmask_b32_e32 v24, v1, v3, vcc
	v_ashrrev_i32_e32 v3, 31, v2
	v_lshlrev_b64 v[2:3], 2, v[2:3]
	v_lshl_add_u64 v[26:27], s[26:27], 0, v[2:3]
	v_lshlrev_b64 v[8:9], 2, v[8:9]
	v_lshl_add_u64 v[34:35], s[26:27], 0, v[10:11]
	v_lshl_add_u64 v[36:37], s[26:27], 0, v[12:13]
	v_lshlrev_b64 v[14:15], 2, v[14:15]
	v_lshlrev_b64 v[16:17], 2, v[16:17]
	v_ashrrev_i32_e32 v19, 31, v18
	v_ashrrev_i32_e32 v21, 31, v20
	v_lshl_add_u64 v[28:29], s[26:27], 0, v[4:5]
	v_lshl_add_u64 v[30:31], s[26:27], 0, v[6:7]
	;; [unrolled: 1-line block ×5, first 2 shown]
	global_load_dword v1, v[26:27], off
	global_load_dword v42, v[28:29], off
	;; [unrolled: 1-line block ×4, first 2 shown]
	s_nop 0
	global_load_dword v34, v[34:35], off
	s_nop 0
	global_load_dword v35, v[36:37], off
	;; [unrolled: 2-line block ×3, first 2 shown]
	global_load_dword v37, v[40:41], off
	v_lshlrev_b64 v[18:19], 2, v[18:19]
	v_lshlrev_b64 v[20:21], 2, v[20:21]
	v_ashrrev_i32_e32 v23, 31, v22
	v_ashrrev_i32_e32 v25, 31, v24
	v_lshl_add_u64 v[26:27], s[26:27], 0, v[18:19]
	v_lshl_add_u64 v[28:29], s[26:27], 0, v[20:21]
	v_lshlrev_b64 v[22:23], 2, v[22:23]
	v_lshlrev_b64 v[24:25], 2, v[24:25]
	v_lshl_add_u64 v[30:31], s[26:27], 0, v[22:23]
	v_lshl_add_u64 v[32:33], s[26:27], 0, v[24:25]
	global_load_dword v26, v[26:27], off
	s_nop 0
	global_load_dword v27, v[28:29], off
	s_nop 0
	global_load_dword v28, v[30:31], off
	global_load_dword v29, v[32:33], off
	s_mov_b32 s31, 0x3fb8aa3b
	s_waitcnt vmcnt(11)
	v_max_f32_e32 v31, v1, v1
	s_waitcnt vmcnt(10)
	v_max_f32_e32 v30, v42, v42
	v_max_f32_e32 v30, v31, v30
	v_mbcnt_lo_u32_b32 v31, -1, 0
	v_mbcnt_hi_u32_b32 v31, -1, v31
	s_waitcnt vmcnt(8)
	v_max3_f32 v30, v30, v43, v44
	v_and_b32_e32 v32, 64, v31
	s_waitcnt vmcnt(6)
	v_max3_f32 v30, v30, v34, v35
	v_add_u32_e32 v32, 64, v32
	v_xor_b32_e32 v33, 32, v31
	s_waitcnt vmcnt(4)
	v_max3_f32 v30, v30, v36, v37
	v_cmp_lt_i32_e64 s[26:27], v33, v32
	s_waitcnt vmcnt(2)
	v_max3_f32 v30, v30, v26, v27
	v_cndmask_b32_e64 v33, v31, v33, s[26:27]
	s_waitcnt vmcnt(0)
	v_max3_f32 v30, v30, v28, v29
	v_lshlrev_b32_e32 v33, 2, v33
	ds_bpermute_b32 v38, v33, v30
	s_waitcnt lgkmcnt(0)
	v_max_f32_e32 v38, v38, v38
	v_max_f32_e32 v30, v30, v38
	v_xor_b32_e32 v38, 16, v31
	v_cmp_lt_i32_e64 s[26:27], v38, v32
	s_nop 1
	v_cndmask_b32_e64 v38, v31, v38, s[26:27]
	v_lshlrev_b32_e32 v38, 2, v38
	ds_bpermute_b32 v39, v38, v30
	s_waitcnt lgkmcnt(0)
	v_max_f32_e32 v39, v39, v39
	v_max_f32_e32 v30, v30, v39
	v_xor_b32_e32 v39, 8, v31
	v_cmp_lt_i32_e64 s[26:27], v39, v32
	s_nop 1
	v_cndmask_b32_e64 v39, v31, v39, s[26:27]
	v_lshlrev_b32_e32 v39, 2, v39
	ds_bpermute_b32 v40, v39, v30
	s_add_u32 s26, s36, s50
	s_addc_u32 s27, s37, s51
	s_add_u32 s36, s26, s38
	s_addc_u32 s37, s27, s39
	s_waitcnt lgkmcnt(0)
	v_max_f32_e32 v40, v40, v40
	v_lshl_add_u64 v[2:3], s[36:37], 0, v[2:3]
	v_max_f32_e32 v30, v30, v40
	global_load_dword v40, v[2:3], off
	v_xor_b32_e32 v2, 4, v31
	v_cmp_lt_i32_e64 s[26:27], v2, v32
	s_nop 1
	v_cndmask_b32_e64 v2, v31, v2, s[26:27]
	v_lshlrev_b32_e32 v41, 2, v2
	ds_bpermute_b32 v2, v41, v30
	s_waitcnt lgkmcnt(0)
	v_max_f32_e32 v2, v2, v2
	v_max_f32_e32 v30, v30, v2
	v_xor_b32_e32 v2, 2, v31
	v_cmp_lt_i32_e64 s[26:27], v2, v32
	s_nop 1
	v_cndmask_b32_e64 v45, v31, v2, s[26:27]
	v_lshl_add_u64 v[2:3], s[36:37], 0, v[4:5]
	v_lshlrev_b32_e32 v45, 2, v45
	global_load_dword v46, v[2:3], off
	ds_bpermute_b32 v2, v45, v30
	v_lshl_add_u64 v[4:5], s[36:37], 0, v[8:9]
	v_lshl_add_u64 v[8:9], s[36:37], 0, v[14:15]
	s_waitcnt lgkmcnt(0)
	v_max_f32_e32 v2, v2, v2
	v_max_f32_e32 v30, v30, v2
	v_xor_b32_e32 v2, 1, v31
	v_cmp_lt_i32_e64 s[26:27], v2, v32
	s_nop 1
	v_cndmask_b32_e64 v2, v31, v2, s[26:27]
	v_lshlrev_b32_e32 v31, 2, v2
	v_lshl_add_u64 v[2:3], s[36:37], 0, v[6:7]
	global_load_dword v47, v[2:3], off
	v_lshl_add_u64 v[2:3], s[36:37], 0, v[10:11]
	v_lshl_add_u64 v[6:7], s[36:37], 0, v[12:13]
	;; [unrolled: 1-line block ×3, first 2 shown]
	global_load_dword v12, v[4:5], off
	global_load_dword v13, v[2:3], off
	;; [unrolled: 1-line block ×5, first 2 shown]
	ds_bpermute_b32 v32, v31, v30
	v_lshl_add_u64 v[2:3], s[36:37], 0, v[18:19]
	v_lshl_add_u64 v[4:5], s[36:37], 0, v[20:21]
	;; [unrolled: 1-line block ×4, first 2 shown]
	s_waitcnt lgkmcnt(0)
	v_max_f32_e32 v10, v32, v32
	v_max_f32_e32 v10, v30, v10
	v_sub_f32_e32 v1, v1, v10
	v_mul_f32_e32 v11, 0x3fb8aa3b, v1
	v_fma_f32 v17, v1, s31, -v11
	v_rndne_f32_e32 v18, v11
	v_fmac_f32_e32 v17, 0x32a5705f, v1
	v_sub_f32_e32 v11, v11, v18
	v_add_f32_e32 v11, v11, v17
	v_cvt_i32_f32_e32 v17, v18
	global_load_dword v18, v[2:3], off
	global_load_dword v19, v[4:5], off
	;; [unrolled: 1-line block ×4, first 2 shown]
	v_sub_f32_e32 v4, v42, v10
	v_mul_f32_e32 v5, 0x3fb8aa3b, v4
	v_fma_f32 v6, v4, s31, -v5
	v_rndne_f32_e32 v7, v5
	v_exp_f32_e32 v11, v11
	v_fmac_f32_e32 v6, 0x32a5705f, v4
	v_sub_f32_e32 v5, v5, v7
	v_add_f32_e32 v5, v5, v6
	v_exp_f32_e32 v5, v5
	v_cvt_i32_f32_e32 v6, v7
	s_mov_b32 s36, 0xc2ce8ed0
	v_ldexp_f32 v2, v11, v17
	v_cmp_ngt_f32_e64 s[26:27], s36, v1
	s_mov_b32 s37, 0x42b17218
	v_mov_b32_e32 v3, 0x7f800000
	v_cndmask_b32_e64 v2, 0, v2, s[26:27]
	v_cmp_nlt_f32_e64 s[26:27], s37, v1
	s_nop 1
	v_cndmask_b32_e64 v1, v3, v2, s[26:27]
	v_ldexp_f32 v2, v5, v6
	v_sub_f32_e32 v5, v43, v10
	v_mul_f32_e32 v6, 0x3fb8aa3b, v5
	v_fma_f32 v7, v5, s31, -v6
	v_rndne_f32_e32 v8, v6
	v_fmac_f32_e32 v7, 0x32a5705f, v5
	v_sub_f32_e32 v6, v6, v8
	v_add_f32_e32 v6, v6, v7
	v_exp_f32_e32 v6, v6
	v_cvt_i32_f32_e32 v7, v8
	v_cndmask_b32_e64 v1, 0, v1, s[24:25]
	v_cmp_ngt_f32_e64 s[24:25], s36, v4
	s_waitcnt vmcnt(11)
	v_mul_f32_e32 v1, v40, v1
	v_cndmask_b32_e64 v2, 0, v2, s[24:25]
	v_cmp_nlt_f32_e64 s[24:25], s37, v4
	v_ldexp_f32 v4, v6, v7
	v_sub_f32_e32 v6, v44, v10
	v_mul_f32_e32 v7, 0x3fb8aa3b, v6
	v_fma_f32 v8, v6, s31, -v7
	v_rndne_f32_e32 v9, v7
	v_fmac_f32_e32 v8, 0x32a5705f, v6
	v_sub_f32_e32 v7, v7, v9
	v_add_f32_e32 v7, v7, v8
	v_exp_f32_e32 v7, v7
	v_cvt_i32_f32_e32 v8, v9
	v_cndmask_b32_e64 v2, v3, v2, s[24:25]
	v_cndmask_b32_e64 v2, 0, v2, s[22:23]
	v_cmp_ngt_f32_e64 s[22:23], s36, v5
	s_waitcnt vmcnt(10)
	v_mul_f32_e32 v2, v46, v2
	v_cndmask_b32_e64 v4, 0, v4, s[22:23]
	v_cmp_nlt_f32_e64 s[22:23], s37, v5
	v_ldexp_f32 v5, v7, v8
	v_sub_f32_e32 v7, v34, v10
	v_mul_f32_e32 v8, 0x3fb8aa3b, v7
	v_fma_f32 v9, v7, s31, -v8
	v_rndne_f32_e32 v11, v8
	v_fmac_f32_e32 v9, 0x32a5705f, v7
	v_sub_f32_e32 v8, v8, v11
	v_add_f32_e32 v8, v8, v9
	v_exp_f32_e32 v8, v8
	v_cvt_i32_f32_e32 v9, v11
	v_cndmask_b32_e64 v4, v3, v4, s[22:23]
	v_cndmask_b32_e64 v4, 0, v4, s[20:21]
	v_cmp_ngt_f32_e64 s[20:21], s36, v6
	s_waitcnt vmcnt(9)
	v_mul_f32_e32 v4, v47, v4
	v_cndmask_b32_e64 v5, 0, v5, s[20:21]
	v_cmp_nlt_f32_e64 s[20:21], s37, v6
	v_ldexp_f32 v6, v8, v9
	v_sub_f32_e32 v8, v35, v10
	v_cndmask_b32_e64 v5, v3, v5, s[20:21]
	v_cndmask_b32_e64 v5, 0, v5, s[18:19]
	v_mul_f32_e32 v9, 0x3fb8aa3b, v8
	s_waitcnt vmcnt(8)
	v_mul_f32_e32 v5, v12, v5
	v_fma_f32 v11, v8, s31, -v9
	v_rndne_f32_e32 v12, v9
	v_fmac_f32_e32 v11, 0x32a5705f, v8
	v_sub_f32_e32 v9, v9, v12
	v_add_f32_e32 v9, v9, v11
	v_exp_f32_e32 v9, v9
	v_cvt_i32_f32_e32 v11, v12
	v_cmp_ngt_f32_e64 s[18:19], s36, v7
	s_nop 1
	v_cndmask_b32_e64 v6, 0, v6, s[18:19]
	v_cmp_nlt_f32_e64 s[18:19], s37, v7
	v_ldexp_f32 v7, v9, v11
	v_sub_f32_e32 v9, v36, v10
	v_cndmask_b32_e64 v6, v3, v6, s[18:19]
	v_cndmask_b32_e64 v6, 0, v6, s[16:17]
	v_mul_f32_e32 v11, 0x3fb8aa3b, v9
	s_waitcnt vmcnt(7)
	v_mul_f32_e32 v6, v13, v6
	v_fma_f32 v12, v9, s31, -v11
	v_rndne_f32_e32 v13, v11
	v_fmac_f32_e32 v12, 0x32a5705f, v9
	v_sub_f32_e32 v11, v11, v13
	v_add_f32_e32 v11, v11, v12
	v_exp_f32_e32 v11, v11
	v_cvt_i32_f32_e32 v12, v13
	v_cmp_ngt_f32_e64 s[16:17], s36, v8
	s_nop 1
	;; [unrolled: 18-line block ×5, first 2 shown]
	v_cndmask_b32_e64 v11, 0, v11, s[10:11]
	v_cmp_nlt_f32_e64 s[10:11], s37, v12
	v_ldexp_f32 v12, v14, v15
	v_sub_f32_e32 v14, v28, v10
	v_mul_f32_e32 v15, 0x3fb8aa3b, v14
	v_fma_f32 v16, v14, s31, -v15
	v_rndne_f32_e32 v17, v15
	v_fmac_f32_e32 v16, 0x32a5705f, v14
	v_sub_f32_e32 v15, v15, v17
	v_add_f32_e32 v15, v15, v16
	v_exp_f32_e32 v15, v15
	v_cvt_i32_f32_e32 v16, v17
	v_cndmask_b32_e64 v11, v3, v11, s[10:11]
	v_cndmask_b32_e64 v11, 0, v11, s[8:9]
	v_cmp_ngt_f32_e64 s[8:9], s36, v13
	v_sub_f32_e32 v10, v29, v10
	s_waitcnt vmcnt(3)
	v_mul_f32_e32 v11, v18, v11
	v_cndmask_b32_e64 v12, 0, v12, s[8:9]
	v_cmp_nlt_f32_e64 s[8:9], s37, v13
	v_ldexp_f32 v13, v15, v16
	v_mul_f32_e32 v15, 0x3fb8aa3b, v10
	v_fma_f32 v16, v10, s31, -v15
	v_rndne_f32_e32 v17, v15
	v_fmac_f32_e32 v16, 0x32a5705f, v10
	v_sub_f32_e32 v15, v15, v17
	v_add_f32_e32 v15, v15, v16
	v_cndmask_b32_e64 v12, v3, v12, s[8:9]
	v_exp_f32_e32 v15, v15
	v_cvt_i32_f32_e32 v16, v17
	v_cndmask_b32_e64 v12, 0, v12, s[6:7]
	v_cmp_ngt_f32_e64 s[6:7], s36, v14
	s_waitcnt vmcnt(2)
	v_mul_f32_e32 v12, v19, v12
	v_cndmask_b32_e64 v13, 0, v13, s[6:7]
	v_cmp_nlt_f32_e64 s[6:7], s37, v14
	v_ldexp_f32 v14, v15, v16
	v_lshlrev_b32_e32 v15, 2, v0
	v_cndmask_b32_e64 v13, v3, v13, s[6:7]
	v_cndmask_b32_e64 v13, 0, v13, s[4:5]
	v_cmp_ngt_f32_e64 s[4:5], s36, v10
	s_waitcnt vmcnt(1)
	v_mul_f32_e32 v13, v20, v13
	ds_write2st64_b32 v15, v1, v2 offset1:1
	ds_write2st64_b32 v15, v4, v5 offset0:2 offset1:3
	ds_write2st64_b32 v15, v6, v7 offset0:4 offset1:5
	v_cndmask_b32_e64 v14, 0, v14, s[4:5]
	v_cmp_nlt_f32_e64 s[4:5], s37, v10
	v_add_f32_e32 v10, v1, v2
	v_add_f32_e32 v10, v10, v4
	;; [unrolled: 1-line block ×8, first 2 shown]
	v_cndmask_b32_e64 v3, v3, v14, s[4:5]
	v_add_f32_e32 v10, v10, v12
	v_cndmask_b32_e32 v3, 0, v3, vcc
	v_add_f32_e32 v10, v10, v13
	s_waitcnt vmcnt(0)
	v_fmac_f32_e32 v10, v21, v3
	ds_bpermute_b32 v14, v33, v10
	v_cmp_eq_u32_e32 vcc, 0, v0
	v_mul_f32_e32 v3, v21, v3
	ds_write2st64_b32 v15, v8, v9 offset0:6 offset1:7
	ds_write2st64_b32 v15, v11, v12 offset0:8 offset1:9
	;; [unrolled: 1-line block ×3, first 2 shown]
	s_waitcnt lgkmcnt(3)
	v_add_f32_e32 v10, v10, v14
	ds_bpermute_b32 v14, v38, v10
	s_waitcnt lgkmcnt(0)
	v_add_f32_e32 v10, v10, v14
	ds_bpermute_b32 v14, v39, v10
	;; [unrolled: 3-line block ×5, first 2 shown]
	s_and_saveexec_b64 s[4:5], vcc
	s_cbranch_execz .LBB87_8
; %bb.7:
	s_waitcnt lgkmcnt(0)
	v_add_f32_e32 v1, v1, v2
	v_mov_b32_e32 v2, 0
	ds_write_b32 v2, v1 offset:3072
.LBB87_8:
	s_or_b64 exec, exec, s[4:5]
	v_mov_b32_e32 v1, s30
.LBB87_9:
	s_or_b64 exec, exec, s[46:47]
	s_lshl_b32 s4, s48, 6
	s_mov_b32 s5, 0
	s_lshl_b64 s[4:5], s[4:5], 1
	s_add_u32 s4, s28, s4
	s_addc_u32 s5, s29, s5
	s_lshl_b32 s10, s33, 6
	s_sub_i32 s11, s10, 64
	s_waitcnt lgkmcnt(0)
	v_lshlrev_b32_e32 v2, 6, v1
	v_mov_b32_e32 v3, 0
	s_cmp_lt_i32 s52, 1
	v_lshl_add_u64 v[4:5], v[2:3], 1, s[4:5]
	s_cselect_b32 s4, s11, 0
	v_lshlrev_b32_e32 v2, 1, v0
	s_ashr_i32 s5, s4, 31
	v_lshl_add_u64 v[0:1], v[4:5], 0, v[2:3]
	s_cmpk_lt_i32 s52, 0x101
	v_lshl_add_u64 v[12:13], s[4:5], 1, v[0:1]
	s_cselect_b32 s4, s11, 64
	s_ashr_i32 s5, s4, 31
	s_cmpk_lt_i32 s52, 0x201
	v_lshl_add_u64 v[14:15], s[4:5], 1, v[0:1]
	s_cselect_b32 s4, s11, 0x80
	s_ashr_i32 s5, s4, 31
	;; [unrolled: 4-line block ×8, first 2 shown]
	s_cmpk_lt_i32 s52, 0x901
	global_load_ushort v4, v[12:13], off
	global_load_ushort v5, v[14:15], off
	;; [unrolled: 1-line block ×8, first 2 shown]
	v_lshl_add_u64 v[20:21], s[4:5], 1, v[0:1]
	s_cselect_b32 s4, s11, 0x240
	s_ashr_i32 s5, s4, 31
	s_cmpk_lt_i32 s52, 0xa01
	v_lshl_add_u64 v[22:23], s[4:5], 1, v[0:1]
	s_cselect_b32 s4, s11, 0x280
	s_ashr_i32 s5, s4, 31
	s_cmpk_lt_i32 s52, 0xb01
	;; [unrolled: 4-line block ×6, first 2 shown]
	v_lshl_add_u64 v[32:33], s[4:5], 1, v[0:1]
	s_cselect_b32 s4, s11, 0x3c0
	s_ashr_i32 s5, s4, 31
	v_lshl_add_u64 v[34:35], s[4:5], 1, v[0:1]
	global_load_ushort v12, v[20:21], off
	global_load_ushort v13, v[22:23], off
	global_load_ushort v14, v[24:25], off
	global_load_ushort v15, v[26:27], off
	global_load_ushort v16, v[28:29], off
	global_load_ushort v17, v[30:31], off
	global_load_ushort v18, v[32:33], off
	global_load_ushort v19, v[34:35], off
	s_cmpk_gt_i32 s52, 0x1000
	s_cselect_b64 s[8:9], -1, 0
	s_cmpk_lt_i32 s52, 0x1001
	v_mov_b32_e32 v36, 0
	v_mov_b32_e32 v37, 0
	;; [unrolled: 1-line block ×48, first 2 shown]
	s_waitcnt lgkmcnt(0)
	; wave barrier
	s_cbranch_scc1 .LBB87_12
; %bb.10:
	s_cmpk_lt_u32 s52, 0x1101
	s_cselect_b32 s4, s11, 0x440
	s_ashr_i32 s5, s4, 31
	s_cmpk_lt_u32 s52, 0x1201
	v_lshl_add_u64 v[28:29], s[4:5], 1, v[0:1]
	s_cselect_b32 s4, s11, 0x480
	s_ashr_i32 s5, s4, 31
	s_cmpk_lt_u32 s52, 0x1301
	v_lshl_add_u64 v[30:31], s[4:5], 1, v[0:1]
	;; [unrolled: 4-line block ×7, first 2 shown]
	s_cselect_b32 s4, s11, 0x600
	s_ashr_i32 s5, s4, 31
	s_cmpk_lt_u32 s52, 0x1901
	global_load_ushort v27, v[0:1], off offset:2048
	global_load_ushort v26, v[28:29], off
	global_load_ushort v25, v[30:31], off
	;; [unrolled: 1-line block ×7, first 2 shown]
	v_lshl_add_u64 v[36:37], s[4:5], 1, v[0:1]
	s_cselect_b32 s4, s11, 0x640
	s_ashr_i32 s5, s4, 31
	s_cmpk_lt_u32 s52, 0x1a01
	v_lshl_add_u64 v[38:39], s[4:5], 1, v[0:1]
	s_cselect_b32 s4, s11, 0x680
	s_ashr_i32 s5, s4, 31
	s_cmpk_lt_u32 s52, 0x1b01
	;; [unrolled: 4-line block ×6, first 2 shown]
	v_lshl_add_u64 v[48:49], s[4:5], 1, v[0:1]
	s_cselect_b32 s4, s11, 0x7c0
	s_ashr_i32 s5, s4, 31
	v_lshl_add_u64 v[50:51], s[4:5], 1, v[0:1]
	global_load_ushort v35, v[36:37], off
	global_load_ushort v34, v[38:39], off
	;; [unrolled: 1-line block ×8, first 2 shown]
	s_cmpk_lt_u32 s52, 0x2001
	v_mov_b32_e32 v67, 0
	v_mov_b32_e32 v66, 0
	;; [unrolled: 1-line block ×32, first 2 shown]
	s_cbranch_scc1 .LBB87_12
; %bb.11:
	s_cmpk_lt_u32 s52, 0x2101
	s_cselect_b32 s4, s11, 0x840
	s_ashr_i32 s5, s4, 31
	s_cmpk_lt_u32 s52, 0x2201
	v_lshl_add_u64 v[38:39], s[4:5], 1, v[0:1]
	s_cselect_b32 s4, s11, 0x880
	s_ashr_i32 s5, s4, 31
	s_cmpk_lt_u32 s52, 0x2301
	v_lshl_add_u64 v[40:41], s[4:5], 1, v[0:1]
	;; [unrolled: 4-line block ×7, first 2 shown]
	s_cselect_b32 s4, s11, 0xa00
	v_add_co_u32_e32 v36, vcc, 0x1000, v0
	s_ashr_i32 s5, s4, 31
	s_nop 0
	v_addc_co_u32_e32 v37, vcc, 0, v1, vcc
	s_cmpk_lt_u32 s52, 0x2901
	global_load_ushort v52, v[36:37], off
	global_load_ushort v53, v[38:39], off
	;; [unrolled: 1-line block ×8, first 2 shown]
	v_lshl_add_u64 v[36:37], s[4:5], 1, v[0:1]
	s_cselect_b32 s4, s11, 0xa40
	s_ashr_i32 s5, s4, 31
	s_cmpk_lt_u32 s52, 0x2a01
	v_lshl_add_u64 v[38:39], s[4:5], 1, v[0:1]
	s_cselect_b32 s4, s11, 0xa80
	s_ashr_i32 s5, s4, 31
	s_cmpk_lt_u32 s52, 0x2b01
	;; [unrolled: 4-line block ×8, first 2 shown]
	global_load_ushort v68, v[36:37], off
	global_load_ushort v69, v[38:39], off
	;; [unrolled: 1-line block ×8, first 2 shown]
	v_lshl_add_u64 v[36:37], s[4:5], 1, v[0:1]
	s_cselect_b32 s4, s11, 0xc40
	s_ashr_i32 s5, s4, 31
	s_cmpk_lt_u32 s52, 0x3201
	v_lshl_add_u64 v[38:39], s[4:5], 1, v[0:1]
	s_cselect_b32 s4, s11, 0xc80
	s_ashr_i32 s5, s4, 31
	s_cmpk_lt_u32 s52, 0x3301
	;; [unrolled: 4-line block ×8, first 2 shown]
	global_load_ushort v76, v[36:37], off
	global_load_ushort v77, v[38:39], off
	;; [unrolled: 1-line block ×8, first 2 shown]
	v_lshl_add_u64 v[36:37], s[4:5], 1, v[0:1]
	s_cselect_b32 s4, s11, 0xe40
	s_ashr_i32 s5, s4, 31
	s_cmpk_lt_u32 s52, 0x3a01
	v_lshl_add_u64 v[38:39], s[4:5], 1, v[0:1]
	s_cselect_b32 s4, s11, 0xe80
	s_ashr_i32 s5, s4, 31
	s_cmpk_lt_u32 s52, 0x3b01
	;; [unrolled: 4-line block ×6, first 2 shown]
	v_lshl_add_u64 v[48:49], s[4:5], 1, v[0:1]
	s_cselect_b32 s4, s11, 0xfc0
	s_ashr_i32 s5, s4, 31
	v_lshl_add_u64 v[50:51], s[4:5], 1, v[0:1]
	global_load_ushort v84, v[36:37], off
	global_load_ushort v85, v[38:39], off
	;; [unrolled: 1-line block ×8, first 2 shown]
	s_waitcnt vmcnt(31)
	v_cvt_f32_f16_e32 v67, v52
	s_waitcnt vmcnt(30)
	v_cvt_f32_f16_e32 v66, v53
	;; [unrolled: 2-line block ×32, first 2 shown]
.LBB87_12:
	ds_read_b128 v[68:71], v3
	s_load_dwordx2 s[4:5], s[0:1], 0x0
	s_load_dwordx2 s[6:7], s[0:1], 0x38
	ds_read_b128 v[72:75], v3 offset:16
	ds_read_b128 v[76:79], v3 offset:32
	;; [unrolled: 1-line block ×3, first 2 shown]
	s_and_b64 vcc, exec, s[8:9]
	s_waitcnt vmcnt(15) lgkmcnt(0)
	v_fma_mix_f32 v4, v68, v4, 0 op_sel_hi:[0,1,0]
	s_waitcnt vmcnt(14)
	v_fma_mix_f32 v4, v69, v5, v4 op_sel_hi:[0,1,0]
	s_waitcnt vmcnt(13)
	;; [unrolled: 2-line block ×15, first 2 shown]
	v_fma_mix_f32 v4, v83, v19, v4 op_sel_hi:[0,1,0]
	s_cbranch_vccz .LBB87_15
; %bb.13:
	ds_read_b128 v[6:9], v3 offset:64
	ds_read_b128 v[10:13], v3 offset:80
	;; [unrolled: 1-line block ×4, first 2 shown]
	s_cmpk_lt_u32 s52, 0x2001
	s_waitcnt lgkmcnt(3)
	v_fma_mix_f32 v3, v6, v27, v4 op_sel_hi:[0,1,0]
	v_fma_mix_f32 v3, v7, v26, v3 op_sel_hi:[0,1,0]
	v_fma_mix_f32 v3, v8, v25, v3 op_sel_hi:[0,1,0]
	v_fma_mix_f32 v3, v9, v24, v3 op_sel_hi:[0,1,0]
	s_waitcnt lgkmcnt(2)
	v_fma_mix_f32 v3, v10, v23, v3 op_sel_hi:[0,1,0]
	v_fma_mix_f32 v3, v11, v22, v3 op_sel_hi:[0,1,0]
	v_fma_mix_f32 v3, v12, v21, v3 op_sel_hi:[0,1,0]
	v_fma_mix_f32 v3, v13, v20, v3 op_sel_hi:[0,1,0]
	;; [unrolled: 5-line block ×4, first 2 shown]
	s_cbranch_scc1 .LBB87_15
; %bb.14:
	v_mov_b32_e32 v3, 0
	ds_read_b128 v[6:9], v3 offset:128
	ds_read_b128 v[10:13], v3 offset:144
	;; [unrolled: 1-line block ×4, first 2 shown]
	s_waitcnt lgkmcnt(3)
	v_fmac_f32_e32 v4, v6, v67
	v_fmac_f32_e32 v4, v7, v66
	v_fmac_f32_e32 v4, v8, v65
	v_fmac_f32_e32 v4, v9, v64
	s_waitcnt lgkmcnt(2)
	v_fmac_f32_e32 v4, v10, v63
	v_fmac_f32_e32 v4, v11, v62
	v_fmac_f32_e32 v4, v12, v61
	v_fmac_f32_e32 v4, v13, v60
	;; [unrolled: 5-line block ×3, first 2 shown]
	ds_read_b128 v[6:9], v3 offset:192
	ds_read_b128 v[10:13], v3 offset:208
	s_waitcnt lgkmcnt(2)
	v_fmac_f32_e32 v4, v18, v55
	v_fmac_f32_e32 v4, v19, v54
	;; [unrolled: 1-line block ×4, first 2 shown]
	s_waitcnt lgkmcnt(1)
	v_fmac_f32_e32 v4, v6, v51
	v_fmac_f32_e32 v4, v7, v50
	v_fmac_f32_e32 v4, v8, v49
	v_fmac_f32_e32 v4, v9, v48
	ds_read_b128 v[6:9], v3 offset:224
	s_waitcnt lgkmcnt(1)
	v_fmac_f32_e32 v4, v10, v47
	v_fmac_f32_e32 v4, v11, v46
	v_fmac_f32_e32 v4, v12, v45
	v_fmac_f32_e32 v4, v13, v44
	ds_read_b128 v[10:13], v3 offset:240
	s_waitcnt lgkmcnt(1)
	v_fmac_f32_e32 v4, v6, v43
	v_fmac_f32_e32 v4, v7, v42
	v_fmac_f32_e32 v4, v8, v41
	v_fmac_f32_e32 v4, v9, v40
	s_waitcnt lgkmcnt(0)
	v_fmac_f32_e32 v4, v10, v39
	v_fmac_f32_e32 v4, v11, v38
	;; [unrolled: 1-line block ×4, first 2 shown]
.LBB87_15:
	s_movk_i32 s0, 0x1fc0
	s_movk_i32 s1, 0x100
	s_mov_b32 s8, 64
	s_branch .LBB87_17
.LBB87_16:                              ;   in Loop: Header=BB87_17 Depth=1
	s_addk_i32 s0, 0x1000
	s_addk_i32 s1, 0x100
	s_add_i32 s8, s8, 64
	s_cmpk_eq_u32 s0, 0xcfc0
	s_cbranch_scc1 .LBB87_19
.LBB87_17:                              ; =>This Inner Loop Header: Depth=1
	s_cmp_le_i32 s33, s8
	s_cbranch_scc1 .LBB87_16
; %bb.18:                               ;   in Loop: Header=BB87_17 Depth=1
	s_add_i32 s9, s0, 0xfffff040
	s_cmp_lt_i32 s9, s10
	s_cselect_b32 s12, s9, s11
	s_ashr_i32 s13, s12, 31
	s_add_i32 s9, s0, 0xfffff080
	s_cmp_lt_i32 s9, s10
	v_lshl_add_u64 v[12:13], s[12:13], 1, v[0:1]
	s_cselect_b32 s12, s9, s11
	s_ashr_i32 s13, s12, 31
	s_add_i32 s9, s0, 0xfffff0c0
	s_cmp_lt_i32 s9, s10
	v_lshl_add_u64 v[14:15], s[12:13], 1, v[0:1]
	;; [unrolled: 5-line block ×8, first 2 shown]
	s_cselect_b32 s12, s9, s11
	s_ashr_i32 s13, s12, 31
	s_add_i32 s9, s0, 0xfffff280
	s_cmp_lt_i32 s9, s10
	global_load_ushort v3, v[12:13], off
	global_load_ushort v5, v[14:15], off
	global_load_ushort v6, v[16:17], off
	global_load_ushort v7, v[18:19], off
	global_load_ushort v8, v[20:21], off
	global_load_ushort v9, v[22:23], off
	global_load_ushort v10, v[24:25], off
	global_load_ushort v11, v[26:27], off
	v_lshl_add_u64 v[12:13], s[12:13], 1, v[0:1]
	s_cselect_b32 s12, s9, s11
	s_ashr_i32 s13, s12, 31
	s_add_i32 s9, s0, 0xfffff2c0
	s_cmp_lt_i32 s9, s10
	v_lshl_add_u64 v[14:15], s[12:13], 1, v[0:1]
	s_cselect_b32 s12, s9, s11
	s_ashr_i32 s13, s12, 31
	s_add_i32 s9, s0, 0xfffff300
	s_cmp_lt_i32 s9, s10
	v_lshl_add_u64 v[16:17], s[12:13], 1, v[0:1]
	s_cselect_b32 s12, s9, s11
	s_ashr_i32 s13, s12, 31
	s_add_i32 s9, s0, 0xfffff340
	s_cmp_lt_i32 s9, s10
	v_lshl_add_u64 v[18:19], s[12:13], 1, v[0:1]
	s_cselect_b32 s12, s9, s11
	s_ashr_i32 s13, s12, 31
	s_add_i32 s9, s0, 0xfffff380
	s_cmp_lt_i32 s9, s10
	v_lshl_add_u64 v[20:21], s[12:13], 1, v[0:1]
	s_cselect_b32 s12, s9, s11
	s_ashr_i32 s13, s12, 31
	s_add_i32 s9, s0, 0xfffff3c0
	s_cmp_lt_i32 s9, s10
	v_lshl_add_u64 v[22:23], s[12:13], 1, v[0:1]
	s_cselect_b32 s12, s9, s11
	s_ashr_i32 s13, s12, 31
	s_add_i32 s9, s0, 0xfffff400
	s_cmp_lt_i32 s9, s10
	v_lshl_add_u64 v[24:25], s[12:13], 1, v[0:1]
	s_cselect_b32 s12, s9, s11
	s_ashr_i32 s13, s12, 31
	s_add_i32 s9, s0, 0xfffff440
	s_cmp_lt_i32 s9, s10
	v_lshl_add_u64 v[26:27], s[12:13], 1, v[0:1]
	s_cselect_b32 s12, s9, s11
	s_ashr_i32 s13, s12, 31
	s_add_i32 s9, s0, 0xfffff480
	s_cmp_lt_i32 s9, s10
	global_load_ushort v28, v[12:13], off
	global_load_ushort v29, v[14:15], off
	global_load_ushort v30, v[16:17], off
	global_load_ushort v31, v[18:19], off
	global_load_ushort v32, v[20:21], off
	global_load_ushort v33, v[22:23], off
	global_load_ushort v34, v[24:25], off
	global_load_ushort v35, v[26:27], off
	v_lshl_add_u64 v[12:13], s[12:13], 1, v[0:1]
	s_cselect_b32 s12, s9, s11
	s_ashr_i32 s13, s12, 31
	s_add_i32 s9, s0, 0xfffff4c0
	s_cmp_lt_i32 s9, s10
	v_lshl_add_u64 v[14:15], s[12:13], 1, v[0:1]
	s_cselect_b32 s12, s9, s11
	s_ashr_i32 s13, s12, 31
	s_add_i32 s9, s0, 0xfffff500
	s_cmp_lt_i32 s9, s10
	v_lshl_add_u64 v[16:17], s[12:13], 1, v[0:1]
	s_cselect_b32 s12, s9, s11
	s_ashr_i32 s13, s12, 31
	s_add_i32 s9, s0, 0xfffff540
	s_cmp_lt_i32 s9, s10
	v_lshl_add_u64 v[18:19], s[12:13], 1, v[0:1]
	s_cselect_b32 s12, s9, s11
	s_ashr_i32 s13, s12, 31
	s_add_i32 s9, s0, 0xfffff580
	s_cmp_lt_i32 s9, s10
	v_lshl_add_u64 v[20:21], s[12:13], 1, v[0:1]
	s_cselect_b32 s12, s9, s11
	s_ashr_i32 s13, s12, 31
	s_add_i32 s9, s0, 0xfffff5c0
	s_cmp_lt_i32 s9, s10
	v_lshl_add_u64 v[22:23], s[12:13], 1, v[0:1]
	s_cselect_b32 s12, s9, s11
	s_ashr_i32 s13, s12, 31
	s_add_i32 s9, s0, 0xfffff600
	s_cmp_lt_i32 s9, s10
	v_lshl_add_u64 v[24:25], s[12:13], 1, v[0:1]
	s_cselect_b32 s12, s9, s11
	s_ashr_i32 s13, s12, 31
	s_add_i32 s9, s0, 0xfffff640
	s_cmp_lt_i32 s9, s10
	v_lshl_add_u64 v[26:27], s[12:13], 1, v[0:1]
	;; [unrolled: 48-line block ×6, first 2 shown]
	s_cselect_b32 s12, s9, s11
	s_ashr_i32 s13, s12, 31
	s_add_i32 s9, s0, 0xfffffe80
	s_cmp_lt_i32 s9, s10
	global_load_ushort v68, v[12:13], off
	global_load_ushort v69, v[14:15], off
	;; [unrolled: 1-line block ×8, first 2 shown]
	v_lshl_add_u64 v[12:13], s[12:13], 1, v[0:1]
	s_cselect_b32 s12, s9, s11
	s_ashr_i32 s13, s12, 31
	s_add_i32 s9, s0, 0xfffffec0
	s_cmp_lt_i32 s9, s10
	v_lshl_add_u64 v[14:15], s[12:13], 1, v[0:1]
	s_cselect_b32 s12, s9, s11
	s_ashr_i32 s13, s12, 31
	s_add_i32 s9, s0, 0xffffff00
	s_cmp_lt_i32 s9, s10
	;; [unrolled: 5-line block ×4, first 2 shown]
	v_lshl_add_u64 v[20:21], s[12:13], 1, v[0:1]
	s_cselect_b32 s12, s9, s11
	s_ashr_i32 s13, s12, 31
	s_sub_i32 s9, s0, 64
	s_cmp_lt_i32 s9, s10
	v_lshl_add_u64 v[22:23], s[12:13], 1, v[0:1]
	s_cselect_b32 s12, s9, s11
	s_ashr_i32 s13, s12, 31
	s_cmp_lt_i32 s0, s10
	v_lshl_add_u64 v[24:25], s[12:13], 1, v[0:1]
	s_cselect_b32 s12, s0, s11
	s_ashr_i32 s13, s12, 31
	v_lshl_add_u64 v[26:27], s[12:13], 1, v[0:1]
	global_load_ushort v76, v[12:13], off
	global_load_ushort v77, v[14:15], off
	;; [unrolled: 1-line block ×8, first 2 shown]
	v_mov_b32_e32 v84, s1
	ds_read_b128 v[12:15], v84
	ds_read_b128 v[16:19], v84 offset:16
	ds_read_b128 v[20:23], v84 offset:32
	;; [unrolled: 1-line block ×3, first 2 shown]
	s_waitcnt vmcnt(62) lgkmcnt(3)
	v_fma_mix_f32 v3, v12, v3, v4 op_sel_hi:[0,1,0]
	v_fma_mix_f32 v3, v13, v5, v3 op_sel_hi:[0,1,0]
	s_waitcnt vmcnt(61)
	v_fma_mix_f32 v3, v14, v6, v3 op_sel_hi:[0,1,0]
	s_waitcnt vmcnt(60)
	v_fma_mix_f32 v3, v15, v7, v3 op_sel_hi:[0,1,0]
	s_waitcnt vmcnt(59) lgkmcnt(2)
	v_fma_mix_f32 v3, v16, v8, v3 op_sel_hi:[0,1,0]
	s_waitcnt vmcnt(58)
	v_fma_mix_f32 v3, v17, v9, v3 op_sel_hi:[0,1,0]
	s_waitcnt vmcnt(57)
	;; [unrolled: 2-line block ×3, first 2 shown]
	v_fma_mix_f32 v3, v19, v11, v3 op_sel_hi:[0,1,0]
	s_waitcnt vmcnt(55) lgkmcnt(1)
	v_fma_mix_f32 v3, v20, v28, v3 op_sel_hi:[0,1,0]
	s_waitcnt vmcnt(54)
	v_fma_mix_f32 v3, v21, v29, v3 op_sel_hi:[0,1,0]
	s_waitcnt vmcnt(53)
	;; [unrolled: 2-line block ×3, first 2 shown]
	v_fma_mix_f32 v3, v23, v31, v3 op_sel_hi:[0,1,0]
	ds_read_b128 v[4:7], v84 offset:64
	ds_read_b128 v[8:11], v84 offset:80
	s_waitcnt vmcnt(51) lgkmcnt(2)
	v_fma_mix_f32 v3, v24, v32, v3 op_sel_hi:[0,1,0]
	s_waitcnt vmcnt(50)
	v_fma_mix_f32 v3, v25, v33, v3 op_sel_hi:[0,1,0]
	s_waitcnt vmcnt(49)
	;; [unrolled: 2-line block ×3, first 2 shown]
	v_fma_mix_f32 v3, v27, v35, v3 op_sel_hi:[0,1,0]
	s_waitcnt vmcnt(47) lgkmcnt(1)
	v_fma_mix_f32 v3, v4, v36, v3 op_sel_hi:[0,1,0]
	s_waitcnt vmcnt(46)
	v_fma_mix_f32 v3, v5, v37, v3 op_sel_hi:[0,1,0]
	s_waitcnt vmcnt(45)
	v_fma_mix_f32 v3, v6, v38, v3 op_sel_hi:[0,1,0]
	s_waitcnt vmcnt(44)
	v_fma_mix_f32 v3, v7, v39, v3 op_sel_hi:[0,1,0]
	ds_read_b128 v[4:7], v84 offset:96
	s_waitcnt vmcnt(43) lgkmcnt(1)
	v_fma_mix_f32 v3, v8, v40, v3 op_sel_hi:[0,1,0]
	s_waitcnt vmcnt(42)
	v_fma_mix_f32 v3, v9, v41, v3 op_sel_hi:[0,1,0]
	s_waitcnt vmcnt(41)
	v_fma_mix_f32 v3, v10, v42, v3 op_sel_hi:[0,1,0]
	s_waitcnt vmcnt(40)
	v_fma_mix_f32 v3, v11, v43, v3 op_sel_hi:[0,1,0]
	ds_read_b128 v[8:11], v84 offset:112
	s_waitcnt vmcnt(39) lgkmcnt(1)
	v_fma_mix_f32 v3, v4, v44, v3 op_sel_hi:[0,1,0]
	s_waitcnt vmcnt(38)
	v_fma_mix_f32 v3, v5, v45, v3 op_sel_hi:[0,1,0]
	s_waitcnt vmcnt(37)
	v_fma_mix_f32 v3, v6, v46, v3 op_sel_hi:[0,1,0]
	s_waitcnt vmcnt(36)
	v_fma_mix_f32 v3, v7, v47, v3 op_sel_hi:[0,1,0]
	ds_read_b128 v[4:7], v84 offset:128
	s_waitcnt vmcnt(35) lgkmcnt(1)
	v_fma_mix_f32 v3, v8, v48, v3 op_sel_hi:[0,1,0]
	s_waitcnt vmcnt(34)
	v_fma_mix_f32 v3, v9, v49, v3 op_sel_hi:[0,1,0]
	s_waitcnt vmcnt(33)
	v_fma_mix_f32 v3, v10, v50, v3 op_sel_hi:[0,1,0]
	s_waitcnt vmcnt(32)
	v_fma_mix_f32 v3, v11, v51, v3 op_sel_hi:[0,1,0]
	ds_read_b128 v[8:11], v84 offset:144
	s_waitcnt vmcnt(31) lgkmcnt(1)
	v_fma_mix_f32 v3, v4, v52, v3 op_sel_hi:[0,1,0]
	s_waitcnt vmcnt(30)
	v_fma_mix_f32 v3, v5, v53, v3 op_sel_hi:[0,1,0]
	s_waitcnt vmcnt(29)
	v_fma_mix_f32 v3, v6, v54, v3 op_sel_hi:[0,1,0]
	s_waitcnt vmcnt(28)
	v_fma_mix_f32 v3, v7, v55, v3 op_sel_hi:[0,1,0]
	ds_read_b128 v[4:7], v84 offset:160
	s_waitcnt vmcnt(27) lgkmcnt(1)
	v_fma_mix_f32 v3, v8, v56, v3 op_sel_hi:[0,1,0]
	s_waitcnt vmcnt(26)
	v_fma_mix_f32 v3, v9, v57, v3 op_sel_hi:[0,1,0]
	s_waitcnt vmcnt(25)
	v_fma_mix_f32 v3, v10, v58, v3 op_sel_hi:[0,1,0]
	s_waitcnt vmcnt(24)
	v_fma_mix_f32 v3, v11, v59, v3 op_sel_hi:[0,1,0]
	ds_read_b128 v[8:11], v84 offset:176
	s_waitcnt vmcnt(23) lgkmcnt(1)
	v_fma_mix_f32 v3, v4, v60, v3 op_sel_hi:[0,1,0]
	s_waitcnt vmcnt(22)
	v_fma_mix_f32 v3, v5, v61, v3 op_sel_hi:[0,1,0]
	s_waitcnt vmcnt(21)
	v_fma_mix_f32 v3, v6, v62, v3 op_sel_hi:[0,1,0]
	s_waitcnt vmcnt(20)
	v_fma_mix_f32 v3, v7, v63, v3 op_sel_hi:[0,1,0]
	ds_read_b128 v[4:7], v84 offset:192
	s_waitcnt vmcnt(19) lgkmcnt(1)
	v_fma_mix_f32 v3, v8, v64, v3 op_sel_hi:[0,1,0]
	s_waitcnt vmcnt(18)
	v_fma_mix_f32 v3, v9, v65, v3 op_sel_hi:[0,1,0]
	s_waitcnt vmcnt(17)
	v_fma_mix_f32 v3, v10, v66, v3 op_sel_hi:[0,1,0]
	s_waitcnt vmcnt(16)
	v_fma_mix_f32 v3, v11, v67, v3 op_sel_hi:[0,1,0]
	ds_read_b128 v[8:11], v84 offset:208
	s_waitcnt vmcnt(15) lgkmcnt(1)
	v_fma_mix_f32 v3, v4, v68, v3 op_sel_hi:[0,1,0]
	s_waitcnt vmcnt(14)
	v_fma_mix_f32 v3, v5, v69, v3 op_sel_hi:[0,1,0]
	s_waitcnt vmcnt(13)
	v_fma_mix_f32 v3, v6, v70, v3 op_sel_hi:[0,1,0]
	s_waitcnt vmcnt(12)
	v_fma_mix_f32 v3, v7, v71, v3 op_sel_hi:[0,1,0]
	ds_read_b128 v[4:7], v84 offset:224
	s_waitcnt vmcnt(11) lgkmcnt(1)
	v_fma_mix_f32 v3, v8, v72, v3 op_sel_hi:[0,1,0]
	s_waitcnt vmcnt(10)
	v_fma_mix_f32 v3, v9, v73, v3 op_sel_hi:[0,1,0]
	s_waitcnt vmcnt(9)
	v_fma_mix_f32 v3, v10, v74, v3 op_sel_hi:[0,1,0]
	s_waitcnt vmcnt(8)
	v_fma_mix_f32 v3, v11, v75, v3 op_sel_hi:[0,1,0]
	ds_read_b128 v[8:11], v84 offset:240
	s_waitcnt vmcnt(7) lgkmcnt(1)
	v_fma_mix_f32 v3, v4, v76, v3 op_sel_hi:[0,1,0]
	s_waitcnt vmcnt(6)
	v_fma_mix_f32 v3, v5, v77, v3 op_sel_hi:[0,1,0]
	s_waitcnt vmcnt(5)
	;; [unrolled: 2-line block ×3, first 2 shown]
	v_fma_mix_f32 v3, v7, v79, v3 op_sel_hi:[0,1,0]
	s_waitcnt vmcnt(3) lgkmcnt(0)
	v_fma_mix_f32 v3, v8, v80, v3 op_sel_hi:[0,1,0]
	s_waitcnt vmcnt(2)
	v_fma_mix_f32 v3, v9, v81, v3 op_sel_hi:[0,1,0]
	s_waitcnt vmcnt(1)
	;; [unrolled: 2-line block ×3, first 2 shown]
	v_fma_mix_f32 v4, v11, v83, v3 op_sel_hi:[0,1,0]
	s_branch .LBB87_16
.LBB87_19:
	v_mov_b32_e32 v0, 0
	ds_read_b32 v1, v0 offset:3072
	s_cmp_lg_u64 s[6:7], 0
	s_cbranch_scc0 .LBB87_24
; %bb.20:
	s_load_dword s6, s[6:7], 0x0
	s_waitcnt lgkmcnt(0)
	v_div_scale_f32 v0, s[0:1], s6, s6, 1.0
	v_rcp_f32_e32 v3, v0
	v_div_scale_f32 v5, vcc, 1.0, s6, 1.0
	v_fma_f32 v6, -v0, v3, 1.0
	v_fmac_f32_e32 v3, v6, v3
	v_mul_f32_e32 v6, v5, v3
	v_fma_f32 v7, -v0, v6, v5
	v_fmac_f32_e32 v6, v7, v3
	v_fma_f32 v0, -v0, v6, v5
	v_div_fmas_f32 v0, v0, v3, v6
	v_div_fixup_f32 v0, v0, s6, 1.0
	s_andn2_b64 vcc, exec, s[42:43]
	s_cbranch_vccnz .LBB87_22
.LBB87_21:
	s_add_u32 s0, s40, s44
	s_addc_u32 s1, s41, s45
	s_load_dword s34, s[0:1], 0x0
	s_mov_b32 s35, 0
.LBB87_22:
	s_waitcnt lgkmcnt(0)
	v_add_f32_e32 v1, 0x358637bd, v1
	v_div_scale_f32 v3, s[0:1], v1, v1, 1.0
	v_rcp_f32_e32 v5, v3
	v_div_scale_f32 v6, vcc, 1.0, v1, 1.0
	s_mul_i32 s0, s3, s35
	v_fma_f32 v7, -v3, v5, 1.0
	v_fmac_f32_e32 v5, v7, v5
	v_mul_f32_e32 v7, v6, v5
	v_fma_f32 v8, -v3, v7, v6
	s_mul_hi_u32 s1, s3, s34
	v_fmac_f32_e32 v7, v8, v5
	s_add_i32 s1, s1, s0
	s_mul_i32 s0, s3, s34
	v_fma_f32 v3, -v3, v7, v6
	s_lshl_b64 s[0:1], s[0:1], 7
	v_div_fmas_f32 v3, v3, v5, v7
	s_add_u32 s4, s4, s0
	s_mov_b32 s3, 0
	v_div_fixup_f32 v1, v3, v1, 1.0
	s_addc_u32 s5, s5, s1
	s_lshl_b64 s[0:1], s[2:3], 7
	v_mul_f32_e32 v1, v4, v1
	s_add_u32 s0, s4, s0
	s_addc_u32 s1, s5, s1
	v_fma_mixlo_f16 v0, v1, v0, 0
	global_store_short v2, v0, s[0:1]
	s_endpgm
.LBB87_23:
	s_mov_b64 s[6:7], 0
	s_branch .LBB87_2
.LBB87_24:
	v_mov_b32_e32 v0, 1.0
	s_andn2_b64 vcc, exec, s[42:43]
	s_cbranch_vccz .LBB87_21
	s_branch .LBB87_22
	.section	.rodata,"a",@progbits
	.p2align	6, 0x0
	.amdhsa_kernel _Z35paged_attention_ll4mi_reduce_kernelIDF16_DF16_Li64ELi64ELi256ELi12EEvPT0_PKfS3_PKT_PKiS8_iS3_
		.amdhsa_group_segment_fixed_size 3076
		.amdhsa_private_segment_fixed_size 0
		.amdhsa_kernarg_size 320
		.amdhsa_user_sgpr_count 2
		.amdhsa_user_sgpr_dispatch_ptr 0
		.amdhsa_user_sgpr_queue_ptr 0
		.amdhsa_user_sgpr_kernarg_segment_ptr 1
		.amdhsa_user_sgpr_dispatch_id 0
		.amdhsa_user_sgpr_kernarg_preload_length 0
		.amdhsa_user_sgpr_kernarg_preload_offset 0
		.amdhsa_user_sgpr_private_segment_size 0
		.amdhsa_uses_dynamic_stack 0
		.amdhsa_enable_private_segment 0
		.amdhsa_system_sgpr_workgroup_id_x 1
		.amdhsa_system_sgpr_workgroup_id_y 1
		.amdhsa_system_sgpr_workgroup_id_z 0
		.amdhsa_system_sgpr_workgroup_info 0
		.amdhsa_system_vgpr_workitem_id 0
		.amdhsa_next_free_vgpr 92
		.amdhsa_next_free_sgpr 53
		.amdhsa_accum_offset 92
		.amdhsa_reserve_vcc 1
		.amdhsa_float_round_mode_32 0
		.amdhsa_float_round_mode_16_64 0
		.amdhsa_float_denorm_mode_32 3
		.amdhsa_float_denorm_mode_16_64 3
		.amdhsa_dx10_clamp 1
		.amdhsa_ieee_mode 1
		.amdhsa_fp16_overflow 0
		.amdhsa_tg_split 0
		.amdhsa_exception_fp_ieee_invalid_op 0
		.amdhsa_exception_fp_denorm_src 0
		.amdhsa_exception_fp_ieee_div_zero 0
		.amdhsa_exception_fp_ieee_overflow 0
		.amdhsa_exception_fp_ieee_underflow 0
		.amdhsa_exception_fp_ieee_inexact 0
		.amdhsa_exception_int_div_zero 0
	.end_amdhsa_kernel
	.section	.text._Z35paged_attention_ll4mi_reduce_kernelIDF16_DF16_Li64ELi64ELi256ELi12EEvPT0_PKfS3_PKT_PKiS8_iS3_,"axG",@progbits,_Z35paged_attention_ll4mi_reduce_kernelIDF16_DF16_Li64ELi64ELi256ELi12EEvPT0_PKfS3_PKT_PKiS8_iS3_,comdat
.Lfunc_end87:
	.size	_Z35paged_attention_ll4mi_reduce_kernelIDF16_DF16_Li64ELi64ELi256ELi12EEvPT0_PKfS3_PKT_PKiS8_iS3_, .Lfunc_end87-_Z35paged_attention_ll4mi_reduce_kernelIDF16_DF16_Li64ELi64ELi256ELi12EEvPT0_PKfS3_PKT_PKiS8_iS3_
                                        ; -- End function
	.section	.AMDGPU.csdata,"",@progbits
; Kernel info:
; codeLenInByte = 9924
; NumSgprs: 59
; NumVgprs: 92
; NumAgprs: 0
; TotalNumVgprs: 92
; ScratchSize: 0
; MemoryBound: 0
; FloatMode: 240
; IeeeMode: 1
; LDSByteSize: 3076 bytes/workgroup (compile time only)
; SGPRBlocks: 7
; VGPRBlocks: 11
; NumSGPRsForWavesPerEU: 59
; NumVGPRsForWavesPerEU: 92
; AccumOffset: 92
; Occupancy: 5
; WaveLimiterHint : 1
; COMPUTE_PGM_RSRC2:SCRATCH_EN: 0
; COMPUTE_PGM_RSRC2:USER_SGPR: 2
; COMPUTE_PGM_RSRC2:TRAP_HANDLER: 0
; COMPUTE_PGM_RSRC2:TGID_X_EN: 1
; COMPUTE_PGM_RSRC2:TGID_Y_EN: 1
; COMPUTE_PGM_RSRC2:TGID_Z_EN: 0
; COMPUTE_PGM_RSRC2:TIDIG_COMP_CNT: 0
; COMPUTE_PGM_RSRC3_GFX90A:ACCUM_OFFSET: 22
; COMPUTE_PGM_RSRC3_GFX90A:TG_SPLIT: 0
	.section	.text._Z35paged_attention_ll4mi_reduce_kernelIDF16_DF16_Li64ELi64ELi256ELi13EEvPT0_PKfS3_PKT_PKiS8_iS3_,"axG",@progbits,_Z35paged_attention_ll4mi_reduce_kernelIDF16_DF16_Li64ELi64ELi256ELi13EEvPT0_PKfS3_PKT_PKiS8_iS3_,comdat
	.protected	_Z35paged_attention_ll4mi_reduce_kernelIDF16_DF16_Li64ELi64ELi256ELi13EEvPT0_PKfS3_PKT_PKiS8_iS3_ ; -- Begin function _Z35paged_attention_ll4mi_reduce_kernelIDF16_DF16_Li64ELi64ELi256ELi13EEvPT0_PKfS3_PKT_PKiS8_iS3_
	.globl	_Z35paged_attention_ll4mi_reduce_kernelIDF16_DF16_Li64ELi64ELi256ELi13EEvPT0_PKfS3_PKT_PKiS8_iS3_
	.p2align	8
	.type	_Z35paged_attention_ll4mi_reduce_kernelIDF16_DF16_Li64ELi64ELi256ELi13EEvPT0_PKfS3_PKT_PKiS8_iS3_,@function
_Z35paged_attention_ll4mi_reduce_kernelIDF16_DF16_Li64ELi64ELi256ELi13EEvPT0_PKfS3_PKT_PKiS8_iS3_: ; @_Z35paged_attention_ll4mi_reduce_kernelIDF16_DF16_Li64ELi64ELi256ELi13EEvPT0_PKfS3_PKT_PKiS8_iS3_
; %bb.0:
	s_load_dwordx2 s[34:35], s[0:1], 0x28
	s_mov_b32 s30, s3
	s_mov_b64 s[4:5], 0
	s_waitcnt lgkmcnt(0)
	s_cmp_lg_u64 s[34:35], 0
	s_cselect_b64 s[44:45], -1, 0
	s_and_b64 vcc, exec, s[44:45]
	s_cbranch_vccz .LBB88_23
; %bb.1:
	s_add_i32 s6, s30, 1
	s_mov_b32 s7, 0
	s_lshl_b64 s[8:9], s[6:7], 2
	s_add_u32 s8, s34, s8
	s_mov_b32 s31, s7
	s_addc_u32 s9, s35, s9
	s_lshl_b64 s[6:7], s[30:31], 2
	s_add_u32 s6, s34, s6
	s_addc_u32 s7, s35, s7
	s_load_dword s3, s[8:9], 0x0
	s_load_dword s10, s[6:7], 0x0
	s_waitcnt lgkmcnt(0)
	s_sub_i32 s3, s3, s10
	s_cmp_eq_u32 s3, 1
	s_cselect_b64 s[6:7], -1, 0
	s_andn2_b64 vcc, exec, s[4:5]
	s_cbranch_vccnz .LBB88_3
.LBB88_2:
	s_mov_b32 s31, 0
	s_mov_b64 s[6:7], -1
.LBB88_3:
	s_andn2_b64 vcc, exec, s[6:7]
	s_cbranch_vccz .LBB88_5
; %bb.4:
	s_endpgm
.LBB88_5:
	s_load_dwordx4 s[36:39], s[0:1], 0x18
	s_load_dword s8, s[0:1], 0x30
	s_lshl_b64 s[46:47], s[30:31], 2
	v_cmp_lt_u32_e32 vcc, 63, v0
	s_waitcnt lgkmcnt(0)
	s_add_u32 s4, s38, s46
	s_addc_u32 s5, s39, s47
	s_load_dword s54, s[4:5], 0x0
	s_load_dword s3, s[0:1], 0x40
	s_mul_i32 s38, s2, s8
	s_mul_i32 s6, s30, s8
	s_waitcnt lgkmcnt(0)
	s_add_i32 s7, s54, 0xff
	s_ashr_i32 s4, s7, 31
	s_lshr_b32 s4, s4, 24
	s_add_i32 s7, s7, s4
	s_and_saveexec_b64 s[4:5], vcc
	s_xor_b64 s[4:5], exec, s[4:5]
	s_or_saveexec_b64 s[48:49], s[4:5]
	s_ashr_i32 s33, s7, 8
	v_mov_b32_e32 v1, s38
	s_mul_i32 s50, s6, s3
	s_xor_b64 exec, exec, s[48:49]
	s_cbranch_execz .LBB88_9
; %bb.6:
	s_add_i32 s4, s33, -1
	v_or_b32_e32 v3, 64, v0
	v_mov_b32_e32 v1, s4
	v_cmp_gt_u32_e64 s[24:25], s33, v3
	s_load_dwordx4 s[40:43], s[0:1], 0x8
	s_mov_b32 s51, 0
	v_cndmask_b32_e64 v4, v1, v3, s[24:25]
	v_or_b32_e32 v3, 0x80, v0
	v_cmp_gt_u32_e64 s[22:23], s33, v3
	s_lshl_b64 s[52:53], s[50:51], 2
	s_mov_b32 s39, s51
	v_cndmask_b32_e64 v6, v1, v3, s[22:23]
	v_or_b32_e32 v3, 0xc0, v0
	v_cmp_gt_u32_e64 s[20:21], s33, v3
	v_cmp_gt_u32_e64 s[26:27], s33, v0
	s_waitcnt lgkmcnt(0)
	s_add_u32 s28, s42, s52
	v_cndmask_b32_e64 v8, v1, v3, s[20:21]
	v_or_b32_e32 v3, 0x100, v0
	v_cmp_gt_u32_e64 s[18:19], s33, v3
	v_cndmask_b32_e64 v2, v1, v0, s[26:27]
	s_addc_u32 s29, s43, s53
	v_cndmask_b32_e64 v10, v1, v3, s[18:19]
	v_or_b32_e32 v3, 0x140, v0
	v_cmp_gt_u32_e64 s[16:17], s33, v3
	s_lshl_b64 s[42:43], s[38:39], 2
	s_add_u32 s28, s28, s42
	v_cndmask_b32_e64 v12, v1, v3, s[16:17]
	v_or_b32_e32 v3, 0x180, v0
	v_cmp_gt_u32_e64 s[14:15], s33, v3
	v_ashrrev_i32_e32 v13, 31, v12
	s_addc_u32 s29, s29, s43
	v_cndmask_b32_e64 v14, v1, v3, s[14:15]
	v_or_b32_e32 v3, 0x1c0, v0
	v_cmp_gt_u32_e64 s[12:13], s33, v3
	v_ashrrev_i32_e32 v15, 31, v14
	v_ashrrev_i32_e32 v5, 31, v4
	v_cndmask_b32_e64 v16, v1, v3, s[12:13]
	v_or_b32_e32 v3, 0x200, v0
	v_cmp_gt_u32_e64 s[10:11], s33, v3
	v_ashrrev_i32_e32 v7, 31, v6
	v_ashrrev_i32_e32 v9, 31, v8
	v_cndmask_b32_e64 v18, v1, v3, s[10:11]
	v_or_b32_e32 v3, 0x240, v0
	v_cmp_gt_u32_e64 s[8:9], s33, v3
	v_ashrrev_i32_e32 v11, 31, v10
	v_lshlrev_b64 v[12:13], 2, v[12:13]
	v_cndmask_b32_e64 v20, v1, v3, s[8:9]
	v_or_b32_e32 v3, 0x280, v0
	v_cmp_gt_u32_e64 s[6:7], s33, v3
	v_lshlrev_b64 v[14:15], 2, v[14:15]
	v_ashrrev_i32_e32 v17, 31, v16
	v_cndmask_b32_e64 v22, v1, v3, s[6:7]
	v_or_b32_e32 v3, 0x2c0, v0
	v_cmp_gt_u32_e64 s[4:5], s33, v3
	v_lshlrev_b64 v[4:5], 2, v[4:5]
	v_lshlrev_b64 v[6:7], 2, v[6:7]
	v_cndmask_b32_e64 v24, v1, v3, s[4:5]
	v_or_b32_e32 v3, 0x300, v0
	v_cmp_gt_u32_e32 vcc, s33, v3
	v_lshlrev_b64 v[8:9], 2, v[8:9]
	v_lshlrev_b64 v[10:11], 2, v[10:11]
	v_cndmask_b32_e32 v26, v1, v3, vcc
	v_ashrrev_i32_e32 v3, 31, v2
	v_lshlrev_b64 v[2:3], 2, v[2:3]
	v_lshl_add_u64 v[28:29], s[28:29], 0, v[2:3]
	v_lshl_add_u64 v[38:39], s[28:29], 0, v[12:13]
	;; [unrolled: 1-line block ×3, first 2 shown]
	v_lshlrev_b64 v[16:17], 2, v[16:17]
	v_ashrrev_i32_e32 v19, 31, v18
	v_ashrrev_i32_e32 v21, 31, v20
	;; [unrolled: 1-line block ×3, first 2 shown]
	v_lshl_add_u64 v[30:31], s[28:29], 0, v[4:5]
	v_lshl_add_u64 v[32:33], s[28:29], 0, v[6:7]
	;; [unrolled: 1-line block ×5, first 2 shown]
	global_load_dword v1, v[28:29], off
	global_load_dword v44, v[30:31], off
	;; [unrolled: 1-line block ×5, first 2 shown]
	s_nop 0
	global_load_dword v38, v[38:39], off
	s_nop 0
	global_load_dword v39, v[40:41], off
	s_nop 0
	global_load_dword v40, v[42:43], off
	v_lshlrev_b64 v[18:19], 2, v[18:19]
	v_lshlrev_b64 v[20:21], 2, v[20:21]
	;; [unrolled: 1-line block ×3, first 2 shown]
	v_ashrrev_i32_e32 v25, 31, v24
	v_ashrrev_i32_e32 v27, 31, v26
	v_lshl_add_u64 v[28:29], s[28:29], 0, v[18:19]
	v_lshl_add_u64 v[30:31], s[28:29], 0, v[20:21]
	;; [unrolled: 1-line block ×3, first 2 shown]
	v_lshlrev_b64 v[24:25], 2, v[24:25]
	v_lshlrev_b64 v[26:27], 2, v[26:27]
	v_lshl_add_u64 v[34:35], s[28:29], 0, v[24:25]
	v_lshl_add_u64 v[36:37], s[28:29], 0, v[26:27]
	global_load_dword v28, v[28:29], off
	s_nop 0
	global_load_dword v29, v[30:31], off
	s_nop 0
	global_load_dword v30, v[32:33], off
	global_load_dword v31, v[34:35], off
	s_nop 0
	global_load_dword v32, v[36:37], off
	v_mbcnt_lo_u32_b32 v34, -1, 0
	v_mbcnt_hi_u32_b32 v34, -1, v34
	v_and_b32_e32 v35, 64, v34
	v_add_u32_e32 v35, 64, v35
	v_xor_b32_e32 v36, 32, v34
	v_cmp_lt_i32_e64 s[28:29], v36, v35
	s_mov_b32 s39, 0x3fb8aa3b
	s_waitcnt vmcnt(10)
	v_max3_f32 v33, v1, v44, v45
	v_cndmask_b32_e64 v36, v34, v36, s[28:29]
	s_waitcnt vmcnt(8)
	v_max3_f32 v33, v33, v46, v47
	v_lshlrev_b32_e32 v36, 2, v36
	s_waitcnt vmcnt(6)
	v_max3_f32 v33, v33, v38, v39
	s_waitcnt vmcnt(4)
	v_max3_f32 v33, v33, v40, v28
	;; [unrolled: 2-line block ×4, first 2 shown]
	ds_bpermute_b32 v37, v36, v33
	s_waitcnt lgkmcnt(0)
	v_max_f32_e32 v37, v37, v37
	v_max_f32_e32 v33, v33, v37
	v_xor_b32_e32 v37, 16, v34
	v_cmp_lt_i32_e64 s[28:29], v37, v35
	s_nop 1
	v_cndmask_b32_e64 v37, v34, v37, s[28:29]
	v_lshlrev_b32_e32 v37, 2, v37
	ds_bpermute_b32 v41, v37, v33
	s_waitcnt lgkmcnt(0)
	v_max_f32_e32 v41, v41, v41
	v_max_f32_e32 v33, v33, v41
	v_xor_b32_e32 v41, 8, v34
	v_cmp_lt_i32_e64 s[28:29], v41, v35
	s_nop 1
	v_cndmask_b32_e64 v41, v34, v41, s[28:29]
	v_lshlrev_b32_e32 v41, 2, v41
	ds_bpermute_b32 v42, v41, v33
	s_add_u32 s28, s40, s52
	s_addc_u32 s29, s41, s53
	s_add_u32 s40, s28, s42
	s_addc_u32 s41, s29, s43
	s_waitcnt lgkmcnt(0)
	v_max_f32_e32 v42, v42, v42
	v_max_f32_e32 v33, v33, v42
	v_xor_b32_e32 v42, 4, v34
	v_lshl_add_u64 v[2:3], s[40:41], 0, v[2:3]
	v_cmp_lt_i32_e64 s[28:29], v42, v35
	global_load_dword v43, v[2:3], off
	s_nop 0
	v_cndmask_b32_e64 v2, v34, v42, s[28:29]
	v_lshlrev_b32_e32 v42, 2, v2
	ds_bpermute_b32 v2, v42, v33
	s_waitcnt lgkmcnt(0)
	v_max_f32_e32 v2, v2, v2
	v_max_f32_e32 v33, v33, v2
	v_xor_b32_e32 v2, 2, v34
	v_cmp_lt_i32_e64 s[28:29], v2, v35
	s_nop 1
	v_cndmask_b32_e64 v2, v34, v2, s[28:29]
	v_lshlrev_b32_e32 v48, 2, v2
	ds_bpermute_b32 v49, v48, v33
	v_lshl_add_u64 v[2:3], s[40:41], 0, v[4:5]
	global_load_dword v50, v[2:3], off
	v_lshl_add_u64 v[4:5], s[40:41], 0, v[8:9]
	v_lshl_add_u64 v[8:9], s[40:41], 0, v[12:13]
	s_waitcnt lgkmcnt(0)
	v_max_f32_e32 v2, v49, v49
	v_max_f32_e32 v33, v33, v2
	v_xor_b32_e32 v2, 1, v34
	v_cmp_lt_i32_e64 s[28:29], v2, v35
	s_nop 1
	v_cndmask_b32_e64 v2, v34, v2, s[28:29]
	v_lshlrev_b32_e32 v34, 2, v2
	v_lshl_add_u64 v[2:3], s[40:41], 0, v[6:7]
	global_load_dword v12, v[2:3], off
	v_lshl_add_u64 v[6:7], s[40:41], 0, v[10:11]
	v_lshl_add_u64 v[2:3], s[40:41], 0, v[14:15]
	;; [unrolled: 1-line block ×3, first 2 shown]
	global_load_dword v13, v[4:5], off
	global_load_dword v14, v[6:7], off
	global_load_dword v15, v[8:9], off
	global_load_dword v16, v[2:3], off
	global_load_dword v17, v[10:11], off
	ds_bpermute_b32 v35, v34, v33
	v_lshl_add_u64 v[2:3], s[40:41], 0, v[18:19]
	v_lshl_add_u64 v[4:5], s[40:41], 0, v[20:21]
	;; [unrolled: 1-line block ×4, first 2 shown]
	s_waitcnt lgkmcnt(0)
	v_max_f32_e32 v18, v35, v35
	v_max_f32_e32 v18, v33, v18
	v_sub_f32_e32 v1, v1, v18
	v_mul_f32_e32 v19, 0x3fb8aa3b, v1
	v_fma_f32 v20, v1, s39, -v19
	v_rndne_f32_e32 v21, v19
	v_fmac_f32_e32 v20, 0x32a5705f, v1
	v_sub_f32_e32 v19, v19, v21
	v_lshl_add_u64 v[10:11], s[40:41], 0, v[26:27]
	v_add_f32_e32 v19, v19, v20
	v_cvt_i32_f32_e32 v20, v21
	global_load_dword v21, v[2:3], off
	global_load_dword v22, v[4:5], off
	;; [unrolled: 1-line block ×5, first 2 shown]
	v_sub_f32_e32 v4, v44, v18
	v_mul_f32_e32 v5, 0x3fb8aa3b, v4
	v_fma_f32 v6, v4, s39, -v5
	v_rndne_f32_e32 v7, v5
	v_exp_f32_e32 v19, v19
	v_fmac_f32_e32 v6, 0x32a5705f, v4
	v_sub_f32_e32 v5, v5, v7
	v_add_f32_e32 v5, v5, v6
	v_exp_f32_e32 v5, v5
	v_cvt_i32_f32_e32 v6, v7
	s_mov_b32 s40, 0xc2ce8ed0
	v_ldexp_f32 v2, v19, v20
	v_cmp_ngt_f32_e64 s[28:29], s40, v1
	s_mov_b32 s41, 0x42b17218
	v_mov_b32_e32 v3, 0x7f800000
	v_cndmask_b32_e64 v2, 0, v2, s[28:29]
	v_cmp_nlt_f32_e64 s[28:29], s41, v1
	s_nop 1
	v_cndmask_b32_e64 v1, v3, v2, s[28:29]
	v_ldexp_f32 v2, v5, v6
	v_sub_f32_e32 v5, v45, v18
	v_mul_f32_e32 v6, 0x3fb8aa3b, v5
	v_fma_f32 v7, v5, s39, -v6
	v_rndne_f32_e32 v8, v6
	v_fmac_f32_e32 v7, 0x32a5705f, v5
	v_sub_f32_e32 v6, v6, v8
	v_add_f32_e32 v6, v6, v7
	v_exp_f32_e32 v6, v6
	v_cvt_i32_f32_e32 v7, v8
	v_cndmask_b32_e64 v1, 0, v1, s[26:27]
	v_cmp_ngt_f32_e64 s[26:27], s40, v4
	s_waitcnt vmcnt(12)
	v_mul_f32_e32 v1, v43, v1
	v_cndmask_b32_e64 v2, 0, v2, s[26:27]
	v_cmp_nlt_f32_e64 s[26:27], s41, v4
	v_ldexp_f32 v4, v6, v7
	v_sub_f32_e32 v6, v46, v18
	v_mul_f32_e32 v7, 0x3fb8aa3b, v6
	v_fma_f32 v8, v6, s39, -v7
	v_rndne_f32_e32 v9, v7
	v_fmac_f32_e32 v8, 0x32a5705f, v6
	v_sub_f32_e32 v7, v7, v9
	v_add_f32_e32 v7, v7, v8
	v_exp_f32_e32 v7, v7
	v_cvt_i32_f32_e32 v8, v9
	v_cndmask_b32_e64 v2, v3, v2, s[26:27]
	v_cndmask_b32_e64 v2, 0, v2, s[24:25]
	v_cmp_ngt_f32_e64 s[24:25], s40, v5
	s_waitcnt vmcnt(11)
	v_mul_f32_e32 v2, v50, v2
	v_cndmask_b32_e64 v4, 0, v4, s[24:25]
	v_cmp_nlt_f32_e64 s[24:25], s41, v5
	v_ldexp_f32 v5, v7, v8
	v_sub_f32_e32 v7, v47, v18
	v_mul_f32_e32 v8, 0x3fb8aa3b, v7
	v_fma_f32 v9, v7, s39, -v8
	v_rndne_f32_e32 v10, v8
	v_fmac_f32_e32 v9, 0x32a5705f, v7
	v_sub_f32_e32 v8, v8, v10
	v_add_f32_e32 v8, v8, v9
	v_exp_f32_e32 v8, v8
	v_cvt_i32_f32_e32 v9, v10
	v_cndmask_b32_e64 v4, v3, v4, s[24:25]
	;; [unrolled: 17-line block ×9, first 2 shown]
	v_cndmask_b32_e64 v11, 0, v11, s[8:9]
	v_cmp_ngt_f32_e64 s[8:9], s40, v13
	s_waitcnt vmcnt(3)
	v_mul_f32_e32 v11, v22, v11
	v_cndmask_b32_e64 v12, 0, v12, s[8:9]
	v_cmp_nlt_f32_e64 s[8:9], s41, v13
	v_ldexp_f32 v13, v15, v16
	v_sub_f32_e32 v15, v32, v18
	v_mul_f32_e32 v16, 0x3fb8aa3b, v15
	v_fma_f32 v17, v15, s39, -v16
	v_rndne_f32_e32 v18, v16
	v_fmac_f32_e32 v17, 0x32a5705f, v15
	v_sub_f32_e32 v16, v16, v18
	v_add_f32_e32 v16, v16, v17
	v_cndmask_b32_e64 v12, v3, v12, s[8:9]
	v_exp_f32_e32 v16, v16
	v_cvt_i32_f32_e32 v17, v18
	v_cndmask_b32_e64 v12, 0, v12, s[6:7]
	v_cmp_ngt_f32_e64 s[6:7], s40, v14
	s_waitcnt vmcnt(2)
	v_mul_f32_e32 v12, v23, v12
	v_cndmask_b32_e64 v13, 0, v13, s[6:7]
	v_cmp_nlt_f32_e64 s[6:7], s41, v14
	v_ldexp_f32 v14, v16, v17
	v_lshlrev_b32_e32 v16, 2, v0
	v_cndmask_b32_e64 v13, v3, v13, s[6:7]
	v_cndmask_b32_e64 v13, 0, v13, s[4:5]
	v_cmp_ngt_f32_e64 s[4:5], s40, v15
	ds_write2st64_b32 v16, v1, v2 offset1:1
	ds_write2st64_b32 v16, v4, v5 offset0:2 offset1:3
	ds_write2st64_b32 v16, v6, v7 offset0:4 offset1:5
	;; [unrolled: 1-line block ×3, first 2 shown]
	v_cndmask_b32_e64 v14, 0, v14, s[4:5]
	v_cmp_nlt_f32_e64 s[4:5], s41, v15
	s_nop 1
	v_cndmask_b32_e64 v3, v3, v14, s[4:5]
	v_add_f32_e32 v14, v1, v2
	v_add_f32_e32 v14, v14, v4
	;; [unrolled: 1-line block ×10, first 2 shown]
	v_cndmask_b32_e32 v3, 0, v3, vcc
	s_waitcnt vmcnt(1)
	v_fmac_f32_e32 v14, v24, v13
	s_waitcnt vmcnt(0)
	v_fmac_f32_e32 v14, v25, v3
	ds_bpermute_b32 v15, v36, v14
	v_cmp_eq_u32_e32 vcc, 0, v0
	v_mul_f32_e32 v13, v24, v13
	v_mul_f32_e32 v3, v25, v3
	ds_write2st64_b32 v16, v10, v11 offset0:8 offset1:9
	ds_write2st64_b32 v16, v12, v13 offset0:10 offset1:11
	ds_write_b32 v16, v3 offset:3072
	s_waitcnt lgkmcnt(3)
	v_add_f32_e32 v14, v14, v15
	ds_bpermute_b32 v15, v37, v14
	s_waitcnt lgkmcnt(0)
	v_add_f32_e32 v14, v14, v15
	ds_bpermute_b32 v15, v41, v14
	;; [unrolled: 3-line block ×5, first 2 shown]
	s_and_saveexec_b64 s[4:5], vcc
	s_cbranch_execz .LBB88_8
; %bb.7:
	s_waitcnt lgkmcnt(0)
	v_add_f32_e32 v1, v1, v2
	v_mov_b32_e32 v2, 0
	ds_write_b32 v2, v1 offset:3328
.LBB88_8:
	s_or_b64 exec, exec, s[4:5]
	v_mov_b32_e32 v1, s38
.LBB88_9:
	s_or_b64 exec, exec, s[48:49]
	s_lshl_b32 s4, s50, 6
	s_mov_b32 s5, 0
	s_lshl_b64 s[4:5], s[4:5], 1
	s_add_u32 s4, s36, s4
	s_addc_u32 s5, s37, s5
	s_lshl_b32 s10, s33, 6
	s_sub_i32 s11, s10, 64
	s_waitcnt lgkmcnt(0)
	v_lshlrev_b32_e32 v2, 6, v1
	v_mov_b32_e32 v3, 0
	s_cmp_lt_i32 s54, 1
	v_lshl_add_u64 v[4:5], v[2:3], 1, s[4:5]
	s_cselect_b32 s4, s11, 0
	v_lshlrev_b32_e32 v2, 1, v0
	s_ashr_i32 s5, s4, 31
	v_lshl_add_u64 v[0:1], v[4:5], 0, v[2:3]
	s_cmpk_lt_i32 s54, 0x101
	v_lshl_add_u64 v[12:13], s[4:5], 1, v[0:1]
	s_cselect_b32 s4, s11, 64
	s_ashr_i32 s5, s4, 31
	s_cmpk_lt_i32 s54, 0x201
	v_lshl_add_u64 v[14:15], s[4:5], 1, v[0:1]
	s_cselect_b32 s4, s11, 0x80
	s_ashr_i32 s5, s4, 31
	;; [unrolled: 4-line block ×8, first 2 shown]
	s_cmpk_lt_i32 s54, 0x901
	global_load_ushort v4, v[12:13], off
	global_load_ushort v5, v[14:15], off
	;; [unrolled: 1-line block ×8, first 2 shown]
	v_lshl_add_u64 v[20:21], s[4:5], 1, v[0:1]
	s_cselect_b32 s4, s11, 0x240
	s_ashr_i32 s5, s4, 31
	s_cmpk_lt_i32 s54, 0xa01
	v_lshl_add_u64 v[22:23], s[4:5], 1, v[0:1]
	s_cselect_b32 s4, s11, 0x280
	s_ashr_i32 s5, s4, 31
	s_cmpk_lt_i32 s54, 0xb01
	;; [unrolled: 4-line block ×6, first 2 shown]
	v_lshl_add_u64 v[32:33], s[4:5], 1, v[0:1]
	s_cselect_b32 s4, s11, 0x3c0
	s_ashr_i32 s5, s4, 31
	v_lshl_add_u64 v[34:35], s[4:5], 1, v[0:1]
	global_load_ushort v12, v[20:21], off
	global_load_ushort v13, v[22:23], off
	;; [unrolled: 1-line block ×8, first 2 shown]
	s_cmpk_gt_i32 s54, 0x1000
	s_cselect_b64 s[8:9], -1, 0
	s_cmpk_lt_i32 s54, 0x1001
	v_mov_b32_e32 v36, 0
	v_mov_b32_e32 v37, 0
	;; [unrolled: 1-line block ×48, first 2 shown]
	s_waitcnt lgkmcnt(0)
	; wave barrier
	s_cbranch_scc1 .LBB88_12
; %bb.10:
	s_cmpk_lt_u32 s54, 0x1101
	s_cselect_b32 s4, s11, 0x440
	s_ashr_i32 s5, s4, 31
	s_cmpk_lt_u32 s54, 0x1201
	v_lshl_add_u64 v[28:29], s[4:5], 1, v[0:1]
	s_cselect_b32 s4, s11, 0x480
	s_ashr_i32 s5, s4, 31
	s_cmpk_lt_u32 s54, 0x1301
	v_lshl_add_u64 v[30:31], s[4:5], 1, v[0:1]
	;; [unrolled: 4-line block ×7, first 2 shown]
	s_cselect_b32 s4, s11, 0x600
	s_ashr_i32 s5, s4, 31
	s_cmpk_lt_u32 s54, 0x1901
	global_load_ushort v27, v[0:1], off offset:2048
	global_load_ushort v26, v[28:29], off
	global_load_ushort v25, v[30:31], off
	global_load_ushort v24, v[32:33], off
	global_load_ushort v23, v[34:35], off
	global_load_ushort v22, v[36:37], off
	global_load_ushort v21, v[38:39], off
	global_load_ushort v20, v[40:41], off
	v_lshl_add_u64 v[36:37], s[4:5], 1, v[0:1]
	s_cselect_b32 s4, s11, 0x640
	s_ashr_i32 s5, s4, 31
	s_cmpk_lt_u32 s54, 0x1a01
	v_lshl_add_u64 v[38:39], s[4:5], 1, v[0:1]
	s_cselect_b32 s4, s11, 0x680
	s_ashr_i32 s5, s4, 31
	s_cmpk_lt_u32 s54, 0x1b01
	;; [unrolled: 4-line block ×6, first 2 shown]
	v_lshl_add_u64 v[48:49], s[4:5], 1, v[0:1]
	s_cselect_b32 s4, s11, 0x7c0
	s_ashr_i32 s5, s4, 31
	v_lshl_add_u64 v[50:51], s[4:5], 1, v[0:1]
	global_load_ushort v35, v[36:37], off
	global_load_ushort v34, v[38:39], off
	;; [unrolled: 1-line block ×8, first 2 shown]
	s_cmpk_lt_u32 s54, 0x2001
	v_mov_b32_e32 v67, 0
	v_mov_b32_e32 v66, 0
	;; [unrolled: 1-line block ×32, first 2 shown]
	s_cbranch_scc1 .LBB88_12
; %bb.11:
	s_cmpk_lt_u32 s54, 0x2101
	s_cselect_b32 s4, s11, 0x840
	s_ashr_i32 s5, s4, 31
	s_cmpk_lt_u32 s54, 0x2201
	v_lshl_add_u64 v[38:39], s[4:5], 1, v[0:1]
	s_cselect_b32 s4, s11, 0x880
	s_ashr_i32 s5, s4, 31
	s_cmpk_lt_u32 s54, 0x2301
	v_lshl_add_u64 v[40:41], s[4:5], 1, v[0:1]
	;; [unrolled: 4-line block ×7, first 2 shown]
	s_cselect_b32 s4, s11, 0xa00
	v_add_co_u32_e32 v36, vcc, 0x1000, v0
	s_ashr_i32 s5, s4, 31
	s_nop 0
	v_addc_co_u32_e32 v37, vcc, 0, v1, vcc
	s_cmpk_lt_u32 s54, 0x2901
	global_load_ushort v52, v[36:37], off
	global_load_ushort v53, v[38:39], off
	;; [unrolled: 1-line block ×8, first 2 shown]
	v_lshl_add_u64 v[36:37], s[4:5], 1, v[0:1]
	s_cselect_b32 s4, s11, 0xa40
	s_ashr_i32 s5, s4, 31
	s_cmpk_lt_u32 s54, 0x2a01
	v_lshl_add_u64 v[38:39], s[4:5], 1, v[0:1]
	s_cselect_b32 s4, s11, 0xa80
	s_ashr_i32 s5, s4, 31
	s_cmpk_lt_u32 s54, 0x2b01
	;; [unrolled: 4-line block ×8, first 2 shown]
	global_load_ushort v68, v[36:37], off
	global_load_ushort v69, v[38:39], off
	;; [unrolled: 1-line block ×8, first 2 shown]
	v_lshl_add_u64 v[36:37], s[4:5], 1, v[0:1]
	s_cselect_b32 s4, s11, 0xc40
	s_ashr_i32 s5, s4, 31
	s_cmpk_lt_u32 s54, 0x3201
	v_lshl_add_u64 v[38:39], s[4:5], 1, v[0:1]
	s_cselect_b32 s4, s11, 0xc80
	s_ashr_i32 s5, s4, 31
	s_cmpk_lt_u32 s54, 0x3301
	;; [unrolled: 4-line block ×8, first 2 shown]
	global_load_ushort v76, v[36:37], off
	global_load_ushort v77, v[38:39], off
	global_load_ushort v78, v[40:41], off
	global_load_ushort v79, v[42:43], off
	global_load_ushort v80, v[44:45], off
	global_load_ushort v81, v[46:47], off
	global_load_ushort v82, v[48:49], off
	global_load_ushort v83, v[50:51], off
	v_lshl_add_u64 v[36:37], s[4:5], 1, v[0:1]
	s_cselect_b32 s4, s11, 0xe40
	s_ashr_i32 s5, s4, 31
	s_cmpk_lt_u32 s54, 0x3a01
	v_lshl_add_u64 v[38:39], s[4:5], 1, v[0:1]
	s_cselect_b32 s4, s11, 0xe80
	s_ashr_i32 s5, s4, 31
	s_cmpk_lt_u32 s54, 0x3b01
	v_lshl_add_u64 v[40:41], s[4:5], 1, v[0:1]
	s_cselect_b32 s4, s11, 0xec0
	s_ashr_i32 s5, s4, 31
	s_cmpk_lt_u32 s54, 0x3c01
	v_lshl_add_u64 v[42:43], s[4:5], 1, v[0:1]
	s_cselect_b32 s4, s11, 0xf00
	s_ashr_i32 s5, s4, 31
	s_cmpk_lt_u32 s54, 0x3d01
	v_lshl_add_u64 v[44:45], s[4:5], 1, v[0:1]
	s_cselect_b32 s4, s11, 0xf40
	s_ashr_i32 s5, s4, 31
	s_cmpk_lt_u32 s54, 0x3e01
	v_lshl_add_u64 v[46:47], s[4:5], 1, v[0:1]
	s_cselect_b32 s4, s11, 0xf80
	s_ashr_i32 s5, s4, 31
	s_cmpk_lt_u32 s54, 0x3f01
	v_lshl_add_u64 v[48:49], s[4:5], 1, v[0:1]
	s_cselect_b32 s4, s11, 0xfc0
	s_ashr_i32 s5, s4, 31
	v_lshl_add_u64 v[50:51], s[4:5], 1, v[0:1]
	global_load_ushort v84, v[36:37], off
	global_load_ushort v85, v[38:39], off
	;; [unrolled: 1-line block ×8, first 2 shown]
	s_waitcnt vmcnt(31)
	v_cvt_f32_f16_e32 v67, v52
	s_waitcnt vmcnt(30)
	v_cvt_f32_f16_e32 v66, v53
	;; [unrolled: 2-line block ×32, first 2 shown]
.LBB88_12:
	ds_read_b128 v[68:71], v3
	s_load_dwordx2 s[4:5], s[0:1], 0x0
	s_load_dwordx2 s[6:7], s[0:1], 0x38
	ds_read_b128 v[72:75], v3 offset:16
	ds_read_b128 v[76:79], v3 offset:32
	;; [unrolled: 1-line block ×3, first 2 shown]
	s_and_b64 vcc, exec, s[8:9]
	s_waitcnt vmcnt(15) lgkmcnt(0)
	v_fma_mix_f32 v4, v68, v4, 0 op_sel_hi:[0,1,0]
	s_waitcnt vmcnt(14)
	v_fma_mix_f32 v4, v69, v5, v4 op_sel_hi:[0,1,0]
	s_waitcnt vmcnt(13)
	;; [unrolled: 2-line block ×15, first 2 shown]
	v_fma_mix_f32 v4, v83, v19, v4 op_sel_hi:[0,1,0]
	s_cbranch_vccz .LBB88_15
; %bb.13:
	ds_read_b128 v[6:9], v3 offset:64
	ds_read_b128 v[10:13], v3 offset:80
	;; [unrolled: 1-line block ×4, first 2 shown]
	s_cmpk_lt_u32 s54, 0x2001
	s_waitcnt lgkmcnt(3)
	v_fma_mix_f32 v3, v6, v27, v4 op_sel_hi:[0,1,0]
	v_fma_mix_f32 v3, v7, v26, v3 op_sel_hi:[0,1,0]
	v_fma_mix_f32 v3, v8, v25, v3 op_sel_hi:[0,1,0]
	v_fma_mix_f32 v3, v9, v24, v3 op_sel_hi:[0,1,0]
	s_waitcnt lgkmcnt(2)
	v_fma_mix_f32 v3, v10, v23, v3 op_sel_hi:[0,1,0]
	v_fma_mix_f32 v3, v11, v22, v3 op_sel_hi:[0,1,0]
	v_fma_mix_f32 v3, v12, v21, v3 op_sel_hi:[0,1,0]
	v_fma_mix_f32 v3, v13, v20, v3 op_sel_hi:[0,1,0]
	;; [unrolled: 5-line block ×4, first 2 shown]
	s_cbranch_scc1 .LBB88_15
; %bb.14:
	v_mov_b32_e32 v3, 0
	ds_read_b128 v[6:9], v3 offset:128
	ds_read_b128 v[10:13], v3 offset:144
	;; [unrolled: 1-line block ×4, first 2 shown]
	s_waitcnt lgkmcnt(3)
	v_fmac_f32_e32 v4, v6, v67
	v_fmac_f32_e32 v4, v7, v66
	v_fmac_f32_e32 v4, v8, v65
	v_fmac_f32_e32 v4, v9, v64
	s_waitcnt lgkmcnt(2)
	v_fmac_f32_e32 v4, v10, v63
	v_fmac_f32_e32 v4, v11, v62
	v_fmac_f32_e32 v4, v12, v61
	v_fmac_f32_e32 v4, v13, v60
	;; [unrolled: 5-line block ×3, first 2 shown]
	ds_read_b128 v[6:9], v3 offset:192
	ds_read_b128 v[10:13], v3 offset:208
	s_waitcnt lgkmcnt(2)
	v_fmac_f32_e32 v4, v18, v55
	v_fmac_f32_e32 v4, v19, v54
	;; [unrolled: 1-line block ×4, first 2 shown]
	s_waitcnt lgkmcnt(1)
	v_fmac_f32_e32 v4, v6, v51
	v_fmac_f32_e32 v4, v7, v50
	;; [unrolled: 1-line block ×4, first 2 shown]
	ds_read_b128 v[6:9], v3 offset:224
	s_waitcnt lgkmcnt(1)
	v_fmac_f32_e32 v4, v10, v47
	v_fmac_f32_e32 v4, v11, v46
	;; [unrolled: 1-line block ×4, first 2 shown]
	ds_read_b128 v[10:13], v3 offset:240
	s_waitcnt lgkmcnt(1)
	v_fmac_f32_e32 v4, v6, v43
	v_fmac_f32_e32 v4, v7, v42
	;; [unrolled: 1-line block ×4, first 2 shown]
	s_waitcnt lgkmcnt(0)
	v_fmac_f32_e32 v4, v10, v39
	v_fmac_f32_e32 v4, v11, v38
	;; [unrolled: 1-line block ×4, first 2 shown]
.LBB88_15:
	s_movk_i32 s0, 0x1fc0
	s_movk_i32 s1, 0x100
	s_mov_b32 s8, 64
	s_branch .LBB88_17
.LBB88_16:                              ;   in Loop: Header=BB88_17 Depth=1
	s_addk_i32 s0, 0x1000
	s_addk_i32 s1, 0x100
	s_add_i32 s8, s8, 64
	s_cmpk_eq_u32 s0, 0xdfc0
	s_cbranch_scc1 .LBB88_19
.LBB88_17:                              ; =>This Inner Loop Header: Depth=1
	s_cmp_le_i32 s33, s8
	s_cbranch_scc1 .LBB88_16
; %bb.18:                               ;   in Loop: Header=BB88_17 Depth=1
	s_add_i32 s9, s0, 0xfffff040
	s_cmp_lt_i32 s9, s10
	s_cselect_b32 s12, s9, s11
	s_ashr_i32 s13, s12, 31
	s_add_i32 s9, s0, 0xfffff080
	s_cmp_lt_i32 s9, s10
	v_lshl_add_u64 v[12:13], s[12:13], 1, v[0:1]
	s_cselect_b32 s12, s9, s11
	s_ashr_i32 s13, s12, 31
	s_add_i32 s9, s0, 0xfffff0c0
	s_cmp_lt_i32 s9, s10
	v_lshl_add_u64 v[14:15], s[12:13], 1, v[0:1]
	s_cselect_b32 s12, s9, s11
	s_ashr_i32 s13, s12, 31
	s_add_i32 s9, s0, 0xfffff100
	s_cmp_lt_i32 s9, s10
	v_lshl_add_u64 v[16:17], s[12:13], 1, v[0:1]
	s_cselect_b32 s12, s9, s11
	s_ashr_i32 s13, s12, 31
	s_add_i32 s9, s0, 0xfffff140
	s_cmp_lt_i32 s9, s10
	v_lshl_add_u64 v[18:19], s[12:13], 1, v[0:1]
	s_cselect_b32 s12, s9, s11
	s_ashr_i32 s13, s12, 31
	s_add_i32 s9, s0, 0xfffff180
	s_cmp_lt_i32 s9, s10
	v_lshl_add_u64 v[20:21], s[12:13], 1, v[0:1]
	s_cselect_b32 s12, s9, s11
	s_ashr_i32 s13, s12, 31
	s_add_i32 s9, s0, 0xfffff1c0
	s_cmp_lt_i32 s9, s10
	v_lshl_add_u64 v[22:23], s[12:13], 1, v[0:1]
	s_cselect_b32 s12, s9, s11
	s_ashr_i32 s13, s12, 31
	s_add_i32 s9, s0, 0xfffff200
	s_cmp_lt_i32 s9, s10
	v_lshl_add_u64 v[24:25], s[12:13], 1, v[0:1]
	s_cselect_b32 s12, s9, s11
	s_ashr_i32 s13, s12, 31
	s_add_i32 s9, s0, 0xfffff240
	s_cmp_lt_i32 s9, s10
	v_lshl_add_u64 v[26:27], s[12:13], 1, v[0:1]
	s_cselect_b32 s12, s9, s11
	s_ashr_i32 s13, s12, 31
	s_add_i32 s9, s0, 0xfffff280
	s_cmp_lt_i32 s9, s10
	global_load_ushort v3, v[12:13], off
	global_load_ushort v5, v[14:15], off
	global_load_ushort v6, v[16:17], off
	global_load_ushort v7, v[18:19], off
	global_load_ushort v8, v[20:21], off
	global_load_ushort v9, v[22:23], off
	global_load_ushort v10, v[24:25], off
	global_load_ushort v11, v[26:27], off
	v_lshl_add_u64 v[12:13], s[12:13], 1, v[0:1]
	s_cselect_b32 s12, s9, s11
	s_ashr_i32 s13, s12, 31
	s_add_i32 s9, s0, 0xfffff2c0
	s_cmp_lt_i32 s9, s10
	v_lshl_add_u64 v[14:15], s[12:13], 1, v[0:1]
	s_cselect_b32 s12, s9, s11
	s_ashr_i32 s13, s12, 31
	s_add_i32 s9, s0, 0xfffff300
	s_cmp_lt_i32 s9, s10
	v_lshl_add_u64 v[16:17], s[12:13], 1, v[0:1]
	s_cselect_b32 s12, s9, s11
	s_ashr_i32 s13, s12, 31
	s_add_i32 s9, s0, 0xfffff340
	s_cmp_lt_i32 s9, s10
	v_lshl_add_u64 v[18:19], s[12:13], 1, v[0:1]
	s_cselect_b32 s12, s9, s11
	s_ashr_i32 s13, s12, 31
	s_add_i32 s9, s0, 0xfffff380
	s_cmp_lt_i32 s9, s10
	v_lshl_add_u64 v[20:21], s[12:13], 1, v[0:1]
	s_cselect_b32 s12, s9, s11
	s_ashr_i32 s13, s12, 31
	s_add_i32 s9, s0, 0xfffff3c0
	s_cmp_lt_i32 s9, s10
	v_lshl_add_u64 v[22:23], s[12:13], 1, v[0:1]
	s_cselect_b32 s12, s9, s11
	s_ashr_i32 s13, s12, 31
	s_add_i32 s9, s0, 0xfffff400
	s_cmp_lt_i32 s9, s10
	v_lshl_add_u64 v[24:25], s[12:13], 1, v[0:1]
	s_cselect_b32 s12, s9, s11
	s_ashr_i32 s13, s12, 31
	s_add_i32 s9, s0, 0xfffff440
	s_cmp_lt_i32 s9, s10
	v_lshl_add_u64 v[26:27], s[12:13], 1, v[0:1]
	s_cselect_b32 s12, s9, s11
	s_ashr_i32 s13, s12, 31
	s_add_i32 s9, s0, 0xfffff480
	s_cmp_lt_i32 s9, s10
	global_load_ushort v28, v[12:13], off
	global_load_ushort v29, v[14:15], off
	global_load_ushort v30, v[16:17], off
	global_load_ushort v31, v[18:19], off
	global_load_ushort v32, v[20:21], off
	global_load_ushort v33, v[22:23], off
	global_load_ushort v34, v[24:25], off
	global_load_ushort v35, v[26:27], off
	v_lshl_add_u64 v[12:13], s[12:13], 1, v[0:1]
	s_cselect_b32 s12, s9, s11
	s_ashr_i32 s13, s12, 31
	s_add_i32 s9, s0, 0xfffff4c0
	s_cmp_lt_i32 s9, s10
	v_lshl_add_u64 v[14:15], s[12:13], 1, v[0:1]
	s_cselect_b32 s12, s9, s11
	s_ashr_i32 s13, s12, 31
	s_add_i32 s9, s0, 0xfffff500
	s_cmp_lt_i32 s9, s10
	v_lshl_add_u64 v[16:17], s[12:13], 1, v[0:1]
	s_cselect_b32 s12, s9, s11
	s_ashr_i32 s13, s12, 31
	s_add_i32 s9, s0, 0xfffff540
	s_cmp_lt_i32 s9, s10
	v_lshl_add_u64 v[18:19], s[12:13], 1, v[0:1]
	s_cselect_b32 s12, s9, s11
	s_ashr_i32 s13, s12, 31
	s_add_i32 s9, s0, 0xfffff580
	s_cmp_lt_i32 s9, s10
	v_lshl_add_u64 v[20:21], s[12:13], 1, v[0:1]
	s_cselect_b32 s12, s9, s11
	s_ashr_i32 s13, s12, 31
	s_add_i32 s9, s0, 0xfffff5c0
	s_cmp_lt_i32 s9, s10
	v_lshl_add_u64 v[22:23], s[12:13], 1, v[0:1]
	s_cselect_b32 s12, s9, s11
	s_ashr_i32 s13, s12, 31
	s_add_i32 s9, s0, 0xfffff600
	s_cmp_lt_i32 s9, s10
	v_lshl_add_u64 v[24:25], s[12:13], 1, v[0:1]
	s_cselect_b32 s12, s9, s11
	s_ashr_i32 s13, s12, 31
	s_add_i32 s9, s0, 0xfffff640
	s_cmp_lt_i32 s9, s10
	v_lshl_add_u64 v[26:27], s[12:13], 1, v[0:1]
	;; [unrolled: 48-line block ×6, first 2 shown]
	s_cselect_b32 s12, s9, s11
	s_ashr_i32 s13, s12, 31
	s_add_i32 s9, s0, 0xfffffe80
	s_cmp_lt_i32 s9, s10
	global_load_ushort v68, v[12:13], off
	global_load_ushort v69, v[14:15], off
	;; [unrolled: 1-line block ×8, first 2 shown]
	v_lshl_add_u64 v[12:13], s[12:13], 1, v[0:1]
	s_cselect_b32 s12, s9, s11
	s_ashr_i32 s13, s12, 31
	s_add_i32 s9, s0, 0xfffffec0
	s_cmp_lt_i32 s9, s10
	v_lshl_add_u64 v[14:15], s[12:13], 1, v[0:1]
	s_cselect_b32 s12, s9, s11
	s_ashr_i32 s13, s12, 31
	s_add_i32 s9, s0, 0xffffff00
	s_cmp_lt_i32 s9, s10
	;; [unrolled: 5-line block ×4, first 2 shown]
	v_lshl_add_u64 v[20:21], s[12:13], 1, v[0:1]
	s_cselect_b32 s12, s9, s11
	s_ashr_i32 s13, s12, 31
	s_sub_i32 s9, s0, 64
	s_cmp_lt_i32 s9, s10
	v_lshl_add_u64 v[22:23], s[12:13], 1, v[0:1]
	s_cselect_b32 s12, s9, s11
	s_ashr_i32 s13, s12, 31
	s_cmp_lt_i32 s0, s10
	v_lshl_add_u64 v[24:25], s[12:13], 1, v[0:1]
	s_cselect_b32 s12, s0, s11
	s_ashr_i32 s13, s12, 31
	v_lshl_add_u64 v[26:27], s[12:13], 1, v[0:1]
	global_load_ushort v76, v[12:13], off
	global_load_ushort v77, v[14:15], off
	;; [unrolled: 1-line block ×8, first 2 shown]
	v_mov_b32_e32 v84, s1
	ds_read_b128 v[12:15], v84
	ds_read_b128 v[16:19], v84 offset:16
	ds_read_b128 v[20:23], v84 offset:32
	;; [unrolled: 1-line block ×3, first 2 shown]
	s_waitcnt vmcnt(62) lgkmcnt(3)
	v_fma_mix_f32 v3, v12, v3, v4 op_sel_hi:[0,1,0]
	v_fma_mix_f32 v3, v13, v5, v3 op_sel_hi:[0,1,0]
	s_waitcnt vmcnt(61)
	v_fma_mix_f32 v3, v14, v6, v3 op_sel_hi:[0,1,0]
	s_waitcnt vmcnt(60)
	v_fma_mix_f32 v3, v15, v7, v3 op_sel_hi:[0,1,0]
	s_waitcnt vmcnt(59) lgkmcnt(2)
	v_fma_mix_f32 v3, v16, v8, v3 op_sel_hi:[0,1,0]
	s_waitcnt vmcnt(58)
	v_fma_mix_f32 v3, v17, v9, v3 op_sel_hi:[0,1,0]
	s_waitcnt vmcnt(57)
	;; [unrolled: 2-line block ×3, first 2 shown]
	v_fma_mix_f32 v3, v19, v11, v3 op_sel_hi:[0,1,0]
	s_waitcnt vmcnt(55) lgkmcnt(1)
	v_fma_mix_f32 v3, v20, v28, v3 op_sel_hi:[0,1,0]
	s_waitcnt vmcnt(54)
	v_fma_mix_f32 v3, v21, v29, v3 op_sel_hi:[0,1,0]
	s_waitcnt vmcnt(53)
	;; [unrolled: 2-line block ×3, first 2 shown]
	v_fma_mix_f32 v3, v23, v31, v3 op_sel_hi:[0,1,0]
	ds_read_b128 v[4:7], v84 offset:64
	ds_read_b128 v[8:11], v84 offset:80
	s_waitcnt vmcnt(51) lgkmcnt(2)
	v_fma_mix_f32 v3, v24, v32, v3 op_sel_hi:[0,1,0]
	s_waitcnt vmcnt(50)
	v_fma_mix_f32 v3, v25, v33, v3 op_sel_hi:[0,1,0]
	s_waitcnt vmcnt(49)
	;; [unrolled: 2-line block ×3, first 2 shown]
	v_fma_mix_f32 v3, v27, v35, v3 op_sel_hi:[0,1,0]
	s_waitcnt vmcnt(47) lgkmcnt(1)
	v_fma_mix_f32 v3, v4, v36, v3 op_sel_hi:[0,1,0]
	s_waitcnt vmcnt(46)
	v_fma_mix_f32 v3, v5, v37, v3 op_sel_hi:[0,1,0]
	s_waitcnt vmcnt(45)
	v_fma_mix_f32 v3, v6, v38, v3 op_sel_hi:[0,1,0]
	s_waitcnt vmcnt(44)
	v_fma_mix_f32 v3, v7, v39, v3 op_sel_hi:[0,1,0]
	ds_read_b128 v[4:7], v84 offset:96
	s_waitcnt vmcnt(43) lgkmcnt(1)
	v_fma_mix_f32 v3, v8, v40, v3 op_sel_hi:[0,1,0]
	s_waitcnt vmcnt(42)
	v_fma_mix_f32 v3, v9, v41, v3 op_sel_hi:[0,1,0]
	s_waitcnt vmcnt(41)
	v_fma_mix_f32 v3, v10, v42, v3 op_sel_hi:[0,1,0]
	s_waitcnt vmcnt(40)
	v_fma_mix_f32 v3, v11, v43, v3 op_sel_hi:[0,1,0]
	ds_read_b128 v[8:11], v84 offset:112
	;; [unrolled: 9-line block ×10, first 2 shown]
	s_waitcnt vmcnt(7) lgkmcnt(1)
	v_fma_mix_f32 v3, v4, v76, v3 op_sel_hi:[0,1,0]
	s_waitcnt vmcnt(6)
	v_fma_mix_f32 v3, v5, v77, v3 op_sel_hi:[0,1,0]
	s_waitcnt vmcnt(5)
	;; [unrolled: 2-line block ×3, first 2 shown]
	v_fma_mix_f32 v3, v7, v79, v3 op_sel_hi:[0,1,0]
	s_waitcnt vmcnt(3) lgkmcnt(0)
	v_fma_mix_f32 v3, v8, v80, v3 op_sel_hi:[0,1,0]
	s_waitcnt vmcnt(2)
	v_fma_mix_f32 v3, v9, v81, v3 op_sel_hi:[0,1,0]
	s_waitcnt vmcnt(1)
	;; [unrolled: 2-line block ×3, first 2 shown]
	v_fma_mix_f32 v4, v11, v83, v3 op_sel_hi:[0,1,0]
	s_branch .LBB88_16
.LBB88_19:
	v_mov_b32_e32 v0, 0
	ds_read_b32 v1, v0 offset:3328
	s_cmp_lg_u64 s[6:7], 0
	s_cbranch_scc0 .LBB88_24
; %bb.20:
	s_load_dword s6, s[6:7], 0x0
	s_waitcnt lgkmcnt(0)
	v_div_scale_f32 v0, s[0:1], s6, s6, 1.0
	v_rcp_f32_e32 v3, v0
	v_div_scale_f32 v5, vcc, 1.0, s6, 1.0
	v_fma_f32 v6, -v0, v3, 1.0
	v_fmac_f32_e32 v3, v6, v3
	v_mul_f32_e32 v6, v5, v3
	v_fma_f32 v7, -v0, v6, v5
	v_fmac_f32_e32 v6, v7, v3
	v_fma_f32 v0, -v0, v6, v5
	v_div_fmas_f32 v0, v0, v3, v6
	v_div_fixup_f32 v0, v0, s6, 1.0
	s_andn2_b64 vcc, exec, s[44:45]
	s_cbranch_vccnz .LBB88_22
.LBB88_21:
	s_add_u32 s0, s34, s46
	s_addc_u32 s1, s35, s47
	s_load_dword s30, s[0:1], 0x0
	s_mov_b32 s31, 0
.LBB88_22:
	s_waitcnt lgkmcnt(0)
	v_add_f32_e32 v1, 0x358637bd, v1
	v_div_scale_f32 v3, s[0:1], v1, v1, 1.0
	v_rcp_f32_e32 v5, v3
	v_div_scale_f32 v6, vcc, 1.0, v1, 1.0
	s_mul_i32 s0, s3, s31
	v_fma_f32 v7, -v3, v5, 1.0
	v_fmac_f32_e32 v5, v7, v5
	v_mul_f32_e32 v7, v6, v5
	v_fma_f32 v8, -v3, v7, v6
	s_mul_hi_u32 s1, s3, s30
	v_fmac_f32_e32 v7, v8, v5
	s_add_i32 s1, s1, s0
	s_mul_i32 s0, s3, s30
	v_fma_f32 v3, -v3, v7, v6
	s_lshl_b64 s[0:1], s[0:1], 7
	v_div_fmas_f32 v3, v3, v5, v7
	s_add_u32 s4, s4, s0
	s_mov_b32 s3, 0
	v_div_fixup_f32 v1, v3, v1, 1.0
	s_addc_u32 s5, s5, s1
	s_lshl_b64 s[0:1], s[2:3], 7
	v_mul_f32_e32 v1, v4, v1
	s_add_u32 s0, s4, s0
	s_addc_u32 s1, s5, s1
	v_fma_mixlo_f16 v0, v1, v0, 0
	global_store_short v2, v0, s[0:1]
	s_endpgm
.LBB88_23:
	s_mov_b64 s[6:7], 0
	s_branch .LBB88_2
.LBB88_24:
	v_mov_b32_e32 v0, 1.0
	s_andn2_b64 vcc, exec, s[44:45]
	s_cbranch_vccz .LBB88_21
	s_branch .LBB88_22
	.section	.rodata,"a",@progbits
	.p2align	6, 0x0
	.amdhsa_kernel _Z35paged_attention_ll4mi_reduce_kernelIDF16_DF16_Li64ELi64ELi256ELi13EEvPT0_PKfS3_PKT_PKiS8_iS3_
		.amdhsa_group_segment_fixed_size 3332
		.amdhsa_private_segment_fixed_size 0
		.amdhsa_kernarg_size 320
		.amdhsa_user_sgpr_count 2
		.amdhsa_user_sgpr_dispatch_ptr 0
		.amdhsa_user_sgpr_queue_ptr 0
		.amdhsa_user_sgpr_kernarg_segment_ptr 1
		.amdhsa_user_sgpr_dispatch_id 0
		.amdhsa_user_sgpr_kernarg_preload_length 0
		.amdhsa_user_sgpr_kernarg_preload_offset 0
		.amdhsa_user_sgpr_private_segment_size 0
		.amdhsa_uses_dynamic_stack 0
		.amdhsa_enable_private_segment 0
		.amdhsa_system_sgpr_workgroup_id_x 1
		.amdhsa_system_sgpr_workgroup_id_y 1
		.amdhsa_system_sgpr_workgroup_id_z 0
		.amdhsa_system_sgpr_workgroup_info 0
		.amdhsa_system_vgpr_workitem_id 0
		.amdhsa_next_free_vgpr 92
		.amdhsa_next_free_sgpr 55
		.amdhsa_accum_offset 92
		.amdhsa_reserve_vcc 1
		.amdhsa_float_round_mode_32 0
		.amdhsa_float_round_mode_16_64 0
		.amdhsa_float_denorm_mode_32 3
		.amdhsa_float_denorm_mode_16_64 3
		.amdhsa_dx10_clamp 1
		.amdhsa_ieee_mode 1
		.amdhsa_fp16_overflow 0
		.amdhsa_tg_split 0
		.amdhsa_exception_fp_ieee_invalid_op 0
		.amdhsa_exception_fp_denorm_src 0
		.amdhsa_exception_fp_ieee_div_zero 0
		.amdhsa_exception_fp_ieee_overflow 0
		.amdhsa_exception_fp_ieee_underflow 0
		.amdhsa_exception_fp_ieee_inexact 0
		.amdhsa_exception_int_div_zero 0
	.end_amdhsa_kernel
	.section	.text._Z35paged_attention_ll4mi_reduce_kernelIDF16_DF16_Li64ELi64ELi256ELi13EEvPT0_PKfS3_PKT_PKiS8_iS3_,"axG",@progbits,_Z35paged_attention_ll4mi_reduce_kernelIDF16_DF16_Li64ELi64ELi256ELi13EEvPT0_PKfS3_PKT_PKiS8_iS3_,comdat
.Lfunc_end88:
	.size	_Z35paged_attention_ll4mi_reduce_kernelIDF16_DF16_Li64ELi64ELi256ELi13EEvPT0_PKfS3_PKT_PKiS8_iS3_, .Lfunc_end88-_Z35paged_attention_ll4mi_reduce_kernelIDF16_DF16_Li64ELi64ELi256ELi13EEvPT0_PKfS3_PKT_PKiS8_iS3_
                                        ; -- End function
	.section	.AMDGPU.csdata,"",@progbits
; Kernel info:
; codeLenInByte = 10088
; NumSgprs: 61
; NumVgprs: 92
; NumAgprs: 0
; TotalNumVgprs: 92
; ScratchSize: 0
; MemoryBound: 0
; FloatMode: 240
; IeeeMode: 1
; LDSByteSize: 3332 bytes/workgroup (compile time only)
; SGPRBlocks: 7
; VGPRBlocks: 11
; NumSGPRsForWavesPerEU: 61
; NumVGPRsForWavesPerEU: 92
; AccumOffset: 92
; Occupancy: 5
; WaveLimiterHint : 1
; COMPUTE_PGM_RSRC2:SCRATCH_EN: 0
; COMPUTE_PGM_RSRC2:USER_SGPR: 2
; COMPUTE_PGM_RSRC2:TRAP_HANDLER: 0
; COMPUTE_PGM_RSRC2:TGID_X_EN: 1
; COMPUTE_PGM_RSRC2:TGID_Y_EN: 1
; COMPUTE_PGM_RSRC2:TGID_Z_EN: 0
; COMPUTE_PGM_RSRC2:TIDIG_COMP_CNT: 0
; COMPUTE_PGM_RSRC3_GFX90A:ACCUM_OFFSET: 22
; COMPUTE_PGM_RSRC3_GFX90A:TG_SPLIT: 0
	.section	.text._Z35paged_attention_ll4mi_reduce_kernelIDF16_DF16_Li64ELi64ELi256ELi14EEvPT0_PKfS3_PKT_PKiS8_iS3_,"axG",@progbits,_Z35paged_attention_ll4mi_reduce_kernelIDF16_DF16_Li64ELi64ELi256ELi14EEvPT0_PKfS3_PKT_PKiS8_iS3_,comdat
	.protected	_Z35paged_attention_ll4mi_reduce_kernelIDF16_DF16_Li64ELi64ELi256ELi14EEvPT0_PKfS3_PKT_PKiS8_iS3_ ; -- Begin function _Z35paged_attention_ll4mi_reduce_kernelIDF16_DF16_Li64ELi64ELi256ELi14EEvPT0_PKfS3_PKT_PKiS8_iS3_
	.globl	_Z35paged_attention_ll4mi_reduce_kernelIDF16_DF16_Li64ELi64ELi256ELi14EEvPT0_PKfS3_PKT_PKiS8_iS3_
	.p2align	8
	.type	_Z35paged_attention_ll4mi_reduce_kernelIDF16_DF16_Li64ELi64ELi256ELi14EEvPT0_PKfS3_PKT_PKiS8_iS3_,@function
_Z35paged_attention_ll4mi_reduce_kernelIDF16_DF16_Li64ELi64ELi256ELi14EEvPT0_PKfS3_PKT_PKiS8_iS3_: ; @_Z35paged_attention_ll4mi_reduce_kernelIDF16_DF16_Li64ELi64ELi256ELi14EEvPT0_PKfS3_PKT_PKiS8_iS3_
; %bb.0:
	s_load_dwordx2 s[44:45], s[0:1], 0x28
	s_mov_b32 s34, s3
	s_mov_b64 s[4:5], 0
	s_waitcnt lgkmcnt(0)
	s_cmp_lg_u64 s[44:45], 0
	s_cselect_b64 s[46:47], -1, 0
	s_and_b64 vcc, exec, s[46:47]
	s_cbranch_vccz .LBB89_23
; %bb.1:
	s_add_i32 s6, s34, 1
	s_mov_b32 s7, 0
	s_lshl_b64 s[8:9], s[6:7], 2
	s_add_u32 s8, s44, s8
	s_mov_b32 s35, s7
	s_addc_u32 s9, s45, s9
	s_lshl_b64 s[6:7], s[34:35], 2
	s_add_u32 s6, s44, s6
	s_addc_u32 s7, s45, s7
	s_load_dword s3, s[8:9], 0x0
	s_load_dword s10, s[6:7], 0x0
	s_waitcnt lgkmcnt(0)
	s_sub_i32 s3, s3, s10
	s_cmp_eq_u32 s3, 1
	s_cselect_b64 s[6:7], -1, 0
	s_andn2_b64 vcc, exec, s[4:5]
	s_cbranch_vccnz .LBB89_3
.LBB89_2:
	s_mov_b32 s35, 0
	s_mov_b64 s[6:7], -1
.LBB89_3:
	s_andn2_b64 vcc, exec, s[6:7]
	s_cbranch_vccz .LBB89_5
; %bb.4:
	s_endpgm
.LBB89_5:
	s_load_dwordx4 s[36:39], s[0:1], 0x18
	s_load_dword s8, s[0:1], 0x30
	s_lshl_b64 s[48:49], s[34:35], 2
	v_cmp_lt_u32_e32 vcc, 63, v0
	s_waitcnt lgkmcnt(0)
	s_add_u32 s4, s38, s48
	s_addc_u32 s5, s39, s49
	s_load_dword s56, s[4:5], 0x0
	s_load_dword s3, s[0:1], 0x40
	s_mul_i32 s38, s2, s8
	s_mul_i32 s6, s34, s8
	s_waitcnt lgkmcnt(0)
	s_add_i32 s7, s56, 0xff
	s_ashr_i32 s4, s7, 31
	s_lshr_b32 s4, s4, 24
	s_add_i32 s7, s7, s4
	s_and_saveexec_b64 s[4:5], vcc
	s_xor_b64 s[4:5], exec, s[4:5]
	s_or_saveexec_b64 s[50:51], s[4:5]
	s_ashr_i32 s33, s7, 8
	v_mov_b32_e32 v1, s38
	s_mul_i32 s52, s6, s3
	s_xor_b64 exec, exec, s[50:51]
	s_cbranch_execz .LBB89_9
; %bb.6:
	s_add_i32 s4, s33, -1
	v_or_b32_e32 v3, 64, v0
	v_mov_b32_e32 v1, s4
	v_cmp_gt_u32_e64 s[26:27], s33, v3
	s_load_dwordx4 s[40:43], s[0:1], 0x8
	s_mov_b32 s53, 0
	v_cndmask_b32_e64 v4, v1, v3, s[26:27]
	v_or_b32_e32 v3, 0x80, v0
	v_cmp_gt_u32_e64 s[24:25], s33, v3
	s_lshl_b64 s[54:55], s[52:53], 2
	s_mov_b32 s39, s53
	v_cndmask_b32_e64 v6, v1, v3, s[24:25]
	v_or_b32_e32 v3, 0xc0, v0
	v_cmp_gt_u32_e64 s[22:23], s33, v3
	v_cmp_gt_u32_e64 s[28:29], s33, v0
	s_waitcnt lgkmcnt(0)
	s_add_u32 s30, s42, s54
	v_cndmask_b32_e64 v8, v1, v3, s[22:23]
	v_or_b32_e32 v3, 0x100, v0
	v_cmp_gt_u32_e64 s[20:21], s33, v3
	v_cndmask_b32_e64 v2, v1, v0, s[28:29]
	s_addc_u32 s31, s43, s55
	v_cndmask_b32_e64 v10, v1, v3, s[20:21]
	v_or_b32_e32 v3, 0x140, v0
	v_cmp_gt_u32_e64 s[18:19], s33, v3
	s_lshl_b64 s[42:43], s[38:39], 2
	s_add_u32 s30, s30, s42
	v_cndmask_b32_e64 v12, v1, v3, s[18:19]
	v_or_b32_e32 v3, 0x180, v0
	v_cmp_gt_u32_e64 s[16:17], s33, v3
	s_addc_u32 s31, s31, s43
	v_ashrrev_i32_e32 v5, 31, v4
	v_cndmask_b32_e64 v14, v1, v3, s[16:17]
	v_or_b32_e32 v3, 0x1c0, v0
	v_cmp_gt_u32_e64 s[14:15], s33, v3
	v_ashrrev_i32_e32 v15, 31, v14
	v_ashrrev_i32_e32 v7, 31, v6
	v_cndmask_b32_e64 v16, v1, v3, s[14:15]
	v_or_b32_e32 v3, 0x200, v0
	v_cmp_gt_u32_e64 s[12:13], s33, v3
	v_ashrrev_i32_e32 v9, 31, v8
	;; [unrolled: 5-line block ×3, first 2 shown]
	v_lshlrev_b64 v[14:15], 2, v[14:15]
	v_cndmask_b32_e64 v20, v1, v3, s[10:11]
	v_or_b32_e32 v3, 0x280, v0
	v_cmp_gt_u32_e64 s[8:9], s33, v3
	v_ashrrev_i32_e32 v17, 31, v16
	v_lshlrev_b64 v[4:5], 2, v[4:5]
	v_cndmask_b32_e64 v22, v1, v3, s[8:9]
	v_or_b32_e32 v3, 0x2c0, v0
	v_cmp_gt_u32_e64 s[6:7], s33, v3
	v_lshlrev_b64 v[6:7], 2, v[6:7]
	v_lshlrev_b64 v[8:9], 2, v[8:9]
	v_cndmask_b32_e64 v24, v1, v3, s[6:7]
	v_or_b32_e32 v3, 0x300, v0
	v_cmp_gt_u32_e64 s[4:5], s33, v3
	v_lshlrev_b64 v[10:11], 2, v[10:11]
	v_lshlrev_b64 v[12:13], 2, v[12:13]
	v_cndmask_b32_e64 v26, v1, v3, s[4:5]
	v_or_b32_e32 v3, 0x340, v0
	v_cmp_gt_u32_e32 vcc, s33, v3
	v_lshl_add_u64 v[42:43], s[30:31], 0, v[14:15]
	v_lshlrev_b64 v[16:17], 2, v[16:17]
	v_cndmask_b32_e32 v28, v1, v3, vcc
	v_ashrrev_i32_e32 v3, 31, v2
	v_lshlrev_b64 v[2:3], 2, v[2:3]
	v_lshl_add_u64 v[30:31], s[30:31], 0, v[2:3]
	v_lshl_add_u64 v[32:33], s[30:31], 0, v[4:5]
	;; [unrolled: 1-line block ×7, first 2 shown]
	global_load_dword v1, v[30:31], off
	global_load_dword v46, v[32:33], off
	;; [unrolled: 1-line block ×6, first 2 shown]
	s_nop 0
	global_load_dword v42, v[42:43], off
	s_nop 0
	global_load_dword v43, v[44:45], off
	v_ashrrev_i32_e32 v19, 31, v18
	v_ashrrev_i32_e32 v21, 31, v20
	;; [unrolled: 1-line block ×3, first 2 shown]
	v_lshlrev_b64 v[18:19], 2, v[18:19]
	v_lshlrev_b64 v[20:21], 2, v[20:21]
	;; [unrolled: 1-line block ×3, first 2 shown]
	v_ashrrev_i32_e32 v25, 31, v24
	v_ashrrev_i32_e32 v27, 31, v26
	;; [unrolled: 1-line block ×3, first 2 shown]
	v_lshl_add_u64 v[30:31], s[30:31], 0, v[18:19]
	v_lshl_add_u64 v[32:33], s[30:31], 0, v[20:21]
	;; [unrolled: 1-line block ×3, first 2 shown]
	v_lshlrev_b64 v[24:25], 2, v[24:25]
	v_lshlrev_b64 v[26:27], 2, v[26:27]
	;; [unrolled: 1-line block ×3, first 2 shown]
	v_lshl_add_u64 v[36:37], s[30:31], 0, v[24:25]
	v_lshl_add_u64 v[38:39], s[30:31], 0, v[26:27]
	;; [unrolled: 1-line block ×3, first 2 shown]
	global_load_dword v30, v[30:31], off
	s_nop 0
	global_load_dword v31, v[32:33], off
	s_nop 0
	global_load_dword v32, v[34:35], off
	global_load_dword v33, v[36:37], off
	s_nop 0
	global_load_dword v34, v[38:39], off
	global_load_dword v35, v[40:41], off
	s_mov_b32 s39, 0x3fb8aa3b
	s_waitcnt vmcnt(13)
	v_max_f32_e32 v37, v1, v1
	s_waitcnt vmcnt(12)
	v_max_f32_e32 v36, v46, v46
	v_max_f32_e32 v36, v37, v36
	v_mbcnt_lo_u32_b32 v37, -1, 0
	s_waitcnt vmcnt(10)
	v_max3_f32 v36, v36, v47, v48
	v_mbcnt_hi_u32_b32 v37, -1, v37
	s_waitcnt vmcnt(8)
	v_max3_f32 v36, v36, v49, v50
	v_and_b32_e32 v38, 64, v37
	s_waitcnt vmcnt(6)
	v_max3_f32 v36, v36, v42, v43
	v_add_u32_e32 v38, 64, v38
	v_xor_b32_e32 v39, 32, v37
	v_cmp_lt_i32_e64 s[30:31], v39, v38
	s_waitcnt vmcnt(4)
	v_max3_f32 v36, v36, v30, v31
	v_cndmask_b32_e64 v39, v37, v39, s[30:31]
	s_waitcnt vmcnt(2)
	v_max3_f32 v36, v36, v32, v33
	v_lshlrev_b32_e32 v39, 2, v39
	s_waitcnt vmcnt(0)
	v_max3_f32 v36, v36, v34, v35
	ds_bpermute_b32 v40, v39, v36
	s_waitcnt lgkmcnt(0)
	v_max_f32_e32 v40, v40, v40
	v_max_f32_e32 v36, v36, v40
	v_xor_b32_e32 v40, 16, v37
	v_cmp_lt_i32_e64 s[30:31], v40, v38
	s_nop 1
	v_cndmask_b32_e64 v40, v37, v40, s[30:31]
	v_lshlrev_b32_e32 v40, 2, v40
	ds_bpermute_b32 v41, v40, v36
	s_waitcnt lgkmcnt(0)
	v_max_f32_e32 v41, v41, v41
	v_max_f32_e32 v36, v36, v41
	v_xor_b32_e32 v41, 8, v37
	v_cmp_lt_i32_e64 s[30:31], v41, v38
	s_nop 1
	v_cndmask_b32_e64 v41, v37, v41, s[30:31]
	v_lshlrev_b32_e32 v41, 2, v41
	ds_bpermute_b32 v44, v41, v36
	s_add_u32 s30, s40, s54
	s_addc_u32 s31, s41, s55
	s_add_u32 s40, s30, s42
	s_addc_u32 s41, s31, s43
	s_waitcnt lgkmcnt(0)
	v_max_f32_e32 v44, v44, v44
	v_max_f32_e32 v36, v36, v44
	v_xor_b32_e32 v44, 4, v37
	v_lshl_add_u64 v[2:3], s[40:41], 0, v[2:3]
	v_cmp_lt_i32_e64 s[30:31], v44, v38
	global_load_dword v45, v[2:3], off
	s_nop 0
	v_cndmask_b32_e64 v2, v37, v44, s[30:31]
	v_lshlrev_b32_e32 v44, 2, v2
	ds_bpermute_b32 v2, v44, v36
	s_waitcnt lgkmcnt(0)
	v_max_f32_e32 v2, v2, v2
	v_max_f32_e32 v36, v36, v2
	v_xor_b32_e32 v2, 2, v37
	v_cmp_lt_i32_e64 s[30:31], v2, v38
	s_nop 1
	v_cndmask_b32_e64 v2, v37, v2, s[30:31]
	v_lshlrev_b32_e32 v51, 2, v2
	ds_bpermute_b32 v52, v51, v36
	v_lshl_add_u64 v[2:3], s[40:41], 0, v[4:5]
	global_load_dword v53, v[2:3], off
	v_lshl_add_u64 v[4:5], s[40:41], 0, v[8:9]
	v_lshl_add_u64 v[8:9], s[40:41], 0, v[12:13]
	s_waitcnt lgkmcnt(0)
	v_max_f32_e32 v2, v52, v52
	v_max_f32_e32 v36, v36, v2
	v_xor_b32_e32 v2, 1, v37
	v_cmp_lt_i32_e64 s[30:31], v2, v38
	v_lshl_add_u64 v[12:13], s[40:41], 0, v[16:17]
	s_nop 0
	v_cndmask_b32_e64 v2, v37, v2, s[30:31]
	v_lshlrev_b32_e32 v37, 2, v2
	v_lshl_add_u64 v[2:3], s[40:41], 0, v[6:7]
	v_lshl_add_u64 v[6:7], s[40:41], 0, v[10:11]
	;; [unrolled: 1-line block ×3, first 2 shown]
	global_load_dword v14, v[2:3], off
	global_load_dword v15, v[4:5], off
	;; [unrolled: 1-line block ×6, first 2 shown]
	ds_bpermute_b32 v38, v37, v36
	v_lshl_add_u64 v[2:3], s[40:41], 0, v[18:19]
	v_lshl_add_u64 v[4:5], s[40:41], 0, v[20:21]
	;; [unrolled: 1-line block ×4, first 2 shown]
	s_waitcnt lgkmcnt(0)
	v_max_f32_e32 v18, v38, v38
	v_max_f32_e32 v18, v36, v18
	v_sub_f32_e32 v1, v1, v18
	v_mul_f32_e32 v19, 0x3fb8aa3b, v1
	v_fma_f32 v20, v1, s39, -v19
	v_rndne_f32_e32 v21, v19
	v_fmac_f32_e32 v20, 0x32a5705f, v1
	v_sub_f32_e32 v19, v19, v21
	v_lshl_add_u64 v[10:11], s[40:41], 0, v[26:27]
	v_lshl_add_u64 v[12:13], s[40:41], 0, v[28:29]
	v_add_f32_e32 v19, v19, v20
	v_cvt_i32_f32_e32 v20, v21
	global_load_dword v2, v[2:3], off
	s_nop 0
	global_load_dword v3, v[4:5], off
	global_load_dword v21, v[6:7], off
	;; [unrolled: 1-line block ×5, first 2 shown]
	v_sub_f32_e32 v6, v46, v18
	v_mul_f32_e32 v7, 0x3fb8aa3b, v6
	v_fma_f32 v8, v6, s39, -v7
	v_rndne_f32_e32 v9, v7
	v_exp_f32_e32 v19, v19
	v_fmac_f32_e32 v8, 0x32a5705f, v6
	v_sub_f32_e32 v7, v7, v9
	v_add_f32_e32 v7, v7, v8
	v_exp_f32_e32 v7, v7
	v_cvt_i32_f32_e32 v8, v9
	s_mov_b32 s40, 0xc2ce8ed0
	v_ldexp_f32 v4, v19, v20
	v_cmp_ngt_f32_e64 s[30:31], s40, v1
	s_mov_b32 s41, 0x42b17218
	v_mov_b32_e32 v5, 0x7f800000
	v_cndmask_b32_e64 v4, 0, v4, s[30:31]
	v_cmp_nlt_f32_e64 s[30:31], s41, v1
	s_nop 1
	v_cndmask_b32_e64 v1, v5, v4, s[30:31]
	v_ldexp_f32 v4, v7, v8
	v_sub_f32_e32 v7, v47, v18
	v_mul_f32_e32 v8, 0x3fb8aa3b, v7
	v_fma_f32 v9, v7, s39, -v8
	v_rndne_f32_e32 v10, v8
	v_fmac_f32_e32 v9, 0x32a5705f, v7
	v_sub_f32_e32 v8, v8, v10
	v_add_f32_e32 v8, v8, v9
	v_exp_f32_e32 v8, v8
	v_cvt_i32_f32_e32 v9, v10
	v_cndmask_b32_e64 v1, 0, v1, s[28:29]
	v_cmp_ngt_f32_e64 s[28:29], s40, v6
	s_waitcnt vmcnt(13)
	v_mul_f32_e32 v1, v45, v1
	v_cndmask_b32_e64 v4, 0, v4, s[28:29]
	v_cmp_nlt_f32_e64 s[28:29], s41, v6
	v_ldexp_f32 v6, v8, v9
	v_sub_f32_e32 v8, v48, v18
	v_mul_f32_e32 v9, 0x3fb8aa3b, v8
	v_fma_f32 v10, v8, s39, -v9
	v_rndne_f32_e32 v11, v9
	v_fmac_f32_e32 v10, 0x32a5705f, v8
	v_sub_f32_e32 v9, v9, v11
	v_add_f32_e32 v9, v9, v10
	v_exp_f32_e32 v9, v9
	v_cvt_i32_f32_e32 v10, v11
	v_cndmask_b32_e64 v4, v5, v4, s[28:29]
	v_cndmask_b32_e64 v4, 0, v4, s[26:27]
	v_cmp_ngt_f32_e64 s[26:27], s40, v7
	s_waitcnt vmcnt(12)
	v_mul_f32_e32 v4, v53, v4
	v_cndmask_b32_e64 v6, 0, v6, s[26:27]
	v_cmp_nlt_f32_e64 s[26:27], s41, v7
	v_ldexp_f32 v7, v9, v10
	v_sub_f32_e32 v9, v49, v18
	v_mul_f32_e32 v10, 0x3fb8aa3b, v9
	v_fma_f32 v11, v9, s39, -v10
	v_rndne_f32_e32 v12, v10
	v_fmac_f32_e32 v11, 0x32a5705f, v9
	v_sub_f32_e32 v10, v10, v12
	v_add_f32_e32 v10, v10, v11
	v_exp_f32_e32 v10, v10
	v_cvt_i32_f32_e32 v11, v12
	v_cndmask_b32_e64 v6, v5, v6, s[26:27]
	;; [unrolled: 17-line block ×6, first 2 shown]
	v_cndmask_b32_e64 v10, 0, v10, s[16:17]
	v_cmp_ngt_f32_e64 s[16:17], s40, v12
	s_waitcnt vmcnt(7)
	v_mul_f32_e32 v10, v52, v10
	v_cndmask_b32_e64 v11, 0, v11, s[16:17]
	v_cmp_nlt_f32_e64 s[16:17], s41, v12
	v_ldexp_f32 v12, v14, v15
	v_sub_f32_e32 v14, v31, v18
	v_mul_f32_e32 v15, 0x3fb8aa3b, v14
	v_fma_f32 v16, v14, s39, -v15
	v_rndne_f32_e32 v17, v15
	v_fmac_f32_e32 v16, 0x32a5705f, v14
	v_sub_f32_e32 v15, v15, v17
	v_cndmask_b32_e64 v11, v5, v11, s[16:17]
	v_add_f32_e32 v15, v15, v16
	v_cndmask_b32_e64 v11, 0, v11, s[14:15]
	v_cmp_ngt_f32_e64 s[14:15], s40, v13
	v_exp_f32_e32 v15, v15
	v_cvt_i32_f32_e32 v16, v17
	v_cndmask_b32_e64 v12, 0, v12, s[14:15]
	v_cmp_nlt_f32_e64 s[14:15], s41, v13
	v_sub_f32_e32 v13, v32, v18
	s_waitcnt vmcnt(6)
	v_mul_f32_e32 v11, v54, v11
	v_cndmask_b32_e64 v12, v5, v12, s[14:15]
	v_cndmask_b32_e64 v12, 0, v12, s[12:13]
	s_waitcnt vmcnt(5)
	v_mul_f32_e32 v12, v2, v12
	v_ldexp_f32 v2, v15, v16
	v_mul_f32_e32 v15, 0x3fb8aa3b, v13
	v_fma_f32 v16, v13, s39, -v15
	v_rndne_f32_e32 v17, v15
	v_fmac_f32_e32 v16, 0x32a5705f, v13
	v_sub_f32_e32 v15, v15, v17
	v_add_f32_e32 v15, v15, v16
	v_cmp_ngt_f32_e64 s[12:13], s40, v14
	v_exp_f32_e32 v15, v15
	v_cvt_i32_f32_e32 v16, v17
	v_cndmask_b32_e64 v2, 0, v2, s[12:13]
	v_cmp_nlt_f32_e64 s[12:13], s41, v14
	v_sub_f32_e32 v14, v33, v18
	s_nop 0
	v_cndmask_b32_e64 v2, v5, v2, s[12:13]
	v_cndmask_b32_e64 v2, 0, v2, s[10:11]
	s_waitcnt vmcnt(4)
	v_mul_f32_e32 v3, v3, v2
	v_ldexp_f32 v2, v15, v16
	v_mul_f32_e32 v15, 0x3fb8aa3b, v14
	v_fma_f32 v16, v14, s39, -v15
	v_rndne_f32_e32 v17, v15
	v_fmac_f32_e32 v16, 0x32a5705f, v14
	v_sub_f32_e32 v15, v15, v17
	v_add_f32_e32 v15, v15, v16
	v_cmp_ngt_f32_e64 s[10:11], s40, v13
	v_exp_f32_e32 v15, v15
	v_cvt_i32_f32_e32 v16, v17
	v_cndmask_b32_e64 v2, 0, v2, s[10:11]
	v_cmp_nlt_f32_e64 s[10:11], s41, v13
	s_nop 1
	v_cndmask_b32_e64 v2, v5, v2, s[10:11]
	v_cndmask_b32_e64 v2, 0, v2, s[8:9]
	s_waitcnt vmcnt(3)
	v_mul_f32_e32 v13, v21, v2
	v_ldexp_f32 v2, v15, v16
	v_sub_f32_e32 v15, v34, v18
	v_mul_f32_e32 v16, 0x3fb8aa3b, v15
	v_fma_f32 v17, v15, s39, -v16
	v_rndne_f32_e32 v19, v16
	v_fmac_f32_e32 v17, 0x32a5705f, v15
	v_sub_f32_e32 v16, v16, v19
	v_add_f32_e32 v16, v16, v17
	v_exp_f32_e32 v16, v16
	v_cvt_i32_f32_e32 v17, v19
	v_cmp_ngt_f32_e64 s[8:9], s40, v14
	s_nop 1
	v_cndmask_b32_e64 v2, 0, v2, s[8:9]
	v_cmp_nlt_f32_e64 s[8:9], s41, v14
	v_ldexp_f32 v14, v16, v17
	v_sub_f32_e32 v16, v35, v18
	v_mul_f32_e32 v17, 0x3fb8aa3b, v16
	v_fma_f32 v18, v16, s39, -v17
	v_rndne_f32_e32 v19, v17
	v_fmac_f32_e32 v18, 0x32a5705f, v16
	v_sub_f32_e32 v17, v17, v19
	v_add_f32_e32 v17, v17, v18
	v_cndmask_b32_e64 v2, v5, v2, s[8:9]
	v_exp_f32_e32 v17, v17
	v_cvt_i32_f32_e32 v18, v19
	v_cndmask_b32_e64 v2, 0, v2, s[6:7]
	v_cmp_ngt_f32_e64 s[6:7], s40, v15
	s_nop 1
	v_cndmask_b32_e64 v14, 0, v14, s[6:7]
	v_cmp_nlt_f32_e64 s[6:7], s41, v15
	v_ldexp_f32 v15, v17, v18
	s_waitcnt vmcnt(2)
	v_mul_f32_e32 v17, v22, v2
	v_cndmask_b32_e64 v14, v5, v14, s[6:7]
	v_cndmask_b32_e64 v14, 0, v14, s[4:5]
	v_cmp_ngt_f32_e64 s[4:5], s40, v16
	v_lshlrev_b32_e32 v18, 2, v0
	ds_write2st64_b32 v18, v1, v4 offset1:1
	ds_write2st64_b32 v18, v6, v7 offset0:2 offset1:3
	ds_write2st64_b32 v18, v8, v9 offset0:4 offset1:5
	;; [unrolled: 1-line block ×3, first 2 shown]
	v_cndmask_b32_e64 v15, 0, v15, s[4:5]
	v_cmp_nlt_f32_e64 s[4:5], s41, v16
	s_nop 1
	v_cndmask_b32_e64 v5, v5, v15, s[4:5]
	v_add_f32_e32 v15, v1, v4
	v_add_f32_e32 v15, v15, v6
	;; [unrolled: 1-line block ×10, first 2 shown]
	v_fmac_f32_e32 v15, v22, v2
	v_cndmask_b32_e32 v5, 0, v5, vcc
	s_waitcnt vmcnt(1)
	v_fmac_f32_e32 v15, v23, v14
	s_waitcnt vmcnt(0)
	v_fmac_f32_e32 v15, v24, v5
	ds_bpermute_b32 v16, v39, v15
	v_cmp_eq_u32_e32 vcc, 0, v0
	v_mul_f32_e32 v14, v23, v14
	v_mul_f32_e32 v5, v24, v5
	ds_write2st64_b32 v18, v12, v3 offset0:8 offset1:9
	ds_write2st64_b32 v18, v13, v17 offset0:10 offset1:11
	;; [unrolled: 1-line block ×3, first 2 shown]
	s_waitcnt lgkmcnt(3)
	v_add_f32_e32 v15, v15, v16
	ds_bpermute_b32 v16, v40, v15
	s_waitcnt lgkmcnt(0)
	v_add_f32_e32 v15, v15, v16
	ds_bpermute_b32 v16, v41, v15
	;; [unrolled: 3-line block ×5, first 2 shown]
	s_and_saveexec_b64 s[4:5], vcc
	s_cbranch_execz .LBB89_8
; %bb.7:
	s_waitcnt lgkmcnt(0)
	v_add_f32_e32 v1, v1, v2
	v_mov_b32_e32 v2, 0
	ds_write_b32 v2, v1 offset:3584
.LBB89_8:
	s_or_b64 exec, exec, s[4:5]
	v_mov_b32_e32 v1, s38
.LBB89_9:
	s_or_b64 exec, exec, s[50:51]
	s_lshl_b32 s4, s52, 6
	s_mov_b32 s5, 0
	s_lshl_b64 s[4:5], s[4:5], 1
	s_add_u32 s4, s36, s4
	s_addc_u32 s5, s37, s5
	s_lshl_b32 s10, s33, 6
	s_sub_i32 s11, s10, 64
	s_waitcnt lgkmcnt(0)
	v_lshlrev_b32_e32 v2, 6, v1
	v_mov_b32_e32 v3, 0
	s_cmp_lt_i32 s56, 1
	v_lshl_add_u64 v[4:5], v[2:3], 1, s[4:5]
	s_cselect_b32 s4, s11, 0
	v_lshlrev_b32_e32 v2, 1, v0
	s_ashr_i32 s5, s4, 31
	v_lshl_add_u64 v[0:1], v[4:5], 0, v[2:3]
	s_cmpk_lt_i32 s56, 0x101
	v_lshl_add_u64 v[12:13], s[4:5], 1, v[0:1]
	s_cselect_b32 s4, s11, 64
	s_ashr_i32 s5, s4, 31
	s_cmpk_lt_i32 s56, 0x201
	v_lshl_add_u64 v[14:15], s[4:5], 1, v[0:1]
	s_cselect_b32 s4, s11, 0x80
	s_ashr_i32 s5, s4, 31
	;; [unrolled: 4-line block ×8, first 2 shown]
	s_cmpk_lt_i32 s56, 0x901
	global_load_ushort v4, v[12:13], off
	global_load_ushort v5, v[14:15], off
	;; [unrolled: 1-line block ×8, first 2 shown]
	v_lshl_add_u64 v[20:21], s[4:5], 1, v[0:1]
	s_cselect_b32 s4, s11, 0x240
	s_ashr_i32 s5, s4, 31
	s_cmpk_lt_i32 s56, 0xa01
	v_lshl_add_u64 v[22:23], s[4:5], 1, v[0:1]
	s_cselect_b32 s4, s11, 0x280
	s_ashr_i32 s5, s4, 31
	s_cmpk_lt_i32 s56, 0xb01
	;; [unrolled: 4-line block ×6, first 2 shown]
	v_lshl_add_u64 v[32:33], s[4:5], 1, v[0:1]
	s_cselect_b32 s4, s11, 0x3c0
	s_ashr_i32 s5, s4, 31
	v_lshl_add_u64 v[34:35], s[4:5], 1, v[0:1]
	global_load_ushort v12, v[20:21], off
	global_load_ushort v13, v[22:23], off
	;; [unrolled: 1-line block ×8, first 2 shown]
	s_cmpk_gt_i32 s56, 0x1000
	s_cselect_b64 s[8:9], -1, 0
	s_cmpk_lt_i32 s56, 0x1001
	v_mov_b32_e32 v36, 0
	v_mov_b32_e32 v37, 0
	;; [unrolled: 1-line block ×48, first 2 shown]
	s_waitcnt lgkmcnt(0)
	; wave barrier
	s_cbranch_scc1 .LBB89_12
; %bb.10:
	s_cmpk_lt_u32 s56, 0x1101
	s_cselect_b32 s4, s11, 0x440
	s_ashr_i32 s5, s4, 31
	s_cmpk_lt_u32 s56, 0x1201
	v_lshl_add_u64 v[28:29], s[4:5], 1, v[0:1]
	s_cselect_b32 s4, s11, 0x480
	s_ashr_i32 s5, s4, 31
	s_cmpk_lt_u32 s56, 0x1301
	v_lshl_add_u64 v[30:31], s[4:5], 1, v[0:1]
	s_cselect_b32 s4, s11, 0x4c0
	s_ashr_i32 s5, s4, 31
	s_cmpk_lt_u32 s56, 0x1401
	v_lshl_add_u64 v[32:33], s[4:5], 1, v[0:1]
	s_cselect_b32 s4, s11, 0x500
	s_ashr_i32 s5, s4, 31
	s_cmpk_lt_u32 s56, 0x1501
	v_lshl_add_u64 v[34:35], s[4:5], 1, v[0:1]
	s_cselect_b32 s4, s11, 0x540
	s_ashr_i32 s5, s4, 31
	s_cmpk_lt_u32 s56, 0x1601
	v_lshl_add_u64 v[36:37], s[4:5], 1, v[0:1]
	s_cselect_b32 s4, s11, 0x580
	s_ashr_i32 s5, s4, 31
	s_cmpk_lt_u32 s56, 0x1701
	v_lshl_add_u64 v[38:39], s[4:5], 1, v[0:1]
	s_cselect_b32 s4, s11, 0x5c0
	s_ashr_i32 s5, s4, 31
	s_cmpk_lt_u32 s56, 0x1801
	v_lshl_add_u64 v[40:41], s[4:5], 1, v[0:1]
	s_cselect_b32 s4, s11, 0x600
	s_ashr_i32 s5, s4, 31
	s_cmpk_lt_u32 s56, 0x1901
	global_load_ushort v27, v[0:1], off offset:2048
	global_load_ushort v26, v[28:29], off
	global_load_ushort v25, v[30:31], off
	;; [unrolled: 1-line block ×7, first 2 shown]
	v_lshl_add_u64 v[36:37], s[4:5], 1, v[0:1]
	s_cselect_b32 s4, s11, 0x640
	s_ashr_i32 s5, s4, 31
	s_cmpk_lt_u32 s56, 0x1a01
	v_lshl_add_u64 v[38:39], s[4:5], 1, v[0:1]
	s_cselect_b32 s4, s11, 0x680
	s_ashr_i32 s5, s4, 31
	s_cmpk_lt_u32 s56, 0x1b01
	;; [unrolled: 4-line block ×6, first 2 shown]
	v_lshl_add_u64 v[48:49], s[4:5], 1, v[0:1]
	s_cselect_b32 s4, s11, 0x7c0
	s_ashr_i32 s5, s4, 31
	v_lshl_add_u64 v[50:51], s[4:5], 1, v[0:1]
	global_load_ushort v35, v[36:37], off
	global_load_ushort v34, v[38:39], off
	;; [unrolled: 1-line block ×8, first 2 shown]
	s_cmpk_lt_u32 s56, 0x2001
	v_mov_b32_e32 v67, 0
	v_mov_b32_e32 v66, 0
	;; [unrolled: 1-line block ×32, first 2 shown]
	s_cbranch_scc1 .LBB89_12
; %bb.11:
	s_cmpk_lt_u32 s56, 0x2101
	s_cselect_b32 s4, s11, 0x840
	s_ashr_i32 s5, s4, 31
	s_cmpk_lt_u32 s56, 0x2201
	v_lshl_add_u64 v[38:39], s[4:5], 1, v[0:1]
	s_cselect_b32 s4, s11, 0x880
	s_ashr_i32 s5, s4, 31
	s_cmpk_lt_u32 s56, 0x2301
	v_lshl_add_u64 v[40:41], s[4:5], 1, v[0:1]
	;; [unrolled: 4-line block ×7, first 2 shown]
	s_cselect_b32 s4, s11, 0xa00
	v_add_co_u32_e32 v36, vcc, 0x1000, v0
	s_ashr_i32 s5, s4, 31
	s_nop 0
	v_addc_co_u32_e32 v37, vcc, 0, v1, vcc
	s_cmpk_lt_u32 s56, 0x2901
	global_load_ushort v52, v[36:37], off
	global_load_ushort v53, v[38:39], off
	;; [unrolled: 1-line block ×8, first 2 shown]
	v_lshl_add_u64 v[36:37], s[4:5], 1, v[0:1]
	s_cselect_b32 s4, s11, 0xa40
	s_ashr_i32 s5, s4, 31
	s_cmpk_lt_u32 s56, 0x2a01
	v_lshl_add_u64 v[38:39], s[4:5], 1, v[0:1]
	s_cselect_b32 s4, s11, 0xa80
	s_ashr_i32 s5, s4, 31
	s_cmpk_lt_u32 s56, 0x2b01
	;; [unrolled: 4-line block ×8, first 2 shown]
	global_load_ushort v68, v[36:37], off
	global_load_ushort v69, v[38:39], off
	;; [unrolled: 1-line block ×8, first 2 shown]
	v_lshl_add_u64 v[36:37], s[4:5], 1, v[0:1]
	s_cselect_b32 s4, s11, 0xc40
	s_ashr_i32 s5, s4, 31
	s_cmpk_lt_u32 s56, 0x3201
	v_lshl_add_u64 v[38:39], s[4:5], 1, v[0:1]
	s_cselect_b32 s4, s11, 0xc80
	s_ashr_i32 s5, s4, 31
	s_cmpk_lt_u32 s56, 0x3301
	;; [unrolled: 4-line block ×8, first 2 shown]
	global_load_ushort v76, v[36:37], off
	global_load_ushort v77, v[38:39], off
	;; [unrolled: 1-line block ×8, first 2 shown]
	v_lshl_add_u64 v[36:37], s[4:5], 1, v[0:1]
	s_cselect_b32 s4, s11, 0xe40
	s_ashr_i32 s5, s4, 31
	s_cmpk_lt_u32 s56, 0x3a01
	v_lshl_add_u64 v[38:39], s[4:5], 1, v[0:1]
	s_cselect_b32 s4, s11, 0xe80
	s_ashr_i32 s5, s4, 31
	s_cmpk_lt_u32 s56, 0x3b01
	;; [unrolled: 4-line block ×6, first 2 shown]
	v_lshl_add_u64 v[48:49], s[4:5], 1, v[0:1]
	s_cselect_b32 s4, s11, 0xfc0
	s_ashr_i32 s5, s4, 31
	v_lshl_add_u64 v[50:51], s[4:5], 1, v[0:1]
	global_load_ushort v84, v[36:37], off
	global_load_ushort v85, v[38:39], off
	;; [unrolled: 1-line block ×8, first 2 shown]
	s_waitcnt vmcnt(31)
	v_cvt_f32_f16_e32 v67, v52
	s_waitcnt vmcnt(30)
	v_cvt_f32_f16_e32 v66, v53
	;; [unrolled: 2-line block ×32, first 2 shown]
.LBB89_12:
	ds_read_b128 v[68:71], v3
	s_load_dwordx2 s[4:5], s[0:1], 0x0
	s_load_dwordx2 s[6:7], s[0:1], 0x38
	ds_read_b128 v[72:75], v3 offset:16
	ds_read_b128 v[76:79], v3 offset:32
	;; [unrolled: 1-line block ×3, first 2 shown]
	s_and_b64 vcc, exec, s[8:9]
	s_waitcnt vmcnt(15) lgkmcnt(0)
	v_fma_mix_f32 v4, v68, v4, 0 op_sel_hi:[0,1,0]
	s_waitcnt vmcnt(14)
	v_fma_mix_f32 v4, v69, v5, v4 op_sel_hi:[0,1,0]
	s_waitcnt vmcnt(13)
	;; [unrolled: 2-line block ×15, first 2 shown]
	v_fma_mix_f32 v4, v83, v19, v4 op_sel_hi:[0,1,0]
	s_cbranch_vccz .LBB89_15
; %bb.13:
	ds_read_b128 v[6:9], v3 offset:64
	ds_read_b128 v[10:13], v3 offset:80
	;; [unrolled: 1-line block ×4, first 2 shown]
	s_cmpk_lt_u32 s56, 0x2001
	s_waitcnt lgkmcnt(3)
	v_fma_mix_f32 v3, v6, v27, v4 op_sel_hi:[0,1,0]
	v_fma_mix_f32 v3, v7, v26, v3 op_sel_hi:[0,1,0]
	v_fma_mix_f32 v3, v8, v25, v3 op_sel_hi:[0,1,0]
	v_fma_mix_f32 v3, v9, v24, v3 op_sel_hi:[0,1,0]
	s_waitcnt lgkmcnt(2)
	v_fma_mix_f32 v3, v10, v23, v3 op_sel_hi:[0,1,0]
	v_fma_mix_f32 v3, v11, v22, v3 op_sel_hi:[0,1,0]
	v_fma_mix_f32 v3, v12, v21, v3 op_sel_hi:[0,1,0]
	v_fma_mix_f32 v3, v13, v20, v3 op_sel_hi:[0,1,0]
	;; [unrolled: 5-line block ×4, first 2 shown]
	s_cbranch_scc1 .LBB89_15
; %bb.14:
	v_mov_b32_e32 v3, 0
	ds_read_b128 v[6:9], v3 offset:128
	ds_read_b128 v[10:13], v3 offset:144
	;; [unrolled: 1-line block ×4, first 2 shown]
	s_waitcnt lgkmcnt(3)
	v_fmac_f32_e32 v4, v6, v67
	v_fmac_f32_e32 v4, v7, v66
	v_fmac_f32_e32 v4, v8, v65
	v_fmac_f32_e32 v4, v9, v64
	s_waitcnt lgkmcnt(2)
	v_fmac_f32_e32 v4, v10, v63
	v_fmac_f32_e32 v4, v11, v62
	v_fmac_f32_e32 v4, v12, v61
	v_fmac_f32_e32 v4, v13, v60
	;; [unrolled: 5-line block ×3, first 2 shown]
	ds_read_b128 v[6:9], v3 offset:192
	ds_read_b128 v[10:13], v3 offset:208
	s_waitcnt lgkmcnt(2)
	v_fmac_f32_e32 v4, v18, v55
	v_fmac_f32_e32 v4, v19, v54
	;; [unrolled: 1-line block ×4, first 2 shown]
	s_waitcnt lgkmcnt(1)
	v_fmac_f32_e32 v4, v6, v51
	v_fmac_f32_e32 v4, v7, v50
	;; [unrolled: 1-line block ×4, first 2 shown]
	ds_read_b128 v[6:9], v3 offset:224
	s_waitcnt lgkmcnt(1)
	v_fmac_f32_e32 v4, v10, v47
	v_fmac_f32_e32 v4, v11, v46
	;; [unrolled: 1-line block ×4, first 2 shown]
	ds_read_b128 v[10:13], v3 offset:240
	s_waitcnt lgkmcnt(1)
	v_fmac_f32_e32 v4, v6, v43
	v_fmac_f32_e32 v4, v7, v42
	;; [unrolled: 1-line block ×4, first 2 shown]
	s_waitcnt lgkmcnt(0)
	v_fmac_f32_e32 v4, v10, v39
	v_fmac_f32_e32 v4, v11, v38
	;; [unrolled: 1-line block ×4, first 2 shown]
.LBB89_15:
	s_movk_i32 s0, 0x1fc0
	s_movk_i32 s1, 0x100
	s_mov_b32 s8, 64
	s_branch .LBB89_17
.LBB89_16:                              ;   in Loop: Header=BB89_17 Depth=1
	s_addk_i32 s0, 0x1000
	s_addk_i32 s1, 0x100
	s_add_i32 s8, s8, 64
	s_cmpk_eq_u32 s0, 0xefc0
	s_cbranch_scc1 .LBB89_19
.LBB89_17:                              ; =>This Inner Loop Header: Depth=1
	s_cmp_le_i32 s33, s8
	s_cbranch_scc1 .LBB89_16
; %bb.18:                               ;   in Loop: Header=BB89_17 Depth=1
	s_add_i32 s9, s0, 0xfffff040
	s_cmp_lt_i32 s9, s10
	s_cselect_b32 s12, s9, s11
	s_ashr_i32 s13, s12, 31
	s_add_i32 s9, s0, 0xfffff080
	s_cmp_lt_i32 s9, s10
	v_lshl_add_u64 v[12:13], s[12:13], 1, v[0:1]
	s_cselect_b32 s12, s9, s11
	s_ashr_i32 s13, s12, 31
	s_add_i32 s9, s0, 0xfffff0c0
	s_cmp_lt_i32 s9, s10
	v_lshl_add_u64 v[14:15], s[12:13], 1, v[0:1]
	;; [unrolled: 5-line block ×8, first 2 shown]
	s_cselect_b32 s12, s9, s11
	s_ashr_i32 s13, s12, 31
	s_add_i32 s9, s0, 0xfffff280
	s_cmp_lt_i32 s9, s10
	global_load_ushort v3, v[12:13], off
	global_load_ushort v5, v[14:15], off
	global_load_ushort v6, v[16:17], off
	global_load_ushort v7, v[18:19], off
	global_load_ushort v8, v[20:21], off
	global_load_ushort v9, v[22:23], off
	global_load_ushort v10, v[24:25], off
	global_load_ushort v11, v[26:27], off
	v_lshl_add_u64 v[12:13], s[12:13], 1, v[0:1]
	s_cselect_b32 s12, s9, s11
	s_ashr_i32 s13, s12, 31
	s_add_i32 s9, s0, 0xfffff2c0
	s_cmp_lt_i32 s9, s10
	v_lshl_add_u64 v[14:15], s[12:13], 1, v[0:1]
	s_cselect_b32 s12, s9, s11
	s_ashr_i32 s13, s12, 31
	s_add_i32 s9, s0, 0xfffff300
	s_cmp_lt_i32 s9, s10
	v_lshl_add_u64 v[16:17], s[12:13], 1, v[0:1]
	s_cselect_b32 s12, s9, s11
	s_ashr_i32 s13, s12, 31
	s_add_i32 s9, s0, 0xfffff340
	s_cmp_lt_i32 s9, s10
	v_lshl_add_u64 v[18:19], s[12:13], 1, v[0:1]
	s_cselect_b32 s12, s9, s11
	s_ashr_i32 s13, s12, 31
	s_add_i32 s9, s0, 0xfffff380
	s_cmp_lt_i32 s9, s10
	v_lshl_add_u64 v[20:21], s[12:13], 1, v[0:1]
	s_cselect_b32 s12, s9, s11
	s_ashr_i32 s13, s12, 31
	s_add_i32 s9, s0, 0xfffff3c0
	s_cmp_lt_i32 s9, s10
	v_lshl_add_u64 v[22:23], s[12:13], 1, v[0:1]
	s_cselect_b32 s12, s9, s11
	s_ashr_i32 s13, s12, 31
	s_add_i32 s9, s0, 0xfffff400
	s_cmp_lt_i32 s9, s10
	v_lshl_add_u64 v[24:25], s[12:13], 1, v[0:1]
	s_cselect_b32 s12, s9, s11
	s_ashr_i32 s13, s12, 31
	s_add_i32 s9, s0, 0xfffff440
	s_cmp_lt_i32 s9, s10
	v_lshl_add_u64 v[26:27], s[12:13], 1, v[0:1]
	s_cselect_b32 s12, s9, s11
	s_ashr_i32 s13, s12, 31
	s_add_i32 s9, s0, 0xfffff480
	s_cmp_lt_i32 s9, s10
	global_load_ushort v28, v[12:13], off
	global_load_ushort v29, v[14:15], off
	global_load_ushort v30, v[16:17], off
	global_load_ushort v31, v[18:19], off
	global_load_ushort v32, v[20:21], off
	global_load_ushort v33, v[22:23], off
	global_load_ushort v34, v[24:25], off
	global_load_ushort v35, v[26:27], off
	v_lshl_add_u64 v[12:13], s[12:13], 1, v[0:1]
	s_cselect_b32 s12, s9, s11
	s_ashr_i32 s13, s12, 31
	s_add_i32 s9, s0, 0xfffff4c0
	s_cmp_lt_i32 s9, s10
	v_lshl_add_u64 v[14:15], s[12:13], 1, v[0:1]
	s_cselect_b32 s12, s9, s11
	s_ashr_i32 s13, s12, 31
	s_add_i32 s9, s0, 0xfffff500
	s_cmp_lt_i32 s9, s10
	v_lshl_add_u64 v[16:17], s[12:13], 1, v[0:1]
	s_cselect_b32 s12, s9, s11
	s_ashr_i32 s13, s12, 31
	s_add_i32 s9, s0, 0xfffff540
	s_cmp_lt_i32 s9, s10
	v_lshl_add_u64 v[18:19], s[12:13], 1, v[0:1]
	s_cselect_b32 s12, s9, s11
	s_ashr_i32 s13, s12, 31
	s_add_i32 s9, s0, 0xfffff580
	s_cmp_lt_i32 s9, s10
	v_lshl_add_u64 v[20:21], s[12:13], 1, v[0:1]
	s_cselect_b32 s12, s9, s11
	s_ashr_i32 s13, s12, 31
	s_add_i32 s9, s0, 0xfffff5c0
	s_cmp_lt_i32 s9, s10
	v_lshl_add_u64 v[22:23], s[12:13], 1, v[0:1]
	s_cselect_b32 s12, s9, s11
	s_ashr_i32 s13, s12, 31
	s_add_i32 s9, s0, 0xfffff600
	s_cmp_lt_i32 s9, s10
	v_lshl_add_u64 v[24:25], s[12:13], 1, v[0:1]
	s_cselect_b32 s12, s9, s11
	s_ashr_i32 s13, s12, 31
	s_add_i32 s9, s0, 0xfffff640
	s_cmp_lt_i32 s9, s10
	v_lshl_add_u64 v[26:27], s[12:13], 1, v[0:1]
	;; [unrolled: 48-line block ×6, first 2 shown]
	s_cselect_b32 s12, s9, s11
	s_ashr_i32 s13, s12, 31
	s_add_i32 s9, s0, 0xfffffe80
	s_cmp_lt_i32 s9, s10
	global_load_ushort v68, v[12:13], off
	global_load_ushort v69, v[14:15], off
	;; [unrolled: 1-line block ×8, first 2 shown]
	v_lshl_add_u64 v[12:13], s[12:13], 1, v[0:1]
	s_cselect_b32 s12, s9, s11
	s_ashr_i32 s13, s12, 31
	s_add_i32 s9, s0, 0xfffffec0
	s_cmp_lt_i32 s9, s10
	v_lshl_add_u64 v[14:15], s[12:13], 1, v[0:1]
	s_cselect_b32 s12, s9, s11
	s_ashr_i32 s13, s12, 31
	s_add_i32 s9, s0, 0xffffff00
	s_cmp_lt_i32 s9, s10
	;; [unrolled: 5-line block ×4, first 2 shown]
	v_lshl_add_u64 v[20:21], s[12:13], 1, v[0:1]
	s_cselect_b32 s12, s9, s11
	s_ashr_i32 s13, s12, 31
	s_sub_i32 s9, s0, 64
	s_cmp_lt_i32 s9, s10
	v_lshl_add_u64 v[22:23], s[12:13], 1, v[0:1]
	s_cselect_b32 s12, s9, s11
	s_ashr_i32 s13, s12, 31
	s_cmp_lt_i32 s0, s10
	v_lshl_add_u64 v[24:25], s[12:13], 1, v[0:1]
	s_cselect_b32 s12, s0, s11
	s_ashr_i32 s13, s12, 31
	v_lshl_add_u64 v[26:27], s[12:13], 1, v[0:1]
	global_load_ushort v76, v[12:13], off
	global_load_ushort v77, v[14:15], off
	;; [unrolled: 1-line block ×8, first 2 shown]
	v_mov_b32_e32 v84, s1
	ds_read_b128 v[12:15], v84
	ds_read_b128 v[16:19], v84 offset:16
	ds_read_b128 v[20:23], v84 offset:32
	;; [unrolled: 1-line block ×3, first 2 shown]
	s_waitcnt vmcnt(62) lgkmcnt(3)
	v_fma_mix_f32 v3, v12, v3, v4 op_sel_hi:[0,1,0]
	v_fma_mix_f32 v3, v13, v5, v3 op_sel_hi:[0,1,0]
	s_waitcnt vmcnt(61)
	v_fma_mix_f32 v3, v14, v6, v3 op_sel_hi:[0,1,0]
	s_waitcnt vmcnt(60)
	v_fma_mix_f32 v3, v15, v7, v3 op_sel_hi:[0,1,0]
	s_waitcnt vmcnt(59) lgkmcnt(2)
	v_fma_mix_f32 v3, v16, v8, v3 op_sel_hi:[0,1,0]
	s_waitcnt vmcnt(58)
	v_fma_mix_f32 v3, v17, v9, v3 op_sel_hi:[0,1,0]
	s_waitcnt vmcnt(57)
	;; [unrolled: 2-line block ×3, first 2 shown]
	v_fma_mix_f32 v3, v19, v11, v3 op_sel_hi:[0,1,0]
	s_waitcnt vmcnt(55) lgkmcnt(1)
	v_fma_mix_f32 v3, v20, v28, v3 op_sel_hi:[0,1,0]
	s_waitcnt vmcnt(54)
	v_fma_mix_f32 v3, v21, v29, v3 op_sel_hi:[0,1,0]
	s_waitcnt vmcnt(53)
	v_fma_mix_f32 v3, v22, v30, v3 op_sel_hi:[0,1,0]
	s_waitcnt vmcnt(52)
	v_fma_mix_f32 v3, v23, v31, v3 op_sel_hi:[0,1,0]
	ds_read_b128 v[4:7], v84 offset:64
	ds_read_b128 v[8:11], v84 offset:80
	s_waitcnt vmcnt(51) lgkmcnt(2)
	v_fma_mix_f32 v3, v24, v32, v3 op_sel_hi:[0,1,0]
	s_waitcnt vmcnt(50)
	v_fma_mix_f32 v3, v25, v33, v3 op_sel_hi:[0,1,0]
	s_waitcnt vmcnt(49)
	;; [unrolled: 2-line block ×3, first 2 shown]
	v_fma_mix_f32 v3, v27, v35, v3 op_sel_hi:[0,1,0]
	s_waitcnt vmcnt(47) lgkmcnt(1)
	v_fma_mix_f32 v3, v4, v36, v3 op_sel_hi:[0,1,0]
	s_waitcnt vmcnt(46)
	v_fma_mix_f32 v3, v5, v37, v3 op_sel_hi:[0,1,0]
	s_waitcnt vmcnt(45)
	v_fma_mix_f32 v3, v6, v38, v3 op_sel_hi:[0,1,0]
	s_waitcnt vmcnt(44)
	v_fma_mix_f32 v3, v7, v39, v3 op_sel_hi:[0,1,0]
	ds_read_b128 v[4:7], v84 offset:96
	s_waitcnt vmcnt(43) lgkmcnt(1)
	v_fma_mix_f32 v3, v8, v40, v3 op_sel_hi:[0,1,0]
	s_waitcnt vmcnt(42)
	v_fma_mix_f32 v3, v9, v41, v3 op_sel_hi:[0,1,0]
	s_waitcnt vmcnt(41)
	v_fma_mix_f32 v3, v10, v42, v3 op_sel_hi:[0,1,0]
	s_waitcnt vmcnt(40)
	v_fma_mix_f32 v3, v11, v43, v3 op_sel_hi:[0,1,0]
	ds_read_b128 v[8:11], v84 offset:112
	;; [unrolled: 9-line block ×10, first 2 shown]
	s_waitcnt vmcnt(7) lgkmcnt(1)
	v_fma_mix_f32 v3, v4, v76, v3 op_sel_hi:[0,1,0]
	s_waitcnt vmcnt(6)
	v_fma_mix_f32 v3, v5, v77, v3 op_sel_hi:[0,1,0]
	s_waitcnt vmcnt(5)
	v_fma_mix_f32 v3, v6, v78, v3 op_sel_hi:[0,1,0]
	s_waitcnt vmcnt(4)
	v_fma_mix_f32 v3, v7, v79, v3 op_sel_hi:[0,1,0]
	s_waitcnt vmcnt(3) lgkmcnt(0)
	v_fma_mix_f32 v3, v8, v80, v3 op_sel_hi:[0,1,0]
	s_waitcnt vmcnt(2)
	v_fma_mix_f32 v3, v9, v81, v3 op_sel_hi:[0,1,0]
	s_waitcnt vmcnt(1)
	;; [unrolled: 2-line block ×3, first 2 shown]
	v_fma_mix_f32 v4, v11, v83, v3 op_sel_hi:[0,1,0]
	s_branch .LBB89_16
.LBB89_19:
	v_mov_b32_e32 v0, 0
	ds_read_b32 v1, v0 offset:3584
	s_cmp_lg_u64 s[6:7], 0
	s_cbranch_scc0 .LBB89_24
; %bb.20:
	s_load_dword s6, s[6:7], 0x0
	s_waitcnt lgkmcnt(0)
	v_div_scale_f32 v0, s[0:1], s6, s6, 1.0
	v_rcp_f32_e32 v3, v0
	v_div_scale_f32 v5, vcc, 1.0, s6, 1.0
	v_fma_f32 v6, -v0, v3, 1.0
	v_fmac_f32_e32 v3, v6, v3
	v_mul_f32_e32 v6, v5, v3
	v_fma_f32 v7, -v0, v6, v5
	v_fmac_f32_e32 v6, v7, v3
	v_fma_f32 v0, -v0, v6, v5
	v_div_fmas_f32 v0, v0, v3, v6
	v_div_fixup_f32 v0, v0, s6, 1.0
	s_andn2_b64 vcc, exec, s[46:47]
	s_cbranch_vccnz .LBB89_22
.LBB89_21:
	s_add_u32 s0, s44, s48
	s_addc_u32 s1, s45, s49
	s_load_dword s34, s[0:1], 0x0
	s_mov_b32 s35, 0
.LBB89_22:
	s_waitcnt lgkmcnt(0)
	v_add_f32_e32 v1, 0x358637bd, v1
	v_div_scale_f32 v3, s[0:1], v1, v1, 1.0
	v_rcp_f32_e32 v5, v3
	v_div_scale_f32 v6, vcc, 1.0, v1, 1.0
	s_mul_i32 s0, s3, s35
	v_fma_f32 v7, -v3, v5, 1.0
	v_fmac_f32_e32 v5, v7, v5
	v_mul_f32_e32 v7, v6, v5
	v_fma_f32 v8, -v3, v7, v6
	s_mul_hi_u32 s1, s3, s34
	v_fmac_f32_e32 v7, v8, v5
	s_add_i32 s1, s1, s0
	s_mul_i32 s0, s3, s34
	v_fma_f32 v3, -v3, v7, v6
	s_lshl_b64 s[0:1], s[0:1], 7
	v_div_fmas_f32 v3, v3, v5, v7
	s_add_u32 s4, s4, s0
	s_mov_b32 s3, 0
	v_div_fixup_f32 v1, v3, v1, 1.0
	s_addc_u32 s5, s5, s1
	s_lshl_b64 s[0:1], s[2:3], 7
	v_mul_f32_e32 v1, v4, v1
	s_add_u32 s0, s4, s0
	s_addc_u32 s1, s5, s1
	v_fma_mixlo_f16 v0, v1, v0, 0
	global_store_short v2, v0, s[0:1]
	s_endpgm
.LBB89_23:
	s_mov_b64 s[6:7], 0
	s_branch .LBB89_2
.LBB89_24:
	v_mov_b32_e32 v0, 1.0
	s_andn2_b64 vcc, exec, s[46:47]
	s_cbranch_vccz .LBB89_21
	s_branch .LBB89_22
	.section	.rodata,"a",@progbits
	.p2align	6, 0x0
	.amdhsa_kernel _Z35paged_attention_ll4mi_reduce_kernelIDF16_DF16_Li64ELi64ELi256ELi14EEvPT0_PKfS3_PKT_PKiS8_iS3_
		.amdhsa_group_segment_fixed_size 3588
		.amdhsa_private_segment_fixed_size 0
		.amdhsa_kernarg_size 320
		.amdhsa_user_sgpr_count 2
		.amdhsa_user_sgpr_dispatch_ptr 0
		.amdhsa_user_sgpr_queue_ptr 0
		.amdhsa_user_sgpr_kernarg_segment_ptr 1
		.amdhsa_user_sgpr_dispatch_id 0
		.amdhsa_user_sgpr_kernarg_preload_length 0
		.amdhsa_user_sgpr_kernarg_preload_offset 0
		.amdhsa_user_sgpr_private_segment_size 0
		.amdhsa_uses_dynamic_stack 0
		.amdhsa_enable_private_segment 0
		.amdhsa_system_sgpr_workgroup_id_x 1
		.amdhsa_system_sgpr_workgroup_id_y 1
		.amdhsa_system_sgpr_workgroup_id_z 0
		.amdhsa_system_sgpr_workgroup_info 0
		.amdhsa_system_vgpr_workitem_id 0
		.amdhsa_next_free_vgpr 92
		.amdhsa_next_free_sgpr 57
		.amdhsa_accum_offset 92
		.amdhsa_reserve_vcc 1
		.amdhsa_float_round_mode_32 0
		.amdhsa_float_round_mode_16_64 0
		.amdhsa_float_denorm_mode_32 3
		.amdhsa_float_denorm_mode_16_64 3
		.amdhsa_dx10_clamp 1
		.amdhsa_ieee_mode 1
		.amdhsa_fp16_overflow 0
		.amdhsa_tg_split 0
		.amdhsa_exception_fp_ieee_invalid_op 0
		.amdhsa_exception_fp_denorm_src 0
		.amdhsa_exception_fp_ieee_div_zero 0
		.amdhsa_exception_fp_ieee_overflow 0
		.amdhsa_exception_fp_ieee_underflow 0
		.amdhsa_exception_fp_ieee_inexact 0
		.amdhsa_exception_int_div_zero 0
	.end_amdhsa_kernel
	.section	.text._Z35paged_attention_ll4mi_reduce_kernelIDF16_DF16_Li64ELi64ELi256ELi14EEvPT0_PKfS3_PKT_PKiS8_iS3_,"axG",@progbits,_Z35paged_attention_ll4mi_reduce_kernelIDF16_DF16_Li64ELi64ELi256ELi14EEvPT0_PKfS3_PKT_PKiS8_iS3_,comdat
.Lfunc_end89:
	.size	_Z35paged_attention_ll4mi_reduce_kernelIDF16_DF16_Li64ELi64ELi256ELi14EEvPT0_PKfS3_PKT_PKiS8_iS3_, .Lfunc_end89-_Z35paged_attention_ll4mi_reduce_kernelIDF16_DF16_Li64ELi64ELi256ELi14EEvPT0_PKfS3_PKT_PKiS8_iS3_
                                        ; -- End function
	.section	.AMDGPU.csdata,"",@progbits
; Kernel info:
; codeLenInByte = 10300
; NumSgprs: 63
; NumVgprs: 92
; NumAgprs: 0
; TotalNumVgprs: 92
; ScratchSize: 0
; MemoryBound: 0
; FloatMode: 240
; IeeeMode: 1
; LDSByteSize: 3588 bytes/workgroup (compile time only)
; SGPRBlocks: 7
; VGPRBlocks: 11
; NumSGPRsForWavesPerEU: 63
; NumVGPRsForWavesPerEU: 92
; AccumOffset: 92
; Occupancy: 5
; WaveLimiterHint : 1
; COMPUTE_PGM_RSRC2:SCRATCH_EN: 0
; COMPUTE_PGM_RSRC2:USER_SGPR: 2
; COMPUTE_PGM_RSRC2:TRAP_HANDLER: 0
; COMPUTE_PGM_RSRC2:TGID_X_EN: 1
; COMPUTE_PGM_RSRC2:TGID_Y_EN: 1
; COMPUTE_PGM_RSRC2:TGID_Z_EN: 0
; COMPUTE_PGM_RSRC2:TIDIG_COMP_CNT: 0
; COMPUTE_PGM_RSRC3_GFX90A:ACCUM_OFFSET: 22
; COMPUTE_PGM_RSRC3_GFX90A:TG_SPLIT: 0
	.section	.text._Z35paged_attention_ll4mi_reduce_kernelIDF16_DF16_Li64ELi64ELi256ELi15EEvPT0_PKfS3_PKT_PKiS8_iS3_,"axG",@progbits,_Z35paged_attention_ll4mi_reduce_kernelIDF16_DF16_Li64ELi64ELi256ELi15EEvPT0_PKfS3_PKT_PKiS8_iS3_,comdat
	.protected	_Z35paged_attention_ll4mi_reduce_kernelIDF16_DF16_Li64ELi64ELi256ELi15EEvPT0_PKfS3_PKT_PKiS8_iS3_ ; -- Begin function _Z35paged_attention_ll4mi_reduce_kernelIDF16_DF16_Li64ELi64ELi256ELi15EEvPT0_PKfS3_PKT_PKiS8_iS3_
	.globl	_Z35paged_attention_ll4mi_reduce_kernelIDF16_DF16_Li64ELi64ELi256ELi15EEvPT0_PKfS3_PKT_PKiS8_iS3_
	.p2align	8
	.type	_Z35paged_attention_ll4mi_reduce_kernelIDF16_DF16_Li64ELi64ELi256ELi15EEvPT0_PKfS3_PKT_PKiS8_iS3_,@function
_Z35paged_attention_ll4mi_reduce_kernelIDF16_DF16_Li64ELi64ELi256ELi15EEvPT0_PKfS3_PKT_PKiS8_iS3_: ; @_Z35paged_attention_ll4mi_reduce_kernelIDF16_DF16_Li64ELi64ELi256ELi15EEvPT0_PKfS3_PKT_PKiS8_iS3_
; %bb.0:
	s_load_dwordx2 s[46:47], s[0:1], 0x28
	s_mov_b32 s44, s3
	s_mov_b64 s[4:5], 0
	s_waitcnt lgkmcnt(0)
	s_cmp_lg_u64 s[46:47], 0
	s_cselect_b64 s[48:49], -1, 0
	s_and_b64 vcc, exec, s[48:49]
	s_cbranch_vccz .LBB90_23
; %bb.1:
	s_add_i32 s6, s44, 1
	s_mov_b32 s7, 0
	s_lshl_b64 s[8:9], s[6:7], 2
	s_add_u32 s8, s46, s8
	s_mov_b32 s45, s7
	s_addc_u32 s9, s47, s9
	s_lshl_b64 s[6:7], s[44:45], 2
	s_add_u32 s6, s46, s6
	s_addc_u32 s7, s47, s7
	s_load_dword s3, s[8:9], 0x0
	s_load_dword s10, s[6:7], 0x0
	s_waitcnt lgkmcnt(0)
	s_sub_i32 s3, s3, s10
	s_cmp_eq_u32 s3, 1
	s_cselect_b64 s[6:7], -1, 0
	s_andn2_b64 vcc, exec, s[4:5]
	s_cbranch_vccnz .LBB90_3
.LBB90_2:
	s_mov_b32 s45, 0
	s_mov_b64 s[6:7], -1
.LBB90_3:
	s_andn2_b64 vcc, exec, s[6:7]
	s_cbranch_vccz .LBB90_5
; %bb.4:
	s_endpgm
.LBB90_5:
	s_load_dwordx4 s[36:39], s[0:1], 0x18
	s_load_dword s8, s[0:1], 0x30
	s_lshl_b64 s[50:51], s[44:45], 2
	v_cmp_lt_u32_e32 vcc, 63, v0
	s_waitcnt lgkmcnt(0)
	s_add_u32 s4, s38, s50
	s_addc_u32 s5, s39, s51
	s_load_dword s58, s[4:5], 0x0
	s_load_dword s3, s[0:1], 0x40
	s_mul_i32 s38, s2, s8
	s_mul_i32 s6, s44, s8
	s_waitcnt lgkmcnt(0)
	s_add_i32 s7, s58, 0xff
	s_ashr_i32 s4, s7, 31
	s_lshr_b32 s4, s4, 24
	s_add_i32 s7, s7, s4
	s_and_saveexec_b64 s[4:5], vcc
	s_xor_b64 s[4:5], exec, s[4:5]
	s_or_saveexec_b64 s[52:53], s[4:5]
	s_ashr_i32 s33, s7, 8
	v_mov_b32_e32 v1, s38
	s_mul_i32 s54, s6, s3
	s_xor_b64 exec, exec, s[52:53]
	s_cbranch_execz .LBB90_9
; %bb.6:
	s_add_i32 s4, s33, -1
	v_or_b32_e32 v3, 64, v0
	v_mov_b32_e32 v1, s4
	v_cmp_gt_u32_e64 s[28:29], s33, v3
	s_load_dwordx4 s[40:43], s[0:1], 0x8
	s_mov_b32 s55, 0
	v_cndmask_b32_e64 v4, v1, v3, s[28:29]
	v_or_b32_e32 v3, 0x80, v0
	v_cmp_gt_u32_e64 s[26:27], s33, v3
	s_lshl_b64 s[56:57], s[54:55], 2
	s_mov_b32 s39, s55
	v_cndmask_b32_e64 v6, v1, v3, s[26:27]
	v_or_b32_e32 v3, 0xc0, v0
	v_cmp_gt_u32_e64 s[24:25], s33, v3
	v_cmp_gt_u32_e64 s[30:31], s33, v0
	s_waitcnt lgkmcnt(0)
	s_add_u32 s34, s42, s56
	v_cndmask_b32_e64 v8, v1, v3, s[24:25]
	v_or_b32_e32 v3, 0x100, v0
	v_cmp_gt_u32_e64 s[22:23], s33, v3
	v_cndmask_b32_e64 v2, v1, v0, s[30:31]
	s_addc_u32 s35, s43, s57
	v_cndmask_b32_e64 v10, v1, v3, s[22:23]
	v_or_b32_e32 v3, 0x140, v0
	v_cmp_gt_u32_e64 s[20:21], s33, v3
	s_lshl_b64 s[42:43], s[38:39], 2
	s_add_u32 s34, s34, s42
	v_cndmask_b32_e64 v12, v1, v3, s[20:21]
	v_or_b32_e32 v3, 0x180, v0
	v_cmp_gt_u32_e64 s[18:19], s33, v3
	s_addc_u32 s35, s35, s43
	v_ashrrev_i32_e32 v5, 31, v4
	v_cndmask_b32_e64 v14, v1, v3, s[18:19]
	v_or_b32_e32 v3, 0x1c0, v0
	v_cmp_gt_u32_e64 s[16:17], s33, v3
	v_ashrrev_i32_e32 v7, 31, v6
	v_ashrrev_i32_e32 v9, 31, v8
	v_cndmask_b32_e64 v16, v1, v3, s[16:17]
	v_or_b32_e32 v3, 0x200, v0
	v_cmp_gt_u32_e64 s[14:15], s33, v3
	v_ashrrev_i32_e32 v17, 31, v16
	;; [unrolled: 5-line block ×3, first 2 shown]
	v_ashrrev_i32_e32 v15, 31, v14
	v_cndmask_b32_e64 v20, v1, v3, s[12:13]
	v_or_b32_e32 v3, 0x280, v0
	v_cmp_gt_u32_e64 s[10:11], s33, v3
	v_lshlrev_b64 v[16:17], 2, v[16:17]
	v_lshlrev_b64 v[4:5], 2, v[4:5]
	v_cndmask_b32_e64 v22, v1, v3, s[10:11]
	v_or_b32_e32 v3, 0x2c0, v0
	v_cmp_gt_u32_e64 s[8:9], s33, v3
	v_lshlrev_b64 v[6:7], 2, v[6:7]
	v_lshlrev_b64 v[8:9], 2, v[8:9]
	v_cndmask_b32_e64 v24, v1, v3, s[8:9]
	v_or_b32_e32 v3, 0x300, v0
	v_cmp_gt_u32_e64 s[6:7], s33, v3
	v_lshlrev_b64 v[10:11], 2, v[10:11]
	v_lshlrev_b64 v[12:13], 2, v[12:13]
	v_cndmask_b32_e64 v26, v1, v3, s[6:7]
	v_or_b32_e32 v3, 0x340, v0
	v_cmp_gt_u32_e64 s[4:5], s33, v3
	v_lshlrev_b64 v[14:15], 2, v[14:15]
	v_lshl_add_u64 v[46:47], s[34:35], 0, v[16:17]
	v_cndmask_b32_e64 v28, v1, v3, s[4:5]
	v_or_b32_e32 v3, 0x380, v0
	v_cmp_gt_u32_e32 vcc, s33, v3
	v_lshl_add_u64 v[34:35], s[34:35], 0, v[4:5]
	v_lshl_add_u64 v[36:37], s[34:35], 0, v[6:7]
	v_cndmask_b32_e32 v30, v1, v3, vcc
	v_ashrrev_i32_e32 v3, 31, v2
	v_lshlrev_b64 v[2:3], 2, v[2:3]
	v_lshl_add_u64 v[32:33], s[34:35], 0, v[2:3]
	v_lshl_add_u64 v[38:39], s[34:35], 0, v[8:9]
	;; [unrolled: 1-line block ×5, first 2 shown]
	global_load_dword v1, v[32:33], off
	global_load_dword v48, v[34:35], off
	;; [unrolled: 1-line block ×7, first 2 shown]
	s_nop 0
	global_load_dword v46, v[46:47], off
	v_ashrrev_i32_e32 v19, 31, v18
	v_ashrrev_i32_e32 v21, 31, v20
	;; [unrolled: 1-line block ×4, first 2 shown]
	v_lshlrev_b64 v[18:19], 2, v[18:19]
	v_lshlrev_b64 v[20:21], 2, v[20:21]
	;; [unrolled: 1-line block ×4, first 2 shown]
	v_ashrrev_i32_e32 v27, 31, v26
	v_ashrrev_i32_e32 v29, 31, v28
	;; [unrolled: 1-line block ×3, first 2 shown]
	v_lshl_add_u64 v[32:33], s[34:35], 0, v[18:19]
	v_lshl_add_u64 v[34:35], s[34:35], 0, v[20:21]
	;; [unrolled: 1-line block ×4, first 2 shown]
	v_lshlrev_b64 v[26:27], 2, v[26:27]
	v_lshlrev_b64 v[28:29], 2, v[28:29]
	;; [unrolled: 1-line block ×3, first 2 shown]
	v_lshl_add_u64 v[40:41], s[34:35], 0, v[26:27]
	v_lshl_add_u64 v[42:43], s[34:35], 0, v[28:29]
	;; [unrolled: 1-line block ×3, first 2 shown]
	global_load_dword v32, v[32:33], off
	s_nop 0
	global_load_dword v33, v[34:35], off
	s_nop 0
	global_load_dword v34, v[36:37], off
	global_load_dword v35, v[38:39], off
	s_nop 0
	global_load_dword v36, v[40:41], off
	global_load_dword v37, v[42:43], off
	;; [unrolled: 1-line block ×3, first 2 shown]
	v_mbcnt_lo_u32_b32 v40, -1, 0
	v_mbcnt_hi_u32_b32 v40, -1, v40
	v_and_b32_e32 v41, 64, v40
	v_add_u32_e32 v41, 64, v41
	v_xor_b32_e32 v42, 32, v40
	v_cmp_lt_i32_e64 s[34:35], v42, v41
	s_mov_b32 s39, 0x3fb8aa3b
	s_waitcnt vmcnt(12)
	v_max3_f32 v39, v1, v48, v49
	v_cndmask_b32_e64 v42, v40, v42, s[34:35]
	s_waitcnt vmcnt(10)
	v_max3_f32 v39, v39, v50, v51
	v_lshlrev_b32_e32 v42, 2, v42
	s_waitcnt vmcnt(8)
	v_max3_f32 v39, v39, v52, v53
	s_waitcnt vmcnt(6)
	v_max3_f32 v39, v39, v46, v32
	;; [unrolled: 2-line block ×5, first 2 shown]
	ds_bpermute_b32 v43, v42, v39
	s_waitcnt lgkmcnt(0)
	v_max_f32_e32 v43, v43, v43
	v_max_f32_e32 v39, v39, v43
	v_xor_b32_e32 v43, 16, v40
	v_cmp_lt_i32_e64 s[34:35], v43, v41
	s_nop 1
	v_cndmask_b32_e64 v43, v40, v43, s[34:35]
	v_lshlrev_b32_e32 v43, 2, v43
	ds_bpermute_b32 v44, v43, v39
	s_waitcnt lgkmcnt(0)
	v_max_f32_e32 v44, v44, v44
	v_max_f32_e32 v39, v39, v44
	v_xor_b32_e32 v44, 8, v40
	v_cmp_lt_i32_e64 s[34:35], v44, v41
	s_nop 1
	v_cndmask_b32_e64 v44, v40, v44, s[34:35]
	v_lshlrev_b32_e32 v44, 2, v44
	ds_bpermute_b32 v45, v44, v39
	s_waitcnt lgkmcnt(0)
	v_max_f32_e32 v45, v45, v45
	v_max_f32_e32 v39, v39, v45
	v_xor_b32_e32 v45, 4, v40
	v_cmp_lt_i32_e64 s[34:35], v45, v41
	s_nop 1
	v_cndmask_b32_e64 v45, v40, v45, s[34:35]
	s_add_u32 s34, s40, s56
	s_addc_u32 s35, s41, s57
	s_add_u32 s40, s34, s42
	s_addc_u32 s41, s35, s43
	v_lshlrev_b32_e32 v45, 2, v45
	v_lshl_add_u64 v[2:3], s[40:41], 0, v[2:3]
	global_load_dword v47, v[2:3], off
	ds_bpermute_b32 v2, v45, v39
	s_waitcnt lgkmcnt(0)
	v_max_f32_e32 v2, v2, v2
	v_max_f32_e32 v39, v39, v2
	v_xor_b32_e32 v2, 2, v40
	v_cmp_lt_i32_e64 s[34:35], v2, v41
	s_nop 1
	v_cndmask_b32_e64 v2, v40, v2, s[34:35]
	v_lshlrev_b32_e32 v54, 2, v2
	ds_bpermute_b32 v55, v54, v39
	v_lshl_add_u64 v[2:3], s[40:41], 0, v[4:5]
	global_load_dword v56, v[2:3], off
	v_lshl_add_u64 v[4:5], s[40:41], 0, v[8:9]
	v_lshl_add_u64 v[8:9], s[40:41], 0, v[12:13]
	s_waitcnt lgkmcnt(0)
	v_max_f32_e32 v2, v55, v55
	v_max_f32_e32 v39, v39, v2
	v_xor_b32_e32 v2, 1, v40
	v_cmp_lt_i32_e64 s[34:35], v2, v41
	v_lshl_add_u64 v[12:13], s[40:41], 0, v[16:17]
	s_nop 0
	v_cndmask_b32_e64 v2, v40, v2, s[34:35]
	v_lshlrev_b32_e32 v40, 2, v2
	v_lshl_add_u64 v[2:3], s[40:41], 0, v[6:7]
	v_lshl_add_u64 v[6:7], s[40:41], 0, v[10:11]
	v_lshl_add_u64 v[10:11], s[40:41], 0, v[14:15]
	global_load_dword v16, v[2:3], off
	global_load_dword v17, v[4:5], off
	;; [unrolled: 1-line block ×6, first 2 shown]
	ds_bpermute_b32 v41, v40, v39
	v_lshl_add_u64 v[2:3], s[40:41], 0, v[18:19]
	v_lshl_add_u64 v[4:5], s[40:41], 0, v[20:21]
	;; [unrolled: 1-line block ×4, first 2 shown]
	s_waitcnt lgkmcnt(0)
	v_max_f32_e32 v18, v41, v41
	v_max_f32_e32 v18, v39, v18
	v_sub_f32_e32 v1, v1, v18
	v_lshl_add_u64 v[10:11], s[40:41], 0, v[26:27]
	v_mul_f32_e32 v19, 0x3fb8aa3b, v1
	v_lshl_add_u64 v[12:13], s[40:41], 0, v[28:29]
	v_lshl_add_u64 v[14:15], s[40:41], 0, v[30:31]
	v_fma_f32 v20, v1, s39, -v19
	v_rndne_f32_e32 v21, v19
	global_load_dword v2, v[2:3], off
	s_nop 0
	global_load_dword v3, v[4:5], off
	s_nop 0
	global_load_dword v4, v[6:7], off
	global_load_dword v5, v[8:9], off
	s_nop 0
	global_load_dword v6, v[10:11], off
	global_load_dword v7, v[12:13], off
	;; [unrolled: 1-line block ×3, first 2 shown]
	v_sub_f32_e32 v11, v48, v18
	v_fmac_f32_e32 v20, 0x32a5705f, v1
	v_sub_f32_e32 v19, v19, v21
	v_mul_f32_e32 v12, 0x3fb8aa3b, v11
	v_add_f32_e32 v19, v19, v20
	v_fma_f32 v13, v11, s39, -v12
	v_rndne_f32_e32 v14, v12
	v_exp_f32_e32 v19, v19
	v_cvt_i32_f32_e32 v20, v21
	v_fmac_f32_e32 v13, 0x32a5705f, v11
	v_sub_f32_e32 v12, v12, v14
	v_add_f32_e32 v12, v12, v13
	v_exp_f32_e32 v12, v12
	v_cvt_i32_f32_e32 v13, v14
	s_mov_b32 s40, 0xc2ce8ed0
	v_ldexp_f32 v9, v19, v20
	v_cmp_ngt_f32_e64 s[34:35], s40, v1
	s_mov_b32 s41, 0x42b17218
	v_mov_b32_e32 v10, 0x7f800000
	v_cndmask_b32_e64 v9, 0, v9, s[34:35]
	v_cmp_nlt_f32_e64 s[34:35], s41, v1
	s_nop 1
	v_cndmask_b32_e64 v1, v10, v9, s[34:35]
	v_ldexp_f32 v9, v12, v13
	v_sub_f32_e32 v12, v49, v18
	v_mul_f32_e32 v13, 0x3fb8aa3b, v12
	v_fma_f32 v14, v12, s39, -v13
	v_rndne_f32_e32 v15, v13
	v_fmac_f32_e32 v14, 0x32a5705f, v12
	v_sub_f32_e32 v13, v13, v15
	v_add_f32_e32 v13, v13, v14
	v_exp_f32_e32 v13, v13
	v_cvt_i32_f32_e32 v14, v15
	v_cndmask_b32_e64 v1, 0, v1, s[30:31]
	v_cmp_ngt_f32_e64 s[30:31], s40, v11
	s_waitcnt vmcnt(14)
	v_mul_f32_e32 v1, v47, v1
	v_cndmask_b32_e64 v9, 0, v9, s[30:31]
	v_cmp_nlt_f32_e64 s[30:31], s41, v11
	v_ldexp_f32 v11, v13, v14
	v_sub_f32_e32 v13, v50, v18
	v_mul_f32_e32 v14, 0x3fb8aa3b, v13
	v_fma_f32 v15, v13, s39, -v14
	v_rndne_f32_e32 v19, v14
	v_fmac_f32_e32 v15, 0x32a5705f, v13
	v_sub_f32_e32 v14, v14, v19
	v_add_f32_e32 v14, v14, v15
	v_exp_f32_e32 v14, v14
	v_cvt_i32_f32_e32 v15, v19
	v_cndmask_b32_e64 v9, v10, v9, s[30:31]
	v_cndmask_b32_e64 v9, 0, v9, s[28:29]
	v_cmp_ngt_f32_e64 s[28:29], s40, v12
	s_waitcnt vmcnt(13)
	v_mul_f32_e32 v9, v56, v9
	v_cndmask_b32_e64 v11, 0, v11, s[28:29]
	v_cmp_nlt_f32_e64 s[28:29], s41, v12
	v_ldexp_f32 v12, v14, v15
	v_sub_f32_e32 v14, v51, v18
	v_cndmask_b32_e64 v11, v10, v11, s[28:29]
	v_cndmask_b32_e64 v11, 0, v11, s[26:27]
	v_mul_f32_e32 v15, 0x3fb8aa3b, v14
	s_waitcnt vmcnt(12)
	v_mul_f32_e32 v11, v16, v11
	v_fma_f32 v16, v14, s39, -v15
	v_rndne_f32_e32 v19, v15
	v_fmac_f32_e32 v16, 0x32a5705f, v14
	v_sub_f32_e32 v15, v15, v19
	v_add_f32_e32 v15, v15, v16
	v_exp_f32_e32 v15, v15
	v_cvt_i32_f32_e32 v16, v19
	v_cmp_ngt_f32_e64 s[26:27], s40, v13
	s_nop 1
	v_cndmask_b32_e64 v12, 0, v12, s[26:27]
	v_cmp_nlt_f32_e64 s[26:27], s41, v13
	v_ldexp_f32 v13, v15, v16
	v_sub_f32_e32 v15, v52, v18
	v_cndmask_b32_e64 v12, v10, v12, s[26:27]
	v_cndmask_b32_e64 v12, 0, v12, s[24:25]
	v_mul_f32_e32 v16, 0x3fb8aa3b, v15
	s_waitcnt vmcnt(11)
	v_mul_f32_e32 v12, v17, v12
	v_fma_f32 v17, v15, s39, -v16
	v_rndne_f32_e32 v19, v16
	v_fmac_f32_e32 v17, 0x32a5705f, v15
	v_sub_f32_e32 v16, v16, v19
	v_add_f32_e32 v16, v16, v17
	v_exp_f32_e32 v16, v16
	v_cvt_i32_f32_e32 v17, v19
	v_cmp_ngt_f32_e64 s[24:25], s40, v14
	s_nop 1
	v_cndmask_b32_e64 v13, 0, v13, s[24:25]
	v_cmp_nlt_f32_e64 s[24:25], s41, v14
	v_ldexp_f32 v14, v16, v17
	v_sub_f32_e32 v16, v53, v18
	v_mul_f32_e32 v17, 0x3fb8aa3b, v16
	v_fma_f32 v19, v16, s39, -v17
	v_rndne_f32_e32 v20, v17
	v_fmac_f32_e32 v19, 0x32a5705f, v16
	v_sub_f32_e32 v17, v17, v20
	v_add_f32_e32 v17, v17, v19
	v_exp_f32_e32 v17, v17
	v_cvt_i32_f32_e32 v19, v20
	v_cndmask_b32_e64 v13, v10, v13, s[24:25]
	v_cndmask_b32_e64 v13, 0, v13, s[22:23]
	v_cmp_ngt_f32_e64 s[22:23], s40, v15
	s_waitcnt vmcnt(10)
	v_mul_f32_e32 v13, v55, v13
	v_cndmask_b32_e64 v14, 0, v14, s[22:23]
	v_cmp_nlt_f32_e64 s[22:23], s41, v15
	v_ldexp_f32 v15, v17, v19
	v_sub_f32_e32 v17, v46, v18
	v_mul_f32_e32 v19, 0x3fb8aa3b, v17
	v_fma_f32 v20, v17, s39, -v19
	v_rndne_f32_e32 v21, v19
	v_fmac_f32_e32 v20, 0x32a5705f, v17
	v_sub_f32_e32 v19, v19, v21
	v_add_f32_e32 v19, v19, v20
	v_exp_f32_e32 v19, v19
	v_cvt_i32_f32_e32 v20, v21
	v_cndmask_b32_e64 v14, v10, v14, s[22:23]
	v_cndmask_b32_e64 v14, 0, v14, s[20:21]
	v_cmp_ngt_f32_e64 s[20:21], s40, v16
	s_waitcnt vmcnt(9)
	v_mul_f32_e32 v14, v57, v14
	;; [unrolled: 17-line block ×3, first 2 shown]
	v_cndmask_b32_e64 v16, 0, v16, s[18:19]
	v_cmp_nlt_f32_e64 s[18:19], s41, v17
	v_ldexp_f32 v17, v20, v21
	v_sub_f32_e32 v20, v33, v18
	v_mul_f32_e32 v21, 0x3fb8aa3b, v20
	v_fma_f32 v22, v20, s39, -v21
	v_rndne_f32_e32 v23, v21
	v_fmac_f32_e32 v22, 0x32a5705f, v20
	v_sub_f32_e32 v21, v21, v23
	v_cndmask_b32_e64 v16, v10, v16, s[18:19]
	v_add_f32_e32 v21, v21, v22
	v_cndmask_b32_e64 v16, 0, v16, s[16:17]
	v_cmp_ngt_f32_e64 s[16:17], s40, v19
	v_exp_f32_e32 v21, v21
	v_cvt_i32_f32_e32 v22, v23
	v_cndmask_b32_e64 v17, 0, v17, s[16:17]
	v_cmp_nlt_f32_e64 s[16:17], s41, v19
	v_sub_f32_e32 v19, v34, v18
	s_waitcnt vmcnt(7)
	v_mul_f32_e32 v16, v59, v16
	v_cndmask_b32_e64 v17, v10, v17, s[16:17]
	v_cndmask_b32_e64 v17, 0, v17, s[14:15]
	s_waitcnt vmcnt(6)
	v_mul_f32_e32 v2, v2, v17
	v_ldexp_f32 v17, v21, v22
	v_mul_f32_e32 v21, 0x3fb8aa3b, v19
	v_fma_f32 v22, v19, s39, -v21
	v_rndne_f32_e32 v23, v21
	v_fmac_f32_e32 v22, 0x32a5705f, v19
	v_sub_f32_e32 v21, v21, v23
	v_add_f32_e32 v21, v21, v22
	v_cmp_ngt_f32_e64 s[14:15], s40, v20
	v_exp_f32_e32 v21, v21
	v_cvt_i32_f32_e32 v22, v23
	v_cndmask_b32_e64 v17, 0, v17, s[14:15]
	v_cmp_nlt_f32_e64 s[14:15], s41, v20
	v_sub_f32_e32 v20, v35, v18
	s_nop 0
	v_cndmask_b32_e64 v17, v10, v17, s[14:15]
	v_cndmask_b32_e64 v17, 0, v17, s[12:13]
	s_waitcnt vmcnt(5)
	v_mul_f32_e32 v3, v3, v17
	v_ldexp_f32 v17, v21, v22
	v_mul_f32_e32 v21, 0x3fb8aa3b, v20
	v_fma_f32 v22, v20, s39, -v21
	v_rndne_f32_e32 v23, v21
	v_fmac_f32_e32 v22, 0x32a5705f, v20
	v_sub_f32_e32 v21, v21, v23
	v_add_f32_e32 v21, v21, v22
	v_cmp_ngt_f32_e64 s[12:13], s40, v19
	v_exp_f32_e32 v21, v21
	v_cvt_i32_f32_e32 v22, v23
	v_cndmask_b32_e64 v17, 0, v17, s[12:13]
	v_cmp_nlt_f32_e64 s[12:13], s41, v19
	v_sub_f32_e32 v19, v36, v18
	s_nop 0
	v_cndmask_b32_e64 v17, v10, v17, s[12:13]
	v_cndmask_b32_e64 v17, 0, v17, s[10:11]
	s_waitcnt vmcnt(4)
	v_mul_f32_e32 v4, v4, v17
	v_ldexp_f32 v17, v21, v22
	v_mul_f32_e32 v21, 0x3fb8aa3b, v19
	v_fma_f32 v22, v19, s39, -v21
	v_rndne_f32_e32 v23, v21
	v_fmac_f32_e32 v22, 0x32a5705f, v19
	v_sub_f32_e32 v21, v21, v23
	v_add_f32_e32 v21, v21, v22
	v_exp_f32_e32 v21, v21
	v_cvt_i32_f32_e32 v22, v23
	v_cmp_ngt_f32_e64 s[10:11], s40, v20
	s_nop 1
	v_cndmask_b32_e64 v17, 0, v17, s[10:11]
	v_cmp_nlt_f32_e64 s[10:11], s41, v20
	v_ldexp_f32 v20, v21, v22
	v_sub_f32_e32 v21, v37, v18
	v_mul_f32_e32 v22, 0x3fb8aa3b, v21
	v_fma_f32 v23, v21, s39, -v22
	v_rndne_f32_e32 v24, v22
	v_fmac_f32_e32 v23, 0x32a5705f, v21
	v_sub_f32_e32 v22, v22, v24
	v_add_f32_e32 v22, v22, v23
	v_exp_f32_e32 v22, v22
	v_cvt_i32_f32_e32 v23, v24
	v_cndmask_b32_e64 v17, v10, v17, s[10:11]
	v_cndmask_b32_e64 v17, 0, v17, s[8:9]
	v_cmp_ngt_f32_e64 s[8:9], s40, v19
	v_sub_f32_e32 v18, v38, v18
	s_nop 0
	v_cndmask_b32_e64 v20, 0, v20, s[8:9]
	v_cmp_nlt_f32_e64 s[8:9], s41, v19
	s_nop 1
	v_cndmask_b32_e64 v19, v10, v20, s[8:9]
	v_ldexp_f32 v20, v22, v23
	v_mul_f32_e32 v22, 0x3fb8aa3b, v18
	v_fma_f32 v23, v18, s39, -v22
	v_rndne_f32_e32 v24, v22
	v_fmac_f32_e32 v23, 0x32a5705f, v18
	v_sub_f32_e32 v22, v22, v24
	v_add_f32_e32 v22, v22, v23
	v_exp_f32_e32 v22, v22
	v_cvt_i32_f32_e32 v23, v24
	v_cndmask_b32_e64 v19, 0, v19, s[6:7]
	v_cmp_ngt_f32_e64 s[6:7], s40, v21
	s_nop 1
	v_cndmask_b32_e64 v20, 0, v20, s[6:7]
	v_cmp_nlt_f32_e64 s[6:7], s41, v21
	v_ldexp_f32 v21, v22, v23
	s_nop 0
	v_cndmask_b32_e64 v20, v10, v20, s[6:7]
	v_cndmask_b32_e64 v20, 0, v20, s[4:5]
	v_cmp_ngt_f32_e64 s[4:5], s40, v18
	s_nop 1
	v_cndmask_b32_e64 v21, 0, v21, s[4:5]
	v_cmp_nlt_f32_e64 s[4:5], s41, v18
	v_add_f32_e32 v18, v1, v9
	v_add_f32_e32 v18, v18, v11
	;; [unrolled: 1-line block ×10, first 2 shown]
	s_waitcnt vmcnt(3)
	v_fmac_f32_e32 v18, v5, v17
	v_cndmask_b32_e64 v10, v10, v21, s[4:5]
	s_waitcnt vmcnt(2)
	v_fmac_f32_e32 v18, v6, v19
	v_cndmask_b32_e32 v10, 0, v10, vcc
	s_waitcnt vmcnt(1)
	v_fmac_f32_e32 v18, v7, v20
	s_waitcnt vmcnt(0)
	v_fmac_f32_e32 v18, v8, v10
	ds_bpermute_b32 v21, v42, v18
	v_mul_f32_e32 v5, v5, v17
	v_mul_f32_e32 v8, v8, v10
	v_lshlrev_b32_e32 v10, 2, v0
	ds_write2st64_b32 v10, v1, v9 offset1:1
	s_waitcnt lgkmcnt(1)
	v_add_f32_e32 v18, v18, v21
	ds_bpermute_b32 v21, v43, v18
	ds_write2st64_b32 v10, v11, v12 offset0:2 offset1:3
	ds_write2st64_b32 v10, v13, v14 offset0:4 offset1:5
	;; [unrolled: 1-line block ×4, first 2 shown]
	v_cmp_eq_u32_e32 vcc, 0, v0
	v_mul_f32_e32 v6, v6, v19
	v_mul_f32_e32 v7, v7, v20
	s_waitcnt lgkmcnt(4)
	v_add_f32_e32 v18, v18, v21
	ds_bpermute_b32 v21, v44, v18
	ds_write2st64_b32 v10, v4, v5 offset0:10 offset1:11
	ds_write2st64_b32 v10, v6, v7 offset0:12 offset1:13
	ds_write_b32 v10, v8 offset:3584
	s_waitcnt lgkmcnt(3)
	v_add_f32_e32 v17, v18, v21
	ds_bpermute_b32 v18, v45, v17
	s_waitcnt lgkmcnt(0)
	v_add_f32_e32 v1, v17, v18
	ds_bpermute_b32 v9, v54, v1
	;; [unrolled: 3-line block ×3, first 2 shown]
	s_and_saveexec_b64 s[4:5], vcc
	s_cbranch_execz .LBB90_8
; %bb.7:
	s_waitcnt lgkmcnt(0)
	v_add_f32_e32 v1, v1, v2
	v_mov_b32_e32 v2, 0
	ds_write_b32 v2, v1 offset:3840
.LBB90_8:
	s_or_b64 exec, exec, s[4:5]
	v_mov_b32_e32 v1, s38
.LBB90_9:
	s_or_b64 exec, exec, s[52:53]
	s_lshl_b32 s4, s54, 6
	s_mov_b32 s5, 0
	s_lshl_b64 s[4:5], s[4:5], 1
	s_add_u32 s4, s36, s4
	s_addc_u32 s5, s37, s5
	s_lshl_b32 s10, s33, 6
	s_sub_i32 s11, s10, 64
	s_waitcnt lgkmcnt(0)
	v_lshlrev_b32_e32 v2, 6, v1
	v_mov_b32_e32 v3, 0
	s_cmp_lt_i32 s58, 1
	v_lshl_add_u64 v[4:5], v[2:3], 1, s[4:5]
	s_cselect_b32 s4, s11, 0
	v_lshlrev_b32_e32 v2, 1, v0
	s_ashr_i32 s5, s4, 31
	v_lshl_add_u64 v[0:1], v[4:5], 0, v[2:3]
	s_cmpk_lt_i32 s58, 0x101
	v_lshl_add_u64 v[12:13], s[4:5], 1, v[0:1]
	s_cselect_b32 s4, s11, 64
	s_ashr_i32 s5, s4, 31
	s_cmpk_lt_i32 s58, 0x201
	v_lshl_add_u64 v[14:15], s[4:5], 1, v[0:1]
	s_cselect_b32 s4, s11, 0x80
	s_ashr_i32 s5, s4, 31
	;; [unrolled: 4-line block ×8, first 2 shown]
	s_cmpk_lt_i32 s58, 0x901
	global_load_ushort v4, v[12:13], off
	global_load_ushort v5, v[14:15], off
	;; [unrolled: 1-line block ×8, first 2 shown]
	v_lshl_add_u64 v[20:21], s[4:5], 1, v[0:1]
	s_cselect_b32 s4, s11, 0x240
	s_ashr_i32 s5, s4, 31
	s_cmpk_lt_i32 s58, 0xa01
	v_lshl_add_u64 v[22:23], s[4:5], 1, v[0:1]
	s_cselect_b32 s4, s11, 0x280
	s_ashr_i32 s5, s4, 31
	s_cmpk_lt_i32 s58, 0xb01
	;; [unrolled: 4-line block ×6, first 2 shown]
	v_lshl_add_u64 v[32:33], s[4:5], 1, v[0:1]
	s_cselect_b32 s4, s11, 0x3c0
	s_ashr_i32 s5, s4, 31
	v_lshl_add_u64 v[34:35], s[4:5], 1, v[0:1]
	global_load_ushort v12, v[20:21], off
	global_load_ushort v13, v[22:23], off
	;; [unrolled: 1-line block ×8, first 2 shown]
	s_cmpk_gt_i32 s58, 0x1000
	s_cselect_b64 s[8:9], -1, 0
	s_cmpk_lt_i32 s58, 0x1001
	v_mov_b32_e32 v36, 0
	v_mov_b32_e32 v37, 0
	;; [unrolled: 1-line block ×48, first 2 shown]
	s_waitcnt lgkmcnt(0)
	; wave barrier
	s_cbranch_scc1 .LBB90_12
; %bb.10:
	s_cmpk_lt_u32 s58, 0x1101
	s_cselect_b32 s4, s11, 0x440
	s_ashr_i32 s5, s4, 31
	s_cmpk_lt_u32 s58, 0x1201
	v_lshl_add_u64 v[28:29], s[4:5], 1, v[0:1]
	s_cselect_b32 s4, s11, 0x480
	s_ashr_i32 s5, s4, 31
	s_cmpk_lt_u32 s58, 0x1301
	v_lshl_add_u64 v[30:31], s[4:5], 1, v[0:1]
	;; [unrolled: 4-line block ×7, first 2 shown]
	s_cselect_b32 s4, s11, 0x600
	s_ashr_i32 s5, s4, 31
	s_cmpk_lt_u32 s58, 0x1901
	global_load_ushort v27, v[0:1], off offset:2048
	global_load_ushort v26, v[28:29], off
	global_load_ushort v25, v[30:31], off
	;; [unrolled: 1-line block ×7, first 2 shown]
	v_lshl_add_u64 v[36:37], s[4:5], 1, v[0:1]
	s_cselect_b32 s4, s11, 0x640
	s_ashr_i32 s5, s4, 31
	s_cmpk_lt_u32 s58, 0x1a01
	v_lshl_add_u64 v[38:39], s[4:5], 1, v[0:1]
	s_cselect_b32 s4, s11, 0x680
	s_ashr_i32 s5, s4, 31
	s_cmpk_lt_u32 s58, 0x1b01
	;; [unrolled: 4-line block ×6, first 2 shown]
	v_lshl_add_u64 v[48:49], s[4:5], 1, v[0:1]
	s_cselect_b32 s4, s11, 0x7c0
	s_ashr_i32 s5, s4, 31
	v_lshl_add_u64 v[50:51], s[4:5], 1, v[0:1]
	global_load_ushort v35, v[36:37], off
	global_load_ushort v34, v[38:39], off
	;; [unrolled: 1-line block ×8, first 2 shown]
	s_cmpk_lt_u32 s58, 0x2001
	v_mov_b32_e32 v67, 0
	v_mov_b32_e32 v66, 0
	;; [unrolled: 1-line block ×32, first 2 shown]
	s_cbranch_scc1 .LBB90_12
; %bb.11:
	s_cmpk_lt_u32 s58, 0x2101
	s_cselect_b32 s4, s11, 0x840
	s_ashr_i32 s5, s4, 31
	s_cmpk_lt_u32 s58, 0x2201
	v_lshl_add_u64 v[38:39], s[4:5], 1, v[0:1]
	s_cselect_b32 s4, s11, 0x880
	s_ashr_i32 s5, s4, 31
	s_cmpk_lt_u32 s58, 0x2301
	v_lshl_add_u64 v[40:41], s[4:5], 1, v[0:1]
	;; [unrolled: 4-line block ×7, first 2 shown]
	s_cselect_b32 s4, s11, 0xa00
	v_add_co_u32_e32 v36, vcc, 0x1000, v0
	s_ashr_i32 s5, s4, 31
	s_nop 0
	v_addc_co_u32_e32 v37, vcc, 0, v1, vcc
	s_cmpk_lt_u32 s58, 0x2901
	global_load_ushort v52, v[36:37], off
	global_load_ushort v53, v[38:39], off
	;; [unrolled: 1-line block ×8, first 2 shown]
	v_lshl_add_u64 v[36:37], s[4:5], 1, v[0:1]
	s_cselect_b32 s4, s11, 0xa40
	s_ashr_i32 s5, s4, 31
	s_cmpk_lt_u32 s58, 0x2a01
	v_lshl_add_u64 v[38:39], s[4:5], 1, v[0:1]
	s_cselect_b32 s4, s11, 0xa80
	s_ashr_i32 s5, s4, 31
	s_cmpk_lt_u32 s58, 0x2b01
	;; [unrolled: 4-line block ×8, first 2 shown]
	global_load_ushort v68, v[36:37], off
	global_load_ushort v69, v[38:39], off
	;; [unrolled: 1-line block ×8, first 2 shown]
	v_lshl_add_u64 v[36:37], s[4:5], 1, v[0:1]
	s_cselect_b32 s4, s11, 0xc40
	s_ashr_i32 s5, s4, 31
	s_cmpk_lt_u32 s58, 0x3201
	v_lshl_add_u64 v[38:39], s[4:5], 1, v[0:1]
	s_cselect_b32 s4, s11, 0xc80
	s_ashr_i32 s5, s4, 31
	s_cmpk_lt_u32 s58, 0x3301
	;; [unrolled: 4-line block ×8, first 2 shown]
	global_load_ushort v76, v[36:37], off
	global_load_ushort v77, v[38:39], off
	global_load_ushort v78, v[40:41], off
	global_load_ushort v79, v[42:43], off
	global_load_ushort v80, v[44:45], off
	global_load_ushort v81, v[46:47], off
	global_load_ushort v82, v[48:49], off
	global_load_ushort v83, v[50:51], off
	v_lshl_add_u64 v[36:37], s[4:5], 1, v[0:1]
	s_cselect_b32 s4, s11, 0xe40
	s_ashr_i32 s5, s4, 31
	s_cmpk_lt_u32 s58, 0x3a01
	v_lshl_add_u64 v[38:39], s[4:5], 1, v[0:1]
	s_cselect_b32 s4, s11, 0xe80
	s_ashr_i32 s5, s4, 31
	s_cmpk_lt_u32 s58, 0x3b01
	;; [unrolled: 4-line block ×6, first 2 shown]
	v_lshl_add_u64 v[48:49], s[4:5], 1, v[0:1]
	s_cselect_b32 s4, s11, 0xfc0
	s_ashr_i32 s5, s4, 31
	v_lshl_add_u64 v[50:51], s[4:5], 1, v[0:1]
	global_load_ushort v84, v[36:37], off
	global_load_ushort v85, v[38:39], off
	;; [unrolled: 1-line block ×8, first 2 shown]
	s_waitcnt vmcnt(31)
	v_cvt_f32_f16_e32 v67, v52
	s_waitcnt vmcnt(30)
	v_cvt_f32_f16_e32 v66, v53
	;; [unrolled: 2-line block ×32, first 2 shown]
.LBB90_12:
	ds_read_b128 v[68:71], v3
	s_load_dwordx2 s[4:5], s[0:1], 0x0
	s_load_dwordx2 s[6:7], s[0:1], 0x38
	ds_read_b128 v[72:75], v3 offset:16
	ds_read_b128 v[76:79], v3 offset:32
	;; [unrolled: 1-line block ×3, first 2 shown]
	s_and_b64 vcc, exec, s[8:9]
	s_waitcnt vmcnt(15) lgkmcnt(0)
	v_fma_mix_f32 v4, v68, v4, 0 op_sel_hi:[0,1,0]
	s_waitcnt vmcnt(14)
	v_fma_mix_f32 v4, v69, v5, v4 op_sel_hi:[0,1,0]
	s_waitcnt vmcnt(13)
	;; [unrolled: 2-line block ×15, first 2 shown]
	v_fma_mix_f32 v4, v83, v19, v4 op_sel_hi:[0,1,0]
	s_cbranch_vccz .LBB90_15
; %bb.13:
	ds_read_b128 v[6:9], v3 offset:64
	ds_read_b128 v[10:13], v3 offset:80
	;; [unrolled: 1-line block ×4, first 2 shown]
	s_cmpk_lt_u32 s58, 0x2001
	s_waitcnt lgkmcnt(3)
	v_fma_mix_f32 v3, v6, v27, v4 op_sel_hi:[0,1,0]
	v_fma_mix_f32 v3, v7, v26, v3 op_sel_hi:[0,1,0]
	v_fma_mix_f32 v3, v8, v25, v3 op_sel_hi:[0,1,0]
	v_fma_mix_f32 v3, v9, v24, v3 op_sel_hi:[0,1,0]
	s_waitcnt lgkmcnt(2)
	v_fma_mix_f32 v3, v10, v23, v3 op_sel_hi:[0,1,0]
	v_fma_mix_f32 v3, v11, v22, v3 op_sel_hi:[0,1,0]
	v_fma_mix_f32 v3, v12, v21, v3 op_sel_hi:[0,1,0]
	v_fma_mix_f32 v3, v13, v20, v3 op_sel_hi:[0,1,0]
	;; [unrolled: 5-line block ×4, first 2 shown]
	s_cbranch_scc1 .LBB90_15
; %bb.14:
	v_mov_b32_e32 v3, 0
	ds_read_b128 v[6:9], v3 offset:128
	ds_read_b128 v[10:13], v3 offset:144
	;; [unrolled: 1-line block ×4, first 2 shown]
	s_waitcnt lgkmcnt(3)
	v_fmac_f32_e32 v4, v6, v67
	v_fmac_f32_e32 v4, v7, v66
	v_fmac_f32_e32 v4, v8, v65
	v_fmac_f32_e32 v4, v9, v64
	s_waitcnt lgkmcnt(2)
	v_fmac_f32_e32 v4, v10, v63
	v_fmac_f32_e32 v4, v11, v62
	v_fmac_f32_e32 v4, v12, v61
	v_fmac_f32_e32 v4, v13, v60
	;; [unrolled: 5-line block ×3, first 2 shown]
	ds_read_b128 v[6:9], v3 offset:192
	ds_read_b128 v[10:13], v3 offset:208
	s_waitcnt lgkmcnt(2)
	v_fmac_f32_e32 v4, v18, v55
	v_fmac_f32_e32 v4, v19, v54
	;; [unrolled: 1-line block ×4, first 2 shown]
	s_waitcnt lgkmcnt(1)
	v_fmac_f32_e32 v4, v6, v51
	v_fmac_f32_e32 v4, v7, v50
	;; [unrolled: 1-line block ×4, first 2 shown]
	ds_read_b128 v[6:9], v3 offset:224
	s_waitcnt lgkmcnt(1)
	v_fmac_f32_e32 v4, v10, v47
	v_fmac_f32_e32 v4, v11, v46
	;; [unrolled: 1-line block ×4, first 2 shown]
	ds_read_b128 v[10:13], v3 offset:240
	s_waitcnt lgkmcnt(1)
	v_fmac_f32_e32 v4, v6, v43
	v_fmac_f32_e32 v4, v7, v42
	;; [unrolled: 1-line block ×4, first 2 shown]
	s_waitcnt lgkmcnt(0)
	v_fmac_f32_e32 v4, v10, v39
	v_fmac_f32_e32 v4, v11, v38
	;; [unrolled: 1-line block ×4, first 2 shown]
.LBB90_15:
	s_movk_i32 s0, 0x1fc0
	s_movk_i32 s1, 0x100
	s_mov_b32 s8, 64
	s_branch .LBB90_17
.LBB90_16:                              ;   in Loop: Header=BB90_17 Depth=1
	s_addk_i32 s0, 0x1000
	s_addk_i32 s1, 0x100
	s_add_i32 s8, s8, 64
	s_cmpk_eq_u32 s0, 0xffc0
	s_cbranch_scc1 .LBB90_19
.LBB90_17:                              ; =>This Inner Loop Header: Depth=1
	s_cmp_le_i32 s33, s8
	s_cbranch_scc1 .LBB90_16
; %bb.18:                               ;   in Loop: Header=BB90_17 Depth=1
	s_add_i32 s9, s0, 0xfffff040
	s_cmp_lt_i32 s9, s10
	s_cselect_b32 s12, s9, s11
	s_ashr_i32 s13, s12, 31
	s_add_i32 s9, s0, 0xfffff080
	s_cmp_lt_i32 s9, s10
	v_lshl_add_u64 v[12:13], s[12:13], 1, v[0:1]
	s_cselect_b32 s12, s9, s11
	s_ashr_i32 s13, s12, 31
	s_add_i32 s9, s0, 0xfffff0c0
	s_cmp_lt_i32 s9, s10
	v_lshl_add_u64 v[14:15], s[12:13], 1, v[0:1]
	;; [unrolled: 5-line block ×8, first 2 shown]
	s_cselect_b32 s12, s9, s11
	s_ashr_i32 s13, s12, 31
	s_add_i32 s9, s0, 0xfffff280
	s_cmp_lt_i32 s9, s10
	global_load_ushort v3, v[12:13], off
	global_load_ushort v5, v[14:15], off
	global_load_ushort v6, v[16:17], off
	global_load_ushort v7, v[18:19], off
	global_load_ushort v8, v[20:21], off
	global_load_ushort v9, v[22:23], off
	global_load_ushort v10, v[24:25], off
	global_load_ushort v11, v[26:27], off
	v_lshl_add_u64 v[12:13], s[12:13], 1, v[0:1]
	s_cselect_b32 s12, s9, s11
	s_ashr_i32 s13, s12, 31
	s_add_i32 s9, s0, 0xfffff2c0
	s_cmp_lt_i32 s9, s10
	v_lshl_add_u64 v[14:15], s[12:13], 1, v[0:1]
	s_cselect_b32 s12, s9, s11
	s_ashr_i32 s13, s12, 31
	s_add_i32 s9, s0, 0xfffff300
	s_cmp_lt_i32 s9, s10
	v_lshl_add_u64 v[16:17], s[12:13], 1, v[0:1]
	s_cselect_b32 s12, s9, s11
	s_ashr_i32 s13, s12, 31
	s_add_i32 s9, s0, 0xfffff340
	s_cmp_lt_i32 s9, s10
	v_lshl_add_u64 v[18:19], s[12:13], 1, v[0:1]
	s_cselect_b32 s12, s9, s11
	s_ashr_i32 s13, s12, 31
	s_add_i32 s9, s0, 0xfffff380
	s_cmp_lt_i32 s9, s10
	v_lshl_add_u64 v[20:21], s[12:13], 1, v[0:1]
	s_cselect_b32 s12, s9, s11
	s_ashr_i32 s13, s12, 31
	s_add_i32 s9, s0, 0xfffff3c0
	s_cmp_lt_i32 s9, s10
	v_lshl_add_u64 v[22:23], s[12:13], 1, v[0:1]
	s_cselect_b32 s12, s9, s11
	s_ashr_i32 s13, s12, 31
	s_add_i32 s9, s0, 0xfffff400
	s_cmp_lt_i32 s9, s10
	v_lshl_add_u64 v[24:25], s[12:13], 1, v[0:1]
	s_cselect_b32 s12, s9, s11
	s_ashr_i32 s13, s12, 31
	s_add_i32 s9, s0, 0xfffff440
	s_cmp_lt_i32 s9, s10
	v_lshl_add_u64 v[26:27], s[12:13], 1, v[0:1]
	s_cselect_b32 s12, s9, s11
	s_ashr_i32 s13, s12, 31
	s_add_i32 s9, s0, 0xfffff480
	s_cmp_lt_i32 s9, s10
	global_load_ushort v28, v[12:13], off
	global_load_ushort v29, v[14:15], off
	global_load_ushort v30, v[16:17], off
	global_load_ushort v31, v[18:19], off
	global_load_ushort v32, v[20:21], off
	global_load_ushort v33, v[22:23], off
	global_load_ushort v34, v[24:25], off
	global_load_ushort v35, v[26:27], off
	v_lshl_add_u64 v[12:13], s[12:13], 1, v[0:1]
	s_cselect_b32 s12, s9, s11
	s_ashr_i32 s13, s12, 31
	s_add_i32 s9, s0, 0xfffff4c0
	s_cmp_lt_i32 s9, s10
	v_lshl_add_u64 v[14:15], s[12:13], 1, v[0:1]
	s_cselect_b32 s12, s9, s11
	s_ashr_i32 s13, s12, 31
	s_add_i32 s9, s0, 0xfffff500
	s_cmp_lt_i32 s9, s10
	v_lshl_add_u64 v[16:17], s[12:13], 1, v[0:1]
	s_cselect_b32 s12, s9, s11
	s_ashr_i32 s13, s12, 31
	s_add_i32 s9, s0, 0xfffff540
	s_cmp_lt_i32 s9, s10
	v_lshl_add_u64 v[18:19], s[12:13], 1, v[0:1]
	s_cselect_b32 s12, s9, s11
	s_ashr_i32 s13, s12, 31
	s_add_i32 s9, s0, 0xfffff580
	s_cmp_lt_i32 s9, s10
	v_lshl_add_u64 v[20:21], s[12:13], 1, v[0:1]
	s_cselect_b32 s12, s9, s11
	s_ashr_i32 s13, s12, 31
	s_add_i32 s9, s0, 0xfffff5c0
	s_cmp_lt_i32 s9, s10
	v_lshl_add_u64 v[22:23], s[12:13], 1, v[0:1]
	s_cselect_b32 s12, s9, s11
	s_ashr_i32 s13, s12, 31
	s_add_i32 s9, s0, 0xfffff600
	s_cmp_lt_i32 s9, s10
	v_lshl_add_u64 v[24:25], s[12:13], 1, v[0:1]
	s_cselect_b32 s12, s9, s11
	s_ashr_i32 s13, s12, 31
	s_add_i32 s9, s0, 0xfffff640
	s_cmp_lt_i32 s9, s10
	v_lshl_add_u64 v[26:27], s[12:13], 1, v[0:1]
	;; [unrolled: 48-line block ×6, first 2 shown]
	s_cselect_b32 s12, s9, s11
	s_ashr_i32 s13, s12, 31
	s_add_i32 s9, s0, 0xfffffe80
	s_cmp_lt_i32 s9, s10
	global_load_ushort v68, v[12:13], off
	global_load_ushort v69, v[14:15], off
	;; [unrolled: 1-line block ×8, first 2 shown]
	v_lshl_add_u64 v[12:13], s[12:13], 1, v[0:1]
	s_cselect_b32 s12, s9, s11
	s_ashr_i32 s13, s12, 31
	s_add_i32 s9, s0, 0xfffffec0
	s_cmp_lt_i32 s9, s10
	v_lshl_add_u64 v[14:15], s[12:13], 1, v[0:1]
	s_cselect_b32 s12, s9, s11
	s_ashr_i32 s13, s12, 31
	s_add_i32 s9, s0, 0xffffff00
	s_cmp_lt_i32 s9, s10
	v_lshl_add_u64 v[16:17], s[12:13], 1, v[0:1]
	s_cselect_b32 s12, s9, s11
	s_ashr_i32 s13, s12, 31
	s_add_i32 s9, s0, 0xffffff40
	s_cmp_lt_i32 s9, s10
	v_lshl_add_u64 v[18:19], s[12:13], 1, v[0:1]
	s_cselect_b32 s12, s9, s11
	s_ashr_i32 s13, s12, 31
	s_add_i32 s9, s0, 0xffffff80
	s_cmp_lt_i32 s9, s10
	v_lshl_add_u64 v[20:21], s[12:13], 1, v[0:1]
	s_cselect_b32 s12, s9, s11
	s_ashr_i32 s13, s12, 31
	s_sub_i32 s9, s0, 64
	s_cmp_lt_i32 s9, s10
	v_lshl_add_u64 v[22:23], s[12:13], 1, v[0:1]
	s_cselect_b32 s12, s9, s11
	s_ashr_i32 s13, s12, 31
	s_cmp_lt_i32 s0, s10
	v_lshl_add_u64 v[24:25], s[12:13], 1, v[0:1]
	s_cselect_b32 s12, s0, s11
	s_ashr_i32 s13, s12, 31
	v_lshl_add_u64 v[26:27], s[12:13], 1, v[0:1]
	global_load_ushort v76, v[12:13], off
	global_load_ushort v77, v[14:15], off
	;; [unrolled: 1-line block ×8, first 2 shown]
	v_mov_b32_e32 v84, s1
	ds_read_b128 v[12:15], v84
	ds_read_b128 v[16:19], v84 offset:16
	ds_read_b128 v[20:23], v84 offset:32
	;; [unrolled: 1-line block ×3, first 2 shown]
	s_waitcnt vmcnt(62) lgkmcnt(3)
	v_fma_mix_f32 v3, v12, v3, v4 op_sel_hi:[0,1,0]
	v_fma_mix_f32 v3, v13, v5, v3 op_sel_hi:[0,1,0]
	s_waitcnt vmcnt(61)
	v_fma_mix_f32 v3, v14, v6, v3 op_sel_hi:[0,1,0]
	s_waitcnt vmcnt(60)
	v_fma_mix_f32 v3, v15, v7, v3 op_sel_hi:[0,1,0]
	s_waitcnt vmcnt(59) lgkmcnt(2)
	v_fma_mix_f32 v3, v16, v8, v3 op_sel_hi:[0,1,0]
	s_waitcnt vmcnt(58)
	v_fma_mix_f32 v3, v17, v9, v3 op_sel_hi:[0,1,0]
	s_waitcnt vmcnt(57)
	;; [unrolled: 2-line block ×3, first 2 shown]
	v_fma_mix_f32 v3, v19, v11, v3 op_sel_hi:[0,1,0]
	s_waitcnt vmcnt(55) lgkmcnt(1)
	v_fma_mix_f32 v3, v20, v28, v3 op_sel_hi:[0,1,0]
	s_waitcnt vmcnt(54)
	v_fma_mix_f32 v3, v21, v29, v3 op_sel_hi:[0,1,0]
	s_waitcnt vmcnt(53)
	;; [unrolled: 2-line block ×3, first 2 shown]
	v_fma_mix_f32 v3, v23, v31, v3 op_sel_hi:[0,1,0]
	ds_read_b128 v[4:7], v84 offset:64
	ds_read_b128 v[8:11], v84 offset:80
	s_waitcnt vmcnt(51) lgkmcnt(2)
	v_fma_mix_f32 v3, v24, v32, v3 op_sel_hi:[0,1,0]
	s_waitcnt vmcnt(50)
	v_fma_mix_f32 v3, v25, v33, v3 op_sel_hi:[0,1,0]
	s_waitcnt vmcnt(49)
	;; [unrolled: 2-line block ×3, first 2 shown]
	v_fma_mix_f32 v3, v27, v35, v3 op_sel_hi:[0,1,0]
	s_waitcnt vmcnt(47) lgkmcnt(1)
	v_fma_mix_f32 v3, v4, v36, v3 op_sel_hi:[0,1,0]
	s_waitcnt vmcnt(46)
	v_fma_mix_f32 v3, v5, v37, v3 op_sel_hi:[0,1,0]
	s_waitcnt vmcnt(45)
	v_fma_mix_f32 v3, v6, v38, v3 op_sel_hi:[0,1,0]
	s_waitcnt vmcnt(44)
	v_fma_mix_f32 v3, v7, v39, v3 op_sel_hi:[0,1,0]
	ds_read_b128 v[4:7], v84 offset:96
	s_waitcnt vmcnt(43) lgkmcnt(1)
	v_fma_mix_f32 v3, v8, v40, v3 op_sel_hi:[0,1,0]
	s_waitcnt vmcnt(42)
	v_fma_mix_f32 v3, v9, v41, v3 op_sel_hi:[0,1,0]
	s_waitcnt vmcnt(41)
	v_fma_mix_f32 v3, v10, v42, v3 op_sel_hi:[0,1,0]
	s_waitcnt vmcnt(40)
	v_fma_mix_f32 v3, v11, v43, v3 op_sel_hi:[0,1,0]
	ds_read_b128 v[8:11], v84 offset:112
	;; [unrolled: 9-line block ×10, first 2 shown]
	s_waitcnt vmcnt(7) lgkmcnt(1)
	v_fma_mix_f32 v3, v4, v76, v3 op_sel_hi:[0,1,0]
	s_waitcnt vmcnt(6)
	v_fma_mix_f32 v3, v5, v77, v3 op_sel_hi:[0,1,0]
	s_waitcnt vmcnt(5)
	;; [unrolled: 2-line block ×3, first 2 shown]
	v_fma_mix_f32 v3, v7, v79, v3 op_sel_hi:[0,1,0]
	s_waitcnt vmcnt(3) lgkmcnt(0)
	v_fma_mix_f32 v3, v8, v80, v3 op_sel_hi:[0,1,0]
	s_waitcnt vmcnt(2)
	v_fma_mix_f32 v3, v9, v81, v3 op_sel_hi:[0,1,0]
	s_waitcnt vmcnt(1)
	;; [unrolled: 2-line block ×3, first 2 shown]
	v_fma_mix_f32 v4, v11, v83, v3 op_sel_hi:[0,1,0]
	s_branch .LBB90_16
.LBB90_19:
	v_mov_b32_e32 v0, 0
	ds_read_b32 v1, v0 offset:3840
	s_cmp_lg_u64 s[6:7], 0
	s_cbranch_scc0 .LBB90_24
; %bb.20:
	s_load_dword s6, s[6:7], 0x0
	s_waitcnt lgkmcnt(0)
	v_div_scale_f32 v0, s[0:1], s6, s6, 1.0
	v_rcp_f32_e32 v3, v0
	v_div_scale_f32 v5, vcc, 1.0, s6, 1.0
	v_fma_f32 v6, -v0, v3, 1.0
	v_fmac_f32_e32 v3, v6, v3
	v_mul_f32_e32 v6, v5, v3
	v_fma_f32 v7, -v0, v6, v5
	v_fmac_f32_e32 v6, v7, v3
	v_fma_f32 v0, -v0, v6, v5
	v_div_fmas_f32 v0, v0, v3, v6
	v_div_fixup_f32 v0, v0, s6, 1.0
	s_andn2_b64 vcc, exec, s[48:49]
	s_cbranch_vccnz .LBB90_22
.LBB90_21:
	s_add_u32 s0, s46, s50
	s_addc_u32 s1, s47, s51
	s_load_dword s44, s[0:1], 0x0
	s_mov_b32 s45, 0
.LBB90_22:
	s_waitcnt lgkmcnt(0)
	v_add_f32_e32 v1, 0x358637bd, v1
	v_div_scale_f32 v3, s[0:1], v1, v1, 1.0
	v_rcp_f32_e32 v5, v3
	v_div_scale_f32 v6, vcc, 1.0, v1, 1.0
	s_mul_i32 s0, s3, s45
	v_fma_f32 v7, -v3, v5, 1.0
	v_fmac_f32_e32 v5, v7, v5
	v_mul_f32_e32 v7, v6, v5
	v_fma_f32 v8, -v3, v7, v6
	s_mul_hi_u32 s1, s3, s44
	v_fmac_f32_e32 v7, v8, v5
	s_add_i32 s1, s1, s0
	s_mul_i32 s0, s3, s44
	v_fma_f32 v3, -v3, v7, v6
	s_lshl_b64 s[0:1], s[0:1], 7
	v_div_fmas_f32 v3, v3, v5, v7
	s_add_u32 s4, s4, s0
	s_mov_b32 s3, 0
	v_div_fixup_f32 v1, v3, v1, 1.0
	s_addc_u32 s5, s5, s1
	s_lshl_b64 s[0:1], s[2:3], 7
	v_mul_f32_e32 v1, v4, v1
	s_add_u32 s0, s4, s0
	s_addc_u32 s1, s5, s1
	v_fma_mixlo_f16 v0, v1, v0, 0
	global_store_short v2, v0, s[0:1]
	s_endpgm
.LBB90_23:
	s_mov_b64 s[6:7], 0
	s_branch .LBB90_2
.LBB90_24:
	v_mov_b32_e32 v0, 1.0
	s_andn2_b64 vcc, exec, s[48:49]
	s_cbranch_vccz .LBB90_21
	s_branch .LBB90_22
	.section	.rodata,"a",@progbits
	.p2align	6, 0x0
	.amdhsa_kernel _Z35paged_attention_ll4mi_reduce_kernelIDF16_DF16_Li64ELi64ELi256ELi15EEvPT0_PKfS3_PKT_PKiS8_iS3_
		.amdhsa_group_segment_fixed_size 3844
		.amdhsa_private_segment_fixed_size 0
		.amdhsa_kernarg_size 320
		.amdhsa_user_sgpr_count 2
		.amdhsa_user_sgpr_dispatch_ptr 0
		.amdhsa_user_sgpr_queue_ptr 0
		.amdhsa_user_sgpr_kernarg_segment_ptr 1
		.amdhsa_user_sgpr_dispatch_id 0
		.amdhsa_user_sgpr_kernarg_preload_length 0
		.amdhsa_user_sgpr_kernarg_preload_offset 0
		.amdhsa_user_sgpr_private_segment_size 0
		.amdhsa_uses_dynamic_stack 0
		.amdhsa_enable_private_segment 0
		.amdhsa_system_sgpr_workgroup_id_x 1
		.amdhsa_system_sgpr_workgroup_id_y 1
		.amdhsa_system_sgpr_workgroup_id_z 0
		.amdhsa_system_sgpr_workgroup_info 0
		.amdhsa_system_vgpr_workitem_id 0
		.amdhsa_next_free_vgpr 92
		.amdhsa_next_free_sgpr 59
		.amdhsa_accum_offset 92
		.amdhsa_reserve_vcc 1
		.amdhsa_float_round_mode_32 0
		.amdhsa_float_round_mode_16_64 0
		.amdhsa_float_denorm_mode_32 3
		.amdhsa_float_denorm_mode_16_64 3
		.amdhsa_dx10_clamp 1
		.amdhsa_ieee_mode 1
		.amdhsa_fp16_overflow 0
		.amdhsa_tg_split 0
		.amdhsa_exception_fp_ieee_invalid_op 0
		.amdhsa_exception_fp_denorm_src 0
		.amdhsa_exception_fp_ieee_div_zero 0
		.amdhsa_exception_fp_ieee_overflow 0
		.amdhsa_exception_fp_ieee_underflow 0
		.amdhsa_exception_fp_ieee_inexact 0
		.amdhsa_exception_int_div_zero 0
	.end_amdhsa_kernel
	.section	.text._Z35paged_attention_ll4mi_reduce_kernelIDF16_DF16_Li64ELi64ELi256ELi15EEvPT0_PKfS3_PKT_PKiS8_iS3_,"axG",@progbits,_Z35paged_attention_ll4mi_reduce_kernelIDF16_DF16_Li64ELi64ELi256ELi15EEvPT0_PKfS3_PKT_PKiS8_iS3_,comdat
.Lfunc_end90:
	.size	_Z35paged_attention_ll4mi_reduce_kernelIDF16_DF16_Li64ELi64ELi256ELi15EEvPT0_PKfS3_PKT_PKiS8_iS3_, .Lfunc_end90-_Z35paged_attention_ll4mi_reduce_kernelIDF16_DF16_Li64ELi64ELi256ELi15EEvPT0_PKfS3_PKT_PKiS8_iS3_
                                        ; -- End function
	.section	.AMDGPU.csdata,"",@progbits
; Kernel info:
; codeLenInByte = 10500
; NumSgprs: 65
; NumVgprs: 92
; NumAgprs: 0
; TotalNumVgprs: 92
; ScratchSize: 0
; MemoryBound: 0
; FloatMode: 240
; IeeeMode: 1
; LDSByteSize: 3844 bytes/workgroup (compile time only)
; SGPRBlocks: 8
; VGPRBlocks: 11
; NumSGPRsForWavesPerEU: 65
; NumVGPRsForWavesPerEU: 92
; AccumOffset: 92
; Occupancy: 5
; WaveLimiterHint : 1
; COMPUTE_PGM_RSRC2:SCRATCH_EN: 0
; COMPUTE_PGM_RSRC2:USER_SGPR: 2
; COMPUTE_PGM_RSRC2:TRAP_HANDLER: 0
; COMPUTE_PGM_RSRC2:TGID_X_EN: 1
; COMPUTE_PGM_RSRC2:TGID_Y_EN: 1
; COMPUTE_PGM_RSRC2:TGID_Z_EN: 0
; COMPUTE_PGM_RSRC2:TIDIG_COMP_CNT: 0
; COMPUTE_PGM_RSRC3_GFX90A:ACCUM_OFFSET: 22
; COMPUTE_PGM_RSRC3_GFX90A:TG_SPLIT: 0
	.section	.text._Z35paged_attention_ll4mi_reduce_kernelIDF16_DF16_Li64ELi64ELi256ELi16EEvPT0_PKfS3_PKT_PKiS8_iS3_,"axG",@progbits,_Z35paged_attention_ll4mi_reduce_kernelIDF16_DF16_Li64ELi64ELi256ELi16EEvPT0_PKfS3_PKT_PKiS8_iS3_,comdat
	.protected	_Z35paged_attention_ll4mi_reduce_kernelIDF16_DF16_Li64ELi64ELi256ELi16EEvPT0_PKfS3_PKT_PKiS8_iS3_ ; -- Begin function _Z35paged_attention_ll4mi_reduce_kernelIDF16_DF16_Li64ELi64ELi256ELi16EEvPT0_PKfS3_PKT_PKiS8_iS3_
	.globl	_Z35paged_attention_ll4mi_reduce_kernelIDF16_DF16_Li64ELi64ELi256ELi16EEvPT0_PKfS3_PKT_PKiS8_iS3_
	.p2align	8
	.type	_Z35paged_attention_ll4mi_reduce_kernelIDF16_DF16_Li64ELi64ELi256ELi16EEvPT0_PKfS3_PKT_PKiS8_iS3_,@function
_Z35paged_attention_ll4mi_reduce_kernelIDF16_DF16_Li64ELi64ELi256ELi16EEvPT0_PKfS3_PKT_PKiS8_iS3_: ; @_Z35paged_attention_ll4mi_reduce_kernelIDF16_DF16_Li64ELi64ELi256ELi16EEvPT0_PKfS3_PKT_PKiS8_iS3_
; %bb.0:
	s_load_dwordx2 s[48:49], s[0:1], 0x28
	s_mov_b32 s38, s3
	s_mov_b64 s[4:5], 0
	s_waitcnt lgkmcnt(0)
	s_cmp_lg_u64 s[48:49], 0
	s_cselect_b64 s[50:51], -1, 0
	s_and_b64 vcc, exec, s[50:51]
	s_cbranch_vccz .LBB91_23
; %bb.1:
	s_add_i32 s6, s38, 1
	s_mov_b32 s7, 0
	s_lshl_b64 s[8:9], s[6:7], 2
	s_add_u32 s8, s48, s8
	s_mov_b32 s39, s7
	s_addc_u32 s9, s49, s9
	s_lshl_b64 s[6:7], s[38:39], 2
	s_add_u32 s6, s48, s6
	s_addc_u32 s7, s49, s7
	s_load_dword s3, s[8:9], 0x0
	s_load_dword s10, s[6:7], 0x0
	s_waitcnt lgkmcnt(0)
	s_sub_i32 s3, s3, s10
	s_cmp_eq_u32 s3, 1
	s_cselect_b64 s[6:7], -1, 0
	s_andn2_b64 vcc, exec, s[4:5]
	s_cbranch_vccnz .LBB91_3
.LBB91_2:
	s_mov_b32 s39, 0
	s_mov_b64 s[6:7], -1
.LBB91_3:
	s_andn2_b64 vcc, exec, s[6:7]
	s_cbranch_vccz .LBB91_5
; %bb.4:
	s_endpgm
.LBB91_5:
	s_load_dwordx4 s[40:43], s[0:1], 0x18
	s_load_dword s8, s[0:1], 0x30
	s_lshl_b64 s[52:53], s[38:39], 2
	v_cmp_lt_u32_e32 vcc, 63, v0
	s_waitcnt lgkmcnt(0)
	s_add_u32 s4, s42, s52
	s_addc_u32 s5, s43, s53
	s_load_dword s60, s[4:5], 0x0
	s_load_dword s3, s[0:1], 0x40
	s_mul_i32 s42, s2, s8
	s_mul_i32 s6, s38, s8
	s_waitcnt lgkmcnt(0)
	s_add_i32 s7, s60, 0xff
	s_ashr_i32 s4, s7, 31
	s_lshr_b32 s4, s4, 24
	s_add_i32 s7, s7, s4
	s_and_saveexec_b64 s[4:5], vcc
	s_xor_b64 s[4:5], exec, s[4:5]
	s_or_saveexec_b64 s[54:55], s[4:5]
	s_ashr_i32 s33, s7, 8
	v_mov_b32_e32 v1, s42
	s_mul_i32 s56, s6, s3
	s_xor_b64 exec, exec, s[54:55]
	s_cbranch_execz .LBB91_9
; %bb.6:
	s_add_i32 s4, s33, -1
	v_or_b32_e32 v3, 64, v0
	v_mov_b32_e32 v1, s4
	v_cmp_gt_u32_e64 s[30:31], s33, v3
	s_load_dwordx4 s[44:47], s[0:1], 0x8
	s_mov_b32 s57, 0
	v_cndmask_b32_e64 v4, v1, v3, s[30:31]
	v_or_b32_e32 v3, 0x80, v0
	v_cmp_gt_u32_e64 s[28:29], s33, v3
	s_lshl_b64 s[58:59], s[56:57], 2
	s_mov_b32 s43, s57
	v_cndmask_b32_e64 v6, v1, v3, s[28:29]
	v_or_b32_e32 v3, 0xc0, v0
	v_cmp_gt_u32_e64 s[26:27], s33, v3
	v_cmp_gt_u32_e64 s[34:35], s33, v0
	s_waitcnt lgkmcnt(0)
	s_add_u32 s36, s46, s58
	v_cndmask_b32_e64 v8, v1, v3, s[26:27]
	v_or_b32_e32 v3, 0x100, v0
	v_cmp_gt_u32_e64 s[24:25], s33, v3
	v_cndmask_b32_e64 v2, v1, v0, s[34:35]
	s_addc_u32 s37, s47, s59
	v_cndmask_b32_e64 v10, v1, v3, s[24:25]
	v_or_b32_e32 v3, 0x140, v0
	v_cmp_gt_u32_e64 s[22:23], s33, v3
	s_lshl_b64 s[46:47], s[42:43], 2
	s_add_u32 s36, s36, s46
	v_cndmask_b32_e64 v12, v1, v3, s[22:23]
	v_or_b32_e32 v3, 0x180, v0
	v_cmp_gt_u32_e64 s[20:21], s33, v3
	s_addc_u32 s37, s37, s47
	v_ashrrev_i32_e32 v5, 31, v4
	v_cndmask_b32_e64 v14, v1, v3, s[20:21]
	v_or_b32_e32 v3, 0x1c0, v0
	v_cmp_gt_u32_e64 s[16:17], s33, v3
	v_ashrrev_i32_e32 v7, 31, v6
	v_ashrrev_i32_e32 v9, 31, v8
	v_cndmask_b32_e64 v16, v1, v3, s[16:17]
	v_or_b32_e32 v3, 0x200, v0
	v_cmp_gt_u32_e64 s[12:13], s33, v3
	v_ashrrev_i32_e32 v11, 31, v10
	;; [unrolled: 5-line block ×3, first 2 shown]
	v_ashrrev_i32_e32 v17, 31, v16
	v_cndmask_b32_e64 v20, v1, v3, s[8:9]
	v_or_b32_e32 v3, 0x280, v0
	v_cmp_gt_u32_e64 s[6:7], s33, v3
	v_lshlrev_b64 v[4:5], 2, v[4:5]
	v_lshlrev_b64 v[6:7], 2, v[6:7]
	v_cndmask_b32_e64 v22, v1, v3, s[6:7]
	v_or_b32_e32 v3, 0x2c0, v0
	v_cmp_gt_u32_e64 s[18:19], s33, v3
	v_lshlrev_b64 v[8:9], 2, v[8:9]
	v_lshlrev_b64 v[10:11], 2, v[10:11]
	;; [unrolled: 5-line block ×3, first 2 shown]
	v_cndmask_b32_e64 v26, v1, v3, s[14:15]
	v_or_b32_e32 v3, 0x340, v0
	v_cmp_gt_u32_e64 s[10:11], s33, v3
	v_lshlrev_b64 v[16:17], 2, v[16:17]
	v_lshl_add_u64 v[36:37], s[36:37], 0, v[4:5]
	v_cndmask_b32_e64 v28, v1, v3, s[10:11]
	v_or_b32_e32 v3, 0x380, v0
	v_cmp_gt_u32_e64 s[4:5], s33, v3
	v_lshl_add_u64 v[38:39], s[36:37], 0, v[6:7]
	v_lshl_add_u64 v[40:41], s[36:37], 0, v[8:9]
	v_cndmask_b32_e64 v30, v1, v3, s[4:5]
	v_or_b32_e32 v3, 0x3c0, v0
	v_cmp_gt_u32_e32 vcc, s33, v3
	v_lshl_add_u64 v[42:43], s[36:37], 0, v[10:11]
	v_lshl_add_u64 v[44:45], s[36:37], 0, v[12:13]
	v_cndmask_b32_e32 v32, v1, v3, vcc
	v_ashrrev_i32_e32 v3, 31, v2
	v_lshlrev_b64 v[2:3], 2, v[2:3]
	v_lshl_add_u64 v[34:35], s[36:37], 0, v[2:3]
	v_lshl_add_u64 v[46:47], s[36:37], 0, v[14:15]
	;; [unrolled: 1-line block ×3, first 2 shown]
	global_load_dword v1, v[34:35], off
	global_load_dword v50, v[36:37], off
	;; [unrolled: 1-line block ×8, first 2 shown]
	v_ashrrev_i32_e32 v19, 31, v18
	v_ashrrev_i32_e32 v21, 31, v20
	v_ashrrev_i32_e32 v23, 31, v22
	v_ashrrev_i32_e32 v25, 31, v24
	v_lshlrev_b64 v[18:19], 2, v[18:19]
	v_lshlrev_b64 v[20:21], 2, v[20:21]
	;; [unrolled: 1-line block ×4, first 2 shown]
	v_ashrrev_i32_e32 v27, 31, v26
	v_ashrrev_i32_e32 v29, 31, v28
	;; [unrolled: 1-line block ×4, first 2 shown]
	v_lshl_add_u64 v[34:35], s[36:37], 0, v[18:19]
	v_lshl_add_u64 v[36:37], s[36:37], 0, v[20:21]
	;; [unrolled: 1-line block ×4, first 2 shown]
	v_lshlrev_b64 v[26:27], 2, v[26:27]
	v_lshlrev_b64 v[28:29], 2, v[28:29]
	;; [unrolled: 1-line block ×4, first 2 shown]
	v_lshl_add_u64 v[42:43], s[36:37], 0, v[26:27]
	v_lshl_add_u64 v[44:45], s[36:37], 0, v[28:29]
	;; [unrolled: 1-line block ×4, first 2 shown]
	global_load_dword v34, v[34:35], off
	s_nop 0
	global_load_dword v35, v[36:37], off
	s_nop 0
	global_load_dword v36, v[38:39], off
	global_load_dword v37, v[40:41], off
	s_nop 0
	global_load_dword v38, v[42:43], off
	global_load_dword v39, v[44:45], off
	;; [unrolled: 1-line block ×4, first 2 shown]
	s_mov_b32 s43, 0x3fb8aa3b
	s_waitcnt vmcnt(15)
	v_max_f32_e32 v43, v1, v1
	s_waitcnt vmcnt(14)
	v_max_f32_e32 v42, v50, v50
	v_max_f32_e32 v42, v43, v42
	s_waitcnt vmcnt(12)
	v_max3_f32 v42, v42, v51, v52
	v_mbcnt_lo_u32_b32 v43, -1, 0
	s_waitcnt vmcnt(10)
	v_max3_f32 v42, v42, v53, v54
	v_mbcnt_hi_u32_b32 v43, -1, v43
	s_waitcnt vmcnt(8)
	v_max3_f32 v42, v42, v55, v56
	v_and_b32_e32 v44, 64, v43
	v_add_u32_e32 v44, 64, v44
	v_xor_b32_e32 v45, 32, v43
	v_cmp_lt_i32_e64 s[36:37], v45, v44
	s_waitcnt vmcnt(6)
	v_max3_f32 v42, v42, v34, v35
	v_cndmask_b32_e64 v45, v43, v45, s[36:37]
	s_waitcnt vmcnt(4)
	v_max3_f32 v42, v42, v36, v37
	v_lshlrev_b32_e32 v45, 2, v45
	s_waitcnt vmcnt(2)
	v_max3_f32 v42, v42, v38, v39
	s_waitcnt vmcnt(0)
	v_max3_f32 v42, v42, v40, v41
	ds_bpermute_b32 v46, v45, v42
	s_waitcnt lgkmcnt(0)
	v_max_f32_e32 v46, v46, v46
	v_max_f32_e32 v42, v42, v46
	v_xor_b32_e32 v46, 16, v43
	v_cmp_lt_i32_e64 s[36:37], v46, v44
	s_nop 1
	v_cndmask_b32_e64 v46, v43, v46, s[36:37]
	v_lshlrev_b32_e32 v46, 2, v46
	ds_bpermute_b32 v47, v46, v42
	s_waitcnt lgkmcnt(0)
	v_max_f32_e32 v47, v47, v47
	v_max_f32_e32 v42, v42, v47
	v_xor_b32_e32 v47, 8, v43
	v_cmp_lt_i32_e64 s[36:37], v47, v44
	s_nop 1
	v_cndmask_b32_e64 v47, v43, v47, s[36:37]
	v_lshlrev_b32_e32 v47, 2, v47
	ds_bpermute_b32 v48, v47, v42
	s_waitcnt lgkmcnt(0)
	v_max_f32_e32 v48, v48, v48
	v_max_f32_e32 v42, v42, v48
	v_xor_b32_e32 v48, 4, v43
	v_cmp_lt_i32_e64 s[36:37], v48, v44
	s_nop 1
	v_cndmask_b32_e64 v48, v43, v48, s[36:37]
	s_add_u32 s36, s44, s58
	v_lshlrev_b32_e32 v48, 2, v48
	s_addc_u32 s37, s45, s59
	ds_bpermute_b32 v49, v48, v42
	s_add_u32 s44, s36, s46
	s_addc_u32 s45, s37, s47
	v_lshl_add_u64 v[2:3], s[44:45], 0, v[2:3]
	global_load_dword v57, v[2:3], off
	v_xor_b32_e32 v3, 2, v43
	v_cmp_lt_i32_e64 s[36:37], v3, v44
	s_waitcnt lgkmcnt(0)
	v_max_f32_e32 v2, v49, v49
	v_max_f32_e32 v2, v42, v2
	v_cndmask_b32_e64 v3, v43, v3, s[36:37]
	v_lshlrev_b32_e32 v42, 2, v3
	ds_bpermute_b32 v3, v42, v2
	s_waitcnt lgkmcnt(0)
	v_max_f32_e32 v3, v3, v3
	v_max_f32_e32 v49, v2, v3
	v_lshl_add_u64 v[2:3], s[44:45], 0, v[4:5]
	global_load_dword v58, v[2:3], off
	v_xor_b32_e32 v2, 1, v43
	v_cmp_lt_i32_e64 s[36:37], v2, v44
	v_lshl_add_u64 v[4:5], s[44:45], 0, v[8:9]
	v_lshl_add_u64 v[8:9], s[44:45], 0, v[12:13]
	v_cndmask_b32_e64 v2, v43, v2, s[36:37]
	v_lshlrev_b32_e32 v43, 2, v2
	v_lshl_add_u64 v[2:3], s[44:45], 0, v[6:7]
	v_lshl_add_u64 v[6:7], s[44:45], 0, v[10:11]
	;; [unrolled: 1-line block ×4, first 2 shown]
	global_load_dword v59, v[2:3], off
	global_load_dword v60, v[4:5], off
	;; [unrolled: 1-line block ×4, first 2 shown]
	s_nop 0
	global_load_dword v10, v[10:11], off
	s_nop 0
	global_load_dword v63, v[12:13], off
	ds_bpermute_b32 v44, v43, v49
	v_lshl_add_u64 v[4:5], s[44:45], 0, v[20:21]
	v_lshl_add_u64 v[6:7], s[44:45], 0, v[22:23]
	;; [unrolled: 1-line block ×4, first 2 shown]
	s_waitcnt lgkmcnt(0)
	v_max_f32_e32 v11, v44, v44
	v_max_f32_e32 v20, v49, v11
	v_sub_f32_e32 v1, v1, v20
	v_mul_f32_e32 v11, 0x3fb8aa3b, v1
	v_fma_f32 v21, v1, s43, -v11
	v_rndne_f32_e32 v22, v11
	v_fmac_f32_e32 v21, 0x32a5705f, v1
	v_sub_f32_e32 v11, v11, v22
	v_lshl_add_u64 v[14:15], s[44:45], 0, v[28:29]
	v_add_f32_e32 v11, v11, v21
	v_lshl_add_u64 v[8:9], s[44:45], 0, v[24:25]
	v_lshl_add_u64 v[16:17], s[44:45], 0, v[30:31]
	;; [unrolled: 1-line block ×3, first 2 shown]
	v_exp_f32_e32 v21, v11
	global_load_dword v2, v[2:3], off
	s_nop 0
	global_load_dword v3, v[4:5], off
	s_nop 0
	global_load_dword v4, v[6:7], off
	global_load_dword v11, v[8:9], off
	s_nop 0
	global_load_dword v12, v[12:13], off
	s_nop 0
	;; [unrolled: 2-line block ×3, first 2 shown]
	global_load_dword v14, v[16:17], off
	global_load_dword v15, v[18:19], off
	v_sub_f32_e32 v6, v50, v20
	v_mul_f32_e32 v7, 0x3fb8aa3b, v6
	v_fma_f32 v8, v6, s43, -v7
	v_rndne_f32_e32 v9, v7
	v_cvt_i32_f32_e32 v22, v22
	v_fmac_f32_e32 v8, 0x32a5705f, v6
	v_sub_f32_e32 v7, v7, v9
	v_add_f32_e32 v7, v7, v8
	v_exp_f32_e32 v7, v7
	v_cvt_i32_f32_e32 v8, v9
	s_mov_b32 s44, 0xc2ce8ed0
	v_ldexp_f32 v5, v21, v22
	v_cmp_ngt_f32_e64 s[36:37], s44, v1
	s_mov_b32 s45, 0x42b17218
	v_mov_b32_e32 v16, 0x7f800000
	v_cndmask_b32_e64 v5, 0, v5, s[36:37]
	v_cmp_nlt_f32_e64 s[36:37], s45, v1
	v_sub_f32_e32 v23, v37, v20
	v_mul_f32_e32 v24, 0x3fb8aa3b, v23
	v_cndmask_b32_e64 v1, v16, v5, s[36:37]
	v_ldexp_f32 v5, v7, v8
	v_sub_f32_e32 v7, v51, v20
	v_mul_f32_e32 v8, 0x3fb8aa3b, v7
	v_fma_f32 v9, v7, s43, -v8
	v_rndne_f32_e32 v17, v8
	v_fmac_f32_e32 v9, 0x32a5705f, v7
	v_sub_f32_e32 v8, v8, v17
	v_add_f32_e32 v8, v8, v9
	v_exp_f32_e32 v8, v8
	v_cvt_i32_f32_e32 v9, v17
	v_cndmask_b32_e64 v1, 0, v1, s[34:35]
	v_cmp_ngt_f32_e64 s[34:35], s44, v6
	v_fma_f32 v25, v23, s43, -v24
	v_rndne_f32_e32 v26, v24
	v_cndmask_b32_e64 v5, 0, v5, s[34:35]
	v_cmp_nlt_f32_e64 s[34:35], s45, v6
	v_ldexp_f32 v6, v8, v9
	v_sub_f32_e32 v8, v52, v20
	v_mul_f32_e32 v9, 0x3fb8aa3b, v8
	v_fma_f32 v17, v8, s43, -v9
	v_rndne_f32_e32 v18, v9
	v_fmac_f32_e32 v17, 0x32a5705f, v8
	v_sub_f32_e32 v9, v9, v18
	v_cndmask_b32_e64 v5, v16, v5, s[34:35]
	v_add_f32_e32 v9, v9, v17
	v_cndmask_b32_e64 v5, 0, v5, s[30:31]
	v_cmp_ngt_f32_e64 s[30:31], s44, v7
	v_exp_f32_e32 v9, v9
	v_cvt_i32_f32_e32 v17, v18
	v_cndmask_b32_e64 v6, 0, v6, s[30:31]
	v_cmp_nlt_f32_e64 s[30:31], s45, v7
	v_sub_f32_e32 v7, v53, v20
	v_fmac_f32_e32 v25, 0x32a5705f, v23
	v_cndmask_b32_e64 v6, v16, v6, s[30:31]
	v_cndmask_b32_e64 v6, 0, v6, s[28:29]
	s_waitcnt vmcnt(13)
	v_mul_f32_e32 v18, v59, v6
	v_ldexp_f32 v6, v9, v17
	v_mul_f32_e32 v9, 0x3fb8aa3b, v7
	v_fma_f32 v17, v7, s43, -v9
	v_rndne_f32_e32 v19, v9
	v_fmac_f32_e32 v17, 0x32a5705f, v7
	v_sub_f32_e32 v9, v9, v19
	v_add_f32_e32 v9, v9, v17
	v_cmp_ngt_f32_e64 s[28:29], s44, v8
	v_exp_f32_e32 v9, v9
	v_cvt_i32_f32_e32 v17, v19
	v_cndmask_b32_e64 v6, 0, v6, s[28:29]
	v_cmp_nlt_f32_e64 s[28:29], s45, v8
	v_sub_f32_e32 v8, v54, v20
	v_sub_f32_e32 v24, v24, v26
	v_cndmask_b32_e64 v6, v16, v6, s[28:29]
	v_cndmask_b32_e64 v6, 0, v6, s[26:27]
	s_waitcnt vmcnt(12)
	v_mul_f32_e32 v19, v60, v6
	v_ldexp_f32 v6, v9, v17
	v_mul_f32_e32 v9, 0x3fb8aa3b, v8
	v_fma_f32 v17, v8, s43, -v9
	v_rndne_f32_e32 v21, v9
	v_fmac_f32_e32 v17, 0x32a5705f, v8
	v_sub_f32_e32 v9, v9, v21
	v_add_f32_e32 v9, v9, v17
	v_cmp_ngt_f32_e64 s[26:27], s44, v7
	v_exp_f32_e32 v9, v9
	v_cvt_i32_f32_e32 v17, v21
	v_cndmask_b32_e64 v6, 0, v6, s[26:27]
	v_cmp_nlt_f32_e64 s[26:27], s45, v7
	v_sub_f32_e32 v7, v55, v20
	v_add_f32_e32 v24, v24, v25
	v_cndmask_b32_e64 v6, v16, v6, s[26:27]
	v_cndmask_b32_e64 v6, 0, v6, s[24:25]
	s_waitcnt vmcnt(11)
	v_mul_f32_e32 v21, v61, v6
	v_ldexp_f32 v6, v9, v17
	v_mul_f32_e32 v9, 0x3fb8aa3b, v7
	v_fma_f32 v17, v7, s43, -v9
	v_rndne_f32_e32 v22, v9
	v_fmac_f32_e32 v17, 0x32a5705f, v7
	v_sub_f32_e32 v9, v9, v22
	v_add_f32_e32 v9, v9, v17
	v_cmp_ngt_f32_e64 s[24:25], s44, v8
	v_exp_f32_e32 v9, v9
	v_cvt_i32_f32_e32 v17, v22
	v_cndmask_b32_e64 v6, 0, v6, s[24:25]
	v_cmp_nlt_f32_e64 s[24:25], s45, v8
	v_exp_f32_e32 v24, v24
	v_cvt_i32_f32_e32 v25, v26
	v_cndmask_b32_e64 v6, v16, v6, s[24:25]
	v_cndmask_b32_e64 v6, 0, v6, s[22:23]
	s_waitcnt vmcnt(10)
	v_mul_f32_e32 v22, v62, v6
	v_ldexp_f32 v6, v9, v17
	v_cmp_ngt_f32_e64 s[22:23], s44, v7
	v_mul_f32_e32 v1, v57, v1
	v_mul_f32_e32 v5, v58, v5
	v_cndmask_b32_e64 v6, 0, v6, s[22:23]
	v_cmp_nlt_f32_e64 s[22:23], s45, v7
	v_sub_f32_e32 v7, v56, v20
	v_mul_f32_e32 v8, 0x3fb8aa3b, v7
	v_fma_f32 v9, v7, s43, -v8
	v_rndne_f32_e32 v17, v8
	v_fmac_f32_e32 v9, 0x32a5705f, v7
	v_sub_f32_e32 v8, v8, v17
	v_add_f32_e32 v8, v8, v9
	v_exp_f32_e32 v8, v8
	v_cvt_i32_f32_e32 v9, v17
	v_cndmask_b32_e64 v6, v16, v6, s[22:23]
	v_cndmask_b32_e64 v6, 0, v6, s[20:21]
	v_ldexp_f32 v17, v24, v25
	v_cmp_ngt_f32_e64 s[20:21], s44, v23
	v_ldexp_f32 v8, v8, v9
	v_sub_f32_e32 v9, v34, v20
	v_cndmask_b32_e64 v17, 0, v17, s[20:21]
	v_cmp_nlt_f32_e64 s[20:21], s45, v23
	s_waitcnt vmcnt(9)
	v_mul_f32_e32 v6, v10, v6
	v_mul_f32_e32 v10, 0x3fb8aa3b, v9
	v_cndmask_b32_e64 v17, v16, v17, s[20:21]
	v_cndmask_b32_e64 v17, 0, v17, s[18:19]
	s_waitcnt vmcnt(4)
	v_mul_f32_e32 v11, v11, v17
	v_fma_f32 v17, v9, s43, -v10
	v_rndne_f32_e32 v23, v10
	v_fmac_f32_e32 v17, 0x32a5705f, v9
	v_sub_f32_e32 v10, v10, v23
	v_add_f32_e32 v10, v10, v17
	v_exp_f32_e32 v10, v10
	v_cvt_i32_f32_e32 v17, v23
	v_cmp_ngt_f32_e64 s[18:19], s44, v7
	s_nop 1
	v_cndmask_b32_e64 v8, 0, v8, s[18:19]
	v_cmp_nlt_f32_e64 s[18:19], s45, v7
	s_nop 1
	v_cndmask_b32_e64 v7, v16, v8, s[18:19]
	v_ldexp_f32 v8, v10, v17
	v_sub_f32_e32 v10, v35, v20
	v_mul_f32_e32 v17, 0x3fb8aa3b, v10
	v_fma_f32 v23, v10, s43, -v17
	v_rndne_f32_e32 v24, v17
	v_fmac_f32_e32 v23, 0x32a5705f, v10
	v_sub_f32_e32 v17, v17, v24
	v_add_f32_e32 v17, v17, v23
	v_cvt_i32_f32_e32 v23, v24
	v_sub_f32_e32 v24, v38, v20
	v_mul_f32_e32 v25, 0x3fb8aa3b, v24
	v_fma_f32 v26, v24, s43, -v25
	v_rndne_f32_e32 v27, v25
	v_fmac_f32_e32 v26, 0x32a5705f, v24
	v_sub_f32_e32 v25, v25, v27
	v_exp_f32_e32 v17, v17
	v_add_f32_e32 v25, v25, v26
	v_cndmask_b32_e64 v7, 0, v7, s[16:17]
	v_exp_f32_e32 v25, v25
	v_cvt_i32_f32_e32 v26, v27
	v_cmp_ngt_f32_e64 s[16:17], s44, v9
	v_ldexp_f32 v17, v17, v23
	v_mul_f32_e32 v7, v63, v7
	v_cndmask_b32_e64 v8, 0, v8, s[16:17]
	v_cmp_nlt_f32_e64 s[16:17], s45, v9
	v_ldexp_f32 v23, v25, v26
	s_nop 0
	v_cndmask_b32_e64 v8, v16, v8, s[16:17]
	v_cndmask_b32_e64 v8, 0, v8, s[12:13]
	v_cmp_ngt_f32_e64 s[12:13], s44, v10
	v_mul_f32_e32 v8, v2, v8
	s_nop 0
	v_cndmask_b32_e64 v9, 0, v17, s[12:13]
	v_cmp_ngt_f32_e64 s[12:13], s44, v24
	v_sub_f32_e32 v17, v36, v20
	s_nop 0
	v_cndmask_b32_e64 v23, 0, v23, s[12:13]
	v_cmp_nlt_f32_e64 s[12:13], s45, v24
	v_mul_f32_e32 v24, 0x3fb8aa3b, v17
	v_rndne_f32_e32 v25, v24
	v_cndmask_b32_e64 v23, v16, v23, s[12:13]
	v_cndmask_b32_e64 v23, 0, v23, s[14:15]
	s_waitcnt vmcnt(3)
	v_mul_f32_e32 v12, v12, v23
	v_fma_f32 v23, v17, s43, -v24
	v_fmac_f32_e32 v23, 0x32a5705f, v17
	v_sub_f32_e32 v24, v24, v25
	v_add_f32_e32 v23, v24, v23
	v_sub_f32_e32 v24, v39, v20
	v_mul_f32_e32 v26, 0x3fb8aa3b, v24
	v_fma_f32 v27, v24, s43, -v26
	v_rndne_f32_e32 v28, v26
	v_fmac_f32_e32 v27, 0x32a5705f, v24
	v_sub_f32_e32 v26, v26, v28
	v_add_f32_e32 v26, v26, v27
	v_cmp_nlt_f32_e64 s[12:13], s45, v10
	v_cvt_i32_f32_e32 v10, v28
	v_exp_f32_e32 v23, v23
	v_cndmask_b32_e64 v2, v16, v9, s[12:13]
	v_exp_f32_e32 v9, v26
	v_cndmask_b32_e64 v2, 0, v2, s[8:9]
	v_cmp_ngt_f32_e64 s[8:9], s44, v24
	v_cvt_i32_f32_e32 v25, v25
	v_ldexp_f32 v9, v9, v10
	v_cndmask_b32_e64 v9, 0, v9, s[8:9]
	v_cmp_nlt_f32_e64 s[8:9], s45, v24
	s_nop 1
	v_cndmask_b32_e64 v9, v16, v9, s[8:9]
	v_cndmask_b32_e64 v9, 0, v9, s[10:11]
	s_waitcnt vmcnt(2)
	v_mul_f32_e32 v13, v13, v9
	v_mul_f32_e32 v9, v3, v2
	v_sub_f32_e32 v3, v40, v20
	v_mul_f32_e32 v10, 0x3fb8aa3b, v3
	v_ldexp_f32 v2, v23, v25
	v_fma_f32 v23, v3, s43, -v10
	v_rndne_f32_e32 v24, v10
	v_fmac_f32_e32 v23, 0x32a5705f, v3
	v_sub_f32_e32 v10, v10, v24
	v_add_f32_e32 v10, v10, v23
	v_exp_f32_e32 v10, v10
	v_cvt_i32_f32_e32 v23, v24
	v_cmp_ngt_f32_e64 s[8:9], s44, v17
	v_ldexp_f32 v10, v10, v23
	s_nop 0
	v_cndmask_b32_e64 v2, 0, v2, s[8:9]
	v_cmp_nlt_f32_e64 s[8:9], s45, v17
	v_sub_f32_e32 v17, v41, v20
	s_nop 0
	v_cndmask_b32_e64 v2, v16, v2, s[8:9]
	v_cndmask_b32_e64 v2, 0, v2, s[6:7]
	v_cmp_ngt_f32_e64 s[6:7], s44, v3
	s_nop 1
	v_cndmask_b32_e64 v10, 0, v10, s[6:7]
	v_cmp_nlt_f32_e64 s[6:7], s45, v3
	s_nop 1
	v_cndmask_b32_e64 v3, v16, v10, s[6:7]
	v_mul_f32_e32 v10, 0x3fb8aa3b, v17
	v_fma_f32 v20, v17, s43, -v10
	v_rndne_f32_e32 v23, v10
	v_fmac_f32_e32 v20, 0x32a5705f, v17
	v_sub_f32_e32 v10, v10, v23
	v_add_f32_e32 v10, v10, v20
	v_exp_f32_e32 v20, v10
	v_cvt_i32_f32_e32 v23, v23
	v_cndmask_b32_e64 v3, 0, v3, s[4:5]
	v_mul_f32_e32 v10, v4, v2
	v_cmp_ngt_f32_e64 s[4:5], s44, v17
	v_ldexp_f32 v2, v20, v23
	s_waitcnt vmcnt(1)
	v_mul_f32_e32 v3, v14, v3
	v_cndmask_b32_e64 v2, 0, v2, s[4:5]
	v_cmp_nlt_f32_e64 s[4:5], s45, v17
	s_nop 1
	v_cndmask_b32_e64 v2, v16, v2, s[4:5]
	v_cndmask_b32_e32 v2, 0, v2, vcc
	s_waitcnt vmcnt(0)
	v_mul_f32_e32 v4, v15, v2
	v_add_f32_e32 v2, v1, v5
	v_add_f32_e32 v2, v2, v18
	;; [unrolled: 1-line block ×15, first 2 shown]
	ds_bpermute_b32 v14, v45, v2
	v_lshlrev_b32_e32 v15, 2, v0
	ds_write2st64_b32 v15, v1, v5 offset1:1
	v_cmp_eq_u32_e32 vcc, 0, v0
	ds_write2st64_b32 v15, v18, v19 offset0:2 offset1:3
	ds_write2st64_b32 v15, v21, v22 offset0:4 offset1:5
	;; [unrolled: 1-line block ×4, first 2 shown]
	s_waitcnt lgkmcnt(5)
	v_add_f32_e32 v2, v2, v14
	ds_bpermute_b32 v14, v46, v2
	ds_write2st64_b32 v15, v10, v11 offset0:10 offset1:11
	ds_write2st64_b32 v15, v12, v13 offset0:12 offset1:13
	;; [unrolled: 1-line block ×3, first 2 shown]
	s_waitcnt lgkmcnt(3)
	v_add_f32_e32 v2, v2, v14
	ds_bpermute_b32 v14, v47, v2
	s_waitcnt lgkmcnt(0)
	v_add_f32_e32 v2, v2, v14
	ds_bpermute_b32 v14, v48, v2
	;; [unrolled: 3-line block ×4, first 2 shown]
	s_and_saveexec_b64 s[4:5], vcc
	s_cbranch_execz .LBB91_8
; %bb.7:
	s_waitcnt lgkmcnt(0)
	v_add_f32_e32 v1, v1, v2
	v_mov_b32_e32 v2, 0
	ds_write_b32 v2, v1 offset:4096
.LBB91_8:
	s_or_b64 exec, exec, s[4:5]
	v_mov_b32_e32 v1, s42
.LBB91_9:
	s_or_b64 exec, exec, s[54:55]
	s_lshl_b32 s4, s56, 6
	s_mov_b32 s5, 0
	s_lshl_b64 s[4:5], s[4:5], 1
	s_add_u32 s4, s40, s4
	s_addc_u32 s5, s41, s5
	s_lshl_b32 s10, s33, 6
	s_sub_i32 s11, s10, 64
	s_waitcnt lgkmcnt(0)
	v_lshlrev_b32_e32 v2, 6, v1
	v_mov_b32_e32 v3, 0
	s_cmp_lt_i32 s60, 1
	v_lshl_add_u64 v[4:5], v[2:3], 1, s[4:5]
	s_cselect_b32 s4, s11, 0
	v_lshlrev_b32_e32 v2, 1, v0
	s_ashr_i32 s5, s4, 31
	v_lshl_add_u64 v[0:1], v[4:5], 0, v[2:3]
	s_cmpk_lt_i32 s60, 0x101
	v_lshl_add_u64 v[12:13], s[4:5], 1, v[0:1]
	s_cselect_b32 s4, s11, 64
	s_ashr_i32 s5, s4, 31
	s_cmpk_lt_i32 s60, 0x201
	v_lshl_add_u64 v[14:15], s[4:5], 1, v[0:1]
	s_cselect_b32 s4, s11, 0x80
	s_ashr_i32 s5, s4, 31
	;; [unrolled: 4-line block ×8, first 2 shown]
	s_cmpk_lt_i32 s60, 0x901
	global_load_ushort v4, v[12:13], off
	global_load_ushort v5, v[14:15], off
	;; [unrolled: 1-line block ×8, first 2 shown]
	v_lshl_add_u64 v[20:21], s[4:5], 1, v[0:1]
	s_cselect_b32 s4, s11, 0x240
	s_ashr_i32 s5, s4, 31
	s_cmpk_lt_i32 s60, 0xa01
	v_lshl_add_u64 v[22:23], s[4:5], 1, v[0:1]
	s_cselect_b32 s4, s11, 0x280
	s_ashr_i32 s5, s4, 31
	s_cmpk_lt_i32 s60, 0xb01
	;; [unrolled: 4-line block ×6, first 2 shown]
	v_lshl_add_u64 v[32:33], s[4:5], 1, v[0:1]
	s_cselect_b32 s4, s11, 0x3c0
	s_ashr_i32 s5, s4, 31
	v_lshl_add_u64 v[34:35], s[4:5], 1, v[0:1]
	global_load_ushort v12, v[20:21], off
	global_load_ushort v13, v[22:23], off
	;; [unrolled: 1-line block ×8, first 2 shown]
	s_cmpk_gt_i32 s60, 0x1000
	s_cselect_b64 s[8:9], -1, 0
	s_cmpk_lt_i32 s60, 0x1001
	v_mov_b32_e32 v36, 0
	v_mov_b32_e32 v37, 0
	;; [unrolled: 1-line block ×48, first 2 shown]
	s_waitcnt lgkmcnt(0)
	; wave barrier
	s_cbranch_scc1 .LBB91_12
; %bb.10:
	s_cmpk_lt_u32 s60, 0x1101
	s_cselect_b32 s4, s11, 0x440
	s_ashr_i32 s5, s4, 31
	s_cmpk_lt_u32 s60, 0x1201
	v_lshl_add_u64 v[28:29], s[4:5], 1, v[0:1]
	s_cselect_b32 s4, s11, 0x480
	s_ashr_i32 s5, s4, 31
	s_cmpk_lt_u32 s60, 0x1301
	v_lshl_add_u64 v[30:31], s[4:5], 1, v[0:1]
	s_cselect_b32 s4, s11, 0x4c0
	s_ashr_i32 s5, s4, 31
	s_cmpk_lt_u32 s60, 0x1401
	v_lshl_add_u64 v[32:33], s[4:5], 1, v[0:1]
	s_cselect_b32 s4, s11, 0x500
	s_ashr_i32 s5, s4, 31
	s_cmpk_lt_u32 s60, 0x1501
	v_lshl_add_u64 v[34:35], s[4:5], 1, v[0:1]
	s_cselect_b32 s4, s11, 0x540
	s_ashr_i32 s5, s4, 31
	s_cmpk_lt_u32 s60, 0x1601
	v_lshl_add_u64 v[36:37], s[4:5], 1, v[0:1]
	s_cselect_b32 s4, s11, 0x580
	s_ashr_i32 s5, s4, 31
	s_cmpk_lt_u32 s60, 0x1701
	v_lshl_add_u64 v[38:39], s[4:5], 1, v[0:1]
	s_cselect_b32 s4, s11, 0x5c0
	s_ashr_i32 s5, s4, 31
	s_cmpk_lt_u32 s60, 0x1801
	v_lshl_add_u64 v[40:41], s[4:5], 1, v[0:1]
	s_cselect_b32 s4, s11, 0x600
	s_ashr_i32 s5, s4, 31
	s_cmpk_lt_u32 s60, 0x1901
	global_load_ushort v27, v[0:1], off offset:2048
	global_load_ushort v26, v[28:29], off
	global_load_ushort v25, v[30:31], off
	;; [unrolled: 1-line block ×7, first 2 shown]
	v_lshl_add_u64 v[36:37], s[4:5], 1, v[0:1]
	s_cselect_b32 s4, s11, 0x640
	s_ashr_i32 s5, s4, 31
	s_cmpk_lt_u32 s60, 0x1a01
	v_lshl_add_u64 v[38:39], s[4:5], 1, v[0:1]
	s_cselect_b32 s4, s11, 0x680
	s_ashr_i32 s5, s4, 31
	s_cmpk_lt_u32 s60, 0x1b01
	;; [unrolled: 4-line block ×6, first 2 shown]
	v_lshl_add_u64 v[48:49], s[4:5], 1, v[0:1]
	s_cselect_b32 s4, s11, 0x7c0
	s_ashr_i32 s5, s4, 31
	v_lshl_add_u64 v[50:51], s[4:5], 1, v[0:1]
	global_load_ushort v35, v[36:37], off
	global_load_ushort v34, v[38:39], off
	;; [unrolled: 1-line block ×8, first 2 shown]
	s_cmpk_lt_u32 s60, 0x2001
	v_mov_b32_e32 v67, 0
	v_mov_b32_e32 v66, 0
	v_mov_b32_e32 v65, 0
	v_mov_b32_e32 v64, 0
	v_mov_b32_e32 v63, 0
	v_mov_b32_e32 v62, 0
	v_mov_b32_e32 v61, 0
	v_mov_b32_e32 v60, 0
	v_mov_b32_e32 v59, 0
	v_mov_b32_e32 v58, 0
	v_mov_b32_e32 v57, 0
	v_mov_b32_e32 v56, 0
	v_mov_b32_e32 v55, 0
	v_mov_b32_e32 v54, 0
	v_mov_b32_e32 v53, 0
	v_mov_b32_e32 v52, 0
	v_mov_b32_e32 v51, 0
	v_mov_b32_e32 v50, 0
	v_mov_b32_e32 v49, 0
	v_mov_b32_e32 v48, 0
	v_mov_b32_e32 v47, 0
	v_mov_b32_e32 v46, 0
	v_mov_b32_e32 v45, 0
	v_mov_b32_e32 v44, 0
	v_mov_b32_e32 v43, 0
	v_mov_b32_e32 v42, 0
	v_mov_b32_e32 v41, 0
	v_mov_b32_e32 v40, 0
	v_mov_b32_e32 v39, 0
	v_mov_b32_e32 v38, 0
	v_mov_b32_e32 v37, 0
	v_mov_b32_e32 v36, 0
	s_cbranch_scc1 .LBB91_12
; %bb.11:
	s_cmpk_lt_u32 s60, 0x2101
	s_cselect_b32 s4, s11, 0x840
	s_ashr_i32 s5, s4, 31
	s_cmpk_lt_u32 s60, 0x2201
	v_lshl_add_u64 v[38:39], s[4:5], 1, v[0:1]
	s_cselect_b32 s4, s11, 0x880
	s_ashr_i32 s5, s4, 31
	s_cmpk_lt_u32 s60, 0x2301
	v_lshl_add_u64 v[40:41], s[4:5], 1, v[0:1]
	;; [unrolled: 4-line block ×7, first 2 shown]
	s_cselect_b32 s4, s11, 0xa00
	v_add_co_u32_e32 v36, vcc, 0x1000, v0
	s_ashr_i32 s5, s4, 31
	s_nop 0
	v_addc_co_u32_e32 v37, vcc, 0, v1, vcc
	s_cmpk_lt_u32 s60, 0x2901
	global_load_ushort v52, v[36:37], off
	global_load_ushort v53, v[38:39], off
	global_load_ushort v54, v[40:41], off
	global_load_ushort v55, v[42:43], off
	global_load_ushort v56, v[44:45], off
	global_load_ushort v57, v[46:47], off
	global_load_ushort v58, v[48:49], off
	global_load_ushort v59, v[50:51], off
	v_lshl_add_u64 v[36:37], s[4:5], 1, v[0:1]
	s_cselect_b32 s4, s11, 0xa40
	s_ashr_i32 s5, s4, 31
	s_cmpk_lt_u32 s60, 0x2a01
	v_lshl_add_u64 v[38:39], s[4:5], 1, v[0:1]
	s_cselect_b32 s4, s11, 0xa80
	s_ashr_i32 s5, s4, 31
	s_cmpk_lt_u32 s60, 0x2b01
	;; [unrolled: 4-line block ×8, first 2 shown]
	global_load_ushort v68, v[36:37], off
	global_load_ushort v69, v[38:39], off
	;; [unrolled: 1-line block ×8, first 2 shown]
	v_lshl_add_u64 v[36:37], s[4:5], 1, v[0:1]
	s_cselect_b32 s4, s11, 0xc40
	s_ashr_i32 s5, s4, 31
	s_cmpk_lt_u32 s60, 0x3201
	v_lshl_add_u64 v[38:39], s[4:5], 1, v[0:1]
	s_cselect_b32 s4, s11, 0xc80
	s_ashr_i32 s5, s4, 31
	s_cmpk_lt_u32 s60, 0x3301
	;; [unrolled: 4-line block ×8, first 2 shown]
	global_load_ushort v76, v[36:37], off
	global_load_ushort v77, v[38:39], off
	;; [unrolled: 1-line block ×8, first 2 shown]
	v_lshl_add_u64 v[36:37], s[4:5], 1, v[0:1]
	s_cselect_b32 s4, s11, 0xe40
	s_ashr_i32 s5, s4, 31
	s_cmpk_lt_u32 s60, 0x3a01
	v_lshl_add_u64 v[38:39], s[4:5], 1, v[0:1]
	s_cselect_b32 s4, s11, 0xe80
	s_ashr_i32 s5, s4, 31
	s_cmpk_lt_u32 s60, 0x3b01
	;; [unrolled: 4-line block ×6, first 2 shown]
	v_lshl_add_u64 v[48:49], s[4:5], 1, v[0:1]
	s_cselect_b32 s4, s11, 0xfc0
	s_ashr_i32 s5, s4, 31
	v_lshl_add_u64 v[50:51], s[4:5], 1, v[0:1]
	global_load_ushort v84, v[36:37], off
	global_load_ushort v85, v[38:39], off
	;; [unrolled: 1-line block ×8, first 2 shown]
	s_waitcnt vmcnt(31)
	v_cvt_f32_f16_e32 v67, v52
	s_waitcnt vmcnt(30)
	v_cvt_f32_f16_e32 v66, v53
	s_waitcnt vmcnt(29)
	v_cvt_f32_f16_e32 v65, v54
	s_waitcnt vmcnt(28)
	v_cvt_f32_f16_e32 v64, v55
	s_waitcnt vmcnt(27)
	v_cvt_f32_f16_e32 v63, v56
	s_waitcnt vmcnt(26)
	v_cvt_f32_f16_e32 v62, v57
	s_waitcnt vmcnt(25)
	v_cvt_f32_f16_e32 v61, v58
	s_waitcnt vmcnt(24)
	v_cvt_f32_f16_e32 v60, v59
	s_waitcnt vmcnt(23)
	v_cvt_f32_f16_e32 v59, v68
	s_waitcnt vmcnt(22)
	v_cvt_f32_f16_e32 v58, v69
	s_waitcnt vmcnt(21)
	v_cvt_f32_f16_e32 v57, v70
	s_waitcnt vmcnt(20)
	v_cvt_f32_f16_e32 v56, v71
	s_waitcnt vmcnt(19)
	v_cvt_f32_f16_e32 v55, v72
	s_waitcnt vmcnt(18)
	v_cvt_f32_f16_e32 v54, v73
	s_waitcnt vmcnt(17)
	v_cvt_f32_f16_e32 v53, v74
	s_waitcnt vmcnt(16)
	v_cvt_f32_f16_e32 v52, v75
	s_waitcnt vmcnt(15)
	v_cvt_f32_f16_e32 v51, v76
	s_waitcnt vmcnt(14)
	v_cvt_f32_f16_e32 v50, v77
	s_waitcnt vmcnt(13)
	v_cvt_f32_f16_e32 v49, v78
	s_waitcnt vmcnt(12)
	v_cvt_f32_f16_e32 v48, v79
	s_waitcnt vmcnt(11)
	v_cvt_f32_f16_e32 v47, v80
	s_waitcnt vmcnt(10)
	v_cvt_f32_f16_e32 v46, v81
	s_waitcnt vmcnt(9)
	v_cvt_f32_f16_e32 v45, v82
	s_waitcnt vmcnt(8)
	v_cvt_f32_f16_e32 v44, v83
	s_waitcnt vmcnt(7)
	v_cvt_f32_f16_e32 v43, v84
	s_waitcnt vmcnt(6)
	v_cvt_f32_f16_e32 v42, v85
	s_waitcnt vmcnt(5)
	v_cvt_f32_f16_e32 v41, v86
	s_waitcnt vmcnt(4)
	v_cvt_f32_f16_e32 v40, v87
	s_waitcnt vmcnt(3)
	v_cvt_f32_f16_e32 v39, v88
	s_waitcnt vmcnt(2)
	v_cvt_f32_f16_e32 v38, v89
	s_waitcnt vmcnt(1)
	v_cvt_f32_f16_e32 v37, v90
	s_waitcnt vmcnt(0)
	v_cvt_f32_f16_e32 v36, v91
.LBB91_12:
	ds_read_b128 v[68:71], v3
	s_load_dwordx2 s[4:5], s[0:1], 0x0
	s_load_dwordx2 s[6:7], s[0:1], 0x38
	ds_read_b128 v[72:75], v3 offset:16
	ds_read_b128 v[76:79], v3 offset:32
	;; [unrolled: 1-line block ×3, first 2 shown]
	s_and_b64 vcc, exec, s[8:9]
	s_waitcnt vmcnt(15) lgkmcnt(0)
	v_fma_mix_f32 v4, v68, v4, 0 op_sel_hi:[0,1,0]
	s_waitcnt vmcnt(14)
	v_fma_mix_f32 v4, v69, v5, v4 op_sel_hi:[0,1,0]
	s_waitcnt vmcnt(13)
	;; [unrolled: 2-line block ×15, first 2 shown]
	v_fma_mix_f32 v4, v83, v19, v4 op_sel_hi:[0,1,0]
	s_cbranch_vccz .LBB91_15
; %bb.13:
	ds_read_b128 v[6:9], v3 offset:64
	ds_read_b128 v[10:13], v3 offset:80
	;; [unrolled: 1-line block ×4, first 2 shown]
	s_cmpk_lt_u32 s60, 0x2001
	s_waitcnt lgkmcnt(3)
	v_fma_mix_f32 v3, v6, v27, v4 op_sel_hi:[0,1,0]
	v_fma_mix_f32 v3, v7, v26, v3 op_sel_hi:[0,1,0]
	v_fma_mix_f32 v3, v8, v25, v3 op_sel_hi:[0,1,0]
	v_fma_mix_f32 v3, v9, v24, v3 op_sel_hi:[0,1,0]
	s_waitcnt lgkmcnt(2)
	v_fma_mix_f32 v3, v10, v23, v3 op_sel_hi:[0,1,0]
	v_fma_mix_f32 v3, v11, v22, v3 op_sel_hi:[0,1,0]
	v_fma_mix_f32 v3, v12, v21, v3 op_sel_hi:[0,1,0]
	v_fma_mix_f32 v3, v13, v20, v3 op_sel_hi:[0,1,0]
	;; [unrolled: 5-line block ×4, first 2 shown]
	s_cbranch_scc1 .LBB91_15
; %bb.14:
	v_mov_b32_e32 v3, 0
	ds_read_b128 v[6:9], v3 offset:128
	ds_read_b128 v[10:13], v3 offset:144
	;; [unrolled: 1-line block ×4, first 2 shown]
	s_waitcnt lgkmcnt(3)
	v_fmac_f32_e32 v4, v6, v67
	v_fmac_f32_e32 v4, v7, v66
	v_fmac_f32_e32 v4, v8, v65
	v_fmac_f32_e32 v4, v9, v64
	s_waitcnt lgkmcnt(2)
	v_fmac_f32_e32 v4, v10, v63
	v_fmac_f32_e32 v4, v11, v62
	v_fmac_f32_e32 v4, v12, v61
	v_fmac_f32_e32 v4, v13, v60
	;; [unrolled: 5-line block ×3, first 2 shown]
	ds_read_b128 v[6:9], v3 offset:192
	ds_read_b128 v[10:13], v3 offset:208
	s_waitcnt lgkmcnt(2)
	v_fmac_f32_e32 v4, v18, v55
	v_fmac_f32_e32 v4, v19, v54
	v_fmac_f32_e32 v4, v20, v53
	v_fmac_f32_e32 v4, v21, v52
	s_waitcnt lgkmcnt(1)
	v_fmac_f32_e32 v4, v6, v51
	v_fmac_f32_e32 v4, v7, v50
	;; [unrolled: 1-line block ×4, first 2 shown]
	ds_read_b128 v[6:9], v3 offset:224
	s_waitcnt lgkmcnt(1)
	v_fmac_f32_e32 v4, v10, v47
	v_fmac_f32_e32 v4, v11, v46
	;; [unrolled: 1-line block ×4, first 2 shown]
	ds_read_b128 v[10:13], v3 offset:240
	s_waitcnt lgkmcnt(1)
	v_fmac_f32_e32 v4, v6, v43
	v_fmac_f32_e32 v4, v7, v42
	;; [unrolled: 1-line block ×4, first 2 shown]
	s_waitcnt lgkmcnt(0)
	v_fmac_f32_e32 v4, v10, v39
	v_fmac_f32_e32 v4, v11, v38
	;; [unrolled: 1-line block ×4, first 2 shown]
.LBB91_15:
	s_movk_i32 s0, 0x1fc0
	s_movk_i32 s1, 0x100
	s_mov_b32 s8, 64
	s_branch .LBB91_17
.LBB91_16:                              ;   in Loop: Header=BB91_17 Depth=1
	s_addk_i32 s0, 0x1000
	s_addk_i32 s1, 0x100
	s_add_i32 s8, s8, 64
	s_cmp_eq_u32 s0, 0x10fc0
	s_cbranch_scc1 .LBB91_19
.LBB91_17:                              ; =>This Inner Loop Header: Depth=1
	s_cmp_le_i32 s33, s8
	s_cbranch_scc1 .LBB91_16
; %bb.18:                               ;   in Loop: Header=BB91_17 Depth=1
	s_add_i32 s9, s0, 0xfffff040
	s_cmp_lt_i32 s9, s10
	s_cselect_b32 s12, s9, s11
	s_ashr_i32 s13, s12, 31
	s_add_i32 s9, s0, 0xfffff080
	s_cmp_lt_i32 s9, s10
	v_lshl_add_u64 v[12:13], s[12:13], 1, v[0:1]
	s_cselect_b32 s12, s9, s11
	s_ashr_i32 s13, s12, 31
	s_add_i32 s9, s0, 0xfffff0c0
	s_cmp_lt_i32 s9, s10
	v_lshl_add_u64 v[14:15], s[12:13], 1, v[0:1]
	;; [unrolled: 5-line block ×8, first 2 shown]
	s_cselect_b32 s12, s9, s11
	s_ashr_i32 s13, s12, 31
	s_add_i32 s9, s0, 0xfffff280
	s_cmp_lt_i32 s9, s10
	global_load_ushort v3, v[12:13], off
	global_load_ushort v5, v[14:15], off
	global_load_ushort v6, v[16:17], off
	global_load_ushort v7, v[18:19], off
	global_load_ushort v8, v[20:21], off
	global_load_ushort v9, v[22:23], off
	global_load_ushort v10, v[24:25], off
	global_load_ushort v11, v[26:27], off
	v_lshl_add_u64 v[12:13], s[12:13], 1, v[0:1]
	s_cselect_b32 s12, s9, s11
	s_ashr_i32 s13, s12, 31
	s_add_i32 s9, s0, 0xfffff2c0
	s_cmp_lt_i32 s9, s10
	v_lshl_add_u64 v[14:15], s[12:13], 1, v[0:1]
	s_cselect_b32 s12, s9, s11
	s_ashr_i32 s13, s12, 31
	s_add_i32 s9, s0, 0xfffff300
	s_cmp_lt_i32 s9, s10
	v_lshl_add_u64 v[16:17], s[12:13], 1, v[0:1]
	s_cselect_b32 s12, s9, s11
	s_ashr_i32 s13, s12, 31
	s_add_i32 s9, s0, 0xfffff340
	s_cmp_lt_i32 s9, s10
	v_lshl_add_u64 v[18:19], s[12:13], 1, v[0:1]
	s_cselect_b32 s12, s9, s11
	s_ashr_i32 s13, s12, 31
	s_add_i32 s9, s0, 0xfffff380
	s_cmp_lt_i32 s9, s10
	v_lshl_add_u64 v[20:21], s[12:13], 1, v[0:1]
	s_cselect_b32 s12, s9, s11
	s_ashr_i32 s13, s12, 31
	s_add_i32 s9, s0, 0xfffff3c0
	s_cmp_lt_i32 s9, s10
	v_lshl_add_u64 v[22:23], s[12:13], 1, v[0:1]
	s_cselect_b32 s12, s9, s11
	s_ashr_i32 s13, s12, 31
	s_add_i32 s9, s0, 0xfffff400
	s_cmp_lt_i32 s9, s10
	v_lshl_add_u64 v[24:25], s[12:13], 1, v[0:1]
	s_cselect_b32 s12, s9, s11
	s_ashr_i32 s13, s12, 31
	s_add_i32 s9, s0, 0xfffff440
	s_cmp_lt_i32 s9, s10
	v_lshl_add_u64 v[26:27], s[12:13], 1, v[0:1]
	s_cselect_b32 s12, s9, s11
	s_ashr_i32 s13, s12, 31
	s_add_i32 s9, s0, 0xfffff480
	s_cmp_lt_i32 s9, s10
	global_load_ushort v28, v[12:13], off
	global_load_ushort v29, v[14:15], off
	global_load_ushort v30, v[16:17], off
	global_load_ushort v31, v[18:19], off
	global_load_ushort v32, v[20:21], off
	global_load_ushort v33, v[22:23], off
	global_load_ushort v34, v[24:25], off
	global_load_ushort v35, v[26:27], off
	v_lshl_add_u64 v[12:13], s[12:13], 1, v[0:1]
	s_cselect_b32 s12, s9, s11
	s_ashr_i32 s13, s12, 31
	s_add_i32 s9, s0, 0xfffff4c0
	s_cmp_lt_i32 s9, s10
	v_lshl_add_u64 v[14:15], s[12:13], 1, v[0:1]
	s_cselect_b32 s12, s9, s11
	s_ashr_i32 s13, s12, 31
	s_add_i32 s9, s0, 0xfffff500
	s_cmp_lt_i32 s9, s10
	v_lshl_add_u64 v[16:17], s[12:13], 1, v[0:1]
	s_cselect_b32 s12, s9, s11
	s_ashr_i32 s13, s12, 31
	s_add_i32 s9, s0, 0xfffff540
	s_cmp_lt_i32 s9, s10
	v_lshl_add_u64 v[18:19], s[12:13], 1, v[0:1]
	s_cselect_b32 s12, s9, s11
	s_ashr_i32 s13, s12, 31
	s_add_i32 s9, s0, 0xfffff580
	s_cmp_lt_i32 s9, s10
	v_lshl_add_u64 v[20:21], s[12:13], 1, v[0:1]
	s_cselect_b32 s12, s9, s11
	s_ashr_i32 s13, s12, 31
	s_add_i32 s9, s0, 0xfffff5c0
	s_cmp_lt_i32 s9, s10
	v_lshl_add_u64 v[22:23], s[12:13], 1, v[0:1]
	s_cselect_b32 s12, s9, s11
	s_ashr_i32 s13, s12, 31
	s_add_i32 s9, s0, 0xfffff600
	s_cmp_lt_i32 s9, s10
	v_lshl_add_u64 v[24:25], s[12:13], 1, v[0:1]
	s_cselect_b32 s12, s9, s11
	s_ashr_i32 s13, s12, 31
	s_add_i32 s9, s0, 0xfffff640
	s_cmp_lt_i32 s9, s10
	v_lshl_add_u64 v[26:27], s[12:13], 1, v[0:1]
	;; [unrolled: 48-line block ×6, first 2 shown]
	s_cselect_b32 s12, s9, s11
	s_ashr_i32 s13, s12, 31
	s_add_i32 s9, s0, 0xfffffe80
	s_cmp_lt_i32 s9, s10
	global_load_ushort v68, v[12:13], off
	global_load_ushort v69, v[14:15], off
	global_load_ushort v70, v[16:17], off
	global_load_ushort v71, v[18:19], off
	global_load_ushort v72, v[20:21], off
	global_load_ushort v73, v[22:23], off
	global_load_ushort v74, v[24:25], off
	global_load_ushort v75, v[26:27], off
	v_lshl_add_u64 v[12:13], s[12:13], 1, v[0:1]
	s_cselect_b32 s12, s9, s11
	s_ashr_i32 s13, s12, 31
	s_add_i32 s9, s0, 0xfffffec0
	s_cmp_lt_i32 s9, s10
	v_lshl_add_u64 v[14:15], s[12:13], 1, v[0:1]
	s_cselect_b32 s12, s9, s11
	s_ashr_i32 s13, s12, 31
	s_add_i32 s9, s0, 0xffffff00
	s_cmp_lt_i32 s9, s10
	;; [unrolled: 5-line block ×4, first 2 shown]
	v_lshl_add_u64 v[20:21], s[12:13], 1, v[0:1]
	s_cselect_b32 s12, s9, s11
	s_ashr_i32 s13, s12, 31
	s_sub_i32 s9, s0, 64
	s_cmp_lt_i32 s9, s10
	v_lshl_add_u64 v[22:23], s[12:13], 1, v[0:1]
	s_cselect_b32 s12, s9, s11
	s_ashr_i32 s13, s12, 31
	s_cmp_lt_i32 s0, s10
	v_lshl_add_u64 v[24:25], s[12:13], 1, v[0:1]
	s_cselect_b32 s12, s0, s11
	s_ashr_i32 s13, s12, 31
	v_lshl_add_u64 v[26:27], s[12:13], 1, v[0:1]
	global_load_ushort v76, v[12:13], off
	global_load_ushort v77, v[14:15], off
	;; [unrolled: 1-line block ×8, first 2 shown]
	v_mov_b32_e32 v84, s1
	ds_read_b128 v[12:15], v84
	ds_read_b128 v[16:19], v84 offset:16
	ds_read_b128 v[20:23], v84 offset:32
	;; [unrolled: 1-line block ×3, first 2 shown]
	s_waitcnt vmcnt(62) lgkmcnt(3)
	v_fma_mix_f32 v3, v12, v3, v4 op_sel_hi:[0,1,0]
	v_fma_mix_f32 v3, v13, v5, v3 op_sel_hi:[0,1,0]
	s_waitcnt vmcnt(61)
	v_fma_mix_f32 v3, v14, v6, v3 op_sel_hi:[0,1,0]
	s_waitcnt vmcnt(60)
	v_fma_mix_f32 v3, v15, v7, v3 op_sel_hi:[0,1,0]
	s_waitcnt vmcnt(59) lgkmcnt(2)
	v_fma_mix_f32 v3, v16, v8, v3 op_sel_hi:[0,1,0]
	s_waitcnt vmcnt(58)
	v_fma_mix_f32 v3, v17, v9, v3 op_sel_hi:[0,1,0]
	s_waitcnt vmcnt(57)
	;; [unrolled: 2-line block ×3, first 2 shown]
	v_fma_mix_f32 v3, v19, v11, v3 op_sel_hi:[0,1,0]
	s_waitcnt vmcnt(55) lgkmcnt(1)
	v_fma_mix_f32 v3, v20, v28, v3 op_sel_hi:[0,1,0]
	s_waitcnt vmcnt(54)
	v_fma_mix_f32 v3, v21, v29, v3 op_sel_hi:[0,1,0]
	s_waitcnt vmcnt(53)
	;; [unrolled: 2-line block ×3, first 2 shown]
	v_fma_mix_f32 v3, v23, v31, v3 op_sel_hi:[0,1,0]
	ds_read_b128 v[4:7], v84 offset:64
	ds_read_b128 v[8:11], v84 offset:80
	s_waitcnt vmcnt(51) lgkmcnt(2)
	v_fma_mix_f32 v3, v24, v32, v3 op_sel_hi:[0,1,0]
	s_waitcnt vmcnt(50)
	v_fma_mix_f32 v3, v25, v33, v3 op_sel_hi:[0,1,0]
	s_waitcnt vmcnt(49)
	;; [unrolled: 2-line block ×3, first 2 shown]
	v_fma_mix_f32 v3, v27, v35, v3 op_sel_hi:[0,1,0]
	s_waitcnt vmcnt(47) lgkmcnt(1)
	v_fma_mix_f32 v3, v4, v36, v3 op_sel_hi:[0,1,0]
	s_waitcnt vmcnt(46)
	v_fma_mix_f32 v3, v5, v37, v3 op_sel_hi:[0,1,0]
	s_waitcnt vmcnt(45)
	v_fma_mix_f32 v3, v6, v38, v3 op_sel_hi:[0,1,0]
	s_waitcnt vmcnt(44)
	v_fma_mix_f32 v3, v7, v39, v3 op_sel_hi:[0,1,0]
	ds_read_b128 v[4:7], v84 offset:96
	s_waitcnt vmcnt(43) lgkmcnt(1)
	v_fma_mix_f32 v3, v8, v40, v3 op_sel_hi:[0,1,0]
	s_waitcnt vmcnt(42)
	v_fma_mix_f32 v3, v9, v41, v3 op_sel_hi:[0,1,0]
	s_waitcnt vmcnt(41)
	v_fma_mix_f32 v3, v10, v42, v3 op_sel_hi:[0,1,0]
	s_waitcnt vmcnt(40)
	v_fma_mix_f32 v3, v11, v43, v3 op_sel_hi:[0,1,0]
	ds_read_b128 v[8:11], v84 offset:112
	;; [unrolled: 9-line block ×10, first 2 shown]
	s_waitcnt vmcnt(7) lgkmcnt(1)
	v_fma_mix_f32 v3, v4, v76, v3 op_sel_hi:[0,1,0]
	s_waitcnt vmcnt(6)
	v_fma_mix_f32 v3, v5, v77, v3 op_sel_hi:[0,1,0]
	s_waitcnt vmcnt(5)
	;; [unrolled: 2-line block ×3, first 2 shown]
	v_fma_mix_f32 v3, v7, v79, v3 op_sel_hi:[0,1,0]
	s_waitcnt vmcnt(3) lgkmcnt(0)
	v_fma_mix_f32 v3, v8, v80, v3 op_sel_hi:[0,1,0]
	s_waitcnt vmcnt(2)
	v_fma_mix_f32 v3, v9, v81, v3 op_sel_hi:[0,1,0]
	s_waitcnt vmcnt(1)
	;; [unrolled: 2-line block ×3, first 2 shown]
	v_fma_mix_f32 v4, v11, v83, v3 op_sel_hi:[0,1,0]
	s_branch .LBB91_16
.LBB91_19:
	v_mov_b32_e32 v0, 0
	ds_read_b32 v1, v0 offset:4096
	s_cmp_lg_u64 s[6:7], 0
	s_cbranch_scc0 .LBB91_24
; %bb.20:
	s_load_dword s6, s[6:7], 0x0
	s_waitcnt lgkmcnt(0)
	v_div_scale_f32 v0, s[0:1], s6, s6, 1.0
	v_rcp_f32_e32 v3, v0
	v_div_scale_f32 v5, vcc, 1.0, s6, 1.0
	v_fma_f32 v6, -v0, v3, 1.0
	v_fmac_f32_e32 v3, v6, v3
	v_mul_f32_e32 v6, v5, v3
	v_fma_f32 v7, -v0, v6, v5
	v_fmac_f32_e32 v6, v7, v3
	v_fma_f32 v0, -v0, v6, v5
	v_div_fmas_f32 v0, v0, v3, v6
	v_div_fixup_f32 v0, v0, s6, 1.0
	s_andn2_b64 vcc, exec, s[50:51]
	s_cbranch_vccnz .LBB91_22
.LBB91_21:
	s_add_u32 s0, s48, s52
	s_addc_u32 s1, s49, s53
	s_load_dword s38, s[0:1], 0x0
	s_mov_b32 s39, 0
.LBB91_22:
	s_waitcnt lgkmcnt(0)
	v_add_f32_e32 v1, 0x358637bd, v1
	v_div_scale_f32 v3, s[0:1], v1, v1, 1.0
	v_rcp_f32_e32 v5, v3
	v_div_scale_f32 v6, vcc, 1.0, v1, 1.0
	s_mul_i32 s0, s3, s39
	v_fma_f32 v7, -v3, v5, 1.0
	v_fmac_f32_e32 v5, v7, v5
	v_mul_f32_e32 v7, v6, v5
	v_fma_f32 v8, -v3, v7, v6
	s_mul_hi_u32 s1, s3, s38
	v_fmac_f32_e32 v7, v8, v5
	s_add_i32 s1, s1, s0
	s_mul_i32 s0, s3, s38
	v_fma_f32 v3, -v3, v7, v6
	s_lshl_b64 s[0:1], s[0:1], 7
	v_div_fmas_f32 v3, v3, v5, v7
	s_add_u32 s4, s4, s0
	s_mov_b32 s3, 0
	v_div_fixup_f32 v1, v3, v1, 1.0
	s_addc_u32 s5, s5, s1
	s_lshl_b64 s[0:1], s[2:3], 7
	v_mul_f32_e32 v1, v4, v1
	s_add_u32 s0, s4, s0
	s_addc_u32 s1, s5, s1
	v_fma_mixlo_f16 v0, v1, v0, 0
	global_store_short v2, v0, s[0:1]
	s_endpgm
.LBB91_23:
	s_mov_b64 s[6:7], 0
	s_branch .LBB91_2
.LBB91_24:
	v_mov_b32_e32 v0, 1.0
	s_andn2_b64 vcc, exec, s[50:51]
	s_cbranch_vccz .LBB91_21
	s_branch .LBB91_22
	.section	.rodata,"a",@progbits
	.p2align	6, 0x0
	.amdhsa_kernel _Z35paged_attention_ll4mi_reduce_kernelIDF16_DF16_Li64ELi64ELi256ELi16EEvPT0_PKfS3_PKT_PKiS8_iS3_
		.amdhsa_group_segment_fixed_size 4100
		.amdhsa_private_segment_fixed_size 0
		.amdhsa_kernarg_size 320
		.amdhsa_user_sgpr_count 2
		.amdhsa_user_sgpr_dispatch_ptr 0
		.amdhsa_user_sgpr_queue_ptr 0
		.amdhsa_user_sgpr_kernarg_segment_ptr 1
		.amdhsa_user_sgpr_dispatch_id 0
		.amdhsa_user_sgpr_kernarg_preload_length 0
		.amdhsa_user_sgpr_kernarg_preload_offset 0
		.amdhsa_user_sgpr_private_segment_size 0
		.amdhsa_uses_dynamic_stack 0
		.amdhsa_enable_private_segment 0
		.amdhsa_system_sgpr_workgroup_id_x 1
		.amdhsa_system_sgpr_workgroup_id_y 1
		.amdhsa_system_sgpr_workgroup_id_z 0
		.amdhsa_system_sgpr_workgroup_info 0
		.amdhsa_system_vgpr_workitem_id 0
		.amdhsa_next_free_vgpr 92
		.amdhsa_next_free_sgpr 61
		.amdhsa_accum_offset 92
		.amdhsa_reserve_vcc 1
		.amdhsa_float_round_mode_32 0
		.amdhsa_float_round_mode_16_64 0
		.amdhsa_float_denorm_mode_32 3
		.amdhsa_float_denorm_mode_16_64 3
		.amdhsa_dx10_clamp 1
		.amdhsa_ieee_mode 1
		.amdhsa_fp16_overflow 0
		.amdhsa_tg_split 0
		.amdhsa_exception_fp_ieee_invalid_op 0
		.amdhsa_exception_fp_denorm_src 0
		.amdhsa_exception_fp_ieee_div_zero 0
		.amdhsa_exception_fp_ieee_overflow 0
		.amdhsa_exception_fp_ieee_underflow 0
		.amdhsa_exception_fp_ieee_inexact 0
		.amdhsa_exception_int_div_zero 0
	.end_amdhsa_kernel
	.section	.text._Z35paged_attention_ll4mi_reduce_kernelIDF16_DF16_Li64ELi64ELi256ELi16EEvPT0_PKfS3_PKT_PKiS8_iS3_,"axG",@progbits,_Z35paged_attention_ll4mi_reduce_kernelIDF16_DF16_Li64ELi64ELi256ELi16EEvPT0_PKfS3_PKT_PKiS8_iS3_,comdat
.Lfunc_end91:
	.size	_Z35paged_attention_ll4mi_reduce_kernelIDF16_DF16_Li64ELi64ELi256ELi16EEvPT0_PKfS3_PKT_PKiS8_iS3_, .Lfunc_end91-_Z35paged_attention_ll4mi_reduce_kernelIDF16_DF16_Li64ELi64ELi256ELi16EEvPT0_PKfS3_PKT_PKiS8_iS3_
                                        ; -- End function
	.section	.AMDGPU.csdata,"",@progbits
; Kernel info:
; codeLenInByte = 10680
; NumSgprs: 67
; NumVgprs: 92
; NumAgprs: 0
; TotalNumVgprs: 92
; ScratchSize: 0
; MemoryBound: 0
; FloatMode: 240
; IeeeMode: 1
; LDSByteSize: 4100 bytes/workgroup (compile time only)
; SGPRBlocks: 8
; VGPRBlocks: 11
; NumSGPRsForWavesPerEU: 67
; NumVGPRsForWavesPerEU: 92
; AccumOffset: 92
; Occupancy: 4
; WaveLimiterHint : 1
; COMPUTE_PGM_RSRC2:SCRATCH_EN: 0
; COMPUTE_PGM_RSRC2:USER_SGPR: 2
; COMPUTE_PGM_RSRC2:TRAP_HANDLER: 0
; COMPUTE_PGM_RSRC2:TGID_X_EN: 1
; COMPUTE_PGM_RSRC2:TGID_Y_EN: 1
; COMPUTE_PGM_RSRC2:TGID_Z_EN: 0
; COMPUTE_PGM_RSRC2:TIDIG_COMP_CNT: 0
; COMPUTE_PGM_RSRC3_GFX90A:ACCUM_OFFSET: 22
; COMPUTE_PGM_RSRC3_GFX90A:TG_SPLIT: 0
	.section	.text._Z38paged_attention_ll4mi_QKV_mfma4_kernelIDF16_DF16_LN4vllm18Fp8KVCacheDataTypeE0EDF16_Li16ELi64ELi256ELb0ELi1EEvPKT_PKT0_S7_ifPKiS9_S9_iPKfiiiPfSC_PS2_PT2_iSB_SB_,"axG",@progbits,_Z38paged_attention_ll4mi_QKV_mfma4_kernelIDF16_DF16_LN4vllm18Fp8KVCacheDataTypeE0EDF16_Li16ELi64ELi256ELb0ELi1EEvPKT_PKT0_S7_ifPKiS9_S9_iPKfiiiPfSC_PS2_PT2_iSB_SB_,comdat
	.protected	_Z38paged_attention_ll4mi_QKV_mfma4_kernelIDF16_DF16_LN4vllm18Fp8KVCacheDataTypeE0EDF16_Li16ELi64ELi256ELb0ELi1EEvPKT_PKT0_S7_ifPKiS9_S9_iPKfiiiPfSC_PS2_PT2_iSB_SB_ ; -- Begin function _Z38paged_attention_ll4mi_QKV_mfma4_kernelIDF16_DF16_LN4vllm18Fp8KVCacheDataTypeE0EDF16_Li16ELi64ELi256ELb0ELi1EEvPKT_PKT0_S7_ifPKiS9_S9_iPKfiiiPfSC_PS2_PT2_iSB_SB_
	.globl	_Z38paged_attention_ll4mi_QKV_mfma4_kernelIDF16_DF16_LN4vllm18Fp8KVCacheDataTypeE0EDF16_Li16ELi64ELi256ELb0ELi1EEvPKT_PKT0_S7_ifPKiS9_S9_iPKfiiiPfSC_PS2_PT2_iSB_SB_
	.p2align	8
	.type	_Z38paged_attention_ll4mi_QKV_mfma4_kernelIDF16_DF16_LN4vllm18Fp8KVCacheDataTypeE0EDF16_Li16ELi64ELi256ELb0ELi1EEvPKT_PKT0_S7_ifPKiS9_S9_iPKfiiiPfSC_PS2_PT2_iSB_SB_,@function
_Z38paged_attention_ll4mi_QKV_mfma4_kernelIDF16_DF16_LN4vllm18Fp8KVCacheDataTypeE0EDF16_Li16ELi64ELi256ELb0ELi1EEvPKT_PKT0_S7_ifPKiS9_S9_iPKfiiiPfSC_PS2_PT2_iSB_SB_: ; @_Z38paged_attention_ll4mi_QKV_mfma4_kernelIDF16_DF16_LN4vllm18Fp8KVCacheDataTypeE0EDF16_Li16ELi64ELi256ELb0ELi1EEvPKT_PKT0_S7_ifPKiS9_S9_iPKfiiiPfSC_PS2_PT2_iSB_SB_
; %bb.0:
	s_load_dwordx2 s[16:17], s[0:1], 0x30
	s_mov_b32 s20, s3
	s_mov_b64 s[6:7], 0
	s_waitcnt lgkmcnt(0)
	s_cmp_lg_u64 s[16:17], 0
	s_cselect_b64 s[18:19], -1, 0
	s_and_b64 vcc, exec, s[18:19]
	s_cbranch_vccz .LBB92_10
; %bb.1:
	s_add_i32 s8, s2, 1
	s_mov_b32 s9, 0
	s_lshl_b64 s[10:11], s[8:9], 2
	s_add_u32 s10, s16, s10
	s_mov_b32 s3, s9
	s_addc_u32 s11, s17, s11
	s_lshl_b64 s[8:9], s[2:3], 2
	s_add_u32 s8, s16, s8
	s_addc_u32 s9, s17, s9
	s_load_dword s5, s[10:11], 0x0
	s_load_dword s12, s[8:9], 0x0
	s_waitcnt lgkmcnt(0)
	s_sub_i32 s5, s5, s12
	s_cmp_eq_u32 s5, 1
	s_cselect_b64 s[8:9], -1, 0
	s_andn2_b64 vcc, exec, s[6:7]
	s_cbranch_vccnz .LBB92_3
.LBB92_2:
	s_mov_b32 s3, 0
	s_mov_b64 s[8:9], -1
.LBB92_3:
	s_andn2_b64 vcc, exec, s[8:9]
	s_cbranch_vccnz .LBB92_23
; %bb.4:
	s_load_dword s5, s[0:1], 0x9c
	s_load_dwordx2 s[6:7], s[0:1], 0x28
	s_add_u32 s24, s0, 0x90
	s_addc_u32 s25, s1, 0
	s_lshl_b64 s[28:29], s[2:3], 2
	s_waitcnt lgkmcnt(0)
	s_and_b32 s5, s5, 0xffff
	s_add_u32 s6, s6, s28
	s_addc_u32 s7, s7, s29
	s_load_dword s3, s[6:7], 0x0
	s_mul_i32 s10, s20, s5
	s_waitcnt lgkmcnt(0)
	s_cmp_ge_i32 s10, s3
	s_cbranch_scc1 .LBB92_23
; %bb.5:
	v_and_b32_e32 v2, 0xc0, v0
	v_add_u32_e32 v2, s10, v2
	v_lshrrev_b32_e32 v1, 6, v0
	v_cmp_gt_i32_e64 s[6:7], s3, v2
	v_cmp_le_i32_e32 vcc, s3, v2
                                        ; implicit-def: $sgpr21
                                        ; implicit-def: $sgpr11
	s_and_saveexec_b64 s[8:9], vcc
	s_xor_b64 s[8:9], exec, s[8:9]
	s_cbranch_execz .LBB92_7
; %bb.6:
	v_mul_u32_u24_e32 v2, 20, v1
	v_or_b32_e32 v2, 0xa00, v2
	v_mov_b32_e32 v3, 0xa50
	v_mov_b32_e32 v4, 0xff7fffff
	v_mad_u32_u24 v3, v1, 20, v3
	ds_write2_b32 v2, v4, v4 offset1:1
	v_mov_b32_e32 v2, 0
	ds_write2_b32 v3, v2, v2 offset1:1
	v_mov_b32_e32 v3, 0xa08
	s_mov_b32 s11, 0xff7fffff
	s_mov_b32 s21, 0
	v_mad_u32_u24 v3, v1, 20, v3
	v_mov_b32_e32 v5, 0xa58
	v_mad_u32_u24 v5, v1, 20, v5
	ds_write2_b32 v3, v4, v4 offset1:1
	ds_write2_b32 v5, v2, v2 offset1:1
                                        ; implicit-def: $vgpr2
.LBB92_7:
	s_or_saveexec_b64 s[26:27], s[8:9]
	s_load_dwordx2 s[22:23], s[0:1], 0x68
	s_load_dwordx4 s[12:15], s[0:1], 0x58
	s_load_dword s5, s[24:25], 0x4
	v_and_b32_e32 v40, 63, v0
	v_and_b32_e32 v39, 3, v0
	v_mov_b32_e32 v37, s21
	v_mov_b32_e32 v41, s11
	v_mov_b32_e32 v36, s21
	v_mov_b32_e32 v35, s21
	v_mov_b32_e32 v34, s21
                                        ; implicit-def: $vgpr3
                                        ; implicit-def: $vgpr7
                                        ; implicit-def: $vgpr11
                                        ; implicit-def: $vgpr15
                                        ; implicit-def: $vgpr19
                                        ; implicit-def: $vgpr23
                                        ; implicit-def: $vgpr27
                                        ; implicit-def: $vgpr31
	s_xor_b64 exec, exec, s[26:27]
	s_cbranch_execz .LBB92_17
; %bb.8:
	s_add_i32 s21, s3, 15
	s_load_dwordx2 s[8:9], s[0:1], 0x20
	s_load_dword s11, s[0:1], 0x38
	s_ashr_i32 s30, s21, 31
	s_lshr_b32 s30, s30, 28
	v_add_u32_e32 v38, s10, v0
	s_add_i32 s21, s21, s30
	v_ashrrev_i32_e32 v3, 31, v38
	s_ashr_i32 s21, s21, 4
	v_lshrrev_b32_e32 v3, 28, v3
	s_add_i32 s21, s21, -1
	v_add_u32_e32 v3, v38, v3
	s_waitcnt lgkmcnt(0)
	s_mul_i32 s30, s2, s11
	s_mov_b32 s31, 0
	v_ashrrev_i32_e32 v3, 4, v3
	v_mov_b32_e32 v4, s21
	v_cmp_gt_i32_e32 vcc, s3, v38
	s_lshl_b64 s[30:31], s[30:31], 2
	s_add_u32 s8, s8, s30
	v_cndmask_b32_e32 v4, v4, v3, vcc
	v_ashrrev_i32_e32 v3, 31, v2
	v_lshrrev_b32_e32 v3, 28, v3
	s_addc_u32 s9, s9, s31
	v_ashrrev_i32_e32 v5, 31, v4
	v_add_u32_e32 v2, v2, v3
	v_lshl_add_u64 v[8:9], v[4:5], 2, s[8:9]
	v_ashrrev_i32_e32 v4, 4, v2
	v_min_i32_e32 v2, s21, v4
	v_ashrrev_i32_e32 v3, 31, v2
	v_lshl_add_u64 v[10:11], v[2:3], 2, s[8:9]
	v_add_u32_e32 v2, 1, v4
	v_min_i32_e32 v2, s21, v2
	v_ashrrev_i32_e32 v3, 31, v2
	v_lshl_add_u64 v[12:13], v[2:3], 2, s[8:9]
	v_add_u32_e32 v2, 2, v4
	;; [unrolled: 4-line block ×3, first 2 shown]
	v_min_i32_e32 v2, s21, v2
	v_ashrrev_i32_e32 v3, 31, v2
	v_lshl_add_u64 v[16:17], v[2:3], 2, s[8:9]
	global_load_dword v2, v[8:9], off
	global_load_dword v7, v[10:11], off
	;; [unrolled: 1-line block ×5, first 2 shown]
	s_load_dwordx4 s[8:11], s[0:1], 0x8
	s_andn2_b64 vcc, exec, s[18:19]
	s_cbranch_vccnz .LBB92_11
; %bb.9:
	s_add_u32 s16, s16, s28
	s_addc_u32 s17, s17, s29
	s_load_dword s21, s[16:17], 0x0
	s_branch .LBB92_12
.LBB92_10:
	s_mov_b64 s[8:9], 0
	s_branch .LBB92_2
.LBB92_11:
	s_mov_b32 s21, s2
.LBB92_12:
	s_load_dwordx4 s[16:19], s[0:1], 0x48
	v_cmp_eq_u32_e32 vcc, 0, v39
	s_mov_b32 s29, 0
	v_mov_b32_e32 v41, 0
	v_mov_b32_e32 v3, 0
	;; [unrolled: 1-line block ×6, first 2 shown]
	s_and_saveexec_b64 s[30:31], vcc
	s_cbranch_execz .LBB92_14
; %bb.13:
	s_load_dwordx2 s[34:35], s[0:1], 0x0
	s_waitcnt lgkmcnt(0)
	s_ashr_i32 s19, s16, 31
	s_mul_hi_u32 s28, s21, s16
	s_mul_i32 s19, s21, s19
	s_add_i32 s37, s28, s19
	s_mul_i32 s36, s21, s16
	s_lshl_b64 s[36:37], s[36:37], 1
	s_add_u32 s16, s34, s36
	s_addc_u32 s19, s35, s37
	s_lshl_b32 s28, s4, 6
	s_lshl_b64 s[34:35], s[28:29], 1
	s_add_u32 s34, s16, s34
	s_addc_u32 s35, s19, s35
	v_lshlrev_b32_e32 v8, 2, v40
	global_load_dwordx4 v[34:37], v8, s[34:35]
	v_mov_b32_e32 v41, 1.0
.LBB92_14:
	s_or_b64 exec, exec, s[30:31]
	s_waitcnt lgkmcnt(0)
	s_mul_i32 s28, s4, s18
	s_lshl_b64 s[18:19], s[28:29], 1
	s_add_u32 s8, s18, s8
	s_waitcnt vmcnt(4)
	v_mad_i64_i32 v[8:9], s[30:31], v2, s17, 0
	s_addc_u32 s9, s19, s9
	v_and_b32_e32 v2, 15, v0
	v_lshl_add_u64 v[8:9], v[8:9], 1, s[8:9]
	v_lshlrev_b32_e32 v2, 4, v2
	v_lshl_add_u64 v[32:33], v[8:9], 0, v[2:3]
	global_load_dwordx4 v[8:11], v[32:33], off
	global_load_dwordx4 v[12:15], v[32:33], off offset:256
	global_load_dwordx4 v[16:19], v[32:33], off offset:512
	global_load_dwordx4 v[20:23], v[32:33], off offset:768
	global_load_dwordx4 v[24:27], v[32:33], off offset:1024
	global_load_dwordx4 v[28:31], v[32:33], off offset:1280
	global_load_dwordx4 v[42:45], v[32:33], off offset:1536
	global_load_dwordx4 v[46:49], v[32:33], off offset:1792
	s_waitcnt vmcnt(11)
	v_mul_hi_i32 v2, v7, s17
	s_add_u32 s8, s10, s18
	s_waitcnt vmcnt(10)
	v_mul_hi_i32 v32, v6, s17
	s_waitcnt vmcnt(9)
	v_mul_hi_i32 v33, v5, s17
	v_ashrrev_i32_e32 v51, 31, v2
	s_addc_u32 s9, s11, s19
	v_lshlrev_b32_e32 v2, 5, v40
	s_waitcnt vmcnt(8)
	v_mul_hi_i32 v50, v4, s17
	v_ashrrev_i32_e32 v52, 31, v32
	v_ashrrev_i32_e32 v53, 31, v33
	v_lshl_add_u64 v[32:33], s[8:9], 0, v[2:3]
	v_lshrrev_b32_e32 v2, 29, v51
	v_ashrrev_i32_e32 v54, 31, v50
	v_mad_i64_i32 v[50:51], s[8:9], v7, s17, v[2:3]
	v_lshrrev_b32_e32 v2, 29, v52
	v_lshlrev_b64 v[50:51], 1, v[50:51]
	v_mad_i64_i32 v[6:7], s[8:9], v6, s17, v[2:3]
	v_lshrrev_b32_e32 v2, 29, v53
	v_and_b32_e32 v50, -16, v50
	v_lshlrev_b64 v[52:53], 1, v[6:7]
	v_mad_i64_i32 v[6:7], s[8:9], v5, s17, v[2:3]
	v_lshrrev_b32_e32 v2, 29, v54
	v_lshl_add_u64 v[50:51], v[32:33], 0, v[50:51]
	v_and_b32_e32 v52, -16, v52
	v_lshlrev_b64 v[54:55], 1, v[6:7]
	v_and_b32_e32 v54, -16, v54
	s_load_dword s0, s[0:1], 0x1c
	v_cmp_eq_u32_e32 vcc, 1, v39
	v_and_b32_e32 v59, -4, v38
	v_or_b32_e32 v38, 3, v38
	v_cndmask_b32_e64 v56, 0, 1.0, vcc
	v_cmp_eq_u32_e32 vcc, 2, v39
	v_cmp_gt_i32_e64 s[10:11], s3, v38
	v_lshlrev_b32_e32 v60, 2, v0
	v_cndmask_b32_e64 v57, 0, 1.0, vcc
	v_cmp_eq_u32_e32 vcc, 3, v39
	s_waitcnt vmcnt(7)
	v_mfma_f32_4x4x4_16b_f16 a[0:3], v[34:35], v[8:9], 0 cbsz:4
	v_cndmask_b32_e64 v58, 0, 1.0, vcc
	s_nop 0
	v_mfma_f32_4x4x4_16b_f16 a[0:3], v[36:37], v[10:11], a[0:3] cbsz:4
	v_mad_i64_i32 v[10:11], s[8:9], v4, s17, v[2:3]
	s_waitcnt vmcnt(6)
	v_mfma_f32_4x4x4_16b_f16 a[0:3], v[34:35], v[12:13], a[0:3] cbsz:4 abid:1
	global_load_dwordx4 v[2:5], v[50:51], off
	global_load_dwordx4 v[6:9], v[50:51], off offset:16
	v_mfma_f32_4x4x4_16b_f16 a[0:3], v[36:37], v[14:15], a[0:3] cbsz:4 abid:1
	v_lshl_add_u64 v[50:51], v[32:33], 0, v[52:53]
	v_lshlrev_b64 v[52:53], 1, v[10:11]
	s_waitcnt vmcnt(7)
	v_mfma_f32_4x4x4_16b_f16 a[0:3], v[34:35], v[16:17], a[0:3] cbsz:4 abid:2
	global_load_dwordx4 v[10:13], v[50:51], off
	global_load_dwordx4 v[14:17], v[50:51], off offset:16
	v_mfma_f32_4x4x4_16b_f16 a[0:3], v[36:37], v[18:19], a[0:3] cbsz:4 abid:2
	v_lshl_add_u64 v[50:51], v[32:33], 0, v[54:55]
	v_and_b32_e32 v52, -16, v52
	s_waitcnt vmcnt(8)
	v_mfma_f32_4x4x4_16b_f16 a[0:3], v[34:35], v[20:21], a[0:3] cbsz:4 abid:3
	v_cmp_gt_i32_e32 vcc, s3, v59
	s_nop 0
	v_mfma_f32_4x4x4_16b_f16 a[0:3], v[36:37], v[22:23], a[0:3] cbsz:4 abid:3
	s_waitcnt vmcnt(7)
	s_nop 0
	v_mfma_f32_4x4x4_16b_f16 a[0:3], v[34:35], v[24:25], a[0:3] cbsz:4 abid:4
	global_load_dwordx4 v[18:21], v[50:51], off
	global_load_dwordx4 v[22:25], v[50:51], off offset:16
	v_mfma_f32_4x4x4_16b_f16 a[0:3], v[36:37], v[26:27], a[0:3] cbsz:4 abid:4
	v_lshl_add_u64 v[50:51], v[32:33], 0, v[52:53]
	s_waitcnt vmcnt(8)
	v_mfma_f32_4x4x4_16b_f16 a[0:3], v[34:35], v[28:29], a[0:3] cbsz:4 abid:5
	s_nop 1
	v_mfma_f32_4x4x4_16b_f16 a[0:3], v[36:37], v[30:31], a[0:3] cbsz:4 abid:5
	global_load_dwordx4 v[26:29], v[50:51], off
	global_load_dwordx4 v[30:33], v[50:51], off offset:16
	s_waitcnt vmcnt(9)
	v_mfma_f32_4x4x4_16b_f16 a[0:3], v[34:35], v[42:43], a[0:3] cbsz:4 abid:6
	v_mov_b32_e32 v42, 0xff7fffff
	v_and_or_b32 v43, v60, 48, v39
	v_mfma_f32_4x4x4_16b_f16 a[0:3], v[36:37], v[44:45], a[0:3] cbsz:4 abid:6
	v_lshlrev_b32_e32 v43, 2, v43
	s_waitcnt vmcnt(8)
	v_mfma_f32_4x4x4_16b_f16 a[0:3], v[34:35], v[46:47], a[0:3] cbsz:4 abid:7
	s_nop 1
	v_mfma_f32_4x4x4_16b_f16 a[0:3], v[36:37], v[48:49], a[0:3] cbsz:4 abid:7
	s_nop 4
	v_accvgpr_read_b32 v35, a1
	v_accvgpr_read_b32 v34, a0
	s_waitcnt lgkmcnt(0)
	v_pk_mul_f32 v[34:35], s[0:1], v[34:35] op_sel_hi:[0,1]
	v_accvgpr_read_b32 v37, a3
	v_accvgpr_read_b32 v36, a2
	v_pk_mul_f32 v[36:37], s[0:1], v[36:37] op_sel_hi:[0,1]
	v_mfma_f32_4x4x1_16b_f32 a[0:3], v34, v41, 0
	v_or_b32_e32 v34, 1, v59
	s_nop 0
	v_mfma_f32_4x4x1_16b_f32 a[0:3], v35, v56, a[0:3]
	v_cmp_gt_i32_e64 s[0:1], s3, v34
	v_or_b32_e32 v35, 2, v59
	v_mfma_f32_4x4x1_16b_f32 a[0:3], v36, v57, a[0:3]
	v_cmp_gt_i32_e64 s[8:9], s3, v35
	s_nop 0
	v_mfma_f32_4x4x1_16b_f32 a[0:3], v37, v58, a[0:3]
	s_nop 3
	v_accvgpr_read_b32 v36, a0
	v_max_f32_e32 v41, v36, v36
	v_accvgpr_read_b32 v37, a1
	v_max_f32_e32 v41, 0xff7fffff, v41
	v_max_f32_e32 v46, v37, v37
	v_cndmask_b32_e32 v41, v42, v41, vcc
	v_accvgpr_read_b32 v44, a2
	v_max_f32_e32 v42, v41, v46
	v_max_f32_e32 v47, v44, v44
	v_cndmask_b32_e64 v34, v41, v42, s[0:1]
	v_accvgpr_read_b32 v45, a3
	v_max_f32_e32 v41, v34, v47
	v_max_f32_e32 v48, v45, v45
	v_cndmask_b32_e64 v34, v34, v41, s[8:9]
	v_max_f32_e32 v35, v34, v48
	v_cndmask_b32_e64 v34, v34, v35, s[10:11]
	;;#ASMSTART
	v_nop
 v_nop
 v_max_f32_dpp v34, v34, v34 row_ror:4
	;;#ASMEND
	s_nop 0
	;;#ASMSTART
	v_nop
 v_nop
 v_max_f32_dpp v34, v34, v34 row_ror:8
	;;#ASMEND
	ds_bpermute_b32 v34, v43, v34
	s_waitcnt lgkmcnt(0)
	;;#ASMSTART
	v_nop
 v_nop
 v_max_f32_dpp v34, v34, v34 row_ror:4
	;;#ASMEND
	s_nop 0
	;;#ASMSTART
	v_nop
 v_nop
 v_max_f32_dpp v41, v34, v34 row_ror:8
	;;#ASMEND
	s_nop 0
	v_sub_f32_e32 v34, v36, v41
	v_sub_f32_e32 v35, v37, v41
	v_mul_f32_e32 v34, 0x3fb8aa3b, v34
	v_sub_f32_e32 v36, v44, v41
	v_mul_f32_e32 v35, 0x3fb8aa3b, v35
	v_exp_f32_e32 v34, v34
	v_sub_f32_e32 v37, v45, v41
	v_mul_f32_e32 v36, 0x3fb8aa3b, v36
	v_exp_f32_e32 v35, v35
	v_mul_f32_e32 v37, 0x3fb8aa3b, v37
	v_exp_f32_e32 v36, v36
	v_exp_f32_e32 v37, v37
	v_cndmask_b32_e32 v34, 0, v34, vcc
	v_cndmask_b32_e64 v35, 0, v35, s[0:1]
	v_add_f32_e32 v38, 0, v34
	v_cndmask_b32_e64 v36, 0, v36, s[8:9]
	v_add_f32_e32 v38, v38, v35
	;; [unrolled: 2-line block ×3, first 2 shown]
	v_add_f32_e32 v38, v38, v37
	;;#ASMSTART
	v_nop
 v_nop
 v_add_f32_dpp v38, v38, v38 row_ror:4
	;;#ASMEND
	v_cmp_gt_u32_e32 vcc, 4, v40
	;;#ASMSTART
	v_nop
 v_nop
 v_add_f32_dpp v38, v38, v38 row_ror:8
	;;#ASMEND
	ds_bpermute_b32 v38, v43, v38
	s_waitcnt lgkmcnt(0)
	;;#ASMSTART
	v_nop
 v_nop
 v_add_f32_dpp v38, v38, v38 row_ror:4
	;;#ASMEND
	s_nop 0
	;;#ASMSTART
	v_nop
 v_nop
 v_add_f32_dpp v38, v38, v38 row_ror:8
	;;#ASMEND
	s_and_saveexec_b64 s[0:1], vcc
	s_cbranch_execz .LBB92_16
; %bb.15:
	v_mul_u32_u24_e32 v42, 20, v1
	v_lshl_add_u32 v42, v39, 2, v42
	v_add_u32_e32 v42, 0x800, v42
	ds_write2_b32 v42, v41, v38 offset0:128 offset1:148
.LBB92_16:
	s_or_b64 exec, exec, s[0:1]
.LBB92_17:
	s_or_b64 exec, exec, s[26:27]
	s_waitcnt lgkmcnt(0)
	s_barrier
	s_load_dword s0, s[24:25], 0x8
	v_lshlrev_b32_e32 v38, 2, v39
	v_add_u32_e32 v43, 0x800, v38
	ds_read2_b32 v[44:45], v43 offset0:128 offset1:133
	ds_read2_b32 v[46:47], v43 offset0:138 offset1:143
	s_mul_i32 s1, s5, s2
	s_waitcnt lgkmcnt(0)
	s_mul_i32 s0, s1, s0
	s_mov_b32 s1, 0xff7fffff
	v_max3_f32 v38, v44, s1, v45
	v_max3_f32 v42, v38, v46, v47
	v_sub_f32_e32 v38, v44, v42
	v_sub_f32_e32 v44, v45, v42
	v_mul_f32_e32 v44, 0x3fb8aa3b, v44
	ds_read2_b32 v[48:49], v43 offset0:148 offset1:153
	v_mul_f32_e32 v38, 0x3fb8aa3b, v38
	v_exp_f32_e32 v51, v44
	ds_read2_b32 v[44:45], v43 offset0:158 offset1:163
	v_sub_f32_e32 v43, v46, v42
	v_exp_f32_e32 v50, v38
	v_mul_f32_e32 v43, 0x3fb8aa3b, v43
	v_exp_f32_e32 v46, v43
	v_sub_f32_e32 v43, v47, v42
	v_mul_f32_e32 v43, 0x3fb8aa3b, v43
	v_exp_f32_e32 v47, v43
	s_waitcnt lgkmcnt(1)
	v_fma_f32 v43, v50, v48, 0
	v_fmac_f32_e32 v43, v51, v49
	s_waitcnt lgkmcnt(0)
	v_fmac_f32_e32 v43, v46, v44
	v_mov_b32_e32 v38, 0
	v_fmac_f32_e32 v43, v47, v45
	s_mov_b32 s1, 0
	v_cmp_eq_u32_e32 vcc, 0, v39
	s_and_saveexec_b64 s[2:3], vcc
	s_cbranch_execz .LBB92_19
; %bb.18:
	s_lshl_b64 s[8:9], s[0:1], 2
	s_add_u32 s12, s12, s8
	s_mov_b32 s21, s1
	s_addc_u32 s13, s13, s9
	s_lshl_b64 s[10:11], s[20:21], 2
	s_add_u32 s12, s12, s10
	s_addc_u32 s13, s13, s11
	s_add_u32 s8, s14, s8
	s_addc_u32 s9, s15, s9
	;; [unrolled: 2-line block ×3, first 2 shown]
	s_mul_i32 s8, s5, s4
	s_mov_b32 s9, s1
	s_lshl_b64 s[8:9], s[8:9], 2
	s_add_u32 s10, s12, s8
	s_addc_u32 s11, s13, s9
	s_add_u32 s8, s14, s8
	s_addc_u32 s9, s15, s9
	global_store_dword v38, v42, s[8:9]
	global_store_dword v38, v43, s[10:11]
.LBB92_19:
	s_or_b64 exec, exec, s[2:3]
	v_mov_b32_e32 v39, 0
	s_and_saveexec_b64 s[2:3], s[6:7]
	s_cbranch_execz .LBB92_21
; %bb.20:
	v_add_f32_e32 v38, 0x358637bd, v43
	v_div_scale_f32 v39, s[6:7], v38, v38, 1.0
	v_rcp_f32_e32 v43, v39
	v_div_scale_f32 v44, vcc, 1.0, v38, 1.0
	v_sub_f32_e32 v41, v41, v42
	v_fma_f32 v45, -v39, v43, 1.0
	v_fmac_f32_e32 v43, v45, v43
	v_mul_f32_e32 v45, v44, v43
	v_fma_f32 v46, -v39, v45, v44
	v_mul_f32_e32 v41, 0x3fb8aa3b, v41
	v_fmac_f32_e32 v45, v46, v43
	v_exp_f32_e32 v41, v41
	v_fma_f32 v39, -v39, v45, v44
	v_div_fmas_f32 v39, v39, v43, v45
	v_div_fixup_f32 v38, v39, v38, 1.0
	v_mul_f32_e32 v38, v41, v38
	v_pk_mul_f32 v[36:37], v[36:37], v[38:39] op_sel_hi:[1,0]
	v_pk_mul_f32 v[34:35], v[34:35], v[38:39] op_sel_hi:[1,0]
	v_cvt_f16_f32_e32 v36, v36
	v_cvt_f16_f32_e32 v34, v34
	;; [unrolled: 1-line block ×4, first 2 shown]
	s_mov_b32 s1, 0x5040100
	v_pack_b32_f16 v34, v34, v35
	v_pack_b32_f16 v35, v36, v37
	s_waitcnt vmcnt(7)
	s_nop 0
	v_mfma_f32_4x4x4_16b_f16 a[0:3], v[34:35], v[2:3], 0 cbsz:4
	s_nop 1
	v_mfma_f32_4x4x4_16b_f16 a[0:3], v[34:35], v[4:5], a[0:3] cbsz:4 abid:1
	s_waitcnt vmcnt(6)
	s_nop 0
	v_mfma_f32_4x4x4_16b_f16 a[0:3], v[34:35], v[6:7], a[0:3] cbsz:4 abid:2
	s_nop 1
	v_mfma_f32_4x4x4_16b_f16 a[0:3], v[34:35], v[8:9], a[0:3] cbsz:4 abid:3
	s_waitcnt vmcnt(5)
	s_nop 0
	v_mfma_f32_4x4x4_16b_f16 a[0:3], v[34:35], v[10:11], a[0:3] cbsz:4 abid:4
	;; [unrolled: 5-line block ×7, first 2 shown]
	s_nop 1
	v_mfma_f32_4x4x4_16b_f16 a[0:3], v[34:35], v[32:33], a[0:3] cbsz:4 abid:15
	s_nop 4
	v_accvgpr_read_b32 v2, a0
	v_accvgpr_read_b32 v3, a1
	;; [unrolled: 1-line block ×4, first 2 shown]
	v_cvt_f16_f32_e32 v2, v2
	v_cvt_f16_f32_e32 v3, v3
	;; [unrolled: 1-line block ×4, first 2 shown]
	v_perm_b32 v38, v3, v2, s1
	v_perm_b32 v39, v5, v4, s1
.LBB92_21:
	s_or_b64 exec, exec, s[2:3]
	v_lshlrev_b32_e32 v1, 3, v1
	v_mad_u32_u24 v1, v40, 40, v1
	v_cmp_gt_u32_e32 vcc, 64, v0
	ds_write_b64 v1, v[38:39]
	s_waitcnt lgkmcnt(0)
	s_barrier
	s_and_saveexec_b64 s[2:3], vcc
	s_cbranch_execz .LBB92_23
; %bb.22:
	v_mul_u32_u24_e32 v1, 40, v40
	s_waitcnt vmcnt(7)
	ds_read2_b64 v[2:5], v1 offset1:1
	s_waitcnt vmcnt(6)
	ds_read2_b64 v[6:9], v1 offset0:2 offset1:3
	s_lshl_b32 s0, s0, 6
	s_mov_b32 s1, 0
	s_lshl_b64 s[2:3], s[0:1], 1
	s_add_u32 s2, s22, s2
	s_addc_u32 s3, s23, s3
	s_lshl_b32 s0, s20, 6
	s_lshl_b64 s[0:1], s[0:1], 1
	s_waitcnt lgkmcnt(1)
	v_pk_add_f16 v2, v2, 0
	s_add_u32 s0, s2, s0
	s_mul_i32 s4, s4, s5
	v_pk_add_f16 v2, v2, v4
	s_addc_u32 s1, s3, s1
	v_lshl_or_b32 v0, s4, 6, v0
	v_mov_b32_e32 v1, 0
	s_waitcnt lgkmcnt(0)
	v_pk_add_f16 v2, v2, v6
	v_lshl_add_u64 v[0:1], v[0:1], 1, s[0:1]
	v_pk_add_f16 v2, v2, v8
	global_store_short v[0:1], v2, off
.LBB92_23:
	s_endpgm
	.section	.rodata,"a",@progbits
	.p2align	6, 0x0
	.amdhsa_kernel _Z38paged_attention_ll4mi_QKV_mfma4_kernelIDF16_DF16_LN4vllm18Fp8KVCacheDataTypeE0EDF16_Li16ELi64ELi256ELb0ELi1EEvPKT_PKT0_S7_ifPKiS9_S9_iPKfiiiPfSC_PS2_PT2_iSB_SB_
		.amdhsa_group_segment_fixed_size 2720
		.amdhsa_private_segment_fixed_size 0
		.amdhsa_kernarg_size 400
		.amdhsa_user_sgpr_count 2
		.amdhsa_user_sgpr_dispatch_ptr 0
		.amdhsa_user_sgpr_queue_ptr 0
		.amdhsa_user_sgpr_kernarg_segment_ptr 1
		.amdhsa_user_sgpr_dispatch_id 0
		.amdhsa_user_sgpr_kernarg_preload_length 0
		.amdhsa_user_sgpr_kernarg_preload_offset 0
		.amdhsa_user_sgpr_private_segment_size 0
		.amdhsa_uses_dynamic_stack 0
		.amdhsa_enable_private_segment 0
		.amdhsa_system_sgpr_workgroup_id_x 1
		.amdhsa_system_sgpr_workgroup_id_y 1
		.amdhsa_system_sgpr_workgroup_id_z 1
		.amdhsa_system_sgpr_workgroup_info 0
		.amdhsa_system_vgpr_workitem_id 0
		.amdhsa_next_free_vgpr 68
		.amdhsa_next_free_sgpr 38
		.amdhsa_accum_offset 64
		.amdhsa_reserve_vcc 1
		.amdhsa_float_round_mode_32 0
		.amdhsa_float_round_mode_16_64 0
		.amdhsa_float_denorm_mode_32 3
		.amdhsa_float_denorm_mode_16_64 3
		.amdhsa_dx10_clamp 1
		.amdhsa_ieee_mode 1
		.amdhsa_fp16_overflow 0
		.amdhsa_tg_split 0
		.amdhsa_exception_fp_ieee_invalid_op 0
		.amdhsa_exception_fp_denorm_src 0
		.amdhsa_exception_fp_ieee_div_zero 0
		.amdhsa_exception_fp_ieee_overflow 0
		.amdhsa_exception_fp_ieee_underflow 0
		.amdhsa_exception_fp_ieee_inexact 0
		.amdhsa_exception_int_div_zero 0
	.end_amdhsa_kernel
	.section	.text._Z38paged_attention_ll4mi_QKV_mfma4_kernelIDF16_DF16_LN4vllm18Fp8KVCacheDataTypeE0EDF16_Li16ELi64ELi256ELb0ELi1EEvPKT_PKT0_S7_ifPKiS9_S9_iPKfiiiPfSC_PS2_PT2_iSB_SB_,"axG",@progbits,_Z38paged_attention_ll4mi_QKV_mfma4_kernelIDF16_DF16_LN4vllm18Fp8KVCacheDataTypeE0EDF16_Li16ELi64ELi256ELb0ELi1EEvPKT_PKT0_S7_ifPKiS9_S9_iPKfiiiPfSC_PS2_PT2_iSB_SB_,comdat
.Lfunc_end92:
	.size	_Z38paged_attention_ll4mi_QKV_mfma4_kernelIDF16_DF16_LN4vllm18Fp8KVCacheDataTypeE0EDF16_Li16ELi64ELi256ELb0ELi1EEvPKT_PKT0_S7_ifPKiS9_S9_iPKfiiiPfSC_PS2_PT2_iSB_SB_, .Lfunc_end92-_Z38paged_attention_ll4mi_QKV_mfma4_kernelIDF16_DF16_LN4vllm18Fp8KVCacheDataTypeE0EDF16_Li16ELi64ELi256ELb0ELi1EEvPKT_PKT0_S7_ifPKiS9_S9_iPKfiiiPfSC_PS2_PT2_iSB_SB_
                                        ; -- End function
	.section	.AMDGPU.csdata,"",@progbits
; Kernel info:
; codeLenInByte = 3056
; NumSgprs: 44
; NumVgprs: 61
; NumAgprs: 4
; TotalNumVgprs: 68
; ScratchSize: 0
; MemoryBound: 0
; FloatMode: 240
; IeeeMode: 1
; LDSByteSize: 2720 bytes/workgroup (compile time only)
; SGPRBlocks: 5
; VGPRBlocks: 8
; NumSGPRsForWavesPerEU: 44
; NumVGPRsForWavesPerEU: 68
; AccumOffset: 64
; Occupancy: 7
; WaveLimiterHint : 1
; COMPUTE_PGM_RSRC2:SCRATCH_EN: 0
; COMPUTE_PGM_RSRC2:USER_SGPR: 2
; COMPUTE_PGM_RSRC2:TRAP_HANDLER: 0
; COMPUTE_PGM_RSRC2:TGID_X_EN: 1
; COMPUTE_PGM_RSRC2:TGID_Y_EN: 1
; COMPUTE_PGM_RSRC2:TGID_Z_EN: 1
; COMPUTE_PGM_RSRC2:TIDIG_COMP_CNT: 0
; COMPUTE_PGM_RSRC3_GFX90A:ACCUM_OFFSET: 15
; COMPUTE_PGM_RSRC3_GFX90A:TG_SPLIT: 0
	.section	.text._Z38paged_attention_ll4mi_QKV_mfma4_kernelIDF16_DF16_LN4vllm18Fp8KVCacheDataTypeE0EDF16_Li16ELi64ELi256ELb0ELi2EEvPKT_PKT0_S7_ifPKiS9_S9_iPKfiiiPfSC_PS2_PT2_iSB_SB_,"axG",@progbits,_Z38paged_attention_ll4mi_QKV_mfma4_kernelIDF16_DF16_LN4vllm18Fp8KVCacheDataTypeE0EDF16_Li16ELi64ELi256ELb0ELi2EEvPKT_PKT0_S7_ifPKiS9_S9_iPKfiiiPfSC_PS2_PT2_iSB_SB_,comdat
	.protected	_Z38paged_attention_ll4mi_QKV_mfma4_kernelIDF16_DF16_LN4vllm18Fp8KVCacheDataTypeE0EDF16_Li16ELi64ELi256ELb0ELi2EEvPKT_PKT0_S7_ifPKiS9_S9_iPKfiiiPfSC_PS2_PT2_iSB_SB_ ; -- Begin function _Z38paged_attention_ll4mi_QKV_mfma4_kernelIDF16_DF16_LN4vllm18Fp8KVCacheDataTypeE0EDF16_Li16ELi64ELi256ELb0ELi2EEvPKT_PKT0_S7_ifPKiS9_S9_iPKfiiiPfSC_PS2_PT2_iSB_SB_
	.globl	_Z38paged_attention_ll4mi_QKV_mfma4_kernelIDF16_DF16_LN4vllm18Fp8KVCacheDataTypeE0EDF16_Li16ELi64ELi256ELb0ELi2EEvPKT_PKT0_S7_ifPKiS9_S9_iPKfiiiPfSC_PS2_PT2_iSB_SB_
	.p2align	8
	.type	_Z38paged_attention_ll4mi_QKV_mfma4_kernelIDF16_DF16_LN4vllm18Fp8KVCacheDataTypeE0EDF16_Li16ELi64ELi256ELb0ELi2EEvPKT_PKT0_S7_ifPKiS9_S9_iPKfiiiPfSC_PS2_PT2_iSB_SB_,@function
_Z38paged_attention_ll4mi_QKV_mfma4_kernelIDF16_DF16_LN4vllm18Fp8KVCacheDataTypeE0EDF16_Li16ELi64ELi256ELb0ELi2EEvPKT_PKT0_S7_ifPKiS9_S9_iPKfiiiPfSC_PS2_PT2_iSB_SB_: ; @_Z38paged_attention_ll4mi_QKV_mfma4_kernelIDF16_DF16_LN4vllm18Fp8KVCacheDataTypeE0EDF16_Li16ELi64ELi256ELb0ELi2EEvPKT_PKT0_S7_ifPKiS9_S9_iPKfiiiPfSC_PS2_PT2_iSB_SB_
; %bb.0:
	s_load_dwordx2 s[16:17], s[0:1], 0x30
	s_mov_b32 s20, s3
	s_mov_b64 s[6:7], 0
	s_waitcnt lgkmcnt(0)
	s_cmp_lg_u64 s[16:17], 0
	s_cselect_b64 s[18:19], -1, 0
	s_and_b64 vcc, exec, s[18:19]
	s_cbranch_vccz .LBB93_10
; %bb.1:
	s_add_i32 s8, s2, 1
	s_mov_b32 s9, 0
	s_lshl_b64 s[10:11], s[8:9], 2
	s_add_u32 s10, s16, s10
	s_mov_b32 s3, s9
	s_addc_u32 s11, s17, s11
	s_lshl_b64 s[8:9], s[2:3], 2
	s_add_u32 s8, s16, s8
	s_addc_u32 s9, s17, s9
	s_load_dword s5, s[10:11], 0x0
	s_load_dword s12, s[8:9], 0x0
	s_waitcnt lgkmcnt(0)
	s_sub_i32 s5, s5, s12
	s_cmp_eq_u32 s5, 1
	s_cselect_b64 s[8:9], -1, 0
	s_andn2_b64 vcc, exec, s[6:7]
	s_cbranch_vccnz .LBB93_3
.LBB93_2:
	s_mov_b32 s3, 0
	s_mov_b64 s[8:9], -1
.LBB93_3:
	s_andn2_b64 vcc, exec, s[8:9]
	s_cbranch_vccnz .LBB93_23
; %bb.4:
	s_load_dword s5, s[0:1], 0x9c
	s_load_dwordx2 s[6:7], s[0:1], 0x28
	s_add_u32 s24, s0, 0x90
	s_addc_u32 s25, s1, 0
	s_lshl_b64 s[28:29], s[2:3], 2
	s_waitcnt lgkmcnt(0)
	s_and_b32 s5, s5, 0xffff
	s_add_u32 s6, s6, s28
	s_addc_u32 s7, s7, s29
	s_load_dword s3, s[6:7], 0x0
	s_mul_i32 s10, s20, s5
	s_waitcnt lgkmcnt(0)
	s_cmp_ge_i32 s10, s3
	s_cbranch_scc1 .LBB93_23
; %bb.5:
	v_and_b32_e32 v2, 0xc0, v0
	v_add_u32_e32 v2, s10, v2
	v_lshrrev_b32_e32 v1, 6, v0
	v_cmp_gt_i32_e64 s[6:7], s3, v2
	v_cmp_le_i32_e32 vcc, s3, v2
                                        ; implicit-def: $sgpr21
                                        ; implicit-def: $sgpr11
	s_and_saveexec_b64 s[8:9], vcc
	s_xor_b64 s[8:9], exec, s[8:9]
	s_cbranch_execz .LBB93_7
; %bb.6:
	v_mul_u32_u24_e32 v2, 20, v1
	v_or_b32_e32 v2, 0xa00, v2
	v_mov_b32_e32 v3, 0xa50
	v_mov_b32_e32 v4, 0xff7fffff
	v_mad_u32_u24 v3, v1, 20, v3
	ds_write2_b32 v2, v4, v4 offset1:1
	v_mov_b32_e32 v2, 0
	ds_write2_b32 v3, v2, v2 offset1:1
	v_mov_b32_e32 v3, 0xa08
	s_mov_b32 s11, 0xff7fffff
	s_mov_b32 s21, 0
	v_mad_u32_u24 v3, v1, 20, v3
	v_mov_b32_e32 v5, 0xa58
	v_mad_u32_u24 v5, v1, 20, v5
	ds_write2_b32 v3, v4, v4 offset1:1
	ds_write2_b32 v5, v2, v2 offset1:1
                                        ; implicit-def: $vgpr2
.LBB93_7:
	s_or_saveexec_b64 s[26:27], s[8:9]
	s_load_dwordx2 s[22:23], s[0:1], 0x68
	s_load_dwordx4 s[12:15], s[0:1], 0x58
	s_load_dword s5, s[24:25], 0x4
	v_and_b32_e32 v40, 63, v0
	v_and_b32_e32 v38, 3, v0
	v_mov_b32_e32 v37, s21
	v_mov_b32_e32 v41, s11
	;; [unrolled: 1-line block ×5, first 2 shown]
                                        ; implicit-def: $vgpr3
                                        ; implicit-def: $vgpr7
                                        ; implicit-def: $vgpr11
                                        ; implicit-def: $vgpr15
                                        ; implicit-def: $vgpr19
                                        ; implicit-def: $vgpr23
                                        ; implicit-def: $vgpr27
                                        ; implicit-def: $vgpr31
	s_xor_b64 exec, exec, s[26:27]
	s_cbranch_execz .LBB93_17
; %bb.8:
	s_add_i32 s21, s3, 15
	s_load_dwordx2 s[8:9], s[0:1], 0x20
	s_load_dword s11, s[0:1], 0x38
	s_ashr_i32 s30, s21, 31
	s_lshr_b32 s30, s30, 28
	v_add_u32_e32 v39, s10, v0
	s_add_i32 s21, s21, s30
	v_ashrrev_i32_e32 v3, 31, v39
	s_ashr_i32 s21, s21, 4
	v_lshrrev_b32_e32 v3, 28, v3
	s_add_i32 s21, s21, -1
	v_add_u32_e32 v3, v39, v3
	s_waitcnt lgkmcnt(0)
	s_mul_i32 s30, s2, s11
	s_mov_b32 s31, 0
	v_ashrrev_i32_e32 v3, 4, v3
	v_mov_b32_e32 v4, s21
	v_cmp_gt_i32_e32 vcc, s3, v39
	s_lshl_b64 s[30:31], s[30:31], 2
	s_add_u32 s8, s8, s30
	v_cndmask_b32_e32 v4, v4, v3, vcc
	v_ashrrev_i32_e32 v3, 31, v2
	v_lshrrev_b32_e32 v3, 28, v3
	s_addc_u32 s9, s9, s31
	v_ashrrev_i32_e32 v5, 31, v4
	v_add_u32_e32 v2, v2, v3
	v_lshl_add_u64 v[8:9], v[4:5], 2, s[8:9]
	v_ashrrev_i32_e32 v4, 4, v2
	v_min_i32_e32 v2, s21, v4
	v_ashrrev_i32_e32 v3, 31, v2
	v_lshl_add_u64 v[10:11], v[2:3], 2, s[8:9]
	v_add_u32_e32 v2, 1, v4
	v_min_i32_e32 v2, s21, v2
	v_ashrrev_i32_e32 v3, 31, v2
	v_lshl_add_u64 v[12:13], v[2:3], 2, s[8:9]
	v_add_u32_e32 v2, 2, v4
	;; [unrolled: 4-line block ×3, first 2 shown]
	v_min_i32_e32 v2, s21, v2
	v_ashrrev_i32_e32 v3, 31, v2
	v_lshl_add_u64 v[16:17], v[2:3], 2, s[8:9]
	global_load_dword v2, v[8:9], off
	global_load_dword v7, v[10:11], off
	;; [unrolled: 1-line block ×5, first 2 shown]
	s_load_dwordx4 s[8:11], s[0:1], 0x8
	s_andn2_b64 vcc, exec, s[18:19]
	s_cbranch_vccnz .LBB93_11
; %bb.9:
	s_add_u32 s16, s16, s28
	s_addc_u32 s17, s17, s29
	s_load_dword s21, s[16:17], 0x0
	s_branch .LBB93_12
.LBB93_10:
	s_mov_b64 s[8:9], 0
	s_branch .LBB93_2
.LBB93_11:
	s_mov_b32 s21, s2
.LBB93_12:
	s_load_dwordx4 s[16:19], s[0:1], 0x48
	v_cmp_gt_u32_e32 vcc, 2, v38
	s_mov_b32 s29, 0
	v_mov_b32_e32 v3, 0
	v_mov_b32_e32 v34, 0
	v_mov_b32_e32 v35, 0
	v_mov_b32_e32 v36, 0
	v_mov_b32_e32 v37, 0
	s_and_saveexec_b64 s[30:31], vcc
	s_cbranch_execz .LBB93_14
; %bb.13:
	s_load_dwordx2 s[34:35], s[0:1], 0x0
	s_waitcnt lgkmcnt(0)
	s_ashr_i32 s19, s16, 31
	s_mul_hi_u32 s28, s21, s16
	s_mul_i32 s19, s21, s19
	s_add_i32 s37, s28, s19
	s_mul_i32 s36, s21, s16
	s_lshl_b64 s[36:37], s[36:37], 1
	s_add_u32 s16, s34, s36
	s_addc_u32 s19, s35, s37
	s_lshl_b32 s28, s4, 7
	s_lshl_b64 s[34:35], s[28:29], 1
	s_add_u32 s34, s16, s34
	v_lshlrev_b32_e32 v8, 3, v38
	v_lshrrev_b32_e32 v9, 2, v40
	s_addc_u32 s35, s19, s35
	v_add_lshl_u32 v8, v8, v9, 4
	global_load_dwordx4 v[34:37], v8, s[34:35]
.LBB93_14:
	s_or_b64 exec, exec, s[30:31]
	s_waitcnt lgkmcnt(0)
	s_mul_i32 s28, s4, s18
	s_lshl_b64 s[18:19], s[28:29], 1
	s_add_u32 s8, s18, s8
	s_waitcnt vmcnt(4)
	v_mad_i64_i32 v[8:9], s[30:31], v2, s17, 0
	s_addc_u32 s9, s19, s9
	v_and_b32_e32 v2, 15, v0
	v_lshl_add_u64 v[8:9], v[8:9], 1, s[8:9]
	v_lshlrev_b32_e32 v2, 4, v2
	v_lshl_add_u64 v[32:33], v[8:9], 0, v[2:3]
	global_load_dwordx4 v[8:11], v[32:33], off
	global_load_dwordx4 v[12:15], v[32:33], off offset:256
	global_load_dwordx4 v[16:19], v[32:33], off offset:512
	;; [unrolled: 1-line block ×7, first 2 shown]
	s_waitcnt vmcnt(11)
	v_mul_hi_i32 v2, v7, s17
	s_add_u32 s8, s10, s18
	s_waitcnt vmcnt(10)
	v_mul_hi_i32 v32, v6, s17
	s_waitcnt vmcnt(9)
	v_mul_hi_i32 v33, v5, s17
	v_ashrrev_i32_e32 v50, 31, v2
	s_addc_u32 s9, s11, s19
	v_lshlrev_b32_e32 v2, 5, v40
	v_ashrrev_i32_e32 v52, 31, v32
	v_ashrrev_i32_e32 v53, 31, v33
	v_lshl_add_u64 v[32:33], s[8:9], 0, v[2:3]
	v_lshrrev_b32_e32 v2, 29, v50
	s_waitcnt vmcnt(8)
	v_mul_hi_i32 v41, v4, s17
	v_mad_i64_i32 v[50:51], s[8:9], v7, s17, v[2:3]
	v_lshrrev_b32_e32 v2, 29, v52
	v_ashrrev_i32_e32 v41, 31, v41
	v_lshlrev_b64 v[50:51], 1, v[50:51]
	v_mad_i64_i32 v[6:7], s[8:9], v6, s17, v[2:3]
	v_lshrrev_b32_e32 v2, 29, v53
	v_and_b32_e32 v50, -16, v50
	v_lshlrev_b64 v[52:53], 1, v[6:7]
	v_mad_i64_i32 v[6:7], s[8:9], v5, s17, v[2:3]
	v_lshrrev_b32_e32 v2, 29, v41
	v_lshl_add_u64 v[50:51], v[32:33], 0, v[50:51]
	v_and_b32_e32 v52, -16, v52
	v_lshlrev_b64 v[54:55], 1, v[6:7]
	v_and_b32_e32 v54, -16, v54
	s_load_dword s0, s[0:1], 0x1c
	v_cmp_eq_u32_e32 vcc, 0, v38
	v_and_b32_e32 v60, -4, v39
	v_mov_b32_e32 v41, 0xff7fffff
	v_cndmask_b32_e64 v56, 0, 1.0, vcc
	v_cmp_eq_u32_e32 vcc, 1, v38
	v_or_b32_e32 v39, 3, v39
	v_cmp_gt_i32_e64 s[10:11], s3, v39
	v_cndmask_b32_e64 v57, 0, 1.0, vcc
	v_cmp_eq_u32_e32 vcc, 2, v38
	v_lshlrev_b32_e32 v61, 2, v0
	s_waitcnt vmcnt(7)
	v_mfma_f32_4x4x4_16b_f16 a[0:3], v[34:35], v[8:9], 0 cbsz:4
	v_cndmask_b32_e64 v58, 0, 1.0, vcc
	s_nop 0
	v_mfma_f32_4x4x4_16b_f16 a[0:3], v[36:37], v[10:11], a[0:3] cbsz:4
	v_mad_i64_i32 v[10:11], s[8:9], v4, s17, v[2:3]
	s_waitcnt vmcnt(6)
	v_mfma_f32_4x4x4_16b_f16 a[0:3], v[34:35], v[12:13], a[0:3] cbsz:4 abid:1
	global_load_dwordx4 v[2:5], v[50:51], off
	global_load_dwordx4 v[6:9], v[50:51], off offset:16
	v_mfma_f32_4x4x4_16b_f16 a[0:3], v[36:37], v[14:15], a[0:3] cbsz:4 abid:1
	v_lshl_add_u64 v[50:51], v[32:33], 0, v[52:53]
	v_lshlrev_b64 v[52:53], 1, v[10:11]
	s_waitcnt vmcnt(7)
	v_mfma_f32_4x4x4_16b_f16 a[0:3], v[34:35], v[16:17], a[0:3] cbsz:4 abid:2
	global_load_dwordx4 v[10:13], v[50:51], off
	global_load_dwordx4 v[14:17], v[50:51], off offset:16
	v_mfma_f32_4x4x4_16b_f16 a[0:3], v[36:37], v[18:19], a[0:3] cbsz:4 abid:2
	v_lshl_add_u64 v[50:51], v[32:33], 0, v[54:55]
	v_and_b32_e32 v52, -16, v52
	s_waitcnt vmcnt(8)
	v_mfma_f32_4x4x4_16b_f16 a[0:3], v[34:35], v[20:21], a[0:3] cbsz:4 abid:3
	v_cmp_eq_u32_e32 vcc, 3, v38
	s_nop 0
	v_mfma_f32_4x4x4_16b_f16 a[0:3], v[36:37], v[22:23], a[0:3] cbsz:4 abid:3
	v_cndmask_b32_e64 v59, 0, 1.0, vcc
	v_cmp_gt_i32_e32 vcc, s3, v60
	s_waitcnt vmcnt(7)
	v_mfma_f32_4x4x4_16b_f16 a[0:3], v[34:35], v[24:25], a[0:3] cbsz:4 abid:4
	global_load_dwordx4 v[18:21], v[50:51], off
	global_load_dwordx4 v[22:25], v[50:51], off offset:16
	v_mfma_f32_4x4x4_16b_f16 a[0:3], v[36:37], v[26:27], a[0:3] cbsz:4 abid:4
	v_lshl_add_u64 v[50:51], v[32:33], 0, v[52:53]
	s_waitcnt vmcnt(8)
	v_mfma_f32_4x4x4_16b_f16 a[0:3], v[34:35], v[28:29], a[0:3] cbsz:4 abid:5
	s_nop 1
	v_mfma_f32_4x4x4_16b_f16 a[0:3], v[36:37], v[30:31], a[0:3] cbsz:4 abid:5
	global_load_dwordx4 v[26:29], v[50:51], off
	global_load_dwordx4 v[30:33], v[50:51], off offset:16
	s_waitcnt vmcnt(9)
	v_mfma_f32_4x4x4_16b_f16 a[0:3], v[34:35], v[42:43], a[0:3] cbsz:4 abid:6
	v_and_or_b32 v42, v61, 48, v38
	v_lshlrev_b32_e32 v42, 2, v42
	v_mfma_f32_4x4x4_16b_f16 a[0:3], v[36:37], v[44:45], a[0:3] cbsz:4 abid:6
	s_waitcnt vmcnt(8)
	s_nop 0
	v_mfma_f32_4x4x4_16b_f16 a[0:3], v[34:35], v[46:47], a[0:3] cbsz:4 abid:7
	s_nop 1
	v_mfma_f32_4x4x4_16b_f16 a[0:3], v[36:37], v[48:49], a[0:3] cbsz:4 abid:7
	s_nop 4
	v_accvgpr_read_b32 v35, a1
	v_accvgpr_read_b32 v34, a0
	s_waitcnt lgkmcnt(0)
	v_pk_mul_f32 v[34:35], s[0:1], v[34:35] op_sel_hi:[0,1]
	v_accvgpr_read_b32 v37, a3
	v_accvgpr_read_b32 v36, a2
	v_pk_mul_f32 v[36:37], s[0:1], v[36:37] op_sel_hi:[0,1]
	v_mfma_f32_4x4x1_16b_f32 a[0:3], v34, v56, 0
	v_or_b32_e32 v34, 1, v60
	s_nop 0
	v_mfma_f32_4x4x1_16b_f32 a[0:3], v35, v57, a[0:3]
	v_cmp_gt_i32_e64 s[0:1], s3, v34
	v_or_b32_e32 v35, 2, v60
	v_mfma_f32_4x4x1_16b_f32 a[0:3], v36, v58, a[0:3]
	v_cmp_gt_i32_e64 s[8:9], s3, v35
	s_nop 0
	v_mfma_f32_4x4x1_16b_f32 a[0:3], v37, v59, a[0:3]
	s_nop 3
	v_accvgpr_read_b32 v36, a0
	v_max_f32_e32 v45, v36, v36
	v_accvgpr_read_b32 v37, a1
	v_max_f32_e32 v45, 0xff7fffff, v45
	v_max_f32_e32 v46, v37, v37
	v_cndmask_b32_e32 v41, v41, v45, vcc
	v_accvgpr_read_b32 v43, a2
	v_max_f32_e32 v45, v41, v46
	v_max_f32_e32 v47, v43, v43
	v_cndmask_b32_e64 v34, v41, v45, s[0:1]
	v_accvgpr_read_b32 v44, a3
	v_max_f32_e32 v41, v34, v47
	v_max_f32_e32 v48, v44, v44
	v_cndmask_b32_e64 v34, v34, v41, s[8:9]
	v_max_f32_e32 v35, v34, v48
	v_cndmask_b32_e64 v34, v34, v35, s[10:11]
	;;#ASMSTART
	v_nop
 v_nop
 v_max_f32_dpp v34, v34, v34 row_ror:4
	;;#ASMEND
	s_nop 0
	;;#ASMSTART
	v_nop
 v_nop
 v_max_f32_dpp v34, v34, v34 row_ror:8
	;;#ASMEND
	ds_bpermute_b32 v34, v42, v34
	s_waitcnt lgkmcnt(0)
	;;#ASMSTART
	v_nop
 v_nop
 v_max_f32_dpp v34, v34, v34 row_ror:4
	;;#ASMEND
	s_nop 0
	;;#ASMSTART
	v_nop
 v_nop
 v_max_f32_dpp v41, v34, v34 row_ror:8
	;;#ASMEND
	s_nop 0
	v_sub_f32_e32 v34, v36, v41
	v_sub_f32_e32 v35, v37, v41
	v_mul_f32_e32 v34, 0x3fb8aa3b, v34
	v_sub_f32_e32 v36, v43, v41
	v_mul_f32_e32 v35, 0x3fb8aa3b, v35
	v_exp_f32_e32 v34, v34
	v_sub_f32_e32 v37, v44, v41
	v_mul_f32_e32 v36, 0x3fb8aa3b, v36
	v_exp_f32_e32 v35, v35
	v_mul_f32_e32 v37, 0x3fb8aa3b, v37
	v_exp_f32_e32 v36, v36
	v_exp_f32_e32 v37, v37
	v_cndmask_b32_e32 v34, 0, v34, vcc
	v_cndmask_b32_e64 v35, 0, v35, s[0:1]
	v_add_f32_e32 v39, 0, v34
	v_cndmask_b32_e64 v36, 0, v36, s[8:9]
	v_add_f32_e32 v39, v39, v35
	;; [unrolled: 2-line block ×3, first 2 shown]
	v_add_f32_e32 v39, v39, v37
	;;#ASMSTART
	v_nop
 v_nop
 v_add_f32_dpp v39, v39, v39 row_ror:4
	;;#ASMEND
	v_cmp_gt_u32_e32 vcc, 4, v40
	;;#ASMSTART
	v_nop
 v_nop
 v_add_f32_dpp v39, v39, v39 row_ror:8
	;;#ASMEND
	ds_bpermute_b32 v39, v42, v39
	s_waitcnt lgkmcnt(0)
	;;#ASMSTART
	v_nop
 v_nop
 v_add_f32_dpp v39, v39, v39 row_ror:4
	;;#ASMEND
	s_nop 0
	;;#ASMSTART
	v_nop
 v_nop
 v_add_f32_dpp v39, v39, v39 row_ror:8
	;;#ASMEND
	s_and_saveexec_b64 s[0:1], vcc
	s_cbranch_execz .LBB93_16
; %bb.15:
	v_mul_u32_u24_e32 v42, 20, v1
	v_lshl_add_u32 v42, v38, 2, v42
	v_add_u32_e32 v42, 0x800, v42
	ds_write2_b32 v42, v41, v39 offset0:128 offset1:148
.LBB93_16:
	s_or_b64 exec, exec, s[0:1]
.LBB93_17:
	s_or_b64 exec, exec, s[26:27]
	s_waitcnt lgkmcnt(0)
	s_barrier
	s_load_dword s0, s[24:25], 0x8
	v_lshlrev_b32_e32 v39, 2, v38
	v_add_u32_e32 v39, 0x800, v39
	ds_read2_b32 v[44:45], v39 offset0:128 offset1:133
	ds_read2_b32 v[46:47], v39 offset0:138 offset1:143
	s_mul_i32 s1, s2, s5
	s_waitcnt lgkmcnt(0)
	s_mul_i32 s1, s1, s0
	s_lshl_b32 s0, s1, 1
	s_mov_b32 s1, 0xff7fffff
	v_max3_f32 v42, v44, s1, v45
	v_max3_f32 v42, v42, v46, v47
	v_sub_f32_e32 v43, v44, v42
	v_sub_f32_e32 v44, v45, v42
	ds_read2_b32 v[48:49], v39 offset0:148 offset1:153
	v_mul_f32_e32 v43, 0x3fb8aa3b, v43
	v_mul_f32_e32 v44, 0x3fb8aa3b, v44
	v_exp_f32_e32 v43, v43
	v_exp_f32_e32 v50, v44
	ds_read2_b32 v[44:45], v39 offset0:158 offset1:163
	v_sub_f32_e32 v39, v46, v42
	v_mul_f32_e32 v39, 0x3fb8aa3b, v39
	v_sub_f32_e32 v46, v47, v42
	v_exp_f32_e32 v39, v39
	v_mul_f32_e32 v46, 0x3fb8aa3b, v46
	v_exp_f32_e32 v46, v46
	s_waitcnt lgkmcnt(1)
	v_fma_f32 v43, v43, v48, 0
	v_fmac_f32_e32 v43, v50, v49
	s_waitcnt lgkmcnt(0)
	v_fmac_f32_e32 v43, v39, v44
	s_lshl_b32 s4, s4, 1
	v_fmac_f32_e32 v43, v46, v45
	v_cmp_gt_u32_e32 vcc, 2, v38
	s_and_saveexec_b64 s[2:3], vcc
	s_cbranch_execz .LBB93_19
; %bb.18:
	s_mov_b32 s1, 0
	s_lshl_b64 s[8:9], s[0:1], 2
	s_add_u32 s12, s12, s8
	s_mov_b32 s21, s1
	s_addc_u32 s13, s13, s9
	s_lshl_b64 s[10:11], s[20:21], 2
	s_add_u32 s12, s12, s10
	s_addc_u32 s13, s13, s11
	s_add_u32 s1, s14, s8
	s_addc_u32 s9, s15, s9
	v_or_b32_e32 v38, s4, v38
	s_add_u32 s8, s1, s10
	v_mul_lo_u32 v38, s5, v38
	v_mov_b32_e32 v39, 0
	s_addc_u32 s9, s9, s11
	v_lshlrev_b64 v[38:39], 2, v[38:39]
	v_lshl_add_u64 v[44:45], s[12:13], 0, v[38:39]
	v_lshl_add_u64 v[38:39], s[8:9], 0, v[38:39]
	global_store_dword v[38:39], v42, off
	global_store_dword v[44:45], v43, off
.LBB93_19:
	s_or_b64 exec, exec, s[2:3]
	v_mov_b32_e32 v38, 0
	v_mov_b32_e32 v39, 0
	s_and_saveexec_b64 s[2:3], s[6:7]
	s_cbranch_execz .LBB93_21
; %bb.20:
	v_add_f32_e32 v38, 0x358637bd, v43
	v_div_scale_f32 v39, s[6:7], v38, v38, 1.0
	v_rcp_f32_e32 v43, v39
	v_div_scale_f32 v44, vcc, 1.0, v38, 1.0
	v_sub_f32_e32 v41, v41, v42
	v_fma_f32 v45, -v39, v43, 1.0
	v_fmac_f32_e32 v43, v45, v43
	v_mul_f32_e32 v45, v44, v43
	v_fma_f32 v46, -v39, v45, v44
	v_mul_f32_e32 v41, 0x3fb8aa3b, v41
	v_fmac_f32_e32 v45, v46, v43
	v_exp_f32_e32 v41, v41
	v_fma_f32 v39, -v39, v45, v44
	v_div_fmas_f32 v39, v39, v43, v45
	v_div_fixup_f32 v38, v39, v38, 1.0
	v_mul_f32_e32 v38, v41, v38
	v_pk_mul_f32 v[36:37], v[36:37], v[38:39] op_sel_hi:[1,0]
	v_pk_mul_f32 v[34:35], v[34:35], v[38:39] op_sel_hi:[1,0]
	v_cvt_f16_f32_e32 v36, v36
	v_cvt_f16_f32_e32 v34, v34
	;; [unrolled: 1-line block ×4, first 2 shown]
	s_mov_b32 s1, 0x5040100
	v_pack_b32_f16 v34, v34, v35
	v_pack_b32_f16 v35, v36, v37
	s_waitcnt vmcnt(7)
	s_nop 0
	v_mfma_f32_4x4x4_16b_f16 a[0:3], v[34:35], v[2:3], 0 cbsz:4
	s_nop 1
	v_mfma_f32_4x4x4_16b_f16 a[0:3], v[34:35], v[4:5], a[0:3] cbsz:4 abid:1
	s_waitcnt vmcnt(6)
	s_nop 0
	v_mfma_f32_4x4x4_16b_f16 a[0:3], v[34:35], v[6:7], a[0:3] cbsz:4 abid:2
	s_nop 1
	v_mfma_f32_4x4x4_16b_f16 a[0:3], v[34:35], v[8:9], a[0:3] cbsz:4 abid:3
	s_waitcnt vmcnt(5)
	s_nop 0
	v_mfma_f32_4x4x4_16b_f16 a[0:3], v[34:35], v[10:11], a[0:3] cbsz:4 abid:4
	;; [unrolled: 5-line block ×7, first 2 shown]
	s_nop 1
	v_mfma_f32_4x4x4_16b_f16 a[0:3], v[34:35], v[32:33], a[0:3] cbsz:4 abid:15
	s_nop 4
	v_accvgpr_read_b32 v2, a0
	v_accvgpr_read_b32 v3, a1
	;; [unrolled: 1-line block ×4, first 2 shown]
	v_cvt_f16_f32_e32 v2, v2
	v_cvt_f16_f32_e32 v3, v3
	;; [unrolled: 1-line block ×4, first 2 shown]
	v_perm_b32 v38, v3, v2, s1
	v_perm_b32 v39, v5, v4, s1
.LBB93_21:
	s_or_b64 exec, exec, s[2:3]
	v_lshlrev_b32_e32 v1, 3, v1
	v_mad_u32_u24 v1, v40, 40, v1
	v_cmp_gt_u32_e32 vcc, 64, v0
	ds_write_b64 v1, v[38:39]
	s_waitcnt lgkmcnt(0)
	s_barrier
	s_and_saveexec_b64 s[2:3], vcc
	s_cbranch_execz .LBB93_23
; %bb.22:
	s_mov_b32 s1, 0
	s_lshl_b32 s0, s0, 6
	v_mul_u32_u24_e32 v1, 40, v40
	s_lshl_b64 s[2:3], s[0:1], 1
	s_waitcnt vmcnt(7)
	ds_read2_b64 v[2:5], v1 offset1:1
	s_waitcnt vmcnt(6)
	ds_read2_b64 v[6:9], v1 offset0:2 offset1:3
	s_add_u32 s2, s22, s2
	s_addc_u32 s3, s23, s3
	s_lshl_b32 s0, s20, 6
	s_lshl_b64 s[0:1], s[0:1], 1
	s_add_u32 s0, s2, s0
	s_addc_u32 s1, s3, s1
	s_lshl_b32 s2, s5, 6
	s_waitcnt lgkmcnt(1)
	v_pk_add_f16 v1, v2, 0
	s_mul_i32 s3, s2, s4
	v_pk_add_f16 v1, v1, v4
	v_or_b32_e32 v2, s3, v0
	v_mov_b32_e32 v3, 0
	s_add_i32 s3, s3, s2
	s_waitcnt lgkmcnt(0)
	v_pk_add_f16 v1, v1, v6
	v_lshl_add_u64 v[4:5], v[2:3], 1, s[0:1]
	v_or_b32_e32 v2, s3, v0
	v_pk_add_f16 v6, v1, v8
	v_lshl_add_u64 v[0:1], v[2:3], 1, s[0:1]
	global_store_short v[4:5], v6, off
	global_store_short_d16_hi v[0:1], v6, off
.LBB93_23:
	s_endpgm
	.section	.rodata,"a",@progbits
	.p2align	6, 0x0
	.amdhsa_kernel _Z38paged_attention_ll4mi_QKV_mfma4_kernelIDF16_DF16_LN4vllm18Fp8KVCacheDataTypeE0EDF16_Li16ELi64ELi256ELb0ELi2EEvPKT_PKT0_S7_ifPKiS9_S9_iPKfiiiPfSC_PS2_PT2_iSB_SB_
		.amdhsa_group_segment_fixed_size 2720
		.amdhsa_private_segment_fixed_size 0
		.amdhsa_kernarg_size 400
		.amdhsa_user_sgpr_count 2
		.amdhsa_user_sgpr_dispatch_ptr 0
		.amdhsa_user_sgpr_queue_ptr 0
		.amdhsa_user_sgpr_kernarg_segment_ptr 1
		.amdhsa_user_sgpr_dispatch_id 0
		.amdhsa_user_sgpr_kernarg_preload_length 0
		.amdhsa_user_sgpr_kernarg_preload_offset 0
		.amdhsa_user_sgpr_private_segment_size 0
		.amdhsa_uses_dynamic_stack 0
		.amdhsa_enable_private_segment 0
		.amdhsa_system_sgpr_workgroup_id_x 1
		.amdhsa_system_sgpr_workgroup_id_y 1
		.amdhsa_system_sgpr_workgroup_id_z 1
		.amdhsa_system_sgpr_workgroup_info 0
		.amdhsa_system_vgpr_workitem_id 0
		.amdhsa_next_free_vgpr 68
		.amdhsa_next_free_sgpr 38
		.amdhsa_accum_offset 64
		.amdhsa_reserve_vcc 1
		.amdhsa_float_round_mode_32 0
		.amdhsa_float_round_mode_16_64 0
		.amdhsa_float_denorm_mode_32 3
		.amdhsa_float_denorm_mode_16_64 3
		.amdhsa_dx10_clamp 1
		.amdhsa_ieee_mode 1
		.amdhsa_fp16_overflow 0
		.amdhsa_tg_split 0
		.amdhsa_exception_fp_ieee_invalid_op 0
		.amdhsa_exception_fp_denorm_src 0
		.amdhsa_exception_fp_ieee_div_zero 0
		.amdhsa_exception_fp_ieee_overflow 0
		.amdhsa_exception_fp_ieee_underflow 0
		.amdhsa_exception_fp_ieee_inexact 0
		.amdhsa_exception_int_div_zero 0
	.end_amdhsa_kernel
	.section	.text._Z38paged_attention_ll4mi_QKV_mfma4_kernelIDF16_DF16_LN4vllm18Fp8KVCacheDataTypeE0EDF16_Li16ELi64ELi256ELb0ELi2EEvPKT_PKT0_S7_ifPKiS9_S9_iPKfiiiPfSC_PS2_PT2_iSB_SB_,"axG",@progbits,_Z38paged_attention_ll4mi_QKV_mfma4_kernelIDF16_DF16_LN4vllm18Fp8KVCacheDataTypeE0EDF16_Li16ELi64ELi256ELb0ELi2EEvPKT_PKT0_S7_ifPKiS9_S9_iPKfiiiPfSC_PS2_PT2_iSB_SB_,comdat
.Lfunc_end93:
	.size	_Z38paged_attention_ll4mi_QKV_mfma4_kernelIDF16_DF16_LN4vllm18Fp8KVCacheDataTypeE0EDF16_Li16ELi64ELi256ELb0ELi2EEvPKT_PKT0_S7_ifPKiS9_S9_iPKfiiiPfSC_PS2_PT2_iSB_SB_, .Lfunc_end93-_Z38paged_attention_ll4mi_QKV_mfma4_kernelIDF16_DF16_LN4vllm18Fp8KVCacheDataTypeE0EDF16_Li16ELi64ELi256ELb0ELi2EEvPKT_PKT0_S7_ifPKiS9_S9_iPKfiiiPfSC_PS2_PT2_iSB_SB_
                                        ; -- End function
	.section	.AMDGPU.csdata,"",@progbits
; Kernel info:
; codeLenInByte = 3116
; NumSgprs: 44
; NumVgprs: 62
; NumAgprs: 4
; TotalNumVgprs: 68
; ScratchSize: 0
; MemoryBound: 0
; FloatMode: 240
; IeeeMode: 1
; LDSByteSize: 2720 bytes/workgroup (compile time only)
; SGPRBlocks: 5
; VGPRBlocks: 8
; NumSGPRsForWavesPerEU: 44
; NumVGPRsForWavesPerEU: 68
; AccumOffset: 64
; Occupancy: 7
; WaveLimiterHint : 1
; COMPUTE_PGM_RSRC2:SCRATCH_EN: 0
; COMPUTE_PGM_RSRC2:USER_SGPR: 2
; COMPUTE_PGM_RSRC2:TRAP_HANDLER: 0
; COMPUTE_PGM_RSRC2:TGID_X_EN: 1
; COMPUTE_PGM_RSRC2:TGID_Y_EN: 1
; COMPUTE_PGM_RSRC2:TGID_Z_EN: 1
; COMPUTE_PGM_RSRC2:TIDIG_COMP_CNT: 0
; COMPUTE_PGM_RSRC3_GFX90A:ACCUM_OFFSET: 15
; COMPUTE_PGM_RSRC3_GFX90A:TG_SPLIT: 0
	.section	.text._Z38paged_attention_ll4mi_QKV_mfma4_kernelIDF16_DF16_LN4vllm18Fp8KVCacheDataTypeE0EDF16_Li16ELi64ELi256ELb0ELi3EEvPKT_PKT0_S7_ifPKiS9_S9_iPKfiiiPfSC_PS2_PT2_iSB_SB_,"axG",@progbits,_Z38paged_attention_ll4mi_QKV_mfma4_kernelIDF16_DF16_LN4vllm18Fp8KVCacheDataTypeE0EDF16_Li16ELi64ELi256ELb0ELi3EEvPKT_PKT0_S7_ifPKiS9_S9_iPKfiiiPfSC_PS2_PT2_iSB_SB_,comdat
	.protected	_Z38paged_attention_ll4mi_QKV_mfma4_kernelIDF16_DF16_LN4vllm18Fp8KVCacheDataTypeE0EDF16_Li16ELi64ELi256ELb0ELi3EEvPKT_PKT0_S7_ifPKiS9_S9_iPKfiiiPfSC_PS2_PT2_iSB_SB_ ; -- Begin function _Z38paged_attention_ll4mi_QKV_mfma4_kernelIDF16_DF16_LN4vllm18Fp8KVCacheDataTypeE0EDF16_Li16ELi64ELi256ELb0ELi3EEvPKT_PKT0_S7_ifPKiS9_S9_iPKfiiiPfSC_PS2_PT2_iSB_SB_
	.globl	_Z38paged_attention_ll4mi_QKV_mfma4_kernelIDF16_DF16_LN4vllm18Fp8KVCacheDataTypeE0EDF16_Li16ELi64ELi256ELb0ELi3EEvPKT_PKT0_S7_ifPKiS9_S9_iPKfiiiPfSC_PS2_PT2_iSB_SB_
	.p2align	8
	.type	_Z38paged_attention_ll4mi_QKV_mfma4_kernelIDF16_DF16_LN4vllm18Fp8KVCacheDataTypeE0EDF16_Li16ELi64ELi256ELb0ELi3EEvPKT_PKT0_S7_ifPKiS9_S9_iPKfiiiPfSC_PS2_PT2_iSB_SB_,@function
_Z38paged_attention_ll4mi_QKV_mfma4_kernelIDF16_DF16_LN4vllm18Fp8KVCacheDataTypeE0EDF16_Li16ELi64ELi256ELb0ELi3EEvPKT_PKT0_S7_ifPKiS9_S9_iPKfiiiPfSC_PS2_PT2_iSB_SB_: ; @_Z38paged_attention_ll4mi_QKV_mfma4_kernelIDF16_DF16_LN4vllm18Fp8KVCacheDataTypeE0EDF16_Li16ELi64ELi256ELb0ELi3EEvPKT_PKT0_S7_ifPKiS9_S9_iPKfiiiPfSC_PS2_PT2_iSB_SB_
; %bb.0:
	s_load_dwordx2 s[16:17], s[0:1], 0x30
	s_mov_b32 s20, s3
	s_mov_b64 s[6:7], 0
	s_waitcnt lgkmcnt(0)
	s_cmp_lg_u64 s[16:17], 0
	s_cselect_b64 s[18:19], -1, 0
	s_and_b64 vcc, exec, s[18:19]
	s_cbranch_vccz .LBB94_10
; %bb.1:
	s_add_i32 s8, s2, 1
	s_mov_b32 s9, 0
	s_lshl_b64 s[10:11], s[8:9], 2
	s_add_u32 s10, s16, s10
	s_mov_b32 s3, s9
	s_addc_u32 s11, s17, s11
	s_lshl_b64 s[8:9], s[2:3], 2
	s_add_u32 s8, s16, s8
	s_addc_u32 s9, s17, s9
	s_load_dword s5, s[10:11], 0x0
	s_load_dword s12, s[8:9], 0x0
	s_waitcnt lgkmcnt(0)
	s_sub_i32 s5, s5, s12
	s_cmp_eq_u32 s5, 1
	s_cselect_b64 s[8:9], -1, 0
	s_andn2_b64 vcc, exec, s[6:7]
	s_cbranch_vccnz .LBB94_3
.LBB94_2:
	s_mov_b32 s3, 0
	s_mov_b64 s[8:9], -1
.LBB94_3:
	s_andn2_b64 vcc, exec, s[8:9]
	s_cbranch_vccnz .LBB94_23
; %bb.4:
	s_load_dword s5, s[0:1], 0x9c
	s_load_dwordx2 s[6:7], s[0:1], 0x28
	s_add_u32 s24, s0, 0x90
	s_addc_u32 s25, s1, 0
	s_lshl_b64 s[28:29], s[2:3], 2
	s_waitcnt lgkmcnt(0)
	s_and_b32 s5, s5, 0xffff
	s_add_u32 s6, s6, s28
	s_addc_u32 s7, s7, s29
	s_load_dword s3, s[6:7], 0x0
	s_mul_i32 s10, s20, s5
	s_waitcnt lgkmcnt(0)
	s_cmp_ge_i32 s10, s3
	s_cbranch_scc1 .LBB94_23
; %bb.5:
	v_and_b32_e32 v2, 0xc0, v0
	v_add_u32_e32 v2, s10, v2
	v_lshrrev_b32_e32 v1, 6, v0
	v_cmp_gt_i32_e64 s[6:7], s3, v2
	v_cmp_le_i32_e32 vcc, s3, v2
                                        ; implicit-def: $sgpr21
                                        ; implicit-def: $sgpr11
	s_and_saveexec_b64 s[8:9], vcc
	s_xor_b64 s[8:9], exec, s[8:9]
	s_cbranch_execz .LBB94_7
; %bb.6:
	v_mul_u32_u24_e32 v2, 20, v1
	v_or_b32_e32 v2, 0xa00, v2
	v_mov_b32_e32 v3, 0xa50
	v_mov_b32_e32 v4, 0xff7fffff
	v_mad_u32_u24 v3, v1, 20, v3
	ds_write2_b32 v2, v4, v4 offset1:1
	v_mov_b32_e32 v2, 0
	ds_write2_b32 v3, v2, v2 offset1:1
	v_mov_b32_e32 v3, 0xa08
	s_mov_b32 s11, 0xff7fffff
	s_mov_b32 s21, 0
	v_mad_u32_u24 v3, v1, 20, v3
	v_mov_b32_e32 v5, 0xa58
	v_mad_u32_u24 v5, v1, 20, v5
	ds_write2_b32 v3, v4, v4 offset1:1
	ds_write2_b32 v5, v2, v2 offset1:1
                                        ; implicit-def: $vgpr2
.LBB94_7:
	s_or_saveexec_b64 s[26:27], s[8:9]
	s_load_dwordx2 s[22:23], s[0:1], 0x68
	s_load_dwordx4 s[12:15], s[0:1], 0x58
	s_load_dword s5, s[24:25], 0x4
	v_and_b32_e32 v40, 63, v0
	v_and_b32_e32 v38, 3, v0
	v_mov_b32_e32 v37, s21
	v_mov_b32_e32 v41, s11
	;; [unrolled: 1-line block ×5, first 2 shown]
                                        ; implicit-def: $vgpr3
                                        ; implicit-def: $vgpr7
                                        ; implicit-def: $vgpr11
                                        ; implicit-def: $vgpr15
                                        ; implicit-def: $vgpr19
                                        ; implicit-def: $vgpr23
                                        ; implicit-def: $vgpr27
                                        ; implicit-def: $vgpr31
	s_xor_b64 exec, exec, s[26:27]
	s_cbranch_execz .LBB94_17
; %bb.8:
	s_add_i32 s21, s3, 15
	s_load_dwordx2 s[8:9], s[0:1], 0x20
	s_load_dword s11, s[0:1], 0x38
	s_ashr_i32 s30, s21, 31
	s_lshr_b32 s30, s30, 28
	v_add_u32_e32 v39, s10, v0
	s_add_i32 s21, s21, s30
	v_ashrrev_i32_e32 v3, 31, v39
	s_ashr_i32 s21, s21, 4
	v_lshrrev_b32_e32 v3, 28, v3
	s_add_i32 s21, s21, -1
	v_add_u32_e32 v3, v39, v3
	s_waitcnt lgkmcnt(0)
	s_mul_i32 s30, s2, s11
	s_mov_b32 s31, 0
	v_ashrrev_i32_e32 v3, 4, v3
	v_mov_b32_e32 v4, s21
	v_cmp_gt_i32_e32 vcc, s3, v39
	s_lshl_b64 s[30:31], s[30:31], 2
	s_add_u32 s8, s8, s30
	v_cndmask_b32_e32 v4, v4, v3, vcc
	v_ashrrev_i32_e32 v3, 31, v2
	v_lshrrev_b32_e32 v3, 28, v3
	s_addc_u32 s9, s9, s31
	v_ashrrev_i32_e32 v5, 31, v4
	v_add_u32_e32 v2, v2, v3
	v_lshl_add_u64 v[8:9], v[4:5], 2, s[8:9]
	v_ashrrev_i32_e32 v4, 4, v2
	v_min_i32_e32 v2, s21, v4
	v_ashrrev_i32_e32 v3, 31, v2
	v_lshl_add_u64 v[10:11], v[2:3], 2, s[8:9]
	v_add_u32_e32 v2, 1, v4
	v_min_i32_e32 v2, s21, v2
	v_ashrrev_i32_e32 v3, 31, v2
	v_lshl_add_u64 v[12:13], v[2:3], 2, s[8:9]
	v_add_u32_e32 v2, 2, v4
	;; [unrolled: 4-line block ×3, first 2 shown]
	v_min_i32_e32 v2, s21, v2
	v_ashrrev_i32_e32 v3, 31, v2
	v_lshl_add_u64 v[16:17], v[2:3], 2, s[8:9]
	global_load_dword v2, v[8:9], off
	global_load_dword v7, v[10:11], off
	global_load_dword v6, v[12:13], off
	global_load_dword v5, v[14:15], off
	global_load_dword v4, v[16:17], off
	s_load_dwordx4 s[8:11], s[0:1], 0x8
	s_andn2_b64 vcc, exec, s[18:19]
	s_cbranch_vccnz .LBB94_11
; %bb.9:
	s_add_u32 s16, s16, s28
	s_addc_u32 s17, s17, s29
	s_load_dword s21, s[16:17], 0x0
	s_branch .LBB94_12
.LBB94_10:
	s_mov_b64 s[8:9], 0
	s_branch .LBB94_2
.LBB94_11:
	s_mov_b32 s21, s2
.LBB94_12:
	s_load_dwordx4 s[16:19], s[0:1], 0x48
	v_cmp_ne_u32_e32 vcc, 3, v38
	s_mov_b32 s29, 0
	v_mov_b32_e32 v41, 1.0
	v_mov_b32_e32 v3, 0
	v_mov_b32_e32 v34, 0
	;; [unrolled: 1-line block ×5, first 2 shown]
	s_and_saveexec_b64 s[30:31], vcc
	s_cbranch_execz .LBB94_14
; %bb.13:
	s_load_dwordx2 s[34:35], s[0:1], 0x0
	s_waitcnt lgkmcnt(0)
	s_ashr_i32 s19, s16, 31
	s_mul_hi_u32 s28, s21, s16
	s_mul_i32 s19, s21, s19
	s_add_i32 s37, s28, s19
	s_mul_i32 s36, s21, s16
	s_lshl_b64 s[36:37], s[36:37], 1
	s_add_u32 s16, s34, s36
	s_mul_i32 s28, s4, 0xc0
	s_addc_u32 s19, s35, s37
	s_lshl_b64 s[34:35], s[28:29], 1
	s_add_u32 s34, s16, s34
	v_lshlrev_b32_e32 v8, 3, v38
	v_lshrrev_b32_e32 v9, 2, v40
	s_addc_u32 s35, s19, s35
	v_add_lshl_u32 v8, v8, v9, 4
	global_load_dwordx4 v[34:37], v8, s[34:35]
	v_mov_b32_e32 v41, 0
.LBB94_14:
	s_or_b64 exec, exec, s[30:31]
	s_waitcnt lgkmcnt(0)
	s_mul_i32 s28, s4, s18
	s_lshl_b64 s[18:19], s[28:29], 1
	s_add_u32 s8, s18, s8
	s_waitcnt vmcnt(4)
	v_mad_i64_i32 v[8:9], s[30:31], v2, s17, 0
	s_addc_u32 s9, s19, s9
	v_and_b32_e32 v2, 15, v0
	v_lshl_add_u64 v[8:9], v[8:9], 1, s[8:9]
	v_lshlrev_b32_e32 v2, 4, v2
	v_lshl_add_u64 v[32:33], v[8:9], 0, v[2:3]
	global_load_dwordx4 v[8:11], v[32:33], off
	global_load_dwordx4 v[12:15], v[32:33], off offset:256
	global_load_dwordx4 v[16:19], v[32:33], off offset:512
	;; [unrolled: 1-line block ×7, first 2 shown]
	s_waitcnt vmcnt(11)
	v_mul_hi_i32 v2, v7, s17
	s_add_u32 s8, s10, s18
	s_waitcnt vmcnt(10)
	v_mul_hi_i32 v32, v6, s17
	s_waitcnt vmcnt(9)
	v_mul_hi_i32 v33, v5, s17
	v_ashrrev_i32_e32 v51, 31, v2
	s_addc_u32 s9, s11, s19
	v_lshlrev_b32_e32 v2, 5, v40
	s_waitcnt vmcnt(8)
	v_mul_hi_i32 v50, v4, s17
	v_ashrrev_i32_e32 v52, 31, v32
	v_ashrrev_i32_e32 v53, 31, v33
	v_lshl_add_u64 v[32:33], s[8:9], 0, v[2:3]
	v_lshrrev_b32_e32 v2, 29, v51
	v_ashrrev_i32_e32 v54, 31, v50
	v_mad_i64_i32 v[50:51], s[8:9], v7, s17, v[2:3]
	v_lshrrev_b32_e32 v2, 29, v52
	v_lshlrev_b64 v[50:51], 1, v[50:51]
	v_mad_i64_i32 v[6:7], s[8:9], v6, s17, v[2:3]
	v_lshrrev_b32_e32 v2, 29, v53
	v_and_b32_e32 v50, -16, v50
	v_lshlrev_b64 v[52:53], 1, v[6:7]
	v_mad_i64_i32 v[6:7], s[8:9], v5, s17, v[2:3]
	v_lshrrev_b32_e32 v2, 29, v54
	v_lshl_add_u64 v[50:51], v[32:33], 0, v[50:51]
	v_and_b32_e32 v52, -16, v52
	v_lshlrev_b64 v[54:55], 1, v[6:7]
	v_and_b32_e32 v54, -16, v54
	s_load_dword s0, s[0:1], 0x1c
	v_cmp_eq_u32_e32 vcc, 0, v38
	v_and_b32_e32 v59, -4, v39
	v_or_b32_e32 v39, 3, v39
	v_cndmask_b32_e64 v56, 0, 1.0, vcc
	v_cmp_eq_u32_e32 vcc, 1, v38
	v_cmp_gt_i32_e64 s[10:11], s3, v39
	v_lshlrev_b32_e32 v60, 2, v0
	v_cndmask_b32_e64 v57, 0, 1.0, vcc
	v_cmp_eq_u32_e32 vcc, 2, v38
	s_waitcnt vmcnt(7)
	v_mfma_f32_4x4x4_16b_f16 a[0:3], v[34:35], v[8:9], 0 cbsz:4
	v_cndmask_b32_e64 v58, 0, 1.0, vcc
	s_nop 0
	v_mfma_f32_4x4x4_16b_f16 a[0:3], v[36:37], v[10:11], a[0:3] cbsz:4
	v_mad_i64_i32 v[10:11], s[8:9], v4, s17, v[2:3]
	s_waitcnt vmcnt(6)
	v_mfma_f32_4x4x4_16b_f16 a[0:3], v[34:35], v[12:13], a[0:3] cbsz:4 abid:1
	global_load_dwordx4 v[2:5], v[50:51], off
	global_load_dwordx4 v[6:9], v[50:51], off offset:16
	v_mfma_f32_4x4x4_16b_f16 a[0:3], v[36:37], v[14:15], a[0:3] cbsz:4 abid:1
	v_lshl_add_u64 v[50:51], v[32:33], 0, v[52:53]
	v_lshlrev_b64 v[52:53], 1, v[10:11]
	s_waitcnt vmcnt(7)
	v_mfma_f32_4x4x4_16b_f16 a[0:3], v[34:35], v[16:17], a[0:3] cbsz:4 abid:2
	global_load_dwordx4 v[10:13], v[50:51], off
	global_load_dwordx4 v[14:17], v[50:51], off offset:16
	v_mfma_f32_4x4x4_16b_f16 a[0:3], v[36:37], v[18:19], a[0:3] cbsz:4 abid:2
	v_lshl_add_u64 v[50:51], v[32:33], 0, v[54:55]
	v_and_b32_e32 v52, -16, v52
	s_waitcnt vmcnt(8)
	v_mfma_f32_4x4x4_16b_f16 a[0:3], v[34:35], v[20:21], a[0:3] cbsz:4 abid:3
	v_cmp_gt_i32_e32 vcc, s3, v59
	s_nop 0
	v_mfma_f32_4x4x4_16b_f16 a[0:3], v[36:37], v[22:23], a[0:3] cbsz:4 abid:3
	s_waitcnt vmcnt(7)
	s_nop 0
	v_mfma_f32_4x4x4_16b_f16 a[0:3], v[34:35], v[24:25], a[0:3] cbsz:4 abid:4
	global_load_dwordx4 v[18:21], v[50:51], off
	global_load_dwordx4 v[22:25], v[50:51], off offset:16
	v_mfma_f32_4x4x4_16b_f16 a[0:3], v[36:37], v[26:27], a[0:3] cbsz:4 abid:4
	v_lshl_add_u64 v[50:51], v[32:33], 0, v[52:53]
	s_waitcnt vmcnt(8)
	v_mfma_f32_4x4x4_16b_f16 a[0:3], v[34:35], v[28:29], a[0:3] cbsz:4 abid:5
	s_nop 1
	v_mfma_f32_4x4x4_16b_f16 a[0:3], v[36:37], v[30:31], a[0:3] cbsz:4 abid:5
	global_load_dwordx4 v[26:29], v[50:51], off
	global_load_dwordx4 v[30:33], v[50:51], off offset:16
	s_waitcnt vmcnt(9)
	v_mfma_f32_4x4x4_16b_f16 a[0:3], v[34:35], v[42:43], a[0:3] cbsz:4 abid:6
	v_mov_b32_e32 v42, 0xff7fffff
	v_and_or_b32 v43, v60, 48, v38
	v_mfma_f32_4x4x4_16b_f16 a[0:3], v[36:37], v[44:45], a[0:3] cbsz:4 abid:6
	v_lshlrev_b32_e32 v43, 2, v43
	s_waitcnt vmcnt(8)
	v_mfma_f32_4x4x4_16b_f16 a[0:3], v[34:35], v[46:47], a[0:3] cbsz:4 abid:7
	s_nop 1
	v_mfma_f32_4x4x4_16b_f16 a[0:3], v[36:37], v[48:49], a[0:3] cbsz:4 abid:7
	s_nop 4
	v_accvgpr_read_b32 v35, a1
	v_accvgpr_read_b32 v34, a0
	s_waitcnt lgkmcnt(0)
	v_pk_mul_f32 v[34:35], s[0:1], v[34:35] op_sel_hi:[0,1]
	v_accvgpr_read_b32 v37, a3
	v_accvgpr_read_b32 v36, a2
	v_pk_mul_f32 v[36:37], s[0:1], v[36:37] op_sel_hi:[0,1]
	v_mfma_f32_4x4x1_16b_f32 a[0:3], v34, v56, 0
	v_or_b32_e32 v34, 1, v59
	s_nop 0
	v_mfma_f32_4x4x1_16b_f32 a[0:3], v35, v57, a[0:3]
	v_cmp_gt_i32_e64 s[0:1], s3, v34
	v_or_b32_e32 v35, 2, v59
	v_mfma_f32_4x4x1_16b_f32 a[0:3], v36, v58, a[0:3]
	v_cmp_gt_i32_e64 s[8:9], s3, v35
	s_nop 0
	v_mfma_f32_4x4x1_16b_f32 a[0:3], v37, v41, a[0:3]
	s_nop 3
	v_accvgpr_read_b32 v36, a0
	v_max_f32_e32 v41, v36, v36
	v_accvgpr_read_b32 v37, a1
	v_max_f32_e32 v41, 0xff7fffff, v41
	v_max_f32_e32 v46, v37, v37
	v_cndmask_b32_e32 v41, v42, v41, vcc
	v_accvgpr_read_b32 v44, a2
	v_max_f32_e32 v42, v41, v46
	v_max_f32_e32 v47, v44, v44
	v_cndmask_b32_e64 v34, v41, v42, s[0:1]
	v_accvgpr_read_b32 v45, a3
	v_max_f32_e32 v41, v34, v47
	v_max_f32_e32 v48, v45, v45
	v_cndmask_b32_e64 v34, v34, v41, s[8:9]
	v_max_f32_e32 v35, v34, v48
	v_cndmask_b32_e64 v34, v34, v35, s[10:11]
	;;#ASMSTART
	v_nop
 v_nop
 v_max_f32_dpp v34, v34, v34 row_ror:4
	;;#ASMEND
	s_nop 0
	;;#ASMSTART
	v_nop
 v_nop
 v_max_f32_dpp v34, v34, v34 row_ror:8
	;;#ASMEND
	ds_bpermute_b32 v34, v43, v34
	s_waitcnt lgkmcnt(0)
	;;#ASMSTART
	v_nop
 v_nop
 v_max_f32_dpp v34, v34, v34 row_ror:4
	;;#ASMEND
	s_nop 0
	;;#ASMSTART
	v_nop
 v_nop
 v_max_f32_dpp v41, v34, v34 row_ror:8
	;;#ASMEND
	s_nop 0
	v_sub_f32_e32 v34, v36, v41
	v_sub_f32_e32 v35, v37, v41
	v_mul_f32_e32 v34, 0x3fb8aa3b, v34
	v_sub_f32_e32 v36, v44, v41
	v_mul_f32_e32 v35, 0x3fb8aa3b, v35
	v_exp_f32_e32 v34, v34
	v_sub_f32_e32 v37, v45, v41
	v_mul_f32_e32 v36, 0x3fb8aa3b, v36
	v_exp_f32_e32 v35, v35
	v_mul_f32_e32 v37, 0x3fb8aa3b, v37
	v_exp_f32_e32 v36, v36
	v_exp_f32_e32 v37, v37
	v_cndmask_b32_e32 v34, 0, v34, vcc
	v_cndmask_b32_e64 v35, 0, v35, s[0:1]
	v_add_f32_e32 v39, 0, v34
	v_cndmask_b32_e64 v36, 0, v36, s[8:9]
	v_add_f32_e32 v39, v39, v35
	;; [unrolled: 2-line block ×3, first 2 shown]
	v_add_f32_e32 v39, v39, v37
	;;#ASMSTART
	v_nop
 v_nop
 v_add_f32_dpp v39, v39, v39 row_ror:4
	;;#ASMEND
	v_cmp_gt_u32_e32 vcc, 4, v40
	;;#ASMSTART
	v_nop
 v_nop
 v_add_f32_dpp v39, v39, v39 row_ror:8
	;;#ASMEND
	ds_bpermute_b32 v39, v43, v39
	s_waitcnt lgkmcnt(0)
	;;#ASMSTART
	v_nop
 v_nop
 v_add_f32_dpp v39, v39, v39 row_ror:4
	;;#ASMEND
	s_nop 0
	;;#ASMSTART
	v_nop
 v_nop
 v_add_f32_dpp v39, v39, v39 row_ror:8
	;;#ASMEND
	s_and_saveexec_b64 s[0:1], vcc
	s_cbranch_execz .LBB94_16
; %bb.15:
	v_mul_u32_u24_e32 v42, 20, v1
	v_lshl_add_u32 v42, v38, 2, v42
	v_add_u32_e32 v42, 0x800, v42
	ds_write2_b32 v42, v41, v39 offset0:128 offset1:148
.LBB94_16:
	s_or_b64 exec, exec, s[0:1]
.LBB94_17:
	s_or_b64 exec, exec, s[26:27]
	s_waitcnt lgkmcnt(0)
	s_barrier
	s_load_dword s0, s[24:25], 0x8
	v_lshlrev_b32_e32 v39, 2, v38
	v_add_u32_e32 v39, 0x800, v39
	ds_read2_b32 v[44:45], v39 offset0:128 offset1:133
	ds_read2_b32 v[46:47], v39 offset0:138 offset1:143
	s_mul_i32 s1, s2, s5
	s_waitcnt lgkmcnt(0)
	s_mul_i32 s0, s1, s0
	s_mov_b32 s1, 0xff7fffff
	v_max3_f32 v42, v44, s1, v45
	v_max3_f32 v42, v42, v46, v47
	v_sub_f32_e32 v43, v44, v42
	v_sub_f32_e32 v44, v45, v42
	ds_read2_b32 v[48:49], v39 offset0:148 offset1:153
	v_mul_f32_e32 v43, 0x3fb8aa3b, v43
	v_mul_f32_e32 v44, 0x3fb8aa3b, v44
	v_exp_f32_e32 v43, v43
	v_exp_f32_e32 v50, v44
	ds_read2_b32 v[44:45], v39 offset0:158 offset1:163
	v_sub_f32_e32 v39, v46, v42
	v_mul_f32_e32 v39, 0x3fb8aa3b, v39
	v_sub_f32_e32 v46, v47, v42
	v_exp_f32_e32 v39, v39
	v_mul_f32_e32 v46, 0x3fb8aa3b, v46
	v_exp_f32_e32 v46, v46
	s_waitcnt lgkmcnt(1)
	v_fma_f32 v43, v43, v48, 0
	v_fmac_f32_e32 v43, v50, v49
	s_waitcnt lgkmcnt(0)
	v_fmac_f32_e32 v43, v39, v44
	s_mul_i32 s4, s4, 3
	s_mul_i32 s0, s0, 3
	v_fmac_f32_e32 v43, v46, v45
	v_cmp_ne_u32_e32 vcc, 3, v38
	s_and_saveexec_b64 s[2:3], vcc
	s_cbranch_execz .LBB94_19
; %bb.18:
	s_mov_b32 s1, 0
	s_lshl_b64 s[8:9], s[0:1], 2
	s_add_u32 s12, s12, s8
	s_mov_b32 s21, s1
	s_addc_u32 s13, s13, s9
	s_lshl_b64 s[10:11], s[20:21], 2
	s_add_u32 s12, s12, s10
	s_addc_u32 s13, s13, s11
	s_add_u32 s1, s14, s8
	s_addc_u32 s9, s15, s9
	v_add_u32_e32 v38, s4, v38
	s_add_u32 s8, s1, s10
	v_mul_lo_u32 v38, s5, v38
	v_mov_b32_e32 v39, 0
	s_addc_u32 s9, s9, s11
	v_lshlrev_b64 v[38:39], 2, v[38:39]
	v_lshl_add_u64 v[44:45], s[12:13], 0, v[38:39]
	v_lshl_add_u64 v[38:39], s[8:9], 0, v[38:39]
	global_store_dword v[38:39], v42, off
	global_store_dword v[44:45], v43, off
.LBB94_19:
	s_or_b64 exec, exec, s[2:3]
	v_mov_b32_e32 v38, 0
	v_mov_b32_e32 v39, 0
	s_and_saveexec_b64 s[2:3], s[6:7]
	s_cbranch_execz .LBB94_21
; %bb.20:
	v_add_f32_e32 v38, 0x358637bd, v43
	v_div_scale_f32 v39, s[6:7], v38, v38, 1.0
	v_rcp_f32_e32 v43, v39
	v_div_scale_f32 v44, vcc, 1.0, v38, 1.0
	v_sub_f32_e32 v41, v41, v42
	v_fma_f32 v45, -v39, v43, 1.0
	v_fmac_f32_e32 v43, v45, v43
	v_mul_f32_e32 v45, v44, v43
	v_fma_f32 v46, -v39, v45, v44
	v_mul_f32_e32 v41, 0x3fb8aa3b, v41
	v_fmac_f32_e32 v45, v46, v43
	v_exp_f32_e32 v41, v41
	v_fma_f32 v39, -v39, v45, v44
	v_div_fmas_f32 v39, v39, v43, v45
	v_div_fixup_f32 v38, v39, v38, 1.0
	v_mul_f32_e32 v38, v41, v38
	v_pk_mul_f32 v[36:37], v[36:37], v[38:39] op_sel_hi:[1,0]
	v_pk_mul_f32 v[34:35], v[34:35], v[38:39] op_sel_hi:[1,0]
	v_cvt_f16_f32_e32 v36, v36
	v_cvt_f16_f32_e32 v34, v34
	;; [unrolled: 1-line block ×4, first 2 shown]
	s_mov_b32 s1, 0x5040100
	v_pack_b32_f16 v34, v34, v35
	v_pack_b32_f16 v35, v36, v37
	s_waitcnt vmcnt(7)
	s_nop 0
	v_mfma_f32_4x4x4_16b_f16 a[0:3], v[34:35], v[2:3], 0 cbsz:4
	s_nop 1
	v_mfma_f32_4x4x4_16b_f16 a[0:3], v[34:35], v[4:5], a[0:3] cbsz:4 abid:1
	s_waitcnt vmcnt(6)
	s_nop 0
	v_mfma_f32_4x4x4_16b_f16 a[0:3], v[34:35], v[6:7], a[0:3] cbsz:4 abid:2
	s_nop 1
	v_mfma_f32_4x4x4_16b_f16 a[0:3], v[34:35], v[8:9], a[0:3] cbsz:4 abid:3
	s_waitcnt vmcnt(5)
	s_nop 0
	v_mfma_f32_4x4x4_16b_f16 a[0:3], v[34:35], v[10:11], a[0:3] cbsz:4 abid:4
	s_nop 1
	v_mfma_f32_4x4x4_16b_f16 a[0:3], v[34:35], v[12:13], a[0:3] cbsz:4 abid:5
	s_waitcnt vmcnt(4)
	s_nop 0
	v_mfma_f32_4x4x4_16b_f16 a[0:3], v[34:35], v[14:15], a[0:3] cbsz:4 abid:6
	s_nop 1
	v_mfma_f32_4x4x4_16b_f16 a[0:3], v[34:35], v[16:17], a[0:3] cbsz:4 abid:7
	s_waitcnt vmcnt(3)
	s_nop 0
	v_mfma_f32_4x4x4_16b_f16 a[0:3], v[34:35], v[18:19], a[0:3] cbsz:4 abid:8
	s_nop 1
	v_mfma_f32_4x4x4_16b_f16 a[0:3], v[34:35], v[20:21], a[0:3] cbsz:4 abid:9
	s_waitcnt vmcnt(2)
	s_nop 0
	v_mfma_f32_4x4x4_16b_f16 a[0:3], v[34:35], v[22:23], a[0:3] cbsz:4 abid:10
	s_nop 1
	v_mfma_f32_4x4x4_16b_f16 a[0:3], v[34:35], v[24:25], a[0:3] cbsz:4 abid:11
	s_waitcnt vmcnt(1)
	s_nop 0
	v_mfma_f32_4x4x4_16b_f16 a[0:3], v[34:35], v[26:27], a[0:3] cbsz:4 abid:12
	s_nop 1
	v_mfma_f32_4x4x4_16b_f16 a[0:3], v[34:35], v[28:29], a[0:3] cbsz:4 abid:13
	s_waitcnt vmcnt(0)
	s_nop 0
	v_mfma_f32_4x4x4_16b_f16 a[0:3], v[34:35], v[30:31], a[0:3] cbsz:4 abid:14
	s_nop 1
	v_mfma_f32_4x4x4_16b_f16 a[0:3], v[34:35], v[32:33], a[0:3] cbsz:4 abid:15
	s_nop 4
	v_accvgpr_read_b32 v2, a0
	v_accvgpr_read_b32 v3, a1
	;; [unrolled: 1-line block ×4, first 2 shown]
	v_cvt_f16_f32_e32 v2, v2
	v_cvt_f16_f32_e32 v3, v3
	;; [unrolled: 1-line block ×4, first 2 shown]
	v_perm_b32 v38, v3, v2, s1
	v_perm_b32 v39, v5, v4, s1
.LBB94_21:
	s_or_b64 exec, exec, s[2:3]
	v_lshlrev_b32_e32 v1, 3, v1
	v_mad_u32_u24 v1, v40, 40, v1
	v_cmp_gt_u32_e32 vcc, 64, v0
	ds_write_b64 v1, v[38:39]
	s_waitcnt lgkmcnt(0)
	s_barrier
	s_and_saveexec_b64 s[2:3], vcc
	s_cbranch_execz .LBB94_23
; %bb.22:
	v_mul_u32_u24_e32 v1, 40, v40
	s_waitcnt vmcnt(7)
	ds_read2_b64 v[2:5], v1 offset1:1
	s_waitcnt vmcnt(6)
	ds_read2_b64 v[6:9], v1 offset0:2 offset1:3
	s_mov_b32 s1, 0
	s_lshl_b32 s0, s0, 6
	s_lshl_b64 s[2:3], s[0:1], 1
	s_add_u32 s2, s22, s2
	s_addc_u32 s3, s23, s3
	s_lshl_b32 s0, s20, 6
	s_lshl_b64 s[0:1], s[0:1], 1
	s_waitcnt lgkmcnt(1)
	v_pk_add_f16 v1, v2, 0
	v_pk_add_f16 v2, v3, 0
	s_add_u32 s0, s2, s0
	v_pk_add_f16 v2, v2, v5
	s_addc_u32 s1, s3, s1
	s_lshl_b32 s2, s5, 6
	v_pk_add_f16 v1, v1, v4
	s_waitcnt lgkmcnt(0)
	v_pk_add_f16 v2, v2, v7
	s_mul_i32 s3, s2, s4
	v_pk_add_f16 v1, v1, v6
	v_pk_add_f16 v6, v2, v9
	v_or_b32_e32 v2, s3, v0
	v_mov_b32_e32 v3, 0
	s_add_i32 s3, s3, s2
	v_pk_add_f16 v1, v1, v8
	v_lshl_add_u64 v[4:5], v[2:3], 1, s[0:1]
	v_or_b32_e32 v2, s3, v0
	s_add_i32 s3, s3, s2
	global_store_short v[4:5], v1, off
	v_lshl_add_u64 v[4:5], v[2:3], 1, s[0:1]
	v_or_b32_e32 v2, s3, v0
	global_store_short_d16_hi v[4:5], v1, off
	v_lshl_add_u64 v[0:1], v[2:3], 1, s[0:1]
	global_store_short v[0:1], v6, off
.LBB94_23:
	s_endpgm
	.section	.rodata,"a",@progbits
	.p2align	6, 0x0
	.amdhsa_kernel _Z38paged_attention_ll4mi_QKV_mfma4_kernelIDF16_DF16_LN4vllm18Fp8KVCacheDataTypeE0EDF16_Li16ELi64ELi256ELb0ELi3EEvPKT_PKT0_S7_ifPKiS9_S9_iPKfiiiPfSC_PS2_PT2_iSB_SB_
		.amdhsa_group_segment_fixed_size 2720
		.amdhsa_private_segment_fixed_size 0
		.amdhsa_kernarg_size 400
		.amdhsa_user_sgpr_count 2
		.amdhsa_user_sgpr_dispatch_ptr 0
		.amdhsa_user_sgpr_queue_ptr 0
		.amdhsa_user_sgpr_kernarg_segment_ptr 1
		.amdhsa_user_sgpr_dispatch_id 0
		.amdhsa_user_sgpr_kernarg_preload_length 0
		.amdhsa_user_sgpr_kernarg_preload_offset 0
		.amdhsa_user_sgpr_private_segment_size 0
		.amdhsa_uses_dynamic_stack 0
		.amdhsa_enable_private_segment 0
		.amdhsa_system_sgpr_workgroup_id_x 1
		.amdhsa_system_sgpr_workgroup_id_y 1
		.amdhsa_system_sgpr_workgroup_id_z 1
		.amdhsa_system_sgpr_workgroup_info 0
		.amdhsa_system_vgpr_workitem_id 0
		.amdhsa_next_free_vgpr 68
		.amdhsa_next_free_sgpr 38
		.amdhsa_accum_offset 64
		.amdhsa_reserve_vcc 1
		.amdhsa_float_round_mode_32 0
		.amdhsa_float_round_mode_16_64 0
		.amdhsa_float_denorm_mode_32 3
		.amdhsa_float_denorm_mode_16_64 3
		.amdhsa_dx10_clamp 1
		.amdhsa_ieee_mode 1
		.amdhsa_fp16_overflow 0
		.amdhsa_tg_split 0
		.amdhsa_exception_fp_ieee_invalid_op 0
		.amdhsa_exception_fp_denorm_src 0
		.amdhsa_exception_fp_ieee_div_zero 0
		.amdhsa_exception_fp_ieee_overflow 0
		.amdhsa_exception_fp_ieee_underflow 0
		.amdhsa_exception_fp_ieee_inexact 0
		.amdhsa_exception_int_div_zero 0
	.end_amdhsa_kernel
	.section	.text._Z38paged_attention_ll4mi_QKV_mfma4_kernelIDF16_DF16_LN4vllm18Fp8KVCacheDataTypeE0EDF16_Li16ELi64ELi256ELb0ELi3EEvPKT_PKT0_S7_ifPKiS9_S9_iPKfiiiPfSC_PS2_PT2_iSB_SB_,"axG",@progbits,_Z38paged_attention_ll4mi_QKV_mfma4_kernelIDF16_DF16_LN4vllm18Fp8KVCacheDataTypeE0EDF16_Li16ELi64ELi256ELb0ELi3EEvPKT_PKT0_S7_ifPKiS9_S9_iPKfiiiPfSC_PS2_PT2_iSB_SB_,comdat
.Lfunc_end94:
	.size	_Z38paged_attention_ll4mi_QKV_mfma4_kernelIDF16_DF16_LN4vllm18Fp8KVCacheDataTypeE0EDF16_Li16ELi64ELi256ELb0ELi3EEvPKT_PKT0_S7_ifPKiS9_S9_iPKfiiiPfSC_PS2_PT2_iSB_SB_, .Lfunc_end94-_Z38paged_attention_ll4mi_QKV_mfma4_kernelIDF16_DF16_LN4vllm18Fp8KVCacheDataTypeE0EDF16_Li16ELi64ELi256ELb0ELi3EEvPKT_PKT0_S7_ifPKiS9_S9_iPKfiiiPfSC_PS2_PT2_iSB_SB_
                                        ; -- End function
	.section	.AMDGPU.csdata,"",@progbits
; Kernel info:
; codeLenInByte = 3172
; NumSgprs: 44
; NumVgprs: 61
; NumAgprs: 4
; TotalNumVgprs: 68
; ScratchSize: 0
; MemoryBound: 0
; FloatMode: 240
; IeeeMode: 1
; LDSByteSize: 2720 bytes/workgroup (compile time only)
; SGPRBlocks: 5
; VGPRBlocks: 8
; NumSGPRsForWavesPerEU: 44
; NumVGPRsForWavesPerEU: 68
; AccumOffset: 64
; Occupancy: 7
; WaveLimiterHint : 1
; COMPUTE_PGM_RSRC2:SCRATCH_EN: 0
; COMPUTE_PGM_RSRC2:USER_SGPR: 2
; COMPUTE_PGM_RSRC2:TRAP_HANDLER: 0
; COMPUTE_PGM_RSRC2:TGID_X_EN: 1
; COMPUTE_PGM_RSRC2:TGID_Y_EN: 1
; COMPUTE_PGM_RSRC2:TGID_Z_EN: 1
; COMPUTE_PGM_RSRC2:TIDIG_COMP_CNT: 0
; COMPUTE_PGM_RSRC3_GFX90A:ACCUM_OFFSET: 15
; COMPUTE_PGM_RSRC3_GFX90A:TG_SPLIT: 0
	.section	.text._Z38paged_attention_ll4mi_QKV_mfma4_kernelIDF16_DF16_LN4vllm18Fp8KVCacheDataTypeE0EDF16_Li16ELi64ELi256ELb0ELi4EEvPKT_PKT0_S7_ifPKiS9_S9_iPKfiiiPfSC_PS2_PT2_iSB_SB_,"axG",@progbits,_Z38paged_attention_ll4mi_QKV_mfma4_kernelIDF16_DF16_LN4vllm18Fp8KVCacheDataTypeE0EDF16_Li16ELi64ELi256ELb0ELi4EEvPKT_PKT0_S7_ifPKiS9_S9_iPKfiiiPfSC_PS2_PT2_iSB_SB_,comdat
	.protected	_Z38paged_attention_ll4mi_QKV_mfma4_kernelIDF16_DF16_LN4vllm18Fp8KVCacheDataTypeE0EDF16_Li16ELi64ELi256ELb0ELi4EEvPKT_PKT0_S7_ifPKiS9_S9_iPKfiiiPfSC_PS2_PT2_iSB_SB_ ; -- Begin function _Z38paged_attention_ll4mi_QKV_mfma4_kernelIDF16_DF16_LN4vllm18Fp8KVCacheDataTypeE0EDF16_Li16ELi64ELi256ELb0ELi4EEvPKT_PKT0_S7_ifPKiS9_S9_iPKfiiiPfSC_PS2_PT2_iSB_SB_
	.globl	_Z38paged_attention_ll4mi_QKV_mfma4_kernelIDF16_DF16_LN4vllm18Fp8KVCacheDataTypeE0EDF16_Li16ELi64ELi256ELb0ELi4EEvPKT_PKT0_S7_ifPKiS9_S9_iPKfiiiPfSC_PS2_PT2_iSB_SB_
	.p2align	8
	.type	_Z38paged_attention_ll4mi_QKV_mfma4_kernelIDF16_DF16_LN4vllm18Fp8KVCacheDataTypeE0EDF16_Li16ELi64ELi256ELb0ELi4EEvPKT_PKT0_S7_ifPKiS9_S9_iPKfiiiPfSC_PS2_PT2_iSB_SB_,@function
_Z38paged_attention_ll4mi_QKV_mfma4_kernelIDF16_DF16_LN4vllm18Fp8KVCacheDataTypeE0EDF16_Li16ELi64ELi256ELb0ELi4EEvPKT_PKT0_S7_ifPKiS9_S9_iPKfiiiPfSC_PS2_PT2_iSB_SB_: ; @_Z38paged_attention_ll4mi_QKV_mfma4_kernelIDF16_DF16_LN4vllm18Fp8KVCacheDataTypeE0EDF16_Li16ELi64ELi256ELb0ELi4EEvPKT_PKT0_S7_ifPKiS9_S9_iPKfiiiPfSC_PS2_PT2_iSB_SB_
; %bb.0:
	s_load_dwordx2 s[8:9], s[0:1], 0x30
	s_mov_b32 s20, s3
	s_mov_b64 s[6:7], 0
	s_waitcnt lgkmcnt(0)
	s_cmp_lg_u64 s[8:9], 0
	s_cselect_b64 s[10:11], -1, 0
	s_and_b64 vcc, exec, s[10:11]
	s_cbranch_vccz .LBB95_18
; %bb.1:
	s_add_i32 s12, s2, 1
	s_mov_b32 s13, 0
	s_lshl_b64 s[14:15], s[12:13], 2
	s_add_u32 s14, s8, s14
	s_mov_b32 s3, s13
	s_addc_u32 s15, s9, s15
	s_lshl_b64 s[12:13], s[2:3], 2
	s_add_u32 s12, s8, s12
	s_addc_u32 s13, s9, s13
	s_load_dword s5, s[14:15], 0x0
	s_load_dword s16, s[12:13], 0x0
	s_mov_b64 s[30:31], s[2:3]
	s_waitcnt lgkmcnt(0)
	s_sub_i32 s5, s5, s16
	s_cmp_eq_u32 s5, 1
	s_cselect_b64 s[12:13], -1, 0
	s_andn2_b64 vcc, exec, s[6:7]
	s_cbranch_vccnz .LBB95_3
.LBB95_2:
	s_mov_b32 s3, 0
	s_mov_b64 s[12:13], -1
	s_mov_b64 s[30:31], s[2:3]
.LBB95_3:
	s_andn2_b64 vcc, exec, s[12:13]
	s_cbranch_vccnz .LBB95_17
; %bb.4:
	s_load_dword s3, s[0:1], 0x9c
	s_load_dwordx2 s[6:7], s[0:1], 0x28
	s_add_u32 s24, s0, 0x90
	s_addc_u32 s25, s1, 0
	s_lshl_b64 s[34:35], s[30:31], 2
	s_waitcnt lgkmcnt(0)
	s_and_b32 s5, s3, 0xffff
	s_add_u32 s6, s6, s34
	s_addc_u32 s7, s7, s35
	s_load_dword s3, s[6:7], 0x0
	s_mul_i32 s16, s20, s5
	s_waitcnt lgkmcnt(0)
	s_cmp_ge_i32 s16, s3
	s_cbranch_scc1 .LBB95_17
; %bb.5:
	v_and_b32_e32 v2, 0xc0, v0
	v_add_u32_e32 v2, s16, v2
	v_lshrrev_b32_e32 v1, 6, v0
	v_cmp_gt_i32_e64 s[6:7], s3, v2
	v_cmp_le_i32_e32 vcc, s3, v2
                                        ; implicit-def: $sgpr18
                                        ; implicit-def: $sgpr17
	s_and_saveexec_b64 s[12:13], vcc
	s_xor_b64 s[12:13], exec, s[12:13]
	s_cbranch_execz .LBB95_7
; %bb.6:
	v_mul_u32_u24_e32 v2, 20, v1
	v_or_b32_e32 v2, 0xa00, v2
	v_mov_b32_e32 v3, 0xa50
	v_mov_b32_e32 v4, 0xff7fffff
	v_mad_u32_u24 v3, v1, 20, v3
	ds_write2_b32 v2, v4, v4 offset1:1
	v_mov_b32_e32 v2, 0
	ds_write2_b32 v3, v2, v2 offset1:1
	v_mov_b32_e32 v3, 0xa08
	s_mov_b32 s17, 0xff7fffff
	s_mov_b32 s18, 0
	v_mad_u32_u24 v3, v1, 20, v3
	v_mov_b32_e32 v5, 0xa58
	v_mad_u32_u24 v5, v1, 20, v5
	ds_write2_b32 v3, v4, v4 offset1:1
	ds_write2_b32 v5, v2, v2 offset1:1
                                        ; implicit-def: $vgpr2
.LBB95_7:
	s_or_saveexec_b64 s[26:27], s[12:13]
	s_load_dwordx2 s[22:23], s[0:1], 0x68
	s_load_dwordx4 s[12:15], s[0:1], 0x58
	s_load_dword s5, s[24:25], 0x4
	v_and_b32_e32 v40, 63, v0
	v_and_b32_e32 v38, 3, v0
	v_mov_b32_e32 v37, s18
	v_mov_b32_e32 v41, s17
	;; [unrolled: 1-line block ×5, first 2 shown]
                                        ; implicit-def: $vgpr3
                                        ; implicit-def: $vgpr7
                                        ; implicit-def: $vgpr11
                                        ; implicit-def: $vgpr15
                                        ; implicit-def: $vgpr19
                                        ; implicit-def: $vgpr23
                                        ; implicit-def: $vgpr27
                                        ; implicit-def: $vgpr31
	s_xor_b64 exec, exec, s[26:27]
	s_cbranch_execz .LBB95_13
; %bb.8:
	s_add_i32 s21, s3, 15
	s_load_dwordx2 s[18:19], s[0:1], 0x20
	s_load_dword s17, s[0:1], 0x38
	s_ashr_i32 s28, s21, 31
	s_lshr_b32 s28, s28, 28
	v_add_u32_e32 v34, s16, v0
	s_add_i32 s21, s21, s28
	v_ashrrev_i32_e32 v3, 31, v34
	s_ashr_i32 s21, s21, 4
	v_lshrrev_b32_e32 v3, 28, v3
	s_add_i32 s21, s21, -1
	v_add_u32_e32 v3, v34, v3
	s_waitcnt lgkmcnt(0)
	s_mul_i32 s36, s2, s17
	s_mov_b32 s37, 0
	v_ashrrev_i32_e32 v3, 4, v3
	v_mov_b32_e32 v4, s21
	v_cmp_gt_i32_e32 vcc, s3, v34
	s_lshl_b64 s[28:29], s[36:37], 2
	s_add_u32 s18, s18, s28
	v_cndmask_b32_e32 v4, v4, v3, vcc
	v_ashrrev_i32_e32 v3, 31, v2
	v_lshrrev_b32_e32 v3, 28, v3
	s_addc_u32 s19, s19, s29
	v_ashrrev_i32_e32 v5, 31, v4
	v_add_u32_e32 v2, v2, v3
	v_lshl_add_u64 v[8:9], v[4:5], 2, s[18:19]
	v_ashrrev_i32_e32 v4, 4, v2
	v_min_i32_e32 v2, s21, v4
	v_ashrrev_i32_e32 v3, 31, v2
	v_lshl_add_u64 v[10:11], v[2:3], 2, s[18:19]
	v_add_u32_e32 v2, 1, v4
	v_min_i32_e32 v2, s21, v2
	v_ashrrev_i32_e32 v3, 31, v2
	v_lshl_add_u64 v[12:13], v[2:3], 2, s[18:19]
	v_add_u32_e32 v2, 2, v4
	;; [unrolled: 4-line block ×3, first 2 shown]
	v_min_i32_e32 v2, s21, v2
	v_ashrrev_i32_e32 v3, 31, v2
	v_lshl_add_u64 v[16:17], v[2:3], 2, s[18:19]
	global_load_dword v6, v[8:9], off
	global_load_dword v5, v[10:11], off
	;; [unrolled: 1-line block ×5, first 2 shown]
	s_load_dwordx4 s[16:19], s[0:1], 0x0
	s_load_dwordx2 s[28:29], s[0:1], 0x10
	s_andn2_b64 vcc, exec, s[10:11]
	s_cbranch_vccnz .LBB95_10
; %bb.9:
	s_add_u32 s8, s8, s34
	s_addc_u32 s9, s9, s35
	s_load_dword s36, s[8:9], 0x0
	s_waitcnt lgkmcnt(0)
	s_mov_b64 s[30:31], s[36:37]
.LBB95_10:
	s_load_dwordx4 s[8:11], s[0:1], 0x48
	v_lshrrev_b32_e32 v7, 2, v40
	v_lshlrev_b32_e32 v8, 3, v38
	v_add_lshl_u32 v7, v8, v7, 4
	v_and_b32_e32 v8, 15, v0
	s_waitcnt lgkmcnt(0)
	s_ashr_i32 s11, s8, 31
	s_mul_hi_u32 s21, s30, s8
	s_mul_i32 s31, s31, s8
	s_mul_i32 s34, s30, s8
	;; [unrolled: 1-line block ×3, first 2 shown]
	s_add_i32 s8, s21, s8
	s_add_i32 s35, s8, s31
	s_lshl_b64 s[30:31], s[34:35], 1
	s_add_u32 s8, s16, s30
	s_addc_u32 s11, s17, s31
	s_lshl_b32 s36, s4, 8
	s_lshl_b64 s[16:17], s[36:37], 1
	s_add_u32 s16, s8, s16
	s_addc_u32 s17, s11, s17
	global_load_dwordx4 v[42:45], v7, s[16:17]
	s_mul_i32 s36, s4, s10
	s_waitcnt vmcnt(5)
	v_mad_i64_i32 v[6:7], s[16:17], v6, s9, 0
	s_lshl_b64 s[10:11], s[36:37], 1
	s_add_u32 s16, s10, s18
	s_addc_u32 s17, s11, s19
	v_lshl_add_u64 v[6:7], v[6:7], 1, s[16:17]
	v_lshlrev_b32_e32 v30, 4, v8
	v_mov_b32_e32 v31, 0
	v_lshl_add_u64 v[32:33], v[6:7], 0, v[30:31]
	global_load_dwordx4 v[6:9], v[32:33], off
	global_load_dwordx4 v[10:13], v[32:33], off offset:256
	global_load_dwordx4 v[14:17], v[32:33], off offset:512
	;; [unrolled: 1-line block ×7, first 2 shown]
	s_waitcnt vmcnt(12)
	v_mul_hi_i32 v30, v5, s9
	s_add_u32 s10, s28, s10
	s_waitcnt vmcnt(11)
	v_mul_hi_i32 v32, v4, s9
	s_waitcnt vmcnt(10)
	v_mul_hi_i32 v33, v3, s9
	v_ashrrev_i32_e32 v36, 31, v30
	s_addc_u32 s11, s29, s11
	v_lshlrev_b32_e32 v30, 5, v40
	v_ashrrev_i32_e32 v54, 31, v32
	v_ashrrev_i32_e32 v55, 31, v33
	v_lshl_add_u64 v[32:33], s[10:11], 0, v[30:31]
	v_lshrrev_b32_e32 v30, 29, v36
	s_waitcnt vmcnt(9)
	v_mul_hi_i32 v35, v2, s9
	v_mad_i64_i32 v[36:37], s[10:11], v5, s9, v[30:31]
	v_lshrrev_b32_e32 v30, 29, v54
	v_ashrrev_i32_e32 v35, 31, v35
	v_lshlrev_b64 v[36:37], 1, v[36:37]
	v_mad_i64_i32 v[4:5], s[10:11], v4, s9, v[30:31]
	v_lshrrev_b32_e32 v30, 29, v55
	v_and_b32_e32 v36, -16, v36
	v_lshlrev_b64 v[54:55], 1, v[4:5]
	v_mad_i64_i32 v[4:5], s[10:11], v3, s9, v[30:31]
	v_lshrrev_b32_e32 v30, 29, v35
	v_lshl_add_u64 v[36:37], v[32:33], 0, v[36:37]
	v_and_b32_e32 v54, -16, v54
	v_lshlrev_b64 v[56:57], 1, v[4:5]
	v_and_b32_e32 v56, -16, v56
	s_load_dword s0, s[0:1], 0x1c
	v_and_b32_e32 v60, -4, v34
	v_cmp_eq_u32_e32 vcc, 0, v38
	v_lshlrev_b32_e32 v61, 2, v0
	s_waitcnt vmcnt(7)
	v_mfma_f32_4x4x4_16b_f16 a[0:3], v[42:43], v[6:7], 0 cbsz:4
	v_cndmask_b32_e64 v39, 0, 1.0, vcc
	s_nop 0
	v_mfma_f32_4x4x4_16b_f16 a[0:3], v[44:45], v[8:9], a[0:3] cbsz:4
	v_cmp_eq_u32_e32 vcc, 1, v38
	s_waitcnt vmcnt(6)
	v_mfma_f32_4x4x4_16b_f16 a[0:3], v[42:43], v[10:11], a[0:3] cbsz:4 abid:1
	v_mad_i64_i32 v[10:11], s[8:9], v2, s9, v[30:31]
	s_nop 0
	v_mfma_f32_4x4x4_16b_f16 a[0:3], v[44:45], v[12:13], a[0:3] cbsz:4 abid:1
	global_load_dwordx4 v[2:5], v[36:37], off
	global_load_dwordx4 v[6:9], v[36:37], off offset:16
	s_waitcnt vmcnt(7)
	v_mfma_f32_4x4x4_16b_f16 a[0:3], v[42:43], v[14:15], a[0:3] cbsz:4 abid:2
	v_lshlrev_b64 v[36:37], 1, v[10:11]
	v_lshl_add_u64 v[30:31], v[32:33], 0, v[54:55]
	v_mfma_f32_4x4x4_16b_f16 a[0:3], v[44:45], v[16:17], a[0:3] cbsz:4 abid:2
	v_and_b32_e32 v36, -16, v36
	global_load_dwordx4 v[10:13], v[30:31], off
	global_load_dwordx4 v[14:17], v[30:31], off offset:16
	s_waitcnt vmcnt(8)
	v_mfma_f32_4x4x4_16b_f16 a[0:3], v[42:43], v[18:19], a[0:3] cbsz:4 abid:3
	v_lshl_add_u64 v[30:31], v[32:33], 0, v[56:57]
	v_lshl_add_u64 v[36:37], v[32:33], 0, v[36:37]
	v_mfma_f32_4x4x4_16b_f16 a[0:3], v[44:45], v[20:21], a[0:3] cbsz:4 abid:3
	v_cndmask_b32_e64 v41, 0, 1.0, vcc
	v_cmp_eq_u32_e32 vcc, 2, v38
	s_waitcnt vmcnt(7)
	v_mfma_f32_4x4x4_16b_f16 a[0:3], v[42:43], v[22:23], a[0:3] cbsz:4 abid:4
	v_cndmask_b32_e64 v58, 0, 1.0, vcc
	s_nop 0
	v_mfma_f32_4x4x4_16b_f16 a[0:3], v[44:45], v[24:25], a[0:3] cbsz:4 abid:4
	global_load_dwordx4 v[18:21], v[30:31], off
	global_load_dwordx4 v[22:25], v[30:31], off offset:16
	s_waitcnt vmcnt(8)
	v_mfma_f32_4x4x4_16b_f16 a[0:3], v[42:43], v[26:27], a[0:3] cbsz:4 abid:5
	v_cmp_eq_u32_e32 vcc, 3, v38
	s_nop 0
	v_mfma_f32_4x4x4_16b_f16 a[0:3], v[44:45], v[28:29], a[0:3] cbsz:4 abid:5
	global_load_dwordx4 v[26:29], v[36:37], off
	global_load_dwordx4 v[30:33], v[36:37], off offset:16
	s_waitcnt vmcnt(9)
	v_mfma_f32_4x4x4_16b_f16 a[0:3], v[42:43], v[46:47], a[0:3] cbsz:4 abid:6
	v_cndmask_b32_e64 v59, 0, 1.0, vcc
	v_mov_b32_e32 v46, 0xff7fffff
	v_mfma_f32_4x4x4_16b_f16 a[0:3], v[44:45], v[48:49], a[0:3] cbsz:4 abid:6
	v_cmp_gt_i32_e32 vcc, s3, v60
	s_waitcnt vmcnt(8)
	v_mfma_f32_4x4x4_16b_f16 a[0:3], v[42:43], v[50:51], a[0:3] cbsz:4 abid:7
	v_or_b32_e32 v42, 3, v34
	v_and_or_b32 v43, v61, 48, v38
	v_mfma_f32_4x4x4_16b_f16 a[0:3], v[44:45], v[52:53], a[0:3] cbsz:4 abid:7
	v_cmp_gt_i32_e64 s[10:11], s3, v42
	s_nop 3
	v_accvgpr_read_b32 v35, a1
	v_accvgpr_read_b32 v34, a0
	s_waitcnt lgkmcnt(0)
	v_pk_mul_f32 v[34:35], s[0:1], v[34:35] op_sel_hi:[0,1]
	v_accvgpr_read_b32 v37, a3
	v_accvgpr_read_b32 v36, a2
	v_pk_mul_f32 v[36:37], s[0:1], v[36:37] op_sel_hi:[0,1]
	v_mfma_f32_4x4x1_16b_f32 a[0:3], v34, v39, 0
	v_or_b32_e32 v34, 1, v60
	s_nop 0
	v_mfma_f32_4x4x1_16b_f32 a[0:3], v35, v41, a[0:3]
	v_lshlrev_b32_e32 v39, 2, v43
	v_cmp_gt_i32_e64 s[0:1], s3, v34
	v_mfma_f32_4x4x1_16b_f32 a[0:3], v36, v58, a[0:3]
	v_or_b32_e32 v35, 2, v60
	v_cmp_gt_i32_e64 s[8:9], s3, v35
	v_mfma_f32_4x4x1_16b_f32 a[0:3], v37, v59, a[0:3]
	s_nop 3
	v_accvgpr_read_b32 v36, a0
	v_max_f32_e32 v41, v36, v36
	v_accvgpr_read_b32 v37, a1
	v_max_f32_e32 v41, 0xff7fffff, v41
	v_max_f32_e32 v45, v37, v37
	v_cndmask_b32_e32 v41, v46, v41, vcc
	v_accvgpr_read_b32 v43, a2
	v_max_f32_e32 v45, v41, v45
	v_max_f32_e32 v47, v43, v43
	v_cndmask_b32_e64 v34, v41, v45, s[0:1]
	v_accvgpr_read_b32 v44, a3
	v_max_f32_e32 v41, v34, v47
	v_max_f32_e32 v48, v44, v44
	v_cndmask_b32_e64 v34, v34, v41, s[8:9]
	v_max_f32_e32 v35, v34, v48
	v_cndmask_b32_e64 v34, v34, v35, s[10:11]
	;;#ASMSTART
	v_nop
 v_nop
 v_max_f32_dpp v34, v34, v34 row_ror:4
	;;#ASMEND
	s_nop 0
	;;#ASMSTART
	v_nop
 v_nop
 v_max_f32_dpp v34, v34, v34 row_ror:8
	;;#ASMEND
	ds_bpermute_b32 v34, v39, v34
	s_waitcnt lgkmcnt(0)
	;;#ASMSTART
	v_nop
 v_nop
 v_max_f32_dpp v34, v34, v34 row_ror:4
	;;#ASMEND
	s_nop 0
	;;#ASMSTART
	v_nop
 v_nop
 v_max_f32_dpp v41, v34, v34 row_ror:8
	;;#ASMEND
	s_nop 0
	v_sub_f32_e32 v34, v36, v41
	v_sub_f32_e32 v35, v37, v41
	v_mul_f32_e32 v34, 0x3fb8aa3b, v34
	v_sub_f32_e32 v36, v43, v41
	v_mul_f32_e32 v35, 0x3fb8aa3b, v35
	v_exp_f32_e32 v34, v34
	v_sub_f32_e32 v37, v44, v41
	v_mul_f32_e32 v36, 0x3fb8aa3b, v36
	v_exp_f32_e32 v35, v35
	v_mul_f32_e32 v37, 0x3fb8aa3b, v37
	v_exp_f32_e32 v36, v36
	v_exp_f32_e32 v37, v37
	v_cndmask_b32_e32 v34, 0, v34, vcc
	v_cndmask_b32_e64 v35, 0, v35, s[0:1]
	v_add_f32_e32 v42, 0, v34
	v_cndmask_b32_e64 v36, 0, v36, s[8:9]
	v_add_f32_e32 v42, v42, v35
	;; [unrolled: 2-line block ×3, first 2 shown]
	v_add_f32_e32 v42, v42, v37
	;;#ASMSTART
	v_nop
 v_nop
 v_add_f32_dpp v42, v42, v42 row_ror:4
	;;#ASMEND
	v_cmp_gt_u32_e32 vcc, 4, v40
	;;#ASMSTART
	v_nop
 v_nop
 v_add_f32_dpp v42, v42, v42 row_ror:8
	;;#ASMEND
	ds_bpermute_b32 v39, v39, v42
	s_waitcnt lgkmcnt(0)
	;;#ASMSTART
	v_nop
 v_nop
 v_add_f32_dpp v39, v39, v39 row_ror:4
	;;#ASMEND
	s_nop 0
	;;#ASMSTART
	v_nop
 v_nop
 v_add_f32_dpp v39, v39, v39 row_ror:8
	;;#ASMEND
	s_and_saveexec_b64 s[0:1], vcc
	s_cbranch_execz .LBB95_12
; %bb.11:
	v_mul_u32_u24_e32 v42, 20, v1
	v_lshl_add_u32 v42, v38, 2, v42
	v_add_u32_e32 v42, 0x800, v42
	ds_write2_b32 v42, v41, v39 offset0:128 offset1:148
.LBB95_12:
	s_or_b64 exec, exec, s[0:1]
.LBB95_13:
	s_or_b64 exec, exec, s[26:27]
	v_lshlrev_b32_e32 v39, 2, v38
	v_add_u32_e32 v39, 0x800, v39
	s_waitcnt lgkmcnt(0)
	s_barrier
	s_load_dword s0, s[24:25], 0x8
	ds_read2_b32 v[44:45], v39 offset0:128 offset1:133
	ds_read2_b32 v[46:47], v39 offset0:138 offset1:143
	s_mov_b32 s8, 0xff7fffff
	s_mul_i32 s1, s2, s5
	s_lshl_b32 s4, s4, 2
	s_waitcnt lgkmcnt(0)
	v_max3_f32 v42, v44, s8, v45
	s_mul_i32 s1, s1, s0
	v_max3_f32 v42, v42, v46, v47
	s_lshl_b32 s0, s1, 2
	s_mov_b32 s1, 0
	v_sub_f32_e32 v43, v44, v42
	v_sub_f32_e32 v44, v45, v42
	s_lshl_b64 s[2:3], s[0:1], 2
	ds_read2_b32 v[48:49], v39 offset0:148 offset1:153
	v_mul_f32_e32 v43, 0x3fb8aa3b, v43
	v_mul_f32_e32 v44, 0x3fb8aa3b, v44
	s_mov_b32 s21, s1
	s_add_u32 s1, s12, s2
	v_exp_f32_e32 v43, v43
	v_exp_f32_e32 v50, v44
	ds_read2_b32 v[44:45], v39 offset0:158 offset1:163
	v_sub_f32_e32 v39, v46, v42
	s_addc_u32 s10, s13, s3
	v_mul_f32_e32 v39, 0x3fb8aa3b, v39
	v_sub_f32_e32 v46, v47, v42
	s_add_u32 s8, s14, s2
	v_exp_f32_e32 v39, v39
	v_mul_f32_e32 v46, 0x3fb8aa3b, v46
	s_addc_u32 s9, s15, s3
	s_lshl_b64 s[2:3], s[20:21], 2
	v_exp_f32_e32 v46, v46
	s_add_u32 s8, s8, s2
	s_waitcnt lgkmcnt(1)
	v_fma_f32 v43, v43, v48, 0
	s_addc_u32 s9, s9, s3
	v_fmac_f32_e32 v43, v50, v49
	v_or_b32_e32 v38, s4, v38
	s_waitcnt lgkmcnt(0)
	v_fmac_f32_e32 v43, v39, v44
	s_add_u32 s2, s1, s2
	v_mul_lo_u32 v38, s5, v38
	v_mov_b32_e32 v39, 0
	v_fmac_f32_e32 v43, v46, v45
	s_addc_u32 s3, s10, s3
	v_lshlrev_b64 v[44:45], 2, v[38:39]
	v_lshl_add_u64 v[46:47], s[8:9], 0, v[44:45]
	v_lshl_add_u64 v[44:45], s[2:3], 0, v[44:45]
	v_mov_b32_e32 v38, v39
	global_store_dword v[46:47], v42, off
	global_store_dword v[44:45], v43, off
	s_and_saveexec_b64 s[2:3], s[6:7]
	s_cbranch_execz .LBB95_15
; %bb.14:
	v_add_f32_e32 v38, 0x358637bd, v43
	v_div_scale_f32 v39, s[6:7], v38, v38, 1.0
	v_rcp_f32_e32 v43, v39
	v_div_scale_f32 v44, vcc, 1.0, v38, 1.0
	v_sub_f32_e32 v41, v41, v42
	v_fma_f32 v45, -v39, v43, 1.0
	v_fmac_f32_e32 v43, v45, v43
	v_mul_f32_e32 v45, v44, v43
	v_fma_f32 v46, -v39, v45, v44
	v_mul_f32_e32 v41, 0x3fb8aa3b, v41
	v_fmac_f32_e32 v45, v46, v43
	v_exp_f32_e32 v41, v41
	v_fma_f32 v39, -v39, v45, v44
	v_div_fmas_f32 v39, v39, v43, v45
	v_div_fixup_f32 v38, v39, v38, 1.0
	v_mul_f32_e32 v38, v41, v38
	v_pk_mul_f32 v[36:37], v[36:37], v[38:39] op_sel_hi:[1,0]
	v_pk_mul_f32 v[34:35], v[34:35], v[38:39] op_sel_hi:[1,0]
	v_cvt_f16_f32_e32 v36, v36
	v_cvt_f16_f32_e32 v34, v34
	;; [unrolled: 1-line block ×4, first 2 shown]
	s_mov_b32 s1, 0x5040100
	v_pack_b32_f16 v34, v34, v35
	v_pack_b32_f16 v35, v36, v37
	s_waitcnt vmcnt(9)
	s_nop 0
	v_mfma_f32_4x4x4_16b_f16 a[0:3], v[34:35], v[2:3], 0 cbsz:4
	s_nop 1
	v_mfma_f32_4x4x4_16b_f16 a[0:3], v[34:35], v[4:5], a[0:3] cbsz:4 abid:1
	s_waitcnt vmcnt(8)
	s_nop 0
	v_mfma_f32_4x4x4_16b_f16 a[0:3], v[34:35], v[6:7], a[0:3] cbsz:4 abid:2
	s_nop 1
	v_mfma_f32_4x4x4_16b_f16 a[0:3], v[34:35], v[8:9], a[0:3] cbsz:4 abid:3
	s_waitcnt vmcnt(7)
	s_nop 0
	v_mfma_f32_4x4x4_16b_f16 a[0:3], v[34:35], v[10:11], a[0:3] cbsz:4 abid:4
	;; [unrolled: 5-line block ×7, first 2 shown]
	s_nop 1
	v_mfma_f32_4x4x4_16b_f16 a[0:3], v[34:35], v[32:33], a[0:3] cbsz:4 abid:15
	s_nop 4
	v_accvgpr_read_b32 v2, a0
	v_accvgpr_read_b32 v3, a1
	;; [unrolled: 1-line block ×4, first 2 shown]
	v_cvt_f16_f32_e32 v2, v2
	v_cvt_f16_f32_e32 v3, v3
	;; [unrolled: 1-line block ×4, first 2 shown]
	v_perm_b32 v38, v3, v2, s1
	v_perm_b32 v39, v5, v4, s1
.LBB95_15:
	s_or_b64 exec, exec, s[2:3]
	v_lshlrev_b32_e32 v1, 3, v1
	v_mad_u32_u24 v1, v40, 40, v1
	v_cmp_gt_u32_e32 vcc, 64, v0
	ds_write_b64 v1, v[38:39]
	s_waitcnt lgkmcnt(0)
	s_barrier
	s_and_saveexec_b64 s[2:3], vcc
	s_cbranch_execz .LBB95_17
; %bb.16:
	v_mul_u32_u24_e32 v1, 40, v40
	s_waitcnt vmcnt(9)
	ds_read2_b64 v[2:5], v1 offset1:1
	s_waitcnt vmcnt(8)
	ds_read2_b64 v[6:9], v1 offset0:2 offset1:3
	s_mov_b32 s1, 0
	s_lshl_b32 s0, s0, 6
	s_lshl_b64 s[2:3], s[0:1], 1
	s_add_u32 s2, s22, s2
	s_addc_u32 s3, s23, s3
	s_lshl_b32 s0, s20, 6
	s_lshl_b64 s[0:1], s[0:1], 1
	s_waitcnt lgkmcnt(1)
	v_pk_add_f16 v1, v2, 0
	v_pk_add_f16 v2, v3, 0
	s_add_u32 s0, s2, s0
	v_pk_add_f16 v2, v2, v5
	s_addc_u32 s1, s3, s1
	s_lshl_b32 s2, s5, 6
	v_pk_add_f16 v1, v1, v4
	s_waitcnt lgkmcnt(0)
	v_pk_add_f16 v2, v2, v7
	s_mul_i32 s3, s2, s4
	v_pk_add_f16 v1, v1, v6
	v_pk_add_f16 v6, v2, v9
	v_or_b32_e32 v2, s3, v0
	v_mov_b32_e32 v3, 0
	s_add_i32 s3, s3, s2
	v_pk_add_f16 v1, v1, v8
	v_lshl_add_u64 v[4:5], v[2:3], 1, s[0:1]
	v_or_b32_e32 v2, s3, v0
	s_add_i32 s3, s3, s2
	global_store_short v[4:5], v1, off
	v_lshl_add_u64 v[4:5], v[2:3], 1, s[0:1]
	v_or_b32_e32 v2, s3, v0
	s_add_i32 s3, s3, s2
	global_store_short_d16_hi v[4:5], v1, off
	v_lshl_add_u64 v[4:5], v[2:3], 1, s[0:1]
	v_or_b32_e32 v2, s3, v0
	v_lshl_add_u64 v[0:1], v[2:3], 1, s[0:1]
	global_store_short v[4:5], v6, off
	global_store_short_d16_hi v[0:1], v6, off
.LBB95_17:
	s_endpgm
.LBB95_18:
	s_mov_b64 s[12:13], 0
                                        ; implicit-def: $sgpr30_sgpr31
	s_branch .LBB95_2
	.section	.rodata,"a",@progbits
	.p2align	6, 0x0
	.amdhsa_kernel _Z38paged_attention_ll4mi_QKV_mfma4_kernelIDF16_DF16_LN4vllm18Fp8KVCacheDataTypeE0EDF16_Li16ELi64ELi256ELb0ELi4EEvPKT_PKT0_S7_ifPKiS9_S9_iPKfiiiPfSC_PS2_PT2_iSB_SB_
		.amdhsa_group_segment_fixed_size 2720
		.amdhsa_private_segment_fixed_size 0
		.amdhsa_kernarg_size 400
		.amdhsa_user_sgpr_count 2
		.amdhsa_user_sgpr_dispatch_ptr 0
		.amdhsa_user_sgpr_queue_ptr 0
		.amdhsa_user_sgpr_kernarg_segment_ptr 1
		.amdhsa_user_sgpr_dispatch_id 0
		.amdhsa_user_sgpr_kernarg_preload_length 0
		.amdhsa_user_sgpr_kernarg_preload_offset 0
		.amdhsa_user_sgpr_private_segment_size 0
		.amdhsa_uses_dynamic_stack 0
		.amdhsa_enable_private_segment 0
		.amdhsa_system_sgpr_workgroup_id_x 1
		.amdhsa_system_sgpr_workgroup_id_y 1
		.amdhsa_system_sgpr_workgroup_id_z 1
		.amdhsa_system_sgpr_workgroup_info 0
		.amdhsa_system_vgpr_workitem_id 0
		.amdhsa_next_free_vgpr 68
		.amdhsa_next_free_sgpr 38
		.amdhsa_accum_offset 64
		.amdhsa_reserve_vcc 1
		.amdhsa_float_round_mode_32 0
		.amdhsa_float_round_mode_16_64 0
		.amdhsa_float_denorm_mode_32 3
		.amdhsa_float_denorm_mode_16_64 3
		.amdhsa_dx10_clamp 1
		.amdhsa_ieee_mode 1
		.amdhsa_fp16_overflow 0
		.amdhsa_tg_split 0
		.amdhsa_exception_fp_ieee_invalid_op 0
		.amdhsa_exception_fp_denorm_src 0
		.amdhsa_exception_fp_ieee_div_zero 0
		.amdhsa_exception_fp_ieee_overflow 0
		.amdhsa_exception_fp_ieee_underflow 0
		.amdhsa_exception_fp_ieee_inexact 0
		.amdhsa_exception_int_div_zero 0
	.end_amdhsa_kernel
	.section	.text._Z38paged_attention_ll4mi_QKV_mfma4_kernelIDF16_DF16_LN4vllm18Fp8KVCacheDataTypeE0EDF16_Li16ELi64ELi256ELb0ELi4EEvPKT_PKT0_S7_ifPKiS9_S9_iPKfiiiPfSC_PS2_PT2_iSB_SB_,"axG",@progbits,_Z38paged_attention_ll4mi_QKV_mfma4_kernelIDF16_DF16_LN4vllm18Fp8KVCacheDataTypeE0EDF16_Li16ELi64ELi256ELb0ELi4EEvPKT_PKT0_S7_ifPKiS9_S9_iPKfiiiPfSC_PS2_PT2_iSB_SB_,comdat
.Lfunc_end95:
	.size	_Z38paged_attention_ll4mi_QKV_mfma4_kernelIDF16_DF16_LN4vllm18Fp8KVCacheDataTypeE0EDF16_Li16ELi64ELi256ELb0ELi4EEvPKT_PKT0_S7_ifPKiS9_S9_iPKfiiiPfSC_PS2_PT2_iSB_SB_, .Lfunc_end95-_Z38paged_attention_ll4mi_QKV_mfma4_kernelIDF16_DF16_LN4vllm18Fp8KVCacheDataTypeE0EDF16_Li16ELi64ELi256ELb0ELi4EEvPKT_PKT0_S7_ifPKiS9_S9_iPKfiiiPfSC_PS2_PT2_iSB_SB_
                                        ; -- End function
	.section	.AMDGPU.csdata,"",@progbits
; Kernel info:
; codeLenInByte = 3144
; NumSgprs: 44
; NumVgprs: 62
; NumAgprs: 4
; TotalNumVgprs: 68
; ScratchSize: 0
; MemoryBound: 0
; FloatMode: 240
; IeeeMode: 1
; LDSByteSize: 2720 bytes/workgroup (compile time only)
; SGPRBlocks: 5
; VGPRBlocks: 8
; NumSGPRsForWavesPerEU: 44
; NumVGPRsForWavesPerEU: 68
; AccumOffset: 64
; Occupancy: 7
; WaveLimiterHint : 1
; COMPUTE_PGM_RSRC2:SCRATCH_EN: 0
; COMPUTE_PGM_RSRC2:USER_SGPR: 2
; COMPUTE_PGM_RSRC2:TRAP_HANDLER: 0
; COMPUTE_PGM_RSRC2:TGID_X_EN: 1
; COMPUTE_PGM_RSRC2:TGID_Y_EN: 1
; COMPUTE_PGM_RSRC2:TGID_Z_EN: 1
; COMPUTE_PGM_RSRC2:TIDIG_COMP_CNT: 0
; COMPUTE_PGM_RSRC3_GFX90A:ACCUM_OFFSET: 15
; COMPUTE_PGM_RSRC3_GFX90A:TG_SPLIT: 0
	.section	.text._Z39paged_attention_ll4mi_QKV_mfma16_kernelIDF16_DF16_LN4vllm18Fp8KVCacheDataTypeE0EDF16_Li16ELi64ELi256ELb0ELi5EEvPKT_PKT0_S7_ifPKiS9_S9_iPKfiiiPfSC_PS2_PT2_iSB_SB_,"axG",@progbits,_Z39paged_attention_ll4mi_QKV_mfma16_kernelIDF16_DF16_LN4vllm18Fp8KVCacheDataTypeE0EDF16_Li16ELi64ELi256ELb0ELi5EEvPKT_PKT0_S7_ifPKiS9_S9_iPKfiiiPfSC_PS2_PT2_iSB_SB_,comdat
	.protected	_Z39paged_attention_ll4mi_QKV_mfma16_kernelIDF16_DF16_LN4vllm18Fp8KVCacheDataTypeE0EDF16_Li16ELi64ELi256ELb0ELi5EEvPKT_PKT0_S7_ifPKiS9_S9_iPKfiiiPfSC_PS2_PT2_iSB_SB_ ; -- Begin function _Z39paged_attention_ll4mi_QKV_mfma16_kernelIDF16_DF16_LN4vllm18Fp8KVCacheDataTypeE0EDF16_Li16ELi64ELi256ELb0ELi5EEvPKT_PKT0_S7_ifPKiS9_S9_iPKfiiiPfSC_PS2_PT2_iSB_SB_
	.globl	_Z39paged_attention_ll4mi_QKV_mfma16_kernelIDF16_DF16_LN4vllm18Fp8KVCacheDataTypeE0EDF16_Li16ELi64ELi256ELb0ELi5EEvPKT_PKT0_S7_ifPKiS9_S9_iPKfiiiPfSC_PS2_PT2_iSB_SB_
	.p2align	8
	.type	_Z39paged_attention_ll4mi_QKV_mfma16_kernelIDF16_DF16_LN4vllm18Fp8KVCacheDataTypeE0EDF16_Li16ELi64ELi256ELb0ELi5EEvPKT_PKT0_S7_ifPKiS9_S9_iPKfiiiPfSC_PS2_PT2_iSB_SB_,@function
_Z39paged_attention_ll4mi_QKV_mfma16_kernelIDF16_DF16_LN4vllm18Fp8KVCacheDataTypeE0EDF16_Li16ELi64ELi256ELb0ELi5EEvPKT_PKT0_S7_ifPKiS9_S9_iPKfiiiPfSC_PS2_PT2_iSB_SB_: ; @_Z39paged_attention_ll4mi_QKV_mfma16_kernelIDF16_DF16_LN4vllm18Fp8KVCacheDataTypeE0EDF16_Li16ELi64ELi256ELb0ELi5EEvPKT_PKT0_S7_ifPKiS9_S9_iPKfiiiPfSC_PS2_PT2_iSB_SB_
; %bb.0:
	s_load_dwordx2 s[12:13], s[0:1], 0x30
	s_mov_b32 s28, s3
	s_mov_b64 s[6:7], 0
	s_waitcnt lgkmcnt(0)
	s_cmp_lg_u64 s[12:13], 0
	s_cselect_b64 s[14:15], -1, 0
	s_and_b64 vcc, exec, s[14:15]
	s_cbranch_vccz .LBB96_7
; %bb.1:
	s_add_i32 s8, s2, 1
	s_mov_b32 s9, 0
	s_lshl_b64 s[10:11], s[8:9], 2
	s_add_u32 s10, s12, s10
	s_mov_b32 s3, s9
	s_addc_u32 s11, s13, s11
	s_lshl_b64 s[8:9], s[2:3], 2
	s_add_u32 s8, s12, s8
	s_addc_u32 s9, s13, s9
	s_load_dword s5, s[10:11], 0x0
	s_load_dword s16, s[8:9], 0x0
	s_waitcnt lgkmcnt(0)
	s_sub_i32 s5, s5, s16
	s_cmp_eq_u32 s5, 1
	s_cselect_b64 s[8:9], -1, 0
	s_andn2_b64 vcc, exec, s[6:7]
	s_cbranch_vccnz .LBB96_3
.LBB96_2:
	s_mov_b32 s3, 0
	s_mov_b64 s[8:9], -1
.LBB96_3:
	s_andn2_b64 vcc, exec, s[8:9]
	s_cbranch_vccnz .LBB96_18
; %bb.4:
	s_load_dwordx2 s[6:7], s[0:1], 0x28
	s_lshl_b64 s[16:17], s[2:3], 2
	s_waitcnt lgkmcnt(0)
	s_add_u32 s6, s6, s16
	s_addc_u32 s7, s7, s17
	s_load_dword s33, s[6:7], 0x0
	s_lshl_b32 s18, s28, 8
	s_waitcnt lgkmcnt(0)
	s_cmp_ge_i32 s18, s33
	s_cbranch_scc1 .LBB96_18
; %bb.5:
	s_load_dwordx2 s[6:7], s[0:1], 0x20
	s_load_dword s5, s[0:1], 0x38
	s_add_i32 s8, s33, 15
	s_ashr_i32 s9, s8, 31
	v_and_b32_e32 v1, 0xcf, v0
	s_lshr_b32 s9, s9, 28
	v_add_u32_e32 v1, s18, v1
	s_add_i32 s8, s8, s9
	v_ashrrev_i32_e32 v2, 31, v1
	s_ashr_i32 s19, s8, 4
	v_lshrrev_b32_e32 v10, 28, v2
	s_add_i32 s19, s19, -1
	s_waitcnt lgkmcnt(0)
	s_mul_i32 s8, s2, s5
	s_mov_b32 s9, 0
	v_add_u32_e32 v2, v1, v10
	s_lshl_b64 s[8:9], s[8:9], 2
	v_ashrrev_i32_e32 v2, 4, v2
	v_mov_b32_e32 v11, s19
	v_cmp_gt_i32_e32 vcc, s33, v1
	s_add_u32 s6, s6, s8
	s_addc_u32 s7, s7, s9
	v_cndmask_b32_e32 v2, v11, v2, vcc
	v_ashrrev_i32_e32 v3, 31, v2
	v_lshl_add_u64 v[4:5], v[2:3], 2, s[6:7]
	v_or_b32_e32 v2, 16, v1
	v_add_u32_e32 v3, v2, v10
	v_ashrrev_i32_e32 v3, 4, v3
	v_cmp_gt_i32_e32 vcc, s33, v2
	s_load_dwordx4 s[8:11], s[0:1], 0x8
	s_nop 0
	v_cndmask_b32_e32 v2, v11, v3, vcc
	v_ashrrev_i32_e32 v3, 31, v2
	v_lshl_add_u64 v[6:7], v[2:3], 2, s[6:7]
	v_or_b32_e32 v2, 32, v1
	v_add_u32_e32 v3, v2, v10
	v_ashrrev_i32_e32 v3, 4, v3
	v_cmp_gt_i32_e32 vcc, s33, v2
	v_or_b32_e32 v1, 48, v1
	s_nop 0
	v_cndmask_b32_e32 v2, v11, v3, vcc
	v_ashrrev_i32_e32 v3, 31, v2
	v_lshl_add_u64 v[8:9], v[2:3], 2, s[6:7]
	v_add_u32_e32 v2, v1, v10
	v_ashrrev_i32_e32 v2, 4, v2
	v_cmp_gt_i32_e32 vcc, s33, v1
	s_nop 1
	v_cndmask_b32_e32 v2, v11, v2, vcc
	v_ashrrev_i32_e32 v3, 31, v2
	v_lshl_add_u64 v[12:13], v[2:3], 2, s[6:7]
	global_load_dword v3, v[4:5], off
	global_load_dword v2, v[6:7], off
	;; [unrolled: 1-line block ×4, first 2 shown]
	s_andn2_b64 vcc, exec, s[14:15]
	s_cbranch_vccnz .LBB96_8
; %bb.6:
	s_add_u32 s12, s12, s16
	s_addc_u32 s13, s13, s17
	s_load_dword s5, s[12:13], 0x0
	s_branch .LBB96_9
.LBB96_7:
	s_mov_b64 s[8:9], 0
	s_branch .LBB96_2
.LBB96_8:
	s_mov_b32 s5, s2
.LBB96_9:
	s_load_dwordx4 s[44:47], s[0:1], 0x48
	v_lshrrev_b32_e32 v37, 6, v0
	v_bfe_u32 v54, v0, 4, 2
	v_lshl_or_b32 v1, v37, 2, v54
	v_and_b32_e32 v36, 15, v0
	v_lshlrev_b32_e32 v4, 3, v36
	v_cmp_gt_u32_e32 vcc, 5, v1
	v_cmp_gt_u32_e64 s[30:31], 8, v36
	v_and_b32_e32 v55, 63, v0
	s_mul_i32 s42, s4, 5
	s_and_b64 s[14:15], s[30:31], vcc
	v_lshlrev_b32_e32 v34, 1, v4
	s_and_saveexec_b64 s[12:13], s[14:15]
	s_cbranch_execz .LBB96_11
; %bb.10:
	s_load_dwordx2 s[14:15], s[0:1], 0x0
	s_waitcnt lgkmcnt(0)
	s_ashr_i32 s16, s44, 31
	s_mul_hi_u32 s17, s5, s44
	s_mul_i32 s16, s5, s16
	s_add_i32 s17, s17, s16
	s_mul_i32 s16, s5, s44
	s_lshl_b64 s[16:17], s[16:17], 1
	s_add_u32 s14, s14, s16
	v_add_lshl_u32 v4, v1, s42, 6
	s_addc_u32 s15, s15, s17
	v_ashrrev_i32_e32 v5, 31, v4
	v_lshl_add_u64 v[4:5], v[4:5], 1, s[14:15]
	v_mov_b32_e32 v35, 0
	v_lshl_add_u64 v[4:5], v[4:5], 0, v[34:35]
	global_load_dwordx4 v[4:7], v[4:5], off
	v_and_b32_e32 v8, 3, v0
	v_lshlrev_b32_e32 v9, 9, v36
	v_lshlrev_b32_e32 v1, 5, v1
	;; [unrolled: 1-line block ×3, first 2 shown]
	v_and_b32_e32 v9, 0x1800, v9
	v_or3_b32 v1, v9, v8, v1
	s_waitcnt vmcnt(0)
	ds_write_b128 v1, v[4:7]
.LBB96_11:
	s_or_b64 exec, exec, s[12:13]
	s_waitcnt lgkmcnt(0)
	s_mul_i32 s4, s4, s46
	s_mov_b32 s5, 0
	s_lshl_b64 s[4:5], s[4:5], 1
	s_add_u32 s8, s8, s4
	v_lshlrev_b32_e32 v1, 4, v0
	s_addc_u32 s9, s9, s5
	v_and_b32_e32 v30, 0xf0, v1
	v_mov_b32_e32 v31, 0
	v_lshl_add_u64 v[18:19], s[8:9], 0, v[30:31]
	s_waitcnt vmcnt(3)
	v_mad_i64_i32 v[4:5], s[8:9], v3, s45, 0
	v_lshl_add_u64 v[4:5], v[4:5], 1, v[18:19]
	v_and_b32_e32 v30, 0x300, v1
	s_waitcnt vmcnt(2)
	v_mad_i64_i32 v[2:3], s[8:9], v2, s45, 0
	v_lshl_add_u64 v[14:15], v[4:5], 0, v[30:31]
	v_lshl_add_u64 v[2:3], v[2:3], 1, v[18:19]
	s_load_dword s29, s[0:1], 0x98
	s_load_dword s12, s[0:1], 0x1c
	s_waitcnt lgkmcnt(0)
	s_barrier
	global_load_dwordx4 v[6:9], v[14:15], off
	global_load_dwordx4 v[26:29], v[14:15], off offset:1024
	v_lshl_add_u64 v[32:33], v[2:3], 0, v[30:31]
	global_load_dwordx4 v[2:5], v[32:33], off
	global_load_dwordx4 v[46:49], v[32:33], off offset:1024
	s_waitcnt vmcnt(5)
	v_mad_i64_i32 v[10:11], s[8:9], v10, s45, 0
	v_lshl_add_u64 v[10:11], v[10:11], 1, v[18:19]
	v_lshl_add_u64 v[38:39], v[10:11], 0, v[30:31]
	global_load_dwordx4 v[10:13], v[38:39], off
	global_load_dwordx4 v[56:59], v[38:39], off offset:1024
	s_waitcnt vmcnt(6)
	v_mad_i64_i32 v[16:17], s[8:9], v16, s45, 0
	v_lshl_add_u64 v[16:17], v[16:17], 1, v[18:19]
	v_lshl_add_u64 v[40:41], v[16:17], 0, v[30:31]
	global_load_dwordx4 v[18:21], v[40:41], off
	v_mul_lo_u16_e32 v16, 52, v36
	v_mov_b32_e32 v17, 5
	v_mul_lo_u16_sdwa v16, v16, v17 dst_sel:DWORD dst_unused:UNUSED_PAD src0_sel:BYTE_1 src1_sel:DWORD
	v_sub_u16_e32 v16, v36, v16
	v_lshlrev_b32_sdwa v16, v17, v16 dst_sel:DWORD dst_unused:UNUSED_PAD src0_sel:DWORD src1_sel:BYTE_0
	v_lshl_add_u32 v16, v54, 9, v16
	ds_read_b128 v[22:25], v16
	global_load_dwordx4 v[38:41], v[40:41], off offset:1024
	v_and_or_b32 v30, v0, 48, s18
	v_mov_b32_e32 v68, s19
	v_cmp_gt_i32_e32 vcc, s33, v30
	ds_read_b128 v[14:17], v16 offset:2048
	v_lshlrev_b32_e32 v35, 5, v36
	s_add_u32 s4, s10, s4
	s_addc_u32 s5, s11, s5
	s_mov_b32 s43, 0xff7fffff
	s_waitcnt vmcnt(7) lgkmcnt(1)
	v_mfma_f32_16x16x16_f16 v[42:45], v[6:7], v[22:23], 0
	v_ashrrev_i32_e32 v6, 4, v30
	v_or_b32_e32 v7, 64, v30
	s_waitcnt vmcnt(5)
	v_mfma_f32_16x16x16_f16 v[50:53], v[2:3], v[22:23], 0
	v_cndmask_b32_e32 v2, v68, v6, vcc
	v_ashrrev_i32_e32 v3, 31, v2
	v_ashrrev_i32_e32 v6, 4, v7
	v_cmp_gt_i32_e32 vcc, s33, v7
	v_lshl_add_u64 v[2:3], v[2:3], 2, s[6:7]
	s_waitcnt vmcnt(3)
	v_mfma_f32_16x16x16_f16 v[60:63], v[10:11], v[22:23], 0
	v_cndmask_b32_e32 v10, v68, v6, vcc
	v_ashrrev_i32_e32 v11, 31, v10
	v_lshl_add_u64 v[10:11], v[10:11], 2, s[6:7]
	v_mfma_f32_16x16x16_f16 v[6:9], v[8:9], v[24:25], v[42:45]
	s_nop 2
	global_load_dword v42, v[2:3], off
	global_load_dword v43, v[10:11], off
	s_waitcnt vmcnt(3)
	v_mfma_f32_16x16x16_f16 v[64:67], v[18:19], v[22:23], 0
	v_or_b32_e32 v22, 0x80, v30
	v_or_b32_e32 v23, 0xc0, v30
	v_ashrrev_i32_e32 v30, 4, v22
	v_cmp_gt_i32_e32 vcc, s33, v22
	v_ashrrev_i32_e32 v32, 4, v23
	v_mfma_f32_16x16x16_f16 v[2:5], v[4:5], v[24:25], v[50:53]
	v_cndmask_b32_e32 v22, v68, v30, vcc
	v_cmp_gt_i32_e32 vcc, s33, v23
	v_ashrrev_i32_e32 v23, 31, v22
	v_mfma_f32_16x16x16_f16 v[10:13], v[12:13], v[24:25], v[60:63]
	v_lshl_or_b32 v30, v37, 9, v35
	v_mfma_f32_16x16x16_f16 v[18:21], v[20:21], v[24:25], v[64:67]
	v_cndmask_b32_e32 v24, v68, v32, vcc
	v_ashrrev_i32_e32 v25, 31, v24
	v_lshl_add_u64 v[32:33], v[24:25], 2, s[6:7]
	s_waitcnt lgkmcnt(0)
	v_mfma_f32_16x16x16_f16 v[6:9], v[26:27], v[14:15], v[6:9]
	v_lshl_add_u64 v[26:27], v[22:23], 2, s[6:7]
	global_load_dword v60, v[26:27], off
	global_load_dword v61, v[32:33], off
	v_mfma_f32_16x16x16_f16 v[2:5], v[46:47], v[14:15], v[2:5]
	v_mfma_f32_16x16x16_f16 v[22:25], v[56:57], v[14:15], v[10:13]
	s_waitcnt vmcnt(4)
	v_mfma_f32_16x16x16_f16 v[18:21], v[38:39], v[14:15], v[18:21]
	s_nop 0
	v_lshl_add_u64 v[10:11], s[4:5], 0, v[30:31]
	s_waitcnt vmcnt(3)
	v_mad_i64_i32 v[26:27], s[4:5], v42, s45, 0
	v_mfma_f32_16x16x16_f16 v[12:15], v[28:29], v[16:17], v[6:9]
	v_lshl_add_u64 v[30:31], v[26:27], 1, v[10:11]
	s_waitcnt vmcnt(2)
	v_mad_i64_i32 v[32:33], s[4:5], v43, s45, 0
	v_mfma_f32_16x16x16_f16 v[26:29], v[48:49], v[16:17], v[2:5]
	v_lshl_add_u64 v[56:57], v[32:33], 1, v[10:11]
	s_nop 1
	v_pk_mul_f32 v[50:51], s[12:13], v[14:15] op_sel_hi:[0,1]
	v_pk_mul_f32 v[12:13], s[12:13], v[12:13] op_sel_hi:[0,1]
	v_mfma_f32_16x16x16_f16 v[22:25], v[58:59], v[16:17], v[22:25]
	global_load_dwordx4 v[6:9], v[30:31], off
	global_load_dwordx4 v[2:5], v[30:31], off offset:16
	v_pk_mul_f32 v[42:43], s[12:13], v[26:27] op_sel_hi:[0,1]
	v_pk_mul_f32 v[52:53], s[12:13], v[28:29] op_sel_hi:[0,1]
	v_mfma_f32_16x16x16_f16 v[14:17], v[40:41], v[16:17], v[18:21]
	s_nop 1
	v_pk_mul_f32 v[48:49], s[12:13], v[22:23] op_sel_hi:[0,1]
	v_pk_mul_f32 v[46:47], s[12:13], v[24:25] op_sel_hi:[0,1]
	global_load_dwordx4 v[30:33], v[56:57], off
	global_load_dwordx4 v[26:29], v[56:57], off offset:16
	s_nop 0
	v_pk_mul_f32 v[44:45], s[12:13], v[14:15] op_sel_hi:[0,1]
	v_and_b32_e32 v14, 0xc0, v0
	v_add_u32_e32 v14, s18, v14
	v_lshl_or_b32 v14, v54, 2, v14
	v_pk_mul_f32 v[38:39], s[12:13], v[16:17] op_sel_hi:[0,1]
	v_or_b32_e32 v17, 1, v14
	v_mov_b32_e32 v15, 0xff7fffff
	v_cmp_gt_i32_e64 s[4:5], s33, v14
	v_cmp_gt_i32_e64 s[34:35], s33, v17
	v_or_b32_e32 v18, 3, v14
	v_cndmask_b32_e64 v16, v15, v12, s[4:5]
	v_cndmask_b32_e64 v17, v15, v13, s[34:35]
	v_max3_f32 v16, v16, s43, v17
	v_or_b32_e32 v17, 2, v14
	v_cmp_gt_i32_e64 s[36:37], s33, v17
	v_cmp_gt_i32_e64 s[38:39], s33, v18
	s_nop 0
	v_cndmask_b32_e64 v17, v15, v50, s[36:37]
	v_cndmask_b32_e64 v18, v15, v51, s[38:39]
	v_max3_f32 v16, v16, v17, v18
	v_or_b32_e32 v17, 16, v14
	v_or_b32_e32 v18, 17, v14
	v_cmp_gt_i32_e64 s[24:25], s33, v17
	v_cmp_gt_i32_e64 s[26:27], s33, v18
	s_nop 0
	v_cndmask_b32_e64 v17, v15, v42, s[24:25]
	v_cndmask_b32_e64 v18, v15, v43, s[26:27]
	v_max3_f32 v16, v16, v17, v18
	v_or_b32_e32 v17, 18, v14
	;; [unrolled: 8-line block ×6, first 2 shown]
	v_or_b32_e32 v14, 51, v14
	v_cmp_gt_i32_e32 vcc, s33, v17
	v_cmp_gt_i32_e64 s[6:7], s33, v14
	s_nop 0
	v_cndmask_b32_e32 v17, v15, v38, vcc
	v_cndmask_b32_e64 v14, v15, v39, s[6:7]
	v_max3_f32 v16, v16, v17, v14
	v_mbcnt_lo_u32_b32 v14, -1, 0
	v_mbcnt_hi_u32_b32 v17, -1, v14
	v_and_b32_e32 v14, 64, v17
	v_add_u32_e32 v18, 64, v14
	v_xor_b32_e32 v14, 32, v17
	v_cmp_lt_i32_e64 s[40:41], v14, v18
	s_nop 1
	v_cndmask_b32_e64 v14, v17, v14, s[40:41]
	v_lshlrev_b32_e32 v58, 2, v14
	ds_bpermute_b32 v19, v58, v16
	s_waitcnt vmcnt(5)
	v_mad_i64_i32 v[14:15], s[40:41], v60, s45, 0
	v_lshl_add_u64 v[14:15], v[14:15], 1, v[10:11]
	s_waitcnt lgkmcnt(0)
	v_max_f32_e32 v19, v19, v19
	v_max_f32_e32 v16, v16, v19
	v_xor_b32_e32 v19, 16, v17
	v_cmp_lt_i32_e64 s[40:41], v19, v18
	s_nop 1
	v_cndmask_b32_e64 v17, v17, v19, s[40:41]
	v_lshlrev_b32_e32 v57, 2, v17
	ds_bpermute_b32 v17, v57, v16
	global_load_dwordx4 v[22:25], v[14:15], off
	global_load_dwordx4 v[18:21], v[14:15], off offset:16
	s_waitcnt vmcnt(6)
	v_mad_i64_i32 v[14:15], s[40:41], v61, s45, 0
	v_lshl_add_u64 v[10:11], v[14:15], 1, v[10:11]
	s_waitcnt lgkmcnt(0)
	v_max_f32_e32 v14, v17, v17
	v_max_f32_e32 v56, v16, v14
	v_sub_f32_e32 v12, v12, v56
	v_mul_f32_e32 v12, 0x3fb8aa3b, v12
	v_exp_f32_e32 v40, v12
	v_sub_f32_e32 v12, v13, v56
	v_mul_f32_e32 v12, 0x3fb8aa3b, v12
	v_exp_f32_e32 v41, v12
	global_load_dwordx4 v[14:17], v[10:11], off
	s_nop 0
	global_load_dwordx4 v[10:13], v[10:11], off offset:16
	v_sub_f32_e32 v50, v50, v56
	v_mul_f32_e32 v50, 0x3fb8aa3b, v50
	v_sub_f32_e32 v51, v51, v56
	v_exp_f32_e32 v50, v50
	v_mul_f32_e32 v51, 0x3fb8aa3b, v51
	v_sub_f32_e32 v42, v42, v56
	v_exp_f32_e32 v51, v51
	v_mul_f32_e32 v42, 0x3fb8aa3b, v42
	v_sub_f32_e32 v43, v43, v56
	v_cndmask_b32_e64 v40, 0, v40, s[4:5]
	v_exp_f32_e32 v42, v42
	v_mul_f32_e32 v43, 0x3fb8aa3b, v43
	v_sub_f32_e32 v52, v52, v56
	v_add_f32_e32 v59, 0, v40
	v_cndmask_b32_e64 v41, 0, v41, s[34:35]
	v_exp_f32_e32 v43, v43
	v_mul_f32_e32 v52, 0x3fb8aa3b, v52
	v_sub_f32_e32 v53, v53, v56
	v_add_f32_e32 v59, v59, v41
	;; [unrolled: 5-line block ×10, first 2 shown]
	v_cndmask_b32_e64 v46, 0, v46, s[12:13]
	v_exp_f32_e32 v38, v38
	v_mul_f32_e32 v39, 0x3fb8aa3b, v39
	v_add_f32_e32 v59, v59, v46
	v_cndmask_b32_e64 v47, 0, v47, s[14:15]
	v_exp_f32_e32 v39, v39
	v_add_f32_e32 v59, v59, v47
	v_cndmask_b32_e64 v44, 0, v44, s[8:9]
	v_add_f32_e32 v59, v59, v44
	v_cndmask_b32_e64 v45, 0, v45, s[10:11]
	v_add_f32_e32 v59, v59, v45
	v_cndmask_b32_e32 v38, 0, v38, vcc
	v_add_f32_e32 v59, v59, v38
	v_cndmask_b32_e64 v39, 0, v39, s[6:7]
	v_add_f32_e32 v59, v59, v39
	ds_bpermute_b32 v58, v58, v59
	v_cmp_gt_u32_e64 s[6:7], 16, v55
	s_waitcnt lgkmcnt(0)
	s_barrier
	v_add_f32_e32 v58, v59, v58
	ds_bpermute_b32 v59, v57, v58
	v_lshlrev_b32_e32 v57, 2, v36
	s_and_saveexec_b64 s[4:5], s[6:7]
	s_cbranch_execz .LBB96_13
; %bb.12:
	s_waitcnt lgkmcnt(0)
	v_add_f32_e32 v55, v58, v59
	v_lshl_or_b32 v58, v37, 6, v57
	ds_write2st64_b32 v58, v56, v55 offset1:1
.LBB96_13:
	s_or_b64 exec, exec, s[4:5]
	s_load_dword s8, s[0:1], 0x94
	s_waitcnt lgkmcnt(0)
	s_barrier
	ds_read2_b32 v[58:59], v57 offset1:16
	ds_read2_b32 v[60:61], v57 offset0:32 offset1:48
	ds_read2_b32 v[62:63], v57 offset0:64 offset1:80
	s_mul_i32 s9, s29, 5
	s_waitcnt lgkmcnt(2)
	v_max3_f32 v55, v58, s43, v59
	s_waitcnt lgkmcnt(1)
	v_max3_f32 v55, v55, v60, v61
	v_sub_f32_e32 v56, v58, v55
	v_mul_f32_e32 v56, 0x3fb8aa3b, v56
	v_exp_f32_e32 v64, v56
	v_sub_f32_e32 v56, v59, v55
	v_mul_f32_e32 v56, 0x3fb8aa3b, v56
	v_exp_f32_e32 v65, v56
	v_sub_f32_e32 v56, v60, v55
	v_mul_f32_e32 v56, 0x3fb8aa3b, v56
	v_exp_f32_e32 v60, v56
	ds_read2_b32 v[58:59], v57 offset0:96 offset1:112
	v_sub_f32_e32 v56, v61, v55
	v_mul_f32_e32 v56, 0x3fb8aa3b, v56
	v_exp_f32_e32 v57, v56
	s_waitcnt lgkmcnt(1)
	v_fma_f32 v56, v64, v62, 0
	v_fmac_f32_e32 v56, v65, v63
	s_waitcnt lgkmcnt(0)
	v_fmac_f32_e32 v56, v60, v58
	v_fmac_f32_e32 v56, v57, v59
	v_add_f32_e32 v58, 0x358637bd, v56
	v_div_scale_f32 v59, s[4:5], v58, v58, 1.0
	v_rcp_f32_e32 v61, v59
	s_barrier
	v_fma_f32 v62, -v59, v61, 1.0
	v_fmac_f32_e32 v61, v62, v61
	v_div_scale_f32 v62, vcc, 1.0, v58, 1.0
	v_mul_f32_e32 v63, v62, v61
	v_fma_f32 v66, -v59, v63, v62
	v_fmac_f32_e32 v63, v66, v61
	v_fma_f32 v59, -v59, v63, v62
	v_div_fmas_f32 v59, v59, v61, v63
	v_cmp_eq_u32_e32 vcc, 1, v37
	v_div_fixup_f32 v58, v59, v58, 1.0
	s_nop 0
	v_cndmask_b32_e32 v59, v64, v65, vcc
	v_cmp_eq_u32_e32 vcc, 2, v37
	s_nop 1
	v_cndmask_b32_e32 v59, v59, v60, vcc
	v_cmp_eq_u32_e32 vcc, 3, v37
	v_lshlrev_b32_e32 v37, 11, v37
	s_nop 0
	v_cndmask_b32_e32 v57, v59, v57, vcc
	v_mul_f32_e32 v58, v57, v58
	v_pk_mul_f32 v[40:41], v[58:59], v[40:41] op_sel_hi:[0,1]
	v_cvt_f16_f32_e32 v40, v40
	v_cvt_f16_f32_e32 v41, v41
	v_pk_mul_f32 v[50:51], v[58:59], v[50:51] op_sel_hi:[0,1]
	v_cvt_f16_f32_e32 v57, v50
	v_cvt_f16_f32_e32 v51, v51
	v_pack_b32_f16 v50, v40, v41
	v_pk_mul_f32 v[40:41], v[58:59], v[52:53] op_sel_hi:[0,1]
	v_pk_mul_f32 v[42:43], v[58:59], v[42:43] op_sel_hi:[0,1]
	v_cvt_f16_f32_e32 v42, v42
	v_cvt_f16_f32_e32 v43, v43
	v_cvt_f16_f32_e32 v52, v40
	v_cvt_f16_f32_e32 v41, v41
	v_pack_b32_f16 v51, v57, v51
	v_lshlrev_b32_e32 v57, 3, v54
	v_or3_b32 v40, v37, v35, v57
	v_pack_b32_f16 v42, v42, v43
	v_pack_b32_f16 v43, v52, v41
	ds_write2st64_b64 v40, v[50:51], v[42:43] offset1:1
	v_pk_mul_f32 v[42:43], v[58:59], v[46:47] op_sel_hi:[0,1]
	v_pk_mul_f32 v[46:47], v[58:59], v[48:49] op_sel_hi:[0,1]
	v_cvt_f16_f32_e32 v37, v46
	v_cvt_f16_f32_e32 v41, v47
	;; [unrolled: 1-line block ×4, first 2 shown]
	v_pk_mul_f32 v[38:39], v[58:59], v[38:39] op_sel_hi:[0,1]
	v_pk_mul_f32 v[42:43], v[58:59], v[44:45] op_sel_hi:[0,1]
	v_cvt_f16_f32_e32 v42, v42
	v_cvt_f16_f32_e32 v43, v43
	;; [unrolled: 1-line block ×4, first 2 shown]
	v_pack_b32_f16 v38, v37, v41
	v_pack_b32_f16 v39, v46, v47
	;; [unrolled: 1-line block ×4, first 2 shown]
	v_cmp_gt_u32_e32 vcc, 5, v0
	ds_write2st64_b64 v40, v[38:39], v[42:43] offset0:2 offset1:3
	s_and_saveexec_b64 s[4:5], vcc
	s_cbranch_execz .LBB96_15
; %bb.14:
	s_mov_b32 s43, 0
	v_mov_b32_e32 v37, 0
	v_lshl_add_u64 v[38:39], s[42:43], 0, v[36:37]
	v_mov_b32_e32 v36, s9
	v_mad_u64_u32 v[38:39], s[10:11], s2, v36, v[38:39]
	v_mov_b32_e32 v36, s28
	s_load_dwordx4 s[12:15], s[0:1], 0x58
	s_mul_i32 s3, s3, s9
	v_mad_u64_u32 v[36:37], s[10:11], v38, s8, v[36:37]
	v_add_u32_e32 v39, s3, v39
	v_mov_b32_e32 v38, v37
	v_mad_u64_u32 v[38:39], s[10:11], v39, s8, v[38:39]
	v_mov_b32_e32 v37, v38
	v_lshlrev_b64 v[36:37], 2, v[36:37]
	s_waitcnt lgkmcnt(0)
	v_lshl_add_u64 v[38:39], s[14:15], 0, v[36:37]
	v_lshl_add_u64 v[36:37], s[12:13], 0, v[36:37]
	global_store_dword v[38:39], v55, off
	global_store_dword v[36:37], v56, off
.LBB96_15:
	s_or_b64 exec, exec, s[4:5]
	v_lshl_or_b32 v35, v54, 9, v35
	s_waitcnt lgkmcnt(0)
	s_barrier
	ds_read_b128 v[36:39], v35
	ds_read_b128 v[42:45], v35 offset:16
	s_waitcnt vmcnt(7) lgkmcnt(1)
	v_mfma_f32_16x16x16_f16 v[46:49], v[6:7], v[36:37], 0
	v_cmp_gt_u32_e32 vcc, 64, v0
	s_mov_b32 s3, 0
	s_and_b64 s[4:5], vcc, s[30:31]
	v_mfma_f32_16x16x16_f16 v[6:9], v[8:9], v[38:39], v[46:49]
	s_waitcnt vmcnt(6) lgkmcnt(0)
	v_mfma_f32_16x16x16_f16 v[6:9], v[2:3], v[42:43], v[6:9]
	v_mfma_f32_16x16x16_f16 v[2:5], v[4:5], v[44:45], v[6:9]
	s_nop 5
	ds_read_b128 v[6:9], v35 offset:2048
	ds_read_b128 v[36:39], v35 offset:2064
	s_waitcnt vmcnt(5) lgkmcnt(1)
	v_mfma_f32_16x16x16_f16 v[2:5], v[30:31], v[6:7], v[2:5]
	v_mfma_f32_16x16x16_f16 v[2:5], v[32:33], v[8:9], v[2:5]
	s_waitcnt vmcnt(4) lgkmcnt(0)
	v_mfma_f32_16x16x16_f16 v[2:5], v[26:27], v[36:37], v[2:5]
	v_mfma_f32_16x16x16_f16 v[2:5], v[28:29], v[38:39], v[2:5]
	ds_read_b128 v[6:9], v35 offset:4096
	ds_read_b128 v[26:29], v35 offset:4112
	s_waitcnt vmcnt(3) lgkmcnt(1)
	v_mfma_f32_16x16x16_f16 v[2:5], v[22:23], v[6:7], v[2:5]
	v_mfma_f32_16x16x16_f16 v[2:5], v[24:25], v[8:9], v[2:5]
	s_waitcnt vmcnt(2) lgkmcnt(0)
	v_mfma_f32_16x16x16_f16 v[2:5], v[18:19], v[26:27], v[2:5]
	v_mfma_f32_16x16x16_f16 v[2:5], v[20:21], v[28:29], v[2:5]
	ds_read_b128 v[6:9], v35 offset:6144
	ds_read_b128 v[18:21], v35 offset:6160
	v_mov_b32_e32 v35, 0
	s_waitcnt vmcnt(1) lgkmcnt(0)
	v_mfma_f32_16x16x16_f16 v[2:5], v[14:15], v[6:7], v[2:5]
	s_barrier
	v_mfma_f32_16x16x16_f16 v[2:5], v[16:17], v[8:9], v[2:5]
	s_waitcnt vmcnt(0)
	v_mfma_f32_16x16x16_f16 v[2:5], v[10:11], v[18:19], v[2:5]
	v_mfma_f32_16x16x16_f16 v[2:5], v[12:13], v[20:21], v[2:5]
	s_nop 6
	v_cvt_f16_f32_e32 v2, v2
	v_cvt_f16_f32_e32 v3, v3
	;; [unrolled: 1-line block ×4, first 2 shown]
	v_pack_b32_f16 v2, v2, v3
	v_pack_b32_f16 v3, v4, v5
	ds_write_b64 v40, v[2:3]
	s_waitcnt lgkmcnt(0)
	s_barrier
	s_and_saveexec_b64 s[10:11], s[4:5]
	s_cbranch_execz .LBB96_18
; %bb.16:
	s_load_dwordx2 s[4:5], s[0:1], 0x68
	s_lshl_b32 s0, s8, 6
	s_mul_i32 s1, s9, s2
	s_mul_hi_u32 s9, s1, s0
	s_mul_i32 s8, s1, s0
	v_lshlrev_b32_e32 v0, 10, v0
	s_lshl_b64 s[8:9], s[8:9], 1
	v_and_b32_e32 v0, 0x1800, v0
	v_lshlrev_b32_e32 v2, 5, v54
	v_and_b32_e32 v1, 16, v1
	s_waitcnt lgkmcnt(0)
	s_add_u32 s1, s4, s8
	v_or3_b32 v2, v0, v2, v1
	s_addc_u32 s4, s5, s9
	s_lshl_b32 s2, s28, 6
	s_lshl_b64 s[2:3], s[2:3], 1
	ds_read_b128 v[4:7], v2
	s_add_u32 s2, s1, s2
	s_addc_u32 s3, s4, s3
	v_add_u32_e32 v3, s42, v54
	v_lshl_add_u64 v[0:1], s[2:3], 0, v[34:35]
	v_mad_u64_u32 v[8:9], s[2:3], v3, s0, 0
	v_lshl_add_u64 v[8:9], v[8:9], 1, v[0:1]
	s_waitcnt lgkmcnt(0)
	global_store_dwordx4 v[8:9], v[4:7], off
	s_and_b64 exec, exec, s[6:7]
	s_cbranch_execz .LBB96_18
; %bb.17:
	ds_read_b128 v[2:5], v2 offset:128
	v_add3_u32 v6, s42, v54, 4
	v_mad_u64_u32 v[6:7], s[0:1], v6, s0, 0
	v_lshl_add_u64 v[0:1], v[6:7], 1, v[0:1]
	s_waitcnt lgkmcnt(0)
	global_store_dwordx4 v[0:1], v[2:5], off
.LBB96_18:
	s_endpgm
	.section	.rodata,"a",@progbits
	.p2align	6, 0x0
	.amdhsa_kernel _Z39paged_attention_ll4mi_QKV_mfma16_kernelIDF16_DF16_LN4vllm18Fp8KVCacheDataTypeE0EDF16_Li16ELi64ELi256ELb0ELi5EEvPKT_PKT0_S7_ifPKiS9_S9_iPKfiiiPfSC_PS2_PT2_iSB_SB_
		.amdhsa_group_segment_fixed_size 8192
		.amdhsa_private_segment_fixed_size 0
		.amdhsa_kernarg_size 400
		.amdhsa_user_sgpr_count 2
		.amdhsa_user_sgpr_dispatch_ptr 0
		.amdhsa_user_sgpr_queue_ptr 0
		.amdhsa_user_sgpr_kernarg_segment_ptr 1
		.amdhsa_user_sgpr_dispatch_id 0
		.amdhsa_user_sgpr_kernarg_preload_length 0
		.amdhsa_user_sgpr_kernarg_preload_offset 0
		.amdhsa_user_sgpr_private_segment_size 0
		.amdhsa_uses_dynamic_stack 0
		.amdhsa_enable_private_segment 0
		.amdhsa_system_sgpr_workgroup_id_x 1
		.amdhsa_system_sgpr_workgroup_id_y 1
		.amdhsa_system_sgpr_workgroup_id_z 1
		.amdhsa_system_sgpr_workgroup_info 0
		.amdhsa_system_vgpr_workitem_id 0
		.amdhsa_next_free_vgpr 69
		.amdhsa_next_free_sgpr 48
		.amdhsa_accum_offset 72
		.amdhsa_reserve_vcc 1
		.amdhsa_float_round_mode_32 0
		.amdhsa_float_round_mode_16_64 0
		.amdhsa_float_denorm_mode_32 3
		.amdhsa_float_denorm_mode_16_64 3
		.amdhsa_dx10_clamp 1
		.amdhsa_ieee_mode 1
		.amdhsa_fp16_overflow 0
		.amdhsa_tg_split 0
		.amdhsa_exception_fp_ieee_invalid_op 0
		.amdhsa_exception_fp_denorm_src 0
		.amdhsa_exception_fp_ieee_div_zero 0
		.amdhsa_exception_fp_ieee_overflow 0
		.amdhsa_exception_fp_ieee_underflow 0
		.amdhsa_exception_fp_ieee_inexact 0
		.amdhsa_exception_int_div_zero 0
	.end_amdhsa_kernel
	.section	.text._Z39paged_attention_ll4mi_QKV_mfma16_kernelIDF16_DF16_LN4vllm18Fp8KVCacheDataTypeE0EDF16_Li16ELi64ELi256ELb0ELi5EEvPKT_PKT0_S7_ifPKiS9_S9_iPKfiiiPfSC_PS2_PT2_iSB_SB_,"axG",@progbits,_Z39paged_attention_ll4mi_QKV_mfma16_kernelIDF16_DF16_LN4vllm18Fp8KVCacheDataTypeE0EDF16_Li16ELi64ELi256ELb0ELi5EEvPKT_PKT0_S7_ifPKiS9_S9_iPKfiiiPfSC_PS2_PT2_iSB_SB_,comdat
.Lfunc_end96:
	.size	_Z39paged_attention_ll4mi_QKV_mfma16_kernelIDF16_DF16_LN4vllm18Fp8KVCacheDataTypeE0EDF16_Li16ELi64ELi256ELb0ELi5EEvPKT_PKT0_S7_ifPKiS9_S9_iPKfiiiPfSC_PS2_PT2_iSB_SB_, .Lfunc_end96-_Z39paged_attention_ll4mi_QKV_mfma16_kernelIDF16_DF16_LN4vllm18Fp8KVCacheDataTypeE0EDF16_Li16ELi64ELi256ELb0ELi5EEvPKT_PKT0_S7_ifPKiS9_S9_iPKfiiiPfSC_PS2_PT2_iSB_SB_
                                        ; -- End function
	.section	.AMDGPU.csdata,"",@progbits
; Kernel info:
; codeLenInByte = 3800
; NumSgprs: 54
; NumVgprs: 69
; NumAgprs: 0
; TotalNumVgprs: 69
; ScratchSize: 0
; MemoryBound: 0
; FloatMode: 240
; IeeeMode: 1
; LDSByteSize: 8192 bytes/workgroup (compile time only)
; SGPRBlocks: 6
; VGPRBlocks: 8
; NumSGPRsForWavesPerEU: 54
; NumVGPRsForWavesPerEU: 69
; AccumOffset: 72
; Occupancy: 7
; WaveLimiterHint : 1
; COMPUTE_PGM_RSRC2:SCRATCH_EN: 0
; COMPUTE_PGM_RSRC2:USER_SGPR: 2
; COMPUTE_PGM_RSRC2:TRAP_HANDLER: 0
; COMPUTE_PGM_RSRC2:TGID_X_EN: 1
; COMPUTE_PGM_RSRC2:TGID_Y_EN: 1
; COMPUTE_PGM_RSRC2:TGID_Z_EN: 1
; COMPUTE_PGM_RSRC2:TIDIG_COMP_CNT: 0
; COMPUTE_PGM_RSRC3_GFX90A:ACCUM_OFFSET: 17
; COMPUTE_PGM_RSRC3_GFX90A:TG_SPLIT: 0
	.section	.text._Z39paged_attention_ll4mi_QKV_mfma16_kernelIDF16_DF16_LN4vllm18Fp8KVCacheDataTypeE0EDF16_Li16ELi64ELi256ELb0ELi6EEvPKT_PKT0_S7_ifPKiS9_S9_iPKfiiiPfSC_PS2_PT2_iSB_SB_,"axG",@progbits,_Z39paged_attention_ll4mi_QKV_mfma16_kernelIDF16_DF16_LN4vllm18Fp8KVCacheDataTypeE0EDF16_Li16ELi64ELi256ELb0ELi6EEvPKT_PKT0_S7_ifPKiS9_S9_iPKfiiiPfSC_PS2_PT2_iSB_SB_,comdat
	.protected	_Z39paged_attention_ll4mi_QKV_mfma16_kernelIDF16_DF16_LN4vllm18Fp8KVCacheDataTypeE0EDF16_Li16ELi64ELi256ELb0ELi6EEvPKT_PKT0_S7_ifPKiS9_S9_iPKfiiiPfSC_PS2_PT2_iSB_SB_ ; -- Begin function _Z39paged_attention_ll4mi_QKV_mfma16_kernelIDF16_DF16_LN4vllm18Fp8KVCacheDataTypeE0EDF16_Li16ELi64ELi256ELb0ELi6EEvPKT_PKT0_S7_ifPKiS9_S9_iPKfiiiPfSC_PS2_PT2_iSB_SB_
	.globl	_Z39paged_attention_ll4mi_QKV_mfma16_kernelIDF16_DF16_LN4vllm18Fp8KVCacheDataTypeE0EDF16_Li16ELi64ELi256ELb0ELi6EEvPKT_PKT0_S7_ifPKiS9_S9_iPKfiiiPfSC_PS2_PT2_iSB_SB_
	.p2align	8
	.type	_Z39paged_attention_ll4mi_QKV_mfma16_kernelIDF16_DF16_LN4vllm18Fp8KVCacheDataTypeE0EDF16_Li16ELi64ELi256ELb0ELi6EEvPKT_PKT0_S7_ifPKiS9_S9_iPKfiiiPfSC_PS2_PT2_iSB_SB_,@function
_Z39paged_attention_ll4mi_QKV_mfma16_kernelIDF16_DF16_LN4vllm18Fp8KVCacheDataTypeE0EDF16_Li16ELi64ELi256ELb0ELi6EEvPKT_PKT0_S7_ifPKiS9_S9_iPKfiiiPfSC_PS2_PT2_iSB_SB_: ; @_Z39paged_attention_ll4mi_QKV_mfma16_kernelIDF16_DF16_LN4vllm18Fp8KVCacheDataTypeE0EDF16_Li16ELi64ELi256ELb0ELi6EEvPKT_PKT0_S7_ifPKiS9_S9_iPKfiiiPfSC_PS2_PT2_iSB_SB_
; %bb.0:
	s_load_dwordx2 s[12:13], s[0:1], 0x30
	s_mov_b32 s28, s3
	s_mov_b64 s[6:7], 0
	s_waitcnt lgkmcnt(0)
	s_cmp_lg_u64 s[12:13], 0
	s_cselect_b64 s[14:15], -1, 0
	s_and_b64 vcc, exec, s[14:15]
	s_cbranch_vccz .LBB97_7
; %bb.1:
	s_add_i32 s8, s2, 1
	s_mov_b32 s9, 0
	s_lshl_b64 s[10:11], s[8:9], 2
	s_add_u32 s10, s12, s10
	s_mov_b32 s3, s9
	s_addc_u32 s11, s13, s11
	s_lshl_b64 s[8:9], s[2:3], 2
	s_add_u32 s8, s12, s8
	s_addc_u32 s9, s13, s9
	s_load_dword s5, s[10:11], 0x0
	s_load_dword s16, s[8:9], 0x0
	s_waitcnt lgkmcnt(0)
	s_sub_i32 s5, s5, s16
	s_cmp_eq_u32 s5, 1
	s_cselect_b64 s[8:9], -1, 0
	s_andn2_b64 vcc, exec, s[6:7]
	s_cbranch_vccnz .LBB97_3
.LBB97_2:
	s_mov_b32 s3, 0
	s_mov_b64 s[8:9], -1
.LBB97_3:
	s_andn2_b64 vcc, exec, s[8:9]
	s_cbranch_vccnz .LBB97_18
; %bb.4:
	s_load_dwordx2 s[6:7], s[0:1], 0x28
	s_lshl_b64 s[16:17], s[2:3], 2
	s_waitcnt lgkmcnt(0)
	s_add_u32 s6, s6, s16
	s_addc_u32 s7, s7, s17
	s_load_dword s33, s[6:7], 0x0
	s_lshl_b32 s18, s28, 8
	s_waitcnt lgkmcnt(0)
	s_cmp_ge_i32 s18, s33
	s_cbranch_scc1 .LBB97_18
; %bb.5:
	s_load_dwordx2 s[6:7], s[0:1], 0x20
	s_load_dword s5, s[0:1], 0x38
	s_add_i32 s8, s33, 15
	s_ashr_i32 s9, s8, 31
	v_and_b32_e32 v1, 0xcf, v0
	s_lshr_b32 s9, s9, 28
	v_add_u32_e32 v1, s18, v1
	s_add_i32 s8, s8, s9
	v_ashrrev_i32_e32 v2, 31, v1
	s_ashr_i32 s19, s8, 4
	v_lshrrev_b32_e32 v10, 28, v2
	s_add_i32 s19, s19, -1
	s_waitcnt lgkmcnt(0)
	s_mul_i32 s8, s2, s5
	s_mov_b32 s9, 0
	v_add_u32_e32 v2, v1, v10
	s_lshl_b64 s[8:9], s[8:9], 2
	v_ashrrev_i32_e32 v2, 4, v2
	v_mov_b32_e32 v11, s19
	v_cmp_gt_i32_e32 vcc, s33, v1
	s_add_u32 s6, s6, s8
	s_addc_u32 s7, s7, s9
	v_cndmask_b32_e32 v2, v11, v2, vcc
	v_ashrrev_i32_e32 v3, 31, v2
	v_lshl_add_u64 v[4:5], v[2:3], 2, s[6:7]
	v_or_b32_e32 v2, 16, v1
	v_add_u32_e32 v3, v2, v10
	v_ashrrev_i32_e32 v3, 4, v3
	v_cmp_gt_i32_e32 vcc, s33, v2
	s_load_dwordx4 s[8:11], s[0:1], 0x8
	s_nop 0
	v_cndmask_b32_e32 v2, v11, v3, vcc
	v_ashrrev_i32_e32 v3, 31, v2
	v_lshl_add_u64 v[6:7], v[2:3], 2, s[6:7]
	v_or_b32_e32 v2, 32, v1
	v_add_u32_e32 v3, v2, v10
	v_ashrrev_i32_e32 v3, 4, v3
	v_cmp_gt_i32_e32 vcc, s33, v2
	v_or_b32_e32 v1, 48, v1
	s_nop 0
	v_cndmask_b32_e32 v2, v11, v3, vcc
	v_ashrrev_i32_e32 v3, 31, v2
	v_lshl_add_u64 v[8:9], v[2:3], 2, s[6:7]
	v_add_u32_e32 v2, v1, v10
	v_ashrrev_i32_e32 v2, 4, v2
	v_cmp_gt_i32_e32 vcc, s33, v1
	s_nop 1
	v_cndmask_b32_e32 v2, v11, v2, vcc
	v_ashrrev_i32_e32 v3, 31, v2
	v_lshl_add_u64 v[12:13], v[2:3], 2, s[6:7]
	global_load_dword v3, v[4:5], off
	global_load_dword v2, v[6:7], off
	;; [unrolled: 1-line block ×4, first 2 shown]
	s_andn2_b64 vcc, exec, s[14:15]
	s_cbranch_vccnz .LBB97_8
; %bb.6:
	s_add_u32 s12, s12, s16
	s_addc_u32 s13, s13, s17
	s_load_dword s5, s[12:13], 0x0
	s_branch .LBB97_9
.LBB97_7:
	s_mov_b64 s[8:9], 0
	s_branch .LBB97_2
.LBB97_8:
	s_mov_b32 s5, s2
.LBB97_9:
	s_load_dwordx4 s[44:47], s[0:1], 0x48
	v_lshrrev_b32_e32 v37, 6, v0
	v_bfe_u32 v54, v0, 4, 2
	v_lshl_or_b32 v1, v37, 2, v54
	v_and_b32_e32 v36, 15, v0
	v_lshlrev_b32_e32 v4, 3, v36
	v_cmp_gt_u32_e32 vcc, 6, v1
	v_cmp_gt_u32_e64 s[30:31], 8, v36
	v_and_b32_e32 v55, 63, v0
	s_mul_i32 s42, s4, 6
	s_and_b64 s[14:15], s[30:31], vcc
	v_lshlrev_b32_e32 v34, 1, v4
	s_and_saveexec_b64 s[12:13], s[14:15]
	s_cbranch_execz .LBB97_11
; %bb.10:
	s_load_dwordx2 s[14:15], s[0:1], 0x0
	s_waitcnt lgkmcnt(0)
	s_ashr_i32 s16, s44, 31
	s_mul_hi_u32 s17, s5, s44
	s_mul_i32 s16, s5, s16
	s_add_i32 s17, s17, s16
	s_mul_i32 s16, s5, s44
	s_lshl_b64 s[16:17], s[16:17], 1
	s_add_u32 s14, s14, s16
	v_add_lshl_u32 v4, v1, s42, 6
	s_addc_u32 s15, s15, s17
	v_ashrrev_i32_e32 v5, 31, v4
	v_lshl_add_u64 v[4:5], v[4:5], 1, s[14:15]
	v_mov_b32_e32 v35, 0
	v_lshl_add_u64 v[4:5], v[4:5], 0, v[34:35]
	global_load_dwordx4 v[4:7], v[4:5], off
	v_and_b32_e32 v8, 3, v0
	v_lshlrev_b32_e32 v9, 9, v36
	v_lshlrev_b32_e32 v1, 5, v1
	;; [unrolled: 1-line block ×3, first 2 shown]
	v_and_b32_e32 v9, 0x1800, v9
	v_or3_b32 v1, v9, v8, v1
	s_waitcnt vmcnt(0)
	ds_write_b128 v1, v[4:7]
.LBB97_11:
	s_or_b64 exec, exec, s[12:13]
	s_waitcnt lgkmcnt(0)
	s_mul_i32 s4, s4, s46
	s_mov_b32 s5, 0
	s_lshl_b64 s[4:5], s[4:5], 1
	s_add_u32 s8, s8, s4
	v_lshlrev_b32_e32 v1, 4, v0
	s_addc_u32 s9, s9, s5
	v_and_b32_e32 v30, 0xf0, v1
	v_mov_b32_e32 v31, 0
	v_lshl_add_u64 v[18:19], s[8:9], 0, v[30:31]
	s_waitcnt vmcnt(3)
	v_mad_i64_i32 v[4:5], s[8:9], v3, s45, 0
	v_lshl_add_u64 v[4:5], v[4:5], 1, v[18:19]
	v_and_b32_e32 v30, 0x300, v1
	s_waitcnt vmcnt(2)
	v_mad_i64_i32 v[2:3], s[8:9], v2, s45, 0
	v_lshl_add_u64 v[14:15], v[4:5], 0, v[30:31]
	v_lshl_add_u64 v[2:3], v[2:3], 1, v[18:19]
	s_load_dword s29, s[0:1], 0x98
	s_load_dword s12, s[0:1], 0x1c
	s_waitcnt lgkmcnt(0)
	s_barrier
	global_load_dwordx4 v[6:9], v[14:15], off
	global_load_dwordx4 v[26:29], v[14:15], off offset:1024
	v_lshl_add_u64 v[32:33], v[2:3], 0, v[30:31]
	global_load_dwordx4 v[2:5], v[32:33], off
	global_load_dwordx4 v[46:49], v[32:33], off offset:1024
	s_waitcnt vmcnt(5)
	v_mad_i64_i32 v[10:11], s[8:9], v10, s45, 0
	v_lshl_add_u64 v[10:11], v[10:11], 1, v[18:19]
	v_lshl_add_u64 v[38:39], v[10:11], 0, v[30:31]
	global_load_dwordx4 v[10:13], v[38:39], off
	global_load_dwordx4 v[56:59], v[38:39], off offset:1024
	s_waitcnt vmcnt(6)
	v_mad_i64_i32 v[16:17], s[8:9], v16, s45, 0
	v_lshl_add_u64 v[16:17], v[16:17], 1, v[18:19]
	v_lshl_add_u64 v[40:41], v[16:17], 0, v[30:31]
	global_load_dwordx4 v[18:21], v[40:41], off
	v_mul_lo_u16_e32 v16, 43, v36
	v_mov_b32_e32 v17, 6
	v_mul_lo_u16_sdwa v16, v16, v17 dst_sel:DWORD dst_unused:UNUSED_PAD src0_sel:BYTE_1 src1_sel:DWORD
	v_mov_b32_e32 v22, 5
	v_sub_u16_e32 v16, v36, v16
	v_lshlrev_b32_sdwa v16, v22, v16 dst_sel:DWORD dst_unused:UNUSED_PAD src0_sel:DWORD src1_sel:BYTE_0
	v_lshl_add_u32 v16, v54, 9, v16
	ds_read_b128 v[22:25], v16
	global_load_dwordx4 v[38:41], v[40:41], off offset:1024
	v_and_or_b32 v30, v0, 48, s18
	v_mov_b32_e32 v68, s19
	v_cmp_gt_i32_e32 vcc, s33, v30
	ds_read_b128 v[14:17], v16 offset:2048
	v_lshlrev_b32_e32 v35, 5, v36
	s_add_u32 s4, s10, s4
	s_addc_u32 s5, s11, s5
	s_mov_b32 s43, 0xff7fffff
	s_waitcnt vmcnt(7) lgkmcnt(1)
	v_mfma_f32_16x16x16_f16 v[42:45], v[6:7], v[22:23], 0
	v_ashrrev_i32_e32 v6, 4, v30
	v_or_b32_e32 v7, 64, v30
	s_waitcnt vmcnt(5)
	v_mfma_f32_16x16x16_f16 v[50:53], v[2:3], v[22:23], 0
	v_cndmask_b32_e32 v2, v68, v6, vcc
	v_ashrrev_i32_e32 v3, 31, v2
	v_ashrrev_i32_e32 v6, 4, v7
	v_cmp_gt_i32_e32 vcc, s33, v7
	v_lshl_add_u64 v[2:3], v[2:3], 2, s[6:7]
	s_waitcnt vmcnt(3)
	v_mfma_f32_16x16x16_f16 v[60:63], v[10:11], v[22:23], 0
	v_cndmask_b32_e32 v10, v68, v6, vcc
	v_ashrrev_i32_e32 v11, 31, v10
	v_lshl_add_u64 v[10:11], v[10:11], 2, s[6:7]
	v_mfma_f32_16x16x16_f16 v[6:9], v[8:9], v[24:25], v[42:45]
	s_nop 2
	global_load_dword v42, v[2:3], off
	global_load_dword v43, v[10:11], off
	s_waitcnt vmcnt(3)
	v_mfma_f32_16x16x16_f16 v[64:67], v[18:19], v[22:23], 0
	v_or_b32_e32 v22, 0x80, v30
	v_or_b32_e32 v23, 0xc0, v30
	v_ashrrev_i32_e32 v30, 4, v22
	v_cmp_gt_i32_e32 vcc, s33, v22
	v_ashrrev_i32_e32 v32, 4, v23
	v_mfma_f32_16x16x16_f16 v[2:5], v[4:5], v[24:25], v[50:53]
	v_cndmask_b32_e32 v22, v68, v30, vcc
	v_cmp_gt_i32_e32 vcc, s33, v23
	v_ashrrev_i32_e32 v23, 31, v22
	v_mfma_f32_16x16x16_f16 v[10:13], v[12:13], v[24:25], v[60:63]
	v_lshl_or_b32 v30, v37, 9, v35
	v_mfma_f32_16x16x16_f16 v[18:21], v[20:21], v[24:25], v[64:67]
	v_cndmask_b32_e32 v24, v68, v32, vcc
	v_ashrrev_i32_e32 v25, 31, v24
	v_lshl_add_u64 v[32:33], v[24:25], 2, s[6:7]
	s_waitcnt lgkmcnt(0)
	v_mfma_f32_16x16x16_f16 v[6:9], v[26:27], v[14:15], v[6:9]
	v_lshl_add_u64 v[26:27], v[22:23], 2, s[6:7]
	global_load_dword v60, v[26:27], off
	global_load_dword v61, v[32:33], off
	v_mfma_f32_16x16x16_f16 v[2:5], v[46:47], v[14:15], v[2:5]
	v_mfma_f32_16x16x16_f16 v[22:25], v[56:57], v[14:15], v[10:13]
	s_waitcnt vmcnt(4)
	v_mfma_f32_16x16x16_f16 v[18:21], v[38:39], v[14:15], v[18:21]
	s_nop 0
	v_lshl_add_u64 v[10:11], s[4:5], 0, v[30:31]
	s_waitcnt vmcnt(3)
	v_mad_i64_i32 v[26:27], s[4:5], v42, s45, 0
	v_mfma_f32_16x16x16_f16 v[12:15], v[28:29], v[16:17], v[6:9]
	v_lshl_add_u64 v[30:31], v[26:27], 1, v[10:11]
	s_waitcnt vmcnt(2)
	v_mad_i64_i32 v[32:33], s[4:5], v43, s45, 0
	v_mfma_f32_16x16x16_f16 v[26:29], v[48:49], v[16:17], v[2:5]
	v_lshl_add_u64 v[56:57], v[32:33], 1, v[10:11]
	s_nop 1
	v_pk_mul_f32 v[50:51], s[12:13], v[14:15] op_sel_hi:[0,1]
	v_pk_mul_f32 v[12:13], s[12:13], v[12:13] op_sel_hi:[0,1]
	v_mfma_f32_16x16x16_f16 v[22:25], v[58:59], v[16:17], v[22:25]
	global_load_dwordx4 v[6:9], v[30:31], off
	global_load_dwordx4 v[2:5], v[30:31], off offset:16
	v_pk_mul_f32 v[42:43], s[12:13], v[26:27] op_sel_hi:[0,1]
	v_pk_mul_f32 v[52:53], s[12:13], v[28:29] op_sel_hi:[0,1]
	v_mfma_f32_16x16x16_f16 v[14:17], v[40:41], v[16:17], v[18:21]
	s_nop 1
	v_pk_mul_f32 v[48:49], s[12:13], v[22:23] op_sel_hi:[0,1]
	v_pk_mul_f32 v[46:47], s[12:13], v[24:25] op_sel_hi:[0,1]
	global_load_dwordx4 v[30:33], v[56:57], off
	global_load_dwordx4 v[26:29], v[56:57], off offset:16
	s_nop 0
	v_pk_mul_f32 v[44:45], s[12:13], v[14:15] op_sel_hi:[0,1]
	v_and_b32_e32 v14, 0xc0, v0
	v_add_u32_e32 v14, s18, v14
	v_lshl_or_b32 v14, v54, 2, v14
	v_pk_mul_f32 v[38:39], s[12:13], v[16:17] op_sel_hi:[0,1]
	v_or_b32_e32 v17, 1, v14
	v_mov_b32_e32 v15, 0xff7fffff
	v_cmp_gt_i32_e64 s[4:5], s33, v14
	v_cmp_gt_i32_e64 s[34:35], s33, v17
	v_or_b32_e32 v18, 3, v14
	v_cndmask_b32_e64 v16, v15, v12, s[4:5]
	v_cndmask_b32_e64 v17, v15, v13, s[34:35]
	v_max3_f32 v16, v16, s43, v17
	v_or_b32_e32 v17, 2, v14
	v_cmp_gt_i32_e64 s[36:37], s33, v17
	v_cmp_gt_i32_e64 s[38:39], s33, v18
	s_nop 0
	v_cndmask_b32_e64 v17, v15, v50, s[36:37]
	v_cndmask_b32_e64 v18, v15, v51, s[38:39]
	v_max3_f32 v16, v16, v17, v18
	v_or_b32_e32 v17, 16, v14
	v_or_b32_e32 v18, 17, v14
	v_cmp_gt_i32_e64 s[24:25], s33, v17
	v_cmp_gt_i32_e64 s[26:27], s33, v18
	s_nop 0
	v_cndmask_b32_e64 v17, v15, v42, s[24:25]
	v_cndmask_b32_e64 v18, v15, v43, s[26:27]
	v_max3_f32 v16, v16, v17, v18
	v_or_b32_e32 v17, 18, v14
	;; [unrolled: 8-line block ×6, first 2 shown]
	v_or_b32_e32 v14, 51, v14
	v_cmp_gt_i32_e32 vcc, s33, v17
	v_cmp_gt_i32_e64 s[6:7], s33, v14
	s_nop 0
	v_cndmask_b32_e32 v17, v15, v38, vcc
	v_cndmask_b32_e64 v14, v15, v39, s[6:7]
	v_max3_f32 v16, v16, v17, v14
	v_mbcnt_lo_u32_b32 v14, -1, 0
	v_mbcnt_hi_u32_b32 v17, -1, v14
	v_and_b32_e32 v14, 64, v17
	v_add_u32_e32 v18, 64, v14
	v_xor_b32_e32 v14, 32, v17
	v_cmp_lt_i32_e64 s[40:41], v14, v18
	s_nop 1
	v_cndmask_b32_e64 v14, v17, v14, s[40:41]
	v_lshlrev_b32_e32 v58, 2, v14
	ds_bpermute_b32 v19, v58, v16
	s_waitcnt vmcnt(5)
	v_mad_i64_i32 v[14:15], s[40:41], v60, s45, 0
	v_lshl_add_u64 v[14:15], v[14:15], 1, v[10:11]
	s_waitcnt lgkmcnt(0)
	v_max_f32_e32 v19, v19, v19
	v_max_f32_e32 v16, v16, v19
	v_xor_b32_e32 v19, 16, v17
	v_cmp_lt_i32_e64 s[40:41], v19, v18
	s_nop 1
	v_cndmask_b32_e64 v17, v17, v19, s[40:41]
	v_lshlrev_b32_e32 v57, 2, v17
	ds_bpermute_b32 v17, v57, v16
	global_load_dwordx4 v[22:25], v[14:15], off
	global_load_dwordx4 v[18:21], v[14:15], off offset:16
	s_waitcnt vmcnt(6)
	v_mad_i64_i32 v[14:15], s[40:41], v61, s45, 0
	v_lshl_add_u64 v[10:11], v[14:15], 1, v[10:11]
	s_waitcnt lgkmcnt(0)
	v_max_f32_e32 v14, v17, v17
	v_max_f32_e32 v56, v16, v14
	v_sub_f32_e32 v12, v12, v56
	v_mul_f32_e32 v12, 0x3fb8aa3b, v12
	v_exp_f32_e32 v40, v12
	v_sub_f32_e32 v12, v13, v56
	v_mul_f32_e32 v12, 0x3fb8aa3b, v12
	v_exp_f32_e32 v41, v12
	global_load_dwordx4 v[14:17], v[10:11], off
	s_nop 0
	global_load_dwordx4 v[10:13], v[10:11], off offset:16
	v_sub_f32_e32 v50, v50, v56
	v_mul_f32_e32 v50, 0x3fb8aa3b, v50
	v_sub_f32_e32 v51, v51, v56
	v_exp_f32_e32 v50, v50
	v_mul_f32_e32 v51, 0x3fb8aa3b, v51
	v_sub_f32_e32 v42, v42, v56
	v_exp_f32_e32 v51, v51
	v_mul_f32_e32 v42, 0x3fb8aa3b, v42
	v_sub_f32_e32 v43, v43, v56
	v_cndmask_b32_e64 v40, 0, v40, s[4:5]
	v_exp_f32_e32 v42, v42
	v_mul_f32_e32 v43, 0x3fb8aa3b, v43
	v_sub_f32_e32 v52, v52, v56
	v_add_f32_e32 v59, 0, v40
	v_cndmask_b32_e64 v41, 0, v41, s[34:35]
	v_exp_f32_e32 v43, v43
	v_mul_f32_e32 v52, 0x3fb8aa3b, v52
	v_sub_f32_e32 v53, v53, v56
	v_add_f32_e32 v59, v59, v41
	;; [unrolled: 5-line block ×10, first 2 shown]
	v_cndmask_b32_e64 v46, 0, v46, s[12:13]
	v_exp_f32_e32 v38, v38
	v_mul_f32_e32 v39, 0x3fb8aa3b, v39
	v_add_f32_e32 v59, v59, v46
	v_cndmask_b32_e64 v47, 0, v47, s[14:15]
	v_exp_f32_e32 v39, v39
	v_add_f32_e32 v59, v59, v47
	v_cndmask_b32_e64 v44, 0, v44, s[8:9]
	v_add_f32_e32 v59, v59, v44
	v_cndmask_b32_e64 v45, 0, v45, s[10:11]
	v_add_f32_e32 v59, v59, v45
	v_cndmask_b32_e32 v38, 0, v38, vcc
	v_add_f32_e32 v59, v59, v38
	v_cndmask_b32_e64 v39, 0, v39, s[6:7]
	v_add_f32_e32 v59, v59, v39
	ds_bpermute_b32 v58, v58, v59
	v_cmp_gt_u32_e32 vcc, 16, v55
	s_waitcnt lgkmcnt(0)
	s_barrier
	v_add_f32_e32 v58, v59, v58
	ds_bpermute_b32 v59, v57, v58
	v_lshlrev_b32_e32 v57, 2, v36
	s_and_saveexec_b64 s[4:5], vcc
	s_cbranch_execz .LBB97_13
; %bb.12:
	s_waitcnt lgkmcnt(0)
	v_add_f32_e32 v55, v58, v59
	v_lshl_or_b32 v58, v37, 6, v57
	ds_write2st64_b32 v58, v56, v55 offset1:1
.LBB97_13:
	s_or_b64 exec, exec, s[4:5]
	s_load_dword s6, s[0:1], 0x94
	s_waitcnt lgkmcnt(0)
	s_barrier
	ds_read2_b32 v[58:59], v57 offset1:16
	ds_read2_b32 v[60:61], v57 offset0:32 offset1:48
	ds_read2_b32 v[62:63], v57 offset0:64 offset1:80
	s_mul_i32 s7, s29, 6
	s_waitcnt lgkmcnt(2)
	v_max3_f32 v55, v58, s43, v59
	s_waitcnt lgkmcnt(1)
	v_max3_f32 v55, v55, v60, v61
	v_sub_f32_e32 v56, v58, v55
	v_mul_f32_e32 v56, 0x3fb8aa3b, v56
	v_exp_f32_e32 v64, v56
	v_sub_f32_e32 v56, v59, v55
	v_mul_f32_e32 v56, 0x3fb8aa3b, v56
	v_exp_f32_e32 v65, v56
	;; [unrolled: 3-line block ×3, first 2 shown]
	ds_read2_b32 v[58:59], v57 offset0:96 offset1:112
	v_sub_f32_e32 v56, v61, v55
	v_mul_f32_e32 v56, 0x3fb8aa3b, v56
	v_exp_f32_e32 v57, v56
	s_waitcnt lgkmcnt(1)
	v_fma_f32 v56, v64, v62, 0
	v_fmac_f32_e32 v56, v65, v63
	s_waitcnt lgkmcnt(0)
	v_fmac_f32_e32 v56, v60, v58
	v_fmac_f32_e32 v56, v57, v59
	v_add_f32_e32 v58, 0x358637bd, v56
	v_div_scale_f32 v59, s[4:5], v58, v58, 1.0
	v_rcp_f32_e32 v61, v59
	s_barrier
	v_fma_f32 v62, -v59, v61, 1.0
	v_fmac_f32_e32 v61, v62, v61
	v_div_scale_f32 v62, vcc, 1.0, v58, 1.0
	v_mul_f32_e32 v63, v62, v61
	v_fma_f32 v66, -v59, v63, v62
	v_fmac_f32_e32 v63, v66, v61
	v_fma_f32 v59, -v59, v63, v62
	v_div_fmas_f32 v59, v59, v61, v63
	v_cmp_eq_u32_e32 vcc, 1, v37
	v_div_fixup_f32 v58, v59, v58, 1.0
	s_nop 0
	v_cndmask_b32_e32 v59, v64, v65, vcc
	v_cmp_eq_u32_e32 vcc, 2, v37
	s_nop 1
	v_cndmask_b32_e32 v59, v59, v60, vcc
	v_cmp_eq_u32_e32 vcc, 3, v37
	v_lshlrev_b32_e32 v37, 11, v37
	s_nop 0
	v_cndmask_b32_e32 v57, v59, v57, vcc
	v_mul_f32_e32 v58, v57, v58
	v_pk_mul_f32 v[40:41], v[58:59], v[40:41] op_sel_hi:[0,1]
	v_cvt_f16_f32_e32 v40, v40
	v_cvt_f16_f32_e32 v41, v41
	v_pk_mul_f32 v[50:51], v[58:59], v[50:51] op_sel_hi:[0,1]
	v_cvt_f16_f32_e32 v57, v50
	v_cvt_f16_f32_e32 v51, v51
	v_pack_b32_f16 v50, v40, v41
	v_pk_mul_f32 v[40:41], v[58:59], v[52:53] op_sel_hi:[0,1]
	v_pk_mul_f32 v[42:43], v[58:59], v[42:43] op_sel_hi:[0,1]
	v_cvt_f16_f32_e32 v42, v42
	v_cvt_f16_f32_e32 v43, v43
	;; [unrolled: 1-line block ×4, first 2 shown]
	v_pack_b32_f16 v51, v57, v51
	v_lshlrev_b32_e32 v57, 3, v54
	v_or3_b32 v40, v37, v35, v57
	v_pack_b32_f16 v42, v42, v43
	v_pack_b32_f16 v43, v52, v41
	ds_write2st64_b64 v40, v[50:51], v[42:43] offset1:1
	v_pk_mul_f32 v[42:43], v[58:59], v[46:47] op_sel_hi:[0,1]
	v_pk_mul_f32 v[46:47], v[58:59], v[48:49] op_sel_hi:[0,1]
	v_cvt_f16_f32_e32 v37, v46
	v_cvt_f16_f32_e32 v41, v47
	;; [unrolled: 1-line block ×4, first 2 shown]
	v_pk_mul_f32 v[38:39], v[58:59], v[38:39] op_sel_hi:[0,1]
	v_pk_mul_f32 v[42:43], v[58:59], v[44:45] op_sel_hi:[0,1]
	v_cvt_f16_f32_e32 v42, v42
	v_cvt_f16_f32_e32 v43, v43
	;; [unrolled: 1-line block ×4, first 2 shown]
	v_pack_b32_f16 v38, v37, v41
	v_pack_b32_f16 v39, v46, v47
	;; [unrolled: 1-line block ×4, first 2 shown]
	v_cmp_gt_u32_e32 vcc, 6, v0
	ds_write2st64_b64 v40, v[38:39], v[42:43] offset0:2 offset1:3
	s_and_saveexec_b64 s[4:5], vcc
	s_cbranch_execz .LBB97_15
; %bb.14:
	s_mov_b32 s43, 0
	v_mov_b32_e32 v37, 0
	v_lshl_add_u64 v[38:39], s[42:43], 0, v[36:37]
	v_mov_b32_e32 v36, s7
	v_mad_u64_u32 v[38:39], s[12:13], s2, v36, v[38:39]
	v_mov_b32_e32 v36, s28
	s_load_dwordx4 s[8:11], s[0:1], 0x58
	s_mul_i32 s3, s3, s7
	v_mad_u64_u32 v[36:37], s[12:13], v38, s6, v[36:37]
	v_add_u32_e32 v39, s3, v39
	v_mov_b32_e32 v38, v37
	v_mad_u64_u32 v[38:39], s[12:13], v39, s6, v[38:39]
	v_mov_b32_e32 v37, v38
	v_lshlrev_b64 v[36:37], 2, v[36:37]
	s_waitcnt lgkmcnt(0)
	v_lshl_add_u64 v[38:39], s[10:11], 0, v[36:37]
	v_lshl_add_u64 v[36:37], s[8:9], 0, v[36:37]
	global_store_dword v[38:39], v55, off
	global_store_dword v[36:37], v56, off
.LBB97_15:
	s_or_b64 exec, exec, s[4:5]
	v_lshl_or_b32 v35, v54, 9, v35
	s_waitcnt lgkmcnt(0)
	s_barrier
	ds_read_b128 v[36:39], v35
	ds_read_b128 v[42:45], v35 offset:16
	s_waitcnt vmcnt(7) lgkmcnt(1)
	v_mfma_f32_16x16x16_f16 v[46:49], v[6:7], v[36:37], 0
	v_cmp_gt_u32_e32 vcc, 64, v0
	s_mov_b32 s3, 0
	s_and_b64 s[4:5], vcc, s[30:31]
	v_mfma_f32_16x16x16_f16 v[6:9], v[8:9], v[38:39], v[46:49]
	s_waitcnt vmcnt(6) lgkmcnt(0)
	v_mfma_f32_16x16x16_f16 v[6:9], v[2:3], v[42:43], v[6:9]
	v_mfma_f32_16x16x16_f16 v[2:5], v[4:5], v[44:45], v[6:9]
	s_nop 5
	ds_read_b128 v[6:9], v35 offset:2048
	ds_read_b128 v[36:39], v35 offset:2064
	s_waitcnt vmcnt(5) lgkmcnt(1)
	v_mfma_f32_16x16x16_f16 v[2:5], v[30:31], v[6:7], v[2:5]
	v_mfma_f32_16x16x16_f16 v[2:5], v[32:33], v[8:9], v[2:5]
	s_waitcnt vmcnt(4) lgkmcnt(0)
	v_mfma_f32_16x16x16_f16 v[2:5], v[26:27], v[36:37], v[2:5]
	v_mfma_f32_16x16x16_f16 v[2:5], v[28:29], v[38:39], v[2:5]
	ds_read_b128 v[6:9], v35 offset:4096
	ds_read_b128 v[26:29], v35 offset:4112
	s_waitcnt vmcnt(3) lgkmcnt(1)
	v_mfma_f32_16x16x16_f16 v[2:5], v[22:23], v[6:7], v[2:5]
	v_mfma_f32_16x16x16_f16 v[2:5], v[24:25], v[8:9], v[2:5]
	s_waitcnt vmcnt(2) lgkmcnt(0)
	v_mfma_f32_16x16x16_f16 v[2:5], v[18:19], v[26:27], v[2:5]
	v_mfma_f32_16x16x16_f16 v[2:5], v[20:21], v[28:29], v[2:5]
	ds_read_b128 v[6:9], v35 offset:6144
	ds_read_b128 v[18:21], v35 offset:6160
	v_mov_b32_e32 v35, 0
	s_waitcnt vmcnt(1) lgkmcnt(0)
	v_mfma_f32_16x16x16_f16 v[2:5], v[14:15], v[6:7], v[2:5]
	s_barrier
	v_mfma_f32_16x16x16_f16 v[2:5], v[16:17], v[8:9], v[2:5]
	s_waitcnt vmcnt(0)
	v_mfma_f32_16x16x16_f16 v[2:5], v[10:11], v[18:19], v[2:5]
	v_mfma_f32_16x16x16_f16 v[2:5], v[12:13], v[20:21], v[2:5]
	s_nop 6
	v_cvt_f16_f32_e32 v2, v2
	v_cvt_f16_f32_e32 v3, v3
	v_cvt_f16_f32_e32 v4, v4
	v_cvt_f16_f32_e32 v5, v5
	v_pack_b32_f16 v2, v2, v3
	v_pack_b32_f16 v3, v4, v5
	ds_write_b64 v40, v[2:3]
	s_waitcnt lgkmcnt(0)
	s_barrier
	s_and_saveexec_b64 s[8:9], s[4:5]
	s_cbranch_execz .LBB97_18
; %bb.16:
	s_load_dwordx2 s[4:5], s[0:1], 0x68
	s_lshl_b32 s0, s6, 6
	s_mul_i32 s1, s7, s2
	s_mul_hi_u32 s7, s1, s0
	s_mul_i32 s6, s1, s0
	v_lshlrev_b32_e32 v0, 10, v0
	s_lshl_b64 s[6:7], s[6:7], 1
	v_and_b32_e32 v0, 0x1800, v0
	v_lshlrev_b32_e32 v3, 5, v54
	v_and_b32_e32 v1, 16, v1
	s_waitcnt lgkmcnt(0)
	s_add_u32 s1, s4, s6
	v_or3_b32 v3, v0, v3, v1
	s_addc_u32 s4, s5, s7
	s_lshl_b32 s2, s28, 6
	s_lshl_b64 s[2:3], s[2:3], 1
	ds_read_b128 v[4:7], v3
	s_add_u32 s2, s1, s2
	s_addc_u32 s3, s4, s3
	v_add_u32_e32 v8, s42, v54
	v_or_b32_e32 v2, 4, v54
	v_lshl_add_u64 v[0:1], s[2:3], 0, v[34:35]
	v_mad_u64_u32 v[8:9], s[2:3], v8, s0, 0
	v_lshl_add_u64 v[8:9], v[8:9], 1, v[0:1]
	v_cmp_gt_u32_e32 vcc, 6, v2
	s_waitcnt lgkmcnt(0)
	global_store_dwordx4 v[8:9], v[4:7], off
	s_and_b64 exec, exec, vcc
	s_cbranch_execz .LBB97_18
; %bb.17:
	ds_read_b128 v[4:7], v3 offset:128
	v_add_u32_e32 v2, s42, v2
	v_mad_u64_u32 v[2:3], s[0:1], v2, s0, 0
	v_lshl_add_u64 v[0:1], v[2:3], 1, v[0:1]
	s_waitcnt lgkmcnt(0)
	global_store_dwordx4 v[0:1], v[4:7], off
.LBB97_18:
	s_endpgm
	.section	.rodata,"a",@progbits
	.p2align	6, 0x0
	.amdhsa_kernel _Z39paged_attention_ll4mi_QKV_mfma16_kernelIDF16_DF16_LN4vllm18Fp8KVCacheDataTypeE0EDF16_Li16ELi64ELi256ELb0ELi6EEvPKT_PKT0_S7_ifPKiS9_S9_iPKfiiiPfSC_PS2_PT2_iSB_SB_
		.amdhsa_group_segment_fixed_size 8192
		.amdhsa_private_segment_fixed_size 0
		.amdhsa_kernarg_size 400
		.amdhsa_user_sgpr_count 2
		.amdhsa_user_sgpr_dispatch_ptr 0
		.amdhsa_user_sgpr_queue_ptr 0
		.amdhsa_user_sgpr_kernarg_segment_ptr 1
		.amdhsa_user_sgpr_dispatch_id 0
		.amdhsa_user_sgpr_kernarg_preload_length 0
		.amdhsa_user_sgpr_kernarg_preload_offset 0
		.amdhsa_user_sgpr_private_segment_size 0
		.amdhsa_uses_dynamic_stack 0
		.amdhsa_enable_private_segment 0
		.amdhsa_system_sgpr_workgroup_id_x 1
		.amdhsa_system_sgpr_workgroup_id_y 1
		.amdhsa_system_sgpr_workgroup_id_z 1
		.amdhsa_system_sgpr_workgroup_info 0
		.amdhsa_system_vgpr_workitem_id 0
		.amdhsa_next_free_vgpr 69
		.amdhsa_next_free_sgpr 48
		.amdhsa_accum_offset 72
		.amdhsa_reserve_vcc 1
		.amdhsa_float_round_mode_32 0
		.amdhsa_float_round_mode_16_64 0
		.amdhsa_float_denorm_mode_32 3
		.amdhsa_float_denorm_mode_16_64 3
		.amdhsa_dx10_clamp 1
		.amdhsa_ieee_mode 1
		.amdhsa_fp16_overflow 0
		.amdhsa_tg_split 0
		.amdhsa_exception_fp_ieee_invalid_op 0
		.amdhsa_exception_fp_denorm_src 0
		.amdhsa_exception_fp_ieee_div_zero 0
		.amdhsa_exception_fp_ieee_overflow 0
		.amdhsa_exception_fp_ieee_underflow 0
		.amdhsa_exception_fp_ieee_inexact 0
		.amdhsa_exception_int_div_zero 0
	.end_amdhsa_kernel
	.section	.text._Z39paged_attention_ll4mi_QKV_mfma16_kernelIDF16_DF16_LN4vllm18Fp8KVCacheDataTypeE0EDF16_Li16ELi64ELi256ELb0ELi6EEvPKT_PKT0_S7_ifPKiS9_S9_iPKfiiiPfSC_PS2_PT2_iSB_SB_,"axG",@progbits,_Z39paged_attention_ll4mi_QKV_mfma16_kernelIDF16_DF16_LN4vllm18Fp8KVCacheDataTypeE0EDF16_Li16ELi64ELi256ELb0ELi6EEvPKT_PKT0_S7_ifPKiS9_S9_iPKfiiiPfSC_PS2_PT2_iSB_SB_,comdat
.Lfunc_end97:
	.size	_Z39paged_attention_ll4mi_QKV_mfma16_kernelIDF16_DF16_LN4vllm18Fp8KVCacheDataTypeE0EDF16_Li16ELi64ELi256ELb0ELi6EEvPKT_PKT0_S7_ifPKiS9_S9_iPKfiiiPfSC_PS2_PT2_iSB_SB_, .Lfunc_end97-_Z39paged_attention_ll4mi_QKV_mfma16_kernelIDF16_DF16_LN4vllm18Fp8KVCacheDataTypeE0EDF16_Li16ELi64ELi256ELb0ELi6EEvPKT_PKT0_S7_ifPKiS9_S9_iPKfiiiPfSC_PS2_PT2_iSB_SB_
                                        ; -- End function
	.section	.AMDGPU.csdata,"",@progbits
; Kernel info:
; codeLenInByte = 3804
; NumSgprs: 54
; NumVgprs: 69
; NumAgprs: 0
; TotalNumVgprs: 69
; ScratchSize: 0
; MemoryBound: 0
; FloatMode: 240
; IeeeMode: 1
; LDSByteSize: 8192 bytes/workgroup (compile time only)
; SGPRBlocks: 6
; VGPRBlocks: 8
; NumSGPRsForWavesPerEU: 54
; NumVGPRsForWavesPerEU: 69
; AccumOffset: 72
; Occupancy: 7
; WaveLimiterHint : 1
; COMPUTE_PGM_RSRC2:SCRATCH_EN: 0
; COMPUTE_PGM_RSRC2:USER_SGPR: 2
; COMPUTE_PGM_RSRC2:TRAP_HANDLER: 0
; COMPUTE_PGM_RSRC2:TGID_X_EN: 1
; COMPUTE_PGM_RSRC2:TGID_Y_EN: 1
; COMPUTE_PGM_RSRC2:TGID_Z_EN: 1
; COMPUTE_PGM_RSRC2:TIDIG_COMP_CNT: 0
; COMPUTE_PGM_RSRC3_GFX90A:ACCUM_OFFSET: 17
; COMPUTE_PGM_RSRC3_GFX90A:TG_SPLIT: 0
	.section	.text._Z39paged_attention_ll4mi_QKV_mfma16_kernelIDF16_DF16_LN4vllm18Fp8KVCacheDataTypeE0EDF16_Li16ELi64ELi256ELb0ELi7EEvPKT_PKT0_S7_ifPKiS9_S9_iPKfiiiPfSC_PS2_PT2_iSB_SB_,"axG",@progbits,_Z39paged_attention_ll4mi_QKV_mfma16_kernelIDF16_DF16_LN4vllm18Fp8KVCacheDataTypeE0EDF16_Li16ELi64ELi256ELb0ELi7EEvPKT_PKT0_S7_ifPKiS9_S9_iPKfiiiPfSC_PS2_PT2_iSB_SB_,comdat
	.protected	_Z39paged_attention_ll4mi_QKV_mfma16_kernelIDF16_DF16_LN4vllm18Fp8KVCacheDataTypeE0EDF16_Li16ELi64ELi256ELb0ELi7EEvPKT_PKT0_S7_ifPKiS9_S9_iPKfiiiPfSC_PS2_PT2_iSB_SB_ ; -- Begin function _Z39paged_attention_ll4mi_QKV_mfma16_kernelIDF16_DF16_LN4vllm18Fp8KVCacheDataTypeE0EDF16_Li16ELi64ELi256ELb0ELi7EEvPKT_PKT0_S7_ifPKiS9_S9_iPKfiiiPfSC_PS2_PT2_iSB_SB_
	.globl	_Z39paged_attention_ll4mi_QKV_mfma16_kernelIDF16_DF16_LN4vllm18Fp8KVCacheDataTypeE0EDF16_Li16ELi64ELi256ELb0ELi7EEvPKT_PKT0_S7_ifPKiS9_S9_iPKfiiiPfSC_PS2_PT2_iSB_SB_
	.p2align	8
	.type	_Z39paged_attention_ll4mi_QKV_mfma16_kernelIDF16_DF16_LN4vllm18Fp8KVCacheDataTypeE0EDF16_Li16ELi64ELi256ELb0ELi7EEvPKT_PKT0_S7_ifPKiS9_S9_iPKfiiiPfSC_PS2_PT2_iSB_SB_,@function
_Z39paged_attention_ll4mi_QKV_mfma16_kernelIDF16_DF16_LN4vllm18Fp8KVCacheDataTypeE0EDF16_Li16ELi64ELi256ELb0ELi7EEvPKT_PKT0_S7_ifPKiS9_S9_iPKfiiiPfSC_PS2_PT2_iSB_SB_: ; @_Z39paged_attention_ll4mi_QKV_mfma16_kernelIDF16_DF16_LN4vllm18Fp8KVCacheDataTypeE0EDF16_Li16ELi64ELi256ELb0ELi7EEvPKT_PKT0_S7_ifPKiS9_S9_iPKfiiiPfSC_PS2_PT2_iSB_SB_
; %bb.0:
	s_load_dwordx2 s[12:13], s[0:1], 0x30
	s_mov_b32 s28, s3
	s_mov_b64 s[6:7], 0
	s_waitcnt lgkmcnt(0)
	s_cmp_lg_u64 s[12:13], 0
	s_cselect_b64 s[14:15], -1, 0
	s_and_b64 vcc, exec, s[14:15]
	s_cbranch_vccz .LBB98_7
; %bb.1:
	s_add_i32 s8, s2, 1
	s_mov_b32 s9, 0
	s_lshl_b64 s[10:11], s[8:9], 2
	s_add_u32 s10, s12, s10
	s_mov_b32 s3, s9
	s_addc_u32 s11, s13, s11
	s_lshl_b64 s[8:9], s[2:3], 2
	s_add_u32 s8, s12, s8
	s_addc_u32 s9, s13, s9
	s_load_dword s5, s[10:11], 0x0
	s_load_dword s16, s[8:9], 0x0
	s_waitcnt lgkmcnt(0)
	s_sub_i32 s5, s5, s16
	s_cmp_eq_u32 s5, 1
	s_cselect_b64 s[8:9], -1, 0
	s_andn2_b64 vcc, exec, s[6:7]
	s_cbranch_vccnz .LBB98_3
.LBB98_2:
	s_mov_b32 s3, 0
	s_mov_b64 s[8:9], -1
.LBB98_3:
	s_andn2_b64 vcc, exec, s[8:9]
	s_cbranch_vccnz .LBB98_18
; %bb.4:
	s_load_dwordx2 s[6:7], s[0:1], 0x28
	s_lshl_b64 s[16:17], s[2:3], 2
	s_waitcnt lgkmcnt(0)
	s_add_u32 s6, s6, s16
	s_addc_u32 s7, s7, s17
	s_load_dword s33, s[6:7], 0x0
	s_lshl_b32 s18, s28, 8
	s_waitcnt lgkmcnt(0)
	s_cmp_ge_i32 s18, s33
	s_cbranch_scc1 .LBB98_18
; %bb.5:
	s_load_dwordx2 s[6:7], s[0:1], 0x20
	s_load_dword s5, s[0:1], 0x38
	s_add_i32 s8, s33, 15
	s_ashr_i32 s9, s8, 31
	v_and_b32_e32 v1, 0xcf, v0
	s_lshr_b32 s9, s9, 28
	v_add_u32_e32 v1, s18, v1
	s_add_i32 s8, s8, s9
	v_ashrrev_i32_e32 v2, 31, v1
	s_ashr_i32 s19, s8, 4
	v_lshrrev_b32_e32 v10, 28, v2
	s_add_i32 s19, s19, -1
	s_waitcnt lgkmcnt(0)
	s_mul_i32 s8, s2, s5
	s_mov_b32 s9, 0
	v_add_u32_e32 v2, v1, v10
	s_lshl_b64 s[8:9], s[8:9], 2
	v_ashrrev_i32_e32 v2, 4, v2
	v_mov_b32_e32 v11, s19
	v_cmp_gt_i32_e32 vcc, s33, v1
	s_add_u32 s6, s6, s8
	s_addc_u32 s7, s7, s9
	v_cndmask_b32_e32 v2, v11, v2, vcc
	v_ashrrev_i32_e32 v3, 31, v2
	v_lshl_add_u64 v[4:5], v[2:3], 2, s[6:7]
	v_or_b32_e32 v2, 16, v1
	v_add_u32_e32 v3, v2, v10
	v_ashrrev_i32_e32 v3, 4, v3
	v_cmp_gt_i32_e32 vcc, s33, v2
	s_load_dwordx4 s[8:11], s[0:1], 0x8
	s_nop 0
	v_cndmask_b32_e32 v2, v11, v3, vcc
	v_ashrrev_i32_e32 v3, 31, v2
	v_lshl_add_u64 v[6:7], v[2:3], 2, s[6:7]
	v_or_b32_e32 v2, 32, v1
	v_add_u32_e32 v3, v2, v10
	v_ashrrev_i32_e32 v3, 4, v3
	v_cmp_gt_i32_e32 vcc, s33, v2
	v_or_b32_e32 v1, 48, v1
	s_nop 0
	v_cndmask_b32_e32 v2, v11, v3, vcc
	v_ashrrev_i32_e32 v3, 31, v2
	v_lshl_add_u64 v[8:9], v[2:3], 2, s[6:7]
	v_add_u32_e32 v2, v1, v10
	v_ashrrev_i32_e32 v2, 4, v2
	v_cmp_gt_i32_e32 vcc, s33, v1
	s_nop 1
	v_cndmask_b32_e32 v2, v11, v2, vcc
	v_ashrrev_i32_e32 v3, 31, v2
	v_lshl_add_u64 v[12:13], v[2:3], 2, s[6:7]
	global_load_dword v3, v[4:5], off
	global_load_dword v2, v[6:7], off
	;; [unrolled: 1-line block ×4, first 2 shown]
	s_andn2_b64 vcc, exec, s[14:15]
	s_cbranch_vccnz .LBB98_8
; %bb.6:
	s_add_u32 s12, s12, s16
	s_addc_u32 s13, s13, s17
	s_load_dword s5, s[12:13], 0x0
	s_branch .LBB98_9
.LBB98_7:
	s_mov_b64 s[8:9], 0
	s_branch .LBB98_2
.LBB98_8:
	s_mov_b32 s5, s2
.LBB98_9:
	s_load_dwordx4 s[44:47], s[0:1], 0x48
	v_lshrrev_b32_e32 v37, 6, v0
	v_bfe_u32 v54, v0, 4, 2
	v_lshl_or_b32 v1, v37, 2, v54
	v_and_b32_e32 v36, 15, v0
	v_lshlrev_b32_e32 v4, 3, v36
	v_cmp_gt_u32_e32 vcc, 7, v1
	v_cmp_gt_u32_e64 s[30:31], 8, v36
	v_and_b32_e32 v55, 63, v0
	s_mul_i32 s42, s4, 7
	s_and_b64 s[14:15], s[30:31], vcc
	v_lshlrev_b32_e32 v34, 1, v4
	s_and_saveexec_b64 s[12:13], s[14:15]
	s_cbranch_execz .LBB98_11
; %bb.10:
	s_load_dwordx2 s[14:15], s[0:1], 0x0
	s_waitcnt lgkmcnt(0)
	s_ashr_i32 s16, s44, 31
	s_mul_hi_u32 s17, s5, s44
	s_mul_i32 s16, s5, s16
	s_add_i32 s17, s17, s16
	s_mul_i32 s16, s5, s44
	s_lshl_b64 s[16:17], s[16:17], 1
	s_add_u32 s14, s14, s16
	v_add_lshl_u32 v4, v1, s42, 6
	s_addc_u32 s15, s15, s17
	v_ashrrev_i32_e32 v5, 31, v4
	v_lshl_add_u64 v[4:5], v[4:5], 1, s[14:15]
	v_mov_b32_e32 v35, 0
	v_lshl_add_u64 v[4:5], v[4:5], 0, v[34:35]
	global_load_dwordx4 v[4:7], v[4:5], off
	v_and_b32_e32 v8, 3, v0
	v_lshlrev_b32_e32 v9, 9, v36
	v_lshlrev_b32_e32 v1, 5, v1
	;; [unrolled: 1-line block ×3, first 2 shown]
	v_and_b32_e32 v9, 0x1800, v9
	v_or3_b32 v1, v9, v8, v1
	s_waitcnt vmcnt(0)
	ds_write_b128 v1, v[4:7]
.LBB98_11:
	s_or_b64 exec, exec, s[12:13]
	s_waitcnt lgkmcnt(0)
	s_mul_i32 s4, s4, s46
	s_mov_b32 s5, 0
	s_lshl_b64 s[4:5], s[4:5], 1
	s_add_u32 s8, s8, s4
	v_lshlrev_b32_e32 v1, 4, v0
	s_addc_u32 s9, s9, s5
	v_and_b32_e32 v30, 0xf0, v1
	v_mov_b32_e32 v31, 0
	v_lshl_add_u64 v[18:19], s[8:9], 0, v[30:31]
	s_waitcnt vmcnt(3)
	v_mad_i64_i32 v[4:5], s[8:9], v3, s45, 0
	v_lshl_add_u64 v[4:5], v[4:5], 1, v[18:19]
	v_and_b32_e32 v30, 0x300, v1
	s_waitcnt vmcnt(2)
	v_mad_i64_i32 v[2:3], s[8:9], v2, s45, 0
	v_lshl_add_u64 v[14:15], v[4:5], 0, v[30:31]
	v_lshl_add_u64 v[2:3], v[2:3], 1, v[18:19]
	s_load_dword s29, s[0:1], 0x98
	s_load_dword s12, s[0:1], 0x1c
	s_waitcnt lgkmcnt(0)
	s_barrier
	global_load_dwordx4 v[6:9], v[14:15], off
	global_load_dwordx4 v[26:29], v[14:15], off offset:1024
	v_lshl_add_u64 v[32:33], v[2:3], 0, v[30:31]
	global_load_dwordx4 v[2:5], v[32:33], off
	global_load_dwordx4 v[46:49], v[32:33], off offset:1024
	s_waitcnt vmcnt(5)
	v_mad_i64_i32 v[10:11], s[8:9], v10, s45, 0
	v_lshl_add_u64 v[10:11], v[10:11], 1, v[18:19]
	v_lshl_add_u64 v[38:39], v[10:11], 0, v[30:31]
	global_load_dwordx4 v[10:13], v[38:39], off
	global_load_dwordx4 v[56:59], v[38:39], off offset:1024
	s_waitcnt vmcnt(6)
	v_mad_i64_i32 v[16:17], s[8:9], v16, s45, 0
	v_lshl_add_u64 v[16:17], v[16:17], 1, v[18:19]
	v_lshl_add_u64 v[40:41], v[16:17], 0, v[30:31]
	global_load_dwordx4 v[18:21], v[40:41], off
	v_mul_lo_u16_e32 v16, 37, v36
	v_mov_b32_e32 v17, 7
	v_mul_lo_u16_sdwa v16, v16, v17 dst_sel:DWORD dst_unused:UNUSED_PAD src0_sel:BYTE_1 src1_sel:DWORD
	v_mov_b32_e32 v22, 5
	v_sub_u16_e32 v16, v36, v16
	v_lshlrev_b32_sdwa v16, v22, v16 dst_sel:DWORD dst_unused:UNUSED_PAD src0_sel:DWORD src1_sel:BYTE_0
	v_lshl_add_u32 v16, v54, 9, v16
	ds_read_b128 v[22:25], v16
	global_load_dwordx4 v[38:41], v[40:41], off offset:1024
	v_and_or_b32 v30, v0, 48, s18
	v_mov_b32_e32 v68, s19
	v_cmp_gt_i32_e32 vcc, s33, v30
	ds_read_b128 v[14:17], v16 offset:2048
	v_lshlrev_b32_e32 v35, 5, v36
	s_add_u32 s4, s10, s4
	s_addc_u32 s5, s11, s5
	s_mov_b32 s43, 0xff7fffff
	s_waitcnt vmcnt(7) lgkmcnt(1)
	v_mfma_f32_16x16x16_f16 v[42:45], v[6:7], v[22:23], 0
	v_ashrrev_i32_e32 v6, 4, v30
	v_or_b32_e32 v7, 64, v30
	s_waitcnt vmcnt(5)
	v_mfma_f32_16x16x16_f16 v[50:53], v[2:3], v[22:23], 0
	v_cndmask_b32_e32 v2, v68, v6, vcc
	v_ashrrev_i32_e32 v3, 31, v2
	v_ashrrev_i32_e32 v6, 4, v7
	v_cmp_gt_i32_e32 vcc, s33, v7
	v_lshl_add_u64 v[2:3], v[2:3], 2, s[6:7]
	s_waitcnt vmcnt(3)
	v_mfma_f32_16x16x16_f16 v[60:63], v[10:11], v[22:23], 0
	v_cndmask_b32_e32 v10, v68, v6, vcc
	v_ashrrev_i32_e32 v11, 31, v10
	v_lshl_add_u64 v[10:11], v[10:11], 2, s[6:7]
	v_mfma_f32_16x16x16_f16 v[6:9], v[8:9], v[24:25], v[42:45]
	s_nop 2
	global_load_dword v42, v[2:3], off
	global_load_dword v43, v[10:11], off
	s_waitcnt vmcnt(3)
	v_mfma_f32_16x16x16_f16 v[64:67], v[18:19], v[22:23], 0
	v_or_b32_e32 v22, 0x80, v30
	v_or_b32_e32 v23, 0xc0, v30
	v_ashrrev_i32_e32 v30, 4, v22
	v_cmp_gt_i32_e32 vcc, s33, v22
	v_ashrrev_i32_e32 v32, 4, v23
	v_mfma_f32_16x16x16_f16 v[2:5], v[4:5], v[24:25], v[50:53]
	v_cndmask_b32_e32 v22, v68, v30, vcc
	v_cmp_gt_i32_e32 vcc, s33, v23
	v_ashrrev_i32_e32 v23, 31, v22
	v_mfma_f32_16x16x16_f16 v[10:13], v[12:13], v[24:25], v[60:63]
	v_lshl_or_b32 v30, v37, 9, v35
	v_mfma_f32_16x16x16_f16 v[18:21], v[20:21], v[24:25], v[64:67]
	v_cndmask_b32_e32 v24, v68, v32, vcc
	v_ashrrev_i32_e32 v25, 31, v24
	v_lshl_add_u64 v[32:33], v[24:25], 2, s[6:7]
	s_waitcnt lgkmcnt(0)
	v_mfma_f32_16x16x16_f16 v[6:9], v[26:27], v[14:15], v[6:9]
	v_lshl_add_u64 v[26:27], v[22:23], 2, s[6:7]
	global_load_dword v60, v[26:27], off
	global_load_dword v61, v[32:33], off
	v_mfma_f32_16x16x16_f16 v[2:5], v[46:47], v[14:15], v[2:5]
	v_mfma_f32_16x16x16_f16 v[22:25], v[56:57], v[14:15], v[10:13]
	s_waitcnt vmcnt(4)
	v_mfma_f32_16x16x16_f16 v[18:21], v[38:39], v[14:15], v[18:21]
	s_nop 0
	v_lshl_add_u64 v[10:11], s[4:5], 0, v[30:31]
	s_waitcnt vmcnt(3)
	v_mad_i64_i32 v[26:27], s[4:5], v42, s45, 0
	v_mfma_f32_16x16x16_f16 v[12:15], v[28:29], v[16:17], v[6:9]
	v_lshl_add_u64 v[30:31], v[26:27], 1, v[10:11]
	s_waitcnt vmcnt(2)
	v_mad_i64_i32 v[32:33], s[4:5], v43, s45, 0
	v_mfma_f32_16x16x16_f16 v[26:29], v[48:49], v[16:17], v[2:5]
	v_lshl_add_u64 v[56:57], v[32:33], 1, v[10:11]
	s_nop 1
	v_pk_mul_f32 v[50:51], s[12:13], v[14:15] op_sel_hi:[0,1]
	v_pk_mul_f32 v[12:13], s[12:13], v[12:13] op_sel_hi:[0,1]
	v_mfma_f32_16x16x16_f16 v[22:25], v[58:59], v[16:17], v[22:25]
	global_load_dwordx4 v[6:9], v[30:31], off
	global_load_dwordx4 v[2:5], v[30:31], off offset:16
	v_pk_mul_f32 v[42:43], s[12:13], v[26:27] op_sel_hi:[0,1]
	v_pk_mul_f32 v[52:53], s[12:13], v[28:29] op_sel_hi:[0,1]
	v_mfma_f32_16x16x16_f16 v[14:17], v[40:41], v[16:17], v[18:21]
	s_nop 1
	v_pk_mul_f32 v[48:49], s[12:13], v[22:23] op_sel_hi:[0,1]
	v_pk_mul_f32 v[46:47], s[12:13], v[24:25] op_sel_hi:[0,1]
	global_load_dwordx4 v[30:33], v[56:57], off
	global_load_dwordx4 v[26:29], v[56:57], off offset:16
	s_nop 0
	v_pk_mul_f32 v[44:45], s[12:13], v[14:15] op_sel_hi:[0,1]
	v_and_b32_e32 v14, 0xc0, v0
	v_add_u32_e32 v14, s18, v14
	v_lshl_or_b32 v14, v54, 2, v14
	v_pk_mul_f32 v[38:39], s[12:13], v[16:17] op_sel_hi:[0,1]
	v_or_b32_e32 v17, 1, v14
	v_mov_b32_e32 v15, 0xff7fffff
	v_cmp_gt_i32_e64 s[4:5], s33, v14
	v_cmp_gt_i32_e64 s[34:35], s33, v17
	v_or_b32_e32 v18, 3, v14
	v_cndmask_b32_e64 v16, v15, v12, s[4:5]
	v_cndmask_b32_e64 v17, v15, v13, s[34:35]
	v_max3_f32 v16, v16, s43, v17
	v_or_b32_e32 v17, 2, v14
	v_cmp_gt_i32_e64 s[36:37], s33, v17
	v_cmp_gt_i32_e64 s[38:39], s33, v18
	s_nop 0
	v_cndmask_b32_e64 v17, v15, v50, s[36:37]
	v_cndmask_b32_e64 v18, v15, v51, s[38:39]
	v_max3_f32 v16, v16, v17, v18
	v_or_b32_e32 v17, 16, v14
	v_or_b32_e32 v18, 17, v14
	v_cmp_gt_i32_e64 s[24:25], s33, v17
	v_cmp_gt_i32_e64 s[26:27], s33, v18
	s_nop 0
	v_cndmask_b32_e64 v17, v15, v42, s[24:25]
	v_cndmask_b32_e64 v18, v15, v43, s[26:27]
	v_max3_f32 v16, v16, v17, v18
	v_or_b32_e32 v17, 18, v14
	;; [unrolled: 8-line block ×6, first 2 shown]
	v_or_b32_e32 v14, 51, v14
	v_cmp_gt_i32_e32 vcc, s33, v17
	v_cmp_gt_i32_e64 s[6:7], s33, v14
	s_nop 0
	v_cndmask_b32_e32 v17, v15, v38, vcc
	v_cndmask_b32_e64 v14, v15, v39, s[6:7]
	v_max3_f32 v16, v16, v17, v14
	v_mbcnt_lo_u32_b32 v14, -1, 0
	v_mbcnt_hi_u32_b32 v17, -1, v14
	v_and_b32_e32 v14, 64, v17
	v_add_u32_e32 v18, 64, v14
	v_xor_b32_e32 v14, 32, v17
	v_cmp_lt_i32_e64 s[40:41], v14, v18
	s_nop 1
	v_cndmask_b32_e64 v14, v17, v14, s[40:41]
	v_lshlrev_b32_e32 v58, 2, v14
	ds_bpermute_b32 v19, v58, v16
	s_waitcnt vmcnt(5)
	v_mad_i64_i32 v[14:15], s[40:41], v60, s45, 0
	v_lshl_add_u64 v[14:15], v[14:15], 1, v[10:11]
	s_waitcnt lgkmcnt(0)
	v_max_f32_e32 v19, v19, v19
	v_max_f32_e32 v16, v16, v19
	v_xor_b32_e32 v19, 16, v17
	v_cmp_lt_i32_e64 s[40:41], v19, v18
	s_nop 1
	v_cndmask_b32_e64 v17, v17, v19, s[40:41]
	v_lshlrev_b32_e32 v57, 2, v17
	ds_bpermute_b32 v17, v57, v16
	global_load_dwordx4 v[22:25], v[14:15], off
	global_load_dwordx4 v[18:21], v[14:15], off offset:16
	s_waitcnt vmcnt(6)
	v_mad_i64_i32 v[14:15], s[40:41], v61, s45, 0
	v_lshl_add_u64 v[10:11], v[14:15], 1, v[10:11]
	s_waitcnt lgkmcnt(0)
	v_max_f32_e32 v14, v17, v17
	v_max_f32_e32 v56, v16, v14
	v_sub_f32_e32 v12, v12, v56
	v_mul_f32_e32 v12, 0x3fb8aa3b, v12
	v_exp_f32_e32 v40, v12
	v_sub_f32_e32 v12, v13, v56
	v_mul_f32_e32 v12, 0x3fb8aa3b, v12
	v_exp_f32_e32 v41, v12
	global_load_dwordx4 v[14:17], v[10:11], off
	s_nop 0
	global_load_dwordx4 v[10:13], v[10:11], off offset:16
	v_sub_f32_e32 v50, v50, v56
	v_mul_f32_e32 v50, 0x3fb8aa3b, v50
	v_sub_f32_e32 v51, v51, v56
	v_exp_f32_e32 v50, v50
	v_mul_f32_e32 v51, 0x3fb8aa3b, v51
	v_sub_f32_e32 v42, v42, v56
	v_exp_f32_e32 v51, v51
	v_mul_f32_e32 v42, 0x3fb8aa3b, v42
	v_sub_f32_e32 v43, v43, v56
	v_cndmask_b32_e64 v40, 0, v40, s[4:5]
	v_exp_f32_e32 v42, v42
	v_mul_f32_e32 v43, 0x3fb8aa3b, v43
	v_sub_f32_e32 v52, v52, v56
	v_add_f32_e32 v59, 0, v40
	v_cndmask_b32_e64 v41, 0, v41, s[34:35]
	v_exp_f32_e32 v43, v43
	v_mul_f32_e32 v52, 0x3fb8aa3b, v52
	v_sub_f32_e32 v53, v53, v56
	v_add_f32_e32 v59, v59, v41
	;; [unrolled: 5-line block ×10, first 2 shown]
	v_cndmask_b32_e64 v46, 0, v46, s[12:13]
	v_exp_f32_e32 v38, v38
	v_mul_f32_e32 v39, 0x3fb8aa3b, v39
	v_add_f32_e32 v59, v59, v46
	v_cndmask_b32_e64 v47, 0, v47, s[14:15]
	v_exp_f32_e32 v39, v39
	v_add_f32_e32 v59, v59, v47
	v_cndmask_b32_e64 v44, 0, v44, s[8:9]
	v_add_f32_e32 v59, v59, v44
	v_cndmask_b32_e64 v45, 0, v45, s[10:11]
	v_add_f32_e32 v59, v59, v45
	v_cndmask_b32_e32 v38, 0, v38, vcc
	v_add_f32_e32 v59, v59, v38
	v_cndmask_b32_e64 v39, 0, v39, s[6:7]
	v_add_f32_e32 v59, v59, v39
	ds_bpermute_b32 v58, v58, v59
	v_cmp_gt_u32_e32 vcc, 16, v55
	s_waitcnt lgkmcnt(0)
	s_barrier
	v_add_f32_e32 v58, v59, v58
	ds_bpermute_b32 v59, v57, v58
	v_lshlrev_b32_e32 v57, 2, v36
	s_and_saveexec_b64 s[4:5], vcc
	s_cbranch_execz .LBB98_13
; %bb.12:
	s_waitcnt lgkmcnt(0)
	v_add_f32_e32 v55, v58, v59
	v_lshl_or_b32 v58, v37, 6, v57
	ds_write2st64_b32 v58, v56, v55 offset1:1
.LBB98_13:
	s_or_b64 exec, exec, s[4:5]
	s_load_dword s6, s[0:1], 0x94
	s_waitcnt lgkmcnt(0)
	s_barrier
	ds_read2_b32 v[58:59], v57 offset1:16
	ds_read2_b32 v[60:61], v57 offset0:32 offset1:48
	ds_read2_b32 v[62:63], v57 offset0:64 offset1:80
	s_mul_i32 s7, s29, 7
	s_waitcnt lgkmcnt(2)
	v_max3_f32 v55, v58, s43, v59
	s_waitcnt lgkmcnt(1)
	v_max3_f32 v55, v55, v60, v61
	v_sub_f32_e32 v56, v58, v55
	v_mul_f32_e32 v56, 0x3fb8aa3b, v56
	v_exp_f32_e32 v64, v56
	v_sub_f32_e32 v56, v59, v55
	v_mul_f32_e32 v56, 0x3fb8aa3b, v56
	v_exp_f32_e32 v65, v56
	;; [unrolled: 3-line block ×3, first 2 shown]
	ds_read2_b32 v[58:59], v57 offset0:96 offset1:112
	v_sub_f32_e32 v56, v61, v55
	v_mul_f32_e32 v56, 0x3fb8aa3b, v56
	v_exp_f32_e32 v57, v56
	s_waitcnt lgkmcnt(1)
	v_fma_f32 v56, v64, v62, 0
	v_fmac_f32_e32 v56, v65, v63
	s_waitcnt lgkmcnt(0)
	v_fmac_f32_e32 v56, v60, v58
	v_fmac_f32_e32 v56, v57, v59
	v_add_f32_e32 v58, 0x358637bd, v56
	v_div_scale_f32 v59, s[4:5], v58, v58, 1.0
	v_rcp_f32_e32 v61, v59
	s_barrier
	v_fma_f32 v62, -v59, v61, 1.0
	v_fmac_f32_e32 v61, v62, v61
	v_div_scale_f32 v62, vcc, 1.0, v58, 1.0
	v_mul_f32_e32 v63, v62, v61
	v_fma_f32 v66, -v59, v63, v62
	v_fmac_f32_e32 v63, v66, v61
	v_fma_f32 v59, -v59, v63, v62
	v_div_fmas_f32 v59, v59, v61, v63
	v_cmp_eq_u32_e32 vcc, 1, v37
	v_div_fixup_f32 v58, v59, v58, 1.0
	s_nop 0
	v_cndmask_b32_e32 v59, v64, v65, vcc
	v_cmp_eq_u32_e32 vcc, 2, v37
	s_nop 1
	v_cndmask_b32_e32 v59, v59, v60, vcc
	v_cmp_eq_u32_e32 vcc, 3, v37
	v_lshlrev_b32_e32 v37, 11, v37
	s_nop 0
	v_cndmask_b32_e32 v57, v59, v57, vcc
	v_mul_f32_e32 v58, v57, v58
	v_pk_mul_f32 v[40:41], v[58:59], v[40:41] op_sel_hi:[0,1]
	v_cvt_f16_f32_e32 v40, v40
	v_cvt_f16_f32_e32 v41, v41
	v_pk_mul_f32 v[50:51], v[58:59], v[50:51] op_sel_hi:[0,1]
	v_cvt_f16_f32_e32 v57, v50
	v_cvt_f16_f32_e32 v51, v51
	v_pack_b32_f16 v50, v40, v41
	v_pk_mul_f32 v[40:41], v[58:59], v[52:53] op_sel_hi:[0,1]
	v_pk_mul_f32 v[42:43], v[58:59], v[42:43] op_sel_hi:[0,1]
	v_cvt_f16_f32_e32 v42, v42
	v_cvt_f16_f32_e32 v43, v43
	;; [unrolled: 1-line block ×4, first 2 shown]
	v_pack_b32_f16 v51, v57, v51
	v_lshlrev_b32_e32 v57, 3, v54
	v_or3_b32 v40, v37, v35, v57
	v_pack_b32_f16 v42, v42, v43
	v_pack_b32_f16 v43, v52, v41
	ds_write2st64_b64 v40, v[50:51], v[42:43] offset1:1
	v_pk_mul_f32 v[42:43], v[58:59], v[46:47] op_sel_hi:[0,1]
	v_pk_mul_f32 v[46:47], v[58:59], v[48:49] op_sel_hi:[0,1]
	v_cvt_f16_f32_e32 v37, v46
	v_cvt_f16_f32_e32 v41, v47
	;; [unrolled: 1-line block ×4, first 2 shown]
	v_pk_mul_f32 v[38:39], v[58:59], v[38:39] op_sel_hi:[0,1]
	v_pk_mul_f32 v[42:43], v[58:59], v[44:45] op_sel_hi:[0,1]
	v_cvt_f16_f32_e32 v42, v42
	v_cvt_f16_f32_e32 v43, v43
	;; [unrolled: 1-line block ×4, first 2 shown]
	v_pack_b32_f16 v38, v37, v41
	v_pack_b32_f16 v39, v46, v47
	;; [unrolled: 1-line block ×4, first 2 shown]
	v_cmp_gt_u32_e32 vcc, 7, v0
	ds_write2st64_b64 v40, v[38:39], v[42:43] offset0:2 offset1:3
	s_and_saveexec_b64 s[4:5], vcc
	s_cbranch_execz .LBB98_15
; %bb.14:
	s_mov_b32 s43, 0
	v_mov_b32_e32 v37, 0
	v_lshl_add_u64 v[38:39], s[42:43], 0, v[36:37]
	v_mov_b32_e32 v36, s7
	v_mad_u64_u32 v[38:39], s[12:13], s2, v36, v[38:39]
	v_mov_b32_e32 v36, s28
	s_load_dwordx4 s[8:11], s[0:1], 0x58
	s_mul_i32 s3, s3, s7
	v_mad_u64_u32 v[36:37], s[12:13], v38, s6, v[36:37]
	v_add_u32_e32 v39, s3, v39
	v_mov_b32_e32 v38, v37
	v_mad_u64_u32 v[38:39], s[12:13], v39, s6, v[38:39]
	v_mov_b32_e32 v37, v38
	v_lshlrev_b64 v[36:37], 2, v[36:37]
	s_waitcnt lgkmcnt(0)
	v_lshl_add_u64 v[38:39], s[10:11], 0, v[36:37]
	v_lshl_add_u64 v[36:37], s[8:9], 0, v[36:37]
	global_store_dword v[38:39], v55, off
	global_store_dword v[36:37], v56, off
.LBB98_15:
	s_or_b64 exec, exec, s[4:5]
	v_lshl_or_b32 v35, v54, 9, v35
	s_waitcnt lgkmcnt(0)
	s_barrier
	ds_read_b128 v[36:39], v35
	ds_read_b128 v[42:45], v35 offset:16
	s_waitcnt vmcnt(7) lgkmcnt(1)
	v_mfma_f32_16x16x16_f16 v[46:49], v[6:7], v[36:37], 0
	v_cmp_gt_u32_e32 vcc, 64, v0
	s_mov_b32 s3, 0
	s_and_b64 s[4:5], vcc, s[30:31]
	v_mfma_f32_16x16x16_f16 v[6:9], v[8:9], v[38:39], v[46:49]
	s_waitcnt vmcnt(6) lgkmcnt(0)
	v_mfma_f32_16x16x16_f16 v[6:9], v[2:3], v[42:43], v[6:9]
	v_mfma_f32_16x16x16_f16 v[2:5], v[4:5], v[44:45], v[6:9]
	s_nop 5
	ds_read_b128 v[6:9], v35 offset:2048
	ds_read_b128 v[36:39], v35 offset:2064
	s_waitcnt vmcnt(5) lgkmcnt(1)
	v_mfma_f32_16x16x16_f16 v[2:5], v[30:31], v[6:7], v[2:5]
	v_mfma_f32_16x16x16_f16 v[2:5], v[32:33], v[8:9], v[2:5]
	s_waitcnt vmcnt(4) lgkmcnt(0)
	v_mfma_f32_16x16x16_f16 v[2:5], v[26:27], v[36:37], v[2:5]
	v_mfma_f32_16x16x16_f16 v[2:5], v[28:29], v[38:39], v[2:5]
	ds_read_b128 v[6:9], v35 offset:4096
	ds_read_b128 v[26:29], v35 offset:4112
	s_waitcnt vmcnt(3) lgkmcnt(1)
	v_mfma_f32_16x16x16_f16 v[2:5], v[22:23], v[6:7], v[2:5]
	v_mfma_f32_16x16x16_f16 v[2:5], v[24:25], v[8:9], v[2:5]
	s_waitcnt vmcnt(2) lgkmcnt(0)
	v_mfma_f32_16x16x16_f16 v[2:5], v[18:19], v[26:27], v[2:5]
	v_mfma_f32_16x16x16_f16 v[2:5], v[20:21], v[28:29], v[2:5]
	ds_read_b128 v[6:9], v35 offset:6144
	ds_read_b128 v[18:21], v35 offset:6160
	v_mov_b32_e32 v35, 0
	s_waitcnt vmcnt(1) lgkmcnt(0)
	v_mfma_f32_16x16x16_f16 v[2:5], v[14:15], v[6:7], v[2:5]
	s_barrier
	v_mfma_f32_16x16x16_f16 v[2:5], v[16:17], v[8:9], v[2:5]
	s_waitcnt vmcnt(0)
	v_mfma_f32_16x16x16_f16 v[2:5], v[10:11], v[18:19], v[2:5]
	v_mfma_f32_16x16x16_f16 v[2:5], v[12:13], v[20:21], v[2:5]
	s_nop 6
	v_cvt_f16_f32_e32 v2, v2
	v_cvt_f16_f32_e32 v3, v3
	;; [unrolled: 1-line block ×4, first 2 shown]
	v_pack_b32_f16 v2, v2, v3
	v_pack_b32_f16 v3, v4, v5
	ds_write_b64 v40, v[2:3]
	s_waitcnt lgkmcnt(0)
	s_barrier
	s_and_saveexec_b64 s[8:9], s[4:5]
	s_cbranch_execz .LBB98_18
; %bb.16:
	s_load_dwordx2 s[4:5], s[0:1], 0x68
	s_lshl_b32 s0, s6, 6
	s_mul_i32 s1, s7, s2
	s_mul_hi_u32 s7, s1, s0
	s_mul_i32 s6, s1, s0
	v_lshlrev_b32_e32 v0, 10, v0
	s_lshl_b64 s[6:7], s[6:7], 1
	v_and_b32_e32 v0, 0x1800, v0
	v_lshlrev_b32_e32 v2, 5, v54
	v_and_b32_e32 v1, 16, v1
	s_waitcnt lgkmcnt(0)
	s_add_u32 s1, s4, s6
	v_or3_b32 v2, v0, v2, v1
	s_addc_u32 s4, s5, s7
	s_lshl_b32 s2, s28, 6
	s_lshl_b64 s[2:3], s[2:3], 1
	ds_read_b128 v[4:7], v2
	s_add_u32 s2, s1, s2
	s_addc_u32 s3, s4, s3
	v_add_u32_e32 v3, s42, v54
	v_lshl_add_u64 v[0:1], s[2:3], 0, v[34:35]
	v_mad_u64_u32 v[8:9], s[2:3], v3, s0, 0
	v_lshl_add_u64 v[8:9], v[8:9], 1, v[0:1]
	v_cmp_ne_u32_e32 vcc, 3, v54
	s_waitcnt lgkmcnt(0)
	global_store_dwordx4 v[8:9], v[4:7], off
	s_and_b64 exec, exec, vcc
	s_cbranch_execz .LBB98_18
; %bb.17:
	ds_read_b128 v[2:5], v2 offset:128
	v_add3_u32 v6, s42, v54, 4
	v_mad_u64_u32 v[6:7], s[0:1], v6, s0, 0
	v_lshl_add_u64 v[0:1], v[6:7], 1, v[0:1]
	s_waitcnt lgkmcnt(0)
	global_store_dwordx4 v[0:1], v[2:5], off
.LBB98_18:
	s_endpgm
	.section	.rodata,"a",@progbits
	.p2align	6, 0x0
	.amdhsa_kernel _Z39paged_attention_ll4mi_QKV_mfma16_kernelIDF16_DF16_LN4vllm18Fp8KVCacheDataTypeE0EDF16_Li16ELi64ELi256ELb0ELi7EEvPKT_PKT0_S7_ifPKiS9_S9_iPKfiiiPfSC_PS2_PT2_iSB_SB_
		.amdhsa_group_segment_fixed_size 8192
		.amdhsa_private_segment_fixed_size 0
		.amdhsa_kernarg_size 400
		.amdhsa_user_sgpr_count 2
		.amdhsa_user_sgpr_dispatch_ptr 0
		.amdhsa_user_sgpr_queue_ptr 0
		.amdhsa_user_sgpr_kernarg_segment_ptr 1
		.amdhsa_user_sgpr_dispatch_id 0
		.amdhsa_user_sgpr_kernarg_preload_length 0
		.amdhsa_user_sgpr_kernarg_preload_offset 0
		.amdhsa_user_sgpr_private_segment_size 0
		.amdhsa_uses_dynamic_stack 0
		.amdhsa_enable_private_segment 0
		.amdhsa_system_sgpr_workgroup_id_x 1
		.amdhsa_system_sgpr_workgroup_id_y 1
		.amdhsa_system_sgpr_workgroup_id_z 1
		.amdhsa_system_sgpr_workgroup_info 0
		.amdhsa_system_vgpr_workitem_id 0
		.amdhsa_next_free_vgpr 69
		.amdhsa_next_free_sgpr 48
		.amdhsa_accum_offset 72
		.amdhsa_reserve_vcc 1
		.amdhsa_float_round_mode_32 0
		.amdhsa_float_round_mode_16_64 0
		.amdhsa_float_denorm_mode_32 3
		.amdhsa_float_denorm_mode_16_64 3
		.amdhsa_dx10_clamp 1
		.amdhsa_ieee_mode 1
		.amdhsa_fp16_overflow 0
		.amdhsa_tg_split 0
		.amdhsa_exception_fp_ieee_invalid_op 0
		.amdhsa_exception_fp_denorm_src 0
		.amdhsa_exception_fp_ieee_div_zero 0
		.amdhsa_exception_fp_ieee_overflow 0
		.amdhsa_exception_fp_ieee_underflow 0
		.amdhsa_exception_fp_ieee_inexact 0
		.amdhsa_exception_int_div_zero 0
	.end_amdhsa_kernel
	.section	.text._Z39paged_attention_ll4mi_QKV_mfma16_kernelIDF16_DF16_LN4vllm18Fp8KVCacheDataTypeE0EDF16_Li16ELi64ELi256ELb0ELi7EEvPKT_PKT0_S7_ifPKiS9_S9_iPKfiiiPfSC_PS2_PT2_iSB_SB_,"axG",@progbits,_Z39paged_attention_ll4mi_QKV_mfma16_kernelIDF16_DF16_LN4vllm18Fp8KVCacheDataTypeE0EDF16_Li16ELi64ELi256ELb0ELi7EEvPKT_PKT0_S7_ifPKiS9_S9_iPKfiiiPfSC_PS2_PT2_iSB_SB_,comdat
.Lfunc_end98:
	.size	_Z39paged_attention_ll4mi_QKV_mfma16_kernelIDF16_DF16_LN4vllm18Fp8KVCacheDataTypeE0EDF16_Li16ELi64ELi256ELb0ELi7EEvPKT_PKT0_S7_ifPKiS9_S9_iPKfiiiPfSC_PS2_PT2_iSB_SB_, .Lfunc_end98-_Z39paged_attention_ll4mi_QKV_mfma16_kernelIDF16_DF16_LN4vllm18Fp8KVCacheDataTypeE0EDF16_Li16ELi64ELi256ELb0ELi7EEvPKT_PKT0_S7_ifPKiS9_S9_iPKfiiiPfSC_PS2_PT2_iSB_SB_
                                        ; -- End function
	.section	.AMDGPU.csdata,"",@progbits
; Kernel info:
; codeLenInByte = 3804
; NumSgprs: 54
; NumVgprs: 69
; NumAgprs: 0
; TotalNumVgprs: 69
; ScratchSize: 0
; MemoryBound: 0
; FloatMode: 240
; IeeeMode: 1
; LDSByteSize: 8192 bytes/workgroup (compile time only)
; SGPRBlocks: 6
; VGPRBlocks: 8
; NumSGPRsForWavesPerEU: 54
; NumVGPRsForWavesPerEU: 69
; AccumOffset: 72
; Occupancy: 7
; WaveLimiterHint : 1
; COMPUTE_PGM_RSRC2:SCRATCH_EN: 0
; COMPUTE_PGM_RSRC2:USER_SGPR: 2
; COMPUTE_PGM_RSRC2:TRAP_HANDLER: 0
; COMPUTE_PGM_RSRC2:TGID_X_EN: 1
; COMPUTE_PGM_RSRC2:TGID_Y_EN: 1
; COMPUTE_PGM_RSRC2:TGID_Z_EN: 1
; COMPUTE_PGM_RSRC2:TIDIG_COMP_CNT: 0
; COMPUTE_PGM_RSRC3_GFX90A:ACCUM_OFFSET: 17
; COMPUTE_PGM_RSRC3_GFX90A:TG_SPLIT: 0
	.section	.text._Z39paged_attention_ll4mi_QKV_mfma16_kernelIDF16_DF16_LN4vllm18Fp8KVCacheDataTypeE0EDF16_Li16ELi64ELi256ELb0ELi8EEvPKT_PKT0_S7_ifPKiS9_S9_iPKfiiiPfSC_PS2_PT2_iSB_SB_,"axG",@progbits,_Z39paged_attention_ll4mi_QKV_mfma16_kernelIDF16_DF16_LN4vllm18Fp8KVCacheDataTypeE0EDF16_Li16ELi64ELi256ELb0ELi8EEvPKT_PKT0_S7_ifPKiS9_S9_iPKfiiiPfSC_PS2_PT2_iSB_SB_,comdat
	.protected	_Z39paged_attention_ll4mi_QKV_mfma16_kernelIDF16_DF16_LN4vllm18Fp8KVCacheDataTypeE0EDF16_Li16ELi64ELi256ELb0ELi8EEvPKT_PKT0_S7_ifPKiS9_S9_iPKfiiiPfSC_PS2_PT2_iSB_SB_ ; -- Begin function _Z39paged_attention_ll4mi_QKV_mfma16_kernelIDF16_DF16_LN4vllm18Fp8KVCacheDataTypeE0EDF16_Li16ELi64ELi256ELb0ELi8EEvPKT_PKT0_S7_ifPKiS9_S9_iPKfiiiPfSC_PS2_PT2_iSB_SB_
	.globl	_Z39paged_attention_ll4mi_QKV_mfma16_kernelIDF16_DF16_LN4vllm18Fp8KVCacheDataTypeE0EDF16_Li16ELi64ELi256ELb0ELi8EEvPKT_PKT0_S7_ifPKiS9_S9_iPKfiiiPfSC_PS2_PT2_iSB_SB_
	.p2align	8
	.type	_Z39paged_attention_ll4mi_QKV_mfma16_kernelIDF16_DF16_LN4vllm18Fp8KVCacheDataTypeE0EDF16_Li16ELi64ELi256ELb0ELi8EEvPKT_PKT0_S7_ifPKiS9_S9_iPKfiiiPfSC_PS2_PT2_iSB_SB_,@function
_Z39paged_attention_ll4mi_QKV_mfma16_kernelIDF16_DF16_LN4vllm18Fp8KVCacheDataTypeE0EDF16_Li16ELi64ELi256ELb0ELi8EEvPKT_PKT0_S7_ifPKiS9_S9_iPKfiiiPfSC_PS2_PT2_iSB_SB_: ; @_Z39paged_attention_ll4mi_QKV_mfma16_kernelIDF16_DF16_LN4vllm18Fp8KVCacheDataTypeE0EDF16_Li16ELi64ELi256ELb0ELi8EEvPKT_PKT0_S7_ifPKiS9_S9_iPKfiiiPfSC_PS2_PT2_iSB_SB_
; %bb.0:
	s_load_dwordx2 s[12:13], s[0:1], 0x30
	s_mov_b32 s28, s3
	s_mov_b64 s[6:7], 0
	s_waitcnt lgkmcnt(0)
	s_cmp_lg_u64 s[12:13], 0
	s_cselect_b64 s[14:15], -1, 0
	s_and_b64 vcc, exec, s[14:15]
	s_cbranch_vccz .LBB99_7
; %bb.1:
	s_add_i32 s8, s2, 1
	s_mov_b32 s9, 0
	s_lshl_b64 s[10:11], s[8:9], 2
	s_add_u32 s10, s12, s10
	s_mov_b32 s3, s9
	s_addc_u32 s11, s13, s11
	s_lshl_b64 s[8:9], s[2:3], 2
	s_add_u32 s8, s12, s8
	s_addc_u32 s9, s13, s9
	s_load_dword s5, s[10:11], 0x0
	s_load_dword s16, s[8:9], 0x0
	s_waitcnt lgkmcnt(0)
	s_sub_i32 s5, s5, s16
	s_cmp_eq_u32 s5, 1
	s_cselect_b64 s[8:9], -1, 0
	s_andn2_b64 vcc, exec, s[6:7]
	s_cbranch_vccnz .LBB99_3
.LBB99_2:
	s_mov_b32 s3, 0
	s_mov_b64 s[8:9], -1
.LBB99_3:
	s_andn2_b64 vcc, exec, s[8:9]
	s_cbranch_vccnz .LBB99_17
; %bb.4:
	s_load_dwordx2 s[6:7], s[0:1], 0x28
	s_lshl_b64 s[16:17], s[2:3], 2
	s_waitcnt lgkmcnt(0)
	s_add_u32 s6, s6, s16
	s_addc_u32 s7, s7, s17
	s_load_dword s40, s[6:7], 0x0
	s_lshl_b32 s18, s28, 8
	s_waitcnt lgkmcnt(0)
	s_cmp_ge_i32 s18, s40
	s_cbranch_scc1 .LBB99_17
; %bb.5:
	s_load_dwordx2 s[6:7], s[0:1], 0x20
	s_load_dword s5, s[0:1], 0x38
	s_add_i32 s8, s40, 15
	s_ashr_i32 s9, s8, 31
	v_and_b32_e32 v1, 0xcf, v0
	s_lshr_b32 s9, s9, 28
	v_add_u32_e32 v1, s18, v1
	s_add_i32 s8, s8, s9
	v_ashrrev_i32_e32 v2, 31, v1
	s_ashr_i32 s19, s8, 4
	v_lshrrev_b32_e32 v8, 28, v2
	s_add_i32 s19, s19, -1
	s_waitcnt lgkmcnt(0)
	s_mul_i32 s8, s2, s5
	s_mov_b32 s9, 0
	v_add_u32_e32 v2, v1, v8
	s_lshl_b64 s[8:9], s[8:9], 2
	v_ashrrev_i32_e32 v2, 4, v2
	v_mov_b32_e32 v9, s19
	v_cmp_gt_i32_e32 vcc, s40, v1
	s_add_u32 s6, s6, s8
	s_addc_u32 s7, s7, s9
	v_cndmask_b32_e32 v2, v9, v2, vcc
	v_ashrrev_i32_e32 v3, 31, v2
	v_lshl_add_u64 v[4:5], v[2:3], 2, s[6:7]
	v_or_b32_e32 v2, 16, v1
	v_add_u32_e32 v3, v2, v8
	v_ashrrev_i32_e32 v3, 4, v3
	v_cmp_gt_i32_e32 vcc, s40, v2
	s_load_dwordx4 s[8:11], s[0:1], 0x8
	s_nop 0
	v_cndmask_b32_e32 v2, v9, v3, vcc
	v_ashrrev_i32_e32 v3, 31, v2
	v_lshl_add_u64 v[6:7], v[2:3], 2, s[6:7]
	v_or_b32_e32 v2, 32, v1
	v_add_u32_e32 v3, v2, v8
	v_ashrrev_i32_e32 v3, 4, v3
	v_cmp_gt_i32_e32 vcc, s40, v2
	v_or_b32_e32 v1, 48, v1
	s_nop 0
	v_cndmask_b32_e32 v2, v9, v3, vcc
	v_ashrrev_i32_e32 v3, 31, v2
	v_lshl_add_u64 v[12:13], v[2:3], 2, s[6:7]
	v_add_u32_e32 v2, v1, v8
	v_ashrrev_i32_e32 v2, 4, v2
	v_cmp_gt_i32_e32 vcc, s40, v1
	s_nop 1
	v_cndmask_b32_e32 v2, v9, v2, vcc
	v_ashrrev_i32_e32 v3, 31, v2
	v_lshl_add_u64 v[14:15], v[2:3], 2, s[6:7]
	global_load_dword v2, v[4:5], off
	global_load_dword v10, v[6:7], off
	;; [unrolled: 1-line block ×4, first 2 shown]
	s_andn2_b64 vcc, exec, s[14:15]
	s_cbranch_vccnz .LBB99_8
; %bb.6:
	s_add_u32 s12, s12, s16
	s_addc_u32 s13, s13, s17
	s_load_dword s5, s[12:13], 0x0
	s_branch .LBB99_9
.LBB99_7:
	s_mov_b64 s[8:9], 0
	s_branch .LBB99_2
.LBB99_8:
	s_mov_b32 s5, s2
.LBB99_9:
	s_load_dwordx4 s[44:47], s[0:1], 0x48
	v_and_b32_e32 v55, 15, v0
	s_movk_i32 s12, 0x80
	v_lshlrev_b32_e32 v3, 3, v55
	v_cmp_gt_u32_e32 vcc, s12, v0
	v_cmp_gt_u32_e64 s[30:31], 8, v55
	v_lshrrev_b32_e32 v53, 6, v0
	v_and_b32_e32 v54, 63, v0
	v_bfe_u32 v1, v0, 4, 2
	s_lshl_b32 s29, s4, 3
	s_and_b64 s[14:15], vcc, s[30:31]
	v_lshlrev_b32_e32 v34, 1, v3
	s_and_saveexec_b64 s[12:13], s[14:15]
	s_cbranch_execz .LBB99_11
; %bb.10:
	s_load_dwordx2 s[14:15], s[0:1], 0x0
	s_waitcnt lgkmcnt(0)
	s_ashr_i32 s16, s44, 31
	s_mul_hi_u32 s17, s5, s44
	s_mul_i32 s16, s5, s16
	s_add_i32 s17, s17, s16
	s_mul_i32 s16, s5, s44
	v_lshl_or_b32 v3, v53, 2, v1
	s_lshl_b64 s[16:17], s[16:17], 1
	s_add_u32 s14, s14, s16
	v_add_lshl_u32 v4, v3, s29, 6
	s_addc_u32 s15, s15, s17
	v_ashrrev_i32_e32 v5, 31, v4
	v_lshl_add_u64 v[4:5], v[4:5], 1, s[14:15]
	v_mov_b32_e32 v35, 0
	v_lshl_add_u64 v[4:5], v[4:5], 0, v[34:35]
	global_load_dwordx4 v[4:7], v[4:5], off
	v_and_b32_e32 v11, 3, v0
	v_lshlrev_b32_e32 v12, 9, v55
	v_lshlrev_b32_e32 v3, 5, v3
	;; [unrolled: 1-line block ×3, first 2 shown]
	v_and_b32_e32 v12, 0x1800, v12
	v_or3_b32 v3, v12, v11, v3
	s_waitcnt vmcnt(0)
	ds_write_b128 v3, v[4:7]
.LBB99_11:
	s_or_b64 exec, exec, s[12:13]
	s_waitcnt lgkmcnt(0)
	s_mul_i32 s4, s4, s46
	s_mov_b32 s5, 0
	s_lshl_b64 s[4:5], s[4:5], 1
	s_add_u32 s8, s8, s4
	v_lshlrev_b32_e32 v52, 4, v0
	s_addc_u32 s9, s9, s5
	v_and_b32_e32 v6, 0xf0, v52
	v_mov_b32_e32 v7, 0
	v_lshl_add_u64 v[12:13], s[8:9], 0, v[6:7]
	s_waitcnt vmcnt(3)
	v_mad_i64_i32 v[2:3], s[8:9], v2, s45, 0
	v_lshl_add_u64 v[2:3], v[2:3], 1, v[12:13]
	v_and_b32_e32 v6, 0x300, v52
	v_and_b32_e32 v11, 7, v0
	s_waitcnt vmcnt(2)
	v_mad_i64_i32 v[20:21], s[8:9], v10, s45, 0
	s_waitcnt vmcnt(1)
	v_mad_i64_i32 v[24:25], s[8:9], v9, s45, 0
	v_lshl_add_u64 v[14:15], v[2:3], 0, v[6:7]
	s_waitcnt vmcnt(0)
	v_mad_i64_i32 v[26:27], s[8:9], v8, s45, 0
	v_lshlrev_b32_e32 v8, 5, v11
	v_lshl_add_u64 v[20:21], v[20:21], 1, v[12:13]
	v_lshl_add_u64 v[24:25], v[24:25], 1, v[12:13]
	s_load_dword s33, s[0:1], 0x98
	s_load_dword s12, s[0:1], 0x1c
	s_waitcnt lgkmcnt(0)
	s_barrier
	global_load_dwordx4 v[2:5], v[14:15], off
	v_lshl_or_b32 v8, v1, 9, v8
	v_lshl_add_u64 v[32:33], v[20:21], 0, v[6:7]
	v_lshl_add_u64 v[30:31], v[24:25], 0, v[6:7]
	ds_read_b128 v[16:19], v8
	ds_read_b128 v[8:11], v8 offset:2048
	global_load_dwordx4 v[20:23], v[32:33], off
	v_lshl_add_u64 v[12:13], v[26:27], 1, v[12:13]
	global_load_dwordx4 v[24:27], v[30:31], off
	v_lshl_add_u64 v[28:29], v[12:13], 0, v[6:7]
	global_load_dwordx4 v[12:15], v[14:15], off offset:1024
	s_nop 0
	global_load_dwordx4 v[40:43], v[28:29], off
	global_load_dwordx4 v[44:47], v[32:33], off offset:1024
	global_load_dwordx4 v[60:63], v[28:29], off offset:1024
	v_and_or_b32 v6, v0, 48, s18
	global_load_dwordx4 v[30:33], v[30:31], off offset:1024
	v_mov_b32_e32 v68, s19
	v_cmp_gt_i32_e32 vcc, s40, v6
	v_or_b32_e32 v28, 0x80, v6
	v_ashrrev_i32_e32 v29, 4, v28
	v_lshlrev_b32_e32 v35, 5, v55
	s_add_u32 s4, s10, s4
	s_addc_u32 s5, s11, s5
	s_mov_b32 s42, 0xff7fffff
	v_lshlrev_b32_e32 v55, 2, v55
	s_waitcnt vmcnt(3) lgkmcnt(1)
	v_mfma_f32_16x16x16_f16 v[64:67], v[40:41], v[16:17], 0
	v_mfma_f32_16x16x16_f16 v[36:39], v[2:3], v[16:17], 0
	v_ashrrev_i32_e32 v2, 4, v6
	v_mfma_f32_16x16x16_f16 v[48:51], v[20:21], v[16:17], 0
	v_or_b32_e32 v20, 64, v6
	v_ashrrev_i32_e32 v21, 4, v20
	v_or_b32_e32 v6, 0xc0, v6
	v_mfma_f32_16x16x16_f16 v[56:59], v[24:25], v[16:17], 0
	v_cndmask_b32_e32 v16, v68, v2, vcc
	v_ashrrev_i32_e32 v17, 31, v16
	v_lshl_add_u64 v[16:17], v[16:17], 2, s[6:7]
	v_mfma_f32_16x16x16_f16 v[2:5], v[4:5], v[18:19], v[36:39]
	v_cmp_gt_i32_e32 vcc, s40, v20
	s_nop 1
	global_load_dword v36, v[16:17], off
	v_cndmask_b32_e32 v24, v68, v21, vcc
	v_ashrrev_i32_e32 v25, 31, v24
	v_lshl_add_u64 v[16:17], v[24:25], 2, s[6:7]
	global_load_dword v37, v[16:17], off
	v_cmp_gt_i32_e32 vcc, s40, v28
	v_ashrrev_i32_e32 v38, 4, v6
	s_waitcnt lgkmcnt(0)
	v_mfma_f32_16x16x16_f16 v[2:5], v[12:13], v[8:9], v[2:5]
	v_cndmask_b32_e32 v12, v68, v29, vcc
	v_cmp_gt_i32_e32 vcc, s40, v6
	v_ashrrev_i32_e32 v13, 31, v12
	v_lshl_add_u64 v[12:13], v[12:13], 2, s[6:7]
	v_cndmask_b32_e32 v28, v68, v38, vcc
	v_ashrrev_i32_e32 v29, 31, v28
	v_mfma_f32_16x16x16_f16 v[24:27], v[26:27], v[18:19], v[56:59]
	v_lshl_add_u64 v[28:29], v[28:29], 2, s[6:7]
	s_nop 1
	global_load_dword v56, v[12:13], off
	global_load_dword v57, v[28:29], off
	v_lshl_or_b32 v6, v53, 9, v35
	v_mfma_f32_16x16x16_f16 v[20:23], v[22:23], v[18:19], v[48:51]
	v_lshl_add_u64 v[12:13], s[4:5], 0, v[6:7]
	v_mfma_f32_16x16x16_f16 v[16:19], v[42:43], v[18:19], v[64:67]
	s_waitcnt vmcnt(5)
	v_mfma_f32_16x16x16_f16 v[16:19], v[60:61], v[8:9], v[16:19]
	s_waitcnt vmcnt(4)
	v_mfma_f32_16x16x16_f16 v[24:27], v[30:31], v[8:9], v[24:27]
	v_mfma_f32_16x16x16_f16 v[28:31], v[14:15], v[10:11], v[2:5]
	;; [unrolled: 1-line block ×3, first 2 shown]
	s_waitcnt vmcnt(3)
	s_nop 0
	v_mad_i64_i32 v[2:3], s[4:5], v36, s45, 0
	v_lshl_add_u64 v[14:15], v[2:3], 1, v[12:13]
	global_load_dwordx4 v[6:9], v[14:15], off
	global_load_dwordx4 v[2:5], v[14:15], off offset:16
	v_mfma_f32_16x16x16_f16 v[14:17], v[62:63], v[10:11], v[16:19]
	s_waitcnt vmcnt(4)
	v_mad_i64_i32 v[36:37], s[4:5], v37, s45, 0
	v_lshl_add_u64 v[38:39], v[36:37], 1, v[12:13]
	v_mfma_f32_16x16x16_f16 v[20:23], v[46:47], v[10:11], v[20:23]
	v_pk_mul_f32 v[48:49], s[12:13], v[30:31] op_sel_hi:[0,1]
	s_nop 1
	v_pk_mul_f32 v[42:43], s[12:13], v[14:15] op_sel_hi:[0,1]
	v_and_b32_e32 v14, 0xc0, v0
	v_add_u32_e32 v14, s18, v14
	v_lshl_or_b32 v14, v1, 2, v14
	v_pk_mul_f32 v[36:37], s[12:13], v[16:17] op_sel_hi:[0,1]
	v_or_b32_e32 v17, 1, v14
	v_mfma_f32_16x16x16_f16 v[24:27], v[32:33], v[10:11], v[24:27]
	v_pk_mul_f32 v[10:11], s[12:13], v[28:29] op_sel_hi:[0,1]
	v_mov_b32_e32 v15, 0xff7fffff
	v_cmp_gt_i32_e64 s[4:5], s40, v14
	v_cmp_gt_i32_e64 s[34:35], s40, v17
	v_or_b32_e32 v18, 3, v14
	v_cndmask_b32_e64 v16, v15, v10, s[4:5]
	v_cndmask_b32_e64 v17, v15, v11, s[34:35]
	v_max3_f32 v16, v16, s42, v17
	v_or_b32_e32 v17, 2, v14
	v_cmp_gt_i32_e64 s[36:37], s40, v17
	v_cmp_gt_i32_e64 s[38:39], s40, v18
	v_pk_mul_f32 v[40:41], s[12:13], v[20:21] op_sel_hi:[0,1]
	v_cndmask_b32_e64 v17, v15, v48, s[36:37]
	v_cndmask_b32_e64 v18, v15, v49, s[38:39]
	v_max3_f32 v16, v16, v17, v18
	v_or_b32_e32 v17, 16, v14
	v_or_b32_e32 v18, 17, v14
	v_cmp_gt_i32_e64 s[24:25], s40, v17
	v_cmp_gt_i32_e64 s[26:27], s40, v18
	v_pk_mul_f32 v[50:51], s[12:13], v[22:23] op_sel_hi:[0,1]
	v_cndmask_b32_e64 v17, v15, v40, s[24:25]
	v_cndmask_b32_e64 v18, v15, v41, s[26:27]
	v_max3_f32 v16, v16, v17, v18
	v_or_b32_e32 v17, 18, v14
	;; [unrolled: 8-line block ×4, first 2 shown]
	v_or_b32_e32 v18, 35, v14
	v_cmp_gt_i32_e64 s[12:13], s40, v17
	v_cmp_gt_i32_e64 s[14:15], s40, v18
	global_load_dwordx4 v[30:33], v[38:39], off
	global_load_dwordx4 v[26:29], v[38:39], off offset:16
	v_cndmask_b32_e64 v17, v15, v44, s[12:13]
	v_cndmask_b32_e64 v18, v15, v45, s[14:15]
	v_max3_f32 v16, v16, v17, v18
	v_or_b32_e32 v17, 48, v14
	v_or_b32_e32 v18, 49, v14
	v_cmp_gt_i32_e64 s[8:9], s40, v17
	v_cmp_gt_i32_e64 s[10:11], s40, v18
	s_nop 0
	v_cndmask_b32_e64 v17, v15, v42, s[8:9]
	v_cndmask_b32_e64 v18, v15, v43, s[10:11]
	v_max3_f32 v16, v16, v17, v18
	v_or_b32_e32 v17, 50, v14
	v_or_b32_e32 v14, 51, v14
	v_cmp_gt_i32_e32 vcc, s40, v17
	v_cmp_gt_i32_e64 s[6:7], s40, v14
	s_nop 0
	v_cndmask_b32_e32 v17, v15, v36, vcc
	v_cndmask_b32_e64 v14, v15, v37, s[6:7]
	v_max3_f32 v16, v16, v17, v14
	v_mbcnt_lo_u32_b32 v14, -1, 0
	v_mbcnt_hi_u32_b32 v17, -1, v14
	v_and_b32_e32 v14, 64, v17
	v_add_u32_e32 v18, 64, v14
	v_xor_b32_e32 v14, 32, v17
	v_cmp_lt_i32_e64 s[40:41], v14, v18
	s_nop 1
	v_cndmask_b32_e64 v14, v17, v14, s[40:41]
	v_lshlrev_b32_e32 v58, 2, v14
	ds_bpermute_b32 v19, v58, v16
	s_waitcnt vmcnt(5)
	v_mad_i64_i32 v[14:15], s[40:41], v56, s45, 0
	v_lshl_add_u64 v[14:15], v[14:15], 1, v[12:13]
	s_waitcnt lgkmcnt(0)
	v_max_f32_e32 v19, v19, v19
	v_max_f32_e32 v16, v16, v19
	v_xor_b32_e32 v19, 16, v17
	v_cmp_lt_i32_e64 s[40:41], v19, v18
	s_nop 1
	v_cndmask_b32_e64 v17, v17, v19, s[40:41]
	v_lshlrev_b32_e32 v59, 2, v17
	ds_bpermute_b32 v17, v59, v16
	global_load_dwordx4 v[22:25], v[14:15], off
	global_load_dwordx4 v[18:21], v[14:15], off offset:16
	s_waitcnt vmcnt(6)
	v_mad_i64_i32 v[14:15], s[40:41], v57, s45, 0
	v_lshl_add_u64 v[12:13], v[14:15], 1, v[12:13]
	s_waitcnt lgkmcnt(0)
	v_max_f32_e32 v14, v17, v17
	v_max_f32_e32 v56, v16, v14
	v_sub_f32_e32 v10, v10, v56
	v_mul_f32_e32 v10, 0x3fb8aa3b, v10
	v_exp_f32_e32 v38, v10
	v_sub_f32_e32 v10, v11, v56
	v_mul_f32_e32 v10, 0x3fb8aa3b, v10
	v_exp_f32_e32 v39, v10
	global_load_dwordx4 v[14:17], v[12:13], off
	s_nop 0
	global_load_dwordx4 v[10:13], v[12:13], off offset:16
	v_sub_f32_e32 v48, v48, v56
	v_mul_f32_e32 v48, 0x3fb8aa3b, v48
	v_sub_f32_e32 v49, v49, v56
	v_exp_f32_e32 v48, v48
	v_mul_f32_e32 v49, 0x3fb8aa3b, v49
	v_sub_f32_e32 v40, v40, v56
	v_exp_f32_e32 v49, v49
	v_mul_f32_e32 v40, 0x3fb8aa3b, v40
	v_sub_f32_e32 v41, v41, v56
	v_cndmask_b32_e64 v38, 0, v38, s[4:5]
	v_exp_f32_e32 v40, v40
	v_mul_f32_e32 v41, 0x3fb8aa3b, v41
	v_sub_f32_e32 v50, v50, v56
	v_add_f32_e32 v57, 0, v38
	v_cndmask_b32_e64 v39, 0, v39, s[34:35]
	v_exp_f32_e32 v41, v41
	v_mul_f32_e32 v50, 0x3fb8aa3b, v50
	v_sub_f32_e32 v51, v51, v56
	v_add_f32_e32 v57, v57, v39
	;; [unrolled: 5-line block ×10, first 2 shown]
	v_cndmask_b32_e64 v44, 0, v44, s[12:13]
	v_exp_f32_e32 v36, v36
	v_mul_f32_e32 v37, 0x3fb8aa3b, v37
	v_add_f32_e32 v57, v57, v44
	v_cndmask_b32_e64 v45, 0, v45, s[14:15]
	v_exp_f32_e32 v37, v37
	v_add_f32_e32 v57, v57, v45
	v_cndmask_b32_e64 v42, 0, v42, s[8:9]
	v_add_f32_e32 v57, v57, v42
	v_cndmask_b32_e64 v43, 0, v43, s[10:11]
	v_add_f32_e32 v57, v57, v43
	v_cndmask_b32_e32 v36, 0, v36, vcc
	v_add_f32_e32 v57, v57, v36
	v_cndmask_b32_e64 v37, 0, v37, s[6:7]
	v_add_f32_e32 v57, v57, v37
	ds_bpermute_b32 v58, v58, v57
	v_cmp_gt_u32_e32 vcc, 16, v54
	s_waitcnt lgkmcnt(0)
	s_barrier
	v_add_f32_e32 v57, v57, v58
	ds_bpermute_b32 v58, v59, v57
	s_and_saveexec_b64 s[4:5], vcc
	s_cbranch_execz .LBB99_13
; %bb.12:
	s_waitcnt lgkmcnt(0)
	v_add_f32_e32 v54, v57, v58
	v_lshl_or_b32 v57, v53, 6, v55
	ds_write2st64_b32 v57, v56, v54 offset1:1
.LBB99_13:
	s_or_b64 exec, exec, s[4:5]
	s_load_dword s6, s[0:1], 0x94
	s_waitcnt lgkmcnt(0)
	s_barrier
	ds_read2_b32 v[56:57], v55 offset1:16
	ds_read2_b32 v[58:59], v55 offset0:32 offset1:48
	ds_read2_b32 v[60:61], v55 offset0:64 offset1:80
	s_lshl_b32 s7, s33, 3
	s_waitcnt lgkmcnt(2)
	v_max3_f32 v54, v56, s42, v57
	s_waitcnt lgkmcnt(1)
	v_max3_f32 v54, v54, v58, v59
	v_sub_f32_e32 v56, v56, v54
	v_mul_f32_e32 v56, 0x3fb8aa3b, v56
	v_exp_f32_e32 v62, v56
	v_sub_f32_e32 v56, v57, v54
	v_mul_f32_e32 v56, 0x3fb8aa3b, v56
	v_exp_f32_e32 v63, v56
	;; [unrolled: 3-line block ×3, first 2 shown]
	ds_read2_b32 v[56:57], v55 offset0:96 offset1:112
	v_sub_f32_e32 v55, v59, v54
	v_mul_f32_e32 v55, 0x3fb8aa3b, v55
	v_exp_f32_e32 v59, v55
	s_waitcnt lgkmcnt(1)
	v_fma_f32 v55, v62, v60, 0
	v_fmac_f32_e32 v55, v63, v61
	s_waitcnt lgkmcnt(0)
	v_fmac_f32_e32 v55, v58, v56
	v_fmac_f32_e32 v55, v59, v57
	v_add_f32_e32 v56, 0x358637bd, v55
	v_div_scale_f32 v57, s[4:5], v56, v56, 1.0
	v_rcp_f32_e32 v60, v57
	s_barrier
	v_fma_f32 v61, -v57, v60, 1.0
	v_fmac_f32_e32 v60, v61, v60
	v_div_scale_f32 v61, vcc, 1.0, v56, 1.0
	v_mul_f32_e32 v64, v61, v60
	v_fma_f32 v65, -v57, v64, v61
	v_fmac_f32_e32 v64, v65, v60
	v_fma_f32 v57, -v57, v64, v61
	v_div_fmas_f32 v57, v57, v60, v64
	v_cmp_eq_u32_e32 vcc, 1, v53
	v_div_fixup_f32 v56, v57, v56, 1.0
	s_nop 0
	v_cndmask_b32_e32 v57, v62, v63, vcc
	v_cmp_eq_u32_e32 vcc, 2, v53
	s_nop 1
	v_cndmask_b32_e32 v57, v57, v58, vcc
	v_cmp_eq_u32_e32 vcc, 3, v53
	s_nop 1
	v_cndmask_b32_e32 v57, v57, v59, vcc
	v_mul_f32_e32 v56, v57, v56
	v_pk_mul_f32 v[48:49], v[56:57], v[48:49] op_sel_hi:[0,1]
	v_pk_mul_f32 v[38:39], v[56:57], v[38:39] op_sel_hi:[0,1]
	v_cvt_f16_f32_e32 v57, v48
	v_cvt_f16_f32_e32 v49, v49
	;; [unrolled: 1-line block ×4, first 2 shown]
	v_cmp_gt_u32_e32 vcc, 8, v0
	v_pack_b32_f16 v49, v57, v49
	v_lshlrev_b32_e32 v57, 3, v1
	v_pack_b32_f16 v48, v38, v39
	v_pk_mul_f32 v[38:39], v[56:57], v[50:51] op_sel_hi:[0,1]
	v_pk_mul_f32 v[40:41], v[56:57], v[40:41] op_sel_hi:[0,1]
	v_cvt_f16_f32_e32 v40, v40
	v_cvt_f16_f32_e32 v41, v41
	;; [unrolled: 1-line block ×4, first 2 shown]
	v_lshlrev_b32_e32 v38, 11, v53
	v_or3_b32 v38, v38, v35, v57
	v_pack_b32_f16 v40, v40, v41
	v_pack_b32_f16 v41, v50, v39
	ds_write2st64_b64 v38, v[48:49], v[40:41] offset1:1
	v_pk_mul_f32 v[40:41], v[56:57], v[44:45] op_sel_hi:[0,1]
	v_pk_mul_f32 v[44:45], v[56:57], v[46:47] op_sel_hi:[0,1]
	v_cvt_f16_f32_e32 v39, v44
	v_cvt_f16_f32_e32 v44, v45
	;; [unrolled: 1-line block ×4, first 2 shown]
	v_pk_mul_f32 v[36:37], v[56:57], v[36:37] op_sel_hi:[0,1]
	v_pk_mul_f32 v[40:41], v[56:57], v[42:43] op_sel_hi:[0,1]
	v_cvt_f16_f32_e32 v40, v40
	v_cvt_f16_f32_e32 v41, v41
	;; [unrolled: 1-line block ×4, first 2 shown]
	v_pack_b32_f16 v36, v39, v44
	v_pack_b32_f16 v37, v45, v46
	;; [unrolled: 1-line block ×4, first 2 shown]
	ds_write2st64_b64 v38, v[36:37], v[40:41] offset0:2 offset1:3
	s_and_saveexec_b64 s[4:5], vcc
	s_cbranch_execz .LBB99_15
; %bb.14:
	v_or_b32_e32 v36, s29, v0
	v_mov_b32_e32 v37, 0
	v_mov_b32_e32 v39, s7
	v_mad_u64_u32 v[40:41], s[12:13], s2, v39, v[36:37]
	v_mov_b32_e32 v36, s28
	s_load_dwordx4 s[8:11], s[0:1], 0x58
	s_mul_i32 s3, s3, s7
	v_mad_u64_u32 v[36:37], s[12:13], v40, s6, v[36:37]
	v_add_u32_e32 v39, s3, v41
	v_mov_b32_e32 v40, v37
	v_mad_u64_u32 v[40:41], s[12:13], v39, s6, v[40:41]
	v_mov_b32_e32 v37, v40
	v_lshlrev_b64 v[36:37], 2, v[36:37]
	s_waitcnt lgkmcnt(0)
	v_lshl_add_u64 v[40:41], s[10:11], 0, v[36:37]
	v_lshl_add_u64 v[36:37], s[8:9], 0, v[36:37]
	global_store_dword v[40:41], v54, off
	global_store_dword v[36:37], v55, off
.LBB99_15:
	s_or_b64 exec, exec, s[4:5]
	v_lshl_or_b32 v35, v1, 9, v35
	s_waitcnt lgkmcnt(0)
	s_barrier
	ds_read_b128 v[40:43], v35
	ds_read_b128 v[44:47], v35 offset:16
	s_waitcnt vmcnt(7) lgkmcnt(1)
	v_mfma_f32_16x16x16_f16 v[48:51], v[6:7], v[40:41], 0
	v_cmp_gt_u32_e32 vcc, 64, v0
	s_mov_b32 s3, 0
	s_and_b64 s[4:5], vcc, s[30:31]
	v_mfma_f32_16x16x16_f16 v[6:9], v[8:9], v[42:43], v[48:51]
	s_waitcnt vmcnt(6) lgkmcnt(0)
	v_mfma_f32_16x16x16_f16 v[6:9], v[2:3], v[44:45], v[6:9]
	v_mfma_f32_16x16x16_f16 v[2:5], v[4:5], v[46:47], v[6:9]
	s_nop 5
	ds_read_b128 v[6:9], v35 offset:2048
	ds_read_b128 v[40:43], v35 offset:2064
	s_waitcnt vmcnt(5) lgkmcnt(1)
	v_mfma_f32_16x16x16_f16 v[2:5], v[30:31], v[6:7], v[2:5]
	v_mfma_f32_16x16x16_f16 v[2:5], v[32:33], v[8:9], v[2:5]
	s_waitcnt vmcnt(4) lgkmcnt(0)
	v_mfma_f32_16x16x16_f16 v[2:5], v[26:27], v[40:41], v[2:5]
	v_mfma_f32_16x16x16_f16 v[2:5], v[28:29], v[42:43], v[2:5]
	ds_read_b128 v[6:9], v35 offset:4096
	ds_read_b128 v[26:29], v35 offset:4112
	s_waitcnt vmcnt(3) lgkmcnt(1)
	v_mfma_f32_16x16x16_f16 v[2:5], v[22:23], v[6:7], v[2:5]
	v_mfma_f32_16x16x16_f16 v[2:5], v[24:25], v[8:9], v[2:5]
	s_waitcnt vmcnt(2) lgkmcnt(0)
	v_mfma_f32_16x16x16_f16 v[2:5], v[18:19], v[26:27], v[2:5]
	v_mfma_f32_16x16x16_f16 v[2:5], v[20:21], v[28:29], v[2:5]
	ds_read_b128 v[6:9], v35 offset:6144
	ds_read_b128 v[18:21], v35 offset:6160
	v_mov_b32_e32 v35, 0
	s_waitcnt vmcnt(1) lgkmcnt(0)
	v_mfma_f32_16x16x16_f16 v[2:5], v[14:15], v[6:7], v[2:5]
	s_barrier
	v_mfma_f32_16x16x16_f16 v[2:5], v[16:17], v[8:9], v[2:5]
	s_waitcnt vmcnt(0)
	v_mfma_f32_16x16x16_f16 v[2:5], v[10:11], v[18:19], v[2:5]
	v_mfma_f32_16x16x16_f16 v[2:5], v[12:13], v[20:21], v[2:5]
	s_nop 6
	v_cvt_f16_f32_e32 v2, v2
	v_cvt_f16_f32_e32 v3, v3
	;; [unrolled: 1-line block ×4, first 2 shown]
	v_pack_b32_f16 v2, v2, v3
	v_pack_b32_f16 v3, v4, v5
	ds_write_b64 v38, v[2:3]
	s_waitcnt lgkmcnt(0)
	s_barrier
	s_and_saveexec_b64 s[8:9], s[4:5]
	s_cbranch_execz .LBB99_17
; %bb.16:
	s_load_dwordx2 s[0:1], s[0:1], 0x68
	s_lshl_b32 s6, s6, 6
	s_mul_i32 s2, s7, s2
	s_mul_hi_u32 s5, s2, s6
	s_mul_i32 s4, s2, s6
	s_lshl_b64 s[4:5], s[4:5], 1
	v_lshlrev_b32_e32 v0, 10, v0
	s_waitcnt lgkmcnt(0)
	s_add_u32 s4, s0, s4
	v_and_b32_e32 v0, 0x1800, v0
	v_lshlrev_b32_e32 v2, 5, v1
	v_and_b32_e32 v3, 16, v52
	s_addc_u32 s5, s1, s5
	s_lshl_b32 s2, s28, 6
	v_or3_b32 v0, v0, v2, v3
	s_lshl_b64 s[0:1], s[2:3], 1
	ds_read_b128 v[2:5], v0
	ds_read_b128 v[6:9], v0 offset:128
	s_add_u32 s0, s4, s0
	s_addc_u32 s1, s5, s1
	v_or_b32_e32 v12, s29, v1
	v_lshl_add_u64 v[10:11], s[0:1], 0, v[34:35]
	v_mad_u64_u32 v[0:1], s[0:1], v12, s6, 0
	v_lshl_add_u64 v[0:1], v[0:1], 1, v[10:11]
	s_waitcnt lgkmcnt(1)
	global_store_dwordx4 v[0:1], v[2:5], off
	v_or_b32_e32 v0, 4, v12
	v_mad_u64_u32 v[0:1], s[0:1], v0, s6, 0
	v_lshl_add_u64 v[0:1], v[0:1], 1, v[10:11]
	s_waitcnt lgkmcnt(0)
	global_store_dwordx4 v[0:1], v[6:9], off
.LBB99_17:
	s_endpgm
	.section	.rodata,"a",@progbits
	.p2align	6, 0x0
	.amdhsa_kernel _Z39paged_attention_ll4mi_QKV_mfma16_kernelIDF16_DF16_LN4vllm18Fp8KVCacheDataTypeE0EDF16_Li16ELi64ELi256ELb0ELi8EEvPKT_PKT0_S7_ifPKiS9_S9_iPKfiiiPfSC_PS2_PT2_iSB_SB_
		.amdhsa_group_segment_fixed_size 8192
		.amdhsa_private_segment_fixed_size 0
		.amdhsa_kernarg_size 400
		.amdhsa_user_sgpr_count 2
		.amdhsa_user_sgpr_dispatch_ptr 0
		.amdhsa_user_sgpr_queue_ptr 0
		.amdhsa_user_sgpr_kernarg_segment_ptr 1
		.amdhsa_user_sgpr_dispatch_id 0
		.amdhsa_user_sgpr_kernarg_preload_length 0
		.amdhsa_user_sgpr_kernarg_preload_offset 0
		.amdhsa_user_sgpr_private_segment_size 0
		.amdhsa_uses_dynamic_stack 0
		.amdhsa_enable_private_segment 0
		.amdhsa_system_sgpr_workgroup_id_x 1
		.amdhsa_system_sgpr_workgroup_id_y 1
		.amdhsa_system_sgpr_workgroup_id_z 1
		.amdhsa_system_sgpr_workgroup_info 0
		.amdhsa_system_vgpr_workitem_id 0
		.amdhsa_next_free_vgpr 69
		.amdhsa_next_free_sgpr 48
		.amdhsa_accum_offset 72
		.amdhsa_reserve_vcc 1
		.amdhsa_float_round_mode_32 0
		.amdhsa_float_round_mode_16_64 0
		.amdhsa_float_denorm_mode_32 3
		.amdhsa_float_denorm_mode_16_64 3
		.amdhsa_dx10_clamp 1
		.amdhsa_ieee_mode 1
		.amdhsa_fp16_overflow 0
		.amdhsa_tg_split 0
		.amdhsa_exception_fp_ieee_invalid_op 0
		.amdhsa_exception_fp_denorm_src 0
		.amdhsa_exception_fp_ieee_div_zero 0
		.amdhsa_exception_fp_ieee_overflow 0
		.amdhsa_exception_fp_ieee_underflow 0
		.amdhsa_exception_fp_ieee_inexact 0
		.amdhsa_exception_int_div_zero 0
	.end_amdhsa_kernel
	.section	.text._Z39paged_attention_ll4mi_QKV_mfma16_kernelIDF16_DF16_LN4vllm18Fp8KVCacheDataTypeE0EDF16_Li16ELi64ELi256ELb0ELi8EEvPKT_PKT0_S7_ifPKiS9_S9_iPKfiiiPfSC_PS2_PT2_iSB_SB_,"axG",@progbits,_Z39paged_attention_ll4mi_QKV_mfma16_kernelIDF16_DF16_LN4vllm18Fp8KVCacheDataTypeE0EDF16_Li16ELi64ELi256ELb0ELi8EEvPKT_PKT0_S7_ifPKiS9_S9_iPKfiiiPfSC_PS2_PT2_iSB_SB_,comdat
.Lfunc_end99:
	.size	_Z39paged_attention_ll4mi_QKV_mfma16_kernelIDF16_DF16_LN4vllm18Fp8KVCacheDataTypeE0EDF16_Li16ELi64ELi256ELb0ELi8EEvPKT_PKT0_S7_ifPKiS9_S9_iPKfiiiPfSC_PS2_PT2_iSB_SB_, .Lfunc_end99-_Z39paged_attention_ll4mi_QKV_mfma16_kernelIDF16_DF16_LN4vllm18Fp8KVCacheDataTypeE0EDF16_Li16ELi64ELi256ELb0ELi8EEvPKT_PKT0_S7_ifPKiS9_S9_iPKfiiiPfSC_PS2_PT2_iSB_SB_
                                        ; -- End function
	.section	.AMDGPU.csdata,"",@progbits
; Kernel info:
; codeLenInByte = 3732
; NumSgprs: 54
; NumVgprs: 69
; NumAgprs: 0
; TotalNumVgprs: 69
; ScratchSize: 0
; MemoryBound: 0
; FloatMode: 240
; IeeeMode: 1
; LDSByteSize: 8192 bytes/workgroup (compile time only)
; SGPRBlocks: 6
; VGPRBlocks: 8
; NumSGPRsForWavesPerEU: 54
; NumVGPRsForWavesPerEU: 69
; AccumOffset: 72
; Occupancy: 7
; WaveLimiterHint : 1
; COMPUTE_PGM_RSRC2:SCRATCH_EN: 0
; COMPUTE_PGM_RSRC2:USER_SGPR: 2
; COMPUTE_PGM_RSRC2:TRAP_HANDLER: 0
; COMPUTE_PGM_RSRC2:TGID_X_EN: 1
; COMPUTE_PGM_RSRC2:TGID_Y_EN: 1
; COMPUTE_PGM_RSRC2:TGID_Z_EN: 1
; COMPUTE_PGM_RSRC2:TIDIG_COMP_CNT: 0
; COMPUTE_PGM_RSRC3_GFX90A:ACCUM_OFFSET: 17
; COMPUTE_PGM_RSRC3_GFX90A:TG_SPLIT: 0
	.section	.text._Z39paged_attention_ll4mi_QKV_mfma16_kernelIDF16_DF16_LN4vllm18Fp8KVCacheDataTypeE0EDF16_Li16ELi64ELi256ELb0ELi9EEvPKT_PKT0_S7_ifPKiS9_S9_iPKfiiiPfSC_PS2_PT2_iSB_SB_,"axG",@progbits,_Z39paged_attention_ll4mi_QKV_mfma16_kernelIDF16_DF16_LN4vllm18Fp8KVCacheDataTypeE0EDF16_Li16ELi64ELi256ELb0ELi9EEvPKT_PKT0_S7_ifPKiS9_S9_iPKfiiiPfSC_PS2_PT2_iSB_SB_,comdat
	.protected	_Z39paged_attention_ll4mi_QKV_mfma16_kernelIDF16_DF16_LN4vllm18Fp8KVCacheDataTypeE0EDF16_Li16ELi64ELi256ELb0ELi9EEvPKT_PKT0_S7_ifPKiS9_S9_iPKfiiiPfSC_PS2_PT2_iSB_SB_ ; -- Begin function _Z39paged_attention_ll4mi_QKV_mfma16_kernelIDF16_DF16_LN4vllm18Fp8KVCacheDataTypeE0EDF16_Li16ELi64ELi256ELb0ELi9EEvPKT_PKT0_S7_ifPKiS9_S9_iPKfiiiPfSC_PS2_PT2_iSB_SB_
	.globl	_Z39paged_attention_ll4mi_QKV_mfma16_kernelIDF16_DF16_LN4vllm18Fp8KVCacheDataTypeE0EDF16_Li16ELi64ELi256ELb0ELi9EEvPKT_PKT0_S7_ifPKiS9_S9_iPKfiiiPfSC_PS2_PT2_iSB_SB_
	.p2align	8
	.type	_Z39paged_attention_ll4mi_QKV_mfma16_kernelIDF16_DF16_LN4vllm18Fp8KVCacheDataTypeE0EDF16_Li16ELi64ELi256ELb0ELi9EEvPKT_PKT0_S7_ifPKiS9_S9_iPKfiiiPfSC_PS2_PT2_iSB_SB_,@function
_Z39paged_attention_ll4mi_QKV_mfma16_kernelIDF16_DF16_LN4vllm18Fp8KVCacheDataTypeE0EDF16_Li16ELi64ELi256ELb0ELi9EEvPKT_PKT0_S7_ifPKiS9_S9_iPKfiiiPfSC_PS2_PT2_iSB_SB_: ; @_Z39paged_attention_ll4mi_QKV_mfma16_kernelIDF16_DF16_LN4vllm18Fp8KVCacheDataTypeE0EDF16_Li16ELi64ELi256ELb0ELi9EEvPKT_PKT0_S7_ifPKiS9_S9_iPKfiiiPfSC_PS2_PT2_iSB_SB_
; %bb.0:
	s_load_dwordx2 s[12:13], s[0:1], 0x30
	s_mov_b32 s28, s3
	s_mov_b64 s[6:7], 0
	s_waitcnt lgkmcnt(0)
	s_cmp_lg_u64 s[12:13], 0
	s_cselect_b64 s[14:15], -1, 0
	s_and_b64 vcc, exec, s[14:15]
	s_cbranch_vccz .LBB100_7
; %bb.1:
	s_add_i32 s8, s2, 1
	s_mov_b32 s9, 0
	s_lshl_b64 s[10:11], s[8:9], 2
	s_add_u32 s10, s12, s10
	s_mov_b32 s3, s9
	s_addc_u32 s11, s13, s11
	s_lshl_b64 s[8:9], s[2:3], 2
	s_add_u32 s8, s12, s8
	s_addc_u32 s9, s13, s9
	s_load_dword s5, s[10:11], 0x0
	s_load_dword s16, s[8:9], 0x0
	s_waitcnt lgkmcnt(0)
	s_sub_i32 s5, s5, s16
	s_cmp_eq_u32 s5, 1
	s_cselect_b64 s[8:9], -1, 0
	s_andn2_b64 vcc, exec, s[6:7]
	s_cbranch_vccnz .LBB100_3
.LBB100_2:
	s_mov_b32 s3, 0
	s_mov_b64 s[8:9], -1
.LBB100_3:
	s_andn2_b64 vcc, exec, s[8:9]
	s_cbranch_vccnz .LBB100_18
; %bb.4:
	s_load_dwordx2 s[6:7], s[0:1], 0x28
	s_lshl_b64 s[16:17], s[2:3], 2
	s_waitcnt lgkmcnt(0)
	s_add_u32 s6, s6, s16
	s_addc_u32 s7, s7, s17
	s_load_dword s33, s[6:7], 0x0
	s_lshl_b32 s18, s28, 8
	s_waitcnt lgkmcnt(0)
	s_cmp_ge_i32 s18, s33
	s_cbranch_scc1 .LBB100_18
; %bb.5:
	s_load_dwordx2 s[6:7], s[0:1], 0x20
	s_load_dword s5, s[0:1], 0x38
	s_add_i32 s8, s33, 15
	s_ashr_i32 s9, s8, 31
	v_and_b32_e32 v1, 0xcf, v0
	s_lshr_b32 s9, s9, 28
	v_add_u32_e32 v1, s18, v1
	s_add_i32 s8, s8, s9
	v_ashrrev_i32_e32 v2, 31, v1
	s_ashr_i32 s19, s8, 4
	v_lshrrev_b32_e32 v6, 28, v2
	s_add_i32 s19, s19, -1
	s_waitcnt lgkmcnt(0)
	s_mul_i32 s8, s2, s5
	s_mov_b32 s9, 0
	v_add_u32_e32 v2, v1, v6
	s_lshl_b64 s[8:9], s[8:9], 2
	v_ashrrev_i32_e32 v2, 4, v2
	v_mov_b32_e32 v7, s19
	v_cmp_gt_i32_e32 vcc, s33, v1
	s_add_u32 s6, s6, s8
	s_addc_u32 s7, s7, s9
	v_cndmask_b32_e32 v2, v7, v2, vcc
	v_ashrrev_i32_e32 v3, 31, v2
	v_lshl_add_u64 v[4:5], v[2:3], 2, s[6:7]
	v_or_b32_e32 v2, 16, v1
	v_add_u32_e32 v3, v2, v6
	v_ashrrev_i32_e32 v3, 4, v3
	v_cmp_gt_i32_e32 vcc, s33, v2
	s_load_dwordx4 s[8:11], s[0:1], 0x8
	s_nop 0
	v_cndmask_b32_e32 v2, v7, v3, vcc
	v_ashrrev_i32_e32 v3, 31, v2
	v_lshl_add_u64 v[8:9], v[2:3], 2, s[6:7]
	v_or_b32_e32 v2, 32, v1
	v_add_u32_e32 v3, v2, v6
	v_ashrrev_i32_e32 v3, 4, v3
	v_cmp_gt_i32_e32 vcc, s33, v2
	v_or_b32_e32 v1, 48, v1
	s_nop 0
	v_cndmask_b32_e32 v2, v7, v3, vcc
	v_ashrrev_i32_e32 v3, 31, v2
	v_lshl_add_u64 v[12:13], v[2:3], 2, s[6:7]
	v_add_u32_e32 v2, v1, v6
	v_ashrrev_i32_e32 v2, 4, v2
	v_cmp_gt_i32_e32 vcc, s33, v1
	s_nop 1
	v_cndmask_b32_e32 v2, v7, v2, vcc
	v_ashrrev_i32_e32 v3, 31, v2
	v_lshl_add_u64 v[14:15], v[2:3], 2, s[6:7]
	global_load_dword v2, v[4:5], off
	global_load_dword v6, v[8:9], off
	;; [unrolled: 1-line block ×4, first 2 shown]
	s_andn2_b64 vcc, exec, s[14:15]
	s_cbranch_vccnz .LBB100_8
; %bb.6:
	s_add_u32 s12, s12, s16
	s_addc_u32 s13, s13, s17
	s_load_dword s5, s[12:13], 0x0
	s_branch .LBB100_9
.LBB100_7:
	s_mov_b64 s[8:9], 0
	s_branch .LBB100_2
.LBB100_8:
	s_mov_b32 s5, s2
.LBB100_9:
	s_load_dwordx4 s[44:47], s[0:1], 0x48
	v_lshrrev_b32_e32 v37, 6, v0
	v_bfe_u32 v54, v0, 4, 2
	v_lshl_or_b32 v1, v37, 2, v54
	v_and_b32_e32 v36, 15, v0
	v_lshlrev_b32_e32 v3, 3, v36
	v_cmp_gt_u32_e32 vcc, 9, v1
	v_cmp_gt_u32_e64 s[30:31], 8, v36
	v_and_b32_e32 v55, 63, v0
	s_mul_i32 s42, s4, 9
	s_and_b64 s[14:15], s[30:31], vcc
	v_lshlrev_b32_e32 v34, 1, v3
	s_and_saveexec_b64 s[12:13], s[14:15]
	s_cbranch_execz .LBB100_11
; %bb.10:
	s_load_dwordx2 s[14:15], s[0:1], 0x0
	s_waitcnt lgkmcnt(0)
	s_ashr_i32 s16, s44, 31
	s_mul_hi_u32 s17, s5, s44
	s_mul_i32 s16, s5, s16
	s_add_i32 s17, s17, s16
	s_mul_i32 s16, s5, s44
	s_lshl_b64 s[16:17], s[16:17], 1
	s_add_u32 s14, s14, s16
	v_add_lshl_u32 v4, v1, s42, 6
	s_addc_u32 s15, s15, s17
	v_ashrrev_i32_e32 v5, 31, v4
	v_lshl_add_u64 v[4:5], v[4:5], 1, s[14:15]
	v_mov_b32_e32 v35, 0
	v_lshl_add_u64 v[4:5], v[4:5], 0, v[34:35]
	global_load_dwordx4 v[12:15], v[4:5], off
	v_and_b32_e32 v3, 3, v0
	v_lshlrev_b32_e32 v4, 9, v36
	v_lshlrev_b32_e32 v1, 5, v1
	;; [unrolled: 1-line block ×3, first 2 shown]
	v_and_b32_e32 v4, 0x1800, v4
	v_or3_b32 v1, v4, v3, v1
	s_waitcnt vmcnt(0)
	ds_write_b128 v1, v[12:15]
.LBB100_11:
	s_or_b64 exec, exec, s[12:13]
	s_waitcnt lgkmcnt(0)
	s_mul_i32 s4, s4, s46
	s_mov_b32 s5, 0
	s_lshl_b64 s[4:5], s[4:5], 1
	s_add_u32 s8, s8, s4
	v_lshlrev_b32_e32 v1, 4, v0
	s_addc_u32 s9, s9, s5
	v_and_b32_e32 v30, 0xf0, v1
	v_mov_b32_e32 v31, 0
	v_lshl_add_u64 v[18:19], s[8:9], 0, v[30:31]
	s_waitcnt vmcnt(3)
	v_mad_i64_i32 v[2:3], s[8:9], v2, s45, 0
	v_lshl_add_u64 v[2:3], v[2:3], 1, v[18:19]
	v_and_b32_e32 v30, 0x300, v1
	v_lshl_add_u64 v[14:15], v[2:3], 0, v[30:31]
	s_load_dword s29, s[0:1], 0x98
	s_load_dword s12, s[0:1], 0x1c
	s_waitcnt lgkmcnt(0)
	s_barrier
	global_load_dwordx4 v[2:5], v[14:15], off
	global_load_dwordx4 v[26:29], v[14:15], off offset:1024
	s_waitcnt vmcnt(3)
	v_mad_i64_i32 v[10:11], s[8:9], v10, s45, 0
	v_lshl_add_u64 v[10:11], v[10:11], 1, v[18:19]
	v_lshl_add_u64 v[38:39], v[10:11], 0, v[30:31]
	global_load_dwordx4 v[10:13], v[38:39], off
	global_load_dwordx4 v[56:59], v[38:39], off offset:1024
	v_mad_i64_i32 v[6:7], s[8:9], v6, s45, 0
	v_lshl_add_u64 v[6:7], v[6:7], 1, v[18:19]
	v_lshl_add_u64 v[32:33], v[6:7], 0, v[30:31]
	global_load_dwordx4 v[6:9], v[32:33], off
	global_load_dwordx4 v[46:49], v[32:33], off offset:1024
	s_waitcnt vmcnt(6)
	v_mad_i64_i32 v[16:17], s[8:9], v16, s45, 0
	v_lshl_add_u64 v[16:17], v[16:17], 1, v[18:19]
	v_lshl_add_u64 v[40:41], v[16:17], 0, v[30:31]
	global_load_dwordx4 v[18:21], v[40:41], off
	v_add_u32_e32 v16, -9, v36
	v_cmp_gt_u32_e32 vcc, 9, v36
	global_load_dwordx4 v[38:41], v[40:41], off offset:1024
	v_and_or_b32 v30, v0, 48, s18
	v_cndmask_b32_e32 v16, v16, v36, vcc
	v_lshlrev_b32_e32 v16, 5, v16
	v_lshl_add_u32 v16, v54, 9, v16
	ds_read_b128 v[22:25], v16
	v_mov_b32_e32 v68, s19
	v_cmp_gt_i32_e32 vcc, s33, v30
	v_or_b32_e32 v32, 64, v30
	ds_read_b128 v[14:17], v16 offset:2048
	v_lshlrev_b32_e32 v35, 5, v36
	s_add_u32 s4, s10, s4
	s_addc_u32 s5, s11, s5
	s_mov_b32 s43, 0xff7fffff
	s_waitcnt vmcnt(7) lgkmcnt(1)
	v_mfma_f32_16x16x16_f16 v[42:45], v[2:3], v[22:23], 0
	v_ashrrev_i32_e32 v2, 4, v30
	v_cndmask_b32_e32 v2, v68, v2, vcc
	v_ashrrev_i32_e32 v3, 31, v2
	s_waitcnt vmcnt(5)
	v_mfma_f32_16x16x16_f16 v[60:63], v[10:11], v[22:23], 0
	v_lshl_add_u64 v[10:11], v[2:3], 2, s[6:7]
	v_cmp_gt_i32_e32 vcc, s33, v32
	v_mfma_f32_16x16x16_f16 v[2:5], v[4:5], v[24:25], v[42:45]
	s_nop 2
	global_load_dword v42, v[10:11], off
	s_waitcnt vmcnt(4)
	v_mfma_f32_16x16x16_f16 v[50:53], v[6:7], v[22:23], 0
	v_ashrrev_i32_e32 v6, 4, v32
	v_cndmask_b32_e32 v6, v68, v6, vcc
	v_ashrrev_i32_e32 v7, 31, v6
	v_lshl_add_u64 v[10:11], v[6:7], 2, s[6:7]
	global_load_dword v43, v[10:11], off
	s_waitcnt vmcnt(3)
	v_mfma_f32_16x16x16_f16 v[64:67], v[18:19], v[22:23], 0
	v_or_b32_e32 v22, 0x80, v30
	v_or_b32_e32 v23, 0xc0, v30
	v_ashrrev_i32_e32 v30, 4, v22
	v_cmp_gt_i32_e32 vcc, s33, v22
	v_ashrrev_i32_e32 v32, 4, v23
	v_mfma_f32_16x16x16_f16 v[6:9], v[8:9], v[24:25], v[50:53]
	v_cndmask_b32_e32 v22, v68, v30, vcc
	v_cmp_gt_i32_e32 vcc, s33, v23
	v_ashrrev_i32_e32 v23, 31, v22
	v_mfma_f32_16x16x16_f16 v[10:13], v[12:13], v[24:25], v[60:63]
	v_lshl_or_b32 v30, v37, 9, v35
	v_mfma_f32_16x16x16_f16 v[18:21], v[20:21], v[24:25], v[64:67]
	v_cndmask_b32_e32 v24, v68, v32, vcc
	v_ashrrev_i32_e32 v25, 31, v24
	v_lshl_add_u64 v[32:33], v[24:25], 2, s[6:7]
	s_waitcnt lgkmcnt(0)
	v_mfma_f32_16x16x16_f16 v[2:5], v[26:27], v[14:15], v[2:5]
	v_lshl_add_u64 v[26:27], v[22:23], 2, s[6:7]
	global_load_dword v60, v[26:27], off
	global_load_dword v61, v[32:33], off
	v_mfma_f32_16x16x16_f16 v[6:9], v[46:47], v[14:15], v[6:9]
	v_mfma_f32_16x16x16_f16 v[22:25], v[56:57], v[14:15], v[10:13]
	s_waitcnt vmcnt(4)
	v_mfma_f32_16x16x16_f16 v[18:21], v[38:39], v[14:15], v[18:21]
	s_nop 0
	v_lshl_add_u64 v[10:11], s[4:5], 0, v[30:31]
	s_waitcnt vmcnt(3)
	v_mad_i64_i32 v[26:27], s[4:5], v42, s45, 0
	v_mfma_f32_16x16x16_f16 v[12:15], v[28:29], v[16:17], v[2:5]
	v_lshl_add_u64 v[30:31], v[26:27], 1, v[10:11]
	s_waitcnt vmcnt(2)
	v_mad_i64_i32 v[32:33], s[4:5], v43, s45, 0
	v_mfma_f32_16x16x16_f16 v[26:29], v[48:49], v[16:17], v[6:9]
	s_nop 2
	v_pk_mul_f32 v[50:51], s[12:13], v[14:15] op_sel_hi:[0,1]
	v_pk_mul_f32 v[12:13], s[12:13], v[12:13] op_sel_hi:[0,1]
	v_lshl_add_u64 v[56:57], v[32:33], 1, v[10:11]
	v_mfma_f32_16x16x16_f16 v[22:25], v[58:59], v[16:17], v[22:25]
	global_load_dwordx4 v[6:9], v[30:31], off
	global_load_dwordx4 v[2:5], v[30:31], off offset:16
	v_pk_mul_f32 v[42:43], s[12:13], v[26:27] op_sel_hi:[0,1]
	v_pk_mul_f32 v[52:53], s[12:13], v[28:29] op_sel_hi:[0,1]
	v_mfma_f32_16x16x16_f16 v[14:17], v[40:41], v[16:17], v[18:21]
	s_nop 1
	v_pk_mul_f32 v[48:49], s[12:13], v[22:23] op_sel_hi:[0,1]
	v_pk_mul_f32 v[46:47], s[12:13], v[24:25] op_sel_hi:[0,1]
	global_load_dwordx4 v[30:33], v[56:57], off
	global_load_dwordx4 v[26:29], v[56:57], off offset:16
	s_nop 0
	v_pk_mul_f32 v[44:45], s[12:13], v[14:15] op_sel_hi:[0,1]
	v_and_b32_e32 v14, 0xc0, v0
	v_add_u32_e32 v14, s18, v14
	v_lshl_or_b32 v14, v54, 2, v14
	v_pk_mul_f32 v[38:39], s[12:13], v[16:17] op_sel_hi:[0,1]
	v_or_b32_e32 v17, 1, v14
	v_mov_b32_e32 v15, 0xff7fffff
	v_cmp_gt_i32_e64 s[4:5], s33, v14
	v_cmp_gt_i32_e64 s[34:35], s33, v17
	v_or_b32_e32 v18, 3, v14
	v_cndmask_b32_e64 v16, v15, v12, s[4:5]
	v_cndmask_b32_e64 v17, v15, v13, s[34:35]
	v_max3_f32 v16, v16, s43, v17
	v_or_b32_e32 v17, 2, v14
	v_cmp_gt_i32_e64 s[36:37], s33, v17
	v_cmp_gt_i32_e64 s[38:39], s33, v18
	s_nop 0
	v_cndmask_b32_e64 v17, v15, v50, s[36:37]
	v_cndmask_b32_e64 v18, v15, v51, s[38:39]
	v_max3_f32 v16, v16, v17, v18
	v_or_b32_e32 v17, 16, v14
	v_or_b32_e32 v18, 17, v14
	v_cmp_gt_i32_e64 s[24:25], s33, v17
	v_cmp_gt_i32_e64 s[26:27], s33, v18
	s_nop 0
	v_cndmask_b32_e64 v17, v15, v42, s[24:25]
	v_cndmask_b32_e64 v18, v15, v43, s[26:27]
	v_max3_f32 v16, v16, v17, v18
	v_or_b32_e32 v17, 18, v14
	;; [unrolled: 8-line block ×6, first 2 shown]
	v_or_b32_e32 v14, 51, v14
	v_cmp_gt_i32_e32 vcc, s33, v17
	v_cmp_gt_i32_e64 s[6:7], s33, v14
	s_nop 0
	v_cndmask_b32_e32 v17, v15, v38, vcc
	v_cndmask_b32_e64 v14, v15, v39, s[6:7]
	v_max3_f32 v16, v16, v17, v14
	v_mbcnt_lo_u32_b32 v14, -1, 0
	v_mbcnt_hi_u32_b32 v17, -1, v14
	v_and_b32_e32 v14, 64, v17
	v_add_u32_e32 v18, 64, v14
	v_xor_b32_e32 v14, 32, v17
	v_cmp_lt_i32_e64 s[40:41], v14, v18
	s_nop 1
	v_cndmask_b32_e64 v14, v17, v14, s[40:41]
	v_lshlrev_b32_e32 v58, 2, v14
	ds_bpermute_b32 v19, v58, v16
	s_waitcnt vmcnt(5)
	v_mad_i64_i32 v[14:15], s[40:41], v60, s45, 0
	v_lshl_add_u64 v[14:15], v[14:15], 1, v[10:11]
	s_waitcnt lgkmcnt(0)
	v_max_f32_e32 v19, v19, v19
	v_max_f32_e32 v16, v16, v19
	v_xor_b32_e32 v19, 16, v17
	v_cmp_lt_i32_e64 s[40:41], v19, v18
	s_nop 1
	v_cndmask_b32_e64 v17, v17, v19, s[40:41]
	v_lshlrev_b32_e32 v57, 2, v17
	ds_bpermute_b32 v17, v57, v16
	global_load_dwordx4 v[22:25], v[14:15], off
	global_load_dwordx4 v[18:21], v[14:15], off offset:16
	s_waitcnt vmcnt(6)
	v_mad_i64_i32 v[14:15], s[40:41], v61, s45, 0
	v_lshl_add_u64 v[10:11], v[14:15], 1, v[10:11]
	s_waitcnt lgkmcnt(0)
	v_max_f32_e32 v14, v17, v17
	v_max_f32_e32 v56, v16, v14
	v_sub_f32_e32 v12, v12, v56
	v_mul_f32_e32 v12, 0x3fb8aa3b, v12
	v_exp_f32_e32 v40, v12
	v_sub_f32_e32 v12, v13, v56
	v_mul_f32_e32 v12, 0x3fb8aa3b, v12
	v_exp_f32_e32 v41, v12
	global_load_dwordx4 v[14:17], v[10:11], off
	s_nop 0
	global_load_dwordx4 v[10:13], v[10:11], off offset:16
	v_sub_f32_e32 v50, v50, v56
	v_mul_f32_e32 v50, 0x3fb8aa3b, v50
	v_sub_f32_e32 v51, v51, v56
	v_exp_f32_e32 v50, v50
	v_mul_f32_e32 v51, 0x3fb8aa3b, v51
	v_sub_f32_e32 v42, v42, v56
	v_exp_f32_e32 v51, v51
	v_mul_f32_e32 v42, 0x3fb8aa3b, v42
	v_sub_f32_e32 v43, v43, v56
	v_cndmask_b32_e64 v40, 0, v40, s[4:5]
	v_exp_f32_e32 v42, v42
	v_mul_f32_e32 v43, 0x3fb8aa3b, v43
	v_sub_f32_e32 v52, v52, v56
	v_add_f32_e32 v59, 0, v40
	v_cndmask_b32_e64 v41, 0, v41, s[34:35]
	v_exp_f32_e32 v43, v43
	v_mul_f32_e32 v52, 0x3fb8aa3b, v52
	v_sub_f32_e32 v53, v53, v56
	v_add_f32_e32 v59, v59, v41
	;; [unrolled: 5-line block ×10, first 2 shown]
	v_cndmask_b32_e64 v46, 0, v46, s[12:13]
	v_exp_f32_e32 v38, v38
	v_mul_f32_e32 v39, 0x3fb8aa3b, v39
	v_add_f32_e32 v59, v59, v46
	v_cndmask_b32_e64 v47, 0, v47, s[14:15]
	v_exp_f32_e32 v39, v39
	v_add_f32_e32 v59, v59, v47
	v_cndmask_b32_e64 v44, 0, v44, s[8:9]
	v_add_f32_e32 v59, v59, v44
	v_cndmask_b32_e64 v45, 0, v45, s[10:11]
	v_add_f32_e32 v59, v59, v45
	v_cndmask_b32_e32 v38, 0, v38, vcc
	v_add_f32_e32 v59, v59, v38
	v_cndmask_b32_e64 v39, 0, v39, s[6:7]
	v_add_f32_e32 v59, v59, v39
	ds_bpermute_b32 v58, v58, v59
	v_cmp_gt_u32_e64 s[6:7], 16, v55
	s_waitcnt lgkmcnt(0)
	s_barrier
	v_add_f32_e32 v58, v59, v58
	ds_bpermute_b32 v59, v57, v58
	v_lshlrev_b32_e32 v57, 2, v36
	s_and_saveexec_b64 s[4:5], s[6:7]
	s_cbranch_execz .LBB100_13
; %bb.12:
	s_waitcnt lgkmcnt(0)
	v_add_f32_e32 v55, v58, v59
	v_lshl_or_b32 v58, v37, 6, v57
	ds_write2st64_b32 v58, v56, v55 offset1:1
.LBB100_13:
	s_or_b64 exec, exec, s[4:5]
	s_load_dword s8, s[0:1], 0x94
	s_waitcnt lgkmcnt(0)
	s_barrier
	ds_read2_b32 v[58:59], v57 offset1:16
	ds_read2_b32 v[60:61], v57 offset0:32 offset1:48
	ds_read2_b32 v[62:63], v57 offset0:64 offset1:80
	s_mul_i32 s9, s29, 9
	s_waitcnt lgkmcnt(2)
	v_max3_f32 v55, v58, s43, v59
	s_waitcnt lgkmcnt(1)
	v_max3_f32 v55, v55, v60, v61
	v_sub_f32_e32 v56, v58, v55
	v_mul_f32_e32 v56, 0x3fb8aa3b, v56
	v_exp_f32_e32 v64, v56
	v_sub_f32_e32 v56, v59, v55
	v_mul_f32_e32 v56, 0x3fb8aa3b, v56
	v_exp_f32_e32 v65, v56
	;; [unrolled: 3-line block ×3, first 2 shown]
	ds_read2_b32 v[58:59], v57 offset0:96 offset1:112
	v_sub_f32_e32 v56, v61, v55
	v_mul_f32_e32 v56, 0x3fb8aa3b, v56
	v_exp_f32_e32 v57, v56
	s_waitcnt lgkmcnt(1)
	v_fma_f32 v56, v64, v62, 0
	v_fmac_f32_e32 v56, v65, v63
	s_waitcnt lgkmcnt(0)
	v_fmac_f32_e32 v56, v60, v58
	v_fmac_f32_e32 v56, v57, v59
	v_add_f32_e32 v58, 0x358637bd, v56
	v_div_scale_f32 v59, s[4:5], v58, v58, 1.0
	v_rcp_f32_e32 v61, v59
	s_barrier
	v_fma_f32 v62, -v59, v61, 1.0
	v_fmac_f32_e32 v61, v62, v61
	v_div_scale_f32 v62, vcc, 1.0, v58, 1.0
	v_mul_f32_e32 v63, v62, v61
	v_fma_f32 v66, -v59, v63, v62
	v_fmac_f32_e32 v63, v66, v61
	v_fma_f32 v59, -v59, v63, v62
	v_div_fmas_f32 v59, v59, v61, v63
	v_cmp_eq_u32_e32 vcc, 1, v37
	v_div_fixup_f32 v58, v59, v58, 1.0
	s_nop 0
	v_cndmask_b32_e32 v59, v64, v65, vcc
	v_cmp_eq_u32_e32 vcc, 2, v37
	s_nop 1
	v_cndmask_b32_e32 v59, v59, v60, vcc
	v_cmp_eq_u32_e32 vcc, 3, v37
	v_lshlrev_b32_e32 v37, 11, v37
	s_nop 0
	v_cndmask_b32_e32 v57, v59, v57, vcc
	v_mul_f32_e32 v58, v57, v58
	v_pk_mul_f32 v[40:41], v[58:59], v[40:41] op_sel_hi:[0,1]
	v_cvt_f16_f32_e32 v40, v40
	v_cvt_f16_f32_e32 v41, v41
	v_pk_mul_f32 v[50:51], v[58:59], v[50:51] op_sel_hi:[0,1]
	v_cvt_f16_f32_e32 v57, v50
	v_cvt_f16_f32_e32 v51, v51
	v_pack_b32_f16 v50, v40, v41
	v_pk_mul_f32 v[40:41], v[58:59], v[52:53] op_sel_hi:[0,1]
	v_pk_mul_f32 v[42:43], v[58:59], v[42:43] op_sel_hi:[0,1]
	v_cvt_f16_f32_e32 v42, v42
	v_cvt_f16_f32_e32 v43, v43
	;; [unrolled: 1-line block ×4, first 2 shown]
	v_pack_b32_f16 v51, v57, v51
	v_lshlrev_b32_e32 v57, 3, v54
	v_or3_b32 v40, v37, v35, v57
	v_pack_b32_f16 v42, v42, v43
	v_pack_b32_f16 v43, v52, v41
	ds_write2st64_b64 v40, v[50:51], v[42:43] offset1:1
	v_pk_mul_f32 v[42:43], v[58:59], v[46:47] op_sel_hi:[0,1]
	v_pk_mul_f32 v[46:47], v[58:59], v[48:49] op_sel_hi:[0,1]
	v_cvt_f16_f32_e32 v37, v46
	v_cvt_f16_f32_e32 v41, v47
	;; [unrolled: 1-line block ×4, first 2 shown]
	v_pk_mul_f32 v[38:39], v[58:59], v[38:39] op_sel_hi:[0,1]
	v_pk_mul_f32 v[42:43], v[58:59], v[44:45] op_sel_hi:[0,1]
	v_cvt_f16_f32_e32 v42, v42
	v_cvt_f16_f32_e32 v43, v43
	v_cvt_f16_f32_e32 v44, v38
	v_cvt_f16_f32_e32 v45, v39
	v_pack_b32_f16 v38, v37, v41
	v_pack_b32_f16 v39, v46, v47
	;; [unrolled: 1-line block ×4, first 2 shown]
	v_cmp_gt_u32_e32 vcc, 9, v0
	ds_write2st64_b64 v40, v[38:39], v[42:43] offset0:2 offset1:3
	s_and_saveexec_b64 s[4:5], vcc
	s_cbranch_execz .LBB100_15
; %bb.14:
	s_mov_b32 s43, 0
	v_mov_b32_e32 v37, 0
	v_lshl_add_u64 v[38:39], s[42:43], 0, v[36:37]
	v_mov_b32_e32 v36, s9
	v_mad_u64_u32 v[38:39], s[10:11], s2, v36, v[38:39]
	v_mov_b32_e32 v36, s28
	s_load_dwordx4 s[12:15], s[0:1], 0x58
	s_mul_i32 s3, s3, s9
	v_mad_u64_u32 v[36:37], s[10:11], v38, s8, v[36:37]
	v_add_u32_e32 v39, s3, v39
	v_mov_b32_e32 v38, v37
	v_mad_u64_u32 v[38:39], s[10:11], v39, s8, v[38:39]
	v_mov_b32_e32 v37, v38
	v_lshlrev_b64 v[36:37], 2, v[36:37]
	s_waitcnt lgkmcnt(0)
	v_lshl_add_u64 v[38:39], s[14:15], 0, v[36:37]
	v_lshl_add_u64 v[36:37], s[12:13], 0, v[36:37]
	global_store_dword v[38:39], v55, off
	global_store_dword v[36:37], v56, off
.LBB100_15:
	s_or_b64 exec, exec, s[4:5]
	v_lshl_or_b32 v35, v54, 9, v35
	s_waitcnt lgkmcnt(0)
	s_barrier
	ds_read_b128 v[36:39], v35
	ds_read_b128 v[42:45], v35 offset:16
	s_waitcnt vmcnt(7) lgkmcnt(1)
	v_mfma_f32_16x16x16_f16 v[46:49], v[6:7], v[36:37], 0
	v_cmp_gt_u32_e32 vcc, 64, v0
	s_mov_b32 s3, 0
	s_and_b64 s[4:5], vcc, s[30:31]
	v_mfma_f32_16x16x16_f16 v[6:9], v[8:9], v[38:39], v[46:49]
	s_waitcnt vmcnt(6) lgkmcnt(0)
	v_mfma_f32_16x16x16_f16 v[6:9], v[2:3], v[42:43], v[6:9]
	v_mfma_f32_16x16x16_f16 v[2:5], v[4:5], v[44:45], v[6:9]
	s_nop 5
	ds_read_b128 v[6:9], v35 offset:2048
	ds_read_b128 v[36:39], v35 offset:2064
	s_waitcnt vmcnt(5) lgkmcnt(1)
	v_mfma_f32_16x16x16_f16 v[2:5], v[30:31], v[6:7], v[2:5]
	v_mfma_f32_16x16x16_f16 v[2:5], v[32:33], v[8:9], v[2:5]
	s_waitcnt vmcnt(4) lgkmcnt(0)
	v_mfma_f32_16x16x16_f16 v[2:5], v[26:27], v[36:37], v[2:5]
	v_mfma_f32_16x16x16_f16 v[2:5], v[28:29], v[38:39], v[2:5]
	ds_read_b128 v[6:9], v35 offset:4096
	ds_read_b128 v[26:29], v35 offset:4112
	s_waitcnt vmcnt(3) lgkmcnt(1)
	v_mfma_f32_16x16x16_f16 v[2:5], v[22:23], v[6:7], v[2:5]
	v_mfma_f32_16x16x16_f16 v[2:5], v[24:25], v[8:9], v[2:5]
	s_waitcnt vmcnt(2) lgkmcnt(0)
	v_mfma_f32_16x16x16_f16 v[2:5], v[18:19], v[26:27], v[2:5]
	v_mfma_f32_16x16x16_f16 v[2:5], v[20:21], v[28:29], v[2:5]
	ds_read_b128 v[6:9], v35 offset:6144
	ds_read_b128 v[18:21], v35 offset:6160
	v_mov_b32_e32 v35, 0
	s_waitcnt vmcnt(1) lgkmcnt(0)
	v_mfma_f32_16x16x16_f16 v[2:5], v[14:15], v[6:7], v[2:5]
	s_barrier
	v_mfma_f32_16x16x16_f16 v[2:5], v[16:17], v[8:9], v[2:5]
	s_waitcnt vmcnt(0)
	v_mfma_f32_16x16x16_f16 v[2:5], v[10:11], v[18:19], v[2:5]
	v_mfma_f32_16x16x16_f16 v[2:5], v[12:13], v[20:21], v[2:5]
	s_nop 6
	v_cvt_f16_f32_e32 v2, v2
	v_cvt_f16_f32_e32 v3, v3
	;; [unrolled: 1-line block ×4, first 2 shown]
	v_pack_b32_f16 v2, v2, v3
	v_pack_b32_f16 v3, v4, v5
	ds_write_b64 v40, v[2:3]
	s_waitcnt lgkmcnt(0)
	s_barrier
	s_and_saveexec_b64 s[10:11], s[4:5]
	s_cbranch_execz .LBB100_18
; %bb.16:
	s_load_dwordx2 s[4:5], s[0:1], 0x68
	s_lshl_b32 s0, s8, 6
	s_mul_i32 s1, s9, s2
	s_mul_hi_u32 s9, s1, s0
	s_mul_i32 s8, s1, s0
	v_lshlrev_b32_e32 v0, 10, v0
	s_lshl_b64 s[8:9], s[8:9], 1
	v_and_b32_e32 v0, 0x1800, v0
	v_lshlrev_b32_e32 v2, 5, v54
	v_and_b32_e32 v1, 16, v1
	s_waitcnt lgkmcnt(0)
	s_add_u32 s1, s4, s8
	v_or3_b32 v2, v0, v2, v1
	s_addc_u32 s4, s5, s9
	s_lshl_b32 s2, s28, 6
	s_lshl_b64 s[2:3], s[2:3], 1
	ds_read_b128 v[4:7], v2 offset:128
	ds_read_b128 v[8:11], v2
	s_add_u32 s2, s1, s2
	s_addc_u32 s3, s4, s3
	v_add_u32_e32 v3, s42, v54
	v_lshl_add_u64 v[0:1], s[2:3], 0, v[34:35]
	v_mad_u64_u32 v[12:13], s[2:3], v3, s0, 0
	v_lshl_add_u64 v[12:13], v[12:13], 1, v[0:1]
	v_add_u32_e32 v3, 4, v3
	s_waitcnt lgkmcnt(0)
	global_store_dwordx4 v[12:13], v[8:11], off
	s_nop 1
	v_mad_u64_u32 v[8:9], s[2:3], v3, s0, 0
	v_lshl_add_u64 v[8:9], v[8:9], 1, v[0:1]
	global_store_dwordx4 v[8:9], v[4:7], off
	s_and_b64 exec, exec, s[6:7]
	s_cbranch_execz .LBB100_18
; %bb.17:
	ds_read_b128 v[2:5], v2 offset:256
	v_add3_u32 v6, s42, v54, 8
	v_mad_u64_u32 v[6:7], s[0:1], v6, s0, 0
	v_lshl_add_u64 v[0:1], v[6:7], 1, v[0:1]
	s_waitcnt lgkmcnt(0)
	global_store_dwordx4 v[0:1], v[2:5], off
.LBB100_18:
	s_endpgm
	.section	.rodata,"a",@progbits
	.p2align	6, 0x0
	.amdhsa_kernel _Z39paged_attention_ll4mi_QKV_mfma16_kernelIDF16_DF16_LN4vllm18Fp8KVCacheDataTypeE0EDF16_Li16ELi64ELi256ELb0ELi9EEvPKT_PKT0_S7_ifPKiS9_S9_iPKfiiiPfSC_PS2_PT2_iSB_SB_
		.amdhsa_group_segment_fixed_size 8192
		.amdhsa_private_segment_fixed_size 0
		.amdhsa_kernarg_size 400
		.amdhsa_user_sgpr_count 2
		.amdhsa_user_sgpr_dispatch_ptr 0
		.amdhsa_user_sgpr_queue_ptr 0
		.amdhsa_user_sgpr_kernarg_segment_ptr 1
		.amdhsa_user_sgpr_dispatch_id 0
		.amdhsa_user_sgpr_kernarg_preload_length 0
		.amdhsa_user_sgpr_kernarg_preload_offset 0
		.amdhsa_user_sgpr_private_segment_size 0
		.amdhsa_uses_dynamic_stack 0
		.amdhsa_enable_private_segment 0
		.amdhsa_system_sgpr_workgroup_id_x 1
		.amdhsa_system_sgpr_workgroup_id_y 1
		.amdhsa_system_sgpr_workgroup_id_z 1
		.amdhsa_system_sgpr_workgroup_info 0
		.amdhsa_system_vgpr_workitem_id 0
		.amdhsa_next_free_vgpr 69
		.amdhsa_next_free_sgpr 48
		.amdhsa_accum_offset 72
		.amdhsa_reserve_vcc 1
		.amdhsa_float_round_mode_32 0
		.amdhsa_float_round_mode_16_64 0
		.amdhsa_float_denorm_mode_32 3
		.amdhsa_float_denorm_mode_16_64 3
		.amdhsa_dx10_clamp 1
		.amdhsa_ieee_mode 1
		.amdhsa_fp16_overflow 0
		.amdhsa_tg_split 0
		.amdhsa_exception_fp_ieee_invalid_op 0
		.amdhsa_exception_fp_denorm_src 0
		.amdhsa_exception_fp_ieee_div_zero 0
		.amdhsa_exception_fp_ieee_overflow 0
		.amdhsa_exception_fp_ieee_underflow 0
		.amdhsa_exception_fp_ieee_inexact 0
		.amdhsa_exception_int_div_zero 0
	.end_amdhsa_kernel
	.section	.text._Z39paged_attention_ll4mi_QKV_mfma16_kernelIDF16_DF16_LN4vllm18Fp8KVCacheDataTypeE0EDF16_Li16ELi64ELi256ELb0ELi9EEvPKT_PKT0_S7_ifPKiS9_S9_iPKfiiiPfSC_PS2_PT2_iSB_SB_,"axG",@progbits,_Z39paged_attention_ll4mi_QKV_mfma16_kernelIDF16_DF16_LN4vllm18Fp8KVCacheDataTypeE0EDF16_Li16ELi64ELi256ELb0ELi9EEvPKT_PKT0_S7_ifPKiS9_S9_iPKfiiiPfSC_PS2_PT2_iSB_SB_,comdat
.Lfunc_end100:
	.size	_Z39paged_attention_ll4mi_QKV_mfma16_kernelIDF16_DF16_LN4vllm18Fp8KVCacheDataTypeE0EDF16_Li16ELi64ELi256ELb0ELi9EEvPKT_PKT0_S7_ifPKiS9_S9_iPKfiiiPfSC_PS2_PT2_iSB_SB_, .Lfunc_end100-_Z39paged_attention_ll4mi_QKV_mfma16_kernelIDF16_DF16_LN4vllm18Fp8KVCacheDataTypeE0EDF16_Li16ELi64ELi256ELb0ELi9EEvPKT_PKT0_S7_ifPKiS9_S9_iPKfiiiPfSC_PS2_PT2_iSB_SB_
                                        ; -- End function
	.section	.AMDGPU.csdata,"",@progbits
; Kernel info:
; codeLenInByte = 3824
; NumSgprs: 54
; NumVgprs: 69
; NumAgprs: 0
; TotalNumVgprs: 69
; ScratchSize: 0
; MemoryBound: 0
; FloatMode: 240
; IeeeMode: 1
; LDSByteSize: 8192 bytes/workgroup (compile time only)
; SGPRBlocks: 6
; VGPRBlocks: 8
; NumSGPRsForWavesPerEU: 54
; NumVGPRsForWavesPerEU: 69
; AccumOffset: 72
; Occupancy: 7
; WaveLimiterHint : 1
; COMPUTE_PGM_RSRC2:SCRATCH_EN: 0
; COMPUTE_PGM_RSRC2:USER_SGPR: 2
; COMPUTE_PGM_RSRC2:TRAP_HANDLER: 0
; COMPUTE_PGM_RSRC2:TGID_X_EN: 1
; COMPUTE_PGM_RSRC2:TGID_Y_EN: 1
; COMPUTE_PGM_RSRC2:TGID_Z_EN: 1
; COMPUTE_PGM_RSRC2:TIDIG_COMP_CNT: 0
; COMPUTE_PGM_RSRC3_GFX90A:ACCUM_OFFSET: 17
; COMPUTE_PGM_RSRC3_GFX90A:TG_SPLIT: 0
	.section	.text._Z39paged_attention_ll4mi_QKV_mfma16_kernelIDF16_DF16_LN4vllm18Fp8KVCacheDataTypeE0EDF16_Li16ELi64ELi256ELb0ELi10EEvPKT_PKT0_S7_ifPKiS9_S9_iPKfiiiPfSC_PS2_PT2_iSB_SB_,"axG",@progbits,_Z39paged_attention_ll4mi_QKV_mfma16_kernelIDF16_DF16_LN4vllm18Fp8KVCacheDataTypeE0EDF16_Li16ELi64ELi256ELb0ELi10EEvPKT_PKT0_S7_ifPKiS9_S9_iPKfiiiPfSC_PS2_PT2_iSB_SB_,comdat
	.protected	_Z39paged_attention_ll4mi_QKV_mfma16_kernelIDF16_DF16_LN4vllm18Fp8KVCacheDataTypeE0EDF16_Li16ELi64ELi256ELb0ELi10EEvPKT_PKT0_S7_ifPKiS9_S9_iPKfiiiPfSC_PS2_PT2_iSB_SB_ ; -- Begin function _Z39paged_attention_ll4mi_QKV_mfma16_kernelIDF16_DF16_LN4vllm18Fp8KVCacheDataTypeE0EDF16_Li16ELi64ELi256ELb0ELi10EEvPKT_PKT0_S7_ifPKiS9_S9_iPKfiiiPfSC_PS2_PT2_iSB_SB_
	.globl	_Z39paged_attention_ll4mi_QKV_mfma16_kernelIDF16_DF16_LN4vllm18Fp8KVCacheDataTypeE0EDF16_Li16ELi64ELi256ELb0ELi10EEvPKT_PKT0_S7_ifPKiS9_S9_iPKfiiiPfSC_PS2_PT2_iSB_SB_
	.p2align	8
	.type	_Z39paged_attention_ll4mi_QKV_mfma16_kernelIDF16_DF16_LN4vllm18Fp8KVCacheDataTypeE0EDF16_Li16ELi64ELi256ELb0ELi10EEvPKT_PKT0_S7_ifPKiS9_S9_iPKfiiiPfSC_PS2_PT2_iSB_SB_,@function
_Z39paged_attention_ll4mi_QKV_mfma16_kernelIDF16_DF16_LN4vllm18Fp8KVCacheDataTypeE0EDF16_Li16ELi64ELi256ELb0ELi10EEvPKT_PKT0_S7_ifPKiS9_S9_iPKfiiiPfSC_PS2_PT2_iSB_SB_: ; @_Z39paged_attention_ll4mi_QKV_mfma16_kernelIDF16_DF16_LN4vllm18Fp8KVCacheDataTypeE0EDF16_Li16ELi64ELi256ELb0ELi10EEvPKT_PKT0_S7_ifPKiS9_S9_iPKfiiiPfSC_PS2_PT2_iSB_SB_
; %bb.0:
	s_load_dwordx2 s[12:13], s[0:1], 0x30
	s_mov_b32 s28, s3
	s_mov_b64 s[6:7], 0
	s_waitcnt lgkmcnt(0)
	s_cmp_lg_u64 s[12:13], 0
	s_cselect_b64 s[14:15], -1, 0
	s_and_b64 vcc, exec, s[14:15]
	s_cbranch_vccz .LBB101_7
; %bb.1:
	s_add_i32 s8, s2, 1
	s_mov_b32 s9, 0
	s_lshl_b64 s[10:11], s[8:9], 2
	s_add_u32 s10, s12, s10
	s_mov_b32 s3, s9
	s_addc_u32 s11, s13, s11
	s_lshl_b64 s[8:9], s[2:3], 2
	s_add_u32 s8, s12, s8
	s_addc_u32 s9, s13, s9
	s_load_dword s5, s[10:11], 0x0
	s_load_dword s16, s[8:9], 0x0
	s_waitcnt lgkmcnt(0)
	s_sub_i32 s5, s5, s16
	s_cmp_eq_u32 s5, 1
	s_cselect_b64 s[8:9], -1, 0
	s_andn2_b64 vcc, exec, s[6:7]
	s_cbranch_vccnz .LBB101_3
.LBB101_2:
	s_mov_b32 s3, 0
	s_mov_b64 s[8:9], -1
.LBB101_3:
	s_andn2_b64 vcc, exec, s[8:9]
	s_cbranch_vccnz .LBB101_18
; %bb.4:
	s_load_dwordx2 s[6:7], s[0:1], 0x28
	s_lshl_b64 s[16:17], s[2:3], 2
	s_waitcnt lgkmcnt(0)
	s_add_u32 s6, s6, s16
	s_addc_u32 s7, s7, s17
	s_load_dword s33, s[6:7], 0x0
	s_lshl_b32 s18, s28, 8
	s_waitcnt lgkmcnt(0)
	s_cmp_ge_i32 s18, s33
	s_cbranch_scc1 .LBB101_18
; %bb.5:
	s_load_dwordx2 s[6:7], s[0:1], 0x20
	s_load_dword s5, s[0:1], 0x38
	s_add_i32 s8, s33, 15
	s_ashr_i32 s9, s8, 31
	v_and_b32_e32 v1, 0xcf, v0
	s_lshr_b32 s9, s9, 28
	v_add_u32_e32 v1, s18, v1
	s_add_i32 s8, s8, s9
	v_ashrrev_i32_e32 v2, 31, v1
	s_ashr_i32 s19, s8, 4
	v_lshrrev_b32_e32 v6, 28, v2
	s_add_i32 s19, s19, -1
	s_waitcnt lgkmcnt(0)
	s_mul_i32 s8, s2, s5
	s_mov_b32 s9, 0
	v_add_u32_e32 v2, v1, v6
	s_lshl_b64 s[8:9], s[8:9], 2
	v_ashrrev_i32_e32 v2, 4, v2
	v_mov_b32_e32 v7, s19
	v_cmp_gt_i32_e32 vcc, s33, v1
	s_add_u32 s6, s6, s8
	s_addc_u32 s7, s7, s9
	v_cndmask_b32_e32 v2, v7, v2, vcc
	v_ashrrev_i32_e32 v3, 31, v2
	v_lshl_add_u64 v[4:5], v[2:3], 2, s[6:7]
	v_or_b32_e32 v2, 16, v1
	v_add_u32_e32 v3, v2, v6
	v_ashrrev_i32_e32 v3, 4, v3
	v_cmp_gt_i32_e32 vcc, s33, v2
	s_load_dwordx4 s[8:11], s[0:1], 0x8
	s_nop 0
	v_cndmask_b32_e32 v2, v7, v3, vcc
	v_ashrrev_i32_e32 v3, 31, v2
	v_lshl_add_u64 v[8:9], v[2:3], 2, s[6:7]
	v_or_b32_e32 v2, 32, v1
	v_add_u32_e32 v3, v2, v6
	v_ashrrev_i32_e32 v3, 4, v3
	v_cmp_gt_i32_e32 vcc, s33, v2
	v_or_b32_e32 v1, 48, v1
	s_nop 0
	v_cndmask_b32_e32 v2, v7, v3, vcc
	v_ashrrev_i32_e32 v3, 31, v2
	v_lshl_add_u64 v[12:13], v[2:3], 2, s[6:7]
	v_add_u32_e32 v2, v1, v6
	v_ashrrev_i32_e32 v2, 4, v2
	v_cmp_gt_i32_e32 vcc, s33, v1
	s_nop 1
	v_cndmask_b32_e32 v2, v7, v2, vcc
	v_ashrrev_i32_e32 v3, 31, v2
	v_lshl_add_u64 v[14:15], v[2:3], 2, s[6:7]
	global_load_dword v2, v[4:5], off
	global_load_dword v6, v[8:9], off
	;; [unrolled: 1-line block ×4, first 2 shown]
	s_andn2_b64 vcc, exec, s[14:15]
	s_cbranch_vccnz .LBB101_8
; %bb.6:
	s_add_u32 s12, s12, s16
	s_addc_u32 s13, s13, s17
	s_load_dword s5, s[12:13], 0x0
	s_branch .LBB101_9
.LBB101_7:
	s_mov_b64 s[8:9], 0
	s_branch .LBB101_2
.LBB101_8:
	s_mov_b32 s5, s2
.LBB101_9:
	s_load_dwordx4 s[44:47], s[0:1], 0x48
	v_lshrrev_b32_e32 v37, 6, v0
	v_bfe_u32 v54, v0, 4, 2
	v_lshl_or_b32 v1, v37, 2, v54
	v_and_b32_e32 v36, 15, v0
	v_lshlrev_b32_e32 v3, 3, v36
	v_cmp_gt_u32_e32 vcc, 10, v1
	v_cmp_gt_u32_e64 s[30:31], 8, v36
	v_and_b32_e32 v55, 63, v0
	s_mul_i32 s42, s4, 10
	s_and_b64 s[14:15], s[30:31], vcc
	v_lshlrev_b32_e32 v34, 1, v3
	s_and_saveexec_b64 s[12:13], s[14:15]
	s_cbranch_execz .LBB101_11
; %bb.10:
	s_load_dwordx2 s[14:15], s[0:1], 0x0
	s_waitcnt lgkmcnt(0)
	s_ashr_i32 s16, s44, 31
	s_mul_hi_u32 s17, s5, s44
	s_mul_i32 s16, s5, s16
	s_add_i32 s17, s17, s16
	s_mul_i32 s16, s5, s44
	s_lshl_b64 s[16:17], s[16:17], 1
	s_add_u32 s14, s14, s16
	v_add_lshl_u32 v4, v1, s42, 6
	s_addc_u32 s15, s15, s17
	v_ashrrev_i32_e32 v5, 31, v4
	v_lshl_add_u64 v[4:5], v[4:5], 1, s[14:15]
	v_mov_b32_e32 v35, 0
	v_lshl_add_u64 v[4:5], v[4:5], 0, v[34:35]
	global_load_dwordx4 v[12:15], v[4:5], off
	v_and_b32_e32 v3, 3, v0
	v_lshlrev_b32_e32 v4, 9, v36
	v_lshlrev_b32_e32 v1, 5, v1
	v_lshlrev_b32_e32 v3, 9, v3
	v_and_b32_e32 v4, 0x1800, v4
	v_or3_b32 v1, v4, v3, v1
	s_waitcnt vmcnt(0)
	ds_write_b128 v1, v[12:15]
.LBB101_11:
	s_or_b64 exec, exec, s[12:13]
	s_waitcnt lgkmcnt(0)
	s_mul_i32 s4, s4, s46
	s_mov_b32 s5, 0
	s_lshl_b64 s[4:5], s[4:5], 1
	s_add_u32 s8, s8, s4
	v_lshlrev_b32_e32 v1, 4, v0
	s_addc_u32 s9, s9, s5
	v_and_b32_e32 v30, 0xf0, v1
	v_mov_b32_e32 v31, 0
	v_lshl_add_u64 v[18:19], s[8:9], 0, v[30:31]
	s_waitcnt vmcnt(3)
	v_mad_i64_i32 v[2:3], s[8:9], v2, s45, 0
	v_lshl_add_u64 v[2:3], v[2:3], 1, v[18:19]
	v_and_b32_e32 v30, 0x300, v1
	v_lshl_add_u64 v[14:15], v[2:3], 0, v[30:31]
	s_load_dword s29, s[0:1], 0x98
	s_load_dword s12, s[0:1], 0x1c
	s_waitcnt lgkmcnt(0)
	s_barrier
	global_load_dwordx4 v[2:5], v[14:15], off
	global_load_dwordx4 v[26:29], v[14:15], off offset:1024
	s_waitcnt vmcnt(3)
	v_mad_i64_i32 v[10:11], s[8:9], v10, s45, 0
	v_lshl_add_u64 v[10:11], v[10:11], 1, v[18:19]
	v_lshl_add_u64 v[38:39], v[10:11], 0, v[30:31]
	global_load_dwordx4 v[10:13], v[38:39], off
	global_load_dwordx4 v[56:59], v[38:39], off offset:1024
	v_mad_i64_i32 v[6:7], s[8:9], v6, s45, 0
	v_lshl_add_u64 v[6:7], v[6:7], 1, v[18:19]
	v_lshl_add_u64 v[32:33], v[6:7], 0, v[30:31]
	global_load_dwordx4 v[6:9], v[32:33], off
	global_load_dwordx4 v[46:49], v[32:33], off offset:1024
	s_waitcnt vmcnt(6)
	v_mad_i64_i32 v[16:17], s[8:9], v16, s45, 0
	v_lshl_add_u64 v[16:17], v[16:17], 1, v[18:19]
	v_lshl_add_u64 v[40:41], v[16:17], 0, v[30:31]
	global_load_dwordx4 v[18:21], v[40:41], off
	v_add_u32_e32 v16, -10, v36
	v_cmp_gt_u32_e32 vcc, 10, v36
	global_load_dwordx4 v[38:41], v[40:41], off offset:1024
	v_and_or_b32 v30, v0, 48, s18
	v_cndmask_b32_e32 v16, v16, v36, vcc
	v_lshlrev_b32_e32 v16, 5, v16
	v_lshl_add_u32 v16, v54, 9, v16
	ds_read_b128 v[22:25], v16
	v_mov_b32_e32 v68, s19
	v_cmp_gt_i32_e32 vcc, s33, v30
	v_or_b32_e32 v32, 64, v30
	ds_read_b128 v[14:17], v16 offset:2048
	v_lshlrev_b32_e32 v35, 5, v36
	s_add_u32 s4, s10, s4
	s_addc_u32 s5, s11, s5
	s_mov_b32 s43, 0xff7fffff
	s_waitcnt vmcnt(7) lgkmcnt(1)
	v_mfma_f32_16x16x16_f16 v[42:45], v[2:3], v[22:23], 0
	v_ashrrev_i32_e32 v2, 4, v30
	v_cndmask_b32_e32 v2, v68, v2, vcc
	v_ashrrev_i32_e32 v3, 31, v2
	s_waitcnt vmcnt(5)
	v_mfma_f32_16x16x16_f16 v[60:63], v[10:11], v[22:23], 0
	v_lshl_add_u64 v[10:11], v[2:3], 2, s[6:7]
	v_cmp_gt_i32_e32 vcc, s33, v32
	v_mfma_f32_16x16x16_f16 v[2:5], v[4:5], v[24:25], v[42:45]
	s_nop 2
	global_load_dword v42, v[10:11], off
	s_waitcnt vmcnt(4)
	v_mfma_f32_16x16x16_f16 v[50:53], v[6:7], v[22:23], 0
	v_ashrrev_i32_e32 v6, 4, v32
	v_cndmask_b32_e32 v6, v68, v6, vcc
	v_ashrrev_i32_e32 v7, 31, v6
	v_lshl_add_u64 v[10:11], v[6:7], 2, s[6:7]
	global_load_dword v43, v[10:11], off
	s_waitcnt vmcnt(3)
	v_mfma_f32_16x16x16_f16 v[64:67], v[18:19], v[22:23], 0
	v_or_b32_e32 v22, 0x80, v30
	v_or_b32_e32 v23, 0xc0, v30
	v_ashrrev_i32_e32 v30, 4, v22
	v_cmp_gt_i32_e32 vcc, s33, v22
	v_ashrrev_i32_e32 v32, 4, v23
	v_mfma_f32_16x16x16_f16 v[6:9], v[8:9], v[24:25], v[50:53]
	v_cndmask_b32_e32 v22, v68, v30, vcc
	v_cmp_gt_i32_e32 vcc, s33, v23
	v_ashrrev_i32_e32 v23, 31, v22
	v_mfma_f32_16x16x16_f16 v[10:13], v[12:13], v[24:25], v[60:63]
	v_lshl_or_b32 v30, v37, 9, v35
	v_mfma_f32_16x16x16_f16 v[18:21], v[20:21], v[24:25], v[64:67]
	v_cndmask_b32_e32 v24, v68, v32, vcc
	v_ashrrev_i32_e32 v25, 31, v24
	v_lshl_add_u64 v[32:33], v[24:25], 2, s[6:7]
	s_waitcnt lgkmcnt(0)
	v_mfma_f32_16x16x16_f16 v[2:5], v[26:27], v[14:15], v[2:5]
	v_lshl_add_u64 v[26:27], v[22:23], 2, s[6:7]
	global_load_dword v60, v[26:27], off
	global_load_dword v61, v[32:33], off
	v_mfma_f32_16x16x16_f16 v[6:9], v[46:47], v[14:15], v[6:9]
	v_mfma_f32_16x16x16_f16 v[22:25], v[56:57], v[14:15], v[10:13]
	s_waitcnt vmcnt(4)
	v_mfma_f32_16x16x16_f16 v[18:21], v[38:39], v[14:15], v[18:21]
	s_nop 0
	v_lshl_add_u64 v[10:11], s[4:5], 0, v[30:31]
	s_waitcnt vmcnt(3)
	v_mad_i64_i32 v[26:27], s[4:5], v42, s45, 0
	v_mfma_f32_16x16x16_f16 v[12:15], v[28:29], v[16:17], v[2:5]
	v_lshl_add_u64 v[30:31], v[26:27], 1, v[10:11]
	s_waitcnt vmcnt(2)
	v_mad_i64_i32 v[32:33], s[4:5], v43, s45, 0
	v_mfma_f32_16x16x16_f16 v[26:29], v[48:49], v[16:17], v[6:9]
	s_nop 2
	v_pk_mul_f32 v[50:51], s[12:13], v[14:15] op_sel_hi:[0,1]
	v_pk_mul_f32 v[12:13], s[12:13], v[12:13] op_sel_hi:[0,1]
	v_lshl_add_u64 v[56:57], v[32:33], 1, v[10:11]
	v_mfma_f32_16x16x16_f16 v[22:25], v[58:59], v[16:17], v[22:25]
	global_load_dwordx4 v[6:9], v[30:31], off
	global_load_dwordx4 v[2:5], v[30:31], off offset:16
	v_pk_mul_f32 v[42:43], s[12:13], v[26:27] op_sel_hi:[0,1]
	v_pk_mul_f32 v[52:53], s[12:13], v[28:29] op_sel_hi:[0,1]
	v_mfma_f32_16x16x16_f16 v[14:17], v[40:41], v[16:17], v[18:21]
	s_nop 1
	v_pk_mul_f32 v[48:49], s[12:13], v[22:23] op_sel_hi:[0,1]
	v_pk_mul_f32 v[46:47], s[12:13], v[24:25] op_sel_hi:[0,1]
	global_load_dwordx4 v[30:33], v[56:57], off
	global_load_dwordx4 v[26:29], v[56:57], off offset:16
	s_nop 0
	v_pk_mul_f32 v[44:45], s[12:13], v[14:15] op_sel_hi:[0,1]
	v_and_b32_e32 v14, 0xc0, v0
	v_add_u32_e32 v14, s18, v14
	v_lshl_or_b32 v14, v54, 2, v14
	v_pk_mul_f32 v[38:39], s[12:13], v[16:17] op_sel_hi:[0,1]
	v_or_b32_e32 v17, 1, v14
	v_mov_b32_e32 v15, 0xff7fffff
	v_cmp_gt_i32_e64 s[4:5], s33, v14
	v_cmp_gt_i32_e64 s[34:35], s33, v17
	v_or_b32_e32 v18, 3, v14
	v_cndmask_b32_e64 v16, v15, v12, s[4:5]
	v_cndmask_b32_e64 v17, v15, v13, s[34:35]
	v_max3_f32 v16, v16, s43, v17
	v_or_b32_e32 v17, 2, v14
	v_cmp_gt_i32_e64 s[36:37], s33, v17
	v_cmp_gt_i32_e64 s[38:39], s33, v18
	s_nop 0
	v_cndmask_b32_e64 v17, v15, v50, s[36:37]
	v_cndmask_b32_e64 v18, v15, v51, s[38:39]
	v_max3_f32 v16, v16, v17, v18
	v_or_b32_e32 v17, 16, v14
	v_or_b32_e32 v18, 17, v14
	v_cmp_gt_i32_e64 s[24:25], s33, v17
	v_cmp_gt_i32_e64 s[26:27], s33, v18
	s_nop 0
	v_cndmask_b32_e64 v17, v15, v42, s[24:25]
	v_cndmask_b32_e64 v18, v15, v43, s[26:27]
	v_max3_f32 v16, v16, v17, v18
	v_or_b32_e32 v17, 18, v14
	;; [unrolled: 8-line block ×6, first 2 shown]
	v_or_b32_e32 v14, 51, v14
	v_cmp_gt_i32_e32 vcc, s33, v17
	v_cmp_gt_i32_e64 s[6:7], s33, v14
	s_nop 0
	v_cndmask_b32_e32 v17, v15, v38, vcc
	v_cndmask_b32_e64 v14, v15, v39, s[6:7]
	v_max3_f32 v16, v16, v17, v14
	v_mbcnt_lo_u32_b32 v14, -1, 0
	v_mbcnt_hi_u32_b32 v17, -1, v14
	v_and_b32_e32 v14, 64, v17
	v_add_u32_e32 v18, 64, v14
	v_xor_b32_e32 v14, 32, v17
	v_cmp_lt_i32_e64 s[40:41], v14, v18
	s_nop 1
	v_cndmask_b32_e64 v14, v17, v14, s[40:41]
	v_lshlrev_b32_e32 v58, 2, v14
	ds_bpermute_b32 v19, v58, v16
	s_waitcnt vmcnt(5)
	v_mad_i64_i32 v[14:15], s[40:41], v60, s45, 0
	v_lshl_add_u64 v[14:15], v[14:15], 1, v[10:11]
	s_waitcnt lgkmcnt(0)
	v_max_f32_e32 v19, v19, v19
	v_max_f32_e32 v16, v16, v19
	v_xor_b32_e32 v19, 16, v17
	v_cmp_lt_i32_e64 s[40:41], v19, v18
	s_nop 1
	v_cndmask_b32_e64 v17, v17, v19, s[40:41]
	v_lshlrev_b32_e32 v57, 2, v17
	ds_bpermute_b32 v17, v57, v16
	global_load_dwordx4 v[22:25], v[14:15], off
	global_load_dwordx4 v[18:21], v[14:15], off offset:16
	s_waitcnt vmcnt(6)
	v_mad_i64_i32 v[14:15], s[40:41], v61, s45, 0
	v_lshl_add_u64 v[10:11], v[14:15], 1, v[10:11]
	s_waitcnt lgkmcnt(0)
	v_max_f32_e32 v14, v17, v17
	v_max_f32_e32 v56, v16, v14
	v_sub_f32_e32 v12, v12, v56
	v_mul_f32_e32 v12, 0x3fb8aa3b, v12
	v_exp_f32_e32 v40, v12
	v_sub_f32_e32 v12, v13, v56
	v_mul_f32_e32 v12, 0x3fb8aa3b, v12
	v_exp_f32_e32 v41, v12
	global_load_dwordx4 v[14:17], v[10:11], off
	s_nop 0
	global_load_dwordx4 v[10:13], v[10:11], off offset:16
	v_sub_f32_e32 v50, v50, v56
	v_mul_f32_e32 v50, 0x3fb8aa3b, v50
	v_sub_f32_e32 v51, v51, v56
	v_exp_f32_e32 v50, v50
	v_mul_f32_e32 v51, 0x3fb8aa3b, v51
	v_sub_f32_e32 v42, v42, v56
	v_exp_f32_e32 v51, v51
	v_mul_f32_e32 v42, 0x3fb8aa3b, v42
	v_sub_f32_e32 v43, v43, v56
	v_cndmask_b32_e64 v40, 0, v40, s[4:5]
	v_exp_f32_e32 v42, v42
	v_mul_f32_e32 v43, 0x3fb8aa3b, v43
	v_sub_f32_e32 v52, v52, v56
	v_add_f32_e32 v59, 0, v40
	v_cndmask_b32_e64 v41, 0, v41, s[34:35]
	v_exp_f32_e32 v43, v43
	v_mul_f32_e32 v52, 0x3fb8aa3b, v52
	v_sub_f32_e32 v53, v53, v56
	v_add_f32_e32 v59, v59, v41
	;; [unrolled: 5-line block ×10, first 2 shown]
	v_cndmask_b32_e64 v46, 0, v46, s[12:13]
	v_exp_f32_e32 v38, v38
	v_mul_f32_e32 v39, 0x3fb8aa3b, v39
	v_add_f32_e32 v59, v59, v46
	v_cndmask_b32_e64 v47, 0, v47, s[14:15]
	v_exp_f32_e32 v39, v39
	v_add_f32_e32 v59, v59, v47
	v_cndmask_b32_e64 v44, 0, v44, s[8:9]
	v_add_f32_e32 v59, v59, v44
	v_cndmask_b32_e64 v45, 0, v45, s[10:11]
	v_add_f32_e32 v59, v59, v45
	v_cndmask_b32_e32 v38, 0, v38, vcc
	v_add_f32_e32 v59, v59, v38
	v_cndmask_b32_e64 v39, 0, v39, s[6:7]
	v_add_f32_e32 v59, v59, v39
	ds_bpermute_b32 v58, v58, v59
	v_cmp_gt_u32_e32 vcc, 16, v55
	s_waitcnt lgkmcnt(0)
	s_barrier
	v_add_f32_e32 v58, v59, v58
	ds_bpermute_b32 v59, v57, v58
	v_lshlrev_b32_e32 v57, 2, v36
	s_and_saveexec_b64 s[4:5], vcc
	s_cbranch_execz .LBB101_13
; %bb.12:
	s_waitcnt lgkmcnt(0)
	v_add_f32_e32 v55, v58, v59
	v_lshl_or_b32 v58, v37, 6, v57
	ds_write2st64_b32 v58, v56, v55 offset1:1
.LBB101_13:
	s_or_b64 exec, exec, s[4:5]
	s_load_dword s6, s[0:1], 0x94
	s_waitcnt lgkmcnt(0)
	s_barrier
	ds_read2_b32 v[58:59], v57 offset1:16
	ds_read2_b32 v[60:61], v57 offset0:32 offset1:48
	ds_read2_b32 v[62:63], v57 offset0:64 offset1:80
	s_mul_i32 s7, s29, 10
	s_waitcnt lgkmcnt(2)
	v_max3_f32 v55, v58, s43, v59
	s_waitcnt lgkmcnt(1)
	v_max3_f32 v55, v55, v60, v61
	v_sub_f32_e32 v56, v58, v55
	v_mul_f32_e32 v56, 0x3fb8aa3b, v56
	v_exp_f32_e32 v64, v56
	v_sub_f32_e32 v56, v59, v55
	v_mul_f32_e32 v56, 0x3fb8aa3b, v56
	v_exp_f32_e32 v65, v56
	;; [unrolled: 3-line block ×3, first 2 shown]
	ds_read2_b32 v[58:59], v57 offset0:96 offset1:112
	v_sub_f32_e32 v56, v61, v55
	v_mul_f32_e32 v56, 0x3fb8aa3b, v56
	v_exp_f32_e32 v57, v56
	s_waitcnt lgkmcnt(1)
	v_fma_f32 v56, v64, v62, 0
	v_fmac_f32_e32 v56, v65, v63
	s_waitcnt lgkmcnt(0)
	v_fmac_f32_e32 v56, v60, v58
	v_fmac_f32_e32 v56, v57, v59
	v_add_f32_e32 v58, 0x358637bd, v56
	v_div_scale_f32 v59, s[4:5], v58, v58, 1.0
	v_rcp_f32_e32 v61, v59
	s_barrier
	v_fma_f32 v62, -v59, v61, 1.0
	v_fmac_f32_e32 v61, v62, v61
	v_div_scale_f32 v62, vcc, 1.0, v58, 1.0
	v_mul_f32_e32 v63, v62, v61
	v_fma_f32 v66, -v59, v63, v62
	v_fmac_f32_e32 v63, v66, v61
	v_fma_f32 v59, -v59, v63, v62
	v_div_fmas_f32 v59, v59, v61, v63
	v_cmp_eq_u32_e32 vcc, 1, v37
	v_div_fixup_f32 v58, v59, v58, 1.0
	s_nop 0
	v_cndmask_b32_e32 v59, v64, v65, vcc
	v_cmp_eq_u32_e32 vcc, 2, v37
	s_nop 1
	v_cndmask_b32_e32 v59, v59, v60, vcc
	v_cmp_eq_u32_e32 vcc, 3, v37
	v_lshlrev_b32_e32 v37, 11, v37
	s_nop 0
	v_cndmask_b32_e32 v57, v59, v57, vcc
	v_mul_f32_e32 v58, v57, v58
	v_pk_mul_f32 v[40:41], v[58:59], v[40:41] op_sel_hi:[0,1]
	v_cvt_f16_f32_e32 v40, v40
	v_cvt_f16_f32_e32 v41, v41
	v_pk_mul_f32 v[50:51], v[58:59], v[50:51] op_sel_hi:[0,1]
	v_cvt_f16_f32_e32 v57, v50
	v_cvt_f16_f32_e32 v51, v51
	v_pack_b32_f16 v50, v40, v41
	v_pk_mul_f32 v[40:41], v[58:59], v[52:53] op_sel_hi:[0,1]
	v_pk_mul_f32 v[42:43], v[58:59], v[42:43] op_sel_hi:[0,1]
	v_cvt_f16_f32_e32 v42, v42
	v_cvt_f16_f32_e32 v43, v43
	;; [unrolled: 1-line block ×4, first 2 shown]
	v_pack_b32_f16 v51, v57, v51
	v_lshlrev_b32_e32 v57, 3, v54
	v_or3_b32 v40, v37, v35, v57
	v_pack_b32_f16 v42, v42, v43
	v_pack_b32_f16 v43, v52, v41
	ds_write2st64_b64 v40, v[50:51], v[42:43] offset1:1
	v_pk_mul_f32 v[42:43], v[58:59], v[46:47] op_sel_hi:[0,1]
	v_pk_mul_f32 v[46:47], v[58:59], v[48:49] op_sel_hi:[0,1]
	v_cvt_f16_f32_e32 v37, v46
	v_cvt_f16_f32_e32 v41, v47
	;; [unrolled: 1-line block ×4, first 2 shown]
	v_pk_mul_f32 v[38:39], v[58:59], v[38:39] op_sel_hi:[0,1]
	v_pk_mul_f32 v[42:43], v[58:59], v[44:45] op_sel_hi:[0,1]
	v_cvt_f16_f32_e32 v42, v42
	v_cvt_f16_f32_e32 v43, v43
	;; [unrolled: 1-line block ×4, first 2 shown]
	v_pack_b32_f16 v38, v37, v41
	v_pack_b32_f16 v39, v46, v47
	;; [unrolled: 1-line block ×4, first 2 shown]
	v_cmp_gt_u32_e32 vcc, 10, v0
	ds_write2st64_b64 v40, v[38:39], v[42:43] offset0:2 offset1:3
	s_and_saveexec_b64 s[4:5], vcc
	s_cbranch_execz .LBB101_15
; %bb.14:
	s_mov_b32 s43, 0
	v_mov_b32_e32 v37, 0
	v_lshl_add_u64 v[38:39], s[42:43], 0, v[36:37]
	v_mov_b32_e32 v36, s7
	v_mad_u64_u32 v[38:39], s[12:13], s2, v36, v[38:39]
	v_mov_b32_e32 v36, s28
	s_load_dwordx4 s[8:11], s[0:1], 0x58
	s_mul_i32 s3, s3, s7
	v_mad_u64_u32 v[36:37], s[12:13], v38, s6, v[36:37]
	v_add_u32_e32 v39, s3, v39
	v_mov_b32_e32 v38, v37
	v_mad_u64_u32 v[38:39], s[12:13], v39, s6, v[38:39]
	v_mov_b32_e32 v37, v38
	v_lshlrev_b64 v[36:37], 2, v[36:37]
	s_waitcnt lgkmcnt(0)
	v_lshl_add_u64 v[38:39], s[10:11], 0, v[36:37]
	v_lshl_add_u64 v[36:37], s[8:9], 0, v[36:37]
	global_store_dword v[38:39], v55, off
	global_store_dword v[36:37], v56, off
.LBB101_15:
	s_or_b64 exec, exec, s[4:5]
	v_lshl_or_b32 v35, v54, 9, v35
	s_waitcnt lgkmcnt(0)
	s_barrier
	ds_read_b128 v[36:39], v35
	ds_read_b128 v[42:45], v35 offset:16
	s_waitcnt vmcnt(7) lgkmcnt(1)
	v_mfma_f32_16x16x16_f16 v[46:49], v[6:7], v[36:37], 0
	v_cmp_gt_u32_e32 vcc, 64, v0
	s_mov_b32 s3, 0
	s_and_b64 s[4:5], vcc, s[30:31]
	v_mfma_f32_16x16x16_f16 v[6:9], v[8:9], v[38:39], v[46:49]
	s_waitcnt vmcnt(6) lgkmcnt(0)
	v_mfma_f32_16x16x16_f16 v[6:9], v[2:3], v[42:43], v[6:9]
	v_mfma_f32_16x16x16_f16 v[2:5], v[4:5], v[44:45], v[6:9]
	s_nop 5
	ds_read_b128 v[6:9], v35 offset:2048
	ds_read_b128 v[36:39], v35 offset:2064
	s_waitcnt vmcnt(5) lgkmcnt(1)
	v_mfma_f32_16x16x16_f16 v[2:5], v[30:31], v[6:7], v[2:5]
	v_mfma_f32_16x16x16_f16 v[2:5], v[32:33], v[8:9], v[2:5]
	s_waitcnt vmcnt(4) lgkmcnt(0)
	v_mfma_f32_16x16x16_f16 v[2:5], v[26:27], v[36:37], v[2:5]
	v_mfma_f32_16x16x16_f16 v[2:5], v[28:29], v[38:39], v[2:5]
	ds_read_b128 v[6:9], v35 offset:4096
	ds_read_b128 v[26:29], v35 offset:4112
	s_waitcnt vmcnt(3) lgkmcnt(1)
	v_mfma_f32_16x16x16_f16 v[2:5], v[22:23], v[6:7], v[2:5]
	v_mfma_f32_16x16x16_f16 v[2:5], v[24:25], v[8:9], v[2:5]
	s_waitcnt vmcnt(2) lgkmcnt(0)
	v_mfma_f32_16x16x16_f16 v[2:5], v[18:19], v[26:27], v[2:5]
	v_mfma_f32_16x16x16_f16 v[2:5], v[20:21], v[28:29], v[2:5]
	ds_read_b128 v[6:9], v35 offset:6144
	ds_read_b128 v[18:21], v35 offset:6160
	v_mov_b32_e32 v35, 0
	s_waitcnt vmcnt(1) lgkmcnt(0)
	v_mfma_f32_16x16x16_f16 v[2:5], v[14:15], v[6:7], v[2:5]
	s_barrier
	v_mfma_f32_16x16x16_f16 v[2:5], v[16:17], v[8:9], v[2:5]
	s_waitcnt vmcnt(0)
	v_mfma_f32_16x16x16_f16 v[2:5], v[10:11], v[18:19], v[2:5]
	v_mfma_f32_16x16x16_f16 v[2:5], v[12:13], v[20:21], v[2:5]
	s_nop 6
	v_cvt_f16_f32_e32 v2, v2
	v_cvt_f16_f32_e32 v3, v3
	v_cvt_f16_f32_e32 v4, v4
	v_cvt_f16_f32_e32 v5, v5
	v_pack_b32_f16 v2, v2, v3
	v_pack_b32_f16 v3, v4, v5
	ds_write_b64 v40, v[2:3]
	s_waitcnt lgkmcnt(0)
	s_barrier
	s_and_saveexec_b64 s[8:9], s[4:5]
	s_cbranch_execz .LBB101_18
; %bb.16:
	s_load_dwordx2 s[4:5], s[0:1], 0x68
	s_lshl_b32 s0, s6, 6
	s_mul_i32 s1, s7, s2
	s_mul_hi_u32 s7, s1, s0
	s_mul_i32 s6, s1, s0
	v_lshlrev_b32_e32 v0, 10, v0
	s_lshl_b64 s[6:7], s[6:7], 1
	v_and_b32_e32 v0, 0x1800, v0
	v_lshlrev_b32_e32 v2, 5, v54
	v_and_b32_e32 v1, 16, v1
	s_waitcnt lgkmcnt(0)
	s_add_u32 s1, s4, s6
	v_or3_b32 v2, v0, v2, v1
	s_addc_u32 s4, s5, s7
	s_lshl_b32 s2, s28, 6
	s_lshl_b64 s[2:3], s[2:3], 1
	ds_read_b128 v[4:7], v2 offset:128
	ds_read_b128 v[8:11], v2
	s_add_u32 s2, s1, s2
	s_addc_u32 s3, s4, s3
	v_add_u32_e32 v14, s42, v54
	v_lshl_add_u64 v[0:1], s[2:3], 0, v[34:35]
	v_mad_u64_u32 v[12:13], s[2:3], v14, s0, 0
	v_lshl_add_u64 v[12:13], v[12:13], 1, v[0:1]
	s_waitcnt lgkmcnt(0)
	global_store_dwordx4 v[12:13], v[8:11], off
	v_or_b32_e32 v3, 8, v54
	v_cmp_gt_u32_e32 vcc, 10, v3
	v_add_u32_e32 v8, 4, v14
	v_mad_u64_u32 v[8:9], s[2:3], v8, s0, 0
	v_lshl_add_u64 v[8:9], v[8:9], 1, v[0:1]
	global_store_dwordx4 v[8:9], v[4:7], off
	s_and_b64 exec, exec, vcc
	s_cbranch_execz .LBB101_18
; %bb.17:
	ds_read_b128 v[4:7], v2 offset:256
	v_add_u32_e32 v2, s42, v3
	v_mad_u64_u32 v[2:3], s[0:1], v2, s0, 0
	v_lshl_add_u64 v[0:1], v[2:3], 1, v[0:1]
	s_waitcnt lgkmcnt(0)
	global_store_dwordx4 v[0:1], v[4:7], off
.LBB101_18:
	s_endpgm
	.section	.rodata,"a",@progbits
	.p2align	6, 0x0
	.amdhsa_kernel _Z39paged_attention_ll4mi_QKV_mfma16_kernelIDF16_DF16_LN4vllm18Fp8KVCacheDataTypeE0EDF16_Li16ELi64ELi256ELb0ELi10EEvPKT_PKT0_S7_ifPKiS9_S9_iPKfiiiPfSC_PS2_PT2_iSB_SB_
		.amdhsa_group_segment_fixed_size 8192
		.amdhsa_private_segment_fixed_size 0
		.amdhsa_kernarg_size 400
		.amdhsa_user_sgpr_count 2
		.amdhsa_user_sgpr_dispatch_ptr 0
		.amdhsa_user_sgpr_queue_ptr 0
		.amdhsa_user_sgpr_kernarg_segment_ptr 1
		.amdhsa_user_sgpr_dispatch_id 0
		.amdhsa_user_sgpr_kernarg_preload_length 0
		.amdhsa_user_sgpr_kernarg_preload_offset 0
		.amdhsa_user_sgpr_private_segment_size 0
		.amdhsa_uses_dynamic_stack 0
		.amdhsa_enable_private_segment 0
		.amdhsa_system_sgpr_workgroup_id_x 1
		.amdhsa_system_sgpr_workgroup_id_y 1
		.amdhsa_system_sgpr_workgroup_id_z 1
		.amdhsa_system_sgpr_workgroup_info 0
		.amdhsa_system_vgpr_workitem_id 0
		.amdhsa_next_free_vgpr 69
		.amdhsa_next_free_sgpr 48
		.amdhsa_accum_offset 72
		.amdhsa_reserve_vcc 1
		.amdhsa_float_round_mode_32 0
		.amdhsa_float_round_mode_16_64 0
		.amdhsa_float_denorm_mode_32 3
		.amdhsa_float_denorm_mode_16_64 3
		.amdhsa_dx10_clamp 1
		.amdhsa_ieee_mode 1
		.amdhsa_fp16_overflow 0
		.amdhsa_tg_split 0
		.amdhsa_exception_fp_ieee_invalid_op 0
		.amdhsa_exception_fp_denorm_src 0
		.amdhsa_exception_fp_ieee_div_zero 0
		.amdhsa_exception_fp_ieee_overflow 0
		.amdhsa_exception_fp_ieee_underflow 0
		.amdhsa_exception_fp_ieee_inexact 0
		.amdhsa_exception_int_div_zero 0
	.end_amdhsa_kernel
	.section	.text._Z39paged_attention_ll4mi_QKV_mfma16_kernelIDF16_DF16_LN4vllm18Fp8KVCacheDataTypeE0EDF16_Li16ELi64ELi256ELb0ELi10EEvPKT_PKT0_S7_ifPKiS9_S9_iPKfiiiPfSC_PS2_PT2_iSB_SB_,"axG",@progbits,_Z39paged_attention_ll4mi_QKV_mfma16_kernelIDF16_DF16_LN4vllm18Fp8KVCacheDataTypeE0EDF16_Li16ELi64ELi256ELb0ELi10EEvPKT_PKT0_S7_ifPKiS9_S9_iPKfiiiPfSC_PS2_PT2_iSB_SB_,comdat
.Lfunc_end101:
	.size	_Z39paged_attention_ll4mi_QKV_mfma16_kernelIDF16_DF16_LN4vllm18Fp8KVCacheDataTypeE0EDF16_Li16ELi64ELi256ELb0ELi10EEvPKT_PKT0_S7_ifPKiS9_S9_iPKfiiiPfSC_PS2_PT2_iSB_SB_, .Lfunc_end101-_Z39paged_attention_ll4mi_QKV_mfma16_kernelIDF16_DF16_LN4vllm18Fp8KVCacheDataTypeE0EDF16_Li16ELi64ELi256ELb0ELi10EEvPKT_PKT0_S7_ifPKiS9_S9_iPKfiiiPfSC_PS2_PT2_iSB_SB_
                                        ; -- End function
	.section	.AMDGPU.csdata,"",@progbits
; Kernel info:
; codeLenInByte = 3820
; NumSgprs: 54
; NumVgprs: 69
; NumAgprs: 0
; TotalNumVgprs: 69
; ScratchSize: 0
; MemoryBound: 0
; FloatMode: 240
; IeeeMode: 1
; LDSByteSize: 8192 bytes/workgroup (compile time only)
; SGPRBlocks: 6
; VGPRBlocks: 8
; NumSGPRsForWavesPerEU: 54
; NumVGPRsForWavesPerEU: 69
; AccumOffset: 72
; Occupancy: 7
; WaveLimiterHint : 1
; COMPUTE_PGM_RSRC2:SCRATCH_EN: 0
; COMPUTE_PGM_RSRC2:USER_SGPR: 2
; COMPUTE_PGM_RSRC2:TRAP_HANDLER: 0
; COMPUTE_PGM_RSRC2:TGID_X_EN: 1
; COMPUTE_PGM_RSRC2:TGID_Y_EN: 1
; COMPUTE_PGM_RSRC2:TGID_Z_EN: 1
; COMPUTE_PGM_RSRC2:TIDIG_COMP_CNT: 0
; COMPUTE_PGM_RSRC3_GFX90A:ACCUM_OFFSET: 17
; COMPUTE_PGM_RSRC3_GFX90A:TG_SPLIT: 0
	.section	.text._Z39paged_attention_ll4mi_QKV_mfma16_kernelIDF16_DF16_LN4vllm18Fp8KVCacheDataTypeE0EDF16_Li16ELi64ELi256ELb0ELi11EEvPKT_PKT0_S7_ifPKiS9_S9_iPKfiiiPfSC_PS2_PT2_iSB_SB_,"axG",@progbits,_Z39paged_attention_ll4mi_QKV_mfma16_kernelIDF16_DF16_LN4vllm18Fp8KVCacheDataTypeE0EDF16_Li16ELi64ELi256ELb0ELi11EEvPKT_PKT0_S7_ifPKiS9_S9_iPKfiiiPfSC_PS2_PT2_iSB_SB_,comdat
	.protected	_Z39paged_attention_ll4mi_QKV_mfma16_kernelIDF16_DF16_LN4vllm18Fp8KVCacheDataTypeE0EDF16_Li16ELi64ELi256ELb0ELi11EEvPKT_PKT0_S7_ifPKiS9_S9_iPKfiiiPfSC_PS2_PT2_iSB_SB_ ; -- Begin function _Z39paged_attention_ll4mi_QKV_mfma16_kernelIDF16_DF16_LN4vllm18Fp8KVCacheDataTypeE0EDF16_Li16ELi64ELi256ELb0ELi11EEvPKT_PKT0_S7_ifPKiS9_S9_iPKfiiiPfSC_PS2_PT2_iSB_SB_
	.globl	_Z39paged_attention_ll4mi_QKV_mfma16_kernelIDF16_DF16_LN4vllm18Fp8KVCacheDataTypeE0EDF16_Li16ELi64ELi256ELb0ELi11EEvPKT_PKT0_S7_ifPKiS9_S9_iPKfiiiPfSC_PS2_PT2_iSB_SB_
	.p2align	8
	.type	_Z39paged_attention_ll4mi_QKV_mfma16_kernelIDF16_DF16_LN4vllm18Fp8KVCacheDataTypeE0EDF16_Li16ELi64ELi256ELb0ELi11EEvPKT_PKT0_S7_ifPKiS9_S9_iPKfiiiPfSC_PS2_PT2_iSB_SB_,@function
_Z39paged_attention_ll4mi_QKV_mfma16_kernelIDF16_DF16_LN4vllm18Fp8KVCacheDataTypeE0EDF16_Li16ELi64ELi256ELb0ELi11EEvPKT_PKT0_S7_ifPKiS9_S9_iPKfiiiPfSC_PS2_PT2_iSB_SB_: ; @_Z39paged_attention_ll4mi_QKV_mfma16_kernelIDF16_DF16_LN4vllm18Fp8KVCacheDataTypeE0EDF16_Li16ELi64ELi256ELb0ELi11EEvPKT_PKT0_S7_ifPKiS9_S9_iPKfiiiPfSC_PS2_PT2_iSB_SB_
; %bb.0:
	s_load_dwordx2 s[12:13], s[0:1], 0x30
	s_mov_b32 s28, s3
	s_mov_b64 s[6:7], 0
	s_waitcnt lgkmcnt(0)
	s_cmp_lg_u64 s[12:13], 0
	s_cselect_b64 s[14:15], -1, 0
	s_and_b64 vcc, exec, s[14:15]
	s_cbranch_vccz .LBB102_7
; %bb.1:
	s_add_i32 s8, s2, 1
	s_mov_b32 s9, 0
	s_lshl_b64 s[10:11], s[8:9], 2
	s_add_u32 s10, s12, s10
	s_mov_b32 s3, s9
	s_addc_u32 s11, s13, s11
	s_lshl_b64 s[8:9], s[2:3], 2
	s_add_u32 s8, s12, s8
	s_addc_u32 s9, s13, s9
	s_load_dword s5, s[10:11], 0x0
	s_load_dword s16, s[8:9], 0x0
	s_waitcnt lgkmcnt(0)
	s_sub_i32 s5, s5, s16
	s_cmp_eq_u32 s5, 1
	s_cselect_b64 s[8:9], -1, 0
	s_andn2_b64 vcc, exec, s[6:7]
	s_cbranch_vccnz .LBB102_3
.LBB102_2:
	s_mov_b32 s3, 0
	s_mov_b64 s[8:9], -1
.LBB102_3:
	s_andn2_b64 vcc, exec, s[8:9]
	s_cbranch_vccnz .LBB102_18
; %bb.4:
	s_load_dwordx2 s[6:7], s[0:1], 0x28
	s_lshl_b64 s[16:17], s[2:3], 2
	s_waitcnt lgkmcnt(0)
	s_add_u32 s6, s6, s16
	s_addc_u32 s7, s7, s17
	s_load_dword s33, s[6:7], 0x0
	s_lshl_b32 s18, s28, 8
	s_waitcnt lgkmcnt(0)
	s_cmp_ge_i32 s18, s33
	s_cbranch_scc1 .LBB102_18
; %bb.5:
	s_load_dwordx2 s[6:7], s[0:1], 0x20
	s_load_dword s5, s[0:1], 0x38
	s_add_i32 s8, s33, 15
	s_ashr_i32 s9, s8, 31
	v_and_b32_e32 v1, 0xcf, v0
	s_lshr_b32 s9, s9, 28
	v_add_u32_e32 v1, s18, v1
	s_add_i32 s8, s8, s9
	v_ashrrev_i32_e32 v2, 31, v1
	s_ashr_i32 s19, s8, 4
	v_lshrrev_b32_e32 v6, 28, v2
	s_add_i32 s19, s19, -1
	s_waitcnt lgkmcnt(0)
	s_mul_i32 s8, s2, s5
	s_mov_b32 s9, 0
	v_add_u32_e32 v2, v1, v6
	s_lshl_b64 s[8:9], s[8:9], 2
	v_ashrrev_i32_e32 v2, 4, v2
	v_mov_b32_e32 v7, s19
	v_cmp_gt_i32_e32 vcc, s33, v1
	s_add_u32 s6, s6, s8
	s_addc_u32 s7, s7, s9
	v_cndmask_b32_e32 v2, v7, v2, vcc
	v_ashrrev_i32_e32 v3, 31, v2
	v_lshl_add_u64 v[4:5], v[2:3], 2, s[6:7]
	v_or_b32_e32 v2, 16, v1
	v_add_u32_e32 v3, v2, v6
	v_ashrrev_i32_e32 v3, 4, v3
	v_cmp_gt_i32_e32 vcc, s33, v2
	s_load_dwordx4 s[8:11], s[0:1], 0x8
	s_nop 0
	v_cndmask_b32_e32 v2, v7, v3, vcc
	v_ashrrev_i32_e32 v3, 31, v2
	v_lshl_add_u64 v[8:9], v[2:3], 2, s[6:7]
	v_or_b32_e32 v2, 32, v1
	v_add_u32_e32 v3, v2, v6
	v_ashrrev_i32_e32 v3, 4, v3
	v_cmp_gt_i32_e32 vcc, s33, v2
	v_or_b32_e32 v1, 48, v1
	s_nop 0
	v_cndmask_b32_e32 v2, v7, v3, vcc
	v_ashrrev_i32_e32 v3, 31, v2
	v_lshl_add_u64 v[12:13], v[2:3], 2, s[6:7]
	v_add_u32_e32 v2, v1, v6
	v_ashrrev_i32_e32 v2, 4, v2
	v_cmp_gt_i32_e32 vcc, s33, v1
	s_nop 1
	v_cndmask_b32_e32 v2, v7, v2, vcc
	v_ashrrev_i32_e32 v3, 31, v2
	v_lshl_add_u64 v[14:15], v[2:3], 2, s[6:7]
	global_load_dword v2, v[4:5], off
	global_load_dword v6, v[8:9], off
	;; [unrolled: 1-line block ×4, first 2 shown]
	s_andn2_b64 vcc, exec, s[14:15]
	s_cbranch_vccnz .LBB102_8
; %bb.6:
	s_add_u32 s12, s12, s16
	s_addc_u32 s13, s13, s17
	s_load_dword s5, s[12:13], 0x0
	s_branch .LBB102_9
.LBB102_7:
	s_mov_b64 s[8:9], 0
	s_branch .LBB102_2
.LBB102_8:
	s_mov_b32 s5, s2
.LBB102_9:
	s_load_dwordx4 s[44:47], s[0:1], 0x48
	v_lshrrev_b32_e32 v37, 6, v0
	v_bfe_u32 v54, v0, 4, 2
	v_lshl_or_b32 v1, v37, 2, v54
	v_and_b32_e32 v36, 15, v0
	v_lshlrev_b32_e32 v3, 3, v36
	v_cmp_gt_u32_e32 vcc, 11, v1
	v_cmp_gt_u32_e64 s[30:31], 8, v36
	v_and_b32_e32 v55, 63, v0
	s_mul_i32 s42, s4, 11
	s_and_b64 s[14:15], s[30:31], vcc
	v_lshlrev_b32_e32 v34, 1, v3
	s_and_saveexec_b64 s[12:13], s[14:15]
	s_cbranch_execz .LBB102_11
; %bb.10:
	s_load_dwordx2 s[14:15], s[0:1], 0x0
	s_waitcnt lgkmcnt(0)
	s_ashr_i32 s16, s44, 31
	s_mul_hi_u32 s17, s5, s44
	s_mul_i32 s16, s5, s16
	s_add_i32 s17, s17, s16
	s_mul_i32 s16, s5, s44
	s_lshl_b64 s[16:17], s[16:17], 1
	s_add_u32 s14, s14, s16
	v_add_lshl_u32 v4, v1, s42, 6
	s_addc_u32 s15, s15, s17
	v_ashrrev_i32_e32 v5, 31, v4
	v_lshl_add_u64 v[4:5], v[4:5], 1, s[14:15]
	v_mov_b32_e32 v35, 0
	v_lshl_add_u64 v[4:5], v[4:5], 0, v[34:35]
	global_load_dwordx4 v[12:15], v[4:5], off
	v_and_b32_e32 v3, 3, v0
	v_lshlrev_b32_e32 v4, 9, v36
	v_lshlrev_b32_e32 v1, 5, v1
	;; [unrolled: 1-line block ×3, first 2 shown]
	v_and_b32_e32 v4, 0x1800, v4
	v_or3_b32 v1, v4, v3, v1
	s_waitcnt vmcnt(0)
	ds_write_b128 v1, v[12:15]
.LBB102_11:
	s_or_b64 exec, exec, s[12:13]
	s_waitcnt lgkmcnt(0)
	s_mul_i32 s4, s4, s46
	s_mov_b32 s5, 0
	s_lshl_b64 s[4:5], s[4:5], 1
	s_add_u32 s8, s8, s4
	v_lshlrev_b32_e32 v1, 4, v0
	s_addc_u32 s9, s9, s5
	v_and_b32_e32 v30, 0xf0, v1
	v_mov_b32_e32 v31, 0
	v_lshl_add_u64 v[18:19], s[8:9], 0, v[30:31]
	s_waitcnt vmcnt(3)
	v_mad_i64_i32 v[2:3], s[8:9], v2, s45, 0
	v_lshl_add_u64 v[2:3], v[2:3], 1, v[18:19]
	v_and_b32_e32 v30, 0x300, v1
	v_lshl_add_u64 v[14:15], v[2:3], 0, v[30:31]
	s_load_dword s29, s[0:1], 0x98
	s_load_dword s12, s[0:1], 0x1c
	s_waitcnt lgkmcnt(0)
	s_barrier
	global_load_dwordx4 v[2:5], v[14:15], off
	global_load_dwordx4 v[26:29], v[14:15], off offset:1024
	s_waitcnt vmcnt(3)
	v_mad_i64_i32 v[10:11], s[8:9], v10, s45, 0
	v_lshl_add_u64 v[10:11], v[10:11], 1, v[18:19]
	v_lshl_add_u64 v[38:39], v[10:11], 0, v[30:31]
	global_load_dwordx4 v[10:13], v[38:39], off
	global_load_dwordx4 v[56:59], v[38:39], off offset:1024
	v_mad_i64_i32 v[6:7], s[8:9], v6, s45, 0
	v_lshl_add_u64 v[6:7], v[6:7], 1, v[18:19]
	v_lshl_add_u64 v[32:33], v[6:7], 0, v[30:31]
	global_load_dwordx4 v[6:9], v[32:33], off
	global_load_dwordx4 v[46:49], v[32:33], off offset:1024
	s_waitcnt vmcnt(6)
	v_mad_i64_i32 v[16:17], s[8:9], v16, s45, 0
	v_lshl_add_u64 v[16:17], v[16:17], 1, v[18:19]
	v_lshl_add_u64 v[40:41], v[16:17], 0, v[30:31]
	global_load_dwordx4 v[18:21], v[40:41], off
	v_add_u32_e32 v16, -11, v36
	v_cmp_gt_u32_e32 vcc, 11, v36
	global_load_dwordx4 v[38:41], v[40:41], off offset:1024
	v_and_or_b32 v30, v0, 48, s18
	v_cndmask_b32_e32 v16, v16, v36, vcc
	v_lshlrev_b32_e32 v16, 5, v16
	v_lshl_add_u32 v16, v54, 9, v16
	ds_read_b128 v[22:25], v16
	v_mov_b32_e32 v68, s19
	v_cmp_gt_i32_e32 vcc, s33, v30
	v_or_b32_e32 v32, 64, v30
	ds_read_b128 v[14:17], v16 offset:2048
	v_lshlrev_b32_e32 v35, 5, v36
	s_add_u32 s4, s10, s4
	s_addc_u32 s5, s11, s5
	s_mov_b32 s43, 0xff7fffff
	s_waitcnt vmcnt(7) lgkmcnt(1)
	v_mfma_f32_16x16x16_f16 v[42:45], v[2:3], v[22:23], 0
	v_ashrrev_i32_e32 v2, 4, v30
	v_cndmask_b32_e32 v2, v68, v2, vcc
	v_ashrrev_i32_e32 v3, 31, v2
	s_waitcnt vmcnt(5)
	v_mfma_f32_16x16x16_f16 v[60:63], v[10:11], v[22:23], 0
	v_lshl_add_u64 v[10:11], v[2:3], 2, s[6:7]
	v_cmp_gt_i32_e32 vcc, s33, v32
	v_mfma_f32_16x16x16_f16 v[2:5], v[4:5], v[24:25], v[42:45]
	s_nop 2
	global_load_dword v42, v[10:11], off
	s_waitcnt vmcnt(4)
	v_mfma_f32_16x16x16_f16 v[50:53], v[6:7], v[22:23], 0
	v_ashrrev_i32_e32 v6, 4, v32
	v_cndmask_b32_e32 v6, v68, v6, vcc
	v_ashrrev_i32_e32 v7, 31, v6
	v_lshl_add_u64 v[10:11], v[6:7], 2, s[6:7]
	global_load_dword v43, v[10:11], off
	s_waitcnt vmcnt(3)
	v_mfma_f32_16x16x16_f16 v[64:67], v[18:19], v[22:23], 0
	v_or_b32_e32 v22, 0x80, v30
	v_or_b32_e32 v23, 0xc0, v30
	v_ashrrev_i32_e32 v30, 4, v22
	v_cmp_gt_i32_e32 vcc, s33, v22
	v_ashrrev_i32_e32 v32, 4, v23
	v_mfma_f32_16x16x16_f16 v[6:9], v[8:9], v[24:25], v[50:53]
	v_cndmask_b32_e32 v22, v68, v30, vcc
	v_cmp_gt_i32_e32 vcc, s33, v23
	v_ashrrev_i32_e32 v23, 31, v22
	v_mfma_f32_16x16x16_f16 v[10:13], v[12:13], v[24:25], v[60:63]
	v_lshl_or_b32 v30, v37, 9, v35
	v_mfma_f32_16x16x16_f16 v[18:21], v[20:21], v[24:25], v[64:67]
	v_cndmask_b32_e32 v24, v68, v32, vcc
	v_ashrrev_i32_e32 v25, 31, v24
	v_lshl_add_u64 v[32:33], v[24:25], 2, s[6:7]
	s_waitcnt lgkmcnt(0)
	v_mfma_f32_16x16x16_f16 v[2:5], v[26:27], v[14:15], v[2:5]
	v_lshl_add_u64 v[26:27], v[22:23], 2, s[6:7]
	global_load_dword v60, v[26:27], off
	global_load_dword v61, v[32:33], off
	v_mfma_f32_16x16x16_f16 v[6:9], v[46:47], v[14:15], v[6:9]
	v_mfma_f32_16x16x16_f16 v[22:25], v[56:57], v[14:15], v[10:13]
	s_waitcnt vmcnt(4)
	v_mfma_f32_16x16x16_f16 v[18:21], v[38:39], v[14:15], v[18:21]
	s_nop 0
	v_lshl_add_u64 v[10:11], s[4:5], 0, v[30:31]
	s_waitcnt vmcnt(3)
	v_mad_i64_i32 v[26:27], s[4:5], v42, s45, 0
	v_mfma_f32_16x16x16_f16 v[12:15], v[28:29], v[16:17], v[2:5]
	v_lshl_add_u64 v[30:31], v[26:27], 1, v[10:11]
	s_waitcnt vmcnt(2)
	v_mad_i64_i32 v[32:33], s[4:5], v43, s45, 0
	v_mfma_f32_16x16x16_f16 v[26:29], v[48:49], v[16:17], v[6:9]
	s_nop 2
	v_pk_mul_f32 v[50:51], s[12:13], v[14:15] op_sel_hi:[0,1]
	v_pk_mul_f32 v[12:13], s[12:13], v[12:13] op_sel_hi:[0,1]
	v_lshl_add_u64 v[56:57], v[32:33], 1, v[10:11]
	v_mfma_f32_16x16x16_f16 v[22:25], v[58:59], v[16:17], v[22:25]
	global_load_dwordx4 v[6:9], v[30:31], off
	global_load_dwordx4 v[2:5], v[30:31], off offset:16
	v_pk_mul_f32 v[42:43], s[12:13], v[26:27] op_sel_hi:[0,1]
	v_pk_mul_f32 v[52:53], s[12:13], v[28:29] op_sel_hi:[0,1]
	v_mfma_f32_16x16x16_f16 v[14:17], v[40:41], v[16:17], v[18:21]
	s_nop 1
	v_pk_mul_f32 v[48:49], s[12:13], v[22:23] op_sel_hi:[0,1]
	v_pk_mul_f32 v[46:47], s[12:13], v[24:25] op_sel_hi:[0,1]
	global_load_dwordx4 v[30:33], v[56:57], off
	global_load_dwordx4 v[26:29], v[56:57], off offset:16
	s_nop 0
	v_pk_mul_f32 v[44:45], s[12:13], v[14:15] op_sel_hi:[0,1]
	v_and_b32_e32 v14, 0xc0, v0
	v_add_u32_e32 v14, s18, v14
	v_lshl_or_b32 v14, v54, 2, v14
	v_pk_mul_f32 v[38:39], s[12:13], v[16:17] op_sel_hi:[0,1]
	v_or_b32_e32 v17, 1, v14
	v_mov_b32_e32 v15, 0xff7fffff
	v_cmp_gt_i32_e64 s[4:5], s33, v14
	v_cmp_gt_i32_e64 s[34:35], s33, v17
	v_or_b32_e32 v18, 3, v14
	v_cndmask_b32_e64 v16, v15, v12, s[4:5]
	v_cndmask_b32_e64 v17, v15, v13, s[34:35]
	v_max3_f32 v16, v16, s43, v17
	v_or_b32_e32 v17, 2, v14
	v_cmp_gt_i32_e64 s[36:37], s33, v17
	v_cmp_gt_i32_e64 s[38:39], s33, v18
	s_nop 0
	v_cndmask_b32_e64 v17, v15, v50, s[36:37]
	v_cndmask_b32_e64 v18, v15, v51, s[38:39]
	v_max3_f32 v16, v16, v17, v18
	v_or_b32_e32 v17, 16, v14
	v_or_b32_e32 v18, 17, v14
	v_cmp_gt_i32_e64 s[24:25], s33, v17
	v_cmp_gt_i32_e64 s[26:27], s33, v18
	s_nop 0
	v_cndmask_b32_e64 v17, v15, v42, s[24:25]
	v_cndmask_b32_e64 v18, v15, v43, s[26:27]
	v_max3_f32 v16, v16, v17, v18
	v_or_b32_e32 v17, 18, v14
	;; [unrolled: 8-line block ×6, first 2 shown]
	v_or_b32_e32 v14, 51, v14
	v_cmp_gt_i32_e32 vcc, s33, v17
	v_cmp_gt_i32_e64 s[6:7], s33, v14
	s_nop 0
	v_cndmask_b32_e32 v17, v15, v38, vcc
	v_cndmask_b32_e64 v14, v15, v39, s[6:7]
	v_max3_f32 v16, v16, v17, v14
	v_mbcnt_lo_u32_b32 v14, -1, 0
	v_mbcnt_hi_u32_b32 v17, -1, v14
	v_and_b32_e32 v14, 64, v17
	v_add_u32_e32 v18, 64, v14
	v_xor_b32_e32 v14, 32, v17
	v_cmp_lt_i32_e64 s[40:41], v14, v18
	s_nop 1
	v_cndmask_b32_e64 v14, v17, v14, s[40:41]
	v_lshlrev_b32_e32 v58, 2, v14
	ds_bpermute_b32 v19, v58, v16
	s_waitcnt vmcnt(5)
	v_mad_i64_i32 v[14:15], s[40:41], v60, s45, 0
	v_lshl_add_u64 v[14:15], v[14:15], 1, v[10:11]
	s_waitcnt lgkmcnt(0)
	v_max_f32_e32 v19, v19, v19
	v_max_f32_e32 v16, v16, v19
	v_xor_b32_e32 v19, 16, v17
	v_cmp_lt_i32_e64 s[40:41], v19, v18
	s_nop 1
	v_cndmask_b32_e64 v17, v17, v19, s[40:41]
	v_lshlrev_b32_e32 v57, 2, v17
	ds_bpermute_b32 v17, v57, v16
	global_load_dwordx4 v[22:25], v[14:15], off
	global_load_dwordx4 v[18:21], v[14:15], off offset:16
	s_waitcnt vmcnt(6)
	v_mad_i64_i32 v[14:15], s[40:41], v61, s45, 0
	v_lshl_add_u64 v[10:11], v[14:15], 1, v[10:11]
	s_waitcnt lgkmcnt(0)
	v_max_f32_e32 v14, v17, v17
	v_max_f32_e32 v56, v16, v14
	v_sub_f32_e32 v12, v12, v56
	v_mul_f32_e32 v12, 0x3fb8aa3b, v12
	v_exp_f32_e32 v40, v12
	v_sub_f32_e32 v12, v13, v56
	v_mul_f32_e32 v12, 0x3fb8aa3b, v12
	v_exp_f32_e32 v41, v12
	global_load_dwordx4 v[14:17], v[10:11], off
	s_nop 0
	global_load_dwordx4 v[10:13], v[10:11], off offset:16
	v_sub_f32_e32 v50, v50, v56
	v_mul_f32_e32 v50, 0x3fb8aa3b, v50
	v_sub_f32_e32 v51, v51, v56
	v_exp_f32_e32 v50, v50
	v_mul_f32_e32 v51, 0x3fb8aa3b, v51
	v_sub_f32_e32 v42, v42, v56
	v_exp_f32_e32 v51, v51
	v_mul_f32_e32 v42, 0x3fb8aa3b, v42
	v_sub_f32_e32 v43, v43, v56
	v_cndmask_b32_e64 v40, 0, v40, s[4:5]
	v_exp_f32_e32 v42, v42
	v_mul_f32_e32 v43, 0x3fb8aa3b, v43
	v_sub_f32_e32 v52, v52, v56
	v_add_f32_e32 v59, 0, v40
	v_cndmask_b32_e64 v41, 0, v41, s[34:35]
	v_exp_f32_e32 v43, v43
	v_mul_f32_e32 v52, 0x3fb8aa3b, v52
	v_sub_f32_e32 v53, v53, v56
	v_add_f32_e32 v59, v59, v41
	;; [unrolled: 5-line block ×10, first 2 shown]
	v_cndmask_b32_e64 v46, 0, v46, s[12:13]
	v_exp_f32_e32 v38, v38
	v_mul_f32_e32 v39, 0x3fb8aa3b, v39
	v_add_f32_e32 v59, v59, v46
	v_cndmask_b32_e64 v47, 0, v47, s[14:15]
	v_exp_f32_e32 v39, v39
	v_add_f32_e32 v59, v59, v47
	v_cndmask_b32_e64 v44, 0, v44, s[8:9]
	v_add_f32_e32 v59, v59, v44
	v_cndmask_b32_e64 v45, 0, v45, s[10:11]
	v_add_f32_e32 v59, v59, v45
	v_cndmask_b32_e32 v38, 0, v38, vcc
	v_add_f32_e32 v59, v59, v38
	v_cndmask_b32_e64 v39, 0, v39, s[6:7]
	v_add_f32_e32 v59, v59, v39
	ds_bpermute_b32 v58, v58, v59
	v_cmp_gt_u32_e32 vcc, 16, v55
	s_waitcnt lgkmcnt(0)
	s_barrier
	v_add_f32_e32 v58, v59, v58
	ds_bpermute_b32 v59, v57, v58
	v_lshlrev_b32_e32 v57, 2, v36
	s_and_saveexec_b64 s[4:5], vcc
	s_cbranch_execz .LBB102_13
; %bb.12:
	s_waitcnt lgkmcnt(0)
	v_add_f32_e32 v55, v58, v59
	v_lshl_or_b32 v58, v37, 6, v57
	ds_write2st64_b32 v58, v56, v55 offset1:1
.LBB102_13:
	s_or_b64 exec, exec, s[4:5]
	s_load_dword s6, s[0:1], 0x94
	s_waitcnt lgkmcnt(0)
	s_barrier
	ds_read2_b32 v[58:59], v57 offset1:16
	ds_read2_b32 v[60:61], v57 offset0:32 offset1:48
	ds_read2_b32 v[62:63], v57 offset0:64 offset1:80
	s_mul_i32 s7, s29, 11
	s_waitcnt lgkmcnt(2)
	v_max3_f32 v55, v58, s43, v59
	s_waitcnt lgkmcnt(1)
	v_max3_f32 v55, v55, v60, v61
	v_sub_f32_e32 v56, v58, v55
	v_mul_f32_e32 v56, 0x3fb8aa3b, v56
	v_exp_f32_e32 v64, v56
	v_sub_f32_e32 v56, v59, v55
	v_mul_f32_e32 v56, 0x3fb8aa3b, v56
	v_exp_f32_e32 v65, v56
	;; [unrolled: 3-line block ×3, first 2 shown]
	ds_read2_b32 v[58:59], v57 offset0:96 offset1:112
	v_sub_f32_e32 v56, v61, v55
	v_mul_f32_e32 v56, 0x3fb8aa3b, v56
	v_exp_f32_e32 v57, v56
	s_waitcnt lgkmcnt(1)
	v_fma_f32 v56, v64, v62, 0
	v_fmac_f32_e32 v56, v65, v63
	s_waitcnt lgkmcnt(0)
	v_fmac_f32_e32 v56, v60, v58
	v_fmac_f32_e32 v56, v57, v59
	v_add_f32_e32 v58, 0x358637bd, v56
	v_div_scale_f32 v59, s[4:5], v58, v58, 1.0
	v_rcp_f32_e32 v61, v59
	s_barrier
	v_fma_f32 v62, -v59, v61, 1.0
	v_fmac_f32_e32 v61, v62, v61
	v_div_scale_f32 v62, vcc, 1.0, v58, 1.0
	v_mul_f32_e32 v63, v62, v61
	v_fma_f32 v66, -v59, v63, v62
	v_fmac_f32_e32 v63, v66, v61
	v_fma_f32 v59, -v59, v63, v62
	v_div_fmas_f32 v59, v59, v61, v63
	v_cmp_eq_u32_e32 vcc, 1, v37
	v_div_fixup_f32 v58, v59, v58, 1.0
	s_nop 0
	v_cndmask_b32_e32 v59, v64, v65, vcc
	v_cmp_eq_u32_e32 vcc, 2, v37
	s_nop 1
	v_cndmask_b32_e32 v59, v59, v60, vcc
	v_cmp_eq_u32_e32 vcc, 3, v37
	v_lshlrev_b32_e32 v37, 11, v37
	s_nop 0
	v_cndmask_b32_e32 v57, v59, v57, vcc
	v_mul_f32_e32 v58, v57, v58
	v_pk_mul_f32 v[40:41], v[58:59], v[40:41] op_sel_hi:[0,1]
	v_cvt_f16_f32_e32 v40, v40
	v_cvt_f16_f32_e32 v41, v41
	v_pk_mul_f32 v[50:51], v[58:59], v[50:51] op_sel_hi:[0,1]
	v_cvt_f16_f32_e32 v57, v50
	v_cvt_f16_f32_e32 v51, v51
	v_pack_b32_f16 v50, v40, v41
	v_pk_mul_f32 v[40:41], v[58:59], v[52:53] op_sel_hi:[0,1]
	v_pk_mul_f32 v[42:43], v[58:59], v[42:43] op_sel_hi:[0,1]
	v_cvt_f16_f32_e32 v42, v42
	v_cvt_f16_f32_e32 v43, v43
	;; [unrolled: 1-line block ×4, first 2 shown]
	v_pack_b32_f16 v51, v57, v51
	v_lshlrev_b32_e32 v57, 3, v54
	v_or3_b32 v40, v37, v35, v57
	v_pack_b32_f16 v42, v42, v43
	v_pack_b32_f16 v43, v52, v41
	ds_write2st64_b64 v40, v[50:51], v[42:43] offset1:1
	v_pk_mul_f32 v[42:43], v[58:59], v[46:47] op_sel_hi:[0,1]
	v_pk_mul_f32 v[46:47], v[58:59], v[48:49] op_sel_hi:[0,1]
	v_cvt_f16_f32_e32 v37, v46
	v_cvt_f16_f32_e32 v41, v47
	;; [unrolled: 1-line block ×4, first 2 shown]
	v_pk_mul_f32 v[38:39], v[58:59], v[38:39] op_sel_hi:[0,1]
	v_pk_mul_f32 v[42:43], v[58:59], v[44:45] op_sel_hi:[0,1]
	v_cvt_f16_f32_e32 v42, v42
	v_cvt_f16_f32_e32 v43, v43
	;; [unrolled: 1-line block ×4, first 2 shown]
	v_pack_b32_f16 v38, v37, v41
	v_pack_b32_f16 v39, v46, v47
	;; [unrolled: 1-line block ×4, first 2 shown]
	v_cmp_gt_u32_e32 vcc, 11, v0
	ds_write2st64_b64 v40, v[38:39], v[42:43] offset0:2 offset1:3
	s_and_saveexec_b64 s[4:5], vcc
	s_cbranch_execz .LBB102_15
; %bb.14:
	s_mov_b32 s43, 0
	v_mov_b32_e32 v37, 0
	v_lshl_add_u64 v[38:39], s[42:43], 0, v[36:37]
	v_mov_b32_e32 v36, s7
	v_mad_u64_u32 v[38:39], s[12:13], s2, v36, v[38:39]
	v_mov_b32_e32 v36, s28
	s_load_dwordx4 s[8:11], s[0:1], 0x58
	s_mul_i32 s3, s3, s7
	v_mad_u64_u32 v[36:37], s[12:13], v38, s6, v[36:37]
	v_add_u32_e32 v39, s3, v39
	v_mov_b32_e32 v38, v37
	v_mad_u64_u32 v[38:39], s[12:13], v39, s6, v[38:39]
	v_mov_b32_e32 v37, v38
	v_lshlrev_b64 v[36:37], 2, v[36:37]
	s_waitcnt lgkmcnt(0)
	v_lshl_add_u64 v[38:39], s[10:11], 0, v[36:37]
	v_lshl_add_u64 v[36:37], s[8:9], 0, v[36:37]
	global_store_dword v[38:39], v55, off
	global_store_dword v[36:37], v56, off
.LBB102_15:
	s_or_b64 exec, exec, s[4:5]
	v_lshl_or_b32 v35, v54, 9, v35
	s_waitcnt lgkmcnt(0)
	s_barrier
	ds_read_b128 v[36:39], v35
	ds_read_b128 v[42:45], v35 offset:16
	s_waitcnt vmcnt(7) lgkmcnt(1)
	v_mfma_f32_16x16x16_f16 v[46:49], v[6:7], v[36:37], 0
	v_cmp_gt_u32_e32 vcc, 64, v0
	s_mov_b32 s3, 0
	s_and_b64 s[4:5], vcc, s[30:31]
	v_mfma_f32_16x16x16_f16 v[6:9], v[8:9], v[38:39], v[46:49]
	s_waitcnt vmcnt(6) lgkmcnt(0)
	v_mfma_f32_16x16x16_f16 v[6:9], v[2:3], v[42:43], v[6:9]
	v_mfma_f32_16x16x16_f16 v[2:5], v[4:5], v[44:45], v[6:9]
	s_nop 5
	ds_read_b128 v[6:9], v35 offset:2048
	ds_read_b128 v[36:39], v35 offset:2064
	s_waitcnt vmcnt(5) lgkmcnt(1)
	v_mfma_f32_16x16x16_f16 v[2:5], v[30:31], v[6:7], v[2:5]
	v_mfma_f32_16x16x16_f16 v[2:5], v[32:33], v[8:9], v[2:5]
	s_waitcnt vmcnt(4) lgkmcnt(0)
	v_mfma_f32_16x16x16_f16 v[2:5], v[26:27], v[36:37], v[2:5]
	v_mfma_f32_16x16x16_f16 v[2:5], v[28:29], v[38:39], v[2:5]
	ds_read_b128 v[6:9], v35 offset:4096
	ds_read_b128 v[26:29], v35 offset:4112
	s_waitcnt vmcnt(3) lgkmcnt(1)
	v_mfma_f32_16x16x16_f16 v[2:5], v[22:23], v[6:7], v[2:5]
	v_mfma_f32_16x16x16_f16 v[2:5], v[24:25], v[8:9], v[2:5]
	s_waitcnt vmcnt(2) lgkmcnt(0)
	v_mfma_f32_16x16x16_f16 v[2:5], v[18:19], v[26:27], v[2:5]
	v_mfma_f32_16x16x16_f16 v[2:5], v[20:21], v[28:29], v[2:5]
	ds_read_b128 v[6:9], v35 offset:6144
	ds_read_b128 v[18:21], v35 offset:6160
	v_mov_b32_e32 v35, 0
	s_waitcnt vmcnt(1) lgkmcnt(0)
	v_mfma_f32_16x16x16_f16 v[2:5], v[14:15], v[6:7], v[2:5]
	s_barrier
	v_mfma_f32_16x16x16_f16 v[2:5], v[16:17], v[8:9], v[2:5]
	s_waitcnt vmcnt(0)
	v_mfma_f32_16x16x16_f16 v[2:5], v[10:11], v[18:19], v[2:5]
	v_mfma_f32_16x16x16_f16 v[2:5], v[12:13], v[20:21], v[2:5]
	s_nop 6
	v_cvt_f16_f32_e32 v2, v2
	v_cvt_f16_f32_e32 v3, v3
	;; [unrolled: 1-line block ×4, first 2 shown]
	v_pack_b32_f16 v2, v2, v3
	v_pack_b32_f16 v3, v4, v5
	ds_write_b64 v40, v[2:3]
	s_waitcnt lgkmcnt(0)
	s_barrier
	s_and_saveexec_b64 s[8:9], s[4:5]
	s_cbranch_execz .LBB102_18
; %bb.16:
	s_load_dwordx2 s[4:5], s[0:1], 0x68
	s_lshl_b32 s0, s6, 6
	s_mul_i32 s1, s7, s2
	s_mul_hi_u32 s7, s1, s0
	s_mul_i32 s6, s1, s0
	v_lshlrev_b32_e32 v0, 10, v0
	s_lshl_b64 s[6:7], s[6:7], 1
	v_and_b32_e32 v0, 0x1800, v0
	v_lshlrev_b32_e32 v2, 5, v54
	v_and_b32_e32 v1, 16, v1
	s_waitcnt lgkmcnt(0)
	s_add_u32 s1, s4, s6
	v_or3_b32 v2, v0, v2, v1
	s_addc_u32 s4, s5, s7
	s_lshl_b32 s2, s28, 6
	s_lshl_b64 s[2:3], s[2:3], 1
	ds_read_b128 v[4:7], v2 offset:128
	ds_read_b128 v[8:11], v2
	s_add_u32 s2, s1, s2
	s_addc_u32 s3, s4, s3
	v_add_u32_e32 v3, s42, v54
	v_lshl_add_u64 v[0:1], s[2:3], 0, v[34:35]
	v_mad_u64_u32 v[12:13], s[2:3], v3, s0, 0
	v_lshl_add_u64 v[12:13], v[12:13], 1, v[0:1]
	v_add_u32_e32 v3, 4, v3
	s_waitcnt lgkmcnt(0)
	global_store_dwordx4 v[12:13], v[8:11], off
	v_cmp_ne_u32_e32 vcc, 3, v54
	s_nop 0
	v_mad_u64_u32 v[8:9], s[2:3], v3, s0, 0
	v_lshl_add_u64 v[8:9], v[8:9], 1, v[0:1]
	global_store_dwordx4 v[8:9], v[4:7], off
	s_and_b64 exec, exec, vcc
	s_cbranch_execz .LBB102_18
; %bb.17:
	ds_read_b128 v[2:5], v2 offset:256
	v_add3_u32 v6, s42, v54, 8
	v_mad_u64_u32 v[6:7], s[0:1], v6, s0, 0
	v_lshl_add_u64 v[0:1], v[6:7], 1, v[0:1]
	s_waitcnt lgkmcnt(0)
	global_store_dwordx4 v[0:1], v[2:5], off
.LBB102_18:
	s_endpgm
	.section	.rodata,"a",@progbits
	.p2align	6, 0x0
	.amdhsa_kernel _Z39paged_attention_ll4mi_QKV_mfma16_kernelIDF16_DF16_LN4vllm18Fp8KVCacheDataTypeE0EDF16_Li16ELi64ELi256ELb0ELi11EEvPKT_PKT0_S7_ifPKiS9_S9_iPKfiiiPfSC_PS2_PT2_iSB_SB_
		.amdhsa_group_segment_fixed_size 8192
		.amdhsa_private_segment_fixed_size 0
		.amdhsa_kernarg_size 400
		.amdhsa_user_sgpr_count 2
		.amdhsa_user_sgpr_dispatch_ptr 0
		.amdhsa_user_sgpr_queue_ptr 0
		.amdhsa_user_sgpr_kernarg_segment_ptr 1
		.amdhsa_user_sgpr_dispatch_id 0
		.amdhsa_user_sgpr_kernarg_preload_length 0
		.amdhsa_user_sgpr_kernarg_preload_offset 0
		.amdhsa_user_sgpr_private_segment_size 0
		.amdhsa_uses_dynamic_stack 0
		.amdhsa_enable_private_segment 0
		.amdhsa_system_sgpr_workgroup_id_x 1
		.amdhsa_system_sgpr_workgroup_id_y 1
		.amdhsa_system_sgpr_workgroup_id_z 1
		.amdhsa_system_sgpr_workgroup_info 0
		.amdhsa_system_vgpr_workitem_id 0
		.amdhsa_next_free_vgpr 69
		.amdhsa_next_free_sgpr 48
		.amdhsa_accum_offset 72
		.amdhsa_reserve_vcc 1
		.amdhsa_float_round_mode_32 0
		.amdhsa_float_round_mode_16_64 0
		.amdhsa_float_denorm_mode_32 3
		.amdhsa_float_denorm_mode_16_64 3
		.amdhsa_dx10_clamp 1
		.amdhsa_ieee_mode 1
		.amdhsa_fp16_overflow 0
		.amdhsa_tg_split 0
		.amdhsa_exception_fp_ieee_invalid_op 0
		.amdhsa_exception_fp_denorm_src 0
		.amdhsa_exception_fp_ieee_div_zero 0
		.amdhsa_exception_fp_ieee_overflow 0
		.amdhsa_exception_fp_ieee_underflow 0
		.amdhsa_exception_fp_ieee_inexact 0
		.amdhsa_exception_int_div_zero 0
	.end_amdhsa_kernel
	.section	.text._Z39paged_attention_ll4mi_QKV_mfma16_kernelIDF16_DF16_LN4vllm18Fp8KVCacheDataTypeE0EDF16_Li16ELi64ELi256ELb0ELi11EEvPKT_PKT0_S7_ifPKiS9_S9_iPKfiiiPfSC_PS2_PT2_iSB_SB_,"axG",@progbits,_Z39paged_attention_ll4mi_QKV_mfma16_kernelIDF16_DF16_LN4vllm18Fp8KVCacheDataTypeE0EDF16_Li16ELi64ELi256ELb0ELi11EEvPKT_PKT0_S7_ifPKiS9_S9_iPKfiiiPfSC_PS2_PT2_iSB_SB_,comdat
.Lfunc_end102:
	.size	_Z39paged_attention_ll4mi_QKV_mfma16_kernelIDF16_DF16_LN4vllm18Fp8KVCacheDataTypeE0EDF16_Li16ELi64ELi256ELb0ELi11EEvPKT_PKT0_S7_ifPKiS9_S9_iPKfiiiPfSC_PS2_PT2_iSB_SB_, .Lfunc_end102-_Z39paged_attention_ll4mi_QKV_mfma16_kernelIDF16_DF16_LN4vllm18Fp8KVCacheDataTypeE0EDF16_Li16ELi64ELi256ELb0ELi11EEvPKT_PKT0_S7_ifPKiS9_S9_iPKfiiiPfSC_PS2_PT2_iSB_SB_
                                        ; -- End function
	.section	.AMDGPU.csdata,"",@progbits
; Kernel info:
; codeLenInByte = 3824
; NumSgprs: 54
; NumVgprs: 69
; NumAgprs: 0
; TotalNumVgprs: 69
; ScratchSize: 0
; MemoryBound: 0
; FloatMode: 240
; IeeeMode: 1
; LDSByteSize: 8192 bytes/workgroup (compile time only)
; SGPRBlocks: 6
; VGPRBlocks: 8
; NumSGPRsForWavesPerEU: 54
; NumVGPRsForWavesPerEU: 69
; AccumOffset: 72
; Occupancy: 7
; WaveLimiterHint : 1
; COMPUTE_PGM_RSRC2:SCRATCH_EN: 0
; COMPUTE_PGM_RSRC2:USER_SGPR: 2
; COMPUTE_PGM_RSRC2:TRAP_HANDLER: 0
; COMPUTE_PGM_RSRC2:TGID_X_EN: 1
; COMPUTE_PGM_RSRC2:TGID_Y_EN: 1
; COMPUTE_PGM_RSRC2:TGID_Z_EN: 1
; COMPUTE_PGM_RSRC2:TIDIG_COMP_CNT: 0
; COMPUTE_PGM_RSRC3_GFX90A:ACCUM_OFFSET: 17
; COMPUTE_PGM_RSRC3_GFX90A:TG_SPLIT: 0
	.section	.text._Z39paged_attention_ll4mi_QKV_mfma16_kernelIDF16_DF16_LN4vllm18Fp8KVCacheDataTypeE0EDF16_Li16ELi64ELi256ELb0ELi12EEvPKT_PKT0_S7_ifPKiS9_S9_iPKfiiiPfSC_PS2_PT2_iSB_SB_,"axG",@progbits,_Z39paged_attention_ll4mi_QKV_mfma16_kernelIDF16_DF16_LN4vllm18Fp8KVCacheDataTypeE0EDF16_Li16ELi64ELi256ELb0ELi12EEvPKT_PKT0_S7_ifPKiS9_S9_iPKfiiiPfSC_PS2_PT2_iSB_SB_,comdat
	.protected	_Z39paged_attention_ll4mi_QKV_mfma16_kernelIDF16_DF16_LN4vllm18Fp8KVCacheDataTypeE0EDF16_Li16ELi64ELi256ELb0ELi12EEvPKT_PKT0_S7_ifPKiS9_S9_iPKfiiiPfSC_PS2_PT2_iSB_SB_ ; -- Begin function _Z39paged_attention_ll4mi_QKV_mfma16_kernelIDF16_DF16_LN4vllm18Fp8KVCacheDataTypeE0EDF16_Li16ELi64ELi256ELb0ELi12EEvPKT_PKT0_S7_ifPKiS9_S9_iPKfiiiPfSC_PS2_PT2_iSB_SB_
	.globl	_Z39paged_attention_ll4mi_QKV_mfma16_kernelIDF16_DF16_LN4vllm18Fp8KVCacheDataTypeE0EDF16_Li16ELi64ELi256ELb0ELi12EEvPKT_PKT0_S7_ifPKiS9_S9_iPKfiiiPfSC_PS2_PT2_iSB_SB_
	.p2align	8
	.type	_Z39paged_attention_ll4mi_QKV_mfma16_kernelIDF16_DF16_LN4vllm18Fp8KVCacheDataTypeE0EDF16_Li16ELi64ELi256ELb0ELi12EEvPKT_PKT0_S7_ifPKiS9_S9_iPKfiiiPfSC_PS2_PT2_iSB_SB_,@function
_Z39paged_attention_ll4mi_QKV_mfma16_kernelIDF16_DF16_LN4vllm18Fp8KVCacheDataTypeE0EDF16_Li16ELi64ELi256ELb0ELi12EEvPKT_PKT0_S7_ifPKiS9_S9_iPKfiiiPfSC_PS2_PT2_iSB_SB_: ; @_Z39paged_attention_ll4mi_QKV_mfma16_kernelIDF16_DF16_LN4vllm18Fp8KVCacheDataTypeE0EDF16_Li16ELi64ELi256ELb0ELi12EEvPKT_PKT0_S7_ifPKiS9_S9_iPKfiiiPfSC_PS2_PT2_iSB_SB_
; %bb.0:
	s_load_dwordx2 s[12:13], s[0:1], 0x30
	s_mov_b32 s28, s3
	s_mov_b64 s[6:7], 0
	s_waitcnt lgkmcnt(0)
	s_cmp_lg_u64 s[12:13], 0
	s_cselect_b64 s[14:15], -1, 0
	s_and_b64 vcc, exec, s[14:15]
	s_cbranch_vccz .LBB103_7
; %bb.1:
	s_add_i32 s8, s2, 1
	s_mov_b32 s9, 0
	s_lshl_b64 s[10:11], s[8:9], 2
	s_add_u32 s10, s12, s10
	s_mov_b32 s3, s9
	s_addc_u32 s11, s13, s11
	s_lshl_b64 s[8:9], s[2:3], 2
	s_add_u32 s8, s12, s8
	s_addc_u32 s9, s13, s9
	s_load_dword s5, s[10:11], 0x0
	s_load_dword s16, s[8:9], 0x0
	s_waitcnt lgkmcnt(0)
	s_sub_i32 s5, s5, s16
	s_cmp_eq_u32 s5, 1
	s_cselect_b64 s[8:9], -1, 0
	s_andn2_b64 vcc, exec, s[6:7]
	s_cbranch_vccnz .LBB103_3
.LBB103_2:
	s_mov_b32 s3, 0
	s_mov_b64 s[8:9], -1
.LBB103_3:
	s_andn2_b64 vcc, exec, s[8:9]
	s_cbranch_vccnz .LBB103_17
; %bb.4:
	s_load_dwordx2 s[6:7], s[0:1], 0x28
	s_lshl_b64 s[16:17], s[2:3], 2
	s_waitcnt lgkmcnt(0)
	s_add_u32 s6, s6, s16
	s_addc_u32 s7, s7, s17
	s_load_dword s33, s[6:7], 0x0
	s_lshl_b32 s18, s28, 8
	s_waitcnt lgkmcnt(0)
	s_cmp_ge_i32 s18, s33
	s_cbranch_scc1 .LBB103_17
; %bb.5:
	s_load_dwordx2 s[6:7], s[0:1], 0x20
	s_load_dword s5, s[0:1], 0x38
	s_add_i32 s8, s33, 15
	s_ashr_i32 s9, s8, 31
	v_and_b32_e32 v1, 0xcf, v0
	s_lshr_b32 s9, s9, 28
	v_add_u32_e32 v1, s18, v1
	s_add_i32 s8, s8, s9
	v_ashrrev_i32_e32 v2, 31, v1
	s_ashr_i32 s19, s8, 4
	v_lshrrev_b32_e32 v6, 28, v2
	s_add_i32 s19, s19, -1
	s_waitcnt lgkmcnt(0)
	s_mul_i32 s8, s2, s5
	s_mov_b32 s9, 0
	v_add_u32_e32 v2, v1, v6
	s_lshl_b64 s[8:9], s[8:9], 2
	v_ashrrev_i32_e32 v2, 4, v2
	v_mov_b32_e32 v7, s19
	v_cmp_gt_i32_e32 vcc, s33, v1
	s_add_u32 s6, s6, s8
	s_addc_u32 s7, s7, s9
	v_cndmask_b32_e32 v2, v7, v2, vcc
	v_ashrrev_i32_e32 v3, 31, v2
	v_lshl_add_u64 v[4:5], v[2:3], 2, s[6:7]
	v_or_b32_e32 v2, 16, v1
	v_add_u32_e32 v3, v2, v6
	v_ashrrev_i32_e32 v3, 4, v3
	v_cmp_gt_i32_e32 vcc, s33, v2
	s_load_dwordx4 s[8:11], s[0:1], 0x8
	s_nop 0
	v_cndmask_b32_e32 v2, v7, v3, vcc
	v_ashrrev_i32_e32 v3, 31, v2
	v_lshl_add_u64 v[8:9], v[2:3], 2, s[6:7]
	v_or_b32_e32 v2, 32, v1
	v_add_u32_e32 v3, v2, v6
	v_ashrrev_i32_e32 v3, 4, v3
	v_cmp_gt_i32_e32 vcc, s33, v2
	v_or_b32_e32 v1, 48, v1
	s_nop 0
	v_cndmask_b32_e32 v2, v7, v3, vcc
	v_ashrrev_i32_e32 v3, 31, v2
	v_lshl_add_u64 v[12:13], v[2:3], 2, s[6:7]
	v_add_u32_e32 v2, v1, v6
	v_ashrrev_i32_e32 v2, 4, v2
	v_cmp_gt_i32_e32 vcc, s33, v1
	s_nop 1
	v_cndmask_b32_e32 v2, v7, v2, vcc
	v_ashrrev_i32_e32 v3, 31, v2
	v_lshl_add_u64 v[14:15], v[2:3], 2, s[6:7]
	global_load_dword v2, v[4:5], off
	global_load_dword v6, v[8:9], off
	;; [unrolled: 1-line block ×4, first 2 shown]
	s_andn2_b64 vcc, exec, s[14:15]
	s_cbranch_vccnz .LBB103_8
; %bb.6:
	s_add_u32 s12, s12, s16
	s_addc_u32 s13, s13, s17
	s_load_dword s5, s[12:13], 0x0
	s_branch .LBB103_9
.LBB103_7:
	s_mov_b64 s[8:9], 0
	s_branch .LBB103_2
.LBB103_8:
	s_mov_b32 s5, s2
.LBB103_9:
	s_load_dwordx4 s[44:47], s[0:1], 0x48
	v_and_b32_e32 v36, 15, v0
	s_movk_i32 s12, 0xc0
	v_lshlrev_b32_e32 v3, 3, v36
	v_cmp_gt_u32_e32 vcc, s12, v0
	v_cmp_gt_u32_e64 s[30:31], 8, v36
	v_lshrrev_b32_e32 v37, 6, v0
	v_and_b32_e32 v55, 63, v0
	v_bfe_u32 v1, v0, 4, 2
	s_mul_i32 s42, s4, 12
	s_and_b64 s[14:15], vcc, s[30:31]
	v_lshlrev_b32_e32 v34, 1, v3
	s_and_saveexec_b64 s[12:13], s[14:15]
	s_cbranch_execz .LBB103_11
; %bb.10:
	s_load_dwordx2 s[14:15], s[0:1], 0x0
	s_waitcnt lgkmcnt(0)
	s_ashr_i32 s16, s44, 31
	s_mul_hi_u32 s17, s5, s44
	s_mul_i32 s16, s5, s16
	s_add_i32 s17, s17, s16
	s_mul_i32 s16, s5, s44
	v_lshl_or_b32 v3, v37, 2, v1
	s_lshl_b64 s[16:17], s[16:17], 1
	s_add_u32 s14, s14, s16
	v_add_lshl_u32 v4, v3, s42, 6
	s_addc_u32 s15, s15, s17
	v_ashrrev_i32_e32 v5, 31, v4
	v_lshl_add_u64 v[4:5], v[4:5], 1, s[14:15]
	v_mov_b32_e32 v35, 0
	v_lshl_add_u64 v[4:5], v[4:5], 0, v[34:35]
	global_load_dwordx4 v[12:15], v[4:5], off
	v_and_b32_e32 v4, 3, v0
	v_lshlrev_b32_e32 v5, 9, v36
	v_lshlrev_b32_e32 v3, 5, v3
	;; [unrolled: 1-line block ×3, first 2 shown]
	v_and_b32_e32 v5, 0x1800, v5
	v_or3_b32 v3, v5, v4, v3
	s_waitcnt vmcnt(0)
	ds_write_b128 v3, v[12:15]
.LBB103_11:
	s_or_b64 exec, exec, s[12:13]
	s_waitcnt lgkmcnt(0)
	s_mul_i32 s4, s4, s46
	s_mov_b32 s5, 0
	s_lshl_b64 s[4:5], s[4:5], 1
	s_add_u32 s8, s8, s4
	v_lshlrev_b32_e32 v54, 4, v0
	s_addc_u32 s9, s9, s5
	v_and_b32_e32 v30, 0xf0, v54
	v_mov_b32_e32 v31, 0
	v_lshl_add_u64 v[18:19], s[8:9], 0, v[30:31]
	s_waitcnt vmcnt(3)
	v_mad_i64_i32 v[2:3], s[8:9], v2, s45, 0
	v_lshl_add_u64 v[2:3], v[2:3], 1, v[18:19]
	v_and_b32_e32 v30, 0x300, v54
	v_lshl_add_u64 v[14:15], v[2:3], 0, v[30:31]
	s_load_dword s29, s[0:1], 0x98
	s_load_dword s12, s[0:1], 0x1c
	s_waitcnt lgkmcnt(0)
	s_barrier
	global_load_dwordx4 v[2:5], v[14:15], off
	global_load_dwordx4 v[26:29], v[14:15], off offset:1024
	s_waitcnt vmcnt(3)
	v_mad_i64_i32 v[10:11], s[8:9], v10, s45, 0
	v_lshl_add_u64 v[10:11], v[10:11], 1, v[18:19]
	v_lshl_add_u64 v[38:39], v[10:11], 0, v[30:31]
	global_load_dwordx4 v[10:13], v[38:39], off
	global_load_dwordx4 v[56:59], v[38:39], off offset:1024
	v_mad_i64_i32 v[6:7], s[8:9], v6, s45, 0
	v_lshl_add_u64 v[6:7], v[6:7], 1, v[18:19]
	v_lshl_add_u64 v[32:33], v[6:7], 0, v[30:31]
	global_load_dwordx4 v[6:9], v[32:33], off
	global_load_dwordx4 v[46:49], v[32:33], off offset:1024
	s_waitcnt vmcnt(6)
	v_mad_i64_i32 v[16:17], s[8:9], v16, s45, 0
	v_lshl_add_u64 v[16:17], v[16:17], 1, v[18:19]
	v_lshl_add_u64 v[40:41], v[16:17], 0, v[30:31]
	global_load_dwordx4 v[18:21], v[40:41], off
	v_add_u32_e32 v16, -12, v36
	v_cmp_gt_u32_e32 vcc, 12, v36
	global_load_dwordx4 v[38:41], v[40:41], off offset:1024
	v_and_or_b32 v30, v0, 48, s18
	v_cndmask_b32_e32 v16, v16, v36, vcc
	v_lshlrev_b32_e32 v16, 5, v16
	v_lshl_add_u32 v16, v1, 9, v16
	ds_read_b128 v[22:25], v16
	v_mov_b32_e32 v68, s19
	v_cmp_gt_i32_e32 vcc, s33, v30
	v_or_b32_e32 v32, 64, v30
	ds_read_b128 v[14:17], v16 offset:2048
	v_lshlrev_b32_e32 v35, 5, v36
	s_add_u32 s4, s10, s4
	s_addc_u32 s5, s11, s5
	s_mov_b32 s43, 0xff7fffff
	s_waitcnt vmcnt(7) lgkmcnt(1)
	v_mfma_f32_16x16x16_f16 v[42:45], v[2:3], v[22:23], 0
	v_ashrrev_i32_e32 v2, 4, v30
	v_cndmask_b32_e32 v2, v68, v2, vcc
	v_ashrrev_i32_e32 v3, 31, v2
	s_waitcnt vmcnt(5)
	v_mfma_f32_16x16x16_f16 v[60:63], v[10:11], v[22:23], 0
	v_lshl_add_u64 v[10:11], v[2:3], 2, s[6:7]
	v_cmp_gt_i32_e32 vcc, s33, v32
	v_mfma_f32_16x16x16_f16 v[2:5], v[4:5], v[24:25], v[42:45]
	s_nop 2
	global_load_dword v42, v[10:11], off
	s_waitcnt vmcnt(4)
	v_mfma_f32_16x16x16_f16 v[50:53], v[6:7], v[22:23], 0
	v_ashrrev_i32_e32 v6, 4, v32
	v_cndmask_b32_e32 v6, v68, v6, vcc
	v_ashrrev_i32_e32 v7, 31, v6
	v_lshl_add_u64 v[10:11], v[6:7], 2, s[6:7]
	global_load_dword v43, v[10:11], off
	s_waitcnt vmcnt(3)
	v_mfma_f32_16x16x16_f16 v[64:67], v[18:19], v[22:23], 0
	v_or_b32_e32 v22, 0x80, v30
	v_or_b32_e32 v23, 0xc0, v30
	v_ashrrev_i32_e32 v30, 4, v22
	v_cmp_gt_i32_e32 vcc, s33, v22
	v_ashrrev_i32_e32 v32, 4, v23
	v_mfma_f32_16x16x16_f16 v[6:9], v[8:9], v[24:25], v[50:53]
	v_cndmask_b32_e32 v22, v68, v30, vcc
	v_cmp_gt_i32_e32 vcc, s33, v23
	v_ashrrev_i32_e32 v23, 31, v22
	v_mfma_f32_16x16x16_f16 v[10:13], v[12:13], v[24:25], v[60:63]
	v_lshl_or_b32 v30, v37, 9, v35
	v_mfma_f32_16x16x16_f16 v[18:21], v[20:21], v[24:25], v[64:67]
	v_cndmask_b32_e32 v24, v68, v32, vcc
	v_ashrrev_i32_e32 v25, 31, v24
	v_lshl_add_u64 v[32:33], v[24:25], 2, s[6:7]
	s_waitcnt lgkmcnt(0)
	v_mfma_f32_16x16x16_f16 v[2:5], v[26:27], v[14:15], v[2:5]
	v_lshl_add_u64 v[26:27], v[22:23], 2, s[6:7]
	global_load_dword v60, v[26:27], off
	global_load_dword v61, v[32:33], off
	v_mfma_f32_16x16x16_f16 v[6:9], v[46:47], v[14:15], v[6:9]
	v_mfma_f32_16x16x16_f16 v[22:25], v[56:57], v[14:15], v[10:13]
	s_waitcnt vmcnt(4)
	v_mfma_f32_16x16x16_f16 v[18:21], v[38:39], v[14:15], v[18:21]
	s_nop 0
	v_lshl_add_u64 v[10:11], s[4:5], 0, v[30:31]
	s_waitcnt vmcnt(3)
	v_mad_i64_i32 v[26:27], s[4:5], v42, s45, 0
	v_mfma_f32_16x16x16_f16 v[12:15], v[28:29], v[16:17], v[2:5]
	v_lshl_add_u64 v[30:31], v[26:27], 1, v[10:11]
	s_waitcnt vmcnt(2)
	v_mad_i64_i32 v[32:33], s[4:5], v43, s45, 0
	v_mfma_f32_16x16x16_f16 v[26:29], v[48:49], v[16:17], v[6:9]
	s_nop 2
	v_pk_mul_f32 v[50:51], s[12:13], v[14:15] op_sel_hi:[0,1]
	v_pk_mul_f32 v[12:13], s[12:13], v[12:13] op_sel_hi:[0,1]
	v_lshl_add_u64 v[56:57], v[32:33], 1, v[10:11]
	v_mfma_f32_16x16x16_f16 v[22:25], v[58:59], v[16:17], v[22:25]
	global_load_dwordx4 v[6:9], v[30:31], off
	global_load_dwordx4 v[2:5], v[30:31], off offset:16
	v_pk_mul_f32 v[42:43], s[12:13], v[26:27] op_sel_hi:[0,1]
	v_pk_mul_f32 v[52:53], s[12:13], v[28:29] op_sel_hi:[0,1]
	v_mfma_f32_16x16x16_f16 v[14:17], v[40:41], v[16:17], v[18:21]
	s_nop 1
	v_pk_mul_f32 v[48:49], s[12:13], v[22:23] op_sel_hi:[0,1]
	v_pk_mul_f32 v[46:47], s[12:13], v[24:25] op_sel_hi:[0,1]
	global_load_dwordx4 v[30:33], v[56:57], off
	global_load_dwordx4 v[26:29], v[56:57], off offset:16
	s_nop 0
	v_pk_mul_f32 v[44:45], s[12:13], v[14:15] op_sel_hi:[0,1]
	v_and_b32_e32 v14, 0xc0, v0
	v_add_u32_e32 v14, s18, v14
	v_lshl_or_b32 v14, v1, 2, v14
	v_pk_mul_f32 v[38:39], s[12:13], v[16:17] op_sel_hi:[0,1]
	v_or_b32_e32 v17, 1, v14
	v_mov_b32_e32 v15, 0xff7fffff
	v_cmp_gt_i32_e64 s[4:5], s33, v14
	v_cmp_gt_i32_e64 s[34:35], s33, v17
	v_or_b32_e32 v18, 3, v14
	v_cndmask_b32_e64 v16, v15, v12, s[4:5]
	v_cndmask_b32_e64 v17, v15, v13, s[34:35]
	v_max3_f32 v16, v16, s43, v17
	v_or_b32_e32 v17, 2, v14
	v_cmp_gt_i32_e64 s[36:37], s33, v17
	v_cmp_gt_i32_e64 s[38:39], s33, v18
	s_nop 0
	v_cndmask_b32_e64 v17, v15, v50, s[36:37]
	v_cndmask_b32_e64 v18, v15, v51, s[38:39]
	v_max3_f32 v16, v16, v17, v18
	v_or_b32_e32 v17, 16, v14
	v_or_b32_e32 v18, 17, v14
	v_cmp_gt_i32_e64 s[24:25], s33, v17
	v_cmp_gt_i32_e64 s[26:27], s33, v18
	s_nop 0
	v_cndmask_b32_e64 v17, v15, v42, s[24:25]
	v_cndmask_b32_e64 v18, v15, v43, s[26:27]
	v_max3_f32 v16, v16, v17, v18
	v_or_b32_e32 v17, 18, v14
	;; [unrolled: 8-line block ×6, first 2 shown]
	v_or_b32_e32 v14, 51, v14
	v_cmp_gt_i32_e32 vcc, s33, v17
	v_cmp_gt_i32_e64 s[6:7], s33, v14
	s_nop 0
	v_cndmask_b32_e32 v17, v15, v38, vcc
	v_cndmask_b32_e64 v14, v15, v39, s[6:7]
	v_max3_f32 v16, v16, v17, v14
	v_mbcnt_lo_u32_b32 v14, -1, 0
	v_mbcnt_hi_u32_b32 v17, -1, v14
	v_and_b32_e32 v14, 64, v17
	v_add_u32_e32 v18, 64, v14
	v_xor_b32_e32 v14, 32, v17
	v_cmp_lt_i32_e64 s[40:41], v14, v18
	s_nop 1
	v_cndmask_b32_e64 v14, v17, v14, s[40:41]
	v_lshlrev_b32_e32 v58, 2, v14
	ds_bpermute_b32 v19, v58, v16
	s_waitcnt vmcnt(5)
	v_mad_i64_i32 v[14:15], s[40:41], v60, s45, 0
	v_lshl_add_u64 v[14:15], v[14:15], 1, v[10:11]
	s_waitcnt lgkmcnt(0)
	v_max_f32_e32 v19, v19, v19
	v_max_f32_e32 v16, v16, v19
	v_xor_b32_e32 v19, 16, v17
	v_cmp_lt_i32_e64 s[40:41], v19, v18
	s_nop 1
	v_cndmask_b32_e64 v17, v17, v19, s[40:41]
	v_lshlrev_b32_e32 v57, 2, v17
	ds_bpermute_b32 v17, v57, v16
	global_load_dwordx4 v[22:25], v[14:15], off
	global_load_dwordx4 v[18:21], v[14:15], off offset:16
	s_waitcnt vmcnt(6)
	v_mad_i64_i32 v[14:15], s[40:41], v61, s45, 0
	v_lshl_add_u64 v[10:11], v[14:15], 1, v[10:11]
	s_waitcnt lgkmcnt(0)
	v_max_f32_e32 v14, v17, v17
	v_max_f32_e32 v56, v16, v14
	v_sub_f32_e32 v12, v12, v56
	v_mul_f32_e32 v12, 0x3fb8aa3b, v12
	v_exp_f32_e32 v40, v12
	v_sub_f32_e32 v12, v13, v56
	v_mul_f32_e32 v12, 0x3fb8aa3b, v12
	v_exp_f32_e32 v41, v12
	global_load_dwordx4 v[14:17], v[10:11], off
	s_nop 0
	global_load_dwordx4 v[10:13], v[10:11], off offset:16
	v_sub_f32_e32 v50, v50, v56
	v_mul_f32_e32 v50, 0x3fb8aa3b, v50
	v_sub_f32_e32 v51, v51, v56
	v_exp_f32_e32 v50, v50
	v_mul_f32_e32 v51, 0x3fb8aa3b, v51
	v_sub_f32_e32 v42, v42, v56
	v_exp_f32_e32 v51, v51
	v_mul_f32_e32 v42, 0x3fb8aa3b, v42
	v_sub_f32_e32 v43, v43, v56
	v_cndmask_b32_e64 v40, 0, v40, s[4:5]
	v_exp_f32_e32 v42, v42
	v_mul_f32_e32 v43, 0x3fb8aa3b, v43
	v_sub_f32_e32 v52, v52, v56
	v_add_f32_e32 v59, 0, v40
	v_cndmask_b32_e64 v41, 0, v41, s[34:35]
	v_exp_f32_e32 v43, v43
	v_mul_f32_e32 v52, 0x3fb8aa3b, v52
	v_sub_f32_e32 v53, v53, v56
	v_add_f32_e32 v59, v59, v41
	;; [unrolled: 5-line block ×10, first 2 shown]
	v_cndmask_b32_e64 v46, 0, v46, s[12:13]
	v_exp_f32_e32 v38, v38
	v_mul_f32_e32 v39, 0x3fb8aa3b, v39
	v_add_f32_e32 v59, v59, v46
	v_cndmask_b32_e64 v47, 0, v47, s[14:15]
	v_exp_f32_e32 v39, v39
	v_add_f32_e32 v59, v59, v47
	v_cndmask_b32_e64 v44, 0, v44, s[8:9]
	v_add_f32_e32 v59, v59, v44
	v_cndmask_b32_e64 v45, 0, v45, s[10:11]
	v_add_f32_e32 v59, v59, v45
	v_cndmask_b32_e32 v38, 0, v38, vcc
	v_add_f32_e32 v59, v59, v38
	v_cndmask_b32_e64 v39, 0, v39, s[6:7]
	v_add_f32_e32 v59, v59, v39
	ds_bpermute_b32 v58, v58, v59
	v_cmp_gt_u32_e32 vcc, 16, v55
	s_waitcnt lgkmcnt(0)
	s_barrier
	v_add_f32_e32 v58, v59, v58
	ds_bpermute_b32 v59, v57, v58
	v_lshlrev_b32_e32 v57, 2, v36
	s_and_saveexec_b64 s[4:5], vcc
	s_cbranch_execz .LBB103_13
; %bb.12:
	s_waitcnt lgkmcnt(0)
	v_add_f32_e32 v55, v58, v59
	v_lshl_or_b32 v58, v37, 6, v57
	ds_write2st64_b32 v58, v56, v55 offset1:1
.LBB103_13:
	s_or_b64 exec, exec, s[4:5]
	s_load_dword s6, s[0:1], 0x94
	s_waitcnt lgkmcnt(0)
	s_barrier
	ds_read2_b32 v[58:59], v57 offset1:16
	ds_read2_b32 v[60:61], v57 offset0:32 offset1:48
	ds_read2_b32 v[62:63], v57 offset0:64 offset1:80
	s_mul_i32 s7, s29, 12
	s_waitcnt lgkmcnt(2)
	v_max3_f32 v55, v58, s43, v59
	s_waitcnt lgkmcnt(1)
	v_max3_f32 v55, v55, v60, v61
	v_sub_f32_e32 v56, v58, v55
	v_mul_f32_e32 v56, 0x3fb8aa3b, v56
	v_exp_f32_e32 v64, v56
	v_sub_f32_e32 v56, v59, v55
	v_mul_f32_e32 v56, 0x3fb8aa3b, v56
	v_exp_f32_e32 v65, v56
	;; [unrolled: 3-line block ×3, first 2 shown]
	ds_read2_b32 v[58:59], v57 offset0:96 offset1:112
	v_sub_f32_e32 v56, v61, v55
	v_mul_f32_e32 v56, 0x3fb8aa3b, v56
	v_exp_f32_e32 v57, v56
	s_waitcnt lgkmcnt(1)
	v_fma_f32 v56, v64, v62, 0
	v_fmac_f32_e32 v56, v65, v63
	s_waitcnt lgkmcnt(0)
	v_fmac_f32_e32 v56, v60, v58
	v_fmac_f32_e32 v56, v57, v59
	v_add_f32_e32 v58, 0x358637bd, v56
	v_div_scale_f32 v59, s[4:5], v58, v58, 1.0
	v_rcp_f32_e32 v61, v59
	s_barrier
	v_fma_f32 v62, -v59, v61, 1.0
	v_fmac_f32_e32 v61, v62, v61
	v_div_scale_f32 v62, vcc, 1.0, v58, 1.0
	v_mul_f32_e32 v63, v62, v61
	v_fma_f32 v66, -v59, v63, v62
	v_fmac_f32_e32 v63, v66, v61
	v_fma_f32 v59, -v59, v63, v62
	v_div_fmas_f32 v59, v59, v61, v63
	v_cmp_eq_u32_e32 vcc, 1, v37
	v_div_fixup_f32 v58, v59, v58, 1.0
	s_nop 0
	v_cndmask_b32_e32 v59, v64, v65, vcc
	v_cmp_eq_u32_e32 vcc, 2, v37
	s_nop 1
	v_cndmask_b32_e32 v59, v59, v60, vcc
	v_cmp_eq_u32_e32 vcc, 3, v37
	v_lshlrev_b32_e32 v37, 11, v37
	s_nop 0
	v_cndmask_b32_e32 v57, v59, v57, vcc
	v_mul_f32_e32 v58, v57, v58
	v_pk_mul_f32 v[40:41], v[58:59], v[40:41] op_sel_hi:[0,1]
	v_cvt_f16_f32_e32 v40, v40
	v_cvt_f16_f32_e32 v41, v41
	v_pk_mul_f32 v[50:51], v[58:59], v[50:51] op_sel_hi:[0,1]
	v_cvt_f16_f32_e32 v57, v50
	v_cvt_f16_f32_e32 v51, v51
	v_pack_b32_f16 v50, v40, v41
	v_pk_mul_f32 v[40:41], v[58:59], v[52:53] op_sel_hi:[0,1]
	v_pk_mul_f32 v[42:43], v[58:59], v[42:43] op_sel_hi:[0,1]
	v_cvt_f16_f32_e32 v42, v42
	v_cvt_f16_f32_e32 v43, v43
	;; [unrolled: 1-line block ×4, first 2 shown]
	v_pack_b32_f16 v51, v57, v51
	v_lshlrev_b32_e32 v57, 3, v1
	v_or3_b32 v40, v37, v35, v57
	v_pack_b32_f16 v42, v42, v43
	v_pack_b32_f16 v43, v52, v41
	ds_write2st64_b64 v40, v[50:51], v[42:43] offset1:1
	v_pk_mul_f32 v[42:43], v[58:59], v[46:47] op_sel_hi:[0,1]
	v_pk_mul_f32 v[46:47], v[58:59], v[48:49] op_sel_hi:[0,1]
	v_cvt_f16_f32_e32 v37, v46
	v_cvt_f16_f32_e32 v41, v47
	;; [unrolled: 1-line block ×4, first 2 shown]
	v_pk_mul_f32 v[38:39], v[58:59], v[38:39] op_sel_hi:[0,1]
	v_pk_mul_f32 v[42:43], v[58:59], v[44:45] op_sel_hi:[0,1]
	v_cvt_f16_f32_e32 v42, v42
	v_cvt_f16_f32_e32 v43, v43
	;; [unrolled: 1-line block ×4, first 2 shown]
	v_pack_b32_f16 v38, v37, v41
	v_pack_b32_f16 v39, v46, v47
	;; [unrolled: 1-line block ×4, first 2 shown]
	v_cmp_gt_u32_e32 vcc, 12, v0
	ds_write2st64_b64 v40, v[38:39], v[42:43] offset0:2 offset1:3
	s_and_saveexec_b64 s[4:5], vcc
	s_cbranch_execz .LBB103_15
; %bb.14:
	s_mov_b32 s43, 0
	v_mov_b32_e32 v37, 0
	v_lshl_add_u64 v[38:39], s[42:43], 0, v[36:37]
	v_mov_b32_e32 v36, s7
	v_mad_u64_u32 v[38:39], s[12:13], s2, v36, v[38:39]
	v_mov_b32_e32 v36, s28
	s_load_dwordx4 s[8:11], s[0:1], 0x58
	s_mul_i32 s3, s3, s7
	v_mad_u64_u32 v[36:37], s[12:13], v38, s6, v[36:37]
	v_add_u32_e32 v39, s3, v39
	v_mov_b32_e32 v38, v37
	v_mad_u64_u32 v[38:39], s[12:13], v39, s6, v[38:39]
	v_mov_b32_e32 v37, v38
	v_lshlrev_b64 v[36:37], 2, v[36:37]
	s_waitcnt lgkmcnt(0)
	v_lshl_add_u64 v[38:39], s[10:11], 0, v[36:37]
	v_lshl_add_u64 v[36:37], s[8:9], 0, v[36:37]
	global_store_dword v[38:39], v55, off
	global_store_dword v[36:37], v56, off
.LBB103_15:
	s_or_b64 exec, exec, s[4:5]
	v_lshl_or_b32 v35, v1, 9, v35
	s_waitcnt lgkmcnt(0)
	s_barrier
	ds_read_b128 v[36:39], v35
	ds_read_b128 v[42:45], v35 offset:16
	s_waitcnt vmcnt(7) lgkmcnt(1)
	v_mfma_f32_16x16x16_f16 v[46:49], v[6:7], v[36:37], 0
	v_cmp_gt_u32_e32 vcc, 64, v0
	s_mov_b32 s3, 0
	s_and_b64 s[4:5], vcc, s[30:31]
	v_mfma_f32_16x16x16_f16 v[6:9], v[8:9], v[38:39], v[46:49]
	s_waitcnt vmcnt(6) lgkmcnt(0)
	v_mfma_f32_16x16x16_f16 v[6:9], v[2:3], v[42:43], v[6:9]
	v_mfma_f32_16x16x16_f16 v[2:5], v[4:5], v[44:45], v[6:9]
	s_nop 5
	ds_read_b128 v[6:9], v35 offset:2048
	ds_read_b128 v[36:39], v35 offset:2064
	s_waitcnt vmcnt(5) lgkmcnt(1)
	v_mfma_f32_16x16x16_f16 v[2:5], v[30:31], v[6:7], v[2:5]
	v_mfma_f32_16x16x16_f16 v[2:5], v[32:33], v[8:9], v[2:5]
	s_waitcnt vmcnt(4) lgkmcnt(0)
	v_mfma_f32_16x16x16_f16 v[2:5], v[26:27], v[36:37], v[2:5]
	v_mfma_f32_16x16x16_f16 v[2:5], v[28:29], v[38:39], v[2:5]
	ds_read_b128 v[6:9], v35 offset:4096
	ds_read_b128 v[26:29], v35 offset:4112
	s_waitcnt vmcnt(3) lgkmcnt(1)
	v_mfma_f32_16x16x16_f16 v[2:5], v[22:23], v[6:7], v[2:5]
	v_mfma_f32_16x16x16_f16 v[2:5], v[24:25], v[8:9], v[2:5]
	s_waitcnt vmcnt(2) lgkmcnt(0)
	v_mfma_f32_16x16x16_f16 v[2:5], v[18:19], v[26:27], v[2:5]
	v_mfma_f32_16x16x16_f16 v[2:5], v[20:21], v[28:29], v[2:5]
	ds_read_b128 v[6:9], v35 offset:6144
	ds_read_b128 v[18:21], v35 offset:6160
	v_mov_b32_e32 v35, 0
	s_waitcnt vmcnt(1) lgkmcnt(0)
	v_mfma_f32_16x16x16_f16 v[2:5], v[14:15], v[6:7], v[2:5]
	s_barrier
	v_mfma_f32_16x16x16_f16 v[2:5], v[16:17], v[8:9], v[2:5]
	s_waitcnt vmcnt(0)
	v_mfma_f32_16x16x16_f16 v[2:5], v[10:11], v[18:19], v[2:5]
	v_mfma_f32_16x16x16_f16 v[2:5], v[12:13], v[20:21], v[2:5]
	s_nop 6
	v_cvt_f16_f32_e32 v2, v2
	v_cvt_f16_f32_e32 v3, v3
	;; [unrolled: 1-line block ×4, first 2 shown]
	v_pack_b32_f16 v2, v2, v3
	v_pack_b32_f16 v3, v4, v5
	ds_write_b64 v40, v[2:3]
	s_waitcnt lgkmcnt(0)
	s_barrier
	s_and_saveexec_b64 s[8:9], s[4:5]
	s_cbranch_execz .LBB103_17
; %bb.16:
	s_load_dwordx2 s[0:1], s[0:1], 0x68
	s_lshl_b32 s6, s6, 6
	s_mul_i32 s2, s7, s2
	s_mul_hi_u32 s5, s2, s6
	s_mul_i32 s4, s2, s6
	s_lshl_b64 s[4:5], s[4:5], 1
	s_waitcnt lgkmcnt(0)
	s_add_u32 s4, s0, s4
	v_lshlrev_b32_e32 v0, 10, v0
	s_addc_u32 s5, s1, s5
	s_lshl_b32 s2, s28, 6
	v_and_b32_e32 v0, 0x1800, v0
	v_lshlrev_b32_e32 v2, 5, v1
	v_and_b32_e32 v3, 16, v54
	s_lshl_b64 s[0:1], s[2:3], 1
	v_or3_b32 v0, v0, v2, v3
	s_add_u32 s0, s4, s0
	ds_read_b128 v[2:5], v0
	ds_read_b128 v[6:9], v0 offset:128
	ds_read_b128 v[10:13], v0 offset:256
	s_addc_u32 s1, s5, s1
	v_or_b32_e32 v16, s42, v1
	v_lshl_add_u64 v[0:1], s[0:1], 0, v[34:35]
	v_mad_u64_u32 v[14:15], s[0:1], v16, s6, 0
	v_lshl_add_u64 v[14:15], v[14:15], 1, v[0:1]
	s_waitcnt lgkmcnt(2)
	global_store_dwordx4 v[14:15], v[2:5], off
	s_nop 1
	v_add_u32_e32 v2, 4, v16
	v_mad_u64_u32 v[2:3], s[0:1], v2, s6, 0
	v_lshl_add_u64 v[2:3], v[2:3], 1, v[0:1]
	s_waitcnt lgkmcnt(1)
	global_store_dwordx4 v[2:3], v[6:9], off
	v_add_u32_e32 v2, 8, v16
	v_mad_u64_u32 v[2:3], s[0:1], v2, s6, 0
	v_lshl_add_u64 v[0:1], v[2:3], 1, v[0:1]
	s_waitcnt lgkmcnt(0)
	global_store_dwordx4 v[0:1], v[10:13], off
.LBB103_17:
	s_endpgm
	.section	.rodata,"a",@progbits
	.p2align	6, 0x0
	.amdhsa_kernel _Z39paged_attention_ll4mi_QKV_mfma16_kernelIDF16_DF16_LN4vllm18Fp8KVCacheDataTypeE0EDF16_Li16ELi64ELi256ELb0ELi12EEvPKT_PKT0_S7_ifPKiS9_S9_iPKfiiiPfSC_PS2_PT2_iSB_SB_
		.amdhsa_group_segment_fixed_size 8192
		.amdhsa_private_segment_fixed_size 0
		.amdhsa_kernarg_size 400
		.amdhsa_user_sgpr_count 2
		.amdhsa_user_sgpr_dispatch_ptr 0
		.amdhsa_user_sgpr_queue_ptr 0
		.amdhsa_user_sgpr_kernarg_segment_ptr 1
		.amdhsa_user_sgpr_dispatch_id 0
		.amdhsa_user_sgpr_kernarg_preload_length 0
		.amdhsa_user_sgpr_kernarg_preload_offset 0
		.amdhsa_user_sgpr_private_segment_size 0
		.amdhsa_uses_dynamic_stack 0
		.amdhsa_enable_private_segment 0
		.amdhsa_system_sgpr_workgroup_id_x 1
		.amdhsa_system_sgpr_workgroup_id_y 1
		.amdhsa_system_sgpr_workgroup_id_z 1
		.amdhsa_system_sgpr_workgroup_info 0
		.amdhsa_system_vgpr_workitem_id 0
		.amdhsa_next_free_vgpr 69
		.amdhsa_next_free_sgpr 48
		.amdhsa_accum_offset 72
		.amdhsa_reserve_vcc 1
		.amdhsa_float_round_mode_32 0
		.amdhsa_float_round_mode_16_64 0
		.amdhsa_float_denorm_mode_32 3
		.amdhsa_float_denorm_mode_16_64 3
		.amdhsa_dx10_clamp 1
		.amdhsa_ieee_mode 1
		.amdhsa_fp16_overflow 0
		.amdhsa_tg_split 0
		.amdhsa_exception_fp_ieee_invalid_op 0
		.amdhsa_exception_fp_denorm_src 0
		.amdhsa_exception_fp_ieee_div_zero 0
		.amdhsa_exception_fp_ieee_overflow 0
		.amdhsa_exception_fp_ieee_underflow 0
		.amdhsa_exception_fp_ieee_inexact 0
		.amdhsa_exception_int_div_zero 0
	.end_amdhsa_kernel
	.section	.text._Z39paged_attention_ll4mi_QKV_mfma16_kernelIDF16_DF16_LN4vllm18Fp8KVCacheDataTypeE0EDF16_Li16ELi64ELi256ELb0ELi12EEvPKT_PKT0_S7_ifPKiS9_S9_iPKfiiiPfSC_PS2_PT2_iSB_SB_,"axG",@progbits,_Z39paged_attention_ll4mi_QKV_mfma16_kernelIDF16_DF16_LN4vllm18Fp8KVCacheDataTypeE0EDF16_Li16ELi64ELi256ELb0ELi12EEvPKT_PKT0_S7_ifPKiS9_S9_iPKfiiiPfSC_PS2_PT2_iSB_SB_,comdat
.Lfunc_end103:
	.size	_Z39paged_attention_ll4mi_QKV_mfma16_kernelIDF16_DF16_LN4vllm18Fp8KVCacheDataTypeE0EDF16_Li16ELi64ELi256ELb0ELi12EEvPKT_PKT0_S7_ifPKiS9_S9_iPKfiiiPfSC_PS2_PT2_iSB_SB_, .Lfunc_end103-_Z39paged_attention_ll4mi_QKV_mfma16_kernelIDF16_DF16_LN4vllm18Fp8KVCacheDataTypeE0EDF16_Li16ELi64ELi256ELb0ELi12EEvPKT_PKT0_S7_ifPKiS9_S9_iPKfiiiPfSC_PS2_PT2_iSB_SB_
                                        ; -- End function
	.section	.AMDGPU.csdata,"",@progbits
; Kernel info:
; codeLenInByte = 3816
; NumSgprs: 54
; NumVgprs: 69
; NumAgprs: 0
; TotalNumVgprs: 69
; ScratchSize: 0
; MemoryBound: 0
; FloatMode: 240
; IeeeMode: 1
; LDSByteSize: 8192 bytes/workgroup (compile time only)
; SGPRBlocks: 6
; VGPRBlocks: 8
; NumSGPRsForWavesPerEU: 54
; NumVGPRsForWavesPerEU: 69
; AccumOffset: 72
; Occupancy: 7
; WaveLimiterHint : 1
; COMPUTE_PGM_RSRC2:SCRATCH_EN: 0
; COMPUTE_PGM_RSRC2:USER_SGPR: 2
; COMPUTE_PGM_RSRC2:TRAP_HANDLER: 0
; COMPUTE_PGM_RSRC2:TGID_X_EN: 1
; COMPUTE_PGM_RSRC2:TGID_Y_EN: 1
; COMPUTE_PGM_RSRC2:TGID_Z_EN: 1
; COMPUTE_PGM_RSRC2:TIDIG_COMP_CNT: 0
; COMPUTE_PGM_RSRC3_GFX90A:ACCUM_OFFSET: 17
; COMPUTE_PGM_RSRC3_GFX90A:TG_SPLIT: 0
	.section	.text._Z39paged_attention_ll4mi_QKV_mfma16_kernelIDF16_DF16_LN4vllm18Fp8KVCacheDataTypeE0EDF16_Li16ELi64ELi256ELb0ELi13EEvPKT_PKT0_S7_ifPKiS9_S9_iPKfiiiPfSC_PS2_PT2_iSB_SB_,"axG",@progbits,_Z39paged_attention_ll4mi_QKV_mfma16_kernelIDF16_DF16_LN4vllm18Fp8KVCacheDataTypeE0EDF16_Li16ELi64ELi256ELb0ELi13EEvPKT_PKT0_S7_ifPKiS9_S9_iPKfiiiPfSC_PS2_PT2_iSB_SB_,comdat
	.protected	_Z39paged_attention_ll4mi_QKV_mfma16_kernelIDF16_DF16_LN4vllm18Fp8KVCacheDataTypeE0EDF16_Li16ELi64ELi256ELb0ELi13EEvPKT_PKT0_S7_ifPKiS9_S9_iPKfiiiPfSC_PS2_PT2_iSB_SB_ ; -- Begin function _Z39paged_attention_ll4mi_QKV_mfma16_kernelIDF16_DF16_LN4vllm18Fp8KVCacheDataTypeE0EDF16_Li16ELi64ELi256ELb0ELi13EEvPKT_PKT0_S7_ifPKiS9_S9_iPKfiiiPfSC_PS2_PT2_iSB_SB_
	.globl	_Z39paged_attention_ll4mi_QKV_mfma16_kernelIDF16_DF16_LN4vllm18Fp8KVCacheDataTypeE0EDF16_Li16ELi64ELi256ELb0ELi13EEvPKT_PKT0_S7_ifPKiS9_S9_iPKfiiiPfSC_PS2_PT2_iSB_SB_
	.p2align	8
	.type	_Z39paged_attention_ll4mi_QKV_mfma16_kernelIDF16_DF16_LN4vllm18Fp8KVCacheDataTypeE0EDF16_Li16ELi64ELi256ELb0ELi13EEvPKT_PKT0_S7_ifPKiS9_S9_iPKfiiiPfSC_PS2_PT2_iSB_SB_,@function
_Z39paged_attention_ll4mi_QKV_mfma16_kernelIDF16_DF16_LN4vllm18Fp8KVCacheDataTypeE0EDF16_Li16ELi64ELi256ELb0ELi13EEvPKT_PKT0_S7_ifPKiS9_S9_iPKfiiiPfSC_PS2_PT2_iSB_SB_: ; @_Z39paged_attention_ll4mi_QKV_mfma16_kernelIDF16_DF16_LN4vllm18Fp8KVCacheDataTypeE0EDF16_Li16ELi64ELi256ELb0ELi13EEvPKT_PKT0_S7_ifPKiS9_S9_iPKfiiiPfSC_PS2_PT2_iSB_SB_
; %bb.0:
	s_load_dwordx2 s[12:13], s[0:1], 0x30
	s_mov_b32 s28, s3
	s_mov_b64 s[6:7], 0
	s_waitcnt lgkmcnt(0)
	s_cmp_lg_u64 s[12:13], 0
	s_cselect_b64 s[14:15], -1, 0
	s_and_b64 vcc, exec, s[14:15]
	s_cbranch_vccz .LBB104_7
; %bb.1:
	s_add_i32 s8, s2, 1
	s_mov_b32 s9, 0
	s_lshl_b64 s[10:11], s[8:9], 2
	s_add_u32 s10, s12, s10
	s_mov_b32 s3, s9
	s_addc_u32 s11, s13, s11
	s_lshl_b64 s[8:9], s[2:3], 2
	s_add_u32 s8, s12, s8
	s_addc_u32 s9, s13, s9
	s_load_dword s5, s[10:11], 0x0
	s_load_dword s16, s[8:9], 0x0
	s_waitcnt lgkmcnt(0)
	s_sub_i32 s5, s5, s16
	s_cmp_eq_u32 s5, 1
	s_cselect_b64 s[8:9], -1, 0
	s_andn2_b64 vcc, exec, s[6:7]
	s_cbranch_vccnz .LBB104_3
.LBB104_2:
	s_mov_b32 s3, 0
	s_mov_b64 s[8:9], -1
.LBB104_3:
	s_andn2_b64 vcc, exec, s[8:9]
	s_cbranch_vccnz .LBB104_18
; %bb.4:
	s_load_dwordx2 s[6:7], s[0:1], 0x28
	s_lshl_b64 s[16:17], s[2:3], 2
	s_waitcnt lgkmcnt(0)
	s_add_u32 s6, s6, s16
	s_addc_u32 s7, s7, s17
	s_load_dword s33, s[6:7], 0x0
	s_lshl_b32 s18, s28, 8
	s_waitcnt lgkmcnt(0)
	s_cmp_ge_i32 s18, s33
	s_cbranch_scc1 .LBB104_18
; %bb.5:
	s_load_dwordx2 s[6:7], s[0:1], 0x20
	s_load_dword s5, s[0:1], 0x38
	s_add_i32 s8, s33, 15
	s_ashr_i32 s9, s8, 31
	v_and_b32_e32 v1, 0xcf, v0
	s_lshr_b32 s9, s9, 28
	v_add_u32_e32 v1, s18, v1
	s_add_i32 s8, s8, s9
	v_ashrrev_i32_e32 v2, 31, v1
	s_ashr_i32 s19, s8, 4
	v_lshrrev_b32_e32 v6, 28, v2
	s_add_i32 s19, s19, -1
	s_waitcnt lgkmcnt(0)
	s_mul_i32 s8, s2, s5
	s_mov_b32 s9, 0
	v_add_u32_e32 v2, v1, v6
	s_lshl_b64 s[8:9], s[8:9], 2
	v_ashrrev_i32_e32 v2, 4, v2
	v_mov_b32_e32 v7, s19
	v_cmp_gt_i32_e32 vcc, s33, v1
	s_add_u32 s6, s6, s8
	s_addc_u32 s7, s7, s9
	v_cndmask_b32_e32 v2, v7, v2, vcc
	v_ashrrev_i32_e32 v3, 31, v2
	v_lshl_add_u64 v[4:5], v[2:3], 2, s[6:7]
	v_or_b32_e32 v2, 16, v1
	v_add_u32_e32 v3, v2, v6
	v_ashrrev_i32_e32 v3, 4, v3
	v_cmp_gt_i32_e32 vcc, s33, v2
	s_load_dwordx4 s[8:11], s[0:1], 0x8
	s_nop 0
	v_cndmask_b32_e32 v2, v7, v3, vcc
	v_ashrrev_i32_e32 v3, 31, v2
	v_lshl_add_u64 v[8:9], v[2:3], 2, s[6:7]
	v_or_b32_e32 v2, 32, v1
	v_add_u32_e32 v3, v2, v6
	v_ashrrev_i32_e32 v3, 4, v3
	v_cmp_gt_i32_e32 vcc, s33, v2
	v_or_b32_e32 v1, 48, v1
	s_nop 0
	v_cndmask_b32_e32 v2, v7, v3, vcc
	v_ashrrev_i32_e32 v3, 31, v2
	v_lshl_add_u64 v[12:13], v[2:3], 2, s[6:7]
	v_add_u32_e32 v2, v1, v6
	v_ashrrev_i32_e32 v2, 4, v2
	v_cmp_gt_i32_e32 vcc, s33, v1
	s_nop 1
	v_cndmask_b32_e32 v2, v7, v2, vcc
	v_ashrrev_i32_e32 v3, 31, v2
	v_lshl_add_u64 v[14:15], v[2:3], 2, s[6:7]
	global_load_dword v2, v[4:5], off
	global_load_dword v6, v[8:9], off
	global_load_dword v10, v[12:13], off
	global_load_dword v16, v[14:15], off
	s_andn2_b64 vcc, exec, s[14:15]
	s_cbranch_vccnz .LBB104_8
; %bb.6:
	s_add_u32 s12, s12, s16
	s_addc_u32 s13, s13, s17
	s_load_dword s5, s[12:13], 0x0
	s_branch .LBB104_9
.LBB104_7:
	s_mov_b64 s[8:9], 0
	s_branch .LBB104_2
.LBB104_8:
	s_mov_b32 s5, s2
.LBB104_9:
	s_load_dwordx4 s[44:47], s[0:1], 0x48
	v_lshrrev_b32_e32 v37, 6, v0
	v_bfe_u32 v54, v0, 4, 2
	v_lshl_or_b32 v1, v37, 2, v54
	v_and_b32_e32 v36, 15, v0
	v_lshlrev_b32_e32 v3, 3, v36
	v_cmp_gt_u32_e32 vcc, 13, v1
	v_cmp_gt_u32_e64 s[30:31], 8, v36
	v_and_b32_e32 v55, 63, v0
	s_mul_i32 s42, s4, 13
	s_and_b64 s[14:15], s[30:31], vcc
	v_lshlrev_b32_e32 v34, 1, v3
	s_and_saveexec_b64 s[12:13], s[14:15]
	s_cbranch_execz .LBB104_11
; %bb.10:
	s_load_dwordx2 s[14:15], s[0:1], 0x0
	s_waitcnt lgkmcnt(0)
	s_ashr_i32 s16, s44, 31
	s_mul_hi_u32 s17, s5, s44
	s_mul_i32 s16, s5, s16
	s_add_i32 s17, s17, s16
	s_mul_i32 s16, s5, s44
	s_lshl_b64 s[16:17], s[16:17], 1
	s_add_u32 s14, s14, s16
	v_add_lshl_u32 v4, v1, s42, 6
	s_addc_u32 s15, s15, s17
	v_ashrrev_i32_e32 v5, 31, v4
	v_lshl_add_u64 v[4:5], v[4:5], 1, s[14:15]
	v_mov_b32_e32 v35, 0
	v_lshl_add_u64 v[4:5], v[4:5], 0, v[34:35]
	global_load_dwordx4 v[12:15], v[4:5], off
	v_and_b32_e32 v3, 3, v0
	v_lshlrev_b32_e32 v4, 9, v36
	v_lshlrev_b32_e32 v1, 5, v1
	v_lshlrev_b32_e32 v3, 9, v3
	v_and_b32_e32 v4, 0x1800, v4
	v_or3_b32 v1, v4, v3, v1
	s_waitcnt vmcnt(0)
	ds_write_b128 v1, v[12:15]
.LBB104_11:
	s_or_b64 exec, exec, s[12:13]
	s_waitcnt lgkmcnt(0)
	s_mul_i32 s4, s4, s46
	s_mov_b32 s5, 0
	s_lshl_b64 s[4:5], s[4:5], 1
	s_add_u32 s8, s8, s4
	v_lshlrev_b32_e32 v1, 4, v0
	s_addc_u32 s9, s9, s5
	v_and_b32_e32 v30, 0xf0, v1
	v_mov_b32_e32 v31, 0
	v_lshl_add_u64 v[18:19], s[8:9], 0, v[30:31]
	s_waitcnt vmcnt(3)
	v_mad_i64_i32 v[2:3], s[8:9], v2, s45, 0
	v_lshl_add_u64 v[2:3], v[2:3], 1, v[18:19]
	v_and_b32_e32 v30, 0x300, v1
	v_lshl_add_u64 v[14:15], v[2:3], 0, v[30:31]
	s_load_dword s29, s[0:1], 0x98
	s_load_dword s12, s[0:1], 0x1c
	s_waitcnt lgkmcnt(0)
	s_barrier
	global_load_dwordx4 v[2:5], v[14:15], off
	global_load_dwordx4 v[26:29], v[14:15], off offset:1024
	s_waitcnt vmcnt(3)
	v_mad_i64_i32 v[10:11], s[8:9], v10, s45, 0
	v_lshl_add_u64 v[10:11], v[10:11], 1, v[18:19]
	v_lshl_add_u64 v[38:39], v[10:11], 0, v[30:31]
	global_load_dwordx4 v[10:13], v[38:39], off
	global_load_dwordx4 v[56:59], v[38:39], off offset:1024
	v_mad_i64_i32 v[6:7], s[8:9], v6, s45, 0
	v_lshl_add_u64 v[6:7], v[6:7], 1, v[18:19]
	v_lshl_add_u64 v[32:33], v[6:7], 0, v[30:31]
	global_load_dwordx4 v[6:9], v[32:33], off
	global_load_dwordx4 v[46:49], v[32:33], off offset:1024
	s_waitcnt vmcnt(6)
	v_mad_i64_i32 v[16:17], s[8:9], v16, s45, 0
	v_lshl_add_u64 v[16:17], v[16:17], 1, v[18:19]
	v_lshl_add_u64 v[40:41], v[16:17], 0, v[30:31]
	global_load_dwordx4 v[18:21], v[40:41], off
	v_add_u32_e32 v16, -13, v36
	v_cmp_gt_u32_e32 vcc, 13, v36
	global_load_dwordx4 v[38:41], v[40:41], off offset:1024
	v_and_or_b32 v30, v0, 48, s18
	v_cndmask_b32_e32 v16, v16, v36, vcc
	v_lshlrev_b32_e32 v16, 5, v16
	v_lshl_add_u32 v16, v54, 9, v16
	ds_read_b128 v[22:25], v16
	v_mov_b32_e32 v68, s19
	v_cmp_gt_i32_e32 vcc, s33, v30
	v_or_b32_e32 v32, 64, v30
	ds_read_b128 v[14:17], v16 offset:2048
	v_lshlrev_b32_e32 v35, 5, v36
	s_add_u32 s4, s10, s4
	s_addc_u32 s5, s11, s5
	s_mov_b32 s43, 0xff7fffff
	s_waitcnt vmcnt(7) lgkmcnt(1)
	v_mfma_f32_16x16x16_f16 v[42:45], v[2:3], v[22:23], 0
	v_ashrrev_i32_e32 v2, 4, v30
	v_cndmask_b32_e32 v2, v68, v2, vcc
	v_ashrrev_i32_e32 v3, 31, v2
	s_waitcnt vmcnt(5)
	v_mfma_f32_16x16x16_f16 v[60:63], v[10:11], v[22:23], 0
	v_lshl_add_u64 v[10:11], v[2:3], 2, s[6:7]
	v_cmp_gt_i32_e32 vcc, s33, v32
	v_mfma_f32_16x16x16_f16 v[2:5], v[4:5], v[24:25], v[42:45]
	s_nop 2
	global_load_dword v42, v[10:11], off
	s_waitcnt vmcnt(4)
	v_mfma_f32_16x16x16_f16 v[50:53], v[6:7], v[22:23], 0
	v_ashrrev_i32_e32 v6, 4, v32
	v_cndmask_b32_e32 v6, v68, v6, vcc
	v_ashrrev_i32_e32 v7, 31, v6
	v_lshl_add_u64 v[10:11], v[6:7], 2, s[6:7]
	global_load_dword v43, v[10:11], off
	s_waitcnt vmcnt(3)
	v_mfma_f32_16x16x16_f16 v[64:67], v[18:19], v[22:23], 0
	v_or_b32_e32 v22, 0x80, v30
	v_or_b32_e32 v23, 0xc0, v30
	v_ashrrev_i32_e32 v30, 4, v22
	v_cmp_gt_i32_e32 vcc, s33, v22
	v_ashrrev_i32_e32 v32, 4, v23
	v_mfma_f32_16x16x16_f16 v[6:9], v[8:9], v[24:25], v[50:53]
	v_cndmask_b32_e32 v22, v68, v30, vcc
	v_cmp_gt_i32_e32 vcc, s33, v23
	v_ashrrev_i32_e32 v23, 31, v22
	v_mfma_f32_16x16x16_f16 v[10:13], v[12:13], v[24:25], v[60:63]
	v_lshl_or_b32 v30, v37, 9, v35
	v_mfma_f32_16x16x16_f16 v[18:21], v[20:21], v[24:25], v[64:67]
	v_cndmask_b32_e32 v24, v68, v32, vcc
	v_ashrrev_i32_e32 v25, 31, v24
	v_lshl_add_u64 v[32:33], v[24:25], 2, s[6:7]
	s_waitcnt lgkmcnt(0)
	v_mfma_f32_16x16x16_f16 v[2:5], v[26:27], v[14:15], v[2:5]
	v_lshl_add_u64 v[26:27], v[22:23], 2, s[6:7]
	global_load_dword v60, v[26:27], off
	global_load_dword v61, v[32:33], off
	v_mfma_f32_16x16x16_f16 v[6:9], v[46:47], v[14:15], v[6:9]
	v_mfma_f32_16x16x16_f16 v[22:25], v[56:57], v[14:15], v[10:13]
	s_waitcnt vmcnt(4)
	v_mfma_f32_16x16x16_f16 v[18:21], v[38:39], v[14:15], v[18:21]
	s_nop 0
	v_lshl_add_u64 v[10:11], s[4:5], 0, v[30:31]
	s_waitcnt vmcnt(3)
	v_mad_i64_i32 v[26:27], s[4:5], v42, s45, 0
	v_mfma_f32_16x16x16_f16 v[12:15], v[28:29], v[16:17], v[2:5]
	v_lshl_add_u64 v[30:31], v[26:27], 1, v[10:11]
	s_waitcnt vmcnt(2)
	v_mad_i64_i32 v[32:33], s[4:5], v43, s45, 0
	v_mfma_f32_16x16x16_f16 v[26:29], v[48:49], v[16:17], v[6:9]
	s_nop 2
	v_pk_mul_f32 v[50:51], s[12:13], v[14:15] op_sel_hi:[0,1]
	v_pk_mul_f32 v[12:13], s[12:13], v[12:13] op_sel_hi:[0,1]
	v_lshl_add_u64 v[56:57], v[32:33], 1, v[10:11]
	v_mfma_f32_16x16x16_f16 v[22:25], v[58:59], v[16:17], v[22:25]
	global_load_dwordx4 v[6:9], v[30:31], off
	global_load_dwordx4 v[2:5], v[30:31], off offset:16
	v_pk_mul_f32 v[42:43], s[12:13], v[26:27] op_sel_hi:[0,1]
	v_pk_mul_f32 v[52:53], s[12:13], v[28:29] op_sel_hi:[0,1]
	v_mfma_f32_16x16x16_f16 v[14:17], v[40:41], v[16:17], v[18:21]
	s_nop 1
	v_pk_mul_f32 v[48:49], s[12:13], v[22:23] op_sel_hi:[0,1]
	v_pk_mul_f32 v[46:47], s[12:13], v[24:25] op_sel_hi:[0,1]
	global_load_dwordx4 v[30:33], v[56:57], off
	global_load_dwordx4 v[26:29], v[56:57], off offset:16
	s_nop 0
	v_pk_mul_f32 v[44:45], s[12:13], v[14:15] op_sel_hi:[0,1]
	v_and_b32_e32 v14, 0xc0, v0
	v_add_u32_e32 v14, s18, v14
	v_lshl_or_b32 v14, v54, 2, v14
	v_pk_mul_f32 v[38:39], s[12:13], v[16:17] op_sel_hi:[0,1]
	v_or_b32_e32 v17, 1, v14
	v_mov_b32_e32 v15, 0xff7fffff
	v_cmp_gt_i32_e64 s[4:5], s33, v14
	v_cmp_gt_i32_e64 s[34:35], s33, v17
	v_or_b32_e32 v18, 3, v14
	v_cndmask_b32_e64 v16, v15, v12, s[4:5]
	v_cndmask_b32_e64 v17, v15, v13, s[34:35]
	v_max3_f32 v16, v16, s43, v17
	v_or_b32_e32 v17, 2, v14
	v_cmp_gt_i32_e64 s[36:37], s33, v17
	v_cmp_gt_i32_e64 s[38:39], s33, v18
	s_nop 0
	v_cndmask_b32_e64 v17, v15, v50, s[36:37]
	v_cndmask_b32_e64 v18, v15, v51, s[38:39]
	v_max3_f32 v16, v16, v17, v18
	v_or_b32_e32 v17, 16, v14
	v_or_b32_e32 v18, 17, v14
	v_cmp_gt_i32_e64 s[24:25], s33, v17
	v_cmp_gt_i32_e64 s[26:27], s33, v18
	s_nop 0
	v_cndmask_b32_e64 v17, v15, v42, s[24:25]
	v_cndmask_b32_e64 v18, v15, v43, s[26:27]
	v_max3_f32 v16, v16, v17, v18
	v_or_b32_e32 v17, 18, v14
	;; [unrolled: 8-line block ×6, first 2 shown]
	v_or_b32_e32 v14, 51, v14
	v_cmp_gt_i32_e32 vcc, s33, v17
	v_cmp_gt_i32_e64 s[6:7], s33, v14
	s_nop 0
	v_cndmask_b32_e32 v17, v15, v38, vcc
	v_cndmask_b32_e64 v14, v15, v39, s[6:7]
	v_max3_f32 v16, v16, v17, v14
	v_mbcnt_lo_u32_b32 v14, -1, 0
	v_mbcnt_hi_u32_b32 v17, -1, v14
	v_and_b32_e32 v14, 64, v17
	v_add_u32_e32 v18, 64, v14
	v_xor_b32_e32 v14, 32, v17
	v_cmp_lt_i32_e64 s[40:41], v14, v18
	s_nop 1
	v_cndmask_b32_e64 v14, v17, v14, s[40:41]
	v_lshlrev_b32_e32 v58, 2, v14
	ds_bpermute_b32 v19, v58, v16
	s_waitcnt vmcnt(5)
	v_mad_i64_i32 v[14:15], s[40:41], v60, s45, 0
	v_lshl_add_u64 v[14:15], v[14:15], 1, v[10:11]
	s_waitcnt lgkmcnt(0)
	v_max_f32_e32 v19, v19, v19
	v_max_f32_e32 v16, v16, v19
	v_xor_b32_e32 v19, 16, v17
	v_cmp_lt_i32_e64 s[40:41], v19, v18
	s_nop 1
	v_cndmask_b32_e64 v17, v17, v19, s[40:41]
	v_lshlrev_b32_e32 v57, 2, v17
	ds_bpermute_b32 v17, v57, v16
	global_load_dwordx4 v[22:25], v[14:15], off
	global_load_dwordx4 v[18:21], v[14:15], off offset:16
	s_waitcnt vmcnt(6)
	v_mad_i64_i32 v[14:15], s[40:41], v61, s45, 0
	v_lshl_add_u64 v[10:11], v[14:15], 1, v[10:11]
	s_waitcnt lgkmcnt(0)
	v_max_f32_e32 v14, v17, v17
	v_max_f32_e32 v56, v16, v14
	v_sub_f32_e32 v12, v12, v56
	v_mul_f32_e32 v12, 0x3fb8aa3b, v12
	v_exp_f32_e32 v40, v12
	v_sub_f32_e32 v12, v13, v56
	v_mul_f32_e32 v12, 0x3fb8aa3b, v12
	v_exp_f32_e32 v41, v12
	global_load_dwordx4 v[14:17], v[10:11], off
	s_nop 0
	global_load_dwordx4 v[10:13], v[10:11], off offset:16
	v_sub_f32_e32 v50, v50, v56
	v_mul_f32_e32 v50, 0x3fb8aa3b, v50
	v_sub_f32_e32 v51, v51, v56
	v_exp_f32_e32 v50, v50
	v_mul_f32_e32 v51, 0x3fb8aa3b, v51
	v_sub_f32_e32 v42, v42, v56
	v_exp_f32_e32 v51, v51
	v_mul_f32_e32 v42, 0x3fb8aa3b, v42
	v_sub_f32_e32 v43, v43, v56
	v_cndmask_b32_e64 v40, 0, v40, s[4:5]
	v_exp_f32_e32 v42, v42
	v_mul_f32_e32 v43, 0x3fb8aa3b, v43
	v_sub_f32_e32 v52, v52, v56
	v_add_f32_e32 v59, 0, v40
	v_cndmask_b32_e64 v41, 0, v41, s[34:35]
	v_exp_f32_e32 v43, v43
	v_mul_f32_e32 v52, 0x3fb8aa3b, v52
	v_sub_f32_e32 v53, v53, v56
	v_add_f32_e32 v59, v59, v41
	;; [unrolled: 5-line block ×10, first 2 shown]
	v_cndmask_b32_e64 v46, 0, v46, s[12:13]
	v_exp_f32_e32 v38, v38
	v_mul_f32_e32 v39, 0x3fb8aa3b, v39
	v_add_f32_e32 v59, v59, v46
	v_cndmask_b32_e64 v47, 0, v47, s[14:15]
	v_exp_f32_e32 v39, v39
	v_add_f32_e32 v59, v59, v47
	v_cndmask_b32_e64 v44, 0, v44, s[8:9]
	v_add_f32_e32 v59, v59, v44
	v_cndmask_b32_e64 v45, 0, v45, s[10:11]
	v_add_f32_e32 v59, v59, v45
	v_cndmask_b32_e32 v38, 0, v38, vcc
	v_add_f32_e32 v59, v59, v38
	v_cndmask_b32_e64 v39, 0, v39, s[6:7]
	v_add_f32_e32 v59, v59, v39
	ds_bpermute_b32 v58, v58, v59
	v_cmp_gt_u32_e64 s[6:7], 16, v55
	s_waitcnt lgkmcnt(0)
	s_barrier
	v_add_f32_e32 v58, v59, v58
	ds_bpermute_b32 v59, v57, v58
	v_lshlrev_b32_e32 v57, 2, v36
	s_and_saveexec_b64 s[4:5], s[6:7]
	s_cbranch_execz .LBB104_13
; %bb.12:
	s_waitcnt lgkmcnt(0)
	v_add_f32_e32 v55, v58, v59
	v_lshl_or_b32 v58, v37, 6, v57
	ds_write2st64_b32 v58, v56, v55 offset1:1
.LBB104_13:
	s_or_b64 exec, exec, s[4:5]
	s_load_dword s8, s[0:1], 0x94
	s_waitcnt lgkmcnt(0)
	s_barrier
	ds_read2_b32 v[58:59], v57 offset1:16
	ds_read2_b32 v[60:61], v57 offset0:32 offset1:48
	ds_read2_b32 v[62:63], v57 offset0:64 offset1:80
	s_mul_i32 s9, s29, 13
	s_waitcnt lgkmcnt(2)
	v_max3_f32 v55, v58, s43, v59
	s_waitcnt lgkmcnt(1)
	v_max3_f32 v55, v55, v60, v61
	v_sub_f32_e32 v56, v58, v55
	v_mul_f32_e32 v56, 0x3fb8aa3b, v56
	v_exp_f32_e32 v64, v56
	v_sub_f32_e32 v56, v59, v55
	v_mul_f32_e32 v56, 0x3fb8aa3b, v56
	v_exp_f32_e32 v65, v56
	;; [unrolled: 3-line block ×3, first 2 shown]
	ds_read2_b32 v[58:59], v57 offset0:96 offset1:112
	v_sub_f32_e32 v56, v61, v55
	v_mul_f32_e32 v56, 0x3fb8aa3b, v56
	v_exp_f32_e32 v57, v56
	s_waitcnt lgkmcnt(1)
	v_fma_f32 v56, v64, v62, 0
	v_fmac_f32_e32 v56, v65, v63
	s_waitcnt lgkmcnt(0)
	v_fmac_f32_e32 v56, v60, v58
	v_fmac_f32_e32 v56, v57, v59
	v_add_f32_e32 v58, 0x358637bd, v56
	v_div_scale_f32 v59, s[4:5], v58, v58, 1.0
	v_rcp_f32_e32 v61, v59
	s_barrier
	v_fma_f32 v62, -v59, v61, 1.0
	v_fmac_f32_e32 v61, v62, v61
	v_div_scale_f32 v62, vcc, 1.0, v58, 1.0
	v_mul_f32_e32 v63, v62, v61
	v_fma_f32 v66, -v59, v63, v62
	v_fmac_f32_e32 v63, v66, v61
	v_fma_f32 v59, -v59, v63, v62
	v_div_fmas_f32 v59, v59, v61, v63
	v_cmp_eq_u32_e32 vcc, 1, v37
	v_div_fixup_f32 v58, v59, v58, 1.0
	s_nop 0
	v_cndmask_b32_e32 v59, v64, v65, vcc
	v_cmp_eq_u32_e32 vcc, 2, v37
	s_nop 1
	v_cndmask_b32_e32 v59, v59, v60, vcc
	v_cmp_eq_u32_e32 vcc, 3, v37
	v_lshlrev_b32_e32 v37, 11, v37
	s_nop 0
	v_cndmask_b32_e32 v57, v59, v57, vcc
	v_mul_f32_e32 v58, v57, v58
	v_pk_mul_f32 v[40:41], v[58:59], v[40:41] op_sel_hi:[0,1]
	v_cvt_f16_f32_e32 v40, v40
	v_cvt_f16_f32_e32 v41, v41
	v_pk_mul_f32 v[50:51], v[58:59], v[50:51] op_sel_hi:[0,1]
	v_cvt_f16_f32_e32 v57, v50
	v_cvt_f16_f32_e32 v51, v51
	v_pack_b32_f16 v50, v40, v41
	v_pk_mul_f32 v[40:41], v[58:59], v[52:53] op_sel_hi:[0,1]
	v_pk_mul_f32 v[42:43], v[58:59], v[42:43] op_sel_hi:[0,1]
	v_cvt_f16_f32_e32 v42, v42
	v_cvt_f16_f32_e32 v43, v43
	v_cvt_f16_f32_e32 v52, v40
	v_cvt_f16_f32_e32 v41, v41
	v_pack_b32_f16 v51, v57, v51
	v_lshlrev_b32_e32 v57, 3, v54
	v_or3_b32 v40, v37, v35, v57
	v_pack_b32_f16 v42, v42, v43
	v_pack_b32_f16 v43, v52, v41
	ds_write2st64_b64 v40, v[50:51], v[42:43] offset1:1
	v_pk_mul_f32 v[42:43], v[58:59], v[46:47] op_sel_hi:[0,1]
	v_pk_mul_f32 v[46:47], v[58:59], v[48:49] op_sel_hi:[0,1]
	v_cvt_f16_f32_e32 v37, v46
	v_cvt_f16_f32_e32 v41, v47
	;; [unrolled: 1-line block ×4, first 2 shown]
	v_pk_mul_f32 v[38:39], v[58:59], v[38:39] op_sel_hi:[0,1]
	v_pk_mul_f32 v[42:43], v[58:59], v[44:45] op_sel_hi:[0,1]
	v_cvt_f16_f32_e32 v42, v42
	v_cvt_f16_f32_e32 v43, v43
	;; [unrolled: 1-line block ×4, first 2 shown]
	v_pack_b32_f16 v38, v37, v41
	v_pack_b32_f16 v39, v46, v47
	;; [unrolled: 1-line block ×4, first 2 shown]
	v_cmp_gt_u32_e32 vcc, 13, v0
	ds_write2st64_b64 v40, v[38:39], v[42:43] offset0:2 offset1:3
	s_and_saveexec_b64 s[4:5], vcc
	s_cbranch_execz .LBB104_15
; %bb.14:
	s_mov_b32 s43, 0
	v_mov_b32_e32 v37, 0
	v_lshl_add_u64 v[38:39], s[42:43], 0, v[36:37]
	v_mov_b32_e32 v36, s9
	v_mad_u64_u32 v[38:39], s[10:11], s2, v36, v[38:39]
	v_mov_b32_e32 v36, s28
	s_load_dwordx4 s[12:15], s[0:1], 0x58
	s_mul_i32 s3, s3, s9
	v_mad_u64_u32 v[36:37], s[10:11], v38, s8, v[36:37]
	v_add_u32_e32 v39, s3, v39
	v_mov_b32_e32 v38, v37
	v_mad_u64_u32 v[38:39], s[10:11], v39, s8, v[38:39]
	v_mov_b32_e32 v37, v38
	v_lshlrev_b64 v[36:37], 2, v[36:37]
	s_waitcnt lgkmcnt(0)
	v_lshl_add_u64 v[38:39], s[14:15], 0, v[36:37]
	v_lshl_add_u64 v[36:37], s[12:13], 0, v[36:37]
	global_store_dword v[38:39], v55, off
	global_store_dword v[36:37], v56, off
.LBB104_15:
	s_or_b64 exec, exec, s[4:5]
	v_lshl_or_b32 v35, v54, 9, v35
	s_waitcnt lgkmcnt(0)
	s_barrier
	ds_read_b128 v[36:39], v35
	ds_read_b128 v[42:45], v35 offset:16
	s_waitcnt vmcnt(7) lgkmcnt(1)
	v_mfma_f32_16x16x16_f16 v[46:49], v[6:7], v[36:37], 0
	v_cmp_gt_u32_e32 vcc, 64, v0
	s_mov_b32 s3, 0
	s_and_b64 s[4:5], vcc, s[30:31]
	v_mfma_f32_16x16x16_f16 v[6:9], v[8:9], v[38:39], v[46:49]
	s_waitcnt vmcnt(6) lgkmcnt(0)
	v_mfma_f32_16x16x16_f16 v[6:9], v[2:3], v[42:43], v[6:9]
	v_mfma_f32_16x16x16_f16 v[2:5], v[4:5], v[44:45], v[6:9]
	s_nop 5
	ds_read_b128 v[6:9], v35 offset:2048
	ds_read_b128 v[36:39], v35 offset:2064
	s_waitcnt vmcnt(5) lgkmcnt(1)
	v_mfma_f32_16x16x16_f16 v[2:5], v[30:31], v[6:7], v[2:5]
	v_mfma_f32_16x16x16_f16 v[2:5], v[32:33], v[8:9], v[2:5]
	s_waitcnt vmcnt(4) lgkmcnt(0)
	v_mfma_f32_16x16x16_f16 v[2:5], v[26:27], v[36:37], v[2:5]
	v_mfma_f32_16x16x16_f16 v[2:5], v[28:29], v[38:39], v[2:5]
	ds_read_b128 v[6:9], v35 offset:4096
	ds_read_b128 v[26:29], v35 offset:4112
	s_waitcnt vmcnt(3) lgkmcnt(1)
	v_mfma_f32_16x16x16_f16 v[2:5], v[22:23], v[6:7], v[2:5]
	v_mfma_f32_16x16x16_f16 v[2:5], v[24:25], v[8:9], v[2:5]
	s_waitcnt vmcnt(2) lgkmcnt(0)
	v_mfma_f32_16x16x16_f16 v[2:5], v[18:19], v[26:27], v[2:5]
	v_mfma_f32_16x16x16_f16 v[2:5], v[20:21], v[28:29], v[2:5]
	ds_read_b128 v[6:9], v35 offset:6144
	ds_read_b128 v[18:21], v35 offset:6160
	v_mov_b32_e32 v35, 0
	s_waitcnt vmcnt(1) lgkmcnt(0)
	v_mfma_f32_16x16x16_f16 v[2:5], v[14:15], v[6:7], v[2:5]
	s_barrier
	v_mfma_f32_16x16x16_f16 v[2:5], v[16:17], v[8:9], v[2:5]
	s_waitcnt vmcnt(0)
	v_mfma_f32_16x16x16_f16 v[2:5], v[10:11], v[18:19], v[2:5]
	v_mfma_f32_16x16x16_f16 v[2:5], v[12:13], v[20:21], v[2:5]
	s_nop 6
	v_cvt_f16_f32_e32 v2, v2
	v_cvt_f16_f32_e32 v3, v3
	;; [unrolled: 1-line block ×4, first 2 shown]
	v_pack_b32_f16 v2, v2, v3
	v_pack_b32_f16 v3, v4, v5
	ds_write_b64 v40, v[2:3]
	s_waitcnt lgkmcnt(0)
	s_barrier
	s_and_saveexec_b64 s[10:11], s[4:5]
	s_cbranch_execz .LBB104_18
; %bb.16:
	s_load_dwordx2 s[4:5], s[0:1], 0x68
	s_lshl_b32 s0, s8, 6
	s_mul_i32 s1, s9, s2
	s_mul_hi_u32 s9, s1, s0
	s_mul_i32 s8, s1, s0
	v_lshlrev_b32_e32 v0, 10, v0
	s_lshl_b64 s[8:9], s[8:9], 1
	v_and_b32_e32 v0, 0x1800, v0
	v_lshlrev_b32_e32 v2, 5, v54
	v_and_b32_e32 v1, 16, v1
	s_waitcnt lgkmcnt(0)
	s_add_u32 s1, s4, s8
	v_or3_b32 v2, v0, v2, v1
	s_addc_u32 s4, s5, s9
	s_lshl_b32 s2, s28, 6
	ds_read_b128 v[4:7], v2 offset:256
	s_lshl_b64 s[2:3], s[2:3], 1
	ds_read_b128 v[8:11], v2 offset:128
	ds_read_b128 v[12:15], v2
	s_add_u32 s2, s1, s2
	s_addc_u32 s3, s4, s3
	v_add_u32_e32 v3, s42, v54
	v_lshl_add_u64 v[0:1], s[2:3], 0, v[34:35]
	v_mad_u64_u32 v[16:17], s[2:3], v3, s0, 0
	v_lshl_add_u64 v[16:17], v[16:17], 1, v[0:1]
	s_waitcnt lgkmcnt(0)
	global_store_dwordx4 v[16:17], v[12:15], off
	s_nop 1
	v_add_u32_e32 v12, 4, v3
	v_mad_u64_u32 v[12:13], s[2:3], v12, s0, 0
	v_lshl_add_u64 v[12:13], v[12:13], 1, v[0:1]
	v_add_u32_e32 v3, 8, v3
	global_store_dwordx4 v[12:13], v[8:11], off
	s_nop 1
	v_mad_u64_u32 v[8:9], s[2:3], v3, s0, 0
	v_lshl_add_u64 v[8:9], v[8:9], 1, v[0:1]
	global_store_dwordx4 v[8:9], v[4:7], off
	s_and_b64 exec, exec, s[6:7]
	s_cbranch_execz .LBB104_18
; %bb.17:
	ds_read_b128 v[2:5], v2 offset:384
	v_add3_u32 v6, s42, v54, 12
	v_mad_u64_u32 v[6:7], s[0:1], v6, s0, 0
	v_lshl_add_u64 v[0:1], v[6:7], 1, v[0:1]
	s_waitcnt lgkmcnt(0)
	global_store_dwordx4 v[0:1], v[2:5], off
.LBB104_18:
	s_endpgm
	.section	.rodata,"a",@progbits
	.p2align	6, 0x0
	.amdhsa_kernel _Z39paged_attention_ll4mi_QKV_mfma16_kernelIDF16_DF16_LN4vllm18Fp8KVCacheDataTypeE0EDF16_Li16ELi64ELi256ELb0ELi13EEvPKT_PKT0_S7_ifPKiS9_S9_iPKfiiiPfSC_PS2_PT2_iSB_SB_
		.amdhsa_group_segment_fixed_size 8192
		.amdhsa_private_segment_fixed_size 0
		.amdhsa_kernarg_size 400
		.amdhsa_user_sgpr_count 2
		.amdhsa_user_sgpr_dispatch_ptr 0
		.amdhsa_user_sgpr_queue_ptr 0
		.amdhsa_user_sgpr_kernarg_segment_ptr 1
		.amdhsa_user_sgpr_dispatch_id 0
		.amdhsa_user_sgpr_kernarg_preload_length 0
		.amdhsa_user_sgpr_kernarg_preload_offset 0
		.amdhsa_user_sgpr_private_segment_size 0
		.amdhsa_uses_dynamic_stack 0
		.amdhsa_enable_private_segment 0
		.amdhsa_system_sgpr_workgroup_id_x 1
		.amdhsa_system_sgpr_workgroup_id_y 1
		.amdhsa_system_sgpr_workgroup_id_z 1
		.amdhsa_system_sgpr_workgroup_info 0
		.amdhsa_system_vgpr_workitem_id 0
		.amdhsa_next_free_vgpr 69
		.amdhsa_next_free_sgpr 48
		.amdhsa_accum_offset 72
		.amdhsa_reserve_vcc 1
		.amdhsa_float_round_mode_32 0
		.amdhsa_float_round_mode_16_64 0
		.amdhsa_float_denorm_mode_32 3
		.amdhsa_float_denorm_mode_16_64 3
		.amdhsa_dx10_clamp 1
		.amdhsa_ieee_mode 1
		.amdhsa_fp16_overflow 0
		.amdhsa_tg_split 0
		.amdhsa_exception_fp_ieee_invalid_op 0
		.amdhsa_exception_fp_denorm_src 0
		.amdhsa_exception_fp_ieee_div_zero 0
		.amdhsa_exception_fp_ieee_overflow 0
		.amdhsa_exception_fp_ieee_underflow 0
		.amdhsa_exception_fp_ieee_inexact 0
		.amdhsa_exception_int_div_zero 0
	.end_amdhsa_kernel
	.section	.text._Z39paged_attention_ll4mi_QKV_mfma16_kernelIDF16_DF16_LN4vllm18Fp8KVCacheDataTypeE0EDF16_Li16ELi64ELi256ELb0ELi13EEvPKT_PKT0_S7_ifPKiS9_S9_iPKfiiiPfSC_PS2_PT2_iSB_SB_,"axG",@progbits,_Z39paged_attention_ll4mi_QKV_mfma16_kernelIDF16_DF16_LN4vllm18Fp8KVCacheDataTypeE0EDF16_Li16ELi64ELi256ELb0ELi13EEvPKT_PKT0_S7_ifPKiS9_S9_iPKfiiiPfSC_PS2_PT2_iSB_SB_,comdat
.Lfunc_end104:
	.size	_Z39paged_attention_ll4mi_QKV_mfma16_kernelIDF16_DF16_LN4vllm18Fp8KVCacheDataTypeE0EDF16_Li16ELi64ELi256ELb0ELi13EEvPKT_PKT0_S7_ifPKiS9_S9_iPKfiiiPfSC_PS2_PT2_iSB_SB_, .Lfunc_end104-_Z39paged_attention_ll4mi_QKV_mfma16_kernelIDF16_DF16_LN4vllm18Fp8KVCacheDataTypeE0EDF16_Li16ELi64ELi256ELb0ELi13EEvPKT_PKT0_S7_ifPKiS9_S9_iPKfiiiPfSC_PS2_PT2_iSB_SB_
                                        ; -- End function
	.section	.AMDGPU.csdata,"",@progbits
; Kernel info:
; codeLenInByte = 3864
; NumSgprs: 54
; NumVgprs: 69
; NumAgprs: 0
; TotalNumVgprs: 69
; ScratchSize: 0
; MemoryBound: 0
; FloatMode: 240
; IeeeMode: 1
; LDSByteSize: 8192 bytes/workgroup (compile time only)
; SGPRBlocks: 6
; VGPRBlocks: 8
; NumSGPRsForWavesPerEU: 54
; NumVGPRsForWavesPerEU: 69
; AccumOffset: 72
; Occupancy: 7
; WaveLimiterHint : 1
; COMPUTE_PGM_RSRC2:SCRATCH_EN: 0
; COMPUTE_PGM_RSRC2:USER_SGPR: 2
; COMPUTE_PGM_RSRC2:TRAP_HANDLER: 0
; COMPUTE_PGM_RSRC2:TGID_X_EN: 1
; COMPUTE_PGM_RSRC2:TGID_Y_EN: 1
; COMPUTE_PGM_RSRC2:TGID_Z_EN: 1
; COMPUTE_PGM_RSRC2:TIDIG_COMP_CNT: 0
; COMPUTE_PGM_RSRC3_GFX90A:ACCUM_OFFSET: 17
; COMPUTE_PGM_RSRC3_GFX90A:TG_SPLIT: 0
	.section	.text._Z39paged_attention_ll4mi_QKV_mfma16_kernelIDF16_DF16_LN4vllm18Fp8KVCacheDataTypeE0EDF16_Li16ELi64ELi256ELb0ELi14EEvPKT_PKT0_S7_ifPKiS9_S9_iPKfiiiPfSC_PS2_PT2_iSB_SB_,"axG",@progbits,_Z39paged_attention_ll4mi_QKV_mfma16_kernelIDF16_DF16_LN4vllm18Fp8KVCacheDataTypeE0EDF16_Li16ELi64ELi256ELb0ELi14EEvPKT_PKT0_S7_ifPKiS9_S9_iPKfiiiPfSC_PS2_PT2_iSB_SB_,comdat
	.protected	_Z39paged_attention_ll4mi_QKV_mfma16_kernelIDF16_DF16_LN4vllm18Fp8KVCacheDataTypeE0EDF16_Li16ELi64ELi256ELb0ELi14EEvPKT_PKT0_S7_ifPKiS9_S9_iPKfiiiPfSC_PS2_PT2_iSB_SB_ ; -- Begin function _Z39paged_attention_ll4mi_QKV_mfma16_kernelIDF16_DF16_LN4vllm18Fp8KVCacheDataTypeE0EDF16_Li16ELi64ELi256ELb0ELi14EEvPKT_PKT0_S7_ifPKiS9_S9_iPKfiiiPfSC_PS2_PT2_iSB_SB_
	.globl	_Z39paged_attention_ll4mi_QKV_mfma16_kernelIDF16_DF16_LN4vllm18Fp8KVCacheDataTypeE0EDF16_Li16ELi64ELi256ELb0ELi14EEvPKT_PKT0_S7_ifPKiS9_S9_iPKfiiiPfSC_PS2_PT2_iSB_SB_
	.p2align	8
	.type	_Z39paged_attention_ll4mi_QKV_mfma16_kernelIDF16_DF16_LN4vllm18Fp8KVCacheDataTypeE0EDF16_Li16ELi64ELi256ELb0ELi14EEvPKT_PKT0_S7_ifPKiS9_S9_iPKfiiiPfSC_PS2_PT2_iSB_SB_,@function
_Z39paged_attention_ll4mi_QKV_mfma16_kernelIDF16_DF16_LN4vllm18Fp8KVCacheDataTypeE0EDF16_Li16ELi64ELi256ELb0ELi14EEvPKT_PKT0_S7_ifPKiS9_S9_iPKfiiiPfSC_PS2_PT2_iSB_SB_: ; @_Z39paged_attention_ll4mi_QKV_mfma16_kernelIDF16_DF16_LN4vllm18Fp8KVCacheDataTypeE0EDF16_Li16ELi64ELi256ELb0ELi14EEvPKT_PKT0_S7_ifPKiS9_S9_iPKfiiiPfSC_PS2_PT2_iSB_SB_
; %bb.0:
	s_load_dwordx2 s[12:13], s[0:1], 0x30
	s_mov_b32 s28, s3
	s_mov_b64 s[6:7], 0
	s_waitcnt lgkmcnt(0)
	s_cmp_lg_u64 s[12:13], 0
	s_cselect_b64 s[14:15], -1, 0
	s_and_b64 vcc, exec, s[14:15]
	s_cbranch_vccz .LBB105_7
; %bb.1:
	s_add_i32 s8, s2, 1
	s_mov_b32 s9, 0
	s_lshl_b64 s[10:11], s[8:9], 2
	s_add_u32 s10, s12, s10
	s_mov_b32 s3, s9
	s_addc_u32 s11, s13, s11
	s_lshl_b64 s[8:9], s[2:3], 2
	s_add_u32 s8, s12, s8
	s_addc_u32 s9, s13, s9
	s_load_dword s5, s[10:11], 0x0
	s_load_dword s16, s[8:9], 0x0
	s_waitcnt lgkmcnt(0)
	s_sub_i32 s5, s5, s16
	s_cmp_eq_u32 s5, 1
	s_cselect_b64 s[8:9], -1, 0
	s_andn2_b64 vcc, exec, s[6:7]
	s_cbranch_vccnz .LBB105_3
.LBB105_2:
	s_mov_b32 s3, 0
	s_mov_b64 s[8:9], -1
.LBB105_3:
	s_andn2_b64 vcc, exec, s[8:9]
	s_cbranch_vccnz .LBB105_18
; %bb.4:
	s_load_dwordx2 s[6:7], s[0:1], 0x28
	s_lshl_b64 s[16:17], s[2:3], 2
	s_waitcnt lgkmcnt(0)
	s_add_u32 s6, s6, s16
	s_addc_u32 s7, s7, s17
	s_load_dword s33, s[6:7], 0x0
	s_lshl_b32 s18, s28, 8
	s_waitcnt lgkmcnt(0)
	s_cmp_ge_i32 s18, s33
	s_cbranch_scc1 .LBB105_18
; %bb.5:
	s_load_dwordx2 s[6:7], s[0:1], 0x20
	s_load_dword s5, s[0:1], 0x38
	s_add_i32 s8, s33, 15
	s_ashr_i32 s9, s8, 31
	v_and_b32_e32 v1, 0xcf, v0
	s_lshr_b32 s9, s9, 28
	v_add_u32_e32 v1, s18, v1
	s_add_i32 s8, s8, s9
	v_ashrrev_i32_e32 v2, 31, v1
	s_ashr_i32 s19, s8, 4
	v_lshrrev_b32_e32 v6, 28, v2
	s_add_i32 s19, s19, -1
	s_waitcnt lgkmcnt(0)
	s_mul_i32 s8, s2, s5
	s_mov_b32 s9, 0
	v_add_u32_e32 v2, v1, v6
	s_lshl_b64 s[8:9], s[8:9], 2
	v_ashrrev_i32_e32 v2, 4, v2
	v_mov_b32_e32 v7, s19
	v_cmp_gt_i32_e32 vcc, s33, v1
	s_add_u32 s6, s6, s8
	s_addc_u32 s7, s7, s9
	v_cndmask_b32_e32 v2, v7, v2, vcc
	v_ashrrev_i32_e32 v3, 31, v2
	v_lshl_add_u64 v[4:5], v[2:3], 2, s[6:7]
	v_or_b32_e32 v2, 16, v1
	v_add_u32_e32 v3, v2, v6
	v_ashrrev_i32_e32 v3, 4, v3
	v_cmp_gt_i32_e32 vcc, s33, v2
	s_load_dwordx4 s[8:11], s[0:1], 0x8
	s_nop 0
	v_cndmask_b32_e32 v2, v7, v3, vcc
	v_ashrrev_i32_e32 v3, 31, v2
	v_lshl_add_u64 v[8:9], v[2:3], 2, s[6:7]
	v_or_b32_e32 v2, 32, v1
	v_add_u32_e32 v3, v2, v6
	v_ashrrev_i32_e32 v3, 4, v3
	v_cmp_gt_i32_e32 vcc, s33, v2
	v_or_b32_e32 v1, 48, v1
	s_nop 0
	v_cndmask_b32_e32 v2, v7, v3, vcc
	v_ashrrev_i32_e32 v3, 31, v2
	v_lshl_add_u64 v[12:13], v[2:3], 2, s[6:7]
	v_add_u32_e32 v2, v1, v6
	v_ashrrev_i32_e32 v2, 4, v2
	v_cmp_gt_i32_e32 vcc, s33, v1
	s_nop 1
	v_cndmask_b32_e32 v2, v7, v2, vcc
	v_ashrrev_i32_e32 v3, 31, v2
	v_lshl_add_u64 v[14:15], v[2:3], 2, s[6:7]
	global_load_dword v2, v[4:5], off
	global_load_dword v6, v[8:9], off
	;; [unrolled: 1-line block ×4, first 2 shown]
	s_andn2_b64 vcc, exec, s[14:15]
	s_cbranch_vccnz .LBB105_8
; %bb.6:
	s_add_u32 s12, s12, s16
	s_addc_u32 s13, s13, s17
	s_load_dword s5, s[12:13], 0x0
	s_branch .LBB105_9
.LBB105_7:
	s_mov_b64 s[8:9], 0
	s_branch .LBB105_2
.LBB105_8:
	s_mov_b32 s5, s2
.LBB105_9:
	s_load_dwordx4 s[44:47], s[0:1], 0x48
	v_lshrrev_b32_e32 v37, 6, v0
	v_bfe_u32 v54, v0, 4, 2
	v_lshl_or_b32 v1, v37, 2, v54
	v_and_b32_e32 v36, 15, v0
	v_lshlrev_b32_e32 v3, 3, v36
	v_cmp_gt_u32_e32 vcc, 14, v1
	v_cmp_gt_u32_e64 s[30:31], 8, v36
	v_and_b32_e32 v55, 63, v0
	s_mul_i32 s42, s4, 14
	s_and_b64 s[14:15], s[30:31], vcc
	v_lshlrev_b32_e32 v34, 1, v3
	s_and_saveexec_b64 s[12:13], s[14:15]
	s_cbranch_execz .LBB105_11
; %bb.10:
	s_load_dwordx2 s[14:15], s[0:1], 0x0
	s_waitcnt lgkmcnt(0)
	s_ashr_i32 s16, s44, 31
	s_mul_hi_u32 s17, s5, s44
	s_mul_i32 s16, s5, s16
	s_add_i32 s17, s17, s16
	s_mul_i32 s16, s5, s44
	s_lshl_b64 s[16:17], s[16:17], 1
	s_add_u32 s14, s14, s16
	v_add_lshl_u32 v4, v1, s42, 6
	s_addc_u32 s15, s15, s17
	v_ashrrev_i32_e32 v5, 31, v4
	v_lshl_add_u64 v[4:5], v[4:5], 1, s[14:15]
	v_mov_b32_e32 v35, 0
	v_lshl_add_u64 v[4:5], v[4:5], 0, v[34:35]
	global_load_dwordx4 v[12:15], v[4:5], off
	v_and_b32_e32 v3, 3, v0
	v_lshlrev_b32_e32 v4, 9, v36
	v_lshlrev_b32_e32 v1, 5, v1
	;; [unrolled: 1-line block ×3, first 2 shown]
	v_and_b32_e32 v4, 0x1800, v4
	v_or3_b32 v1, v4, v3, v1
	s_waitcnt vmcnt(0)
	ds_write_b128 v1, v[12:15]
.LBB105_11:
	s_or_b64 exec, exec, s[12:13]
	s_waitcnt lgkmcnt(0)
	s_mul_i32 s4, s4, s46
	s_mov_b32 s5, 0
	s_lshl_b64 s[4:5], s[4:5], 1
	s_add_u32 s8, s8, s4
	v_lshlrev_b32_e32 v1, 4, v0
	s_addc_u32 s9, s9, s5
	v_and_b32_e32 v30, 0xf0, v1
	v_mov_b32_e32 v31, 0
	v_lshl_add_u64 v[18:19], s[8:9], 0, v[30:31]
	s_waitcnt vmcnt(3)
	v_mad_i64_i32 v[2:3], s[8:9], v2, s45, 0
	v_lshl_add_u64 v[2:3], v[2:3], 1, v[18:19]
	v_and_b32_e32 v30, 0x300, v1
	v_lshl_add_u64 v[14:15], v[2:3], 0, v[30:31]
	s_load_dword s29, s[0:1], 0x98
	s_load_dword s12, s[0:1], 0x1c
	s_waitcnt lgkmcnt(0)
	s_barrier
	global_load_dwordx4 v[2:5], v[14:15], off
	global_load_dwordx4 v[26:29], v[14:15], off offset:1024
	s_waitcnt vmcnt(3)
	v_mad_i64_i32 v[10:11], s[8:9], v10, s45, 0
	v_lshl_add_u64 v[10:11], v[10:11], 1, v[18:19]
	v_lshl_add_u64 v[38:39], v[10:11], 0, v[30:31]
	global_load_dwordx4 v[10:13], v[38:39], off
	global_load_dwordx4 v[56:59], v[38:39], off offset:1024
	v_mad_i64_i32 v[6:7], s[8:9], v6, s45, 0
	v_lshl_add_u64 v[6:7], v[6:7], 1, v[18:19]
	v_lshl_add_u64 v[32:33], v[6:7], 0, v[30:31]
	global_load_dwordx4 v[6:9], v[32:33], off
	global_load_dwordx4 v[46:49], v[32:33], off offset:1024
	s_waitcnt vmcnt(6)
	v_mad_i64_i32 v[16:17], s[8:9], v16, s45, 0
	v_lshl_add_u64 v[16:17], v[16:17], 1, v[18:19]
	v_lshl_add_u64 v[40:41], v[16:17], 0, v[30:31]
	global_load_dwordx4 v[18:21], v[40:41], off
	v_add_u32_e32 v16, -14, v36
	v_cmp_gt_u32_e32 vcc, 14, v36
	global_load_dwordx4 v[38:41], v[40:41], off offset:1024
	v_and_or_b32 v30, v0, 48, s18
	v_cndmask_b32_e32 v16, v16, v36, vcc
	v_lshlrev_b32_e32 v16, 5, v16
	v_lshl_add_u32 v16, v54, 9, v16
	ds_read_b128 v[22:25], v16
	v_mov_b32_e32 v68, s19
	v_cmp_gt_i32_e32 vcc, s33, v30
	v_or_b32_e32 v32, 64, v30
	ds_read_b128 v[14:17], v16 offset:2048
	v_lshlrev_b32_e32 v35, 5, v36
	s_add_u32 s4, s10, s4
	s_addc_u32 s5, s11, s5
	s_mov_b32 s43, 0xff7fffff
	s_waitcnt vmcnt(7) lgkmcnt(1)
	v_mfma_f32_16x16x16_f16 v[42:45], v[2:3], v[22:23], 0
	v_ashrrev_i32_e32 v2, 4, v30
	v_cndmask_b32_e32 v2, v68, v2, vcc
	v_ashrrev_i32_e32 v3, 31, v2
	s_waitcnt vmcnt(5)
	v_mfma_f32_16x16x16_f16 v[60:63], v[10:11], v[22:23], 0
	v_lshl_add_u64 v[10:11], v[2:3], 2, s[6:7]
	v_cmp_gt_i32_e32 vcc, s33, v32
	v_mfma_f32_16x16x16_f16 v[2:5], v[4:5], v[24:25], v[42:45]
	s_nop 2
	global_load_dword v42, v[10:11], off
	s_waitcnt vmcnt(4)
	v_mfma_f32_16x16x16_f16 v[50:53], v[6:7], v[22:23], 0
	v_ashrrev_i32_e32 v6, 4, v32
	v_cndmask_b32_e32 v6, v68, v6, vcc
	v_ashrrev_i32_e32 v7, 31, v6
	v_lshl_add_u64 v[10:11], v[6:7], 2, s[6:7]
	global_load_dword v43, v[10:11], off
	s_waitcnt vmcnt(3)
	v_mfma_f32_16x16x16_f16 v[64:67], v[18:19], v[22:23], 0
	v_or_b32_e32 v22, 0x80, v30
	v_or_b32_e32 v23, 0xc0, v30
	v_ashrrev_i32_e32 v30, 4, v22
	v_cmp_gt_i32_e32 vcc, s33, v22
	v_ashrrev_i32_e32 v32, 4, v23
	v_mfma_f32_16x16x16_f16 v[6:9], v[8:9], v[24:25], v[50:53]
	v_cndmask_b32_e32 v22, v68, v30, vcc
	v_cmp_gt_i32_e32 vcc, s33, v23
	v_ashrrev_i32_e32 v23, 31, v22
	v_mfma_f32_16x16x16_f16 v[10:13], v[12:13], v[24:25], v[60:63]
	v_lshl_or_b32 v30, v37, 9, v35
	v_mfma_f32_16x16x16_f16 v[18:21], v[20:21], v[24:25], v[64:67]
	v_cndmask_b32_e32 v24, v68, v32, vcc
	v_ashrrev_i32_e32 v25, 31, v24
	v_lshl_add_u64 v[32:33], v[24:25], 2, s[6:7]
	s_waitcnt lgkmcnt(0)
	v_mfma_f32_16x16x16_f16 v[2:5], v[26:27], v[14:15], v[2:5]
	v_lshl_add_u64 v[26:27], v[22:23], 2, s[6:7]
	global_load_dword v60, v[26:27], off
	global_load_dword v61, v[32:33], off
	v_mfma_f32_16x16x16_f16 v[6:9], v[46:47], v[14:15], v[6:9]
	v_mfma_f32_16x16x16_f16 v[22:25], v[56:57], v[14:15], v[10:13]
	s_waitcnt vmcnt(4)
	v_mfma_f32_16x16x16_f16 v[18:21], v[38:39], v[14:15], v[18:21]
	s_nop 0
	v_lshl_add_u64 v[10:11], s[4:5], 0, v[30:31]
	s_waitcnt vmcnt(3)
	v_mad_i64_i32 v[26:27], s[4:5], v42, s45, 0
	v_mfma_f32_16x16x16_f16 v[12:15], v[28:29], v[16:17], v[2:5]
	v_lshl_add_u64 v[30:31], v[26:27], 1, v[10:11]
	s_waitcnt vmcnt(2)
	v_mad_i64_i32 v[32:33], s[4:5], v43, s45, 0
	v_mfma_f32_16x16x16_f16 v[26:29], v[48:49], v[16:17], v[6:9]
	s_nop 2
	v_pk_mul_f32 v[50:51], s[12:13], v[14:15] op_sel_hi:[0,1]
	v_pk_mul_f32 v[12:13], s[12:13], v[12:13] op_sel_hi:[0,1]
	v_lshl_add_u64 v[56:57], v[32:33], 1, v[10:11]
	v_mfma_f32_16x16x16_f16 v[22:25], v[58:59], v[16:17], v[22:25]
	global_load_dwordx4 v[6:9], v[30:31], off
	global_load_dwordx4 v[2:5], v[30:31], off offset:16
	v_pk_mul_f32 v[42:43], s[12:13], v[26:27] op_sel_hi:[0,1]
	v_pk_mul_f32 v[52:53], s[12:13], v[28:29] op_sel_hi:[0,1]
	v_mfma_f32_16x16x16_f16 v[14:17], v[40:41], v[16:17], v[18:21]
	s_nop 1
	v_pk_mul_f32 v[48:49], s[12:13], v[22:23] op_sel_hi:[0,1]
	v_pk_mul_f32 v[46:47], s[12:13], v[24:25] op_sel_hi:[0,1]
	global_load_dwordx4 v[30:33], v[56:57], off
	global_load_dwordx4 v[26:29], v[56:57], off offset:16
	s_nop 0
	v_pk_mul_f32 v[44:45], s[12:13], v[14:15] op_sel_hi:[0,1]
	v_and_b32_e32 v14, 0xc0, v0
	v_add_u32_e32 v14, s18, v14
	v_lshl_or_b32 v14, v54, 2, v14
	v_pk_mul_f32 v[38:39], s[12:13], v[16:17] op_sel_hi:[0,1]
	v_or_b32_e32 v17, 1, v14
	v_mov_b32_e32 v15, 0xff7fffff
	v_cmp_gt_i32_e64 s[4:5], s33, v14
	v_cmp_gt_i32_e64 s[34:35], s33, v17
	v_or_b32_e32 v18, 3, v14
	v_cndmask_b32_e64 v16, v15, v12, s[4:5]
	v_cndmask_b32_e64 v17, v15, v13, s[34:35]
	v_max3_f32 v16, v16, s43, v17
	v_or_b32_e32 v17, 2, v14
	v_cmp_gt_i32_e64 s[36:37], s33, v17
	v_cmp_gt_i32_e64 s[38:39], s33, v18
	s_nop 0
	v_cndmask_b32_e64 v17, v15, v50, s[36:37]
	v_cndmask_b32_e64 v18, v15, v51, s[38:39]
	v_max3_f32 v16, v16, v17, v18
	v_or_b32_e32 v17, 16, v14
	v_or_b32_e32 v18, 17, v14
	v_cmp_gt_i32_e64 s[24:25], s33, v17
	v_cmp_gt_i32_e64 s[26:27], s33, v18
	s_nop 0
	v_cndmask_b32_e64 v17, v15, v42, s[24:25]
	v_cndmask_b32_e64 v18, v15, v43, s[26:27]
	v_max3_f32 v16, v16, v17, v18
	v_or_b32_e32 v17, 18, v14
	;; [unrolled: 8-line block ×6, first 2 shown]
	v_or_b32_e32 v14, 51, v14
	v_cmp_gt_i32_e32 vcc, s33, v17
	v_cmp_gt_i32_e64 s[6:7], s33, v14
	s_nop 0
	v_cndmask_b32_e32 v17, v15, v38, vcc
	v_cndmask_b32_e64 v14, v15, v39, s[6:7]
	v_max3_f32 v16, v16, v17, v14
	v_mbcnt_lo_u32_b32 v14, -1, 0
	v_mbcnt_hi_u32_b32 v17, -1, v14
	v_and_b32_e32 v14, 64, v17
	v_add_u32_e32 v18, 64, v14
	v_xor_b32_e32 v14, 32, v17
	v_cmp_lt_i32_e64 s[40:41], v14, v18
	s_nop 1
	v_cndmask_b32_e64 v14, v17, v14, s[40:41]
	v_lshlrev_b32_e32 v58, 2, v14
	ds_bpermute_b32 v19, v58, v16
	s_waitcnt vmcnt(5)
	v_mad_i64_i32 v[14:15], s[40:41], v60, s45, 0
	v_lshl_add_u64 v[14:15], v[14:15], 1, v[10:11]
	s_waitcnt lgkmcnt(0)
	v_max_f32_e32 v19, v19, v19
	v_max_f32_e32 v16, v16, v19
	v_xor_b32_e32 v19, 16, v17
	v_cmp_lt_i32_e64 s[40:41], v19, v18
	s_nop 1
	v_cndmask_b32_e64 v17, v17, v19, s[40:41]
	v_lshlrev_b32_e32 v57, 2, v17
	ds_bpermute_b32 v17, v57, v16
	global_load_dwordx4 v[22:25], v[14:15], off
	global_load_dwordx4 v[18:21], v[14:15], off offset:16
	s_waitcnt vmcnt(6)
	v_mad_i64_i32 v[14:15], s[40:41], v61, s45, 0
	v_lshl_add_u64 v[10:11], v[14:15], 1, v[10:11]
	s_waitcnt lgkmcnt(0)
	v_max_f32_e32 v14, v17, v17
	v_max_f32_e32 v56, v16, v14
	v_sub_f32_e32 v12, v12, v56
	v_mul_f32_e32 v12, 0x3fb8aa3b, v12
	v_exp_f32_e32 v40, v12
	v_sub_f32_e32 v12, v13, v56
	v_mul_f32_e32 v12, 0x3fb8aa3b, v12
	v_exp_f32_e32 v41, v12
	global_load_dwordx4 v[14:17], v[10:11], off
	s_nop 0
	global_load_dwordx4 v[10:13], v[10:11], off offset:16
	v_sub_f32_e32 v50, v50, v56
	v_mul_f32_e32 v50, 0x3fb8aa3b, v50
	v_sub_f32_e32 v51, v51, v56
	v_exp_f32_e32 v50, v50
	v_mul_f32_e32 v51, 0x3fb8aa3b, v51
	v_sub_f32_e32 v42, v42, v56
	v_exp_f32_e32 v51, v51
	v_mul_f32_e32 v42, 0x3fb8aa3b, v42
	v_sub_f32_e32 v43, v43, v56
	v_cndmask_b32_e64 v40, 0, v40, s[4:5]
	v_exp_f32_e32 v42, v42
	v_mul_f32_e32 v43, 0x3fb8aa3b, v43
	v_sub_f32_e32 v52, v52, v56
	v_add_f32_e32 v59, 0, v40
	v_cndmask_b32_e64 v41, 0, v41, s[34:35]
	v_exp_f32_e32 v43, v43
	v_mul_f32_e32 v52, 0x3fb8aa3b, v52
	v_sub_f32_e32 v53, v53, v56
	v_add_f32_e32 v59, v59, v41
	;; [unrolled: 5-line block ×10, first 2 shown]
	v_cndmask_b32_e64 v46, 0, v46, s[12:13]
	v_exp_f32_e32 v38, v38
	v_mul_f32_e32 v39, 0x3fb8aa3b, v39
	v_add_f32_e32 v59, v59, v46
	v_cndmask_b32_e64 v47, 0, v47, s[14:15]
	v_exp_f32_e32 v39, v39
	v_add_f32_e32 v59, v59, v47
	v_cndmask_b32_e64 v44, 0, v44, s[8:9]
	v_add_f32_e32 v59, v59, v44
	v_cndmask_b32_e64 v45, 0, v45, s[10:11]
	v_add_f32_e32 v59, v59, v45
	v_cndmask_b32_e32 v38, 0, v38, vcc
	v_add_f32_e32 v59, v59, v38
	v_cndmask_b32_e64 v39, 0, v39, s[6:7]
	v_add_f32_e32 v59, v59, v39
	ds_bpermute_b32 v58, v58, v59
	v_cmp_gt_u32_e32 vcc, 16, v55
	s_waitcnt lgkmcnt(0)
	s_barrier
	v_add_f32_e32 v58, v59, v58
	ds_bpermute_b32 v59, v57, v58
	v_lshlrev_b32_e32 v57, 2, v36
	s_and_saveexec_b64 s[4:5], vcc
	s_cbranch_execz .LBB105_13
; %bb.12:
	s_waitcnt lgkmcnt(0)
	v_add_f32_e32 v55, v58, v59
	v_lshl_or_b32 v58, v37, 6, v57
	ds_write2st64_b32 v58, v56, v55 offset1:1
.LBB105_13:
	s_or_b64 exec, exec, s[4:5]
	s_load_dword s6, s[0:1], 0x94
	s_waitcnt lgkmcnt(0)
	s_barrier
	ds_read2_b32 v[58:59], v57 offset1:16
	ds_read2_b32 v[60:61], v57 offset0:32 offset1:48
	ds_read2_b32 v[62:63], v57 offset0:64 offset1:80
	s_mul_i32 s7, s29, 14
	s_waitcnt lgkmcnt(2)
	v_max3_f32 v55, v58, s43, v59
	s_waitcnt lgkmcnt(1)
	v_max3_f32 v55, v55, v60, v61
	v_sub_f32_e32 v56, v58, v55
	v_mul_f32_e32 v56, 0x3fb8aa3b, v56
	v_exp_f32_e32 v64, v56
	v_sub_f32_e32 v56, v59, v55
	v_mul_f32_e32 v56, 0x3fb8aa3b, v56
	v_exp_f32_e32 v65, v56
	;; [unrolled: 3-line block ×3, first 2 shown]
	ds_read2_b32 v[58:59], v57 offset0:96 offset1:112
	v_sub_f32_e32 v56, v61, v55
	v_mul_f32_e32 v56, 0x3fb8aa3b, v56
	v_exp_f32_e32 v57, v56
	s_waitcnt lgkmcnt(1)
	v_fma_f32 v56, v64, v62, 0
	v_fmac_f32_e32 v56, v65, v63
	s_waitcnt lgkmcnt(0)
	v_fmac_f32_e32 v56, v60, v58
	v_fmac_f32_e32 v56, v57, v59
	v_add_f32_e32 v58, 0x358637bd, v56
	v_div_scale_f32 v59, s[4:5], v58, v58, 1.0
	v_rcp_f32_e32 v61, v59
	s_barrier
	v_fma_f32 v62, -v59, v61, 1.0
	v_fmac_f32_e32 v61, v62, v61
	v_div_scale_f32 v62, vcc, 1.0, v58, 1.0
	v_mul_f32_e32 v63, v62, v61
	v_fma_f32 v66, -v59, v63, v62
	v_fmac_f32_e32 v63, v66, v61
	v_fma_f32 v59, -v59, v63, v62
	v_div_fmas_f32 v59, v59, v61, v63
	v_cmp_eq_u32_e32 vcc, 1, v37
	v_div_fixup_f32 v58, v59, v58, 1.0
	s_nop 0
	v_cndmask_b32_e32 v59, v64, v65, vcc
	v_cmp_eq_u32_e32 vcc, 2, v37
	s_nop 1
	v_cndmask_b32_e32 v59, v59, v60, vcc
	v_cmp_eq_u32_e32 vcc, 3, v37
	v_lshlrev_b32_e32 v37, 11, v37
	s_nop 0
	v_cndmask_b32_e32 v57, v59, v57, vcc
	v_mul_f32_e32 v58, v57, v58
	v_pk_mul_f32 v[40:41], v[58:59], v[40:41] op_sel_hi:[0,1]
	v_cvt_f16_f32_e32 v40, v40
	v_cvt_f16_f32_e32 v41, v41
	v_pk_mul_f32 v[50:51], v[58:59], v[50:51] op_sel_hi:[0,1]
	v_cvt_f16_f32_e32 v57, v50
	v_cvt_f16_f32_e32 v51, v51
	v_pack_b32_f16 v50, v40, v41
	v_pk_mul_f32 v[40:41], v[58:59], v[52:53] op_sel_hi:[0,1]
	v_pk_mul_f32 v[42:43], v[58:59], v[42:43] op_sel_hi:[0,1]
	v_cvt_f16_f32_e32 v42, v42
	v_cvt_f16_f32_e32 v43, v43
	;; [unrolled: 1-line block ×4, first 2 shown]
	v_pack_b32_f16 v51, v57, v51
	v_lshlrev_b32_e32 v57, 3, v54
	v_or3_b32 v40, v37, v35, v57
	v_pack_b32_f16 v42, v42, v43
	v_pack_b32_f16 v43, v52, v41
	ds_write2st64_b64 v40, v[50:51], v[42:43] offset1:1
	v_pk_mul_f32 v[42:43], v[58:59], v[46:47] op_sel_hi:[0,1]
	v_pk_mul_f32 v[46:47], v[58:59], v[48:49] op_sel_hi:[0,1]
	v_cvt_f16_f32_e32 v37, v46
	v_cvt_f16_f32_e32 v41, v47
	;; [unrolled: 1-line block ×4, first 2 shown]
	v_pk_mul_f32 v[38:39], v[58:59], v[38:39] op_sel_hi:[0,1]
	v_pk_mul_f32 v[42:43], v[58:59], v[44:45] op_sel_hi:[0,1]
	v_cvt_f16_f32_e32 v42, v42
	v_cvt_f16_f32_e32 v43, v43
	v_cvt_f16_f32_e32 v44, v38
	v_cvt_f16_f32_e32 v45, v39
	v_pack_b32_f16 v38, v37, v41
	v_pack_b32_f16 v39, v46, v47
	;; [unrolled: 1-line block ×4, first 2 shown]
	v_cmp_gt_u32_e32 vcc, 14, v0
	ds_write2st64_b64 v40, v[38:39], v[42:43] offset0:2 offset1:3
	s_and_saveexec_b64 s[4:5], vcc
	s_cbranch_execz .LBB105_15
; %bb.14:
	s_mov_b32 s43, 0
	v_mov_b32_e32 v37, 0
	v_lshl_add_u64 v[38:39], s[42:43], 0, v[36:37]
	v_mov_b32_e32 v36, s7
	v_mad_u64_u32 v[38:39], s[12:13], s2, v36, v[38:39]
	v_mov_b32_e32 v36, s28
	s_load_dwordx4 s[8:11], s[0:1], 0x58
	s_mul_i32 s3, s3, s7
	v_mad_u64_u32 v[36:37], s[12:13], v38, s6, v[36:37]
	v_add_u32_e32 v39, s3, v39
	v_mov_b32_e32 v38, v37
	v_mad_u64_u32 v[38:39], s[12:13], v39, s6, v[38:39]
	v_mov_b32_e32 v37, v38
	v_lshlrev_b64 v[36:37], 2, v[36:37]
	s_waitcnt lgkmcnt(0)
	v_lshl_add_u64 v[38:39], s[10:11], 0, v[36:37]
	v_lshl_add_u64 v[36:37], s[8:9], 0, v[36:37]
	global_store_dword v[38:39], v55, off
	global_store_dword v[36:37], v56, off
.LBB105_15:
	s_or_b64 exec, exec, s[4:5]
	v_lshl_or_b32 v35, v54, 9, v35
	s_waitcnt lgkmcnt(0)
	s_barrier
	ds_read_b128 v[36:39], v35
	ds_read_b128 v[42:45], v35 offset:16
	s_waitcnt vmcnt(7) lgkmcnt(1)
	v_mfma_f32_16x16x16_f16 v[46:49], v[6:7], v[36:37], 0
	v_cmp_gt_u32_e32 vcc, 64, v0
	s_mov_b32 s3, 0
	s_and_b64 s[4:5], vcc, s[30:31]
	v_mfma_f32_16x16x16_f16 v[6:9], v[8:9], v[38:39], v[46:49]
	s_waitcnt vmcnt(6) lgkmcnt(0)
	v_mfma_f32_16x16x16_f16 v[6:9], v[2:3], v[42:43], v[6:9]
	v_mfma_f32_16x16x16_f16 v[2:5], v[4:5], v[44:45], v[6:9]
	s_nop 5
	ds_read_b128 v[6:9], v35 offset:2048
	ds_read_b128 v[36:39], v35 offset:2064
	s_waitcnt vmcnt(5) lgkmcnt(1)
	v_mfma_f32_16x16x16_f16 v[2:5], v[30:31], v[6:7], v[2:5]
	v_mfma_f32_16x16x16_f16 v[2:5], v[32:33], v[8:9], v[2:5]
	s_waitcnt vmcnt(4) lgkmcnt(0)
	v_mfma_f32_16x16x16_f16 v[2:5], v[26:27], v[36:37], v[2:5]
	v_mfma_f32_16x16x16_f16 v[2:5], v[28:29], v[38:39], v[2:5]
	ds_read_b128 v[6:9], v35 offset:4096
	ds_read_b128 v[26:29], v35 offset:4112
	s_waitcnt vmcnt(3) lgkmcnt(1)
	v_mfma_f32_16x16x16_f16 v[2:5], v[22:23], v[6:7], v[2:5]
	v_mfma_f32_16x16x16_f16 v[2:5], v[24:25], v[8:9], v[2:5]
	s_waitcnt vmcnt(2) lgkmcnt(0)
	v_mfma_f32_16x16x16_f16 v[2:5], v[18:19], v[26:27], v[2:5]
	v_mfma_f32_16x16x16_f16 v[2:5], v[20:21], v[28:29], v[2:5]
	ds_read_b128 v[6:9], v35 offset:6144
	ds_read_b128 v[18:21], v35 offset:6160
	v_mov_b32_e32 v35, 0
	s_waitcnt vmcnt(1) lgkmcnt(0)
	v_mfma_f32_16x16x16_f16 v[2:5], v[14:15], v[6:7], v[2:5]
	s_barrier
	v_mfma_f32_16x16x16_f16 v[2:5], v[16:17], v[8:9], v[2:5]
	s_waitcnt vmcnt(0)
	v_mfma_f32_16x16x16_f16 v[2:5], v[10:11], v[18:19], v[2:5]
	v_mfma_f32_16x16x16_f16 v[2:5], v[12:13], v[20:21], v[2:5]
	s_nop 6
	v_cvt_f16_f32_e32 v2, v2
	v_cvt_f16_f32_e32 v3, v3
	;; [unrolled: 1-line block ×4, first 2 shown]
	v_pack_b32_f16 v2, v2, v3
	v_pack_b32_f16 v3, v4, v5
	ds_write_b64 v40, v[2:3]
	s_waitcnt lgkmcnt(0)
	s_barrier
	s_and_saveexec_b64 s[8:9], s[4:5]
	s_cbranch_execz .LBB105_18
; %bb.16:
	s_load_dwordx2 s[4:5], s[0:1], 0x68
	s_lshl_b32 s0, s6, 6
	s_mul_i32 s1, s7, s2
	s_mul_hi_u32 s7, s1, s0
	s_mul_i32 s6, s1, s0
	v_lshlrev_b32_e32 v0, 10, v0
	s_lshl_b64 s[6:7], s[6:7], 1
	v_and_b32_e32 v0, 0x1800, v0
	v_lshlrev_b32_e32 v2, 5, v54
	v_and_b32_e32 v1, 16, v1
	s_waitcnt lgkmcnt(0)
	s_add_u32 s1, s4, s6
	v_or3_b32 v2, v0, v2, v1
	s_addc_u32 s4, s5, s7
	s_lshl_b32 s2, s28, 6
	ds_read_b128 v[4:7], v2 offset:256
	s_lshl_b64 s[2:3], s[2:3], 1
	ds_read_b128 v[8:11], v2 offset:128
	ds_read_b128 v[12:15], v2
	s_add_u32 s2, s1, s2
	s_addc_u32 s3, s4, s3
	v_add_u32_e32 v18, s42, v54
	v_lshl_add_u64 v[0:1], s[2:3], 0, v[34:35]
	v_mad_u64_u32 v[16:17], s[2:3], v18, s0, 0
	v_lshl_add_u64 v[16:17], v[16:17], 1, v[0:1]
	s_waitcnt lgkmcnt(0)
	global_store_dwordx4 v[16:17], v[12:15], off
	v_or_b32_e32 v3, 12, v54
	v_cmp_gt_u32_e32 vcc, 14, v3
	v_add_u32_e32 v12, 4, v18
	v_mad_u64_u32 v[12:13], s[2:3], v12, s0, 0
	v_lshl_add_u64 v[12:13], v[12:13], 1, v[0:1]
	global_store_dwordx4 v[12:13], v[8:11], off
	s_nop 1
	v_add_u32_e32 v8, 8, v18
	v_mad_u64_u32 v[8:9], s[2:3], v8, s0, 0
	v_lshl_add_u64 v[8:9], v[8:9], 1, v[0:1]
	global_store_dwordx4 v[8:9], v[4:7], off
	s_and_b64 exec, exec, vcc
	s_cbranch_execz .LBB105_18
; %bb.17:
	ds_read_b128 v[4:7], v2 offset:384
	v_add_u32_e32 v2, s42, v3
	v_mad_u64_u32 v[2:3], s[0:1], v2, s0, 0
	v_lshl_add_u64 v[0:1], v[2:3], 1, v[0:1]
	s_waitcnt lgkmcnt(0)
	global_store_dwordx4 v[0:1], v[4:7], off
.LBB105_18:
	s_endpgm
	.section	.rodata,"a",@progbits
	.p2align	6, 0x0
	.amdhsa_kernel _Z39paged_attention_ll4mi_QKV_mfma16_kernelIDF16_DF16_LN4vllm18Fp8KVCacheDataTypeE0EDF16_Li16ELi64ELi256ELb0ELi14EEvPKT_PKT0_S7_ifPKiS9_S9_iPKfiiiPfSC_PS2_PT2_iSB_SB_
		.amdhsa_group_segment_fixed_size 8192
		.amdhsa_private_segment_fixed_size 0
		.amdhsa_kernarg_size 400
		.amdhsa_user_sgpr_count 2
		.amdhsa_user_sgpr_dispatch_ptr 0
		.amdhsa_user_sgpr_queue_ptr 0
		.amdhsa_user_sgpr_kernarg_segment_ptr 1
		.amdhsa_user_sgpr_dispatch_id 0
		.amdhsa_user_sgpr_kernarg_preload_length 0
		.amdhsa_user_sgpr_kernarg_preload_offset 0
		.amdhsa_user_sgpr_private_segment_size 0
		.amdhsa_uses_dynamic_stack 0
		.amdhsa_enable_private_segment 0
		.amdhsa_system_sgpr_workgroup_id_x 1
		.amdhsa_system_sgpr_workgroup_id_y 1
		.amdhsa_system_sgpr_workgroup_id_z 1
		.amdhsa_system_sgpr_workgroup_info 0
		.amdhsa_system_vgpr_workitem_id 0
		.amdhsa_next_free_vgpr 69
		.amdhsa_next_free_sgpr 48
		.amdhsa_accum_offset 72
		.amdhsa_reserve_vcc 1
		.amdhsa_float_round_mode_32 0
		.amdhsa_float_round_mode_16_64 0
		.amdhsa_float_denorm_mode_32 3
		.amdhsa_float_denorm_mode_16_64 3
		.amdhsa_dx10_clamp 1
		.amdhsa_ieee_mode 1
		.amdhsa_fp16_overflow 0
		.amdhsa_tg_split 0
		.amdhsa_exception_fp_ieee_invalid_op 0
		.amdhsa_exception_fp_denorm_src 0
		.amdhsa_exception_fp_ieee_div_zero 0
		.amdhsa_exception_fp_ieee_overflow 0
		.amdhsa_exception_fp_ieee_underflow 0
		.amdhsa_exception_fp_ieee_inexact 0
		.amdhsa_exception_int_div_zero 0
	.end_amdhsa_kernel
	.section	.text._Z39paged_attention_ll4mi_QKV_mfma16_kernelIDF16_DF16_LN4vllm18Fp8KVCacheDataTypeE0EDF16_Li16ELi64ELi256ELb0ELi14EEvPKT_PKT0_S7_ifPKiS9_S9_iPKfiiiPfSC_PS2_PT2_iSB_SB_,"axG",@progbits,_Z39paged_attention_ll4mi_QKV_mfma16_kernelIDF16_DF16_LN4vllm18Fp8KVCacheDataTypeE0EDF16_Li16ELi64ELi256ELb0ELi14EEvPKT_PKT0_S7_ifPKiS9_S9_iPKfiiiPfSC_PS2_PT2_iSB_SB_,comdat
.Lfunc_end105:
	.size	_Z39paged_attention_ll4mi_QKV_mfma16_kernelIDF16_DF16_LN4vllm18Fp8KVCacheDataTypeE0EDF16_Li16ELi64ELi256ELb0ELi14EEvPKT_PKT0_S7_ifPKiS9_S9_iPKfiiiPfSC_PS2_PT2_iSB_SB_, .Lfunc_end105-_Z39paged_attention_ll4mi_QKV_mfma16_kernelIDF16_DF16_LN4vllm18Fp8KVCacheDataTypeE0EDF16_Li16ELi64ELi256ELb0ELi14EEvPKT_PKT0_S7_ifPKiS9_S9_iPKfiiiPfSC_PS2_PT2_iSB_SB_
                                        ; -- End function
	.section	.AMDGPU.csdata,"",@progbits
; Kernel info:
; codeLenInByte = 3860
; NumSgprs: 54
; NumVgprs: 69
; NumAgprs: 0
; TotalNumVgprs: 69
; ScratchSize: 0
; MemoryBound: 0
; FloatMode: 240
; IeeeMode: 1
; LDSByteSize: 8192 bytes/workgroup (compile time only)
; SGPRBlocks: 6
; VGPRBlocks: 8
; NumSGPRsForWavesPerEU: 54
; NumVGPRsForWavesPerEU: 69
; AccumOffset: 72
; Occupancy: 7
; WaveLimiterHint : 1
; COMPUTE_PGM_RSRC2:SCRATCH_EN: 0
; COMPUTE_PGM_RSRC2:USER_SGPR: 2
; COMPUTE_PGM_RSRC2:TRAP_HANDLER: 0
; COMPUTE_PGM_RSRC2:TGID_X_EN: 1
; COMPUTE_PGM_RSRC2:TGID_Y_EN: 1
; COMPUTE_PGM_RSRC2:TGID_Z_EN: 1
; COMPUTE_PGM_RSRC2:TIDIG_COMP_CNT: 0
; COMPUTE_PGM_RSRC3_GFX90A:ACCUM_OFFSET: 17
; COMPUTE_PGM_RSRC3_GFX90A:TG_SPLIT: 0
	.section	.text._Z39paged_attention_ll4mi_QKV_mfma16_kernelIDF16_DF16_LN4vllm18Fp8KVCacheDataTypeE0EDF16_Li16ELi64ELi256ELb0ELi15EEvPKT_PKT0_S7_ifPKiS9_S9_iPKfiiiPfSC_PS2_PT2_iSB_SB_,"axG",@progbits,_Z39paged_attention_ll4mi_QKV_mfma16_kernelIDF16_DF16_LN4vllm18Fp8KVCacheDataTypeE0EDF16_Li16ELi64ELi256ELb0ELi15EEvPKT_PKT0_S7_ifPKiS9_S9_iPKfiiiPfSC_PS2_PT2_iSB_SB_,comdat
	.protected	_Z39paged_attention_ll4mi_QKV_mfma16_kernelIDF16_DF16_LN4vllm18Fp8KVCacheDataTypeE0EDF16_Li16ELi64ELi256ELb0ELi15EEvPKT_PKT0_S7_ifPKiS9_S9_iPKfiiiPfSC_PS2_PT2_iSB_SB_ ; -- Begin function _Z39paged_attention_ll4mi_QKV_mfma16_kernelIDF16_DF16_LN4vllm18Fp8KVCacheDataTypeE0EDF16_Li16ELi64ELi256ELb0ELi15EEvPKT_PKT0_S7_ifPKiS9_S9_iPKfiiiPfSC_PS2_PT2_iSB_SB_
	.globl	_Z39paged_attention_ll4mi_QKV_mfma16_kernelIDF16_DF16_LN4vllm18Fp8KVCacheDataTypeE0EDF16_Li16ELi64ELi256ELb0ELi15EEvPKT_PKT0_S7_ifPKiS9_S9_iPKfiiiPfSC_PS2_PT2_iSB_SB_
	.p2align	8
	.type	_Z39paged_attention_ll4mi_QKV_mfma16_kernelIDF16_DF16_LN4vllm18Fp8KVCacheDataTypeE0EDF16_Li16ELi64ELi256ELb0ELi15EEvPKT_PKT0_S7_ifPKiS9_S9_iPKfiiiPfSC_PS2_PT2_iSB_SB_,@function
_Z39paged_attention_ll4mi_QKV_mfma16_kernelIDF16_DF16_LN4vllm18Fp8KVCacheDataTypeE0EDF16_Li16ELi64ELi256ELb0ELi15EEvPKT_PKT0_S7_ifPKiS9_S9_iPKfiiiPfSC_PS2_PT2_iSB_SB_: ; @_Z39paged_attention_ll4mi_QKV_mfma16_kernelIDF16_DF16_LN4vllm18Fp8KVCacheDataTypeE0EDF16_Li16ELi64ELi256ELb0ELi15EEvPKT_PKT0_S7_ifPKiS9_S9_iPKfiiiPfSC_PS2_PT2_iSB_SB_
; %bb.0:
	s_load_dwordx2 s[12:13], s[0:1], 0x30
	s_mov_b32 s28, s3
	s_mov_b64 s[6:7], 0
	s_waitcnt lgkmcnt(0)
	s_cmp_lg_u64 s[12:13], 0
	s_cselect_b64 s[14:15], -1, 0
	s_and_b64 vcc, exec, s[14:15]
	s_cbranch_vccz .LBB106_7
; %bb.1:
	s_add_i32 s8, s2, 1
	s_mov_b32 s9, 0
	s_lshl_b64 s[10:11], s[8:9], 2
	s_add_u32 s10, s12, s10
	s_mov_b32 s3, s9
	s_addc_u32 s11, s13, s11
	s_lshl_b64 s[8:9], s[2:3], 2
	s_add_u32 s8, s12, s8
	s_addc_u32 s9, s13, s9
	s_load_dword s5, s[10:11], 0x0
	s_load_dword s16, s[8:9], 0x0
	s_waitcnt lgkmcnt(0)
	s_sub_i32 s5, s5, s16
	s_cmp_eq_u32 s5, 1
	s_cselect_b64 s[8:9], -1, 0
	s_andn2_b64 vcc, exec, s[6:7]
	s_cbranch_vccnz .LBB106_3
.LBB106_2:
	s_mov_b32 s3, 0
	s_mov_b64 s[8:9], -1
.LBB106_3:
	s_andn2_b64 vcc, exec, s[8:9]
	s_cbranch_vccnz .LBB106_18
; %bb.4:
	s_load_dwordx2 s[6:7], s[0:1], 0x28
	s_lshl_b64 s[16:17], s[2:3], 2
	s_waitcnt lgkmcnt(0)
	s_add_u32 s6, s6, s16
	s_addc_u32 s7, s7, s17
	s_load_dword s33, s[6:7], 0x0
	s_lshl_b32 s18, s28, 8
	s_waitcnt lgkmcnt(0)
	s_cmp_ge_i32 s18, s33
	s_cbranch_scc1 .LBB106_18
; %bb.5:
	s_load_dwordx2 s[6:7], s[0:1], 0x20
	s_load_dword s5, s[0:1], 0x38
	s_add_i32 s8, s33, 15
	s_ashr_i32 s9, s8, 31
	v_and_b32_e32 v1, 0xcf, v0
	s_lshr_b32 s9, s9, 28
	v_add_u32_e32 v1, s18, v1
	s_add_i32 s8, s8, s9
	v_ashrrev_i32_e32 v2, 31, v1
	s_ashr_i32 s19, s8, 4
	v_lshrrev_b32_e32 v6, 28, v2
	s_add_i32 s19, s19, -1
	s_waitcnt lgkmcnt(0)
	s_mul_i32 s8, s2, s5
	s_mov_b32 s9, 0
	v_add_u32_e32 v2, v1, v6
	s_lshl_b64 s[8:9], s[8:9], 2
	v_ashrrev_i32_e32 v2, 4, v2
	v_mov_b32_e32 v7, s19
	v_cmp_gt_i32_e32 vcc, s33, v1
	s_add_u32 s6, s6, s8
	s_addc_u32 s7, s7, s9
	v_cndmask_b32_e32 v2, v7, v2, vcc
	v_ashrrev_i32_e32 v3, 31, v2
	v_lshl_add_u64 v[4:5], v[2:3], 2, s[6:7]
	v_or_b32_e32 v2, 16, v1
	v_add_u32_e32 v3, v2, v6
	v_ashrrev_i32_e32 v3, 4, v3
	v_cmp_gt_i32_e32 vcc, s33, v2
	s_load_dwordx4 s[8:11], s[0:1], 0x8
	s_nop 0
	v_cndmask_b32_e32 v2, v7, v3, vcc
	v_ashrrev_i32_e32 v3, 31, v2
	v_lshl_add_u64 v[8:9], v[2:3], 2, s[6:7]
	v_or_b32_e32 v2, 32, v1
	v_add_u32_e32 v3, v2, v6
	v_ashrrev_i32_e32 v3, 4, v3
	v_cmp_gt_i32_e32 vcc, s33, v2
	v_or_b32_e32 v1, 48, v1
	s_nop 0
	v_cndmask_b32_e32 v2, v7, v3, vcc
	v_ashrrev_i32_e32 v3, 31, v2
	v_lshl_add_u64 v[12:13], v[2:3], 2, s[6:7]
	v_add_u32_e32 v2, v1, v6
	v_ashrrev_i32_e32 v2, 4, v2
	v_cmp_gt_i32_e32 vcc, s33, v1
	s_nop 1
	v_cndmask_b32_e32 v2, v7, v2, vcc
	v_ashrrev_i32_e32 v3, 31, v2
	v_lshl_add_u64 v[14:15], v[2:3], 2, s[6:7]
	global_load_dword v2, v[4:5], off
	global_load_dword v6, v[8:9], off
	;; [unrolled: 1-line block ×4, first 2 shown]
	s_andn2_b64 vcc, exec, s[14:15]
	s_cbranch_vccnz .LBB106_8
; %bb.6:
	s_add_u32 s12, s12, s16
	s_addc_u32 s13, s13, s17
	s_load_dword s5, s[12:13], 0x0
	s_branch .LBB106_9
.LBB106_7:
	s_mov_b64 s[8:9], 0
	s_branch .LBB106_2
.LBB106_8:
	s_mov_b32 s5, s2
.LBB106_9:
	s_load_dwordx4 s[44:47], s[0:1], 0x48
	v_lshrrev_b32_e32 v37, 6, v0
	v_bfe_u32 v54, v0, 4, 2
	v_lshl_or_b32 v1, v37, 2, v54
	v_and_b32_e32 v36, 15, v0
	v_lshlrev_b32_e32 v3, 3, v36
	v_cmp_gt_u32_e32 vcc, 15, v1
	v_cmp_gt_u32_e64 s[30:31], 8, v36
	v_and_b32_e32 v55, 63, v0
	s_mul_i32 s42, s4, 15
	s_and_b64 s[14:15], s[30:31], vcc
	v_lshlrev_b32_e32 v34, 1, v3
	s_and_saveexec_b64 s[12:13], s[14:15]
	s_cbranch_execz .LBB106_11
; %bb.10:
	s_load_dwordx2 s[14:15], s[0:1], 0x0
	s_waitcnt lgkmcnt(0)
	s_ashr_i32 s16, s44, 31
	s_mul_hi_u32 s17, s5, s44
	s_mul_i32 s16, s5, s16
	s_add_i32 s17, s17, s16
	s_mul_i32 s16, s5, s44
	s_lshl_b64 s[16:17], s[16:17], 1
	s_add_u32 s14, s14, s16
	v_add_lshl_u32 v4, v1, s42, 6
	s_addc_u32 s15, s15, s17
	v_ashrrev_i32_e32 v5, 31, v4
	v_lshl_add_u64 v[4:5], v[4:5], 1, s[14:15]
	v_mov_b32_e32 v35, 0
	v_lshl_add_u64 v[4:5], v[4:5], 0, v[34:35]
	global_load_dwordx4 v[12:15], v[4:5], off
	v_and_b32_e32 v3, 3, v0
	v_lshlrev_b32_e32 v4, 9, v36
	v_lshlrev_b32_e32 v1, 5, v1
	;; [unrolled: 1-line block ×3, first 2 shown]
	v_and_b32_e32 v4, 0x1800, v4
	v_or3_b32 v1, v4, v3, v1
	s_waitcnt vmcnt(0)
	ds_write_b128 v1, v[12:15]
.LBB106_11:
	s_or_b64 exec, exec, s[12:13]
	s_waitcnt lgkmcnt(0)
	s_mov_b32 s5, 0
	s_mul_i32 s4, s4, s46
	s_lshl_b64 s[4:5], s[4:5], 1
	s_add_u32 s8, s8, s4
	v_lshlrev_b32_e32 v1, 4, v0
	v_mov_b32_e32 v31, 0
	s_addc_u32 s9, s9, s5
	v_and_b32_e32 v30, 0xf0, v1
	v_lshl_add_u64 v[18:19], s[8:9], 0, v[30:31]
	s_waitcnt vmcnt(3)
	v_mad_i64_i32 v[2:3], s[8:9], v2, s45, 0
	v_lshl_add_u64 v[2:3], v[2:3], 1, v[18:19]
	v_and_b32_e32 v30, 0x300, v1
	v_lshl_add_u64 v[14:15], v[2:3], 0, v[30:31]
	s_load_dword s29, s[0:1], 0x98
	s_load_dword s12, s[0:1], 0x1c
	s_waitcnt lgkmcnt(0)
	s_barrier
	global_load_dwordx4 v[2:5], v[14:15], off
	global_load_dwordx4 v[26:29], v[14:15], off offset:1024
	s_waitcnt vmcnt(3)
	v_mad_i64_i32 v[10:11], s[8:9], v10, s45, 0
	v_lshl_add_u64 v[10:11], v[10:11], 1, v[18:19]
	v_lshl_add_u64 v[38:39], v[10:11], 0, v[30:31]
	global_load_dwordx4 v[10:13], v[38:39], off
	global_load_dwordx4 v[56:59], v[38:39], off offset:1024
	v_mad_i64_i32 v[6:7], s[8:9], v6, s45, 0
	v_lshl_add_u64 v[6:7], v[6:7], 1, v[18:19]
	v_lshl_add_u64 v[32:33], v[6:7], 0, v[30:31]
	global_load_dwordx4 v[6:9], v[32:33], off
	global_load_dwordx4 v[46:49], v[32:33], off offset:1024
	s_waitcnt vmcnt(6)
	v_mad_i64_i32 v[16:17], s[8:9], v16, s45, 0
	v_lshl_add_u64 v[16:17], v[16:17], 1, v[18:19]
	v_lshl_add_u64 v[40:41], v[16:17], 0, v[30:31]
	global_load_dwordx4 v[18:21], v[40:41], off
	v_cmp_ne_u32_e32 vcc, 15, v36
	global_load_dwordx4 v[38:41], v[40:41], off offset:1024
	v_and_or_b32 v30, v0, 48, s18
	v_cndmask_b32_e32 v16, 0, v36, vcc
	v_lshlrev_b32_e32 v16, 5, v16
	v_lshl_or_b32 v16, v54, 9, v16
	ds_read_b128 v[22:25], v16
	v_mov_b32_e32 v68, s19
	v_cmp_gt_i32_e32 vcc, s33, v30
	v_or_b32_e32 v32, 64, v30
	ds_read_b128 v[14:17], v16 offset:2048
	v_lshlrev_b32_e32 v35, 5, v36
	s_add_u32 s4, s10, s4
	s_addc_u32 s5, s11, s5
	s_mov_b32 s43, 0xff7fffff
	s_waitcnt vmcnt(7) lgkmcnt(1)
	v_mfma_f32_16x16x16_f16 v[42:45], v[2:3], v[22:23], 0
	v_ashrrev_i32_e32 v2, 4, v30
	v_cndmask_b32_e32 v2, v68, v2, vcc
	v_ashrrev_i32_e32 v3, 31, v2
	s_waitcnt vmcnt(5)
	v_mfma_f32_16x16x16_f16 v[60:63], v[10:11], v[22:23], 0
	v_lshl_add_u64 v[10:11], v[2:3], 2, s[6:7]
	v_cmp_gt_i32_e32 vcc, s33, v32
	v_mfma_f32_16x16x16_f16 v[2:5], v[4:5], v[24:25], v[42:45]
	s_nop 2
	global_load_dword v42, v[10:11], off
	s_waitcnt vmcnt(4)
	v_mfma_f32_16x16x16_f16 v[50:53], v[6:7], v[22:23], 0
	v_ashrrev_i32_e32 v6, 4, v32
	v_cndmask_b32_e32 v6, v68, v6, vcc
	v_ashrrev_i32_e32 v7, 31, v6
	v_lshl_add_u64 v[10:11], v[6:7], 2, s[6:7]
	global_load_dword v43, v[10:11], off
	s_waitcnt vmcnt(3)
	v_mfma_f32_16x16x16_f16 v[64:67], v[18:19], v[22:23], 0
	v_or_b32_e32 v22, 0x80, v30
	v_or_b32_e32 v23, 0xc0, v30
	v_ashrrev_i32_e32 v30, 4, v22
	v_cmp_gt_i32_e32 vcc, s33, v22
	v_ashrrev_i32_e32 v32, 4, v23
	v_mfma_f32_16x16x16_f16 v[6:9], v[8:9], v[24:25], v[50:53]
	v_cndmask_b32_e32 v22, v68, v30, vcc
	v_cmp_gt_i32_e32 vcc, s33, v23
	v_ashrrev_i32_e32 v23, 31, v22
	v_mfma_f32_16x16x16_f16 v[10:13], v[12:13], v[24:25], v[60:63]
	v_lshl_or_b32 v30, v37, 9, v35
	v_mfma_f32_16x16x16_f16 v[18:21], v[20:21], v[24:25], v[64:67]
	v_cndmask_b32_e32 v24, v68, v32, vcc
	v_ashrrev_i32_e32 v25, 31, v24
	v_lshl_add_u64 v[32:33], v[24:25], 2, s[6:7]
	s_waitcnt lgkmcnt(0)
	v_mfma_f32_16x16x16_f16 v[2:5], v[26:27], v[14:15], v[2:5]
	v_lshl_add_u64 v[26:27], v[22:23], 2, s[6:7]
	global_load_dword v60, v[26:27], off
	global_load_dword v61, v[32:33], off
	v_mfma_f32_16x16x16_f16 v[6:9], v[46:47], v[14:15], v[6:9]
	v_mfma_f32_16x16x16_f16 v[22:25], v[56:57], v[14:15], v[10:13]
	s_waitcnt vmcnt(4)
	v_mfma_f32_16x16x16_f16 v[18:21], v[38:39], v[14:15], v[18:21]
	s_nop 0
	v_lshl_add_u64 v[10:11], s[4:5], 0, v[30:31]
	s_waitcnt vmcnt(3)
	v_mad_i64_i32 v[26:27], s[4:5], v42, s45, 0
	v_mfma_f32_16x16x16_f16 v[12:15], v[28:29], v[16:17], v[2:5]
	v_lshl_add_u64 v[30:31], v[26:27], 1, v[10:11]
	s_waitcnt vmcnt(2)
	v_mad_i64_i32 v[32:33], s[4:5], v43, s45, 0
	v_mfma_f32_16x16x16_f16 v[26:29], v[48:49], v[16:17], v[6:9]
	s_nop 2
	v_pk_mul_f32 v[50:51], s[12:13], v[14:15] op_sel_hi:[0,1]
	v_pk_mul_f32 v[12:13], s[12:13], v[12:13] op_sel_hi:[0,1]
	v_lshl_add_u64 v[56:57], v[32:33], 1, v[10:11]
	v_mfma_f32_16x16x16_f16 v[22:25], v[58:59], v[16:17], v[22:25]
	global_load_dwordx4 v[6:9], v[30:31], off
	global_load_dwordx4 v[2:5], v[30:31], off offset:16
	v_pk_mul_f32 v[42:43], s[12:13], v[26:27] op_sel_hi:[0,1]
	v_pk_mul_f32 v[52:53], s[12:13], v[28:29] op_sel_hi:[0,1]
	v_mfma_f32_16x16x16_f16 v[14:17], v[40:41], v[16:17], v[18:21]
	s_nop 1
	v_pk_mul_f32 v[48:49], s[12:13], v[22:23] op_sel_hi:[0,1]
	v_pk_mul_f32 v[46:47], s[12:13], v[24:25] op_sel_hi:[0,1]
	global_load_dwordx4 v[30:33], v[56:57], off
	global_load_dwordx4 v[26:29], v[56:57], off offset:16
	s_nop 0
	v_pk_mul_f32 v[44:45], s[12:13], v[14:15] op_sel_hi:[0,1]
	v_and_b32_e32 v14, 0xc0, v0
	v_add_u32_e32 v14, s18, v14
	v_lshl_or_b32 v14, v54, 2, v14
	v_pk_mul_f32 v[38:39], s[12:13], v[16:17] op_sel_hi:[0,1]
	v_or_b32_e32 v17, 1, v14
	v_mov_b32_e32 v15, 0xff7fffff
	v_cmp_gt_i32_e64 s[4:5], s33, v14
	v_cmp_gt_i32_e64 s[34:35], s33, v17
	v_or_b32_e32 v18, 3, v14
	v_cndmask_b32_e64 v16, v15, v12, s[4:5]
	v_cndmask_b32_e64 v17, v15, v13, s[34:35]
	v_max3_f32 v16, v16, s43, v17
	v_or_b32_e32 v17, 2, v14
	v_cmp_gt_i32_e64 s[36:37], s33, v17
	v_cmp_gt_i32_e64 s[38:39], s33, v18
	s_nop 0
	v_cndmask_b32_e64 v17, v15, v50, s[36:37]
	v_cndmask_b32_e64 v18, v15, v51, s[38:39]
	v_max3_f32 v16, v16, v17, v18
	v_or_b32_e32 v17, 16, v14
	v_or_b32_e32 v18, 17, v14
	v_cmp_gt_i32_e64 s[24:25], s33, v17
	v_cmp_gt_i32_e64 s[26:27], s33, v18
	s_nop 0
	v_cndmask_b32_e64 v17, v15, v42, s[24:25]
	v_cndmask_b32_e64 v18, v15, v43, s[26:27]
	v_max3_f32 v16, v16, v17, v18
	v_or_b32_e32 v17, 18, v14
	;; [unrolled: 8-line block ×6, first 2 shown]
	v_or_b32_e32 v14, 51, v14
	v_cmp_gt_i32_e32 vcc, s33, v17
	v_cmp_gt_i32_e64 s[6:7], s33, v14
	s_nop 0
	v_cndmask_b32_e32 v17, v15, v38, vcc
	v_cndmask_b32_e64 v14, v15, v39, s[6:7]
	v_max3_f32 v16, v16, v17, v14
	v_mbcnt_lo_u32_b32 v14, -1, 0
	v_mbcnt_hi_u32_b32 v17, -1, v14
	v_and_b32_e32 v14, 64, v17
	v_add_u32_e32 v18, 64, v14
	v_xor_b32_e32 v14, 32, v17
	v_cmp_lt_i32_e64 s[40:41], v14, v18
	s_nop 1
	v_cndmask_b32_e64 v14, v17, v14, s[40:41]
	v_lshlrev_b32_e32 v58, 2, v14
	ds_bpermute_b32 v19, v58, v16
	s_waitcnt vmcnt(5)
	v_mad_i64_i32 v[14:15], s[40:41], v60, s45, 0
	v_lshl_add_u64 v[14:15], v[14:15], 1, v[10:11]
	s_waitcnt lgkmcnt(0)
	v_max_f32_e32 v19, v19, v19
	v_max_f32_e32 v16, v16, v19
	v_xor_b32_e32 v19, 16, v17
	v_cmp_lt_i32_e64 s[40:41], v19, v18
	s_nop 1
	v_cndmask_b32_e64 v17, v17, v19, s[40:41]
	v_lshlrev_b32_e32 v57, 2, v17
	ds_bpermute_b32 v17, v57, v16
	global_load_dwordx4 v[22:25], v[14:15], off
	global_load_dwordx4 v[18:21], v[14:15], off offset:16
	s_waitcnt vmcnt(6)
	v_mad_i64_i32 v[14:15], s[40:41], v61, s45, 0
	v_lshl_add_u64 v[10:11], v[14:15], 1, v[10:11]
	s_waitcnt lgkmcnt(0)
	v_max_f32_e32 v14, v17, v17
	v_max_f32_e32 v56, v16, v14
	v_sub_f32_e32 v12, v12, v56
	v_mul_f32_e32 v12, 0x3fb8aa3b, v12
	v_exp_f32_e32 v40, v12
	v_sub_f32_e32 v12, v13, v56
	v_mul_f32_e32 v12, 0x3fb8aa3b, v12
	v_exp_f32_e32 v41, v12
	global_load_dwordx4 v[14:17], v[10:11], off
	s_nop 0
	global_load_dwordx4 v[10:13], v[10:11], off offset:16
	v_sub_f32_e32 v50, v50, v56
	v_mul_f32_e32 v50, 0x3fb8aa3b, v50
	v_sub_f32_e32 v51, v51, v56
	v_exp_f32_e32 v50, v50
	v_mul_f32_e32 v51, 0x3fb8aa3b, v51
	v_sub_f32_e32 v42, v42, v56
	v_exp_f32_e32 v51, v51
	v_mul_f32_e32 v42, 0x3fb8aa3b, v42
	v_sub_f32_e32 v43, v43, v56
	v_cndmask_b32_e64 v40, 0, v40, s[4:5]
	v_exp_f32_e32 v42, v42
	v_mul_f32_e32 v43, 0x3fb8aa3b, v43
	v_sub_f32_e32 v52, v52, v56
	v_add_f32_e32 v59, 0, v40
	v_cndmask_b32_e64 v41, 0, v41, s[34:35]
	v_exp_f32_e32 v43, v43
	v_mul_f32_e32 v52, 0x3fb8aa3b, v52
	v_sub_f32_e32 v53, v53, v56
	v_add_f32_e32 v59, v59, v41
	;; [unrolled: 5-line block ×10, first 2 shown]
	v_cndmask_b32_e64 v46, 0, v46, s[12:13]
	v_exp_f32_e32 v38, v38
	v_mul_f32_e32 v39, 0x3fb8aa3b, v39
	v_add_f32_e32 v59, v59, v46
	v_cndmask_b32_e64 v47, 0, v47, s[14:15]
	v_exp_f32_e32 v39, v39
	v_add_f32_e32 v59, v59, v47
	v_cndmask_b32_e64 v44, 0, v44, s[8:9]
	v_add_f32_e32 v59, v59, v44
	v_cndmask_b32_e64 v45, 0, v45, s[10:11]
	v_add_f32_e32 v59, v59, v45
	v_cndmask_b32_e32 v38, 0, v38, vcc
	v_add_f32_e32 v59, v59, v38
	v_cndmask_b32_e64 v39, 0, v39, s[6:7]
	v_add_f32_e32 v59, v59, v39
	ds_bpermute_b32 v58, v58, v59
	v_cmp_gt_u32_e32 vcc, 16, v55
	s_waitcnt lgkmcnt(0)
	s_barrier
	v_add_f32_e32 v58, v59, v58
	ds_bpermute_b32 v59, v57, v58
	v_lshlrev_b32_e32 v57, 2, v36
	s_and_saveexec_b64 s[4:5], vcc
	s_cbranch_execz .LBB106_13
; %bb.12:
	s_waitcnt lgkmcnt(0)
	v_add_f32_e32 v55, v58, v59
	v_lshl_or_b32 v58, v37, 6, v57
	ds_write2st64_b32 v58, v56, v55 offset1:1
.LBB106_13:
	s_or_b64 exec, exec, s[4:5]
	s_load_dword s6, s[0:1], 0x94
	s_waitcnt lgkmcnt(0)
	s_barrier
	ds_read2_b32 v[58:59], v57 offset1:16
	ds_read2_b32 v[60:61], v57 offset0:32 offset1:48
	ds_read2_b32 v[62:63], v57 offset0:64 offset1:80
	s_mul_i32 s7, s29, 15
	s_waitcnt lgkmcnt(2)
	v_max3_f32 v55, v58, s43, v59
	s_waitcnt lgkmcnt(1)
	v_max3_f32 v55, v55, v60, v61
	v_sub_f32_e32 v56, v58, v55
	v_mul_f32_e32 v56, 0x3fb8aa3b, v56
	v_exp_f32_e32 v64, v56
	v_sub_f32_e32 v56, v59, v55
	v_mul_f32_e32 v56, 0x3fb8aa3b, v56
	v_exp_f32_e32 v65, v56
	;; [unrolled: 3-line block ×3, first 2 shown]
	ds_read2_b32 v[58:59], v57 offset0:96 offset1:112
	v_sub_f32_e32 v56, v61, v55
	v_mul_f32_e32 v56, 0x3fb8aa3b, v56
	v_exp_f32_e32 v57, v56
	s_waitcnt lgkmcnt(1)
	v_fma_f32 v56, v64, v62, 0
	v_fmac_f32_e32 v56, v65, v63
	s_waitcnt lgkmcnt(0)
	v_fmac_f32_e32 v56, v60, v58
	v_fmac_f32_e32 v56, v57, v59
	v_add_f32_e32 v58, 0x358637bd, v56
	v_div_scale_f32 v59, s[4:5], v58, v58, 1.0
	v_rcp_f32_e32 v61, v59
	s_barrier
	v_fma_f32 v62, -v59, v61, 1.0
	v_fmac_f32_e32 v61, v62, v61
	v_div_scale_f32 v62, vcc, 1.0, v58, 1.0
	v_mul_f32_e32 v63, v62, v61
	v_fma_f32 v66, -v59, v63, v62
	v_fmac_f32_e32 v63, v66, v61
	v_fma_f32 v59, -v59, v63, v62
	v_div_fmas_f32 v59, v59, v61, v63
	v_cmp_eq_u32_e32 vcc, 1, v37
	v_div_fixup_f32 v58, v59, v58, 1.0
	s_nop 0
	v_cndmask_b32_e32 v59, v64, v65, vcc
	v_cmp_eq_u32_e32 vcc, 2, v37
	s_nop 1
	v_cndmask_b32_e32 v59, v59, v60, vcc
	v_cmp_eq_u32_e32 vcc, 3, v37
	v_lshlrev_b32_e32 v37, 11, v37
	s_nop 0
	v_cndmask_b32_e32 v57, v59, v57, vcc
	v_mul_f32_e32 v58, v57, v58
	v_pk_mul_f32 v[40:41], v[58:59], v[40:41] op_sel_hi:[0,1]
	v_cvt_f16_f32_e32 v40, v40
	v_cvt_f16_f32_e32 v41, v41
	v_pk_mul_f32 v[50:51], v[58:59], v[50:51] op_sel_hi:[0,1]
	v_cvt_f16_f32_e32 v57, v50
	v_cvt_f16_f32_e32 v51, v51
	v_pack_b32_f16 v50, v40, v41
	v_pk_mul_f32 v[40:41], v[58:59], v[52:53] op_sel_hi:[0,1]
	v_pk_mul_f32 v[42:43], v[58:59], v[42:43] op_sel_hi:[0,1]
	v_cvt_f16_f32_e32 v42, v42
	v_cvt_f16_f32_e32 v43, v43
	;; [unrolled: 1-line block ×4, first 2 shown]
	v_pack_b32_f16 v51, v57, v51
	v_lshlrev_b32_e32 v57, 3, v54
	v_or3_b32 v40, v37, v35, v57
	v_pack_b32_f16 v42, v42, v43
	v_pack_b32_f16 v43, v52, v41
	ds_write2st64_b64 v40, v[50:51], v[42:43] offset1:1
	v_pk_mul_f32 v[42:43], v[58:59], v[46:47] op_sel_hi:[0,1]
	v_pk_mul_f32 v[46:47], v[58:59], v[48:49] op_sel_hi:[0,1]
	v_cvt_f16_f32_e32 v37, v46
	v_cvt_f16_f32_e32 v41, v47
	;; [unrolled: 1-line block ×4, first 2 shown]
	v_pk_mul_f32 v[38:39], v[58:59], v[38:39] op_sel_hi:[0,1]
	v_pk_mul_f32 v[42:43], v[58:59], v[44:45] op_sel_hi:[0,1]
	v_cvt_f16_f32_e32 v42, v42
	v_cvt_f16_f32_e32 v43, v43
	;; [unrolled: 1-line block ×4, first 2 shown]
	v_pack_b32_f16 v38, v37, v41
	v_pack_b32_f16 v39, v46, v47
	;; [unrolled: 1-line block ×4, first 2 shown]
	v_cmp_gt_u32_e32 vcc, 15, v0
	ds_write2st64_b64 v40, v[38:39], v[42:43] offset0:2 offset1:3
	s_and_saveexec_b64 s[4:5], vcc
	s_cbranch_execz .LBB106_15
; %bb.14:
	s_mov_b32 s43, 0
	v_mov_b32_e32 v37, 0
	v_lshl_add_u64 v[38:39], s[42:43], 0, v[36:37]
	v_mov_b32_e32 v36, s7
	v_mad_u64_u32 v[38:39], s[12:13], s2, v36, v[38:39]
	v_mov_b32_e32 v36, s28
	s_load_dwordx4 s[8:11], s[0:1], 0x58
	s_mul_i32 s3, s3, s7
	v_mad_u64_u32 v[36:37], s[12:13], v38, s6, v[36:37]
	v_add_u32_e32 v39, s3, v39
	v_mov_b32_e32 v38, v37
	v_mad_u64_u32 v[38:39], s[12:13], v39, s6, v[38:39]
	v_mov_b32_e32 v37, v38
	v_lshlrev_b64 v[36:37], 2, v[36:37]
	s_waitcnt lgkmcnt(0)
	v_lshl_add_u64 v[38:39], s[10:11], 0, v[36:37]
	v_lshl_add_u64 v[36:37], s[8:9], 0, v[36:37]
	global_store_dword v[38:39], v55, off
	global_store_dword v[36:37], v56, off
.LBB106_15:
	s_or_b64 exec, exec, s[4:5]
	v_lshl_or_b32 v35, v54, 9, v35
	s_waitcnt lgkmcnt(0)
	s_barrier
	ds_read_b128 v[36:39], v35
	ds_read_b128 v[42:45], v35 offset:16
	s_waitcnt vmcnt(7) lgkmcnt(1)
	v_mfma_f32_16x16x16_f16 v[46:49], v[6:7], v[36:37], 0
	v_cmp_gt_u32_e32 vcc, 64, v0
	s_mov_b32 s3, 0
	s_and_b64 s[4:5], vcc, s[30:31]
	v_mfma_f32_16x16x16_f16 v[6:9], v[8:9], v[38:39], v[46:49]
	s_waitcnt vmcnt(6) lgkmcnt(0)
	v_mfma_f32_16x16x16_f16 v[6:9], v[2:3], v[42:43], v[6:9]
	v_mfma_f32_16x16x16_f16 v[2:5], v[4:5], v[44:45], v[6:9]
	s_nop 5
	ds_read_b128 v[6:9], v35 offset:2048
	ds_read_b128 v[36:39], v35 offset:2064
	s_waitcnt vmcnt(5) lgkmcnt(1)
	v_mfma_f32_16x16x16_f16 v[2:5], v[30:31], v[6:7], v[2:5]
	v_mfma_f32_16x16x16_f16 v[2:5], v[32:33], v[8:9], v[2:5]
	s_waitcnt vmcnt(4) lgkmcnt(0)
	v_mfma_f32_16x16x16_f16 v[2:5], v[26:27], v[36:37], v[2:5]
	v_mfma_f32_16x16x16_f16 v[2:5], v[28:29], v[38:39], v[2:5]
	ds_read_b128 v[6:9], v35 offset:4096
	ds_read_b128 v[26:29], v35 offset:4112
	s_waitcnt vmcnt(3) lgkmcnt(1)
	v_mfma_f32_16x16x16_f16 v[2:5], v[22:23], v[6:7], v[2:5]
	v_mfma_f32_16x16x16_f16 v[2:5], v[24:25], v[8:9], v[2:5]
	s_waitcnt vmcnt(2) lgkmcnt(0)
	v_mfma_f32_16x16x16_f16 v[2:5], v[18:19], v[26:27], v[2:5]
	v_mfma_f32_16x16x16_f16 v[2:5], v[20:21], v[28:29], v[2:5]
	ds_read_b128 v[6:9], v35 offset:6144
	ds_read_b128 v[18:21], v35 offset:6160
	v_mov_b32_e32 v35, 0
	s_waitcnt vmcnt(1) lgkmcnt(0)
	v_mfma_f32_16x16x16_f16 v[2:5], v[14:15], v[6:7], v[2:5]
	s_barrier
	v_mfma_f32_16x16x16_f16 v[2:5], v[16:17], v[8:9], v[2:5]
	s_waitcnt vmcnt(0)
	v_mfma_f32_16x16x16_f16 v[2:5], v[10:11], v[18:19], v[2:5]
	v_mfma_f32_16x16x16_f16 v[2:5], v[12:13], v[20:21], v[2:5]
	s_nop 6
	v_cvt_f16_f32_e32 v2, v2
	v_cvt_f16_f32_e32 v3, v3
	v_cvt_f16_f32_e32 v4, v4
	v_cvt_f16_f32_e32 v5, v5
	v_pack_b32_f16 v2, v2, v3
	v_pack_b32_f16 v3, v4, v5
	ds_write_b64 v40, v[2:3]
	s_waitcnt lgkmcnt(0)
	s_barrier
	s_and_saveexec_b64 s[8:9], s[4:5]
	s_cbranch_execz .LBB106_18
; %bb.16:
	s_load_dwordx2 s[4:5], s[0:1], 0x68
	s_lshl_b32 s0, s6, 6
	s_mul_i32 s1, s7, s2
	s_mul_hi_u32 s7, s1, s0
	s_mul_i32 s6, s1, s0
	v_lshlrev_b32_e32 v0, 10, v0
	s_lshl_b64 s[6:7], s[6:7], 1
	v_and_b32_e32 v0, 0x1800, v0
	v_lshlrev_b32_e32 v2, 5, v54
	v_and_b32_e32 v1, 16, v1
	s_waitcnt lgkmcnt(0)
	s_add_u32 s1, s4, s6
	v_or3_b32 v2, v0, v2, v1
	s_addc_u32 s4, s5, s7
	s_lshl_b32 s2, s28, 6
	ds_read_b128 v[4:7], v2 offset:256
	s_lshl_b64 s[2:3], s[2:3], 1
	ds_read_b128 v[8:11], v2 offset:128
	ds_read_b128 v[12:15], v2
	s_add_u32 s2, s1, s2
	s_addc_u32 s3, s4, s3
	v_add_u32_e32 v3, s42, v54
	v_lshl_add_u64 v[0:1], s[2:3], 0, v[34:35]
	v_mad_u64_u32 v[16:17], s[2:3], v3, s0, 0
	v_lshl_add_u64 v[16:17], v[16:17], 1, v[0:1]
	s_waitcnt lgkmcnt(0)
	global_store_dwordx4 v[16:17], v[12:15], off
	v_cmp_ne_u32_e32 vcc, 3, v54
	s_nop 0
	v_add_u32_e32 v12, 4, v3
	v_mad_u64_u32 v[12:13], s[2:3], v12, s0, 0
	v_lshl_add_u64 v[12:13], v[12:13], 1, v[0:1]
	v_add_u32_e32 v3, 8, v3
	global_store_dwordx4 v[12:13], v[8:11], off
	s_nop 1
	v_mad_u64_u32 v[8:9], s[2:3], v3, s0, 0
	v_lshl_add_u64 v[8:9], v[8:9], 1, v[0:1]
	global_store_dwordx4 v[8:9], v[4:7], off
	s_and_b64 exec, exec, vcc
	s_cbranch_execz .LBB106_18
; %bb.17:
	ds_read_b128 v[2:5], v2 offset:384
	v_add3_u32 v6, s42, v54, 12
	v_mad_u64_u32 v[6:7], s[0:1], v6, s0, 0
	v_lshl_add_u64 v[0:1], v[6:7], 1, v[0:1]
	s_waitcnt lgkmcnt(0)
	global_store_dwordx4 v[0:1], v[2:5], off
.LBB106_18:
	s_endpgm
	.section	.rodata,"a",@progbits
	.p2align	6, 0x0
	.amdhsa_kernel _Z39paged_attention_ll4mi_QKV_mfma16_kernelIDF16_DF16_LN4vllm18Fp8KVCacheDataTypeE0EDF16_Li16ELi64ELi256ELb0ELi15EEvPKT_PKT0_S7_ifPKiS9_S9_iPKfiiiPfSC_PS2_PT2_iSB_SB_
		.amdhsa_group_segment_fixed_size 8192
		.amdhsa_private_segment_fixed_size 0
		.amdhsa_kernarg_size 400
		.amdhsa_user_sgpr_count 2
		.amdhsa_user_sgpr_dispatch_ptr 0
		.amdhsa_user_sgpr_queue_ptr 0
		.amdhsa_user_sgpr_kernarg_segment_ptr 1
		.amdhsa_user_sgpr_dispatch_id 0
		.amdhsa_user_sgpr_kernarg_preload_length 0
		.amdhsa_user_sgpr_kernarg_preload_offset 0
		.amdhsa_user_sgpr_private_segment_size 0
		.amdhsa_uses_dynamic_stack 0
		.amdhsa_enable_private_segment 0
		.amdhsa_system_sgpr_workgroup_id_x 1
		.amdhsa_system_sgpr_workgroup_id_y 1
		.amdhsa_system_sgpr_workgroup_id_z 1
		.amdhsa_system_sgpr_workgroup_info 0
		.amdhsa_system_vgpr_workitem_id 0
		.amdhsa_next_free_vgpr 69
		.amdhsa_next_free_sgpr 48
		.amdhsa_accum_offset 72
		.amdhsa_reserve_vcc 1
		.amdhsa_float_round_mode_32 0
		.amdhsa_float_round_mode_16_64 0
		.amdhsa_float_denorm_mode_32 3
		.amdhsa_float_denorm_mode_16_64 3
		.amdhsa_dx10_clamp 1
		.amdhsa_ieee_mode 1
		.amdhsa_fp16_overflow 0
		.amdhsa_tg_split 0
		.amdhsa_exception_fp_ieee_invalid_op 0
		.amdhsa_exception_fp_denorm_src 0
		.amdhsa_exception_fp_ieee_div_zero 0
		.amdhsa_exception_fp_ieee_overflow 0
		.amdhsa_exception_fp_ieee_underflow 0
		.amdhsa_exception_fp_ieee_inexact 0
		.amdhsa_exception_int_div_zero 0
	.end_amdhsa_kernel
	.section	.text._Z39paged_attention_ll4mi_QKV_mfma16_kernelIDF16_DF16_LN4vllm18Fp8KVCacheDataTypeE0EDF16_Li16ELi64ELi256ELb0ELi15EEvPKT_PKT0_S7_ifPKiS9_S9_iPKfiiiPfSC_PS2_PT2_iSB_SB_,"axG",@progbits,_Z39paged_attention_ll4mi_QKV_mfma16_kernelIDF16_DF16_LN4vllm18Fp8KVCacheDataTypeE0EDF16_Li16ELi64ELi256ELb0ELi15EEvPKT_PKT0_S7_ifPKiS9_S9_iPKfiiiPfSC_PS2_PT2_iSB_SB_,comdat
.Lfunc_end106:
	.size	_Z39paged_attention_ll4mi_QKV_mfma16_kernelIDF16_DF16_LN4vllm18Fp8KVCacheDataTypeE0EDF16_Li16ELi64ELi256ELb0ELi15EEvPKT_PKT0_S7_ifPKiS9_S9_iPKfiiiPfSC_PS2_PT2_iSB_SB_, .Lfunc_end106-_Z39paged_attention_ll4mi_QKV_mfma16_kernelIDF16_DF16_LN4vllm18Fp8KVCacheDataTypeE0EDF16_Li16ELi64ELi256ELb0ELi15EEvPKT_PKT0_S7_ifPKiS9_S9_iPKfiiiPfSC_PS2_PT2_iSB_SB_
                                        ; -- End function
	.section	.AMDGPU.csdata,"",@progbits
; Kernel info:
; codeLenInByte = 3860
; NumSgprs: 54
; NumVgprs: 69
; NumAgprs: 0
; TotalNumVgprs: 69
; ScratchSize: 0
; MemoryBound: 0
; FloatMode: 240
; IeeeMode: 1
; LDSByteSize: 8192 bytes/workgroup (compile time only)
; SGPRBlocks: 6
; VGPRBlocks: 8
; NumSGPRsForWavesPerEU: 54
; NumVGPRsForWavesPerEU: 69
; AccumOffset: 72
; Occupancy: 7
; WaveLimiterHint : 1
; COMPUTE_PGM_RSRC2:SCRATCH_EN: 0
; COMPUTE_PGM_RSRC2:USER_SGPR: 2
; COMPUTE_PGM_RSRC2:TRAP_HANDLER: 0
; COMPUTE_PGM_RSRC2:TGID_X_EN: 1
; COMPUTE_PGM_RSRC2:TGID_Y_EN: 1
; COMPUTE_PGM_RSRC2:TGID_Z_EN: 1
; COMPUTE_PGM_RSRC2:TIDIG_COMP_CNT: 0
; COMPUTE_PGM_RSRC3_GFX90A:ACCUM_OFFSET: 17
; COMPUTE_PGM_RSRC3_GFX90A:TG_SPLIT: 0
	.section	.text._Z39paged_attention_ll4mi_QKV_mfma16_kernelIDF16_DF16_LN4vllm18Fp8KVCacheDataTypeE0EDF16_Li16ELi64ELi256ELb0ELi16EEvPKT_PKT0_S7_ifPKiS9_S9_iPKfiiiPfSC_PS2_PT2_iSB_SB_,"axG",@progbits,_Z39paged_attention_ll4mi_QKV_mfma16_kernelIDF16_DF16_LN4vllm18Fp8KVCacheDataTypeE0EDF16_Li16ELi64ELi256ELb0ELi16EEvPKT_PKT0_S7_ifPKiS9_S9_iPKfiiiPfSC_PS2_PT2_iSB_SB_,comdat
	.protected	_Z39paged_attention_ll4mi_QKV_mfma16_kernelIDF16_DF16_LN4vllm18Fp8KVCacheDataTypeE0EDF16_Li16ELi64ELi256ELb0ELi16EEvPKT_PKT0_S7_ifPKiS9_S9_iPKfiiiPfSC_PS2_PT2_iSB_SB_ ; -- Begin function _Z39paged_attention_ll4mi_QKV_mfma16_kernelIDF16_DF16_LN4vllm18Fp8KVCacheDataTypeE0EDF16_Li16ELi64ELi256ELb0ELi16EEvPKT_PKT0_S7_ifPKiS9_S9_iPKfiiiPfSC_PS2_PT2_iSB_SB_
	.globl	_Z39paged_attention_ll4mi_QKV_mfma16_kernelIDF16_DF16_LN4vllm18Fp8KVCacheDataTypeE0EDF16_Li16ELi64ELi256ELb0ELi16EEvPKT_PKT0_S7_ifPKiS9_S9_iPKfiiiPfSC_PS2_PT2_iSB_SB_
	.p2align	8
	.type	_Z39paged_attention_ll4mi_QKV_mfma16_kernelIDF16_DF16_LN4vllm18Fp8KVCacheDataTypeE0EDF16_Li16ELi64ELi256ELb0ELi16EEvPKT_PKT0_S7_ifPKiS9_S9_iPKfiiiPfSC_PS2_PT2_iSB_SB_,@function
_Z39paged_attention_ll4mi_QKV_mfma16_kernelIDF16_DF16_LN4vllm18Fp8KVCacheDataTypeE0EDF16_Li16ELi64ELi256ELb0ELi16EEvPKT_PKT0_S7_ifPKiS9_S9_iPKfiiiPfSC_PS2_PT2_iSB_SB_: ; @_Z39paged_attention_ll4mi_QKV_mfma16_kernelIDF16_DF16_LN4vllm18Fp8KVCacheDataTypeE0EDF16_Li16ELi64ELi256ELb0ELi16EEvPKT_PKT0_S7_ifPKiS9_S9_iPKfiiiPfSC_PS2_PT2_iSB_SB_
; %bb.0:
	s_load_dwordx2 s[12:13], s[0:1], 0x30
	s_mov_b32 s28, s3
	s_mov_b64 s[6:7], 0
	s_waitcnt lgkmcnt(0)
	s_cmp_lg_u64 s[12:13], 0
	s_cselect_b64 s[14:15], -1, 0
	s_and_b64 vcc, exec, s[14:15]
	s_cbranch_vccz .LBB107_7
; %bb.1:
	s_add_i32 s8, s2, 1
	s_mov_b32 s9, 0
	s_lshl_b64 s[10:11], s[8:9], 2
	s_add_u32 s10, s12, s10
	s_mov_b32 s3, s9
	s_addc_u32 s11, s13, s11
	s_lshl_b64 s[8:9], s[2:3], 2
	s_add_u32 s8, s12, s8
	s_addc_u32 s9, s13, s9
	s_load_dword s5, s[10:11], 0x0
	s_load_dword s16, s[8:9], 0x0
	s_waitcnt lgkmcnt(0)
	s_sub_i32 s5, s5, s16
	s_cmp_eq_u32 s5, 1
	s_cselect_b64 s[8:9], -1, 0
	s_andn2_b64 vcc, exec, s[6:7]
	s_cbranch_vccnz .LBB107_3
.LBB107_2:
	s_mov_b32 s3, 0
	s_mov_b64 s[8:9], -1
.LBB107_3:
	s_andn2_b64 vcc, exec, s[8:9]
	s_cbranch_vccnz .LBB107_17
; %bb.4:
	s_load_dwordx2 s[6:7], s[0:1], 0x28
	s_lshl_b64 s[16:17], s[2:3], 2
	s_waitcnt lgkmcnt(0)
	s_add_u32 s6, s6, s16
	s_addc_u32 s7, s7, s17
	s_load_dword s40, s[6:7], 0x0
	s_lshl_b32 s18, s28, 8
	s_waitcnt lgkmcnt(0)
	s_cmp_ge_i32 s18, s40
	s_cbranch_scc1 .LBB107_17
; %bb.5:
	s_load_dwordx2 s[6:7], s[0:1], 0x20
	s_load_dword s5, s[0:1], 0x38
	s_add_i32 s8, s40, 15
	s_ashr_i32 s9, s8, 31
	v_and_b32_e32 v1, 0xcf, v0
	s_lshr_b32 s9, s9, 28
	v_add_u32_e32 v1, s18, v1
	s_add_i32 s8, s8, s9
	v_ashrrev_i32_e32 v2, 31, v1
	s_ashr_i32 s19, s8, 4
	v_lshrrev_b32_e32 v8, 28, v2
	s_add_i32 s19, s19, -1
	s_waitcnt lgkmcnt(0)
	s_mul_i32 s8, s2, s5
	s_mov_b32 s9, 0
	v_add_u32_e32 v2, v1, v8
	s_lshl_b64 s[8:9], s[8:9], 2
	v_ashrrev_i32_e32 v2, 4, v2
	v_mov_b32_e32 v9, s19
	v_cmp_gt_i32_e32 vcc, s40, v1
	s_add_u32 s6, s6, s8
	s_addc_u32 s7, s7, s9
	v_cndmask_b32_e32 v2, v9, v2, vcc
	v_ashrrev_i32_e32 v3, 31, v2
	v_lshl_add_u64 v[4:5], v[2:3], 2, s[6:7]
	v_or_b32_e32 v2, 16, v1
	v_add_u32_e32 v3, v2, v8
	v_ashrrev_i32_e32 v3, 4, v3
	v_cmp_gt_i32_e32 vcc, s40, v2
	s_load_dwordx4 s[8:11], s[0:1], 0x8
	s_nop 0
	v_cndmask_b32_e32 v2, v9, v3, vcc
	v_ashrrev_i32_e32 v3, 31, v2
	v_lshl_add_u64 v[6:7], v[2:3], 2, s[6:7]
	v_or_b32_e32 v2, 32, v1
	v_add_u32_e32 v3, v2, v8
	v_ashrrev_i32_e32 v3, 4, v3
	v_cmp_gt_i32_e32 vcc, s40, v2
	v_or_b32_e32 v1, 48, v1
	s_nop 0
	v_cndmask_b32_e32 v2, v9, v3, vcc
	v_ashrrev_i32_e32 v3, 31, v2
	v_lshl_add_u64 v[12:13], v[2:3], 2, s[6:7]
	v_add_u32_e32 v2, v1, v8
	v_ashrrev_i32_e32 v2, 4, v2
	v_cmp_gt_i32_e32 vcc, s40, v1
	s_nop 1
	v_cndmask_b32_e32 v2, v9, v2, vcc
	v_ashrrev_i32_e32 v3, 31, v2
	v_lshl_add_u64 v[14:15], v[2:3], 2, s[6:7]
	global_load_dword v2, v[4:5], off
	global_load_dword v10, v[6:7], off
	;; [unrolled: 1-line block ×4, first 2 shown]
	s_andn2_b64 vcc, exec, s[14:15]
	s_cbranch_vccnz .LBB107_8
; %bb.6:
	s_add_u32 s12, s12, s16
	s_addc_u32 s13, s13, s17
	s_load_dword s5, s[12:13], 0x0
	s_branch .LBB107_9
.LBB107_7:
	s_mov_b64 s[8:9], 0
	s_branch .LBB107_2
.LBB107_8:
	s_mov_b32 s5, s2
.LBB107_9:
	s_load_dwordx4 s[44:47], s[0:1], 0x48
	v_and_b32_e32 v56, 15, v0
	s_movk_i32 s12, 0x100
	v_lshlrev_b32_e32 v3, 3, v56
	v_cmp_gt_u32_e32 vcc, s12, v0
	v_cmp_gt_u32_e64 s[30:31], 8, v56
	v_lshrrev_b32_e32 v53, 6, v0
	v_and_b32_e32 v55, 63, v0
	v_bfe_u32 v1, v0, 4, 2
	s_lshl_b32 s29, s4, 4
	s_and_b64 s[14:15], vcc, s[30:31]
	v_lshlrev_b32_e32 v34, 1, v3
	s_and_saveexec_b64 s[12:13], s[14:15]
	s_cbranch_execz .LBB107_11
; %bb.10:
	s_load_dwordx2 s[14:15], s[0:1], 0x0
	s_waitcnt lgkmcnt(0)
	s_ashr_i32 s16, s44, 31
	s_mul_hi_u32 s17, s5, s44
	s_mul_i32 s16, s5, s16
	s_add_i32 s17, s17, s16
	s_mul_i32 s16, s5, s44
	v_lshl_or_b32 v3, v53, 2, v1
	s_lshl_b64 s[16:17], s[16:17], 1
	s_add_u32 s14, s14, s16
	v_add_lshl_u32 v4, v3, s29, 6
	s_addc_u32 s15, s15, s17
	v_ashrrev_i32_e32 v5, 31, v4
	v_lshl_add_u64 v[4:5], v[4:5], 1, s[14:15]
	v_mov_b32_e32 v35, 0
	v_lshl_add_u64 v[4:5], v[4:5], 0, v[34:35]
	global_load_dwordx4 v[4:7], v[4:5], off
	v_and_b32_e32 v11, 3, v0
	v_lshlrev_b32_e32 v12, 9, v56
	v_lshlrev_b32_e32 v3, 5, v3
	v_lshlrev_b32_e32 v11, 9, v11
	v_and_b32_e32 v12, 0x1800, v12
	v_or3_b32 v3, v12, v11, v3
	s_waitcnt vmcnt(0)
	ds_write_b128 v3, v[4:7]
.LBB107_11:
	s_or_b64 exec, exec, s[12:13]
	s_waitcnt lgkmcnt(0)
	s_mul_i32 s4, s4, s46
	s_mov_b32 s5, 0
	s_lshl_b64 s[4:5], s[4:5], 1
	s_add_u32 s8, s8, s4
	v_lshlrev_b32_e32 v52, 4, v0
	s_addc_u32 s9, s9, s5
	v_and_b32_e32 v6, 0xf0, v52
	v_mov_b32_e32 v7, 0
	v_lshl_add_u64 v[12:13], s[8:9], 0, v[6:7]
	s_waitcnt vmcnt(3)
	v_mad_i64_i32 v[2:3], s[8:9], v2, s45, 0
	v_lshl_add_u64 v[2:3], v[2:3], 1, v[12:13]
	v_and_b32_e32 v6, 0x300, v52
	s_waitcnt vmcnt(2)
	v_mad_i64_i32 v[20:21], s[8:9], v10, s45, 0
	s_waitcnt vmcnt(1)
	v_mad_i64_i32 v[24:25], s[8:9], v9, s45, 0
	v_lshl_add_u64 v[14:15], v[2:3], 0, v[6:7]
	v_lshlrev_b32_e32 v54, 5, v56
	v_lshl_add_u64 v[20:21], v[20:21], 1, v[12:13]
	v_lshl_add_u64 v[24:25], v[24:25], 1, v[12:13]
	s_load_dword s33, s[0:1], 0x98
	s_load_dword s12, s[0:1], 0x1c
	s_waitcnt lgkmcnt(0)
	s_barrier
	global_load_dwordx4 v[2:5], v[14:15], off
	s_waitcnt vmcnt(1)
	v_mad_i64_i32 v[26:27], s[8:9], v8, s45, 0
	v_lshl_or_b32 v35, v1, 9, v54
	v_lshl_add_u64 v[32:33], v[20:21], 0, v[6:7]
	v_lshl_add_u64 v[30:31], v[24:25], 0, v[6:7]
	ds_read_b128 v[16:19], v35
	ds_read_b128 v[8:11], v35 offset:2048
	global_load_dwordx4 v[20:23], v[32:33], off
	v_lshl_add_u64 v[12:13], v[26:27], 1, v[12:13]
	global_load_dwordx4 v[24:27], v[30:31], off
	v_lshl_add_u64 v[28:29], v[12:13], 0, v[6:7]
	global_load_dwordx4 v[12:15], v[14:15], off offset:1024
	s_nop 0
	global_load_dwordx4 v[40:43], v[28:29], off
	global_load_dwordx4 v[44:47], v[32:33], off offset:1024
	global_load_dwordx4 v[62:65], v[28:29], off offset:1024
	v_and_or_b32 v6, v0, 48, s18
	global_load_dwordx4 v[30:33], v[30:31], off offset:1024
	v_mov_b32_e32 v57, s19
	v_cmp_gt_i32_e32 vcc, s40, v6
	v_or_b32_e32 v28, 0x80, v6
	v_ashrrev_i32_e32 v29, 4, v28
	s_add_u32 s4, s10, s4
	s_addc_u32 s5, s11, s5
	s_mov_b32 s42, 0xff7fffff
	v_lshlrev_b32_e32 v56, 2, v56
	s_waitcnt vmcnt(3) lgkmcnt(1)
	v_mfma_f32_16x16x16_f16 v[66:69], v[40:41], v[16:17], 0
	v_mfma_f32_16x16x16_f16 v[36:39], v[2:3], v[16:17], 0
	v_ashrrev_i32_e32 v2, 4, v6
	v_mfma_f32_16x16x16_f16 v[48:51], v[20:21], v[16:17], 0
	v_or_b32_e32 v20, 64, v6
	v_ashrrev_i32_e32 v21, 4, v20
	v_or_b32_e32 v6, 0xc0, v6
	v_mfma_f32_16x16x16_f16 v[58:61], v[24:25], v[16:17], 0
	v_cndmask_b32_e32 v16, v57, v2, vcc
	v_ashrrev_i32_e32 v17, 31, v16
	v_lshl_add_u64 v[16:17], v[16:17], 2, s[6:7]
	v_mfma_f32_16x16x16_f16 v[2:5], v[4:5], v[18:19], v[36:39]
	v_cmp_gt_i32_e32 vcc, s40, v20
	s_nop 1
	global_load_dword v36, v[16:17], off
	v_cndmask_b32_e32 v24, v57, v21, vcc
	v_ashrrev_i32_e32 v25, 31, v24
	v_lshl_add_u64 v[16:17], v[24:25], 2, s[6:7]
	global_load_dword v37, v[16:17], off
	v_cmp_gt_i32_e32 vcc, s40, v28
	v_ashrrev_i32_e32 v38, 4, v6
	s_waitcnt lgkmcnt(0)
	v_mfma_f32_16x16x16_f16 v[2:5], v[12:13], v[8:9], v[2:5]
	v_cndmask_b32_e32 v12, v57, v29, vcc
	v_cmp_gt_i32_e32 vcc, s40, v6
	v_ashrrev_i32_e32 v13, 31, v12
	v_lshl_add_u64 v[12:13], v[12:13], 2, s[6:7]
	v_cndmask_b32_e32 v28, v57, v38, vcc
	v_ashrrev_i32_e32 v29, 31, v28
	v_mfma_f32_16x16x16_f16 v[24:27], v[26:27], v[18:19], v[58:61]
	v_lshl_add_u64 v[28:29], v[28:29], 2, s[6:7]
	global_load_dword v57, v[12:13], off
	s_nop 0
	global_load_dword v58, v[28:29], off
	v_lshl_or_b32 v6, v53, 9, v54
	v_mfma_f32_16x16x16_f16 v[20:23], v[22:23], v[18:19], v[48:51]
	v_lshl_add_u64 v[12:13], s[4:5], 0, v[6:7]
	v_mfma_f32_16x16x16_f16 v[16:19], v[42:43], v[18:19], v[66:69]
	s_waitcnt vmcnt(5)
	v_mfma_f32_16x16x16_f16 v[16:19], v[62:63], v[8:9], v[16:19]
	s_waitcnt vmcnt(4)
	v_mfma_f32_16x16x16_f16 v[24:27], v[30:31], v[8:9], v[24:27]
	v_mfma_f32_16x16x16_f16 v[28:31], v[14:15], v[10:11], v[2:5]
	;; [unrolled: 1-line block ×3, first 2 shown]
	s_waitcnt vmcnt(3)
	s_nop 0
	v_mad_i64_i32 v[2:3], s[4:5], v36, s45, 0
	v_lshl_add_u64 v[14:15], v[2:3], 1, v[12:13]
	global_load_dwordx4 v[6:9], v[14:15], off
	global_load_dwordx4 v[2:5], v[14:15], off offset:16
	v_mfma_f32_16x16x16_f16 v[14:17], v[64:65], v[10:11], v[16:19]
	s_waitcnt vmcnt(4)
	v_mad_i64_i32 v[36:37], s[4:5], v37, s45, 0
	v_lshl_add_u64 v[38:39], v[36:37], 1, v[12:13]
	v_mfma_f32_16x16x16_f16 v[20:23], v[46:47], v[10:11], v[20:23]
	v_pk_mul_f32 v[48:49], s[12:13], v[30:31] op_sel_hi:[0,1]
	s_nop 1
	v_pk_mul_f32 v[42:43], s[12:13], v[14:15] op_sel_hi:[0,1]
	v_and_b32_e32 v14, 0xc0, v0
	v_add_u32_e32 v14, s18, v14
	v_lshl_or_b32 v14, v1, 2, v14
	v_pk_mul_f32 v[36:37], s[12:13], v[16:17] op_sel_hi:[0,1]
	v_or_b32_e32 v17, 1, v14
	v_mfma_f32_16x16x16_f16 v[24:27], v[32:33], v[10:11], v[24:27]
	v_pk_mul_f32 v[10:11], s[12:13], v[28:29] op_sel_hi:[0,1]
	v_mov_b32_e32 v15, 0xff7fffff
	v_cmp_gt_i32_e64 s[4:5], s40, v14
	v_cmp_gt_i32_e64 s[34:35], s40, v17
	v_or_b32_e32 v18, 3, v14
	v_cndmask_b32_e64 v16, v15, v10, s[4:5]
	v_cndmask_b32_e64 v17, v15, v11, s[34:35]
	v_max3_f32 v16, v16, s42, v17
	v_or_b32_e32 v17, 2, v14
	v_cmp_gt_i32_e64 s[36:37], s40, v17
	v_cmp_gt_i32_e64 s[38:39], s40, v18
	v_pk_mul_f32 v[40:41], s[12:13], v[20:21] op_sel_hi:[0,1]
	v_cndmask_b32_e64 v17, v15, v48, s[36:37]
	v_cndmask_b32_e64 v18, v15, v49, s[38:39]
	v_max3_f32 v16, v16, v17, v18
	v_or_b32_e32 v17, 16, v14
	v_or_b32_e32 v18, 17, v14
	v_cmp_gt_i32_e64 s[24:25], s40, v17
	v_cmp_gt_i32_e64 s[26:27], s40, v18
	v_pk_mul_f32 v[50:51], s[12:13], v[22:23] op_sel_hi:[0,1]
	v_cndmask_b32_e64 v17, v15, v40, s[24:25]
	v_cndmask_b32_e64 v18, v15, v41, s[26:27]
	v_max3_f32 v16, v16, v17, v18
	v_or_b32_e32 v17, 18, v14
	;; [unrolled: 8-line block ×4, first 2 shown]
	v_or_b32_e32 v18, 35, v14
	v_cmp_gt_i32_e64 s[12:13], s40, v17
	v_cmp_gt_i32_e64 s[14:15], s40, v18
	global_load_dwordx4 v[30:33], v[38:39], off
	global_load_dwordx4 v[26:29], v[38:39], off offset:16
	v_cndmask_b32_e64 v17, v15, v44, s[12:13]
	v_cndmask_b32_e64 v18, v15, v45, s[14:15]
	v_max3_f32 v16, v16, v17, v18
	v_or_b32_e32 v17, 48, v14
	v_or_b32_e32 v18, 49, v14
	v_cmp_gt_i32_e64 s[8:9], s40, v17
	v_cmp_gt_i32_e64 s[10:11], s40, v18
	s_nop 0
	v_cndmask_b32_e64 v17, v15, v42, s[8:9]
	v_cndmask_b32_e64 v18, v15, v43, s[10:11]
	v_max3_f32 v16, v16, v17, v18
	v_or_b32_e32 v17, 50, v14
	v_or_b32_e32 v14, 51, v14
	v_cmp_gt_i32_e32 vcc, s40, v17
	v_cmp_gt_i32_e64 s[6:7], s40, v14
	s_nop 0
	v_cndmask_b32_e32 v17, v15, v36, vcc
	v_cndmask_b32_e64 v14, v15, v37, s[6:7]
	v_max3_f32 v16, v16, v17, v14
	v_mbcnt_lo_u32_b32 v14, -1, 0
	v_mbcnt_hi_u32_b32 v17, -1, v14
	v_and_b32_e32 v14, 64, v17
	v_add_u32_e32 v18, 64, v14
	v_xor_b32_e32 v14, 32, v17
	v_cmp_lt_i32_e64 s[40:41], v14, v18
	s_nop 1
	v_cndmask_b32_e64 v14, v17, v14, s[40:41]
	v_lshlrev_b32_e32 v59, 2, v14
	ds_bpermute_b32 v19, v59, v16
	s_waitcnt vmcnt(5)
	v_mad_i64_i32 v[14:15], s[40:41], v57, s45, 0
	v_lshl_add_u64 v[14:15], v[14:15], 1, v[12:13]
	s_waitcnt lgkmcnt(0)
	v_max_f32_e32 v19, v19, v19
	v_max_f32_e32 v16, v16, v19
	v_xor_b32_e32 v19, 16, v17
	v_cmp_lt_i32_e64 s[40:41], v19, v18
	s_nop 1
	v_cndmask_b32_e64 v17, v17, v19, s[40:41]
	v_lshlrev_b32_e32 v60, 2, v17
	ds_bpermute_b32 v17, v60, v16
	global_load_dwordx4 v[22:25], v[14:15], off
	global_load_dwordx4 v[18:21], v[14:15], off offset:16
	s_waitcnt vmcnt(6)
	v_mad_i64_i32 v[14:15], s[40:41], v58, s45, 0
	v_lshl_add_u64 v[12:13], v[14:15], 1, v[12:13]
	s_waitcnt lgkmcnt(0)
	v_max_f32_e32 v14, v17, v17
	v_max_f32_e32 v57, v16, v14
	v_sub_f32_e32 v10, v10, v57
	v_mul_f32_e32 v10, 0x3fb8aa3b, v10
	v_exp_f32_e32 v38, v10
	v_sub_f32_e32 v10, v11, v57
	v_mul_f32_e32 v10, 0x3fb8aa3b, v10
	v_exp_f32_e32 v39, v10
	global_load_dwordx4 v[14:17], v[12:13], off
	s_nop 0
	global_load_dwordx4 v[10:13], v[12:13], off offset:16
	v_sub_f32_e32 v48, v48, v57
	v_mul_f32_e32 v48, 0x3fb8aa3b, v48
	v_sub_f32_e32 v49, v49, v57
	v_exp_f32_e32 v48, v48
	v_mul_f32_e32 v49, 0x3fb8aa3b, v49
	v_sub_f32_e32 v40, v40, v57
	v_exp_f32_e32 v49, v49
	v_mul_f32_e32 v40, 0x3fb8aa3b, v40
	v_sub_f32_e32 v41, v41, v57
	v_cndmask_b32_e64 v38, 0, v38, s[4:5]
	v_exp_f32_e32 v40, v40
	v_mul_f32_e32 v41, 0x3fb8aa3b, v41
	v_sub_f32_e32 v50, v50, v57
	v_add_f32_e32 v58, 0, v38
	v_cndmask_b32_e64 v39, 0, v39, s[34:35]
	v_exp_f32_e32 v41, v41
	v_mul_f32_e32 v50, 0x3fb8aa3b, v50
	v_sub_f32_e32 v51, v51, v57
	v_add_f32_e32 v58, v58, v39
	;; [unrolled: 5-line block ×10, first 2 shown]
	v_cndmask_b32_e64 v44, 0, v44, s[12:13]
	v_exp_f32_e32 v36, v36
	v_mul_f32_e32 v37, 0x3fb8aa3b, v37
	v_add_f32_e32 v58, v58, v44
	v_cndmask_b32_e64 v45, 0, v45, s[14:15]
	v_exp_f32_e32 v37, v37
	v_add_f32_e32 v58, v58, v45
	v_cndmask_b32_e64 v42, 0, v42, s[8:9]
	v_add_f32_e32 v58, v58, v42
	v_cndmask_b32_e64 v43, 0, v43, s[10:11]
	v_add_f32_e32 v58, v58, v43
	v_cndmask_b32_e32 v36, 0, v36, vcc
	v_add_f32_e32 v58, v58, v36
	v_cndmask_b32_e64 v37, 0, v37, s[6:7]
	v_add_f32_e32 v58, v58, v37
	ds_bpermute_b32 v59, v59, v58
	v_cmp_gt_u32_e32 vcc, 16, v55
	s_waitcnt lgkmcnt(0)
	s_barrier
	v_add_f32_e32 v58, v58, v59
	ds_bpermute_b32 v59, v60, v58
	s_and_saveexec_b64 s[4:5], vcc
	s_cbranch_execz .LBB107_13
; %bb.12:
	s_waitcnt lgkmcnt(0)
	v_add_f32_e32 v55, v58, v59
	v_lshl_or_b32 v58, v53, 6, v56
	ds_write2st64_b32 v58, v57, v55 offset1:1
.LBB107_13:
	s_or_b64 exec, exec, s[4:5]
	s_load_dword s6, s[0:1], 0x94
	s_waitcnt lgkmcnt(0)
	s_barrier
	ds_read2_b32 v[58:59], v56 offset1:16
	ds_read2_b32 v[60:61], v56 offset0:32 offset1:48
	ds_read2_b32 v[62:63], v56 offset0:64 offset1:80
	s_lshl_b32 s7, s33, 4
	s_waitcnt lgkmcnt(2)
	v_max3_f32 v55, v58, s42, v59
	s_waitcnt lgkmcnt(1)
	v_max3_f32 v55, v55, v60, v61
	v_sub_f32_e32 v57, v58, v55
	v_sub_f32_e32 v58, v59, v55
	v_mul_f32_e32 v58, 0x3fb8aa3b, v58
	v_mul_f32_e32 v57, 0x3fb8aa3b, v57
	v_exp_f32_e32 v64, v58
	v_sub_f32_e32 v58, v60, v55
	v_exp_f32_e32 v57, v57
	v_mul_f32_e32 v58, 0x3fb8aa3b, v58
	v_exp_f32_e32 v60, v58
	ds_read2_b32 v[58:59], v56 offset0:96 offset1:112
	v_sub_f32_e32 v56, v61, v55
	v_mul_f32_e32 v56, 0x3fb8aa3b, v56
	v_exp_f32_e32 v61, v56
	s_waitcnt lgkmcnt(1)
	v_fma_f32 v56, v57, v62, 0
	v_fmac_f32_e32 v56, v64, v63
	s_waitcnt lgkmcnt(0)
	v_fmac_f32_e32 v56, v60, v58
	v_fmac_f32_e32 v56, v61, v59
	v_add_f32_e32 v58, 0x358637bd, v56
	v_div_scale_f32 v59, s[4:5], v58, v58, 1.0
	v_rcp_f32_e32 v62, v59
	s_barrier
	v_fma_f32 v63, -v59, v62, 1.0
	v_fmac_f32_e32 v62, v63, v62
	v_div_scale_f32 v63, vcc, 1.0, v58, 1.0
	v_mul_f32_e32 v65, v63, v62
	v_fma_f32 v66, -v59, v65, v63
	v_fmac_f32_e32 v65, v66, v62
	v_fma_f32 v59, -v59, v65, v63
	v_div_fmas_f32 v59, v59, v62, v65
	v_cmp_eq_u32_e32 vcc, 1, v53
	v_div_fixup_f32 v58, v59, v58, 1.0
	s_nop 0
	v_cndmask_b32_e32 v57, v57, v64, vcc
	v_cmp_eq_u32_e32 vcc, 2, v53
	s_nop 1
	v_cndmask_b32_e32 v57, v57, v60, vcc
	v_cmp_eq_u32_e32 vcc, 3, v53
	s_nop 1
	v_cndmask_b32_e32 v57, v57, v61, vcc
	v_mul_f32_e32 v58, v57, v58
	v_pk_mul_f32 v[38:39], v[58:59], v[38:39] op_sel_hi:[0,1]
	v_cvt_f16_f32_e32 v38, v38
	v_cvt_f16_f32_e32 v39, v39
	v_pk_mul_f32 v[48:49], v[58:59], v[48:49] op_sel_hi:[0,1]
	v_cvt_f16_f32_e32 v57, v48
	v_cvt_f16_f32_e32 v49, v49
	v_pack_b32_f16 v48, v38, v39
	v_pk_mul_f32 v[38:39], v[58:59], v[50:51] op_sel_hi:[0,1]
	v_pk_mul_f32 v[40:41], v[58:59], v[40:41] op_sel_hi:[0,1]
	v_cvt_f16_f32_e32 v40, v40
	v_cvt_f16_f32_e32 v41, v41
	;; [unrolled: 1-line block ×4, first 2 shown]
	v_pack_b32_f16 v49, v57, v49
	v_lshlrev_b32_e32 v57, 3, v1
	v_lshlrev_b32_e32 v38, 11, v53
	v_or3_b32 v38, v38, v54, v57
	v_pack_b32_f16 v40, v40, v41
	v_pack_b32_f16 v41, v50, v39
	ds_write2st64_b64 v38, v[48:49], v[40:41] offset1:1
	v_pk_mul_f32 v[40:41], v[58:59], v[44:45] op_sel_hi:[0,1]
	v_pk_mul_f32 v[44:45], v[58:59], v[46:47] op_sel_hi:[0,1]
	v_cvt_f16_f32_e32 v39, v44
	v_cvt_f16_f32_e32 v44, v45
	;; [unrolled: 1-line block ×4, first 2 shown]
	v_pk_mul_f32 v[36:37], v[58:59], v[36:37] op_sel_hi:[0,1]
	v_pk_mul_f32 v[40:41], v[58:59], v[42:43] op_sel_hi:[0,1]
	v_cvt_f16_f32_e32 v40, v40
	v_cvt_f16_f32_e32 v41, v41
	;; [unrolled: 1-line block ×4, first 2 shown]
	v_pack_b32_f16 v36, v39, v44
	v_pack_b32_f16 v37, v45, v46
	v_pack_b32_f16 v40, v40, v41
	v_pack_b32_f16 v41, v42, v43
	v_cmp_gt_u32_e32 vcc, 16, v0
	ds_write2st64_b64 v38, v[36:37], v[40:41] offset0:2 offset1:3
	s_and_saveexec_b64 s[4:5], vcc
	s_cbranch_execz .LBB107_15
; %bb.14:
	v_or_b32_e32 v36, s29, v0
	v_mov_b32_e32 v37, 0
	v_mov_b32_e32 v39, s7
	v_mad_u64_u32 v[40:41], s[12:13], s2, v39, v[36:37]
	v_mov_b32_e32 v36, s28
	s_load_dwordx4 s[8:11], s[0:1], 0x58
	s_mul_i32 s3, s3, s7
	v_mad_u64_u32 v[36:37], s[12:13], v40, s6, v[36:37]
	v_add_u32_e32 v39, s3, v41
	v_mov_b32_e32 v40, v37
	v_mad_u64_u32 v[40:41], s[12:13], v39, s6, v[40:41]
	v_mov_b32_e32 v37, v40
	v_lshlrev_b64 v[36:37], 2, v[36:37]
	s_waitcnt lgkmcnt(0)
	v_lshl_add_u64 v[40:41], s[10:11], 0, v[36:37]
	v_lshl_add_u64 v[36:37], s[8:9], 0, v[36:37]
	global_store_dword v[40:41], v55, off
	global_store_dword v[36:37], v56, off
.LBB107_15:
	s_or_b64 exec, exec, s[4:5]
	s_waitcnt lgkmcnt(0)
	s_barrier
	ds_read_b128 v[40:43], v35
	ds_read_b128 v[44:47], v35 offset:16
	s_waitcnt vmcnt(7) lgkmcnt(1)
	v_mfma_f32_16x16x16_f16 v[48:51], v[6:7], v[40:41], 0
	v_cmp_gt_u32_e32 vcc, 64, v0
	s_mov_b32 s3, 0
	s_and_b64 s[4:5], vcc, s[30:31]
	v_mfma_f32_16x16x16_f16 v[6:9], v[8:9], v[42:43], v[48:51]
	s_waitcnt vmcnt(6) lgkmcnt(0)
	v_mfma_f32_16x16x16_f16 v[6:9], v[2:3], v[44:45], v[6:9]
	v_mfma_f32_16x16x16_f16 v[2:5], v[4:5], v[46:47], v[6:9]
	s_nop 5
	ds_read_b128 v[6:9], v35 offset:2048
	ds_read_b128 v[40:43], v35 offset:2064
	s_waitcnt vmcnt(5) lgkmcnt(1)
	v_mfma_f32_16x16x16_f16 v[2:5], v[30:31], v[6:7], v[2:5]
	v_mfma_f32_16x16x16_f16 v[2:5], v[32:33], v[8:9], v[2:5]
	s_waitcnt vmcnt(4) lgkmcnt(0)
	v_mfma_f32_16x16x16_f16 v[2:5], v[26:27], v[40:41], v[2:5]
	v_mfma_f32_16x16x16_f16 v[2:5], v[28:29], v[42:43], v[2:5]
	ds_read_b128 v[6:9], v35 offset:4096
	ds_read_b128 v[26:29], v35 offset:4112
	s_waitcnt vmcnt(3) lgkmcnt(1)
	v_mfma_f32_16x16x16_f16 v[2:5], v[22:23], v[6:7], v[2:5]
	v_mfma_f32_16x16x16_f16 v[2:5], v[24:25], v[8:9], v[2:5]
	s_waitcnt vmcnt(2) lgkmcnt(0)
	v_mfma_f32_16x16x16_f16 v[2:5], v[18:19], v[26:27], v[2:5]
	v_mfma_f32_16x16x16_f16 v[2:5], v[20:21], v[28:29], v[2:5]
	ds_read_b128 v[6:9], v35 offset:6144
	ds_read_b128 v[18:21], v35 offset:6160
	v_mov_b32_e32 v35, 0
	s_waitcnt vmcnt(1) lgkmcnt(0)
	v_mfma_f32_16x16x16_f16 v[2:5], v[14:15], v[6:7], v[2:5]
	s_barrier
	v_mfma_f32_16x16x16_f16 v[2:5], v[16:17], v[8:9], v[2:5]
	s_waitcnt vmcnt(0)
	v_mfma_f32_16x16x16_f16 v[2:5], v[10:11], v[18:19], v[2:5]
	v_mfma_f32_16x16x16_f16 v[2:5], v[12:13], v[20:21], v[2:5]
	s_nop 6
	v_cvt_f16_f32_e32 v2, v2
	v_cvt_f16_f32_e32 v3, v3
	;; [unrolled: 1-line block ×4, first 2 shown]
	v_pack_b32_f16 v2, v2, v3
	v_pack_b32_f16 v3, v4, v5
	ds_write_b64 v38, v[2:3]
	s_waitcnt lgkmcnt(0)
	s_barrier
	s_and_saveexec_b64 s[8:9], s[4:5]
	s_cbranch_execz .LBB107_17
; %bb.16:
	s_load_dwordx2 s[0:1], s[0:1], 0x68
	s_lshl_b32 s6, s6, 6
	s_mul_i32 s2, s7, s2
	s_mul_hi_u32 s5, s2, s6
	s_mul_i32 s4, s2, s6
	s_lshl_b64 s[4:5], s[4:5], 1
	s_waitcnt lgkmcnt(0)
	s_add_u32 s4, s0, s4
	s_addc_u32 s5, s1, s5
	s_lshl_b32 s2, s28, 6
	v_lshlrev_b32_e32 v0, 10, v0
	s_lshl_b64 s[0:1], s[2:3], 1
	v_and_b32_e32 v0, 0x1800, v0
	v_lshlrev_b32_e32 v2, 5, v1
	v_and_b32_e32 v3, 16, v52
	s_add_u32 s0, s4, s0
	v_or3_b32 v0, v0, v2, v3
	s_addc_u32 s1, s5, s1
	v_or_b32_e32 v20, s29, v1
	ds_read_b128 v[2:5], v0
	ds_read_b128 v[6:9], v0 offset:128
	ds_read_b128 v[10:13], v0 offset:256
	ds_read_b128 v[14:17], v0 offset:384
	v_lshl_add_u64 v[18:19], s[0:1], 0, v[34:35]
	v_mad_u64_u32 v[0:1], s[0:1], v20, s6, 0
	v_lshl_add_u64 v[0:1], v[0:1], 1, v[18:19]
	s_waitcnt lgkmcnt(3)
	global_store_dwordx4 v[0:1], v[2:5], off
	v_or_b32_e32 v0, 4, v20
	v_mad_u64_u32 v[0:1], s[0:1], v0, s6, 0
	v_lshl_add_u64 v[0:1], v[0:1], 1, v[18:19]
	s_waitcnt lgkmcnt(2)
	global_store_dwordx4 v[0:1], v[6:9], off
	v_or_b32_e32 v0, 8, v20
	;; [unrolled: 5-line block ×3, first 2 shown]
	v_mad_u64_u32 v[0:1], s[0:1], v0, s6, 0
	v_lshl_add_u64 v[0:1], v[0:1], 1, v[18:19]
	s_waitcnt lgkmcnt(0)
	global_store_dwordx4 v[0:1], v[14:17], off
.LBB107_17:
	s_endpgm
	.section	.rodata,"a",@progbits
	.p2align	6, 0x0
	.amdhsa_kernel _Z39paged_attention_ll4mi_QKV_mfma16_kernelIDF16_DF16_LN4vllm18Fp8KVCacheDataTypeE0EDF16_Li16ELi64ELi256ELb0ELi16EEvPKT_PKT0_S7_ifPKiS9_S9_iPKfiiiPfSC_PS2_PT2_iSB_SB_
		.amdhsa_group_segment_fixed_size 8192
		.amdhsa_private_segment_fixed_size 0
		.amdhsa_kernarg_size 400
		.amdhsa_user_sgpr_count 2
		.amdhsa_user_sgpr_dispatch_ptr 0
		.amdhsa_user_sgpr_queue_ptr 0
		.amdhsa_user_sgpr_kernarg_segment_ptr 1
		.amdhsa_user_sgpr_dispatch_id 0
		.amdhsa_user_sgpr_kernarg_preload_length 0
		.amdhsa_user_sgpr_kernarg_preload_offset 0
		.amdhsa_user_sgpr_private_segment_size 0
		.amdhsa_uses_dynamic_stack 0
		.amdhsa_enable_private_segment 0
		.amdhsa_system_sgpr_workgroup_id_x 1
		.amdhsa_system_sgpr_workgroup_id_y 1
		.amdhsa_system_sgpr_workgroup_id_z 1
		.amdhsa_system_sgpr_workgroup_info 0
		.amdhsa_system_vgpr_workitem_id 0
		.amdhsa_next_free_vgpr 70
		.amdhsa_next_free_sgpr 48
		.amdhsa_accum_offset 72
		.amdhsa_reserve_vcc 1
		.amdhsa_float_round_mode_32 0
		.amdhsa_float_round_mode_16_64 0
		.amdhsa_float_denorm_mode_32 3
		.amdhsa_float_denorm_mode_16_64 3
		.amdhsa_dx10_clamp 1
		.amdhsa_ieee_mode 1
		.amdhsa_fp16_overflow 0
		.amdhsa_tg_split 0
		.amdhsa_exception_fp_ieee_invalid_op 0
		.amdhsa_exception_fp_denorm_src 0
		.amdhsa_exception_fp_ieee_div_zero 0
		.amdhsa_exception_fp_ieee_overflow 0
		.amdhsa_exception_fp_ieee_underflow 0
		.amdhsa_exception_fp_ieee_inexact 0
		.amdhsa_exception_int_div_zero 0
	.end_amdhsa_kernel
	.section	.text._Z39paged_attention_ll4mi_QKV_mfma16_kernelIDF16_DF16_LN4vllm18Fp8KVCacheDataTypeE0EDF16_Li16ELi64ELi256ELb0ELi16EEvPKT_PKT0_S7_ifPKiS9_S9_iPKfiiiPfSC_PS2_PT2_iSB_SB_,"axG",@progbits,_Z39paged_attention_ll4mi_QKV_mfma16_kernelIDF16_DF16_LN4vllm18Fp8KVCacheDataTypeE0EDF16_Li16ELi64ELi256ELb0ELi16EEvPKT_PKT0_S7_ifPKiS9_S9_iPKfiiiPfSC_PS2_PT2_iSB_SB_,comdat
.Lfunc_end107:
	.size	_Z39paged_attention_ll4mi_QKV_mfma16_kernelIDF16_DF16_LN4vllm18Fp8KVCacheDataTypeE0EDF16_Li16ELi64ELi256ELb0ELi16EEvPKT_PKT0_S7_ifPKiS9_S9_iPKfiiiPfSC_PS2_PT2_iSB_SB_, .Lfunc_end107-_Z39paged_attention_ll4mi_QKV_mfma16_kernelIDF16_DF16_LN4vllm18Fp8KVCacheDataTypeE0EDF16_Li16ELi64ELi256ELb0ELi16EEvPKT_PKT0_S7_ifPKiS9_S9_iPKfiiiPfSC_PS2_PT2_iSB_SB_
                                        ; -- End function
	.section	.AMDGPU.csdata,"",@progbits
; Kernel info:
; codeLenInByte = 3796
; NumSgprs: 54
; NumVgprs: 70
; NumAgprs: 0
; TotalNumVgprs: 70
; ScratchSize: 0
; MemoryBound: 0
; FloatMode: 240
; IeeeMode: 1
; LDSByteSize: 8192 bytes/workgroup (compile time only)
; SGPRBlocks: 6
; VGPRBlocks: 8
; NumSGPRsForWavesPerEU: 54
; NumVGPRsForWavesPerEU: 70
; AccumOffset: 72
; Occupancy: 7
; WaveLimiterHint : 1
; COMPUTE_PGM_RSRC2:SCRATCH_EN: 0
; COMPUTE_PGM_RSRC2:USER_SGPR: 2
; COMPUTE_PGM_RSRC2:TRAP_HANDLER: 0
; COMPUTE_PGM_RSRC2:TGID_X_EN: 1
; COMPUTE_PGM_RSRC2:TGID_Y_EN: 1
; COMPUTE_PGM_RSRC2:TGID_Z_EN: 1
; COMPUTE_PGM_RSRC2:TIDIG_COMP_CNT: 0
; COMPUTE_PGM_RSRC3_GFX90A:ACCUM_OFFSET: 17
; COMPUTE_PGM_RSRC3_GFX90A:TG_SPLIT: 0
	.section	.text._Z39paged_attention_ll4mi_QKV_mfma16_kernelIDF16_DF16_LN4vllm18Fp8KVCacheDataTypeE0EDF16_Li16ELi64ELi256ELb0ELi1EEvPKT_PKT0_S7_ifPKiS9_S9_iPKfiiiPfSC_PS2_PT2_iSB_SB_,"axG",@progbits,_Z39paged_attention_ll4mi_QKV_mfma16_kernelIDF16_DF16_LN4vllm18Fp8KVCacheDataTypeE0EDF16_Li16ELi64ELi256ELb0ELi1EEvPKT_PKT0_S7_ifPKiS9_S9_iPKfiiiPfSC_PS2_PT2_iSB_SB_,comdat
	.protected	_Z39paged_attention_ll4mi_QKV_mfma16_kernelIDF16_DF16_LN4vllm18Fp8KVCacheDataTypeE0EDF16_Li16ELi64ELi256ELb0ELi1EEvPKT_PKT0_S7_ifPKiS9_S9_iPKfiiiPfSC_PS2_PT2_iSB_SB_ ; -- Begin function _Z39paged_attention_ll4mi_QKV_mfma16_kernelIDF16_DF16_LN4vllm18Fp8KVCacheDataTypeE0EDF16_Li16ELi64ELi256ELb0ELi1EEvPKT_PKT0_S7_ifPKiS9_S9_iPKfiiiPfSC_PS2_PT2_iSB_SB_
	.globl	_Z39paged_attention_ll4mi_QKV_mfma16_kernelIDF16_DF16_LN4vllm18Fp8KVCacheDataTypeE0EDF16_Li16ELi64ELi256ELb0ELi1EEvPKT_PKT0_S7_ifPKiS9_S9_iPKfiiiPfSC_PS2_PT2_iSB_SB_
	.p2align	8
	.type	_Z39paged_attention_ll4mi_QKV_mfma16_kernelIDF16_DF16_LN4vllm18Fp8KVCacheDataTypeE0EDF16_Li16ELi64ELi256ELb0ELi1EEvPKT_PKT0_S7_ifPKiS9_S9_iPKfiiiPfSC_PS2_PT2_iSB_SB_,@function
_Z39paged_attention_ll4mi_QKV_mfma16_kernelIDF16_DF16_LN4vllm18Fp8KVCacheDataTypeE0EDF16_Li16ELi64ELi256ELb0ELi1EEvPKT_PKT0_S7_ifPKiS9_S9_iPKfiiiPfSC_PS2_PT2_iSB_SB_: ; @_Z39paged_attention_ll4mi_QKV_mfma16_kernelIDF16_DF16_LN4vllm18Fp8KVCacheDataTypeE0EDF16_Li16ELi64ELi256ELb0ELi1EEvPKT_PKT0_S7_ifPKiS9_S9_iPKfiiiPfSC_PS2_PT2_iSB_SB_
; %bb.0:
	s_load_dwordx2 s[12:13], s[0:1], 0x30
	s_mov_b32 s5, s3
	s_mov_b64 s[6:7], 0
	s_waitcnt lgkmcnt(0)
	s_cmp_lg_u64 s[12:13], 0
	s_cselect_b64 s[14:15], -1, 0
	s_and_b64 vcc, exec, s[14:15]
	s_cbranch_vccz .LBB108_7
; %bb.1:
	s_add_i32 s8, s2, 1
	s_mov_b32 s9, 0
	s_lshl_b64 s[10:11], s[8:9], 2
	s_add_u32 s10, s12, s10
	s_mov_b32 s3, s9
	s_addc_u32 s11, s13, s11
	s_lshl_b64 s[8:9], s[2:3], 2
	s_add_u32 s8, s12, s8
	s_addc_u32 s9, s13, s9
	s_load_dword s16, s[10:11], 0x0
	s_load_dword s17, s[8:9], 0x0
	s_waitcnt lgkmcnt(0)
	s_sub_i32 s8, s16, s17
	s_cmp_eq_u32 s8, 1
	s_cselect_b64 s[8:9], -1, 0
	s_andn2_b64 vcc, exec, s[6:7]
	s_cbranch_vccnz .LBB108_3
.LBB108_2:
	s_mov_b32 s3, 0
	s_mov_b64 s[8:9], -1
.LBB108_3:
	s_andn2_b64 vcc, exec, s[8:9]
	s_cbranch_vccnz .LBB108_17
; %bb.4:
	s_load_dwordx2 s[6:7], s[0:1], 0x28
	s_lshl_b64 s[16:17], s[2:3], 2
	s_waitcnt lgkmcnt(0)
	s_add_u32 s6, s6, s16
	s_addc_u32 s7, s7, s17
	s_load_dword s33, s[6:7], 0x0
	s_lshl_b32 s18, s5, 8
	s_waitcnt lgkmcnt(0)
	s_cmp_ge_i32 s18, s33
	s_cbranch_scc1 .LBB108_17
; %bb.5:
	s_load_dwordx2 s[6:7], s[0:1], 0x20
	s_load_dword s8, s[0:1], 0x38
	s_add_i32 s9, s33, 15
	s_ashr_i32 s10, s9, 31
	v_and_b32_e32 v1, 0xcf, v0
	s_lshr_b32 s10, s10, 28
	v_add_u32_e32 v1, s18, v1
	s_add_i32 s9, s9, s10
	v_ashrrev_i32_e32 v2, 31, v1
	s_ashr_i32 s19, s9, 4
	v_lshrrev_b32_e32 v10, 28, v2
	s_add_i32 s19, s19, -1
	s_waitcnt lgkmcnt(0)
	s_mul_i32 s8, s2, s8
	s_mov_b32 s9, 0
	v_add_u32_e32 v2, v1, v10
	s_lshl_b64 s[8:9], s[8:9], 2
	v_ashrrev_i32_e32 v2, 4, v2
	v_mov_b32_e32 v11, s19
	v_cmp_gt_i32_e32 vcc, s33, v1
	s_add_u32 s6, s6, s8
	s_addc_u32 s7, s7, s9
	v_cndmask_b32_e32 v2, v11, v2, vcc
	v_ashrrev_i32_e32 v3, 31, v2
	v_lshl_add_u64 v[4:5], v[2:3], 2, s[6:7]
	v_or_b32_e32 v2, 16, v1
	v_add_u32_e32 v3, v2, v10
	v_ashrrev_i32_e32 v3, 4, v3
	v_cmp_gt_i32_e32 vcc, s33, v2
	s_load_dwordx4 s[8:11], s[0:1], 0x8
	s_nop 0
	v_cndmask_b32_e32 v2, v11, v3, vcc
	v_ashrrev_i32_e32 v3, 31, v2
	v_lshl_add_u64 v[6:7], v[2:3], 2, s[6:7]
	v_or_b32_e32 v2, 32, v1
	v_add_u32_e32 v3, v2, v10
	v_ashrrev_i32_e32 v3, 4, v3
	v_cmp_gt_i32_e32 vcc, s33, v2
	v_or_b32_e32 v1, 48, v1
	s_nop 0
	v_cndmask_b32_e32 v2, v11, v3, vcc
	v_ashrrev_i32_e32 v3, 31, v2
	v_lshl_add_u64 v[8:9], v[2:3], 2, s[6:7]
	v_add_u32_e32 v2, v1, v10
	v_ashrrev_i32_e32 v2, 4, v2
	v_cmp_gt_i32_e32 vcc, s33, v1
	s_nop 1
	v_cndmask_b32_e32 v2, v11, v2, vcc
	v_ashrrev_i32_e32 v3, 31, v2
	v_lshl_add_u64 v[12:13], v[2:3], 2, s[6:7]
	global_load_dword v3, v[4:5], off
	global_load_dword v2, v[6:7], off
	;; [unrolled: 1-line block ×4, first 2 shown]
	s_andn2_b64 vcc, exec, s[14:15]
	s_cbranch_vccnz .LBB108_8
; %bb.6:
	s_add_u32 s12, s12, s16
	s_addc_u32 s13, s13, s17
	s_load_dword s14, s[12:13], 0x0
	s_branch .LBB108_9
.LBB108_7:
	s_mov_b64 s[8:9], 0
	s_branch .LBB108_2
.LBB108_8:
	s_mov_b32 s14, s2
.LBB108_9:
	s_load_dwordx4 s[44:47], s[0:1], 0x48
	v_lshrrev_b32_e32 v54, 6, v0
	v_bfe_u32 v52, v0, 4, 2
	v_lshl_or_b32 v1, v54, 2, v52
	v_and_b32_e32 v56, 15, v0
	v_lshlrev_b32_e32 v4, 3, v56
	v_cmp_eq_u32_e32 vcc, 0, v1
	v_cmp_gt_u32_e64 s[28:29], 8, v56
	v_and_b32_e32 v55, 63, v0
	s_and_b64 s[16:17], s[28:29], vcc
	v_lshlrev_b32_e32 v1, 1, v4
	s_and_saveexec_b64 s[12:13], s[16:17]
	s_cbranch_execz .LBB108_11
; %bb.10:
	s_load_dwordx2 s[16:17], s[0:1], 0x0
	s_waitcnt lgkmcnt(0)
	s_ashr_i32 s15, s44, 31
	s_mul_hi_u32 s20, s14, s44
	s_mul_i32 s15, s14, s15
	s_add_i32 s15, s20, s15
	s_mul_i32 s14, s14, s44
	s_lshl_b64 s[14:15], s[14:15], 1
	s_add_u32 s16, s16, s14
	s_addc_u32 s17, s17, s15
	s_lshl_b32 s14, s4, 6
	s_ashr_i32 s15, s14, 31
	s_lshl_b64 s[14:15], s[14:15], 1
	s_add_u32 s14, s16, s14
	s_addc_u32 s15, s17, s15
	global_load_dwordx4 v[4:7], v1, s[14:15]
	v_and_b32_e32 v8, 3, v0
	v_lshlrev_b32_e32 v9, 9, v56
	v_lshlrev_b32_e32 v8, 9, v8
	s_movk_i32 s14, 0x1800
	v_and_or_b32 v8, v9, s14, v8
	s_waitcnt vmcnt(0)
	ds_write_b128 v8, v[4:7]
.LBB108_11:
	s_or_b64 exec, exec, s[12:13]
	s_waitcnt lgkmcnt(0)
	s_mul_i32 s12, s4, s46
	s_mov_b32 s13, 0
	s_lshl_b64 s[12:13], s[12:13], 1
	s_add_u32 s8, s8, s12
	v_lshlrev_b32_e32 v53, 4, v0
	s_addc_u32 s9, s9, s13
	v_and_b32_e32 v34, 0xf0, v53
	v_mov_b32_e32 v35, 0
	v_lshl_add_u64 v[12:13], s[8:9], 0, v[34:35]
	s_waitcnt vmcnt(3)
	v_mad_i64_i32 v[4:5], s[8:9], v3, s45, 0
	s_waitcnt vmcnt(2)
	v_mad_i64_i32 v[6:7], s[8:9], v2, s45, 0
	v_lshl_add_u64 v[4:5], v[4:5], 1, v[12:13]
	v_and_b32_e32 v34, 0x300, v53
	v_lshl_add_u64 v[6:7], v[6:7], 1, v[12:13]
	v_lshl_add_u64 v[14:15], v[4:5], 0, v[34:35]
	;; [unrolled: 1-line block ×3, first 2 shown]
	s_barrier
	global_load_dwordx4 v[2:5], v[14:15], off
	global_load_dwordx4 v[6:9], v[18:19], off
	s_waitcnt vmcnt(3)
	v_mad_i64_i32 v[16:17], s[8:9], v11, s45, 0
	v_lshl_add_u64 v[16:17], v[16:17], 1, v[12:13]
	v_lshl_add_u64 v[36:37], v[16:17], 0, v[34:35]
	global_load_dwordx4 v[22:25], v[36:37], off
	s_waitcnt vmcnt(3)
	v_mad_i64_i32 v[10:11], s[8:9], v10, s45, 0
	global_load_dwordx4 v[14:17], v[14:15], off offset:1024
	v_lshl_add_u64 v[10:11], v[10:11], 1, v[12:13]
	v_lshl_add_u64 v[38:39], v[10:11], 0, v[34:35]
	global_load_dwordx4 v[26:29], v[38:39], off
	v_lshlrev_b32_e32 v10, 9, v52
	ds_read_b128 v[30:33], v10
	ds_read_b128 v[10:13], v10 offset:2048
	global_load_dwordx4 v[18:21], v[18:19], off offset:1024
	v_and_or_b32 v34, v0, 48, s18
	global_load_dwordx4 v[44:47], v[36:37], off offset:1024
	v_mov_b32_e32 v66, s19
	global_load_dwordx4 v[36:39], v[38:39], off offset:1024
	v_cmp_gt_i32_e32 vcc, s33, v34
	s_load_dword s8, s[0:1], 0x1c
	s_mov_b32 s42, 0xff7fffff
	s_add_u32 s10, s10, s12
	s_addc_u32 s11, s11, s13
	v_lshlrev_b32_e32 v57, 5, v56
	v_lshlrev_b32_e32 v56, 2, v56
	s_waitcnt vmcnt(7) lgkmcnt(0)
	v_mfma_f32_16x16x16_f16 v[40:43], v[2:3], v[30:31], 0
	v_ashrrev_i32_e32 v2, 4, v34
	v_cndmask_b32_e32 v2, v66, v2, vcc
	v_ashrrev_i32_e32 v3, 31, v2
	s_waitcnt vmcnt(6)
	v_mfma_f32_16x16x16_f16 v[48:51], v[6:7], v[30:31], 0
	v_or_b32_e32 v6, 64, v34
	v_ashrrev_i32_e32 v7, 4, v6
	v_cmp_gt_i32_e32 vcc, s33, v6
	s_waitcnt vmcnt(5)
	v_mfma_f32_16x16x16_f16 v[58:61], v[22:23], v[30:31], 0
	v_lshl_add_u64 v[22:23], v[2:3], 2, s[6:7]
	v_cndmask_b32_e32 v6, v66, v7, vcc
	v_ashrrev_i32_e32 v7, 31, v6
	v_mfma_f32_16x16x16_f16 v[2:5], v[4:5], v[32:33], v[40:43]
	s_nop 2
	global_load_dword v40, v[22:23], off
	v_lshl_add_u64 v[22:23], v[6:7], 2, s[6:7]
	global_load_dword v41, v[22:23], off
	s_waitcnt vmcnt(5)
	v_mfma_f32_16x16x16_f16 v[62:65], v[26:27], v[30:31], 0
	v_or_b32_e32 v30, 0x80, v34
	v_or_b32_e32 v31, 0xc0, v34
	v_cmp_gt_i32_e32 vcc, s33, v30
	v_mfma_f32_16x16x16_f16 v[6:9], v[8:9], v[32:33], v[48:51]
	v_lshl_or_b32 v34, v54, 9, v57
	v_mfma_f32_16x16x16_f16 v[22:25], v[24:25], v[32:33], v[58:61]
	v_mfma_f32_16x16x16_f16 v[26:29], v[28:29], v[32:33], v[62:65]
	v_ashrrev_i32_e32 v32, 4, v30
	v_ashrrev_i32_e32 v33, 4, v31
	v_and_b32_e32 v60, 0xc0, v0
	v_mfma_f32_16x16x16_f16 v[2:5], v[14:15], v[10:11], v[2:5]
	v_cndmask_b32_e32 v14, v66, v32, vcc
	v_cmp_gt_i32_e32 vcc, s33, v31
	v_ashrrev_i32_e32 v15, 31, v14
	v_lshl_add_u64 v[14:15], v[14:15], 2, s[6:7]
	v_cndmask_b32_e32 v30, v66, v33, vcc
	v_ashrrev_i32_e32 v31, 31, v30
	s_waitcnt vmcnt(4)
	v_mfma_f32_16x16x16_f16 v[6:9], v[18:19], v[10:11], v[6:9]
	v_lshl_add_u64 v[18:19], v[30:31], 2, s[6:7]
	global_load_dword v61, v[14:15], off
	global_load_dword v62, v[18:19], off
	s_waitcnt vmcnt(2)
	v_mad_i64_i32 v[32:33], s[6:7], v41, s45, 0
	v_mfma_f32_16x16x16_f16 v[22:25], v[44:45], v[10:11], v[22:25]
	v_mfma_f32_16x16x16_f16 v[26:29], v[36:37], v[10:11], v[26:29]
	v_lshl_add_u64 v[10:11], s[10:11], 0, v[34:35]
	v_lshl_add_u64 v[58:59], v[32:33], 1, v[10:11]
	v_mfma_f32_16x16x16_f16 v[14:17], v[16:17], v[12:13], v[2:5]
	v_mfma_f32_16x16x16_f16 v[18:21], v[20:21], v[12:13], v[6:9]
	s_nop 1
	v_mad_i64_i32 v[2:3], s[6:7], v40, s45, 0
	v_lshl_add_u64 v[30:31], v[2:3], 1, v[10:11]
	v_mfma_f32_16x16x16_f16 v[22:25], v[46:47], v[12:13], v[22:25]
	s_nop 0
	v_pk_mul_f32 v[46:47], s[8:9], v[16:17] op_sel_hi:[0,1]
	v_pk_mul_f32 v[40:41], s[8:9], v[18:19] op_sel_hi:[0,1]
	;; [unrolled: 1-line block ×3, first 2 shown]
	v_mfma_f32_16x16x16_f16 v[26:29], v[38:39], v[12:13], v[26:29]
	v_pk_mul_f32 v[12:13], s[8:9], v[14:15] op_sel_hi:[0,1]
	v_add_u32_e32 v14, s18, v60
	v_lshl_or_b32 v14, v52, 2, v14
	v_or_b32_e32 v17, 1, v14
	v_mov_b32_e32 v15, 0xff7fffff
	v_cmp_gt_i32_e64 s[30:31], s33, v14
	v_cmp_gt_i32_e64 s[34:35], s33, v17
	v_or_b32_e32 v18, 3, v14
	v_cndmask_b32_e64 v16, v15, v12, s[30:31]
	v_cndmask_b32_e64 v17, v15, v13, s[34:35]
	v_max3_f32 v16, v16, s42, v17
	v_or_b32_e32 v17, 2, v14
	v_cmp_gt_i32_e64 s[36:37], s33, v17
	v_cmp_gt_i32_e64 s[38:39], s33, v18
	v_pk_mul_f32 v[44:45], s[8:9], v[22:23] op_sel_hi:[0,1]
	v_cndmask_b32_e64 v17, v15, v46, s[36:37]
	v_cndmask_b32_e64 v18, v15, v47, s[38:39]
	v_max3_f32 v16, v16, v17, v18
	v_or_b32_e32 v17, 16, v14
	v_or_b32_e32 v18, 17, v14
	v_cmp_gt_i32_e64 s[24:25], s33, v17
	v_cmp_gt_i32_e64 s[26:27], s33, v18
	v_pk_mul_f32 v[48:49], s[8:9], v[24:25] op_sel_hi:[0,1]
	v_cndmask_b32_e64 v17, v15, v40, s[24:25]
	v_cndmask_b32_e64 v18, v15, v41, s[26:27]
	v_max3_f32 v16, v16, v17, v18
	v_or_b32_e32 v17, 18, v14
	;; [unrolled: 8-line block ×4, first 2 shown]
	v_or_b32_e32 v18, 35, v14
	v_cmp_gt_i32_e64 s[12:13], s33, v17
	v_cmp_gt_i32_e64 s[14:15], s33, v18
	global_load_dwordx4 v[6:9], v[30:31], off
	global_load_dwordx4 v[2:5], v[30:31], off offset:16
	v_cndmask_b32_e64 v17, v15, v48, s[12:13]
	v_cndmask_b32_e64 v18, v15, v49, s[14:15]
	v_max3_f32 v16, v16, v17, v18
	v_or_b32_e32 v17, 48, v14
	v_or_b32_e32 v18, 49, v14
	v_cmp_gt_i32_e64 s[8:9], s33, v17
	v_cmp_gt_i32_e64 s[10:11], s33, v18
	global_load_dwordx4 v[30:33], v[58:59], off
	global_load_dwordx4 v[26:29], v[58:59], off offset:16
	v_cndmask_b32_e64 v17, v15, v42, s[8:9]
	v_cndmask_b32_e64 v18, v15, v43, s[10:11]
	v_max3_f32 v16, v16, v17, v18
	v_or_b32_e32 v17, 50, v14
	v_or_b32_e32 v14, 51, v14
	v_cmp_gt_i32_e32 vcc, s33, v17
	v_cmp_gt_i32_e64 s[6:7], s33, v14
	s_nop 0
	v_cndmask_b32_e32 v17, v15, v36, vcc
	v_cndmask_b32_e64 v14, v15, v37, s[6:7]
	v_max3_f32 v16, v16, v17, v14
	v_mbcnt_lo_u32_b32 v14, -1, 0
	v_mbcnt_hi_u32_b32 v17, -1, v14
	v_and_b32_e32 v14, 64, v17
	v_add_u32_e32 v18, 64, v14
	v_xor_b32_e32 v14, 32, v17
	v_cmp_lt_i32_e64 s[40:41], v14, v18
	s_nop 1
	v_cndmask_b32_e64 v14, v17, v14, s[40:41]
	v_lshlrev_b32_e32 v60, 2, v14
	ds_bpermute_b32 v19, v60, v16
	s_waitcnt vmcnt(5)
	v_mad_i64_i32 v[14:15], s[40:41], v61, s45, 0
	v_lshl_add_u64 v[14:15], v[14:15], 1, v[10:11]
	s_waitcnt lgkmcnt(0)
	v_max_f32_e32 v19, v19, v19
	v_max_f32_e32 v16, v16, v19
	v_xor_b32_e32 v19, 16, v17
	v_cmp_lt_i32_e64 s[40:41], v19, v18
	s_nop 1
	v_cndmask_b32_e64 v17, v17, v19, s[40:41]
	v_lshlrev_b32_e32 v59, 2, v17
	ds_bpermute_b32 v17, v59, v16
	global_load_dwordx4 v[22:25], v[14:15], off
	global_load_dwordx4 v[18:21], v[14:15], off offset:16
	s_waitcnt vmcnt(6)
	v_mad_i64_i32 v[14:15], s[40:41], v62, s45, 0
	v_lshl_add_u64 v[10:11], v[14:15], 1, v[10:11]
	s_waitcnt lgkmcnt(0)
	v_max_f32_e32 v14, v17, v17
	v_max_f32_e32 v34, v16, v14
	v_sub_f32_e32 v12, v12, v34
	v_mul_f32_e32 v12, 0x3fb8aa3b, v12
	v_exp_f32_e32 v38, v12
	v_sub_f32_e32 v12, v13, v34
	v_mul_f32_e32 v12, 0x3fb8aa3b, v12
	v_exp_f32_e32 v39, v12
	global_load_dwordx4 v[14:17], v[10:11], off
	s_nop 0
	global_load_dwordx4 v[10:13], v[10:11], off offset:16
	v_sub_f32_e32 v46, v46, v34
	v_mul_f32_e32 v46, 0x3fb8aa3b, v46
	v_sub_f32_e32 v47, v47, v34
	v_exp_f32_e32 v46, v46
	v_mul_f32_e32 v47, 0x3fb8aa3b, v47
	v_sub_f32_e32 v40, v40, v34
	v_exp_f32_e32 v47, v47
	v_mul_f32_e32 v40, 0x3fb8aa3b, v40
	v_sub_f32_e32 v41, v41, v34
	v_cndmask_b32_e64 v38, 0, v38, s[30:31]
	v_exp_f32_e32 v40, v40
	v_mul_f32_e32 v41, 0x3fb8aa3b, v41
	v_sub_f32_e32 v50, v50, v34
	v_add_f32_e32 v58, 0, v38
	v_cndmask_b32_e64 v39, 0, v39, s[34:35]
	v_exp_f32_e32 v41, v41
	v_mul_f32_e32 v50, 0x3fb8aa3b, v50
	v_sub_f32_e32 v51, v51, v34
	v_add_f32_e32 v58, v58, v39
	;; [unrolled: 5-line block ×10, first 2 shown]
	v_cndmask_b32_e64 v48, 0, v48, s[12:13]
	v_exp_f32_e32 v36, v36
	v_mul_f32_e32 v37, 0x3fb8aa3b, v37
	v_add_f32_e32 v58, v58, v48
	v_cndmask_b32_e64 v49, 0, v49, s[14:15]
	v_exp_f32_e32 v37, v37
	v_add_f32_e32 v58, v58, v49
	v_cndmask_b32_e64 v42, 0, v42, s[8:9]
	v_add_f32_e32 v58, v58, v42
	v_cndmask_b32_e64 v43, 0, v43, s[10:11]
	v_add_f32_e32 v58, v58, v43
	v_cndmask_b32_e32 v36, 0, v36, vcc
	v_add_f32_e32 v58, v58, v36
	v_cndmask_b32_e64 v37, 0, v37, s[6:7]
	v_add_f32_e32 v58, v58, v37
	ds_bpermute_b32 v60, v60, v58
	v_cmp_gt_u32_e64 s[6:7], 16, v55
	s_waitcnt lgkmcnt(0)
	s_barrier
	v_add_f32_e32 v58, v58, v60
	ds_bpermute_b32 v59, v59, v58
	s_and_saveexec_b64 s[8:9], s[6:7]
	s_cbranch_execz .LBB108_13
; %bb.12:
	s_waitcnt lgkmcnt(0)
	v_add_f32_e32 v55, v58, v59
	v_lshl_or_b32 v58, v54, 6, v56
	ds_write2st64_b32 v58, v34, v55 offset1:1
.LBB108_13:
	s_or_b64 exec, exec, s[8:9]
	s_load_dwordx2 s[8:9], s[0:1], 0x94
	s_waitcnt lgkmcnt(0)
	s_barrier
	ds_read2_b32 v[58:59], v56 offset1:16
	ds_read2_b32 v[60:61], v56 offset0:32 offset1:48
	ds_read2_b32 v[62:63], v56 offset0:64 offset1:80
	s_waitcnt lgkmcnt(2)
	v_max3_f32 v34, v58, s42, v59
	s_waitcnt lgkmcnt(1)
	v_max3_f32 v55, v34, v60, v61
	v_sub_f32_e32 v34, v58, v55
	v_sub_f32_e32 v58, v59, v55
	v_mul_f32_e32 v58, 0x3fb8aa3b, v58
	v_mul_f32_e32 v34, 0x3fb8aa3b, v34
	v_exp_f32_e32 v64, v58
	v_sub_f32_e32 v58, v60, v55
	v_exp_f32_e32 v34, v34
	v_mul_f32_e32 v58, 0x3fb8aa3b, v58
	v_exp_f32_e32 v60, v58
	ds_read2_b32 v[58:59], v56 offset0:96 offset1:112
	v_sub_f32_e32 v56, v61, v55
	v_mul_f32_e32 v56, 0x3fb8aa3b, v56
	v_exp_f32_e32 v61, v56
	s_waitcnt lgkmcnt(1)
	v_fma_f32 v56, v34, v62, 0
	v_fmac_f32_e32 v56, v64, v63
	s_waitcnt lgkmcnt(0)
	v_fmac_f32_e32 v56, v60, v58
	v_fmac_f32_e32 v56, v61, v59
	v_add_f32_e32 v58, 0x358637bd, v56
	v_div_scale_f32 v59, s[10:11], v58, v58, 1.0
	v_rcp_f32_e32 v62, v59
	s_barrier
	v_fma_f32 v63, -v59, v62, 1.0
	v_fmac_f32_e32 v62, v63, v62
	v_div_scale_f32 v63, vcc, 1.0, v58, 1.0
	v_mul_f32_e32 v65, v63, v62
	v_fma_f32 v66, -v59, v65, v63
	v_fmac_f32_e32 v65, v66, v62
	v_fma_f32 v59, -v59, v65, v63
	v_div_fmas_f32 v59, v59, v62, v65
	v_cmp_eq_u32_e32 vcc, 1, v54
	v_div_fixup_f32 v58, v59, v58, 1.0
	s_nop 0
	v_cndmask_b32_e32 v34, v34, v64, vcc
	v_cmp_eq_u32_e32 vcc, 2, v54
	s_nop 1
	v_cndmask_b32_e32 v34, v34, v60, vcc
	v_cmp_eq_u32_e32 vcc, 3, v54
	s_nop 1
	v_cndmask_b32_e32 v34, v34, v61, vcc
	v_mul_f32_e32 v58, v34, v58
	v_pk_mul_f32 v[46:47], v[58:59], v[46:47] op_sel_hi:[0,1]
	v_pk_mul_f32 v[38:39], v[58:59], v[38:39] op_sel_hi:[0,1]
	v_cvt_f16_f32_e32 v34, v38
	v_cvt_f16_f32_e32 v38, v39
	;; [unrolled: 1-line block ×4, first 2 shown]
	v_pk_mul_f32 v[40:41], v[58:59], v[40:41] op_sel_hi:[0,1]
	v_cvt_f16_f32_e32 v40, v40
	v_cvt_f16_f32_e32 v41, v41
	v_pack_b32_f16 v39, v39, v46
	v_pk_mul_f32 v[46:47], v[58:59], v[50:51] op_sel_hi:[0,1]
	v_cvt_f16_f32_e32 v46, v46
	v_cvt_f16_f32_e32 v47, v47
	v_pack_b32_f16 v38, v34, v38
	v_lshlrev_b32_e32 v34, 3, v52
	v_lshlrev_b32_e32 v50, 11, v54
	v_or3_b32 v34, v50, v57, v34
	v_pack_b32_f16 v40, v40, v41
	v_pack_b32_f16 v41, v46, v47
	ds_write2st64_b64 v34, v[38:39], v[40:41] offset1:1
	v_pk_mul_f32 v[38:39], v[58:59], v[48:49] op_sel_hi:[0,1]
	v_pk_mul_f32 v[40:41], v[58:59], v[44:45] op_sel_hi:[0,1]
	v_cvt_f16_f32_e32 v44, v38
	v_cvt_f16_f32_e32 v45, v39
	v_pk_mul_f32 v[36:37], v[58:59], v[36:37] op_sel_hi:[0,1]
	v_pk_mul_f32 v[38:39], v[58:59], v[42:43] op_sel_hi:[0,1]
	v_cvt_f16_f32_e32 v40, v40
	v_cvt_f16_f32_e32 v41, v41
	;; [unrolled: 1-line block ×6, first 2 shown]
	v_pack_b32_f16 v36, v40, v41
	v_pack_b32_f16 v37, v44, v45
	;; [unrolled: 1-line block ×4, first 2 shown]
	v_cmp_eq_u32_e32 vcc, 0, v0
	ds_write2st64_b64 v34, v[36:37], v[38:39] offset0:2 offset1:3
	s_and_saveexec_b64 s[10:11], vcc
	s_cbranch_execz .LBB108_15
; %bb.14:
	s_mul_i32 s3, s3, s9
	s_mul_hi_u32 s16, s2, s9
	s_add_i32 s16, s16, s3
	s_mul_i32 s3, s2, s9
	s_add_u32 s3, s3, s4
	s_addc_u32 s16, s16, 0
	s_load_dwordx4 s[12:15], s[0:1], 0x58
	s_mul_i32 s16, s16, s8
	s_mul_hi_u32 s17, s3, s8
	s_add_i32 s17, s17, s16
	s_mul_i32 s3, s3, s8
	s_add_u32 s16, s3, s5
	s_addc_u32 s17, s17, 0
	s_lshl_b64 s[16:17], s[16:17], 2
	s_waitcnt lgkmcnt(0)
	s_add_u32 s14, s14, s16
	s_addc_u32 s15, s15, s17
	s_add_u32 s12, s12, s16
	s_addc_u32 s13, s13, s17
	global_store_dword v35, v55, s[14:15]
	global_store_dword v35, v56, s[12:13]
.LBB108_15:
	s_or_b64 exec, exec, s[10:11]
	v_lshl_or_b32 v35, v52, 9, v57
	s_waitcnt lgkmcnt(0)
	s_barrier
	ds_read_b128 v[36:39], v35
	ds_read_b128 v[40:43], v35 offset:16
	s_waitcnt vmcnt(7) lgkmcnt(1)
	v_mfma_f32_16x16x16_f16 v[44:47], v[6:7], v[36:37], 0
	v_cmp_gt_u32_e32 vcc, 64, v0
	s_and_b64 s[10:11], s[28:29], vcc
	s_mov_b32 s3, 0
	v_mfma_f32_16x16x16_f16 v[6:9], v[8:9], v[38:39], v[44:47]
	s_and_b64 s[6:7], s[10:11], s[6:7]
	s_waitcnt vmcnt(6) lgkmcnt(0)
	v_mfma_f32_16x16x16_f16 v[6:9], v[2:3], v[40:41], v[6:9]
	v_mfma_f32_16x16x16_f16 v[2:5], v[4:5], v[42:43], v[6:9]
	s_nop 5
	ds_read_b128 v[6:9], v35 offset:2048
	ds_read_b128 v[36:39], v35 offset:2064
	s_waitcnt vmcnt(5) lgkmcnt(1)
	v_mfma_f32_16x16x16_f16 v[2:5], v[30:31], v[6:7], v[2:5]
	v_mfma_f32_16x16x16_f16 v[2:5], v[32:33], v[8:9], v[2:5]
	s_waitcnt vmcnt(4) lgkmcnt(0)
	v_mfma_f32_16x16x16_f16 v[2:5], v[26:27], v[36:37], v[2:5]
	v_mfma_f32_16x16x16_f16 v[2:5], v[28:29], v[38:39], v[2:5]
	ds_read_b128 v[6:9], v35 offset:4096
	ds_read_b128 v[26:29], v35 offset:4112
	s_waitcnt vmcnt(3) lgkmcnt(1)
	v_mfma_f32_16x16x16_f16 v[2:5], v[22:23], v[6:7], v[2:5]
	v_mfma_f32_16x16x16_f16 v[2:5], v[24:25], v[8:9], v[2:5]
	s_waitcnt vmcnt(2) lgkmcnt(0)
	v_mfma_f32_16x16x16_f16 v[2:5], v[18:19], v[26:27], v[2:5]
	v_mfma_f32_16x16x16_f16 v[2:5], v[20:21], v[28:29], v[2:5]
	ds_read_b128 v[6:9], v35 offset:6144
	ds_read_b128 v[18:21], v35 offset:6160
	s_waitcnt lgkmcnt(0)
	s_barrier
	s_waitcnt vmcnt(1)
	v_mfma_f32_16x16x16_f16 v[2:5], v[14:15], v[6:7], v[2:5]
	v_mfma_f32_16x16x16_f16 v[2:5], v[16:17], v[8:9], v[2:5]
	s_waitcnt vmcnt(0)
	v_mfma_f32_16x16x16_f16 v[2:5], v[10:11], v[18:19], v[2:5]
	v_mfma_f32_16x16x16_f16 v[2:5], v[12:13], v[20:21], v[2:5]
	s_nop 6
	v_cvt_f16_f32_e32 v2, v2
	v_cvt_f16_f32_e32 v3, v3
	;; [unrolled: 1-line block ×4, first 2 shown]
	v_pack_b32_f16 v2, v2, v3
	v_pack_b32_f16 v3, v4, v5
	ds_write_b64 v34, v[2:3]
	s_waitcnt lgkmcnt(0)
	s_barrier
	s_and_saveexec_b64 s[10:11], s[6:7]
	s_cbranch_execz .LBB108_17
; %bb.16:
	s_load_dwordx2 s[0:1], s[0:1], 0x68
	s_mul_i32 s2, s9, s2
	s_lshl_b32 s8, s8, 6
	s_mul_hi_u32 s7, s2, s8
	s_mul_i32 s6, s2, s8
	s_lshl_b64 s[6:7], s[6:7], 1
	v_lshlrev_b32_e32 v0, 10, v0
	s_waitcnt lgkmcnt(0)
	s_add_u32 s6, s0, s6
	v_and_b32_e32 v0, 0x1800, v0
	v_lshlrev_b32_e32 v2, 5, v52
	v_and_b32_e32 v3, 16, v53
	s_addc_u32 s7, s1, s7
	s_lshl_b32 s2, s5, 6
	v_or3_b32 v0, v0, v2, v3
	s_lshl_b64 s[0:1], s[2:3], 1
	ds_read_b128 v[2:5], v0
	s_add_u32 s2, s6, s0
	s_addc_u32 s3, s7, s1
	s_mul_hi_u32 s1, s8, s4
	s_mul_i32 s0, s8, s4
	s_lshl_b64 s[0:1], s[0:1], 1
	s_add_u32 s0, s2, s0
	s_addc_u32 s1, s3, s1
	s_waitcnt lgkmcnt(0)
	global_store_dwordx4 v1, v[2:5], s[0:1]
.LBB108_17:
	s_endpgm
	.section	.rodata,"a",@progbits
	.p2align	6, 0x0
	.amdhsa_kernel _Z39paged_attention_ll4mi_QKV_mfma16_kernelIDF16_DF16_LN4vllm18Fp8KVCacheDataTypeE0EDF16_Li16ELi64ELi256ELb0ELi1EEvPKT_PKT0_S7_ifPKiS9_S9_iPKfiiiPfSC_PS2_PT2_iSB_SB_
		.amdhsa_group_segment_fixed_size 8192
		.amdhsa_private_segment_fixed_size 0
		.amdhsa_kernarg_size 400
		.amdhsa_user_sgpr_count 2
		.amdhsa_user_sgpr_dispatch_ptr 0
		.amdhsa_user_sgpr_queue_ptr 0
		.amdhsa_user_sgpr_kernarg_segment_ptr 1
		.amdhsa_user_sgpr_dispatch_id 0
		.amdhsa_user_sgpr_kernarg_preload_length 0
		.amdhsa_user_sgpr_kernarg_preload_offset 0
		.amdhsa_user_sgpr_private_segment_size 0
		.amdhsa_uses_dynamic_stack 0
		.amdhsa_enable_private_segment 0
		.amdhsa_system_sgpr_workgroup_id_x 1
		.amdhsa_system_sgpr_workgroup_id_y 1
		.amdhsa_system_sgpr_workgroup_id_z 1
		.amdhsa_system_sgpr_workgroup_info 0
		.amdhsa_system_vgpr_workitem_id 0
		.amdhsa_next_free_vgpr 67
		.amdhsa_next_free_sgpr 48
		.amdhsa_accum_offset 68
		.amdhsa_reserve_vcc 1
		.amdhsa_float_round_mode_32 0
		.amdhsa_float_round_mode_16_64 0
		.amdhsa_float_denorm_mode_32 3
		.amdhsa_float_denorm_mode_16_64 3
		.amdhsa_dx10_clamp 1
		.amdhsa_ieee_mode 1
		.amdhsa_fp16_overflow 0
		.amdhsa_tg_split 0
		.amdhsa_exception_fp_ieee_invalid_op 0
		.amdhsa_exception_fp_denorm_src 0
		.amdhsa_exception_fp_ieee_div_zero 0
		.amdhsa_exception_fp_ieee_overflow 0
		.amdhsa_exception_fp_ieee_underflow 0
		.amdhsa_exception_fp_ieee_inexact 0
		.amdhsa_exception_int_div_zero 0
	.end_amdhsa_kernel
	.section	.text._Z39paged_attention_ll4mi_QKV_mfma16_kernelIDF16_DF16_LN4vllm18Fp8KVCacheDataTypeE0EDF16_Li16ELi64ELi256ELb0ELi1EEvPKT_PKT0_S7_ifPKiS9_S9_iPKfiiiPfSC_PS2_PT2_iSB_SB_,"axG",@progbits,_Z39paged_attention_ll4mi_QKV_mfma16_kernelIDF16_DF16_LN4vllm18Fp8KVCacheDataTypeE0EDF16_Li16ELi64ELi256ELb0ELi1EEvPKT_PKT0_S7_ifPKiS9_S9_iPKfiiiPfSC_PS2_PT2_iSB_SB_,comdat
.Lfunc_end108:
	.size	_Z39paged_attention_ll4mi_QKV_mfma16_kernelIDF16_DF16_LN4vllm18Fp8KVCacheDataTypeE0EDF16_Li16ELi64ELi256ELb0ELi1EEvPKT_PKT0_S7_ifPKiS9_S9_iPKfiiiPfSC_PS2_PT2_iSB_SB_, .Lfunc_end108-_Z39paged_attention_ll4mi_QKV_mfma16_kernelIDF16_DF16_LN4vllm18Fp8KVCacheDataTypeE0EDF16_Li16ELi64ELi256ELb0ELi1EEvPKT_PKT0_S7_ifPKiS9_S9_iPKfiiiPfSC_PS2_PT2_iSB_SB_
                                        ; -- End function
	.section	.AMDGPU.csdata,"",@progbits
; Kernel info:
; codeLenInByte = 3612
; NumSgprs: 54
; NumVgprs: 67
; NumAgprs: 0
; TotalNumVgprs: 67
; ScratchSize: 0
; MemoryBound: 0
; FloatMode: 240
; IeeeMode: 1
; LDSByteSize: 8192 bytes/workgroup (compile time only)
; SGPRBlocks: 6
; VGPRBlocks: 8
; NumSGPRsForWavesPerEU: 54
; NumVGPRsForWavesPerEU: 67
; AccumOffset: 68
; Occupancy: 7
; WaveLimiterHint : 1
; COMPUTE_PGM_RSRC2:SCRATCH_EN: 0
; COMPUTE_PGM_RSRC2:USER_SGPR: 2
; COMPUTE_PGM_RSRC2:TRAP_HANDLER: 0
; COMPUTE_PGM_RSRC2:TGID_X_EN: 1
; COMPUTE_PGM_RSRC2:TGID_Y_EN: 1
; COMPUTE_PGM_RSRC2:TGID_Z_EN: 1
; COMPUTE_PGM_RSRC2:TIDIG_COMP_CNT: 0
; COMPUTE_PGM_RSRC3_GFX90A:ACCUM_OFFSET: 16
; COMPUTE_PGM_RSRC3_GFX90A:TG_SPLIT: 0
	.section	.text._Z39paged_attention_ll4mi_QKV_mfma16_kernelIDF16_DF16_LN4vllm18Fp8KVCacheDataTypeE0EDF16_Li16ELi64ELi256ELb0ELi2EEvPKT_PKT0_S7_ifPKiS9_S9_iPKfiiiPfSC_PS2_PT2_iSB_SB_,"axG",@progbits,_Z39paged_attention_ll4mi_QKV_mfma16_kernelIDF16_DF16_LN4vllm18Fp8KVCacheDataTypeE0EDF16_Li16ELi64ELi256ELb0ELi2EEvPKT_PKT0_S7_ifPKiS9_S9_iPKfiiiPfSC_PS2_PT2_iSB_SB_,comdat
	.protected	_Z39paged_attention_ll4mi_QKV_mfma16_kernelIDF16_DF16_LN4vllm18Fp8KVCacheDataTypeE0EDF16_Li16ELi64ELi256ELb0ELi2EEvPKT_PKT0_S7_ifPKiS9_S9_iPKfiiiPfSC_PS2_PT2_iSB_SB_ ; -- Begin function _Z39paged_attention_ll4mi_QKV_mfma16_kernelIDF16_DF16_LN4vllm18Fp8KVCacheDataTypeE0EDF16_Li16ELi64ELi256ELb0ELi2EEvPKT_PKT0_S7_ifPKiS9_S9_iPKfiiiPfSC_PS2_PT2_iSB_SB_
	.globl	_Z39paged_attention_ll4mi_QKV_mfma16_kernelIDF16_DF16_LN4vllm18Fp8KVCacheDataTypeE0EDF16_Li16ELi64ELi256ELb0ELi2EEvPKT_PKT0_S7_ifPKiS9_S9_iPKfiiiPfSC_PS2_PT2_iSB_SB_
	.p2align	8
	.type	_Z39paged_attention_ll4mi_QKV_mfma16_kernelIDF16_DF16_LN4vllm18Fp8KVCacheDataTypeE0EDF16_Li16ELi64ELi256ELb0ELi2EEvPKT_PKT0_S7_ifPKiS9_S9_iPKfiiiPfSC_PS2_PT2_iSB_SB_,@function
_Z39paged_attention_ll4mi_QKV_mfma16_kernelIDF16_DF16_LN4vllm18Fp8KVCacheDataTypeE0EDF16_Li16ELi64ELi256ELb0ELi2EEvPKT_PKT0_S7_ifPKiS9_S9_iPKfiiiPfSC_PS2_PT2_iSB_SB_: ; @_Z39paged_attention_ll4mi_QKV_mfma16_kernelIDF16_DF16_LN4vllm18Fp8KVCacheDataTypeE0EDF16_Li16ELi64ELi256ELb0ELi2EEvPKT_PKT0_S7_ifPKiS9_S9_iPKfiiiPfSC_PS2_PT2_iSB_SB_
; %bb.0:
	s_load_dwordx2 s[12:13], s[0:1], 0x30
	s_mov_b32 s28, s3
	s_mov_b64 s[6:7], 0
	s_waitcnt lgkmcnt(0)
	s_cmp_lg_u64 s[12:13], 0
	s_cselect_b64 s[14:15], -1, 0
	s_and_b64 vcc, exec, s[14:15]
	s_cbranch_vccz .LBB109_7
; %bb.1:
	s_add_i32 s8, s2, 1
	s_mov_b32 s9, 0
	s_lshl_b64 s[10:11], s[8:9], 2
	s_add_u32 s10, s12, s10
	s_mov_b32 s3, s9
	s_addc_u32 s11, s13, s11
	s_lshl_b64 s[8:9], s[2:3], 2
	s_add_u32 s8, s12, s8
	s_addc_u32 s9, s13, s9
	s_load_dword s5, s[10:11], 0x0
	s_load_dword s16, s[8:9], 0x0
	s_waitcnt lgkmcnt(0)
	s_sub_i32 s5, s5, s16
	s_cmp_eq_u32 s5, 1
	s_cselect_b64 s[8:9], -1, 0
	s_andn2_b64 vcc, exec, s[6:7]
	s_cbranch_vccnz .LBB109_3
.LBB109_2:
	s_mov_b32 s3, 0
	s_mov_b64 s[8:9], -1
.LBB109_3:
	s_andn2_b64 vcc, exec, s[8:9]
	s_cbranch_vccnz .LBB109_17
; %bb.4:
	s_load_dwordx2 s[6:7], s[0:1], 0x28
	s_lshl_b64 s[16:17], s[2:3], 2
	s_waitcnt lgkmcnt(0)
	s_add_u32 s6, s6, s16
	s_addc_u32 s7, s7, s17
	s_load_dword s40, s[6:7], 0x0
	s_lshl_b32 s18, s28, 8
	s_waitcnt lgkmcnt(0)
	s_cmp_ge_i32 s18, s40
	s_cbranch_scc1 .LBB109_17
; %bb.5:
	s_load_dwordx2 s[6:7], s[0:1], 0x20
	s_load_dword s5, s[0:1], 0x38
	s_add_i32 s8, s40, 15
	s_ashr_i32 s9, s8, 31
	v_and_b32_e32 v1, 0xcf, v0
	s_lshr_b32 s9, s9, 28
	v_add_u32_e32 v1, s18, v1
	s_add_i32 s8, s8, s9
	v_ashrrev_i32_e32 v2, 31, v1
	s_ashr_i32 s19, s8, 4
	v_lshrrev_b32_e32 v8, 28, v2
	s_add_i32 s19, s19, -1
	s_waitcnt lgkmcnt(0)
	s_mul_i32 s8, s2, s5
	s_mov_b32 s9, 0
	v_add_u32_e32 v2, v1, v8
	s_lshl_b64 s[8:9], s[8:9], 2
	v_ashrrev_i32_e32 v2, 4, v2
	v_mov_b32_e32 v9, s19
	v_cmp_gt_i32_e32 vcc, s40, v1
	s_add_u32 s6, s6, s8
	s_addc_u32 s7, s7, s9
	v_cndmask_b32_e32 v2, v9, v2, vcc
	v_ashrrev_i32_e32 v3, 31, v2
	v_lshl_add_u64 v[4:5], v[2:3], 2, s[6:7]
	v_or_b32_e32 v2, 16, v1
	v_add_u32_e32 v3, v2, v8
	v_ashrrev_i32_e32 v3, 4, v3
	v_cmp_gt_i32_e32 vcc, s40, v2
	s_load_dwordx4 s[8:11], s[0:1], 0x8
	s_nop 0
	v_cndmask_b32_e32 v2, v9, v3, vcc
	v_ashrrev_i32_e32 v3, 31, v2
	v_lshl_add_u64 v[6:7], v[2:3], 2, s[6:7]
	v_or_b32_e32 v2, 32, v1
	v_add_u32_e32 v3, v2, v8
	v_ashrrev_i32_e32 v3, 4, v3
	v_cmp_gt_i32_e32 vcc, s40, v2
	v_or_b32_e32 v1, 48, v1
	s_nop 0
	v_cndmask_b32_e32 v2, v9, v3, vcc
	v_ashrrev_i32_e32 v3, 31, v2
	v_lshl_add_u64 v[12:13], v[2:3], 2, s[6:7]
	v_add_u32_e32 v2, v1, v8
	v_ashrrev_i32_e32 v2, 4, v2
	v_cmp_gt_i32_e32 vcc, s40, v1
	s_nop 1
	v_cndmask_b32_e32 v2, v9, v2, vcc
	v_ashrrev_i32_e32 v3, 31, v2
	v_lshl_add_u64 v[14:15], v[2:3], 2, s[6:7]
	global_load_dword v2, v[4:5], off
	global_load_dword v10, v[6:7], off
	;; [unrolled: 1-line block ×4, first 2 shown]
	s_andn2_b64 vcc, exec, s[14:15]
	s_cbranch_vccnz .LBB109_8
; %bb.6:
	s_add_u32 s12, s12, s16
	s_addc_u32 s13, s13, s17
	s_load_dword s5, s[12:13], 0x0
	s_branch .LBB109_9
.LBB109_7:
	s_mov_b64 s[8:9], 0
	s_branch .LBB109_2
.LBB109_8:
	s_mov_b32 s5, s2
.LBB109_9:
	s_load_dwordx4 s[44:47], s[0:1], 0x48
	v_lshrrev_b32_e32 v54, 6, v0
	v_bfe_u32 v1, v0, 4, 2
	v_lshl_or_b32 v3, v54, 2, v1
	v_and_b32_e32 v55, 15, v0
	v_lshlrev_b32_e32 v4, 3, v55
	v_cmp_gt_u32_e32 vcc, 2, v3
	v_cmp_gt_u32_e64 s[30:31], 8, v55
	v_and_b32_e32 v52, 63, v0
	s_lshl_b32 s29, s4, 1
	s_and_b64 s[14:15], s[30:31], vcc
	v_lshlrev_b32_e32 v34, 1, v4
	s_and_saveexec_b64 s[12:13], s[14:15]
	s_cbranch_execz .LBB109_11
; %bb.10:
	s_load_dwordx2 s[14:15], s[0:1], 0x0
	s_waitcnt lgkmcnt(0)
	s_ashr_i32 s16, s44, 31
	s_mul_hi_u32 s17, s5, s44
	s_mul_i32 s16, s5, s16
	s_add_i32 s17, s17, s16
	s_mul_i32 s16, s5, s44
	s_lshl_b64 s[16:17], s[16:17], 1
	s_add_u32 s14, s14, s16
	v_add_lshl_u32 v4, v1, s29, 6
	s_addc_u32 s15, s15, s17
	v_ashrrev_i32_e32 v5, 31, v4
	v_lshl_add_u64 v[4:5], v[4:5], 1, s[14:15]
	v_mov_b32_e32 v35, 0
	v_lshl_add_u64 v[4:5], v[4:5], 0, v[34:35]
	global_load_dwordx4 v[4:7], v[4:5], off
	v_and_b32_e32 v11, 3, v0
	v_lshlrev_b32_e32 v12, 9, v55
	v_lshlrev_b32_e32 v3, 5, v3
	;; [unrolled: 1-line block ×3, first 2 shown]
	v_and_b32_e32 v12, 0x1800, v12
	v_or3_b32 v3, v12, v11, v3
	s_waitcnt vmcnt(0)
	ds_write_b128 v3, v[4:7]
.LBB109_11:
	s_or_b64 exec, exec, s[12:13]
	s_waitcnt lgkmcnt(0)
	s_mul_i32 s4, s4, s46
	s_mov_b32 s5, 0
	s_lshl_b64 s[4:5], s[4:5], 1
	s_add_u32 s8, s8, s4
	v_lshlrev_b32_e32 v53, 4, v0
	s_addc_u32 s9, s9, s5
	v_and_b32_e32 v6, 0xf0, v53
	v_mov_b32_e32 v7, 0
	v_lshl_add_u64 v[12:13], s[8:9], 0, v[6:7]
	s_waitcnt vmcnt(3)
	v_mad_i64_i32 v[2:3], s[8:9], v2, s45, 0
	v_lshl_add_u64 v[2:3], v[2:3], 1, v[12:13]
	v_and_b32_e32 v6, 0x300, v53
	v_and_b32_e32 v11, 1, v0
	s_waitcnt vmcnt(2)
	v_mad_i64_i32 v[20:21], s[8:9], v10, s45, 0
	s_waitcnt vmcnt(1)
	v_mad_i64_i32 v[24:25], s[8:9], v9, s45, 0
	v_lshl_add_u64 v[14:15], v[2:3], 0, v[6:7]
	s_waitcnt vmcnt(0)
	v_mad_i64_i32 v[26:27], s[8:9], v8, s45, 0
	v_lshlrev_b32_e32 v8, 5, v11
	v_lshl_add_u64 v[20:21], v[20:21], 1, v[12:13]
	v_lshl_add_u64 v[24:25], v[24:25], 1, v[12:13]
	s_load_dword s33, s[0:1], 0x98
	s_load_dword s12, s[0:1], 0x1c
	s_waitcnt lgkmcnt(0)
	s_barrier
	global_load_dwordx4 v[2:5], v[14:15], off
	v_lshl_or_b32 v8, v1, 9, v8
	v_lshl_add_u64 v[32:33], v[20:21], 0, v[6:7]
	v_lshl_add_u64 v[30:31], v[24:25], 0, v[6:7]
	ds_read_b128 v[16:19], v8
	ds_read_b128 v[8:11], v8 offset:2048
	global_load_dwordx4 v[20:23], v[32:33], off
	v_lshl_add_u64 v[12:13], v[26:27], 1, v[12:13]
	global_load_dwordx4 v[24:27], v[30:31], off
	v_lshl_add_u64 v[28:29], v[12:13], 0, v[6:7]
	global_load_dwordx4 v[12:15], v[14:15], off offset:1024
	s_nop 0
	global_load_dwordx4 v[40:43], v[28:29], off
	global_load_dwordx4 v[44:47], v[32:33], off offset:1024
	global_load_dwordx4 v[60:63], v[28:29], off offset:1024
	v_and_or_b32 v6, v0, 48, s18
	global_load_dwordx4 v[30:33], v[30:31], off offset:1024
	v_mov_b32_e32 v68, s19
	v_cmp_gt_i32_e32 vcc, s40, v6
	v_or_b32_e32 v28, 0x80, v6
	v_ashrrev_i32_e32 v29, 4, v28
	v_lshlrev_b32_e32 v35, 5, v55
	s_add_u32 s4, s10, s4
	s_addc_u32 s5, s11, s5
	s_mov_b32 s42, 0xff7fffff
	s_waitcnt vmcnt(3) lgkmcnt(1)
	v_mfma_f32_16x16x16_f16 v[64:67], v[40:41], v[16:17], 0
	v_mfma_f32_16x16x16_f16 v[36:39], v[2:3], v[16:17], 0
	v_ashrrev_i32_e32 v2, 4, v6
	v_mfma_f32_16x16x16_f16 v[48:51], v[20:21], v[16:17], 0
	v_or_b32_e32 v20, 64, v6
	v_ashrrev_i32_e32 v21, 4, v20
	v_or_b32_e32 v6, 0xc0, v6
	v_mfma_f32_16x16x16_f16 v[56:59], v[24:25], v[16:17], 0
	v_cndmask_b32_e32 v16, v68, v2, vcc
	v_ashrrev_i32_e32 v17, 31, v16
	v_lshl_add_u64 v[16:17], v[16:17], 2, s[6:7]
	v_mfma_f32_16x16x16_f16 v[2:5], v[4:5], v[18:19], v[36:39]
	v_cmp_gt_i32_e32 vcc, s40, v20
	s_nop 1
	global_load_dword v36, v[16:17], off
	v_cndmask_b32_e32 v24, v68, v21, vcc
	v_ashrrev_i32_e32 v25, 31, v24
	v_lshl_add_u64 v[16:17], v[24:25], 2, s[6:7]
	global_load_dword v37, v[16:17], off
	v_cmp_gt_i32_e32 vcc, s40, v28
	v_ashrrev_i32_e32 v38, 4, v6
	s_waitcnt lgkmcnt(0)
	v_mfma_f32_16x16x16_f16 v[2:5], v[12:13], v[8:9], v[2:5]
	v_cndmask_b32_e32 v12, v68, v29, vcc
	v_cmp_gt_i32_e32 vcc, s40, v6
	v_ashrrev_i32_e32 v13, 31, v12
	v_lshl_add_u64 v[12:13], v[12:13], 2, s[6:7]
	v_cndmask_b32_e32 v28, v68, v38, vcc
	v_ashrrev_i32_e32 v29, 31, v28
	v_mfma_f32_16x16x16_f16 v[24:27], v[26:27], v[18:19], v[56:59]
	v_lshl_add_u64 v[28:29], v[28:29], 2, s[6:7]
	s_nop 1
	global_load_dword v56, v[12:13], off
	global_load_dword v57, v[28:29], off
	v_lshl_or_b32 v6, v54, 9, v35
	v_mfma_f32_16x16x16_f16 v[20:23], v[22:23], v[18:19], v[48:51]
	v_lshl_add_u64 v[12:13], s[4:5], 0, v[6:7]
	v_mfma_f32_16x16x16_f16 v[16:19], v[42:43], v[18:19], v[64:67]
	s_waitcnt vmcnt(5)
	v_mfma_f32_16x16x16_f16 v[16:19], v[60:61], v[8:9], v[16:19]
	s_waitcnt vmcnt(4)
	v_mfma_f32_16x16x16_f16 v[24:27], v[30:31], v[8:9], v[24:27]
	v_mfma_f32_16x16x16_f16 v[28:31], v[14:15], v[10:11], v[2:5]
	;; [unrolled: 1-line block ×3, first 2 shown]
	s_waitcnt vmcnt(3)
	s_nop 0
	v_mad_i64_i32 v[2:3], s[4:5], v36, s45, 0
	v_lshl_add_u64 v[14:15], v[2:3], 1, v[12:13]
	global_load_dwordx4 v[6:9], v[14:15], off
	global_load_dwordx4 v[2:5], v[14:15], off offset:16
	v_mfma_f32_16x16x16_f16 v[14:17], v[62:63], v[10:11], v[16:19]
	s_waitcnt vmcnt(4)
	v_mad_i64_i32 v[36:37], s[4:5], v37, s45, 0
	v_lshl_add_u64 v[38:39], v[36:37], 1, v[12:13]
	v_mfma_f32_16x16x16_f16 v[20:23], v[46:47], v[10:11], v[20:23]
	v_pk_mul_f32 v[48:49], s[12:13], v[30:31] op_sel_hi:[0,1]
	s_nop 1
	v_pk_mul_f32 v[42:43], s[12:13], v[14:15] op_sel_hi:[0,1]
	v_and_b32_e32 v14, 0xc0, v0
	v_add_u32_e32 v14, s18, v14
	v_lshl_or_b32 v14, v1, 2, v14
	v_pk_mul_f32 v[36:37], s[12:13], v[16:17] op_sel_hi:[0,1]
	v_or_b32_e32 v17, 1, v14
	v_mfma_f32_16x16x16_f16 v[24:27], v[32:33], v[10:11], v[24:27]
	v_pk_mul_f32 v[10:11], s[12:13], v[28:29] op_sel_hi:[0,1]
	v_mov_b32_e32 v15, 0xff7fffff
	v_cmp_gt_i32_e64 s[4:5], s40, v14
	v_cmp_gt_i32_e64 s[34:35], s40, v17
	v_or_b32_e32 v18, 3, v14
	v_cndmask_b32_e64 v16, v15, v10, s[4:5]
	v_cndmask_b32_e64 v17, v15, v11, s[34:35]
	v_max3_f32 v16, v16, s42, v17
	v_or_b32_e32 v17, 2, v14
	v_cmp_gt_i32_e64 s[36:37], s40, v17
	v_cmp_gt_i32_e64 s[38:39], s40, v18
	v_pk_mul_f32 v[40:41], s[12:13], v[20:21] op_sel_hi:[0,1]
	v_cndmask_b32_e64 v17, v15, v48, s[36:37]
	v_cndmask_b32_e64 v18, v15, v49, s[38:39]
	v_max3_f32 v16, v16, v17, v18
	v_or_b32_e32 v17, 16, v14
	v_or_b32_e32 v18, 17, v14
	v_cmp_gt_i32_e64 s[24:25], s40, v17
	v_cmp_gt_i32_e64 s[26:27], s40, v18
	v_pk_mul_f32 v[50:51], s[12:13], v[22:23] op_sel_hi:[0,1]
	v_cndmask_b32_e64 v17, v15, v40, s[24:25]
	v_cndmask_b32_e64 v18, v15, v41, s[26:27]
	v_max3_f32 v16, v16, v17, v18
	v_or_b32_e32 v17, 18, v14
	;; [unrolled: 8-line block ×4, first 2 shown]
	v_or_b32_e32 v18, 35, v14
	v_cmp_gt_i32_e64 s[12:13], s40, v17
	v_cmp_gt_i32_e64 s[14:15], s40, v18
	global_load_dwordx4 v[30:33], v[38:39], off
	global_load_dwordx4 v[26:29], v[38:39], off offset:16
	v_cndmask_b32_e64 v17, v15, v44, s[12:13]
	v_cndmask_b32_e64 v18, v15, v45, s[14:15]
	v_max3_f32 v16, v16, v17, v18
	v_or_b32_e32 v17, 48, v14
	v_or_b32_e32 v18, 49, v14
	v_cmp_gt_i32_e64 s[8:9], s40, v17
	v_cmp_gt_i32_e64 s[10:11], s40, v18
	s_nop 0
	v_cndmask_b32_e64 v17, v15, v42, s[8:9]
	v_cndmask_b32_e64 v18, v15, v43, s[10:11]
	v_max3_f32 v16, v16, v17, v18
	v_or_b32_e32 v17, 50, v14
	v_or_b32_e32 v14, 51, v14
	v_cmp_gt_i32_e32 vcc, s40, v17
	v_cmp_gt_i32_e64 s[6:7], s40, v14
	s_nop 0
	v_cndmask_b32_e32 v17, v15, v36, vcc
	v_cndmask_b32_e64 v14, v15, v37, s[6:7]
	v_max3_f32 v16, v16, v17, v14
	v_mbcnt_lo_u32_b32 v14, -1, 0
	v_mbcnt_hi_u32_b32 v17, -1, v14
	v_and_b32_e32 v14, 64, v17
	v_add_u32_e32 v18, 64, v14
	v_xor_b32_e32 v14, 32, v17
	v_cmp_lt_i32_e64 s[40:41], v14, v18
	s_nop 1
	v_cndmask_b32_e64 v14, v17, v14, s[40:41]
	v_lshlrev_b32_e32 v58, 2, v14
	ds_bpermute_b32 v19, v58, v16
	s_waitcnt vmcnt(5)
	v_mad_i64_i32 v[14:15], s[40:41], v56, s45, 0
	v_lshl_add_u64 v[14:15], v[14:15], 1, v[12:13]
	s_waitcnt lgkmcnt(0)
	v_max_f32_e32 v19, v19, v19
	v_max_f32_e32 v16, v16, v19
	v_xor_b32_e32 v19, 16, v17
	v_cmp_lt_i32_e64 s[40:41], v19, v18
	s_nop 1
	v_cndmask_b32_e64 v17, v17, v19, s[40:41]
	v_lshlrev_b32_e32 v59, 2, v17
	ds_bpermute_b32 v17, v59, v16
	global_load_dwordx4 v[22:25], v[14:15], off
	global_load_dwordx4 v[18:21], v[14:15], off offset:16
	s_waitcnt vmcnt(6)
	v_mad_i64_i32 v[14:15], s[40:41], v57, s45, 0
	v_lshl_add_u64 v[12:13], v[14:15], 1, v[12:13]
	s_waitcnt lgkmcnt(0)
	v_max_f32_e32 v14, v17, v17
	v_max_f32_e32 v56, v16, v14
	v_sub_f32_e32 v10, v10, v56
	v_mul_f32_e32 v10, 0x3fb8aa3b, v10
	v_exp_f32_e32 v38, v10
	v_sub_f32_e32 v10, v11, v56
	v_mul_f32_e32 v10, 0x3fb8aa3b, v10
	v_exp_f32_e32 v39, v10
	global_load_dwordx4 v[14:17], v[12:13], off
	s_nop 0
	global_load_dwordx4 v[10:13], v[12:13], off offset:16
	v_sub_f32_e32 v48, v48, v56
	v_mul_f32_e32 v48, 0x3fb8aa3b, v48
	v_sub_f32_e32 v49, v49, v56
	v_exp_f32_e32 v48, v48
	v_mul_f32_e32 v49, 0x3fb8aa3b, v49
	v_sub_f32_e32 v40, v40, v56
	v_exp_f32_e32 v49, v49
	v_mul_f32_e32 v40, 0x3fb8aa3b, v40
	v_sub_f32_e32 v41, v41, v56
	v_cndmask_b32_e64 v38, 0, v38, s[4:5]
	v_exp_f32_e32 v40, v40
	v_mul_f32_e32 v41, 0x3fb8aa3b, v41
	v_sub_f32_e32 v50, v50, v56
	v_add_f32_e32 v57, 0, v38
	v_cndmask_b32_e64 v39, 0, v39, s[34:35]
	v_exp_f32_e32 v41, v41
	v_mul_f32_e32 v50, 0x3fb8aa3b, v50
	v_sub_f32_e32 v51, v51, v56
	v_add_f32_e32 v57, v57, v39
	;; [unrolled: 5-line block ×10, first 2 shown]
	v_cndmask_b32_e64 v44, 0, v44, s[12:13]
	v_exp_f32_e32 v36, v36
	v_mul_f32_e32 v37, 0x3fb8aa3b, v37
	v_add_f32_e32 v57, v57, v44
	v_cndmask_b32_e64 v45, 0, v45, s[14:15]
	v_exp_f32_e32 v37, v37
	v_add_f32_e32 v57, v57, v45
	v_cndmask_b32_e64 v42, 0, v42, s[8:9]
	v_add_f32_e32 v57, v57, v42
	v_cndmask_b32_e64 v43, 0, v43, s[10:11]
	v_add_f32_e32 v57, v57, v43
	v_cndmask_b32_e32 v36, 0, v36, vcc
	v_add_f32_e32 v57, v57, v36
	v_cndmask_b32_e64 v37, 0, v37, s[6:7]
	v_add_f32_e32 v57, v57, v37
	ds_bpermute_b32 v58, v58, v57
	v_cmp_gt_u32_e32 vcc, 16, v52
	s_waitcnt lgkmcnt(0)
	s_barrier
	v_add_f32_e32 v58, v57, v58
	ds_bpermute_b32 v59, v59, v58
	v_lshlrev_b32_e32 v57, 2, v55
	s_and_saveexec_b64 s[4:5], vcc
	s_cbranch_execz .LBB109_13
; %bb.12:
	s_waitcnt lgkmcnt(0)
	v_add_f32_e32 v55, v58, v59
	v_lshl_or_b32 v58, v54, 6, v57
	ds_write2st64_b32 v58, v56, v55 offset1:1
.LBB109_13:
	s_or_b64 exec, exec, s[4:5]
	s_load_dword s6, s[0:1], 0x94
	s_waitcnt lgkmcnt(0)
	s_barrier
	ds_read2_b32 v[58:59], v57 offset1:16
	ds_read2_b32 v[60:61], v57 offset0:32 offset1:48
	ds_read2_b32 v[62:63], v57 offset0:64 offset1:80
	s_lshl_b32 s7, s33, 1
	s_waitcnt lgkmcnt(2)
	v_max3_f32 v55, v58, s42, v59
	s_waitcnt lgkmcnt(1)
	v_max3_f32 v55, v55, v60, v61
	v_sub_f32_e32 v56, v58, v55
	v_mul_f32_e32 v56, 0x3fb8aa3b, v56
	v_exp_f32_e32 v64, v56
	v_sub_f32_e32 v56, v59, v55
	v_mul_f32_e32 v56, 0x3fb8aa3b, v56
	v_exp_f32_e32 v65, v56
	v_sub_f32_e32 v56, v60, v55
	v_mul_f32_e32 v56, 0x3fb8aa3b, v56
	v_exp_f32_e32 v60, v56
	ds_read2_b32 v[58:59], v57 offset0:96 offset1:112
	v_sub_f32_e32 v56, v61, v55
	v_mul_f32_e32 v56, 0x3fb8aa3b, v56
	v_exp_f32_e32 v57, v56
	s_waitcnt lgkmcnt(1)
	v_fma_f32 v56, v64, v62, 0
	v_fmac_f32_e32 v56, v65, v63
	s_waitcnt lgkmcnt(0)
	v_fmac_f32_e32 v56, v60, v58
	v_fmac_f32_e32 v56, v57, v59
	v_add_f32_e32 v58, 0x358637bd, v56
	v_div_scale_f32 v59, s[4:5], v58, v58, 1.0
	v_rcp_f32_e32 v61, v59
	s_barrier
	v_fma_f32 v62, -v59, v61, 1.0
	v_fmac_f32_e32 v61, v62, v61
	v_div_scale_f32 v62, vcc, 1.0, v58, 1.0
	v_mul_f32_e32 v63, v62, v61
	v_fma_f32 v66, -v59, v63, v62
	v_fmac_f32_e32 v63, v66, v61
	v_fma_f32 v59, -v59, v63, v62
	v_div_fmas_f32 v59, v59, v61, v63
	v_cmp_eq_u32_e32 vcc, 1, v54
	v_div_fixup_f32 v58, v59, v58, 1.0
	s_nop 0
	v_cndmask_b32_e32 v59, v64, v65, vcc
	v_cmp_eq_u32_e32 vcc, 2, v54
	s_nop 1
	v_cndmask_b32_e32 v59, v59, v60, vcc
	v_cmp_eq_u32_e32 vcc, 3, v54
	s_nop 1
	v_cndmask_b32_e32 v57, v59, v57, vcc
	v_mul_f32_e32 v58, v57, v58
	v_pk_mul_f32 v[38:39], v[58:59], v[38:39] op_sel_hi:[0,1]
	v_cvt_f16_f32_e32 v38, v38
	v_cvt_f16_f32_e32 v39, v39
	v_pk_mul_f32 v[48:49], v[58:59], v[48:49] op_sel_hi:[0,1]
	v_cvt_f16_f32_e32 v57, v48
	v_cvt_f16_f32_e32 v49, v49
	v_pack_b32_f16 v48, v38, v39
	v_pk_mul_f32 v[38:39], v[58:59], v[50:51] op_sel_hi:[0,1]
	v_pk_mul_f32 v[40:41], v[58:59], v[40:41] op_sel_hi:[0,1]
	v_cvt_f16_f32_e32 v40, v40
	v_cvt_f16_f32_e32 v41, v41
	;; [unrolled: 1-line block ×4, first 2 shown]
	v_pack_b32_f16 v49, v57, v49
	v_lshlrev_b32_e32 v57, 3, v1
	v_lshlrev_b32_e32 v38, 11, v54
	v_or3_b32 v38, v38, v35, v57
	v_pack_b32_f16 v40, v40, v41
	v_pack_b32_f16 v41, v50, v39
	ds_write2st64_b64 v38, v[48:49], v[40:41] offset1:1
	v_pk_mul_f32 v[40:41], v[58:59], v[44:45] op_sel_hi:[0,1]
	v_pk_mul_f32 v[44:45], v[58:59], v[46:47] op_sel_hi:[0,1]
	v_cvt_f16_f32_e32 v39, v44
	v_cvt_f16_f32_e32 v44, v45
	;; [unrolled: 1-line block ×4, first 2 shown]
	v_pk_mul_f32 v[36:37], v[58:59], v[36:37] op_sel_hi:[0,1]
	v_pk_mul_f32 v[40:41], v[58:59], v[42:43] op_sel_hi:[0,1]
	v_cvt_f16_f32_e32 v40, v40
	v_cvt_f16_f32_e32 v41, v41
	;; [unrolled: 1-line block ×4, first 2 shown]
	v_pack_b32_f16 v36, v39, v44
	v_pack_b32_f16 v37, v45, v46
	;; [unrolled: 1-line block ×4, first 2 shown]
	v_cmp_gt_u32_e32 vcc, 2, v0
	ds_write2st64_b64 v38, v[36:37], v[40:41] offset0:2 offset1:3
	s_and_saveexec_b64 s[4:5], vcc
	s_cbranch_execz .LBB109_15
; %bb.14:
	v_or_b32_e32 v36, s29, v0
	v_mov_b32_e32 v37, 0
	v_mov_b32_e32 v39, s7
	v_mad_u64_u32 v[40:41], s[12:13], s2, v39, v[36:37]
	v_mov_b32_e32 v36, s28
	s_load_dwordx4 s[8:11], s[0:1], 0x58
	s_mul_i32 s3, s3, s7
	v_mad_u64_u32 v[36:37], s[12:13], v40, s6, v[36:37]
	v_add_u32_e32 v39, s3, v41
	v_mov_b32_e32 v40, v37
	v_mad_u64_u32 v[40:41], s[12:13], v39, s6, v[40:41]
	v_mov_b32_e32 v37, v40
	v_lshlrev_b64 v[36:37], 2, v[36:37]
	s_waitcnt lgkmcnt(0)
	v_lshl_add_u64 v[40:41], s[10:11], 0, v[36:37]
	v_lshl_add_u64 v[36:37], s[8:9], 0, v[36:37]
	global_store_dword v[40:41], v55, off
	global_store_dword v[36:37], v56, off
.LBB109_15:
	s_or_b64 exec, exec, s[4:5]
	v_lshl_or_b32 v35, v1, 9, v35
	s_waitcnt lgkmcnt(0)
	s_barrier
	ds_read_b128 v[40:43], v35
	ds_read_b128 v[44:47], v35 offset:16
	s_waitcnt vmcnt(7) lgkmcnt(1)
	v_mfma_f32_16x16x16_f16 v[48:51], v[6:7], v[40:41], 0
	v_cmp_gt_u32_e32 vcc, 64, v0
	v_cmp_gt_u32_e64 s[4:5], 32, v52
	s_and_b64 s[4:5], s[4:5], vcc
	v_mfma_f32_16x16x16_f16 v[6:9], v[8:9], v[42:43], v[48:51]
	s_mov_b32 s3, 0
	s_and_b64 s[4:5], s[4:5], s[30:31]
	s_waitcnt vmcnt(6) lgkmcnt(0)
	v_mfma_f32_16x16x16_f16 v[6:9], v[2:3], v[44:45], v[6:9]
	v_mfma_f32_16x16x16_f16 v[2:5], v[4:5], v[46:47], v[6:9]
	s_nop 5
	ds_read_b128 v[6:9], v35 offset:2048
	ds_read_b128 v[40:43], v35 offset:2064
	s_waitcnt vmcnt(5) lgkmcnt(1)
	v_mfma_f32_16x16x16_f16 v[2:5], v[30:31], v[6:7], v[2:5]
	v_mfma_f32_16x16x16_f16 v[2:5], v[32:33], v[8:9], v[2:5]
	s_waitcnt vmcnt(4) lgkmcnt(0)
	v_mfma_f32_16x16x16_f16 v[2:5], v[26:27], v[40:41], v[2:5]
	v_mfma_f32_16x16x16_f16 v[2:5], v[28:29], v[42:43], v[2:5]
	ds_read_b128 v[6:9], v35 offset:4096
	ds_read_b128 v[26:29], v35 offset:4112
	s_waitcnt vmcnt(3) lgkmcnt(1)
	v_mfma_f32_16x16x16_f16 v[2:5], v[22:23], v[6:7], v[2:5]
	v_mfma_f32_16x16x16_f16 v[2:5], v[24:25], v[8:9], v[2:5]
	s_waitcnt vmcnt(2) lgkmcnt(0)
	v_mfma_f32_16x16x16_f16 v[2:5], v[18:19], v[26:27], v[2:5]
	v_mfma_f32_16x16x16_f16 v[2:5], v[20:21], v[28:29], v[2:5]
	ds_read_b128 v[6:9], v35 offset:6144
	ds_read_b128 v[18:21], v35 offset:6160
	v_mov_b32_e32 v35, 0
	s_waitcnt vmcnt(1) lgkmcnt(0)
	v_mfma_f32_16x16x16_f16 v[2:5], v[14:15], v[6:7], v[2:5]
	s_barrier
	v_mfma_f32_16x16x16_f16 v[2:5], v[16:17], v[8:9], v[2:5]
	s_waitcnt vmcnt(0)
	v_mfma_f32_16x16x16_f16 v[2:5], v[10:11], v[18:19], v[2:5]
	v_mfma_f32_16x16x16_f16 v[2:5], v[12:13], v[20:21], v[2:5]
	s_nop 6
	v_cvt_f16_f32_e32 v2, v2
	v_cvt_f16_f32_e32 v3, v3
	;; [unrolled: 1-line block ×4, first 2 shown]
	v_pack_b32_f16 v2, v2, v3
	v_pack_b32_f16 v3, v4, v5
	ds_write_b64 v38, v[2:3]
	s_waitcnt lgkmcnt(0)
	s_barrier
	s_and_saveexec_b64 s[8:9], s[4:5]
	s_cbranch_execz .LBB109_17
; %bb.16:
	s_load_dwordx2 s[0:1], s[0:1], 0x68
	s_mul_i32 s2, s7, s2
	s_lshl_b32 s6, s6, 6
	s_mul_hi_u32 s5, s2, s6
	s_mul_i32 s4, s2, s6
	v_lshlrev_b32_e32 v0, 10, v0
	s_lshl_b64 s[4:5], s[4:5], 1
	v_and_b32_e32 v0, 0x1800, v0
	v_lshlrev_b32_e32 v2, 5, v1
	v_and_b32_e32 v3, 16, v53
	s_waitcnt lgkmcnt(0)
	s_add_u32 s4, s0, s4
	v_or3_b32 v0, v0, v2, v3
	s_addc_u32 s5, s1, s5
	s_lshl_b32 s2, s28, 6
	ds_read_b128 v[2:5], v0
	s_lshl_b64 s[0:1], s[2:3], 1
	s_add_u32 s0, s4, s0
	v_or_b32_e32 v0, s29, v1
	s_addc_u32 s1, s5, s1
	v_mad_u64_u32 v[0:1], s[2:3], s6, v0, 0
	v_lshl_add_u64 v[0:1], v[0:1], 1, s[0:1]
	v_lshl_add_u64 v[0:1], v[0:1], 0, v[34:35]
	s_waitcnt lgkmcnt(0)
	global_store_dwordx4 v[0:1], v[2:5], off
.LBB109_17:
	s_endpgm
	.section	.rodata,"a",@progbits
	.p2align	6, 0x0
	.amdhsa_kernel _Z39paged_attention_ll4mi_QKV_mfma16_kernelIDF16_DF16_LN4vllm18Fp8KVCacheDataTypeE0EDF16_Li16ELi64ELi256ELb0ELi2EEvPKT_PKT0_S7_ifPKiS9_S9_iPKfiiiPfSC_PS2_PT2_iSB_SB_
		.amdhsa_group_segment_fixed_size 8192
		.amdhsa_private_segment_fixed_size 0
		.amdhsa_kernarg_size 400
		.amdhsa_user_sgpr_count 2
		.amdhsa_user_sgpr_dispatch_ptr 0
		.amdhsa_user_sgpr_queue_ptr 0
		.amdhsa_user_sgpr_kernarg_segment_ptr 1
		.amdhsa_user_sgpr_dispatch_id 0
		.amdhsa_user_sgpr_kernarg_preload_length 0
		.amdhsa_user_sgpr_kernarg_preload_offset 0
		.amdhsa_user_sgpr_private_segment_size 0
		.amdhsa_uses_dynamic_stack 0
		.amdhsa_enable_private_segment 0
		.amdhsa_system_sgpr_workgroup_id_x 1
		.amdhsa_system_sgpr_workgroup_id_y 1
		.amdhsa_system_sgpr_workgroup_id_z 1
		.amdhsa_system_sgpr_workgroup_info 0
		.amdhsa_system_vgpr_workitem_id 0
		.amdhsa_next_free_vgpr 69
		.amdhsa_next_free_sgpr 48
		.amdhsa_accum_offset 72
		.amdhsa_reserve_vcc 1
		.amdhsa_float_round_mode_32 0
		.amdhsa_float_round_mode_16_64 0
		.amdhsa_float_denorm_mode_32 3
		.amdhsa_float_denorm_mode_16_64 3
		.amdhsa_dx10_clamp 1
		.amdhsa_ieee_mode 1
		.amdhsa_fp16_overflow 0
		.amdhsa_tg_split 0
		.amdhsa_exception_fp_ieee_invalid_op 0
		.amdhsa_exception_fp_denorm_src 0
		.amdhsa_exception_fp_ieee_div_zero 0
		.amdhsa_exception_fp_ieee_overflow 0
		.amdhsa_exception_fp_ieee_underflow 0
		.amdhsa_exception_fp_ieee_inexact 0
		.amdhsa_exception_int_div_zero 0
	.end_amdhsa_kernel
	.section	.text._Z39paged_attention_ll4mi_QKV_mfma16_kernelIDF16_DF16_LN4vllm18Fp8KVCacheDataTypeE0EDF16_Li16ELi64ELi256ELb0ELi2EEvPKT_PKT0_S7_ifPKiS9_S9_iPKfiiiPfSC_PS2_PT2_iSB_SB_,"axG",@progbits,_Z39paged_attention_ll4mi_QKV_mfma16_kernelIDF16_DF16_LN4vllm18Fp8KVCacheDataTypeE0EDF16_Li16ELi64ELi256ELb0ELi2EEvPKT_PKT0_S7_ifPKiS9_S9_iPKfiiiPfSC_PS2_PT2_iSB_SB_,comdat
.Lfunc_end109:
	.size	_Z39paged_attention_ll4mi_QKV_mfma16_kernelIDF16_DF16_LN4vllm18Fp8KVCacheDataTypeE0EDF16_Li16ELi64ELi256ELb0ELi2EEvPKT_PKT0_S7_ifPKiS9_S9_iPKfiiiPfSC_PS2_PT2_iSB_SB_, .Lfunc_end109-_Z39paged_attention_ll4mi_QKV_mfma16_kernelIDF16_DF16_LN4vllm18Fp8KVCacheDataTypeE0EDF16_Li16ELi64ELi256ELb0ELi2EEvPKT_PKT0_S7_ifPKiS9_S9_iPKfiiiPfSC_PS2_PT2_iSB_SB_
                                        ; -- End function
	.section	.AMDGPU.csdata,"",@progbits
; Kernel info:
; codeLenInByte = 3700
; NumSgprs: 54
; NumVgprs: 69
; NumAgprs: 0
; TotalNumVgprs: 69
; ScratchSize: 0
; MemoryBound: 0
; FloatMode: 240
; IeeeMode: 1
; LDSByteSize: 8192 bytes/workgroup (compile time only)
; SGPRBlocks: 6
; VGPRBlocks: 8
; NumSGPRsForWavesPerEU: 54
; NumVGPRsForWavesPerEU: 69
; AccumOffset: 72
; Occupancy: 7
; WaveLimiterHint : 1
; COMPUTE_PGM_RSRC2:SCRATCH_EN: 0
; COMPUTE_PGM_RSRC2:USER_SGPR: 2
; COMPUTE_PGM_RSRC2:TRAP_HANDLER: 0
; COMPUTE_PGM_RSRC2:TGID_X_EN: 1
; COMPUTE_PGM_RSRC2:TGID_Y_EN: 1
; COMPUTE_PGM_RSRC2:TGID_Z_EN: 1
; COMPUTE_PGM_RSRC2:TIDIG_COMP_CNT: 0
; COMPUTE_PGM_RSRC3_GFX90A:ACCUM_OFFSET: 17
; COMPUTE_PGM_RSRC3_GFX90A:TG_SPLIT: 0
	.section	.text._Z39paged_attention_ll4mi_QKV_mfma16_kernelIDF16_DF16_LN4vllm18Fp8KVCacheDataTypeE0EDF16_Li16ELi64ELi256ELb0ELi3EEvPKT_PKT0_S7_ifPKiS9_S9_iPKfiiiPfSC_PS2_PT2_iSB_SB_,"axG",@progbits,_Z39paged_attention_ll4mi_QKV_mfma16_kernelIDF16_DF16_LN4vllm18Fp8KVCacheDataTypeE0EDF16_Li16ELi64ELi256ELb0ELi3EEvPKT_PKT0_S7_ifPKiS9_S9_iPKfiiiPfSC_PS2_PT2_iSB_SB_,comdat
	.protected	_Z39paged_attention_ll4mi_QKV_mfma16_kernelIDF16_DF16_LN4vllm18Fp8KVCacheDataTypeE0EDF16_Li16ELi64ELi256ELb0ELi3EEvPKT_PKT0_S7_ifPKiS9_S9_iPKfiiiPfSC_PS2_PT2_iSB_SB_ ; -- Begin function _Z39paged_attention_ll4mi_QKV_mfma16_kernelIDF16_DF16_LN4vllm18Fp8KVCacheDataTypeE0EDF16_Li16ELi64ELi256ELb0ELi3EEvPKT_PKT0_S7_ifPKiS9_S9_iPKfiiiPfSC_PS2_PT2_iSB_SB_
	.globl	_Z39paged_attention_ll4mi_QKV_mfma16_kernelIDF16_DF16_LN4vllm18Fp8KVCacheDataTypeE0EDF16_Li16ELi64ELi256ELb0ELi3EEvPKT_PKT0_S7_ifPKiS9_S9_iPKfiiiPfSC_PS2_PT2_iSB_SB_
	.p2align	8
	.type	_Z39paged_attention_ll4mi_QKV_mfma16_kernelIDF16_DF16_LN4vllm18Fp8KVCacheDataTypeE0EDF16_Li16ELi64ELi256ELb0ELi3EEvPKT_PKT0_S7_ifPKiS9_S9_iPKfiiiPfSC_PS2_PT2_iSB_SB_,@function
_Z39paged_attention_ll4mi_QKV_mfma16_kernelIDF16_DF16_LN4vllm18Fp8KVCacheDataTypeE0EDF16_Li16ELi64ELi256ELb0ELi3EEvPKT_PKT0_S7_ifPKiS9_S9_iPKfiiiPfSC_PS2_PT2_iSB_SB_: ; @_Z39paged_attention_ll4mi_QKV_mfma16_kernelIDF16_DF16_LN4vllm18Fp8KVCacheDataTypeE0EDF16_Li16ELi64ELi256ELb0ELi3EEvPKT_PKT0_S7_ifPKiS9_S9_iPKfiiiPfSC_PS2_PT2_iSB_SB_
; %bb.0:
	s_load_dwordx2 s[12:13], s[0:1], 0x30
	s_mov_b32 s28, s3
	s_mov_b64 s[6:7], 0
	s_waitcnt lgkmcnt(0)
	s_cmp_lg_u64 s[12:13], 0
	s_cselect_b64 s[14:15], -1, 0
	s_and_b64 vcc, exec, s[14:15]
	s_cbranch_vccz .LBB110_7
; %bb.1:
	s_add_i32 s8, s2, 1
	s_mov_b32 s9, 0
	s_lshl_b64 s[10:11], s[8:9], 2
	s_add_u32 s10, s12, s10
	s_mov_b32 s3, s9
	s_addc_u32 s11, s13, s11
	s_lshl_b64 s[8:9], s[2:3], 2
	s_add_u32 s8, s12, s8
	s_addc_u32 s9, s13, s9
	s_load_dword s5, s[10:11], 0x0
	s_load_dword s16, s[8:9], 0x0
	s_waitcnt lgkmcnt(0)
	s_sub_i32 s5, s5, s16
	s_cmp_eq_u32 s5, 1
	s_cselect_b64 s[8:9], -1, 0
	s_andn2_b64 vcc, exec, s[6:7]
	s_cbranch_vccnz .LBB110_3
.LBB110_2:
	s_mov_b32 s3, 0
	s_mov_b64 s[8:9], -1
.LBB110_3:
	s_andn2_b64 vcc, exec, s[8:9]
	s_cbranch_vccnz .LBB110_17
; %bb.4:
	s_load_dwordx2 s[6:7], s[0:1], 0x28
	s_lshl_b64 s[16:17], s[2:3], 2
	s_waitcnt lgkmcnt(0)
	s_add_u32 s6, s6, s16
	s_addc_u32 s7, s7, s17
	s_load_dword s33, s[6:7], 0x0
	s_lshl_b32 s18, s28, 8
	s_waitcnt lgkmcnt(0)
	s_cmp_ge_i32 s18, s33
	s_cbranch_scc1 .LBB110_17
; %bb.5:
	s_load_dwordx2 s[6:7], s[0:1], 0x20
	s_load_dword s5, s[0:1], 0x38
	s_add_i32 s8, s33, 15
	s_ashr_i32 s9, s8, 31
	v_and_b32_e32 v1, 0xcf, v0
	s_lshr_b32 s9, s9, 28
	v_add_u32_e32 v1, s18, v1
	s_add_i32 s8, s8, s9
	v_ashrrev_i32_e32 v2, 31, v1
	s_ashr_i32 s19, s8, 4
	v_lshrrev_b32_e32 v10, 28, v2
	s_add_i32 s19, s19, -1
	s_waitcnt lgkmcnt(0)
	s_mul_i32 s8, s2, s5
	s_mov_b32 s9, 0
	v_add_u32_e32 v2, v1, v10
	s_lshl_b64 s[8:9], s[8:9], 2
	v_ashrrev_i32_e32 v2, 4, v2
	v_mov_b32_e32 v11, s19
	v_cmp_gt_i32_e32 vcc, s33, v1
	s_add_u32 s6, s6, s8
	s_addc_u32 s7, s7, s9
	v_cndmask_b32_e32 v2, v11, v2, vcc
	v_ashrrev_i32_e32 v3, 31, v2
	v_lshl_add_u64 v[4:5], v[2:3], 2, s[6:7]
	v_or_b32_e32 v2, 16, v1
	v_add_u32_e32 v3, v2, v10
	v_ashrrev_i32_e32 v3, 4, v3
	v_cmp_gt_i32_e32 vcc, s33, v2
	s_load_dwordx4 s[8:11], s[0:1], 0x8
	s_nop 0
	v_cndmask_b32_e32 v2, v11, v3, vcc
	v_ashrrev_i32_e32 v3, 31, v2
	v_lshl_add_u64 v[6:7], v[2:3], 2, s[6:7]
	v_or_b32_e32 v2, 32, v1
	v_add_u32_e32 v3, v2, v10
	v_ashrrev_i32_e32 v3, 4, v3
	v_cmp_gt_i32_e32 vcc, s33, v2
	v_or_b32_e32 v1, 48, v1
	s_nop 0
	v_cndmask_b32_e32 v2, v11, v3, vcc
	v_ashrrev_i32_e32 v3, 31, v2
	v_lshl_add_u64 v[8:9], v[2:3], 2, s[6:7]
	v_add_u32_e32 v2, v1, v10
	v_ashrrev_i32_e32 v2, 4, v2
	v_cmp_gt_i32_e32 vcc, s33, v1
	s_nop 1
	v_cndmask_b32_e32 v2, v11, v2, vcc
	v_ashrrev_i32_e32 v3, 31, v2
	v_lshl_add_u64 v[12:13], v[2:3], 2, s[6:7]
	global_load_dword v3, v[4:5], off
	global_load_dword v2, v[6:7], off
	;; [unrolled: 1-line block ×4, first 2 shown]
	s_andn2_b64 vcc, exec, s[14:15]
	s_cbranch_vccnz .LBB110_8
; %bb.6:
	s_add_u32 s12, s12, s16
	s_addc_u32 s13, s13, s17
	s_load_dword s5, s[12:13], 0x0
	s_branch .LBB110_9
.LBB110_7:
	s_mov_b64 s[8:9], 0
	s_branch .LBB110_2
.LBB110_8:
	s_mov_b32 s5, s2
.LBB110_9:
	s_load_dwordx4 s[44:47], s[0:1], 0x48
	v_lshrrev_b32_e32 v37, 6, v0
	v_bfe_u32 v54, v0, 4, 2
	v_lshl_or_b32 v4, v37, 2, v54
	v_and_b32_e32 v36, 15, v0
	s_mul_i32 s42, s4, 3
	v_lshlrev_b32_e32 v5, 3, v36
	v_cmp_gt_u32_e32 vcc, 3, v4
	v_cmp_gt_u32_e64 s[30:31], 8, v36
	v_and_b32_e32 v56, 63, v0
	v_add_u32_e32 v1, s42, v54
	s_and_b64 s[14:15], s[30:31], vcc
	v_lshlrev_b32_e32 v34, 1, v5
	s_and_saveexec_b64 s[12:13], s[14:15]
	s_cbranch_execz .LBB110_11
; %bb.10:
	s_load_dwordx2 s[14:15], s[0:1], 0x0
	s_waitcnt lgkmcnt(0)
	s_ashr_i32 s16, s44, 31
	s_mul_hi_u32 s17, s5, s44
	s_mul_i32 s16, s5, s16
	s_add_i32 s17, s17, s16
	s_mul_i32 s16, s5, s44
	s_lshl_b64 s[16:17], s[16:17], 1
	s_add_u32 s14, s14, s16
	v_lshlrev_b32_e32 v6, 6, v1
	s_addc_u32 s15, s15, s17
	v_ashrrev_i32_e32 v7, 31, v6
	v_lshl_add_u64 v[6:7], v[6:7], 1, s[14:15]
	v_mov_b32_e32 v35, 0
	v_lshl_add_u64 v[6:7], v[6:7], 0, v[34:35]
	global_load_dwordx4 v[6:9], v[6:7], off
	v_and_b32_e32 v5, 3, v0
	v_lshlrev_b32_e32 v11, 9, v36
	v_lshlrev_b32_e32 v4, 5, v4
	;; [unrolled: 1-line block ×3, first 2 shown]
	v_and_b32_e32 v11, 0x1800, v11
	v_or3_b32 v4, v11, v5, v4
	s_waitcnt vmcnt(0)
	ds_write_b128 v4, v[6:9]
.LBB110_11:
	s_or_b64 exec, exec, s[12:13]
	s_waitcnt lgkmcnt(0)
	s_mul_i32 s4, s4, s46
	s_mov_b32 s5, 0
	s_lshl_b64 s[4:5], s[4:5], 1
	s_add_u32 s8, s8, s4
	v_lshlrev_b32_e32 v55, 4, v0
	s_addc_u32 s9, s9, s5
	v_and_b32_e32 v30, 0xf0, v55
	v_mov_b32_e32 v31, 0
	v_lshl_add_u64 v[18:19], s[8:9], 0, v[30:31]
	s_waitcnt vmcnt(3)
	v_mad_i64_i32 v[4:5], s[8:9], v3, s45, 0
	v_lshl_add_u64 v[4:5], v[4:5], 1, v[18:19]
	v_and_b32_e32 v30, 0x300, v55
	s_waitcnt vmcnt(2)
	v_mad_i64_i32 v[2:3], s[8:9], v2, s45, 0
	v_lshl_add_u64 v[14:15], v[4:5], 0, v[30:31]
	v_lshl_add_u64 v[2:3], v[2:3], 1, v[18:19]
	s_load_dword s29, s[0:1], 0x98
	s_load_dword s12, s[0:1], 0x1c
	s_waitcnt lgkmcnt(0)
	s_barrier
	global_load_dwordx4 v[6:9], v[14:15], off
	global_load_dwordx4 v[26:29], v[14:15], off offset:1024
	v_lshl_add_u64 v[32:33], v[2:3], 0, v[30:31]
	global_load_dwordx4 v[2:5], v[32:33], off
	global_load_dwordx4 v[46:49], v[32:33], off offset:1024
	s_waitcnt vmcnt(5)
	v_mad_i64_i32 v[10:11], s[8:9], v10, s45, 0
	v_lshl_add_u64 v[10:11], v[10:11], 1, v[18:19]
	v_lshl_add_u64 v[38:39], v[10:11], 0, v[30:31]
	global_load_dwordx4 v[10:13], v[38:39], off
	global_load_dwordx4 v[58:61], v[38:39], off offset:1024
	s_waitcnt vmcnt(6)
	v_mad_i64_i32 v[16:17], s[8:9], v16, s45, 0
	v_lshl_add_u64 v[16:17], v[16:17], 1, v[18:19]
	v_lshl_add_u64 v[40:41], v[16:17], 0, v[30:31]
	global_load_dwordx4 v[18:21], v[40:41], off
	v_mul_lo_u16_e32 v16, 0x56, v36
	v_mov_b32_e32 v17, 3
	v_mul_lo_u16_sdwa v16, v16, v17 dst_sel:DWORD dst_unused:UNUSED_PAD src0_sel:BYTE_1 src1_sel:DWORD
	v_mov_b32_e32 v22, 5
	v_sub_u16_e32 v16, v36, v16
	v_lshlrev_b32_sdwa v16, v22, v16 dst_sel:DWORD dst_unused:UNUSED_PAD src0_sel:DWORD src1_sel:BYTE_0
	v_lshl_add_u32 v16, v54, 9, v16
	ds_read_b128 v[22:25], v16
	global_load_dwordx4 v[38:41], v[40:41], off offset:1024
	v_and_or_b32 v30, v0, 48, s18
	v_mov_b32_e32 v57, s19
	v_cmp_gt_i32_e32 vcc, s33, v30
	ds_read_b128 v[14:17], v16 offset:2048
	v_lshlrev_b32_e32 v35, 5, v36
	s_add_u32 s4, s10, s4
	s_addc_u32 s5, s11, s5
	s_mov_b32 s43, 0xff7fffff
	s_waitcnt vmcnt(7) lgkmcnt(1)
	v_mfma_f32_16x16x16_f16 v[42:45], v[6:7], v[22:23], 0
	v_ashrrev_i32_e32 v6, 4, v30
	v_or_b32_e32 v7, 64, v30
	s_waitcnt vmcnt(5)
	v_mfma_f32_16x16x16_f16 v[50:53], v[2:3], v[22:23], 0
	v_cndmask_b32_e32 v2, v57, v6, vcc
	v_ashrrev_i32_e32 v3, 31, v2
	v_ashrrev_i32_e32 v6, 4, v7
	v_cmp_gt_i32_e32 vcc, s33, v7
	v_lshl_add_u64 v[2:3], v[2:3], 2, s[6:7]
	s_waitcnt vmcnt(3)
	v_mfma_f32_16x16x16_f16 v[62:65], v[10:11], v[22:23], 0
	v_cndmask_b32_e32 v10, v57, v6, vcc
	v_ashrrev_i32_e32 v11, 31, v10
	v_lshl_add_u64 v[10:11], v[10:11], 2, s[6:7]
	v_mfma_f32_16x16x16_f16 v[6:9], v[8:9], v[24:25], v[42:45]
	s_nop 2
	global_load_dword v42, v[2:3], off
	global_load_dword v43, v[10:11], off
	s_waitcnt vmcnt(3)
	v_mfma_f32_16x16x16_f16 v[66:69], v[18:19], v[22:23], 0
	v_or_b32_e32 v22, 0x80, v30
	v_or_b32_e32 v23, 0xc0, v30
	v_ashrrev_i32_e32 v30, 4, v22
	v_cmp_gt_i32_e32 vcc, s33, v22
	v_ashrrev_i32_e32 v32, 4, v23
	v_mfma_f32_16x16x16_f16 v[2:5], v[4:5], v[24:25], v[50:53]
	v_cndmask_b32_e32 v22, v57, v30, vcc
	v_cmp_gt_i32_e32 vcc, s33, v23
	v_ashrrev_i32_e32 v23, 31, v22
	v_mfma_f32_16x16x16_f16 v[10:13], v[12:13], v[24:25], v[62:65]
	v_lshl_or_b32 v30, v37, 9, v35
	v_mfma_f32_16x16x16_f16 v[18:21], v[20:21], v[24:25], v[66:69]
	v_cndmask_b32_e32 v24, v57, v32, vcc
	v_ashrrev_i32_e32 v25, 31, v24
	v_lshl_add_u64 v[32:33], v[24:25], 2, s[6:7]
	s_waitcnt lgkmcnt(0)
	v_mfma_f32_16x16x16_f16 v[6:9], v[26:27], v[14:15], v[6:9]
	v_lshl_add_u64 v[26:27], v[22:23], 2, s[6:7]
	global_load_dword v57, v[26:27], off
	global_load_dword v62, v[32:33], off
	v_mfma_f32_16x16x16_f16 v[2:5], v[46:47], v[14:15], v[2:5]
	v_mfma_f32_16x16x16_f16 v[22:25], v[58:59], v[14:15], v[10:13]
	s_waitcnt vmcnt(4)
	v_mfma_f32_16x16x16_f16 v[18:21], v[38:39], v[14:15], v[18:21]
	s_nop 0
	v_lshl_add_u64 v[10:11], s[4:5], 0, v[30:31]
	s_waitcnt vmcnt(3)
	v_mad_i64_i32 v[26:27], s[4:5], v42, s45, 0
	v_mfma_f32_16x16x16_f16 v[12:15], v[28:29], v[16:17], v[6:9]
	v_lshl_add_u64 v[30:31], v[26:27], 1, v[10:11]
	s_waitcnt vmcnt(2)
	v_mad_i64_i32 v[32:33], s[4:5], v43, s45, 0
	v_mfma_f32_16x16x16_f16 v[26:29], v[48:49], v[16:17], v[2:5]
	v_lshl_add_u64 v[58:59], v[32:33], 1, v[10:11]
	s_nop 1
	v_pk_mul_f32 v[50:51], s[12:13], v[14:15] op_sel_hi:[0,1]
	v_pk_mul_f32 v[12:13], s[12:13], v[12:13] op_sel_hi:[0,1]
	v_mfma_f32_16x16x16_f16 v[22:25], v[60:61], v[16:17], v[22:25]
	global_load_dwordx4 v[6:9], v[30:31], off
	global_load_dwordx4 v[2:5], v[30:31], off offset:16
	v_pk_mul_f32 v[42:43], s[12:13], v[26:27] op_sel_hi:[0,1]
	v_pk_mul_f32 v[52:53], s[12:13], v[28:29] op_sel_hi:[0,1]
	v_mfma_f32_16x16x16_f16 v[14:17], v[40:41], v[16:17], v[18:21]
	s_nop 1
	v_pk_mul_f32 v[48:49], s[12:13], v[22:23] op_sel_hi:[0,1]
	v_pk_mul_f32 v[46:47], s[12:13], v[24:25] op_sel_hi:[0,1]
	global_load_dwordx4 v[30:33], v[58:59], off
	global_load_dwordx4 v[26:29], v[58:59], off offset:16
	s_nop 0
	v_pk_mul_f32 v[44:45], s[12:13], v[14:15] op_sel_hi:[0,1]
	v_and_b32_e32 v14, 0xc0, v0
	v_add_u32_e32 v14, s18, v14
	v_lshl_or_b32 v14, v54, 2, v14
	v_pk_mul_f32 v[38:39], s[12:13], v[16:17] op_sel_hi:[0,1]
	v_or_b32_e32 v17, 1, v14
	v_mov_b32_e32 v15, 0xff7fffff
	v_cmp_gt_i32_e64 s[4:5], s33, v14
	v_cmp_gt_i32_e64 s[34:35], s33, v17
	v_or_b32_e32 v18, 3, v14
	v_cndmask_b32_e64 v16, v15, v12, s[4:5]
	v_cndmask_b32_e64 v17, v15, v13, s[34:35]
	v_max3_f32 v16, v16, s43, v17
	v_or_b32_e32 v17, 2, v14
	v_cmp_gt_i32_e64 s[36:37], s33, v17
	v_cmp_gt_i32_e64 s[38:39], s33, v18
	s_nop 0
	v_cndmask_b32_e64 v17, v15, v50, s[36:37]
	v_cndmask_b32_e64 v18, v15, v51, s[38:39]
	v_max3_f32 v16, v16, v17, v18
	v_or_b32_e32 v17, 16, v14
	v_or_b32_e32 v18, 17, v14
	v_cmp_gt_i32_e64 s[24:25], s33, v17
	v_cmp_gt_i32_e64 s[26:27], s33, v18
	s_nop 0
	v_cndmask_b32_e64 v17, v15, v42, s[24:25]
	v_cndmask_b32_e64 v18, v15, v43, s[26:27]
	v_max3_f32 v16, v16, v17, v18
	v_or_b32_e32 v17, 18, v14
	;; [unrolled: 8-line block ×6, first 2 shown]
	v_or_b32_e32 v14, 51, v14
	v_cmp_gt_i32_e32 vcc, s33, v17
	v_cmp_gt_i32_e64 s[6:7], s33, v14
	s_nop 0
	v_cndmask_b32_e32 v17, v15, v38, vcc
	v_cndmask_b32_e64 v14, v15, v39, s[6:7]
	v_max3_f32 v16, v16, v17, v14
	v_mbcnt_lo_u32_b32 v14, -1, 0
	v_mbcnt_hi_u32_b32 v17, -1, v14
	v_and_b32_e32 v14, 64, v17
	v_add_u32_e32 v18, 64, v14
	v_xor_b32_e32 v14, 32, v17
	v_cmp_lt_i32_e64 s[40:41], v14, v18
	s_nop 1
	v_cndmask_b32_e64 v14, v17, v14, s[40:41]
	v_lshlrev_b32_e32 v60, 2, v14
	ds_bpermute_b32 v19, v60, v16
	s_waitcnt vmcnt(5)
	v_mad_i64_i32 v[14:15], s[40:41], v57, s45, 0
	v_lshl_add_u64 v[14:15], v[14:15], 1, v[10:11]
	s_waitcnt lgkmcnt(0)
	v_max_f32_e32 v19, v19, v19
	v_max_f32_e32 v16, v16, v19
	v_xor_b32_e32 v19, 16, v17
	v_cmp_lt_i32_e64 s[40:41], v19, v18
	s_nop 1
	v_cndmask_b32_e64 v17, v17, v19, s[40:41]
	v_lshlrev_b32_e32 v58, 2, v17
	ds_bpermute_b32 v17, v58, v16
	global_load_dwordx4 v[22:25], v[14:15], off
	global_load_dwordx4 v[18:21], v[14:15], off offset:16
	s_waitcnt vmcnt(6)
	v_mad_i64_i32 v[14:15], s[40:41], v62, s45, 0
	v_lshl_add_u64 v[10:11], v[14:15], 1, v[10:11]
	s_waitcnt lgkmcnt(0)
	v_max_f32_e32 v14, v17, v17
	v_max_f32_e32 v57, v16, v14
	v_sub_f32_e32 v12, v12, v57
	v_mul_f32_e32 v12, 0x3fb8aa3b, v12
	v_exp_f32_e32 v40, v12
	v_sub_f32_e32 v12, v13, v57
	v_mul_f32_e32 v12, 0x3fb8aa3b, v12
	v_exp_f32_e32 v41, v12
	global_load_dwordx4 v[14:17], v[10:11], off
	s_nop 0
	global_load_dwordx4 v[10:13], v[10:11], off offset:16
	v_sub_f32_e32 v50, v50, v57
	v_mul_f32_e32 v50, 0x3fb8aa3b, v50
	v_sub_f32_e32 v51, v51, v57
	v_exp_f32_e32 v50, v50
	v_mul_f32_e32 v51, 0x3fb8aa3b, v51
	v_sub_f32_e32 v42, v42, v57
	v_exp_f32_e32 v51, v51
	v_mul_f32_e32 v42, 0x3fb8aa3b, v42
	v_sub_f32_e32 v43, v43, v57
	v_cndmask_b32_e64 v40, 0, v40, s[4:5]
	v_exp_f32_e32 v42, v42
	v_mul_f32_e32 v43, 0x3fb8aa3b, v43
	v_sub_f32_e32 v52, v52, v57
	v_add_f32_e32 v59, 0, v40
	v_cndmask_b32_e64 v41, 0, v41, s[34:35]
	v_exp_f32_e32 v43, v43
	v_mul_f32_e32 v52, 0x3fb8aa3b, v52
	v_sub_f32_e32 v53, v53, v57
	v_add_f32_e32 v59, v59, v41
	;; [unrolled: 5-line block ×10, first 2 shown]
	v_cndmask_b32_e64 v46, 0, v46, s[12:13]
	v_exp_f32_e32 v38, v38
	v_mul_f32_e32 v39, 0x3fb8aa3b, v39
	v_add_f32_e32 v59, v59, v46
	v_cndmask_b32_e64 v47, 0, v47, s[14:15]
	v_exp_f32_e32 v39, v39
	v_add_f32_e32 v59, v59, v47
	v_cndmask_b32_e64 v44, 0, v44, s[8:9]
	v_add_f32_e32 v59, v59, v44
	v_cndmask_b32_e64 v45, 0, v45, s[10:11]
	v_add_f32_e32 v59, v59, v45
	v_cndmask_b32_e32 v38, 0, v38, vcc
	v_add_f32_e32 v59, v59, v38
	v_cndmask_b32_e64 v39, 0, v39, s[6:7]
	v_add_f32_e32 v59, v59, v39
	ds_bpermute_b32 v60, v60, v59
	v_cmp_gt_u32_e32 vcc, 16, v56
	s_waitcnt lgkmcnt(0)
	s_barrier
	v_add_f32_e32 v59, v59, v60
	ds_bpermute_b32 v60, v58, v59
	v_lshlrev_b32_e32 v58, 2, v36
	s_and_saveexec_b64 s[4:5], vcc
	s_cbranch_execz .LBB110_13
; %bb.12:
	s_waitcnt lgkmcnt(0)
	v_add_f32_e32 v56, v59, v60
	v_lshl_or_b32 v59, v37, 6, v58
	ds_write2st64_b32 v59, v57, v56 offset1:1
.LBB110_13:
	s_or_b64 exec, exec, s[4:5]
	s_load_dword s6, s[0:1], 0x94
	s_waitcnt lgkmcnt(0)
	s_barrier
	ds_read2_b32 v[60:61], v58 offset1:16
	ds_read2_b32 v[62:63], v58 offset0:32 offset1:48
	ds_read2_b32 v[64:65], v58 offset0:64 offset1:80
	;; [unrolled: 1-line block ×3, first 2 shown]
	s_waitcnt lgkmcnt(0)
	v_max3_f32 v56, v60, s43, v61
	v_max3_f32 v56, v56, v62, v63
	v_sub_f32_e32 v57, v60, v56
	v_mul_f32_e32 v57, 0x3fb8aa3b, v57
	v_exp_f32_e32 v60, v57
	v_sub_f32_e32 v57, v61, v56
	v_mul_f32_e32 v57, 0x3fb8aa3b, v57
	v_exp_f32_e32 v61, v57
	;; [unrolled: 3-line block ×4, first 2 shown]
	v_fma_f32 v57, v60, v64, 0
	v_fmac_f32_e32 v57, v61, v65
	v_fmac_f32_e32 v57, v62, v58
	;; [unrolled: 1-line block ×3, first 2 shown]
	v_add_f32_e32 v58, 0x358637bd, v57
	v_div_scale_f32 v59, s[4:5], v58, v58, 1.0
	v_rcp_f32_e32 v64, v59
	s_barrier
	s_mul_i32 s7, s29, 3
	v_fma_f32 v65, -v59, v64, 1.0
	v_fmac_f32_e32 v64, v65, v64
	v_div_scale_f32 v65, vcc, 1.0, v58, 1.0
	v_mul_f32_e32 v66, v65, v64
	v_fma_f32 v67, -v59, v66, v65
	v_fmac_f32_e32 v66, v67, v64
	v_fma_f32 v59, -v59, v66, v65
	v_div_fmas_f32 v59, v59, v64, v66
	v_cmp_eq_u32_e32 vcc, 1, v37
	v_div_fixup_f32 v58, v59, v58, 1.0
	s_nop 0
	v_cndmask_b32_e32 v59, v60, v61, vcc
	v_cmp_eq_u32_e32 vcc, 2, v37
	s_nop 1
	v_cndmask_b32_e32 v59, v59, v62, vcc
	v_cmp_eq_u32_e32 vcc, 3, v37
	v_lshlrev_b32_e32 v37, 11, v37
	s_nop 0
	v_cndmask_b32_e32 v59, v59, v63, vcc
	v_mul_f32_e32 v58, v59, v58
	v_pk_mul_f32 v[50:51], v[58:59], v[50:51] op_sel_hi:[0,1]
	v_pk_mul_f32 v[40:41], v[58:59], v[40:41] op_sel_hi:[0,1]
	v_cvt_f16_f32_e32 v59, v50
	v_cvt_f16_f32_e32 v51, v51
	;; [unrolled: 1-line block ×4, first 2 shown]
	v_cmp_gt_u32_e32 vcc, 3, v0
	v_pack_b32_f16 v51, v59, v51
	v_lshlrev_b32_e32 v59, 3, v54
	v_pack_b32_f16 v50, v40, v41
	v_pk_mul_f32 v[40:41], v[58:59], v[52:53] op_sel_hi:[0,1]
	v_pk_mul_f32 v[42:43], v[58:59], v[42:43] op_sel_hi:[0,1]
	v_cvt_f16_f32_e32 v42, v42
	v_cvt_f16_f32_e32 v43, v43
	;; [unrolled: 1-line block ×4, first 2 shown]
	v_or3_b32 v40, v37, v35, v59
	v_pack_b32_f16 v42, v42, v43
	v_pk_mul_f32 v[38:39], v[58:59], v[38:39] op_sel_hi:[0,1]
	v_pack_b32_f16 v43, v52, v41
	ds_write2st64_b64 v40, v[50:51], v[42:43] offset1:1
	v_pk_mul_f32 v[42:43], v[58:59], v[46:47] op_sel_hi:[0,1]
	v_pk_mul_f32 v[46:47], v[58:59], v[48:49] op_sel_hi:[0,1]
	v_cvt_f16_f32_e32 v37, v46
	v_cvt_f16_f32_e32 v41, v47
	;; [unrolled: 1-line block ×4, first 2 shown]
	v_pk_mul_f32 v[42:43], v[58:59], v[44:45] op_sel_hi:[0,1]
	v_cvt_f16_f32_e32 v42, v42
	v_cvt_f16_f32_e32 v43, v43
	;; [unrolled: 1-line block ×4, first 2 shown]
	v_pack_b32_f16 v38, v37, v41
	v_pack_b32_f16 v39, v46, v47
	;; [unrolled: 1-line block ×4, first 2 shown]
	ds_write2st64_b64 v40, v[38:39], v[42:43] offset0:2 offset1:3
	s_and_saveexec_b64 s[4:5], vcc
	s_cbranch_execz .LBB110_15
; %bb.14:
	s_mov_b32 s43, 0
	v_mov_b32_e32 v37, 0
	v_lshl_add_u64 v[38:39], s[42:43], 0, v[36:37]
	v_mov_b32_e32 v36, s7
	v_mad_u64_u32 v[38:39], s[12:13], s2, v36, v[38:39]
	v_mov_b32_e32 v36, s28
	s_load_dwordx4 s[8:11], s[0:1], 0x58
	s_mul_i32 s3, s3, s7
	v_mad_u64_u32 v[36:37], s[12:13], v38, s6, v[36:37]
	v_add_u32_e32 v39, s3, v39
	v_mov_b32_e32 v38, v37
	v_mad_u64_u32 v[38:39], s[12:13], v39, s6, v[38:39]
	v_mov_b32_e32 v37, v38
	v_lshlrev_b64 v[36:37], 2, v[36:37]
	s_waitcnt lgkmcnt(0)
	v_lshl_add_u64 v[38:39], s[10:11], 0, v[36:37]
	v_lshl_add_u64 v[36:37], s[8:9], 0, v[36:37]
	global_store_dword v[38:39], v56, off
	global_store_dword v[36:37], v57, off
.LBB110_15:
	s_or_b64 exec, exec, s[4:5]
	v_lshl_or_b32 v35, v54, 9, v35
	s_waitcnt lgkmcnt(0)
	s_barrier
	ds_read_b128 v[36:39], v35
	ds_read_b128 v[42:45], v35 offset:16
	s_waitcnt vmcnt(7) lgkmcnt(1)
	v_mfma_f32_16x16x16_f16 v[46:49], v[6:7], v[36:37], 0
	v_cmp_gt_u32_e32 vcc, 64, v0
	v_cmp_ne_u32_e64 s[4:5], 3, v54
	s_and_b64 s[4:5], s[4:5], vcc
	v_mfma_f32_16x16x16_f16 v[6:9], v[8:9], v[38:39], v[46:49]
	s_mov_b32 s3, 0
	s_and_b64 s[4:5], s[4:5], s[30:31]
	s_waitcnt vmcnt(6) lgkmcnt(0)
	v_mfma_f32_16x16x16_f16 v[6:9], v[2:3], v[42:43], v[6:9]
	v_mfma_f32_16x16x16_f16 v[2:5], v[4:5], v[44:45], v[6:9]
	s_nop 5
	ds_read_b128 v[6:9], v35 offset:2048
	ds_read_b128 v[36:39], v35 offset:2064
	s_waitcnt vmcnt(5) lgkmcnt(1)
	v_mfma_f32_16x16x16_f16 v[2:5], v[30:31], v[6:7], v[2:5]
	v_mfma_f32_16x16x16_f16 v[2:5], v[32:33], v[8:9], v[2:5]
	s_waitcnt vmcnt(4) lgkmcnt(0)
	v_mfma_f32_16x16x16_f16 v[2:5], v[26:27], v[36:37], v[2:5]
	v_mfma_f32_16x16x16_f16 v[2:5], v[28:29], v[38:39], v[2:5]
	ds_read_b128 v[6:9], v35 offset:4096
	ds_read_b128 v[26:29], v35 offset:4112
	s_waitcnt vmcnt(3) lgkmcnt(1)
	v_mfma_f32_16x16x16_f16 v[2:5], v[22:23], v[6:7], v[2:5]
	v_mfma_f32_16x16x16_f16 v[2:5], v[24:25], v[8:9], v[2:5]
	s_waitcnt vmcnt(2) lgkmcnt(0)
	v_mfma_f32_16x16x16_f16 v[2:5], v[18:19], v[26:27], v[2:5]
	v_mfma_f32_16x16x16_f16 v[2:5], v[20:21], v[28:29], v[2:5]
	ds_read_b128 v[6:9], v35 offset:6144
	ds_read_b128 v[18:21], v35 offset:6160
	v_mov_b32_e32 v35, 0
	s_waitcnt vmcnt(1) lgkmcnt(0)
	v_mfma_f32_16x16x16_f16 v[2:5], v[14:15], v[6:7], v[2:5]
	s_barrier
	v_mfma_f32_16x16x16_f16 v[2:5], v[16:17], v[8:9], v[2:5]
	s_waitcnt vmcnt(0)
	v_mfma_f32_16x16x16_f16 v[2:5], v[10:11], v[18:19], v[2:5]
	v_mfma_f32_16x16x16_f16 v[2:5], v[12:13], v[20:21], v[2:5]
	s_nop 6
	v_cvt_f16_f32_e32 v2, v2
	v_cvt_f16_f32_e32 v3, v3
	;; [unrolled: 1-line block ×4, first 2 shown]
	v_pack_b32_f16 v2, v2, v3
	v_pack_b32_f16 v3, v4, v5
	ds_write_b64 v40, v[2:3]
	s_waitcnt lgkmcnt(0)
	s_barrier
	s_and_saveexec_b64 s[8:9], s[4:5]
	s_cbranch_execz .LBB110_17
; %bb.16:
	s_load_dwordx2 s[0:1], s[0:1], 0x68
	s_mul_i32 s2, s7, s2
	s_lshl_b32 s6, s6, 6
	s_mul_hi_u32 s5, s2, s6
	s_mul_i32 s4, s2, s6
	v_lshlrev_b32_e32 v0, 10, v0
	s_lshl_b64 s[4:5], s[4:5], 1
	v_and_b32_e32 v0, 0x1800, v0
	v_lshlrev_b32_e32 v2, 5, v54
	v_and_b32_e32 v3, 16, v55
	s_waitcnt lgkmcnt(0)
	s_add_u32 s4, s0, s4
	v_or3_b32 v0, v0, v2, v3
	s_addc_u32 s5, s1, s5
	s_lshl_b32 s2, s28, 6
	ds_read_b128 v[2:5], v0
	s_lshl_b64 s[0:1], s[2:3], 1
	s_add_u32 s0, s4, s0
	s_addc_u32 s1, s5, s1
	v_mad_u64_u32 v[0:1], s[2:3], s6, v1, 0
	v_lshl_add_u64 v[0:1], v[0:1], 1, s[0:1]
	v_lshl_add_u64 v[0:1], v[0:1], 0, v[34:35]
	s_waitcnt lgkmcnt(0)
	global_store_dwordx4 v[0:1], v[2:5], off
.LBB110_17:
	s_endpgm
	.section	.rodata,"a",@progbits
	.p2align	6, 0x0
	.amdhsa_kernel _Z39paged_attention_ll4mi_QKV_mfma16_kernelIDF16_DF16_LN4vllm18Fp8KVCacheDataTypeE0EDF16_Li16ELi64ELi256ELb0ELi3EEvPKT_PKT0_S7_ifPKiS9_S9_iPKfiiiPfSC_PS2_PT2_iSB_SB_
		.amdhsa_group_segment_fixed_size 8192
		.amdhsa_private_segment_fixed_size 0
		.amdhsa_kernarg_size 400
		.amdhsa_user_sgpr_count 2
		.amdhsa_user_sgpr_dispatch_ptr 0
		.amdhsa_user_sgpr_queue_ptr 0
		.amdhsa_user_sgpr_kernarg_segment_ptr 1
		.amdhsa_user_sgpr_dispatch_id 0
		.amdhsa_user_sgpr_kernarg_preload_length 0
		.amdhsa_user_sgpr_kernarg_preload_offset 0
		.amdhsa_user_sgpr_private_segment_size 0
		.amdhsa_uses_dynamic_stack 0
		.amdhsa_enable_private_segment 0
		.amdhsa_system_sgpr_workgroup_id_x 1
		.amdhsa_system_sgpr_workgroup_id_y 1
		.amdhsa_system_sgpr_workgroup_id_z 1
		.amdhsa_system_sgpr_workgroup_info 0
		.amdhsa_system_vgpr_workitem_id 0
		.amdhsa_next_free_vgpr 70
		.amdhsa_next_free_sgpr 48
		.amdhsa_accum_offset 72
		.amdhsa_reserve_vcc 1
		.amdhsa_float_round_mode_32 0
		.amdhsa_float_round_mode_16_64 0
		.amdhsa_float_denorm_mode_32 3
		.amdhsa_float_denorm_mode_16_64 3
		.amdhsa_dx10_clamp 1
		.amdhsa_ieee_mode 1
		.amdhsa_fp16_overflow 0
		.amdhsa_tg_split 0
		.amdhsa_exception_fp_ieee_invalid_op 0
		.amdhsa_exception_fp_denorm_src 0
		.amdhsa_exception_fp_ieee_div_zero 0
		.amdhsa_exception_fp_ieee_overflow 0
		.amdhsa_exception_fp_ieee_underflow 0
		.amdhsa_exception_fp_ieee_inexact 0
		.amdhsa_exception_int_div_zero 0
	.end_amdhsa_kernel
	.section	.text._Z39paged_attention_ll4mi_QKV_mfma16_kernelIDF16_DF16_LN4vllm18Fp8KVCacheDataTypeE0EDF16_Li16ELi64ELi256ELb0ELi3EEvPKT_PKT0_S7_ifPKiS9_S9_iPKfiiiPfSC_PS2_PT2_iSB_SB_,"axG",@progbits,_Z39paged_attention_ll4mi_QKV_mfma16_kernelIDF16_DF16_LN4vllm18Fp8KVCacheDataTypeE0EDF16_Li16ELi64ELi256ELb0ELi3EEvPKT_PKT0_S7_ifPKiS9_S9_iPKfiiiPfSC_PS2_PT2_iSB_SB_,comdat
.Lfunc_end110:
	.size	_Z39paged_attention_ll4mi_QKV_mfma16_kernelIDF16_DF16_LN4vllm18Fp8KVCacheDataTypeE0EDF16_Li16ELi64ELi256ELb0ELi3EEvPKT_PKT0_S7_ifPKiS9_S9_iPKfiiiPfSC_PS2_PT2_iSB_SB_, .Lfunc_end110-_Z39paged_attention_ll4mi_QKV_mfma16_kernelIDF16_DF16_LN4vllm18Fp8KVCacheDataTypeE0EDF16_Li16ELi64ELi256ELb0ELi3EEvPKT_PKT0_S7_ifPKiS9_S9_iPKfiiiPfSC_PS2_PT2_iSB_SB_
                                        ; -- End function
	.section	.AMDGPU.csdata,"",@progbits
; Kernel info:
; codeLenInByte = 3748
; NumSgprs: 54
; NumVgprs: 70
; NumAgprs: 0
; TotalNumVgprs: 70
; ScratchSize: 0
; MemoryBound: 0
; FloatMode: 240
; IeeeMode: 1
; LDSByteSize: 8192 bytes/workgroup (compile time only)
; SGPRBlocks: 6
; VGPRBlocks: 8
; NumSGPRsForWavesPerEU: 54
; NumVGPRsForWavesPerEU: 70
; AccumOffset: 72
; Occupancy: 7
; WaveLimiterHint : 1
; COMPUTE_PGM_RSRC2:SCRATCH_EN: 0
; COMPUTE_PGM_RSRC2:USER_SGPR: 2
; COMPUTE_PGM_RSRC2:TRAP_HANDLER: 0
; COMPUTE_PGM_RSRC2:TGID_X_EN: 1
; COMPUTE_PGM_RSRC2:TGID_Y_EN: 1
; COMPUTE_PGM_RSRC2:TGID_Z_EN: 1
; COMPUTE_PGM_RSRC2:TIDIG_COMP_CNT: 0
; COMPUTE_PGM_RSRC3_GFX90A:ACCUM_OFFSET: 17
; COMPUTE_PGM_RSRC3_GFX90A:TG_SPLIT: 0
	.section	.text._Z39paged_attention_ll4mi_QKV_mfma16_kernelIDF16_DF16_LN4vllm18Fp8KVCacheDataTypeE0EDF16_Li16ELi64ELi256ELb0ELi4EEvPKT_PKT0_S7_ifPKiS9_S9_iPKfiiiPfSC_PS2_PT2_iSB_SB_,"axG",@progbits,_Z39paged_attention_ll4mi_QKV_mfma16_kernelIDF16_DF16_LN4vllm18Fp8KVCacheDataTypeE0EDF16_Li16ELi64ELi256ELb0ELi4EEvPKT_PKT0_S7_ifPKiS9_S9_iPKfiiiPfSC_PS2_PT2_iSB_SB_,comdat
	.protected	_Z39paged_attention_ll4mi_QKV_mfma16_kernelIDF16_DF16_LN4vllm18Fp8KVCacheDataTypeE0EDF16_Li16ELi64ELi256ELb0ELi4EEvPKT_PKT0_S7_ifPKiS9_S9_iPKfiiiPfSC_PS2_PT2_iSB_SB_ ; -- Begin function _Z39paged_attention_ll4mi_QKV_mfma16_kernelIDF16_DF16_LN4vllm18Fp8KVCacheDataTypeE0EDF16_Li16ELi64ELi256ELb0ELi4EEvPKT_PKT0_S7_ifPKiS9_S9_iPKfiiiPfSC_PS2_PT2_iSB_SB_
	.globl	_Z39paged_attention_ll4mi_QKV_mfma16_kernelIDF16_DF16_LN4vllm18Fp8KVCacheDataTypeE0EDF16_Li16ELi64ELi256ELb0ELi4EEvPKT_PKT0_S7_ifPKiS9_S9_iPKfiiiPfSC_PS2_PT2_iSB_SB_
	.p2align	8
	.type	_Z39paged_attention_ll4mi_QKV_mfma16_kernelIDF16_DF16_LN4vllm18Fp8KVCacheDataTypeE0EDF16_Li16ELi64ELi256ELb0ELi4EEvPKT_PKT0_S7_ifPKiS9_S9_iPKfiiiPfSC_PS2_PT2_iSB_SB_,@function
_Z39paged_attention_ll4mi_QKV_mfma16_kernelIDF16_DF16_LN4vllm18Fp8KVCacheDataTypeE0EDF16_Li16ELi64ELi256ELb0ELi4EEvPKT_PKT0_S7_ifPKiS9_S9_iPKfiiiPfSC_PS2_PT2_iSB_SB_: ; @_Z39paged_attention_ll4mi_QKV_mfma16_kernelIDF16_DF16_LN4vllm18Fp8KVCacheDataTypeE0EDF16_Li16ELi64ELi256ELb0ELi4EEvPKT_PKT0_S7_ifPKiS9_S9_iPKfiiiPfSC_PS2_PT2_iSB_SB_
; %bb.0:
	s_load_dwordx2 s[6:7], s[0:1], 0x30
	s_mov_b32 s26, s3
	s_mov_b64 s[8:9], 0
	s_waitcnt lgkmcnt(0)
	s_cmp_lg_u64 s[6:7], 0
	s_cselect_b64 s[14:15], -1, 0
	s_and_b64 vcc, exec, s[14:15]
	s_cbranch_vccz .LBB111_7
; %bb.1:
	s_add_i32 s10, s2, 1
	s_mov_b32 s11, 0
	s_lshl_b64 s[12:13], s[10:11], 2
	s_add_u32 s12, s6, s12
	s_mov_b32 s3, s11
	s_addc_u32 s13, s7, s13
	s_lshl_b64 s[10:11], s[2:3], 2
	s_add_u32 s10, s6, s10
	s_addc_u32 s11, s7, s11
	s_load_dword s5, s[12:13], 0x0
	s_load_dword s16, s[10:11], 0x0
	s_waitcnt lgkmcnt(0)
	s_sub_i32 s5, s5, s16
	s_cmp_eq_u32 s5, 1
	s_cselect_b64 s[10:11], -1, 0
	s_andn2_b64 vcc, exec, s[8:9]
	s_cbranch_vccnz .LBB111_3
.LBB111_2:
	s_mov_b32 s3, 0
	s_mov_b64 s[10:11], -1
.LBB111_3:
	s_andn2_b64 vcc, exec, s[10:11]
	s_cbranch_vccnz .LBB111_17
; %bb.4:
	s_load_dwordx2 s[8:9], s[0:1], 0x28
	s_lshl_b64 s[16:17], s[2:3], 2
	s_waitcnt lgkmcnt(0)
	s_add_u32 s8, s8, s16
	s_addc_u32 s9, s9, s17
	s_load_dword s38, s[8:9], 0x0
	s_lshl_b32 s18, s26, 8
	s_waitcnt lgkmcnt(0)
	s_cmp_ge_i32 s18, s38
	s_cbranch_scc1 .LBB111_17
; %bb.5:
	s_load_dwordx2 s[8:9], s[0:1], 0x20
	s_load_dword s5, s[0:1], 0x38
	s_add_i32 s10, s38, 15
	s_ashr_i32 s11, s10, 31
	v_and_b32_e32 v1, 0xcf, v0
	s_lshr_b32 s11, s11, 28
	v_add_u32_e32 v1, s18, v1
	s_add_i32 s10, s10, s11
	v_ashrrev_i32_e32 v2, 31, v1
	s_ashr_i32 s19, s10, 4
	v_lshrrev_b32_e32 v8, 28, v2
	s_add_i32 s19, s19, -1
	s_waitcnt lgkmcnt(0)
	s_mul_i32 s10, s2, s5
	s_mov_b32 s11, 0
	v_add_u32_e32 v2, v1, v8
	s_lshl_b64 s[10:11], s[10:11], 2
	v_ashrrev_i32_e32 v2, 4, v2
	v_mov_b32_e32 v9, s19
	v_cmp_gt_i32_e32 vcc, s38, v1
	s_add_u32 s12, s8, s10
	s_addc_u32 s13, s9, s11
	v_cndmask_b32_e32 v2, v9, v2, vcc
	v_ashrrev_i32_e32 v3, 31, v2
	v_lshl_add_u64 v[4:5], v[2:3], 2, s[12:13]
	v_or_b32_e32 v2, 16, v1
	v_add_u32_e32 v3, v2, v8
	v_ashrrev_i32_e32 v3, 4, v3
	v_cmp_gt_i32_e32 vcc, s38, v2
	s_load_dwordx4 s[8:11], s[0:1], 0x8
	s_nop 0
	v_cndmask_b32_e32 v2, v9, v3, vcc
	v_ashrrev_i32_e32 v3, 31, v2
	v_lshl_add_u64 v[6:7], v[2:3], 2, s[12:13]
	v_or_b32_e32 v2, 32, v1
	v_add_u32_e32 v3, v2, v8
	v_ashrrev_i32_e32 v3, 4, v3
	v_cmp_gt_i32_e32 vcc, s38, v2
	v_or_b32_e32 v1, 48, v1
	s_nop 0
	v_cndmask_b32_e32 v2, v9, v3, vcc
	v_ashrrev_i32_e32 v3, 31, v2
	v_lshl_add_u64 v[12:13], v[2:3], 2, s[12:13]
	v_add_u32_e32 v2, v1, v8
	v_ashrrev_i32_e32 v2, 4, v2
	v_cmp_gt_i32_e32 vcc, s38, v1
	s_nop 1
	v_cndmask_b32_e32 v2, v9, v2, vcc
	v_ashrrev_i32_e32 v3, 31, v2
	v_lshl_add_u64 v[14:15], v[2:3], 2, s[12:13]
	global_load_dword v2, v[4:5], off
	global_load_dword v10, v[6:7], off
	;; [unrolled: 1-line block ×4, first 2 shown]
	s_andn2_b64 vcc, exec, s[14:15]
	s_cbranch_vccnz .LBB111_8
; %bb.6:
	s_add_u32 s6, s6, s16
	s_addc_u32 s7, s7, s17
	s_load_dword s5, s[6:7], 0x0
	s_branch .LBB111_9
.LBB111_7:
	s_mov_b64 s[10:11], 0
	s_branch .LBB111_2
.LBB111_8:
	s_mov_b32 s5, s2
.LBB111_9:
	s_load_dwordx4 s[40:43], s[0:1], 0x48
	v_and_b32_e32 v57, 15, v0
	v_bfe_u32 v54, v0, 4, 2
	s_lshl_b32 s27, s4, 2
	v_lshlrev_b32_e32 v3, 3, v57
	v_cmp_gt_u32_e32 vcc, 64, v0
	v_cmp_gt_u32_e64 s[6:7], 8, v57
	v_lshrrev_b32_e32 v55, 6, v0
	v_and_b32_e32 v56, 63, v0
	v_or_b32_e32 v1, s27, v54
	v_and_b32_e32 v11, 3, v0
	s_and_b64 s[44:45], vcc, s[6:7]
	v_lshlrev_b32_e32 v34, 1, v3
	v_lshlrev_b32_e32 v52, 5, v54
	s_and_saveexec_b64 s[6:7], s[44:45]
	s_cbranch_execz .LBB111_11
; %bb.10:
	s_load_dwordx2 s[14:15], s[0:1], 0x0
	s_waitcnt lgkmcnt(0)
	s_ashr_i32 s16, s40, 31
	s_mul_hi_u32 s17, s5, s40
	s_mul_i32 s16, s5, s16
	s_add_i32 s17, s17, s16
	s_mul_i32 s16, s5, s40
	s_lshl_b64 s[16:17], s[16:17], 1
	s_add_u32 s14, s14, s16
	v_lshlrev_b32_e32 v4, 6, v1
	s_addc_u32 s15, s15, s17
	v_ashrrev_i32_e32 v5, 31, v4
	v_lshl_add_u64 v[4:5], v[4:5], 1, s[14:15]
	v_mov_b32_e32 v35, 0
	v_lshl_add_u64 v[4:5], v[4:5], 0, v[34:35]
	global_load_dwordx4 v[4:7], v[4:5], off
	v_lshlrev_b32_e32 v13, 9, v57
	v_lshl_or_b32 v3, v55, 7, v52
	v_lshlrev_b32_e32 v12, 9, v11
	v_and_b32_e32 v13, 0x1800, v13
	v_or3_b32 v3, v13, v12, v3
	s_waitcnt vmcnt(0)
	ds_write_b128 v3, v[4:7]
.LBB111_11:
	s_or_b64 exec, exec, s[6:7]
	s_waitcnt lgkmcnt(0)
	s_mul_i32 s4, s4, s42
	s_mov_b32 s5, 0
	s_lshl_b64 s[4:5], s[4:5], 1
	s_add_u32 s8, s8, s4
	v_lshlrev_b32_e32 v53, 4, v0
	s_addc_u32 s9, s9, s5
	v_and_b32_e32 v6, 0xf0, v53
	v_mov_b32_e32 v7, 0
	v_lshl_add_u64 v[12:13], s[8:9], 0, v[6:7]
	s_waitcnt vmcnt(3)
	v_mad_i64_i32 v[2:3], s[8:9], v2, s41, 0
	v_lshl_add_u64 v[2:3], v[2:3], 1, v[12:13]
	v_and_b32_e32 v6, 0x300, v53
	s_waitcnt vmcnt(2)
	v_mad_i64_i32 v[20:21], s[8:9], v10, s41, 0
	s_waitcnt vmcnt(1)
	v_mad_i64_i32 v[24:25], s[8:9], v9, s41, 0
	v_lshl_add_u64 v[14:15], v[2:3], 0, v[6:7]
	v_lshlrev_b32_e32 v11, 5, v11
	v_lshl_add_u64 v[20:21], v[20:21], 1, v[12:13]
	v_lshl_add_u64 v[24:25], v[24:25], 1, v[12:13]
	s_load_dword s33, s[0:1], 0x98
	s_load_dword s6, s[0:1], 0x1c
	s_waitcnt lgkmcnt(0)
	s_barrier
	global_load_dwordx4 v[2:5], v[14:15], off
	s_waitcnt vmcnt(1)
	v_mad_i64_i32 v[26:27], s[8:9], v8, s41, 0
	v_lshl_or_b32 v8, v54, 9, v11
	v_lshl_add_u64 v[32:33], v[20:21], 0, v[6:7]
	v_lshl_add_u64 v[30:31], v[24:25], 0, v[6:7]
	ds_read_b128 v[16:19], v8
	ds_read_b128 v[8:11], v8 offset:2048
	global_load_dwordx4 v[20:23], v[32:33], off
	v_lshl_add_u64 v[12:13], v[26:27], 1, v[12:13]
	global_load_dwordx4 v[24:27], v[30:31], off
	v_lshl_add_u64 v[28:29], v[12:13], 0, v[6:7]
	global_load_dwordx4 v[12:15], v[14:15], off offset:1024
	s_nop 0
	global_load_dwordx4 v[40:43], v[28:29], off
	global_load_dwordx4 v[44:47], v[32:33], off offset:1024
	global_load_dwordx4 v[62:65], v[28:29], off offset:1024
	v_and_or_b32 v6, v0, 48, s18
	global_load_dwordx4 v[30:33], v[30:31], off offset:1024
	v_mov_b32_e32 v70, s19
	v_cmp_gt_i32_e32 vcc, s38, v6
	v_or_b32_e32 v28, 0x80, v6
	v_ashrrev_i32_e32 v29, 4, v28
	v_lshlrev_b32_e32 v35, 5, v57
	s_add_u32 s4, s10, s4
	s_addc_u32 s5, s11, s5
	s_mov_b32 s40, 0xff7fffff
	v_lshlrev_b32_e32 v57, 2, v57
	s_waitcnt vmcnt(3) lgkmcnt(1)
	v_mfma_f32_16x16x16_f16 v[66:69], v[40:41], v[16:17], 0
	v_mfma_f32_16x16x16_f16 v[36:39], v[2:3], v[16:17], 0
	v_ashrrev_i32_e32 v2, 4, v6
	v_mfma_f32_16x16x16_f16 v[48:51], v[20:21], v[16:17], 0
	v_or_b32_e32 v20, 64, v6
	v_ashrrev_i32_e32 v21, 4, v20
	v_or_b32_e32 v6, 0xc0, v6
	v_mfma_f32_16x16x16_f16 v[58:61], v[24:25], v[16:17], 0
	v_cndmask_b32_e32 v16, v70, v2, vcc
	v_ashrrev_i32_e32 v17, 31, v16
	v_lshl_add_u64 v[16:17], v[16:17], 2, s[12:13]
	v_mfma_f32_16x16x16_f16 v[2:5], v[4:5], v[18:19], v[36:39]
	v_cmp_gt_i32_e32 vcc, s38, v20
	s_nop 1
	global_load_dword v36, v[16:17], off
	v_cndmask_b32_e32 v24, v70, v21, vcc
	v_ashrrev_i32_e32 v25, 31, v24
	v_lshl_add_u64 v[16:17], v[24:25], 2, s[12:13]
	global_load_dword v37, v[16:17], off
	v_cmp_gt_i32_e32 vcc, s38, v28
	v_ashrrev_i32_e32 v38, 4, v6
	s_waitcnt lgkmcnt(0)
	v_mfma_f32_16x16x16_f16 v[2:5], v[12:13], v[8:9], v[2:5]
	v_cndmask_b32_e32 v12, v70, v29, vcc
	v_cmp_gt_i32_e32 vcc, s38, v6
	v_ashrrev_i32_e32 v13, 31, v12
	v_lshl_add_u64 v[12:13], v[12:13], 2, s[12:13]
	v_cndmask_b32_e32 v28, v70, v38, vcc
	v_ashrrev_i32_e32 v29, 31, v28
	v_mfma_f32_16x16x16_f16 v[24:27], v[26:27], v[18:19], v[58:61]
	v_lshl_add_u64 v[28:29], v[28:29], 2, s[12:13]
	s_nop 1
	global_load_dword v58, v[12:13], off
	global_load_dword v59, v[28:29], off
	v_lshl_or_b32 v6, v55, 9, v35
	v_mfma_f32_16x16x16_f16 v[20:23], v[22:23], v[18:19], v[48:51]
	v_lshl_add_u64 v[12:13], s[4:5], 0, v[6:7]
	v_mfma_f32_16x16x16_f16 v[16:19], v[42:43], v[18:19], v[66:69]
	s_waitcnt vmcnt(5)
	v_mfma_f32_16x16x16_f16 v[16:19], v[62:63], v[8:9], v[16:19]
	s_waitcnt vmcnt(4)
	v_mfma_f32_16x16x16_f16 v[24:27], v[30:31], v[8:9], v[24:27]
	v_mfma_f32_16x16x16_f16 v[28:31], v[14:15], v[10:11], v[2:5]
	;; [unrolled: 1-line block ×3, first 2 shown]
	s_waitcnt vmcnt(3)
	s_nop 0
	v_mad_i64_i32 v[2:3], s[4:5], v36, s41, 0
	v_lshl_add_u64 v[14:15], v[2:3], 1, v[12:13]
	global_load_dwordx4 v[6:9], v[14:15], off
	global_load_dwordx4 v[2:5], v[14:15], off offset:16
	v_mfma_f32_16x16x16_f16 v[14:17], v[64:65], v[10:11], v[16:19]
	s_waitcnt vmcnt(4)
	v_mad_i64_i32 v[36:37], s[4:5], v37, s41, 0
	v_lshl_add_u64 v[38:39], v[36:37], 1, v[12:13]
	v_mfma_f32_16x16x16_f16 v[20:23], v[46:47], v[10:11], v[20:23]
	v_pk_mul_f32 v[48:49], s[6:7], v[30:31] op_sel_hi:[0,1]
	s_nop 1
	v_pk_mul_f32 v[42:43], s[6:7], v[14:15] op_sel_hi:[0,1]
	v_and_b32_e32 v14, 0xc0, v0
	v_add_u32_e32 v14, s18, v14
	v_lshl_or_b32 v14, v54, 2, v14
	v_pk_mul_f32 v[36:37], s[6:7], v[16:17] op_sel_hi:[0,1]
	v_or_b32_e32 v17, 1, v14
	v_mfma_f32_16x16x16_f16 v[24:27], v[32:33], v[10:11], v[24:27]
	v_pk_mul_f32 v[10:11], s[6:7], v[28:29] op_sel_hi:[0,1]
	v_mov_b32_e32 v15, 0xff7fffff
	v_cmp_gt_i32_e64 s[28:29], s38, v14
	v_cmp_gt_i32_e64 s[30:31], s38, v17
	v_or_b32_e32 v18, 3, v14
	v_cndmask_b32_e64 v16, v15, v10, s[28:29]
	v_cndmask_b32_e64 v17, v15, v11, s[30:31]
	v_max3_f32 v16, v16, s40, v17
	v_or_b32_e32 v17, 2, v14
	v_cmp_gt_i32_e64 s[34:35], s38, v17
	v_cmp_gt_i32_e64 s[36:37], s38, v18
	v_pk_mul_f32 v[40:41], s[6:7], v[20:21] op_sel_hi:[0,1]
	v_cndmask_b32_e64 v17, v15, v48, s[34:35]
	v_cndmask_b32_e64 v18, v15, v49, s[36:37]
	v_max3_f32 v16, v16, v17, v18
	v_or_b32_e32 v17, 16, v14
	v_or_b32_e32 v18, 17, v14
	v_cmp_gt_i32_e64 s[22:23], s38, v17
	v_cmp_gt_i32_e64 s[24:25], s38, v18
	v_pk_mul_f32 v[50:51], s[6:7], v[22:23] op_sel_hi:[0,1]
	v_cndmask_b32_e64 v17, v15, v40, s[22:23]
	v_cndmask_b32_e64 v18, v15, v41, s[24:25]
	v_max3_f32 v16, v16, v17, v18
	v_or_b32_e32 v17, 18, v14
	;; [unrolled: 8-line block ×4, first 2 shown]
	v_or_b32_e32 v18, 35, v14
	v_cmp_gt_i32_e64 s[10:11], s38, v17
	v_cmp_gt_i32_e64 s[12:13], s38, v18
	global_load_dwordx4 v[30:33], v[38:39], off
	global_load_dwordx4 v[26:29], v[38:39], off offset:16
	v_cndmask_b32_e64 v17, v15, v44, s[10:11]
	v_cndmask_b32_e64 v18, v15, v45, s[12:13]
	v_max3_f32 v16, v16, v17, v18
	v_or_b32_e32 v17, 48, v14
	v_or_b32_e32 v18, 49, v14
	v_cmp_gt_i32_e64 s[6:7], s38, v17
	v_cmp_gt_i32_e64 s[8:9], s38, v18
	s_nop 0
	v_cndmask_b32_e64 v17, v15, v42, s[6:7]
	v_cndmask_b32_e64 v18, v15, v43, s[8:9]
	v_max3_f32 v16, v16, v17, v18
	v_or_b32_e32 v17, 50, v14
	v_or_b32_e32 v14, 51, v14
	v_cmp_gt_i32_e32 vcc, s38, v17
	v_cmp_gt_i32_e64 s[4:5], s38, v14
	s_nop 0
	v_cndmask_b32_e32 v17, v15, v36, vcc
	v_cndmask_b32_e64 v14, v15, v37, s[4:5]
	v_max3_f32 v16, v16, v17, v14
	v_mbcnt_lo_u32_b32 v14, -1, 0
	v_mbcnt_hi_u32_b32 v17, -1, v14
	v_and_b32_e32 v14, 64, v17
	v_add_u32_e32 v18, 64, v14
	v_xor_b32_e32 v14, 32, v17
	v_cmp_lt_i32_e64 s[38:39], v14, v18
	s_nop 1
	v_cndmask_b32_e64 v14, v17, v14, s[38:39]
	v_lshlrev_b32_e32 v60, 2, v14
	ds_bpermute_b32 v19, v60, v16
	s_waitcnt vmcnt(5)
	v_mad_i64_i32 v[14:15], s[38:39], v58, s41, 0
	v_lshl_add_u64 v[14:15], v[14:15], 1, v[12:13]
	s_waitcnt lgkmcnt(0)
	v_max_f32_e32 v19, v19, v19
	v_max_f32_e32 v16, v16, v19
	v_xor_b32_e32 v19, 16, v17
	v_cmp_lt_i32_e64 s[38:39], v19, v18
	s_nop 1
	v_cndmask_b32_e64 v17, v17, v19, s[38:39]
	v_lshlrev_b32_e32 v61, 2, v17
	ds_bpermute_b32 v17, v61, v16
	global_load_dwordx4 v[22:25], v[14:15], off
	global_load_dwordx4 v[18:21], v[14:15], off offset:16
	s_waitcnt vmcnt(6)
	v_mad_i64_i32 v[14:15], s[38:39], v59, s41, 0
	v_lshl_add_u64 v[12:13], v[14:15], 1, v[12:13]
	s_waitcnt lgkmcnt(0)
	v_max_f32_e32 v14, v17, v17
	v_max_f32_e32 v58, v16, v14
	v_sub_f32_e32 v10, v10, v58
	v_mul_f32_e32 v10, 0x3fb8aa3b, v10
	v_exp_f32_e32 v38, v10
	v_sub_f32_e32 v10, v11, v58
	v_mul_f32_e32 v10, 0x3fb8aa3b, v10
	v_exp_f32_e32 v39, v10
	global_load_dwordx4 v[14:17], v[12:13], off
	s_nop 0
	global_load_dwordx4 v[10:13], v[12:13], off offset:16
	v_sub_f32_e32 v48, v48, v58
	v_mul_f32_e32 v48, 0x3fb8aa3b, v48
	v_sub_f32_e32 v49, v49, v58
	v_exp_f32_e32 v48, v48
	v_mul_f32_e32 v49, 0x3fb8aa3b, v49
	v_sub_f32_e32 v40, v40, v58
	v_exp_f32_e32 v49, v49
	v_mul_f32_e32 v40, 0x3fb8aa3b, v40
	v_sub_f32_e32 v41, v41, v58
	v_cndmask_b32_e64 v38, 0, v38, s[28:29]
	v_exp_f32_e32 v40, v40
	v_mul_f32_e32 v41, 0x3fb8aa3b, v41
	v_sub_f32_e32 v50, v50, v58
	v_add_f32_e32 v59, 0, v38
	v_cndmask_b32_e64 v39, 0, v39, s[30:31]
	v_exp_f32_e32 v41, v41
	v_mul_f32_e32 v50, 0x3fb8aa3b, v50
	v_sub_f32_e32 v51, v51, v58
	v_add_f32_e32 v59, v59, v39
	v_cndmask_b32_e64 v48, 0, v48, s[34:35]
	v_exp_f32_e32 v50, v50
	v_mul_f32_e32 v51, 0x3fb8aa3b, v51
	v_sub_f32_e32 v46, v46, v58
	v_add_f32_e32 v59, v59, v48
	v_cndmask_b32_e64 v49, 0, v49, s[36:37]
	v_exp_f32_e32 v51, v51
	v_mul_f32_e32 v46, 0x3fb8aa3b, v46
	v_sub_f32_e32 v47, v47, v58
	v_add_f32_e32 v59, v59, v49
	v_cndmask_b32_e64 v40, 0, v40, s[22:23]
	v_exp_f32_e32 v46, v46
	v_mul_f32_e32 v47, 0x3fb8aa3b, v47
	v_sub_f32_e32 v44, v44, v58
	v_add_f32_e32 v59, v59, v40
	v_cndmask_b32_e64 v41, 0, v41, s[24:25]
	v_exp_f32_e32 v47, v47
	v_mul_f32_e32 v44, 0x3fb8aa3b, v44
	v_sub_f32_e32 v45, v45, v58
	v_add_f32_e32 v59, v59, v41
	v_cndmask_b32_e64 v50, 0, v50, s[18:19]
	v_exp_f32_e32 v44, v44
	v_mul_f32_e32 v45, 0x3fb8aa3b, v45
	v_sub_f32_e32 v42, v42, v58
	v_add_f32_e32 v59, v59, v50
	v_cndmask_b32_e64 v51, 0, v51, s[20:21]
	v_exp_f32_e32 v45, v45
	v_mul_f32_e32 v42, 0x3fb8aa3b, v42
	v_sub_f32_e32 v43, v43, v58
	v_add_f32_e32 v59, v59, v51
	v_cndmask_b32_e64 v46, 0, v46, s[14:15]
	v_exp_f32_e32 v42, v42
	v_mul_f32_e32 v43, 0x3fb8aa3b, v43
	v_sub_f32_e32 v36, v36, v58
	v_add_f32_e32 v59, v59, v46
	v_cndmask_b32_e64 v47, 0, v47, s[16:17]
	v_exp_f32_e32 v43, v43
	v_mul_f32_e32 v36, 0x3fb8aa3b, v36
	v_sub_f32_e32 v37, v37, v58
	v_add_f32_e32 v59, v59, v47
	v_cndmask_b32_e64 v44, 0, v44, s[10:11]
	v_exp_f32_e32 v36, v36
	v_mul_f32_e32 v37, 0x3fb8aa3b, v37
	v_add_f32_e32 v59, v59, v44
	v_cndmask_b32_e64 v45, 0, v45, s[12:13]
	v_exp_f32_e32 v37, v37
	v_add_f32_e32 v59, v59, v45
	v_cndmask_b32_e64 v42, 0, v42, s[6:7]
	v_add_f32_e32 v59, v59, v42
	v_cndmask_b32_e64 v43, 0, v43, s[8:9]
	v_add_f32_e32 v59, v59, v43
	v_cndmask_b32_e32 v36, 0, v36, vcc
	v_add_f32_e32 v59, v59, v36
	v_cndmask_b32_e64 v37, 0, v37, s[4:5]
	v_add_f32_e32 v59, v59, v37
	ds_bpermute_b32 v60, v60, v59
	v_cmp_gt_u32_e32 vcc, 16, v56
	s_waitcnt lgkmcnt(0)
	s_barrier
	v_add_f32_e32 v59, v59, v60
	ds_bpermute_b32 v60, v61, v59
	s_and_saveexec_b64 s[4:5], vcc
	s_cbranch_execz .LBB111_13
; %bb.12:
	s_waitcnt lgkmcnt(0)
	v_add_f32_e32 v56, v59, v60
	v_lshl_or_b32 v59, v55, 6, v57
	ds_write2st64_b32 v59, v58, v56 offset1:1
.LBB111_13:
	s_or_b64 exec, exec, s[4:5]
	s_load_dword s6, s[0:1], 0x94
	s_waitcnt lgkmcnt(0)
	s_barrier
	ds_read2_b32 v[58:59], v57 offset1:16
	ds_read2_b32 v[60:61], v57 offset0:32 offset1:48
	ds_read2_b32 v[62:63], v57 offset0:64 offset1:80
	s_lshl_b32 s7, s33, 2
	s_waitcnt lgkmcnt(2)
	v_max3_f32 v56, v58, s40, v59
	s_waitcnt lgkmcnt(1)
	v_max3_f32 v56, v56, v60, v61
	v_sub_f32_e32 v58, v58, v56
	v_mul_f32_e32 v58, 0x3fb8aa3b, v58
	v_exp_f32_e32 v64, v58
	v_sub_f32_e32 v58, v59, v56
	v_mul_f32_e32 v58, 0x3fb8aa3b, v58
	v_exp_f32_e32 v65, v58
	;; [unrolled: 3-line block ×3, first 2 shown]
	ds_read2_b32 v[58:59], v57 offset0:96 offset1:112
	v_sub_f32_e32 v57, v61, v56
	v_mul_f32_e32 v57, 0x3fb8aa3b, v57
	v_exp_f32_e32 v61, v57
	s_waitcnt lgkmcnt(1)
	v_fma_f32 v57, v64, v62, 0
	v_fmac_f32_e32 v57, v65, v63
	s_waitcnt lgkmcnt(0)
	v_fmac_f32_e32 v57, v60, v58
	v_fmac_f32_e32 v57, v61, v59
	v_add_f32_e32 v58, 0x358637bd, v57
	v_div_scale_f32 v59, s[4:5], v58, v58, 1.0
	v_rcp_f32_e32 v62, v59
	s_barrier
	v_fma_f32 v63, -v59, v62, 1.0
	v_fmac_f32_e32 v62, v63, v62
	v_div_scale_f32 v63, vcc, 1.0, v58, 1.0
	v_mul_f32_e32 v66, v63, v62
	v_fma_f32 v67, -v59, v66, v63
	v_fmac_f32_e32 v66, v67, v62
	v_fma_f32 v59, -v59, v66, v63
	v_div_fmas_f32 v59, v59, v62, v66
	v_cmp_eq_u32_e32 vcc, 1, v55
	v_div_fixup_f32 v58, v59, v58, 1.0
	s_nop 0
	v_cndmask_b32_e32 v59, v64, v65, vcc
	v_cmp_eq_u32_e32 vcc, 2, v55
	s_nop 1
	v_cndmask_b32_e32 v59, v59, v60, vcc
	v_cmp_eq_u32_e32 vcc, 3, v55
	s_nop 1
	v_cndmask_b32_e32 v59, v59, v61, vcc
	v_mul_f32_e32 v58, v59, v58
	v_pk_mul_f32 v[48:49], v[58:59], v[48:49] op_sel_hi:[0,1]
	v_pk_mul_f32 v[38:39], v[58:59], v[38:39] op_sel_hi:[0,1]
	v_cvt_f16_f32_e32 v59, v48
	v_cvt_f16_f32_e32 v49, v49
	;; [unrolled: 1-line block ×4, first 2 shown]
	v_cmp_gt_u32_e32 vcc, 4, v0
	v_pack_b32_f16 v49, v59, v49
	v_lshlrev_b32_e32 v59, 3, v54
	v_pack_b32_f16 v48, v38, v39
	v_pk_mul_f32 v[38:39], v[58:59], v[50:51] op_sel_hi:[0,1]
	v_pk_mul_f32 v[40:41], v[58:59], v[40:41] op_sel_hi:[0,1]
	v_cvt_f16_f32_e32 v40, v40
	v_cvt_f16_f32_e32 v41, v41
	;; [unrolled: 1-line block ×4, first 2 shown]
	v_lshlrev_b32_e32 v38, 11, v55
	v_or3_b32 v38, v38, v35, v59
	v_pack_b32_f16 v40, v40, v41
	v_pack_b32_f16 v41, v50, v39
	ds_write2st64_b64 v38, v[48:49], v[40:41] offset1:1
	v_pk_mul_f32 v[40:41], v[58:59], v[44:45] op_sel_hi:[0,1]
	v_pk_mul_f32 v[44:45], v[58:59], v[46:47] op_sel_hi:[0,1]
	v_cvt_f16_f32_e32 v39, v44
	v_cvt_f16_f32_e32 v44, v45
	;; [unrolled: 1-line block ×4, first 2 shown]
	v_pk_mul_f32 v[36:37], v[58:59], v[36:37] op_sel_hi:[0,1]
	v_pk_mul_f32 v[40:41], v[58:59], v[42:43] op_sel_hi:[0,1]
	v_cvt_f16_f32_e32 v40, v40
	v_cvt_f16_f32_e32 v41, v41
	;; [unrolled: 1-line block ×4, first 2 shown]
	v_pack_b32_f16 v36, v39, v44
	v_pack_b32_f16 v37, v45, v46
	;; [unrolled: 1-line block ×4, first 2 shown]
	ds_write2st64_b64 v38, v[36:37], v[40:41] offset0:2 offset1:3
	s_and_saveexec_b64 s[4:5], vcc
	s_cbranch_execz .LBB111_15
; %bb.14:
	v_or_b32_e32 v36, s27, v0
	v_mov_b32_e32 v37, 0
	v_mov_b32_e32 v39, s7
	v_mad_u64_u32 v[40:41], s[12:13], s2, v39, v[36:37]
	v_mov_b32_e32 v36, s26
	s_load_dwordx4 s[8:11], s[0:1], 0x58
	s_mul_i32 s3, s3, s7
	v_mad_u64_u32 v[36:37], s[12:13], v40, s6, v[36:37]
	v_add_u32_e32 v39, s3, v41
	v_mov_b32_e32 v40, v37
	v_mad_u64_u32 v[40:41], s[12:13], v39, s6, v[40:41]
	v_mov_b32_e32 v37, v40
	v_lshlrev_b64 v[36:37], 2, v[36:37]
	s_waitcnt lgkmcnt(0)
	v_lshl_add_u64 v[40:41], s[10:11], 0, v[36:37]
	v_lshl_add_u64 v[36:37], s[8:9], 0, v[36:37]
	global_store_dword v[40:41], v56, off
	global_store_dword v[36:37], v57, off
.LBB111_15:
	s_or_b64 exec, exec, s[4:5]
	v_lshl_or_b32 v35, v54, 9, v35
	s_waitcnt lgkmcnt(0)
	s_barrier
	ds_read_b128 v[40:43], v35
	ds_read_b128 v[44:47], v35 offset:16
	s_waitcnt vmcnt(7) lgkmcnt(1)
	v_mfma_f32_16x16x16_f16 v[48:51], v[6:7], v[40:41], 0
	s_mov_b32 s3, 0
	v_mfma_f32_16x16x16_f16 v[6:9], v[8:9], v[42:43], v[48:51]
	s_waitcnt vmcnt(6) lgkmcnt(0)
	v_mfma_f32_16x16x16_f16 v[6:9], v[2:3], v[44:45], v[6:9]
	v_mfma_f32_16x16x16_f16 v[2:5], v[4:5], v[46:47], v[6:9]
	s_nop 5
	ds_read_b128 v[6:9], v35 offset:2048
	ds_read_b128 v[40:43], v35 offset:2064
	s_waitcnt vmcnt(5) lgkmcnt(1)
	v_mfma_f32_16x16x16_f16 v[2:5], v[30:31], v[6:7], v[2:5]
	v_mfma_f32_16x16x16_f16 v[2:5], v[32:33], v[8:9], v[2:5]
	s_waitcnt vmcnt(4) lgkmcnt(0)
	v_mfma_f32_16x16x16_f16 v[2:5], v[26:27], v[40:41], v[2:5]
	v_mfma_f32_16x16x16_f16 v[2:5], v[28:29], v[42:43], v[2:5]
	ds_read_b128 v[6:9], v35 offset:4096
	ds_read_b128 v[26:29], v35 offset:4112
	s_waitcnt vmcnt(3) lgkmcnt(1)
	v_mfma_f32_16x16x16_f16 v[2:5], v[22:23], v[6:7], v[2:5]
	v_mfma_f32_16x16x16_f16 v[2:5], v[24:25], v[8:9], v[2:5]
	s_waitcnt vmcnt(2) lgkmcnt(0)
	v_mfma_f32_16x16x16_f16 v[2:5], v[18:19], v[26:27], v[2:5]
	v_mfma_f32_16x16x16_f16 v[2:5], v[20:21], v[28:29], v[2:5]
	ds_read_b128 v[6:9], v35 offset:6144
	ds_read_b128 v[18:21], v35 offset:6160
	v_mov_b32_e32 v35, 0
	s_waitcnt vmcnt(1) lgkmcnt(0)
	v_mfma_f32_16x16x16_f16 v[2:5], v[14:15], v[6:7], v[2:5]
	s_barrier
	v_mfma_f32_16x16x16_f16 v[2:5], v[16:17], v[8:9], v[2:5]
	s_waitcnt vmcnt(0)
	v_mfma_f32_16x16x16_f16 v[2:5], v[10:11], v[18:19], v[2:5]
	v_mfma_f32_16x16x16_f16 v[2:5], v[12:13], v[20:21], v[2:5]
	s_nop 6
	v_cvt_f16_f32_e32 v2, v2
	v_cvt_f16_f32_e32 v3, v3
	v_cvt_f16_f32_e32 v4, v4
	v_cvt_f16_f32_e32 v5, v5
	v_pack_b32_f16 v2, v2, v3
	v_pack_b32_f16 v3, v4, v5
	ds_write_b64 v38, v[2:3]
	s_waitcnt lgkmcnt(0)
	s_barrier
	s_and_saveexec_b64 s[4:5], s[44:45]
	s_cbranch_execz .LBB111_17
; %bb.16:
	s_load_dwordx2 s[0:1], s[0:1], 0x68
	s_lshl_b32 s6, s6, 6
	s_mul_i32 s2, s7, s2
	s_mul_hi_u32 s5, s2, s6
	s_mul_i32 s4, s2, s6
	v_lshlrev_b32_e32 v0, 10, v0
	s_lshl_b64 s[4:5], s[4:5], 1
	v_and_b32_e32 v0, 0x1800, v0
	v_and_b32_e32 v2, 16, v53
	s_waitcnt lgkmcnt(0)
	s_add_u32 s4, s0, s4
	v_or3_b32 v0, v0, v52, v2
	s_addc_u32 s5, s1, s5
	s_lshl_b32 s2, s26, 6
	ds_read_b128 v[2:5], v0
	s_lshl_b64 s[0:1], s[2:3], 1
	s_add_u32 s0, s4, s0
	s_addc_u32 s1, s5, s1
	v_mad_u64_u32 v[0:1], s[2:3], s6, v1, 0
	v_lshl_add_u64 v[0:1], v[0:1], 1, s[0:1]
	v_lshl_add_u64 v[0:1], v[0:1], 0, v[34:35]
	s_waitcnt lgkmcnt(0)
	global_store_dwordx4 v[0:1], v[2:5], off
.LBB111_17:
	s_endpgm
	.section	.rodata,"a",@progbits
	.p2align	6, 0x0
	.amdhsa_kernel _Z39paged_attention_ll4mi_QKV_mfma16_kernelIDF16_DF16_LN4vllm18Fp8KVCacheDataTypeE0EDF16_Li16ELi64ELi256ELb0ELi4EEvPKT_PKT0_S7_ifPKiS9_S9_iPKfiiiPfSC_PS2_PT2_iSB_SB_
		.amdhsa_group_segment_fixed_size 8192
		.amdhsa_private_segment_fixed_size 0
		.amdhsa_kernarg_size 400
		.amdhsa_user_sgpr_count 2
		.amdhsa_user_sgpr_dispatch_ptr 0
		.amdhsa_user_sgpr_queue_ptr 0
		.amdhsa_user_sgpr_kernarg_segment_ptr 1
		.amdhsa_user_sgpr_dispatch_id 0
		.amdhsa_user_sgpr_kernarg_preload_length 0
		.amdhsa_user_sgpr_kernarg_preload_offset 0
		.amdhsa_user_sgpr_private_segment_size 0
		.amdhsa_uses_dynamic_stack 0
		.amdhsa_enable_private_segment 0
		.amdhsa_system_sgpr_workgroup_id_x 1
		.amdhsa_system_sgpr_workgroup_id_y 1
		.amdhsa_system_sgpr_workgroup_id_z 1
		.amdhsa_system_sgpr_workgroup_info 0
		.amdhsa_system_vgpr_workitem_id 0
		.amdhsa_next_free_vgpr 71
		.amdhsa_next_free_sgpr 46
		.amdhsa_accum_offset 72
		.amdhsa_reserve_vcc 1
		.amdhsa_float_round_mode_32 0
		.amdhsa_float_round_mode_16_64 0
		.amdhsa_float_denorm_mode_32 3
		.amdhsa_float_denorm_mode_16_64 3
		.amdhsa_dx10_clamp 1
		.amdhsa_ieee_mode 1
		.amdhsa_fp16_overflow 0
		.amdhsa_tg_split 0
		.amdhsa_exception_fp_ieee_invalid_op 0
		.amdhsa_exception_fp_denorm_src 0
		.amdhsa_exception_fp_ieee_div_zero 0
		.amdhsa_exception_fp_ieee_overflow 0
		.amdhsa_exception_fp_ieee_underflow 0
		.amdhsa_exception_fp_ieee_inexact 0
		.amdhsa_exception_int_div_zero 0
	.end_amdhsa_kernel
	.section	.text._Z39paged_attention_ll4mi_QKV_mfma16_kernelIDF16_DF16_LN4vllm18Fp8KVCacheDataTypeE0EDF16_Li16ELi64ELi256ELb0ELi4EEvPKT_PKT0_S7_ifPKiS9_S9_iPKfiiiPfSC_PS2_PT2_iSB_SB_,"axG",@progbits,_Z39paged_attention_ll4mi_QKV_mfma16_kernelIDF16_DF16_LN4vllm18Fp8KVCacheDataTypeE0EDF16_Li16ELi64ELi256ELb0ELi4EEvPKT_PKT0_S7_ifPKiS9_S9_iPKfiiiPfSC_PS2_PT2_iSB_SB_,comdat
.Lfunc_end111:
	.size	_Z39paged_attention_ll4mi_QKV_mfma16_kernelIDF16_DF16_LN4vllm18Fp8KVCacheDataTypeE0EDF16_Li16ELi64ELi256ELb0ELi4EEvPKT_PKT0_S7_ifPKiS9_S9_iPKfiiiPfSC_PS2_PT2_iSB_SB_, .Lfunc_end111-_Z39paged_attention_ll4mi_QKV_mfma16_kernelIDF16_DF16_LN4vllm18Fp8KVCacheDataTypeE0EDF16_Li16ELi64ELi256ELb0ELi4EEvPKT_PKT0_S7_ifPKiS9_S9_iPKfiiiPfSC_PS2_PT2_iSB_SB_
                                        ; -- End function
	.section	.AMDGPU.csdata,"",@progbits
; Kernel info:
; codeLenInByte = 3668
; NumSgprs: 52
; NumVgprs: 71
; NumAgprs: 0
; TotalNumVgprs: 71
; ScratchSize: 0
; MemoryBound: 0
; FloatMode: 240
; IeeeMode: 1
; LDSByteSize: 8192 bytes/workgroup (compile time only)
; SGPRBlocks: 6
; VGPRBlocks: 8
; NumSGPRsForWavesPerEU: 52
; NumVGPRsForWavesPerEU: 71
; AccumOffset: 72
; Occupancy: 7
; WaveLimiterHint : 1
; COMPUTE_PGM_RSRC2:SCRATCH_EN: 0
; COMPUTE_PGM_RSRC2:USER_SGPR: 2
; COMPUTE_PGM_RSRC2:TRAP_HANDLER: 0
; COMPUTE_PGM_RSRC2:TGID_X_EN: 1
; COMPUTE_PGM_RSRC2:TGID_Y_EN: 1
; COMPUTE_PGM_RSRC2:TGID_Z_EN: 1
; COMPUTE_PGM_RSRC2:TIDIG_COMP_CNT: 0
; COMPUTE_PGM_RSRC3_GFX90A:ACCUM_OFFSET: 17
; COMPUTE_PGM_RSRC3_GFX90A:TG_SPLIT: 0
	.section	.text._Z38paged_attention_ll4mi_QKV_mfma4_kernelIDF16_DF16_LN4vllm18Fp8KVCacheDataTypeE0EhLi32ELi64ELi256ELb1ELi1EEvPKT_PKT0_S7_ifPKiS9_S9_iPKfiiiPfSC_PS2_PT2_iSB_SB_,"axG",@progbits,_Z38paged_attention_ll4mi_QKV_mfma4_kernelIDF16_DF16_LN4vllm18Fp8KVCacheDataTypeE0EhLi32ELi64ELi256ELb1ELi1EEvPKT_PKT0_S7_ifPKiS9_S9_iPKfiiiPfSC_PS2_PT2_iSB_SB_,comdat
	.protected	_Z38paged_attention_ll4mi_QKV_mfma4_kernelIDF16_DF16_LN4vllm18Fp8KVCacheDataTypeE0EhLi32ELi64ELi256ELb1ELi1EEvPKT_PKT0_S7_ifPKiS9_S9_iPKfiiiPfSC_PS2_PT2_iSB_SB_ ; -- Begin function _Z38paged_attention_ll4mi_QKV_mfma4_kernelIDF16_DF16_LN4vllm18Fp8KVCacheDataTypeE0EhLi32ELi64ELi256ELb1ELi1EEvPKT_PKT0_S7_ifPKiS9_S9_iPKfiiiPfSC_PS2_PT2_iSB_SB_
	.globl	_Z38paged_attention_ll4mi_QKV_mfma4_kernelIDF16_DF16_LN4vllm18Fp8KVCacheDataTypeE0EhLi32ELi64ELi256ELb1ELi1EEvPKT_PKT0_S7_ifPKiS9_S9_iPKfiiiPfSC_PS2_PT2_iSB_SB_
	.p2align	8
	.type	_Z38paged_attention_ll4mi_QKV_mfma4_kernelIDF16_DF16_LN4vllm18Fp8KVCacheDataTypeE0EhLi32ELi64ELi256ELb1ELi1EEvPKT_PKT0_S7_ifPKiS9_S9_iPKfiiiPfSC_PS2_PT2_iSB_SB_,@function
_Z38paged_attention_ll4mi_QKV_mfma4_kernelIDF16_DF16_LN4vllm18Fp8KVCacheDataTypeE0EhLi32ELi64ELi256ELb1ELi1EEvPKT_PKT0_S7_ifPKiS9_S9_iPKfiiiPfSC_PS2_PT2_iSB_SB_: ; @_Z38paged_attention_ll4mi_QKV_mfma4_kernelIDF16_DF16_LN4vllm18Fp8KVCacheDataTypeE0EhLi32ELi64ELi256ELb1ELi1EEvPKT_PKT0_S7_ifPKiS9_S9_iPKfiiiPfSC_PS2_PT2_iSB_SB_
; %bb.0:
	s_load_dwordx2 s[8:9], s[0:1], 0x30
	s_mov_b32 s16, s3
	s_mov_b64 s[6:7], 0
	s_waitcnt lgkmcnt(0)
	s_cmp_lg_u64 s[8:9], 0
	s_cselect_b64 s[10:11], -1, 0
	s_and_b64 vcc, exec, s[10:11]
	s_cbranch_vccz .LBB112_10
; %bb.1:
	s_add_i32 s12, s2, 1
	s_mov_b32 s13, 0
	s_lshl_b64 s[14:15], s[12:13], 2
	s_add_u32 s14, s8, s14
	s_mov_b32 s3, s13
	s_addc_u32 s15, s9, s15
	s_lshl_b64 s[12:13], s[2:3], 2
	s_add_u32 s12, s8, s12
	s_addc_u32 s13, s9, s13
	s_load_dword s5, s[14:15], 0x0
	s_load_dword s17, s[12:13], 0x0
	s_waitcnt lgkmcnt(0)
	s_sub_i32 s5, s5, s17
	s_cmp_eq_u32 s5, 1
	s_cselect_b64 s[12:13], -1, 0
	s_andn2_b64 vcc, exec, s[6:7]
	s_cbranch_vccnz .LBB112_3
.LBB112_2:
	s_mov_b32 s3, 0
	s_mov_b64 s[12:13], -1
.LBB112_3:
	s_andn2_b64 vcc, exec, s[12:13]
	s_cbranch_vccnz .LBB112_25
; %bb.4:
	s_load_dword s5, s[0:1], 0x9c
	s_load_dwordx2 s[6:7], s[0:1], 0x28
	s_add_u32 s20, s0, 0x90
	s_addc_u32 s21, s1, 0
	s_lshl_b64 s[24:25], s[2:3], 2
	s_waitcnt lgkmcnt(0)
	s_and_b32 s5, s5, 0xffff
	s_add_u32 s6, s6, s24
	s_addc_u32 s7, s7, s25
	s_load_dword s3, s[6:7], 0x0
	s_mul_i32 s5, s16, s5
	s_waitcnt lgkmcnt(0)
	s_cmp_ge_i32 s5, s3
	s_cbranch_scc1 .LBB112_25
; %bb.5:
	v_and_b32_e32 v2, 0xc0, v0
	v_add_u32_e32 v2, s5, v2
	v_lshrrev_b32_e32 v1, 6, v0
	v_cmp_gt_i32_e64 s[6:7], s3, v2
	v_cmp_le_i32_e32 vcc, s3, v2
                                        ; implicit-def: $sgpr26
                                        ; implicit-def: $sgpr17
	s_and_saveexec_b64 s[12:13], vcc
	s_xor_b64 s[12:13], exec, s[12:13]
	s_cbranch_execz .LBB112_7
; %bb.6:
	v_mul_u32_u24_e32 v2, 20, v1
	v_or_b32_e32 v2, 0xa00, v2
	v_mov_b32_e32 v3, 0xa50
	v_mov_b32_e32 v4, 0xff7fffff
	v_mad_u32_u24 v3, v1, 20, v3
	ds_write2_b32 v2, v4, v4 offset1:1
	v_mov_b32_e32 v2, 0
	ds_write2_b32 v3, v2, v2 offset1:1
	v_mov_b32_e32 v3, 0xa08
	s_mov_b32 s17, 0xff7fffff
	s_mov_b32 s26, 0
	v_mad_u32_u24 v3, v1, 20, v3
	v_mov_b32_e32 v5, 0xa58
	v_mad_u32_u24 v5, v1, 20, v5
	ds_write2_b32 v3, v4, v4 offset1:1
	ds_write2_b32 v5, v2, v2 offset1:1
                                        ; implicit-def: $vgpr2
.LBB112_7:
	s_or_saveexec_b64 s[22:23], s[12:13]
	s_load_dwordx2 s[18:19], s[0:1], 0x68
	s_load_dwordx4 s[12:15], s[0:1], 0x58
	s_load_dword s33, s[20:21], 0x4
	v_and_b32_e32 v46, 63, v0
	v_and_b32_e32 v47, 3, v0
	v_mov_b32_e32 v37, s26
	v_mov_b32_e32 v40, s17
	;; [unrolled: 1-line block ×5, first 2 shown]
                                        ; implicit-def: $vgpr3
                                        ; implicit-def: $vgpr7
                                        ; implicit-def: $vgpr11
                                        ; implicit-def: $vgpr15
                                        ; implicit-def: $vgpr19
                                        ; implicit-def: $vgpr23
                                        ; implicit-def: $vgpr27
                                        ; implicit-def: $vgpr31
	s_xor_b64 exec, exec, s[22:23]
	s_cbranch_execz .LBB112_19
; %bb.8:
	s_add_i32 s28, s3, 31
	s_ashr_i32 s29, s28, 31
	s_lshr_b32 s29, s29, 27
	v_add_u32_e32 v48, s5, v0
	s_add_i32 s28, s28, s29
	v_ashrrev_i32_e32 v3, 31, v48
	s_load_dwordx2 s[26:27], s[0:1], 0x20
	s_load_dword s17, s[0:1], 0x38
	s_ashr_i32 s28, s28, 5
	v_lshrrev_b32_e32 v3, 27, v3
	s_add_i32 s30, s28, -1
	v_add_u32_e32 v3, v48, v3
	v_ashrrev_i32_e32 v3, 5, v3
	v_mov_b32_e32 v4, s30
	v_cmp_gt_i32_e32 vcc, s3, v48
	s_waitcnt lgkmcnt(0)
	s_mul_i32 s28, s2, s17
	s_mov_b32 s29, 0
	v_cndmask_b32_e32 v4, v4, v3, vcc
	v_ashrrev_i32_e32 v3, 31, v2
	v_lshrrev_b32_e32 v3, 27, v3
	v_add_u32_e32 v2, v2, v3
	s_lshl_b64 s[28:29], s[28:29], 2
	v_ashrrev_i32_e32 v8, 5, v2
	s_add_u32 s26, s26, s28
	v_min_i32_e32 v2, s30, v8
	s_addc_u32 s27, s27, s29
	v_ashrrev_i32_e32 v3, 31, v2
	v_lshl_add_u64 v[6:7], v[2:3], 2, s[26:27]
	v_add_u32_e32 v2, 1, v8
	v_ashrrev_i32_e32 v5, 31, v4
	v_min_i32_e32 v2, s30, v2
	v_lshl_add_u64 v[4:5], v[4:5], 2, s[26:27]
	v_ashrrev_i32_e32 v3, 31, v2
	v_lshl_add_u64 v[8:9], v[2:3], 2, s[26:27]
	global_load_dword v2, v[4:5], off
	global_load_dword v14, v[6:7], off
	;; [unrolled: 1-line block ×3, first 2 shown]
	s_load_dwordx2 s[28:29], s[0:1], 0x8
	s_andn2_b64 vcc, exec, s[10:11]
	s_cbranch_vccnz .LBB112_11
; %bb.9:
	s_add_u32 s8, s8, s24
	s_addc_u32 s9, s9, s25
	s_load_dword s5, s[8:9], 0x0
	s_branch .LBB112_12
.LBB112_10:
	s_mov_b64 s[12:13], 0
	s_branch .LBB112_2
.LBB112_11:
	s_mov_b32 s5, s2
.LBB112_12:
	s_load_dwordx2 s[24:25], s[0:1], 0x10
	s_load_dwordx4 s[8:11], s[0:1], 0x48
	v_cmp_eq_u32_e32 vcc, 0, v47
	s_mov_b32 s27, 0
	v_mov_b32_e32 v45, 0
	v_mov_b32_e32 v24, 0
	;; [unrolled: 1-line block ×5, first 2 shown]
	s_and_saveexec_b64 s[30:31], vcc
	s_cbranch_execz .LBB112_14
; %bb.13:
	s_load_dwordx2 s[34:35], s[0:1], 0x0
	s_waitcnt lgkmcnt(0)
	s_ashr_i32 s11, s8, 31
	s_mul_hi_u32 s17, s5, s8
	s_mul_i32 s11, s5, s11
	s_add_i32 s37, s17, s11
	s_mul_i32 s36, s5, s8
	s_lshl_b64 s[36:37], s[36:37], 1
	s_add_u32 s5, s34, s36
	s_addc_u32 s8, s35, s37
	s_lshl_b32 s26, s4, 6
	s_lshl_b64 s[34:35], s[26:27], 1
	s_add_u32 s34, s5, s34
	s_addc_u32 s35, s8, s35
	v_lshlrev_b32_e32 v3, 2, v46
	global_load_dwordx4 v[24:27], v3, s[34:35]
.LBB112_14:
	s_or_b64 exec, exec, s[30:31]
	s_waitcnt lgkmcnt(0)
	s_mul_i32 s26, s4, s10
	s_lshl_b64 s[10:11], s[26:27], 1
	s_add_u32 s28, s10, s28
	s_waitcnt vmcnt(2)
	v_mad_i64_i32 v[2:3], s[30:31], v2, s9, 0
	s_addc_u32 s29, s11, s29
	v_and_b32_e32 v4, 31, v0
	v_lshl_add_u64 v[2:3], v[2:3], 1, s[28:29]
	v_lshlrev_b32_e32 v44, 4, v4
	v_lshl_add_u64 v[16:17], v[2:3], 0, v[44:45]
	global_load_dwordx4 v[10:13], v[16:17], off
	global_load_dwordx4 v[6:9], v[16:17], off offset:512
	global_load_dwordx4 v[2:5], v[16:17], off offset:1024
	;; [unrolled: 1-line block ×7, first 2 shown]
	v_mov_b32_e32 v44, 0
	s_and_saveexec_b64 s[28:29], vcc
	s_cbranch_execz .LBB112_16
; %bb.15:
	s_load_dwordx2 s[30:31], s[0:1], 0x40
	s_mov_b32 s5, s27
	s_lshl_b64 s[26:27], s[4:5], 2
	v_mov_b32_e32 v45, 1.0
	s_waitcnt lgkmcnt(0)
	s_add_u32 s26, s30, s26
	s_addc_u32 s27, s31, s27
	s_load_dword s5, s[26:27], 0x0
	s_waitcnt lgkmcnt(0)
	v_mov_b32_e32 v44, s5
.LBB112_16:
	s_or_b64 exec, exec, s[28:29]
	s_waitcnt vmcnt(7)
	v_mfma_f32_4x4x4_16b_f16 a[0:3], v[24:25], v[10:11], 0 cbsz:4
	s_add_u32 s10, s24, s10
	v_mul_hi_i32 v15, v14, s9
	v_mfma_f32_4x4x4_16b_f16 a[0:3], v[26:27], v[12:13], a[0:3] cbsz:4
	s_addc_u32 s11, s25, s11
	v_lshlrev_b32_e32 v50, 6, v46
	s_waitcnt vmcnt(6)
	v_mfma_f32_4x4x4_16b_f16 a[0:3], v[24:25], v[6:7], a[0:3] cbsz:4 abid:1
	v_mov_b32_e32 v51, 0
	v_ashrrev_i32_e32 v15, 31, v15
	v_mfma_f32_4x4x4_16b_f16 a[0:3], v[26:27], v[8:9], a[0:3] cbsz:4 abid:1
	v_mul_hi_i32 v23, v22, s9
	v_lshl_add_u64 v[52:53], s[10:11], 0, v[50:51]
	s_waitcnt vmcnt(5)
	v_mfma_f32_4x4x4_16b_f16 a[0:3], v[24:25], v[2:3], a[0:3] cbsz:4 abid:2
	v_lshrrev_b32_e32 v50, 29, v15
	v_ashrrev_i32_e32 v23, 31, v23
	v_mfma_f32_4x4x4_16b_f16 a[0:3], v[26:27], v[4:5], a[0:3] cbsz:4 abid:2
	s_load_dword s0, s[0:1], 0x1c
	v_mad_i64_i32 v[10:11], s[10:11], v14, s9, v[50:51]
	s_waitcnt vmcnt(4)
	v_mfma_f32_4x4x4_16b_f16 a[0:3], v[24:25], v[40:41], a[0:3] cbsz:4 abid:3
	v_lshrrev_b32_e32 v50, 29, v23
	v_mad_i64_i32 v[22:23], s[8:9], v22, s9, v[50:51]
	v_mfma_f32_4x4x4_16b_f16 a[0:3], v[26:27], v[42:43], a[0:3] cbsz:4 abid:3
	v_lshlrev_b64 v[6:7], 1, v[10:11]
	v_lshlrev_b64 v[22:23], 1, v[22:23]
	s_waitcnt vmcnt(3)
	v_mfma_f32_4x4x4_16b_f16 a[0:3], v[24:25], v[36:37], a[0:3] cbsz:4 abid:4
	v_and_b32_e32 v6, -16, v6
	v_and_b32_e32 v22, -16, v22
	v_mfma_f32_4x4x4_16b_f16 a[0:3], v[26:27], v[38:39], a[0:3] cbsz:4 abid:4
	v_lshl_add_u64 v[54:55], v[52:53], 0, v[6:7]
	global_load_dwordx4 v[2:5], v[54:55], off
	global_load_dwordx4 v[6:9], v[54:55], off offset:16
	s_waitcnt vmcnt(4)
	v_mfma_f32_4x4x4_16b_f16 a[0:3], v[24:25], v[32:33], a[0:3] cbsz:4 abid:5
	global_load_dwordx4 v[10:13], v[54:55], off offset:32
	global_load_dwordx4 v[14:17], v[54:55], off offset:48
	v_mfma_f32_4x4x4_16b_f16 a[0:3], v[26:27], v[34:35], a[0:3] cbsz:4 abid:5
	v_lshl_add_u64 v[34:35], v[52:53], 0, v[22:23]
	v_cmp_eq_u32_e32 vcc, 1, v47
	s_waitcnt vmcnt(5)
	v_mfma_f32_4x4x4_16b_f16 a[0:3], v[24:25], v[18:19], a[0:3] cbsz:4 abid:6
	v_mov_b32_e32 v41, 0xff7fffff
	s_nop 0
	v_mfma_f32_4x4x4_16b_f16 a[0:3], v[26:27], v[20:21], a[0:3] cbsz:4 abid:6
	s_waitcnt vmcnt(4)
	s_nop 0
	v_mfma_f32_4x4x4_16b_f16 a[0:3], v[24:25], v[28:29], a[0:3] cbsz:4 abid:7
	global_load_dwordx4 v[18:21], v[34:35], off
	global_load_dwordx4 v[22:25], v[34:35], off offset:16
	v_mfma_f32_4x4x4_16b_f16 a[0:3], v[26:27], v[30:31], a[0:3] cbsz:4 abid:7
	s_nop 4
	v_accvgpr_read_b32 v27, a1
	v_accvgpr_read_b32 v26, a0
	s_waitcnt lgkmcnt(0)
	v_pk_mul_f32 v[36:37], s[0:1], v[26:27] op_sel_hi:[0,1]
	global_load_dwordx4 v[26:29], v[34:35], off offset:32
	global_load_dwordx4 v[30:33], v[34:35], off offset:48
	v_accvgpr_read_b32 v35, a3
	v_accvgpr_read_b32 v34, a2
	v_pk_mul_f32 v[34:35], s[0:1], v[34:35] op_sel_hi:[0,1]
	v_mfma_f32_4x4x1_16b_f32 a[0:3], v36, v45, 0
	v_cndmask_b32_e64 v36, 0, 1.0, vcc
	v_cmp_eq_u32_e32 vcc, 2, v47
	s_nop 0
	v_mfma_f32_4x4x1_16b_f32 a[0:3], v37, v36, a[0:3]
	v_cndmask_b32_e64 v36, 0, 1.0, vcc
	v_cmp_eq_u32_e32 vcc, 3, v47
	s_nop 0
	v_mfma_f32_4x4x1_16b_f32 a[0:3], v34, v36, a[0:3]
	v_cndmask_b32_e64 v34, 0, 1.0, vcc
	s_nop 1
	v_mfma_f32_4x4x1_16b_f32 a[0:3], v35, v34, a[0:3]
	v_and_b32_e32 v34, -4, v48
	v_subrev_u32_e32 v35, s3, v34
	v_add_u32_e32 v36, 1, v35
	v_cvt_f32_i32_e32 v36, v36
	v_add_u32_e32 v37, 2, v35
	v_cvt_f32_i32_e32 v37, v37
	v_accvgpr_read_b32 v38, a0
	v_fma_f32 v36, v44, v36, v38
	v_accvgpr_read_b32 v38, a1
	v_fma_f32 v37, v44, v37, v38
	v_add_u32_e32 v38, 3, v35
	v_cvt_f32_i32_e32 v38, v38
	v_add_u32_e32 v35, 4, v35
	v_max_f32_e32 v40, 0xff7fffff, v36
	v_cmp_gt_i32_e32 vcc, s3, v34
	v_cvt_f32_i32_e32 v35, v35
	v_accvgpr_read_b32 v39, a2
	v_cndmask_b32_e32 v40, v41, v40, vcc
	v_or_b32_e32 v41, 1, v34
	v_max_f32_e32 v42, v40, v37
	v_cmp_gt_i32_e64 s[0:1], s3, v41
	v_fma_f32 v38, v44, v38, v39
	v_or_b32_e32 v34, 2, v34
	v_cndmask_b32_e64 v40, v40, v42, s[0:1]
	v_accvgpr_read_b32 v39, a3
	v_max_f32_e32 v41, v40, v38
	v_cmp_gt_i32_e64 s[8:9], s3, v34
	v_fmac_f32_e32 v39, v44, v35
	v_lshlrev_b32_e32 v35, 2, v0
	v_cndmask_b32_e64 v34, v40, v41, s[8:9]
	v_or_b32_e32 v40, 3, v48
	v_max_f32_e32 v41, v34, v39
	v_cmp_gt_i32_e64 s[10:11], s3, v40
	v_and_or_b32 v35, v35, 48, v47
	s_nop 0
	v_cndmask_b32_e64 v34, v34, v41, s[10:11]
	;;#ASMSTART
	v_nop
 v_nop
 v_max_f32_dpp v34, v34, v34 row_ror:4
	;;#ASMEND
	v_lshlrev_b32_e32 v41, 2, v35
	;;#ASMSTART
	v_nop
 v_nop
 v_max_f32_dpp v34, v34, v34 row_ror:8
	;;#ASMEND
	ds_bpermute_b32 v34, v41, v34
	s_waitcnt lgkmcnt(0)
	;;#ASMSTART
	v_nop
 v_nop
 v_max_f32_dpp v34, v34, v34 row_ror:4
	;;#ASMEND
	s_nop 0
	;;#ASMSTART
	v_nop
 v_nop
 v_max_f32_dpp v40, v34, v34 row_ror:8
	;;#ASMEND
	s_nop 0
	v_sub_f32_e32 v34, v36, v40
	v_mul_f32_e32 v34, 0x3fb8aa3b, v34
	v_sub_f32_e32 v35, v37, v40
	v_exp_f32_e32 v34, v34
	v_mul_f32_e32 v35, 0x3fb8aa3b, v35
	v_sub_f32_e32 v37, v38, v40
	v_exp_f32_e32 v35, v35
	;; [unrolled: 3-line block ×3, first 2 shown]
	v_mul_f32_e32 v38, 0x3fb8aa3b, v38
	v_exp_f32_e32 v38, v38
	v_cndmask_b32_e32 v34, 0, v34, vcc
	v_add_f32_e32 v36, 0, v34
	v_cndmask_b32_e64 v35, 0, v35, s[0:1]
	v_add_f32_e32 v39, v36, v35
	v_cndmask_b32_e64 v36, 0, v37, s[8:9]
	;; [unrolled: 2-line block ×3, first 2 shown]
	v_add_f32_e32 v38, v39, v37
	;;#ASMSTART
	v_nop
 v_nop
 v_add_f32_dpp v38, v38, v38 row_ror:4
	;;#ASMEND
	v_cmp_gt_u32_e32 vcc, 4, v46
	;;#ASMSTART
	v_nop
 v_nop
 v_add_f32_dpp v38, v38, v38 row_ror:8
	;;#ASMEND
	ds_bpermute_b32 v38, v41, v38
	s_waitcnt lgkmcnt(0)
	;;#ASMSTART
	v_nop
 v_nop
 v_add_f32_dpp v38, v38, v38 row_ror:4
	;;#ASMEND
	s_nop 0
	;;#ASMSTART
	v_nop
 v_nop
 v_add_f32_dpp v38, v38, v38 row_ror:8
	;;#ASMEND
	s_and_saveexec_b64 s[0:1], vcc
	s_cbranch_execz .LBB112_18
; %bb.17:
	v_mul_u32_u24_e32 v39, 20, v1
	v_lshl_add_u32 v39, v47, 2, v39
	v_add_u32_e32 v39, 0x800, v39
	ds_write2_b32 v39, v40, v38 offset0:128 offset1:148
.LBB112_18:
	s_or_b64 exec, exec, s[0:1]
.LBB112_19:
	s_or_b64 exec, exec, s[22:23]
	s_waitcnt lgkmcnt(0)
	s_barrier
	s_load_dword s0, s[20:21], 0x8
	v_lshlrev_b32_e32 v38, 2, v47
	v_add_u32_e32 v48, 0x800, v38
	ds_read2_b32 v[38:39], v48 offset0:128 offset1:133
	ds_read2_b32 v[42:43], v48 offset0:138 offset1:143
	s_mul_i32 s1, s33, s2
	s_waitcnt lgkmcnt(0)
	s_mul_i32 s0, s1, s0
	s_mov_b32 s1, 0xff7fffff
	v_max3_f32 v41, v38, s1, v39
	v_max3_f32 v41, v41, v42, v43
	v_sub_f32_e32 v38, v38, v41
	ds_read2_b32 v[44:45], v48 offset0:148 offset1:153
	v_mul_f32_e32 v38, 0x3fb8aa3b, v38
	v_sub_f32_e32 v39, v39, v41
	v_sub_f32_e32 v42, v42, v41
	v_exp_f32_e32 v50, v38
	v_mul_f32_e32 v39, 0x3fb8aa3b, v39
	v_mul_f32_e32 v42, 0x3fb8aa3b, v42
	v_exp_f32_e32 v39, v39
	ds_read2_b32 v[48:49], v48 offset0:158 offset1:163
	v_exp_f32_e32 v51, v42
	v_sub_f32_e32 v42, v43, v41
	v_mul_f32_e32 v42, 0x3fb8aa3b, v42
	v_exp_f32_e32 v43, v42
	s_waitcnt lgkmcnt(1)
	v_fma_f32 v42, v50, v44, 0
	v_fmac_f32_e32 v42, v39, v45
	s_waitcnt lgkmcnt(0)
	v_fmac_f32_e32 v42, v51, v48
	v_mov_b32_e32 v38, 0
	v_fmac_f32_e32 v42, v43, v49
	s_mov_b32 s1, 0
	v_cmp_eq_u32_e32 vcc, 0, v47
	s_and_saveexec_b64 s[2:3], vcc
	s_cbranch_execz .LBB112_21
; %bb.20:
	s_lshl_b64 s[8:9], s[0:1], 2
	s_add_u32 s5, s12, s8
	s_mov_b32 s17, s1
	s_addc_u32 s12, s13, s9
	s_lshl_b64 s[10:11], s[16:17], 2
	s_add_u32 s5, s5, s10
	s_addc_u32 s12, s12, s11
	s_add_u32 s8, s14, s8
	s_addc_u32 s9, s15, s9
	;; [unrolled: 2-line block ×3, first 2 shown]
	s_mul_i32 s8, s33, s4
	s_mov_b32 s9, s1
	s_lshl_b64 s[8:9], s[8:9], 2
	s_add_u32 s10, s5, s8
	s_addc_u32 s11, s12, s9
	s_add_u32 s8, s13, s8
	s_addc_u32 s9, s14, s9
	global_store_dword v38, v41, s[8:9]
	global_store_dword v38, v42, s[10:11]
.LBB112_21:
	s_or_b64 exec, exec, s[2:3]
	v_mov_b32_e32 v39, 0
	s_and_saveexec_b64 s[2:3], s[6:7]
	s_cbranch_execz .LBB112_23
; %bb.22:
	v_add_f32_e32 v38, 0x358637bd, v42
	v_div_scale_f32 v39, s[6:7], v38, v38, 1.0
	v_rcp_f32_e32 v42, v39
	v_div_scale_f32 v43, vcc, 1.0, v38, 1.0
	v_sub_f32_e32 v40, v40, v41
	v_fma_f32 v44, -v39, v42, 1.0
	v_fmac_f32_e32 v42, v44, v42
	v_mul_f32_e32 v44, v43, v42
	v_fma_f32 v45, -v39, v44, v43
	v_mul_f32_e32 v40, 0x3fb8aa3b, v40
	v_fmac_f32_e32 v44, v45, v42
	v_exp_f32_e32 v40, v40
	v_fma_f32 v39, -v39, v44, v43
	v_div_fmas_f32 v39, v39, v42, v44
	v_div_fixup_f32 v38, v39, v38, 1.0
	v_mul_f32_e32 v38, v40, v38
	v_pk_mul_f32 v[36:37], v[36:37], v[38:39] op_sel_hi:[1,0]
	v_pk_mul_f32 v[34:35], v[34:35], v[38:39] op_sel_hi:[1,0]
	v_cvt_f16_f32_e32 v36, v36
	v_cvt_f16_f32_e32 v34, v34
	;; [unrolled: 1-line block ×4, first 2 shown]
	s_mov_b32 s1, 0x5040100
	v_pack_b32_f16 v34, v34, v35
	v_pack_b32_f16 v35, v36, v37
	s_waitcnt vmcnt(7)
	s_nop 0
	v_mfma_f32_4x4x4_16b_f16 a[0:3], v[34:35], v[2:3], 0 cbsz:4
	s_nop 1
	v_mfma_f32_4x4x4_16b_f16 a[0:3], v[34:35], v[4:5], a[0:3] cbsz:4 abid:1
	s_waitcnt vmcnt(6)
	s_nop 0
	v_mfma_f32_4x4x4_16b_f16 a[0:3], v[34:35], v[6:7], a[0:3] cbsz:4 abid:2
	s_nop 1
	v_mfma_f32_4x4x4_16b_f16 a[0:3], v[34:35], v[8:9], a[0:3] cbsz:4 abid:3
	s_waitcnt vmcnt(5)
	s_nop 0
	v_mfma_f32_4x4x4_16b_f16 a[0:3], v[34:35], v[10:11], a[0:3] cbsz:4 abid:4
	s_nop 1
	v_mfma_f32_4x4x4_16b_f16 a[0:3], v[34:35], v[12:13], a[0:3] cbsz:4 abid:5
	s_waitcnt vmcnt(4)
	s_nop 0
	v_mfma_f32_4x4x4_16b_f16 a[0:3], v[34:35], v[14:15], a[0:3] cbsz:4 abid:6
	s_nop 1
	v_mfma_f32_4x4x4_16b_f16 a[0:3], v[34:35], v[16:17], a[0:3] cbsz:4 abid:7
	s_waitcnt vmcnt(3)
	s_nop 0
	v_mfma_f32_4x4x4_16b_f16 a[0:3], v[34:35], v[18:19], a[0:3] cbsz:4 abid:8
	s_nop 1
	v_mfma_f32_4x4x4_16b_f16 a[0:3], v[34:35], v[20:21], a[0:3] cbsz:4 abid:9
	s_waitcnt vmcnt(2)
	s_nop 0
	v_mfma_f32_4x4x4_16b_f16 a[0:3], v[34:35], v[22:23], a[0:3] cbsz:4 abid:10
	s_nop 1
	v_mfma_f32_4x4x4_16b_f16 a[0:3], v[34:35], v[24:25], a[0:3] cbsz:4 abid:11
	s_waitcnt vmcnt(1)
	s_nop 0
	v_mfma_f32_4x4x4_16b_f16 a[0:3], v[34:35], v[26:27], a[0:3] cbsz:4 abid:12
	s_nop 1
	v_mfma_f32_4x4x4_16b_f16 a[0:3], v[34:35], v[28:29], a[0:3] cbsz:4 abid:13
	s_waitcnt vmcnt(0)
	s_nop 0
	v_mfma_f32_4x4x4_16b_f16 a[0:3], v[34:35], v[30:31], a[0:3] cbsz:4 abid:14
	s_nop 1
	v_mfma_f32_4x4x4_16b_f16 a[0:3], v[34:35], v[32:33], a[0:3] cbsz:4 abid:15
	s_nop 4
	v_accvgpr_read_b32 v2, a0
	v_accvgpr_read_b32 v3, a1
	;; [unrolled: 1-line block ×4, first 2 shown]
	v_cvt_f16_f32_e32 v2, v2
	v_cvt_f16_f32_e32 v3, v3
	;; [unrolled: 1-line block ×4, first 2 shown]
	v_perm_b32 v38, v3, v2, s1
	v_perm_b32 v39, v5, v4, s1
.LBB112_23:
	s_or_b64 exec, exec, s[2:3]
	v_lshlrev_b32_e32 v1, 3, v1
	v_mad_u32_u24 v1, v46, 40, v1
	v_cmp_gt_u32_e32 vcc, 64, v0
	ds_write_b64 v1, v[38:39]
	s_waitcnt lgkmcnt(0)
	s_barrier
	s_and_saveexec_b64 s[2:3], vcc
	s_cbranch_execz .LBB112_25
; %bb.24:
	v_mul_u32_u24_e32 v1, 40, v46
	s_waitcnt vmcnt(7)
	ds_read2_b64 v[2:5], v1 offset1:1
	s_waitcnt vmcnt(6)
	ds_read2_b64 v[6:9], v1 offset0:2 offset1:3
	s_lshl_b32 s0, s0, 6
	s_mov_b32 s1, 0
	s_lshl_b64 s[2:3], s[0:1], 1
	s_add_u32 s2, s18, s2
	s_addc_u32 s3, s19, s3
	s_lshl_b32 s0, s16, 6
	s_lshl_b64 s[0:1], s[0:1], 1
	s_waitcnt lgkmcnt(1)
	v_pk_add_f16 v2, v2, 0
	s_add_u32 s0, s2, s0
	s_mul_i32 s2, s4, s33
	v_pk_add_f16 v2, v2, v4
	s_addc_u32 s1, s3, s1
	v_lshl_or_b32 v0, s2, 6, v0
	v_mov_b32_e32 v1, 0
	s_waitcnt lgkmcnt(0)
	v_pk_add_f16 v2, v2, v6
	v_lshl_add_u64 v[0:1], v[0:1], 1, s[0:1]
	v_pk_add_f16 v2, v2, v8
	global_store_short v[0:1], v2, off
.LBB112_25:
	s_endpgm
	.section	.rodata,"a",@progbits
	.p2align	6, 0x0
	.amdhsa_kernel _Z38paged_attention_ll4mi_QKV_mfma4_kernelIDF16_DF16_LN4vllm18Fp8KVCacheDataTypeE0EhLi32ELi64ELi256ELb1ELi1EEvPKT_PKT0_S7_ifPKiS9_S9_iPKfiiiPfSC_PS2_PT2_iSB_SB_
		.amdhsa_group_segment_fixed_size 2720
		.amdhsa_private_segment_fixed_size 0
		.amdhsa_kernarg_size 400
		.amdhsa_user_sgpr_count 2
		.amdhsa_user_sgpr_dispatch_ptr 0
		.amdhsa_user_sgpr_queue_ptr 0
		.amdhsa_user_sgpr_kernarg_segment_ptr 1
		.amdhsa_user_sgpr_dispatch_id 0
		.amdhsa_user_sgpr_kernarg_preload_length 0
		.amdhsa_user_sgpr_kernarg_preload_offset 0
		.amdhsa_user_sgpr_private_segment_size 0
		.amdhsa_uses_dynamic_stack 0
		.amdhsa_enable_private_segment 0
		.amdhsa_system_sgpr_workgroup_id_x 1
		.amdhsa_system_sgpr_workgroup_id_y 1
		.amdhsa_system_sgpr_workgroup_id_z 1
		.amdhsa_system_sgpr_workgroup_info 0
		.amdhsa_system_vgpr_workitem_id 0
		.amdhsa_next_free_vgpr 60
		.amdhsa_next_free_sgpr 38
		.amdhsa_accum_offset 56
		.amdhsa_reserve_vcc 1
		.amdhsa_float_round_mode_32 0
		.amdhsa_float_round_mode_16_64 0
		.amdhsa_float_denorm_mode_32 3
		.amdhsa_float_denorm_mode_16_64 3
		.amdhsa_dx10_clamp 1
		.amdhsa_ieee_mode 1
		.amdhsa_fp16_overflow 0
		.amdhsa_tg_split 0
		.amdhsa_exception_fp_ieee_invalid_op 0
		.amdhsa_exception_fp_denorm_src 0
		.amdhsa_exception_fp_ieee_div_zero 0
		.amdhsa_exception_fp_ieee_overflow 0
		.amdhsa_exception_fp_ieee_underflow 0
		.amdhsa_exception_fp_ieee_inexact 0
		.amdhsa_exception_int_div_zero 0
	.end_amdhsa_kernel
	.section	.text._Z38paged_attention_ll4mi_QKV_mfma4_kernelIDF16_DF16_LN4vllm18Fp8KVCacheDataTypeE0EhLi32ELi64ELi256ELb1ELi1EEvPKT_PKT0_S7_ifPKiS9_S9_iPKfiiiPfSC_PS2_PT2_iSB_SB_,"axG",@progbits,_Z38paged_attention_ll4mi_QKV_mfma4_kernelIDF16_DF16_LN4vllm18Fp8KVCacheDataTypeE0EhLi32ELi64ELi256ELb1ELi1EEvPKT_PKT0_S7_ifPKiS9_S9_iPKfiiiPfSC_PS2_PT2_iSB_SB_,comdat
.Lfunc_end112:
	.size	_Z38paged_attention_ll4mi_QKV_mfma4_kernelIDF16_DF16_LN4vllm18Fp8KVCacheDataTypeE0EhLi32ELi64ELi256ELb1ELi1EEvPKT_PKT0_S7_ifPKiS9_S9_iPKfiiiPfSC_PS2_PT2_iSB_SB_, .Lfunc_end112-_Z38paged_attention_ll4mi_QKV_mfma4_kernelIDF16_DF16_LN4vllm18Fp8KVCacheDataTypeE0EhLi32ELi64ELi256ELb1ELi1EEvPKT_PKT0_S7_ifPKiS9_S9_iPKfiiiPfSC_PS2_PT2_iSB_SB_
                                        ; -- End function
	.section	.AMDGPU.csdata,"",@progbits
; Kernel info:
; codeLenInByte = 3000
; NumSgprs: 44
; NumVgprs: 56
; NumAgprs: 4
; TotalNumVgprs: 60
; ScratchSize: 0
; MemoryBound: 0
; FloatMode: 240
; IeeeMode: 1
; LDSByteSize: 2720 bytes/workgroup (compile time only)
; SGPRBlocks: 5
; VGPRBlocks: 7
; NumSGPRsForWavesPerEU: 44
; NumVGPRsForWavesPerEU: 60
; AccumOffset: 56
; Occupancy: 8
; WaveLimiterHint : 1
; COMPUTE_PGM_RSRC2:SCRATCH_EN: 0
; COMPUTE_PGM_RSRC2:USER_SGPR: 2
; COMPUTE_PGM_RSRC2:TRAP_HANDLER: 0
; COMPUTE_PGM_RSRC2:TGID_X_EN: 1
; COMPUTE_PGM_RSRC2:TGID_Y_EN: 1
; COMPUTE_PGM_RSRC2:TGID_Z_EN: 1
; COMPUTE_PGM_RSRC2:TIDIG_COMP_CNT: 0
; COMPUTE_PGM_RSRC3_GFX90A:ACCUM_OFFSET: 13
; COMPUTE_PGM_RSRC3_GFX90A:TG_SPLIT: 0
	.section	.text._Z38paged_attention_ll4mi_QKV_mfma4_kernelIDF16_DF16_LN4vllm18Fp8KVCacheDataTypeE0EhLi32ELi64ELi256ELb1ELi2EEvPKT_PKT0_S7_ifPKiS9_S9_iPKfiiiPfSC_PS2_PT2_iSB_SB_,"axG",@progbits,_Z38paged_attention_ll4mi_QKV_mfma4_kernelIDF16_DF16_LN4vllm18Fp8KVCacheDataTypeE0EhLi32ELi64ELi256ELb1ELi2EEvPKT_PKT0_S7_ifPKiS9_S9_iPKfiiiPfSC_PS2_PT2_iSB_SB_,comdat
	.protected	_Z38paged_attention_ll4mi_QKV_mfma4_kernelIDF16_DF16_LN4vllm18Fp8KVCacheDataTypeE0EhLi32ELi64ELi256ELb1ELi2EEvPKT_PKT0_S7_ifPKiS9_S9_iPKfiiiPfSC_PS2_PT2_iSB_SB_ ; -- Begin function _Z38paged_attention_ll4mi_QKV_mfma4_kernelIDF16_DF16_LN4vllm18Fp8KVCacheDataTypeE0EhLi32ELi64ELi256ELb1ELi2EEvPKT_PKT0_S7_ifPKiS9_S9_iPKfiiiPfSC_PS2_PT2_iSB_SB_
	.globl	_Z38paged_attention_ll4mi_QKV_mfma4_kernelIDF16_DF16_LN4vllm18Fp8KVCacheDataTypeE0EhLi32ELi64ELi256ELb1ELi2EEvPKT_PKT0_S7_ifPKiS9_S9_iPKfiiiPfSC_PS2_PT2_iSB_SB_
	.p2align	8
	.type	_Z38paged_attention_ll4mi_QKV_mfma4_kernelIDF16_DF16_LN4vllm18Fp8KVCacheDataTypeE0EhLi32ELi64ELi256ELb1ELi2EEvPKT_PKT0_S7_ifPKiS9_S9_iPKfiiiPfSC_PS2_PT2_iSB_SB_,@function
_Z38paged_attention_ll4mi_QKV_mfma4_kernelIDF16_DF16_LN4vllm18Fp8KVCacheDataTypeE0EhLi32ELi64ELi256ELb1ELi2EEvPKT_PKT0_S7_ifPKiS9_S9_iPKfiiiPfSC_PS2_PT2_iSB_SB_: ; @_Z38paged_attention_ll4mi_QKV_mfma4_kernelIDF16_DF16_LN4vllm18Fp8KVCacheDataTypeE0EhLi32ELi64ELi256ELb1ELi2EEvPKT_PKT0_S7_ifPKiS9_S9_iPKfiiiPfSC_PS2_PT2_iSB_SB_
; %bb.0:
	s_load_dwordx2 s[8:9], s[0:1], 0x30
	s_mov_b32 s16, s3
	s_mov_b64 s[6:7], 0
	s_waitcnt lgkmcnt(0)
	s_cmp_lg_u64 s[8:9], 0
	s_cselect_b64 s[10:11], -1, 0
	s_and_b64 vcc, exec, s[10:11]
	s_cbranch_vccz .LBB113_10
; %bb.1:
	s_add_i32 s12, s2, 1
	s_mov_b32 s13, 0
	s_lshl_b64 s[14:15], s[12:13], 2
	s_add_u32 s14, s8, s14
	s_mov_b32 s3, s13
	s_addc_u32 s15, s9, s15
	s_lshl_b64 s[12:13], s[2:3], 2
	s_add_u32 s12, s8, s12
	s_addc_u32 s13, s9, s13
	s_load_dword s5, s[14:15], 0x0
	s_load_dword s17, s[12:13], 0x0
	s_waitcnt lgkmcnt(0)
	s_sub_i32 s5, s5, s17
	s_cmp_eq_u32 s5, 1
	s_cselect_b64 s[12:13], -1, 0
	s_andn2_b64 vcc, exec, s[6:7]
	s_cbranch_vccnz .LBB113_3
.LBB113_2:
	s_mov_b32 s3, 0
	s_mov_b64 s[12:13], -1
.LBB113_3:
	s_andn2_b64 vcc, exec, s[12:13]
	s_cbranch_vccnz .LBB113_25
; %bb.4:
	s_load_dword s5, s[0:1], 0x9c
	s_load_dwordx2 s[6:7], s[0:1], 0x28
	s_add_u32 s20, s0, 0x90
	s_addc_u32 s21, s1, 0
	s_lshl_b64 s[24:25], s[2:3], 2
	s_waitcnt lgkmcnt(0)
	s_and_b32 s5, s5, 0xffff
	s_add_u32 s6, s6, s24
	s_addc_u32 s7, s7, s25
	s_load_dword s3, s[6:7], 0x0
	s_mul_i32 s5, s16, s5
	s_waitcnt lgkmcnt(0)
	s_cmp_ge_i32 s5, s3
	s_cbranch_scc1 .LBB113_25
; %bb.5:
	v_and_b32_e32 v2, 0xc0, v0
	v_add_u32_e32 v2, s5, v2
	v_lshrrev_b32_e32 v1, 6, v0
	v_cmp_gt_i32_e64 s[6:7], s3, v2
	v_cmp_le_i32_e32 vcc, s3, v2
                                        ; implicit-def: $sgpr26
                                        ; implicit-def: $sgpr17
	s_and_saveexec_b64 s[12:13], vcc
	s_xor_b64 s[12:13], exec, s[12:13]
	s_cbranch_execz .LBB113_7
; %bb.6:
	v_mul_u32_u24_e32 v2, 20, v1
	v_or_b32_e32 v2, 0xa00, v2
	v_mov_b32_e32 v3, 0xa50
	v_mov_b32_e32 v4, 0xff7fffff
	v_mad_u32_u24 v3, v1, 20, v3
	ds_write2_b32 v2, v4, v4 offset1:1
	v_mov_b32_e32 v2, 0
	ds_write2_b32 v3, v2, v2 offset1:1
	v_mov_b32_e32 v3, 0xa08
	s_mov_b32 s17, 0xff7fffff
	s_mov_b32 s26, 0
	v_mad_u32_u24 v3, v1, 20, v3
	v_mov_b32_e32 v5, 0xa58
	v_mad_u32_u24 v5, v1, 20, v5
	ds_write2_b32 v3, v4, v4 offset1:1
	ds_write2_b32 v5, v2, v2 offset1:1
                                        ; implicit-def: $vgpr2
.LBB113_7:
	s_or_saveexec_b64 s[22:23], s[12:13]
	s_load_dwordx2 s[18:19], s[0:1], 0x68
	s_load_dwordx4 s[12:15], s[0:1], 0x58
	s_load_dword s33, s[20:21], 0x4
	v_and_b32_e32 v44, 63, v0
	v_and_b32_e32 v45, 3, v0
	s_lshl_b32 s34, s4, 1
	v_mov_b32_e32 v37, s26
	v_mov_b32_e32 v40, s17
	;; [unrolled: 1-line block ×5, first 2 shown]
                                        ; implicit-def: $vgpr3
                                        ; implicit-def: $vgpr7
                                        ; implicit-def: $vgpr11
                                        ; implicit-def: $vgpr15
                                        ; implicit-def: $vgpr19
                                        ; implicit-def: $vgpr23
                                        ; implicit-def: $vgpr27
                                        ; implicit-def: $vgpr31
	s_xor_b64 exec, exec, s[22:23]
	s_cbranch_execz .LBB113_19
; %bb.8:
	s_add_i32 s28, s3, 31
	s_ashr_i32 s29, s28, 31
	s_lshr_b32 s29, s29, 27
	v_add_u32_e32 v46, s5, v0
	s_add_i32 s28, s28, s29
	v_ashrrev_i32_e32 v3, 31, v46
	s_load_dwordx2 s[26:27], s[0:1], 0x20
	s_load_dword s17, s[0:1], 0x38
	s_ashr_i32 s28, s28, 5
	v_lshrrev_b32_e32 v3, 27, v3
	s_add_i32 s30, s28, -1
	v_add_u32_e32 v3, v46, v3
	v_ashrrev_i32_e32 v3, 5, v3
	v_mov_b32_e32 v4, s30
	v_cmp_gt_i32_e32 vcc, s3, v46
	s_waitcnt lgkmcnt(0)
	s_mul_i32 s28, s2, s17
	s_mov_b32 s29, 0
	v_cndmask_b32_e32 v4, v4, v3, vcc
	v_ashrrev_i32_e32 v3, 31, v2
	v_lshrrev_b32_e32 v3, 27, v3
	v_add_u32_e32 v2, v2, v3
	s_lshl_b64 s[28:29], s[28:29], 2
	v_ashrrev_i32_e32 v8, 5, v2
	s_add_u32 s26, s26, s28
	v_min_i32_e32 v2, s30, v8
	s_addc_u32 s27, s27, s29
	v_ashrrev_i32_e32 v3, 31, v2
	v_lshl_add_u64 v[6:7], v[2:3], 2, s[26:27]
	v_add_u32_e32 v2, 1, v8
	v_ashrrev_i32_e32 v5, 31, v4
	v_min_i32_e32 v2, s30, v2
	v_lshl_add_u64 v[4:5], v[4:5], 2, s[26:27]
	v_ashrrev_i32_e32 v3, 31, v2
	v_lshl_add_u64 v[8:9], v[2:3], 2, s[26:27]
	global_load_dword v2, v[4:5], off
	global_load_dword v16, v[6:7], off
	;; [unrolled: 1-line block ×3, first 2 shown]
	s_load_dwordx2 s[26:27], s[0:1], 0x8
	s_andn2_b64 vcc, exec, s[10:11]
	s_cbranch_vccnz .LBB113_11
; %bb.9:
	s_add_u32 s8, s8, s24
	s_addc_u32 s9, s9, s25
	s_load_dword s5, s[8:9], 0x0
	s_branch .LBB113_12
.LBB113_10:
	s_mov_b64 s[12:13], 0
	s_branch .LBB113_2
.LBB113_11:
	s_mov_b32 s5, s2
.LBB113_12:
	s_load_dwordx2 s[24:25], s[0:1], 0x10
	s_load_dwordx4 s[8:11], s[0:1], 0x48
	v_cmp_gt_u32_e32 vcc, 2, v45
	s_mov_b32 s29, 0
	v_mov_b32_e32 v7, 0
	v_mov_b32_e32 v32, 0
	;; [unrolled: 1-line block ×5, first 2 shown]
	s_and_saveexec_b64 s[30:31], vcc
	s_cbranch_execz .LBB113_14
; %bb.13:
	s_load_dwordx2 s[36:37], s[0:1], 0x0
	s_waitcnt lgkmcnt(0)
	s_ashr_i32 s11, s8, 31
	s_mul_hi_u32 s17, s5, s8
	s_mul_i32 s11, s5, s11
	s_add_i32 s39, s17, s11
	s_mul_i32 s38, s5, s8
	s_lshl_b64 s[38:39], s[38:39], 1
	s_add_u32 s5, s36, s38
	s_addc_u32 s8, s37, s39
	s_lshl_b32 s28, s4, 7
	s_lshl_b64 s[36:37], s[28:29], 1
	s_add_u32 s36, s5, s36
	v_lshlrev_b32_e32 v3, 3, v45
	v_lshrrev_b32_e32 v4, 2, v44
	s_addc_u32 s37, s8, s37
	v_add_lshl_u32 v3, v3, v4, 4
	global_load_dwordx4 v[32:35], v3, s[36:37]
.LBB113_14:
	s_or_b64 exec, exec, s[30:31]
	s_waitcnt lgkmcnt(0)
	s_mul_i32 s28, s4, s10
	s_lshl_b64 s[4:5], s[28:29], 1
	s_add_u32 s10, s4, s26
	s_waitcnt vmcnt(2)
	v_mad_i64_i32 v[2:3], s[30:31], v2, s9, 0
	s_addc_u32 s11, s5, s27
	v_and_b32_e32 v4, 31, v0
	v_lshl_add_u64 v[2:3], v[2:3], 1, s[10:11]
	v_lshlrev_b32_e32 v6, 4, v4
	v_lshl_add_u64 v[48:49], v[2:3], 0, v[6:7]
	global_load_dwordx4 v[12:15], v[48:49], off
	global_load_dwordx4 v[2:5], v[48:49], off offset:512
	global_load_dwordx4 v[8:11], v[48:49], off offset:1024
	;; [unrolled: 1-line block ×7, first 2 shown]
	v_mov_b32_e32 v47, 0
	s_and_saveexec_b64 s[10:11], vcc
	s_cbranch_execz .LBB113_16
; %bb.15:
	s_load_dwordx2 s[26:27], s[0:1], 0x40
	v_or_b32_e32 v48, s34, v45
	v_mov_b32_e32 v49, 0
	s_waitcnt lgkmcnt(0)
	v_lshl_add_u64 v[48:49], v[48:49], 2, s[26:27]
	global_load_dword v47, v[48:49], off
.LBB113_16:
	s_or_b64 exec, exec, s[10:11]
	s_waitcnt vmcnt(7)
	v_mfma_f32_4x4x4_16b_f16 a[0:3], v[32:33], v[12:13], 0 cbsz:4
	s_add_u32 s4, s24, s4
	s_addc_u32 s5, s25, s5
	v_mfma_f32_4x4x4_16b_f16 a[0:3], v[34:35], v[14:15], a[0:3] cbsz:4
	v_lshlrev_b32_e32 v6, 6, v44
	v_lshl_add_u64 v[48:49], s[4:5], 0, v[6:7]
	s_waitcnt vmcnt(6)
	v_mfma_f32_4x4x4_16b_f16 a[0:3], v[32:33], v[2:3], a[0:3] cbsz:4 abid:1
	v_mul_hi_i32 v6, v16, s9
	v_ashrrev_i32_e32 v6, 31, v6
	v_mfma_f32_4x4x4_16b_f16 a[0:3], v[34:35], v[4:5], a[0:3] cbsz:4 abid:1
	v_mul_hi_i32 v31, v30, s9
	v_lshrrev_b32_e32 v50, 29, v6
	s_waitcnt vmcnt(5)
	v_mfma_f32_4x4x4_16b_f16 a[0:3], v[32:33], v[8:9], a[0:3] cbsz:4 abid:2
	v_mov_b32_e32 v51, 0
	v_ashrrev_i32_e32 v31, 31, v31
	v_mfma_f32_4x4x4_16b_f16 a[0:3], v[34:35], v[10:11], a[0:3] cbsz:4 abid:2
	v_mad_i64_i32 v[6:7], s[4:5], v16, s9, v[50:51]
	s_waitcnt vmcnt(4)
	v_mfma_f32_4x4x4_16b_f16 a[0:3], v[32:33], v[40:41], a[0:3] cbsz:4 abid:3
	v_lshrrev_b32_e32 v50, 29, v31
	v_lshlrev_b64 v[6:7], 1, v[6:7]
	v_mfma_f32_4x4x4_16b_f16 a[0:3], v[34:35], v[42:43], a[0:3] cbsz:4 abid:3
	v_and_b32_e32 v6, -16, v6
	v_lshl_add_u64 v[52:53], v[48:49], 0, v[6:7]
	s_waitcnt vmcnt(3)
	v_mfma_f32_4x4x4_16b_f16 a[0:3], v[32:33], v[26:27], a[0:3] cbsz:4 abid:4
	v_mad_i64_i32 v[26:27], s[4:5], v30, s9, v[50:51]
	s_nop 0
	v_mfma_f32_4x4x4_16b_f16 a[0:3], v[34:35], v[28:29], a[0:3] cbsz:4 abid:4
	global_load_dwordx4 v[2:5], v[52:53], off
	global_load_dwordx4 v[6:9], v[52:53], off offset:16
	s_waitcnt vmcnt(4)
	v_mfma_f32_4x4x4_16b_f16 a[0:3], v[32:33], v[22:23], a[0:3] cbsz:4 abid:5
	v_lshlrev_b64 v[22:23], 1, v[26:27]
	v_and_b32_e32 v22, -16, v22
	v_mfma_f32_4x4x4_16b_f16 a[0:3], v[34:35], v[24:25], a[0:3] cbsz:4 abid:5
	v_lshl_add_u64 v[40:41], v[48:49], 0, v[22:23]
	global_load_dwordx4 v[10:13], v[52:53], off offset:32
	global_load_dwordx4 v[14:17], v[52:53], off offset:48
	s_waitcnt vmcnt(5)
	v_mfma_f32_4x4x4_16b_f16 a[0:3], v[32:33], v[18:19], a[0:3] cbsz:4 abid:6
	s_load_dword s0, s[0:1], 0x1c
	v_cmp_eq_u32_e32 vcc, 0, v45
	v_mfma_f32_4x4x4_16b_f16 a[0:3], v[34:35], v[20:21], a[0:3] cbsz:4 abid:6
	global_load_dwordx4 v[18:21], v[40:41], off
	global_load_dwordx4 v[22:25], v[40:41], off offset:16
	s_waitcnt vmcnt(6)
	v_mfma_f32_4x4x4_16b_f16 a[0:3], v[32:33], v[36:37], a[0:3] cbsz:4 abid:7
	global_load_dwordx4 v[26:29], v[40:41], off offset:32
	global_load_dwordx4 v[30:33], v[40:41], off offset:48
	v_mfma_f32_4x4x4_16b_f16 a[0:3], v[34:35], v[38:39], a[0:3] cbsz:4 abid:7
	v_cndmask_b32_e64 v38, 0, 1.0, vcc
	v_cmp_eq_u32_e32 vcc, 1, v45
	v_mov_b32_e32 v41, 0xff7fffff
	s_nop 1
	v_accvgpr_read_b32 v37, a1
	v_accvgpr_read_b32 v36, a0
	s_waitcnt lgkmcnt(0)
	v_pk_mul_f32 v[36:37], s[0:1], v[36:37] op_sel_hi:[0,1]
	v_accvgpr_read_b32 v35, a3
	v_accvgpr_read_b32 v34, a2
	v_pk_mul_f32 v[34:35], s[0:1], v[34:35] op_sel_hi:[0,1]
	v_mfma_f32_4x4x1_16b_f32 a[0:3], v36, v38, 0
	v_cndmask_b32_e64 v36, 0, 1.0, vcc
	v_cmp_eq_u32_e32 vcc, 2, v45
	s_nop 0
	v_mfma_f32_4x4x1_16b_f32 a[0:3], v37, v36, a[0:3]
	v_cndmask_b32_e64 v36, 0, 1.0, vcc
	v_cmp_eq_u32_e32 vcc, 3, v45
	s_nop 0
	v_mfma_f32_4x4x1_16b_f32 a[0:3], v34, v36, a[0:3]
	v_cndmask_b32_e64 v34, 0, 1.0, vcc
	s_nop 1
	v_mfma_f32_4x4x1_16b_f32 a[0:3], v35, v34, a[0:3]
	v_and_b32_e32 v34, -4, v46
	v_subrev_u32_e32 v35, s3, v34
	v_add_u32_e32 v36, 1, v35
	v_cvt_f32_i32_e32 v36, v36
	v_add_u32_e32 v37, 2, v35
	v_cvt_f32_i32_e32 v37, v37
	v_accvgpr_read_b32 v38, a0
	v_fma_f32 v36, v47, v36, v38
	v_accvgpr_read_b32 v38, a1
	v_fma_f32 v37, v47, v37, v38
	v_add_u32_e32 v38, 3, v35
	v_cvt_f32_i32_e32 v38, v38
	v_add_u32_e32 v35, 4, v35
	v_max_f32_e32 v40, 0xff7fffff, v36
	v_cmp_gt_i32_e32 vcc, s3, v34
	v_cvt_f32_i32_e32 v35, v35
	v_accvgpr_read_b32 v39, a2
	v_cndmask_b32_e32 v40, v41, v40, vcc
	v_or_b32_e32 v41, 1, v34
	v_max_f32_e32 v42, v40, v37
	v_cmp_gt_i32_e64 s[0:1], s3, v41
	v_fma_f32 v38, v47, v38, v39
	v_or_b32_e32 v34, 2, v34
	v_cndmask_b32_e64 v40, v40, v42, s[0:1]
	v_accvgpr_read_b32 v39, a3
	v_max_f32_e32 v41, v40, v38
	v_cmp_gt_i32_e64 s[4:5], s3, v34
	v_fmac_f32_e32 v39, v47, v35
	v_lshlrev_b32_e32 v35, 2, v0
	v_cndmask_b32_e64 v34, v40, v41, s[4:5]
	v_or_b32_e32 v40, 3, v46
	v_max_f32_e32 v41, v34, v39
	v_cmp_gt_i32_e64 s[8:9], s3, v40
	v_and_or_b32 v35, v35, 48, v45
	s_nop 0
	v_cndmask_b32_e64 v34, v34, v41, s[8:9]
	;;#ASMSTART
	v_nop
 v_nop
 v_max_f32_dpp v34, v34, v34 row_ror:4
	;;#ASMEND
	v_lshlrev_b32_e32 v41, 2, v35
	;;#ASMSTART
	v_nop
 v_nop
 v_max_f32_dpp v34, v34, v34 row_ror:8
	;;#ASMEND
	ds_bpermute_b32 v34, v41, v34
	s_waitcnt lgkmcnt(0)
	;;#ASMSTART
	v_nop
 v_nop
 v_max_f32_dpp v34, v34, v34 row_ror:4
	;;#ASMEND
	s_nop 0
	;;#ASMSTART
	v_nop
 v_nop
 v_max_f32_dpp v40, v34, v34 row_ror:8
	;;#ASMEND
	s_nop 0
	v_sub_f32_e32 v34, v36, v40
	v_mul_f32_e32 v34, 0x3fb8aa3b, v34
	v_sub_f32_e32 v35, v37, v40
	v_exp_f32_e32 v34, v34
	v_mul_f32_e32 v35, 0x3fb8aa3b, v35
	v_sub_f32_e32 v37, v38, v40
	v_exp_f32_e32 v35, v35
	;; [unrolled: 3-line block ×3, first 2 shown]
	v_mul_f32_e32 v38, 0x3fb8aa3b, v38
	v_exp_f32_e32 v38, v38
	v_cndmask_b32_e32 v34, 0, v34, vcc
	v_add_f32_e32 v36, 0, v34
	v_cndmask_b32_e64 v35, 0, v35, s[0:1]
	v_add_f32_e32 v39, v36, v35
	v_cndmask_b32_e64 v36, 0, v37, s[4:5]
	;; [unrolled: 2-line block ×3, first 2 shown]
	v_add_f32_e32 v38, v39, v37
	;;#ASMSTART
	v_nop
 v_nop
 v_add_f32_dpp v38, v38, v38 row_ror:4
	;;#ASMEND
	v_cmp_gt_u32_e32 vcc, 4, v44
	;;#ASMSTART
	v_nop
 v_nop
 v_add_f32_dpp v38, v38, v38 row_ror:8
	;;#ASMEND
	ds_bpermute_b32 v38, v41, v38
	s_waitcnt lgkmcnt(0)
	;;#ASMSTART
	v_nop
 v_nop
 v_add_f32_dpp v38, v38, v38 row_ror:4
	;;#ASMEND
	s_nop 0
	;;#ASMSTART
	v_nop
 v_nop
 v_add_f32_dpp v38, v38, v38 row_ror:8
	;;#ASMEND
	s_and_saveexec_b64 s[0:1], vcc
	s_cbranch_execz .LBB113_18
; %bb.17:
	v_mul_u32_u24_e32 v39, 20, v1
	v_lshl_add_u32 v39, v45, 2, v39
	v_add_u32_e32 v39, 0x800, v39
	ds_write2_b32 v39, v40, v38 offset0:128 offset1:148
.LBB113_18:
	s_or_b64 exec, exec, s[0:1]
.LBB113_19:
	s_or_b64 exec, exec, s[22:23]
	s_waitcnt lgkmcnt(0)
	s_barrier
	s_load_dword s0, s[20:21], 0x8
	v_lshlrev_b32_e32 v38, 2, v45
	v_add_u32_e32 v48, 0x800, v38
	ds_read2_b32 v[38:39], v48 offset0:128 offset1:133
	ds_read2_b32 v[42:43], v48 offset0:138 offset1:143
	s_mul_i32 s1, s2, s33
	s_waitcnt lgkmcnt(0)
	s_mul_i32 s1, s1, s0
	s_lshl_b32 s0, s1, 1
	s_mov_b32 s1, 0xff7fffff
	v_max3_f32 v41, v38, s1, v39
	v_max3_f32 v41, v41, v42, v43
	v_sub_f32_e32 v38, v38, v41
	v_mul_f32_e32 v38, 0x3fb8aa3b, v38
	ds_read2_b32 v[46:47], v48 offset0:148 offset1:153
	v_exp_f32_e32 v49, v38
	v_sub_f32_e32 v38, v39, v41
	v_sub_f32_e32 v42, v42, v41
	v_mul_f32_e32 v38, 0x3fb8aa3b, v38
	v_mul_f32_e32 v42, 0x3fb8aa3b, v42
	v_exp_f32_e32 v50, v38
	ds_read2_b32 v[38:39], v48 offset0:158 offset1:163
	v_exp_f32_e32 v48, v42
	v_sub_f32_e32 v42, v43, v41
	v_mul_f32_e32 v42, 0x3fb8aa3b, v42
	v_exp_f32_e32 v43, v42
	s_waitcnt lgkmcnt(1)
	v_fma_f32 v42, v49, v46, 0
	v_fmac_f32_e32 v42, v50, v47
	s_waitcnt lgkmcnt(0)
	v_fmac_f32_e32 v42, v48, v38
	v_fmac_f32_e32 v42, v43, v39
	v_cmp_gt_u32_e32 vcc, 2, v45
	s_and_saveexec_b64 s[2:3], vcc
	s_cbranch_execz .LBB113_21
; %bb.20:
	s_mov_b32 s1, 0
	s_lshl_b64 s[4:5], s[0:1], 2
	s_add_u32 s10, s12, s4
	s_mov_b32 s17, s1
	s_addc_u32 s11, s13, s5
	s_lshl_b64 s[8:9], s[16:17], 2
	s_add_u32 s10, s10, s8
	s_addc_u32 s11, s11, s9
	s_add_u32 s1, s14, s4
	s_addc_u32 s5, s15, s5
	v_or_b32_e32 v38, s34, v45
	s_add_u32 s4, s1, s8
	v_mul_lo_u32 v38, s33, v38
	v_mov_b32_e32 v39, 0
	s_addc_u32 s5, s5, s9
	v_lshlrev_b64 v[38:39], 2, v[38:39]
	v_lshl_add_u64 v[46:47], s[10:11], 0, v[38:39]
	v_lshl_add_u64 v[38:39], s[4:5], 0, v[38:39]
	global_store_dword v[38:39], v41, off
	global_store_dword v[46:47], v42, off
.LBB113_21:
	s_or_b64 exec, exec, s[2:3]
	v_mov_b32_e32 v38, 0
	v_mov_b32_e32 v39, 0
	s_and_saveexec_b64 s[2:3], s[6:7]
	s_cbranch_execz .LBB113_23
; %bb.22:
	v_add_f32_e32 v38, 0x358637bd, v42
	v_div_scale_f32 v39, s[4:5], v38, v38, 1.0
	v_rcp_f32_e32 v42, v39
	v_div_scale_f32 v43, vcc, 1.0, v38, 1.0
	v_sub_f32_e32 v40, v40, v41
	v_fma_f32 v45, -v39, v42, 1.0
	v_fmac_f32_e32 v42, v45, v42
	v_mul_f32_e32 v45, v43, v42
	v_fma_f32 v46, -v39, v45, v43
	v_mul_f32_e32 v40, 0x3fb8aa3b, v40
	v_fmac_f32_e32 v45, v46, v42
	v_exp_f32_e32 v40, v40
	v_fma_f32 v39, -v39, v45, v43
	v_div_fmas_f32 v39, v39, v42, v45
	v_div_fixup_f32 v38, v39, v38, 1.0
	v_mul_f32_e32 v38, v40, v38
	v_pk_mul_f32 v[36:37], v[36:37], v[38:39] op_sel_hi:[1,0]
	v_pk_mul_f32 v[34:35], v[34:35], v[38:39] op_sel_hi:[1,0]
	v_cvt_f16_f32_e32 v36, v36
	v_cvt_f16_f32_e32 v34, v34
	;; [unrolled: 1-line block ×4, first 2 shown]
	s_mov_b32 s1, 0x5040100
	v_pack_b32_f16 v34, v34, v35
	v_pack_b32_f16 v35, v36, v37
	s_waitcnt vmcnt(7)
	s_nop 0
	v_mfma_f32_4x4x4_16b_f16 a[0:3], v[34:35], v[2:3], 0 cbsz:4
	s_nop 1
	v_mfma_f32_4x4x4_16b_f16 a[0:3], v[34:35], v[4:5], a[0:3] cbsz:4 abid:1
	s_waitcnt vmcnt(6)
	s_nop 0
	v_mfma_f32_4x4x4_16b_f16 a[0:3], v[34:35], v[6:7], a[0:3] cbsz:4 abid:2
	s_nop 1
	v_mfma_f32_4x4x4_16b_f16 a[0:3], v[34:35], v[8:9], a[0:3] cbsz:4 abid:3
	s_waitcnt vmcnt(5)
	s_nop 0
	v_mfma_f32_4x4x4_16b_f16 a[0:3], v[34:35], v[10:11], a[0:3] cbsz:4 abid:4
	;; [unrolled: 5-line block ×7, first 2 shown]
	s_nop 1
	v_mfma_f32_4x4x4_16b_f16 a[0:3], v[34:35], v[32:33], a[0:3] cbsz:4 abid:15
	s_nop 4
	v_accvgpr_read_b32 v2, a0
	v_accvgpr_read_b32 v3, a1
	;; [unrolled: 1-line block ×4, first 2 shown]
	v_cvt_f16_f32_e32 v2, v2
	v_cvt_f16_f32_e32 v3, v3
	;; [unrolled: 1-line block ×4, first 2 shown]
	v_perm_b32 v38, v3, v2, s1
	v_perm_b32 v39, v5, v4, s1
.LBB113_23:
	s_or_b64 exec, exec, s[2:3]
	v_lshlrev_b32_e32 v1, 3, v1
	v_mad_u32_u24 v1, v44, 40, v1
	v_cmp_gt_u32_e32 vcc, 64, v0
	ds_write_b64 v1, v[38:39]
	s_waitcnt lgkmcnt(0)
	s_barrier
	s_and_saveexec_b64 s[2:3], vcc
	s_cbranch_execz .LBB113_25
; %bb.24:
	s_mov_b32 s1, 0
	s_lshl_b32 s0, s0, 6
	v_mul_u32_u24_e32 v1, 40, v44
	s_lshl_b64 s[2:3], s[0:1], 1
	s_waitcnt vmcnt(7)
	ds_read2_b64 v[2:5], v1 offset1:1
	s_waitcnt vmcnt(6)
	ds_read2_b64 v[6:9], v1 offset0:2 offset1:3
	s_add_u32 s2, s18, s2
	s_addc_u32 s3, s19, s3
	s_lshl_b32 s0, s16, 6
	s_lshl_b64 s[0:1], s[0:1], 1
	s_add_u32 s0, s2, s0
	s_addc_u32 s1, s3, s1
	s_lshl_b32 s2, s33, 6
	s_waitcnt lgkmcnt(1)
	v_pk_add_f16 v1, v2, 0
	s_mul_i32 s3, s2, s34
	v_pk_add_f16 v1, v1, v4
	v_or_b32_e32 v2, s3, v0
	v_mov_b32_e32 v3, 0
	s_add_i32 s3, s3, s2
	s_waitcnt lgkmcnt(0)
	v_pk_add_f16 v1, v1, v6
	v_lshl_add_u64 v[4:5], v[2:3], 1, s[0:1]
	v_or_b32_e32 v2, s3, v0
	v_pk_add_f16 v6, v1, v8
	v_lshl_add_u64 v[0:1], v[2:3], 1, s[0:1]
	global_store_short v[4:5], v6, off
	global_store_short_d16_hi v[0:1], v6, off
.LBB113_25:
	s_endpgm
	.section	.rodata,"a",@progbits
	.p2align	6, 0x0
	.amdhsa_kernel _Z38paged_attention_ll4mi_QKV_mfma4_kernelIDF16_DF16_LN4vllm18Fp8KVCacheDataTypeE0EhLi32ELi64ELi256ELb1ELi2EEvPKT_PKT0_S7_ifPKiS9_S9_iPKfiiiPfSC_PS2_PT2_iSB_SB_
		.amdhsa_group_segment_fixed_size 2720
		.amdhsa_private_segment_fixed_size 0
		.amdhsa_kernarg_size 400
		.amdhsa_user_sgpr_count 2
		.amdhsa_user_sgpr_dispatch_ptr 0
		.amdhsa_user_sgpr_queue_ptr 0
		.amdhsa_user_sgpr_kernarg_segment_ptr 1
		.amdhsa_user_sgpr_dispatch_id 0
		.amdhsa_user_sgpr_kernarg_preload_length 0
		.amdhsa_user_sgpr_kernarg_preload_offset 0
		.amdhsa_user_sgpr_private_segment_size 0
		.amdhsa_uses_dynamic_stack 0
		.amdhsa_enable_private_segment 0
		.amdhsa_system_sgpr_workgroup_id_x 1
		.amdhsa_system_sgpr_workgroup_id_y 1
		.amdhsa_system_sgpr_workgroup_id_z 1
		.amdhsa_system_sgpr_workgroup_info 0
		.amdhsa_system_vgpr_workitem_id 0
		.amdhsa_next_free_vgpr 60
		.amdhsa_next_free_sgpr 40
		.amdhsa_accum_offset 56
		.amdhsa_reserve_vcc 1
		.amdhsa_float_round_mode_32 0
		.amdhsa_float_round_mode_16_64 0
		.amdhsa_float_denorm_mode_32 3
		.amdhsa_float_denorm_mode_16_64 3
		.amdhsa_dx10_clamp 1
		.amdhsa_ieee_mode 1
		.amdhsa_fp16_overflow 0
		.amdhsa_tg_split 0
		.amdhsa_exception_fp_ieee_invalid_op 0
		.amdhsa_exception_fp_denorm_src 0
		.amdhsa_exception_fp_ieee_div_zero 0
		.amdhsa_exception_fp_ieee_overflow 0
		.amdhsa_exception_fp_ieee_underflow 0
		.amdhsa_exception_fp_ieee_inexact 0
		.amdhsa_exception_int_div_zero 0
	.end_amdhsa_kernel
	.section	.text._Z38paged_attention_ll4mi_QKV_mfma4_kernelIDF16_DF16_LN4vllm18Fp8KVCacheDataTypeE0EhLi32ELi64ELi256ELb1ELi2EEvPKT_PKT0_S7_ifPKiS9_S9_iPKfiiiPfSC_PS2_PT2_iSB_SB_,"axG",@progbits,_Z38paged_attention_ll4mi_QKV_mfma4_kernelIDF16_DF16_LN4vllm18Fp8KVCacheDataTypeE0EhLi32ELi64ELi256ELb1ELi2EEvPKT_PKT0_S7_ifPKiS9_S9_iPKfiiiPfSC_PS2_PT2_iSB_SB_,comdat
.Lfunc_end113:
	.size	_Z38paged_attention_ll4mi_QKV_mfma4_kernelIDF16_DF16_LN4vllm18Fp8KVCacheDataTypeE0EhLi32ELi64ELi256ELb1ELi2EEvPKT_PKT0_S7_ifPKiS9_S9_iPKfiiiPfSC_PS2_PT2_iSB_SB_, .Lfunc_end113-_Z38paged_attention_ll4mi_QKV_mfma4_kernelIDF16_DF16_LN4vllm18Fp8KVCacheDataTypeE0EhLi32ELi64ELi256ELb1ELi2EEvPKT_PKT0_S7_ifPKiS9_S9_iPKfiiiPfSC_PS2_PT2_iSB_SB_
                                        ; -- End function
	.section	.AMDGPU.csdata,"",@progbits
; Kernel info:
; codeLenInByte = 3052
; NumSgprs: 46
; NumVgprs: 54
; NumAgprs: 4
; TotalNumVgprs: 60
; ScratchSize: 0
; MemoryBound: 0
; FloatMode: 240
; IeeeMode: 1
; LDSByteSize: 2720 bytes/workgroup (compile time only)
; SGPRBlocks: 5
; VGPRBlocks: 7
; NumSGPRsForWavesPerEU: 46
; NumVGPRsForWavesPerEU: 60
; AccumOffset: 56
; Occupancy: 8
; WaveLimiterHint : 1
; COMPUTE_PGM_RSRC2:SCRATCH_EN: 0
; COMPUTE_PGM_RSRC2:USER_SGPR: 2
; COMPUTE_PGM_RSRC2:TRAP_HANDLER: 0
; COMPUTE_PGM_RSRC2:TGID_X_EN: 1
; COMPUTE_PGM_RSRC2:TGID_Y_EN: 1
; COMPUTE_PGM_RSRC2:TGID_Z_EN: 1
; COMPUTE_PGM_RSRC2:TIDIG_COMP_CNT: 0
; COMPUTE_PGM_RSRC3_GFX90A:ACCUM_OFFSET: 13
; COMPUTE_PGM_RSRC3_GFX90A:TG_SPLIT: 0
	.section	.text._Z38paged_attention_ll4mi_QKV_mfma4_kernelIDF16_DF16_LN4vllm18Fp8KVCacheDataTypeE0EhLi32ELi64ELi256ELb1ELi3EEvPKT_PKT0_S7_ifPKiS9_S9_iPKfiiiPfSC_PS2_PT2_iSB_SB_,"axG",@progbits,_Z38paged_attention_ll4mi_QKV_mfma4_kernelIDF16_DF16_LN4vllm18Fp8KVCacheDataTypeE0EhLi32ELi64ELi256ELb1ELi3EEvPKT_PKT0_S7_ifPKiS9_S9_iPKfiiiPfSC_PS2_PT2_iSB_SB_,comdat
	.protected	_Z38paged_attention_ll4mi_QKV_mfma4_kernelIDF16_DF16_LN4vllm18Fp8KVCacheDataTypeE0EhLi32ELi64ELi256ELb1ELi3EEvPKT_PKT0_S7_ifPKiS9_S9_iPKfiiiPfSC_PS2_PT2_iSB_SB_ ; -- Begin function _Z38paged_attention_ll4mi_QKV_mfma4_kernelIDF16_DF16_LN4vllm18Fp8KVCacheDataTypeE0EhLi32ELi64ELi256ELb1ELi3EEvPKT_PKT0_S7_ifPKiS9_S9_iPKfiiiPfSC_PS2_PT2_iSB_SB_
	.globl	_Z38paged_attention_ll4mi_QKV_mfma4_kernelIDF16_DF16_LN4vllm18Fp8KVCacheDataTypeE0EhLi32ELi64ELi256ELb1ELi3EEvPKT_PKT0_S7_ifPKiS9_S9_iPKfiiiPfSC_PS2_PT2_iSB_SB_
	.p2align	8
	.type	_Z38paged_attention_ll4mi_QKV_mfma4_kernelIDF16_DF16_LN4vllm18Fp8KVCacheDataTypeE0EhLi32ELi64ELi256ELb1ELi3EEvPKT_PKT0_S7_ifPKiS9_S9_iPKfiiiPfSC_PS2_PT2_iSB_SB_,@function
_Z38paged_attention_ll4mi_QKV_mfma4_kernelIDF16_DF16_LN4vllm18Fp8KVCacheDataTypeE0EhLi32ELi64ELi256ELb1ELi3EEvPKT_PKT0_S7_ifPKiS9_S9_iPKfiiiPfSC_PS2_PT2_iSB_SB_: ; @_Z38paged_attention_ll4mi_QKV_mfma4_kernelIDF16_DF16_LN4vllm18Fp8KVCacheDataTypeE0EhLi32ELi64ELi256ELb1ELi3EEvPKT_PKT0_S7_ifPKiS9_S9_iPKfiiiPfSC_PS2_PT2_iSB_SB_
; %bb.0:
	s_load_dwordx2 s[8:9], s[0:1], 0x30
	s_mov_b32 s16, s3
	s_mov_b64 s[6:7], 0
	s_waitcnt lgkmcnt(0)
	s_cmp_lg_u64 s[8:9], 0
	s_cselect_b64 s[10:11], -1, 0
	s_and_b64 vcc, exec, s[10:11]
	s_cbranch_vccz .LBB114_10
; %bb.1:
	s_add_i32 s12, s2, 1
	s_mov_b32 s13, 0
	s_lshl_b64 s[14:15], s[12:13], 2
	s_add_u32 s14, s8, s14
	s_mov_b32 s3, s13
	s_addc_u32 s15, s9, s15
	s_lshl_b64 s[12:13], s[2:3], 2
	s_add_u32 s12, s8, s12
	s_addc_u32 s13, s9, s13
	s_load_dword s5, s[14:15], 0x0
	s_load_dword s17, s[12:13], 0x0
	s_waitcnt lgkmcnt(0)
	s_sub_i32 s5, s5, s17
	s_cmp_eq_u32 s5, 1
	s_cselect_b64 s[12:13], -1, 0
	s_andn2_b64 vcc, exec, s[6:7]
	s_cbranch_vccnz .LBB114_3
.LBB114_2:
	s_mov_b32 s3, 0
	s_mov_b64 s[12:13], -1
.LBB114_3:
	s_andn2_b64 vcc, exec, s[12:13]
	s_cbranch_vccnz .LBB114_25
; %bb.4:
	s_load_dword s5, s[0:1], 0x9c
	s_load_dwordx2 s[6:7], s[0:1], 0x28
	s_add_u32 s20, s0, 0x90
	s_addc_u32 s21, s1, 0
	s_lshl_b64 s[24:25], s[2:3], 2
	s_waitcnt lgkmcnt(0)
	s_and_b32 s5, s5, 0xffff
	s_add_u32 s6, s6, s24
	s_addc_u32 s7, s7, s25
	s_load_dword s3, s[6:7], 0x0
	s_mul_i32 s5, s16, s5
	s_waitcnt lgkmcnt(0)
	s_cmp_ge_i32 s5, s3
	s_cbranch_scc1 .LBB114_25
; %bb.5:
	v_and_b32_e32 v2, 0xc0, v0
	v_add_u32_e32 v2, s5, v2
	v_lshrrev_b32_e32 v1, 6, v0
	v_cmp_gt_i32_e64 s[6:7], s3, v2
	v_cmp_le_i32_e32 vcc, s3, v2
                                        ; implicit-def: $sgpr26
                                        ; implicit-def: $sgpr17
	s_and_saveexec_b64 s[12:13], vcc
	s_xor_b64 s[12:13], exec, s[12:13]
	s_cbranch_execz .LBB114_7
; %bb.6:
	v_mul_u32_u24_e32 v2, 20, v1
	v_or_b32_e32 v2, 0xa00, v2
	v_mov_b32_e32 v3, 0xa50
	v_mov_b32_e32 v4, 0xff7fffff
	v_mad_u32_u24 v3, v1, 20, v3
	ds_write2_b32 v2, v4, v4 offset1:1
	v_mov_b32_e32 v2, 0
	ds_write2_b32 v3, v2, v2 offset1:1
	v_mov_b32_e32 v3, 0xa08
	s_mov_b32 s17, 0xff7fffff
	s_mov_b32 s26, 0
	v_mad_u32_u24 v3, v1, 20, v3
	v_mov_b32_e32 v5, 0xa58
	v_mad_u32_u24 v5, v1, 20, v5
	ds_write2_b32 v3, v4, v4 offset1:1
	ds_write2_b32 v5, v2, v2 offset1:1
                                        ; implicit-def: $vgpr2
.LBB114_7:
	s_or_saveexec_b64 s[22:23], s[12:13]
	s_load_dwordx2 s[18:19], s[0:1], 0x68
	s_load_dwordx4 s[12:15], s[0:1], 0x58
	s_load_dword s33, s[20:21], 0x4
	v_and_b32_e32 v46, 63, v0
	v_and_b32_e32 v47, 3, v0
	s_mul_i32 s34, s4, 3
	v_mov_b32_e32 v37, s26
	v_mov_b32_e32 v40, s17
	;; [unrolled: 1-line block ×5, first 2 shown]
                                        ; implicit-def: $vgpr3
                                        ; implicit-def: $vgpr7
                                        ; implicit-def: $vgpr11
                                        ; implicit-def: $vgpr15
                                        ; implicit-def: $vgpr19
                                        ; implicit-def: $vgpr23
                                        ; implicit-def: $vgpr27
                                        ; implicit-def: $vgpr31
	s_xor_b64 exec, exec, s[22:23]
	s_cbranch_execz .LBB114_19
; %bb.8:
	s_add_i32 s28, s3, 31
	s_ashr_i32 s29, s28, 31
	s_lshr_b32 s29, s29, 27
	v_add_u32_e32 v48, s5, v0
	s_add_i32 s28, s28, s29
	v_ashrrev_i32_e32 v3, 31, v48
	s_load_dwordx2 s[26:27], s[0:1], 0x20
	s_load_dword s17, s[0:1], 0x38
	s_ashr_i32 s28, s28, 5
	v_lshrrev_b32_e32 v3, 27, v3
	s_add_i32 s30, s28, -1
	v_add_u32_e32 v3, v48, v3
	v_ashrrev_i32_e32 v3, 5, v3
	v_mov_b32_e32 v4, s30
	v_cmp_gt_i32_e32 vcc, s3, v48
	s_waitcnt lgkmcnt(0)
	s_mul_i32 s28, s2, s17
	s_mov_b32 s29, 0
	v_cndmask_b32_e32 v4, v4, v3, vcc
	v_ashrrev_i32_e32 v3, 31, v2
	v_lshrrev_b32_e32 v3, 27, v3
	v_add_u32_e32 v2, v2, v3
	s_lshl_b64 s[28:29], s[28:29], 2
	v_ashrrev_i32_e32 v8, 5, v2
	s_add_u32 s26, s26, s28
	v_min_i32_e32 v2, s30, v8
	s_addc_u32 s27, s27, s29
	v_ashrrev_i32_e32 v3, 31, v2
	v_lshl_add_u64 v[6:7], v[2:3], 2, s[26:27]
	v_add_u32_e32 v2, 1, v8
	v_ashrrev_i32_e32 v5, 31, v4
	v_min_i32_e32 v2, s30, v2
	v_lshl_add_u64 v[4:5], v[4:5], 2, s[26:27]
	v_ashrrev_i32_e32 v3, 31, v2
	v_lshl_add_u64 v[8:9], v[2:3], 2, s[26:27]
	global_load_dword v2, v[4:5], off
	global_load_dword v16, v[6:7], off
	;; [unrolled: 1-line block ×3, first 2 shown]
	s_load_dwordx2 s[26:27], s[0:1], 0x8
	s_andn2_b64 vcc, exec, s[10:11]
	s_cbranch_vccnz .LBB114_11
; %bb.9:
	s_add_u32 s8, s8, s24
	s_addc_u32 s9, s9, s25
	s_load_dword s5, s[8:9], 0x0
	s_branch .LBB114_12
.LBB114_10:
	s_mov_b64 s[12:13], 0
	s_branch .LBB114_2
.LBB114_11:
	s_mov_b32 s5, s2
.LBB114_12:
	s_load_dwordx2 s[24:25], s[0:1], 0x10
	s_load_dwordx4 s[8:11], s[0:1], 0x48
	v_cmp_ne_u32_e32 vcc, 3, v47
	s_mov_b32 s29, 0
	v_mov_b32_e32 v15, 0
	v_mov_b32_e32 v24, 0
	;; [unrolled: 1-line block ×5, first 2 shown]
	s_and_saveexec_b64 s[30:31], vcc
	s_cbranch_execz .LBB114_14
; %bb.13:
	s_load_dwordx2 s[36:37], s[0:1], 0x0
	s_waitcnt lgkmcnt(0)
	s_ashr_i32 s11, s8, 31
	s_mul_hi_u32 s17, s5, s8
	s_mul_i32 s11, s5, s11
	s_add_i32 s39, s17, s11
	s_mul_i32 s38, s5, s8
	s_lshl_b64 s[38:39], s[38:39], 1
	s_add_u32 s5, s36, s38
	s_mul_i32 s28, s4, 0xc0
	s_addc_u32 s8, s37, s39
	s_lshl_b64 s[36:37], s[28:29], 1
	s_add_u32 s36, s5, s36
	v_lshlrev_b32_e32 v3, 3, v47
	v_lshrrev_b32_e32 v4, 2, v46
	s_addc_u32 s37, s8, s37
	v_add_lshl_u32 v3, v3, v4, 4
	global_load_dwordx4 v[24:27], v3, s[36:37]
.LBB114_14:
	s_or_b64 exec, exec, s[30:31]
	s_waitcnt lgkmcnt(0)
	s_mul_i32 s28, s4, s10
	s_lshl_b64 s[4:5], s[28:29], 1
	s_add_u32 s10, s4, s26
	s_waitcnt vmcnt(2)
	v_mad_i64_i32 v[2:3], s[30:31], v2, s9, 0
	s_addc_u32 s11, s5, s27
	v_and_b32_e32 v4, 31, v0
	v_lshl_add_u64 v[2:3], v[2:3], 1, s[10:11]
	v_lshlrev_b32_e32 v14, 4, v4
	v_lshl_add_u64 v[44:45], v[2:3], 0, v[14:15]
	global_load_dwordx4 v[10:13], v[44:45], off
	global_load_dwordx4 v[6:9], v[44:45], off offset:512
	global_load_dwordx4 v[2:5], v[44:45], off offset:1024
	;; [unrolled: 1-line block ×7, first 2 shown]
	v_mov_b32_e32 v45, 1.0
	v_mov_b32_e32 v44, 0
	s_and_saveexec_b64 s[10:11], vcc
	s_cbranch_execz .LBB114_16
; %bb.15:
	s_load_dwordx2 s[26:27], s[0:1], 0x40
	v_add_u32_e32 v44, s34, v47
	v_mov_b32_e32 v45, 0
	s_waitcnt lgkmcnt(0)
	v_lshl_add_u64 v[50:51], v[44:45], 2, s[26:27]
	global_load_dword v44, v[50:51], off
.LBB114_16:
	s_or_b64 exec, exec, s[10:11]
	s_waitcnt vmcnt(7)
	v_mfma_f32_4x4x4_16b_f16 a[0:3], v[24:25], v[10:11], 0 cbsz:4
	s_load_dword s0, s[0:1], 0x1c
	s_add_u32 s4, s24, s4
	v_mfma_f32_4x4x4_16b_f16 a[0:3], v[26:27], v[12:13], a[0:3] cbsz:4
	s_addc_u32 s5, s25, s5
	v_lshlrev_b32_e32 v14, 6, v46
	s_waitcnt vmcnt(6)
	v_mfma_f32_4x4x4_16b_f16 a[0:3], v[24:25], v[6:7], a[0:3] cbsz:4 abid:1
	v_lshl_add_u64 v[50:51], s[4:5], 0, v[14:15]
	v_mul_hi_i32 v14, v16, s9
	v_mfma_f32_4x4x4_16b_f16 a[0:3], v[26:27], v[8:9], a[0:3] cbsz:4 abid:1
	v_ashrrev_i32_e32 v14, 31, v14
	v_mul_hi_i32 v23, v22, s9
	s_waitcnt vmcnt(5)
	v_mfma_f32_4x4x4_16b_f16 a[0:3], v[24:25], v[2:3], a[0:3] cbsz:4 abid:2
	v_lshrrev_b32_e32 v52, 29, v14
	v_mov_b32_e32 v53, 0
	v_mfma_f32_4x4x4_16b_f16 a[0:3], v[26:27], v[4:5], a[0:3] cbsz:4 abid:2
	v_ashrrev_i32_e32 v23, 31, v23
	v_cmp_eq_u32_e32 vcc, 0, v47
	s_waitcnt vmcnt(4)
	v_mfma_f32_4x4x4_16b_f16 a[0:3], v[24:25], v[40:41], a[0:3] cbsz:4 abid:3
	v_mad_i64_i32 v[10:11], s[4:5], v16, s9, v[52:53]
	s_nop 0
	v_mfma_f32_4x4x4_16b_f16 a[0:3], v[26:27], v[42:43], a[0:3] cbsz:4 abid:3
	v_lshrrev_b32_e32 v52, 29, v23
	v_mad_i64_i32 v[22:23], s[4:5], v22, s9, v[52:53]
	s_waitcnt vmcnt(3)
	v_mfma_f32_4x4x4_16b_f16 a[0:3], v[24:25], v[36:37], a[0:3] cbsz:4 abid:4
	v_lshlrev_b64 v[6:7], 1, v[10:11]
	v_lshlrev_b64 v[22:23], 1, v[22:23]
	v_mfma_f32_4x4x4_16b_f16 a[0:3], v[26:27], v[38:39], a[0:3] cbsz:4 abid:4
	v_and_b32_e32 v6, -16, v6
	v_and_b32_e32 v22, -16, v22
	s_waitcnt vmcnt(2)
	v_mfma_f32_4x4x4_16b_f16 a[0:3], v[24:25], v[32:33], a[0:3] cbsz:4 abid:5
	v_lshl_add_u64 v[54:55], v[50:51], 0, v[6:7]
	global_load_dwordx4 v[2:5], v[54:55], off
	global_load_dwordx4 v[6:9], v[54:55], off offset:16
	v_mfma_f32_4x4x4_16b_f16 a[0:3], v[26:27], v[34:35], a[0:3] cbsz:4 abid:5
	v_lshl_add_u64 v[34:35], v[50:51], 0, v[22:23]
	global_load_dwordx4 v[10:13], v[54:55], off offset:32
	global_load_dwordx4 v[14:17], v[54:55], off offset:48
	s_waitcnt vmcnt(5)
	v_mfma_f32_4x4x4_16b_f16 a[0:3], v[24:25], v[18:19], a[0:3] cbsz:4 abid:6
	v_mov_b32_e32 v41, 0xff7fffff
	s_nop 0
	v_mfma_f32_4x4x4_16b_f16 a[0:3], v[26:27], v[20:21], a[0:3] cbsz:4 abid:6
	s_waitcnt vmcnt(4)
	s_nop 0
	v_mfma_f32_4x4x4_16b_f16 a[0:3], v[24:25], v[28:29], a[0:3] cbsz:4 abid:7
	global_load_dwordx4 v[18:21], v[34:35], off
	global_load_dwordx4 v[22:25], v[34:35], off offset:16
	v_mfma_f32_4x4x4_16b_f16 a[0:3], v[26:27], v[30:31], a[0:3] cbsz:4 abid:7
	s_nop 4
	v_accvgpr_read_b32 v29, a1
	v_accvgpr_read_b32 v28, a0
	s_waitcnt lgkmcnt(0)
	v_pk_mul_f32 v[28:29], s[0:1], v[28:29] op_sel_hi:[0,1]
	v_accvgpr_read_b32 v27, a3
	v_accvgpr_read_b32 v26, a2
	v_pk_mul_f32 v[36:37], s[0:1], v[26:27] op_sel_hi:[0,1]
	v_cndmask_b32_e64 v26, 0, 1.0, vcc
	v_cmp_eq_u32_e32 vcc, 1, v47
	s_nop 0
	v_mfma_f32_4x4x1_16b_f32 a[0:3], v28, v26, 0
	v_cndmask_b32_e64 v26, 0, 1.0, vcc
	v_cmp_eq_u32_e32 vcc, 2, v47
	s_nop 0
	v_mfma_f32_4x4x1_16b_f32 a[0:3], v29, v26, a[0:3]
	v_cndmask_b32_e64 v26, 0, 1.0, vcc
	s_nop 1
	v_mfma_f32_4x4x1_16b_f32 a[0:3], v36, v26, a[0:3]
	global_load_dwordx4 v[26:29], v[34:35], off offset:32
	global_load_dwordx4 v[30:33], v[34:35], off offset:48
	v_and_b32_e32 v34, -4, v48
	v_subrev_u32_e32 v35, s3, v34
	v_add_u32_e32 v36, 1, v35
	v_mfma_f32_4x4x1_16b_f32 a[0:3], v37, v45, a[0:3]
	v_cvt_f32_i32_e32 v36, v36
	v_add_u32_e32 v37, 2, v35
	v_cvt_f32_i32_e32 v37, v37
	v_cmp_gt_i32_e32 vcc, s3, v34
	v_accvgpr_read_b32 v38, a0
	v_fma_f32 v36, v44, v36, v38
	v_accvgpr_read_b32 v38, a1
	v_fma_f32 v37, v44, v37, v38
	v_add_u32_e32 v38, 3, v35
	v_cvt_f32_i32_e32 v38, v38
	v_add_u32_e32 v35, 4, v35
	v_max_f32_e32 v40, 0xff7fffff, v36
	v_cvt_f32_i32_e32 v35, v35
	v_cndmask_b32_e32 v40, v41, v40, vcc
	v_or_b32_e32 v41, 1, v34
	v_accvgpr_read_b32 v39, a2
	v_max_f32_e32 v42, v40, v37
	v_cmp_gt_i32_e64 s[0:1], s3, v41
	v_fma_f32 v38, v44, v38, v39
	v_or_b32_e32 v34, 2, v34
	v_cndmask_b32_e64 v40, v40, v42, s[0:1]
	v_accvgpr_read_b32 v39, a3
	v_max_f32_e32 v41, v40, v38
	v_cmp_gt_i32_e64 s[4:5], s3, v34
	v_fmac_f32_e32 v39, v44, v35
	v_lshlrev_b32_e32 v35, 2, v0
	v_cndmask_b32_e64 v34, v40, v41, s[4:5]
	v_or_b32_e32 v40, 3, v48
	v_max_f32_e32 v41, v34, v39
	v_cmp_gt_i32_e64 s[8:9], s3, v40
	v_and_or_b32 v35, v35, 48, v47
	s_nop 0
	v_cndmask_b32_e64 v34, v34, v41, s[8:9]
	;;#ASMSTART
	v_nop
 v_nop
 v_max_f32_dpp v34, v34, v34 row_ror:4
	;;#ASMEND
	v_lshlrev_b32_e32 v41, 2, v35
	;;#ASMSTART
	v_nop
 v_nop
 v_max_f32_dpp v34, v34, v34 row_ror:8
	;;#ASMEND
	ds_bpermute_b32 v34, v41, v34
	s_waitcnt lgkmcnt(0)
	;;#ASMSTART
	v_nop
 v_nop
 v_max_f32_dpp v34, v34, v34 row_ror:4
	;;#ASMEND
	s_nop 0
	;;#ASMSTART
	v_nop
 v_nop
 v_max_f32_dpp v40, v34, v34 row_ror:8
	;;#ASMEND
	s_nop 0
	v_sub_f32_e32 v34, v36, v40
	v_mul_f32_e32 v34, 0x3fb8aa3b, v34
	v_sub_f32_e32 v35, v37, v40
	v_exp_f32_e32 v34, v34
	v_mul_f32_e32 v35, 0x3fb8aa3b, v35
	v_sub_f32_e32 v37, v38, v40
	v_exp_f32_e32 v35, v35
	;; [unrolled: 3-line block ×3, first 2 shown]
	v_mul_f32_e32 v38, 0x3fb8aa3b, v38
	v_exp_f32_e32 v38, v38
	v_cndmask_b32_e32 v34, 0, v34, vcc
	v_add_f32_e32 v36, 0, v34
	v_cndmask_b32_e64 v35, 0, v35, s[0:1]
	v_add_f32_e32 v39, v36, v35
	v_cndmask_b32_e64 v36, 0, v37, s[4:5]
	;; [unrolled: 2-line block ×3, first 2 shown]
	v_add_f32_e32 v38, v39, v37
	;;#ASMSTART
	v_nop
 v_nop
 v_add_f32_dpp v38, v38, v38 row_ror:4
	;;#ASMEND
	v_cmp_gt_u32_e32 vcc, 4, v46
	;;#ASMSTART
	v_nop
 v_nop
 v_add_f32_dpp v38, v38, v38 row_ror:8
	;;#ASMEND
	ds_bpermute_b32 v38, v41, v38
	s_waitcnt lgkmcnt(0)
	;;#ASMSTART
	v_nop
 v_nop
 v_add_f32_dpp v38, v38, v38 row_ror:4
	;;#ASMEND
	s_nop 0
	;;#ASMSTART
	v_nop
 v_nop
 v_add_f32_dpp v38, v38, v38 row_ror:8
	;;#ASMEND
	s_and_saveexec_b64 s[0:1], vcc
	s_cbranch_execz .LBB114_18
; %bb.17:
	v_mul_u32_u24_e32 v39, 20, v1
	v_lshl_add_u32 v39, v47, 2, v39
	v_add_u32_e32 v39, 0x800, v39
	ds_write2_b32 v39, v40, v38 offset0:128 offset1:148
.LBB114_18:
	s_or_b64 exec, exec, s[0:1]
.LBB114_19:
	s_or_b64 exec, exec, s[22:23]
	s_waitcnt lgkmcnt(0)
	s_barrier
	s_load_dword s0, s[20:21], 0x8
	v_lshlrev_b32_e32 v38, 2, v47
	v_add_u32_e32 v48, 0x800, v38
	ds_read2_b32 v[38:39], v48 offset0:128 offset1:133
	ds_read2_b32 v[42:43], v48 offset0:138 offset1:143
	s_mul_i32 s1, s2, s33
	s_waitcnt lgkmcnt(0)
	s_mul_i32 s0, s1, s0
	s_mov_b32 s1, 0xff7fffff
	v_max3_f32 v41, v38, s1, v39
	v_max3_f32 v41, v41, v42, v43
	v_sub_f32_e32 v38, v38, v41
	v_mul_f32_e32 v38, 0x3fb8aa3b, v38
	ds_read2_b32 v[44:45], v48 offset0:148 offset1:153
	v_exp_f32_e32 v49, v38
	v_sub_f32_e32 v38, v39, v41
	v_sub_f32_e32 v42, v42, v41
	v_mul_f32_e32 v38, 0x3fb8aa3b, v38
	v_mul_f32_e32 v42, 0x3fb8aa3b, v42
	v_exp_f32_e32 v50, v38
	ds_read2_b32 v[38:39], v48 offset0:158 offset1:163
	v_exp_f32_e32 v48, v42
	v_sub_f32_e32 v42, v43, v41
	v_mul_f32_e32 v42, 0x3fb8aa3b, v42
	v_exp_f32_e32 v43, v42
	s_waitcnt lgkmcnt(1)
	v_fma_f32 v42, v49, v44, 0
	v_fmac_f32_e32 v42, v50, v45
	s_waitcnt lgkmcnt(0)
	v_fmac_f32_e32 v42, v48, v38
	s_mul_i32 s0, s0, 3
	v_fmac_f32_e32 v42, v43, v39
	v_cmp_ne_u32_e32 vcc, 3, v47
	s_and_saveexec_b64 s[2:3], vcc
	s_cbranch_execz .LBB114_21
; %bb.20:
	s_mov_b32 s1, 0
	s_lshl_b64 s[4:5], s[0:1], 2
	s_add_u32 s10, s12, s4
	s_mov_b32 s17, s1
	s_addc_u32 s11, s13, s5
	s_lshl_b64 s[8:9], s[16:17], 2
	s_add_u32 s10, s10, s8
	s_addc_u32 s11, s11, s9
	s_add_u32 s1, s14, s4
	s_addc_u32 s5, s15, s5
	v_add_u32_e32 v38, s34, v47
	s_add_u32 s4, s1, s8
	v_mul_lo_u32 v38, s33, v38
	v_mov_b32_e32 v39, 0
	s_addc_u32 s5, s5, s9
	v_lshlrev_b64 v[38:39], 2, v[38:39]
	v_lshl_add_u64 v[44:45], s[10:11], 0, v[38:39]
	v_lshl_add_u64 v[38:39], s[4:5], 0, v[38:39]
	global_store_dword v[38:39], v41, off
	global_store_dword v[44:45], v42, off
.LBB114_21:
	s_or_b64 exec, exec, s[2:3]
	v_mov_b32_e32 v38, 0
	v_mov_b32_e32 v39, 0
	s_and_saveexec_b64 s[2:3], s[6:7]
	s_cbranch_execz .LBB114_23
; %bb.22:
	v_add_f32_e32 v38, 0x358637bd, v42
	v_div_scale_f32 v39, s[4:5], v38, v38, 1.0
	v_rcp_f32_e32 v42, v39
	v_div_scale_f32 v43, vcc, 1.0, v38, 1.0
	v_sub_f32_e32 v40, v40, v41
	v_fma_f32 v44, -v39, v42, 1.0
	v_fmac_f32_e32 v42, v44, v42
	v_mul_f32_e32 v44, v43, v42
	v_fma_f32 v45, -v39, v44, v43
	v_mul_f32_e32 v40, 0x3fb8aa3b, v40
	v_fmac_f32_e32 v44, v45, v42
	v_exp_f32_e32 v40, v40
	v_fma_f32 v39, -v39, v44, v43
	v_div_fmas_f32 v39, v39, v42, v44
	v_div_fixup_f32 v38, v39, v38, 1.0
	v_mul_f32_e32 v38, v40, v38
	v_pk_mul_f32 v[36:37], v[36:37], v[38:39] op_sel_hi:[1,0]
	v_pk_mul_f32 v[34:35], v[34:35], v[38:39] op_sel_hi:[1,0]
	v_cvt_f16_f32_e32 v36, v36
	v_cvt_f16_f32_e32 v34, v34
	;; [unrolled: 1-line block ×4, first 2 shown]
	s_mov_b32 s1, 0x5040100
	v_pack_b32_f16 v34, v34, v35
	v_pack_b32_f16 v35, v36, v37
	s_waitcnt vmcnt(7)
	s_nop 0
	v_mfma_f32_4x4x4_16b_f16 a[0:3], v[34:35], v[2:3], 0 cbsz:4
	s_nop 1
	v_mfma_f32_4x4x4_16b_f16 a[0:3], v[34:35], v[4:5], a[0:3] cbsz:4 abid:1
	s_waitcnt vmcnt(6)
	s_nop 0
	v_mfma_f32_4x4x4_16b_f16 a[0:3], v[34:35], v[6:7], a[0:3] cbsz:4 abid:2
	s_nop 1
	v_mfma_f32_4x4x4_16b_f16 a[0:3], v[34:35], v[8:9], a[0:3] cbsz:4 abid:3
	s_waitcnt vmcnt(5)
	s_nop 0
	v_mfma_f32_4x4x4_16b_f16 a[0:3], v[34:35], v[10:11], a[0:3] cbsz:4 abid:4
	;; [unrolled: 5-line block ×7, first 2 shown]
	s_nop 1
	v_mfma_f32_4x4x4_16b_f16 a[0:3], v[34:35], v[32:33], a[0:3] cbsz:4 abid:15
	s_nop 4
	v_accvgpr_read_b32 v2, a0
	v_accvgpr_read_b32 v3, a1
	;; [unrolled: 1-line block ×4, first 2 shown]
	v_cvt_f16_f32_e32 v2, v2
	v_cvt_f16_f32_e32 v3, v3
	;; [unrolled: 1-line block ×4, first 2 shown]
	v_perm_b32 v38, v3, v2, s1
	v_perm_b32 v39, v5, v4, s1
.LBB114_23:
	s_or_b64 exec, exec, s[2:3]
	v_lshlrev_b32_e32 v1, 3, v1
	v_mad_u32_u24 v1, v46, 40, v1
	v_cmp_gt_u32_e32 vcc, 64, v0
	ds_write_b64 v1, v[38:39]
	s_waitcnt lgkmcnt(0)
	s_barrier
	s_and_saveexec_b64 s[2:3], vcc
	s_cbranch_execz .LBB114_25
; %bb.24:
	v_mul_u32_u24_e32 v1, 40, v46
	s_waitcnt vmcnt(7)
	ds_read2_b64 v[2:5], v1 offset1:1
	s_waitcnt vmcnt(6)
	ds_read2_b64 v[6:9], v1 offset0:2 offset1:3
	s_mov_b32 s1, 0
	s_lshl_b32 s0, s0, 6
	s_lshl_b64 s[2:3], s[0:1], 1
	s_add_u32 s2, s18, s2
	s_addc_u32 s3, s19, s3
	s_lshl_b32 s0, s16, 6
	s_lshl_b64 s[0:1], s[0:1], 1
	s_waitcnt lgkmcnt(1)
	v_pk_add_f16 v1, v2, 0
	v_pk_add_f16 v2, v3, 0
	s_add_u32 s0, s2, s0
	v_pk_add_f16 v2, v2, v5
	s_addc_u32 s1, s3, s1
	s_lshl_b32 s2, s33, 6
	v_pk_add_f16 v1, v1, v4
	s_waitcnt lgkmcnt(0)
	v_pk_add_f16 v2, v2, v7
	s_mul_i32 s3, s2, s34
	v_pk_add_f16 v1, v1, v6
	v_pk_add_f16 v6, v2, v9
	v_or_b32_e32 v2, s3, v0
	v_mov_b32_e32 v3, 0
	s_add_i32 s3, s3, s2
	v_pk_add_f16 v1, v1, v8
	v_lshl_add_u64 v[4:5], v[2:3], 1, s[0:1]
	v_or_b32_e32 v2, s3, v0
	s_add_i32 s3, s3, s2
	global_store_short v[4:5], v1, off
	v_lshl_add_u64 v[4:5], v[2:3], 1, s[0:1]
	v_or_b32_e32 v2, s3, v0
	global_store_short_d16_hi v[4:5], v1, off
	v_lshl_add_u64 v[0:1], v[2:3], 1, s[0:1]
	global_store_short v[0:1], v6, off
.LBB114_25:
	s_endpgm
	.section	.rodata,"a",@progbits
	.p2align	6, 0x0
	.amdhsa_kernel _Z38paged_attention_ll4mi_QKV_mfma4_kernelIDF16_DF16_LN4vllm18Fp8KVCacheDataTypeE0EhLi32ELi64ELi256ELb1ELi3EEvPKT_PKT0_S7_ifPKiS9_S9_iPKfiiiPfSC_PS2_PT2_iSB_SB_
		.amdhsa_group_segment_fixed_size 2720
		.amdhsa_private_segment_fixed_size 0
		.amdhsa_kernarg_size 400
		.amdhsa_user_sgpr_count 2
		.amdhsa_user_sgpr_dispatch_ptr 0
		.amdhsa_user_sgpr_queue_ptr 0
		.amdhsa_user_sgpr_kernarg_segment_ptr 1
		.amdhsa_user_sgpr_dispatch_id 0
		.amdhsa_user_sgpr_kernarg_preload_length 0
		.amdhsa_user_sgpr_kernarg_preload_offset 0
		.amdhsa_user_sgpr_private_segment_size 0
		.amdhsa_uses_dynamic_stack 0
		.amdhsa_enable_private_segment 0
		.amdhsa_system_sgpr_workgroup_id_x 1
		.amdhsa_system_sgpr_workgroup_id_y 1
		.amdhsa_system_sgpr_workgroup_id_z 1
		.amdhsa_system_sgpr_workgroup_info 0
		.amdhsa_system_vgpr_workitem_id 0
		.amdhsa_next_free_vgpr 60
		.amdhsa_next_free_sgpr 40
		.amdhsa_accum_offset 56
		.amdhsa_reserve_vcc 1
		.amdhsa_float_round_mode_32 0
		.amdhsa_float_round_mode_16_64 0
		.amdhsa_float_denorm_mode_32 3
		.amdhsa_float_denorm_mode_16_64 3
		.amdhsa_dx10_clamp 1
		.amdhsa_ieee_mode 1
		.amdhsa_fp16_overflow 0
		.amdhsa_tg_split 0
		.amdhsa_exception_fp_ieee_invalid_op 0
		.amdhsa_exception_fp_denorm_src 0
		.amdhsa_exception_fp_ieee_div_zero 0
		.amdhsa_exception_fp_ieee_overflow 0
		.amdhsa_exception_fp_ieee_underflow 0
		.amdhsa_exception_fp_ieee_inexact 0
		.amdhsa_exception_int_div_zero 0
	.end_amdhsa_kernel
	.section	.text._Z38paged_attention_ll4mi_QKV_mfma4_kernelIDF16_DF16_LN4vllm18Fp8KVCacheDataTypeE0EhLi32ELi64ELi256ELb1ELi3EEvPKT_PKT0_S7_ifPKiS9_S9_iPKfiiiPfSC_PS2_PT2_iSB_SB_,"axG",@progbits,_Z38paged_attention_ll4mi_QKV_mfma4_kernelIDF16_DF16_LN4vllm18Fp8KVCacheDataTypeE0EhLi32ELi64ELi256ELb1ELi3EEvPKT_PKT0_S7_ifPKiS9_S9_iPKfiiiPfSC_PS2_PT2_iSB_SB_,comdat
.Lfunc_end114:
	.size	_Z38paged_attention_ll4mi_QKV_mfma4_kernelIDF16_DF16_LN4vllm18Fp8KVCacheDataTypeE0EhLi32ELi64ELi256ELb1ELi3EEvPKT_PKT0_S7_ifPKiS9_S9_iPKfiiiPfSC_PS2_PT2_iSB_SB_, .Lfunc_end114-_Z38paged_attention_ll4mi_QKV_mfma4_kernelIDF16_DF16_LN4vllm18Fp8KVCacheDataTypeE0EhLi32ELi64ELi256ELb1ELi3EEvPKT_PKT0_S7_ifPKiS9_S9_iPKfiiiPfSC_PS2_PT2_iSB_SB_
                                        ; -- End function
	.section	.AMDGPU.csdata,"",@progbits
; Kernel info:
; codeLenInByte = 3112
; NumSgprs: 46
; NumVgprs: 56
; NumAgprs: 4
; TotalNumVgprs: 60
; ScratchSize: 0
; MemoryBound: 0
; FloatMode: 240
; IeeeMode: 1
; LDSByteSize: 2720 bytes/workgroup (compile time only)
; SGPRBlocks: 5
; VGPRBlocks: 7
; NumSGPRsForWavesPerEU: 46
; NumVGPRsForWavesPerEU: 60
; AccumOffset: 56
; Occupancy: 8
; WaveLimiterHint : 1
; COMPUTE_PGM_RSRC2:SCRATCH_EN: 0
; COMPUTE_PGM_RSRC2:USER_SGPR: 2
; COMPUTE_PGM_RSRC2:TRAP_HANDLER: 0
; COMPUTE_PGM_RSRC2:TGID_X_EN: 1
; COMPUTE_PGM_RSRC2:TGID_Y_EN: 1
; COMPUTE_PGM_RSRC2:TGID_Z_EN: 1
; COMPUTE_PGM_RSRC2:TIDIG_COMP_CNT: 0
; COMPUTE_PGM_RSRC3_GFX90A:ACCUM_OFFSET: 13
; COMPUTE_PGM_RSRC3_GFX90A:TG_SPLIT: 0
	.section	.text._Z38paged_attention_ll4mi_QKV_mfma4_kernelIDF16_DF16_LN4vllm18Fp8KVCacheDataTypeE0EhLi32ELi64ELi256ELb1ELi4EEvPKT_PKT0_S7_ifPKiS9_S9_iPKfiiiPfSC_PS2_PT2_iSB_SB_,"axG",@progbits,_Z38paged_attention_ll4mi_QKV_mfma4_kernelIDF16_DF16_LN4vllm18Fp8KVCacheDataTypeE0EhLi32ELi64ELi256ELb1ELi4EEvPKT_PKT0_S7_ifPKiS9_S9_iPKfiiiPfSC_PS2_PT2_iSB_SB_,comdat
	.protected	_Z38paged_attention_ll4mi_QKV_mfma4_kernelIDF16_DF16_LN4vllm18Fp8KVCacheDataTypeE0EhLi32ELi64ELi256ELb1ELi4EEvPKT_PKT0_S7_ifPKiS9_S9_iPKfiiiPfSC_PS2_PT2_iSB_SB_ ; -- Begin function _Z38paged_attention_ll4mi_QKV_mfma4_kernelIDF16_DF16_LN4vllm18Fp8KVCacheDataTypeE0EhLi32ELi64ELi256ELb1ELi4EEvPKT_PKT0_S7_ifPKiS9_S9_iPKfiiiPfSC_PS2_PT2_iSB_SB_
	.globl	_Z38paged_attention_ll4mi_QKV_mfma4_kernelIDF16_DF16_LN4vllm18Fp8KVCacheDataTypeE0EhLi32ELi64ELi256ELb1ELi4EEvPKT_PKT0_S7_ifPKiS9_S9_iPKfiiiPfSC_PS2_PT2_iSB_SB_
	.p2align	8
	.type	_Z38paged_attention_ll4mi_QKV_mfma4_kernelIDF16_DF16_LN4vllm18Fp8KVCacheDataTypeE0EhLi32ELi64ELi256ELb1ELi4EEvPKT_PKT0_S7_ifPKiS9_S9_iPKfiiiPfSC_PS2_PT2_iSB_SB_,@function
_Z38paged_attention_ll4mi_QKV_mfma4_kernelIDF16_DF16_LN4vllm18Fp8KVCacheDataTypeE0EhLi32ELi64ELi256ELb1ELi4EEvPKT_PKT0_S7_ifPKiS9_S9_iPKfiiiPfSC_PS2_PT2_iSB_SB_: ; @_Z38paged_attention_ll4mi_QKV_mfma4_kernelIDF16_DF16_LN4vllm18Fp8KVCacheDataTypeE0EhLi32ELi64ELi256ELb1ELi4EEvPKT_PKT0_S7_ifPKiS9_S9_iPKfiiiPfSC_PS2_PT2_iSB_SB_
; %bb.0:
	s_load_dwordx2 s[8:9], s[0:1], 0x30
	s_mov_b32 s20, s3
	s_mov_b64 s[6:7], 0
	s_waitcnt lgkmcnt(0)
	s_cmp_lg_u64 s[8:9], 0
	s_cselect_b64 s[10:11], -1, 0
	s_and_b64 vcc, exec, s[10:11]
	s_cbranch_vccz .LBB115_18
; %bb.1:
	s_add_i32 s12, s2, 1
	s_mov_b32 s13, 0
	s_lshl_b64 s[14:15], s[12:13], 2
	s_add_u32 s14, s8, s14
	s_mov_b32 s3, s13
	s_addc_u32 s15, s9, s15
	s_lshl_b64 s[12:13], s[2:3], 2
	s_add_u32 s12, s8, s12
	s_addc_u32 s13, s9, s13
	s_load_dword s5, s[14:15], 0x0
	s_load_dword s16, s[12:13], 0x0
	s_mov_b64 s[30:31], s[2:3]
	s_waitcnt lgkmcnt(0)
	s_sub_i32 s5, s5, s16
	s_cmp_eq_u32 s5, 1
	s_cselect_b64 s[12:13], -1, 0
	s_andn2_b64 vcc, exec, s[6:7]
	s_cbranch_vccnz .LBB115_3
.LBB115_2:
	s_mov_b32 s3, 0
	s_mov_b64 s[12:13], -1
	s_mov_b64 s[30:31], s[2:3]
.LBB115_3:
	s_andn2_b64 vcc, exec, s[12:13]
	s_cbranch_vccnz .LBB115_17
; %bb.4:
	s_load_dword s3, s[0:1], 0x9c
	s_load_dwordx2 s[6:7], s[0:1], 0x28
	s_add_u32 s24, s0, 0x90
	s_addc_u32 s25, s1, 0
	s_lshl_b64 s[36:37], s[30:31], 2
	s_waitcnt lgkmcnt(0)
	s_and_b32 s5, s3, 0xffff
	s_add_u32 s6, s6, s36
	s_addc_u32 s7, s7, s37
	s_load_dword s3, s[6:7], 0x0
	s_mul_i32 s5, s20, s5
	s_waitcnt lgkmcnt(0)
	s_cmp_ge_i32 s5, s3
	s_cbranch_scc1 .LBB115_17
; %bb.5:
	v_and_b32_e32 v2, 0xc0, v0
	v_and_b32_e32 v41, 3, v0
	s_lshl_b32 s33, s4, 2
	v_add_u32_e32 v4, s5, v2
	v_lshrrev_b32_e32 v1, 6, v0
	v_cmp_gt_i32_e64 s[6:7], s3, v4
	v_cmp_le_i32_e32 vcc, s3, v4
	v_or_b32_e32 v34, s33, v41
                                        ; implicit-def: $sgpr17
                                        ; implicit-def: $sgpr16
	s_and_saveexec_b64 s[12:13], vcc
	s_xor_b64 s[12:13], exec, s[12:13]
	s_cbranch_execz .LBB115_7
; %bb.6:
	v_mul_u32_u24_e32 v2, 20, v1
	v_or_b32_e32 v2, 0xa00, v2
	v_mov_b32_e32 v3, 0xa50
	v_mov_b32_e32 v4, 0xff7fffff
	v_mad_u32_u24 v3, v1, 20, v3
	ds_write2_b32 v2, v4, v4 offset1:1
	v_mov_b32_e32 v2, 0
	ds_write2_b32 v3, v2, v2 offset1:1
	v_mov_b32_e32 v3, 0xa08
	s_mov_b32 s16, 0xff7fffff
	s_mov_b32 s17, 0
	v_mad_u32_u24 v3, v1, 20, v3
	v_mov_b32_e32 v5, 0xa58
	v_or_b32_e32 v34, s33, v41
	v_mad_u32_u24 v5, v1, 20, v5
	ds_write2_b32 v3, v4, v4 offset1:1
	ds_write2_b32 v5, v2, v2 offset1:1
                                        ; implicit-def: $vgpr4
.LBB115_7:
	s_or_saveexec_b64 s[26:27], s[12:13]
	s_load_dwordx2 s[22:23], s[0:1], 0x68
	s_load_dwordx4 s[12:15], s[0:1], 0x58
	s_load_dword s40, s[24:25], 0x4
	v_and_b32_e32 v40, 63, v0
	v_mov_b32_e32 v39, s17
	v_mov_b32_e32 v42, s16
	;; [unrolled: 1-line block ×5, first 2 shown]
                                        ; implicit-def: $vgpr3
                                        ; implicit-def: $vgpr7
                                        ; implicit-def: $vgpr11
                                        ; implicit-def: $vgpr15
                                        ; implicit-def: $vgpr19
                                        ; implicit-def: $vgpr23
                                        ; implicit-def: $vgpr27
                                        ; implicit-def: $vgpr31
	s_xor_b64 exec, exec, s[26:27]
	s_cbranch_execz .LBB115_13
; %bb.8:
	s_add_i32 s19, s3, 31
	s_ashr_i32 s21, s19, 31
	s_lshr_b32 s21, s21, 27
	v_add_u32_e32 v2, s5, v0
	s_add_i32 s19, s19, s21
	v_ashrrev_i32_e32 v3, 31, v2
	s_load_dwordx2 s[16:17], s[0:1], 0x20
	s_load_dword s18, s[0:1], 0x38
	s_ashr_i32 s19, s19, 5
	v_lshrrev_b32_e32 v3, 27, v3
	s_add_i32 s21, s19, -1
	v_add_u32_e32 v3, v2, v3
	v_ashrrev_i32_e32 v3, 5, v3
	v_mov_b32_e32 v5, s21
	v_cmp_gt_i32_e32 vcc, s3, v2
	s_waitcnt lgkmcnt(0)
	s_mul_i32 s38, s2, s18
	s_mov_b32 s39, 0
	v_cndmask_b32_e32 v6, v5, v3, vcc
	v_ashrrev_i32_e32 v3, 31, v4
	v_lshrrev_b32_e32 v3, 27, v3
	v_add_u32_e32 v3, v4, v3
	s_lshl_b64 s[18:19], s[38:39], 2
	v_ashrrev_i32_e32 v3, 5, v3
	s_add_u32 s16, s16, s18
	v_min_i32_e32 v4, s21, v3
	s_addc_u32 s17, s17, s19
	v_ashrrev_i32_e32 v5, 31, v4
	v_add_u32_e32 v3, 1, v3
	v_ashrrev_i32_e32 v7, 31, v6
	v_lshl_add_u64 v[8:9], v[4:5], 2, s[16:17]
	v_min_i32_e32 v4, s21, v3
	v_lshl_add_u64 v[6:7], v[6:7], 2, s[16:17]
	v_ashrrev_i32_e32 v5, 31, v4
	v_lshl_add_u64 v[10:11], v[4:5], 2, s[16:17]
	global_load_dword v5, v[6:7], off
	global_load_dword v4, v[8:9], off
	;; [unrolled: 1-line block ×3, first 2 shown]
	s_load_dwordx2 s[34:35], s[0:1], 0x40
	s_load_dwordx4 s[16:19], s[0:1], 0x0
	s_load_dwordx2 s[28:29], s[0:1], 0x10
	s_andn2_b64 vcc, exec, s[10:11]
	s_cbranch_vccnz .LBB115_10
; %bb.9:
	s_add_u32 s8, s8, s36
	s_addc_u32 s9, s9, s37
	s_load_dword s38, s[8:9], 0x0
	s_waitcnt lgkmcnt(0)
	s_mov_b64 s[30:31], s[38:39]
.LBB115_10:
	s_load_dwordx4 s[8:11], s[0:1], 0x48
	v_lshrrev_b32_e32 v6, 2, v40
	v_lshlrev_b32_e32 v7, 3, v41
	v_add_lshl_u32 v6, v7, v6, 4
	v_mov_b32_e32 v31, 0
	s_waitcnt lgkmcnt(0)
	s_ashr_i32 s5, s8, 31
	s_mul_hi_u32 s11, s30, s8
	s_mul_i32 s5, s30, s5
	s_mul_i32 s21, s31, s8
	s_add_i32 s5, s11, s5
	s_mul_i32 s36, s30, s8
	s_add_i32 s37, s5, s21
	s_lshl_b64 s[30:31], s[36:37], 1
	s_add_u32 s5, s16, s30
	s_addc_u32 s8, s17, s31
	s_lshl_b32 s38, s4, 8
	s_lshl_b64 s[16:17], s[38:39], 1
	s_add_u32 s16, s5, s16
	s_addc_u32 s17, s8, s17
	global_load_dwordx4 v[36:39], v6, s[16:17]
	s_mul_i32 s38, s4, s10
	s_lshl_b64 s[4:5], s[38:39], 1
	s_add_u32 s10, s4, s18
	s_waitcnt vmcnt(3)
	v_mad_i64_i32 v[6:7], s[16:17], v5, s9, 0
	s_addc_u32 s11, s5, s19
	v_and_b32_e32 v5, 31, v0
	v_lshl_add_u64 v[6:7], v[6:7], 1, s[10:11]
	v_lshlrev_b32_e32 v30, 4, v5
	v_lshl_add_u64 v[32:33], v[6:7], 0, v[30:31]
	global_load_dwordx4 v[6:9], v[32:33], off
	global_load_dwordx4 v[10:13], v[32:33], off offset:512
	global_load_dwordx4 v[14:17], v[32:33], off offset:1024
	;; [unrolled: 1-line block ×7, first 2 shown]
	v_mov_b32_e32 v35, v31
	v_lshl_add_u64 v[32:33], v[34:35], 2, s[34:35]
	global_load_dword v35, v[32:33], off
	v_and_b32_e32 v56, -4, v2
	v_lshlrev_b32_e32 v5, 2, v0
	v_or_b32_e32 v58, 3, v2
	s_waitcnt vmcnt(11)
	v_mul_hi_i32 v2, v4, s9
	s_add_u32 s4, s28, s4
	v_and_or_b32 v60, v5, 48, v41
	s_waitcnt vmcnt(10)
	v_mul_hi_i32 v5, v3, s9
	v_ashrrev_i32_e32 v2, 31, v2
	s_addc_u32 s5, s29, s5
	v_lshlrev_b32_e32 v30, 6, v40
	v_ashrrev_i32_e32 v50, 31, v5
	v_lshl_add_u64 v[32:33], s[4:5], 0, v[30:31]
	v_lshrrev_b32_e32 v30, 29, v2
	v_mad_i64_i32 v[4:5], s[4:5], v4, s9, v[30:31]
	v_lshrrev_b32_e32 v30, 29, v50
	v_mad_i64_i32 v[2:3], s[4:5], v3, s9, v[30:31]
	v_lshlrev_b64 v[4:5], 1, v[4:5]
	v_lshlrev_b64 v[30:31], 1, v[2:3]
	v_and_b32_e32 v4, -16, v4
	v_and_b32_e32 v30, -16, v30
	v_lshl_add_u64 v[50:51], v[32:33], 0, v[30:31]
	s_load_dword s0, s[0:1], 0x1c
	v_cmp_eq_u32_e32 vcc, 0, v41
	v_subrev_u32_e32 v59, s3, v56
	v_add_u32_e32 v63, 1, v59
	v_cndmask_b32_e64 v52, 0, 1.0, vcc
	v_cmp_eq_u32_e32 vcc, 1, v41
	v_add_u32_e32 v64, 2, v59
	v_add_u32_e32 v65, 3, v59
	v_cndmask_b32_e64 v53, 0, 1.0, vcc
	v_cmp_eq_u32_e32 vcc, 2, v41
	v_mov_b32_e32 v57, 0xff7fffff
	v_or_b32_e32 v61, 1, v56
	v_cndmask_b32_e64 v54, 0, 1.0, vcc
	v_cmp_eq_u32_e32 vcc, 3, v41
	v_or_b32_e32 v62, 2, v56
	v_cmp_gt_i32_e64 s[4:5], s3, v62
	v_cndmask_b32_e64 v55, 0, 1.0, vcc
	v_cmp_gt_i32_e32 vcc, s3, v56
	v_cmp_gt_i32_e64 s[8:9], s3, v58
	s_waitcnt vmcnt(8)
	v_mfma_f32_4x4x4_16b_f16 a[0:3], v[36:37], v[6:7], 0 cbsz:4
	s_nop 1
	v_mfma_f32_4x4x4_16b_f16 a[0:3], v[38:39], v[8:9], a[0:3] cbsz:4
	s_waitcnt vmcnt(7)
	s_nop 0
	v_mfma_f32_4x4x4_16b_f16 a[0:3], v[36:37], v[10:11], a[0:3] cbsz:4 abid:1
	s_nop 1
	v_mfma_f32_4x4x4_16b_f16 a[0:3], v[38:39], v[12:13], a[0:3] cbsz:4 abid:1
	s_waitcnt vmcnt(6)
	s_nop 0
	v_mfma_f32_4x4x4_16b_f16 a[0:3], v[36:37], v[14:15], a[0:3] cbsz:4 abid:2
	s_nop 1
	v_mfma_f32_4x4x4_16b_f16 a[0:3], v[38:39], v[16:17], a[0:3] cbsz:4 abid:2
	s_waitcnt vmcnt(5)
	s_nop 0
	v_mfma_f32_4x4x4_16b_f16 a[0:3], v[36:37], v[18:19], a[0:3] cbsz:4 abid:3
	v_lshl_add_u64 v[18:19], v[32:33], 0, v[4:5]
	global_load_dwordx4 v[2:5], v[18:19], off
	global_load_dwordx4 v[6:9], v[18:19], off offset:16
	v_mfma_f32_4x4x4_16b_f16 a[0:3], v[38:39], v[20:21], a[0:3] cbsz:4 abid:3
	global_load_dwordx4 v[10:13], v[18:19], off offset:32
	global_load_dwordx4 v[14:17], v[18:19], off offset:48
	s_waitcnt vmcnt(8)
	v_mfma_f32_4x4x4_16b_f16 a[0:3], v[36:37], v[22:23], a[0:3] cbsz:4 abid:4
	s_nop 1
	v_mfma_f32_4x4x4_16b_f16 a[0:3], v[38:39], v[24:25], a[0:3] cbsz:4 abid:4
	global_load_dwordx4 v[18:21], v[50:51], off
	global_load_dwordx4 v[22:25], v[50:51], off offset:16
	s_waitcnt vmcnt(9)
	v_mfma_f32_4x4x4_16b_f16 a[0:3], v[36:37], v[26:27], a[0:3] cbsz:4 abid:5
	s_nop 1
	v_mfma_f32_4x4x4_16b_f16 a[0:3], v[38:39], v[28:29], a[0:3] cbsz:4 abid:5
	global_load_dwordx4 v[26:29], v[50:51], off offset:32
	global_load_dwordx4 v[30:33], v[50:51], off offset:48
	s_waitcnt vmcnt(10)
	v_mfma_f32_4x4x4_16b_f16 a[0:3], v[36:37], v[42:43], a[0:3] cbsz:4 abid:6
	v_add_u32_e32 v42, 4, v59
	v_lshlrev_b32_e32 v43, 2, v60
	v_mfma_f32_4x4x4_16b_f16 a[0:3], v[38:39], v[44:45], a[0:3] cbsz:4 abid:6
	v_cvt_f32_i32_e32 v44, v63
	s_waitcnt vmcnt(9)
	v_mfma_f32_4x4x4_16b_f16 a[0:3], v[36:37], v[46:47], a[0:3] cbsz:4 abid:7
	s_nop 1
	v_mfma_f32_4x4x4_16b_f16 a[0:3], v[38:39], v[48:49], a[0:3] cbsz:4 abid:7
	s_nop 4
	v_accvgpr_read_b32 v37, a1
	v_accvgpr_read_b32 v36, a0
	s_waitcnt lgkmcnt(0)
	v_pk_mul_f32 v[36:37], s[0:1], v[36:37] op_sel_hi:[0,1]
	v_accvgpr_read_b32 v39, a3
	v_accvgpr_read_b32 v38, a2
	v_pk_mul_f32 v[38:39], s[0:1], v[38:39] op_sel_hi:[0,1]
	v_mfma_f32_4x4x1_16b_f32 a[0:3], v36, v52, 0
	v_cvt_f32_i32_e32 v36, v64
	s_nop 0
	v_mfma_f32_4x4x1_16b_f32 a[0:3], v37, v53, a[0:3]
	v_cvt_f32_i32_e32 v37, v65
	v_cmp_gt_i32_e64 s[0:1], s3, v61
	v_mfma_f32_4x4x1_16b_f32 a[0:3], v38, v54, a[0:3]
	v_cvt_f32_i32_e32 v38, v42
	s_nop 0
	v_mfma_f32_4x4x1_16b_f32 a[0:3], v39, v55, a[0:3]
	s_nop 3
	v_accvgpr_read_b32 v39, a0
	v_accvgpr_read_b32 v42, a1
	;; [unrolled: 1-line block ×4, first 2 shown]
	s_waitcnt vmcnt(8)
	v_fma_f32 v39, v35, v44, v39
	v_fma_f32 v36, v35, v36, v42
	;; [unrolled: 1-line block ×3, first 2 shown]
	v_fmac_f32_e32 v46, v35, v38
	v_max_f32_e32 v35, 0xff7fffff, v39
	v_cndmask_b32_e32 v35, v57, v35, vcc
	v_max_f32_e32 v38, v35, v36
	v_cndmask_b32_e64 v35, v35, v38, s[0:1]
	v_max_f32_e32 v38, v35, v37
	v_cndmask_b32_e64 v35, v35, v38, s[4:5]
	;; [unrolled: 2-line block ×3, first 2 shown]
	;;#ASMSTART
	v_nop
 v_nop
 v_max_f32_dpp v35, v35, v35 row_ror:4
	;;#ASMEND
	s_nop 0
	;;#ASMSTART
	v_nop
 v_nop
 v_max_f32_dpp v35, v35, v35 row_ror:8
	;;#ASMEND
	ds_bpermute_b32 v35, v43, v35
	s_waitcnt lgkmcnt(0)
	;;#ASMSTART
	v_nop
 v_nop
 v_max_f32_dpp v35, v35, v35 row_ror:4
	;;#ASMEND
	s_nop 0
	;;#ASMSTART
	v_nop
 v_nop
 v_max_f32_dpp v42, v35, v35 row_ror:8
	;;#ASMEND
	s_nop 0
	v_sub_f32_e32 v35, v39, v42
	v_sub_f32_e32 v36, v36, v42
	v_mul_f32_e32 v35, 0x3fb8aa3b, v35
	v_sub_f32_e32 v37, v37, v42
	v_mul_f32_e32 v36, 0x3fb8aa3b, v36
	v_exp_f32_e32 v35, v35
	v_sub_f32_e32 v38, v46, v42
	v_mul_f32_e32 v37, 0x3fb8aa3b, v37
	v_exp_f32_e32 v39, v36
	v_mul_f32_e32 v38, 0x3fb8aa3b, v38
	v_exp_f32_e32 v44, v37
	v_exp_f32_e32 v45, v38
	v_cndmask_b32_e32 v36, 0, v35, vcc
	v_cndmask_b32_e64 v37, 0, v39, s[0:1]
	v_add_f32_e32 v35, 0, v36
	v_cndmask_b32_e64 v38, 0, v44, s[4:5]
	v_add_f32_e32 v35, v35, v37
	;; [unrolled: 2-line block ×3, first 2 shown]
	v_add_f32_e32 v35, v35, v39
	;;#ASMSTART
	v_nop
 v_nop
 v_add_f32_dpp v35, v35, v35 row_ror:4
	;;#ASMEND
	v_cmp_gt_u32_e32 vcc, 4, v40
	;;#ASMSTART
	v_nop
 v_nop
 v_add_f32_dpp v35, v35, v35 row_ror:8
	;;#ASMEND
	ds_bpermute_b32 v35, v43, v35
	s_waitcnt lgkmcnt(0)
	;;#ASMSTART
	v_nop
 v_nop
 v_add_f32_dpp v35, v35, v35 row_ror:4
	;;#ASMEND
	s_nop 0
	;;#ASMSTART
	v_nop
 v_nop
 v_add_f32_dpp v35, v35, v35 row_ror:8
	;;#ASMEND
	s_and_saveexec_b64 s[0:1], vcc
	s_cbranch_execz .LBB115_12
; %bb.11:
	v_mul_u32_u24_e32 v43, 20, v1
	v_lshl_add_u32 v43, v41, 2, v43
	v_add_u32_e32 v43, 0x800, v43
	ds_write2_b32 v43, v42, v35 offset0:128 offset1:148
.LBB115_12:
	s_or_b64 exec, exec, s[0:1]
.LBB115_13:
	s_or_b64 exec, exec, s[26:27]
	v_lshlrev_b32_e32 v35, 2, v41
	v_add_u32_e32 v35, 0x800, v35
	s_waitcnt lgkmcnt(0)
	s_barrier
	s_load_dword s0, s[24:25], 0x8
	ds_read2_b32 v[44:45], v35 offset0:128 offset1:133
	ds_read2_b32 v[46:47], v35 offset0:138 offset1:143
	s_mov_b32 s4, 0xff7fffff
	s_mul_i32 s1, s2, s40
	ds_read2_b32 v[48:49], v35 offset0:148 offset1:153
	s_waitcnt lgkmcnt(0)
	v_max3_f32 v41, v44, s4, v45
	s_mul_i32 s1, s1, s0
	v_max3_f32 v41, v41, v46, v47
	s_lshl_b32 s0, s1, 2
	s_mov_b32 s1, 0
	v_sub_f32_e32 v43, v44, v41
	v_sub_f32_e32 v44, v45, v41
	s_lshl_b64 s[2:3], s[0:1], 2
	v_mul_f32_e32 v43, 0x3fb8aa3b, v43
	v_mul_f32_e32 v44, 0x3fb8aa3b, v44
	s_mov_b32 s21, s1
	s_add_u32 s1, s12, s2
	v_exp_f32_e32 v43, v43
	v_exp_f32_e32 v50, v44
	ds_read2_b32 v[44:45], v35 offset0:158 offset1:163
	v_sub_f32_e32 v35, v46, v41
	s_addc_u32 s8, s13, s3
	v_mul_f32_e32 v35, 0x3fb8aa3b, v35
	v_sub_f32_e32 v46, v47, v41
	s_add_u32 s4, s14, s2
	v_exp_f32_e32 v35, v35
	v_mul_f32_e32 v46, 0x3fb8aa3b, v46
	s_addc_u32 s5, s15, s3
	s_lshl_b64 s[2:3], s[20:21], 2
	v_exp_f32_e32 v46, v46
	s_add_u32 s4, s4, s2
	v_fma_f32 v43, v43, v48, 0
	s_addc_u32 s5, s5, s3
	v_fmac_f32_e32 v43, v50, v49
	s_waitcnt lgkmcnt(0)
	v_fmac_f32_e32 v43, v35, v44
	s_add_u32 s2, s1, s2
	v_mul_lo_u32 v34, s40, v34
	v_mov_b32_e32 v35, 0
	v_fmac_f32_e32 v43, v46, v45
	s_addc_u32 s3, s8, s3
	v_lshlrev_b64 v[44:45], 2, v[34:35]
	v_lshl_add_u64 v[46:47], s[4:5], 0, v[44:45]
	v_lshl_add_u64 v[44:45], s[2:3], 0, v[44:45]
	v_mov_b32_e32 v34, v35
	global_store_dword v[46:47], v41, off
	global_store_dword v[44:45], v43, off
	s_and_saveexec_b64 s[2:3], s[6:7]
	s_cbranch_execz .LBB115_15
; %bb.14:
	v_add_f32_e32 v34, 0x358637bd, v43
	v_div_scale_f32 v35, s[4:5], v34, v34, 1.0
	v_rcp_f32_e32 v43, v35
	v_div_scale_f32 v44, vcc, 1.0, v34, 1.0
	v_sub_f32_e32 v41, v42, v41
	v_fma_f32 v45, -v35, v43, 1.0
	v_fmac_f32_e32 v43, v45, v43
	v_mul_f32_e32 v45, v44, v43
	v_fma_f32 v46, -v35, v45, v44
	v_mul_f32_e32 v41, 0x3fb8aa3b, v41
	v_fmac_f32_e32 v45, v46, v43
	v_exp_f32_e32 v41, v41
	v_fma_f32 v35, -v35, v45, v44
	v_div_fmas_f32 v35, v35, v43, v45
	v_div_fixup_f32 v34, v35, v34, 1.0
	v_mul_f32_e32 v34, v41, v34
	v_pk_mul_f32 v[38:39], v[38:39], v[34:35] op_sel_hi:[1,0]
	v_pk_mul_f32 v[34:35], v[36:37], v[34:35] op_sel_hi:[1,0]
	v_cvt_f16_f32_e32 v36, v38
	v_cvt_f16_f32_e32 v34, v34
	;; [unrolled: 1-line block ×4, first 2 shown]
	s_mov_b32 s1, 0x5040100
	v_pack_b32_f16 v34, v34, v35
	v_pack_b32_f16 v35, v36, v37
	s_waitcnt vmcnt(9)
	s_nop 0
	v_mfma_f32_4x4x4_16b_f16 a[0:3], v[34:35], v[2:3], 0 cbsz:4
	s_nop 1
	v_mfma_f32_4x4x4_16b_f16 a[0:3], v[34:35], v[4:5], a[0:3] cbsz:4 abid:1
	s_waitcnt vmcnt(8)
	s_nop 0
	v_mfma_f32_4x4x4_16b_f16 a[0:3], v[34:35], v[6:7], a[0:3] cbsz:4 abid:2
	s_nop 1
	v_mfma_f32_4x4x4_16b_f16 a[0:3], v[34:35], v[8:9], a[0:3] cbsz:4 abid:3
	s_waitcnt vmcnt(7)
	s_nop 0
	v_mfma_f32_4x4x4_16b_f16 a[0:3], v[34:35], v[10:11], a[0:3] cbsz:4 abid:4
	;; [unrolled: 5-line block ×7, first 2 shown]
	s_nop 1
	v_mfma_f32_4x4x4_16b_f16 a[0:3], v[34:35], v[32:33], a[0:3] cbsz:4 abid:15
	s_nop 4
	v_accvgpr_read_b32 v2, a0
	v_accvgpr_read_b32 v3, a1
	;; [unrolled: 1-line block ×4, first 2 shown]
	v_cvt_f16_f32_e32 v2, v2
	v_cvt_f16_f32_e32 v3, v3
	;; [unrolled: 1-line block ×4, first 2 shown]
	v_perm_b32 v34, v3, v2, s1
	v_perm_b32 v35, v5, v4, s1
.LBB115_15:
	s_or_b64 exec, exec, s[2:3]
	v_lshlrev_b32_e32 v1, 3, v1
	v_mad_u32_u24 v1, v40, 40, v1
	v_cmp_gt_u32_e32 vcc, 64, v0
	ds_write_b64 v1, v[34:35]
	s_waitcnt lgkmcnt(0)
	s_barrier
	s_and_saveexec_b64 s[2:3], vcc
	s_cbranch_execz .LBB115_17
; %bb.16:
	v_mul_u32_u24_e32 v1, 40, v40
	s_waitcnt vmcnt(9)
	ds_read2_b64 v[2:5], v1 offset1:1
	s_waitcnt vmcnt(8)
	ds_read2_b64 v[6:9], v1 offset0:2 offset1:3
	s_mov_b32 s1, 0
	s_lshl_b32 s0, s0, 6
	s_lshl_b64 s[2:3], s[0:1], 1
	s_add_u32 s2, s22, s2
	s_addc_u32 s3, s23, s3
	s_lshl_b32 s0, s20, 6
	s_lshl_b64 s[0:1], s[0:1], 1
	s_waitcnt lgkmcnt(1)
	v_pk_add_f16 v1, v2, 0
	v_pk_add_f16 v2, v3, 0
	s_add_u32 s0, s2, s0
	v_pk_add_f16 v2, v2, v5
	s_addc_u32 s1, s3, s1
	s_lshl_b32 s2, s40, 6
	v_pk_add_f16 v1, v1, v4
	s_waitcnt lgkmcnt(0)
	v_pk_add_f16 v2, v2, v7
	s_mul_i32 s3, s2, s33
	v_pk_add_f16 v1, v1, v6
	v_pk_add_f16 v6, v2, v9
	v_or_b32_e32 v2, s3, v0
	v_mov_b32_e32 v3, 0
	s_add_i32 s3, s3, s2
	v_pk_add_f16 v1, v1, v8
	v_lshl_add_u64 v[4:5], v[2:3], 1, s[0:1]
	v_or_b32_e32 v2, s3, v0
	s_add_i32 s3, s3, s2
	global_store_short v[4:5], v1, off
	v_lshl_add_u64 v[4:5], v[2:3], 1, s[0:1]
	v_or_b32_e32 v2, s3, v0
	s_add_i32 s3, s3, s2
	global_store_short_d16_hi v[4:5], v1, off
	v_lshl_add_u64 v[4:5], v[2:3], 1, s[0:1]
	v_or_b32_e32 v2, s3, v0
	v_lshl_add_u64 v[0:1], v[2:3], 1, s[0:1]
	global_store_short v[4:5], v6, off
	global_store_short_d16_hi v[0:1], v6, off
.LBB115_17:
	s_endpgm
.LBB115_18:
	s_mov_b64 s[12:13], 0
                                        ; implicit-def: $sgpr30_sgpr31
	s_branch .LBB115_2
	.section	.rodata,"a",@progbits
	.p2align	6, 0x0
	.amdhsa_kernel _Z38paged_attention_ll4mi_QKV_mfma4_kernelIDF16_DF16_LN4vllm18Fp8KVCacheDataTypeE0EhLi32ELi64ELi256ELb1ELi4EEvPKT_PKT0_S7_ifPKiS9_S9_iPKfiiiPfSC_PS2_PT2_iSB_SB_
		.amdhsa_group_segment_fixed_size 2720
		.amdhsa_private_segment_fixed_size 0
		.amdhsa_kernarg_size 400
		.amdhsa_user_sgpr_count 2
		.amdhsa_user_sgpr_dispatch_ptr 0
		.amdhsa_user_sgpr_queue_ptr 0
		.amdhsa_user_sgpr_kernarg_segment_ptr 1
		.amdhsa_user_sgpr_dispatch_id 0
		.amdhsa_user_sgpr_kernarg_preload_length 0
		.amdhsa_user_sgpr_kernarg_preload_offset 0
		.amdhsa_user_sgpr_private_segment_size 0
		.amdhsa_uses_dynamic_stack 0
		.amdhsa_enable_private_segment 0
		.amdhsa_system_sgpr_workgroup_id_x 1
		.amdhsa_system_sgpr_workgroup_id_y 1
		.amdhsa_system_sgpr_workgroup_id_z 1
		.amdhsa_system_sgpr_workgroup_info 0
		.amdhsa_system_vgpr_workitem_id 0
		.amdhsa_next_free_vgpr 72
		.amdhsa_next_free_sgpr 41
		.amdhsa_accum_offset 68
		.amdhsa_reserve_vcc 1
		.amdhsa_float_round_mode_32 0
		.amdhsa_float_round_mode_16_64 0
		.amdhsa_float_denorm_mode_32 3
		.amdhsa_float_denorm_mode_16_64 3
		.amdhsa_dx10_clamp 1
		.amdhsa_ieee_mode 1
		.amdhsa_fp16_overflow 0
		.amdhsa_tg_split 0
		.amdhsa_exception_fp_ieee_invalid_op 0
		.amdhsa_exception_fp_denorm_src 0
		.amdhsa_exception_fp_ieee_div_zero 0
		.amdhsa_exception_fp_ieee_overflow 0
		.amdhsa_exception_fp_ieee_underflow 0
		.amdhsa_exception_fp_ieee_inexact 0
		.amdhsa_exception_int_div_zero 0
	.end_amdhsa_kernel
	.section	.text._Z38paged_attention_ll4mi_QKV_mfma4_kernelIDF16_DF16_LN4vllm18Fp8KVCacheDataTypeE0EhLi32ELi64ELi256ELb1ELi4EEvPKT_PKT0_S7_ifPKiS9_S9_iPKfiiiPfSC_PS2_PT2_iSB_SB_,"axG",@progbits,_Z38paged_attention_ll4mi_QKV_mfma4_kernelIDF16_DF16_LN4vllm18Fp8KVCacheDataTypeE0EhLi32ELi64ELi256ELb1ELi4EEvPKT_PKT0_S7_ifPKiS9_S9_iPKfiiiPfSC_PS2_PT2_iSB_SB_,comdat
.Lfunc_end115:
	.size	_Z38paged_attention_ll4mi_QKV_mfma4_kernelIDF16_DF16_LN4vllm18Fp8KVCacheDataTypeE0EhLi32ELi64ELi256ELb1ELi4EEvPKT_PKT0_S7_ifPKiS9_S9_iPKfiiiPfSC_PS2_PT2_iSB_SB_, .Lfunc_end115-_Z38paged_attention_ll4mi_QKV_mfma4_kernelIDF16_DF16_LN4vllm18Fp8KVCacheDataTypeE0EhLi32ELi64ELi256ELb1ELi4EEvPKT_PKT0_S7_ifPKiS9_S9_iPKfiiiPfSC_PS2_PT2_iSB_SB_
                                        ; -- End function
	.section	.AMDGPU.csdata,"",@progbits
; Kernel info:
; codeLenInByte = 3096
; NumSgprs: 47
; NumVgprs: 66
; NumAgprs: 4
; TotalNumVgprs: 72
; ScratchSize: 0
; MemoryBound: 0
; FloatMode: 240
; IeeeMode: 1
; LDSByteSize: 2720 bytes/workgroup (compile time only)
; SGPRBlocks: 5
; VGPRBlocks: 8
; NumSGPRsForWavesPerEU: 47
; NumVGPRsForWavesPerEU: 72
; AccumOffset: 68
; Occupancy: 7
; WaveLimiterHint : 1
; COMPUTE_PGM_RSRC2:SCRATCH_EN: 0
; COMPUTE_PGM_RSRC2:USER_SGPR: 2
; COMPUTE_PGM_RSRC2:TRAP_HANDLER: 0
; COMPUTE_PGM_RSRC2:TGID_X_EN: 1
; COMPUTE_PGM_RSRC2:TGID_Y_EN: 1
; COMPUTE_PGM_RSRC2:TGID_Z_EN: 1
; COMPUTE_PGM_RSRC2:TIDIG_COMP_CNT: 0
; COMPUTE_PGM_RSRC3_GFX90A:ACCUM_OFFSET: 16
; COMPUTE_PGM_RSRC3_GFX90A:TG_SPLIT: 0
	.section	.text._Z39paged_attention_ll4mi_QKV_mfma16_kernelIDF16_DF16_LN4vllm18Fp8KVCacheDataTypeE0EhLi32ELi64ELi256ELb1ELi5EEvPKT_PKT0_S7_ifPKiS9_S9_iPKfiiiPfSC_PS2_PT2_iSB_SB_,"axG",@progbits,_Z39paged_attention_ll4mi_QKV_mfma16_kernelIDF16_DF16_LN4vllm18Fp8KVCacheDataTypeE0EhLi32ELi64ELi256ELb1ELi5EEvPKT_PKT0_S7_ifPKiS9_S9_iPKfiiiPfSC_PS2_PT2_iSB_SB_,comdat
	.protected	_Z39paged_attention_ll4mi_QKV_mfma16_kernelIDF16_DF16_LN4vllm18Fp8KVCacheDataTypeE0EhLi32ELi64ELi256ELb1ELi5EEvPKT_PKT0_S7_ifPKiS9_S9_iPKfiiiPfSC_PS2_PT2_iSB_SB_ ; -- Begin function _Z39paged_attention_ll4mi_QKV_mfma16_kernelIDF16_DF16_LN4vllm18Fp8KVCacheDataTypeE0EhLi32ELi64ELi256ELb1ELi5EEvPKT_PKT0_S7_ifPKiS9_S9_iPKfiiiPfSC_PS2_PT2_iSB_SB_
	.globl	_Z39paged_attention_ll4mi_QKV_mfma16_kernelIDF16_DF16_LN4vllm18Fp8KVCacheDataTypeE0EhLi32ELi64ELi256ELb1ELi5EEvPKT_PKT0_S7_ifPKiS9_S9_iPKfiiiPfSC_PS2_PT2_iSB_SB_
	.p2align	8
	.type	_Z39paged_attention_ll4mi_QKV_mfma16_kernelIDF16_DF16_LN4vllm18Fp8KVCacheDataTypeE0EhLi32ELi64ELi256ELb1ELi5EEvPKT_PKT0_S7_ifPKiS9_S9_iPKfiiiPfSC_PS2_PT2_iSB_SB_,@function
_Z39paged_attention_ll4mi_QKV_mfma16_kernelIDF16_DF16_LN4vllm18Fp8KVCacheDataTypeE0EhLi32ELi64ELi256ELb1ELi5EEvPKT_PKT0_S7_ifPKiS9_S9_iPKfiiiPfSC_PS2_PT2_iSB_SB_: ; @_Z39paged_attention_ll4mi_QKV_mfma16_kernelIDF16_DF16_LN4vllm18Fp8KVCacheDataTypeE0EhLi32ELi64ELi256ELb1ELi5EEvPKT_PKT0_S7_ifPKiS9_S9_iPKfiiiPfSC_PS2_PT2_iSB_SB_
; %bb.0:
	s_load_dwordx2 s[6:7], s[0:1], 0x30
	s_mov_b32 s28, s3
	s_mov_b64 s[8:9], 0
	s_waitcnt lgkmcnt(0)
	s_cmp_lg_u64 s[6:7], 0
	s_cselect_b64 s[10:11], -1, 0
	s_and_b64 vcc, exec, s[10:11]
	s_cbranch_vccz .LBB116_7
; %bb.1:
	s_add_i32 s12, s2, 1
	s_mov_b32 s13, 0
	s_lshl_b64 s[14:15], s[12:13], 2
	s_add_u32 s14, s6, s14
	s_mov_b32 s3, s13
	s_addc_u32 s15, s7, s15
	s_lshl_b64 s[12:13], s[2:3], 2
	s_add_u32 s12, s6, s12
	s_addc_u32 s13, s7, s13
	s_load_dword s5, s[14:15], 0x0
	s_load_dword s16, s[12:13], 0x0
	s_waitcnt lgkmcnt(0)
	s_sub_i32 s5, s5, s16
	s_cmp_eq_u32 s5, 1
	s_cselect_b64 s[12:13], -1, 0
	s_andn2_b64 vcc, exec, s[8:9]
	s_cbranch_vccnz .LBB116_3
.LBB116_2:
	s_mov_b32 s3, 0
	s_mov_b64 s[12:13], -1
.LBB116_3:
	s_andn2_b64 vcc, exec, s[12:13]
	s_cbranch_vccnz .LBB116_22
; %bb.4:
	s_load_dwordx2 s[8:9], s[0:1], 0x28
	s_lshl_b64 s[12:13], s[2:3], 2
	s_waitcnt lgkmcnt(0)
	s_add_u32 s8, s8, s12
	s_addc_u32 s9, s9, s13
	s_load_dword s29, s[8:9], 0x0
	s_lshl_b32 s14, s28, 8
	s_waitcnt lgkmcnt(0)
	s_cmp_ge_i32 s14, s29
	s_cbranch_scc1 .LBB116_22
; %bb.5:
	s_load_dwordx2 s[8:9], s[0:1], 0x20
	s_load_dword s5, s[0:1], 0x38
	s_add_i32 s15, s29, 31
	s_ashr_i32 s16, s15, 31
	v_and_b32_e32 v1, 0xcf, v0
	s_lshr_b32 s16, s16, 27
	v_add_u32_e32 v1, s14, v1
	s_add_i32 s15, s15, s16
	v_ashrrev_i32_e32 v2, 31, v1
	s_ashr_i32 s15, s15, 5
	v_lshrrev_b32_e32 v6, 27, v2
	s_add_i32 s15, s15, -1
	s_waitcnt lgkmcnt(0)
	s_mul_i32 s16, s2, s5
	s_mov_b32 s17, 0
	v_add_u32_e32 v2, v1, v6
	s_lshl_b64 s[16:17], s[16:17], 2
	v_ashrrev_i32_e32 v2, 5, v2
	v_mov_b32_e32 v7, s15
	v_cmp_gt_i32_e32 vcc, s29, v1
	s_add_u32 s8, s8, s16
	s_addc_u32 s9, s9, s17
	v_cndmask_b32_e32 v2, v7, v2, vcc
	v_ashrrev_i32_e32 v3, 31, v2
	v_lshl_add_u64 v[4:5], v[2:3], 2, s[8:9]
	v_or_b32_e32 v2, 16, v1
	v_add_u32_e32 v3, v2, v6
	v_ashrrev_i32_e32 v3, 5, v3
	v_cmp_gt_i32_e32 vcc, s29, v2
	s_nop 1
	v_cndmask_b32_e32 v2, v7, v3, vcc
	v_ashrrev_i32_e32 v3, 31, v2
	v_lshl_add_u64 v[8:9], v[2:3], 2, s[8:9]
	v_or_b32_e32 v2, 32, v1
	v_add_u32_e32 v3, v2, v6
	v_ashrrev_i32_e32 v3, 5, v3
	v_cmp_gt_i32_e32 vcc, s29, v2
	v_or_b32_e32 v1, 48, v1
	s_nop 0
	v_cndmask_b32_e32 v2, v7, v3, vcc
	v_ashrrev_i32_e32 v3, 31, v2
	v_lshl_add_u64 v[12:13], v[2:3], 2, s[8:9]
	v_add_u32_e32 v2, v1, v6
	v_ashrrev_i32_e32 v2, 5, v2
	v_cmp_gt_i32_e32 vcc, s29, v1
	s_nop 1
	v_cndmask_b32_e32 v2, v7, v2, vcc
	v_ashrrev_i32_e32 v3, 31, v2
	v_lshl_add_u64 v[16:17], v[2:3], 2, s[8:9]
	global_load_dword v2, v[4:5], off
	global_load_dword v6, v[8:9], off
	;; [unrolled: 1-line block ×4, first 2 shown]
	s_andn2_b64 vcc, exec, s[10:11]
	s_cbranch_vccnz .LBB116_8
; %bb.6:
	s_add_u32 s6, s6, s12
	s_addc_u32 s7, s7, s13
	s_load_dword s5, s[6:7], 0x0
	s_branch .LBB116_9
.LBB116_7:
	s_mov_b64 s[12:13], 0
	s_branch .LBB116_2
.LBB116_8:
	s_mov_b32 s5, s2
.LBB116_9:
	s_load_dwordx2 s[10:11], s[0:1], 0x8
	s_load_dwordx4 s[44:47], s[0:1], 0x48
	v_lshrrev_b32_e32 v1, 6, v0
	v_bfe_u32 v54, v0, 4, 2
	v_lshl_or_b32 v3, v1, 2, v54
	v_and_b32_e32 v44, 15, v0
	v_cmp_lt_u32_e32 vcc, 4, v3
	v_cmp_lt_u32_e64 s[6:7], 7, v44
	v_lshlrev_b32_e32 v42, 3, v44
	v_cmp_gt_u32_e64 s[30:31], 8, v44
	s_or_b64 s[6:7], s[6:7], vcc
	s_and_saveexec_b64 s[12:13], s[6:7]
	s_xor_b64 s[6:7], exec, s[12:13]
; %bb.10:
	v_mov_b32_e32 v43, 0
                                        ; implicit-def: $vgpr3
; %bb.11:
	s_or_saveexec_b64 s[12:13], s[6:7]
	s_load_dwordx2 s[6:7], s[0:1], 0x10
	s_mul_i32 s42, s4, 5
	s_xor_b64 exec, exec, s[12:13]
	s_cbranch_execz .LBB116_13
; %bb.12:
	s_load_dwordx2 s[16:17], s[0:1], 0x0
	s_waitcnt lgkmcnt(0)
	s_ashr_i32 s18, s44, 31
	s_mul_hi_u32 s19, s5, s44
	s_mul_i32 s18, s5, s18
	s_add_i32 s19, s19, s18
	s_mul_i32 s18, s5, s44
	s_lshl_b64 s[18:19], s[18:19], 1
	s_add_u32 s16, s16, s18
	v_add_lshl_u32 v4, v3, s42, 6
	s_addc_u32 s17, s17, s19
	v_ashrrev_i32_e32 v5, 31, v4
	v_mov_b32_e32 v43, 0
	v_lshl_add_u64 v[4:5], v[4:5], 1, s[16:17]
	v_lshlrev_b32_e32 v8, 1, v42
	v_mov_b32_e32 v9, v43
	v_lshl_add_u64 v[4:5], v[4:5], 0, v[8:9]
	global_load_dwordx4 v[16:19], v[4:5], off
	v_and_b32_e32 v4, 3, v0
	v_lshlrev_b32_e32 v5, 9, v44
	v_lshlrev_b32_e32 v3, 5, v3
	;; [unrolled: 1-line block ×3, first 2 shown]
	v_and_b32_e32 v5, 0x1800, v5
	v_or3_b32 v3, v5, v4, v3
	s_waitcnt vmcnt(0)
	ds_write_b128 v3, v[16:19]
.LBB116_13:
	s_or_b64 exec, exec, s[12:13]
	s_waitcnt lgkmcnt(0)
	s_mul_i32 s4, s4, s46
	s_mov_b32 s5, 0
	s_lshl_b64 s[4:5], s[4:5], 1
	s_add_u32 s10, s10, s4
	s_addc_u32 s11, s11, s5
	s_waitcnt vmcnt(3)
	v_mad_i64_i32 v[2:3], s[12:13], v2, s45, 0
	v_lshl_add_u64 v[2:3], v[2:3], 1, s[10:11]
	v_lshlrev_b64 v[12:13], 1, v[42:43]
	v_lshlrev_b32_e32 v46, 9, v54
	v_lshl_add_u64 v[2:3], v[2:3], 0, v[12:13]
	v_mov_b32_e32 v47, 0
	v_lshl_add_u64 v[8:9], v[2:3], 0, v[46:47]
	s_barrier
	global_load_dwordx4 v[22:25], v[8:9], off
	global_load_dwordx4 v[2:5], v[8:9], off offset:2048
	s_waitcnt vmcnt(4)
	v_mad_i64_i32 v[6:7], s[12:13], v6, s45, 0
	v_mov_b32_e32 v8, 0x100
	v_lshl_add_u64 v[6:7], v[6:7], 1, s[10:11]
	v_lshl_or_b32 v16, v44, 4, v8
	v_mov_b32_e32 v17, v47
	s_waitcnt vmcnt(3)
	v_mad_i64_i32 v[10:11], s[12:13], v10, s45, 0
	v_lshl_add_u64 v[6:7], v[6:7], 0, v[16:17]
	v_lshl_add_u64 v[10:11], v[10:11], 1, s[10:11]
	s_waitcnt vmcnt(2)
	v_mad_i64_i32 v[14:15], s[12:13], v14, s45, 0
	v_lshl_add_u64 v[18:19], v[6:7], 0, v[46:47]
	v_lshl_add_u64 v[10:11], v[10:11], 0, v[12:13]
	;; [unrolled: 1-line block ×3, first 2 shown]
	global_load_dwordx4 v[26:29], v[18:19], off
	global_load_dwordx4 v[6:9], v[18:19], off offset:2048
	v_lshl_add_u64 v[18:19], v[10:11], 0, v[46:47]
	v_lshl_add_u64 v[14:15], v[14:15], 0, v[16:17]
	global_load_dwordx4 v[30:33], v[18:19], off
	global_load_dwordx4 v[10:13], v[18:19], off offset:2048
	v_lshl_add_u64 v[18:19], v[14:15], 0, v[46:47]
	global_load_dwordx4 v[34:37], v[18:19], off
	global_load_dwordx4 v[14:17], v[18:19], off offset:2048
	v_mul_lo_u16_e32 v18, 52, v44
	v_mov_b32_e32 v19, 5
	v_mul_lo_u16_sdwa v18, v18, v19 dst_sel:DWORD dst_unused:UNUSED_PAD src0_sel:BYTE_1 src1_sel:DWORD
	v_sub_u16_e32 v18, v44, v18
	v_and_b32_e32 v18, 0xff, v18
	v_lshl_add_u32 v18, v18, 5, v46
	ds_read_b128 v[38:41], v18
	ds_read_b128 v[18:21], v18 offset:2048
	v_and_b32_e32 v45, 63, v0
	v_cmp_gt_u32_e32 vcc, 5, v44
	v_mov_b32_e32 v50, 0
	s_and_saveexec_b64 s[10:11], vcc
	s_cbranch_execz .LBB116_15
; %bb.14:
	s_load_dwordx2 s[12:13], s[0:1], 0x40
	v_add_u32_e32 v48, s42, v44
	v_ashrrev_i32_e32 v49, 31, v48
	s_waitcnt lgkmcnt(0)
	v_lshl_add_u64 v[48:49], v[48:49], 2, s[12:13]
	global_load_dword v50, v[48:49], off
.LBB116_15:
	s_or_b64 exec, exec, s[10:11]
	s_ashr_i32 s10, s14, 31
	v_and_or_b32 v46, v0, 48, s14
	s_lshr_b32 s11, s10, 27
	v_add_u32_e32 v48, s11, v46
	v_or_b32_e32 v52, 64, v46
	v_ashrrev_i32_e32 v48, 5, v48
	v_mov_b32_e32 v51, s15
	v_cmp_gt_i32_e32 vcc, s29, v46
	v_add_u32_e32 v53, s11, v52
	s_waitcnt vmcnt(7) lgkmcnt(1)
	v_mfma_f32_16x16x16_f16 v[56:59], v[22:23], v[38:39], 0
	v_cndmask_b32_e32 v48, v51, v48, vcc
	v_ashrrev_i32_e32 v22, 5, v53
	v_cmp_gt_i32_e32 vcc, s29, v52
	v_ashrrev_i32_e32 v49, 31, v48
	v_lshl_add_u64 v[48:49], v[48:49], 2, s[8:9]
	v_cndmask_b32_e32 v22, v51, v22, vcc
	v_ashrrev_i32_e32 v23, 31, v22
	v_lshl_add_u64 v[22:23], v[22:23], 2, s[8:9]
	global_load_dword v55, v[48:49], off
	global_load_dword v72, v[22:23], off
	s_waitcnt vmcnt(3)
	v_mfma_f32_16x16x16_f16 v[68:71], v[34:35], v[38:39], 0
	v_or_b32_e32 v48, 0xc0, v46
	v_add_u32_e32 v52, s11, v48
	s_add_u32 s4, s6, s4
	v_mfma_f32_16x16x16_f16 v[60:63], v[26:27], v[38:39], 0
	s_addc_u32 s5, s7, s5
	s_load_dword s10, s[0:1], 0x1c
	s_mov_b32 s33, 0xff7fffff
	v_mfma_f32_16x16x16_f16 v[64:67], v[30:31], v[38:39], 0
	v_and_b32_e32 v31, 0xc0, v0
	v_or_b32_e32 v38, 0x80, v46
	v_add_u32_e32 v34, s14, v31
	v_mfma_f32_16x16x16_f16 v[22:25], v[24:25], v[40:41], v[56:59]
	v_and_b32_e32 v30, 16, v0
	v_add_u32_e32 v49, s11, v38
	v_lshlrev_b32_e32 v46, 1, v30
	v_lshl_or_b32 v56, v54, 2, v34
	v_mfma_f32_16x16x16_f16 v[34:37], v[36:37], v[40:41], v[68:71]
	v_cmp_gt_i32_e32 vcc, s29, v38
	v_lshlrev_b32_e32 v39, 6, v44
	v_or_b32_e32 v57, 1, v56
	v_mfma_f32_16x16x16_f16 v[26:29], v[28:29], v[40:41], v[60:63]
	v_cmp_gt_i32_e64 s[34:35], s29, v57
	v_mfma_f32_16x16x16_f16 v[30:33], v[32:33], v[40:41], v[64:67]
	v_ashrrev_i32_e32 v40, 5, v49
	v_ashrrev_i32_e32 v41, 5, v52
	v_cndmask_b32_e32 v38, v51, v40, vcc
	v_cmp_gt_i32_e32 vcc, s29, v48
	s_waitcnt lgkmcnt(0)
	v_mfma_f32_16x16x16_f16 v[22:25], v[2:3], v[18:19], v[22:25]
	v_lshl_add_u64 v[2:3], s[4:5], 0, v[46:47]
	v_cndmask_b32_e32 v40, v51, v41, vcc
	v_lshl_or_b32 v46, v1, 10, v39
	v_ashrrev_i32_e32 v39, 31, v38
	v_ashrrev_i32_e32 v41, 31, v40
	s_waitcnt vmcnt(2)
	v_mfma_f32_16x16x16_f16 v[34:37], v[14:15], v[18:19], v[34:37]
	v_lshl_add_u64 v[14:15], v[38:39], 2, s[8:9]
	v_subrev_u32_e32 v51, s29, v57
	v_cvt_f32_i32_e32 v58, v51
	v_mfma_f32_16x16x16_f16 v[26:29], v[6:7], v[18:19], v[26:29]
	v_mfma_f32_16x16x16_f16 v[30:33], v[10:11], v[18:19], v[30:33]
	v_lshl_add_u64 v[18:19], v[40:41], 2, s[8:9]
	global_load_dword v59, v[14:15], off
	global_load_dword v60, v[18:19], off
	v_lshl_add_u64 v[10:11], v[2:3], 0, v[46:47]
	v_mfma_f32_16x16x16_f16 v[2:5], v[4:5], v[20:21], v[22:25]
	v_add_u32_e32 v46, 1, v51
	v_add_u32_e32 v47, 3, v51
	;; [unrolled: 1-line block ×3, first 2 shown]
	v_mfma_f32_16x16x16_f16 v[14:17], v[16:17], v[20:21], v[34:37]
	v_add_u32_e32 v22, 2, v51
	s_nop 1
	v_pk_mul_f32 v[52:53], s[10:11], v[4:5] op_sel_hi:[0,1]
	v_cvt_f32_i32_e32 v18, v18
	v_mfma_f32_16x16x16_f16 v[6:9], v[8:9], v[20:21], v[26:29]
	v_add_u32_e32 v19, 19, v51
	v_pk_mul_f32 v[34:35], s[10:11], v[16:17] op_sel_hi:[0,1]
	v_pk_mul_f32 v[36:37], s[10:11], v[14:15] op_sel_hi:[0,1]
	v_cvt_f32_i32_e32 v27, v22
	v_mfma_f32_16x16x16_f16 v[22:25], v[12:13], v[20:21], v[30:33]
	v_pk_mul_f32 v[12:13], s[10:11], v[2:3] op_sel_hi:[0,1]
	v_cvt_f32_i32_e32 v26, v46
	v_cvt_f32_i32_e32 v28, v47
	v_pk_mul_f32 v[46:47], s[10:11], v[8:9] op_sel_hi:[0,1]
	v_pk_mul_f32 v[48:49], s[10:11], v[6:7] op_sel_hi:[0,1]
	v_cvt_f32_i32_e32 v19, v19
	v_fma_f32 v46, v50, v18, v46
	v_add_u32_e32 v18, 34, v51
	v_cvt_f32_i32_e32 v18, v18
	v_fmac_f32_e32 v47, v50, v19
	v_add_u32_e32 v19, 35, v51
	v_cvt_f32_i32_e32 v19, v19
	v_pk_mul_f32 v[40:41], s[10:11], v[22:23] op_sel_hi:[0,1]
	v_pk_mul_f32 v[38:39], s[10:11], v[24:25] op_sel_hi:[0,1]
	v_fma_f32 v38, v50, v18, v38
	v_add_u32_e32 v18, 50, v51
	s_waitcnt vmcnt(3)
	v_mad_i64_i32 v[2:3], s[4:5], v55, s45, 0
	s_waitcnt vmcnt(2)
	v_mad_i64_i32 v[4:5], s[4:5], v72, s45, 0
	v_lshl_add_u64 v[16:17], v[2:3], 1, v[10:11]
	v_lshl_add_u64 v[14:15], v[4:5], 1, v[10:11]
	global_load_dwordx4 v[6:9], v[16:17], off
	global_load_dwordx4 v[2:5], v[16:17], off offset:16
	v_add_u32_e32 v16, 16, v51
	v_cvt_f32_i32_e32 v16, v16
	v_add_u32_e32 v17, 17, v51
	v_cvt_f32_i32_e32 v17, v17
	v_fmac_f32_e32 v39, v50, v19
	v_fma_f32 v48, v50, v16, v48
	v_add_u32_e32 v16, 32, v51
	v_fmac_f32_e32 v49, v50, v17
	v_cvt_f32_i32_e32 v16, v16
	v_add_u32_e32 v17, 33, v51
	v_cvt_f32_i32_e32 v17, v17
	v_cvt_f32_i32_e32 v18, v18
	v_fma_f32 v40, v50, v16, v40
	v_add_u32_e32 v16, 48, v51
	v_fmac_f32_e32 v41, v50, v17
	v_cvt_f32_i32_e32 v16, v16
	v_add_u32_e32 v17, 49, v51
	v_cvt_f32_i32_e32 v17, v17
	v_add_u32_e32 v19, 51, v51
	v_cvt_f32_i32_e32 v19, v19
	v_fma_f32 v12, v50, v58, v12
	v_fmac_f32_e32 v13, v50, v26
	v_fma_f32 v36, v50, v16, v36
	v_mov_b32_e32 v16, 0xff7fffff
	v_cmp_gt_i32_e64 s[4:5], s29, v56
	v_fmac_f32_e32 v37, v50, v17
	v_fma_f32 v34, v50, v18, v34
	v_cndmask_b32_e64 v17, v16, v12, s[4:5]
	v_cndmask_b32_e64 v18, v16, v13, s[34:35]
	v_fmac_f32_e32 v35, v50, v19
	v_max3_f32 v17, v17, s33, v18
	v_or_b32_e32 v18, 2, v56
	v_or_b32_e32 v19, 3, v56
	v_fma_f32 v52, v50, v27, v52
	v_fmac_f32_e32 v53, v50, v28
	v_cmp_gt_i32_e64 s[36:37], s29, v18
	v_cmp_gt_i32_e64 s[38:39], s29, v19
	global_load_dwordx4 v[30:33], v[14:15], off
	global_load_dwordx4 v[26:29], v[14:15], off offset:16
	v_cndmask_b32_e64 v18, v16, v52, s[36:37]
	v_cndmask_b32_e64 v19, v16, v53, s[38:39]
	v_max3_f32 v17, v17, v18, v19
	v_or_b32_e32 v18, 16, v56
	v_or_b32_e32 v19, 17, v56
	v_cmp_gt_i32_e64 s[24:25], s29, v18
	v_cmp_gt_i32_e64 s[26:27], s29, v19
	s_nop 0
	v_cndmask_b32_e64 v18, v16, v48, s[24:25]
	v_cndmask_b32_e64 v19, v16, v49, s[26:27]
	v_max3_f32 v17, v17, v18, v19
	v_or_b32_e32 v18, 18, v56
	v_or_b32_e32 v19, 19, v56
	v_cmp_gt_i32_e64 s[20:21], s29, v18
	v_cmp_gt_i32_e64 s[22:23], s29, v19
	s_nop 0
	;; [unrolled: 8-line block ×5, first 2 shown]
	v_cndmask_b32_e64 v18, v16, v36, s[8:9]
	v_cndmask_b32_e64 v19, v16, v37, s[10:11]
	v_max3_f32 v17, v17, v18, v19
	v_or_b32_e32 v18, 50, v56
	v_or_b32_e32 v19, 51, v56
	v_cmp_gt_i32_e32 vcc, s29, v18
	v_cmp_gt_i32_e64 s[6:7], s29, v19
	s_nop 0
	v_cndmask_b32_e32 v18, v16, v34, vcc
	v_cndmask_b32_e64 v16, v16, v35, s[6:7]
	v_max3_f32 v16, v17, v18, v16
	v_mbcnt_lo_u32_b32 v17, -1, 0
	v_mbcnt_hi_u32_b32 v17, -1, v17
	v_and_b32_e32 v18, 64, v17
	v_add_u32_e32 v18, 64, v18
	v_xor_b32_e32 v19, 32, v17
	v_cmp_lt_i32_e64 s[40:41], v19, v18
	s_nop 1
	v_cndmask_b32_e64 v19, v17, v19, s[40:41]
	v_lshlrev_b32_e32 v56, 2, v19
	ds_bpermute_b32 v19, v56, v16
	s_waitcnt vmcnt(5)
	v_mad_i64_i32 v[14:15], s[40:41], v59, s45, 0
	v_lshl_add_u64 v[14:15], v[14:15], 1, v[10:11]
	s_waitcnt lgkmcnt(0)
	v_max_f32_e32 v19, v19, v19
	v_max_f32_e32 v16, v16, v19
	v_xor_b32_e32 v19, 16, v17
	v_cmp_lt_i32_e64 s[40:41], v19, v18
	s_nop 1
	v_cndmask_b32_e64 v17, v17, v19, s[40:41]
	v_lshlrev_b32_e32 v57, 2, v17
	ds_bpermute_b32 v17, v57, v16
	global_load_dwordx4 v[22:25], v[14:15], off
	global_load_dwordx4 v[18:21], v[14:15], off offset:16
	s_waitcnt vmcnt(6)
	v_mad_i64_i32 v[14:15], s[40:41], v60, s45, 0
	v_lshl_add_u64 v[10:11], v[14:15], 1, v[10:11]
	s_waitcnt lgkmcnt(0)
	v_max_f32_e32 v14, v17, v17
	v_max_f32_e32 v55, v16, v14
	v_sub_f32_e32 v12, v12, v55
	v_mul_f32_e32 v12, 0x3fb8aa3b, v12
	v_exp_f32_e32 v50, v12
	v_sub_f32_e32 v12, v13, v55
	v_mul_f32_e32 v12, 0x3fb8aa3b, v12
	v_exp_f32_e32 v51, v12
	global_load_dwordx4 v[14:17], v[10:11], off
	s_nop 0
	global_load_dwordx4 v[10:13], v[10:11], off offset:16
	v_sub_f32_e32 v52, v52, v55
	v_mul_f32_e32 v52, 0x3fb8aa3b, v52
	v_sub_f32_e32 v53, v53, v55
	v_exp_f32_e32 v52, v52
	v_mul_f32_e32 v53, 0x3fb8aa3b, v53
	v_sub_f32_e32 v48, v48, v55
	v_exp_f32_e32 v53, v53
	v_mul_f32_e32 v48, 0x3fb8aa3b, v48
	v_sub_f32_e32 v49, v49, v55
	v_cndmask_b32_e64 v50, 0, v50, s[4:5]
	v_exp_f32_e32 v48, v48
	v_mul_f32_e32 v49, 0x3fb8aa3b, v49
	v_sub_f32_e32 v46, v46, v55
	v_add_f32_e32 v58, 0, v50
	v_cndmask_b32_e64 v51, 0, v51, s[34:35]
	v_exp_f32_e32 v49, v49
	v_mul_f32_e32 v46, 0x3fb8aa3b, v46
	v_sub_f32_e32 v47, v47, v55
	v_add_f32_e32 v58, v58, v51
	;; [unrolled: 5-line block ×10, first 2 shown]
	v_cndmask_b32_e64 v38, 0, v38, s[12:13]
	v_exp_f32_e32 v34, v34
	v_mul_f32_e32 v35, 0x3fb8aa3b, v35
	v_add_f32_e32 v58, v58, v38
	v_cndmask_b32_e64 v39, 0, v39, s[14:15]
	v_exp_f32_e32 v35, v35
	v_add_f32_e32 v58, v58, v39
	v_cndmask_b32_e64 v36, 0, v36, s[8:9]
	v_add_f32_e32 v58, v58, v36
	v_cndmask_b32_e64 v37, 0, v37, s[10:11]
	v_add_f32_e32 v58, v58, v37
	v_cndmask_b32_e32 v34, 0, v34, vcc
	v_add_f32_e32 v58, v58, v34
	v_cndmask_b32_e64 v35, 0, v35, s[6:7]
	v_add_f32_e32 v58, v58, v35
	ds_bpermute_b32 v56, v56, v58
	s_load_dword s9, s[0:1], 0x98
	v_cmp_gt_u32_e64 s[6:7], 16, v45
	v_lshlrev_b32_e32 v45, 2, v44
	s_waitcnt lgkmcnt(0)
	v_add_f32_e32 v56, v58, v56
	ds_bpermute_b32 v57, v57, v56
	s_barrier
	s_waitcnt lgkmcnt(0)
	s_and_saveexec_b64 s[4:5], s[6:7]
	s_cbranch_execz .LBB116_17
; %bb.16:
	v_add_f32_e32 v56, v56, v57
	v_lshl_or_b32 v57, v1, 6, v45
	ds_write2st64_b32 v57, v55, v56 offset1:1
.LBB116_17:
	s_or_b64 exec, exec, s[4:5]
	s_load_dword s8, s[0:1], 0x94
	s_waitcnt lgkmcnt(0)
	s_barrier
	ds_read2_b32 v[56:57], v45 offset1:16
	ds_read2_b32 v[58:59], v45 offset0:32 offset1:48
	ds_read2_b32 v[60:61], v45 offset0:64 offset1:80
	;; [unrolled: 1-line block ×3, first 2 shown]
	s_waitcnt lgkmcnt(0)
	v_max3_f32 v55, v56, s33, v57
	v_max3_f32 v55, v55, v58, v59
	v_sub_f32_e32 v56, v56, v55
	v_mul_f32_e32 v56, 0x3fb8aa3b, v56
	v_exp_f32_e32 v64, v56
	v_sub_f32_e32 v56, v57, v55
	v_mul_f32_e32 v56, 0x3fb8aa3b, v56
	v_exp_f32_e32 v57, v56
	v_sub_f32_e32 v56, v58, v55
	v_mul_f32_e32 v56, 0x3fb8aa3b, v56
	v_sub_f32_e32 v45, v59, v55
	v_exp_f32_e32 v58, v56
	v_mul_f32_e32 v45, 0x3fb8aa3b, v45
	v_exp_f32_e32 v45, v45
	v_fma_f32 v56, v64, v60, 0
	v_fmac_f32_e32 v56, v57, v61
	v_fmac_f32_e32 v56, v58, v62
	;; [unrolled: 1-line block ×3, first 2 shown]
	v_add_f32_e32 v59, 0x358637bd, v56
	v_div_scale_f32 v60, s[4:5], v59, v59, 1.0
	v_rcp_f32_e32 v61, v60
	s_barrier
	s_mul_i32 s9, s9, 5
	v_fma_f32 v62, -v60, v61, 1.0
	v_fmac_f32_e32 v61, v62, v61
	v_div_scale_f32 v62, vcc, 1.0, v59, 1.0
	v_mul_f32_e32 v63, v62, v61
	v_fma_f32 v65, -v60, v63, v62
	v_fmac_f32_e32 v63, v65, v61
	v_fma_f32 v60, -v60, v63, v62
	v_div_fmas_f32 v60, v60, v61, v63
	v_cmp_eq_u32_e32 vcc, 1, v1
	v_div_fixup_f32 v59, v60, v59, 1.0
	s_nop 0
	v_cndmask_b32_e32 v57, v64, v57, vcc
	v_cmp_eq_u32_e32 vcc, 2, v1
	s_nop 1
	v_cndmask_b32_e32 v57, v57, v58, vcc
	v_cmp_eq_u32_e32 vcc, 3, v1
	v_lshlrev_b32_e32 v1, 11, v1
	s_nop 0
	v_cndmask_b32_e32 v45, v57, v45, vcc
	v_mul_f32_e32 v58, v45, v59
	v_pk_mul_f32 v[52:53], v[58:59], v[52:53] op_sel_hi:[0,1]
	v_pk_mul_f32 v[50:51], v[58:59], v[50:51] op_sel_hi:[0,1]
	v_cvt_f16_f32_e32 v45, v50
	v_cvt_f16_f32_e32 v50, v51
	;; [unrolled: 1-line block ×4, first 2 shown]
	v_pk_mul_f32 v[46:47], v[58:59], v[46:47] op_sel_hi:[0,1]
	v_pk_mul_f32 v[48:49], v[58:59], v[48:49] op_sel_hi:[0,1]
	v_cvt_f16_f32_e32 v48, v48
	v_pack_b32_f16 v53, v51, v53
	v_cvt_f16_f32_e32 v49, v49
	v_cvt_f16_f32_e32 v51, v46
	;; [unrolled: 1-line block ×3, first 2 shown]
	v_pack_b32_f16 v52, v45, v50
	v_lshlrev_b32_e32 v45, 3, v54
	v_lshlrev_b32_e32 v50, 5, v44
	v_or3_b32 v1, v1, v50, v45
	v_pack_b32_f16 v46, v48, v49
	v_pack_b32_f16 v47, v51, v47
	v_pk_mul_f32 v[38:39], v[58:59], v[38:39] op_sel_hi:[0,1]
	v_pk_mul_f32 v[40:41], v[58:59], v[40:41] op_sel_hi:[0,1]
	;; [unrolled: 1-line block ×4, first 2 shown]
	ds_write2st64_b64 v1, v[52:53], v[46:47] offset1:1
	v_cvt_f16_f32_e32 v40, v40
	v_cvt_f16_f32_e32 v41, v41
	v_cvt_f16_f32_e32 v38, v38
	v_cvt_f16_f32_e32 v39, v39
	v_cvt_f16_f32_e32 v36, v36
	v_cvt_f16_f32_e32 v37, v37
	v_cvt_f16_f32_e32 v45, v34
	v_cvt_f16_f32_e32 v46, v35
	v_pack_b32_f16 v34, v40, v41
	v_pack_b32_f16 v35, v38, v39
	;; [unrolled: 1-line block ×4, first 2 shown]
	v_cmp_gt_u32_e32 vcc, 5, v0
	ds_write2st64_b64 v1, v[34:35], v[36:37] offset0:2 offset1:3
	s_and_saveexec_b64 s[4:5], vcc
	s_cbranch_execz .LBB116_19
; %bb.18:
	s_mov_b32 s43, 0
	v_mov_b32_e32 v45, 0
	v_lshl_add_u64 v[34:35], s[42:43], 0, v[44:45]
	v_mov_b32_e32 v36, s9
	v_mad_u64_u32 v[34:35], s[10:11], s2, v36, v[34:35]
	s_mul_i32 s3, s3, s9
	v_mov_b32_e32 v44, s28
	s_load_dwordx4 s[12:15], s[0:1], 0x58
	v_add_u32_e32 v37, s3, v35
	v_mad_u64_u32 v[34:35], s[10:11], v34, s8, v[44:45]
	v_mov_b32_e32 v36, v35
	v_mad_u64_u32 v[36:37], s[10:11], v37, s8, v[36:37]
	v_mov_b32_e32 v35, v36
	v_lshlrev_b64 v[34:35], 2, v[34:35]
	s_waitcnt lgkmcnt(0)
	v_lshl_add_u64 v[36:37], s[14:15], 0, v[34:35]
	v_lshl_add_u64 v[34:35], s[12:13], 0, v[34:35]
	global_store_dword v[36:37], v55, off
	global_store_dword v[34:35], v56, off
.LBB116_19:
	s_or_b64 exec, exec, s[4:5]
	v_lshl_or_b32 v48, v54, 9, v50
	s_waitcnt lgkmcnt(0)
	s_barrier
	ds_read_b128 v[34:37], v48
	ds_read_b128 v[38:41], v48 offset:16
	s_waitcnt vmcnt(7) lgkmcnt(1)
	v_mfma_f32_16x16x16_f16 v[44:47], v[6:7], v[34:35], 0
	v_cmp_gt_u32_e32 vcc, 64, v0
	s_mov_b32 s3, 0
	s_and_b64 s[4:5], vcc, s[30:31]
	v_mfma_f32_16x16x16_f16 v[6:9], v[8:9], v[36:37], v[44:47]
	s_waitcnt vmcnt(6) lgkmcnt(0)
	v_mfma_f32_16x16x16_f16 v[6:9], v[2:3], v[38:39], v[6:9]
	v_mfma_f32_16x16x16_f16 v[2:5], v[4:5], v[40:41], v[6:9]
	s_nop 5
	ds_read_b128 v[6:9], v48 offset:2048
	ds_read_b128 v[34:37], v48 offset:2064
	s_waitcnt vmcnt(5) lgkmcnt(1)
	v_mfma_f32_16x16x16_f16 v[2:5], v[30:31], v[6:7], v[2:5]
	v_mfma_f32_16x16x16_f16 v[2:5], v[32:33], v[8:9], v[2:5]
	s_waitcnt vmcnt(4) lgkmcnt(0)
	v_mfma_f32_16x16x16_f16 v[2:5], v[26:27], v[34:35], v[2:5]
	v_mfma_f32_16x16x16_f16 v[2:5], v[28:29], v[36:37], v[2:5]
	ds_read_b128 v[6:9], v48 offset:4096
	ds_read_b128 v[26:29], v48 offset:4112
	s_waitcnt vmcnt(3) lgkmcnt(1)
	v_mfma_f32_16x16x16_f16 v[2:5], v[22:23], v[6:7], v[2:5]
	v_mfma_f32_16x16x16_f16 v[2:5], v[24:25], v[8:9], v[2:5]
	s_waitcnt vmcnt(2) lgkmcnt(0)
	v_mfma_f32_16x16x16_f16 v[2:5], v[18:19], v[26:27], v[2:5]
	v_mfma_f32_16x16x16_f16 v[2:5], v[20:21], v[28:29], v[2:5]
	ds_read_b128 v[6:9], v48 offset:6144
	ds_read_b128 v[18:21], v48 offset:6160
	s_waitcnt lgkmcnt(0)
	s_barrier
	s_waitcnt vmcnt(1)
	v_mfma_f32_16x16x16_f16 v[2:5], v[14:15], v[6:7], v[2:5]
	v_mfma_f32_16x16x16_f16 v[2:5], v[16:17], v[8:9], v[2:5]
	s_waitcnt vmcnt(0)
	v_mfma_f32_16x16x16_f16 v[2:5], v[10:11], v[18:19], v[2:5]
	v_mfma_f32_16x16x16_f16 v[2:5], v[12:13], v[20:21], v[2:5]
	s_nop 6
	v_cvt_f16_f32_e32 v2, v2
	v_cvt_f16_f32_e32 v3, v3
	;; [unrolled: 1-line block ×4, first 2 shown]
	v_pack_b32_f16 v2, v2, v3
	v_pack_b32_f16 v3, v4, v5
	ds_write_b64 v1, v[2:3]
	s_waitcnt lgkmcnt(0)
	s_barrier
	s_and_saveexec_b64 s[10:11], s[4:5]
	s_cbranch_execz .LBB116_22
; %bb.20:
	s_load_dwordx2 s[4:5], s[0:1], 0x68
	s_lshl_b32 s0, s8, 6
	s_mul_i32 s1, s9, s2
	s_mul_hi_u32 s9, s1, s0
	s_mul_i32 s8, s1, s0
	v_lshlrev_b32_e32 v1, 10, v0
	v_lshlrev_b32_e32 v0, 4, v0
	s_lshl_b64 s[8:9], s[8:9], 1
	v_and_b32_e32 v1, 0x1800, v1
	v_lshlrev_b32_e32 v2, 5, v54
	v_and_b32_e32 v0, 16, v0
	s_waitcnt lgkmcnt(0)
	s_add_u32 s1, s4, s8
	v_or3_b32 v2, v1, v2, v0
	s_addc_u32 s4, s5, s9
	s_lshl_b32 s2, s28, 6
	s_lshl_b64 s[2:3], s[2:3], 1
	ds_read_b128 v[4:7], v2
	s_add_u32 s2, s1, s2
	s_addc_u32 s3, s4, s3
	v_add_u32_e32 v3, s42, v54
	v_lshl_add_u64 v[0:1], v[42:43], 1, s[2:3]
	v_mad_u64_u32 v[8:9], s[2:3], v3, s0, 0
	v_lshl_add_u64 v[8:9], v[8:9], 1, v[0:1]
	s_waitcnt lgkmcnt(0)
	global_store_dwordx4 v[8:9], v[4:7], off
	s_and_b64 exec, exec, s[6:7]
	s_cbranch_execz .LBB116_22
; %bb.21:
	ds_read_b128 v[2:5], v2 offset:128
	v_add3_u32 v6, s42, v54, 4
	v_mad_u64_u32 v[6:7], s[0:1], v6, s0, 0
	v_lshl_add_u64 v[0:1], v[6:7], 1, v[0:1]
	s_waitcnt lgkmcnt(0)
	global_store_dwordx4 v[0:1], v[2:5], off
.LBB116_22:
	s_endpgm
	.section	.rodata,"a",@progbits
	.p2align	6, 0x0
	.amdhsa_kernel _Z39paged_attention_ll4mi_QKV_mfma16_kernelIDF16_DF16_LN4vllm18Fp8KVCacheDataTypeE0EhLi32ELi64ELi256ELb1ELi5EEvPKT_PKT0_S7_ifPKiS9_S9_iPKfiiiPfSC_PS2_PT2_iSB_SB_
		.amdhsa_group_segment_fixed_size 8192
		.amdhsa_private_segment_fixed_size 0
		.amdhsa_kernarg_size 400
		.amdhsa_user_sgpr_count 2
		.amdhsa_user_sgpr_dispatch_ptr 0
		.amdhsa_user_sgpr_queue_ptr 0
		.amdhsa_user_sgpr_kernarg_segment_ptr 1
		.amdhsa_user_sgpr_dispatch_id 0
		.amdhsa_user_sgpr_kernarg_preload_length 0
		.amdhsa_user_sgpr_kernarg_preload_offset 0
		.amdhsa_user_sgpr_private_segment_size 0
		.amdhsa_uses_dynamic_stack 0
		.amdhsa_enable_private_segment 0
		.amdhsa_system_sgpr_workgroup_id_x 1
		.amdhsa_system_sgpr_workgroup_id_y 1
		.amdhsa_system_sgpr_workgroup_id_z 1
		.amdhsa_system_sgpr_workgroup_info 0
		.amdhsa_system_vgpr_workitem_id 0
		.amdhsa_next_free_vgpr 73
		.amdhsa_next_free_sgpr 48
		.amdhsa_accum_offset 76
		.amdhsa_reserve_vcc 1
		.amdhsa_float_round_mode_32 0
		.amdhsa_float_round_mode_16_64 0
		.amdhsa_float_denorm_mode_32 3
		.amdhsa_float_denorm_mode_16_64 3
		.amdhsa_dx10_clamp 1
		.amdhsa_ieee_mode 1
		.amdhsa_fp16_overflow 0
		.amdhsa_tg_split 0
		.amdhsa_exception_fp_ieee_invalid_op 0
		.amdhsa_exception_fp_denorm_src 0
		.amdhsa_exception_fp_ieee_div_zero 0
		.amdhsa_exception_fp_ieee_overflow 0
		.amdhsa_exception_fp_ieee_underflow 0
		.amdhsa_exception_fp_ieee_inexact 0
		.amdhsa_exception_int_div_zero 0
	.end_amdhsa_kernel
	.section	.text._Z39paged_attention_ll4mi_QKV_mfma16_kernelIDF16_DF16_LN4vllm18Fp8KVCacheDataTypeE0EhLi32ELi64ELi256ELb1ELi5EEvPKT_PKT0_S7_ifPKiS9_S9_iPKfiiiPfSC_PS2_PT2_iSB_SB_,"axG",@progbits,_Z39paged_attention_ll4mi_QKV_mfma16_kernelIDF16_DF16_LN4vllm18Fp8KVCacheDataTypeE0EhLi32ELi64ELi256ELb1ELi5EEvPKT_PKT0_S7_ifPKiS9_S9_iPKfiiiPfSC_PS2_PT2_iSB_SB_,comdat
.Lfunc_end116:
	.size	_Z39paged_attention_ll4mi_QKV_mfma16_kernelIDF16_DF16_LN4vllm18Fp8KVCacheDataTypeE0EhLi32ELi64ELi256ELb1ELi5EEvPKT_PKT0_S7_ifPKiS9_S9_iPKfiiiPfSC_PS2_PT2_iSB_SB_, .Lfunc_end116-_Z39paged_attention_ll4mi_QKV_mfma16_kernelIDF16_DF16_LN4vllm18Fp8KVCacheDataTypeE0EhLi32ELi64ELi256ELb1ELi5EEvPKT_PKT0_S7_ifPKiS9_S9_iPKfiiiPfSC_PS2_PT2_iSB_SB_
                                        ; -- End function
	.section	.AMDGPU.csdata,"",@progbits
; Kernel info:
; codeLenInByte = 4156
; NumSgprs: 54
; NumVgprs: 73
; NumAgprs: 0
; TotalNumVgprs: 73
; ScratchSize: 0
; MemoryBound: 0
; FloatMode: 240
; IeeeMode: 1
; LDSByteSize: 8192 bytes/workgroup (compile time only)
; SGPRBlocks: 6
; VGPRBlocks: 9
; NumSGPRsForWavesPerEU: 54
; NumVGPRsForWavesPerEU: 73
; AccumOffset: 76
; Occupancy: 6
; WaveLimiterHint : 1
; COMPUTE_PGM_RSRC2:SCRATCH_EN: 0
; COMPUTE_PGM_RSRC2:USER_SGPR: 2
; COMPUTE_PGM_RSRC2:TRAP_HANDLER: 0
; COMPUTE_PGM_RSRC2:TGID_X_EN: 1
; COMPUTE_PGM_RSRC2:TGID_Y_EN: 1
; COMPUTE_PGM_RSRC2:TGID_Z_EN: 1
; COMPUTE_PGM_RSRC2:TIDIG_COMP_CNT: 0
; COMPUTE_PGM_RSRC3_GFX90A:ACCUM_OFFSET: 18
; COMPUTE_PGM_RSRC3_GFX90A:TG_SPLIT: 0
	.section	.text._Z39paged_attention_ll4mi_QKV_mfma16_kernelIDF16_DF16_LN4vllm18Fp8KVCacheDataTypeE0EhLi32ELi64ELi256ELb1ELi6EEvPKT_PKT0_S7_ifPKiS9_S9_iPKfiiiPfSC_PS2_PT2_iSB_SB_,"axG",@progbits,_Z39paged_attention_ll4mi_QKV_mfma16_kernelIDF16_DF16_LN4vllm18Fp8KVCacheDataTypeE0EhLi32ELi64ELi256ELb1ELi6EEvPKT_PKT0_S7_ifPKiS9_S9_iPKfiiiPfSC_PS2_PT2_iSB_SB_,comdat
	.protected	_Z39paged_attention_ll4mi_QKV_mfma16_kernelIDF16_DF16_LN4vllm18Fp8KVCacheDataTypeE0EhLi32ELi64ELi256ELb1ELi6EEvPKT_PKT0_S7_ifPKiS9_S9_iPKfiiiPfSC_PS2_PT2_iSB_SB_ ; -- Begin function _Z39paged_attention_ll4mi_QKV_mfma16_kernelIDF16_DF16_LN4vllm18Fp8KVCacheDataTypeE0EhLi32ELi64ELi256ELb1ELi6EEvPKT_PKT0_S7_ifPKiS9_S9_iPKfiiiPfSC_PS2_PT2_iSB_SB_
	.globl	_Z39paged_attention_ll4mi_QKV_mfma16_kernelIDF16_DF16_LN4vllm18Fp8KVCacheDataTypeE0EhLi32ELi64ELi256ELb1ELi6EEvPKT_PKT0_S7_ifPKiS9_S9_iPKfiiiPfSC_PS2_PT2_iSB_SB_
	.p2align	8
	.type	_Z39paged_attention_ll4mi_QKV_mfma16_kernelIDF16_DF16_LN4vllm18Fp8KVCacheDataTypeE0EhLi32ELi64ELi256ELb1ELi6EEvPKT_PKT0_S7_ifPKiS9_S9_iPKfiiiPfSC_PS2_PT2_iSB_SB_,@function
_Z39paged_attention_ll4mi_QKV_mfma16_kernelIDF16_DF16_LN4vllm18Fp8KVCacheDataTypeE0EhLi32ELi64ELi256ELb1ELi6EEvPKT_PKT0_S7_ifPKiS9_S9_iPKfiiiPfSC_PS2_PT2_iSB_SB_: ; @_Z39paged_attention_ll4mi_QKV_mfma16_kernelIDF16_DF16_LN4vllm18Fp8KVCacheDataTypeE0EhLi32ELi64ELi256ELb1ELi6EEvPKT_PKT0_S7_ifPKiS9_S9_iPKfiiiPfSC_PS2_PT2_iSB_SB_
; %bb.0:
	s_load_dwordx2 s[6:7], s[0:1], 0x30
	s_mov_b32 s28, s3
	s_mov_b64 s[8:9], 0
	s_waitcnt lgkmcnt(0)
	s_cmp_lg_u64 s[6:7], 0
	s_cselect_b64 s[10:11], -1, 0
	s_and_b64 vcc, exec, s[10:11]
	s_cbranch_vccz .LBB117_7
; %bb.1:
	s_add_i32 s12, s2, 1
	s_mov_b32 s13, 0
	s_lshl_b64 s[14:15], s[12:13], 2
	s_add_u32 s14, s6, s14
	s_mov_b32 s3, s13
	s_addc_u32 s15, s7, s15
	s_lshl_b64 s[12:13], s[2:3], 2
	s_add_u32 s12, s6, s12
	s_addc_u32 s13, s7, s13
	s_load_dword s5, s[14:15], 0x0
	s_load_dword s16, s[12:13], 0x0
	s_waitcnt lgkmcnt(0)
	s_sub_i32 s5, s5, s16
	s_cmp_eq_u32 s5, 1
	s_cselect_b64 s[12:13], -1, 0
	s_andn2_b64 vcc, exec, s[8:9]
	s_cbranch_vccnz .LBB117_3
.LBB117_2:
	s_mov_b32 s3, 0
	s_mov_b64 s[12:13], -1
.LBB117_3:
	s_andn2_b64 vcc, exec, s[12:13]
	s_cbranch_vccnz .LBB117_22
; %bb.4:
	s_load_dwordx2 s[8:9], s[0:1], 0x28
	s_lshl_b64 s[12:13], s[2:3], 2
	s_waitcnt lgkmcnt(0)
	s_add_u32 s8, s8, s12
	s_addc_u32 s9, s9, s13
	s_load_dword s29, s[8:9], 0x0
	s_lshl_b32 s14, s28, 8
	s_waitcnt lgkmcnt(0)
	s_cmp_ge_i32 s14, s29
	s_cbranch_scc1 .LBB117_22
; %bb.5:
	s_load_dwordx2 s[8:9], s[0:1], 0x20
	s_load_dword s5, s[0:1], 0x38
	s_add_i32 s15, s29, 31
	s_ashr_i32 s16, s15, 31
	v_and_b32_e32 v1, 0xcf, v0
	s_lshr_b32 s16, s16, 27
	v_add_u32_e32 v1, s14, v1
	s_add_i32 s15, s15, s16
	v_ashrrev_i32_e32 v2, 31, v1
	s_ashr_i32 s15, s15, 5
	v_lshrrev_b32_e32 v6, 27, v2
	s_add_i32 s15, s15, -1
	s_waitcnt lgkmcnt(0)
	s_mul_i32 s16, s2, s5
	s_mov_b32 s17, 0
	v_add_u32_e32 v2, v1, v6
	s_lshl_b64 s[16:17], s[16:17], 2
	v_ashrrev_i32_e32 v2, 5, v2
	v_mov_b32_e32 v7, s15
	v_cmp_gt_i32_e32 vcc, s29, v1
	s_add_u32 s8, s8, s16
	s_addc_u32 s9, s9, s17
	v_cndmask_b32_e32 v2, v7, v2, vcc
	v_ashrrev_i32_e32 v3, 31, v2
	v_lshl_add_u64 v[4:5], v[2:3], 2, s[8:9]
	v_or_b32_e32 v2, 16, v1
	v_add_u32_e32 v3, v2, v6
	v_ashrrev_i32_e32 v3, 5, v3
	v_cmp_gt_i32_e32 vcc, s29, v2
	s_nop 1
	v_cndmask_b32_e32 v2, v7, v3, vcc
	v_ashrrev_i32_e32 v3, 31, v2
	v_lshl_add_u64 v[8:9], v[2:3], 2, s[8:9]
	v_or_b32_e32 v2, 32, v1
	v_add_u32_e32 v3, v2, v6
	v_ashrrev_i32_e32 v3, 5, v3
	v_cmp_gt_i32_e32 vcc, s29, v2
	v_or_b32_e32 v1, 48, v1
	s_nop 0
	v_cndmask_b32_e32 v2, v7, v3, vcc
	v_ashrrev_i32_e32 v3, 31, v2
	v_lshl_add_u64 v[12:13], v[2:3], 2, s[8:9]
	v_add_u32_e32 v2, v1, v6
	v_ashrrev_i32_e32 v2, 5, v2
	v_cmp_gt_i32_e32 vcc, s29, v1
	s_nop 1
	v_cndmask_b32_e32 v2, v7, v2, vcc
	v_ashrrev_i32_e32 v3, 31, v2
	v_lshl_add_u64 v[16:17], v[2:3], 2, s[8:9]
	global_load_dword v2, v[4:5], off
	global_load_dword v6, v[8:9], off
	;; [unrolled: 1-line block ×4, first 2 shown]
	s_andn2_b64 vcc, exec, s[10:11]
	s_cbranch_vccnz .LBB117_8
; %bb.6:
	s_add_u32 s6, s6, s12
	s_addc_u32 s7, s7, s13
	s_load_dword s5, s[6:7], 0x0
	s_branch .LBB117_9
.LBB117_7:
	s_mov_b64 s[12:13], 0
	s_branch .LBB117_2
.LBB117_8:
	s_mov_b32 s5, s2
.LBB117_9:
	s_load_dwordx2 s[10:11], s[0:1], 0x8
	s_load_dwordx4 s[44:47], s[0:1], 0x48
	v_lshrrev_b32_e32 v1, 6, v0
	v_bfe_u32 v54, v0, 4, 2
	v_lshl_or_b32 v3, v1, 2, v54
	v_and_b32_e32 v44, 15, v0
	v_cmp_lt_u32_e32 vcc, 5, v3
	v_cmp_lt_u32_e64 s[6:7], 7, v44
	v_lshlrev_b32_e32 v42, 3, v44
	v_cmp_gt_u32_e64 s[30:31], 8, v44
	s_or_b64 s[6:7], s[6:7], vcc
	s_and_saveexec_b64 s[12:13], s[6:7]
	s_xor_b64 s[6:7], exec, s[12:13]
; %bb.10:
	v_mov_b32_e32 v43, 0
                                        ; implicit-def: $vgpr3
; %bb.11:
	s_or_saveexec_b64 s[12:13], s[6:7]
	s_load_dwordx2 s[6:7], s[0:1], 0x10
	s_mul_i32 s42, s4, 6
	s_xor_b64 exec, exec, s[12:13]
	s_cbranch_execz .LBB117_13
; %bb.12:
	s_load_dwordx2 s[16:17], s[0:1], 0x0
	s_waitcnt lgkmcnt(0)
	s_ashr_i32 s18, s44, 31
	s_mul_hi_u32 s19, s5, s44
	s_mul_i32 s18, s5, s18
	s_add_i32 s19, s19, s18
	s_mul_i32 s18, s5, s44
	s_lshl_b64 s[18:19], s[18:19], 1
	s_add_u32 s16, s16, s18
	v_add_lshl_u32 v4, v3, s42, 6
	s_addc_u32 s17, s17, s19
	v_ashrrev_i32_e32 v5, 31, v4
	v_mov_b32_e32 v43, 0
	v_lshl_add_u64 v[4:5], v[4:5], 1, s[16:17]
	v_lshlrev_b32_e32 v8, 1, v42
	v_mov_b32_e32 v9, v43
	v_lshl_add_u64 v[4:5], v[4:5], 0, v[8:9]
	global_load_dwordx4 v[16:19], v[4:5], off
	v_and_b32_e32 v4, 3, v0
	v_lshlrev_b32_e32 v5, 9, v44
	v_lshlrev_b32_e32 v3, 5, v3
	;; [unrolled: 1-line block ×3, first 2 shown]
	v_and_b32_e32 v5, 0x1800, v5
	v_or3_b32 v3, v5, v4, v3
	s_waitcnt vmcnt(0)
	ds_write_b128 v3, v[16:19]
.LBB117_13:
	s_or_b64 exec, exec, s[12:13]
	s_waitcnt lgkmcnt(0)
	s_mul_i32 s4, s4, s46
	s_mov_b32 s5, 0
	s_lshl_b64 s[4:5], s[4:5], 1
	s_add_u32 s10, s10, s4
	s_addc_u32 s11, s11, s5
	s_waitcnt vmcnt(3)
	v_mad_i64_i32 v[2:3], s[12:13], v2, s45, 0
	v_lshl_add_u64 v[2:3], v[2:3], 1, s[10:11]
	v_lshlrev_b64 v[12:13], 1, v[42:43]
	v_lshlrev_b32_e32 v46, 9, v54
	v_lshl_add_u64 v[2:3], v[2:3], 0, v[12:13]
	v_mov_b32_e32 v47, 0
	v_lshl_add_u64 v[8:9], v[2:3], 0, v[46:47]
	s_barrier
	global_load_dwordx4 v[22:25], v[8:9], off
	global_load_dwordx4 v[2:5], v[8:9], off offset:2048
	s_waitcnt vmcnt(4)
	v_mad_i64_i32 v[6:7], s[12:13], v6, s45, 0
	v_mov_b32_e32 v8, 0x100
	v_lshl_add_u64 v[6:7], v[6:7], 1, s[10:11]
	v_lshl_or_b32 v16, v44, 4, v8
	v_mov_b32_e32 v17, v47
	s_waitcnt vmcnt(3)
	v_mad_i64_i32 v[10:11], s[12:13], v10, s45, 0
	v_lshl_add_u64 v[6:7], v[6:7], 0, v[16:17]
	v_lshl_add_u64 v[10:11], v[10:11], 1, s[10:11]
	s_waitcnt vmcnt(2)
	v_mad_i64_i32 v[14:15], s[12:13], v14, s45, 0
	v_lshl_add_u64 v[18:19], v[6:7], 0, v[46:47]
	v_lshl_add_u64 v[10:11], v[10:11], 0, v[12:13]
	;; [unrolled: 1-line block ×3, first 2 shown]
	global_load_dwordx4 v[26:29], v[18:19], off
	global_load_dwordx4 v[6:9], v[18:19], off offset:2048
	v_lshl_add_u64 v[18:19], v[10:11], 0, v[46:47]
	v_lshl_add_u64 v[14:15], v[14:15], 0, v[16:17]
	global_load_dwordx4 v[30:33], v[18:19], off
	global_load_dwordx4 v[10:13], v[18:19], off offset:2048
	v_lshl_add_u64 v[18:19], v[14:15], 0, v[46:47]
	global_load_dwordx4 v[34:37], v[18:19], off
	global_load_dwordx4 v[14:17], v[18:19], off offset:2048
	v_mul_lo_u16_e32 v18, 43, v44
	v_mov_b32_e32 v19, 6
	v_mul_lo_u16_sdwa v18, v18, v19 dst_sel:DWORD dst_unused:UNUSED_PAD src0_sel:BYTE_1 src1_sel:DWORD
	v_sub_u16_e32 v18, v44, v18
	v_and_b32_e32 v18, 0xff, v18
	v_lshl_add_u32 v18, v18, 5, v46
	ds_read_b128 v[38:41], v18
	ds_read_b128 v[18:21], v18 offset:2048
	v_and_b32_e32 v45, 63, v0
	v_cmp_gt_u32_e32 vcc, 6, v44
	v_mov_b32_e32 v50, 0
	s_and_saveexec_b64 s[10:11], vcc
	s_cbranch_execz .LBB117_15
; %bb.14:
	s_load_dwordx2 s[12:13], s[0:1], 0x40
	v_add_u32_e32 v48, s42, v44
	v_ashrrev_i32_e32 v49, 31, v48
	s_waitcnt lgkmcnt(0)
	v_lshl_add_u64 v[48:49], v[48:49], 2, s[12:13]
	global_load_dword v50, v[48:49], off
.LBB117_15:
	s_or_b64 exec, exec, s[10:11]
	s_ashr_i32 s10, s14, 31
	v_and_or_b32 v46, v0, 48, s14
	s_lshr_b32 s11, s10, 27
	v_add_u32_e32 v48, s11, v46
	v_or_b32_e32 v52, 64, v46
	v_ashrrev_i32_e32 v48, 5, v48
	v_mov_b32_e32 v51, s15
	v_cmp_gt_i32_e32 vcc, s29, v46
	v_add_u32_e32 v53, s11, v52
	s_waitcnt vmcnt(7) lgkmcnt(1)
	v_mfma_f32_16x16x16_f16 v[56:59], v[22:23], v[38:39], 0
	v_cndmask_b32_e32 v48, v51, v48, vcc
	v_ashrrev_i32_e32 v22, 5, v53
	v_cmp_gt_i32_e32 vcc, s29, v52
	v_ashrrev_i32_e32 v49, 31, v48
	v_lshl_add_u64 v[48:49], v[48:49], 2, s[8:9]
	v_cndmask_b32_e32 v22, v51, v22, vcc
	v_ashrrev_i32_e32 v23, 31, v22
	v_lshl_add_u64 v[22:23], v[22:23], 2, s[8:9]
	global_load_dword v55, v[48:49], off
	global_load_dword v72, v[22:23], off
	s_waitcnt vmcnt(3)
	v_mfma_f32_16x16x16_f16 v[68:71], v[34:35], v[38:39], 0
	v_or_b32_e32 v48, 0xc0, v46
	v_add_u32_e32 v52, s11, v48
	s_add_u32 s4, s6, s4
	v_mfma_f32_16x16x16_f16 v[60:63], v[26:27], v[38:39], 0
	s_addc_u32 s5, s7, s5
	s_load_dword s10, s[0:1], 0x1c
	s_mov_b32 s33, 0xff7fffff
	v_mfma_f32_16x16x16_f16 v[64:67], v[30:31], v[38:39], 0
	v_and_b32_e32 v31, 0xc0, v0
	v_or_b32_e32 v38, 0x80, v46
	v_add_u32_e32 v34, s14, v31
	v_mfma_f32_16x16x16_f16 v[22:25], v[24:25], v[40:41], v[56:59]
	v_and_b32_e32 v30, 16, v0
	v_add_u32_e32 v49, s11, v38
	v_lshlrev_b32_e32 v46, 1, v30
	v_lshl_or_b32 v56, v54, 2, v34
	v_mfma_f32_16x16x16_f16 v[34:37], v[36:37], v[40:41], v[68:71]
	v_cmp_gt_i32_e32 vcc, s29, v38
	v_lshlrev_b32_e32 v39, 6, v44
	v_or_b32_e32 v57, 1, v56
	v_mfma_f32_16x16x16_f16 v[26:29], v[28:29], v[40:41], v[60:63]
	v_cmp_gt_i32_e64 s[34:35], s29, v57
	v_mfma_f32_16x16x16_f16 v[30:33], v[32:33], v[40:41], v[64:67]
	v_ashrrev_i32_e32 v40, 5, v49
	v_ashrrev_i32_e32 v41, 5, v52
	v_cndmask_b32_e32 v38, v51, v40, vcc
	v_cmp_gt_i32_e32 vcc, s29, v48
	s_waitcnt lgkmcnt(0)
	v_mfma_f32_16x16x16_f16 v[22:25], v[2:3], v[18:19], v[22:25]
	v_lshl_add_u64 v[2:3], s[4:5], 0, v[46:47]
	v_cndmask_b32_e32 v40, v51, v41, vcc
	v_lshl_or_b32 v46, v1, 10, v39
	v_ashrrev_i32_e32 v39, 31, v38
	v_ashrrev_i32_e32 v41, 31, v40
	s_waitcnt vmcnt(2)
	v_mfma_f32_16x16x16_f16 v[34:37], v[14:15], v[18:19], v[34:37]
	v_lshl_add_u64 v[14:15], v[38:39], 2, s[8:9]
	v_subrev_u32_e32 v51, s29, v57
	v_cvt_f32_i32_e32 v58, v51
	v_mfma_f32_16x16x16_f16 v[26:29], v[6:7], v[18:19], v[26:29]
	v_mfma_f32_16x16x16_f16 v[30:33], v[10:11], v[18:19], v[30:33]
	v_lshl_add_u64 v[18:19], v[40:41], 2, s[8:9]
	global_load_dword v59, v[14:15], off
	global_load_dword v60, v[18:19], off
	v_lshl_add_u64 v[10:11], v[2:3], 0, v[46:47]
	v_mfma_f32_16x16x16_f16 v[2:5], v[4:5], v[20:21], v[22:25]
	v_add_u32_e32 v46, 1, v51
	v_add_u32_e32 v47, 3, v51
	;; [unrolled: 1-line block ×3, first 2 shown]
	v_mfma_f32_16x16x16_f16 v[14:17], v[16:17], v[20:21], v[34:37]
	v_add_u32_e32 v22, 2, v51
	s_nop 1
	v_pk_mul_f32 v[52:53], s[10:11], v[4:5] op_sel_hi:[0,1]
	v_cvt_f32_i32_e32 v18, v18
	v_mfma_f32_16x16x16_f16 v[6:9], v[8:9], v[20:21], v[26:29]
	v_add_u32_e32 v19, 19, v51
	v_pk_mul_f32 v[34:35], s[10:11], v[16:17] op_sel_hi:[0,1]
	v_pk_mul_f32 v[36:37], s[10:11], v[14:15] op_sel_hi:[0,1]
	v_cvt_f32_i32_e32 v27, v22
	v_mfma_f32_16x16x16_f16 v[22:25], v[12:13], v[20:21], v[30:33]
	v_pk_mul_f32 v[12:13], s[10:11], v[2:3] op_sel_hi:[0,1]
	v_cvt_f32_i32_e32 v26, v46
	v_cvt_f32_i32_e32 v28, v47
	v_pk_mul_f32 v[46:47], s[10:11], v[8:9] op_sel_hi:[0,1]
	v_pk_mul_f32 v[48:49], s[10:11], v[6:7] op_sel_hi:[0,1]
	v_cvt_f32_i32_e32 v19, v19
	v_fma_f32 v46, v50, v18, v46
	v_add_u32_e32 v18, 34, v51
	v_cvt_f32_i32_e32 v18, v18
	v_fmac_f32_e32 v47, v50, v19
	v_add_u32_e32 v19, 35, v51
	v_cvt_f32_i32_e32 v19, v19
	v_pk_mul_f32 v[40:41], s[10:11], v[22:23] op_sel_hi:[0,1]
	v_pk_mul_f32 v[38:39], s[10:11], v[24:25] op_sel_hi:[0,1]
	v_fma_f32 v38, v50, v18, v38
	v_add_u32_e32 v18, 50, v51
	s_waitcnt vmcnt(3)
	v_mad_i64_i32 v[2:3], s[4:5], v55, s45, 0
	s_waitcnt vmcnt(2)
	v_mad_i64_i32 v[4:5], s[4:5], v72, s45, 0
	v_lshl_add_u64 v[16:17], v[2:3], 1, v[10:11]
	v_lshl_add_u64 v[14:15], v[4:5], 1, v[10:11]
	global_load_dwordx4 v[6:9], v[16:17], off
	global_load_dwordx4 v[2:5], v[16:17], off offset:16
	v_add_u32_e32 v16, 16, v51
	v_cvt_f32_i32_e32 v16, v16
	v_add_u32_e32 v17, 17, v51
	v_cvt_f32_i32_e32 v17, v17
	v_fmac_f32_e32 v39, v50, v19
	v_fma_f32 v48, v50, v16, v48
	v_add_u32_e32 v16, 32, v51
	v_fmac_f32_e32 v49, v50, v17
	v_cvt_f32_i32_e32 v16, v16
	v_add_u32_e32 v17, 33, v51
	v_cvt_f32_i32_e32 v17, v17
	v_cvt_f32_i32_e32 v18, v18
	v_fma_f32 v40, v50, v16, v40
	v_add_u32_e32 v16, 48, v51
	v_fmac_f32_e32 v41, v50, v17
	v_cvt_f32_i32_e32 v16, v16
	v_add_u32_e32 v17, 49, v51
	v_cvt_f32_i32_e32 v17, v17
	v_add_u32_e32 v19, 51, v51
	v_cvt_f32_i32_e32 v19, v19
	v_fma_f32 v12, v50, v58, v12
	v_fmac_f32_e32 v13, v50, v26
	v_fma_f32 v36, v50, v16, v36
	v_mov_b32_e32 v16, 0xff7fffff
	v_cmp_gt_i32_e64 s[4:5], s29, v56
	v_fmac_f32_e32 v37, v50, v17
	v_fma_f32 v34, v50, v18, v34
	v_cndmask_b32_e64 v17, v16, v12, s[4:5]
	v_cndmask_b32_e64 v18, v16, v13, s[34:35]
	v_fmac_f32_e32 v35, v50, v19
	v_max3_f32 v17, v17, s33, v18
	v_or_b32_e32 v18, 2, v56
	v_or_b32_e32 v19, 3, v56
	v_fma_f32 v52, v50, v27, v52
	v_fmac_f32_e32 v53, v50, v28
	v_cmp_gt_i32_e64 s[36:37], s29, v18
	v_cmp_gt_i32_e64 s[38:39], s29, v19
	global_load_dwordx4 v[30:33], v[14:15], off
	global_load_dwordx4 v[26:29], v[14:15], off offset:16
	v_cndmask_b32_e64 v18, v16, v52, s[36:37]
	v_cndmask_b32_e64 v19, v16, v53, s[38:39]
	v_max3_f32 v17, v17, v18, v19
	v_or_b32_e32 v18, 16, v56
	v_or_b32_e32 v19, 17, v56
	v_cmp_gt_i32_e64 s[24:25], s29, v18
	v_cmp_gt_i32_e64 s[26:27], s29, v19
	s_nop 0
	v_cndmask_b32_e64 v18, v16, v48, s[24:25]
	v_cndmask_b32_e64 v19, v16, v49, s[26:27]
	v_max3_f32 v17, v17, v18, v19
	v_or_b32_e32 v18, 18, v56
	v_or_b32_e32 v19, 19, v56
	v_cmp_gt_i32_e64 s[20:21], s29, v18
	v_cmp_gt_i32_e64 s[22:23], s29, v19
	s_nop 0
	;; [unrolled: 8-line block ×5, first 2 shown]
	v_cndmask_b32_e64 v18, v16, v36, s[8:9]
	v_cndmask_b32_e64 v19, v16, v37, s[10:11]
	v_max3_f32 v17, v17, v18, v19
	v_or_b32_e32 v18, 50, v56
	v_or_b32_e32 v19, 51, v56
	v_cmp_gt_i32_e32 vcc, s29, v18
	v_cmp_gt_i32_e64 s[6:7], s29, v19
	s_nop 0
	v_cndmask_b32_e32 v18, v16, v34, vcc
	v_cndmask_b32_e64 v16, v16, v35, s[6:7]
	v_max3_f32 v16, v17, v18, v16
	v_mbcnt_lo_u32_b32 v17, -1, 0
	v_mbcnt_hi_u32_b32 v17, -1, v17
	v_and_b32_e32 v18, 64, v17
	v_add_u32_e32 v18, 64, v18
	v_xor_b32_e32 v19, 32, v17
	v_cmp_lt_i32_e64 s[40:41], v19, v18
	s_nop 1
	v_cndmask_b32_e64 v19, v17, v19, s[40:41]
	v_lshlrev_b32_e32 v56, 2, v19
	ds_bpermute_b32 v19, v56, v16
	s_waitcnt vmcnt(5)
	v_mad_i64_i32 v[14:15], s[40:41], v59, s45, 0
	v_lshl_add_u64 v[14:15], v[14:15], 1, v[10:11]
	s_waitcnt lgkmcnt(0)
	v_max_f32_e32 v19, v19, v19
	v_max_f32_e32 v16, v16, v19
	v_xor_b32_e32 v19, 16, v17
	v_cmp_lt_i32_e64 s[40:41], v19, v18
	s_nop 1
	v_cndmask_b32_e64 v17, v17, v19, s[40:41]
	v_lshlrev_b32_e32 v57, 2, v17
	ds_bpermute_b32 v17, v57, v16
	global_load_dwordx4 v[22:25], v[14:15], off
	global_load_dwordx4 v[18:21], v[14:15], off offset:16
	s_waitcnt vmcnt(6)
	v_mad_i64_i32 v[14:15], s[40:41], v60, s45, 0
	v_lshl_add_u64 v[10:11], v[14:15], 1, v[10:11]
	s_waitcnt lgkmcnt(0)
	v_max_f32_e32 v14, v17, v17
	v_max_f32_e32 v55, v16, v14
	v_sub_f32_e32 v12, v12, v55
	v_mul_f32_e32 v12, 0x3fb8aa3b, v12
	v_exp_f32_e32 v50, v12
	v_sub_f32_e32 v12, v13, v55
	v_mul_f32_e32 v12, 0x3fb8aa3b, v12
	v_exp_f32_e32 v51, v12
	global_load_dwordx4 v[14:17], v[10:11], off
	s_nop 0
	global_load_dwordx4 v[10:13], v[10:11], off offset:16
	v_sub_f32_e32 v52, v52, v55
	v_mul_f32_e32 v52, 0x3fb8aa3b, v52
	v_sub_f32_e32 v53, v53, v55
	v_exp_f32_e32 v52, v52
	v_mul_f32_e32 v53, 0x3fb8aa3b, v53
	v_sub_f32_e32 v48, v48, v55
	v_exp_f32_e32 v53, v53
	v_mul_f32_e32 v48, 0x3fb8aa3b, v48
	v_sub_f32_e32 v49, v49, v55
	v_cndmask_b32_e64 v50, 0, v50, s[4:5]
	v_exp_f32_e32 v48, v48
	v_mul_f32_e32 v49, 0x3fb8aa3b, v49
	v_sub_f32_e32 v46, v46, v55
	v_add_f32_e32 v58, 0, v50
	v_cndmask_b32_e64 v51, 0, v51, s[34:35]
	v_exp_f32_e32 v49, v49
	v_mul_f32_e32 v46, 0x3fb8aa3b, v46
	v_sub_f32_e32 v47, v47, v55
	v_add_f32_e32 v58, v58, v51
	;; [unrolled: 5-line block ×10, first 2 shown]
	v_cndmask_b32_e64 v38, 0, v38, s[12:13]
	v_exp_f32_e32 v34, v34
	v_mul_f32_e32 v35, 0x3fb8aa3b, v35
	v_add_f32_e32 v58, v58, v38
	v_cndmask_b32_e64 v39, 0, v39, s[14:15]
	v_exp_f32_e32 v35, v35
	v_add_f32_e32 v58, v58, v39
	v_cndmask_b32_e64 v36, 0, v36, s[8:9]
	v_add_f32_e32 v58, v58, v36
	v_cndmask_b32_e64 v37, 0, v37, s[10:11]
	v_add_f32_e32 v58, v58, v37
	v_cndmask_b32_e32 v34, 0, v34, vcc
	v_add_f32_e32 v58, v58, v34
	v_cndmask_b32_e64 v35, 0, v35, s[6:7]
	v_add_f32_e32 v58, v58, v35
	ds_bpermute_b32 v56, v56, v58
	s_load_dword s7, s[0:1], 0x98
	v_cmp_gt_u32_e32 vcc, 16, v45
	v_lshlrev_b32_e32 v45, 2, v44
	s_waitcnt lgkmcnt(0)
	v_add_f32_e32 v56, v58, v56
	ds_bpermute_b32 v57, v57, v56
	s_barrier
	s_waitcnt lgkmcnt(0)
	s_and_saveexec_b64 s[4:5], vcc
	s_cbranch_execz .LBB117_17
; %bb.16:
	v_add_f32_e32 v56, v56, v57
	v_lshl_or_b32 v57, v1, 6, v45
	ds_write2st64_b32 v57, v55, v56 offset1:1
.LBB117_17:
	s_or_b64 exec, exec, s[4:5]
	s_load_dword s6, s[0:1], 0x94
	s_waitcnt lgkmcnt(0)
	s_barrier
	ds_read2_b32 v[56:57], v45 offset1:16
	ds_read2_b32 v[58:59], v45 offset0:32 offset1:48
	ds_read2_b32 v[60:61], v45 offset0:64 offset1:80
	;; [unrolled: 1-line block ×3, first 2 shown]
	s_waitcnt lgkmcnt(0)
	v_max3_f32 v55, v56, s33, v57
	v_max3_f32 v55, v55, v58, v59
	v_sub_f32_e32 v56, v56, v55
	v_mul_f32_e32 v56, 0x3fb8aa3b, v56
	v_exp_f32_e32 v64, v56
	v_sub_f32_e32 v56, v57, v55
	v_mul_f32_e32 v56, 0x3fb8aa3b, v56
	v_exp_f32_e32 v57, v56
	v_sub_f32_e32 v56, v58, v55
	v_mul_f32_e32 v56, 0x3fb8aa3b, v56
	v_sub_f32_e32 v45, v59, v55
	v_exp_f32_e32 v58, v56
	v_mul_f32_e32 v45, 0x3fb8aa3b, v45
	v_exp_f32_e32 v45, v45
	v_fma_f32 v56, v64, v60, 0
	v_fmac_f32_e32 v56, v57, v61
	v_fmac_f32_e32 v56, v58, v62
	;; [unrolled: 1-line block ×3, first 2 shown]
	v_add_f32_e32 v59, 0x358637bd, v56
	v_div_scale_f32 v60, s[4:5], v59, v59, 1.0
	v_rcp_f32_e32 v61, v60
	s_barrier
	s_mul_i32 s7, s7, 6
	v_fma_f32 v62, -v60, v61, 1.0
	v_fmac_f32_e32 v61, v62, v61
	v_div_scale_f32 v62, vcc, 1.0, v59, 1.0
	v_mul_f32_e32 v63, v62, v61
	v_fma_f32 v65, -v60, v63, v62
	v_fmac_f32_e32 v63, v65, v61
	v_fma_f32 v60, -v60, v63, v62
	v_div_fmas_f32 v60, v60, v61, v63
	v_cmp_eq_u32_e32 vcc, 1, v1
	v_div_fixup_f32 v59, v60, v59, 1.0
	s_nop 0
	v_cndmask_b32_e32 v57, v64, v57, vcc
	v_cmp_eq_u32_e32 vcc, 2, v1
	s_nop 1
	v_cndmask_b32_e32 v57, v57, v58, vcc
	v_cmp_eq_u32_e32 vcc, 3, v1
	v_lshlrev_b32_e32 v1, 11, v1
	s_nop 0
	v_cndmask_b32_e32 v45, v57, v45, vcc
	v_mul_f32_e32 v58, v45, v59
	v_pk_mul_f32 v[52:53], v[58:59], v[52:53] op_sel_hi:[0,1]
	v_pk_mul_f32 v[50:51], v[58:59], v[50:51] op_sel_hi:[0,1]
	v_cvt_f16_f32_e32 v45, v50
	v_cvt_f16_f32_e32 v50, v51
	;; [unrolled: 1-line block ×4, first 2 shown]
	v_pk_mul_f32 v[46:47], v[58:59], v[46:47] op_sel_hi:[0,1]
	v_pk_mul_f32 v[48:49], v[58:59], v[48:49] op_sel_hi:[0,1]
	v_cvt_f16_f32_e32 v48, v48
	v_pack_b32_f16 v53, v51, v53
	v_cvt_f16_f32_e32 v49, v49
	v_cvt_f16_f32_e32 v51, v46
	v_cvt_f16_f32_e32 v47, v47
	v_pack_b32_f16 v52, v45, v50
	v_lshlrev_b32_e32 v45, 3, v54
	v_lshlrev_b32_e32 v50, 5, v44
	v_or3_b32 v1, v1, v50, v45
	v_pack_b32_f16 v46, v48, v49
	v_pack_b32_f16 v47, v51, v47
	v_pk_mul_f32 v[38:39], v[58:59], v[38:39] op_sel_hi:[0,1]
	v_pk_mul_f32 v[40:41], v[58:59], v[40:41] op_sel_hi:[0,1]
	;; [unrolled: 1-line block ×4, first 2 shown]
	ds_write2st64_b64 v1, v[52:53], v[46:47] offset1:1
	v_cvt_f16_f32_e32 v40, v40
	v_cvt_f16_f32_e32 v41, v41
	;; [unrolled: 1-line block ×8, first 2 shown]
	v_pack_b32_f16 v34, v40, v41
	v_pack_b32_f16 v35, v38, v39
	;; [unrolled: 1-line block ×4, first 2 shown]
	v_cmp_gt_u32_e32 vcc, 6, v0
	ds_write2st64_b64 v1, v[34:35], v[36:37] offset0:2 offset1:3
	s_and_saveexec_b64 s[4:5], vcc
	s_cbranch_execz .LBB117_19
; %bb.18:
	s_mov_b32 s43, 0
	v_mov_b32_e32 v45, 0
	v_lshl_add_u64 v[34:35], s[42:43], 0, v[44:45]
	v_mov_b32_e32 v36, s7
	v_mad_u64_u32 v[34:35], s[12:13], s2, v36, v[34:35]
	s_mul_i32 s3, s3, s7
	v_mov_b32_e32 v44, s28
	s_load_dwordx4 s[8:11], s[0:1], 0x58
	v_add_u32_e32 v37, s3, v35
	v_mad_u64_u32 v[34:35], s[12:13], v34, s6, v[44:45]
	v_mov_b32_e32 v36, v35
	v_mad_u64_u32 v[36:37], s[12:13], v37, s6, v[36:37]
	v_mov_b32_e32 v35, v36
	v_lshlrev_b64 v[34:35], 2, v[34:35]
	s_waitcnt lgkmcnt(0)
	v_lshl_add_u64 v[36:37], s[10:11], 0, v[34:35]
	v_lshl_add_u64 v[34:35], s[8:9], 0, v[34:35]
	global_store_dword v[36:37], v55, off
	global_store_dword v[34:35], v56, off
.LBB117_19:
	s_or_b64 exec, exec, s[4:5]
	v_lshl_or_b32 v48, v54, 9, v50
	s_waitcnt lgkmcnt(0)
	s_barrier
	ds_read_b128 v[34:37], v48
	ds_read_b128 v[38:41], v48 offset:16
	s_waitcnt vmcnt(7) lgkmcnt(1)
	v_mfma_f32_16x16x16_f16 v[44:47], v[6:7], v[34:35], 0
	v_cmp_gt_u32_e32 vcc, 64, v0
	s_mov_b32 s3, 0
	s_and_b64 s[4:5], vcc, s[30:31]
	v_mfma_f32_16x16x16_f16 v[6:9], v[8:9], v[36:37], v[44:47]
	s_waitcnt vmcnt(6) lgkmcnt(0)
	v_mfma_f32_16x16x16_f16 v[6:9], v[2:3], v[38:39], v[6:9]
	v_mfma_f32_16x16x16_f16 v[2:5], v[4:5], v[40:41], v[6:9]
	s_nop 5
	ds_read_b128 v[6:9], v48 offset:2048
	ds_read_b128 v[34:37], v48 offset:2064
	s_waitcnt vmcnt(5) lgkmcnt(1)
	v_mfma_f32_16x16x16_f16 v[2:5], v[30:31], v[6:7], v[2:5]
	v_mfma_f32_16x16x16_f16 v[2:5], v[32:33], v[8:9], v[2:5]
	s_waitcnt vmcnt(4) lgkmcnt(0)
	v_mfma_f32_16x16x16_f16 v[2:5], v[26:27], v[34:35], v[2:5]
	v_mfma_f32_16x16x16_f16 v[2:5], v[28:29], v[36:37], v[2:5]
	ds_read_b128 v[6:9], v48 offset:4096
	ds_read_b128 v[26:29], v48 offset:4112
	s_waitcnt vmcnt(3) lgkmcnt(1)
	v_mfma_f32_16x16x16_f16 v[2:5], v[22:23], v[6:7], v[2:5]
	v_mfma_f32_16x16x16_f16 v[2:5], v[24:25], v[8:9], v[2:5]
	s_waitcnt vmcnt(2) lgkmcnt(0)
	v_mfma_f32_16x16x16_f16 v[2:5], v[18:19], v[26:27], v[2:5]
	v_mfma_f32_16x16x16_f16 v[2:5], v[20:21], v[28:29], v[2:5]
	ds_read_b128 v[6:9], v48 offset:6144
	ds_read_b128 v[18:21], v48 offset:6160
	s_waitcnt lgkmcnt(0)
	s_barrier
	s_waitcnt vmcnt(1)
	v_mfma_f32_16x16x16_f16 v[2:5], v[14:15], v[6:7], v[2:5]
	v_mfma_f32_16x16x16_f16 v[2:5], v[16:17], v[8:9], v[2:5]
	s_waitcnt vmcnt(0)
	v_mfma_f32_16x16x16_f16 v[2:5], v[10:11], v[18:19], v[2:5]
	v_mfma_f32_16x16x16_f16 v[2:5], v[12:13], v[20:21], v[2:5]
	s_nop 6
	v_cvt_f16_f32_e32 v2, v2
	v_cvt_f16_f32_e32 v3, v3
	;; [unrolled: 1-line block ×4, first 2 shown]
	v_pack_b32_f16 v2, v2, v3
	v_pack_b32_f16 v3, v4, v5
	ds_write_b64 v1, v[2:3]
	s_waitcnt lgkmcnt(0)
	s_barrier
	s_and_saveexec_b64 s[8:9], s[4:5]
	s_cbranch_execz .LBB117_22
; %bb.20:
	s_load_dwordx2 s[4:5], s[0:1], 0x68
	s_lshl_b32 s0, s6, 6
	s_mul_i32 s1, s7, s2
	s_mul_hi_u32 s7, s1, s0
	s_mul_i32 s6, s1, s0
	v_lshlrev_b32_e32 v1, 10, v0
	v_lshlrev_b32_e32 v0, 4, v0
	s_lshl_b64 s[6:7], s[6:7], 1
	v_and_b32_e32 v1, 0x1800, v1
	v_lshlrev_b32_e32 v3, 5, v54
	v_and_b32_e32 v0, 16, v0
	s_waitcnt lgkmcnt(0)
	s_add_u32 s1, s4, s6
	v_or3_b32 v3, v1, v3, v0
	s_addc_u32 s4, s5, s7
	s_lshl_b32 s2, s28, 6
	s_lshl_b64 s[2:3], s[2:3], 1
	ds_read_b128 v[4:7], v3
	s_add_u32 s2, s1, s2
	s_addc_u32 s3, s4, s3
	v_add_u32_e32 v8, s42, v54
	v_or_b32_e32 v2, 4, v54
	v_lshl_add_u64 v[0:1], v[42:43], 1, s[2:3]
	v_mad_u64_u32 v[8:9], s[2:3], v8, s0, 0
	v_lshl_add_u64 v[8:9], v[8:9], 1, v[0:1]
	v_cmp_gt_u32_e32 vcc, 6, v2
	s_waitcnt lgkmcnt(0)
	global_store_dwordx4 v[8:9], v[4:7], off
	s_and_b64 exec, exec, vcc
	s_cbranch_execz .LBB117_22
; %bb.21:
	ds_read_b128 v[4:7], v3 offset:128
	v_add_u32_e32 v2, s42, v2
	v_mad_u64_u32 v[2:3], s[0:1], v2, s0, 0
	v_lshl_add_u64 v[0:1], v[2:3], 1, v[0:1]
	s_waitcnt lgkmcnt(0)
	global_store_dwordx4 v[0:1], v[4:7], off
.LBB117_22:
	s_endpgm
	.section	.rodata,"a",@progbits
	.p2align	6, 0x0
	.amdhsa_kernel _Z39paged_attention_ll4mi_QKV_mfma16_kernelIDF16_DF16_LN4vllm18Fp8KVCacheDataTypeE0EhLi32ELi64ELi256ELb1ELi6EEvPKT_PKT0_S7_ifPKiS9_S9_iPKfiiiPfSC_PS2_PT2_iSB_SB_
		.amdhsa_group_segment_fixed_size 8192
		.amdhsa_private_segment_fixed_size 0
		.amdhsa_kernarg_size 400
		.amdhsa_user_sgpr_count 2
		.amdhsa_user_sgpr_dispatch_ptr 0
		.amdhsa_user_sgpr_queue_ptr 0
		.amdhsa_user_sgpr_kernarg_segment_ptr 1
		.amdhsa_user_sgpr_dispatch_id 0
		.amdhsa_user_sgpr_kernarg_preload_length 0
		.amdhsa_user_sgpr_kernarg_preload_offset 0
		.amdhsa_user_sgpr_private_segment_size 0
		.amdhsa_uses_dynamic_stack 0
		.amdhsa_enable_private_segment 0
		.amdhsa_system_sgpr_workgroup_id_x 1
		.amdhsa_system_sgpr_workgroup_id_y 1
		.amdhsa_system_sgpr_workgroup_id_z 1
		.amdhsa_system_sgpr_workgroup_info 0
		.amdhsa_system_vgpr_workitem_id 0
		.amdhsa_next_free_vgpr 73
		.amdhsa_next_free_sgpr 48
		.amdhsa_accum_offset 76
		.amdhsa_reserve_vcc 1
		.amdhsa_float_round_mode_32 0
		.amdhsa_float_round_mode_16_64 0
		.amdhsa_float_denorm_mode_32 3
		.amdhsa_float_denorm_mode_16_64 3
		.amdhsa_dx10_clamp 1
		.amdhsa_ieee_mode 1
		.amdhsa_fp16_overflow 0
		.amdhsa_tg_split 0
		.amdhsa_exception_fp_ieee_invalid_op 0
		.amdhsa_exception_fp_denorm_src 0
		.amdhsa_exception_fp_ieee_div_zero 0
		.amdhsa_exception_fp_ieee_overflow 0
		.amdhsa_exception_fp_ieee_underflow 0
		.amdhsa_exception_fp_ieee_inexact 0
		.amdhsa_exception_int_div_zero 0
	.end_amdhsa_kernel
	.section	.text._Z39paged_attention_ll4mi_QKV_mfma16_kernelIDF16_DF16_LN4vllm18Fp8KVCacheDataTypeE0EhLi32ELi64ELi256ELb1ELi6EEvPKT_PKT0_S7_ifPKiS9_S9_iPKfiiiPfSC_PS2_PT2_iSB_SB_,"axG",@progbits,_Z39paged_attention_ll4mi_QKV_mfma16_kernelIDF16_DF16_LN4vllm18Fp8KVCacheDataTypeE0EhLi32ELi64ELi256ELb1ELi6EEvPKT_PKT0_S7_ifPKiS9_S9_iPKfiiiPfSC_PS2_PT2_iSB_SB_,comdat
.Lfunc_end117:
	.size	_Z39paged_attention_ll4mi_QKV_mfma16_kernelIDF16_DF16_LN4vllm18Fp8KVCacheDataTypeE0EhLi32ELi64ELi256ELb1ELi6EEvPKT_PKT0_S7_ifPKiS9_S9_iPKfiiiPfSC_PS2_PT2_iSB_SB_, .Lfunc_end117-_Z39paged_attention_ll4mi_QKV_mfma16_kernelIDF16_DF16_LN4vllm18Fp8KVCacheDataTypeE0EhLi32ELi64ELi256ELb1ELi6EEvPKT_PKT0_S7_ifPKiS9_S9_iPKfiiiPfSC_PS2_PT2_iSB_SB_
                                        ; -- End function
	.section	.AMDGPU.csdata,"",@progbits
; Kernel info:
; codeLenInByte = 4156
; NumSgprs: 54
; NumVgprs: 73
; NumAgprs: 0
; TotalNumVgprs: 73
; ScratchSize: 0
; MemoryBound: 0
; FloatMode: 240
; IeeeMode: 1
; LDSByteSize: 8192 bytes/workgroup (compile time only)
; SGPRBlocks: 6
; VGPRBlocks: 9
; NumSGPRsForWavesPerEU: 54
; NumVGPRsForWavesPerEU: 73
; AccumOffset: 76
; Occupancy: 6
; WaveLimiterHint : 1
; COMPUTE_PGM_RSRC2:SCRATCH_EN: 0
; COMPUTE_PGM_RSRC2:USER_SGPR: 2
; COMPUTE_PGM_RSRC2:TRAP_HANDLER: 0
; COMPUTE_PGM_RSRC2:TGID_X_EN: 1
; COMPUTE_PGM_RSRC2:TGID_Y_EN: 1
; COMPUTE_PGM_RSRC2:TGID_Z_EN: 1
; COMPUTE_PGM_RSRC2:TIDIG_COMP_CNT: 0
; COMPUTE_PGM_RSRC3_GFX90A:ACCUM_OFFSET: 18
; COMPUTE_PGM_RSRC3_GFX90A:TG_SPLIT: 0
	.section	.text._Z39paged_attention_ll4mi_QKV_mfma16_kernelIDF16_DF16_LN4vllm18Fp8KVCacheDataTypeE0EhLi32ELi64ELi256ELb1ELi7EEvPKT_PKT0_S7_ifPKiS9_S9_iPKfiiiPfSC_PS2_PT2_iSB_SB_,"axG",@progbits,_Z39paged_attention_ll4mi_QKV_mfma16_kernelIDF16_DF16_LN4vllm18Fp8KVCacheDataTypeE0EhLi32ELi64ELi256ELb1ELi7EEvPKT_PKT0_S7_ifPKiS9_S9_iPKfiiiPfSC_PS2_PT2_iSB_SB_,comdat
	.protected	_Z39paged_attention_ll4mi_QKV_mfma16_kernelIDF16_DF16_LN4vllm18Fp8KVCacheDataTypeE0EhLi32ELi64ELi256ELb1ELi7EEvPKT_PKT0_S7_ifPKiS9_S9_iPKfiiiPfSC_PS2_PT2_iSB_SB_ ; -- Begin function _Z39paged_attention_ll4mi_QKV_mfma16_kernelIDF16_DF16_LN4vllm18Fp8KVCacheDataTypeE0EhLi32ELi64ELi256ELb1ELi7EEvPKT_PKT0_S7_ifPKiS9_S9_iPKfiiiPfSC_PS2_PT2_iSB_SB_
	.globl	_Z39paged_attention_ll4mi_QKV_mfma16_kernelIDF16_DF16_LN4vllm18Fp8KVCacheDataTypeE0EhLi32ELi64ELi256ELb1ELi7EEvPKT_PKT0_S7_ifPKiS9_S9_iPKfiiiPfSC_PS2_PT2_iSB_SB_
	.p2align	8
	.type	_Z39paged_attention_ll4mi_QKV_mfma16_kernelIDF16_DF16_LN4vllm18Fp8KVCacheDataTypeE0EhLi32ELi64ELi256ELb1ELi7EEvPKT_PKT0_S7_ifPKiS9_S9_iPKfiiiPfSC_PS2_PT2_iSB_SB_,@function
_Z39paged_attention_ll4mi_QKV_mfma16_kernelIDF16_DF16_LN4vllm18Fp8KVCacheDataTypeE0EhLi32ELi64ELi256ELb1ELi7EEvPKT_PKT0_S7_ifPKiS9_S9_iPKfiiiPfSC_PS2_PT2_iSB_SB_: ; @_Z39paged_attention_ll4mi_QKV_mfma16_kernelIDF16_DF16_LN4vllm18Fp8KVCacheDataTypeE0EhLi32ELi64ELi256ELb1ELi7EEvPKT_PKT0_S7_ifPKiS9_S9_iPKfiiiPfSC_PS2_PT2_iSB_SB_
; %bb.0:
	s_load_dwordx2 s[6:7], s[0:1], 0x30
	s_mov_b32 s28, s3
	s_mov_b64 s[8:9], 0
	s_waitcnt lgkmcnt(0)
	s_cmp_lg_u64 s[6:7], 0
	s_cselect_b64 s[10:11], -1, 0
	s_and_b64 vcc, exec, s[10:11]
	s_cbranch_vccz .LBB118_7
; %bb.1:
	s_add_i32 s12, s2, 1
	s_mov_b32 s13, 0
	s_lshl_b64 s[14:15], s[12:13], 2
	s_add_u32 s14, s6, s14
	s_mov_b32 s3, s13
	s_addc_u32 s15, s7, s15
	s_lshl_b64 s[12:13], s[2:3], 2
	s_add_u32 s12, s6, s12
	s_addc_u32 s13, s7, s13
	s_load_dword s5, s[14:15], 0x0
	s_load_dword s16, s[12:13], 0x0
	s_waitcnt lgkmcnt(0)
	s_sub_i32 s5, s5, s16
	s_cmp_eq_u32 s5, 1
	s_cselect_b64 s[12:13], -1, 0
	s_andn2_b64 vcc, exec, s[8:9]
	s_cbranch_vccnz .LBB118_3
.LBB118_2:
	s_mov_b32 s3, 0
	s_mov_b64 s[12:13], -1
.LBB118_3:
	s_andn2_b64 vcc, exec, s[12:13]
	s_cbranch_vccnz .LBB118_22
; %bb.4:
	s_load_dwordx2 s[8:9], s[0:1], 0x28
	s_lshl_b64 s[12:13], s[2:3], 2
	s_waitcnt lgkmcnt(0)
	s_add_u32 s8, s8, s12
	s_addc_u32 s9, s9, s13
	s_load_dword s29, s[8:9], 0x0
	s_lshl_b32 s14, s28, 8
	s_waitcnt lgkmcnt(0)
	s_cmp_ge_i32 s14, s29
	s_cbranch_scc1 .LBB118_22
; %bb.5:
	s_load_dwordx2 s[8:9], s[0:1], 0x20
	s_load_dword s5, s[0:1], 0x38
	s_add_i32 s15, s29, 31
	s_ashr_i32 s16, s15, 31
	v_and_b32_e32 v1, 0xcf, v0
	s_lshr_b32 s16, s16, 27
	v_add_u32_e32 v1, s14, v1
	s_add_i32 s15, s15, s16
	v_ashrrev_i32_e32 v2, 31, v1
	s_ashr_i32 s15, s15, 5
	v_lshrrev_b32_e32 v6, 27, v2
	s_add_i32 s15, s15, -1
	s_waitcnt lgkmcnt(0)
	s_mul_i32 s16, s2, s5
	s_mov_b32 s17, 0
	v_add_u32_e32 v2, v1, v6
	s_lshl_b64 s[16:17], s[16:17], 2
	v_ashrrev_i32_e32 v2, 5, v2
	v_mov_b32_e32 v7, s15
	v_cmp_gt_i32_e32 vcc, s29, v1
	s_add_u32 s8, s8, s16
	s_addc_u32 s9, s9, s17
	v_cndmask_b32_e32 v2, v7, v2, vcc
	v_ashrrev_i32_e32 v3, 31, v2
	v_lshl_add_u64 v[4:5], v[2:3], 2, s[8:9]
	v_or_b32_e32 v2, 16, v1
	v_add_u32_e32 v3, v2, v6
	v_ashrrev_i32_e32 v3, 5, v3
	v_cmp_gt_i32_e32 vcc, s29, v2
	s_nop 1
	v_cndmask_b32_e32 v2, v7, v3, vcc
	v_ashrrev_i32_e32 v3, 31, v2
	v_lshl_add_u64 v[8:9], v[2:3], 2, s[8:9]
	v_or_b32_e32 v2, 32, v1
	v_add_u32_e32 v3, v2, v6
	v_ashrrev_i32_e32 v3, 5, v3
	v_cmp_gt_i32_e32 vcc, s29, v2
	v_or_b32_e32 v1, 48, v1
	s_nop 0
	v_cndmask_b32_e32 v2, v7, v3, vcc
	v_ashrrev_i32_e32 v3, 31, v2
	v_lshl_add_u64 v[12:13], v[2:3], 2, s[8:9]
	v_add_u32_e32 v2, v1, v6
	v_ashrrev_i32_e32 v2, 5, v2
	v_cmp_gt_i32_e32 vcc, s29, v1
	s_nop 1
	v_cndmask_b32_e32 v2, v7, v2, vcc
	v_ashrrev_i32_e32 v3, 31, v2
	v_lshl_add_u64 v[16:17], v[2:3], 2, s[8:9]
	global_load_dword v2, v[4:5], off
	global_load_dword v6, v[8:9], off
	;; [unrolled: 1-line block ×4, first 2 shown]
	s_andn2_b64 vcc, exec, s[10:11]
	s_cbranch_vccnz .LBB118_8
; %bb.6:
	s_add_u32 s6, s6, s12
	s_addc_u32 s7, s7, s13
	s_load_dword s5, s[6:7], 0x0
	s_branch .LBB118_9
.LBB118_7:
	s_mov_b64 s[12:13], 0
	s_branch .LBB118_2
.LBB118_8:
	s_mov_b32 s5, s2
.LBB118_9:
	s_load_dwordx2 s[10:11], s[0:1], 0x8
	s_load_dwordx4 s[44:47], s[0:1], 0x48
	v_lshrrev_b32_e32 v1, 6, v0
	v_bfe_u32 v54, v0, 4, 2
	v_lshl_or_b32 v3, v1, 2, v54
	v_and_b32_e32 v44, 15, v0
	v_cmp_lt_u32_e32 vcc, 6, v3
	v_cmp_lt_u32_e64 s[6:7], 7, v44
	v_lshlrev_b32_e32 v42, 3, v44
	v_cmp_gt_u32_e64 s[30:31], 8, v44
	s_or_b64 s[6:7], s[6:7], vcc
	s_and_saveexec_b64 s[12:13], s[6:7]
	s_xor_b64 s[6:7], exec, s[12:13]
; %bb.10:
	v_mov_b32_e32 v43, 0
                                        ; implicit-def: $vgpr3
; %bb.11:
	s_or_saveexec_b64 s[12:13], s[6:7]
	s_load_dwordx2 s[6:7], s[0:1], 0x10
	s_mul_i32 s42, s4, 7
	s_xor_b64 exec, exec, s[12:13]
	s_cbranch_execz .LBB118_13
; %bb.12:
	s_load_dwordx2 s[16:17], s[0:1], 0x0
	s_waitcnt lgkmcnt(0)
	s_ashr_i32 s18, s44, 31
	s_mul_hi_u32 s19, s5, s44
	s_mul_i32 s18, s5, s18
	s_add_i32 s19, s19, s18
	s_mul_i32 s18, s5, s44
	s_lshl_b64 s[18:19], s[18:19], 1
	s_add_u32 s16, s16, s18
	v_add_lshl_u32 v4, v3, s42, 6
	s_addc_u32 s17, s17, s19
	v_ashrrev_i32_e32 v5, 31, v4
	v_mov_b32_e32 v43, 0
	v_lshl_add_u64 v[4:5], v[4:5], 1, s[16:17]
	v_lshlrev_b32_e32 v8, 1, v42
	v_mov_b32_e32 v9, v43
	v_lshl_add_u64 v[4:5], v[4:5], 0, v[8:9]
	global_load_dwordx4 v[16:19], v[4:5], off
	v_and_b32_e32 v4, 3, v0
	v_lshlrev_b32_e32 v5, 9, v44
	v_lshlrev_b32_e32 v3, 5, v3
	;; [unrolled: 1-line block ×3, first 2 shown]
	v_and_b32_e32 v5, 0x1800, v5
	v_or3_b32 v3, v5, v4, v3
	s_waitcnt vmcnt(0)
	ds_write_b128 v3, v[16:19]
.LBB118_13:
	s_or_b64 exec, exec, s[12:13]
	s_waitcnt lgkmcnt(0)
	s_mul_i32 s4, s4, s46
	s_mov_b32 s5, 0
	s_lshl_b64 s[4:5], s[4:5], 1
	s_add_u32 s10, s10, s4
	s_addc_u32 s11, s11, s5
	s_waitcnt vmcnt(3)
	v_mad_i64_i32 v[2:3], s[12:13], v2, s45, 0
	v_lshl_add_u64 v[2:3], v[2:3], 1, s[10:11]
	v_lshlrev_b64 v[12:13], 1, v[42:43]
	v_lshlrev_b32_e32 v46, 9, v54
	v_lshl_add_u64 v[2:3], v[2:3], 0, v[12:13]
	v_mov_b32_e32 v47, 0
	v_lshl_add_u64 v[8:9], v[2:3], 0, v[46:47]
	s_barrier
	global_load_dwordx4 v[22:25], v[8:9], off
	global_load_dwordx4 v[2:5], v[8:9], off offset:2048
	s_waitcnt vmcnt(4)
	v_mad_i64_i32 v[6:7], s[12:13], v6, s45, 0
	v_mov_b32_e32 v8, 0x100
	v_lshl_add_u64 v[6:7], v[6:7], 1, s[10:11]
	v_lshl_or_b32 v16, v44, 4, v8
	v_mov_b32_e32 v17, v47
	s_waitcnt vmcnt(3)
	v_mad_i64_i32 v[10:11], s[12:13], v10, s45, 0
	v_lshl_add_u64 v[6:7], v[6:7], 0, v[16:17]
	v_lshl_add_u64 v[10:11], v[10:11], 1, s[10:11]
	s_waitcnt vmcnt(2)
	v_mad_i64_i32 v[14:15], s[12:13], v14, s45, 0
	v_lshl_add_u64 v[18:19], v[6:7], 0, v[46:47]
	v_lshl_add_u64 v[10:11], v[10:11], 0, v[12:13]
	;; [unrolled: 1-line block ×3, first 2 shown]
	global_load_dwordx4 v[26:29], v[18:19], off
	global_load_dwordx4 v[6:9], v[18:19], off offset:2048
	v_lshl_add_u64 v[18:19], v[10:11], 0, v[46:47]
	v_lshl_add_u64 v[14:15], v[14:15], 0, v[16:17]
	global_load_dwordx4 v[30:33], v[18:19], off
	global_load_dwordx4 v[10:13], v[18:19], off offset:2048
	v_lshl_add_u64 v[18:19], v[14:15], 0, v[46:47]
	global_load_dwordx4 v[34:37], v[18:19], off
	global_load_dwordx4 v[14:17], v[18:19], off offset:2048
	v_mul_lo_u16_e32 v18, 37, v44
	v_mov_b32_e32 v19, 7
	v_mul_lo_u16_sdwa v18, v18, v19 dst_sel:DWORD dst_unused:UNUSED_PAD src0_sel:BYTE_1 src1_sel:DWORD
	v_sub_u16_e32 v18, v44, v18
	v_and_b32_e32 v18, 0xff, v18
	v_lshl_add_u32 v18, v18, 5, v46
	ds_read_b128 v[38:41], v18
	ds_read_b128 v[18:21], v18 offset:2048
	v_and_b32_e32 v45, 63, v0
	v_cmp_gt_u32_e32 vcc, 7, v44
	v_mov_b32_e32 v50, 0
	s_and_saveexec_b64 s[10:11], vcc
	s_cbranch_execz .LBB118_15
; %bb.14:
	s_load_dwordx2 s[12:13], s[0:1], 0x40
	v_add_u32_e32 v48, s42, v44
	v_ashrrev_i32_e32 v49, 31, v48
	s_waitcnt lgkmcnt(0)
	v_lshl_add_u64 v[48:49], v[48:49], 2, s[12:13]
	global_load_dword v50, v[48:49], off
.LBB118_15:
	s_or_b64 exec, exec, s[10:11]
	s_ashr_i32 s10, s14, 31
	v_and_or_b32 v46, v0, 48, s14
	s_lshr_b32 s11, s10, 27
	v_add_u32_e32 v48, s11, v46
	v_or_b32_e32 v52, 64, v46
	v_ashrrev_i32_e32 v48, 5, v48
	v_mov_b32_e32 v51, s15
	v_cmp_gt_i32_e32 vcc, s29, v46
	v_add_u32_e32 v53, s11, v52
	s_waitcnt vmcnt(7) lgkmcnt(1)
	v_mfma_f32_16x16x16_f16 v[56:59], v[22:23], v[38:39], 0
	v_cndmask_b32_e32 v48, v51, v48, vcc
	v_ashrrev_i32_e32 v22, 5, v53
	v_cmp_gt_i32_e32 vcc, s29, v52
	v_ashrrev_i32_e32 v49, 31, v48
	v_lshl_add_u64 v[48:49], v[48:49], 2, s[8:9]
	v_cndmask_b32_e32 v22, v51, v22, vcc
	v_ashrrev_i32_e32 v23, 31, v22
	v_lshl_add_u64 v[22:23], v[22:23], 2, s[8:9]
	global_load_dword v55, v[48:49], off
	global_load_dword v72, v[22:23], off
	s_waitcnt vmcnt(3)
	v_mfma_f32_16x16x16_f16 v[68:71], v[34:35], v[38:39], 0
	v_or_b32_e32 v48, 0xc0, v46
	v_add_u32_e32 v52, s11, v48
	s_add_u32 s4, s6, s4
	v_mfma_f32_16x16x16_f16 v[60:63], v[26:27], v[38:39], 0
	s_addc_u32 s5, s7, s5
	s_load_dword s10, s[0:1], 0x1c
	s_mov_b32 s33, 0xff7fffff
	v_mfma_f32_16x16x16_f16 v[64:67], v[30:31], v[38:39], 0
	v_and_b32_e32 v31, 0xc0, v0
	v_or_b32_e32 v38, 0x80, v46
	v_add_u32_e32 v34, s14, v31
	v_mfma_f32_16x16x16_f16 v[22:25], v[24:25], v[40:41], v[56:59]
	v_and_b32_e32 v30, 16, v0
	v_add_u32_e32 v49, s11, v38
	v_lshlrev_b32_e32 v46, 1, v30
	v_lshl_or_b32 v56, v54, 2, v34
	v_mfma_f32_16x16x16_f16 v[34:37], v[36:37], v[40:41], v[68:71]
	v_cmp_gt_i32_e32 vcc, s29, v38
	v_lshlrev_b32_e32 v39, 6, v44
	v_or_b32_e32 v57, 1, v56
	v_mfma_f32_16x16x16_f16 v[26:29], v[28:29], v[40:41], v[60:63]
	v_cmp_gt_i32_e64 s[34:35], s29, v57
	v_mfma_f32_16x16x16_f16 v[30:33], v[32:33], v[40:41], v[64:67]
	v_ashrrev_i32_e32 v40, 5, v49
	v_ashrrev_i32_e32 v41, 5, v52
	v_cndmask_b32_e32 v38, v51, v40, vcc
	v_cmp_gt_i32_e32 vcc, s29, v48
	s_waitcnt lgkmcnt(0)
	v_mfma_f32_16x16x16_f16 v[22:25], v[2:3], v[18:19], v[22:25]
	v_lshl_add_u64 v[2:3], s[4:5], 0, v[46:47]
	v_cndmask_b32_e32 v40, v51, v41, vcc
	v_lshl_or_b32 v46, v1, 10, v39
	v_ashrrev_i32_e32 v39, 31, v38
	v_ashrrev_i32_e32 v41, 31, v40
	s_waitcnt vmcnt(2)
	v_mfma_f32_16x16x16_f16 v[34:37], v[14:15], v[18:19], v[34:37]
	v_lshl_add_u64 v[14:15], v[38:39], 2, s[8:9]
	v_subrev_u32_e32 v51, s29, v57
	v_cvt_f32_i32_e32 v58, v51
	v_mfma_f32_16x16x16_f16 v[26:29], v[6:7], v[18:19], v[26:29]
	v_mfma_f32_16x16x16_f16 v[30:33], v[10:11], v[18:19], v[30:33]
	v_lshl_add_u64 v[18:19], v[40:41], 2, s[8:9]
	global_load_dword v59, v[14:15], off
	global_load_dword v60, v[18:19], off
	v_lshl_add_u64 v[10:11], v[2:3], 0, v[46:47]
	v_mfma_f32_16x16x16_f16 v[2:5], v[4:5], v[20:21], v[22:25]
	v_add_u32_e32 v46, 1, v51
	v_add_u32_e32 v47, 3, v51
	;; [unrolled: 1-line block ×3, first 2 shown]
	v_mfma_f32_16x16x16_f16 v[14:17], v[16:17], v[20:21], v[34:37]
	v_add_u32_e32 v22, 2, v51
	s_nop 1
	v_pk_mul_f32 v[52:53], s[10:11], v[4:5] op_sel_hi:[0,1]
	v_cvt_f32_i32_e32 v18, v18
	v_mfma_f32_16x16x16_f16 v[6:9], v[8:9], v[20:21], v[26:29]
	v_add_u32_e32 v19, 19, v51
	v_pk_mul_f32 v[34:35], s[10:11], v[16:17] op_sel_hi:[0,1]
	v_pk_mul_f32 v[36:37], s[10:11], v[14:15] op_sel_hi:[0,1]
	v_cvt_f32_i32_e32 v27, v22
	v_mfma_f32_16x16x16_f16 v[22:25], v[12:13], v[20:21], v[30:33]
	v_pk_mul_f32 v[12:13], s[10:11], v[2:3] op_sel_hi:[0,1]
	v_cvt_f32_i32_e32 v26, v46
	v_cvt_f32_i32_e32 v28, v47
	v_pk_mul_f32 v[46:47], s[10:11], v[8:9] op_sel_hi:[0,1]
	v_pk_mul_f32 v[48:49], s[10:11], v[6:7] op_sel_hi:[0,1]
	v_cvt_f32_i32_e32 v19, v19
	v_fma_f32 v46, v50, v18, v46
	v_add_u32_e32 v18, 34, v51
	v_cvt_f32_i32_e32 v18, v18
	v_fmac_f32_e32 v47, v50, v19
	v_add_u32_e32 v19, 35, v51
	v_cvt_f32_i32_e32 v19, v19
	v_pk_mul_f32 v[40:41], s[10:11], v[22:23] op_sel_hi:[0,1]
	v_pk_mul_f32 v[38:39], s[10:11], v[24:25] op_sel_hi:[0,1]
	v_fma_f32 v38, v50, v18, v38
	v_add_u32_e32 v18, 50, v51
	s_waitcnt vmcnt(3)
	v_mad_i64_i32 v[2:3], s[4:5], v55, s45, 0
	s_waitcnt vmcnt(2)
	v_mad_i64_i32 v[4:5], s[4:5], v72, s45, 0
	v_lshl_add_u64 v[16:17], v[2:3], 1, v[10:11]
	v_lshl_add_u64 v[14:15], v[4:5], 1, v[10:11]
	global_load_dwordx4 v[6:9], v[16:17], off
	global_load_dwordx4 v[2:5], v[16:17], off offset:16
	v_add_u32_e32 v16, 16, v51
	v_cvt_f32_i32_e32 v16, v16
	v_add_u32_e32 v17, 17, v51
	v_cvt_f32_i32_e32 v17, v17
	v_fmac_f32_e32 v39, v50, v19
	v_fma_f32 v48, v50, v16, v48
	v_add_u32_e32 v16, 32, v51
	v_fmac_f32_e32 v49, v50, v17
	v_cvt_f32_i32_e32 v16, v16
	v_add_u32_e32 v17, 33, v51
	v_cvt_f32_i32_e32 v17, v17
	v_cvt_f32_i32_e32 v18, v18
	v_fma_f32 v40, v50, v16, v40
	v_add_u32_e32 v16, 48, v51
	v_fmac_f32_e32 v41, v50, v17
	v_cvt_f32_i32_e32 v16, v16
	v_add_u32_e32 v17, 49, v51
	v_cvt_f32_i32_e32 v17, v17
	v_add_u32_e32 v19, 51, v51
	v_cvt_f32_i32_e32 v19, v19
	v_fma_f32 v12, v50, v58, v12
	v_fmac_f32_e32 v13, v50, v26
	v_fma_f32 v36, v50, v16, v36
	v_mov_b32_e32 v16, 0xff7fffff
	v_cmp_gt_i32_e64 s[4:5], s29, v56
	v_fmac_f32_e32 v37, v50, v17
	v_fma_f32 v34, v50, v18, v34
	v_cndmask_b32_e64 v17, v16, v12, s[4:5]
	v_cndmask_b32_e64 v18, v16, v13, s[34:35]
	v_fmac_f32_e32 v35, v50, v19
	v_max3_f32 v17, v17, s33, v18
	v_or_b32_e32 v18, 2, v56
	v_or_b32_e32 v19, 3, v56
	v_fma_f32 v52, v50, v27, v52
	v_fmac_f32_e32 v53, v50, v28
	v_cmp_gt_i32_e64 s[36:37], s29, v18
	v_cmp_gt_i32_e64 s[38:39], s29, v19
	global_load_dwordx4 v[30:33], v[14:15], off
	global_load_dwordx4 v[26:29], v[14:15], off offset:16
	v_cndmask_b32_e64 v18, v16, v52, s[36:37]
	v_cndmask_b32_e64 v19, v16, v53, s[38:39]
	v_max3_f32 v17, v17, v18, v19
	v_or_b32_e32 v18, 16, v56
	v_or_b32_e32 v19, 17, v56
	v_cmp_gt_i32_e64 s[24:25], s29, v18
	v_cmp_gt_i32_e64 s[26:27], s29, v19
	s_nop 0
	v_cndmask_b32_e64 v18, v16, v48, s[24:25]
	v_cndmask_b32_e64 v19, v16, v49, s[26:27]
	v_max3_f32 v17, v17, v18, v19
	v_or_b32_e32 v18, 18, v56
	v_or_b32_e32 v19, 19, v56
	v_cmp_gt_i32_e64 s[20:21], s29, v18
	v_cmp_gt_i32_e64 s[22:23], s29, v19
	s_nop 0
	;; [unrolled: 8-line block ×5, first 2 shown]
	v_cndmask_b32_e64 v18, v16, v36, s[8:9]
	v_cndmask_b32_e64 v19, v16, v37, s[10:11]
	v_max3_f32 v17, v17, v18, v19
	v_or_b32_e32 v18, 50, v56
	v_or_b32_e32 v19, 51, v56
	v_cmp_gt_i32_e32 vcc, s29, v18
	v_cmp_gt_i32_e64 s[6:7], s29, v19
	s_nop 0
	v_cndmask_b32_e32 v18, v16, v34, vcc
	v_cndmask_b32_e64 v16, v16, v35, s[6:7]
	v_max3_f32 v16, v17, v18, v16
	v_mbcnt_lo_u32_b32 v17, -1, 0
	v_mbcnt_hi_u32_b32 v17, -1, v17
	v_and_b32_e32 v18, 64, v17
	v_add_u32_e32 v18, 64, v18
	v_xor_b32_e32 v19, 32, v17
	v_cmp_lt_i32_e64 s[40:41], v19, v18
	s_nop 1
	v_cndmask_b32_e64 v19, v17, v19, s[40:41]
	v_lshlrev_b32_e32 v56, 2, v19
	ds_bpermute_b32 v19, v56, v16
	s_waitcnt vmcnt(5)
	v_mad_i64_i32 v[14:15], s[40:41], v59, s45, 0
	v_lshl_add_u64 v[14:15], v[14:15], 1, v[10:11]
	s_waitcnt lgkmcnt(0)
	v_max_f32_e32 v19, v19, v19
	v_max_f32_e32 v16, v16, v19
	v_xor_b32_e32 v19, 16, v17
	v_cmp_lt_i32_e64 s[40:41], v19, v18
	s_nop 1
	v_cndmask_b32_e64 v17, v17, v19, s[40:41]
	v_lshlrev_b32_e32 v57, 2, v17
	ds_bpermute_b32 v17, v57, v16
	global_load_dwordx4 v[22:25], v[14:15], off
	global_load_dwordx4 v[18:21], v[14:15], off offset:16
	s_waitcnt vmcnt(6)
	v_mad_i64_i32 v[14:15], s[40:41], v60, s45, 0
	v_lshl_add_u64 v[10:11], v[14:15], 1, v[10:11]
	s_waitcnt lgkmcnt(0)
	v_max_f32_e32 v14, v17, v17
	v_max_f32_e32 v55, v16, v14
	v_sub_f32_e32 v12, v12, v55
	v_mul_f32_e32 v12, 0x3fb8aa3b, v12
	v_exp_f32_e32 v50, v12
	v_sub_f32_e32 v12, v13, v55
	v_mul_f32_e32 v12, 0x3fb8aa3b, v12
	v_exp_f32_e32 v51, v12
	global_load_dwordx4 v[14:17], v[10:11], off
	s_nop 0
	global_load_dwordx4 v[10:13], v[10:11], off offset:16
	v_sub_f32_e32 v52, v52, v55
	v_mul_f32_e32 v52, 0x3fb8aa3b, v52
	v_sub_f32_e32 v53, v53, v55
	v_exp_f32_e32 v52, v52
	v_mul_f32_e32 v53, 0x3fb8aa3b, v53
	v_sub_f32_e32 v48, v48, v55
	v_exp_f32_e32 v53, v53
	v_mul_f32_e32 v48, 0x3fb8aa3b, v48
	v_sub_f32_e32 v49, v49, v55
	v_cndmask_b32_e64 v50, 0, v50, s[4:5]
	v_exp_f32_e32 v48, v48
	v_mul_f32_e32 v49, 0x3fb8aa3b, v49
	v_sub_f32_e32 v46, v46, v55
	v_add_f32_e32 v58, 0, v50
	v_cndmask_b32_e64 v51, 0, v51, s[34:35]
	v_exp_f32_e32 v49, v49
	v_mul_f32_e32 v46, 0x3fb8aa3b, v46
	v_sub_f32_e32 v47, v47, v55
	v_add_f32_e32 v58, v58, v51
	;; [unrolled: 5-line block ×10, first 2 shown]
	v_cndmask_b32_e64 v38, 0, v38, s[12:13]
	v_exp_f32_e32 v34, v34
	v_mul_f32_e32 v35, 0x3fb8aa3b, v35
	v_add_f32_e32 v58, v58, v38
	v_cndmask_b32_e64 v39, 0, v39, s[14:15]
	v_exp_f32_e32 v35, v35
	v_add_f32_e32 v58, v58, v39
	v_cndmask_b32_e64 v36, 0, v36, s[8:9]
	v_add_f32_e32 v58, v58, v36
	v_cndmask_b32_e64 v37, 0, v37, s[10:11]
	v_add_f32_e32 v58, v58, v37
	v_cndmask_b32_e32 v34, 0, v34, vcc
	v_add_f32_e32 v58, v58, v34
	v_cndmask_b32_e64 v35, 0, v35, s[6:7]
	v_add_f32_e32 v58, v58, v35
	ds_bpermute_b32 v56, v56, v58
	s_load_dword s7, s[0:1], 0x98
	v_cmp_gt_u32_e32 vcc, 16, v45
	v_lshlrev_b32_e32 v45, 2, v44
	s_waitcnt lgkmcnt(0)
	v_add_f32_e32 v56, v58, v56
	ds_bpermute_b32 v57, v57, v56
	s_barrier
	s_waitcnt lgkmcnt(0)
	s_and_saveexec_b64 s[4:5], vcc
	s_cbranch_execz .LBB118_17
; %bb.16:
	v_add_f32_e32 v56, v56, v57
	v_lshl_or_b32 v57, v1, 6, v45
	ds_write2st64_b32 v57, v55, v56 offset1:1
.LBB118_17:
	s_or_b64 exec, exec, s[4:5]
	s_load_dword s6, s[0:1], 0x94
	s_waitcnt lgkmcnt(0)
	s_barrier
	ds_read2_b32 v[56:57], v45 offset1:16
	ds_read2_b32 v[58:59], v45 offset0:32 offset1:48
	ds_read2_b32 v[60:61], v45 offset0:64 offset1:80
	;; [unrolled: 1-line block ×3, first 2 shown]
	s_waitcnt lgkmcnt(0)
	v_max3_f32 v55, v56, s33, v57
	v_max3_f32 v55, v55, v58, v59
	v_sub_f32_e32 v56, v56, v55
	v_mul_f32_e32 v56, 0x3fb8aa3b, v56
	v_exp_f32_e32 v64, v56
	v_sub_f32_e32 v56, v57, v55
	v_mul_f32_e32 v56, 0x3fb8aa3b, v56
	v_exp_f32_e32 v57, v56
	v_sub_f32_e32 v56, v58, v55
	v_mul_f32_e32 v56, 0x3fb8aa3b, v56
	v_sub_f32_e32 v45, v59, v55
	v_exp_f32_e32 v58, v56
	v_mul_f32_e32 v45, 0x3fb8aa3b, v45
	v_exp_f32_e32 v45, v45
	v_fma_f32 v56, v64, v60, 0
	v_fmac_f32_e32 v56, v57, v61
	v_fmac_f32_e32 v56, v58, v62
	;; [unrolled: 1-line block ×3, first 2 shown]
	v_add_f32_e32 v59, 0x358637bd, v56
	v_div_scale_f32 v60, s[4:5], v59, v59, 1.0
	v_rcp_f32_e32 v61, v60
	s_barrier
	s_mul_i32 s7, s7, 7
	v_fma_f32 v62, -v60, v61, 1.0
	v_fmac_f32_e32 v61, v62, v61
	v_div_scale_f32 v62, vcc, 1.0, v59, 1.0
	v_mul_f32_e32 v63, v62, v61
	v_fma_f32 v65, -v60, v63, v62
	v_fmac_f32_e32 v63, v65, v61
	v_fma_f32 v60, -v60, v63, v62
	v_div_fmas_f32 v60, v60, v61, v63
	v_cmp_eq_u32_e32 vcc, 1, v1
	v_div_fixup_f32 v59, v60, v59, 1.0
	s_nop 0
	v_cndmask_b32_e32 v57, v64, v57, vcc
	v_cmp_eq_u32_e32 vcc, 2, v1
	s_nop 1
	v_cndmask_b32_e32 v57, v57, v58, vcc
	v_cmp_eq_u32_e32 vcc, 3, v1
	v_lshlrev_b32_e32 v1, 11, v1
	s_nop 0
	v_cndmask_b32_e32 v45, v57, v45, vcc
	v_mul_f32_e32 v58, v45, v59
	v_pk_mul_f32 v[52:53], v[58:59], v[52:53] op_sel_hi:[0,1]
	v_pk_mul_f32 v[50:51], v[58:59], v[50:51] op_sel_hi:[0,1]
	v_cvt_f16_f32_e32 v45, v50
	v_cvt_f16_f32_e32 v50, v51
	;; [unrolled: 1-line block ×4, first 2 shown]
	v_pk_mul_f32 v[46:47], v[58:59], v[46:47] op_sel_hi:[0,1]
	v_pk_mul_f32 v[48:49], v[58:59], v[48:49] op_sel_hi:[0,1]
	v_cvt_f16_f32_e32 v48, v48
	v_pack_b32_f16 v53, v51, v53
	v_cvt_f16_f32_e32 v49, v49
	v_cvt_f16_f32_e32 v51, v46
	;; [unrolled: 1-line block ×3, first 2 shown]
	v_pack_b32_f16 v52, v45, v50
	v_lshlrev_b32_e32 v45, 3, v54
	v_lshlrev_b32_e32 v50, 5, v44
	v_or3_b32 v1, v1, v50, v45
	v_pack_b32_f16 v46, v48, v49
	v_pack_b32_f16 v47, v51, v47
	v_pk_mul_f32 v[38:39], v[58:59], v[38:39] op_sel_hi:[0,1]
	v_pk_mul_f32 v[40:41], v[58:59], v[40:41] op_sel_hi:[0,1]
	v_pk_mul_f32 v[34:35], v[58:59], v[34:35] op_sel_hi:[0,1]
	v_pk_mul_f32 v[36:37], v[58:59], v[36:37] op_sel_hi:[0,1]
	ds_write2st64_b64 v1, v[52:53], v[46:47] offset1:1
	v_cvt_f16_f32_e32 v40, v40
	v_cvt_f16_f32_e32 v41, v41
	;; [unrolled: 1-line block ×8, first 2 shown]
	v_pack_b32_f16 v34, v40, v41
	v_pack_b32_f16 v35, v38, v39
	;; [unrolled: 1-line block ×4, first 2 shown]
	v_cmp_gt_u32_e32 vcc, 7, v0
	ds_write2st64_b64 v1, v[34:35], v[36:37] offset0:2 offset1:3
	s_and_saveexec_b64 s[4:5], vcc
	s_cbranch_execz .LBB118_19
; %bb.18:
	s_mov_b32 s43, 0
	v_mov_b32_e32 v45, 0
	v_lshl_add_u64 v[34:35], s[42:43], 0, v[44:45]
	v_mov_b32_e32 v36, s7
	v_mad_u64_u32 v[34:35], s[12:13], s2, v36, v[34:35]
	s_mul_i32 s3, s3, s7
	v_mov_b32_e32 v44, s28
	s_load_dwordx4 s[8:11], s[0:1], 0x58
	v_add_u32_e32 v37, s3, v35
	v_mad_u64_u32 v[34:35], s[12:13], v34, s6, v[44:45]
	v_mov_b32_e32 v36, v35
	v_mad_u64_u32 v[36:37], s[12:13], v37, s6, v[36:37]
	v_mov_b32_e32 v35, v36
	v_lshlrev_b64 v[34:35], 2, v[34:35]
	s_waitcnt lgkmcnt(0)
	v_lshl_add_u64 v[36:37], s[10:11], 0, v[34:35]
	v_lshl_add_u64 v[34:35], s[8:9], 0, v[34:35]
	global_store_dword v[36:37], v55, off
	global_store_dword v[34:35], v56, off
.LBB118_19:
	s_or_b64 exec, exec, s[4:5]
	v_lshl_or_b32 v48, v54, 9, v50
	s_waitcnt lgkmcnt(0)
	s_barrier
	ds_read_b128 v[34:37], v48
	ds_read_b128 v[38:41], v48 offset:16
	s_waitcnt vmcnt(7) lgkmcnt(1)
	v_mfma_f32_16x16x16_f16 v[44:47], v[6:7], v[34:35], 0
	v_cmp_gt_u32_e32 vcc, 64, v0
	s_mov_b32 s3, 0
	s_and_b64 s[4:5], vcc, s[30:31]
	v_mfma_f32_16x16x16_f16 v[6:9], v[8:9], v[36:37], v[44:47]
	s_waitcnt vmcnt(6) lgkmcnt(0)
	v_mfma_f32_16x16x16_f16 v[6:9], v[2:3], v[38:39], v[6:9]
	v_mfma_f32_16x16x16_f16 v[2:5], v[4:5], v[40:41], v[6:9]
	s_nop 5
	ds_read_b128 v[6:9], v48 offset:2048
	ds_read_b128 v[34:37], v48 offset:2064
	s_waitcnt vmcnt(5) lgkmcnt(1)
	v_mfma_f32_16x16x16_f16 v[2:5], v[30:31], v[6:7], v[2:5]
	v_mfma_f32_16x16x16_f16 v[2:5], v[32:33], v[8:9], v[2:5]
	s_waitcnt vmcnt(4) lgkmcnt(0)
	v_mfma_f32_16x16x16_f16 v[2:5], v[26:27], v[34:35], v[2:5]
	v_mfma_f32_16x16x16_f16 v[2:5], v[28:29], v[36:37], v[2:5]
	ds_read_b128 v[6:9], v48 offset:4096
	ds_read_b128 v[26:29], v48 offset:4112
	s_waitcnt vmcnt(3) lgkmcnt(1)
	v_mfma_f32_16x16x16_f16 v[2:5], v[22:23], v[6:7], v[2:5]
	v_mfma_f32_16x16x16_f16 v[2:5], v[24:25], v[8:9], v[2:5]
	s_waitcnt vmcnt(2) lgkmcnt(0)
	v_mfma_f32_16x16x16_f16 v[2:5], v[18:19], v[26:27], v[2:5]
	v_mfma_f32_16x16x16_f16 v[2:5], v[20:21], v[28:29], v[2:5]
	ds_read_b128 v[6:9], v48 offset:6144
	ds_read_b128 v[18:21], v48 offset:6160
	s_waitcnt lgkmcnt(0)
	s_barrier
	s_waitcnt vmcnt(1)
	v_mfma_f32_16x16x16_f16 v[2:5], v[14:15], v[6:7], v[2:5]
	v_mfma_f32_16x16x16_f16 v[2:5], v[16:17], v[8:9], v[2:5]
	s_waitcnt vmcnt(0)
	v_mfma_f32_16x16x16_f16 v[2:5], v[10:11], v[18:19], v[2:5]
	v_mfma_f32_16x16x16_f16 v[2:5], v[12:13], v[20:21], v[2:5]
	s_nop 6
	v_cvt_f16_f32_e32 v2, v2
	v_cvt_f16_f32_e32 v3, v3
	;; [unrolled: 1-line block ×4, first 2 shown]
	v_pack_b32_f16 v2, v2, v3
	v_pack_b32_f16 v3, v4, v5
	ds_write_b64 v1, v[2:3]
	s_waitcnt lgkmcnt(0)
	s_barrier
	s_and_saveexec_b64 s[8:9], s[4:5]
	s_cbranch_execz .LBB118_22
; %bb.20:
	s_load_dwordx2 s[4:5], s[0:1], 0x68
	s_lshl_b32 s0, s6, 6
	s_mul_i32 s1, s7, s2
	s_mul_hi_u32 s7, s1, s0
	s_mul_i32 s6, s1, s0
	v_lshlrev_b32_e32 v1, 10, v0
	v_lshlrev_b32_e32 v0, 4, v0
	s_lshl_b64 s[6:7], s[6:7], 1
	v_and_b32_e32 v1, 0x1800, v1
	v_lshlrev_b32_e32 v2, 5, v54
	v_and_b32_e32 v0, 16, v0
	s_waitcnt lgkmcnt(0)
	s_add_u32 s1, s4, s6
	v_or3_b32 v2, v1, v2, v0
	s_addc_u32 s4, s5, s7
	s_lshl_b32 s2, s28, 6
	s_lshl_b64 s[2:3], s[2:3], 1
	ds_read_b128 v[4:7], v2
	s_add_u32 s2, s1, s2
	s_addc_u32 s3, s4, s3
	v_add_u32_e32 v3, s42, v54
	v_lshl_add_u64 v[0:1], v[42:43], 1, s[2:3]
	v_mad_u64_u32 v[8:9], s[2:3], v3, s0, 0
	v_lshl_add_u64 v[8:9], v[8:9], 1, v[0:1]
	v_cmp_ne_u32_e32 vcc, 3, v54
	s_waitcnt lgkmcnt(0)
	global_store_dwordx4 v[8:9], v[4:7], off
	s_and_b64 exec, exec, vcc
	s_cbranch_execz .LBB118_22
; %bb.21:
	ds_read_b128 v[2:5], v2 offset:128
	v_add3_u32 v6, s42, v54, 4
	v_mad_u64_u32 v[6:7], s[0:1], v6, s0, 0
	v_lshl_add_u64 v[0:1], v[6:7], 1, v[0:1]
	s_waitcnt lgkmcnt(0)
	global_store_dwordx4 v[0:1], v[2:5], off
.LBB118_22:
	s_endpgm
	.section	.rodata,"a",@progbits
	.p2align	6, 0x0
	.amdhsa_kernel _Z39paged_attention_ll4mi_QKV_mfma16_kernelIDF16_DF16_LN4vllm18Fp8KVCacheDataTypeE0EhLi32ELi64ELi256ELb1ELi7EEvPKT_PKT0_S7_ifPKiS9_S9_iPKfiiiPfSC_PS2_PT2_iSB_SB_
		.amdhsa_group_segment_fixed_size 8192
		.amdhsa_private_segment_fixed_size 0
		.amdhsa_kernarg_size 400
		.amdhsa_user_sgpr_count 2
		.amdhsa_user_sgpr_dispatch_ptr 0
		.amdhsa_user_sgpr_queue_ptr 0
		.amdhsa_user_sgpr_kernarg_segment_ptr 1
		.amdhsa_user_sgpr_dispatch_id 0
		.amdhsa_user_sgpr_kernarg_preload_length 0
		.amdhsa_user_sgpr_kernarg_preload_offset 0
		.amdhsa_user_sgpr_private_segment_size 0
		.amdhsa_uses_dynamic_stack 0
		.amdhsa_enable_private_segment 0
		.amdhsa_system_sgpr_workgroup_id_x 1
		.amdhsa_system_sgpr_workgroup_id_y 1
		.amdhsa_system_sgpr_workgroup_id_z 1
		.amdhsa_system_sgpr_workgroup_info 0
		.amdhsa_system_vgpr_workitem_id 0
		.amdhsa_next_free_vgpr 73
		.amdhsa_next_free_sgpr 48
		.amdhsa_accum_offset 76
		.amdhsa_reserve_vcc 1
		.amdhsa_float_round_mode_32 0
		.amdhsa_float_round_mode_16_64 0
		.amdhsa_float_denorm_mode_32 3
		.amdhsa_float_denorm_mode_16_64 3
		.amdhsa_dx10_clamp 1
		.amdhsa_ieee_mode 1
		.amdhsa_fp16_overflow 0
		.amdhsa_tg_split 0
		.amdhsa_exception_fp_ieee_invalid_op 0
		.amdhsa_exception_fp_denorm_src 0
		.amdhsa_exception_fp_ieee_div_zero 0
		.amdhsa_exception_fp_ieee_overflow 0
		.amdhsa_exception_fp_ieee_underflow 0
		.amdhsa_exception_fp_ieee_inexact 0
		.amdhsa_exception_int_div_zero 0
	.end_amdhsa_kernel
	.section	.text._Z39paged_attention_ll4mi_QKV_mfma16_kernelIDF16_DF16_LN4vllm18Fp8KVCacheDataTypeE0EhLi32ELi64ELi256ELb1ELi7EEvPKT_PKT0_S7_ifPKiS9_S9_iPKfiiiPfSC_PS2_PT2_iSB_SB_,"axG",@progbits,_Z39paged_attention_ll4mi_QKV_mfma16_kernelIDF16_DF16_LN4vllm18Fp8KVCacheDataTypeE0EhLi32ELi64ELi256ELb1ELi7EEvPKT_PKT0_S7_ifPKiS9_S9_iPKfiiiPfSC_PS2_PT2_iSB_SB_,comdat
.Lfunc_end118:
	.size	_Z39paged_attention_ll4mi_QKV_mfma16_kernelIDF16_DF16_LN4vllm18Fp8KVCacheDataTypeE0EhLi32ELi64ELi256ELb1ELi7EEvPKT_PKT0_S7_ifPKiS9_S9_iPKfiiiPfSC_PS2_PT2_iSB_SB_, .Lfunc_end118-_Z39paged_attention_ll4mi_QKV_mfma16_kernelIDF16_DF16_LN4vllm18Fp8KVCacheDataTypeE0EhLi32ELi64ELi256ELb1ELi7EEvPKT_PKT0_S7_ifPKiS9_S9_iPKfiiiPfSC_PS2_PT2_iSB_SB_
                                        ; -- End function
	.section	.AMDGPU.csdata,"",@progbits
; Kernel info:
; codeLenInByte = 4156
; NumSgprs: 54
; NumVgprs: 73
; NumAgprs: 0
; TotalNumVgprs: 73
; ScratchSize: 0
; MemoryBound: 0
; FloatMode: 240
; IeeeMode: 1
; LDSByteSize: 8192 bytes/workgroup (compile time only)
; SGPRBlocks: 6
; VGPRBlocks: 9
; NumSGPRsForWavesPerEU: 54
; NumVGPRsForWavesPerEU: 73
; AccumOffset: 76
; Occupancy: 6
; WaveLimiterHint : 1
; COMPUTE_PGM_RSRC2:SCRATCH_EN: 0
; COMPUTE_PGM_RSRC2:USER_SGPR: 2
; COMPUTE_PGM_RSRC2:TRAP_HANDLER: 0
; COMPUTE_PGM_RSRC2:TGID_X_EN: 1
; COMPUTE_PGM_RSRC2:TGID_Y_EN: 1
; COMPUTE_PGM_RSRC2:TGID_Z_EN: 1
; COMPUTE_PGM_RSRC2:TIDIG_COMP_CNT: 0
; COMPUTE_PGM_RSRC3_GFX90A:ACCUM_OFFSET: 18
; COMPUTE_PGM_RSRC3_GFX90A:TG_SPLIT: 0
	.section	.text._Z39paged_attention_ll4mi_QKV_mfma16_kernelIDF16_DF16_LN4vllm18Fp8KVCacheDataTypeE0EhLi32ELi64ELi256ELb1ELi8EEvPKT_PKT0_S7_ifPKiS9_S9_iPKfiiiPfSC_PS2_PT2_iSB_SB_,"axG",@progbits,_Z39paged_attention_ll4mi_QKV_mfma16_kernelIDF16_DF16_LN4vllm18Fp8KVCacheDataTypeE0EhLi32ELi64ELi256ELb1ELi8EEvPKT_PKT0_S7_ifPKiS9_S9_iPKfiiiPfSC_PS2_PT2_iSB_SB_,comdat
	.protected	_Z39paged_attention_ll4mi_QKV_mfma16_kernelIDF16_DF16_LN4vllm18Fp8KVCacheDataTypeE0EhLi32ELi64ELi256ELb1ELi8EEvPKT_PKT0_S7_ifPKiS9_S9_iPKfiiiPfSC_PS2_PT2_iSB_SB_ ; -- Begin function _Z39paged_attention_ll4mi_QKV_mfma16_kernelIDF16_DF16_LN4vllm18Fp8KVCacheDataTypeE0EhLi32ELi64ELi256ELb1ELi8EEvPKT_PKT0_S7_ifPKiS9_S9_iPKfiiiPfSC_PS2_PT2_iSB_SB_
	.globl	_Z39paged_attention_ll4mi_QKV_mfma16_kernelIDF16_DF16_LN4vllm18Fp8KVCacheDataTypeE0EhLi32ELi64ELi256ELb1ELi8EEvPKT_PKT0_S7_ifPKiS9_S9_iPKfiiiPfSC_PS2_PT2_iSB_SB_
	.p2align	8
	.type	_Z39paged_attention_ll4mi_QKV_mfma16_kernelIDF16_DF16_LN4vllm18Fp8KVCacheDataTypeE0EhLi32ELi64ELi256ELb1ELi8EEvPKT_PKT0_S7_ifPKiS9_S9_iPKfiiiPfSC_PS2_PT2_iSB_SB_,@function
_Z39paged_attention_ll4mi_QKV_mfma16_kernelIDF16_DF16_LN4vllm18Fp8KVCacheDataTypeE0EhLi32ELi64ELi256ELb1ELi8EEvPKT_PKT0_S7_ifPKiS9_S9_iPKfiiiPfSC_PS2_PT2_iSB_SB_: ; @_Z39paged_attention_ll4mi_QKV_mfma16_kernelIDF16_DF16_LN4vllm18Fp8KVCacheDataTypeE0EhLi32ELi64ELi256ELb1ELi8EEvPKT_PKT0_S7_ifPKiS9_S9_iPKfiiiPfSC_PS2_PT2_iSB_SB_
; %bb.0:
	s_load_dwordx2 s[6:7], s[0:1], 0x30
	s_mov_b32 s28, s3
	s_mov_b64 s[8:9], 0
	s_waitcnt lgkmcnt(0)
	s_cmp_lg_u64 s[6:7], 0
	s_cselect_b64 s[10:11], -1, 0
	s_and_b64 vcc, exec, s[10:11]
	s_cbranch_vccz .LBB119_7
; %bb.1:
	s_add_i32 s12, s2, 1
	s_mov_b32 s13, 0
	s_lshl_b64 s[14:15], s[12:13], 2
	s_add_u32 s14, s6, s14
	s_mov_b32 s3, s13
	s_addc_u32 s15, s7, s15
	s_lshl_b64 s[12:13], s[2:3], 2
	s_add_u32 s12, s6, s12
	s_addc_u32 s13, s7, s13
	s_load_dword s5, s[14:15], 0x0
	s_load_dword s16, s[12:13], 0x0
	s_waitcnt lgkmcnt(0)
	s_sub_i32 s5, s5, s16
	s_cmp_eq_u32 s5, 1
	s_cselect_b64 s[12:13], -1, 0
	s_andn2_b64 vcc, exec, s[8:9]
	s_cbranch_vccnz .LBB119_3
.LBB119_2:
	s_mov_b32 s3, 0
	s_mov_b64 s[12:13], -1
.LBB119_3:
	s_andn2_b64 vcc, exec, s[12:13]
	s_cbranch_vccnz .LBB119_21
; %bb.4:
	s_load_dwordx2 s[8:9], s[0:1], 0x28
	s_lshl_b64 s[12:13], s[2:3], 2
	s_waitcnt lgkmcnt(0)
	s_add_u32 s8, s8, s12
	s_addc_u32 s9, s9, s13
	s_load_dword s33, s[8:9], 0x0
	s_lshl_b32 s14, s28, 8
	s_waitcnt lgkmcnt(0)
	s_cmp_ge_i32 s14, s33
	s_cbranch_scc1 .LBB119_21
; %bb.5:
	s_load_dwordx2 s[8:9], s[0:1], 0x20
	s_load_dword s5, s[0:1], 0x38
	s_add_i32 s15, s33, 31
	s_ashr_i32 s16, s15, 31
	v_and_b32_e32 v1, 0xcf, v0
	s_lshr_b32 s16, s16, 27
	v_add_u32_e32 v1, s14, v1
	s_add_i32 s15, s15, s16
	v_ashrrev_i32_e32 v2, 31, v1
	s_ashr_i32 s15, s15, 5
	v_lshrrev_b32_e32 v6, 27, v2
	s_add_i32 s15, s15, -1
	s_waitcnt lgkmcnt(0)
	s_mul_i32 s16, s2, s5
	s_mov_b32 s17, 0
	v_add_u32_e32 v2, v1, v6
	s_lshl_b64 s[16:17], s[16:17], 2
	v_ashrrev_i32_e32 v2, 5, v2
	v_mov_b32_e32 v7, s15
	v_cmp_gt_i32_e32 vcc, s33, v1
	s_add_u32 s8, s8, s16
	s_addc_u32 s9, s9, s17
	v_cndmask_b32_e32 v2, v7, v2, vcc
	v_ashrrev_i32_e32 v3, 31, v2
	v_lshl_add_u64 v[4:5], v[2:3], 2, s[8:9]
	v_or_b32_e32 v2, 16, v1
	v_add_u32_e32 v3, v2, v6
	v_ashrrev_i32_e32 v3, 5, v3
	v_cmp_gt_i32_e32 vcc, s33, v2
	s_nop 1
	v_cndmask_b32_e32 v2, v7, v3, vcc
	v_ashrrev_i32_e32 v3, 31, v2
	v_lshl_add_u64 v[8:9], v[2:3], 2, s[8:9]
	v_or_b32_e32 v2, 32, v1
	v_add_u32_e32 v3, v2, v6
	v_ashrrev_i32_e32 v3, 5, v3
	v_cmp_gt_i32_e32 vcc, s33, v2
	v_or_b32_e32 v1, 48, v1
	s_nop 0
	v_cndmask_b32_e32 v2, v7, v3, vcc
	v_ashrrev_i32_e32 v3, 31, v2
	v_lshl_add_u64 v[12:13], v[2:3], 2, s[8:9]
	v_add_u32_e32 v2, v1, v6
	v_ashrrev_i32_e32 v2, 5, v2
	v_cmp_gt_i32_e32 vcc, s33, v1
	s_nop 1
	v_cndmask_b32_e32 v2, v7, v2, vcc
	v_ashrrev_i32_e32 v3, 31, v2
	v_lshl_add_u64 v[16:17], v[2:3], 2, s[8:9]
	global_load_dword v2, v[4:5], off
	global_load_dword v6, v[8:9], off
	;; [unrolled: 1-line block ×4, first 2 shown]
	s_andn2_b64 vcc, exec, s[10:11]
	s_cbranch_vccnz .LBB119_8
; %bb.6:
	s_add_u32 s6, s6, s12
	s_addc_u32 s7, s7, s13
	s_load_dword s5, s[6:7], 0x0
	s_branch .LBB119_9
.LBB119_7:
	s_mov_b64 s[12:13], 0
	s_branch .LBB119_2
.LBB119_8:
	s_mov_b32 s5, s2
.LBB119_9:
	s_load_dwordx2 s[10:11], s[0:1], 0x8
	s_load_dwordx4 s[44:47], s[0:1], 0x48
	v_and_b32_e32 v52, 15, v0
	s_movk_i32 s6, 0x7f
	v_cmp_lt_u32_e32 vcc, s6, v0
	v_cmp_lt_u32_e64 s[6:7], 7, v52
	v_lshlrev_b32_e32 v42, 3, v52
	v_cmp_gt_u32_e64 s[30:31], 8, v52
	s_or_b64 s[6:7], vcc, s[6:7]
	s_and_saveexec_b64 s[12:13], s[6:7]
	s_xor_b64 s[6:7], exec, s[12:13]
; %bb.10:
	v_mov_b32_e32 v43, 0
; %bb.11:
	s_or_saveexec_b64 s[12:13], s[6:7]
	s_load_dwordx2 s[6:7], s[0:1], 0x10
	v_lshrrev_b32_e32 v53, 6, v0
	s_lshl_b32 s29, s4, 3
	v_bfe_u32 v1, v0, 4, 2
	s_xor_b64 exec, exec, s[12:13]
	s_cbranch_execz .LBB119_13
; %bb.12:
	s_load_dwordx2 s[16:17], s[0:1], 0x0
	s_waitcnt lgkmcnt(0)
	s_ashr_i32 s18, s44, 31
	s_mul_hi_u32 s19, s5, s44
	s_mul_i32 s18, s5, s18
	s_add_i32 s19, s19, s18
	s_mul_i32 s18, s5, s44
	v_lshl_or_b32 v3, v53, 2, v1
	s_lshl_b64 s[18:19], s[18:19], 1
	s_add_u32 s16, s16, s18
	v_add_lshl_u32 v4, v3, s29, 6
	s_addc_u32 s17, s17, s19
	v_ashrrev_i32_e32 v5, 31, v4
	v_mov_b32_e32 v43, 0
	v_lshl_add_u64 v[4:5], v[4:5], 1, s[16:17]
	v_lshlrev_b32_e32 v8, 1, v42
	v_mov_b32_e32 v9, v43
	v_lshl_add_u64 v[4:5], v[4:5], 0, v[8:9]
	global_load_dwordx4 v[16:19], v[4:5], off
	v_and_b32_e32 v4, 3, v0
	v_lshlrev_b32_e32 v5, 9, v52
	v_lshlrev_b32_e32 v3, 5, v3
	;; [unrolled: 1-line block ×3, first 2 shown]
	v_and_b32_e32 v5, 0x1800, v5
	v_or3_b32 v3, v5, v4, v3
	s_waitcnt vmcnt(0)
	ds_write_b128 v3, v[16:19]
.LBB119_13:
	s_or_b64 exec, exec, s[12:13]
	s_waitcnt lgkmcnt(0)
	s_mul_i32 s4, s4, s46
	s_mov_b32 s5, 0
	s_lshl_b64 s[4:5], s[4:5], 1
	s_add_u32 s10, s10, s4
	s_addc_u32 s11, s11, s5
	s_waitcnt vmcnt(3)
	v_mad_i64_i32 v[2:3], s[12:13], v2, s45, 0
	v_lshl_add_u64 v[2:3], v[2:3], 1, s[10:11]
	v_lshlrev_b64 v[12:13], 1, v[42:43]
	v_lshlrev_b32_e32 v44, 9, v1
	v_lshl_add_u64 v[2:3], v[2:3], 0, v[12:13]
	v_mov_b32_e32 v45, 0
	v_lshl_add_u64 v[8:9], v[2:3], 0, v[44:45]
	s_barrier
	global_load_dwordx4 v[22:25], v[8:9], off
	global_load_dwordx4 v[2:5], v[8:9], off offset:2048
	s_waitcnt vmcnt(4)
	v_mad_i64_i32 v[6:7], s[12:13], v6, s45, 0
	v_mov_b32_e32 v8, 0x100
	v_lshl_add_u64 v[6:7], v[6:7], 1, s[10:11]
	v_lshl_or_b32 v16, v52, 4, v8
	v_mov_b32_e32 v17, v45
	s_waitcnt vmcnt(3)
	v_mad_i64_i32 v[10:11], s[12:13], v10, s45, 0
	v_lshl_add_u64 v[6:7], v[6:7], 0, v[16:17]
	v_lshl_add_u64 v[10:11], v[10:11], 1, s[10:11]
	s_waitcnt vmcnt(2)
	v_mad_i64_i32 v[14:15], s[12:13], v14, s45, 0
	v_lshl_add_u64 v[18:19], v[6:7], 0, v[44:45]
	v_lshl_add_u64 v[10:11], v[10:11], 0, v[12:13]
	v_lshl_add_u64 v[14:15], v[14:15], 1, s[10:11]
	global_load_dwordx4 v[26:29], v[18:19], off
	global_load_dwordx4 v[6:9], v[18:19], off offset:2048
	v_lshl_add_u64 v[18:19], v[10:11], 0, v[44:45]
	v_lshl_add_u64 v[14:15], v[14:15], 0, v[16:17]
	global_load_dwordx4 v[30:33], v[18:19], off
	global_load_dwordx4 v[10:13], v[18:19], off offset:2048
	v_lshl_add_u64 v[18:19], v[14:15], 0, v[44:45]
	global_load_dwordx4 v[34:37], v[18:19], off
	global_load_dwordx4 v[14:17], v[18:19], off offset:2048
	v_and_b32_e32 v18, 7, v0
	v_lshl_or_b32 v18, v18, 5, v44
	ds_read_b128 v[38:41], v18
	ds_read_b128 v[18:21], v18 offset:2048
	v_and_b32_e32 v54, 63, v0
	v_mov_b32_e32 v48, 0
	s_and_saveexec_b64 s[10:11], s[30:31]
	s_cbranch_execz .LBB119_15
; %bb.14:
	s_load_dwordx2 s[12:13], s[0:1], 0x40
	v_or_b32_e32 v46, s29, v52
	v_ashrrev_i32_e32 v47, 31, v46
	s_waitcnt lgkmcnt(0)
	v_lshl_add_u64 v[46:47], v[46:47], 2, s[12:13]
	global_load_dword v48, v[46:47], off
.LBB119_15:
	s_or_b64 exec, exec, s[10:11]
	s_ashr_i32 s10, s14, 31
	v_and_or_b32 v44, v0, 48, s14
	s_lshr_b32 s11, s10, 27
	v_add_u32_e32 v46, s11, v44
	v_or_b32_e32 v50, 64, v44
	v_ashrrev_i32_e32 v46, 5, v46
	v_mov_b32_e32 v49, s15
	v_cmp_gt_i32_e32 vcc, s33, v44
	v_add_u32_e32 v51, s11, v50
	s_waitcnt vmcnt(7) lgkmcnt(1)
	v_mfma_f32_16x16x16_f16 v[56:59], v[22:23], v[38:39], 0
	v_cndmask_b32_e32 v46, v49, v46, vcc
	v_ashrrev_i32_e32 v22, 5, v51
	v_cmp_gt_i32_e32 vcc, s33, v50
	v_ashrrev_i32_e32 v47, 31, v46
	v_lshl_add_u64 v[46:47], v[46:47], 2, s[8:9]
	v_cndmask_b32_e32 v22, v49, v22, vcc
	v_ashrrev_i32_e32 v23, 31, v22
	v_lshl_add_u64 v[22:23], v[22:23], 2, s[8:9]
	global_load_dword v55, v[46:47], off
	global_load_dword v72, v[22:23], off
	s_waitcnt vmcnt(3)
	v_mfma_f32_16x16x16_f16 v[68:71], v[34:35], v[38:39], 0
	v_or_b32_e32 v46, 0xc0, v44
	v_add_u32_e32 v50, s11, v46
	s_add_u32 s4, s6, s4
	v_mfma_f32_16x16x16_f16 v[60:63], v[26:27], v[38:39], 0
	s_addc_u32 s5, s7, s5
	s_load_dword s10, s[0:1], 0x1c
	s_mov_b32 s42, 0xff7fffff
	v_mfma_f32_16x16x16_f16 v[64:67], v[30:31], v[38:39], 0
	v_and_b32_e32 v31, 0xc0, v0
	v_or_b32_e32 v38, 0x80, v44
	v_add_u32_e32 v34, s14, v31
	v_mfma_f32_16x16x16_f16 v[22:25], v[24:25], v[40:41], v[56:59]
	v_and_b32_e32 v30, 16, v0
	v_add_u32_e32 v47, s11, v38
	v_lshlrev_b32_e32 v44, 1, v30
	v_lshl_or_b32 v56, v1, 2, v34
	v_mfma_f32_16x16x16_f16 v[34:37], v[36:37], v[40:41], v[68:71]
	v_cmp_gt_i32_e32 vcc, s33, v38
	v_lshlrev_b32_e32 v39, 6, v52
	v_or_b32_e32 v57, 1, v56
	v_mfma_f32_16x16x16_f16 v[26:29], v[28:29], v[40:41], v[60:63]
	v_cmp_gt_i32_e64 s[34:35], s33, v57
	v_mfma_f32_16x16x16_f16 v[30:33], v[32:33], v[40:41], v[64:67]
	v_ashrrev_i32_e32 v40, 5, v47
	v_ashrrev_i32_e32 v41, 5, v50
	v_cndmask_b32_e32 v38, v49, v40, vcc
	v_cmp_gt_i32_e32 vcc, s33, v46
	s_waitcnt lgkmcnt(0)
	v_mfma_f32_16x16x16_f16 v[22:25], v[2:3], v[18:19], v[22:25]
	v_lshl_add_u64 v[2:3], s[4:5], 0, v[44:45]
	v_cndmask_b32_e32 v40, v49, v41, vcc
	v_lshl_or_b32 v44, v53, 10, v39
	v_ashrrev_i32_e32 v39, 31, v38
	v_ashrrev_i32_e32 v41, 31, v40
	s_waitcnt vmcnt(2)
	v_mfma_f32_16x16x16_f16 v[34:37], v[14:15], v[18:19], v[34:37]
	v_lshl_add_u64 v[14:15], v[38:39], 2, s[8:9]
	v_subrev_u32_e32 v49, s33, v57
	v_cvt_f32_i32_e32 v58, v49
	v_mfma_f32_16x16x16_f16 v[26:29], v[6:7], v[18:19], v[26:29]
	v_mfma_f32_16x16x16_f16 v[30:33], v[10:11], v[18:19], v[30:33]
	v_lshl_add_u64 v[18:19], v[40:41], 2, s[8:9]
	global_load_dword v59, v[14:15], off
	global_load_dword v60, v[18:19], off
	v_lshl_add_u64 v[10:11], v[2:3], 0, v[44:45]
	v_mfma_f32_16x16x16_f16 v[2:5], v[4:5], v[20:21], v[22:25]
	v_add_u32_e32 v44, 1, v49
	v_add_u32_e32 v45, 3, v49
	v_add_u32_e32 v18, 18, v49
	v_mfma_f32_16x16x16_f16 v[14:17], v[16:17], v[20:21], v[34:37]
	v_add_u32_e32 v22, 2, v49
	s_nop 1
	v_pk_mul_f32 v[50:51], s[10:11], v[4:5] op_sel_hi:[0,1]
	v_cvt_f32_i32_e32 v18, v18
	v_mfma_f32_16x16x16_f16 v[6:9], v[8:9], v[20:21], v[26:29]
	v_add_u32_e32 v19, 19, v49
	v_pk_mul_f32 v[34:35], s[10:11], v[16:17] op_sel_hi:[0,1]
	v_pk_mul_f32 v[36:37], s[10:11], v[14:15] op_sel_hi:[0,1]
	v_cvt_f32_i32_e32 v27, v22
	v_mfma_f32_16x16x16_f16 v[22:25], v[12:13], v[20:21], v[30:33]
	v_pk_mul_f32 v[12:13], s[10:11], v[2:3] op_sel_hi:[0,1]
	v_cvt_f32_i32_e32 v26, v44
	v_cvt_f32_i32_e32 v28, v45
	v_pk_mul_f32 v[44:45], s[10:11], v[8:9] op_sel_hi:[0,1]
	v_pk_mul_f32 v[46:47], s[10:11], v[6:7] op_sel_hi:[0,1]
	v_cvt_f32_i32_e32 v19, v19
	v_fma_f32 v44, v48, v18, v44
	v_add_u32_e32 v18, 34, v49
	v_cvt_f32_i32_e32 v18, v18
	v_fmac_f32_e32 v45, v48, v19
	v_add_u32_e32 v19, 35, v49
	v_cvt_f32_i32_e32 v19, v19
	v_pk_mul_f32 v[40:41], s[10:11], v[22:23] op_sel_hi:[0,1]
	v_pk_mul_f32 v[38:39], s[10:11], v[24:25] op_sel_hi:[0,1]
	v_fma_f32 v38, v48, v18, v38
	v_add_u32_e32 v18, 50, v49
	s_waitcnt vmcnt(3)
	v_mad_i64_i32 v[2:3], s[4:5], v55, s45, 0
	s_waitcnt vmcnt(2)
	v_mad_i64_i32 v[4:5], s[4:5], v72, s45, 0
	v_lshl_add_u64 v[16:17], v[2:3], 1, v[10:11]
	v_lshl_add_u64 v[14:15], v[4:5], 1, v[10:11]
	global_load_dwordx4 v[6:9], v[16:17], off
	global_load_dwordx4 v[2:5], v[16:17], off offset:16
	v_add_u32_e32 v16, 16, v49
	v_cvt_f32_i32_e32 v16, v16
	v_add_u32_e32 v17, 17, v49
	v_cvt_f32_i32_e32 v17, v17
	v_fmac_f32_e32 v39, v48, v19
	v_fma_f32 v46, v48, v16, v46
	v_add_u32_e32 v16, 32, v49
	v_fmac_f32_e32 v47, v48, v17
	v_cvt_f32_i32_e32 v16, v16
	v_add_u32_e32 v17, 33, v49
	v_cvt_f32_i32_e32 v17, v17
	v_cvt_f32_i32_e32 v18, v18
	v_fma_f32 v40, v48, v16, v40
	v_add_u32_e32 v16, 48, v49
	v_fmac_f32_e32 v41, v48, v17
	v_cvt_f32_i32_e32 v16, v16
	v_add_u32_e32 v17, 49, v49
	v_cvt_f32_i32_e32 v17, v17
	v_add_u32_e32 v19, 51, v49
	v_cvt_f32_i32_e32 v19, v19
	v_fma_f32 v12, v48, v58, v12
	v_fmac_f32_e32 v13, v48, v26
	v_fma_f32 v36, v48, v16, v36
	v_mov_b32_e32 v16, 0xff7fffff
	v_cmp_gt_i32_e64 s[4:5], s33, v56
	v_fmac_f32_e32 v37, v48, v17
	v_fma_f32 v34, v48, v18, v34
	v_cndmask_b32_e64 v17, v16, v12, s[4:5]
	v_cndmask_b32_e64 v18, v16, v13, s[34:35]
	v_fmac_f32_e32 v35, v48, v19
	v_max3_f32 v17, v17, s42, v18
	v_or_b32_e32 v18, 2, v56
	v_or_b32_e32 v19, 3, v56
	v_fma_f32 v50, v48, v27, v50
	v_fmac_f32_e32 v51, v48, v28
	v_cmp_gt_i32_e64 s[36:37], s33, v18
	v_cmp_gt_i32_e64 s[38:39], s33, v19
	global_load_dwordx4 v[30:33], v[14:15], off
	global_load_dwordx4 v[26:29], v[14:15], off offset:16
	v_cndmask_b32_e64 v18, v16, v50, s[36:37]
	v_cndmask_b32_e64 v19, v16, v51, s[38:39]
	v_max3_f32 v17, v17, v18, v19
	v_or_b32_e32 v18, 16, v56
	v_or_b32_e32 v19, 17, v56
	v_cmp_gt_i32_e64 s[24:25], s33, v18
	v_cmp_gt_i32_e64 s[26:27], s33, v19
	s_nop 0
	v_cndmask_b32_e64 v18, v16, v46, s[24:25]
	v_cndmask_b32_e64 v19, v16, v47, s[26:27]
	v_max3_f32 v17, v17, v18, v19
	v_or_b32_e32 v18, 18, v56
	v_or_b32_e32 v19, 19, v56
	v_cmp_gt_i32_e64 s[20:21], s33, v18
	v_cmp_gt_i32_e64 s[22:23], s33, v19
	s_nop 0
	;; [unrolled: 8-line block ×5, first 2 shown]
	v_cndmask_b32_e64 v18, v16, v36, s[8:9]
	v_cndmask_b32_e64 v19, v16, v37, s[10:11]
	v_max3_f32 v17, v17, v18, v19
	v_or_b32_e32 v18, 50, v56
	v_or_b32_e32 v19, 51, v56
	v_cmp_gt_i32_e32 vcc, s33, v18
	v_cmp_gt_i32_e64 s[6:7], s33, v19
	s_nop 0
	v_cndmask_b32_e32 v18, v16, v34, vcc
	v_cndmask_b32_e64 v16, v16, v35, s[6:7]
	v_max3_f32 v16, v17, v18, v16
	v_mbcnt_lo_u32_b32 v17, -1, 0
	v_mbcnt_hi_u32_b32 v17, -1, v17
	v_and_b32_e32 v18, 64, v17
	v_add_u32_e32 v18, 64, v18
	v_xor_b32_e32 v19, 32, v17
	v_cmp_lt_i32_e64 s[40:41], v19, v18
	s_nop 1
	v_cndmask_b32_e64 v19, v17, v19, s[40:41]
	v_lshlrev_b32_e32 v56, 2, v19
	ds_bpermute_b32 v19, v56, v16
	s_waitcnt vmcnt(5)
	v_mad_i64_i32 v[14:15], s[40:41], v59, s45, 0
	v_lshl_add_u64 v[14:15], v[14:15], 1, v[10:11]
	s_waitcnt lgkmcnt(0)
	v_max_f32_e32 v19, v19, v19
	v_max_f32_e32 v16, v16, v19
	v_xor_b32_e32 v19, 16, v17
	v_cmp_lt_i32_e64 s[40:41], v19, v18
	s_nop 1
	v_cndmask_b32_e64 v17, v17, v19, s[40:41]
	v_lshlrev_b32_e32 v58, 2, v17
	ds_bpermute_b32 v17, v58, v16
	global_load_dwordx4 v[22:25], v[14:15], off
	global_load_dwordx4 v[18:21], v[14:15], off offset:16
	s_waitcnt vmcnt(6)
	v_mad_i64_i32 v[14:15], s[40:41], v60, s45, 0
	v_lshl_add_u64 v[10:11], v[14:15], 1, v[10:11]
	s_waitcnt lgkmcnt(0)
	v_max_f32_e32 v14, v17, v17
	v_max_f32_e32 v55, v16, v14
	v_sub_f32_e32 v12, v12, v55
	v_mul_f32_e32 v12, 0x3fb8aa3b, v12
	v_exp_f32_e32 v48, v12
	v_sub_f32_e32 v12, v13, v55
	v_mul_f32_e32 v12, 0x3fb8aa3b, v12
	v_exp_f32_e32 v49, v12
	global_load_dwordx4 v[14:17], v[10:11], off
	s_nop 0
	global_load_dwordx4 v[10:13], v[10:11], off offset:16
	v_sub_f32_e32 v50, v50, v55
	v_mul_f32_e32 v50, 0x3fb8aa3b, v50
	v_sub_f32_e32 v51, v51, v55
	v_exp_f32_e32 v50, v50
	v_mul_f32_e32 v51, 0x3fb8aa3b, v51
	v_sub_f32_e32 v46, v46, v55
	v_exp_f32_e32 v51, v51
	v_mul_f32_e32 v46, 0x3fb8aa3b, v46
	v_sub_f32_e32 v47, v47, v55
	v_cndmask_b32_e64 v48, 0, v48, s[4:5]
	v_exp_f32_e32 v46, v46
	v_mul_f32_e32 v47, 0x3fb8aa3b, v47
	v_sub_f32_e32 v44, v44, v55
	v_add_f32_e32 v57, 0, v48
	v_cndmask_b32_e64 v49, 0, v49, s[34:35]
	v_exp_f32_e32 v47, v47
	v_mul_f32_e32 v44, 0x3fb8aa3b, v44
	v_sub_f32_e32 v45, v45, v55
	v_add_f32_e32 v57, v57, v49
	;; [unrolled: 5-line block ×10, first 2 shown]
	v_cndmask_b32_e64 v38, 0, v38, s[12:13]
	v_exp_f32_e32 v34, v34
	v_mul_f32_e32 v35, 0x3fb8aa3b, v35
	v_add_f32_e32 v57, v57, v38
	v_cndmask_b32_e64 v39, 0, v39, s[14:15]
	v_exp_f32_e32 v35, v35
	v_add_f32_e32 v57, v57, v39
	v_cndmask_b32_e64 v36, 0, v36, s[8:9]
	v_add_f32_e32 v57, v57, v36
	v_cndmask_b32_e64 v37, 0, v37, s[10:11]
	v_add_f32_e32 v57, v57, v37
	v_cndmask_b32_e32 v34, 0, v34, vcc
	v_add_f32_e32 v57, v57, v34
	v_cndmask_b32_e64 v35, 0, v35, s[6:7]
	v_add_f32_e32 v57, v57, v35
	ds_bpermute_b32 v56, v56, v57
	s_load_dword s7, s[0:1], 0x98
	v_cmp_gt_u32_e32 vcc, 16, v54
	s_waitcnt lgkmcnt(0)
	s_barrier
	v_add_f32_e32 v57, v57, v56
	ds_bpermute_b32 v58, v58, v57
	v_lshlrev_b32_e32 v56, 2, v52
	s_waitcnt lgkmcnt(0)
	s_and_saveexec_b64 s[4:5], vcc
	s_cbranch_execz .LBB119_17
; %bb.16:
	v_add_f32_e32 v54, v57, v58
	v_lshl_or_b32 v57, v53, 6, v56
	ds_write2st64_b32 v57, v55, v54 offset1:1
.LBB119_17:
	s_or_b64 exec, exec, s[4:5]
	s_load_dword s6, s[0:1], 0x94
	s_waitcnt lgkmcnt(0)
	s_barrier
	ds_read2_b32 v[58:59], v56 offset1:16
	ds_read2_b32 v[60:61], v56 offset0:32 offset1:48
	ds_read2_b32 v[62:63], v56 offset0:64 offset1:80
	;; [unrolled: 1-line block ×3, first 2 shown]
	s_waitcnt lgkmcnt(0)
	v_max3_f32 v54, v58, s42, v59
	v_max3_f32 v54, v54, v60, v61
	v_sub_f32_e32 v55, v58, v54
	v_mul_f32_e32 v55, 0x3fb8aa3b, v55
	v_exp_f32_e32 v58, v55
	v_sub_f32_e32 v55, v59, v54
	v_mul_f32_e32 v55, 0x3fb8aa3b, v55
	v_exp_f32_e32 v59, v55
	;; [unrolled: 3-line block ×4, first 2 shown]
	v_fma_f32 v55, v58, v62, 0
	v_fmac_f32_e32 v55, v59, v63
	v_fmac_f32_e32 v55, v60, v56
	;; [unrolled: 1-line block ×3, first 2 shown]
	v_add_f32_e32 v56, 0x358637bd, v55
	v_div_scale_f32 v57, s[4:5], v56, v56, 1.0
	v_rcp_f32_e32 v62, v57
	s_barrier
	s_lshl_b32 s7, s7, 3
	v_fma_f32 v63, -v57, v62, 1.0
	v_fmac_f32_e32 v62, v63, v62
	v_div_scale_f32 v63, vcc, 1.0, v56, 1.0
	v_mul_f32_e32 v64, v63, v62
	v_fma_f32 v65, -v57, v64, v63
	v_fmac_f32_e32 v64, v65, v62
	v_fma_f32 v57, -v57, v64, v63
	v_div_fmas_f32 v57, v57, v62, v64
	v_cmp_eq_u32_e32 vcc, 1, v53
	v_div_fixup_f32 v56, v57, v56, 1.0
	s_nop 0
	v_cndmask_b32_e32 v57, v58, v59, vcc
	v_cmp_eq_u32_e32 vcc, 2, v53
	s_nop 1
	v_cndmask_b32_e32 v57, v57, v60, vcc
	v_cmp_eq_u32_e32 vcc, 3, v53
	s_nop 1
	v_cndmask_b32_e32 v57, v57, v61, vcc
	v_mul_f32_e32 v56, v57, v56
	v_pk_mul_f32 v[50:51], v[56:57], v[50:51] op_sel_hi:[0,1]
	v_pk_mul_f32 v[48:49], v[56:57], v[48:49] op_sel_hi:[0,1]
	v_cvt_f16_f32_e32 v57, v50
	v_cvt_f16_f32_e32 v48, v48
	;; [unrolled: 1-line block ×4, first 2 shown]
	v_pk_mul_f32 v[44:45], v[56:57], v[44:45] op_sel_hi:[0,1]
	v_pk_mul_f32 v[46:47], v[56:57], v[46:47] op_sel_hi:[0,1]
	v_pack_b32_f16 v50, v48, v49
	v_lshlrev_b32_e32 v48, 5, v52
	v_cvt_f16_f32_e32 v46, v46
	v_cvt_f16_f32_e32 v47, v47
	v_cvt_f16_f32_e32 v52, v44
	v_cvt_f16_f32_e32 v45, v45
	v_lshlrev_b32_e32 v49, 3, v1
	v_lshlrev_b32_e32 v44, 11, v53
	v_pack_b32_f16 v51, v57, v51
	v_or3_b32 v44, v44, v48, v49
	v_pack_b32_f16 v46, v46, v47
	v_pack_b32_f16 v47, v52, v45
	v_pk_mul_f32 v[38:39], v[56:57], v[38:39] op_sel_hi:[0,1]
	v_pk_mul_f32 v[40:41], v[56:57], v[40:41] op_sel_hi:[0,1]
	;; [unrolled: 1-line block ×4, first 2 shown]
	ds_write2st64_b64 v44, v[50:51], v[46:47] offset1:1
	v_cvt_f16_f32_e32 v40, v40
	v_cvt_f16_f32_e32 v41, v41
	;; [unrolled: 1-line block ×8, first 2 shown]
	v_pack_b32_f16 v34, v40, v41
	v_pack_b32_f16 v35, v38, v39
	;; [unrolled: 1-line block ×4, first 2 shown]
	v_cmp_gt_u32_e32 vcc, 8, v0
	ds_write2st64_b64 v44, v[34:35], v[36:37] offset0:2 offset1:3
	s_and_saveexec_b64 s[4:5], vcc
	s_cbranch_execz .LBB119_19
; %bb.18:
	v_or_b32_e32 v34, s29, v0
	v_mov_b32_e32 v35, 0
	v_mov_b32_e32 v36, s7
	v_mad_u64_u32 v[36:37], s[12:13], s2, v36, v[34:35]
	v_mov_b32_e32 v34, s28
	s_load_dwordx4 s[8:11], s[0:1], 0x58
	s_mul_i32 s3, s3, s7
	v_mad_u64_u32 v[34:35], s[12:13], v36, s6, v[34:35]
	v_add_u32_e32 v37, s3, v37
	v_mov_b32_e32 v36, v35
	v_mad_u64_u32 v[36:37], s[12:13], v37, s6, v[36:37]
	v_mov_b32_e32 v35, v36
	v_lshlrev_b64 v[34:35], 2, v[34:35]
	s_waitcnt lgkmcnt(0)
	v_lshl_add_u64 v[36:37], s[10:11], 0, v[34:35]
	v_lshl_add_u64 v[34:35], s[8:9], 0, v[34:35]
	global_store_dword v[36:37], v54, off
	global_store_dword v[34:35], v55, off
.LBB119_19:
	s_or_b64 exec, exec, s[4:5]
	v_lshl_or_b32 v45, v1, 9, v48
	s_waitcnt lgkmcnt(0)
	s_barrier
	ds_read_b128 v[34:37], v45
	ds_read_b128 v[38:41], v45 offset:16
	s_waitcnt vmcnt(7) lgkmcnt(1)
	v_mfma_f32_16x16x16_f16 v[46:49], v[6:7], v[34:35], 0
	v_cmp_gt_u32_e32 vcc, 64, v0
	s_mov_b32 s3, 0
	s_and_b64 s[4:5], vcc, s[30:31]
	v_mfma_f32_16x16x16_f16 v[6:9], v[8:9], v[36:37], v[46:49]
	s_waitcnt vmcnt(6) lgkmcnt(0)
	v_mfma_f32_16x16x16_f16 v[6:9], v[2:3], v[38:39], v[6:9]
	v_mfma_f32_16x16x16_f16 v[2:5], v[4:5], v[40:41], v[6:9]
	s_nop 5
	ds_read_b128 v[6:9], v45 offset:2048
	ds_read_b128 v[34:37], v45 offset:2064
	s_waitcnt vmcnt(5) lgkmcnt(1)
	v_mfma_f32_16x16x16_f16 v[2:5], v[30:31], v[6:7], v[2:5]
	v_mfma_f32_16x16x16_f16 v[2:5], v[32:33], v[8:9], v[2:5]
	s_waitcnt vmcnt(4) lgkmcnt(0)
	v_mfma_f32_16x16x16_f16 v[2:5], v[26:27], v[34:35], v[2:5]
	v_mfma_f32_16x16x16_f16 v[2:5], v[28:29], v[36:37], v[2:5]
	ds_read_b128 v[6:9], v45 offset:4096
	ds_read_b128 v[26:29], v45 offset:4112
	s_waitcnt vmcnt(3) lgkmcnt(1)
	v_mfma_f32_16x16x16_f16 v[2:5], v[22:23], v[6:7], v[2:5]
	v_mfma_f32_16x16x16_f16 v[2:5], v[24:25], v[8:9], v[2:5]
	s_waitcnt vmcnt(2) lgkmcnt(0)
	v_mfma_f32_16x16x16_f16 v[2:5], v[18:19], v[26:27], v[2:5]
	v_mfma_f32_16x16x16_f16 v[2:5], v[20:21], v[28:29], v[2:5]
	ds_read_b128 v[6:9], v45 offset:6144
	ds_read_b128 v[18:21], v45 offset:6160
	s_waitcnt lgkmcnt(0)
	s_barrier
	s_waitcnt vmcnt(1)
	v_mfma_f32_16x16x16_f16 v[2:5], v[14:15], v[6:7], v[2:5]
	v_mfma_f32_16x16x16_f16 v[2:5], v[16:17], v[8:9], v[2:5]
	s_waitcnt vmcnt(0)
	v_mfma_f32_16x16x16_f16 v[2:5], v[10:11], v[18:19], v[2:5]
	v_mfma_f32_16x16x16_f16 v[2:5], v[12:13], v[20:21], v[2:5]
	s_nop 6
	v_cvt_f16_f32_e32 v2, v2
	v_cvt_f16_f32_e32 v3, v3
	;; [unrolled: 1-line block ×4, first 2 shown]
	v_pack_b32_f16 v2, v2, v3
	v_pack_b32_f16 v3, v4, v5
	ds_write_b64 v44, v[2:3]
	s_waitcnt lgkmcnt(0)
	s_barrier
	s_and_saveexec_b64 s[8:9], s[4:5]
	s_cbranch_execz .LBB119_21
; %bb.20:
	s_load_dwordx2 s[0:1], s[0:1], 0x68
	s_lshl_b32 s6, s6, 6
	s_mul_i32 s2, s7, s2
	s_mul_hi_u32 s5, s2, s6
	s_mul_i32 s4, s2, s6
	s_lshl_b64 s[4:5], s[4:5], 1
	v_lshlrev_b32_e32 v2, 10, v0
	v_lshlrev_b32_e32 v0, 4, v0
	s_waitcnt lgkmcnt(0)
	s_add_u32 s4, s0, s4
	v_and_b32_e32 v2, 0x1800, v2
	v_lshlrev_b32_e32 v3, 5, v1
	v_and_b32_e32 v0, 16, v0
	s_addc_u32 s5, s1, s5
	s_lshl_b32 s2, s28, 6
	v_or3_b32 v0, v2, v3, v0
	s_lshl_b64 s[0:1], s[2:3], 1
	ds_read_b128 v[2:5], v0
	ds_read_b128 v[6:9], v0 offset:128
	s_add_u32 s0, s4, s0
	s_addc_u32 s1, s5, s1
	v_or_b32_e32 v12, s29, v1
	v_lshl_add_u64 v[10:11], v[42:43], 1, s[0:1]
	v_mad_u64_u32 v[0:1], s[0:1], v12, s6, 0
	v_lshl_add_u64 v[0:1], v[0:1], 1, v[10:11]
	s_waitcnt lgkmcnt(1)
	global_store_dwordx4 v[0:1], v[2:5], off
	v_or_b32_e32 v0, 4, v12
	v_mad_u64_u32 v[0:1], s[0:1], v0, s6, 0
	v_lshl_add_u64 v[0:1], v[0:1], 1, v[10:11]
	s_waitcnt lgkmcnt(0)
	global_store_dwordx4 v[0:1], v[6:9], off
.LBB119_21:
	s_endpgm
	.section	.rodata,"a",@progbits
	.p2align	6, 0x0
	.amdhsa_kernel _Z39paged_attention_ll4mi_QKV_mfma16_kernelIDF16_DF16_LN4vllm18Fp8KVCacheDataTypeE0EhLi32ELi64ELi256ELb1ELi8EEvPKT_PKT0_S7_ifPKiS9_S9_iPKfiiiPfSC_PS2_PT2_iSB_SB_
		.amdhsa_group_segment_fixed_size 8192
		.amdhsa_private_segment_fixed_size 0
		.amdhsa_kernarg_size 400
		.amdhsa_user_sgpr_count 2
		.amdhsa_user_sgpr_dispatch_ptr 0
		.amdhsa_user_sgpr_queue_ptr 0
		.amdhsa_user_sgpr_kernarg_segment_ptr 1
		.amdhsa_user_sgpr_dispatch_id 0
		.amdhsa_user_sgpr_kernarg_preload_length 0
		.amdhsa_user_sgpr_kernarg_preload_offset 0
		.amdhsa_user_sgpr_private_segment_size 0
		.amdhsa_uses_dynamic_stack 0
		.amdhsa_enable_private_segment 0
		.amdhsa_system_sgpr_workgroup_id_x 1
		.amdhsa_system_sgpr_workgroup_id_y 1
		.amdhsa_system_sgpr_workgroup_id_z 1
		.amdhsa_system_sgpr_workgroup_info 0
		.amdhsa_system_vgpr_workitem_id 0
		.amdhsa_next_free_vgpr 73
		.amdhsa_next_free_sgpr 48
		.amdhsa_accum_offset 76
		.amdhsa_reserve_vcc 1
		.amdhsa_float_round_mode_32 0
		.amdhsa_float_round_mode_16_64 0
		.amdhsa_float_denorm_mode_32 3
		.amdhsa_float_denorm_mode_16_64 3
		.amdhsa_dx10_clamp 1
		.amdhsa_ieee_mode 1
		.amdhsa_fp16_overflow 0
		.amdhsa_tg_split 0
		.amdhsa_exception_fp_ieee_invalid_op 0
		.amdhsa_exception_fp_denorm_src 0
		.amdhsa_exception_fp_ieee_div_zero 0
		.amdhsa_exception_fp_ieee_overflow 0
		.amdhsa_exception_fp_ieee_underflow 0
		.amdhsa_exception_fp_ieee_inexact 0
		.amdhsa_exception_int_div_zero 0
	.end_amdhsa_kernel
	.section	.text._Z39paged_attention_ll4mi_QKV_mfma16_kernelIDF16_DF16_LN4vllm18Fp8KVCacheDataTypeE0EhLi32ELi64ELi256ELb1ELi8EEvPKT_PKT0_S7_ifPKiS9_S9_iPKfiiiPfSC_PS2_PT2_iSB_SB_,"axG",@progbits,_Z39paged_attention_ll4mi_QKV_mfma16_kernelIDF16_DF16_LN4vllm18Fp8KVCacheDataTypeE0EhLi32ELi64ELi256ELb1ELi8EEvPKT_PKT0_S7_ifPKiS9_S9_iPKfiiiPfSC_PS2_PT2_iSB_SB_,comdat
.Lfunc_end119:
	.size	_Z39paged_attention_ll4mi_QKV_mfma16_kernelIDF16_DF16_LN4vllm18Fp8KVCacheDataTypeE0EhLi32ELi64ELi256ELb1ELi8EEvPKT_PKT0_S7_ifPKiS9_S9_iPKfiiiPfSC_PS2_PT2_iSB_SB_, .Lfunc_end119-_Z39paged_attention_ll4mi_QKV_mfma16_kernelIDF16_DF16_LN4vllm18Fp8KVCacheDataTypeE0EhLi32ELi64ELi256ELb1ELi8EEvPKT_PKT0_S7_ifPKiS9_S9_iPKfiiiPfSC_PS2_PT2_iSB_SB_
                                        ; -- End function
	.section	.AMDGPU.csdata,"",@progbits
; Kernel info:
; codeLenInByte = 4108
; NumSgprs: 54
; NumVgprs: 73
; NumAgprs: 0
; TotalNumVgprs: 73
; ScratchSize: 0
; MemoryBound: 0
; FloatMode: 240
; IeeeMode: 1
; LDSByteSize: 8192 bytes/workgroup (compile time only)
; SGPRBlocks: 6
; VGPRBlocks: 9
; NumSGPRsForWavesPerEU: 54
; NumVGPRsForWavesPerEU: 73
; AccumOffset: 76
; Occupancy: 6
; WaveLimiterHint : 1
; COMPUTE_PGM_RSRC2:SCRATCH_EN: 0
; COMPUTE_PGM_RSRC2:USER_SGPR: 2
; COMPUTE_PGM_RSRC2:TRAP_HANDLER: 0
; COMPUTE_PGM_RSRC2:TGID_X_EN: 1
; COMPUTE_PGM_RSRC2:TGID_Y_EN: 1
; COMPUTE_PGM_RSRC2:TGID_Z_EN: 1
; COMPUTE_PGM_RSRC2:TIDIG_COMP_CNT: 0
; COMPUTE_PGM_RSRC3_GFX90A:ACCUM_OFFSET: 18
; COMPUTE_PGM_RSRC3_GFX90A:TG_SPLIT: 0
	.section	.text._Z39paged_attention_ll4mi_QKV_mfma16_kernelIDF16_DF16_LN4vllm18Fp8KVCacheDataTypeE0EhLi32ELi64ELi256ELb1ELi9EEvPKT_PKT0_S7_ifPKiS9_S9_iPKfiiiPfSC_PS2_PT2_iSB_SB_,"axG",@progbits,_Z39paged_attention_ll4mi_QKV_mfma16_kernelIDF16_DF16_LN4vllm18Fp8KVCacheDataTypeE0EhLi32ELi64ELi256ELb1ELi9EEvPKT_PKT0_S7_ifPKiS9_S9_iPKfiiiPfSC_PS2_PT2_iSB_SB_,comdat
	.protected	_Z39paged_attention_ll4mi_QKV_mfma16_kernelIDF16_DF16_LN4vllm18Fp8KVCacheDataTypeE0EhLi32ELi64ELi256ELb1ELi9EEvPKT_PKT0_S7_ifPKiS9_S9_iPKfiiiPfSC_PS2_PT2_iSB_SB_ ; -- Begin function _Z39paged_attention_ll4mi_QKV_mfma16_kernelIDF16_DF16_LN4vllm18Fp8KVCacheDataTypeE0EhLi32ELi64ELi256ELb1ELi9EEvPKT_PKT0_S7_ifPKiS9_S9_iPKfiiiPfSC_PS2_PT2_iSB_SB_
	.globl	_Z39paged_attention_ll4mi_QKV_mfma16_kernelIDF16_DF16_LN4vllm18Fp8KVCacheDataTypeE0EhLi32ELi64ELi256ELb1ELi9EEvPKT_PKT0_S7_ifPKiS9_S9_iPKfiiiPfSC_PS2_PT2_iSB_SB_
	.p2align	8
	.type	_Z39paged_attention_ll4mi_QKV_mfma16_kernelIDF16_DF16_LN4vllm18Fp8KVCacheDataTypeE0EhLi32ELi64ELi256ELb1ELi9EEvPKT_PKT0_S7_ifPKiS9_S9_iPKfiiiPfSC_PS2_PT2_iSB_SB_,@function
_Z39paged_attention_ll4mi_QKV_mfma16_kernelIDF16_DF16_LN4vllm18Fp8KVCacheDataTypeE0EhLi32ELi64ELi256ELb1ELi9EEvPKT_PKT0_S7_ifPKiS9_S9_iPKfiiiPfSC_PS2_PT2_iSB_SB_: ; @_Z39paged_attention_ll4mi_QKV_mfma16_kernelIDF16_DF16_LN4vllm18Fp8KVCacheDataTypeE0EhLi32ELi64ELi256ELb1ELi9EEvPKT_PKT0_S7_ifPKiS9_S9_iPKfiiiPfSC_PS2_PT2_iSB_SB_
; %bb.0:
	s_load_dwordx2 s[6:7], s[0:1], 0x30
	s_mov_b32 s28, s3
	s_mov_b64 s[8:9], 0
	s_waitcnt lgkmcnt(0)
	s_cmp_lg_u64 s[6:7], 0
	s_cselect_b64 s[10:11], -1, 0
	s_and_b64 vcc, exec, s[10:11]
	s_cbranch_vccz .LBB120_7
; %bb.1:
	s_add_i32 s12, s2, 1
	s_mov_b32 s13, 0
	s_lshl_b64 s[14:15], s[12:13], 2
	s_add_u32 s14, s6, s14
	s_mov_b32 s3, s13
	s_addc_u32 s15, s7, s15
	s_lshl_b64 s[12:13], s[2:3], 2
	s_add_u32 s12, s6, s12
	s_addc_u32 s13, s7, s13
	s_load_dword s5, s[14:15], 0x0
	s_load_dword s16, s[12:13], 0x0
	s_waitcnt lgkmcnt(0)
	s_sub_i32 s5, s5, s16
	s_cmp_eq_u32 s5, 1
	s_cselect_b64 s[12:13], -1, 0
	s_andn2_b64 vcc, exec, s[8:9]
	s_cbranch_vccnz .LBB120_3
.LBB120_2:
	s_mov_b32 s3, 0
	s_mov_b64 s[12:13], -1
.LBB120_3:
	s_andn2_b64 vcc, exec, s[12:13]
	s_cbranch_vccnz .LBB120_22
; %bb.4:
	s_load_dwordx2 s[8:9], s[0:1], 0x28
	s_lshl_b64 s[12:13], s[2:3], 2
	s_waitcnt lgkmcnt(0)
	s_add_u32 s8, s8, s12
	s_addc_u32 s9, s9, s13
	s_load_dword s29, s[8:9], 0x0
	s_lshl_b32 s14, s28, 8
	s_waitcnt lgkmcnt(0)
	s_cmp_ge_i32 s14, s29
	s_cbranch_scc1 .LBB120_22
; %bb.5:
	s_load_dwordx2 s[8:9], s[0:1], 0x20
	s_load_dword s5, s[0:1], 0x38
	s_add_i32 s15, s29, 31
	s_ashr_i32 s16, s15, 31
	v_and_b32_e32 v1, 0xcf, v0
	s_lshr_b32 s16, s16, 27
	v_add_u32_e32 v1, s14, v1
	s_add_i32 s15, s15, s16
	v_ashrrev_i32_e32 v2, 31, v1
	s_ashr_i32 s15, s15, 5
	v_lshrrev_b32_e32 v6, 27, v2
	s_add_i32 s15, s15, -1
	s_waitcnt lgkmcnt(0)
	s_mul_i32 s16, s2, s5
	s_mov_b32 s17, 0
	v_add_u32_e32 v2, v1, v6
	s_lshl_b64 s[16:17], s[16:17], 2
	v_ashrrev_i32_e32 v2, 5, v2
	v_mov_b32_e32 v7, s15
	v_cmp_gt_i32_e32 vcc, s29, v1
	s_add_u32 s8, s8, s16
	s_addc_u32 s9, s9, s17
	v_cndmask_b32_e32 v2, v7, v2, vcc
	v_ashrrev_i32_e32 v3, 31, v2
	v_lshl_add_u64 v[4:5], v[2:3], 2, s[8:9]
	v_or_b32_e32 v2, 16, v1
	v_add_u32_e32 v3, v2, v6
	v_ashrrev_i32_e32 v3, 5, v3
	v_cmp_gt_i32_e32 vcc, s29, v2
	s_nop 1
	v_cndmask_b32_e32 v2, v7, v3, vcc
	v_ashrrev_i32_e32 v3, 31, v2
	v_lshl_add_u64 v[8:9], v[2:3], 2, s[8:9]
	v_or_b32_e32 v2, 32, v1
	v_add_u32_e32 v3, v2, v6
	v_ashrrev_i32_e32 v3, 5, v3
	v_cmp_gt_i32_e32 vcc, s29, v2
	v_or_b32_e32 v1, 48, v1
	s_nop 0
	v_cndmask_b32_e32 v2, v7, v3, vcc
	v_ashrrev_i32_e32 v3, 31, v2
	v_lshl_add_u64 v[12:13], v[2:3], 2, s[8:9]
	v_add_u32_e32 v2, v1, v6
	v_ashrrev_i32_e32 v2, 5, v2
	v_cmp_gt_i32_e32 vcc, s29, v1
	s_nop 1
	v_cndmask_b32_e32 v2, v7, v2, vcc
	v_ashrrev_i32_e32 v3, 31, v2
	v_lshl_add_u64 v[16:17], v[2:3], 2, s[8:9]
	global_load_dword v2, v[4:5], off
	global_load_dword v6, v[8:9], off
	;; [unrolled: 1-line block ×4, first 2 shown]
	s_andn2_b64 vcc, exec, s[10:11]
	s_cbranch_vccnz .LBB120_8
; %bb.6:
	s_add_u32 s6, s6, s12
	s_addc_u32 s7, s7, s13
	s_load_dword s5, s[6:7], 0x0
	s_branch .LBB120_9
.LBB120_7:
	s_mov_b64 s[12:13], 0
	s_branch .LBB120_2
.LBB120_8:
	s_mov_b32 s5, s2
.LBB120_9:
	s_load_dwordx2 s[10:11], s[0:1], 0x8
	s_load_dwordx4 s[44:47], s[0:1], 0x48
	v_lshrrev_b32_e32 v1, 6, v0
	v_bfe_u32 v54, v0, 4, 2
	v_lshl_or_b32 v3, v1, 2, v54
	v_and_b32_e32 v44, 15, v0
	v_cmp_lt_u32_e32 vcc, 8, v3
	v_cmp_lt_u32_e64 s[6:7], 7, v44
	v_lshlrev_b32_e32 v42, 3, v44
	v_cmp_gt_u32_e64 s[30:31], 8, v44
	s_or_b64 s[6:7], s[6:7], vcc
	s_and_saveexec_b64 s[12:13], s[6:7]
	s_xor_b64 s[6:7], exec, s[12:13]
; %bb.10:
	v_mov_b32_e32 v43, 0
                                        ; implicit-def: $vgpr3
; %bb.11:
	s_or_saveexec_b64 s[12:13], s[6:7]
	s_load_dwordx2 s[6:7], s[0:1], 0x10
	s_mul_i32 s42, s4, 9
	s_xor_b64 exec, exec, s[12:13]
	s_cbranch_execz .LBB120_13
; %bb.12:
	s_load_dwordx2 s[16:17], s[0:1], 0x0
	s_waitcnt lgkmcnt(0)
	s_ashr_i32 s18, s44, 31
	s_mul_hi_u32 s19, s5, s44
	s_mul_i32 s18, s5, s18
	s_add_i32 s19, s19, s18
	s_mul_i32 s18, s5, s44
	s_lshl_b64 s[18:19], s[18:19], 1
	s_add_u32 s16, s16, s18
	v_add_lshl_u32 v4, v3, s42, 6
	s_addc_u32 s17, s17, s19
	v_ashrrev_i32_e32 v5, 31, v4
	v_mov_b32_e32 v43, 0
	v_lshl_add_u64 v[4:5], v[4:5], 1, s[16:17]
	v_lshlrev_b32_e32 v8, 1, v42
	v_mov_b32_e32 v9, v43
	v_lshl_add_u64 v[4:5], v[4:5], 0, v[8:9]
	global_load_dwordx4 v[16:19], v[4:5], off
	v_and_b32_e32 v4, 3, v0
	v_lshlrev_b32_e32 v5, 9, v44
	v_lshlrev_b32_e32 v3, 5, v3
	;; [unrolled: 1-line block ×3, first 2 shown]
	v_and_b32_e32 v5, 0x1800, v5
	v_or3_b32 v3, v5, v4, v3
	s_waitcnt vmcnt(0)
	ds_write_b128 v3, v[16:19]
.LBB120_13:
	s_or_b64 exec, exec, s[12:13]
	s_waitcnt lgkmcnt(0)
	s_mul_i32 s4, s4, s46
	s_mov_b32 s5, 0
	s_lshl_b64 s[4:5], s[4:5], 1
	s_add_u32 s10, s10, s4
	s_addc_u32 s11, s11, s5
	s_waitcnt vmcnt(3)
	v_mad_i64_i32 v[2:3], s[12:13], v2, s45, 0
	v_lshl_add_u64 v[2:3], v[2:3], 1, s[10:11]
	v_lshlrev_b64 v[12:13], 1, v[42:43]
	v_lshlrev_b32_e32 v46, 9, v54
	v_lshl_add_u64 v[2:3], v[2:3], 0, v[12:13]
	v_mov_b32_e32 v47, 0
	v_lshl_add_u64 v[8:9], v[2:3], 0, v[46:47]
	s_barrier
	global_load_dwordx4 v[22:25], v[8:9], off
	global_load_dwordx4 v[2:5], v[8:9], off offset:2048
	s_waitcnt vmcnt(4)
	v_mad_i64_i32 v[6:7], s[12:13], v6, s45, 0
	v_mov_b32_e32 v8, 0x100
	v_lshl_add_u64 v[6:7], v[6:7], 1, s[10:11]
	v_lshl_or_b32 v16, v44, 4, v8
	v_mov_b32_e32 v17, v47
	s_waitcnt vmcnt(3)
	v_mad_i64_i32 v[10:11], s[12:13], v10, s45, 0
	v_lshl_add_u64 v[6:7], v[6:7], 0, v[16:17]
	v_lshl_add_u64 v[10:11], v[10:11], 1, s[10:11]
	s_waitcnt vmcnt(2)
	v_mad_i64_i32 v[14:15], s[12:13], v14, s45, 0
	v_lshl_add_u64 v[18:19], v[6:7], 0, v[46:47]
	v_lshl_add_u64 v[10:11], v[10:11], 0, v[12:13]
	;; [unrolled: 1-line block ×3, first 2 shown]
	global_load_dwordx4 v[26:29], v[18:19], off
	global_load_dwordx4 v[6:9], v[18:19], off offset:2048
	v_lshl_add_u64 v[18:19], v[10:11], 0, v[46:47]
	v_lshl_add_u64 v[14:15], v[14:15], 0, v[16:17]
	global_load_dwordx4 v[30:33], v[18:19], off
	global_load_dwordx4 v[10:13], v[18:19], off offset:2048
	v_lshl_add_u64 v[18:19], v[14:15], 0, v[46:47]
	global_load_dwordx4 v[34:37], v[18:19], off
	global_load_dwordx4 v[14:17], v[18:19], off offset:2048
	v_add_u32_e32 v18, -9, v44
	v_cmp_gt_u32_e32 vcc, 9, v44
	v_and_b32_e32 v45, 63, v0
	v_mov_b32_e32 v50, 0
	v_cndmask_b32_e32 v18, v18, v44, vcc
	v_lshl_add_u32 v18, v18, 5, v46
	ds_read_b128 v[38:41], v18
	ds_read_b128 v[18:21], v18 offset:2048
	s_and_saveexec_b64 s[10:11], vcc
	s_cbranch_execz .LBB120_15
; %bb.14:
	s_load_dwordx2 s[12:13], s[0:1], 0x40
	v_add_u32_e32 v48, s42, v44
	v_ashrrev_i32_e32 v49, 31, v48
	s_waitcnt lgkmcnt(0)
	v_lshl_add_u64 v[48:49], v[48:49], 2, s[12:13]
	global_load_dword v50, v[48:49], off
.LBB120_15:
	s_or_b64 exec, exec, s[10:11]
	s_ashr_i32 s10, s14, 31
	v_and_or_b32 v46, v0, 48, s14
	s_lshr_b32 s11, s10, 27
	v_add_u32_e32 v48, s11, v46
	v_or_b32_e32 v52, 64, v46
	v_ashrrev_i32_e32 v48, 5, v48
	v_mov_b32_e32 v51, s15
	v_cmp_gt_i32_e32 vcc, s29, v46
	v_add_u32_e32 v53, s11, v52
	s_waitcnt vmcnt(7) lgkmcnt(1)
	v_mfma_f32_16x16x16_f16 v[56:59], v[22:23], v[38:39], 0
	v_cndmask_b32_e32 v48, v51, v48, vcc
	v_ashrrev_i32_e32 v22, 5, v53
	v_cmp_gt_i32_e32 vcc, s29, v52
	v_ashrrev_i32_e32 v49, 31, v48
	v_lshl_add_u64 v[48:49], v[48:49], 2, s[8:9]
	v_cndmask_b32_e32 v22, v51, v22, vcc
	v_ashrrev_i32_e32 v23, 31, v22
	v_lshl_add_u64 v[22:23], v[22:23], 2, s[8:9]
	global_load_dword v55, v[48:49], off
	global_load_dword v72, v[22:23], off
	s_waitcnt vmcnt(3)
	v_mfma_f32_16x16x16_f16 v[68:71], v[34:35], v[38:39], 0
	v_or_b32_e32 v48, 0xc0, v46
	v_add_u32_e32 v52, s11, v48
	s_add_u32 s4, s6, s4
	v_mfma_f32_16x16x16_f16 v[60:63], v[26:27], v[38:39], 0
	s_addc_u32 s5, s7, s5
	s_load_dword s10, s[0:1], 0x1c
	s_mov_b32 s33, 0xff7fffff
	v_mfma_f32_16x16x16_f16 v[64:67], v[30:31], v[38:39], 0
	v_and_b32_e32 v31, 0xc0, v0
	v_or_b32_e32 v38, 0x80, v46
	v_add_u32_e32 v34, s14, v31
	v_mfma_f32_16x16x16_f16 v[22:25], v[24:25], v[40:41], v[56:59]
	v_and_b32_e32 v30, 16, v0
	v_add_u32_e32 v49, s11, v38
	v_lshlrev_b32_e32 v46, 1, v30
	v_lshl_or_b32 v56, v54, 2, v34
	v_mfma_f32_16x16x16_f16 v[34:37], v[36:37], v[40:41], v[68:71]
	v_cmp_gt_i32_e32 vcc, s29, v38
	v_lshlrev_b32_e32 v39, 6, v44
	v_or_b32_e32 v57, 1, v56
	v_mfma_f32_16x16x16_f16 v[26:29], v[28:29], v[40:41], v[60:63]
	v_cmp_gt_i32_e64 s[34:35], s29, v57
	v_mfma_f32_16x16x16_f16 v[30:33], v[32:33], v[40:41], v[64:67]
	v_ashrrev_i32_e32 v40, 5, v49
	v_ashrrev_i32_e32 v41, 5, v52
	v_cndmask_b32_e32 v38, v51, v40, vcc
	v_cmp_gt_i32_e32 vcc, s29, v48
	s_waitcnt lgkmcnt(0)
	v_mfma_f32_16x16x16_f16 v[22:25], v[2:3], v[18:19], v[22:25]
	v_lshl_add_u64 v[2:3], s[4:5], 0, v[46:47]
	v_cndmask_b32_e32 v40, v51, v41, vcc
	v_lshl_or_b32 v46, v1, 10, v39
	v_ashrrev_i32_e32 v39, 31, v38
	v_ashrrev_i32_e32 v41, 31, v40
	s_waitcnt vmcnt(2)
	v_mfma_f32_16x16x16_f16 v[34:37], v[14:15], v[18:19], v[34:37]
	v_lshl_add_u64 v[14:15], v[38:39], 2, s[8:9]
	v_subrev_u32_e32 v51, s29, v57
	v_cvt_f32_i32_e32 v58, v51
	v_mfma_f32_16x16x16_f16 v[26:29], v[6:7], v[18:19], v[26:29]
	v_mfma_f32_16x16x16_f16 v[30:33], v[10:11], v[18:19], v[30:33]
	v_lshl_add_u64 v[18:19], v[40:41], 2, s[8:9]
	global_load_dword v59, v[14:15], off
	global_load_dword v60, v[18:19], off
	v_lshl_add_u64 v[10:11], v[2:3], 0, v[46:47]
	v_mfma_f32_16x16x16_f16 v[2:5], v[4:5], v[20:21], v[22:25]
	v_add_u32_e32 v46, 1, v51
	v_add_u32_e32 v47, 3, v51
	;; [unrolled: 1-line block ×3, first 2 shown]
	v_mfma_f32_16x16x16_f16 v[14:17], v[16:17], v[20:21], v[34:37]
	v_add_u32_e32 v22, 2, v51
	s_nop 1
	v_pk_mul_f32 v[52:53], s[10:11], v[4:5] op_sel_hi:[0,1]
	v_cvt_f32_i32_e32 v18, v18
	v_mfma_f32_16x16x16_f16 v[6:9], v[8:9], v[20:21], v[26:29]
	v_add_u32_e32 v19, 19, v51
	v_pk_mul_f32 v[34:35], s[10:11], v[16:17] op_sel_hi:[0,1]
	v_pk_mul_f32 v[36:37], s[10:11], v[14:15] op_sel_hi:[0,1]
	v_cvt_f32_i32_e32 v27, v22
	v_mfma_f32_16x16x16_f16 v[22:25], v[12:13], v[20:21], v[30:33]
	v_pk_mul_f32 v[12:13], s[10:11], v[2:3] op_sel_hi:[0,1]
	v_cvt_f32_i32_e32 v26, v46
	v_cvt_f32_i32_e32 v28, v47
	v_pk_mul_f32 v[46:47], s[10:11], v[8:9] op_sel_hi:[0,1]
	v_pk_mul_f32 v[48:49], s[10:11], v[6:7] op_sel_hi:[0,1]
	v_cvt_f32_i32_e32 v19, v19
	v_fma_f32 v46, v50, v18, v46
	v_add_u32_e32 v18, 34, v51
	v_cvt_f32_i32_e32 v18, v18
	v_fmac_f32_e32 v47, v50, v19
	v_add_u32_e32 v19, 35, v51
	v_cvt_f32_i32_e32 v19, v19
	v_pk_mul_f32 v[40:41], s[10:11], v[22:23] op_sel_hi:[0,1]
	v_pk_mul_f32 v[38:39], s[10:11], v[24:25] op_sel_hi:[0,1]
	v_fma_f32 v38, v50, v18, v38
	v_add_u32_e32 v18, 50, v51
	s_waitcnt vmcnt(3)
	v_mad_i64_i32 v[2:3], s[4:5], v55, s45, 0
	s_waitcnt vmcnt(2)
	v_mad_i64_i32 v[4:5], s[4:5], v72, s45, 0
	v_lshl_add_u64 v[16:17], v[2:3], 1, v[10:11]
	v_lshl_add_u64 v[14:15], v[4:5], 1, v[10:11]
	global_load_dwordx4 v[6:9], v[16:17], off
	global_load_dwordx4 v[2:5], v[16:17], off offset:16
	v_add_u32_e32 v16, 16, v51
	v_cvt_f32_i32_e32 v16, v16
	v_add_u32_e32 v17, 17, v51
	v_cvt_f32_i32_e32 v17, v17
	v_fmac_f32_e32 v39, v50, v19
	v_fma_f32 v48, v50, v16, v48
	v_add_u32_e32 v16, 32, v51
	v_fmac_f32_e32 v49, v50, v17
	v_cvt_f32_i32_e32 v16, v16
	v_add_u32_e32 v17, 33, v51
	v_cvt_f32_i32_e32 v17, v17
	v_cvt_f32_i32_e32 v18, v18
	v_fma_f32 v40, v50, v16, v40
	v_add_u32_e32 v16, 48, v51
	v_fmac_f32_e32 v41, v50, v17
	v_cvt_f32_i32_e32 v16, v16
	v_add_u32_e32 v17, 49, v51
	v_cvt_f32_i32_e32 v17, v17
	v_add_u32_e32 v19, 51, v51
	v_cvt_f32_i32_e32 v19, v19
	v_fma_f32 v12, v50, v58, v12
	v_fmac_f32_e32 v13, v50, v26
	v_fma_f32 v36, v50, v16, v36
	v_mov_b32_e32 v16, 0xff7fffff
	v_cmp_gt_i32_e64 s[4:5], s29, v56
	v_fmac_f32_e32 v37, v50, v17
	v_fma_f32 v34, v50, v18, v34
	v_cndmask_b32_e64 v17, v16, v12, s[4:5]
	v_cndmask_b32_e64 v18, v16, v13, s[34:35]
	v_fmac_f32_e32 v35, v50, v19
	v_max3_f32 v17, v17, s33, v18
	v_or_b32_e32 v18, 2, v56
	v_or_b32_e32 v19, 3, v56
	v_fma_f32 v52, v50, v27, v52
	v_fmac_f32_e32 v53, v50, v28
	v_cmp_gt_i32_e64 s[36:37], s29, v18
	v_cmp_gt_i32_e64 s[38:39], s29, v19
	global_load_dwordx4 v[30:33], v[14:15], off
	global_load_dwordx4 v[26:29], v[14:15], off offset:16
	v_cndmask_b32_e64 v18, v16, v52, s[36:37]
	v_cndmask_b32_e64 v19, v16, v53, s[38:39]
	v_max3_f32 v17, v17, v18, v19
	v_or_b32_e32 v18, 16, v56
	v_or_b32_e32 v19, 17, v56
	v_cmp_gt_i32_e64 s[24:25], s29, v18
	v_cmp_gt_i32_e64 s[26:27], s29, v19
	s_nop 0
	v_cndmask_b32_e64 v18, v16, v48, s[24:25]
	v_cndmask_b32_e64 v19, v16, v49, s[26:27]
	v_max3_f32 v17, v17, v18, v19
	v_or_b32_e32 v18, 18, v56
	v_or_b32_e32 v19, 19, v56
	v_cmp_gt_i32_e64 s[20:21], s29, v18
	v_cmp_gt_i32_e64 s[22:23], s29, v19
	s_nop 0
	;; [unrolled: 8-line block ×5, first 2 shown]
	v_cndmask_b32_e64 v18, v16, v36, s[8:9]
	v_cndmask_b32_e64 v19, v16, v37, s[10:11]
	v_max3_f32 v17, v17, v18, v19
	v_or_b32_e32 v18, 50, v56
	v_or_b32_e32 v19, 51, v56
	v_cmp_gt_i32_e32 vcc, s29, v18
	v_cmp_gt_i32_e64 s[6:7], s29, v19
	s_nop 0
	v_cndmask_b32_e32 v18, v16, v34, vcc
	v_cndmask_b32_e64 v16, v16, v35, s[6:7]
	v_max3_f32 v16, v17, v18, v16
	v_mbcnt_lo_u32_b32 v17, -1, 0
	v_mbcnt_hi_u32_b32 v17, -1, v17
	v_and_b32_e32 v18, 64, v17
	v_add_u32_e32 v18, 64, v18
	v_xor_b32_e32 v19, 32, v17
	v_cmp_lt_i32_e64 s[40:41], v19, v18
	s_nop 1
	v_cndmask_b32_e64 v19, v17, v19, s[40:41]
	v_lshlrev_b32_e32 v56, 2, v19
	ds_bpermute_b32 v19, v56, v16
	s_waitcnt vmcnt(5)
	v_mad_i64_i32 v[14:15], s[40:41], v59, s45, 0
	v_lshl_add_u64 v[14:15], v[14:15], 1, v[10:11]
	s_waitcnt lgkmcnt(0)
	v_max_f32_e32 v19, v19, v19
	v_max_f32_e32 v16, v16, v19
	v_xor_b32_e32 v19, 16, v17
	v_cmp_lt_i32_e64 s[40:41], v19, v18
	s_nop 1
	v_cndmask_b32_e64 v17, v17, v19, s[40:41]
	v_lshlrev_b32_e32 v57, 2, v17
	ds_bpermute_b32 v17, v57, v16
	global_load_dwordx4 v[22:25], v[14:15], off
	global_load_dwordx4 v[18:21], v[14:15], off offset:16
	s_waitcnt vmcnt(6)
	v_mad_i64_i32 v[14:15], s[40:41], v60, s45, 0
	v_lshl_add_u64 v[10:11], v[14:15], 1, v[10:11]
	s_waitcnt lgkmcnt(0)
	v_max_f32_e32 v14, v17, v17
	v_max_f32_e32 v55, v16, v14
	v_sub_f32_e32 v12, v12, v55
	v_mul_f32_e32 v12, 0x3fb8aa3b, v12
	v_exp_f32_e32 v50, v12
	v_sub_f32_e32 v12, v13, v55
	v_mul_f32_e32 v12, 0x3fb8aa3b, v12
	v_exp_f32_e32 v51, v12
	global_load_dwordx4 v[14:17], v[10:11], off
	s_nop 0
	global_load_dwordx4 v[10:13], v[10:11], off offset:16
	v_sub_f32_e32 v52, v52, v55
	v_mul_f32_e32 v52, 0x3fb8aa3b, v52
	v_sub_f32_e32 v53, v53, v55
	v_exp_f32_e32 v52, v52
	v_mul_f32_e32 v53, 0x3fb8aa3b, v53
	v_sub_f32_e32 v48, v48, v55
	v_exp_f32_e32 v53, v53
	v_mul_f32_e32 v48, 0x3fb8aa3b, v48
	v_sub_f32_e32 v49, v49, v55
	v_cndmask_b32_e64 v50, 0, v50, s[4:5]
	v_exp_f32_e32 v48, v48
	v_mul_f32_e32 v49, 0x3fb8aa3b, v49
	v_sub_f32_e32 v46, v46, v55
	v_add_f32_e32 v58, 0, v50
	v_cndmask_b32_e64 v51, 0, v51, s[34:35]
	v_exp_f32_e32 v49, v49
	v_mul_f32_e32 v46, 0x3fb8aa3b, v46
	v_sub_f32_e32 v47, v47, v55
	v_add_f32_e32 v58, v58, v51
	;; [unrolled: 5-line block ×10, first 2 shown]
	v_cndmask_b32_e64 v38, 0, v38, s[12:13]
	v_exp_f32_e32 v34, v34
	v_mul_f32_e32 v35, 0x3fb8aa3b, v35
	v_add_f32_e32 v58, v58, v38
	v_cndmask_b32_e64 v39, 0, v39, s[14:15]
	v_exp_f32_e32 v35, v35
	v_add_f32_e32 v58, v58, v39
	v_cndmask_b32_e64 v36, 0, v36, s[8:9]
	v_add_f32_e32 v58, v58, v36
	v_cndmask_b32_e64 v37, 0, v37, s[10:11]
	v_add_f32_e32 v58, v58, v37
	v_cndmask_b32_e32 v34, 0, v34, vcc
	v_add_f32_e32 v58, v58, v34
	v_cndmask_b32_e64 v35, 0, v35, s[6:7]
	v_add_f32_e32 v58, v58, v35
	ds_bpermute_b32 v56, v56, v58
	s_load_dword s9, s[0:1], 0x98
	v_cmp_gt_u32_e64 s[6:7], 16, v45
	v_lshlrev_b32_e32 v45, 2, v44
	s_waitcnt lgkmcnt(0)
	v_add_f32_e32 v56, v58, v56
	ds_bpermute_b32 v57, v57, v56
	s_barrier
	s_waitcnt lgkmcnt(0)
	s_and_saveexec_b64 s[4:5], s[6:7]
	s_cbranch_execz .LBB120_17
; %bb.16:
	v_add_f32_e32 v56, v56, v57
	v_lshl_or_b32 v57, v1, 6, v45
	ds_write2st64_b32 v57, v55, v56 offset1:1
.LBB120_17:
	s_or_b64 exec, exec, s[4:5]
	s_load_dword s8, s[0:1], 0x94
	s_waitcnt lgkmcnt(0)
	s_barrier
	ds_read2_b32 v[56:57], v45 offset1:16
	ds_read2_b32 v[58:59], v45 offset0:32 offset1:48
	ds_read2_b32 v[60:61], v45 offset0:64 offset1:80
	;; [unrolled: 1-line block ×3, first 2 shown]
	s_waitcnt lgkmcnt(0)
	v_max3_f32 v55, v56, s33, v57
	v_max3_f32 v55, v55, v58, v59
	v_sub_f32_e32 v56, v56, v55
	v_mul_f32_e32 v56, 0x3fb8aa3b, v56
	v_exp_f32_e32 v64, v56
	v_sub_f32_e32 v56, v57, v55
	v_mul_f32_e32 v56, 0x3fb8aa3b, v56
	v_exp_f32_e32 v57, v56
	v_sub_f32_e32 v56, v58, v55
	v_mul_f32_e32 v56, 0x3fb8aa3b, v56
	v_sub_f32_e32 v45, v59, v55
	v_exp_f32_e32 v58, v56
	v_mul_f32_e32 v45, 0x3fb8aa3b, v45
	v_exp_f32_e32 v45, v45
	v_fma_f32 v56, v64, v60, 0
	v_fmac_f32_e32 v56, v57, v61
	v_fmac_f32_e32 v56, v58, v62
	;; [unrolled: 1-line block ×3, first 2 shown]
	v_add_f32_e32 v59, 0x358637bd, v56
	v_div_scale_f32 v60, s[4:5], v59, v59, 1.0
	v_rcp_f32_e32 v61, v60
	s_barrier
	s_mul_i32 s9, s9, 9
	v_fma_f32 v62, -v60, v61, 1.0
	v_fmac_f32_e32 v61, v62, v61
	v_div_scale_f32 v62, vcc, 1.0, v59, 1.0
	v_mul_f32_e32 v63, v62, v61
	v_fma_f32 v65, -v60, v63, v62
	v_fmac_f32_e32 v63, v65, v61
	v_fma_f32 v60, -v60, v63, v62
	v_div_fmas_f32 v60, v60, v61, v63
	v_cmp_eq_u32_e32 vcc, 1, v1
	v_div_fixup_f32 v59, v60, v59, 1.0
	s_nop 0
	v_cndmask_b32_e32 v57, v64, v57, vcc
	v_cmp_eq_u32_e32 vcc, 2, v1
	s_nop 1
	v_cndmask_b32_e32 v57, v57, v58, vcc
	v_cmp_eq_u32_e32 vcc, 3, v1
	v_lshlrev_b32_e32 v1, 11, v1
	s_nop 0
	v_cndmask_b32_e32 v45, v57, v45, vcc
	v_mul_f32_e32 v58, v45, v59
	v_pk_mul_f32 v[52:53], v[58:59], v[52:53] op_sel_hi:[0,1]
	v_pk_mul_f32 v[50:51], v[58:59], v[50:51] op_sel_hi:[0,1]
	v_cvt_f16_f32_e32 v45, v50
	v_cvt_f16_f32_e32 v50, v51
	;; [unrolled: 1-line block ×4, first 2 shown]
	v_pk_mul_f32 v[46:47], v[58:59], v[46:47] op_sel_hi:[0,1]
	v_pk_mul_f32 v[48:49], v[58:59], v[48:49] op_sel_hi:[0,1]
	v_cvt_f16_f32_e32 v48, v48
	v_pack_b32_f16 v53, v51, v53
	v_cvt_f16_f32_e32 v49, v49
	v_cvt_f16_f32_e32 v51, v46
	;; [unrolled: 1-line block ×3, first 2 shown]
	v_pack_b32_f16 v52, v45, v50
	v_lshlrev_b32_e32 v45, 3, v54
	v_lshlrev_b32_e32 v50, 5, v44
	v_or3_b32 v1, v1, v50, v45
	v_pack_b32_f16 v46, v48, v49
	v_pack_b32_f16 v47, v51, v47
	v_pk_mul_f32 v[38:39], v[58:59], v[38:39] op_sel_hi:[0,1]
	v_pk_mul_f32 v[40:41], v[58:59], v[40:41] op_sel_hi:[0,1]
	;; [unrolled: 1-line block ×4, first 2 shown]
	ds_write2st64_b64 v1, v[52:53], v[46:47] offset1:1
	v_cvt_f16_f32_e32 v40, v40
	v_cvt_f16_f32_e32 v41, v41
	;; [unrolled: 1-line block ×8, first 2 shown]
	v_pack_b32_f16 v34, v40, v41
	v_pack_b32_f16 v35, v38, v39
	;; [unrolled: 1-line block ×4, first 2 shown]
	v_cmp_gt_u32_e32 vcc, 9, v0
	ds_write2st64_b64 v1, v[34:35], v[36:37] offset0:2 offset1:3
	s_and_saveexec_b64 s[4:5], vcc
	s_cbranch_execz .LBB120_19
; %bb.18:
	s_mov_b32 s43, 0
	v_mov_b32_e32 v45, 0
	v_lshl_add_u64 v[34:35], s[42:43], 0, v[44:45]
	v_mov_b32_e32 v36, s9
	v_mad_u64_u32 v[34:35], s[10:11], s2, v36, v[34:35]
	s_mul_i32 s3, s3, s9
	v_mov_b32_e32 v44, s28
	s_load_dwordx4 s[12:15], s[0:1], 0x58
	v_add_u32_e32 v37, s3, v35
	v_mad_u64_u32 v[34:35], s[10:11], v34, s8, v[44:45]
	v_mov_b32_e32 v36, v35
	v_mad_u64_u32 v[36:37], s[10:11], v37, s8, v[36:37]
	v_mov_b32_e32 v35, v36
	v_lshlrev_b64 v[34:35], 2, v[34:35]
	s_waitcnt lgkmcnt(0)
	v_lshl_add_u64 v[36:37], s[14:15], 0, v[34:35]
	v_lshl_add_u64 v[34:35], s[12:13], 0, v[34:35]
	global_store_dword v[36:37], v55, off
	global_store_dword v[34:35], v56, off
.LBB120_19:
	s_or_b64 exec, exec, s[4:5]
	v_lshl_or_b32 v48, v54, 9, v50
	s_waitcnt lgkmcnt(0)
	s_barrier
	ds_read_b128 v[34:37], v48
	ds_read_b128 v[38:41], v48 offset:16
	s_waitcnt vmcnt(7) lgkmcnt(1)
	v_mfma_f32_16x16x16_f16 v[44:47], v[6:7], v[34:35], 0
	v_cmp_gt_u32_e32 vcc, 64, v0
	s_mov_b32 s3, 0
	s_and_b64 s[4:5], vcc, s[30:31]
	v_mfma_f32_16x16x16_f16 v[6:9], v[8:9], v[36:37], v[44:47]
	s_waitcnt vmcnt(6) lgkmcnt(0)
	v_mfma_f32_16x16x16_f16 v[6:9], v[2:3], v[38:39], v[6:9]
	v_mfma_f32_16x16x16_f16 v[2:5], v[4:5], v[40:41], v[6:9]
	s_nop 5
	ds_read_b128 v[6:9], v48 offset:2048
	ds_read_b128 v[34:37], v48 offset:2064
	s_waitcnt vmcnt(5) lgkmcnt(1)
	v_mfma_f32_16x16x16_f16 v[2:5], v[30:31], v[6:7], v[2:5]
	v_mfma_f32_16x16x16_f16 v[2:5], v[32:33], v[8:9], v[2:5]
	s_waitcnt vmcnt(4) lgkmcnt(0)
	v_mfma_f32_16x16x16_f16 v[2:5], v[26:27], v[34:35], v[2:5]
	v_mfma_f32_16x16x16_f16 v[2:5], v[28:29], v[36:37], v[2:5]
	ds_read_b128 v[6:9], v48 offset:4096
	ds_read_b128 v[26:29], v48 offset:4112
	s_waitcnt vmcnt(3) lgkmcnt(1)
	v_mfma_f32_16x16x16_f16 v[2:5], v[22:23], v[6:7], v[2:5]
	v_mfma_f32_16x16x16_f16 v[2:5], v[24:25], v[8:9], v[2:5]
	s_waitcnt vmcnt(2) lgkmcnt(0)
	v_mfma_f32_16x16x16_f16 v[2:5], v[18:19], v[26:27], v[2:5]
	v_mfma_f32_16x16x16_f16 v[2:5], v[20:21], v[28:29], v[2:5]
	ds_read_b128 v[6:9], v48 offset:6144
	ds_read_b128 v[18:21], v48 offset:6160
	s_waitcnt lgkmcnt(0)
	s_barrier
	s_waitcnt vmcnt(1)
	v_mfma_f32_16x16x16_f16 v[2:5], v[14:15], v[6:7], v[2:5]
	v_mfma_f32_16x16x16_f16 v[2:5], v[16:17], v[8:9], v[2:5]
	s_waitcnt vmcnt(0)
	v_mfma_f32_16x16x16_f16 v[2:5], v[10:11], v[18:19], v[2:5]
	v_mfma_f32_16x16x16_f16 v[2:5], v[12:13], v[20:21], v[2:5]
	s_nop 6
	v_cvt_f16_f32_e32 v2, v2
	v_cvt_f16_f32_e32 v3, v3
	;; [unrolled: 1-line block ×4, first 2 shown]
	v_pack_b32_f16 v2, v2, v3
	v_pack_b32_f16 v3, v4, v5
	ds_write_b64 v1, v[2:3]
	s_waitcnt lgkmcnt(0)
	s_barrier
	s_and_saveexec_b64 s[10:11], s[4:5]
	s_cbranch_execz .LBB120_22
; %bb.20:
	s_load_dwordx2 s[4:5], s[0:1], 0x68
	s_lshl_b32 s0, s8, 6
	s_mul_i32 s1, s9, s2
	s_mul_hi_u32 s9, s1, s0
	s_mul_i32 s8, s1, s0
	v_lshlrev_b32_e32 v1, 10, v0
	v_lshlrev_b32_e32 v0, 4, v0
	s_lshl_b64 s[8:9], s[8:9], 1
	v_and_b32_e32 v1, 0x1800, v1
	v_lshlrev_b32_e32 v2, 5, v54
	v_and_b32_e32 v0, 16, v0
	s_waitcnt lgkmcnt(0)
	s_add_u32 s1, s4, s8
	v_or3_b32 v2, v1, v2, v0
	s_addc_u32 s4, s5, s9
	s_lshl_b32 s2, s28, 6
	s_lshl_b64 s[2:3], s[2:3], 1
	ds_read_b128 v[4:7], v2 offset:128
	ds_read_b128 v[8:11], v2
	s_add_u32 s2, s1, s2
	s_addc_u32 s3, s4, s3
	v_add_u32_e32 v3, s42, v54
	v_lshl_add_u64 v[0:1], v[42:43], 1, s[2:3]
	v_mad_u64_u32 v[12:13], s[2:3], v3, s0, 0
	v_lshl_add_u64 v[12:13], v[12:13], 1, v[0:1]
	v_add_u32_e32 v3, 4, v3
	s_waitcnt lgkmcnt(0)
	global_store_dwordx4 v[12:13], v[8:11], off
	s_nop 1
	v_mad_u64_u32 v[8:9], s[2:3], v3, s0, 0
	v_lshl_add_u64 v[8:9], v[8:9], 1, v[0:1]
	global_store_dwordx4 v[8:9], v[4:7], off
	s_and_b64 exec, exec, s[6:7]
	s_cbranch_execz .LBB120_22
; %bb.21:
	ds_read_b128 v[2:5], v2 offset:256
	v_add3_u32 v6, s42, v54, 8
	v_mad_u64_u32 v[6:7], s[0:1], v6, s0, 0
	v_lshl_add_u64 v[0:1], v[6:7], 1, v[0:1]
	s_waitcnt lgkmcnt(0)
	global_store_dwordx4 v[0:1], v[2:5], off
.LBB120_22:
	s_endpgm
	.section	.rodata,"a",@progbits
	.p2align	6, 0x0
	.amdhsa_kernel _Z39paged_attention_ll4mi_QKV_mfma16_kernelIDF16_DF16_LN4vllm18Fp8KVCacheDataTypeE0EhLi32ELi64ELi256ELb1ELi9EEvPKT_PKT0_S7_ifPKiS9_S9_iPKfiiiPfSC_PS2_PT2_iSB_SB_
		.amdhsa_group_segment_fixed_size 8192
		.amdhsa_private_segment_fixed_size 0
		.amdhsa_kernarg_size 400
		.amdhsa_user_sgpr_count 2
		.amdhsa_user_sgpr_dispatch_ptr 0
		.amdhsa_user_sgpr_queue_ptr 0
		.amdhsa_user_sgpr_kernarg_segment_ptr 1
		.amdhsa_user_sgpr_dispatch_id 0
		.amdhsa_user_sgpr_kernarg_preload_length 0
		.amdhsa_user_sgpr_kernarg_preload_offset 0
		.amdhsa_user_sgpr_private_segment_size 0
		.amdhsa_uses_dynamic_stack 0
		.amdhsa_enable_private_segment 0
		.amdhsa_system_sgpr_workgroup_id_x 1
		.amdhsa_system_sgpr_workgroup_id_y 1
		.amdhsa_system_sgpr_workgroup_id_z 1
		.amdhsa_system_sgpr_workgroup_info 0
		.amdhsa_system_vgpr_workitem_id 0
		.amdhsa_next_free_vgpr 73
		.amdhsa_next_free_sgpr 48
		.amdhsa_accum_offset 76
		.amdhsa_reserve_vcc 1
		.amdhsa_float_round_mode_32 0
		.amdhsa_float_round_mode_16_64 0
		.amdhsa_float_denorm_mode_32 3
		.amdhsa_float_denorm_mode_16_64 3
		.amdhsa_dx10_clamp 1
		.amdhsa_ieee_mode 1
		.amdhsa_fp16_overflow 0
		.amdhsa_tg_split 0
		.amdhsa_exception_fp_ieee_invalid_op 0
		.amdhsa_exception_fp_denorm_src 0
		.amdhsa_exception_fp_ieee_div_zero 0
		.amdhsa_exception_fp_ieee_overflow 0
		.amdhsa_exception_fp_ieee_underflow 0
		.amdhsa_exception_fp_ieee_inexact 0
		.amdhsa_exception_int_div_zero 0
	.end_amdhsa_kernel
	.section	.text._Z39paged_attention_ll4mi_QKV_mfma16_kernelIDF16_DF16_LN4vllm18Fp8KVCacheDataTypeE0EhLi32ELi64ELi256ELb1ELi9EEvPKT_PKT0_S7_ifPKiS9_S9_iPKfiiiPfSC_PS2_PT2_iSB_SB_,"axG",@progbits,_Z39paged_attention_ll4mi_QKV_mfma16_kernelIDF16_DF16_LN4vllm18Fp8KVCacheDataTypeE0EhLi32ELi64ELi256ELb1ELi9EEvPKT_PKT0_S7_ifPKiS9_S9_iPKfiiiPfSC_PS2_PT2_iSB_SB_,comdat
.Lfunc_end120:
	.size	_Z39paged_attention_ll4mi_QKV_mfma16_kernelIDF16_DF16_LN4vllm18Fp8KVCacheDataTypeE0EhLi32ELi64ELi256ELb1ELi9EEvPKT_PKT0_S7_ifPKiS9_S9_iPKfiiiPfSC_PS2_PT2_iSB_SB_, .Lfunc_end120-_Z39paged_attention_ll4mi_QKV_mfma16_kernelIDF16_DF16_LN4vllm18Fp8KVCacheDataTypeE0EhLi32ELi64ELi256ELb1ELi9EEvPKT_PKT0_S7_ifPKiS9_S9_iPKfiiiPfSC_PS2_PT2_iSB_SB_
                                        ; -- End function
	.section	.AMDGPU.csdata,"",@progbits
; Kernel info:
; codeLenInByte = 4176
; NumSgprs: 54
; NumVgprs: 73
; NumAgprs: 0
; TotalNumVgprs: 73
; ScratchSize: 0
; MemoryBound: 0
; FloatMode: 240
; IeeeMode: 1
; LDSByteSize: 8192 bytes/workgroup (compile time only)
; SGPRBlocks: 6
; VGPRBlocks: 9
; NumSGPRsForWavesPerEU: 54
; NumVGPRsForWavesPerEU: 73
; AccumOffset: 76
; Occupancy: 6
; WaveLimiterHint : 1
; COMPUTE_PGM_RSRC2:SCRATCH_EN: 0
; COMPUTE_PGM_RSRC2:USER_SGPR: 2
; COMPUTE_PGM_RSRC2:TRAP_HANDLER: 0
; COMPUTE_PGM_RSRC2:TGID_X_EN: 1
; COMPUTE_PGM_RSRC2:TGID_Y_EN: 1
; COMPUTE_PGM_RSRC2:TGID_Z_EN: 1
; COMPUTE_PGM_RSRC2:TIDIG_COMP_CNT: 0
; COMPUTE_PGM_RSRC3_GFX90A:ACCUM_OFFSET: 18
; COMPUTE_PGM_RSRC3_GFX90A:TG_SPLIT: 0
	.section	.text._Z39paged_attention_ll4mi_QKV_mfma16_kernelIDF16_DF16_LN4vllm18Fp8KVCacheDataTypeE0EhLi32ELi64ELi256ELb1ELi10EEvPKT_PKT0_S7_ifPKiS9_S9_iPKfiiiPfSC_PS2_PT2_iSB_SB_,"axG",@progbits,_Z39paged_attention_ll4mi_QKV_mfma16_kernelIDF16_DF16_LN4vllm18Fp8KVCacheDataTypeE0EhLi32ELi64ELi256ELb1ELi10EEvPKT_PKT0_S7_ifPKiS9_S9_iPKfiiiPfSC_PS2_PT2_iSB_SB_,comdat
	.protected	_Z39paged_attention_ll4mi_QKV_mfma16_kernelIDF16_DF16_LN4vllm18Fp8KVCacheDataTypeE0EhLi32ELi64ELi256ELb1ELi10EEvPKT_PKT0_S7_ifPKiS9_S9_iPKfiiiPfSC_PS2_PT2_iSB_SB_ ; -- Begin function _Z39paged_attention_ll4mi_QKV_mfma16_kernelIDF16_DF16_LN4vllm18Fp8KVCacheDataTypeE0EhLi32ELi64ELi256ELb1ELi10EEvPKT_PKT0_S7_ifPKiS9_S9_iPKfiiiPfSC_PS2_PT2_iSB_SB_
	.globl	_Z39paged_attention_ll4mi_QKV_mfma16_kernelIDF16_DF16_LN4vllm18Fp8KVCacheDataTypeE0EhLi32ELi64ELi256ELb1ELi10EEvPKT_PKT0_S7_ifPKiS9_S9_iPKfiiiPfSC_PS2_PT2_iSB_SB_
	.p2align	8
	.type	_Z39paged_attention_ll4mi_QKV_mfma16_kernelIDF16_DF16_LN4vllm18Fp8KVCacheDataTypeE0EhLi32ELi64ELi256ELb1ELi10EEvPKT_PKT0_S7_ifPKiS9_S9_iPKfiiiPfSC_PS2_PT2_iSB_SB_,@function
_Z39paged_attention_ll4mi_QKV_mfma16_kernelIDF16_DF16_LN4vllm18Fp8KVCacheDataTypeE0EhLi32ELi64ELi256ELb1ELi10EEvPKT_PKT0_S7_ifPKiS9_S9_iPKfiiiPfSC_PS2_PT2_iSB_SB_: ; @_Z39paged_attention_ll4mi_QKV_mfma16_kernelIDF16_DF16_LN4vllm18Fp8KVCacheDataTypeE0EhLi32ELi64ELi256ELb1ELi10EEvPKT_PKT0_S7_ifPKiS9_S9_iPKfiiiPfSC_PS2_PT2_iSB_SB_
; %bb.0:
	s_load_dwordx2 s[6:7], s[0:1], 0x30
	s_mov_b32 s28, s3
	s_mov_b64 s[8:9], 0
	s_waitcnt lgkmcnt(0)
	s_cmp_lg_u64 s[6:7], 0
	s_cselect_b64 s[10:11], -1, 0
	s_and_b64 vcc, exec, s[10:11]
	s_cbranch_vccz .LBB121_7
; %bb.1:
	s_add_i32 s12, s2, 1
	s_mov_b32 s13, 0
	s_lshl_b64 s[14:15], s[12:13], 2
	s_add_u32 s14, s6, s14
	s_mov_b32 s3, s13
	s_addc_u32 s15, s7, s15
	s_lshl_b64 s[12:13], s[2:3], 2
	s_add_u32 s12, s6, s12
	s_addc_u32 s13, s7, s13
	s_load_dword s5, s[14:15], 0x0
	s_load_dword s16, s[12:13], 0x0
	s_waitcnt lgkmcnt(0)
	s_sub_i32 s5, s5, s16
	s_cmp_eq_u32 s5, 1
	s_cselect_b64 s[12:13], -1, 0
	s_andn2_b64 vcc, exec, s[8:9]
	s_cbranch_vccnz .LBB121_3
.LBB121_2:
	s_mov_b32 s3, 0
	s_mov_b64 s[12:13], -1
.LBB121_3:
	s_andn2_b64 vcc, exec, s[12:13]
	s_cbranch_vccnz .LBB121_22
; %bb.4:
	s_load_dwordx2 s[8:9], s[0:1], 0x28
	s_lshl_b64 s[12:13], s[2:3], 2
	s_waitcnt lgkmcnt(0)
	s_add_u32 s8, s8, s12
	s_addc_u32 s9, s9, s13
	s_load_dword s29, s[8:9], 0x0
	s_lshl_b32 s14, s28, 8
	s_waitcnt lgkmcnt(0)
	s_cmp_ge_i32 s14, s29
	s_cbranch_scc1 .LBB121_22
; %bb.5:
	s_load_dwordx2 s[8:9], s[0:1], 0x20
	s_load_dword s5, s[0:1], 0x38
	s_add_i32 s15, s29, 31
	s_ashr_i32 s16, s15, 31
	v_and_b32_e32 v1, 0xcf, v0
	s_lshr_b32 s16, s16, 27
	v_add_u32_e32 v1, s14, v1
	s_add_i32 s15, s15, s16
	v_ashrrev_i32_e32 v2, 31, v1
	s_ashr_i32 s15, s15, 5
	v_lshrrev_b32_e32 v6, 27, v2
	s_add_i32 s15, s15, -1
	s_waitcnt lgkmcnt(0)
	s_mul_i32 s16, s2, s5
	s_mov_b32 s17, 0
	v_add_u32_e32 v2, v1, v6
	s_lshl_b64 s[16:17], s[16:17], 2
	v_ashrrev_i32_e32 v2, 5, v2
	v_mov_b32_e32 v7, s15
	v_cmp_gt_i32_e32 vcc, s29, v1
	s_add_u32 s8, s8, s16
	s_addc_u32 s9, s9, s17
	v_cndmask_b32_e32 v2, v7, v2, vcc
	v_ashrrev_i32_e32 v3, 31, v2
	v_lshl_add_u64 v[4:5], v[2:3], 2, s[8:9]
	v_or_b32_e32 v2, 16, v1
	v_add_u32_e32 v3, v2, v6
	v_ashrrev_i32_e32 v3, 5, v3
	v_cmp_gt_i32_e32 vcc, s29, v2
	s_nop 1
	v_cndmask_b32_e32 v2, v7, v3, vcc
	v_ashrrev_i32_e32 v3, 31, v2
	v_lshl_add_u64 v[8:9], v[2:3], 2, s[8:9]
	v_or_b32_e32 v2, 32, v1
	v_add_u32_e32 v3, v2, v6
	v_ashrrev_i32_e32 v3, 5, v3
	v_cmp_gt_i32_e32 vcc, s29, v2
	v_or_b32_e32 v1, 48, v1
	s_nop 0
	v_cndmask_b32_e32 v2, v7, v3, vcc
	v_ashrrev_i32_e32 v3, 31, v2
	v_lshl_add_u64 v[12:13], v[2:3], 2, s[8:9]
	v_add_u32_e32 v2, v1, v6
	v_ashrrev_i32_e32 v2, 5, v2
	v_cmp_gt_i32_e32 vcc, s29, v1
	s_nop 1
	v_cndmask_b32_e32 v2, v7, v2, vcc
	v_ashrrev_i32_e32 v3, 31, v2
	v_lshl_add_u64 v[16:17], v[2:3], 2, s[8:9]
	global_load_dword v2, v[4:5], off
	global_load_dword v6, v[8:9], off
	;; [unrolled: 1-line block ×4, first 2 shown]
	s_andn2_b64 vcc, exec, s[10:11]
	s_cbranch_vccnz .LBB121_8
; %bb.6:
	s_add_u32 s6, s6, s12
	s_addc_u32 s7, s7, s13
	s_load_dword s5, s[6:7], 0x0
	s_branch .LBB121_9
.LBB121_7:
	s_mov_b64 s[12:13], 0
	s_branch .LBB121_2
.LBB121_8:
	s_mov_b32 s5, s2
.LBB121_9:
	s_load_dwordx2 s[10:11], s[0:1], 0x8
	s_load_dwordx4 s[44:47], s[0:1], 0x48
	v_lshrrev_b32_e32 v1, 6, v0
	v_bfe_u32 v54, v0, 4, 2
	v_lshl_or_b32 v3, v1, 2, v54
	v_and_b32_e32 v44, 15, v0
	v_cmp_lt_u32_e32 vcc, 9, v3
	v_cmp_lt_u32_e64 s[6:7], 7, v44
	v_lshlrev_b32_e32 v42, 3, v44
	v_cmp_gt_u32_e64 s[30:31], 8, v44
	s_or_b64 s[6:7], s[6:7], vcc
	s_and_saveexec_b64 s[12:13], s[6:7]
	s_xor_b64 s[6:7], exec, s[12:13]
; %bb.10:
	v_mov_b32_e32 v43, 0
                                        ; implicit-def: $vgpr3
; %bb.11:
	s_or_saveexec_b64 s[12:13], s[6:7]
	s_load_dwordx2 s[6:7], s[0:1], 0x10
	s_mul_i32 s42, s4, 10
	s_xor_b64 exec, exec, s[12:13]
	s_cbranch_execz .LBB121_13
; %bb.12:
	s_load_dwordx2 s[16:17], s[0:1], 0x0
	s_waitcnt lgkmcnt(0)
	s_ashr_i32 s18, s44, 31
	s_mul_hi_u32 s19, s5, s44
	s_mul_i32 s18, s5, s18
	s_add_i32 s19, s19, s18
	s_mul_i32 s18, s5, s44
	s_lshl_b64 s[18:19], s[18:19], 1
	s_add_u32 s16, s16, s18
	v_add_lshl_u32 v4, v3, s42, 6
	s_addc_u32 s17, s17, s19
	v_ashrrev_i32_e32 v5, 31, v4
	v_mov_b32_e32 v43, 0
	v_lshl_add_u64 v[4:5], v[4:5], 1, s[16:17]
	v_lshlrev_b32_e32 v8, 1, v42
	v_mov_b32_e32 v9, v43
	v_lshl_add_u64 v[4:5], v[4:5], 0, v[8:9]
	global_load_dwordx4 v[16:19], v[4:5], off
	v_and_b32_e32 v4, 3, v0
	v_lshlrev_b32_e32 v5, 9, v44
	v_lshlrev_b32_e32 v3, 5, v3
	;; [unrolled: 1-line block ×3, first 2 shown]
	v_and_b32_e32 v5, 0x1800, v5
	v_or3_b32 v3, v5, v4, v3
	s_waitcnt vmcnt(0)
	ds_write_b128 v3, v[16:19]
.LBB121_13:
	s_or_b64 exec, exec, s[12:13]
	s_waitcnt lgkmcnt(0)
	s_mul_i32 s4, s4, s46
	s_mov_b32 s5, 0
	s_lshl_b64 s[4:5], s[4:5], 1
	s_add_u32 s10, s10, s4
	s_addc_u32 s11, s11, s5
	s_waitcnt vmcnt(3)
	v_mad_i64_i32 v[2:3], s[12:13], v2, s45, 0
	v_lshl_add_u64 v[2:3], v[2:3], 1, s[10:11]
	v_lshlrev_b64 v[12:13], 1, v[42:43]
	v_lshlrev_b32_e32 v46, 9, v54
	v_lshl_add_u64 v[2:3], v[2:3], 0, v[12:13]
	v_mov_b32_e32 v47, 0
	v_lshl_add_u64 v[8:9], v[2:3], 0, v[46:47]
	s_barrier
	global_load_dwordx4 v[22:25], v[8:9], off
	global_load_dwordx4 v[2:5], v[8:9], off offset:2048
	s_waitcnt vmcnt(4)
	v_mad_i64_i32 v[6:7], s[12:13], v6, s45, 0
	v_mov_b32_e32 v8, 0x100
	v_lshl_add_u64 v[6:7], v[6:7], 1, s[10:11]
	v_lshl_or_b32 v16, v44, 4, v8
	v_mov_b32_e32 v17, v47
	s_waitcnt vmcnt(3)
	v_mad_i64_i32 v[10:11], s[12:13], v10, s45, 0
	v_lshl_add_u64 v[6:7], v[6:7], 0, v[16:17]
	v_lshl_add_u64 v[10:11], v[10:11], 1, s[10:11]
	s_waitcnt vmcnt(2)
	v_mad_i64_i32 v[14:15], s[12:13], v14, s45, 0
	v_lshl_add_u64 v[18:19], v[6:7], 0, v[46:47]
	v_lshl_add_u64 v[10:11], v[10:11], 0, v[12:13]
	;; [unrolled: 1-line block ×3, first 2 shown]
	global_load_dwordx4 v[26:29], v[18:19], off
	global_load_dwordx4 v[6:9], v[18:19], off offset:2048
	v_lshl_add_u64 v[18:19], v[10:11], 0, v[46:47]
	v_lshl_add_u64 v[14:15], v[14:15], 0, v[16:17]
	global_load_dwordx4 v[30:33], v[18:19], off
	global_load_dwordx4 v[10:13], v[18:19], off offset:2048
	v_lshl_add_u64 v[18:19], v[14:15], 0, v[46:47]
	global_load_dwordx4 v[34:37], v[18:19], off
	global_load_dwordx4 v[14:17], v[18:19], off offset:2048
	v_add_u32_e32 v18, -10, v44
	v_cmp_gt_u32_e32 vcc, 10, v44
	v_and_b32_e32 v45, 63, v0
	v_mov_b32_e32 v50, 0
	v_cndmask_b32_e32 v18, v18, v44, vcc
	v_lshl_add_u32 v18, v18, 5, v46
	ds_read_b128 v[38:41], v18
	ds_read_b128 v[18:21], v18 offset:2048
	s_and_saveexec_b64 s[10:11], vcc
	s_cbranch_execz .LBB121_15
; %bb.14:
	s_load_dwordx2 s[12:13], s[0:1], 0x40
	v_add_u32_e32 v48, s42, v44
	v_ashrrev_i32_e32 v49, 31, v48
	s_waitcnt lgkmcnt(0)
	v_lshl_add_u64 v[48:49], v[48:49], 2, s[12:13]
	global_load_dword v50, v[48:49], off
.LBB121_15:
	s_or_b64 exec, exec, s[10:11]
	s_ashr_i32 s10, s14, 31
	v_and_or_b32 v46, v0, 48, s14
	s_lshr_b32 s11, s10, 27
	v_add_u32_e32 v48, s11, v46
	v_or_b32_e32 v52, 64, v46
	v_ashrrev_i32_e32 v48, 5, v48
	v_mov_b32_e32 v51, s15
	v_cmp_gt_i32_e32 vcc, s29, v46
	v_add_u32_e32 v53, s11, v52
	s_waitcnt vmcnt(7) lgkmcnt(1)
	v_mfma_f32_16x16x16_f16 v[56:59], v[22:23], v[38:39], 0
	v_cndmask_b32_e32 v48, v51, v48, vcc
	v_ashrrev_i32_e32 v22, 5, v53
	v_cmp_gt_i32_e32 vcc, s29, v52
	v_ashrrev_i32_e32 v49, 31, v48
	v_lshl_add_u64 v[48:49], v[48:49], 2, s[8:9]
	v_cndmask_b32_e32 v22, v51, v22, vcc
	v_ashrrev_i32_e32 v23, 31, v22
	v_lshl_add_u64 v[22:23], v[22:23], 2, s[8:9]
	global_load_dword v55, v[48:49], off
	global_load_dword v72, v[22:23], off
	s_waitcnt vmcnt(3)
	v_mfma_f32_16x16x16_f16 v[68:71], v[34:35], v[38:39], 0
	v_or_b32_e32 v48, 0xc0, v46
	v_add_u32_e32 v52, s11, v48
	s_add_u32 s4, s6, s4
	v_mfma_f32_16x16x16_f16 v[60:63], v[26:27], v[38:39], 0
	s_addc_u32 s5, s7, s5
	s_load_dword s10, s[0:1], 0x1c
	s_mov_b32 s33, 0xff7fffff
	v_mfma_f32_16x16x16_f16 v[64:67], v[30:31], v[38:39], 0
	v_and_b32_e32 v31, 0xc0, v0
	v_or_b32_e32 v38, 0x80, v46
	v_add_u32_e32 v34, s14, v31
	v_mfma_f32_16x16x16_f16 v[22:25], v[24:25], v[40:41], v[56:59]
	v_and_b32_e32 v30, 16, v0
	v_add_u32_e32 v49, s11, v38
	v_lshlrev_b32_e32 v46, 1, v30
	v_lshl_or_b32 v56, v54, 2, v34
	v_mfma_f32_16x16x16_f16 v[34:37], v[36:37], v[40:41], v[68:71]
	v_cmp_gt_i32_e32 vcc, s29, v38
	v_lshlrev_b32_e32 v39, 6, v44
	v_or_b32_e32 v57, 1, v56
	v_mfma_f32_16x16x16_f16 v[26:29], v[28:29], v[40:41], v[60:63]
	v_cmp_gt_i32_e64 s[34:35], s29, v57
	v_mfma_f32_16x16x16_f16 v[30:33], v[32:33], v[40:41], v[64:67]
	v_ashrrev_i32_e32 v40, 5, v49
	v_ashrrev_i32_e32 v41, 5, v52
	v_cndmask_b32_e32 v38, v51, v40, vcc
	v_cmp_gt_i32_e32 vcc, s29, v48
	s_waitcnt lgkmcnt(0)
	v_mfma_f32_16x16x16_f16 v[22:25], v[2:3], v[18:19], v[22:25]
	v_lshl_add_u64 v[2:3], s[4:5], 0, v[46:47]
	v_cndmask_b32_e32 v40, v51, v41, vcc
	v_lshl_or_b32 v46, v1, 10, v39
	v_ashrrev_i32_e32 v39, 31, v38
	v_ashrrev_i32_e32 v41, 31, v40
	s_waitcnt vmcnt(2)
	v_mfma_f32_16x16x16_f16 v[34:37], v[14:15], v[18:19], v[34:37]
	v_lshl_add_u64 v[14:15], v[38:39], 2, s[8:9]
	v_subrev_u32_e32 v51, s29, v57
	v_cvt_f32_i32_e32 v58, v51
	v_mfma_f32_16x16x16_f16 v[26:29], v[6:7], v[18:19], v[26:29]
	v_mfma_f32_16x16x16_f16 v[30:33], v[10:11], v[18:19], v[30:33]
	v_lshl_add_u64 v[18:19], v[40:41], 2, s[8:9]
	global_load_dword v59, v[14:15], off
	global_load_dword v60, v[18:19], off
	v_lshl_add_u64 v[10:11], v[2:3], 0, v[46:47]
	v_mfma_f32_16x16x16_f16 v[2:5], v[4:5], v[20:21], v[22:25]
	v_add_u32_e32 v46, 1, v51
	v_add_u32_e32 v47, 3, v51
	;; [unrolled: 1-line block ×3, first 2 shown]
	v_mfma_f32_16x16x16_f16 v[14:17], v[16:17], v[20:21], v[34:37]
	v_add_u32_e32 v22, 2, v51
	s_nop 1
	v_pk_mul_f32 v[52:53], s[10:11], v[4:5] op_sel_hi:[0,1]
	v_cvt_f32_i32_e32 v18, v18
	v_mfma_f32_16x16x16_f16 v[6:9], v[8:9], v[20:21], v[26:29]
	v_add_u32_e32 v19, 19, v51
	v_pk_mul_f32 v[34:35], s[10:11], v[16:17] op_sel_hi:[0,1]
	v_pk_mul_f32 v[36:37], s[10:11], v[14:15] op_sel_hi:[0,1]
	v_cvt_f32_i32_e32 v27, v22
	v_mfma_f32_16x16x16_f16 v[22:25], v[12:13], v[20:21], v[30:33]
	v_pk_mul_f32 v[12:13], s[10:11], v[2:3] op_sel_hi:[0,1]
	v_cvt_f32_i32_e32 v26, v46
	v_cvt_f32_i32_e32 v28, v47
	v_pk_mul_f32 v[46:47], s[10:11], v[8:9] op_sel_hi:[0,1]
	v_pk_mul_f32 v[48:49], s[10:11], v[6:7] op_sel_hi:[0,1]
	v_cvt_f32_i32_e32 v19, v19
	v_fma_f32 v46, v50, v18, v46
	v_add_u32_e32 v18, 34, v51
	v_cvt_f32_i32_e32 v18, v18
	v_fmac_f32_e32 v47, v50, v19
	v_add_u32_e32 v19, 35, v51
	v_cvt_f32_i32_e32 v19, v19
	v_pk_mul_f32 v[40:41], s[10:11], v[22:23] op_sel_hi:[0,1]
	v_pk_mul_f32 v[38:39], s[10:11], v[24:25] op_sel_hi:[0,1]
	v_fma_f32 v38, v50, v18, v38
	v_add_u32_e32 v18, 50, v51
	s_waitcnt vmcnt(3)
	v_mad_i64_i32 v[2:3], s[4:5], v55, s45, 0
	s_waitcnt vmcnt(2)
	v_mad_i64_i32 v[4:5], s[4:5], v72, s45, 0
	v_lshl_add_u64 v[16:17], v[2:3], 1, v[10:11]
	v_lshl_add_u64 v[14:15], v[4:5], 1, v[10:11]
	global_load_dwordx4 v[6:9], v[16:17], off
	global_load_dwordx4 v[2:5], v[16:17], off offset:16
	v_add_u32_e32 v16, 16, v51
	v_cvt_f32_i32_e32 v16, v16
	v_add_u32_e32 v17, 17, v51
	v_cvt_f32_i32_e32 v17, v17
	v_fmac_f32_e32 v39, v50, v19
	v_fma_f32 v48, v50, v16, v48
	v_add_u32_e32 v16, 32, v51
	v_fmac_f32_e32 v49, v50, v17
	v_cvt_f32_i32_e32 v16, v16
	v_add_u32_e32 v17, 33, v51
	v_cvt_f32_i32_e32 v17, v17
	v_cvt_f32_i32_e32 v18, v18
	v_fma_f32 v40, v50, v16, v40
	v_add_u32_e32 v16, 48, v51
	v_fmac_f32_e32 v41, v50, v17
	v_cvt_f32_i32_e32 v16, v16
	v_add_u32_e32 v17, 49, v51
	v_cvt_f32_i32_e32 v17, v17
	v_add_u32_e32 v19, 51, v51
	v_cvt_f32_i32_e32 v19, v19
	v_fma_f32 v12, v50, v58, v12
	v_fmac_f32_e32 v13, v50, v26
	v_fma_f32 v36, v50, v16, v36
	v_mov_b32_e32 v16, 0xff7fffff
	v_cmp_gt_i32_e64 s[4:5], s29, v56
	v_fmac_f32_e32 v37, v50, v17
	v_fma_f32 v34, v50, v18, v34
	v_cndmask_b32_e64 v17, v16, v12, s[4:5]
	v_cndmask_b32_e64 v18, v16, v13, s[34:35]
	v_fmac_f32_e32 v35, v50, v19
	v_max3_f32 v17, v17, s33, v18
	v_or_b32_e32 v18, 2, v56
	v_or_b32_e32 v19, 3, v56
	v_fma_f32 v52, v50, v27, v52
	v_fmac_f32_e32 v53, v50, v28
	v_cmp_gt_i32_e64 s[36:37], s29, v18
	v_cmp_gt_i32_e64 s[38:39], s29, v19
	global_load_dwordx4 v[30:33], v[14:15], off
	global_load_dwordx4 v[26:29], v[14:15], off offset:16
	v_cndmask_b32_e64 v18, v16, v52, s[36:37]
	v_cndmask_b32_e64 v19, v16, v53, s[38:39]
	v_max3_f32 v17, v17, v18, v19
	v_or_b32_e32 v18, 16, v56
	v_or_b32_e32 v19, 17, v56
	v_cmp_gt_i32_e64 s[24:25], s29, v18
	v_cmp_gt_i32_e64 s[26:27], s29, v19
	s_nop 0
	v_cndmask_b32_e64 v18, v16, v48, s[24:25]
	v_cndmask_b32_e64 v19, v16, v49, s[26:27]
	v_max3_f32 v17, v17, v18, v19
	v_or_b32_e32 v18, 18, v56
	v_or_b32_e32 v19, 19, v56
	v_cmp_gt_i32_e64 s[20:21], s29, v18
	v_cmp_gt_i32_e64 s[22:23], s29, v19
	s_nop 0
	;; [unrolled: 8-line block ×5, first 2 shown]
	v_cndmask_b32_e64 v18, v16, v36, s[8:9]
	v_cndmask_b32_e64 v19, v16, v37, s[10:11]
	v_max3_f32 v17, v17, v18, v19
	v_or_b32_e32 v18, 50, v56
	v_or_b32_e32 v19, 51, v56
	v_cmp_gt_i32_e32 vcc, s29, v18
	v_cmp_gt_i32_e64 s[6:7], s29, v19
	s_nop 0
	v_cndmask_b32_e32 v18, v16, v34, vcc
	v_cndmask_b32_e64 v16, v16, v35, s[6:7]
	v_max3_f32 v16, v17, v18, v16
	v_mbcnt_lo_u32_b32 v17, -1, 0
	v_mbcnt_hi_u32_b32 v17, -1, v17
	v_and_b32_e32 v18, 64, v17
	v_add_u32_e32 v18, 64, v18
	v_xor_b32_e32 v19, 32, v17
	v_cmp_lt_i32_e64 s[40:41], v19, v18
	s_nop 1
	v_cndmask_b32_e64 v19, v17, v19, s[40:41]
	v_lshlrev_b32_e32 v56, 2, v19
	ds_bpermute_b32 v19, v56, v16
	s_waitcnt vmcnt(5)
	v_mad_i64_i32 v[14:15], s[40:41], v59, s45, 0
	v_lshl_add_u64 v[14:15], v[14:15], 1, v[10:11]
	s_waitcnt lgkmcnt(0)
	v_max_f32_e32 v19, v19, v19
	v_max_f32_e32 v16, v16, v19
	v_xor_b32_e32 v19, 16, v17
	v_cmp_lt_i32_e64 s[40:41], v19, v18
	s_nop 1
	v_cndmask_b32_e64 v17, v17, v19, s[40:41]
	v_lshlrev_b32_e32 v57, 2, v17
	ds_bpermute_b32 v17, v57, v16
	global_load_dwordx4 v[22:25], v[14:15], off
	global_load_dwordx4 v[18:21], v[14:15], off offset:16
	s_waitcnt vmcnt(6)
	v_mad_i64_i32 v[14:15], s[40:41], v60, s45, 0
	v_lshl_add_u64 v[10:11], v[14:15], 1, v[10:11]
	s_waitcnt lgkmcnt(0)
	v_max_f32_e32 v14, v17, v17
	v_max_f32_e32 v55, v16, v14
	v_sub_f32_e32 v12, v12, v55
	v_mul_f32_e32 v12, 0x3fb8aa3b, v12
	v_exp_f32_e32 v50, v12
	v_sub_f32_e32 v12, v13, v55
	v_mul_f32_e32 v12, 0x3fb8aa3b, v12
	v_exp_f32_e32 v51, v12
	global_load_dwordx4 v[14:17], v[10:11], off
	s_nop 0
	global_load_dwordx4 v[10:13], v[10:11], off offset:16
	v_sub_f32_e32 v52, v52, v55
	v_mul_f32_e32 v52, 0x3fb8aa3b, v52
	v_sub_f32_e32 v53, v53, v55
	v_exp_f32_e32 v52, v52
	v_mul_f32_e32 v53, 0x3fb8aa3b, v53
	v_sub_f32_e32 v48, v48, v55
	v_exp_f32_e32 v53, v53
	v_mul_f32_e32 v48, 0x3fb8aa3b, v48
	v_sub_f32_e32 v49, v49, v55
	v_cndmask_b32_e64 v50, 0, v50, s[4:5]
	v_exp_f32_e32 v48, v48
	v_mul_f32_e32 v49, 0x3fb8aa3b, v49
	v_sub_f32_e32 v46, v46, v55
	v_add_f32_e32 v58, 0, v50
	v_cndmask_b32_e64 v51, 0, v51, s[34:35]
	v_exp_f32_e32 v49, v49
	v_mul_f32_e32 v46, 0x3fb8aa3b, v46
	v_sub_f32_e32 v47, v47, v55
	v_add_f32_e32 v58, v58, v51
	;; [unrolled: 5-line block ×10, first 2 shown]
	v_cndmask_b32_e64 v38, 0, v38, s[12:13]
	v_exp_f32_e32 v34, v34
	v_mul_f32_e32 v35, 0x3fb8aa3b, v35
	v_add_f32_e32 v58, v58, v38
	v_cndmask_b32_e64 v39, 0, v39, s[14:15]
	v_exp_f32_e32 v35, v35
	v_add_f32_e32 v58, v58, v39
	v_cndmask_b32_e64 v36, 0, v36, s[8:9]
	v_add_f32_e32 v58, v58, v36
	v_cndmask_b32_e64 v37, 0, v37, s[10:11]
	v_add_f32_e32 v58, v58, v37
	v_cndmask_b32_e32 v34, 0, v34, vcc
	v_add_f32_e32 v58, v58, v34
	v_cndmask_b32_e64 v35, 0, v35, s[6:7]
	v_add_f32_e32 v58, v58, v35
	ds_bpermute_b32 v56, v56, v58
	s_load_dword s7, s[0:1], 0x98
	v_cmp_gt_u32_e32 vcc, 16, v45
	v_lshlrev_b32_e32 v45, 2, v44
	s_waitcnt lgkmcnt(0)
	v_add_f32_e32 v56, v58, v56
	ds_bpermute_b32 v57, v57, v56
	s_barrier
	s_waitcnt lgkmcnt(0)
	s_and_saveexec_b64 s[4:5], vcc
	s_cbranch_execz .LBB121_17
; %bb.16:
	v_add_f32_e32 v56, v56, v57
	v_lshl_or_b32 v57, v1, 6, v45
	ds_write2st64_b32 v57, v55, v56 offset1:1
.LBB121_17:
	s_or_b64 exec, exec, s[4:5]
	s_load_dword s6, s[0:1], 0x94
	s_waitcnt lgkmcnt(0)
	s_barrier
	ds_read2_b32 v[56:57], v45 offset1:16
	ds_read2_b32 v[58:59], v45 offset0:32 offset1:48
	ds_read2_b32 v[60:61], v45 offset0:64 offset1:80
	ds_read2_b32 v[62:63], v45 offset0:96 offset1:112
	s_waitcnt lgkmcnt(0)
	v_max3_f32 v55, v56, s33, v57
	v_max3_f32 v55, v55, v58, v59
	v_sub_f32_e32 v56, v56, v55
	v_mul_f32_e32 v56, 0x3fb8aa3b, v56
	v_exp_f32_e32 v64, v56
	v_sub_f32_e32 v56, v57, v55
	v_mul_f32_e32 v56, 0x3fb8aa3b, v56
	v_exp_f32_e32 v57, v56
	v_sub_f32_e32 v56, v58, v55
	v_mul_f32_e32 v56, 0x3fb8aa3b, v56
	v_sub_f32_e32 v45, v59, v55
	v_exp_f32_e32 v58, v56
	v_mul_f32_e32 v45, 0x3fb8aa3b, v45
	v_exp_f32_e32 v45, v45
	v_fma_f32 v56, v64, v60, 0
	v_fmac_f32_e32 v56, v57, v61
	v_fmac_f32_e32 v56, v58, v62
	;; [unrolled: 1-line block ×3, first 2 shown]
	v_add_f32_e32 v59, 0x358637bd, v56
	v_div_scale_f32 v60, s[4:5], v59, v59, 1.0
	v_rcp_f32_e32 v61, v60
	s_barrier
	s_mul_i32 s7, s7, 10
	v_fma_f32 v62, -v60, v61, 1.0
	v_fmac_f32_e32 v61, v62, v61
	v_div_scale_f32 v62, vcc, 1.0, v59, 1.0
	v_mul_f32_e32 v63, v62, v61
	v_fma_f32 v65, -v60, v63, v62
	v_fmac_f32_e32 v63, v65, v61
	v_fma_f32 v60, -v60, v63, v62
	v_div_fmas_f32 v60, v60, v61, v63
	v_cmp_eq_u32_e32 vcc, 1, v1
	v_div_fixup_f32 v59, v60, v59, 1.0
	s_nop 0
	v_cndmask_b32_e32 v57, v64, v57, vcc
	v_cmp_eq_u32_e32 vcc, 2, v1
	s_nop 1
	v_cndmask_b32_e32 v57, v57, v58, vcc
	v_cmp_eq_u32_e32 vcc, 3, v1
	v_lshlrev_b32_e32 v1, 11, v1
	s_nop 0
	v_cndmask_b32_e32 v45, v57, v45, vcc
	v_mul_f32_e32 v58, v45, v59
	v_pk_mul_f32 v[52:53], v[58:59], v[52:53] op_sel_hi:[0,1]
	v_pk_mul_f32 v[50:51], v[58:59], v[50:51] op_sel_hi:[0,1]
	v_cvt_f16_f32_e32 v45, v50
	v_cvt_f16_f32_e32 v50, v51
	;; [unrolled: 1-line block ×4, first 2 shown]
	v_pk_mul_f32 v[46:47], v[58:59], v[46:47] op_sel_hi:[0,1]
	v_pk_mul_f32 v[48:49], v[58:59], v[48:49] op_sel_hi:[0,1]
	v_cvt_f16_f32_e32 v48, v48
	v_pack_b32_f16 v53, v51, v53
	v_cvt_f16_f32_e32 v49, v49
	v_cvt_f16_f32_e32 v51, v46
	;; [unrolled: 1-line block ×3, first 2 shown]
	v_pack_b32_f16 v52, v45, v50
	v_lshlrev_b32_e32 v45, 3, v54
	v_lshlrev_b32_e32 v50, 5, v44
	v_or3_b32 v1, v1, v50, v45
	v_pack_b32_f16 v46, v48, v49
	v_pack_b32_f16 v47, v51, v47
	v_pk_mul_f32 v[38:39], v[58:59], v[38:39] op_sel_hi:[0,1]
	v_pk_mul_f32 v[40:41], v[58:59], v[40:41] op_sel_hi:[0,1]
	;; [unrolled: 1-line block ×4, first 2 shown]
	ds_write2st64_b64 v1, v[52:53], v[46:47] offset1:1
	v_cvt_f16_f32_e32 v40, v40
	v_cvt_f16_f32_e32 v41, v41
	;; [unrolled: 1-line block ×8, first 2 shown]
	v_pack_b32_f16 v34, v40, v41
	v_pack_b32_f16 v35, v38, v39
	;; [unrolled: 1-line block ×4, first 2 shown]
	v_cmp_gt_u32_e32 vcc, 10, v0
	ds_write2st64_b64 v1, v[34:35], v[36:37] offset0:2 offset1:3
	s_and_saveexec_b64 s[4:5], vcc
	s_cbranch_execz .LBB121_19
; %bb.18:
	s_mov_b32 s43, 0
	v_mov_b32_e32 v45, 0
	v_lshl_add_u64 v[34:35], s[42:43], 0, v[44:45]
	v_mov_b32_e32 v36, s7
	v_mad_u64_u32 v[34:35], s[12:13], s2, v36, v[34:35]
	s_mul_i32 s3, s3, s7
	v_mov_b32_e32 v44, s28
	s_load_dwordx4 s[8:11], s[0:1], 0x58
	v_add_u32_e32 v37, s3, v35
	v_mad_u64_u32 v[34:35], s[12:13], v34, s6, v[44:45]
	v_mov_b32_e32 v36, v35
	v_mad_u64_u32 v[36:37], s[12:13], v37, s6, v[36:37]
	v_mov_b32_e32 v35, v36
	v_lshlrev_b64 v[34:35], 2, v[34:35]
	s_waitcnt lgkmcnt(0)
	v_lshl_add_u64 v[36:37], s[10:11], 0, v[34:35]
	v_lshl_add_u64 v[34:35], s[8:9], 0, v[34:35]
	global_store_dword v[36:37], v55, off
	global_store_dword v[34:35], v56, off
.LBB121_19:
	s_or_b64 exec, exec, s[4:5]
	v_lshl_or_b32 v48, v54, 9, v50
	s_waitcnt lgkmcnt(0)
	s_barrier
	ds_read_b128 v[34:37], v48
	ds_read_b128 v[38:41], v48 offset:16
	s_waitcnt vmcnt(7) lgkmcnt(1)
	v_mfma_f32_16x16x16_f16 v[44:47], v[6:7], v[34:35], 0
	v_cmp_gt_u32_e32 vcc, 64, v0
	s_mov_b32 s3, 0
	s_and_b64 s[4:5], vcc, s[30:31]
	v_mfma_f32_16x16x16_f16 v[6:9], v[8:9], v[36:37], v[44:47]
	s_waitcnt vmcnt(6) lgkmcnt(0)
	v_mfma_f32_16x16x16_f16 v[6:9], v[2:3], v[38:39], v[6:9]
	v_mfma_f32_16x16x16_f16 v[2:5], v[4:5], v[40:41], v[6:9]
	s_nop 5
	ds_read_b128 v[6:9], v48 offset:2048
	ds_read_b128 v[34:37], v48 offset:2064
	s_waitcnt vmcnt(5) lgkmcnt(1)
	v_mfma_f32_16x16x16_f16 v[2:5], v[30:31], v[6:7], v[2:5]
	v_mfma_f32_16x16x16_f16 v[2:5], v[32:33], v[8:9], v[2:5]
	s_waitcnt vmcnt(4) lgkmcnt(0)
	v_mfma_f32_16x16x16_f16 v[2:5], v[26:27], v[34:35], v[2:5]
	v_mfma_f32_16x16x16_f16 v[2:5], v[28:29], v[36:37], v[2:5]
	ds_read_b128 v[6:9], v48 offset:4096
	ds_read_b128 v[26:29], v48 offset:4112
	s_waitcnt vmcnt(3) lgkmcnt(1)
	v_mfma_f32_16x16x16_f16 v[2:5], v[22:23], v[6:7], v[2:5]
	v_mfma_f32_16x16x16_f16 v[2:5], v[24:25], v[8:9], v[2:5]
	s_waitcnt vmcnt(2) lgkmcnt(0)
	v_mfma_f32_16x16x16_f16 v[2:5], v[18:19], v[26:27], v[2:5]
	v_mfma_f32_16x16x16_f16 v[2:5], v[20:21], v[28:29], v[2:5]
	ds_read_b128 v[6:9], v48 offset:6144
	ds_read_b128 v[18:21], v48 offset:6160
	s_waitcnt lgkmcnt(0)
	s_barrier
	s_waitcnt vmcnt(1)
	v_mfma_f32_16x16x16_f16 v[2:5], v[14:15], v[6:7], v[2:5]
	v_mfma_f32_16x16x16_f16 v[2:5], v[16:17], v[8:9], v[2:5]
	s_waitcnt vmcnt(0)
	v_mfma_f32_16x16x16_f16 v[2:5], v[10:11], v[18:19], v[2:5]
	v_mfma_f32_16x16x16_f16 v[2:5], v[12:13], v[20:21], v[2:5]
	s_nop 6
	v_cvt_f16_f32_e32 v2, v2
	v_cvt_f16_f32_e32 v3, v3
	;; [unrolled: 1-line block ×4, first 2 shown]
	v_pack_b32_f16 v2, v2, v3
	v_pack_b32_f16 v3, v4, v5
	ds_write_b64 v1, v[2:3]
	s_waitcnt lgkmcnt(0)
	s_barrier
	s_and_saveexec_b64 s[8:9], s[4:5]
	s_cbranch_execz .LBB121_22
; %bb.20:
	s_load_dwordx2 s[4:5], s[0:1], 0x68
	s_lshl_b32 s0, s6, 6
	s_mul_i32 s1, s7, s2
	s_mul_hi_u32 s7, s1, s0
	s_mul_i32 s6, s1, s0
	v_lshlrev_b32_e32 v1, 10, v0
	v_lshlrev_b32_e32 v0, 4, v0
	s_lshl_b64 s[6:7], s[6:7], 1
	v_and_b32_e32 v1, 0x1800, v1
	v_lshlrev_b32_e32 v2, 5, v54
	v_and_b32_e32 v0, 16, v0
	s_waitcnt lgkmcnt(0)
	s_add_u32 s1, s4, s6
	v_or3_b32 v2, v1, v2, v0
	s_addc_u32 s4, s5, s7
	s_lshl_b32 s2, s28, 6
	s_lshl_b64 s[2:3], s[2:3], 1
	ds_read_b128 v[4:7], v2 offset:128
	ds_read_b128 v[8:11], v2
	s_add_u32 s2, s1, s2
	s_addc_u32 s3, s4, s3
	v_add_u32_e32 v14, s42, v54
	v_lshl_add_u64 v[0:1], v[42:43], 1, s[2:3]
	v_mad_u64_u32 v[12:13], s[2:3], v14, s0, 0
	v_lshl_add_u64 v[12:13], v[12:13], 1, v[0:1]
	s_waitcnt lgkmcnt(0)
	global_store_dwordx4 v[12:13], v[8:11], off
	v_or_b32_e32 v3, 8, v54
	v_cmp_gt_u32_e32 vcc, 10, v3
	v_add_u32_e32 v8, 4, v14
	v_mad_u64_u32 v[8:9], s[2:3], v8, s0, 0
	v_lshl_add_u64 v[8:9], v[8:9], 1, v[0:1]
	global_store_dwordx4 v[8:9], v[4:7], off
	s_and_b64 exec, exec, vcc
	s_cbranch_execz .LBB121_22
; %bb.21:
	ds_read_b128 v[4:7], v2 offset:256
	v_add_u32_e32 v2, s42, v3
	v_mad_u64_u32 v[2:3], s[0:1], v2, s0, 0
	v_lshl_add_u64 v[0:1], v[2:3], 1, v[0:1]
	s_waitcnt lgkmcnt(0)
	global_store_dwordx4 v[0:1], v[4:7], off
.LBB121_22:
	s_endpgm
	.section	.rodata,"a",@progbits
	.p2align	6, 0x0
	.amdhsa_kernel _Z39paged_attention_ll4mi_QKV_mfma16_kernelIDF16_DF16_LN4vllm18Fp8KVCacheDataTypeE0EhLi32ELi64ELi256ELb1ELi10EEvPKT_PKT0_S7_ifPKiS9_S9_iPKfiiiPfSC_PS2_PT2_iSB_SB_
		.amdhsa_group_segment_fixed_size 8192
		.amdhsa_private_segment_fixed_size 0
		.amdhsa_kernarg_size 400
		.amdhsa_user_sgpr_count 2
		.amdhsa_user_sgpr_dispatch_ptr 0
		.amdhsa_user_sgpr_queue_ptr 0
		.amdhsa_user_sgpr_kernarg_segment_ptr 1
		.amdhsa_user_sgpr_dispatch_id 0
		.amdhsa_user_sgpr_kernarg_preload_length 0
		.amdhsa_user_sgpr_kernarg_preload_offset 0
		.amdhsa_user_sgpr_private_segment_size 0
		.amdhsa_uses_dynamic_stack 0
		.amdhsa_enable_private_segment 0
		.amdhsa_system_sgpr_workgroup_id_x 1
		.amdhsa_system_sgpr_workgroup_id_y 1
		.amdhsa_system_sgpr_workgroup_id_z 1
		.amdhsa_system_sgpr_workgroup_info 0
		.amdhsa_system_vgpr_workitem_id 0
		.amdhsa_next_free_vgpr 73
		.amdhsa_next_free_sgpr 48
		.amdhsa_accum_offset 76
		.amdhsa_reserve_vcc 1
		.amdhsa_float_round_mode_32 0
		.amdhsa_float_round_mode_16_64 0
		.amdhsa_float_denorm_mode_32 3
		.amdhsa_float_denorm_mode_16_64 3
		.amdhsa_dx10_clamp 1
		.amdhsa_ieee_mode 1
		.amdhsa_fp16_overflow 0
		.amdhsa_tg_split 0
		.amdhsa_exception_fp_ieee_invalid_op 0
		.amdhsa_exception_fp_denorm_src 0
		.amdhsa_exception_fp_ieee_div_zero 0
		.amdhsa_exception_fp_ieee_overflow 0
		.amdhsa_exception_fp_ieee_underflow 0
		.amdhsa_exception_fp_ieee_inexact 0
		.amdhsa_exception_int_div_zero 0
	.end_amdhsa_kernel
	.section	.text._Z39paged_attention_ll4mi_QKV_mfma16_kernelIDF16_DF16_LN4vllm18Fp8KVCacheDataTypeE0EhLi32ELi64ELi256ELb1ELi10EEvPKT_PKT0_S7_ifPKiS9_S9_iPKfiiiPfSC_PS2_PT2_iSB_SB_,"axG",@progbits,_Z39paged_attention_ll4mi_QKV_mfma16_kernelIDF16_DF16_LN4vllm18Fp8KVCacheDataTypeE0EhLi32ELi64ELi256ELb1ELi10EEvPKT_PKT0_S7_ifPKiS9_S9_iPKfiiiPfSC_PS2_PT2_iSB_SB_,comdat
.Lfunc_end121:
	.size	_Z39paged_attention_ll4mi_QKV_mfma16_kernelIDF16_DF16_LN4vllm18Fp8KVCacheDataTypeE0EhLi32ELi64ELi256ELb1ELi10EEvPKT_PKT0_S7_ifPKiS9_S9_iPKfiiiPfSC_PS2_PT2_iSB_SB_, .Lfunc_end121-_Z39paged_attention_ll4mi_QKV_mfma16_kernelIDF16_DF16_LN4vllm18Fp8KVCacheDataTypeE0EhLi32ELi64ELi256ELb1ELi10EEvPKT_PKT0_S7_ifPKiS9_S9_iPKfiiiPfSC_PS2_PT2_iSB_SB_
                                        ; -- End function
	.section	.AMDGPU.csdata,"",@progbits
; Kernel info:
; codeLenInByte = 4172
; NumSgprs: 54
; NumVgprs: 73
; NumAgprs: 0
; TotalNumVgprs: 73
; ScratchSize: 0
; MemoryBound: 0
; FloatMode: 240
; IeeeMode: 1
; LDSByteSize: 8192 bytes/workgroup (compile time only)
; SGPRBlocks: 6
; VGPRBlocks: 9
; NumSGPRsForWavesPerEU: 54
; NumVGPRsForWavesPerEU: 73
; AccumOffset: 76
; Occupancy: 6
; WaveLimiterHint : 1
; COMPUTE_PGM_RSRC2:SCRATCH_EN: 0
; COMPUTE_PGM_RSRC2:USER_SGPR: 2
; COMPUTE_PGM_RSRC2:TRAP_HANDLER: 0
; COMPUTE_PGM_RSRC2:TGID_X_EN: 1
; COMPUTE_PGM_RSRC2:TGID_Y_EN: 1
; COMPUTE_PGM_RSRC2:TGID_Z_EN: 1
; COMPUTE_PGM_RSRC2:TIDIG_COMP_CNT: 0
; COMPUTE_PGM_RSRC3_GFX90A:ACCUM_OFFSET: 18
; COMPUTE_PGM_RSRC3_GFX90A:TG_SPLIT: 0
	.section	.text._Z39paged_attention_ll4mi_QKV_mfma16_kernelIDF16_DF16_LN4vllm18Fp8KVCacheDataTypeE0EhLi32ELi64ELi256ELb1ELi11EEvPKT_PKT0_S7_ifPKiS9_S9_iPKfiiiPfSC_PS2_PT2_iSB_SB_,"axG",@progbits,_Z39paged_attention_ll4mi_QKV_mfma16_kernelIDF16_DF16_LN4vllm18Fp8KVCacheDataTypeE0EhLi32ELi64ELi256ELb1ELi11EEvPKT_PKT0_S7_ifPKiS9_S9_iPKfiiiPfSC_PS2_PT2_iSB_SB_,comdat
	.protected	_Z39paged_attention_ll4mi_QKV_mfma16_kernelIDF16_DF16_LN4vllm18Fp8KVCacheDataTypeE0EhLi32ELi64ELi256ELb1ELi11EEvPKT_PKT0_S7_ifPKiS9_S9_iPKfiiiPfSC_PS2_PT2_iSB_SB_ ; -- Begin function _Z39paged_attention_ll4mi_QKV_mfma16_kernelIDF16_DF16_LN4vllm18Fp8KVCacheDataTypeE0EhLi32ELi64ELi256ELb1ELi11EEvPKT_PKT0_S7_ifPKiS9_S9_iPKfiiiPfSC_PS2_PT2_iSB_SB_
	.globl	_Z39paged_attention_ll4mi_QKV_mfma16_kernelIDF16_DF16_LN4vllm18Fp8KVCacheDataTypeE0EhLi32ELi64ELi256ELb1ELi11EEvPKT_PKT0_S7_ifPKiS9_S9_iPKfiiiPfSC_PS2_PT2_iSB_SB_
	.p2align	8
	.type	_Z39paged_attention_ll4mi_QKV_mfma16_kernelIDF16_DF16_LN4vllm18Fp8KVCacheDataTypeE0EhLi32ELi64ELi256ELb1ELi11EEvPKT_PKT0_S7_ifPKiS9_S9_iPKfiiiPfSC_PS2_PT2_iSB_SB_,@function
_Z39paged_attention_ll4mi_QKV_mfma16_kernelIDF16_DF16_LN4vllm18Fp8KVCacheDataTypeE0EhLi32ELi64ELi256ELb1ELi11EEvPKT_PKT0_S7_ifPKiS9_S9_iPKfiiiPfSC_PS2_PT2_iSB_SB_: ; @_Z39paged_attention_ll4mi_QKV_mfma16_kernelIDF16_DF16_LN4vllm18Fp8KVCacheDataTypeE0EhLi32ELi64ELi256ELb1ELi11EEvPKT_PKT0_S7_ifPKiS9_S9_iPKfiiiPfSC_PS2_PT2_iSB_SB_
; %bb.0:
	s_load_dwordx2 s[6:7], s[0:1], 0x30
	s_mov_b32 s28, s3
	s_mov_b64 s[8:9], 0
	s_waitcnt lgkmcnt(0)
	s_cmp_lg_u64 s[6:7], 0
	s_cselect_b64 s[10:11], -1, 0
	s_and_b64 vcc, exec, s[10:11]
	s_cbranch_vccz .LBB122_7
; %bb.1:
	s_add_i32 s12, s2, 1
	s_mov_b32 s13, 0
	s_lshl_b64 s[14:15], s[12:13], 2
	s_add_u32 s14, s6, s14
	s_mov_b32 s3, s13
	s_addc_u32 s15, s7, s15
	s_lshl_b64 s[12:13], s[2:3], 2
	s_add_u32 s12, s6, s12
	s_addc_u32 s13, s7, s13
	s_load_dword s5, s[14:15], 0x0
	s_load_dword s16, s[12:13], 0x0
	s_waitcnt lgkmcnt(0)
	s_sub_i32 s5, s5, s16
	s_cmp_eq_u32 s5, 1
	s_cselect_b64 s[12:13], -1, 0
	s_andn2_b64 vcc, exec, s[8:9]
	s_cbranch_vccnz .LBB122_3
.LBB122_2:
	s_mov_b32 s3, 0
	s_mov_b64 s[12:13], -1
.LBB122_3:
	s_andn2_b64 vcc, exec, s[12:13]
	s_cbranch_vccnz .LBB122_22
; %bb.4:
	s_load_dwordx2 s[8:9], s[0:1], 0x28
	s_lshl_b64 s[12:13], s[2:3], 2
	s_waitcnt lgkmcnt(0)
	s_add_u32 s8, s8, s12
	s_addc_u32 s9, s9, s13
	s_load_dword s29, s[8:9], 0x0
	s_lshl_b32 s14, s28, 8
	s_waitcnt lgkmcnt(0)
	s_cmp_ge_i32 s14, s29
	s_cbranch_scc1 .LBB122_22
; %bb.5:
	s_load_dwordx2 s[8:9], s[0:1], 0x20
	s_load_dword s5, s[0:1], 0x38
	s_add_i32 s15, s29, 31
	s_ashr_i32 s16, s15, 31
	v_and_b32_e32 v1, 0xcf, v0
	s_lshr_b32 s16, s16, 27
	v_add_u32_e32 v1, s14, v1
	s_add_i32 s15, s15, s16
	v_ashrrev_i32_e32 v2, 31, v1
	s_ashr_i32 s15, s15, 5
	v_lshrrev_b32_e32 v6, 27, v2
	s_add_i32 s15, s15, -1
	s_waitcnt lgkmcnt(0)
	s_mul_i32 s16, s2, s5
	s_mov_b32 s17, 0
	v_add_u32_e32 v2, v1, v6
	s_lshl_b64 s[16:17], s[16:17], 2
	v_ashrrev_i32_e32 v2, 5, v2
	v_mov_b32_e32 v7, s15
	v_cmp_gt_i32_e32 vcc, s29, v1
	s_add_u32 s8, s8, s16
	s_addc_u32 s9, s9, s17
	v_cndmask_b32_e32 v2, v7, v2, vcc
	v_ashrrev_i32_e32 v3, 31, v2
	v_lshl_add_u64 v[4:5], v[2:3], 2, s[8:9]
	v_or_b32_e32 v2, 16, v1
	v_add_u32_e32 v3, v2, v6
	v_ashrrev_i32_e32 v3, 5, v3
	v_cmp_gt_i32_e32 vcc, s29, v2
	s_nop 1
	v_cndmask_b32_e32 v2, v7, v3, vcc
	v_ashrrev_i32_e32 v3, 31, v2
	v_lshl_add_u64 v[8:9], v[2:3], 2, s[8:9]
	v_or_b32_e32 v2, 32, v1
	v_add_u32_e32 v3, v2, v6
	v_ashrrev_i32_e32 v3, 5, v3
	v_cmp_gt_i32_e32 vcc, s29, v2
	v_or_b32_e32 v1, 48, v1
	s_nop 0
	v_cndmask_b32_e32 v2, v7, v3, vcc
	v_ashrrev_i32_e32 v3, 31, v2
	v_lshl_add_u64 v[12:13], v[2:3], 2, s[8:9]
	v_add_u32_e32 v2, v1, v6
	v_ashrrev_i32_e32 v2, 5, v2
	v_cmp_gt_i32_e32 vcc, s29, v1
	s_nop 1
	v_cndmask_b32_e32 v2, v7, v2, vcc
	v_ashrrev_i32_e32 v3, 31, v2
	v_lshl_add_u64 v[16:17], v[2:3], 2, s[8:9]
	global_load_dword v2, v[4:5], off
	global_load_dword v6, v[8:9], off
	global_load_dword v10, v[12:13], off
	global_load_dword v14, v[16:17], off
	s_andn2_b64 vcc, exec, s[10:11]
	s_cbranch_vccnz .LBB122_8
; %bb.6:
	s_add_u32 s6, s6, s12
	s_addc_u32 s7, s7, s13
	s_load_dword s5, s[6:7], 0x0
	s_branch .LBB122_9
.LBB122_7:
	s_mov_b64 s[12:13], 0
	s_branch .LBB122_2
.LBB122_8:
	s_mov_b32 s5, s2
.LBB122_9:
	s_load_dwordx2 s[10:11], s[0:1], 0x8
	s_load_dwordx4 s[44:47], s[0:1], 0x48
	v_lshrrev_b32_e32 v1, 6, v0
	v_bfe_u32 v54, v0, 4, 2
	v_lshl_or_b32 v3, v1, 2, v54
	v_and_b32_e32 v44, 15, v0
	v_cmp_lt_u32_e32 vcc, 10, v3
	v_cmp_lt_u32_e64 s[6:7], 7, v44
	v_lshlrev_b32_e32 v42, 3, v44
	v_cmp_gt_u32_e64 s[30:31], 8, v44
	s_or_b64 s[6:7], s[6:7], vcc
	s_and_saveexec_b64 s[12:13], s[6:7]
	s_xor_b64 s[6:7], exec, s[12:13]
; %bb.10:
	v_mov_b32_e32 v43, 0
                                        ; implicit-def: $vgpr3
; %bb.11:
	s_or_saveexec_b64 s[12:13], s[6:7]
	s_load_dwordx2 s[6:7], s[0:1], 0x10
	s_mul_i32 s42, s4, 11
	s_xor_b64 exec, exec, s[12:13]
	s_cbranch_execz .LBB122_13
; %bb.12:
	s_load_dwordx2 s[16:17], s[0:1], 0x0
	s_waitcnt lgkmcnt(0)
	s_ashr_i32 s18, s44, 31
	s_mul_hi_u32 s19, s5, s44
	s_mul_i32 s18, s5, s18
	s_add_i32 s19, s19, s18
	s_mul_i32 s18, s5, s44
	s_lshl_b64 s[18:19], s[18:19], 1
	s_add_u32 s16, s16, s18
	v_add_lshl_u32 v4, v3, s42, 6
	s_addc_u32 s17, s17, s19
	v_ashrrev_i32_e32 v5, 31, v4
	v_mov_b32_e32 v43, 0
	v_lshl_add_u64 v[4:5], v[4:5], 1, s[16:17]
	v_lshlrev_b32_e32 v8, 1, v42
	v_mov_b32_e32 v9, v43
	v_lshl_add_u64 v[4:5], v[4:5], 0, v[8:9]
	global_load_dwordx4 v[16:19], v[4:5], off
	v_and_b32_e32 v4, 3, v0
	v_lshlrev_b32_e32 v5, 9, v44
	v_lshlrev_b32_e32 v3, 5, v3
	;; [unrolled: 1-line block ×3, first 2 shown]
	v_and_b32_e32 v5, 0x1800, v5
	v_or3_b32 v3, v5, v4, v3
	s_waitcnt vmcnt(0)
	ds_write_b128 v3, v[16:19]
.LBB122_13:
	s_or_b64 exec, exec, s[12:13]
	s_waitcnt lgkmcnt(0)
	s_mul_i32 s4, s4, s46
	s_mov_b32 s5, 0
	s_lshl_b64 s[4:5], s[4:5], 1
	s_add_u32 s10, s10, s4
	s_addc_u32 s11, s11, s5
	s_waitcnt vmcnt(3)
	v_mad_i64_i32 v[2:3], s[12:13], v2, s45, 0
	v_lshl_add_u64 v[2:3], v[2:3], 1, s[10:11]
	v_lshlrev_b64 v[12:13], 1, v[42:43]
	v_lshlrev_b32_e32 v46, 9, v54
	v_lshl_add_u64 v[2:3], v[2:3], 0, v[12:13]
	v_mov_b32_e32 v47, 0
	v_lshl_add_u64 v[8:9], v[2:3], 0, v[46:47]
	s_barrier
	global_load_dwordx4 v[22:25], v[8:9], off
	global_load_dwordx4 v[2:5], v[8:9], off offset:2048
	s_waitcnt vmcnt(4)
	v_mad_i64_i32 v[6:7], s[12:13], v6, s45, 0
	v_mov_b32_e32 v8, 0x100
	v_lshl_add_u64 v[6:7], v[6:7], 1, s[10:11]
	v_lshl_or_b32 v16, v44, 4, v8
	v_mov_b32_e32 v17, v47
	s_waitcnt vmcnt(3)
	v_mad_i64_i32 v[10:11], s[12:13], v10, s45, 0
	v_lshl_add_u64 v[6:7], v[6:7], 0, v[16:17]
	v_lshl_add_u64 v[10:11], v[10:11], 1, s[10:11]
	s_waitcnt vmcnt(2)
	v_mad_i64_i32 v[14:15], s[12:13], v14, s45, 0
	v_lshl_add_u64 v[18:19], v[6:7], 0, v[46:47]
	v_lshl_add_u64 v[10:11], v[10:11], 0, v[12:13]
	v_lshl_add_u64 v[14:15], v[14:15], 1, s[10:11]
	global_load_dwordx4 v[26:29], v[18:19], off
	global_load_dwordx4 v[6:9], v[18:19], off offset:2048
	v_lshl_add_u64 v[18:19], v[10:11], 0, v[46:47]
	v_lshl_add_u64 v[14:15], v[14:15], 0, v[16:17]
	global_load_dwordx4 v[30:33], v[18:19], off
	global_load_dwordx4 v[10:13], v[18:19], off offset:2048
	v_lshl_add_u64 v[18:19], v[14:15], 0, v[46:47]
	global_load_dwordx4 v[34:37], v[18:19], off
	global_load_dwordx4 v[14:17], v[18:19], off offset:2048
	v_add_u32_e32 v18, -11, v44
	v_cmp_gt_u32_e32 vcc, 11, v44
	v_and_b32_e32 v45, 63, v0
	v_mov_b32_e32 v50, 0
	v_cndmask_b32_e32 v18, v18, v44, vcc
	v_lshl_add_u32 v18, v18, 5, v46
	ds_read_b128 v[38:41], v18
	ds_read_b128 v[18:21], v18 offset:2048
	s_and_saveexec_b64 s[10:11], vcc
	s_cbranch_execz .LBB122_15
; %bb.14:
	s_load_dwordx2 s[12:13], s[0:1], 0x40
	v_add_u32_e32 v48, s42, v44
	v_ashrrev_i32_e32 v49, 31, v48
	s_waitcnt lgkmcnt(0)
	v_lshl_add_u64 v[48:49], v[48:49], 2, s[12:13]
	global_load_dword v50, v[48:49], off
.LBB122_15:
	s_or_b64 exec, exec, s[10:11]
	s_ashr_i32 s10, s14, 31
	v_and_or_b32 v46, v0, 48, s14
	s_lshr_b32 s11, s10, 27
	v_add_u32_e32 v48, s11, v46
	v_or_b32_e32 v52, 64, v46
	v_ashrrev_i32_e32 v48, 5, v48
	v_mov_b32_e32 v51, s15
	v_cmp_gt_i32_e32 vcc, s29, v46
	v_add_u32_e32 v53, s11, v52
	s_waitcnt vmcnt(7) lgkmcnt(1)
	v_mfma_f32_16x16x16_f16 v[56:59], v[22:23], v[38:39], 0
	v_cndmask_b32_e32 v48, v51, v48, vcc
	v_ashrrev_i32_e32 v22, 5, v53
	v_cmp_gt_i32_e32 vcc, s29, v52
	v_ashrrev_i32_e32 v49, 31, v48
	v_lshl_add_u64 v[48:49], v[48:49], 2, s[8:9]
	v_cndmask_b32_e32 v22, v51, v22, vcc
	v_ashrrev_i32_e32 v23, 31, v22
	v_lshl_add_u64 v[22:23], v[22:23], 2, s[8:9]
	global_load_dword v55, v[48:49], off
	global_load_dword v72, v[22:23], off
	s_waitcnt vmcnt(3)
	v_mfma_f32_16x16x16_f16 v[68:71], v[34:35], v[38:39], 0
	v_or_b32_e32 v48, 0xc0, v46
	v_add_u32_e32 v52, s11, v48
	s_add_u32 s4, s6, s4
	v_mfma_f32_16x16x16_f16 v[60:63], v[26:27], v[38:39], 0
	s_addc_u32 s5, s7, s5
	s_load_dword s10, s[0:1], 0x1c
	s_mov_b32 s33, 0xff7fffff
	v_mfma_f32_16x16x16_f16 v[64:67], v[30:31], v[38:39], 0
	v_and_b32_e32 v31, 0xc0, v0
	v_or_b32_e32 v38, 0x80, v46
	v_add_u32_e32 v34, s14, v31
	v_mfma_f32_16x16x16_f16 v[22:25], v[24:25], v[40:41], v[56:59]
	v_and_b32_e32 v30, 16, v0
	v_add_u32_e32 v49, s11, v38
	v_lshlrev_b32_e32 v46, 1, v30
	v_lshl_or_b32 v56, v54, 2, v34
	v_mfma_f32_16x16x16_f16 v[34:37], v[36:37], v[40:41], v[68:71]
	v_cmp_gt_i32_e32 vcc, s29, v38
	v_lshlrev_b32_e32 v39, 6, v44
	v_or_b32_e32 v57, 1, v56
	v_mfma_f32_16x16x16_f16 v[26:29], v[28:29], v[40:41], v[60:63]
	v_cmp_gt_i32_e64 s[34:35], s29, v57
	v_mfma_f32_16x16x16_f16 v[30:33], v[32:33], v[40:41], v[64:67]
	v_ashrrev_i32_e32 v40, 5, v49
	v_ashrrev_i32_e32 v41, 5, v52
	v_cndmask_b32_e32 v38, v51, v40, vcc
	v_cmp_gt_i32_e32 vcc, s29, v48
	s_waitcnt lgkmcnt(0)
	v_mfma_f32_16x16x16_f16 v[22:25], v[2:3], v[18:19], v[22:25]
	v_lshl_add_u64 v[2:3], s[4:5], 0, v[46:47]
	v_cndmask_b32_e32 v40, v51, v41, vcc
	v_lshl_or_b32 v46, v1, 10, v39
	v_ashrrev_i32_e32 v39, 31, v38
	v_ashrrev_i32_e32 v41, 31, v40
	s_waitcnt vmcnt(2)
	v_mfma_f32_16x16x16_f16 v[34:37], v[14:15], v[18:19], v[34:37]
	v_lshl_add_u64 v[14:15], v[38:39], 2, s[8:9]
	v_subrev_u32_e32 v51, s29, v57
	v_cvt_f32_i32_e32 v58, v51
	v_mfma_f32_16x16x16_f16 v[26:29], v[6:7], v[18:19], v[26:29]
	v_mfma_f32_16x16x16_f16 v[30:33], v[10:11], v[18:19], v[30:33]
	v_lshl_add_u64 v[18:19], v[40:41], 2, s[8:9]
	global_load_dword v59, v[14:15], off
	global_load_dword v60, v[18:19], off
	v_lshl_add_u64 v[10:11], v[2:3], 0, v[46:47]
	v_mfma_f32_16x16x16_f16 v[2:5], v[4:5], v[20:21], v[22:25]
	v_add_u32_e32 v46, 1, v51
	v_add_u32_e32 v47, 3, v51
	;; [unrolled: 1-line block ×3, first 2 shown]
	v_mfma_f32_16x16x16_f16 v[14:17], v[16:17], v[20:21], v[34:37]
	v_add_u32_e32 v22, 2, v51
	s_nop 1
	v_pk_mul_f32 v[52:53], s[10:11], v[4:5] op_sel_hi:[0,1]
	v_cvt_f32_i32_e32 v18, v18
	v_mfma_f32_16x16x16_f16 v[6:9], v[8:9], v[20:21], v[26:29]
	v_add_u32_e32 v19, 19, v51
	v_pk_mul_f32 v[34:35], s[10:11], v[16:17] op_sel_hi:[0,1]
	v_pk_mul_f32 v[36:37], s[10:11], v[14:15] op_sel_hi:[0,1]
	v_cvt_f32_i32_e32 v27, v22
	v_mfma_f32_16x16x16_f16 v[22:25], v[12:13], v[20:21], v[30:33]
	v_pk_mul_f32 v[12:13], s[10:11], v[2:3] op_sel_hi:[0,1]
	v_cvt_f32_i32_e32 v26, v46
	v_cvt_f32_i32_e32 v28, v47
	v_pk_mul_f32 v[46:47], s[10:11], v[8:9] op_sel_hi:[0,1]
	v_pk_mul_f32 v[48:49], s[10:11], v[6:7] op_sel_hi:[0,1]
	v_cvt_f32_i32_e32 v19, v19
	v_fma_f32 v46, v50, v18, v46
	v_add_u32_e32 v18, 34, v51
	v_cvt_f32_i32_e32 v18, v18
	v_fmac_f32_e32 v47, v50, v19
	v_add_u32_e32 v19, 35, v51
	v_cvt_f32_i32_e32 v19, v19
	v_pk_mul_f32 v[40:41], s[10:11], v[22:23] op_sel_hi:[0,1]
	v_pk_mul_f32 v[38:39], s[10:11], v[24:25] op_sel_hi:[0,1]
	v_fma_f32 v38, v50, v18, v38
	v_add_u32_e32 v18, 50, v51
	s_waitcnt vmcnt(3)
	v_mad_i64_i32 v[2:3], s[4:5], v55, s45, 0
	s_waitcnt vmcnt(2)
	v_mad_i64_i32 v[4:5], s[4:5], v72, s45, 0
	v_lshl_add_u64 v[16:17], v[2:3], 1, v[10:11]
	v_lshl_add_u64 v[14:15], v[4:5], 1, v[10:11]
	global_load_dwordx4 v[6:9], v[16:17], off
	global_load_dwordx4 v[2:5], v[16:17], off offset:16
	v_add_u32_e32 v16, 16, v51
	v_cvt_f32_i32_e32 v16, v16
	v_add_u32_e32 v17, 17, v51
	v_cvt_f32_i32_e32 v17, v17
	v_fmac_f32_e32 v39, v50, v19
	v_fma_f32 v48, v50, v16, v48
	v_add_u32_e32 v16, 32, v51
	v_fmac_f32_e32 v49, v50, v17
	v_cvt_f32_i32_e32 v16, v16
	v_add_u32_e32 v17, 33, v51
	v_cvt_f32_i32_e32 v17, v17
	v_cvt_f32_i32_e32 v18, v18
	v_fma_f32 v40, v50, v16, v40
	v_add_u32_e32 v16, 48, v51
	v_fmac_f32_e32 v41, v50, v17
	v_cvt_f32_i32_e32 v16, v16
	v_add_u32_e32 v17, 49, v51
	v_cvt_f32_i32_e32 v17, v17
	v_add_u32_e32 v19, 51, v51
	v_cvt_f32_i32_e32 v19, v19
	v_fma_f32 v12, v50, v58, v12
	v_fmac_f32_e32 v13, v50, v26
	v_fma_f32 v36, v50, v16, v36
	v_mov_b32_e32 v16, 0xff7fffff
	v_cmp_gt_i32_e64 s[4:5], s29, v56
	v_fmac_f32_e32 v37, v50, v17
	v_fma_f32 v34, v50, v18, v34
	v_cndmask_b32_e64 v17, v16, v12, s[4:5]
	v_cndmask_b32_e64 v18, v16, v13, s[34:35]
	v_fmac_f32_e32 v35, v50, v19
	v_max3_f32 v17, v17, s33, v18
	v_or_b32_e32 v18, 2, v56
	v_or_b32_e32 v19, 3, v56
	v_fma_f32 v52, v50, v27, v52
	v_fmac_f32_e32 v53, v50, v28
	v_cmp_gt_i32_e64 s[36:37], s29, v18
	v_cmp_gt_i32_e64 s[38:39], s29, v19
	global_load_dwordx4 v[30:33], v[14:15], off
	global_load_dwordx4 v[26:29], v[14:15], off offset:16
	v_cndmask_b32_e64 v18, v16, v52, s[36:37]
	v_cndmask_b32_e64 v19, v16, v53, s[38:39]
	v_max3_f32 v17, v17, v18, v19
	v_or_b32_e32 v18, 16, v56
	v_or_b32_e32 v19, 17, v56
	v_cmp_gt_i32_e64 s[24:25], s29, v18
	v_cmp_gt_i32_e64 s[26:27], s29, v19
	s_nop 0
	v_cndmask_b32_e64 v18, v16, v48, s[24:25]
	v_cndmask_b32_e64 v19, v16, v49, s[26:27]
	v_max3_f32 v17, v17, v18, v19
	v_or_b32_e32 v18, 18, v56
	v_or_b32_e32 v19, 19, v56
	v_cmp_gt_i32_e64 s[20:21], s29, v18
	v_cmp_gt_i32_e64 s[22:23], s29, v19
	s_nop 0
	;; [unrolled: 8-line block ×5, first 2 shown]
	v_cndmask_b32_e64 v18, v16, v36, s[8:9]
	v_cndmask_b32_e64 v19, v16, v37, s[10:11]
	v_max3_f32 v17, v17, v18, v19
	v_or_b32_e32 v18, 50, v56
	v_or_b32_e32 v19, 51, v56
	v_cmp_gt_i32_e32 vcc, s29, v18
	v_cmp_gt_i32_e64 s[6:7], s29, v19
	s_nop 0
	v_cndmask_b32_e32 v18, v16, v34, vcc
	v_cndmask_b32_e64 v16, v16, v35, s[6:7]
	v_max3_f32 v16, v17, v18, v16
	v_mbcnt_lo_u32_b32 v17, -1, 0
	v_mbcnt_hi_u32_b32 v17, -1, v17
	v_and_b32_e32 v18, 64, v17
	v_add_u32_e32 v18, 64, v18
	v_xor_b32_e32 v19, 32, v17
	v_cmp_lt_i32_e64 s[40:41], v19, v18
	s_nop 1
	v_cndmask_b32_e64 v19, v17, v19, s[40:41]
	v_lshlrev_b32_e32 v56, 2, v19
	ds_bpermute_b32 v19, v56, v16
	s_waitcnt vmcnt(5)
	v_mad_i64_i32 v[14:15], s[40:41], v59, s45, 0
	v_lshl_add_u64 v[14:15], v[14:15], 1, v[10:11]
	s_waitcnt lgkmcnt(0)
	v_max_f32_e32 v19, v19, v19
	v_max_f32_e32 v16, v16, v19
	v_xor_b32_e32 v19, 16, v17
	v_cmp_lt_i32_e64 s[40:41], v19, v18
	s_nop 1
	v_cndmask_b32_e64 v17, v17, v19, s[40:41]
	v_lshlrev_b32_e32 v57, 2, v17
	ds_bpermute_b32 v17, v57, v16
	global_load_dwordx4 v[22:25], v[14:15], off
	global_load_dwordx4 v[18:21], v[14:15], off offset:16
	s_waitcnt vmcnt(6)
	v_mad_i64_i32 v[14:15], s[40:41], v60, s45, 0
	v_lshl_add_u64 v[10:11], v[14:15], 1, v[10:11]
	s_waitcnt lgkmcnt(0)
	v_max_f32_e32 v14, v17, v17
	v_max_f32_e32 v55, v16, v14
	v_sub_f32_e32 v12, v12, v55
	v_mul_f32_e32 v12, 0x3fb8aa3b, v12
	v_exp_f32_e32 v50, v12
	v_sub_f32_e32 v12, v13, v55
	v_mul_f32_e32 v12, 0x3fb8aa3b, v12
	v_exp_f32_e32 v51, v12
	global_load_dwordx4 v[14:17], v[10:11], off
	s_nop 0
	global_load_dwordx4 v[10:13], v[10:11], off offset:16
	v_sub_f32_e32 v52, v52, v55
	v_mul_f32_e32 v52, 0x3fb8aa3b, v52
	v_sub_f32_e32 v53, v53, v55
	v_exp_f32_e32 v52, v52
	v_mul_f32_e32 v53, 0x3fb8aa3b, v53
	v_sub_f32_e32 v48, v48, v55
	v_exp_f32_e32 v53, v53
	v_mul_f32_e32 v48, 0x3fb8aa3b, v48
	v_sub_f32_e32 v49, v49, v55
	v_cndmask_b32_e64 v50, 0, v50, s[4:5]
	v_exp_f32_e32 v48, v48
	v_mul_f32_e32 v49, 0x3fb8aa3b, v49
	v_sub_f32_e32 v46, v46, v55
	v_add_f32_e32 v58, 0, v50
	v_cndmask_b32_e64 v51, 0, v51, s[34:35]
	v_exp_f32_e32 v49, v49
	v_mul_f32_e32 v46, 0x3fb8aa3b, v46
	v_sub_f32_e32 v47, v47, v55
	v_add_f32_e32 v58, v58, v51
	;; [unrolled: 5-line block ×10, first 2 shown]
	v_cndmask_b32_e64 v38, 0, v38, s[12:13]
	v_exp_f32_e32 v34, v34
	v_mul_f32_e32 v35, 0x3fb8aa3b, v35
	v_add_f32_e32 v58, v58, v38
	v_cndmask_b32_e64 v39, 0, v39, s[14:15]
	v_exp_f32_e32 v35, v35
	v_add_f32_e32 v58, v58, v39
	v_cndmask_b32_e64 v36, 0, v36, s[8:9]
	v_add_f32_e32 v58, v58, v36
	v_cndmask_b32_e64 v37, 0, v37, s[10:11]
	v_add_f32_e32 v58, v58, v37
	v_cndmask_b32_e32 v34, 0, v34, vcc
	v_add_f32_e32 v58, v58, v34
	v_cndmask_b32_e64 v35, 0, v35, s[6:7]
	v_add_f32_e32 v58, v58, v35
	ds_bpermute_b32 v56, v56, v58
	s_load_dword s7, s[0:1], 0x98
	v_cmp_gt_u32_e32 vcc, 16, v45
	v_lshlrev_b32_e32 v45, 2, v44
	s_waitcnt lgkmcnt(0)
	v_add_f32_e32 v56, v58, v56
	ds_bpermute_b32 v57, v57, v56
	s_barrier
	s_waitcnt lgkmcnt(0)
	s_and_saveexec_b64 s[4:5], vcc
	s_cbranch_execz .LBB122_17
; %bb.16:
	v_add_f32_e32 v56, v56, v57
	v_lshl_or_b32 v57, v1, 6, v45
	ds_write2st64_b32 v57, v55, v56 offset1:1
.LBB122_17:
	s_or_b64 exec, exec, s[4:5]
	s_load_dword s6, s[0:1], 0x94
	s_waitcnt lgkmcnt(0)
	s_barrier
	ds_read2_b32 v[56:57], v45 offset1:16
	ds_read2_b32 v[58:59], v45 offset0:32 offset1:48
	ds_read2_b32 v[60:61], v45 offset0:64 offset1:80
	;; [unrolled: 1-line block ×3, first 2 shown]
	s_waitcnt lgkmcnt(0)
	v_max3_f32 v55, v56, s33, v57
	v_max3_f32 v55, v55, v58, v59
	v_sub_f32_e32 v56, v56, v55
	v_mul_f32_e32 v56, 0x3fb8aa3b, v56
	v_exp_f32_e32 v64, v56
	v_sub_f32_e32 v56, v57, v55
	v_mul_f32_e32 v56, 0x3fb8aa3b, v56
	v_exp_f32_e32 v57, v56
	v_sub_f32_e32 v56, v58, v55
	v_mul_f32_e32 v56, 0x3fb8aa3b, v56
	v_sub_f32_e32 v45, v59, v55
	v_exp_f32_e32 v58, v56
	v_mul_f32_e32 v45, 0x3fb8aa3b, v45
	v_exp_f32_e32 v45, v45
	v_fma_f32 v56, v64, v60, 0
	v_fmac_f32_e32 v56, v57, v61
	v_fmac_f32_e32 v56, v58, v62
	;; [unrolled: 1-line block ×3, first 2 shown]
	v_add_f32_e32 v59, 0x358637bd, v56
	v_div_scale_f32 v60, s[4:5], v59, v59, 1.0
	v_rcp_f32_e32 v61, v60
	s_barrier
	s_mul_i32 s7, s7, 11
	v_fma_f32 v62, -v60, v61, 1.0
	v_fmac_f32_e32 v61, v62, v61
	v_div_scale_f32 v62, vcc, 1.0, v59, 1.0
	v_mul_f32_e32 v63, v62, v61
	v_fma_f32 v65, -v60, v63, v62
	v_fmac_f32_e32 v63, v65, v61
	v_fma_f32 v60, -v60, v63, v62
	v_div_fmas_f32 v60, v60, v61, v63
	v_cmp_eq_u32_e32 vcc, 1, v1
	v_div_fixup_f32 v59, v60, v59, 1.0
	s_nop 0
	v_cndmask_b32_e32 v57, v64, v57, vcc
	v_cmp_eq_u32_e32 vcc, 2, v1
	s_nop 1
	v_cndmask_b32_e32 v57, v57, v58, vcc
	v_cmp_eq_u32_e32 vcc, 3, v1
	v_lshlrev_b32_e32 v1, 11, v1
	s_nop 0
	v_cndmask_b32_e32 v45, v57, v45, vcc
	v_mul_f32_e32 v58, v45, v59
	v_pk_mul_f32 v[52:53], v[58:59], v[52:53] op_sel_hi:[0,1]
	v_pk_mul_f32 v[50:51], v[58:59], v[50:51] op_sel_hi:[0,1]
	v_cvt_f16_f32_e32 v45, v50
	v_cvt_f16_f32_e32 v50, v51
	v_cvt_f16_f32_e32 v51, v52
	v_cvt_f16_f32_e32 v53, v53
	v_pk_mul_f32 v[46:47], v[58:59], v[46:47] op_sel_hi:[0,1]
	v_pk_mul_f32 v[48:49], v[58:59], v[48:49] op_sel_hi:[0,1]
	v_cvt_f16_f32_e32 v48, v48
	v_pack_b32_f16 v53, v51, v53
	v_cvt_f16_f32_e32 v49, v49
	v_cvt_f16_f32_e32 v51, v46
	;; [unrolled: 1-line block ×3, first 2 shown]
	v_pack_b32_f16 v52, v45, v50
	v_lshlrev_b32_e32 v45, 3, v54
	v_lshlrev_b32_e32 v50, 5, v44
	v_or3_b32 v1, v1, v50, v45
	v_pack_b32_f16 v46, v48, v49
	v_pack_b32_f16 v47, v51, v47
	v_pk_mul_f32 v[38:39], v[58:59], v[38:39] op_sel_hi:[0,1]
	v_pk_mul_f32 v[40:41], v[58:59], v[40:41] op_sel_hi:[0,1]
	;; [unrolled: 1-line block ×4, first 2 shown]
	ds_write2st64_b64 v1, v[52:53], v[46:47] offset1:1
	v_cvt_f16_f32_e32 v40, v40
	v_cvt_f16_f32_e32 v41, v41
	;; [unrolled: 1-line block ×8, first 2 shown]
	v_pack_b32_f16 v34, v40, v41
	v_pack_b32_f16 v35, v38, v39
	;; [unrolled: 1-line block ×4, first 2 shown]
	v_cmp_gt_u32_e32 vcc, 11, v0
	ds_write2st64_b64 v1, v[34:35], v[36:37] offset0:2 offset1:3
	s_and_saveexec_b64 s[4:5], vcc
	s_cbranch_execz .LBB122_19
; %bb.18:
	s_mov_b32 s43, 0
	v_mov_b32_e32 v45, 0
	v_lshl_add_u64 v[34:35], s[42:43], 0, v[44:45]
	v_mov_b32_e32 v36, s7
	v_mad_u64_u32 v[34:35], s[12:13], s2, v36, v[34:35]
	s_mul_i32 s3, s3, s7
	v_mov_b32_e32 v44, s28
	s_load_dwordx4 s[8:11], s[0:1], 0x58
	v_add_u32_e32 v37, s3, v35
	v_mad_u64_u32 v[34:35], s[12:13], v34, s6, v[44:45]
	v_mov_b32_e32 v36, v35
	v_mad_u64_u32 v[36:37], s[12:13], v37, s6, v[36:37]
	v_mov_b32_e32 v35, v36
	v_lshlrev_b64 v[34:35], 2, v[34:35]
	s_waitcnt lgkmcnt(0)
	v_lshl_add_u64 v[36:37], s[10:11], 0, v[34:35]
	v_lshl_add_u64 v[34:35], s[8:9], 0, v[34:35]
	global_store_dword v[36:37], v55, off
	global_store_dword v[34:35], v56, off
.LBB122_19:
	s_or_b64 exec, exec, s[4:5]
	v_lshl_or_b32 v48, v54, 9, v50
	s_waitcnt lgkmcnt(0)
	s_barrier
	ds_read_b128 v[34:37], v48
	ds_read_b128 v[38:41], v48 offset:16
	s_waitcnt vmcnt(7) lgkmcnt(1)
	v_mfma_f32_16x16x16_f16 v[44:47], v[6:7], v[34:35], 0
	v_cmp_gt_u32_e32 vcc, 64, v0
	s_mov_b32 s3, 0
	s_and_b64 s[4:5], vcc, s[30:31]
	v_mfma_f32_16x16x16_f16 v[6:9], v[8:9], v[36:37], v[44:47]
	s_waitcnt vmcnt(6) lgkmcnt(0)
	v_mfma_f32_16x16x16_f16 v[6:9], v[2:3], v[38:39], v[6:9]
	v_mfma_f32_16x16x16_f16 v[2:5], v[4:5], v[40:41], v[6:9]
	s_nop 5
	ds_read_b128 v[6:9], v48 offset:2048
	ds_read_b128 v[34:37], v48 offset:2064
	s_waitcnt vmcnt(5) lgkmcnt(1)
	v_mfma_f32_16x16x16_f16 v[2:5], v[30:31], v[6:7], v[2:5]
	v_mfma_f32_16x16x16_f16 v[2:5], v[32:33], v[8:9], v[2:5]
	s_waitcnt vmcnt(4) lgkmcnt(0)
	v_mfma_f32_16x16x16_f16 v[2:5], v[26:27], v[34:35], v[2:5]
	v_mfma_f32_16x16x16_f16 v[2:5], v[28:29], v[36:37], v[2:5]
	ds_read_b128 v[6:9], v48 offset:4096
	ds_read_b128 v[26:29], v48 offset:4112
	s_waitcnt vmcnt(3) lgkmcnt(1)
	v_mfma_f32_16x16x16_f16 v[2:5], v[22:23], v[6:7], v[2:5]
	v_mfma_f32_16x16x16_f16 v[2:5], v[24:25], v[8:9], v[2:5]
	s_waitcnt vmcnt(2) lgkmcnt(0)
	v_mfma_f32_16x16x16_f16 v[2:5], v[18:19], v[26:27], v[2:5]
	v_mfma_f32_16x16x16_f16 v[2:5], v[20:21], v[28:29], v[2:5]
	ds_read_b128 v[6:9], v48 offset:6144
	ds_read_b128 v[18:21], v48 offset:6160
	s_waitcnt lgkmcnt(0)
	s_barrier
	s_waitcnt vmcnt(1)
	v_mfma_f32_16x16x16_f16 v[2:5], v[14:15], v[6:7], v[2:5]
	v_mfma_f32_16x16x16_f16 v[2:5], v[16:17], v[8:9], v[2:5]
	s_waitcnt vmcnt(0)
	v_mfma_f32_16x16x16_f16 v[2:5], v[10:11], v[18:19], v[2:5]
	v_mfma_f32_16x16x16_f16 v[2:5], v[12:13], v[20:21], v[2:5]
	s_nop 6
	v_cvt_f16_f32_e32 v2, v2
	v_cvt_f16_f32_e32 v3, v3
	v_cvt_f16_f32_e32 v4, v4
	v_cvt_f16_f32_e32 v5, v5
	v_pack_b32_f16 v2, v2, v3
	v_pack_b32_f16 v3, v4, v5
	ds_write_b64 v1, v[2:3]
	s_waitcnt lgkmcnt(0)
	s_barrier
	s_and_saveexec_b64 s[8:9], s[4:5]
	s_cbranch_execz .LBB122_22
; %bb.20:
	s_load_dwordx2 s[4:5], s[0:1], 0x68
	s_lshl_b32 s0, s6, 6
	s_mul_i32 s1, s7, s2
	s_mul_hi_u32 s7, s1, s0
	s_mul_i32 s6, s1, s0
	v_lshlrev_b32_e32 v1, 10, v0
	v_lshlrev_b32_e32 v0, 4, v0
	s_lshl_b64 s[6:7], s[6:7], 1
	v_and_b32_e32 v1, 0x1800, v1
	v_lshlrev_b32_e32 v2, 5, v54
	v_and_b32_e32 v0, 16, v0
	s_waitcnt lgkmcnt(0)
	s_add_u32 s1, s4, s6
	v_or3_b32 v2, v1, v2, v0
	s_addc_u32 s4, s5, s7
	s_lshl_b32 s2, s28, 6
	s_lshl_b64 s[2:3], s[2:3], 1
	ds_read_b128 v[4:7], v2 offset:128
	ds_read_b128 v[8:11], v2
	s_add_u32 s2, s1, s2
	s_addc_u32 s3, s4, s3
	v_add_u32_e32 v3, s42, v54
	v_lshl_add_u64 v[0:1], v[42:43], 1, s[2:3]
	v_mad_u64_u32 v[12:13], s[2:3], v3, s0, 0
	v_lshl_add_u64 v[12:13], v[12:13], 1, v[0:1]
	v_add_u32_e32 v3, 4, v3
	s_waitcnt lgkmcnt(0)
	global_store_dwordx4 v[12:13], v[8:11], off
	v_cmp_ne_u32_e32 vcc, 3, v54
	s_nop 0
	v_mad_u64_u32 v[8:9], s[2:3], v3, s0, 0
	v_lshl_add_u64 v[8:9], v[8:9], 1, v[0:1]
	global_store_dwordx4 v[8:9], v[4:7], off
	s_and_b64 exec, exec, vcc
	s_cbranch_execz .LBB122_22
; %bb.21:
	ds_read_b128 v[2:5], v2 offset:256
	v_add3_u32 v6, s42, v54, 8
	v_mad_u64_u32 v[6:7], s[0:1], v6, s0, 0
	v_lshl_add_u64 v[0:1], v[6:7], 1, v[0:1]
	s_waitcnt lgkmcnt(0)
	global_store_dwordx4 v[0:1], v[2:5], off
.LBB122_22:
	s_endpgm
	.section	.rodata,"a",@progbits
	.p2align	6, 0x0
	.amdhsa_kernel _Z39paged_attention_ll4mi_QKV_mfma16_kernelIDF16_DF16_LN4vllm18Fp8KVCacheDataTypeE0EhLi32ELi64ELi256ELb1ELi11EEvPKT_PKT0_S7_ifPKiS9_S9_iPKfiiiPfSC_PS2_PT2_iSB_SB_
		.amdhsa_group_segment_fixed_size 8192
		.amdhsa_private_segment_fixed_size 0
		.amdhsa_kernarg_size 400
		.amdhsa_user_sgpr_count 2
		.amdhsa_user_sgpr_dispatch_ptr 0
		.amdhsa_user_sgpr_queue_ptr 0
		.amdhsa_user_sgpr_kernarg_segment_ptr 1
		.amdhsa_user_sgpr_dispatch_id 0
		.amdhsa_user_sgpr_kernarg_preload_length 0
		.amdhsa_user_sgpr_kernarg_preload_offset 0
		.amdhsa_user_sgpr_private_segment_size 0
		.amdhsa_uses_dynamic_stack 0
		.amdhsa_enable_private_segment 0
		.amdhsa_system_sgpr_workgroup_id_x 1
		.amdhsa_system_sgpr_workgroup_id_y 1
		.amdhsa_system_sgpr_workgroup_id_z 1
		.amdhsa_system_sgpr_workgroup_info 0
		.amdhsa_system_vgpr_workitem_id 0
		.amdhsa_next_free_vgpr 73
		.amdhsa_next_free_sgpr 48
		.amdhsa_accum_offset 76
		.amdhsa_reserve_vcc 1
		.amdhsa_float_round_mode_32 0
		.amdhsa_float_round_mode_16_64 0
		.amdhsa_float_denorm_mode_32 3
		.amdhsa_float_denorm_mode_16_64 3
		.amdhsa_dx10_clamp 1
		.amdhsa_ieee_mode 1
		.amdhsa_fp16_overflow 0
		.amdhsa_tg_split 0
		.amdhsa_exception_fp_ieee_invalid_op 0
		.amdhsa_exception_fp_denorm_src 0
		.amdhsa_exception_fp_ieee_div_zero 0
		.amdhsa_exception_fp_ieee_overflow 0
		.amdhsa_exception_fp_ieee_underflow 0
		.amdhsa_exception_fp_ieee_inexact 0
		.amdhsa_exception_int_div_zero 0
	.end_amdhsa_kernel
	.section	.text._Z39paged_attention_ll4mi_QKV_mfma16_kernelIDF16_DF16_LN4vllm18Fp8KVCacheDataTypeE0EhLi32ELi64ELi256ELb1ELi11EEvPKT_PKT0_S7_ifPKiS9_S9_iPKfiiiPfSC_PS2_PT2_iSB_SB_,"axG",@progbits,_Z39paged_attention_ll4mi_QKV_mfma16_kernelIDF16_DF16_LN4vllm18Fp8KVCacheDataTypeE0EhLi32ELi64ELi256ELb1ELi11EEvPKT_PKT0_S7_ifPKiS9_S9_iPKfiiiPfSC_PS2_PT2_iSB_SB_,comdat
.Lfunc_end122:
	.size	_Z39paged_attention_ll4mi_QKV_mfma16_kernelIDF16_DF16_LN4vllm18Fp8KVCacheDataTypeE0EhLi32ELi64ELi256ELb1ELi11EEvPKT_PKT0_S7_ifPKiS9_S9_iPKfiiiPfSC_PS2_PT2_iSB_SB_, .Lfunc_end122-_Z39paged_attention_ll4mi_QKV_mfma16_kernelIDF16_DF16_LN4vllm18Fp8KVCacheDataTypeE0EhLi32ELi64ELi256ELb1ELi11EEvPKT_PKT0_S7_ifPKiS9_S9_iPKfiiiPfSC_PS2_PT2_iSB_SB_
                                        ; -- End function
	.section	.AMDGPU.csdata,"",@progbits
; Kernel info:
; codeLenInByte = 4176
; NumSgprs: 54
; NumVgprs: 73
; NumAgprs: 0
; TotalNumVgprs: 73
; ScratchSize: 0
; MemoryBound: 0
; FloatMode: 240
; IeeeMode: 1
; LDSByteSize: 8192 bytes/workgroup (compile time only)
; SGPRBlocks: 6
; VGPRBlocks: 9
; NumSGPRsForWavesPerEU: 54
; NumVGPRsForWavesPerEU: 73
; AccumOffset: 76
; Occupancy: 6
; WaveLimiterHint : 1
; COMPUTE_PGM_RSRC2:SCRATCH_EN: 0
; COMPUTE_PGM_RSRC2:USER_SGPR: 2
; COMPUTE_PGM_RSRC2:TRAP_HANDLER: 0
; COMPUTE_PGM_RSRC2:TGID_X_EN: 1
; COMPUTE_PGM_RSRC2:TGID_Y_EN: 1
; COMPUTE_PGM_RSRC2:TGID_Z_EN: 1
; COMPUTE_PGM_RSRC2:TIDIG_COMP_CNT: 0
; COMPUTE_PGM_RSRC3_GFX90A:ACCUM_OFFSET: 18
; COMPUTE_PGM_RSRC3_GFX90A:TG_SPLIT: 0
	.section	.text._Z39paged_attention_ll4mi_QKV_mfma16_kernelIDF16_DF16_LN4vllm18Fp8KVCacheDataTypeE0EhLi32ELi64ELi256ELb1ELi12EEvPKT_PKT0_S7_ifPKiS9_S9_iPKfiiiPfSC_PS2_PT2_iSB_SB_,"axG",@progbits,_Z39paged_attention_ll4mi_QKV_mfma16_kernelIDF16_DF16_LN4vllm18Fp8KVCacheDataTypeE0EhLi32ELi64ELi256ELb1ELi12EEvPKT_PKT0_S7_ifPKiS9_S9_iPKfiiiPfSC_PS2_PT2_iSB_SB_,comdat
	.protected	_Z39paged_attention_ll4mi_QKV_mfma16_kernelIDF16_DF16_LN4vllm18Fp8KVCacheDataTypeE0EhLi32ELi64ELi256ELb1ELi12EEvPKT_PKT0_S7_ifPKiS9_S9_iPKfiiiPfSC_PS2_PT2_iSB_SB_ ; -- Begin function _Z39paged_attention_ll4mi_QKV_mfma16_kernelIDF16_DF16_LN4vllm18Fp8KVCacheDataTypeE0EhLi32ELi64ELi256ELb1ELi12EEvPKT_PKT0_S7_ifPKiS9_S9_iPKfiiiPfSC_PS2_PT2_iSB_SB_
	.globl	_Z39paged_attention_ll4mi_QKV_mfma16_kernelIDF16_DF16_LN4vllm18Fp8KVCacheDataTypeE0EhLi32ELi64ELi256ELb1ELi12EEvPKT_PKT0_S7_ifPKiS9_S9_iPKfiiiPfSC_PS2_PT2_iSB_SB_
	.p2align	8
	.type	_Z39paged_attention_ll4mi_QKV_mfma16_kernelIDF16_DF16_LN4vllm18Fp8KVCacheDataTypeE0EhLi32ELi64ELi256ELb1ELi12EEvPKT_PKT0_S7_ifPKiS9_S9_iPKfiiiPfSC_PS2_PT2_iSB_SB_,@function
_Z39paged_attention_ll4mi_QKV_mfma16_kernelIDF16_DF16_LN4vllm18Fp8KVCacheDataTypeE0EhLi32ELi64ELi256ELb1ELi12EEvPKT_PKT0_S7_ifPKiS9_S9_iPKfiiiPfSC_PS2_PT2_iSB_SB_: ; @_Z39paged_attention_ll4mi_QKV_mfma16_kernelIDF16_DF16_LN4vllm18Fp8KVCacheDataTypeE0EhLi32ELi64ELi256ELb1ELi12EEvPKT_PKT0_S7_ifPKiS9_S9_iPKfiiiPfSC_PS2_PT2_iSB_SB_
; %bb.0:
	s_load_dwordx2 s[6:7], s[0:1], 0x30
	s_mov_b32 s28, s3
	s_mov_b64 s[8:9], 0
	s_waitcnt lgkmcnt(0)
	s_cmp_lg_u64 s[6:7], 0
	s_cselect_b64 s[10:11], -1, 0
	s_and_b64 vcc, exec, s[10:11]
	s_cbranch_vccz .LBB123_7
; %bb.1:
	s_add_i32 s12, s2, 1
	s_mov_b32 s13, 0
	s_lshl_b64 s[14:15], s[12:13], 2
	s_add_u32 s14, s6, s14
	s_mov_b32 s3, s13
	s_addc_u32 s15, s7, s15
	s_lshl_b64 s[12:13], s[2:3], 2
	s_add_u32 s12, s6, s12
	s_addc_u32 s13, s7, s13
	s_load_dword s5, s[14:15], 0x0
	s_load_dword s16, s[12:13], 0x0
	s_waitcnt lgkmcnt(0)
	s_sub_i32 s5, s5, s16
	s_cmp_eq_u32 s5, 1
	s_cselect_b64 s[12:13], -1, 0
	s_andn2_b64 vcc, exec, s[8:9]
	s_cbranch_vccnz .LBB123_3
.LBB123_2:
	s_mov_b32 s3, 0
	s_mov_b64 s[12:13], -1
.LBB123_3:
	s_andn2_b64 vcc, exec, s[12:13]
	s_cbranch_vccnz .LBB123_21
; %bb.4:
	s_load_dwordx2 s[8:9], s[0:1], 0x28
	s_lshl_b64 s[12:13], s[2:3], 2
	s_waitcnt lgkmcnt(0)
	s_add_u32 s8, s8, s12
	s_addc_u32 s9, s9, s13
	s_load_dword s29, s[8:9], 0x0
	s_lshl_b32 s14, s28, 8
	s_waitcnt lgkmcnt(0)
	s_cmp_ge_i32 s14, s29
	s_cbranch_scc1 .LBB123_21
; %bb.5:
	s_load_dwordx2 s[8:9], s[0:1], 0x20
	s_load_dword s5, s[0:1], 0x38
	s_add_i32 s15, s29, 31
	s_ashr_i32 s16, s15, 31
	v_and_b32_e32 v1, 0xcf, v0
	s_lshr_b32 s16, s16, 27
	v_add_u32_e32 v1, s14, v1
	s_add_i32 s15, s15, s16
	v_ashrrev_i32_e32 v2, 31, v1
	s_ashr_i32 s15, s15, 5
	v_lshrrev_b32_e32 v6, 27, v2
	s_add_i32 s15, s15, -1
	s_waitcnt lgkmcnt(0)
	s_mul_i32 s16, s2, s5
	s_mov_b32 s17, 0
	v_add_u32_e32 v2, v1, v6
	s_lshl_b64 s[16:17], s[16:17], 2
	v_ashrrev_i32_e32 v2, 5, v2
	v_mov_b32_e32 v7, s15
	v_cmp_gt_i32_e32 vcc, s29, v1
	s_add_u32 s8, s8, s16
	s_addc_u32 s9, s9, s17
	v_cndmask_b32_e32 v2, v7, v2, vcc
	v_ashrrev_i32_e32 v3, 31, v2
	v_lshl_add_u64 v[4:5], v[2:3], 2, s[8:9]
	v_or_b32_e32 v2, 16, v1
	v_add_u32_e32 v3, v2, v6
	v_ashrrev_i32_e32 v3, 5, v3
	v_cmp_gt_i32_e32 vcc, s29, v2
	s_nop 1
	v_cndmask_b32_e32 v2, v7, v3, vcc
	v_ashrrev_i32_e32 v3, 31, v2
	v_lshl_add_u64 v[8:9], v[2:3], 2, s[8:9]
	v_or_b32_e32 v2, 32, v1
	v_add_u32_e32 v3, v2, v6
	v_ashrrev_i32_e32 v3, 5, v3
	v_cmp_gt_i32_e32 vcc, s29, v2
	v_or_b32_e32 v1, 48, v1
	s_nop 0
	v_cndmask_b32_e32 v2, v7, v3, vcc
	v_ashrrev_i32_e32 v3, 31, v2
	v_lshl_add_u64 v[12:13], v[2:3], 2, s[8:9]
	v_add_u32_e32 v2, v1, v6
	v_ashrrev_i32_e32 v2, 5, v2
	v_cmp_gt_i32_e32 vcc, s29, v1
	s_nop 1
	v_cndmask_b32_e32 v2, v7, v2, vcc
	v_ashrrev_i32_e32 v3, 31, v2
	v_lshl_add_u64 v[16:17], v[2:3], 2, s[8:9]
	global_load_dword v2, v[4:5], off
	global_load_dword v6, v[8:9], off
	;; [unrolled: 1-line block ×4, first 2 shown]
	s_andn2_b64 vcc, exec, s[10:11]
	s_cbranch_vccnz .LBB123_8
; %bb.6:
	s_add_u32 s6, s6, s12
	s_addc_u32 s7, s7, s13
	s_load_dword s5, s[6:7], 0x0
	s_branch .LBB123_9
.LBB123_7:
	s_mov_b64 s[12:13], 0
	s_branch .LBB123_2
.LBB123_8:
	s_mov_b32 s5, s2
.LBB123_9:
	s_load_dwordx2 s[10:11], s[0:1], 0x8
	s_load_dwordx4 s[44:47], s[0:1], 0x48
	v_and_b32_e32 v44, 15, v0
	s_movk_i32 s6, 0xbf
	v_cmp_lt_u32_e32 vcc, s6, v0
	v_cmp_lt_u32_e64 s[6:7], 7, v44
	v_lshlrev_b32_e32 v42, 3, v44
	v_cmp_gt_u32_e64 s[30:31], 8, v44
	s_or_b64 s[6:7], vcc, s[6:7]
	s_and_saveexec_b64 s[12:13], s[6:7]
	s_xor_b64 s[6:7], exec, s[12:13]
; %bb.10:
	v_mov_b32_e32 v43, 0
; %bb.11:
	s_or_saveexec_b64 s[12:13], s[6:7]
	s_load_dwordx2 s[6:7], s[0:1], 0x10
	v_lshrrev_b32_e32 v45, 6, v0
	v_bfe_u32 v1, v0, 4, 2
	s_mul_i32 s42, s4, 12
	s_xor_b64 exec, exec, s[12:13]
	s_cbranch_execz .LBB123_13
; %bb.12:
	s_load_dwordx2 s[16:17], s[0:1], 0x0
	s_waitcnt lgkmcnt(0)
	s_ashr_i32 s18, s44, 31
	s_mul_hi_u32 s19, s5, s44
	s_mul_i32 s18, s5, s18
	s_add_i32 s19, s19, s18
	s_mul_i32 s18, s5, s44
	v_lshl_or_b32 v3, v45, 2, v1
	s_lshl_b64 s[18:19], s[18:19], 1
	s_add_u32 s16, s16, s18
	v_add_lshl_u32 v4, v3, s42, 6
	s_addc_u32 s17, s17, s19
	v_ashrrev_i32_e32 v5, 31, v4
	v_mov_b32_e32 v43, 0
	v_lshl_add_u64 v[4:5], v[4:5], 1, s[16:17]
	v_lshlrev_b32_e32 v8, 1, v42
	v_mov_b32_e32 v9, v43
	v_lshl_add_u64 v[4:5], v[4:5], 0, v[8:9]
	global_load_dwordx4 v[16:19], v[4:5], off
	v_and_b32_e32 v4, 3, v0
	v_lshlrev_b32_e32 v5, 9, v44
	v_lshlrev_b32_e32 v3, 5, v3
	;; [unrolled: 1-line block ×3, first 2 shown]
	v_and_b32_e32 v5, 0x1800, v5
	v_or3_b32 v3, v5, v4, v3
	s_waitcnt vmcnt(0)
	ds_write_b128 v3, v[16:19]
.LBB123_13:
	s_or_b64 exec, exec, s[12:13]
	s_waitcnt lgkmcnt(0)
	s_mul_i32 s4, s4, s46
	s_mov_b32 s5, 0
	s_lshl_b64 s[4:5], s[4:5], 1
	s_add_u32 s10, s10, s4
	s_addc_u32 s11, s11, s5
	s_waitcnt vmcnt(3)
	v_mad_i64_i32 v[2:3], s[12:13], v2, s45, 0
	v_lshl_add_u64 v[2:3], v[2:3], 1, s[10:11]
	v_lshlrev_b64 v[12:13], 1, v[42:43]
	v_lshlrev_b32_e32 v46, 9, v1
	v_lshl_add_u64 v[2:3], v[2:3], 0, v[12:13]
	v_mov_b32_e32 v47, 0
	v_lshl_add_u64 v[8:9], v[2:3], 0, v[46:47]
	s_barrier
	global_load_dwordx4 v[22:25], v[8:9], off
	global_load_dwordx4 v[2:5], v[8:9], off offset:2048
	s_waitcnt vmcnt(4)
	v_mad_i64_i32 v[6:7], s[12:13], v6, s45, 0
	v_mov_b32_e32 v8, 0x100
	v_lshl_add_u64 v[6:7], v[6:7], 1, s[10:11]
	v_lshl_or_b32 v16, v44, 4, v8
	v_mov_b32_e32 v17, v47
	s_waitcnt vmcnt(3)
	v_mad_i64_i32 v[10:11], s[12:13], v10, s45, 0
	v_lshl_add_u64 v[6:7], v[6:7], 0, v[16:17]
	v_lshl_add_u64 v[10:11], v[10:11], 1, s[10:11]
	s_waitcnt vmcnt(2)
	v_mad_i64_i32 v[14:15], s[12:13], v14, s45, 0
	v_lshl_add_u64 v[18:19], v[6:7], 0, v[46:47]
	v_lshl_add_u64 v[10:11], v[10:11], 0, v[12:13]
	;; [unrolled: 1-line block ×3, first 2 shown]
	global_load_dwordx4 v[26:29], v[18:19], off
	global_load_dwordx4 v[6:9], v[18:19], off offset:2048
	v_lshl_add_u64 v[18:19], v[10:11], 0, v[46:47]
	v_lshl_add_u64 v[14:15], v[14:15], 0, v[16:17]
	global_load_dwordx4 v[30:33], v[18:19], off
	global_load_dwordx4 v[10:13], v[18:19], off offset:2048
	v_lshl_add_u64 v[18:19], v[14:15], 0, v[46:47]
	global_load_dwordx4 v[34:37], v[18:19], off
	global_load_dwordx4 v[14:17], v[18:19], off offset:2048
	v_add_u32_e32 v18, -12, v44
	v_cmp_gt_u32_e32 vcc, 12, v44
	v_and_b32_e32 v54, 63, v0
	v_mov_b32_e32 v50, 0
	v_cndmask_b32_e32 v18, v18, v44, vcc
	v_lshl_add_u32 v18, v18, 5, v46
	ds_read_b128 v[38:41], v18
	ds_read_b128 v[18:21], v18 offset:2048
	s_and_saveexec_b64 s[10:11], vcc
	s_cbranch_execz .LBB123_15
; %bb.14:
	s_load_dwordx2 s[12:13], s[0:1], 0x40
	v_add_u32_e32 v48, s42, v44
	v_ashrrev_i32_e32 v49, 31, v48
	s_waitcnt lgkmcnt(0)
	v_lshl_add_u64 v[48:49], v[48:49], 2, s[12:13]
	global_load_dword v50, v[48:49], off
.LBB123_15:
	s_or_b64 exec, exec, s[10:11]
	s_ashr_i32 s10, s14, 31
	v_and_or_b32 v46, v0, 48, s14
	s_lshr_b32 s11, s10, 27
	v_add_u32_e32 v48, s11, v46
	v_or_b32_e32 v52, 64, v46
	v_ashrrev_i32_e32 v48, 5, v48
	v_mov_b32_e32 v51, s15
	v_cmp_gt_i32_e32 vcc, s29, v46
	v_add_u32_e32 v53, s11, v52
	s_waitcnt vmcnt(7) lgkmcnt(1)
	v_mfma_f32_16x16x16_f16 v[56:59], v[22:23], v[38:39], 0
	v_cndmask_b32_e32 v48, v51, v48, vcc
	v_ashrrev_i32_e32 v22, 5, v53
	v_cmp_gt_i32_e32 vcc, s29, v52
	v_ashrrev_i32_e32 v49, 31, v48
	v_lshl_add_u64 v[48:49], v[48:49], 2, s[8:9]
	v_cndmask_b32_e32 v22, v51, v22, vcc
	v_ashrrev_i32_e32 v23, 31, v22
	v_lshl_add_u64 v[22:23], v[22:23], 2, s[8:9]
	global_load_dword v55, v[48:49], off
	global_load_dword v72, v[22:23], off
	s_waitcnt vmcnt(3)
	v_mfma_f32_16x16x16_f16 v[68:71], v[34:35], v[38:39], 0
	v_or_b32_e32 v48, 0xc0, v46
	v_add_u32_e32 v52, s11, v48
	s_add_u32 s4, s6, s4
	v_mfma_f32_16x16x16_f16 v[60:63], v[26:27], v[38:39], 0
	s_addc_u32 s5, s7, s5
	s_load_dword s10, s[0:1], 0x1c
	s_mov_b32 s33, 0xff7fffff
	v_mfma_f32_16x16x16_f16 v[64:67], v[30:31], v[38:39], 0
	v_and_b32_e32 v31, 0xc0, v0
	v_or_b32_e32 v38, 0x80, v46
	v_add_u32_e32 v34, s14, v31
	v_mfma_f32_16x16x16_f16 v[22:25], v[24:25], v[40:41], v[56:59]
	v_and_b32_e32 v30, 16, v0
	v_add_u32_e32 v49, s11, v38
	v_lshlrev_b32_e32 v46, 1, v30
	v_lshl_or_b32 v56, v1, 2, v34
	v_mfma_f32_16x16x16_f16 v[34:37], v[36:37], v[40:41], v[68:71]
	v_cmp_gt_i32_e32 vcc, s29, v38
	v_lshlrev_b32_e32 v39, 6, v44
	v_or_b32_e32 v57, 1, v56
	v_mfma_f32_16x16x16_f16 v[26:29], v[28:29], v[40:41], v[60:63]
	v_cmp_gt_i32_e64 s[34:35], s29, v57
	v_mfma_f32_16x16x16_f16 v[30:33], v[32:33], v[40:41], v[64:67]
	v_ashrrev_i32_e32 v40, 5, v49
	v_ashrrev_i32_e32 v41, 5, v52
	v_cndmask_b32_e32 v38, v51, v40, vcc
	v_cmp_gt_i32_e32 vcc, s29, v48
	s_waitcnt lgkmcnt(0)
	v_mfma_f32_16x16x16_f16 v[22:25], v[2:3], v[18:19], v[22:25]
	v_lshl_add_u64 v[2:3], s[4:5], 0, v[46:47]
	v_cndmask_b32_e32 v40, v51, v41, vcc
	v_lshl_or_b32 v46, v45, 10, v39
	v_ashrrev_i32_e32 v39, 31, v38
	v_ashrrev_i32_e32 v41, 31, v40
	s_waitcnt vmcnt(2)
	v_mfma_f32_16x16x16_f16 v[34:37], v[14:15], v[18:19], v[34:37]
	v_lshl_add_u64 v[14:15], v[38:39], 2, s[8:9]
	v_subrev_u32_e32 v51, s29, v57
	v_cvt_f32_i32_e32 v58, v51
	v_mfma_f32_16x16x16_f16 v[26:29], v[6:7], v[18:19], v[26:29]
	v_mfma_f32_16x16x16_f16 v[30:33], v[10:11], v[18:19], v[30:33]
	v_lshl_add_u64 v[18:19], v[40:41], 2, s[8:9]
	global_load_dword v59, v[14:15], off
	global_load_dword v60, v[18:19], off
	v_lshl_add_u64 v[10:11], v[2:3], 0, v[46:47]
	v_mfma_f32_16x16x16_f16 v[2:5], v[4:5], v[20:21], v[22:25]
	v_add_u32_e32 v46, 1, v51
	v_add_u32_e32 v47, 3, v51
	;; [unrolled: 1-line block ×3, first 2 shown]
	v_mfma_f32_16x16x16_f16 v[14:17], v[16:17], v[20:21], v[34:37]
	v_add_u32_e32 v22, 2, v51
	s_nop 1
	v_pk_mul_f32 v[52:53], s[10:11], v[4:5] op_sel_hi:[0,1]
	v_cvt_f32_i32_e32 v18, v18
	v_mfma_f32_16x16x16_f16 v[6:9], v[8:9], v[20:21], v[26:29]
	v_add_u32_e32 v19, 19, v51
	v_pk_mul_f32 v[34:35], s[10:11], v[16:17] op_sel_hi:[0,1]
	v_pk_mul_f32 v[36:37], s[10:11], v[14:15] op_sel_hi:[0,1]
	v_cvt_f32_i32_e32 v27, v22
	v_mfma_f32_16x16x16_f16 v[22:25], v[12:13], v[20:21], v[30:33]
	v_pk_mul_f32 v[12:13], s[10:11], v[2:3] op_sel_hi:[0,1]
	v_cvt_f32_i32_e32 v26, v46
	v_cvt_f32_i32_e32 v28, v47
	v_pk_mul_f32 v[46:47], s[10:11], v[8:9] op_sel_hi:[0,1]
	v_pk_mul_f32 v[48:49], s[10:11], v[6:7] op_sel_hi:[0,1]
	v_cvt_f32_i32_e32 v19, v19
	v_fma_f32 v46, v50, v18, v46
	v_add_u32_e32 v18, 34, v51
	v_cvt_f32_i32_e32 v18, v18
	v_fmac_f32_e32 v47, v50, v19
	v_add_u32_e32 v19, 35, v51
	v_cvt_f32_i32_e32 v19, v19
	v_pk_mul_f32 v[40:41], s[10:11], v[22:23] op_sel_hi:[0,1]
	v_pk_mul_f32 v[38:39], s[10:11], v[24:25] op_sel_hi:[0,1]
	v_fma_f32 v38, v50, v18, v38
	v_add_u32_e32 v18, 50, v51
	s_waitcnt vmcnt(3)
	v_mad_i64_i32 v[2:3], s[4:5], v55, s45, 0
	s_waitcnt vmcnt(2)
	v_mad_i64_i32 v[4:5], s[4:5], v72, s45, 0
	v_lshl_add_u64 v[16:17], v[2:3], 1, v[10:11]
	v_lshl_add_u64 v[14:15], v[4:5], 1, v[10:11]
	global_load_dwordx4 v[6:9], v[16:17], off
	global_load_dwordx4 v[2:5], v[16:17], off offset:16
	v_add_u32_e32 v16, 16, v51
	v_cvt_f32_i32_e32 v16, v16
	v_add_u32_e32 v17, 17, v51
	v_cvt_f32_i32_e32 v17, v17
	v_fmac_f32_e32 v39, v50, v19
	v_fma_f32 v48, v50, v16, v48
	v_add_u32_e32 v16, 32, v51
	v_fmac_f32_e32 v49, v50, v17
	v_cvt_f32_i32_e32 v16, v16
	v_add_u32_e32 v17, 33, v51
	v_cvt_f32_i32_e32 v17, v17
	v_cvt_f32_i32_e32 v18, v18
	v_fma_f32 v40, v50, v16, v40
	v_add_u32_e32 v16, 48, v51
	v_fmac_f32_e32 v41, v50, v17
	v_cvt_f32_i32_e32 v16, v16
	v_add_u32_e32 v17, 49, v51
	v_cvt_f32_i32_e32 v17, v17
	v_add_u32_e32 v19, 51, v51
	v_cvt_f32_i32_e32 v19, v19
	v_fma_f32 v12, v50, v58, v12
	v_fmac_f32_e32 v13, v50, v26
	v_fma_f32 v36, v50, v16, v36
	v_mov_b32_e32 v16, 0xff7fffff
	v_cmp_gt_i32_e64 s[4:5], s29, v56
	v_fmac_f32_e32 v37, v50, v17
	v_fma_f32 v34, v50, v18, v34
	v_cndmask_b32_e64 v17, v16, v12, s[4:5]
	v_cndmask_b32_e64 v18, v16, v13, s[34:35]
	v_fmac_f32_e32 v35, v50, v19
	v_max3_f32 v17, v17, s33, v18
	v_or_b32_e32 v18, 2, v56
	v_or_b32_e32 v19, 3, v56
	v_fma_f32 v52, v50, v27, v52
	v_fmac_f32_e32 v53, v50, v28
	v_cmp_gt_i32_e64 s[36:37], s29, v18
	v_cmp_gt_i32_e64 s[38:39], s29, v19
	global_load_dwordx4 v[30:33], v[14:15], off
	global_load_dwordx4 v[26:29], v[14:15], off offset:16
	v_cndmask_b32_e64 v18, v16, v52, s[36:37]
	v_cndmask_b32_e64 v19, v16, v53, s[38:39]
	v_max3_f32 v17, v17, v18, v19
	v_or_b32_e32 v18, 16, v56
	v_or_b32_e32 v19, 17, v56
	v_cmp_gt_i32_e64 s[24:25], s29, v18
	v_cmp_gt_i32_e64 s[26:27], s29, v19
	s_nop 0
	v_cndmask_b32_e64 v18, v16, v48, s[24:25]
	v_cndmask_b32_e64 v19, v16, v49, s[26:27]
	v_max3_f32 v17, v17, v18, v19
	v_or_b32_e32 v18, 18, v56
	v_or_b32_e32 v19, 19, v56
	v_cmp_gt_i32_e64 s[20:21], s29, v18
	v_cmp_gt_i32_e64 s[22:23], s29, v19
	s_nop 0
	;; [unrolled: 8-line block ×5, first 2 shown]
	v_cndmask_b32_e64 v18, v16, v36, s[8:9]
	v_cndmask_b32_e64 v19, v16, v37, s[10:11]
	v_max3_f32 v17, v17, v18, v19
	v_or_b32_e32 v18, 50, v56
	v_or_b32_e32 v19, 51, v56
	v_cmp_gt_i32_e32 vcc, s29, v18
	v_cmp_gt_i32_e64 s[6:7], s29, v19
	s_nop 0
	v_cndmask_b32_e32 v18, v16, v34, vcc
	v_cndmask_b32_e64 v16, v16, v35, s[6:7]
	v_max3_f32 v16, v17, v18, v16
	v_mbcnt_lo_u32_b32 v17, -1, 0
	v_mbcnt_hi_u32_b32 v17, -1, v17
	v_and_b32_e32 v18, 64, v17
	v_add_u32_e32 v18, 64, v18
	v_xor_b32_e32 v19, 32, v17
	v_cmp_lt_i32_e64 s[40:41], v19, v18
	s_nop 1
	v_cndmask_b32_e64 v19, v17, v19, s[40:41]
	v_lshlrev_b32_e32 v56, 2, v19
	ds_bpermute_b32 v19, v56, v16
	s_waitcnt vmcnt(5)
	v_mad_i64_i32 v[14:15], s[40:41], v59, s45, 0
	v_lshl_add_u64 v[14:15], v[14:15], 1, v[10:11]
	s_waitcnt lgkmcnt(0)
	v_max_f32_e32 v19, v19, v19
	v_max_f32_e32 v16, v16, v19
	v_xor_b32_e32 v19, 16, v17
	v_cmp_lt_i32_e64 s[40:41], v19, v18
	s_nop 1
	v_cndmask_b32_e64 v17, v17, v19, s[40:41]
	v_lshlrev_b32_e32 v58, 2, v17
	ds_bpermute_b32 v17, v58, v16
	global_load_dwordx4 v[22:25], v[14:15], off
	global_load_dwordx4 v[18:21], v[14:15], off offset:16
	s_waitcnt vmcnt(6)
	v_mad_i64_i32 v[14:15], s[40:41], v60, s45, 0
	v_lshl_add_u64 v[10:11], v[14:15], 1, v[10:11]
	s_waitcnt lgkmcnt(0)
	v_max_f32_e32 v14, v17, v17
	v_max_f32_e32 v55, v16, v14
	v_sub_f32_e32 v12, v12, v55
	v_mul_f32_e32 v12, 0x3fb8aa3b, v12
	v_exp_f32_e32 v50, v12
	v_sub_f32_e32 v12, v13, v55
	v_mul_f32_e32 v12, 0x3fb8aa3b, v12
	v_exp_f32_e32 v51, v12
	global_load_dwordx4 v[14:17], v[10:11], off
	s_nop 0
	global_load_dwordx4 v[10:13], v[10:11], off offset:16
	v_sub_f32_e32 v52, v52, v55
	v_mul_f32_e32 v52, 0x3fb8aa3b, v52
	v_sub_f32_e32 v53, v53, v55
	v_exp_f32_e32 v52, v52
	v_mul_f32_e32 v53, 0x3fb8aa3b, v53
	v_sub_f32_e32 v48, v48, v55
	v_exp_f32_e32 v53, v53
	v_mul_f32_e32 v48, 0x3fb8aa3b, v48
	v_sub_f32_e32 v49, v49, v55
	v_cndmask_b32_e64 v50, 0, v50, s[4:5]
	v_exp_f32_e32 v48, v48
	v_mul_f32_e32 v49, 0x3fb8aa3b, v49
	v_sub_f32_e32 v46, v46, v55
	v_add_f32_e32 v57, 0, v50
	v_cndmask_b32_e64 v51, 0, v51, s[34:35]
	v_exp_f32_e32 v49, v49
	v_mul_f32_e32 v46, 0x3fb8aa3b, v46
	v_sub_f32_e32 v47, v47, v55
	v_add_f32_e32 v57, v57, v51
	;; [unrolled: 5-line block ×10, first 2 shown]
	v_cndmask_b32_e64 v38, 0, v38, s[12:13]
	v_exp_f32_e32 v34, v34
	v_mul_f32_e32 v35, 0x3fb8aa3b, v35
	v_add_f32_e32 v57, v57, v38
	v_cndmask_b32_e64 v39, 0, v39, s[14:15]
	v_exp_f32_e32 v35, v35
	v_add_f32_e32 v57, v57, v39
	v_cndmask_b32_e64 v36, 0, v36, s[8:9]
	v_add_f32_e32 v57, v57, v36
	v_cndmask_b32_e64 v37, 0, v37, s[10:11]
	v_add_f32_e32 v57, v57, v37
	v_cndmask_b32_e32 v34, 0, v34, vcc
	v_add_f32_e32 v57, v57, v34
	v_cndmask_b32_e64 v35, 0, v35, s[6:7]
	v_add_f32_e32 v57, v57, v35
	ds_bpermute_b32 v56, v56, v57
	s_load_dword s7, s[0:1], 0x98
	v_cmp_gt_u32_e32 vcc, 16, v54
	s_waitcnt lgkmcnt(0)
	s_barrier
	v_add_f32_e32 v57, v57, v56
	ds_bpermute_b32 v58, v58, v57
	v_lshlrev_b32_e32 v56, 2, v44
	s_waitcnt lgkmcnt(0)
	s_and_saveexec_b64 s[4:5], vcc
	s_cbranch_execz .LBB123_17
; %bb.16:
	v_add_f32_e32 v54, v57, v58
	v_lshl_or_b32 v57, v45, 6, v56
	ds_write2st64_b32 v57, v55, v54 offset1:1
.LBB123_17:
	s_or_b64 exec, exec, s[4:5]
	s_load_dword s6, s[0:1], 0x94
	s_waitcnt lgkmcnt(0)
	s_barrier
	ds_read2_b32 v[58:59], v56 offset1:16
	ds_read2_b32 v[60:61], v56 offset0:32 offset1:48
	ds_read2_b32 v[62:63], v56 offset0:64 offset1:80
	;; [unrolled: 1-line block ×3, first 2 shown]
	s_mul_i32 s7, s7, 12
	s_waitcnt lgkmcnt(3)
	v_max3_f32 v54, v58, s33, v59
	s_waitcnt lgkmcnt(2)
	v_max3_f32 v54, v54, v60, v61
	v_sub_f32_e32 v55, v58, v54
	v_mul_f32_e32 v55, 0x3fb8aa3b, v55
	v_exp_f32_e32 v58, v55
	v_sub_f32_e32 v55, v59, v54
	v_mul_f32_e32 v55, 0x3fb8aa3b, v55
	v_exp_f32_e32 v59, v55
	;; [unrolled: 3-line block ×4, first 2 shown]
	s_waitcnt lgkmcnt(1)
	v_fma_f32 v55, v58, v62, 0
	v_fmac_f32_e32 v55, v59, v63
	s_waitcnt lgkmcnt(0)
	v_fmac_f32_e32 v55, v60, v56
	v_fmac_f32_e32 v55, v61, v57
	v_add_f32_e32 v56, 0x358637bd, v55
	v_div_scale_f32 v57, s[4:5], v56, v56, 1.0
	v_rcp_f32_e32 v62, v57
	s_barrier
	v_fma_f32 v63, -v57, v62, 1.0
	v_fmac_f32_e32 v62, v63, v62
	v_div_scale_f32 v63, vcc, 1.0, v56, 1.0
	v_mul_f32_e32 v64, v63, v62
	v_fma_f32 v65, -v57, v64, v63
	v_fmac_f32_e32 v64, v65, v62
	v_fma_f32 v57, -v57, v64, v63
	v_div_fmas_f32 v57, v57, v62, v64
	v_cmp_eq_u32_e32 vcc, 1, v45
	v_div_fixup_f32 v56, v57, v56, 1.0
	s_nop 0
	v_cndmask_b32_e32 v57, v58, v59, vcc
	v_cmp_eq_u32_e32 vcc, 2, v45
	s_nop 1
	v_cndmask_b32_e32 v57, v57, v60, vcc
	v_cmp_eq_u32_e32 vcc, 3, v45
	v_lshlrev_b32_e32 v45, 11, v45
	s_nop 0
	v_cndmask_b32_e32 v57, v57, v61, vcc
	v_mul_f32_e32 v56, v57, v56
	v_pk_mul_f32 v[52:53], v[56:57], v[52:53] op_sel_hi:[0,1]
	v_pk_mul_f32 v[50:51], v[56:57], v[50:51] op_sel_hi:[0,1]
	v_cvt_f16_f32_e32 v57, v52
	v_cvt_f16_f32_e32 v53, v53
	;; [unrolled: 1-line block ×4, first 2 shown]
	v_pk_mul_f32 v[46:47], v[56:57], v[46:47] op_sel_hi:[0,1]
	v_pack_b32_f16 v53, v57, v53
	v_pk_mul_f32 v[48:49], v[56:57], v[48:49] op_sel_hi:[0,1]
	v_cvt_f16_f32_e32 v57, v46
	v_cvt_f16_f32_e32 v48, v48
	v_cvt_f16_f32_e32 v49, v49
	v_cvt_f16_f32_e32 v47, v47
	v_pack_b32_f16 v52, v50, v51
	v_lshlrev_b32_e32 v51, 3, v1
	v_lshlrev_b32_e32 v50, 5, v44
	v_pk_mul_f32 v[38:39], v[56:57], v[38:39] op_sel_hi:[0,1]
	v_pk_mul_f32 v[40:41], v[56:57], v[40:41] op_sel_hi:[0,1]
	;; [unrolled: 1-line block ×4, first 2 shown]
	v_or3_b32 v46, v45, v50, v51
	v_pack_b32_f16 v48, v48, v49
	v_pack_b32_f16 v49, v57, v47
	v_cvt_f16_f32_e32 v40, v40
	v_cvt_f16_f32_e32 v41, v41
	;; [unrolled: 1-line block ×8, first 2 shown]
	v_pack_b32_f16 v34, v40, v41
	v_pack_b32_f16 v35, v38, v39
	;; [unrolled: 1-line block ×4, first 2 shown]
	v_cmp_gt_u32_e32 vcc, 12, v0
	ds_write2st64_b64 v46, v[52:53], v[48:49] offset1:1
	ds_write2st64_b64 v46, v[34:35], v[36:37] offset0:2 offset1:3
	s_and_saveexec_b64 s[4:5], vcc
	s_cbranch_execz .LBB123_19
; %bb.18:
	s_mov_b32 s43, 0
	v_mov_b32_e32 v45, 0
	v_lshl_add_u64 v[34:35], s[42:43], 0, v[44:45]
	v_mov_b32_e32 v36, s7
	v_mad_u64_u32 v[34:35], s[12:13], s2, v36, v[34:35]
	s_mul_i32 s3, s3, s7
	v_mov_b32_e32 v44, s28
	s_load_dwordx4 s[8:11], s[0:1], 0x58
	v_add_u32_e32 v37, s3, v35
	v_mad_u64_u32 v[34:35], s[12:13], v34, s6, v[44:45]
	v_mov_b32_e32 v36, v35
	v_mad_u64_u32 v[36:37], s[12:13], v37, s6, v[36:37]
	v_mov_b32_e32 v35, v36
	v_lshlrev_b64 v[34:35], 2, v[34:35]
	s_waitcnt lgkmcnt(0)
	v_lshl_add_u64 v[36:37], s[10:11], 0, v[34:35]
	v_lshl_add_u64 v[34:35], s[8:9], 0, v[34:35]
	global_store_dword v[36:37], v54, off
	global_store_dword v[34:35], v55, off
.LBB123_19:
	s_or_b64 exec, exec, s[4:5]
	v_lshl_or_b32 v44, v1, 9, v50
	s_waitcnt lgkmcnt(0)
	s_barrier
	ds_read_b128 v[34:37], v44
	ds_read_b128 v[38:41], v44 offset:16
	s_waitcnt vmcnt(7) lgkmcnt(1)
	v_mfma_f32_16x16x16_f16 v[48:51], v[6:7], v[34:35], 0
	v_cmp_gt_u32_e32 vcc, 64, v0
	s_mov_b32 s3, 0
	s_and_b64 s[4:5], vcc, s[30:31]
	v_mfma_f32_16x16x16_f16 v[6:9], v[8:9], v[36:37], v[48:51]
	s_waitcnt vmcnt(6) lgkmcnt(0)
	v_mfma_f32_16x16x16_f16 v[6:9], v[2:3], v[38:39], v[6:9]
	v_mfma_f32_16x16x16_f16 v[2:5], v[4:5], v[40:41], v[6:9]
	s_nop 5
	ds_read_b128 v[6:9], v44 offset:2048
	ds_read_b128 v[34:37], v44 offset:2064
	s_waitcnt vmcnt(5) lgkmcnt(1)
	v_mfma_f32_16x16x16_f16 v[2:5], v[30:31], v[6:7], v[2:5]
	v_mfma_f32_16x16x16_f16 v[2:5], v[32:33], v[8:9], v[2:5]
	s_waitcnt vmcnt(4) lgkmcnt(0)
	v_mfma_f32_16x16x16_f16 v[2:5], v[26:27], v[34:35], v[2:5]
	v_mfma_f32_16x16x16_f16 v[2:5], v[28:29], v[36:37], v[2:5]
	ds_read_b128 v[6:9], v44 offset:4096
	ds_read_b128 v[26:29], v44 offset:4112
	s_waitcnt vmcnt(3) lgkmcnt(1)
	v_mfma_f32_16x16x16_f16 v[2:5], v[22:23], v[6:7], v[2:5]
	v_mfma_f32_16x16x16_f16 v[2:5], v[24:25], v[8:9], v[2:5]
	s_waitcnt vmcnt(2) lgkmcnt(0)
	v_mfma_f32_16x16x16_f16 v[2:5], v[18:19], v[26:27], v[2:5]
	v_mfma_f32_16x16x16_f16 v[2:5], v[20:21], v[28:29], v[2:5]
	ds_read_b128 v[6:9], v44 offset:6144
	ds_read_b128 v[18:21], v44 offset:6160
	s_waitcnt lgkmcnt(0)
	s_barrier
	s_waitcnt vmcnt(1)
	v_mfma_f32_16x16x16_f16 v[2:5], v[14:15], v[6:7], v[2:5]
	v_mfma_f32_16x16x16_f16 v[2:5], v[16:17], v[8:9], v[2:5]
	s_waitcnt vmcnt(0)
	v_mfma_f32_16x16x16_f16 v[2:5], v[10:11], v[18:19], v[2:5]
	v_mfma_f32_16x16x16_f16 v[2:5], v[12:13], v[20:21], v[2:5]
	s_nop 6
	v_cvt_f16_f32_e32 v2, v2
	v_cvt_f16_f32_e32 v3, v3
	;; [unrolled: 1-line block ×4, first 2 shown]
	v_pack_b32_f16 v2, v2, v3
	v_pack_b32_f16 v3, v4, v5
	ds_write_b64 v46, v[2:3]
	s_waitcnt lgkmcnt(0)
	s_barrier
	s_and_saveexec_b64 s[8:9], s[4:5]
	s_cbranch_execz .LBB123_21
; %bb.20:
	s_load_dwordx2 s[0:1], s[0:1], 0x68
	s_lshl_b32 s6, s6, 6
	s_mul_i32 s2, s7, s2
	s_mul_hi_u32 s5, s2, s6
	s_mul_i32 s4, s2, s6
	s_lshl_b64 s[4:5], s[4:5], 1
	s_waitcnt lgkmcnt(0)
	s_add_u32 s4, s0, s4
	v_lshlrev_b32_e32 v2, 10, v0
	v_lshlrev_b32_e32 v0, 4, v0
	s_addc_u32 s5, s1, s5
	s_lshl_b32 s2, s28, 6
	v_and_b32_e32 v2, 0x1800, v2
	v_lshlrev_b32_e32 v3, 5, v1
	v_and_b32_e32 v0, 16, v0
	s_lshl_b64 s[0:1], s[2:3], 1
	v_or3_b32 v0, v2, v3, v0
	s_add_u32 s0, s4, s0
	ds_read_b128 v[2:5], v0
	ds_read_b128 v[6:9], v0 offset:128
	ds_read_b128 v[10:13], v0 offset:256
	s_addc_u32 s1, s5, s1
	v_or_b32_e32 v16, s42, v1
	v_lshl_add_u64 v[0:1], v[42:43], 1, s[0:1]
	v_mad_u64_u32 v[14:15], s[0:1], v16, s6, 0
	v_lshl_add_u64 v[14:15], v[14:15], 1, v[0:1]
	s_waitcnt lgkmcnt(2)
	global_store_dwordx4 v[14:15], v[2:5], off
	s_nop 1
	v_add_u32_e32 v2, 4, v16
	v_mad_u64_u32 v[2:3], s[0:1], v2, s6, 0
	v_lshl_add_u64 v[2:3], v[2:3], 1, v[0:1]
	s_waitcnt lgkmcnt(1)
	global_store_dwordx4 v[2:3], v[6:9], off
	v_add_u32_e32 v2, 8, v16
	v_mad_u64_u32 v[2:3], s[0:1], v2, s6, 0
	v_lshl_add_u64 v[0:1], v[2:3], 1, v[0:1]
	s_waitcnt lgkmcnt(0)
	global_store_dwordx4 v[0:1], v[10:13], off
.LBB123_21:
	s_endpgm
	.section	.rodata,"a",@progbits
	.p2align	6, 0x0
	.amdhsa_kernel _Z39paged_attention_ll4mi_QKV_mfma16_kernelIDF16_DF16_LN4vllm18Fp8KVCacheDataTypeE0EhLi32ELi64ELi256ELb1ELi12EEvPKT_PKT0_S7_ifPKiS9_S9_iPKfiiiPfSC_PS2_PT2_iSB_SB_
		.amdhsa_group_segment_fixed_size 8192
		.amdhsa_private_segment_fixed_size 0
		.amdhsa_kernarg_size 400
		.amdhsa_user_sgpr_count 2
		.amdhsa_user_sgpr_dispatch_ptr 0
		.amdhsa_user_sgpr_queue_ptr 0
		.amdhsa_user_sgpr_kernarg_segment_ptr 1
		.amdhsa_user_sgpr_dispatch_id 0
		.amdhsa_user_sgpr_kernarg_preload_length 0
		.amdhsa_user_sgpr_kernarg_preload_offset 0
		.amdhsa_user_sgpr_private_segment_size 0
		.amdhsa_uses_dynamic_stack 0
		.amdhsa_enable_private_segment 0
		.amdhsa_system_sgpr_workgroup_id_x 1
		.amdhsa_system_sgpr_workgroup_id_y 1
		.amdhsa_system_sgpr_workgroup_id_z 1
		.amdhsa_system_sgpr_workgroup_info 0
		.amdhsa_system_vgpr_workitem_id 0
		.amdhsa_next_free_vgpr 73
		.amdhsa_next_free_sgpr 48
		.amdhsa_accum_offset 76
		.amdhsa_reserve_vcc 1
		.amdhsa_float_round_mode_32 0
		.amdhsa_float_round_mode_16_64 0
		.amdhsa_float_denorm_mode_32 3
		.amdhsa_float_denorm_mode_16_64 3
		.amdhsa_dx10_clamp 1
		.amdhsa_ieee_mode 1
		.amdhsa_fp16_overflow 0
		.amdhsa_tg_split 0
		.amdhsa_exception_fp_ieee_invalid_op 0
		.amdhsa_exception_fp_denorm_src 0
		.amdhsa_exception_fp_ieee_div_zero 0
		.amdhsa_exception_fp_ieee_overflow 0
		.amdhsa_exception_fp_ieee_underflow 0
		.amdhsa_exception_fp_ieee_inexact 0
		.amdhsa_exception_int_div_zero 0
	.end_amdhsa_kernel
	.section	.text._Z39paged_attention_ll4mi_QKV_mfma16_kernelIDF16_DF16_LN4vllm18Fp8KVCacheDataTypeE0EhLi32ELi64ELi256ELb1ELi12EEvPKT_PKT0_S7_ifPKiS9_S9_iPKfiiiPfSC_PS2_PT2_iSB_SB_,"axG",@progbits,_Z39paged_attention_ll4mi_QKV_mfma16_kernelIDF16_DF16_LN4vllm18Fp8KVCacheDataTypeE0EhLi32ELi64ELi256ELb1ELi12EEvPKT_PKT0_S7_ifPKiS9_S9_iPKfiiiPfSC_PS2_PT2_iSB_SB_,comdat
.Lfunc_end123:
	.size	_Z39paged_attention_ll4mi_QKV_mfma16_kernelIDF16_DF16_LN4vllm18Fp8KVCacheDataTypeE0EhLi32ELi64ELi256ELb1ELi12EEvPKT_PKT0_S7_ifPKiS9_S9_iPKfiiiPfSC_PS2_PT2_iSB_SB_, .Lfunc_end123-_Z39paged_attention_ll4mi_QKV_mfma16_kernelIDF16_DF16_LN4vllm18Fp8KVCacheDataTypeE0EhLi32ELi64ELi256ELb1ELi12EEvPKT_PKT0_S7_ifPKiS9_S9_iPKfiiiPfSC_PS2_PT2_iSB_SB_
                                        ; -- End function
	.section	.AMDGPU.csdata,"",@progbits
; Kernel info:
; codeLenInByte = 4180
; NumSgprs: 54
; NumVgprs: 73
; NumAgprs: 0
; TotalNumVgprs: 73
; ScratchSize: 0
; MemoryBound: 0
; FloatMode: 240
; IeeeMode: 1
; LDSByteSize: 8192 bytes/workgroup (compile time only)
; SGPRBlocks: 6
; VGPRBlocks: 9
; NumSGPRsForWavesPerEU: 54
; NumVGPRsForWavesPerEU: 73
; AccumOffset: 76
; Occupancy: 6
; WaveLimiterHint : 1
; COMPUTE_PGM_RSRC2:SCRATCH_EN: 0
; COMPUTE_PGM_RSRC2:USER_SGPR: 2
; COMPUTE_PGM_RSRC2:TRAP_HANDLER: 0
; COMPUTE_PGM_RSRC2:TGID_X_EN: 1
; COMPUTE_PGM_RSRC2:TGID_Y_EN: 1
; COMPUTE_PGM_RSRC2:TGID_Z_EN: 1
; COMPUTE_PGM_RSRC2:TIDIG_COMP_CNT: 0
; COMPUTE_PGM_RSRC3_GFX90A:ACCUM_OFFSET: 18
; COMPUTE_PGM_RSRC3_GFX90A:TG_SPLIT: 0
	.section	.text._Z39paged_attention_ll4mi_QKV_mfma16_kernelIDF16_DF16_LN4vllm18Fp8KVCacheDataTypeE0EhLi32ELi64ELi256ELb1ELi13EEvPKT_PKT0_S7_ifPKiS9_S9_iPKfiiiPfSC_PS2_PT2_iSB_SB_,"axG",@progbits,_Z39paged_attention_ll4mi_QKV_mfma16_kernelIDF16_DF16_LN4vllm18Fp8KVCacheDataTypeE0EhLi32ELi64ELi256ELb1ELi13EEvPKT_PKT0_S7_ifPKiS9_S9_iPKfiiiPfSC_PS2_PT2_iSB_SB_,comdat
	.protected	_Z39paged_attention_ll4mi_QKV_mfma16_kernelIDF16_DF16_LN4vllm18Fp8KVCacheDataTypeE0EhLi32ELi64ELi256ELb1ELi13EEvPKT_PKT0_S7_ifPKiS9_S9_iPKfiiiPfSC_PS2_PT2_iSB_SB_ ; -- Begin function _Z39paged_attention_ll4mi_QKV_mfma16_kernelIDF16_DF16_LN4vllm18Fp8KVCacheDataTypeE0EhLi32ELi64ELi256ELb1ELi13EEvPKT_PKT0_S7_ifPKiS9_S9_iPKfiiiPfSC_PS2_PT2_iSB_SB_
	.globl	_Z39paged_attention_ll4mi_QKV_mfma16_kernelIDF16_DF16_LN4vllm18Fp8KVCacheDataTypeE0EhLi32ELi64ELi256ELb1ELi13EEvPKT_PKT0_S7_ifPKiS9_S9_iPKfiiiPfSC_PS2_PT2_iSB_SB_
	.p2align	8
	.type	_Z39paged_attention_ll4mi_QKV_mfma16_kernelIDF16_DF16_LN4vllm18Fp8KVCacheDataTypeE0EhLi32ELi64ELi256ELb1ELi13EEvPKT_PKT0_S7_ifPKiS9_S9_iPKfiiiPfSC_PS2_PT2_iSB_SB_,@function
_Z39paged_attention_ll4mi_QKV_mfma16_kernelIDF16_DF16_LN4vllm18Fp8KVCacheDataTypeE0EhLi32ELi64ELi256ELb1ELi13EEvPKT_PKT0_S7_ifPKiS9_S9_iPKfiiiPfSC_PS2_PT2_iSB_SB_: ; @_Z39paged_attention_ll4mi_QKV_mfma16_kernelIDF16_DF16_LN4vllm18Fp8KVCacheDataTypeE0EhLi32ELi64ELi256ELb1ELi13EEvPKT_PKT0_S7_ifPKiS9_S9_iPKfiiiPfSC_PS2_PT2_iSB_SB_
; %bb.0:
	s_load_dwordx2 s[6:7], s[0:1], 0x30
	s_mov_b32 s28, s3
	s_mov_b64 s[8:9], 0
	s_waitcnt lgkmcnt(0)
	s_cmp_lg_u64 s[6:7], 0
	s_cselect_b64 s[10:11], -1, 0
	s_and_b64 vcc, exec, s[10:11]
	s_cbranch_vccz .LBB124_7
; %bb.1:
	s_add_i32 s12, s2, 1
	s_mov_b32 s13, 0
	s_lshl_b64 s[14:15], s[12:13], 2
	s_add_u32 s14, s6, s14
	s_mov_b32 s3, s13
	s_addc_u32 s15, s7, s15
	s_lshl_b64 s[12:13], s[2:3], 2
	s_add_u32 s12, s6, s12
	s_addc_u32 s13, s7, s13
	s_load_dword s5, s[14:15], 0x0
	s_load_dword s16, s[12:13], 0x0
	s_waitcnt lgkmcnt(0)
	s_sub_i32 s5, s5, s16
	s_cmp_eq_u32 s5, 1
	s_cselect_b64 s[12:13], -1, 0
	s_andn2_b64 vcc, exec, s[8:9]
	s_cbranch_vccnz .LBB124_3
.LBB124_2:
	s_mov_b32 s3, 0
	s_mov_b64 s[12:13], -1
.LBB124_3:
	s_andn2_b64 vcc, exec, s[12:13]
	s_cbranch_vccnz .LBB124_22
; %bb.4:
	s_load_dwordx2 s[8:9], s[0:1], 0x28
	s_lshl_b64 s[12:13], s[2:3], 2
	s_waitcnt lgkmcnt(0)
	s_add_u32 s8, s8, s12
	s_addc_u32 s9, s9, s13
	s_load_dword s29, s[8:9], 0x0
	s_lshl_b32 s14, s28, 8
	s_waitcnt lgkmcnt(0)
	s_cmp_ge_i32 s14, s29
	s_cbranch_scc1 .LBB124_22
; %bb.5:
	s_load_dwordx2 s[8:9], s[0:1], 0x20
	s_load_dword s5, s[0:1], 0x38
	s_add_i32 s15, s29, 31
	s_ashr_i32 s16, s15, 31
	v_and_b32_e32 v1, 0xcf, v0
	s_lshr_b32 s16, s16, 27
	v_add_u32_e32 v1, s14, v1
	s_add_i32 s15, s15, s16
	v_ashrrev_i32_e32 v2, 31, v1
	s_ashr_i32 s15, s15, 5
	v_lshrrev_b32_e32 v6, 27, v2
	s_add_i32 s15, s15, -1
	s_waitcnt lgkmcnt(0)
	s_mul_i32 s16, s2, s5
	s_mov_b32 s17, 0
	v_add_u32_e32 v2, v1, v6
	s_lshl_b64 s[16:17], s[16:17], 2
	v_ashrrev_i32_e32 v2, 5, v2
	v_mov_b32_e32 v7, s15
	v_cmp_gt_i32_e32 vcc, s29, v1
	s_add_u32 s8, s8, s16
	s_addc_u32 s9, s9, s17
	v_cndmask_b32_e32 v2, v7, v2, vcc
	v_ashrrev_i32_e32 v3, 31, v2
	v_lshl_add_u64 v[4:5], v[2:3], 2, s[8:9]
	v_or_b32_e32 v2, 16, v1
	v_add_u32_e32 v3, v2, v6
	v_ashrrev_i32_e32 v3, 5, v3
	v_cmp_gt_i32_e32 vcc, s29, v2
	s_nop 1
	v_cndmask_b32_e32 v2, v7, v3, vcc
	v_ashrrev_i32_e32 v3, 31, v2
	v_lshl_add_u64 v[8:9], v[2:3], 2, s[8:9]
	v_or_b32_e32 v2, 32, v1
	v_add_u32_e32 v3, v2, v6
	v_ashrrev_i32_e32 v3, 5, v3
	v_cmp_gt_i32_e32 vcc, s29, v2
	v_or_b32_e32 v1, 48, v1
	s_nop 0
	v_cndmask_b32_e32 v2, v7, v3, vcc
	v_ashrrev_i32_e32 v3, 31, v2
	v_lshl_add_u64 v[12:13], v[2:3], 2, s[8:9]
	v_add_u32_e32 v2, v1, v6
	v_ashrrev_i32_e32 v2, 5, v2
	v_cmp_gt_i32_e32 vcc, s29, v1
	s_nop 1
	v_cndmask_b32_e32 v2, v7, v2, vcc
	v_ashrrev_i32_e32 v3, 31, v2
	v_lshl_add_u64 v[16:17], v[2:3], 2, s[8:9]
	global_load_dword v2, v[4:5], off
	global_load_dword v6, v[8:9], off
	;; [unrolled: 1-line block ×4, first 2 shown]
	s_andn2_b64 vcc, exec, s[10:11]
	s_cbranch_vccnz .LBB124_8
; %bb.6:
	s_add_u32 s6, s6, s12
	s_addc_u32 s7, s7, s13
	s_load_dword s5, s[6:7], 0x0
	s_branch .LBB124_9
.LBB124_7:
	s_mov_b64 s[12:13], 0
	s_branch .LBB124_2
.LBB124_8:
	s_mov_b32 s5, s2
.LBB124_9:
	s_load_dwordx2 s[10:11], s[0:1], 0x8
	s_load_dwordx4 s[44:47], s[0:1], 0x48
	v_lshrrev_b32_e32 v1, 6, v0
	v_bfe_u32 v54, v0, 4, 2
	v_lshl_or_b32 v3, v1, 2, v54
	v_and_b32_e32 v44, 15, v0
	v_cmp_lt_u32_e32 vcc, 12, v3
	v_cmp_lt_u32_e64 s[6:7], 7, v44
	v_lshlrev_b32_e32 v42, 3, v44
	v_cmp_gt_u32_e64 s[30:31], 8, v44
	s_or_b64 s[6:7], s[6:7], vcc
	s_and_saveexec_b64 s[12:13], s[6:7]
	s_xor_b64 s[6:7], exec, s[12:13]
; %bb.10:
	v_mov_b32_e32 v43, 0
                                        ; implicit-def: $vgpr3
; %bb.11:
	s_or_saveexec_b64 s[12:13], s[6:7]
	s_load_dwordx2 s[6:7], s[0:1], 0x10
	s_mul_i32 s42, s4, 13
	s_xor_b64 exec, exec, s[12:13]
	s_cbranch_execz .LBB124_13
; %bb.12:
	s_load_dwordx2 s[16:17], s[0:1], 0x0
	s_waitcnt lgkmcnt(0)
	s_ashr_i32 s18, s44, 31
	s_mul_hi_u32 s19, s5, s44
	s_mul_i32 s18, s5, s18
	s_add_i32 s19, s19, s18
	s_mul_i32 s18, s5, s44
	s_lshl_b64 s[18:19], s[18:19], 1
	s_add_u32 s16, s16, s18
	v_add_lshl_u32 v4, v3, s42, 6
	s_addc_u32 s17, s17, s19
	v_ashrrev_i32_e32 v5, 31, v4
	v_mov_b32_e32 v43, 0
	v_lshl_add_u64 v[4:5], v[4:5], 1, s[16:17]
	v_lshlrev_b32_e32 v8, 1, v42
	v_mov_b32_e32 v9, v43
	v_lshl_add_u64 v[4:5], v[4:5], 0, v[8:9]
	global_load_dwordx4 v[16:19], v[4:5], off
	v_and_b32_e32 v4, 3, v0
	v_lshlrev_b32_e32 v5, 9, v44
	v_lshlrev_b32_e32 v3, 5, v3
	;; [unrolled: 1-line block ×3, first 2 shown]
	v_and_b32_e32 v5, 0x1800, v5
	v_or3_b32 v3, v5, v4, v3
	s_waitcnt vmcnt(0)
	ds_write_b128 v3, v[16:19]
.LBB124_13:
	s_or_b64 exec, exec, s[12:13]
	s_waitcnt lgkmcnt(0)
	s_mul_i32 s4, s4, s46
	s_mov_b32 s5, 0
	s_lshl_b64 s[4:5], s[4:5], 1
	s_add_u32 s10, s10, s4
	s_addc_u32 s11, s11, s5
	s_waitcnt vmcnt(3)
	v_mad_i64_i32 v[2:3], s[12:13], v2, s45, 0
	v_lshl_add_u64 v[2:3], v[2:3], 1, s[10:11]
	v_lshlrev_b64 v[12:13], 1, v[42:43]
	v_lshlrev_b32_e32 v46, 9, v54
	v_lshl_add_u64 v[2:3], v[2:3], 0, v[12:13]
	v_mov_b32_e32 v47, 0
	v_lshl_add_u64 v[8:9], v[2:3], 0, v[46:47]
	s_barrier
	global_load_dwordx4 v[22:25], v[8:9], off
	global_load_dwordx4 v[2:5], v[8:9], off offset:2048
	s_waitcnt vmcnt(4)
	v_mad_i64_i32 v[6:7], s[12:13], v6, s45, 0
	v_mov_b32_e32 v8, 0x100
	v_lshl_add_u64 v[6:7], v[6:7], 1, s[10:11]
	v_lshl_or_b32 v16, v44, 4, v8
	v_mov_b32_e32 v17, v47
	s_waitcnt vmcnt(3)
	v_mad_i64_i32 v[10:11], s[12:13], v10, s45, 0
	v_lshl_add_u64 v[6:7], v[6:7], 0, v[16:17]
	v_lshl_add_u64 v[10:11], v[10:11], 1, s[10:11]
	s_waitcnt vmcnt(2)
	v_mad_i64_i32 v[14:15], s[12:13], v14, s45, 0
	v_lshl_add_u64 v[18:19], v[6:7], 0, v[46:47]
	v_lshl_add_u64 v[10:11], v[10:11], 0, v[12:13]
	;; [unrolled: 1-line block ×3, first 2 shown]
	global_load_dwordx4 v[26:29], v[18:19], off
	global_load_dwordx4 v[6:9], v[18:19], off offset:2048
	v_lshl_add_u64 v[18:19], v[10:11], 0, v[46:47]
	v_lshl_add_u64 v[14:15], v[14:15], 0, v[16:17]
	global_load_dwordx4 v[30:33], v[18:19], off
	global_load_dwordx4 v[10:13], v[18:19], off offset:2048
	v_lshl_add_u64 v[18:19], v[14:15], 0, v[46:47]
	global_load_dwordx4 v[34:37], v[18:19], off
	global_load_dwordx4 v[14:17], v[18:19], off offset:2048
	v_add_u32_e32 v18, -13, v44
	v_cmp_gt_u32_e32 vcc, 13, v44
	v_and_b32_e32 v45, 63, v0
	v_mov_b32_e32 v50, 0
	v_cndmask_b32_e32 v18, v18, v44, vcc
	v_lshl_add_u32 v18, v18, 5, v46
	ds_read_b128 v[38:41], v18
	ds_read_b128 v[18:21], v18 offset:2048
	s_and_saveexec_b64 s[10:11], vcc
	s_cbranch_execz .LBB124_15
; %bb.14:
	s_load_dwordx2 s[12:13], s[0:1], 0x40
	v_add_u32_e32 v48, s42, v44
	v_ashrrev_i32_e32 v49, 31, v48
	s_waitcnt lgkmcnt(0)
	v_lshl_add_u64 v[48:49], v[48:49], 2, s[12:13]
	global_load_dword v50, v[48:49], off
.LBB124_15:
	s_or_b64 exec, exec, s[10:11]
	s_ashr_i32 s10, s14, 31
	v_and_or_b32 v46, v0, 48, s14
	s_lshr_b32 s11, s10, 27
	v_add_u32_e32 v48, s11, v46
	v_or_b32_e32 v52, 64, v46
	v_ashrrev_i32_e32 v48, 5, v48
	v_mov_b32_e32 v51, s15
	v_cmp_gt_i32_e32 vcc, s29, v46
	v_add_u32_e32 v53, s11, v52
	s_waitcnt vmcnt(7) lgkmcnt(1)
	v_mfma_f32_16x16x16_f16 v[56:59], v[22:23], v[38:39], 0
	v_cndmask_b32_e32 v48, v51, v48, vcc
	v_ashrrev_i32_e32 v22, 5, v53
	v_cmp_gt_i32_e32 vcc, s29, v52
	v_ashrrev_i32_e32 v49, 31, v48
	v_lshl_add_u64 v[48:49], v[48:49], 2, s[8:9]
	v_cndmask_b32_e32 v22, v51, v22, vcc
	v_ashrrev_i32_e32 v23, 31, v22
	v_lshl_add_u64 v[22:23], v[22:23], 2, s[8:9]
	global_load_dword v55, v[48:49], off
	global_load_dword v72, v[22:23], off
	s_waitcnt vmcnt(3)
	v_mfma_f32_16x16x16_f16 v[68:71], v[34:35], v[38:39], 0
	v_or_b32_e32 v48, 0xc0, v46
	v_add_u32_e32 v52, s11, v48
	s_add_u32 s4, s6, s4
	v_mfma_f32_16x16x16_f16 v[60:63], v[26:27], v[38:39], 0
	s_addc_u32 s5, s7, s5
	s_load_dword s10, s[0:1], 0x1c
	s_mov_b32 s33, 0xff7fffff
	v_mfma_f32_16x16x16_f16 v[64:67], v[30:31], v[38:39], 0
	v_and_b32_e32 v31, 0xc0, v0
	v_or_b32_e32 v38, 0x80, v46
	v_add_u32_e32 v34, s14, v31
	v_mfma_f32_16x16x16_f16 v[22:25], v[24:25], v[40:41], v[56:59]
	v_and_b32_e32 v30, 16, v0
	v_add_u32_e32 v49, s11, v38
	v_lshlrev_b32_e32 v46, 1, v30
	v_lshl_or_b32 v56, v54, 2, v34
	v_mfma_f32_16x16x16_f16 v[34:37], v[36:37], v[40:41], v[68:71]
	v_cmp_gt_i32_e32 vcc, s29, v38
	v_lshlrev_b32_e32 v39, 6, v44
	v_or_b32_e32 v57, 1, v56
	v_mfma_f32_16x16x16_f16 v[26:29], v[28:29], v[40:41], v[60:63]
	v_cmp_gt_i32_e64 s[34:35], s29, v57
	v_mfma_f32_16x16x16_f16 v[30:33], v[32:33], v[40:41], v[64:67]
	v_ashrrev_i32_e32 v40, 5, v49
	v_ashrrev_i32_e32 v41, 5, v52
	v_cndmask_b32_e32 v38, v51, v40, vcc
	v_cmp_gt_i32_e32 vcc, s29, v48
	s_waitcnt lgkmcnt(0)
	v_mfma_f32_16x16x16_f16 v[22:25], v[2:3], v[18:19], v[22:25]
	v_lshl_add_u64 v[2:3], s[4:5], 0, v[46:47]
	v_cndmask_b32_e32 v40, v51, v41, vcc
	v_lshl_or_b32 v46, v1, 10, v39
	v_ashrrev_i32_e32 v39, 31, v38
	v_ashrrev_i32_e32 v41, 31, v40
	s_waitcnt vmcnt(2)
	v_mfma_f32_16x16x16_f16 v[34:37], v[14:15], v[18:19], v[34:37]
	v_lshl_add_u64 v[14:15], v[38:39], 2, s[8:9]
	v_subrev_u32_e32 v51, s29, v57
	v_cvt_f32_i32_e32 v58, v51
	v_mfma_f32_16x16x16_f16 v[26:29], v[6:7], v[18:19], v[26:29]
	v_mfma_f32_16x16x16_f16 v[30:33], v[10:11], v[18:19], v[30:33]
	v_lshl_add_u64 v[18:19], v[40:41], 2, s[8:9]
	global_load_dword v59, v[14:15], off
	global_load_dword v60, v[18:19], off
	v_lshl_add_u64 v[10:11], v[2:3], 0, v[46:47]
	v_mfma_f32_16x16x16_f16 v[2:5], v[4:5], v[20:21], v[22:25]
	v_add_u32_e32 v46, 1, v51
	v_add_u32_e32 v47, 3, v51
	;; [unrolled: 1-line block ×3, first 2 shown]
	v_mfma_f32_16x16x16_f16 v[14:17], v[16:17], v[20:21], v[34:37]
	v_add_u32_e32 v22, 2, v51
	s_nop 1
	v_pk_mul_f32 v[52:53], s[10:11], v[4:5] op_sel_hi:[0,1]
	v_cvt_f32_i32_e32 v18, v18
	v_mfma_f32_16x16x16_f16 v[6:9], v[8:9], v[20:21], v[26:29]
	v_add_u32_e32 v19, 19, v51
	v_pk_mul_f32 v[34:35], s[10:11], v[16:17] op_sel_hi:[0,1]
	v_pk_mul_f32 v[36:37], s[10:11], v[14:15] op_sel_hi:[0,1]
	v_cvt_f32_i32_e32 v27, v22
	v_mfma_f32_16x16x16_f16 v[22:25], v[12:13], v[20:21], v[30:33]
	v_pk_mul_f32 v[12:13], s[10:11], v[2:3] op_sel_hi:[0,1]
	v_cvt_f32_i32_e32 v26, v46
	v_cvt_f32_i32_e32 v28, v47
	v_pk_mul_f32 v[46:47], s[10:11], v[8:9] op_sel_hi:[0,1]
	v_pk_mul_f32 v[48:49], s[10:11], v[6:7] op_sel_hi:[0,1]
	v_cvt_f32_i32_e32 v19, v19
	v_fma_f32 v46, v50, v18, v46
	v_add_u32_e32 v18, 34, v51
	v_cvt_f32_i32_e32 v18, v18
	v_fmac_f32_e32 v47, v50, v19
	v_add_u32_e32 v19, 35, v51
	v_cvt_f32_i32_e32 v19, v19
	v_pk_mul_f32 v[40:41], s[10:11], v[22:23] op_sel_hi:[0,1]
	v_pk_mul_f32 v[38:39], s[10:11], v[24:25] op_sel_hi:[0,1]
	v_fma_f32 v38, v50, v18, v38
	v_add_u32_e32 v18, 50, v51
	s_waitcnt vmcnt(3)
	v_mad_i64_i32 v[2:3], s[4:5], v55, s45, 0
	s_waitcnt vmcnt(2)
	v_mad_i64_i32 v[4:5], s[4:5], v72, s45, 0
	v_lshl_add_u64 v[16:17], v[2:3], 1, v[10:11]
	v_lshl_add_u64 v[14:15], v[4:5], 1, v[10:11]
	global_load_dwordx4 v[6:9], v[16:17], off
	global_load_dwordx4 v[2:5], v[16:17], off offset:16
	v_add_u32_e32 v16, 16, v51
	v_cvt_f32_i32_e32 v16, v16
	v_add_u32_e32 v17, 17, v51
	v_cvt_f32_i32_e32 v17, v17
	v_fmac_f32_e32 v39, v50, v19
	v_fma_f32 v48, v50, v16, v48
	v_add_u32_e32 v16, 32, v51
	v_fmac_f32_e32 v49, v50, v17
	v_cvt_f32_i32_e32 v16, v16
	v_add_u32_e32 v17, 33, v51
	v_cvt_f32_i32_e32 v17, v17
	v_cvt_f32_i32_e32 v18, v18
	v_fma_f32 v40, v50, v16, v40
	v_add_u32_e32 v16, 48, v51
	v_fmac_f32_e32 v41, v50, v17
	v_cvt_f32_i32_e32 v16, v16
	v_add_u32_e32 v17, 49, v51
	v_cvt_f32_i32_e32 v17, v17
	v_add_u32_e32 v19, 51, v51
	v_cvt_f32_i32_e32 v19, v19
	v_fma_f32 v12, v50, v58, v12
	v_fmac_f32_e32 v13, v50, v26
	v_fma_f32 v36, v50, v16, v36
	v_mov_b32_e32 v16, 0xff7fffff
	v_cmp_gt_i32_e64 s[4:5], s29, v56
	v_fmac_f32_e32 v37, v50, v17
	v_fma_f32 v34, v50, v18, v34
	v_cndmask_b32_e64 v17, v16, v12, s[4:5]
	v_cndmask_b32_e64 v18, v16, v13, s[34:35]
	v_fmac_f32_e32 v35, v50, v19
	v_max3_f32 v17, v17, s33, v18
	v_or_b32_e32 v18, 2, v56
	v_or_b32_e32 v19, 3, v56
	v_fma_f32 v52, v50, v27, v52
	v_fmac_f32_e32 v53, v50, v28
	v_cmp_gt_i32_e64 s[36:37], s29, v18
	v_cmp_gt_i32_e64 s[38:39], s29, v19
	global_load_dwordx4 v[30:33], v[14:15], off
	global_load_dwordx4 v[26:29], v[14:15], off offset:16
	v_cndmask_b32_e64 v18, v16, v52, s[36:37]
	v_cndmask_b32_e64 v19, v16, v53, s[38:39]
	v_max3_f32 v17, v17, v18, v19
	v_or_b32_e32 v18, 16, v56
	v_or_b32_e32 v19, 17, v56
	v_cmp_gt_i32_e64 s[24:25], s29, v18
	v_cmp_gt_i32_e64 s[26:27], s29, v19
	s_nop 0
	v_cndmask_b32_e64 v18, v16, v48, s[24:25]
	v_cndmask_b32_e64 v19, v16, v49, s[26:27]
	v_max3_f32 v17, v17, v18, v19
	v_or_b32_e32 v18, 18, v56
	v_or_b32_e32 v19, 19, v56
	v_cmp_gt_i32_e64 s[20:21], s29, v18
	v_cmp_gt_i32_e64 s[22:23], s29, v19
	s_nop 0
	;; [unrolled: 8-line block ×5, first 2 shown]
	v_cndmask_b32_e64 v18, v16, v36, s[8:9]
	v_cndmask_b32_e64 v19, v16, v37, s[10:11]
	v_max3_f32 v17, v17, v18, v19
	v_or_b32_e32 v18, 50, v56
	v_or_b32_e32 v19, 51, v56
	v_cmp_gt_i32_e32 vcc, s29, v18
	v_cmp_gt_i32_e64 s[6:7], s29, v19
	s_nop 0
	v_cndmask_b32_e32 v18, v16, v34, vcc
	v_cndmask_b32_e64 v16, v16, v35, s[6:7]
	v_max3_f32 v16, v17, v18, v16
	v_mbcnt_lo_u32_b32 v17, -1, 0
	v_mbcnt_hi_u32_b32 v17, -1, v17
	v_and_b32_e32 v18, 64, v17
	v_add_u32_e32 v18, 64, v18
	v_xor_b32_e32 v19, 32, v17
	v_cmp_lt_i32_e64 s[40:41], v19, v18
	s_nop 1
	v_cndmask_b32_e64 v19, v17, v19, s[40:41]
	v_lshlrev_b32_e32 v56, 2, v19
	ds_bpermute_b32 v19, v56, v16
	s_waitcnt vmcnt(5)
	v_mad_i64_i32 v[14:15], s[40:41], v59, s45, 0
	v_lshl_add_u64 v[14:15], v[14:15], 1, v[10:11]
	s_waitcnt lgkmcnt(0)
	v_max_f32_e32 v19, v19, v19
	v_max_f32_e32 v16, v16, v19
	v_xor_b32_e32 v19, 16, v17
	v_cmp_lt_i32_e64 s[40:41], v19, v18
	s_nop 1
	v_cndmask_b32_e64 v17, v17, v19, s[40:41]
	v_lshlrev_b32_e32 v57, 2, v17
	ds_bpermute_b32 v17, v57, v16
	global_load_dwordx4 v[22:25], v[14:15], off
	global_load_dwordx4 v[18:21], v[14:15], off offset:16
	s_waitcnt vmcnt(6)
	v_mad_i64_i32 v[14:15], s[40:41], v60, s45, 0
	v_lshl_add_u64 v[10:11], v[14:15], 1, v[10:11]
	s_waitcnt lgkmcnt(0)
	v_max_f32_e32 v14, v17, v17
	v_max_f32_e32 v55, v16, v14
	v_sub_f32_e32 v12, v12, v55
	v_mul_f32_e32 v12, 0x3fb8aa3b, v12
	v_exp_f32_e32 v50, v12
	v_sub_f32_e32 v12, v13, v55
	v_mul_f32_e32 v12, 0x3fb8aa3b, v12
	v_exp_f32_e32 v51, v12
	global_load_dwordx4 v[14:17], v[10:11], off
	s_nop 0
	global_load_dwordx4 v[10:13], v[10:11], off offset:16
	v_sub_f32_e32 v52, v52, v55
	v_mul_f32_e32 v52, 0x3fb8aa3b, v52
	v_sub_f32_e32 v53, v53, v55
	v_exp_f32_e32 v52, v52
	v_mul_f32_e32 v53, 0x3fb8aa3b, v53
	v_sub_f32_e32 v48, v48, v55
	v_exp_f32_e32 v53, v53
	v_mul_f32_e32 v48, 0x3fb8aa3b, v48
	v_sub_f32_e32 v49, v49, v55
	v_cndmask_b32_e64 v50, 0, v50, s[4:5]
	v_exp_f32_e32 v48, v48
	v_mul_f32_e32 v49, 0x3fb8aa3b, v49
	v_sub_f32_e32 v46, v46, v55
	v_add_f32_e32 v58, 0, v50
	v_cndmask_b32_e64 v51, 0, v51, s[34:35]
	v_exp_f32_e32 v49, v49
	v_mul_f32_e32 v46, 0x3fb8aa3b, v46
	v_sub_f32_e32 v47, v47, v55
	v_add_f32_e32 v58, v58, v51
	v_cndmask_b32_e64 v52, 0, v52, s[36:37]
	v_exp_f32_e32 v46, v46
	v_mul_f32_e32 v47, 0x3fb8aa3b, v47
	v_sub_f32_e32 v40, v40, v55
	v_add_f32_e32 v58, v58, v52
	v_cndmask_b32_e64 v53, 0, v53, s[38:39]
	v_exp_f32_e32 v47, v47
	v_mul_f32_e32 v40, 0x3fb8aa3b, v40
	v_sub_f32_e32 v41, v41, v55
	v_add_f32_e32 v58, v58, v53
	v_cndmask_b32_e64 v48, 0, v48, s[24:25]
	v_exp_f32_e32 v40, v40
	v_mul_f32_e32 v41, 0x3fb8aa3b, v41
	v_sub_f32_e32 v38, v38, v55
	v_add_f32_e32 v58, v58, v48
	v_cndmask_b32_e64 v49, 0, v49, s[26:27]
	v_exp_f32_e32 v41, v41
	v_mul_f32_e32 v38, 0x3fb8aa3b, v38
	v_sub_f32_e32 v39, v39, v55
	v_add_f32_e32 v58, v58, v49
	v_cndmask_b32_e64 v46, 0, v46, s[20:21]
	v_exp_f32_e32 v38, v38
	v_mul_f32_e32 v39, 0x3fb8aa3b, v39
	v_sub_f32_e32 v36, v36, v55
	v_add_f32_e32 v58, v58, v46
	v_cndmask_b32_e64 v47, 0, v47, s[22:23]
	v_exp_f32_e32 v39, v39
	v_mul_f32_e32 v36, 0x3fb8aa3b, v36
	v_sub_f32_e32 v37, v37, v55
	v_add_f32_e32 v58, v58, v47
	v_cndmask_b32_e64 v40, 0, v40, s[16:17]
	v_exp_f32_e32 v36, v36
	v_mul_f32_e32 v37, 0x3fb8aa3b, v37
	v_sub_f32_e32 v34, v34, v55
	v_add_f32_e32 v58, v58, v40
	v_cndmask_b32_e64 v41, 0, v41, s[18:19]
	v_exp_f32_e32 v37, v37
	v_mul_f32_e32 v34, 0x3fb8aa3b, v34
	v_sub_f32_e32 v35, v35, v55
	v_add_f32_e32 v58, v58, v41
	v_cndmask_b32_e64 v38, 0, v38, s[12:13]
	v_exp_f32_e32 v34, v34
	v_mul_f32_e32 v35, 0x3fb8aa3b, v35
	v_add_f32_e32 v58, v58, v38
	v_cndmask_b32_e64 v39, 0, v39, s[14:15]
	v_exp_f32_e32 v35, v35
	v_add_f32_e32 v58, v58, v39
	v_cndmask_b32_e64 v36, 0, v36, s[8:9]
	v_add_f32_e32 v58, v58, v36
	v_cndmask_b32_e64 v37, 0, v37, s[10:11]
	v_add_f32_e32 v58, v58, v37
	v_cndmask_b32_e32 v34, 0, v34, vcc
	v_add_f32_e32 v58, v58, v34
	v_cndmask_b32_e64 v35, 0, v35, s[6:7]
	v_add_f32_e32 v58, v58, v35
	ds_bpermute_b32 v56, v56, v58
	s_load_dword s9, s[0:1], 0x98
	v_cmp_gt_u32_e64 s[6:7], 16, v45
	v_lshlrev_b32_e32 v45, 2, v44
	s_waitcnt lgkmcnt(0)
	v_add_f32_e32 v56, v58, v56
	ds_bpermute_b32 v57, v57, v56
	s_barrier
	s_waitcnt lgkmcnt(0)
	s_and_saveexec_b64 s[4:5], s[6:7]
	s_cbranch_execz .LBB124_17
; %bb.16:
	v_add_f32_e32 v56, v56, v57
	v_lshl_or_b32 v57, v1, 6, v45
	ds_write2st64_b32 v57, v55, v56 offset1:1
.LBB124_17:
	s_or_b64 exec, exec, s[4:5]
	s_load_dword s8, s[0:1], 0x94
	s_waitcnt lgkmcnt(0)
	s_barrier
	ds_read2_b32 v[56:57], v45 offset1:16
	ds_read2_b32 v[58:59], v45 offset0:32 offset1:48
	ds_read2_b32 v[60:61], v45 offset0:64 offset1:80
	;; [unrolled: 1-line block ×3, first 2 shown]
	s_waitcnt lgkmcnt(0)
	v_max3_f32 v55, v56, s33, v57
	v_max3_f32 v55, v55, v58, v59
	v_sub_f32_e32 v56, v56, v55
	v_mul_f32_e32 v56, 0x3fb8aa3b, v56
	v_exp_f32_e32 v64, v56
	v_sub_f32_e32 v56, v57, v55
	v_mul_f32_e32 v56, 0x3fb8aa3b, v56
	v_exp_f32_e32 v57, v56
	v_sub_f32_e32 v56, v58, v55
	v_mul_f32_e32 v56, 0x3fb8aa3b, v56
	v_sub_f32_e32 v45, v59, v55
	v_exp_f32_e32 v58, v56
	v_mul_f32_e32 v45, 0x3fb8aa3b, v45
	v_exp_f32_e32 v45, v45
	v_fma_f32 v56, v64, v60, 0
	v_fmac_f32_e32 v56, v57, v61
	v_fmac_f32_e32 v56, v58, v62
	;; [unrolled: 1-line block ×3, first 2 shown]
	v_add_f32_e32 v59, 0x358637bd, v56
	v_div_scale_f32 v60, s[4:5], v59, v59, 1.0
	v_rcp_f32_e32 v61, v60
	s_barrier
	s_mul_i32 s9, s9, 13
	v_fma_f32 v62, -v60, v61, 1.0
	v_fmac_f32_e32 v61, v62, v61
	v_div_scale_f32 v62, vcc, 1.0, v59, 1.0
	v_mul_f32_e32 v63, v62, v61
	v_fma_f32 v65, -v60, v63, v62
	v_fmac_f32_e32 v63, v65, v61
	v_fma_f32 v60, -v60, v63, v62
	v_div_fmas_f32 v60, v60, v61, v63
	v_cmp_eq_u32_e32 vcc, 1, v1
	v_div_fixup_f32 v59, v60, v59, 1.0
	s_nop 0
	v_cndmask_b32_e32 v57, v64, v57, vcc
	v_cmp_eq_u32_e32 vcc, 2, v1
	s_nop 1
	v_cndmask_b32_e32 v57, v57, v58, vcc
	v_cmp_eq_u32_e32 vcc, 3, v1
	v_lshlrev_b32_e32 v1, 11, v1
	s_nop 0
	v_cndmask_b32_e32 v45, v57, v45, vcc
	v_mul_f32_e32 v58, v45, v59
	v_pk_mul_f32 v[52:53], v[58:59], v[52:53] op_sel_hi:[0,1]
	v_pk_mul_f32 v[50:51], v[58:59], v[50:51] op_sel_hi:[0,1]
	v_cvt_f16_f32_e32 v45, v50
	v_cvt_f16_f32_e32 v50, v51
	;; [unrolled: 1-line block ×4, first 2 shown]
	v_pk_mul_f32 v[46:47], v[58:59], v[46:47] op_sel_hi:[0,1]
	v_pk_mul_f32 v[48:49], v[58:59], v[48:49] op_sel_hi:[0,1]
	v_cvt_f16_f32_e32 v48, v48
	v_pack_b32_f16 v53, v51, v53
	v_cvt_f16_f32_e32 v49, v49
	v_cvt_f16_f32_e32 v51, v46
	;; [unrolled: 1-line block ×3, first 2 shown]
	v_pack_b32_f16 v52, v45, v50
	v_lshlrev_b32_e32 v45, 3, v54
	v_lshlrev_b32_e32 v50, 5, v44
	v_or3_b32 v1, v1, v50, v45
	v_pack_b32_f16 v46, v48, v49
	v_pack_b32_f16 v47, v51, v47
	v_pk_mul_f32 v[38:39], v[58:59], v[38:39] op_sel_hi:[0,1]
	v_pk_mul_f32 v[40:41], v[58:59], v[40:41] op_sel_hi:[0,1]
	;; [unrolled: 1-line block ×4, first 2 shown]
	ds_write2st64_b64 v1, v[52:53], v[46:47] offset1:1
	v_cvt_f16_f32_e32 v40, v40
	v_cvt_f16_f32_e32 v41, v41
	v_cvt_f16_f32_e32 v38, v38
	v_cvt_f16_f32_e32 v39, v39
	v_cvt_f16_f32_e32 v36, v36
	v_cvt_f16_f32_e32 v37, v37
	v_cvt_f16_f32_e32 v45, v34
	v_cvt_f16_f32_e32 v46, v35
	v_pack_b32_f16 v34, v40, v41
	v_pack_b32_f16 v35, v38, v39
	v_pack_b32_f16 v36, v36, v37
	v_pack_b32_f16 v37, v45, v46
	v_cmp_gt_u32_e32 vcc, 13, v0
	ds_write2st64_b64 v1, v[34:35], v[36:37] offset0:2 offset1:3
	s_and_saveexec_b64 s[4:5], vcc
	s_cbranch_execz .LBB124_19
; %bb.18:
	s_mov_b32 s43, 0
	v_mov_b32_e32 v45, 0
	v_lshl_add_u64 v[34:35], s[42:43], 0, v[44:45]
	v_mov_b32_e32 v36, s9
	v_mad_u64_u32 v[34:35], s[10:11], s2, v36, v[34:35]
	s_mul_i32 s3, s3, s9
	v_mov_b32_e32 v44, s28
	s_load_dwordx4 s[12:15], s[0:1], 0x58
	v_add_u32_e32 v37, s3, v35
	v_mad_u64_u32 v[34:35], s[10:11], v34, s8, v[44:45]
	v_mov_b32_e32 v36, v35
	v_mad_u64_u32 v[36:37], s[10:11], v37, s8, v[36:37]
	v_mov_b32_e32 v35, v36
	v_lshlrev_b64 v[34:35], 2, v[34:35]
	s_waitcnt lgkmcnt(0)
	v_lshl_add_u64 v[36:37], s[14:15], 0, v[34:35]
	v_lshl_add_u64 v[34:35], s[12:13], 0, v[34:35]
	global_store_dword v[36:37], v55, off
	global_store_dword v[34:35], v56, off
.LBB124_19:
	s_or_b64 exec, exec, s[4:5]
	v_lshl_or_b32 v48, v54, 9, v50
	s_waitcnt lgkmcnt(0)
	s_barrier
	ds_read_b128 v[34:37], v48
	ds_read_b128 v[38:41], v48 offset:16
	s_waitcnt vmcnt(7) lgkmcnt(1)
	v_mfma_f32_16x16x16_f16 v[44:47], v[6:7], v[34:35], 0
	v_cmp_gt_u32_e32 vcc, 64, v0
	s_mov_b32 s3, 0
	s_and_b64 s[4:5], vcc, s[30:31]
	v_mfma_f32_16x16x16_f16 v[6:9], v[8:9], v[36:37], v[44:47]
	s_waitcnt vmcnt(6) lgkmcnt(0)
	v_mfma_f32_16x16x16_f16 v[6:9], v[2:3], v[38:39], v[6:9]
	v_mfma_f32_16x16x16_f16 v[2:5], v[4:5], v[40:41], v[6:9]
	s_nop 5
	ds_read_b128 v[6:9], v48 offset:2048
	ds_read_b128 v[34:37], v48 offset:2064
	s_waitcnt vmcnt(5) lgkmcnt(1)
	v_mfma_f32_16x16x16_f16 v[2:5], v[30:31], v[6:7], v[2:5]
	v_mfma_f32_16x16x16_f16 v[2:5], v[32:33], v[8:9], v[2:5]
	s_waitcnt vmcnt(4) lgkmcnt(0)
	v_mfma_f32_16x16x16_f16 v[2:5], v[26:27], v[34:35], v[2:5]
	v_mfma_f32_16x16x16_f16 v[2:5], v[28:29], v[36:37], v[2:5]
	ds_read_b128 v[6:9], v48 offset:4096
	ds_read_b128 v[26:29], v48 offset:4112
	s_waitcnt vmcnt(3) lgkmcnt(1)
	v_mfma_f32_16x16x16_f16 v[2:5], v[22:23], v[6:7], v[2:5]
	v_mfma_f32_16x16x16_f16 v[2:5], v[24:25], v[8:9], v[2:5]
	s_waitcnt vmcnt(2) lgkmcnt(0)
	v_mfma_f32_16x16x16_f16 v[2:5], v[18:19], v[26:27], v[2:5]
	v_mfma_f32_16x16x16_f16 v[2:5], v[20:21], v[28:29], v[2:5]
	ds_read_b128 v[6:9], v48 offset:6144
	ds_read_b128 v[18:21], v48 offset:6160
	s_waitcnt lgkmcnt(0)
	s_barrier
	s_waitcnt vmcnt(1)
	v_mfma_f32_16x16x16_f16 v[2:5], v[14:15], v[6:7], v[2:5]
	v_mfma_f32_16x16x16_f16 v[2:5], v[16:17], v[8:9], v[2:5]
	s_waitcnt vmcnt(0)
	v_mfma_f32_16x16x16_f16 v[2:5], v[10:11], v[18:19], v[2:5]
	v_mfma_f32_16x16x16_f16 v[2:5], v[12:13], v[20:21], v[2:5]
	s_nop 6
	v_cvt_f16_f32_e32 v2, v2
	v_cvt_f16_f32_e32 v3, v3
	v_cvt_f16_f32_e32 v4, v4
	v_cvt_f16_f32_e32 v5, v5
	v_pack_b32_f16 v2, v2, v3
	v_pack_b32_f16 v3, v4, v5
	ds_write_b64 v1, v[2:3]
	s_waitcnt lgkmcnt(0)
	s_barrier
	s_and_saveexec_b64 s[10:11], s[4:5]
	s_cbranch_execz .LBB124_22
; %bb.20:
	s_load_dwordx2 s[4:5], s[0:1], 0x68
	s_lshl_b32 s0, s8, 6
	s_mul_i32 s1, s9, s2
	s_mul_hi_u32 s9, s1, s0
	s_mul_i32 s8, s1, s0
	v_lshlrev_b32_e32 v1, 10, v0
	v_lshlrev_b32_e32 v0, 4, v0
	s_lshl_b64 s[8:9], s[8:9], 1
	v_and_b32_e32 v1, 0x1800, v1
	v_lshlrev_b32_e32 v2, 5, v54
	v_and_b32_e32 v0, 16, v0
	s_waitcnt lgkmcnt(0)
	s_add_u32 s1, s4, s8
	v_or3_b32 v2, v1, v2, v0
	s_addc_u32 s4, s5, s9
	s_lshl_b32 s2, s28, 6
	ds_read_b128 v[4:7], v2 offset:256
	s_lshl_b64 s[2:3], s[2:3], 1
	ds_read_b128 v[8:11], v2 offset:128
	ds_read_b128 v[12:15], v2
	s_add_u32 s2, s1, s2
	s_addc_u32 s3, s4, s3
	v_add_u32_e32 v3, s42, v54
	v_lshl_add_u64 v[0:1], v[42:43], 1, s[2:3]
	v_mad_u64_u32 v[16:17], s[2:3], v3, s0, 0
	v_lshl_add_u64 v[16:17], v[16:17], 1, v[0:1]
	s_waitcnt lgkmcnt(0)
	global_store_dwordx4 v[16:17], v[12:15], off
	s_nop 1
	v_add_u32_e32 v12, 4, v3
	v_mad_u64_u32 v[12:13], s[2:3], v12, s0, 0
	v_lshl_add_u64 v[12:13], v[12:13], 1, v[0:1]
	v_add_u32_e32 v3, 8, v3
	global_store_dwordx4 v[12:13], v[8:11], off
	s_nop 1
	v_mad_u64_u32 v[8:9], s[2:3], v3, s0, 0
	v_lshl_add_u64 v[8:9], v[8:9], 1, v[0:1]
	global_store_dwordx4 v[8:9], v[4:7], off
	s_and_b64 exec, exec, s[6:7]
	s_cbranch_execz .LBB124_22
; %bb.21:
	ds_read_b128 v[2:5], v2 offset:384
	v_add3_u32 v6, s42, v54, 12
	v_mad_u64_u32 v[6:7], s[0:1], v6, s0, 0
	v_lshl_add_u64 v[0:1], v[6:7], 1, v[0:1]
	s_waitcnt lgkmcnt(0)
	global_store_dwordx4 v[0:1], v[2:5], off
.LBB124_22:
	s_endpgm
	.section	.rodata,"a",@progbits
	.p2align	6, 0x0
	.amdhsa_kernel _Z39paged_attention_ll4mi_QKV_mfma16_kernelIDF16_DF16_LN4vllm18Fp8KVCacheDataTypeE0EhLi32ELi64ELi256ELb1ELi13EEvPKT_PKT0_S7_ifPKiS9_S9_iPKfiiiPfSC_PS2_PT2_iSB_SB_
		.amdhsa_group_segment_fixed_size 8192
		.amdhsa_private_segment_fixed_size 0
		.amdhsa_kernarg_size 400
		.amdhsa_user_sgpr_count 2
		.amdhsa_user_sgpr_dispatch_ptr 0
		.amdhsa_user_sgpr_queue_ptr 0
		.amdhsa_user_sgpr_kernarg_segment_ptr 1
		.amdhsa_user_sgpr_dispatch_id 0
		.amdhsa_user_sgpr_kernarg_preload_length 0
		.amdhsa_user_sgpr_kernarg_preload_offset 0
		.amdhsa_user_sgpr_private_segment_size 0
		.amdhsa_uses_dynamic_stack 0
		.amdhsa_enable_private_segment 0
		.amdhsa_system_sgpr_workgroup_id_x 1
		.amdhsa_system_sgpr_workgroup_id_y 1
		.amdhsa_system_sgpr_workgroup_id_z 1
		.amdhsa_system_sgpr_workgroup_info 0
		.amdhsa_system_vgpr_workitem_id 0
		.amdhsa_next_free_vgpr 73
		.amdhsa_next_free_sgpr 48
		.amdhsa_accum_offset 76
		.amdhsa_reserve_vcc 1
		.amdhsa_float_round_mode_32 0
		.amdhsa_float_round_mode_16_64 0
		.amdhsa_float_denorm_mode_32 3
		.amdhsa_float_denorm_mode_16_64 3
		.amdhsa_dx10_clamp 1
		.amdhsa_ieee_mode 1
		.amdhsa_fp16_overflow 0
		.amdhsa_tg_split 0
		.amdhsa_exception_fp_ieee_invalid_op 0
		.amdhsa_exception_fp_denorm_src 0
		.amdhsa_exception_fp_ieee_div_zero 0
		.amdhsa_exception_fp_ieee_overflow 0
		.amdhsa_exception_fp_ieee_underflow 0
		.amdhsa_exception_fp_ieee_inexact 0
		.amdhsa_exception_int_div_zero 0
	.end_amdhsa_kernel
	.section	.text._Z39paged_attention_ll4mi_QKV_mfma16_kernelIDF16_DF16_LN4vllm18Fp8KVCacheDataTypeE0EhLi32ELi64ELi256ELb1ELi13EEvPKT_PKT0_S7_ifPKiS9_S9_iPKfiiiPfSC_PS2_PT2_iSB_SB_,"axG",@progbits,_Z39paged_attention_ll4mi_QKV_mfma16_kernelIDF16_DF16_LN4vllm18Fp8KVCacheDataTypeE0EhLi32ELi64ELi256ELb1ELi13EEvPKT_PKT0_S7_ifPKiS9_S9_iPKfiiiPfSC_PS2_PT2_iSB_SB_,comdat
.Lfunc_end124:
	.size	_Z39paged_attention_ll4mi_QKV_mfma16_kernelIDF16_DF16_LN4vllm18Fp8KVCacheDataTypeE0EhLi32ELi64ELi256ELb1ELi13EEvPKT_PKT0_S7_ifPKiS9_S9_iPKfiiiPfSC_PS2_PT2_iSB_SB_, .Lfunc_end124-_Z39paged_attention_ll4mi_QKV_mfma16_kernelIDF16_DF16_LN4vllm18Fp8KVCacheDataTypeE0EhLi32ELi64ELi256ELb1ELi13EEvPKT_PKT0_S7_ifPKiS9_S9_iPKfiiiPfSC_PS2_PT2_iSB_SB_
                                        ; -- End function
	.section	.AMDGPU.csdata,"",@progbits
; Kernel info:
; codeLenInByte = 4216
; NumSgprs: 54
; NumVgprs: 73
; NumAgprs: 0
; TotalNumVgprs: 73
; ScratchSize: 0
; MemoryBound: 0
; FloatMode: 240
; IeeeMode: 1
; LDSByteSize: 8192 bytes/workgroup (compile time only)
; SGPRBlocks: 6
; VGPRBlocks: 9
; NumSGPRsForWavesPerEU: 54
; NumVGPRsForWavesPerEU: 73
; AccumOffset: 76
; Occupancy: 6
; WaveLimiterHint : 1
; COMPUTE_PGM_RSRC2:SCRATCH_EN: 0
; COMPUTE_PGM_RSRC2:USER_SGPR: 2
; COMPUTE_PGM_RSRC2:TRAP_HANDLER: 0
; COMPUTE_PGM_RSRC2:TGID_X_EN: 1
; COMPUTE_PGM_RSRC2:TGID_Y_EN: 1
; COMPUTE_PGM_RSRC2:TGID_Z_EN: 1
; COMPUTE_PGM_RSRC2:TIDIG_COMP_CNT: 0
; COMPUTE_PGM_RSRC3_GFX90A:ACCUM_OFFSET: 18
; COMPUTE_PGM_RSRC3_GFX90A:TG_SPLIT: 0
	.section	.text._Z39paged_attention_ll4mi_QKV_mfma16_kernelIDF16_DF16_LN4vllm18Fp8KVCacheDataTypeE0EhLi32ELi64ELi256ELb1ELi14EEvPKT_PKT0_S7_ifPKiS9_S9_iPKfiiiPfSC_PS2_PT2_iSB_SB_,"axG",@progbits,_Z39paged_attention_ll4mi_QKV_mfma16_kernelIDF16_DF16_LN4vllm18Fp8KVCacheDataTypeE0EhLi32ELi64ELi256ELb1ELi14EEvPKT_PKT0_S7_ifPKiS9_S9_iPKfiiiPfSC_PS2_PT2_iSB_SB_,comdat
	.protected	_Z39paged_attention_ll4mi_QKV_mfma16_kernelIDF16_DF16_LN4vllm18Fp8KVCacheDataTypeE0EhLi32ELi64ELi256ELb1ELi14EEvPKT_PKT0_S7_ifPKiS9_S9_iPKfiiiPfSC_PS2_PT2_iSB_SB_ ; -- Begin function _Z39paged_attention_ll4mi_QKV_mfma16_kernelIDF16_DF16_LN4vllm18Fp8KVCacheDataTypeE0EhLi32ELi64ELi256ELb1ELi14EEvPKT_PKT0_S7_ifPKiS9_S9_iPKfiiiPfSC_PS2_PT2_iSB_SB_
	.globl	_Z39paged_attention_ll4mi_QKV_mfma16_kernelIDF16_DF16_LN4vllm18Fp8KVCacheDataTypeE0EhLi32ELi64ELi256ELb1ELi14EEvPKT_PKT0_S7_ifPKiS9_S9_iPKfiiiPfSC_PS2_PT2_iSB_SB_
	.p2align	8
	.type	_Z39paged_attention_ll4mi_QKV_mfma16_kernelIDF16_DF16_LN4vllm18Fp8KVCacheDataTypeE0EhLi32ELi64ELi256ELb1ELi14EEvPKT_PKT0_S7_ifPKiS9_S9_iPKfiiiPfSC_PS2_PT2_iSB_SB_,@function
_Z39paged_attention_ll4mi_QKV_mfma16_kernelIDF16_DF16_LN4vllm18Fp8KVCacheDataTypeE0EhLi32ELi64ELi256ELb1ELi14EEvPKT_PKT0_S7_ifPKiS9_S9_iPKfiiiPfSC_PS2_PT2_iSB_SB_: ; @_Z39paged_attention_ll4mi_QKV_mfma16_kernelIDF16_DF16_LN4vllm18Fp8KVCacheDataTypeE0EhLi32ELi64ELi256ELb1ELi14EEvPKT_PKT0_S7_ifPKiS9_S9_iPKfiiiPfSC_PS2_PT2_iSB_SB_
; %bb.0:
	s_load_dwordx2 s[6:7], s[0:1], 0x30
	s_mov_b32 s28, s3
	s_mov_b64 s[8:9], 0
	s_waitcnt lgkmcnt(0)
	s_cmp_lg_u64 s[6:7], 0
	s_cselect_b64 s[10:11], -1, 0
	s_and_b64 vcc, exec, s[10:11]
	s_cbranch_vccz .LBB125_7
; %bb.1:
	s_add_i32 s12, s2, 1
	s_mov_b32 s13, 0
	s_lshl_b64 s[14:15], s[12:13], 2
	s_add_u32 s14, s6, s14
	s_mov_b32 s3, s13
	s_addc_u32 s15, s7, s15
	s_lshl_b64 s[12:13], s[2:3], 2
	s_add_u32 s12, s6, s12
	s_addc_u32 s13, s7, s13
	s_load_dword s5, s[14:15], 0x0
	s_load_dword s16, s[12:13], 0x0
	s_waitcnt lgkmcnt(0)
	s_sub_i32 s5, s5, s16
	s_cmp_eq_u32 s5, 1
	s_cselect_b64 s[12:13], -1, 0
	s_andn2_b64 vcc, exec, s[8:9]
	s_cbranch_vccnz .LBB125_3
.LBB125_2:
	s_mov_b32 s3, 0
	s_mov_b64 s[12:13], -1
.LBB125_3:
	s_andn2_b64 vcc, exec, s[12:13]
	s_cbranch_vccnz .LBB125_22
; %bb.4:
	s_load_dwordx2 s[8:9], s[0:1], 0x28
	s_lshl_b64 s[12:13], s[2:3], 2
	s_waitcnt lgkmcnt(0)
	s_add_u32 s8, s8, s12
	s_addc_u32 s9, s9, s13
	s_load_dword s29, s[8:9], 0x0
	s_lshl_b32 s14, s28, 8
	s_waitcnt lgkmcnt(0)
	s_cmp_ge_i32 s14, s29
	s_cbranch_scc1 .LBB125_22
; %bb.5:
	s_load_dwordx2 s[8:9], s[0:1], 0x20
	s_load_dword s5, s[0:1], 0x38
	s_add_i32 s15, s29, 31
	s_ashr_i32 s16, s15, 31
	v_and_b32_e32 v1, 0xcf, v0
	s_lshr_b32 s16, s16, 27
	v_add_u32_e32 v1, s14, v1
	s_add_i32 s15, s15, s16
	v_ashrrev_i32_e32 v2, 31, v1
	s_ashr_i32 s15, s15, 5
	v_lshrrev_b32_e32 v6, 27, v2
	s_add_i32 s15, s15, -1
	s_waitcnt lgkmcnt(0)
	s_mul_i32 s16, s2, s5
	s_mov_b32 s17, 0
	v_add_u32_e32 v2, v1, v6
	s_lshl_b64 s[16:17], s[16:17], 2
	v_ashrrev_i32_e32 v2, 5, v2
	v_mov_b32_e32 v7, s15
	v_cmp_gt_i32_e32 vcc, s29, v1
	s_add_u32 s8, s8, s16
	s_addc_u32 s9, s9, s17
	v_cndmask_b32_e32 v2, v7, v2, vcc
	v_ashrrev_i32_e32 v3, 31, v2
	v_lshl_add_u64 v[4:5], v[2:3], 2, s[8:9]
	v_or_b32_e32 v2, 16, v1
	v_add_u32_e32 v3, v2, v6
	v_ashrrev_i32_e32 v3, 5, v3
	v_cmp_gt_i32_e32 vcc, s29, v2
	s_nop 1
	v_cndmask_b32_e32 v2, v7, v3, vcc
	v_ashrrev_i32_e32 v3, 31, v2
	v_lshl_add_u64 v[8:9], v[2:3], 2, s[8:9]
	v_or_b32_e32 v2, 32, v1
	v_add_u32_e32 v3, v2, v6
	v_ashrrev_i32_e32 v3, 5, v3
	v_cmp_gt_i32_e32 vcc, s29, v2
	v_or_b32_e32 v1, 48, v1
	s_nop 0
	v_cndmask_b32_e32 v2, v7, v3, vcc
	v_ashrrev_i32_e32 v3, 31, v2
	v_lshl_add_u64 v[12:13], v[2:3], 2, s[8:9]
	v_add_u32_e32 v2, v1, v6
	v_ashrrev_i32_e32 v2, 5, v2
	v_cmp_gt_i32_e32 vcc, s29, v1
	s_nop 1
	v_cndmask_b32_e32 v2, v7, v2, vcc
	v_ashrrev_i32_e32 v3, 31, v2
	v_lshl_add_u64 v[16:17], v[2:3], 2, s[8:9]
	global_load_dword v2, v[4:5], off
	global_load_dword v6, v[8:9], off
	;; [unrolled: 1-line block ×4, first 2 shown]
	s_andn2_b64 vcc, exec, s[10:11]
	s_cbranch_vccnz .LBB125_8
; %bb.6:
	s_add_u32 s6, s6, s12
	s_addc_u32 s7, s7, s13
	s_load_dword s5, s[6:7], 0x0
	s_branch .LBB125_9
.LBB125_7:
	s_mov_b64 s[12:13], 0
	s_branch .LBB125_2
.LBB125_8:
	s_mov_b32 s5, s2
.LBB125_9:
	s_load_dwordx2 s[10:11], s[0:1], 0x8
	s_load_dwordx4 s[44:47], s[0:1], 0x48
	v_lshrrev_b32_e32 v1, 6, v0
	v_bfe_u32 v54, v0, 4, 2
	v_lshl_or_b32 v3, v1, 2, v54
	v_and_b32_e32 v44, 15, v0
	v_cmp_lt_u32_e32 vcc, 13, v3
	v_cmp_lt_u32_e64 s[6:7], 7, v44
	v_lshlrev_b32_e32 v42, 3, v44
	v_cmp_gt_u32_e64 s[30:31], 8, v44
	s_or_b64 s[6:7], s[6:7], vcc
	s_and_saveexec_b64 s[12:13], s[6:7]
	s_xor_b64 s[6:7], exec, s[12:13]
; %bb.10:
	v_mov_b32_e32 v43, 0
                                        ; implicit-def: $vgpr3
; %bb.11:
	s_or_saveexec_b64 s[12:13], s[6:7]
	s_load_dwordx2 s[6:7], s[0:1], 0x10
	s_mul_i32 s42, s4, 14
	s_xor_b64 exec, exec, s[12:13]
	s_cbranch_execz .LBB125_13
; %bb.12:
	s_load_dwordx2 s[16:17], s[0:1], 0x0
	s_waitcnt lgkmcnt(0)
	s_ashr_i32 s18, s44, 31
	s_mul_hi_u32 s19, s5, s44
	s_mul_i32 s18, s5, s18
	s_add_i32 s19, s19, s18
	s_mul_i32 s18, s5, s44
	s_lshl_b64 s[18:19], s[18:19], 1
	s_add_u32 s16, s16, s18
	v_add_lshl_u32 v4, v3, s42, 6
	s_addc_u32 s17, s17, s19
	v_ashrrev_i32_e32 v5, 31, v4
	v_mov_b32_e32 v43, 0
	v_lshl_add_u64 v[4:5], v[4:5], 1, s[16:17]
	v_lshlrev_b32_e32 v8, 1, v42
	v_mov_b32_e32 v9, v43
	v_lshl_add_u64 v[4:5], v[4:5], 0, v[8:9]
	global_load_dwordx4 v[16:19], v[4:5], off
	v_and_b32_e32 v4, 3, v0
	v_lshlrev_b32_e32 v5, 9, v44
	v_lshlrev_b32_e32 v3, 5, v3
	;; [unrolled: 1-line block ×3, first 2 shown]
	v_and_b32_e32 v5, 0x1800, v5
	v_or3_b32 v3, v5, v4, v3
	s_waitcnt vmcnt(0)
	ds_write_b128 v3, v[16:19]
.LBB125_13:
	s_or_b64 exec, exec, s[12:13]
	s_waitcnt lgkmcnt(0)
	s_mul_i32 s4, s4, s46
	s_mov_b32 s5, 0
	s_lshl_b64 s[4:5], s[4:5], 1
	s_add_u32 s10, s10, s4
	s_addc_u32 s11, s11, s5
	s_waitcnt vmcnt(3)
	v_mad_i64_i32 v[2:3], s[12:13], v2, s45, 0
	v_lshl_add_u64 v[2:3], v[2:3], 1, s[10:11]
	v_lshlrev_b64 v[12:13], 1, v[42:43]
	v_lshlrev_b32_e32 v46, 9, v54
	v_lshl_add_u64 v[2:3], v[2:3], 0, v[12:13]
	v_mov_b32_e32 v47, 0
	v_lshl_add_u64 v[8:9], v[2:3], 0, v[46:47]
	s_barrier
	global_load_dwordx4 v[22:25], v[8:9], off
	global_load_dwordx4 v[2:5], v[8:9], off offset:2048
	s_waitcnt vmcnt(4)
	v_mad_i64_i32 v[6:7], s[12:13], v6, s45, 0
	v_mov_b32_e32 v8, 0x100
	v_lshl_add_u64 v[6:7], v[6:7], 1, s[10:11]
	v_lshl_or_b32 v16, v44, 4, v8
	v_mov_b32_e32 v17, v47
	s_waitcnt vmcnt(3)
	v_mad_i64_i32 v[10:11], s[12:13], v10, s45, 0
	v_lshl_add_u64 v[6:7], v[6:7], 0, v[16:17]
	v_lshl_add_u64 v[10:11], v[10:11], 1, s[10:11]
	s_waitcnt vmcnt(2)
	v_mad_i64_i32 v[14:15], s[12:13], v14, s45, 0
	v_lshl_add_u64 v[18:19], v[6:7], 0, v[46:47]
	v_lshl_add_u64 v[10:11], v[10:11], 0, v[12:13]
	;; [unrolled: 1-line block ×3, first 2 shown]
	global_load_dwordx4 v[26:29], v[18:19], off
	global_load_dwordx4 v[6:9], v[18:19], off offset:2048
	v_lshl_add_u64 v[18:19], v[10:11], 0, v[46:47]
	v_lshl_add_u64 v[14:15], v[14:15], 0, v[16:17]
	global_load_dwordx4 v[30:33], v[18:19], off
	global_load_dwordx4 v[10:13], v[18:19], off offset:2048
	v_lshl_add_u64 v[18:19], v[14:15], 0, v[46:47]
	global_load_dwordx4 v[34:37], v[18:19], off
	global_load_dwordx4 v[14:17], v[18:19], off offset:2048
	v_add_u32_e32 v18, -14, v44
	v_cmp_gt_u32_e32 vcc, 14, v44
	v_and_b32_e32 v45, 63, v0
	v_mov_b32_e32 v50, 0
	v_cndmask_b32_e32 v18, v18, v44, vcc
	v_lshl_add_u32 v18, v18, 5, v46
	ds_read_b128 v[38:41], v18
	ds_read_b128 v[18:21], v18 offset:2048
	s_and_saveexec_b64 s[10:11], vcc
	s_cbranch_execz .LBB125_15
; %bb.14:
	s_load_dwordx2 s[12:13], s[0:1], 0x40
	v_add_u32_e32 v48, s42, v44
	v_ashrrev_i32_e32 v49, 31, v48
	s_waitcnt lgkmcnt(0)
	v_lshl_add_u64 v[48:49], v[48:49], 2, s[12:13]
	global_load_dword v50, v[48:49], off
.LBB125_15:
	s_or_b64 exec, exec, s[10:11]
	s_ashr_i32 s10, s14, 31
	v_and_or_b32 v46, v0, 48, s14
	s_lshr_b32 s11, s10, 27
	v_add_u32_e32 v48, s11, v46
	v_or_b32_e32 v52, 64, v46
	v_ashrrev_i32_e32 v48, 5, v48
	v_mov_b32_e32 v51, s15
	v_cmp_gt_i32_e32 vcc, s29, v46
	v_add_u32_e32 v53, s11, v52
	s_waitcnt vmcnt(7) lgkmcnt(1)
	v_mfma_f32_16x16x16_f16 v[56:59], v[22:23], v[38:39], 0
	v_cndmask_b32_e32 v48, v51, v48, vcc
	v_ashrrev_i32_e32 v22, 5, v53
	v_cmp_gt_i32_e32 vcc, s29, v52
	v_ashrrev_i32_e32 v49, 31, v48
	v_lshl_add_u64 v[48:49], v[48:49], 2, s[8:9]
	v_cndmask_b32_e32 v22, v51, v22, vcc
	v_ashrrev_i32_e32 v23, 31, v22
	v_lshl_add_u64 v[22:23], v[22:23], 2, s[8:9]
	global_load_dword v55, v[48:49], off
	global_load_dword v72, v[22:23], off
	s_waitcnt vmcnt(3)
	v_mfma_f32_16x16x16_f16 v[68:71], v[34:35], v[38:39], 0
	v_or_b32_e32 v48, 0xc0, v46
	v_add_u32_e32 v52, s11, v48
	s_add_u32 s4, s6, s4
	v_mfma_f32_16x16x16_f16 v[60:63], v[26:27], v[38:39], 0
	s_addc_u32 s5, s7, s5
	s_load_dword s10, s[0:1], 0x1c
	s_mov_b32 s33, 0xff7fffff
	v_mfma_f32_16x16x16_f16 v[64:67], v[30:31], v[38:39], 0
	v_and_b32_e32 v31, 0xc0, v0
	v_or_b32_e32 v38, 0x80, v46
	v_add_u32_e32 v34, s14, v31
	v_mfma_f32_16x16x16_f16 v[22:25], v[24:25], v[40:41], v[56:59]
	v_and_b32_e32 v30, 16, v0
	v_add_u32_e32 v49, s11, v38
	v_lshlrev_b32_e32 v46, 1, v30
	v_lshl_or_b32 v56, v54, 2, v34
	v_mfma_f32_16x16x16_f16 v[34:37], v[36:37], v[40:41], v[68:71]
	v_cmp_gt_i32_e32 vcc, s29, v38
	v_lshlrev_b32_e32 v39, 6, v44
	v_or_b32_e32 v57, 1, v56
	v_mfma_f32_16x16x16_f16 v[26:29], v[28:29], v[40:41], v[60:63]
	v_cmp_gt_i32_e64 s[34:35], s29, v57
	v_mfma_f32_16x16x16_f16 v[30:33], v[32:33], v[40:41], v[64:67]
	v_ashrrev_i32_e32 v40, 5, v49
	v_ashrrev_i32_e32 v41, 5, v52
	v_cndmask_b32_e32 v38, v51, v40, vcc
	v_cmp_gt_i32_e32 vcc, s29, v48
	s_waitcnt lgkmcnt(0)
	v_mfma_f32_16x16x16_f16 v[22:25], v[2:3], v[18:19], v[22:25]
	v_lshl_add_u64 v[2:3], s[4:5], 0, v[46:47]
	v_cndmask_b32_e32 v40, v51, v41, vcc
	v_lshl_or_b32 v46, v1, 10, v39
	v_ashrrev_i32_e32 v39, 31, v38
	v_ashrrev_i32_e32 v41, 31, v40
	s_waitcnt vmcnt(2)
	v_mfma_f32_16x16x16_f16 v[34:37], v[14:15], v[18:19], v[34:37]
	v_lshl_add_u64 v[14:15], v[38:39], 2, s[8:9]
	v_subrev_u32_e32 v51, s29, v57
	v_cvt_f32_i32_e32 v58, v51
	v_mfma_f32_16x16x16_f16 v[26:29], v[6:7], v[18:19], v[26:29]
	v_mfma_f32_16x16x16_f16 v[30:33], v[10:11], v[18:19], v[30:33]
	v_lshl_add_u64 v[18:19], v[40:41], 2, s[8:9]
	global_load_dword v59, v[14:15], off
	global_load_dword v60, v[18:19], off
	v_lshl_add_u64 v[10:11], v[2:3], 0, v[46:47]
	v_mfma_f32_16x16x16_f16 v[2:5], v[4:5], v[20:21], v[22:25]
	v_add_u32_e32 v46, 1, v51
	v_add_u32_e32 v47, 3, v51
	;; [unrolled: 1-line block ×3, first 2 shown]
	v_mfma_f32_16x16x16_f16 v[14:17], v[16:17], v[20:21], v[34:37]
	v_add_u32_e32 v22, 2, v51
	s_nop 1
	v_pk_mul_f32 v[52:53], s[10:11], v[4:5] op_sel_hi:[0,1]
	v_cvt_f32_i32_e32 v18, v18
	v_mfma_f32_16x16x16_f16 v[6:9], v[8:9], v[20:21], v[26:29]
	v_add_u32_e32 v19, 19, v51
	v_pk_mul_f32 v[34:35], s[10:11], v[16:17] op_sel_hi:[0,1]
	v_pk_mul_f32 v[36:37], s[10:11], v[14:15] op_sel_hi:[0,1]
	v_cvt_f32_i32_e32 v27, v22
	v_mfma_f32_16x16x16_f16 v[22:25], v[12:13], v[20:21], v[30:33]
	v_pk_mul_f32 v[12:13], s[10:11], v[2:3] op_sel_hi:[0,1]
	v_cvt_f32_i32_e32 v26, v46
	v_cvt_f32_i32_e32 v28, v47
	v_pk_mul_f32 v[46:47], s[10:11], v[8:9] op_sel_hi:[0,1]
	v_pk_mul_f32 v[48:49], s[10:11], v[6:7] op_sel_hi:[0,1]
	v_cvt_f32_i32_e32 v19, v19
	v_fma_f32 v46, v50, v18, v46
	v_add_u32_e32 v18, 34, v51
	v_cvt_f32_i32_e32 v18, v18
	v_fmac_f32_e32 v47, v50, v19
	v_add_u32_e32 v19, 35, v51
	v_cvt_f32_i32_e32 v19, v19
	v_pk_mul_f32 v[40:41], s[10:11], v[22:23] op_sel_hi:[0,1]
	v_pk_mul_f32 v[38:39], s[10:11], v[24:25] op_sel_hi:[0,1]
	v_fma_f32 v38, v50, v18, v38
	v_add_u32_e32 v18, 50, v51
	s_waitcnt vmcnt(3)
	v_mad_i64_i32 v[2:3], s[4:5], v55, s45, 0
	s_waitcnt vmcnt(2)
	v_mad_i64_i32 v[4:5], s[4:5], v72, s45, 0
	v_lshl_add_u64 v[16:17], v[2:3], 1, v[10:11]
	v_lshl_add_u64 v[14:15], v[4:5], 1, v[10:11]
	global_load_dwordx4 v[6:9], v[16:17], off
	global_load_dwordx4 v[2:5], v[16:17], off offset:16
	v_add_u32_e32 v16, 16, v51
	v_cvt_f32_i32_e32 v16, v16
	v_add_u32_e32 v17, 17, v51
	v_cvt_f32_i32_e32 v17, v17
	v_fmac_f32_e32 v39, v50, v19
	v_fma_f32 v48, v50, v16, v48
	v_add_u32_e32 v16, 32, v51
	v_fmac_f32_e32 v49, v50, v17
	v_cvt_f32_i32_e32 v16, v16
	v_add_u32_e32 v17, 33, v51
	v_cvt_f32_i32_e32 v17, v17
	v_cvt_f32_i32_e32 v18, v18
	v_fma_f32 v40, v50, v16, v40
	v_add_u32_e32 v16, 48, v51
	v_fmac_f32_e32 v41, v50, v17
	v_cvt_f32_i32_e32 v16, v16
	v_add_u32_e32 v17, 49, v51
	v_cvt_f32_i32_e32 v17, v17
	v_add_u32_e32 v19, 51, v51
	v_cvt_f32_i32_e32 v19, v19
	v_fma_f32 v12, v50, v58, v12
	v_fmac_f32_e32 v13, v50, v26
	v_fma_f32 v36, v50, v16, v36
	v_mov_b32_e32 v16, 0xff7fffff
	v_cmp_gt_i32_e64 s[4:5], s29, v56
	v_fmac_f32_e32 v37, v50, v17
	v_fma_f32 v34, v50, v18, v34
	v_cndmask_b32_e64 v17, v16, v12, s[4:5]
	v_cndmask_b32_e64 v18, v16, v13, s[34:35]
	v_fmac_f32_e32 v35, v50, v19
	v_max3_f32 v17, v17, s33, v18
	v_or_b32_e32 v18, 2, v56
	v_or_b32_e32 v19, 3, v56
	v_fma_f32 v52, v50, v27, v52
	v_fmac_f32_e32 v53, v50, v28
	v_cmp_gt_i32_e64 s[36:37], s29, v18
	v_cmp_gt_i32_e64 s[38:39], s29, v19
	global_load_dwordx4 v[30:33], v[14:15], off
	global_load_dwordx4 v[26:29], v[14:15], off offset:16
	v_cndmask_b32_e64 v18, v16, v52, s[36:37]
	v_cndmask_b32_e64 v19, v16, v53, s[38:39]
	v_max3_f32 v17, v17, v18, v19
	v_or_b32_e32 v18, 16, v56
	v_or_b32_e32 v19, 17, v56
	v_cmp_gt_i32_e64 s[24:25], s29, v18
	v_cmp_gt_i32_e64 s[26:27], s29, v19
	s_nop 0
	v_cndmask_b32_e64 v18, v16, v48, s[24:25]
	v_cndmask_b32_e64 v19, v16, v49, s[26:27]
	v_max3_f32 v17, v17, v18, v19
	v_or_b32_e32 v18, 18, v56
	v_or_b32_e32 v19, 19, v56
	v_cmp_gt_i32_e64 s[20:21], s29, v18
	v_cmp_gt_i32_e64 s[22:23], s29, v19
	s_nop 0
	;; [unrolled: 8-line block ×5, first 2 shown]
	v_cndmask_b32_e64 v18, v16, v36, s[8:9]
	v_cndmask_b32_e64 v19, v16, v37, s[10:11]
	v_max3_f32 v17, v17, v18, v19
	v_or_b32_e32 v18, 50, v56
	v_or_b32_e32 v19, 51, v56
	v_cmp_gt_i32_e32 vcc, s29, v18
	v_cmp_gt_i32_e64 s[6:7], s29, v19
	s_nop 0
	v_cndmask_b32_e32 v18, v16, v34, vcc
	v_cndmask_b32_e64 v16, v16, v35, s[6:7]
	v_max3_f32 v16, v17, v18, v16
	v_mbcnt_lo_u32_b32 v17, -1, 0
	v_mbcnt_hi_u32_b32 v17, -1, v17
	v_and_b32_e32 v18, 64, v17
	v_add_u32_e32 v18, 64, v18
	v_xor_b32_e32 v19, 32, v17
	v_cmp_lt_i32_e64 s[40:41], v19, v18
	s_nop 1
	v_cndmask_b32_e64 v19, v17, v19, s[40:41]
	v_lshlrev_b32_e32 v56, 2, v19
	ds_bpermute_b32 v19, v56, v16
	s_waitcnt vmcnt(5)
	v_mad_i64_i32 v[14:15], s[40:41], v59, s45, 0
	v_lshl_add_u64 v[14:15], v[14:15], 1, v[10:11]
	s_waitcnt lgkmcnt(0)
	v_max_f32_e32 v19, v19, v19
	v_max_f32_e32 v16, v16, v19
	v_xor_b32_e32 v19, 16, v17
	v_cmp_lt_i32_e64 s[40:41], v19, v18
	s_nop 1
	v_cndmask_b32_e64 v17, v17, v19, s[40:41]
	v_lshlrev_b32_e32 v57, 2, v17
	ds_bpermute_b32 v17, v57, v16
	global_load_dwordx4 v[22:25], v[14:15], off
	global_load_dwordx4 v[18:21], v[14:15], off offset:16
	s_waitcnt vmcnt(6)
	v_mad_i64_i32 v[14:15], s[40:41], v60, s45, 0
	v_lshl_add_u64 v[10:11], v[14:15], 1, v[10:11]
	s_waitcnt lgkmcnt(0)
	v_max_f32_e32 v14, v17, v17
	v_max_f32_e32 v55, v16, v14
	v_sub_f32_e32 v12, v12, v55
	v_mul_f32_e32 v12, 0x3fb8aa3b, v12
	v_exp_f32_e32 v50, v12
	v_sub_f32_e32 v12, v13, v55
	v_mul_f32_e32 v12, 0x3fb8aa3b, v12
	v_exp_f32_e32 v51, v12
	global_load_dwordx4 v[14:17], v[10:11], off
	s_nop 0
	global_load_dwordx4 v[10:13], v[10:11], off offset:16
	v_sub_f32_e32 v52, v52, v55
	v_mul_f32_e32 v52, 0x3fb8aa3b, v52
	v_sub_f32_e32 v53, v53, v55
	v_exp_f32_e32 v52, v52
	v_mul_f32_e32 v53, 0x3fb8aa3b, v53
	v_sub_f32_e32 v48, v48, v55
	v_exp_f32_e32 v53, v53
	v_mul_f32_e32 v48, 0x3fb8aa3b, v48
	v_sub_f32_e32 v49, v49, v55
	v_cndmask_b32_e64 v50, 0, v50, s[4:5]
	v_exp_f32_e32 v48, v48
	v_mul_f32_e32 v49, 0x3fb8aa3b, v49
	v_sub_f32_e32 v46, v46, v55
	v_add_f32_e32 v58, 0, v50
	v_cndmask_b32_e64 v51, 0, v51, s[34:35]
	v_exp_f32_e32 v49, v49
	v_mul_f32_e32 v46, 0x3fb8aa3b, v46
	v_sub_f32_e32 v47, v47, v55
	v_add_f32_e32 v58, v58, v51
	v_cndmask_b32_e64 v52, 0, v52, s[36:37]
	v_exp_f32_e32 v46, v46
	v_mul_f32_e32 v47, 0x3fb8aa3b, v47
	v_sub_f32_e32 v40, v40, v55
	v_add_f32_e32 v58, v58, v52
	v_cndmask_b32_e64 v53, 0, v53, s[38:39]
	v_exp_f32_e32 v47, v47
	v_mul_f32_e32 v40, 0x3fb8aa3b, v40
	v_sub_f32_e32 v41, v41, v55
	v_add_f32_e32 v58, v58, v53
	v_cndmask_b32_e64 v48, 0, v48, s[24:25]
	v_exp_f32_e32 v40, v40
	v_mul_f32_e32 v41, 0x3fb8aa3b, v41
	v_sub_f32_e32 v38, v38, v55
	v_add_f32_e32 v58, v58, v48
	v_cndmask_b32_e64 v49, 0, v49, s[26:27]
	v_exp_f32_e32 v41, v41
	v_mul_f32_e32 v38, 0x3fb8aa3b, v38
	v_sub_f32_e32 v39, v39, v55
	v_add_f32_e32 v58, v58, v49
	v_cndmask_b32_e64 v46, 0, v46, s[20:21]
	v_exp_f32_e32 v38, v38
	v_mul_f32_e32 v39, 0x3fb8aa3b, v39
	v_sub_f32_e32 v36, v36, v55
	v_add_f32_e32 v58, v58, v46
	v_cndmask_b32_e64 v47, 0, v47, s[22:23]
	v_exp_f32_e32 v39, v39
	v_mul_f32_e32 v36, 0x3fb8aa3b, v36
	v_sub_f32_e32 v37, v37, v55
	v_add_f32_e32 v58, v58, v47
	v_cndmask_b32_e64 v40, 0, v40, s[16:17]
	v_exp_f32_e32 v36, v36
	v_mul_f32_e32 v37, 0x3fb8aa3b, v37
	v_sub_f32_e32 v34, v34, v55
	v_add_f32_e32 v58, v58, v40
	v_cndmask_b32_e64 v41, 0, v41, s[18:19]
	v_exp_f32_e32 v37, v37
	v_mul_f32_e32 v34, 0x3fb8aa3b, v34
	v_sub_f32_e32 v35, v35, v55
	v_add_f32_e32 v58, v58, v41
	v_cndmask_b32_e64 v38, 0, v38, s[12:13]
	v_exp_f32_e32 v34, v34
	v_mul_f32_e32 v35, 0x3fb8aa3b, v35
	v_add_f32_e32 v58, v58, v38
	v_cndmask_b32_e64 v39, 0, v39, s[14:15]
	v_exp_f32_e32 v35, v35
	v_add_f32_e32 v58, v58, v39
	v_cndmask_b32_e64 v36, 0, v36, s[8:9]
	v_add_f32_e32 v58, v58, v36
	v_cndmask_b32_e64 v37, 0, v37, s[10:11]
	v_add_f32_e32 v58, v58, v37
	v_cndmask_b32_e32 v34, 0, v34, vcc
	v_add_f32_e32 v58, v58, v34
	v_cndmask_b32_e64 v35, 0, v35, s[6:7]
	v_add_f32_e32 v58, v58, v35
	ds_bpermute_b32 v56, v56, v58
	s_load_dword s7, s[0:1], 0x98
	v_cmp_gt_u32_e32 vcc, 16, v45
	v_lshlrev_b32_e32 v45, 2, v44
	s_waitcnt lgkmcnt(0)
	v_add_f32_e32 v56, v58, v56
	ds_bpermute_b32 v57, v57, v56
	s_barrier
	s_waitcnt lgkmcnt(0)
	s_and_saveexec_b64 s[4:5], vcc
	s_cbranch_execz .LBB125_17
; %bb.16:
	v_add_f32_e32 v56, v56, v57
	v_lshl_or_b32 v57, v1, 6, v45
	ds_write2st64_b32 v57, v55, v56 offset1:1
.LBB125_17:
	s_or_b64 exec, exec, s[4:5]
	s_load_dword s6, s[0:1], 0x94
	s_waitcnt lgkmcnt(0)
	s_barrier
	ds_read2_b32 v[56:57], v45 offset1:16
	ds_read2_b32 v[58:59], v45 offset0:32 offset1:48
	ds_read2_b32 v[60:61], v45 offset0:64 offset1:80
	;; [unrolled: 1-line block ×3, first 2 shown]
	s_waitcnt lgkmcnt(0)
	v_max3_f32 v55, v56, s33, v57
	v_max3_f32 v55, v55, v58, v59
	v_sub_f32_e32 v56, v56, v55
	v_mul_f32_e32 v56, 0x3fb8aa3b, v56
	v_exp_f32_e32 v64, v56
	v_sub_f32_e32 v56, v57, v55
	v_mul_f32_e32 v56, 0x3fb8aa3b, v56
	v_exp_f32_e32 v57, v56
	v_sub_f32_e32 v56, v58, v55
	v_mul_f32_e32 v56, 0x3fb8aa3b, v56
	v_sub_f32_e32 v45, v59, v55
	v_exp_f32_e32 v58, v56
	v_mul_f32_e32 v45, 0x3fb8aa3b, v45
	v_exp_f32_e32 v45, v45
	v_fma_f32 v56, v64, v60, 0
	v_fmac_f32_e32 v56, v57, v61
	v_fmac_f32_e32 v56, v58, v62
	;; [unrolled: 1-line block ×3, first 2 shown]
	v_add_f32_e32 v59, 0x358637bd, v56
	v_div_scale_f32 v60, s[4:5], v59, v59, 1.0
	v_rcp_f32_e32 v61, v60
	s_barrier
	s_mul_i32 s7, s7, 14
	v_fma_f32 v62, -v60, v61, 1.0
	v_fmac_f32_e32 v61, v62, v61
	v_div_scale_f32 v62, vcc, 1.0, v59, 1.0
	v_mul_f32_e32 v63, v62, v61
	v_fma_f32 v65, -v60, v63, v62
	v_fmac_f32_e32 v63, v65, v61
	v_fma_f32 v60, -v60, v63, v62
	v_div_fmas_f32 v60, v60, v61, v63
	v_cmp_eq_u32_e32 vcc, 1, v1
	v_div_fixup_f32 v59, v60, v59, 1.0
	s_nop 0
	v_cndmask_b32_e32 v57, v64, v57, vcc
	v_cmp_eq_u32_e32 vcc, 2, v1
	s_nop 1
	v_cndmask_b32_e32 v57, v57, v58, vcc
	v_cmp_eq_u32_e32 vcc, 3, v1
	v_lshlrev_b32_e32 v1, 11, v1
	s_nop 0
	v_cndmask_b32_e32 v45, v57, v45, vcc
	v_mul_f32_e32 v58, v45, v59
	v_pk_mul_f32 v[52:53], v[58:59], v[52:53] op_sel_hi:[0,1]
	v_pk_mul_f32 v[50:51], v[58:59], v[50:51] op_sel_hi:[0,1]
	v_cvt_f16_f32_e32 v45, v50
	v_cvt_f16_f32_e32 v50, v51
	v_cvt_f16_f32_e32 v51, v52
	v_cvt_f16_f32_e32 v53, v53
	v_pk_mul_f32 v[46:47], v[58:59], v[46:47] op_sel_hi:[0,1]
	v_pk_mul_f32 v[48:49], v[58:59], v[48:49] op_sel_hi:[0,1]
	v_cvt_f16_f32_e32 v48, v48
	v_pack_b32_f16 v53, v51, v53
	v_cvt_f16_f32_e32 v49, v49
	v_cvt_f16_f32_e32 v51, v46
	;; [unrolled: 1-line block ×3, first 2 shown]
	v_pack_b32_f16 v52, v45, v50
	v_lshlrev_b32_e32 v45, 3, v54
	v_lshlrev_b32_e32 v50, 5, v44
	v_or3_b32 v1, v1, v50, v45
	v_pack_b32_f16 v46, v48, v49
	v_pack_b32_f16 v47, v51, v47
	v_pk_mul_f32 v[38:39], v[58:59], v[38:39] op_sel_hi:[0,1]
	v_pk_mul_f32 v[40:41], v[58:59], v[40:41] op_sel_hi:[0,1]
	;; [unrolled: 1-line block ×4, first 2 shown]
	ds_write2st64_b64 v1, v[52:53], v[46:47] offset1:1
	v_cvt_f16_f32_e32 v40, v40
	v_cvt_f16_f32_e32 v41, v41
	;; [unrolled: 1-line block ×8, first 2 shown]
	v_pack_b32_f16 v34, v40, v41
	v_pack_b32_f16 v35, v38, v39
	;; [unrolled: 1-line block ×4, first 2 shown]
	v_cmp_gt_u32_e32 vcc, 14, v0
	ds_write2st64_b64 v1, v[34:35], v[36:37] offset0:2 offset1:3
	s_and_saveexec_b64 s[4:5], vcc
	s_cbranch_execz .LBB125_19
; %bb.18:
	s_mov_b32 s43, 0
	v_mov_b32_e32 v45, 0
	v_lshl_add_u64 v[34:35], s[42:43], 0, v[44:45]
	v_mov_b32_e32 v36, s7
	v_mad_u64_u32 v[34:35], s[12:13], s2, v36, v[34:35]
	s_mul_i32 s3, s3, s7
	v_mov_b32_e32 v44, s28
	s_load_dwordx4 s[8:11], s[0:1], 0x58
	v_add_u32_e32 v37, s3, v35
	v_mad_u64_u32 v[34:35], s[12:13], v34, s6, v[44:45]
	v_mov_b32_e32 v36, v35
	v_mad_u64_u32 v[36:37], s[12:13], v37, s6, v[36:37]
	v_mov_b32_e32 v35, v36
	v_lshlrev_b64 v[34:35], 2, v[34:35]
	s_waitcnt lgkmcnt(0)
	v_lshl_add_u64 v[36:37], s[10:11], 0, v[34:35]
	v_lshl_add_u64 v[34:35], s[8:9], 0, v[34:35]
	global_store_dword v[36:37], v55, off
	global_store_dword v[34:35], v56, off
.LBB125_19:
	s_or_b64 exec, exec, s[4:5]
	v_lshl_or_b32 v48, v54, 9, v50
	s_waitcnt lgkmcnt(0)
	s_barrier
	ds_read_b128 v[34:37], v48
	ds_read_b128 v[38:41], v48 offset:16
	s_waitcnt vmcnt(7) lgkmcnt(1)
	v_mfma_f32_16x16x16_f16 v[44:47], v[6:7], v[34:35], 0
	v_cmp_gt_u32_e32 vcc, 64, v0
	s_mov_b32 s3, 0
	s_and_b64 s[4:5], vcc, s[30:31]
	v_mfma_f32_16x16x16_f16 v[6:9], v[8:9], v[36:37], v[44:47]
	s_waitcnt vmcnt(6) lgkmcnt(0)
	v_mfma_f32_16x16x16_f16 v[6:9], v[2:3], v[38:39], v[6:9]
	v_mfma_f32_16x16x16_f16 v[2:5], v[4:5], v[40:41], v[6:9]
	s_nop 5
	ds_read_b128 v[6:9], v48 offset:2048
	ds_read_b128 v[34:37], v48 offset:2064
	s_waitcnt vmcnt(5) lgkmcnt(1)
	v_mfma_f32_16x16x16_f16 v[2:5], v[30:31], v[6:7], v[2:5]
	v_mfma_f32_16x16x16_f16 v[2:5], v[32:33], v[8:9], v[2:5]
	s_waitcnt vmcnt(4) lgkmcnt(0)
	v_mfma_f32_16x16x16_f16 v[2:5], v[26:27], v[34:35], v[2:5]
	v_mfma_f32_16x16x16_f16 v[2:5], v[28:29], v[36:37], v[2:5]
	ds_read_b128 v[6:9], v48 offset:4096
	ds_read_b128 v[26:29], v48 offset:4112
	s_waitcnt vmcnt(3) lgkmcnt(1)
	v_mfma_f32_16x16x16_f16 v[2:5], v[22:23], v[6:7], v[2:5]
	v_mfma_f32_16x16x16_f16 v[2:5], v[24:25], v[8:9], v[2:5]
	s_waitcnt vmcnt(2) lgkmcnt(0)
	v_mfma_f32_16x16x16_f16 v[2:5], v[18:19], v[26:27], v[2:5]
	v_mfma_f32_16x16x16_f16 v[2:5], v[20:21], v[28:29], v[2:5]
	ds_read_b128 v[6:9], v48 offset:6144
	ds_read_b128 v[18:21], v48 offset:6160
	s_waitcnt lgkmcnt(0)
	s_barrier
	s_waitcnt vmcnt(1)
	v_mfma_f32_16x16x16_f16 v[2:5], v[14:15], v[6:7], v[2:5]
	v_mfma_f32_16x16x16_f16 v[2:5], v[16:17], v[8:9], v[2:5]
	s_waitcnt vmcnt(0)
	v_mfma_f32_16x16x16_f16 v[2:5], v[10:11], v[18:19], v[2:5]
	v_mfma_f32_16x16x16_f16 v[2:5], v[12:13], v[20:21], v[2:5]
	s_nop 6
	v_cvt_f16_f32_e32 v2, v2
	v_cvt_f16_f32_e32 v3, v3
	;; [unrolled: 1-line block ×4, first 2 shown]
	v_pack_b32_f16 v2, v2, v3
	v_pack_b32_f16 v3, v4, v5
	ds_write_b64 v1, v[2:3]
	s_waitcnt lgkmcnt(0)
	s_barrier
	s_and_saveexec_b64 s[8:9], s[4:5]
	s_cbranch_execz .LBB125_22
; %bb.20:
	s_load_dwordx2 s[4:5], s[0:1], 0x68
	s_lshl_b32 s0, s6, 6
	s_mul_i32 s1, s7, s2
	s_mul_hi_u32 s7, s1, s0
	s_mul_i32 s6, s1, s0
	v_lshlrev_b32_e32 v1, 10, v0
	v_lshlrev_b32_e32 v0, 4, v0
	s_lshl_b64 s[6:7], s[6:7], 1
	v_and_b32_e32 v1, 0x1800, v1
	v_lshlrev_b32_e32 v2, 5, v54
	v_and_b32_e32 v0, 16, v0
	s_waitcnt lgkmcnt(0)
	s_add_u32 s1, s4, s6
	v_or3_b32 v2, v1, v2, v0
	s_addc_u32 s4, s5, s7
	s_lshl_b32 s2, s28, 6
	ds_read_b128 v[4:7], v2 offset:256
	s_lshl_b64 s[2:3], s[2:3], 1
	ds_read_b128 v[8:11], v2 offset:128
	ds_read_b128 v[12:15], v2
	s_add_u32 s2, s1, s2
	s_addc_u32 s3, s4, s3
	v_add_u32_e32 v18, s42, v54
	v_lshl_add_u64 v[0:1], v[42:43], 1, s[2:3]
	v_mad_u64_u32 v[16:17], s[2:3], v18, s0, 0
	v_lshl_add_u64 v[16:17], v[16:17], 1, v[0:1]
	s_waitcnt lgkmcnt(0)
	global_store_dwordx4 v[16:17], v[12:15], off
	v_or_b32_e32 v3, 12, v54
	v_cmp_gt_u32_e32 vcc, 14, v3
	v_add_u32_e32 v12, 4, v18
	v_mad_u64_u32 v[12:13], s[2:3], v12, s0, 0
	v_lshl_add_u64 v[12:13], v[12:13], 1, v[0:1]
	global_store_dwordx4 v[12:13], v[8:11], off
	s_nop 1
	v_add_u32_e32 v8, 8, v18
	v_mad_u64_u32 v[8:9], s[2:3], v8, s0, 0
	v_lshl_add_u64 v[8:9], v[8:9], 1, v[0:1]
	global_store_dwordx4 v[8:9], v[4:7], off
	s_and_b64 exec, exec, vcc
	s_cbranch_execz .LBB125_22
; %bb.21:
	ds_read_b128 v[4:7], v2 offset:384
	v_add_u32_e32 v2, s42, v3
	v_mad_u64_u32 v[2:3], s[0:1], v2, s0, 0
	v_lshl_add_u64 v[0:1], v[2:3], 1, v[0:1]
	s_waitcnt lgkmcnt(0)
	global_store_dwordx4 v[0:1], v[4:7], off
.LBB125_22:
	s_endpgm
	.section	.rodata,"a",@progbits
	.p2align	6, 0x0
	.amdhsa_kernel _Z39paged_attention_ll4mi_QKV_mfma16_kernelIDF16_DF16_LN4vllm18Fp8KVCacheDataTypeE0EhLi32ELi64ELi256ELb1ELi14EEvPKT_PKT0_S7_ifPKiS9_S9_iPKfiiiPfSC_PS2_PT2_iSB_SB_
		.amdhsa_group_segment_fixed_size 8192
		.amdhsa_private_segment_fixed_size 0
		.amdhsa_kernarg_size 400
		.amdhsa_user_sgpr_count 2
		.amdhsa_user_sgpr_dispatch_ptr 0
		.amdhsa_user_sgpr_queue_ptr 0
		.amdhsa_user_sgpr_kernarg_segment_ptr 1
		.amdhsa_user_sgpr_dispatch_id 0
		.amdhsa_user_sgpr_kernarg_preload_length 0
		.amdhsa_user_sgpr_kernarg_preload_offset 0
		.amdhsa_user_sgpr_private_segment_size 0
		.amdhsa_uses_dynamic_stack 0
		.amdhsa_enable_private_segment 0
		.amdhsa_system_sgpr_workgroup_id_x 1
		.amdhsa_system_sgpr_workgroup_id_y 1
		.amdhsa_system_sgpr_workgroup_id_z 1
		.amdhsa_system_sgpr_workgroup_info 0
		.amdhsa_system_vgpr_workitem_id 0
		.amdhsa_next_free_vgpr 73
		.amdhsa_next_free_sgpr 48
		.amdhsa_accum_offset 76
		.amdhsa_reserve_vcc 1
		.amdhsa_float_round_mode_32 0
		.amdhsa_float_round_mode_16_64 0
		.amdhsa_float_denorm_mode_32 3
		.amdhsa_float_denorm_mode_16_64 3
		.amdhsa_dx10_clamp 1
		.amdhsa_ieee_mode 1
		.amdhsa_fp16_overflow 0
		.amdhsa_tg_split 0
		.amdhsa_exception_fp_ieee_invalid_op 0
		.amdhsa_exception_fp_denorm_src 0
		.amdhsa_exception_fp_ieee_div_zero 0
		.amdhsa_exception_fp_ieee_overflow 0
		.amdhsa_exception_fp_ieee_underflow 0
		.amdhsa_exception_fp_ieee_inexact 0
		.amdhsa_exception_int_div_zero 0
	.end_amdhsa_kernel
	.section	.text._Z39paged_attention_ll4mi_QKV_mfma16_kernelIDF16_DF16_LN4vllm18Fp8KVCacheDataTypeE0EhLi32ELi64ELi256ELb1ELi14EEvPKT_PKT0_S7_ifPKiS9_S9_iPKfiiiPfSC_PS2_PT2_iSB_SB_,"axG",@progbits,_Z39paged_attention_ll4mi_QKV_mfma16_kernelIDF16_DF16_LN4vllm18Fp8KVCacheDataTypeE0EhLi32ELi64ELi256ELb1ELi14EEvPKT_PKT0_S7_ifPKiS9_S9_iPKfiiiPfSC_PS2_PT2_iSB_SB_,comdat
.Lfunc_end125:
	.size	_Z39paged_attention_ll4mi_QKV_mfma16_kernelIDF16_DF16_LN4vllm18Fp8KVCacheDataTypeE0EhLi32ELi64ELi256ELb1ELi14EEvPKT_PKT0_S7_ifPKiS9_S9_iPKfiiiPfSC_PS2_PT2_iSB_SB_, .Lfunc_end125-_Z39paged_attention_ll4mi_QKV_mfma16_kernelIDF16_DF16_LN4vllm18Fp8KVCacheDataTypeE0EhLi32ELi64ELi256ELb1ELi14EEvPKT_PKT0_S7_ifPKiS9_S9_iPKfiiiPfSC_PS2_PT2_iSB_SB_
                                        ; -- End function
	.section	.AMDGPU.csdata,"",@progbits
; Kernel info:
; codeLenInByte = 4212
; NumSgprs: 54
; NumVgprs: 73
; NumAgprs: 0
; TotalNumVgprs: 73
; ScratchSize: 0
; MemoryBound: 0
; FloatMode: 240
; IeeeMode: 1
; LDSByteSize: 8192 bytes/workgroup (compile time only)
; SGPRBlocks: 6
; VGPRBlocks: 9
; NumSGPRsForWavesPerEU: 54
; NumVGPRsForWavesPerEU: 73
; AccumOffset: 76
; Occupancy: 6
; WaveLimiterHint : 1
; COMPUTE_PGM_RSRC2:SCRATCH_EN: 0
; COMPUTE_PGM_RSRC2:USER_SGPR: 2
; COMPUTE_PGM_RSRC2:TRAP_HANDLER: 0
; COMPUTE_PGM_RSRC2:TGID_X_EN: 1
; COMPUTE_PGM_RSRC2:TGID_Y_EN: 1
; COMPUTE_PGM_RSRC2:TGID_Z_EN: 1
; COMPUTE_PGM_RSRC2:TIDIG_COMP_CNT: 0
; COMPUTE_PGM_RSRC3_GFX90A:ACCUM_OFFSET: 18
; COMPUTE_PGM_RSRC3_GFX90A:TG_SPLIT: 0
	.section	.text._Z39paged_attention_ll4mi_QKV_mfma16_kernelIDF16_DF16_LN4vllm18Fp8KVCacheDataTypeE0EhLi32ELi64ELi256ELb1ELi15EEvPKT_PKT0_S7_ifPKiS9_S9_iPKfiiiPfSC_PS2_PT2_iSB_SB_,"axG",@progbits,_Z39paged_attention_ll4mi_QKV_mfma16_kernelIDF16_DF16_LN4vllm18Fp8KVCacheDataTypeE0EhLi32ELi64ELi256ELb1ELi15EEvPKT_PKT0_S7_ifPKiS9_S9_iPKfiiiPfSC_PS2_PT2_iSB_SB_,comdat
	.protected	_Z39paged_attention_ll4mi_QKV_mfma16_kernelIDF16_DF16_LN4vllm18Fp8KVCacheDataTypeE0EhLi32ELi64ELi256ELb1ELi15EEvPKT_PKT0_S7_ifPKiS9_S9_iPKfiiiPfSC_PS2_PT2_iSB_SB_ ; -- Begin function _Z39paged_attention_ll4mi_QKV_mfma16_kernelIDF16_DF16_LN4vllm18Fp8KVCacheDataTypeE0EhLi32ELi64ELi256ELb1ELi15EEvPKT_PKT0_S7_ifPKiS9_S9_iPKfiiiPfSC_PS2_PT2_iSB_SB_
	.globl	_Z39paged_attention_ll4mi_QKV_mfma16_kernelIDF16_DF16_LN4vllm18Fp8KVCacheDataTypeE0EhLi32ELi64ELi256ELb1ELi15EEvPKT_PKT0_S7_ifPKiS9_S9_iPKfiiiPfSC_PS2_PT2_iSB_SB_
	.p2align	8
	.type	_Z39paged_attention_ll4mi_QKV_mfma16_kernelIDF16_DF16_LN4vllm18Fp8KVCacheDataTypeE0EhLi32ELi64ELi256ELb1ELi15EEvPKT_PKT0_S7_ifPKiS9_S9_iPKfiiiPfSC_PS2_PT2_iSB_SB_,@function
_Z39paged_attention_ll4mi_QKV_mfma16_kernelIDF16_DF16_LN4vllm18Fp8KVCacheDataTypeE0EhLi32ELi64ELi256ELb1ELi15EEvPKT_PKT0_S7_ifPKiS9_S9_iPKfiiiPfSC_PS2_PT2_iSB_SB_: ; @_Z39paged_attention_ll4mi_QKV_mfma16_kernelIDF16_DF16_LN4vllm18Fp8KVCacheDataTypeE0EhLi32ELi64ELi256ELb1ELi15EEvPKT_PKT0_S7_ifPKiS9_S9_iPKfiiiPfSC_PS2_PT2_iSB_SB_
; %bb.0:
	s_load_dwordx2 s[6:7], s[0:1], 0x30
	s_mov_b32 s28, s3
	s_mov_b64 s[8:9], 0
	s_waitcnt lgkmcnt(0)
	s_cmp_lg_u64 s[6:7], 0
	s_cselect_b64 s[10:11], -1, 0
	s_and_b64 vcc, exec, s[10:11]
	s_cbranch_vccz .LBB126_7
; %bb.1:
	s_add_i32 s12, s2, 1
	s_mov_b32 s13, 0
	s_lshl_b64 s[14:15], s[12:13], 2
	s_add_u32 s14, s6, s14
	s_mov_b32 s3, s13
	s_addc_u32 s15, s7, s15
	s_lshl_b64 s[12:13], s[2:3], 2
	s_add_u32 s12, s6, s12
	s_addc_u32 s13, s7, s13
	s_load_dword s5, s[14:15], 0x0
	s_load_dword s16, s[12:13], 0x0
	s_waitcnt lgkmcnt(0)
	s_sub_i32 s5, s5, s16
	s_cmp_eq_u32 s5, 1
	s_cselect_b64 s[12:13], -1, 0
	s_andn2_b64 vcc, exec, s[8:9]
	s_cbranch_vccnz .LBB126_3
.LBB126_2:
	s_mov_b32 s3, 0
	s_mov_b64 s[12:13], -1
.LBB126_3:
	s_andn2_b64 vcc, exec, s[12:13]
	s_cbranch_vccnz .LBB126_22
; %bb.4:
	s_load_dwordx2 s[8:9], s[0:1], 0x28
	s_lshl_b64 s[12:13], s[2:3], 2
	s_waitcnt lgkmcnt(0)
	s_add_u32 s8, s8, s12
	s_addc_u32 s9, s9, s13
	s_load_dword s29, s[8:9], 0x0
	s_lshl_b32 s14, s28, 8
	s_waitcnt lgkmcnt(0)
	s_cmp_ge_i32 s14, s29
	s_cbranch_scc1 .LBB126_22
; %bb.5:
	s_load_dwordx2 s[8:9], s[0:1], 0x20
	s_load_dword s5, s[0:1], 0x38
	s_add_i32 s15, s29, 31
	s_ashr_i32 s16, s15, 31
	v_and_b32_e32 v1, 0xcf, v0
	s_lshr_b32 s16, s16, 27
	v_add_u32_e32 v1, s14, v1
	s_add_i32 s15, s15, s16
	v_ashrrev_i32_e32 v2, 31, v1
	s_ashr_i32 s15, s15, 5
	v_lshrrev_b32_e32 v6, 27, v2
	s_add_i32 s15, s15, -1
	s_waitcnt lgkmcnt(0)
	s_mul_i32 s16, s2, s5
	s_mov_b32 s17, 0
	v_add_u32_e32 v2, v1, v6
	s_lshl_b64 s[16:17], s[16:17], 2
	v_ashrrev_i32_e32 v2, 5, v2
	v_mov_b32_e32 v7, s15
	v_cmp_gt_i32_e32 vcc, s29, v1
	s_add_u32 s8, s8, s16
	s_addc_u32 s9, s9, s17
	v_cndmask_b32_e32 v2, v7, v2, vcc
	v_ashrrev_i32_e32 v3, 31, v2
	v_lshl_add_u64 v[4:5], v[2:3], 2, s[8:9]
	v_or_b32_e32 v2, 16, v1
	v_add_u32_e32 v3, v2, v6
	v_ashrrev_i32_e32 v3, 5, v3
	v_cmp_gt_i32_e32 vcc, s29, v2
	s_nop 1
	v_cndmask_b32_e32 v2, v7, v3, vcc
	v_ashrrev_i32_e32 v3, 31, v2
	v_lshl_add_u64 v[8:9], v[2:3], 2, s[8:9]
	v_or_b32_e32 v2, 32, v1
	v_add_u32_e32 v3, v2, v6
	v_ashrrev_i32_e32 v3, 5, v3
	v_cmp_gt_i32_e32 vcc, s29, v2
	v_or_b32_e32 v1, 48, v1
	s_nop 0
	v_cndmask_b32_e32 v2, v7, v3, vcc
	v_ashrrev_i32_e32 v3, 31, v2
	v_lshl_add_u64 v[12:13], v[2:3], 2, s[8:9]
	v_add_u32_e32 v2, v1, v6
	v_ashrrev_i32_e32 v2, 5, v2
	v_cmp_gt_i32_e32 vcc, s29, v1
	s_nop 1
	v_cndmask_b32_e32 v2, v7, v2, vcc
	v_ashrrev_i32_e32 v3, 31, v2
	v_lshl_add_u64 v[16:17], v[2:3], 2, s[8:9]
	global_load_dword v2, v[4:5], off
	global_load_dword v6, v[8:9], off
	;; [unrolled: 1-line block ×4, first 2 shown]
	s_andn2_b64 vcc, exec, s[10:11]
	s_cbranch_vccnz .LBB126_8
; %bb.6:
	s_add_u32 s6, s6, s12
	s_addc_u32 s7, s7, s13
	s_load_dword s5, s[6:7], 0x0
	s_branch .LBB126_9
.LBB126_7:
	s_mov_b64 s[12:13], 0
	s_branch .LBB126_2
.LBB126_8:
	s_mov_b32 s5, s2
.LBB126_9:
	s_load_dwordx2 s[10:11], s[0:1], 0x8
	s_load_dwordx4 s[44:47], s[0:1], 0x48
	v_lshrrev_b32_e32 v1, 6, v0
	v_bfe_u32 v54, v0, 4, 2
	v_lshl_or_b32 v3, v1, 2, v54
	v_and_b32_e32 v44, 15, v0
	v_cmp_lt_u32_e32 vcc, 14, v3
	v_cmp_lt_u32_e64 s[6:7], 7, v44
	v_lshlrev_b32_e32 v42, 3, v44
	v_cmp_gt_u32_e64 s[30:31], 8, v44
	s_or_b64 s[6:7], s[6:7], vcc
	s_and_saveexec_b64 s[12:13], s[6:7]
	s_xor_b64 s[6:7], exec, s[12:13]
; %bb.10:
	v_mov_b32_e32 v43, 0
                                        ; implicit-def: $vgpr3
; %bb.11:
	s_or_saveexec_b64 s[12:13], s[6:7]
	s_load_dwordx2 s[6:7], s[0:1], 0x10
	s_mul_i32 s42, s4, 15
	s_xor_b64 exec, exec, s[12:13]
	s_cbranch_execz .LBB126_13
; %bb.12:
	s_load_dwordx2 s[16:17], s[0:1], 0x0
	s_waitcnt lgkmcnt(0)
	s_ashr_i32 s18, s44, 31
	s_mul_hi_u32 s19, s5, s44
	s_mul_i32 s18, s5, s18
	s_add_i32 s19, s19, s18
	s_mul_i32 s18, s5, s44
	s_lshl_b64 s[18:19], s[18:19], 1
	s_add_u32 s16, s16, s18
	v_add_lshl_u32 v4, v3, s42, 6
	s_addc_u32 s17, s17, s19
	v_ashrrev_i32_e32 v5, 31, v4
	v_mov_b32_e32 v43, 0
	v_lshl_add_u64 v[4:5], v[4:5], 1, s[16:17]
	v_lshlrev_b32_e32 v8, 1, v42
	v_mov_b32_e32 v9, v43
	v_lshl_add_u64 v[4:5], v[4:5], 0, v[8:9]
	global_load_dwordx4 v[16:19], v[4:5], off
	v_and_b32_e32 v4, 3, v0
	v_lshlrev_b32_e32 v5, 9, v44
	v_lshlrev_b32_e32 v3, 5, v3
	;; [unrolled: 1-line block ×3, first 2 shown]
	v_and_b32_e32 v5, 0x1800, v5
	v_or3_b32 v3, v5, v4, v3
	s_waitcnt vmcnt(0)
	ds_write_b128 v3, v[16:19]
.LBB126_13:
	s_or_b64 exec, exec, s[12:13]
	s_waitcnt lgkmcnt(0)
	s_mov_b32 s5, 0
	s_mul_i32 s4, s4, s46
	s_lshl_b64 s[4:5], s[4:5], 1
	s_add_u32 s10, s10, s4
	s_addc_u32 s11, s11, s5
	s_waitcnt vmcnt(3)
	v_mad_i64_i32 v[2:3], s[12:13], v2, s45, 0
	v_lshl_add_u64 v[2:3], v[2:3], 1, s[10:11]
	v_lshlrev_b64 v[12:13], 1, v[42:43]
	v_mov_b32_e32 v47, 0
	v_lshlrev_b32_e32 v46, 9, v54
	v_lshl_add_u64 v[2:3], v[2:3], 0, v[12:13]
	v_lshl_add_u64 v[8:9], v[2:3], 0, v[46:47]
	s_barrier
	global_load_dwordx4 v[22:25], v[8:9], off
	global_load_dwordx4 v[2:5], v[8:9], off offset:2048
	s_waitcnt vmcnt(4)
	v_mad_i64_i32 v[6:7], s[12:13], v6, s45, 0
	v_mov_b32_e32 v8, 0x100
	v_lshl_add_u64 v[6:7], v[6:7], 1, s[10:11]
	v_lshl_or_b32 v16, v44, 4, v8
	v_mov_b32_e32 v17, v47
	s_waitcnt vmcnt(3)
	v_mad_i64_i32 v[10:11], s[12:13], v10, s45, 0
	v_lshl_add_u64 v[6:7], v[6:7], 0, v[16:17]
	v_lshl_add_u64 v[10:11], v[10:11], 1, s[10:11]
	s_waitcnt vmcnt(2)
	v_mad_i64_i32 v[14:15], s[12:13], v14, s45, 0
	v_lshl_add_u64 v[18:19], v[6:7], 0, v[46:47]
	v_lshl_add_u64 v[10:11], v[10:11], 0, v[12:13]
	;; [unrolled: 1-line block ×3, first 2 shown]
	global_load_dwordx4 v[26:29], v[18:19], off
	global_load_dwordx4 v[6:9], v[18:19], off offset:2048
	v_lshl_add_u64 v[18:19], v[10:11], 0, v[46:47]
	v_lshl_add_u64 v[14:15], v[14:15], 0, v[16:17]
	global_load_dwordx4 v[30:33], v[18:19], off
	global_load_dwordx4 v[10:13], v[18:19], off offset:2048
	v_lshl_add_u64 v[18:19], v[14:15], 0, v[46:47]
	global_load_dwordx4 v[34:37], v[18:19], off
	global_load_dwordx4 v[14:17], v[18:19], off offset:2048
	v_cmp_ne_u32_e32 vcc, 15, v44
	v_and_b32_e32 v45, 63, v0
	v_mov_b32_e32 v50, 0
	v_cndmask_b32_e32 v18, 0, v44, vcc
	v_lshl_or_b32 v18, v18, 5, v46
	ds_read_b128 v[38:41], v18
	ds_read_b128 v[18:21], v18 offset:2048
	s_and_saveexec_b64 s[10:11], vcc
	s_cbranch_execz .LBB126_15
; %bb.14:
	s_load_dwordx2 s[12:13], s[0:1], 0x40
	v_add_u32_e32 v48, s42, v44
	v_ashrrev_i32_e32 v49, 31, v48
	s_waitcnt lgkmcnt(0)
	v_lshl_add_u64 v[48:49], v[48:49], 2, s[12:13]
	global_load_dword v50, v[48:49], off
.LBB126_15:
	s_or_b64 exec, exec, s[10:11]
	s_ashr_i32 s10, s14, 31
	v_and_or_b32 v46, v0, 48, s14
	s_lshr_b32 s11, s10, 27
	v_add_u32_e32 v48, s11, v46
	v_or_b32_e32 v52, 64, v46
	v_ashrrev_i32_e32 v48, 5, v48
	v_mov_b32_e32 v51, s15
	v_cmp_gt_i32_e32 vcc, s29, v46
	v_add_u32_e32 v53, s11, v52
	s_waitcnt vmcnt(7) lgkmcnt(1)
	v_mfma_f32_16x16x16_f16 v[56:59], v[22:23], v[38:39], 0
	v_cndmask_b32_e32 v48, v51, v48, vcc
	v_ashrrev_i32_e32 v22, 5, v53
	v_cmp_gt_i32_e32 vcc, s29, v52
	v_ashrrev_i32_e32 v49, 31, v48
	v_lshl_add_u64 v[48:49], v[48:49], 2, s[8:9]
	v_cndmask_b32_e32 v22, v51, v22, vcc
	v_ashrrev_i32_e32 v23, 31, v22
	v_lshl_add_u64 v[22:23], v[22:23], 2, s[8:9]
	global_load_dword v55, v[48:49], off
	global_load_dword v72, v[22:23], off
	s_waitcnt vmcnt(3)
	v_mfma_f32_16x16x16_f16 v[68:71], v[34:35], v[38:39], 0
	v_or_b32_e32 v48, 0xc0, v46
	v_add_u32_e32 v52, s11, v48
	s_add_u32 s4, s6, s4
	v_mfma_f32_16x16x16_f16 v[60:63], v[26:27], v[38:39], 0
	s_addc_u32 s5, s7, s5
	s_load_dword s10, s[0:1], 0x1c
	s_mov_b32 s33, 0xff7fffff
	v_mfma_f32_16x16x16_f16 v[64:67], v[30:31], v[38:39], 0
	v_and_b32_e32 v31, 0xc0, v0
	v_or_b32_e32 v38, 0x80, v46
	v_add_u32_e32 v34, s14, v31
	v_mfma_f32_16x16x16_f16 v[22:25], v[24:25], v[40:41], v[56:59]
	v_and_b32_e32 v30, 16, v0
	v_add_u32_e32 v49, s11, v38
	v_lshlrev_b32_e32 v46, 1, v30
	v_lshl_or_b32 v56, v54, 2, v34
	v_mfma_f32_16x16x16_f16 v[34:37], v[36:37], v[40:41], v[68:71]
	v_cmp_gt_i32_e32 vcc, s29, v38
	v_lshlrev_b32_e32 v39, 6, v44
	v_or_b32_e32 v57, 1, v56
	v_mfma_f32_16x16x16_f16 v[26:29], v[28:29], v[40:41], v[60:63]
	v_cmp_gt_i32_e64 s[34:35], s29, v57
	v_mfma_f32_16x16x16_f16 v[30:33], v[32:33], v[40:41], v[64:67]
	v_ashrrev_i32_e32 v40, 5, v49
	v_ashrrev_i32_e32 v41, 5, v52
	v_cndmask_b32_e32 v38, v51, v40, vcc
	v_cmp_gt_i32_e32 vcc, s29, v48
	s_waitcnt lgkmcnt(0)
	v_mfma_f32_16x16x16_f16 v[22:25], v[2:3], v[18:19], v[22:25]
	v_lshl_add_u64 v[2:3], s[4:5], 0, v[46:47]
	v_cndmask_b32_e32 v40, v51, v41, vcc
	v_lshl_or_b32 v46, v1, 10, v39
	v_ashrrev_i32_e32 v39, 31, v38
	v_ashrrev_i32_e32 v41, 31, v40
	s_waitcnt vmcnt(2)
	v_mfma_f32_16x16x16_f16 v[34:37], v[14:15], v[18:19], v[34:37]
	v_lshl_add_u64 v[14:15], v[38:39], 2, s[8:9]
	v_subrev_u32_e32 v51, s29, v57
	v_cvt_f32_i32_e32 v58, v51
	v_mfma_f32_16x16x16_f16 v[26:29], v[6:7], v[18:19], v[26:29]
	v_mfma_f32_16x16x16_f16 v[30:33], v[10:11], v[18:19], v[30:33]
	v_lshl_add_u64 v[18:19], v[40:41], 2, s[8:9]
	global_load_dword v59, v[14:15], off
	global_load_dword v60, v[18:19], off
	v_lshl_add_u64 v[10:11], v[2:3], 0, v[46:47]
	v_mfma_f32_16x16x16_f16 v[2:5], v[4:5], v[20:21], v[22:25]
	v_add_u32_e32 v46, 1, v51
	v_add_u32_e32 v47, 3, v51
	;; [unrolled: 1-line block ×3, first 2 shown]
	v_mfma_f32_16x16x16_f16 v[14:17], v[16:17], v[20:21], v[34:37]
	v_add_u32_e32 v22, 2, v51
	s_nop 1
	v_pk_mul_f32 v[52:53], s[10:11], v[4:5] op_sel_hi:[0,1]
	v_cvt_f32_i32_e32 v18, v18
	v_mfma_f32_16x16x16_f16 v[6:9], v[8:9], v[20:21], v[26:29]
	v_add_u32_e32 v19, 19, v51
	v_pk_mul_f32 v[34:35], s[10:11], v[16:17] op_sel_hi:[0,1]
	v_pk_mul_f32 v[36:37], s[10:11], v[14:15] op_sel_hi:[0,1]
	v_cvt_f32_i32_e32 v27, v22
	v_mfma_f32_16x16x16_f16 v[22:25], v[12:13], v[20:21], v[30:33]
	v_pk_mul_f32 v[12:13], s[10:11], v[2:3] op_sel_hi:[0,1]
	v_cvt_f32_i32_e32 v26, v46
	v_cvt_f32_i32_e32 v28, v47
	v_pk_mul_f32 v[46:47], s[10:11], v[8:9] op_sel_hi:[0,1]
	v_pk_mul_f32 v[48:49], s[10:11], v[6:7] op_sel_hi:[0,1]
	v_cvt_f32_i32_e32 v19, v19
	v_fma_f32 v46, v50, v18, v46
	v_add_u32_e32 v18, 34, v51
	v_cvt_f32_i32_e32 v18, v18
	v_fmac_f32_e32 v47, v50, v19
	v_add_u32_e32 v19, 35, v51
	v_cvt_f32_i32_e32 v19, v19
	v_pk_mul_f32 v[40:41], s[10:11], v[22:23] op_sel_hi:[0,1]
	v_pk_mul_f32 v[38:39], s[10:11], v[24:25] op_sel_hi:[0,1]
	v_fma_f32 v38, v50, v18, v38
	v_add_u32_e32 v18, 50, v51
	s_waitcnt vmcnt(3)
	v_mad_i64_i32 v[2:3], s[4:5], v55, s45, 0
	s_waitcnt vmcnt(2)
	v_mad_i64_i32 v[4:5], s[4:5], v72, s45, 0
	v_lshl_add_u64 v[16:17], v[2:3], 1, v[10:11]
	v_lshl_add_u64 v[14:15], v[4:5], 1, v[10:11]
	global_load_dwordx4 v[6:9], v[16:17], off
	global_load_dwordx4 v[2:5], v[16:17], off offset:16
	v_add_u32_e32 v16, 16, v51
	v_cvt_f32_i32_e32 v16, v16
	v_add_u32_e32 v17, 17, v51
	v_cvt_f32_i32_e32 v17, v17
	v_fmac_f32_e32 v39, v50, v19
	v_fma_f32 v48, v50, v16, v48
	v_add_u32_e32 v16, 32, v51
	v_fmac_f32_e32 v49, v50, v17
	v_cvt_f32_i32_e32 v16, v16
	v_add_u32_e32 v17, 33, v51
	v_cvt_f32_i32_e32 v17, v17
	v_cvt_f32_i32_e32 v18, v18
	v_fma_f32 v40, v50, v16, v40
	v_add_u32_e32 v16, 48, v51
	v_fmac_f32_e32 v41, v50, v17
	v_cvt_f32_i32_e32 v16, v16
	v_add_u32_e32 v17, 49, v51
	v_cvt_f32_i32_e32 v17, v17
	v_add_u32_e32 v19, 51, v51
	v_cvt_f32_i32_e32 v19, v19
	v_fma_f32 v12, v50, v58, v12
	v_fmac_f32_e32 v13, v50, v26
	v_fma_f32 v36, v50, v16, v36
	v_mov_b32_e32 v16, 0xff7fffff
	v_cmp_gt_i32_e64 s[4:5], s29, v56
	v_fmac_f32_e32 v37, v50, v17
	v_fma_f32 v34, v50, v18, v34
	v_cndmask_b32_e64 v17, v16, v12, s[4:5]
	v_cndmask_b32_e64 v18, v16, v13, s[34:35]
	v_fmac_f32_e32 v35, v50, v19
	v_max3_f32 v17, v17, s33, v18
	v_or_b32_e32 v18, 2, v56
	v_or_b32_e32 v19, 3, v56
	v_fma_f32 v52, v50, v27, v52
	v_fmac_f32_e32 v53, v50, v28
	v_cmp_gt_i32_e64 s[36:37], s29, v18
	v_cmp_gt_i32_e64 s[38:39], s29, v19
	global_load_dwordx4 v[30:33], v[14:15], off
	global_load_dwordx4 v[26:29], v[14:15], off offset:16
	v_cndmask_b32_e64 v18, v16, v52, s[36:37]
	v_cndmask_b32_e64 v19, v16, v53, s[38:39]
	v_max3_f32 v17, v17, v18, v19
	v_or_b32_e32 v18, 16, v56
	v_or_b32_e32 v19, 17, v56
	v_cmp_gt_i32_e64 s[24:25], s29, v18
	v_cmp_gt_i32_e64 s[26:27], s29, v19
	s_nop 0
	v_cndmask_b32_e64 v18, v16, v48, s[24:25]
	v_cndmask_b32_e64 v19, v16, v49, s[26:27]
	v_max3_f32 v17, v17, v18, v19
	v_or_b32_e32 v18, 18, v56
	v_or_b32_e32 v19, 19, v56
	v_cmp_gt_i32_e64 s[20:21], s29, v18
	v_cmp_gt_i32_e64 s[22:23], s29, v19
	s_nop 0
	v_cndmask_b32_e64 v18, v16, v46, s[20:21]
	v_cndmask_b32_e64 v19, v16, v47, s[22:23]
	v_max3_f32 v17, v17, v18, v19
	v_or_b32_e32 v18, 32, v56
	v_or_b32_e32 v19, 33, v56
	v_cmp_gt_i32_e64 s[16:17], s29, v18
	v_cmp_gt_i32_e64 s[18:19], s29, v19
	s_nop 0
	v_cndmask_b32_e64 v18, v16, v40, s[16:17]
	v_cndmask_b32_e64 v19, v16, v41, s[18:19]
	v_max3_f32 v17, v17, v18, v19
	v_or_b32_e32 v18, 34, v56
	v_or_b32_e32 v19, 35, v56
	v_cmp_gt_i32_e64 s[12:13], s29, v18
	v_cmp_gt_i32_e64 s[14:15], s29, v19
	s_nop 0
	v_cndmask_b32_e64 v18, v16, v38, s[12:13]
	v_cndmask_b32_e64 v19, v16, v39, s[14:15]
	v_max3_f32 v17, v17, v18, v19
	v_or_b32_e32 v18, 48, v56
	v_or_b32_e32 v19, 49, v56
	v_cmp_gt_i32_e64 s[8:9], s29, v18
	v_cmp_gt_i32_e64 s[10:11], s29, v19
	s_nop 0
	v_cndmask_b32_e64 v18, v16, v36, s[8:9]
	v_cndmask_b32_e64 v19, v16, v37, s[10:11]
	v_max3_f32 v17, v17, v18, v19
	v_or_b32_e32 v18, 50, v56
	v_or_b32_e32 v19, 51, v56
	v_cmp_gt_i32_e32 vcc, s29, v18
	v_cmp_gt_i32_e64 s[6:7], s29, v19
	s_nop 0
	v_cndmask_b32_e32 v18, v16, v34, vcc
	v_cndmask_b32_e64 v16, v16, v35, s[6:7]
	v_max3_f32 v16, v17, v18, v16
	v_mbcnt_lo_u32_b32 v17, -1, 0
	v_mbcnt_hi_u32_b32 v17, -1, v17
	v_and_b32_e32 v18, 64, v17
	v_add_u32_e32 v18, 64, v18
	v_xor_b32_e32 v19, 32, v17
	v_cmp_lt_i32_e64 s[40:41], v19, v18
	s_nop 1
	v_cndmask_b32_e64 v19, v17, v19, s[40:41]
	v_lshlrev_b32_e32 v56, 2, v19
	ds_bpermute_b32 v19, v56, v16
	s_waitcnt vmcnt(5)
	v_mad_i64_i32 v[14:15], s[40:41], v59, s45, 0
	v_lshl_add_u64 v[14:15], v[14:15], 1, v[10:11]
	s_waitcnt lgkmcnt(0)
	v_max_f32_e32 v19, v19, v19
	v_max_f32_e32 v16, v16, v19
	v_xor_b32_e32 v19, 16, v17
	v_cmp_lt_i32_e64 s[40:41], v19, v18
	s_nop 1
	v_cndmask_b32_e64 v17, v17, v19, s[40:41]
	v_lshlrev_b32_e32 v57, 2, v17
	ds_bpermute_b32 v17, v57, v16
	global_load_dwordx4 v[22:25], v[14:15], off
	global_load_dwordx4 v[18:21], v[14:15], off offset:16
	s_waitcnt vmcnt(6)
	v_mad_i64_i32 v[14:15], s[40:41], v60, s45, 0
	v_lshl_add_u64 v[10:11], v[14:15], 1, v[10:11]
	s_waitcnt lgkmcnt(0)
	v_max_f32_e32 v14, v17, v17
	v_max_f32_e32 v55, v16, v14
	v_sub_f32_e32 v12, v12, v55
	v_mul_f32_e32 v12, 0x3fb8aa3b, v12
	v_exp_f32_e32 v50, v12
	v_sub_f32_e32 v12, v13, v55
	v_mul_f32_e32 v12, 0x3fb8aa3b, v12
	v_exp_f32_e32 v51, v12
	global_load_dwordx4 v[14:17], v[10:11], off
	s_nop 0
	global_load_dwordx4 v[10:13], v[10:11], off offset:16
	v_sub_f32_e32 v52, v52, v55
	v_mul_f32_e32 v52, 0x3fb8aa3b, v52
	v_sub_f32_e32 v53, v53, v55
	v_exp_f32_e32 v52, v52
	v_mul_f32_e32 v53, 0x3fb8aa3b, v53
	v_sub_f32_e32 v48, v48, v55
	v_exp_f32_e32 v53, v53
	v_mul_f32_e32 v48, 0x3fb8aa3b, v48
	v_sub_f32_e32 v49, v49, v55
	v_cndmask_b32_e64 v50, 0, v50, s[4:5]
	v_exp_f32_e32 v48, v48
	v_mul_f32_e32 v49, 0x3fb8aa3b, v49
	v_sub_f32_e32 v46, v46, v55
	v_add_f32_e32 v58, 0, v50
	v_cndmask_b32_e64 v51, 0, v51, s[34:35]
	v_exp_f32_e32 v49, v49
	v_mul_f32_e32 v46, 0x3fb8aa3b, v46
	v_sub_f32_e32 v47, v47, v55
	v_add_f32_e32 v58, v58, v51
	;; [unrolled: 5-line block ×10, first 2 shown]
	v_cndmask_b32_e64 v38, 0, v38, s[12:13]
	v_exp_f32_e32 v34, v34
	v_mul_f32_e32 v35, 0x3fb8aa3b, v35
	v_add_f32_e32 v58, v58, v38
	v_cndmask_b32_e64 v39, 0, v39, s[14:15]
	v_exp_f32_e32 v35, v35
	v_add_f32_e32 v58, v58, v39
	v_cndmask_b32_e64 v36, 0, v36, s[8:9]
	v_add_f32_e32 v58, v58, v36
	v_cndmask_b32_e64 v37, 0, v37, s[10:11]
	v_add_f32_e32 v58, v58, v37
	v_cndmask_b32_e32 v34, 0, v34, vcc
	v_add_f32_e32 v58, v58, v34
	v_cndmask_b32_e64 v35, 0, v35, s[6:7]
	v_add_f32_e32 v58, v58, v35
	ds_bpermute_b32 v56, v56, v58
	s_load_dword s7, s[0:1], 0x98
	v_cmp_gt_u32_e32 vcc, 16, v45
	v_lshlrev_b32_e32 v45, 2, v44
	s_waitcnt lgkmcnt(0)
	v_add_f32_e32 v56, v58, v56
	ds_bpermute_b32 v57, v57, v56
	s_barrier
	s_waitcnt lgkmcnt(0)
	s_and_saveexec_b64 s[4:5], vcc
	s_cbranch_execz .LBB126_17
; %bb.16:
	v_add_f32_e32 v56, v56, v57
	v_lshl_or_b32 v57, v1, 6, v45
	ds_write2st64_b32 v57, v55, v56 offset1:1
.LBB126_17:
	s_or_b64 exec, exec, s[4:5]
	s_load_dword s6, s[0:1], 0x94
	s_waitcnt lgkmcnt(0)
	s_barrier
	ds_read2_b32 v[56:57], v45 offset1:16
	ds_read2_b32 v[58:59], v45 offset0:32 offset1:48
	ds_read2_b32 v[60:61], v45 offset0:64 offset1:80
	;; [unrolled: 1-line block ×3, first 2 shown]
	s_waitcnt lgkmcnt(0)
	v_max3_f32 v55, v56, s33, v57
	v_max3_f32 v55, v55, v58, v59
	v_sub_f32_e32 v56, v56, v55
	v_mul_f32_e32 v56, 0x3fb8aa3b, v56
	v_exp_f32_e32 v64, v56
	v_sub_f32_e32 v56, v57, v55
	v_mul_f32_e32 v56, 0x3fb8aa3b, v56
	v_exp_f32_e32 v57, v56
	v_sub_f32_e32 v56, v58, v55
	v_mul_f32_e32 v56, 0x3fb8aa3b, v56
	v_sub_f32_e32 v45, v59, v55
	v_exp_f32_e32 v58, v56
	v_mul_f32_e32 v45, 0x3fb8aa3b, v45
	v_exp_f32_e32 v45, v45
	v_fma_f32 v56, v64, v60, 0
	v_fmac_f32_e32 v56, v57, v61
	v_fmac_f32_e32 v56, v58, v62
	;; [unrolled: 1-line block ×3, first 2 shown]
	v_add_f32_e32 v59, 0x358637bd, v56
	v_div_scale_f32 v60, s[4:5], v59, v59, 1.0
	v_rcp_f32_e32 v61, v60
	s_barrier
	s_mul_i32 s7, s7, 15
	v_fma_f32 v62, -v60, v61, 1.0
	v_fmac_f32_e32 v61, v62, v61
	v_div_scale_f32 v62, vcc, 1.0, v59, 1.0
	v_mul_f32_e32 v63, v62, v61
	v_fma_f32 v65, -v60, v63, v62
	v_fmac_f32_e32 v63, v65, v61
	v_fma_f32 v60, -v60, v63, v62
	v_div_fmas_f32 v60, v60, v61, v63
	v_cmp_eq_u32_e32 vcc, 1, v1
	v_div_fixup_f32 v59, v60, v59, 1.0
	s_nop 0
	v_cndmask_b32_e32 v57, v64, v57, vcc
	v_cmp_eq_u32_e32 vcc, 2, v1
	s_nop 1
	v_cndmask_b32_e32 v57, v57, v58, vcc
	v_cmp_eq_u32_e32 vcc, 3, v1
	v_lshlrev_b32_e32 v1, 11, v1
	s_nop 0
	v_cndmask_b32_e32 v45, v57, v45, vcc
	v_mul_f32_e32 v58, v45, v59
	v_pk_mul_f32 v[52:53], v[58:59], v[52:53] op_sel_hi:[0,1]
	v_pk_mul_f32 v[50:51], v[58:59], v[50:51] op_sel_hi:[0,1]
	v_cvt_f16_f32_e32 v45, v50
	v_cvt_f16_f32_e32 v50, v51
	;; [unrolled: 1-line block ×4, first 2 shown]
	v_pk_mul_f32 v[46:47], v[58:59], v[46:47] op_sel_hi:[0,1]
	v_pk_mul_f32 v[48:49], v[58:59], v[48:49] op_sel_hi:[0,1]
	v_cvt_f16_f32_e32 v48, v48
	v_pack_b32_f16 v53, v51, v53
	v_cvt_f16_f32_e32 v49, v49
	v_cvt_f16_f32_e32 v51, v46
	;; [unrolled: 1-line block ×3, first 2 shown]
	v_pack_b32_f16 v52, v45, v50
	v_lshlrev_b32_e32 v45, 3, v54
	v_lshlrev_b32_e32 v50, 5, v44
	v_or3_b32 v1, v1, v50, v45
	v_pack_b32_f16 v46, v48, v49
	v_pack_b32_f16 v47, v51, v47
	v_pk_mul_f32 v[38:39], v[58:59], v[38:39] op_sel_hi:[0,1]
	v_pk_mul_f32 v[40:41], v[58:59], v[40:41] op_sel_hi:[0,1]
	;; [unrolled: 1-line block ×4, first 2 shown]
	ds_write2st64_b64 v1, v[52:53], v[46:47] offset1:1
	v_cvt_f16_f32_e32 v40, v40
	v_cvt_f16_f32_e32 v41, v41
	;; [unrolled: 1-line block ×8, first 2 shown]
	v_pack_b32_f16 v34, v40, v41
	v_pack_b32_f16 v35, v38, v39
	;; [unrolled: 1-line block ×4, first 2 shown]
	v_cmp_gt_u32_e32 vcc, 15, v0
	ds_write2st64_b64 v1, v[34:35], v[36:37] offset0:2 offset1:3
	s_and_saveexec_b64 s[4:5], vcc
	s_cbranch_execz .LBB126_19
; %bb.18:
	s_mov_b32 s43, 0
	v_mov_b32_e32 v45, 0
	v_lshl_add_u64 v[34:35], s[42:43], 0, v[44:45]
	v_mov_b32_e32 v36, s7
	v_mad_u64_u32 v[34:35], s[12:13], s2, v36, v[34:35]
	s_mul_i32 s3, s3, s7
	v_mov_b32_e32 v44, s28
	s_load_dwordx4 s[8:11], s[0:1], 0x58
	v_add_u32_e32 v37, s3, v35
	v_mad_u64_u32 v[34:35], s[12:13], v34, s6, v[44:45]
	v_mov_b32_e32 v36, v35
	v_mad_u64_u32 v[36:37], s[12:13], v37, s6, v[36:37]
	v_mov_b32_e32 v35, v36
	v_lshlrev_b64 v[34:35], 2, v[34:35]
	s_waitcnt lgkmcnt(0)
	v_lshl_add_u64 v[36:37], s[10:11], 0, v[34:35]
	v_lshl_add_u64 v[34:35], s[8:9], 0, v[34:35]
	global_store_dword v[36:37], v55, off
	global_store_dword v[34:35], v56, off
.LBB126_19:
	s_or_b64 exec, exec, s[4:5]
	v_lshl_or_b32 v48, v54, 9, v50
	s_waitcnt lgkmcnt(0)
	s_barrier
	ds_read_b128 v[34:37], v48
	ds_read_b128 v[38:41], v48 offset:16
	s_waitcnt vmcnt(7) lgkmcnt(1)
	v_mfma_f32_16x16x16_f16 v[44:47], v[6:7], v[34:35], 0
	v_cmp_gt_u32_e32 vcc, 64, v0
	s_mov_b32 s3, 0
	s_and_b64 s[4:5], vcc, s[30:31]
	v_mfma_f32_16x16x16_f16 v[6:9], v[8:9], v[36:37], v[44:47]
	s_waitcnt vmcnt(6) lgkmcnt(0)
	v_mfma_f32_16x16x16_f16 v[6:9], v[2:3], v[38:39], v[6:9]
	v_mfma_f32_16x16x16_f16 v[2:5], v[4:5], v[40:41], v[6:9]
	s_nop 5
	ds_read_b128 v[6:9], v48 offset:2048
	ds_read_b128 v[34:37], v48 offset:2064
	s_waitcnt vmcnt(5) lgkmcnt(1)
	v_mfma_f32_16x16x16_f16 v[2:5], v[30:31], v[6:7], v[2:5]
	v_mfma_f32_16x16x16_f16 v[2:5], v[32:33], v[8:9], v[2:5]
	s_waitcnt vmcnt(4) lgkmcnt(0)
	v_mfma_f32_16x16x16_f16 v[2:5], v[26:27], v[34:35], v[2:5]
	v_mfma_f32_16x16x16_f16 v[2:5], v[28:29], v[36:37], v[2:5]
	ds_read_b128 v[6:9], v48 offset:4096
	ds_read_b128 v[26:29], v48 offset:4112
	s_waitcnt vmcnt(3) lgkmcnt(1)
	v_mfma_f32_16x16x16_f16 v[2:5], v[22:23], v[6:7], v[2:5]
	v_mfma_f32_16x16x16_f16 v[2:5], v[24:25], v[8:9], v[2:5]
	s_waitcnt vmcnt(2) lgkmcnt(0)
	v_mfma_f32_16x16x16_f16 v[2:5], v[18:19], v[26:27], v[2:5]
	v_mfma_f32_16x16x16_f16 v[2:5], v[20:21], v[28:29], v[2:5]
	ds_read_b128 v[6:9], v48 offset:6144
	ds_read_b128 v[18:21], v48 offset:6160
	s_waitcnt lgkmcnt(0)
	s_barrier
	s_waitcnt vmcnt(1)
	v_mfma_f32_16x16x16_f16 v[2:5], v[14:15], v[6:7], v[2:5]
	v_mfma_f32_16x16x16_f16 v[2:5], v[16:17], v[8:9], v[2:5]
	s_waitcnt vmcnt(0)
	v_mfma_f32_16x16x16_f16 v[2:5], v[10:11], v[18:19], v[2:5]
	v_mfma_f32_16x16x16_f16 v[2:5], v[12:13], v[20:21], v[2:5]
	s_nop 6
	v_cvt_f16_f32_e32 v2, v2
	v_cvt_f16_f32_e32 v3, v3
	;; [unrolled: 1-line block ×4, first 2 shown]
	v_pack_b32_f16 v2, v2, v3
	v_pack_b32_f16 v3, v4, v5
	ds_write_b64 v1, v[2:3]
	s_waitcnt lgkmcnt(0)
	s_barrier
	s_and_saveexec_b64 s[8:9], s[4:5]
	s_cbranch_execz .LBB126_22
; %bb.20:
	s_load_dwordx2 s[4:5], s[0:1], 0x68
	s_lshl_b32 s0, s6, 6
	s_mul_i32 s1, s7, s2
	s_mul_hi_u32 s7, s1, s0
	s_mul_i32 s6, s1, s0
	v_lshlrev_b32_e32 v1, 10, v0
	v_lshlrev_b32_e32 v0, 4, v0
	s_lshl_b64 s[6:7], s[6:7], 1
	v_and_b32_e32 v1, 0x1800, v1
	v_lshlrev_b32_e32 v2, 5, v54
	v_and_b32_e32 v0, 16, v0
	s_waitcnt lgkmcnt(0)
	s_add_u32 s1, s4, s6
	v_or3_b32 v2, v1, v2, v0
	s_addc_u32 s4, s5, s7
	s_lshl_b32 s2, s28, 6
	ds_read_b128 v[4:7], v2 offset:256
	s_lshl_b64 s[2:3], s[2:3], 1
	ds_read_b128 v[8:11], v2 offset:128
	ds_read_b128 v[12:15], v2
	s_add_u32 s2, s1, s2
	s_addc_u32 s3, s4, s3
	v_add_u32_e32 v3, s42, v54
	v_lshl_add_u64 v[0:1], v[42:43], 1, s[2:3]
	v_mad_u64_u32 v[16:17], s[2:3], v3, s0, 0
	v_lshl_add_u64 v[16:17], v[16:17], 1, v[0:1]
	s_waitcnt lgkmcnt(0)
	global_store_dwordx4 v[16:17], v[12:15], off
	v_cmp_ne_u32_e32 vcc, 3, v54
	s_nop 0
	v_add_u32_e32 v12, 4, v3
	v_mad_u64_u32 v[12:13], s[2:3], v12, s0, 0
	v_lshl_add_u64 v[12:13], v[12:13], 1, v[0:1]
	v_add_u32_e32 v3, 8, v3
	global_store_dwordx4 v[12:13], v[8:11], off
	s_nop 1
	v_mad_u64_u32 v[8:9], s[2:3], v3, s0, 0
	v_lshl_add_u64 v[8:9], v[8:9], 1, v[0:1]
	global_store_dwordx4 v[8:9], v[4:7], off
	s_and_b64 exec, exec, vcc
	s_cbranch_execz .LBB126_22
; %bb.21:
	ds_read_b128 v[2:5], v2 offset:384
	v_add3_u32 v6, s42, v54, 12
	v_mad_u64_u32 v[6:7], s[0:1], v6, s0, 0
	v_lshl_add_u64 v[0:1], v[6:7], 1, v[0:1]
	s_waitcnt lgkmcnt(0)
	global_store_dwordx4 v[0:1], v[2:5], off
.LBB126_22:
	s_endpgm
	.section	.rodata,"a",@progbits
	.p2align	6, 0x0
	.amdhsa_kernel _Z39paged_attention_ll4mi_QKV_mfma16_kernelIDF16_DF16_LN4vllm18Fp8KVCacheDataTypeE0EhLi32ELi64ELi256ELb1ELi15EEvPKT_PKT0_S7_ifPKiS9_S9_iPKfiiiPfSC_PS2_PT2_iSB_SB_
		.amdhsa_group_segment_fixed_size 8192
		.amdhsa_private_segment_fixed_size 0
		.amdhsa_kernarg_size 400
		.amdhsa_user_sgpr_count 2
		.amdhsa_user_sgpr_dispatch_ptr 0
		.amdhsa_user_sgpr_queue_ptr 0
		.amdhsa_user_sgpr_kernarg_segment_ptr 1
		.amdhsa_user_sgpr_dispatch_id 0
		.amdhsa_user_sgpr_kernarg_preload_length 0
		.amdhsa_user_sgpr_kernarg_preload_offset 0
		.amdhsa_user_sgpr_private_segment_size 0
		.amdhsa_uses_dynamic_stack 0
		.amdhsa_enable_private_segment 0
		.amdhsa_system_sgpr_workgroup_id_x 1
		.amdhsa_system_sgpr_workgroup_id_y 1
		.amdhsa_system_sgpr_workgroup_id_z 1
		.amdhsa_system_sgpr_workgroup_info 0
		.amdhsa_system_vgpr_workitem_id 0
		.amdhsa_next_free_vgpr 73
		.amdhsa_next_free_sgpr 48
		.amdhsa_accum_offset 76
		.amdhsa_reserve_vcc 1
		.amdhsa_float_round_mode_32 0
		.amdhsa_float_round_mode_16_64 0
		.amdhsa_float_denorm_mode_32 3
		.amdhsa_float_denorm_mode_16_64 3
		.amdhsa_dx10_clamp 1
		.amdhsa_ieee_mode 1
		.amdhsa_fp16_overflow 0
		.amdhsa_tg_split 0
		.amdhsa_exception_fp_ieee_invalid_op 0
		.amdhsa_exception_fp_denorm_src 0
		.amdhsa_exception_fp_ieee_div_zero 0
		.amdhsa_exception_fp_ieee_overflow 0
		.amdhsa_exception_fp_ieee_underflow 0
		.amdhsa_exception_fp_ieee_inexact 0
		.amdhsa_exception_int_div_zero 0
	.end_amdhsa_kernel
	.section	.text._Z39paged_attention_ll4mi_QKV_mfma16_kernelIDF16_DF16_LN4vllm18Fp8KVCacheDataTypeE0EhLi32ELi64ELi256ELb1ELi15EEvPKT_PKT0_S7_ifPKiS9_S9_iPKfiiiPfSC_PS2_PT2_iSB_SB_,"axG",@progbits,_Z39paged_attention_ll4mi_QKV_mfma16_kernelIDF16_DF16_LN4vllm18Fp8KVCacheDataTypeE0EhLi32ELi64ELi256ELb1ELi15EEvPKT_PKT0_S7_ifPKiS9_S9_iPKfiiiPfSC_PS2_PT2_iSB_SB_,comdat
.Lfunc_end126:
	.size	_Z39paged_attention_ll4mi_QKV_mfma16_kernelIDF16_DF16_LN4vllm18Fp8KVCacheDataTypeE0EhLi32ELi64ELi256ELb1ELi15EEvPKT_PKT0_S7_ifPKiS9_S9_iPKfiiiPfSC_PS2_PT2_iSB_SB_, .Lfunc_end126-_Z39paged_attention_ll4mi_QKV_mfma16_kernelIDF16_DF16_LN4vllm18Fp8KVCacheDataTypeE0EhLi32ELi64ELi256ELb1ELi15EEvPKT_PKT0_S7_ifPKiS9_S9_iPKfiiiPfSC_PS2_PT2_iSB_SB_
                                        ; -- End function
	.section	.AMDGPU.csdata,"",@progbits
; Kernel info:
; codeLenInByte = 4212
; NumSgprs: 54
; NumVgprs: 73
; NumAgprs: 0
; TotalNumVgprs: 73
; ScratchSize: 0
; MemoryBound: 0
; FloatMode: 240
; IeeeMode: 1
; LDSByteSize: 8192 bytes/workgroup (compile time only)
; SGPRBlocks: 6
; VGPRBlocks: 9
; NumSGPRsForWavesPerEU: 54
; NumVGPRsForWavesPerEU: 73
; AccumOffset: 76
; Occupancy: 6
; WaveLimiterHint : 1
; COMPUTE_PGM_RSRC2:SCRATCH_EN: 0
; COMPUTE_PGM_RSRC2:USER_SGPR: 2
; COMPUTE_PGM_RSRC2:TRAP_HANDLER: 0
; COMPUTE_PGM_RSRC2:TGID_X_EN: 1
; COMPUTE_PGM_RSRC2:TGID_Y_EN: 1
; COMPUTE_PGM_RSRC2:TGID_Z_EN: 1
; COMPUTE_PGM_RSRC2:TIDIG_COMP_CNT: 0
; COMPUTE_PGM_RSRC3_GFX90A:ACCUM_OFFSET: 18
; COMPUTE_PGM_RSRC3_GFX90A:TG_SPLIT: 0
	.section	.text._Z39paged_attention_ll4mi_QKV_mfma16_kernelIDF16_DF16_LN4vllm18Fp8KVCacheDataTypeE0EhLi32ELi64ELi256ELb1ELi16EEvPKT_PKT0_S7_ifPKiS9_S9_iPKfiiiPfSC_PS2_PT2_iSB_SB_,"axG",@progbits,_Z39paged_attention_ll4mi_QKV_mfma16_kernelIDF16_DF16_LN4vllm18Fp8KVCacheDataTypeE0EhLi32ELi64ELi256ELb1ELi16EEvPKT_PKT0_S7_ifPKiS9_S9_iPKfiiiPfSC_PS2_PT2_iSB_SB_,comdat
	.protected	_Z39paged_attention_ll4mi_QKV_mfma16_kernelIDF16_DF16_LN4vllm18Fp8KVCacheDataTypeE0EhLi32ELi64ELi256ELb1ELi16EEvPKT_PKT0_S7_ifPKiS9_S9_iPKfiiiPfSC_PS2_PT2_iSB_SB_ ; -- Begin function _Z39paged_attention_ll4mi_QKV_mfma16_kernelIDF16_DF16_LN4vllm18Fp8KVCacheDataTypeE0EhLi32ELi64ELi256ELb1ELi16EEvPKT_PKT0_S7_ifPKiS9_S9_iPKfiiiPfSC_PS2_PT2_iSB_SB_
	.globl	_Z39paged_attention_ll4mi_QKV_mfma16_kernelIDF16_DF16_LN4vllm18Fp8KVCacheDataTypeE0EhLi32ELi64ELi256ELb1ELi16EEvPKT_PKT0_S7_ifPKiS9_S9_iPKfiiiPfSC_PS2_PT2_iSB_SB_
	.p2align	8
	.type	_Z39paged_attention_ll4mi_QKV_mfma16_kernelIDF16_DF16_LN4vllm18Fp8KVCacheDataTypeE0EhLi32ELi64ELi256ELb1ELi16EEvPKT_PKT0_S7_ifPKiS9_S9_iPKfiiiPfSC_PS2_PT2_iSB_SB_,@function
_Z39paged_attention_ll4mi_QKV_mfma16_kernelIDF16_DF16_LN4vllm18Fp8KVCacheDataTypeE0EhLi32ELi64ELi256ELb1ELi16EEvPKT_PKT0_S7_ifPKiS9_S9_iPKfiiiPfSC_PS2_PT2_iSB_SB_: ; @_Z39paged_attention_ll4mi_QKV_mfma16_kernelIDF16_DF16_LN4vllm18Fp8KVCacheDataTypeE0EhLi32ELi64ELi256ELb1ELi16EEvPKT_PKT0_S7_ifPKiS9_S9_iPKfiiiPfSC_PS2_PT2_iSB_SB_
; %bb.0:
	s_load_dwordx2 s[6:7], s[0:1], 0x30
	s_mov_b32 s28, s3
	s_mov_b64 s[10:11], 0
	s_waitcnt lgkmcnt(0)
	s_cmp_lg_u64 s[6:7], 0
	s_cselect_b64 s[8:9], -1, 0
	s_and_b64 vcc, exec, s[8:9]
	s_cbranch_vccz .LBB127_7
; %bb.1:
	s_add_i32 s12, s2, 1
	s_mov_b32 s13, 0
	s_lshl_b64 s[14:15], s[12:13], 2
	s_add_u32 s14, s6, s14
	s_mov_b32 s3, s13
	s_addc_u32 s15, s7, s15
	s_lshl_b64 s[12:13], s[2:3], 2
	s_add_u32 s12, s6, s12
	s_addc_u32 s13, s7, s13
	s_load_dword s5, s[14:15], 0x0
	s_load_dword s16, s[12:13], 0x0
	s_waitcnt lgkmcnt(0)
	s_sub_i32 s5, s5, s16
	s_cmp_eq_u32 s5, 1
	s_cselect_b64 s[12:13], -1, 0
	s_andn2_b64 vcc, exec, s[10:11]
	s_cbranch_vccnz .LBB127_3
.LBB127_2:
	s_mov_b32 s3, 0
	s_mov_b64 s[12:13], -1
.LBB127_3:
	s_andn2_b64 vcc, exec, s[12:13]
	s_cbranch_vccnz .LBB127_19
; %bb.4:
	s_load_dwordx2 s[12:13], s[0:1], 0x28
	s_lshl_b64 s[10:11], s[2:3], 2
	s_waitcnt lgkmcnt(0)
	s_add_u32 s12, s12, s10
	s_addc_u32 s13, s13, s11
	s_load_dword s40, s[12:13], 0x0
	s_lshl_b32 s16, s28, 8
	s_waitcnt lgkmcnt(0)
	s_cmp_ge_i32 s16, s40
	s_cbranch_scc1 .LBB127_19
; %bb.5:
	s_load_dwordx2 s[12:13], s[0:1], 0x20
	s_load_dword s5, s[0:1], 0x38
	s_add_i32 s14, s40, 31
	s_ashr_i32 s15, s14, 31
	v_and_b32_e32 v1, 0xcf, v0
	s_lshr_b32 s15, s15, 27
	v_add_u32_e32 v1, s16, v1
	s_add_i32 s14, s14, s15
	v_ashrrev_i32_e32 v2, 31, v1
	s_ashr_i32 s17, s14, 5
	v_lshrrev_b32_e32 v6, 27, v2
	s_add_i32 s17, s17, -1
	s_waitcnt lgkmcnt(0)
	s_mul_i32 s14, s2, s5
	s_mov_b32 s15, 0
	v_add_u32_e32 v2, v1, v6
	s_lshl_b64 s[14:15], s[14:15], 2
	v_ashrrev_i32_e32 v2, 5, v2
	v_mov_b32_e32 v7, s17
	v_cmp_gt_i32_e32 vcc, s40, v1
	s_add_u32 s12, s12, s14
	s_addc_u32 s13, s13, s15
	v_cndmask_b32_e32 v2, v7, v2, vcc
	v_ashrrev_i32_e32 v3, 31, v2
	v_lshl_add_u64 v[4:5], v[2:3], 2, s[12:13]
	v_or_b32_e32 v2, 16, v1
	v_add_u32_e32 v3, v2, v6
	v_ashrrev_i32_e32 v3, 5, v3
	v_cmp_gt_i32_e32 vcc, s40, v2
	s_nop 1
	v_cndmask_b32_e32 v2, v7, v3, vcc
	v_ashrrev_i32_e32 v3, 31, v2
	v_lshl_add_u64 v[8:9], v[2:3], 2, s[12:13]
	v_or_b32_e32 v2, 32, v1
	v_add_u32_e32 v3, v2, v6
	v_ashrrev_i32_e32 v3, 5, v3
	v_cmp_gt_i32_e32 vcc, s40, v2
	v_or_b32_e32 v1, 48, v1
	s_nop 0
	v_cndmask_b32_e32 v2, v7, v3, vcc
	v_ashrrev_i32_e32 v3, 31, v2
	v_lshl_add_u64 v[10:11], v[2:3], 2, s[12:13]
	v_add_u32_e32 v2, v1, v6
	v_ashrrev_i32_e32 v2, 5, v2
	v_cmp_gt_i32_e32 vcc, s40, v1
	s_nop 1
	v_cndmask_b32_e32 v2, v7, v2, vcc
	v_ashrrev_i32_e32 v3, 31, v2
	v_lshl_add_u64 v[12:13], v[2:3], 2, s[12:13]
	global_load_dword v2, v[4:5], off
	global_load_dword v7, v[8:9], off
	;; [unrolled: 1-line block ×4, first 2 shown]
	s_andn2_b64 vcc, exec, s[8:9]
	s_cbranch_vccnz .LBB127_8
; %bb.6:
	s_add_u32 s6, s6, s10
	s_addc_u32 s7, s7, s11
	s_load_dword s5, s[6:7], 0x0
	s_branch .LBB127_9
.LBB127_7:
	s_mov_b64 s[12:13], 0
	s_branch .LBB127_2
.LBB127_8:
	s_mov_b32 s5, s2
.LBB127_9:
	s_load_dwordx2 s[14:15], s[0:1], 0x40
	s_load_dwordx4 s[8:11], s[0:1], 0x8
	s_load_dwordx4 s[44:47], s[0:1], 0x48
	v_and_b32_e32 v54, 15, v0
	s_movk_i32 s6, 0xff
	v_cmp_lt_u32_e32 vcc, s6, v0
	v_cmp_lt_u32_e64 s[6:7], 7, v54
	v_lshlrev_b32_e32 v38, 3, v54
	v_cmp_gt_u32_e64 s[30:31], 8, v54
	s_or_b64 s[6:7], vcc, s[6:7]
	s_and_saveexec_b64 s[18:19], s[6:7]
	s_xor_b64 s[6:7], exec, s[18:19]
; %bb.10:
	v_mov_b32_e32 v39, 0
; %bb.11:
	s_or_saveexec_b64 s[6:7], s[6:7]
	v_lshrrev_b32_e32 v56, 6, v0
	v_and_b32_e32 v57, 63, v0
	s_lshl_b32 s29, s4, 4
	v_bfe_u32 v1, v0, 4, 2
	s_xor_b64 exec, exec, s[6:7]
	s_cbranch_execz .LBB127_13
; %bb.12:
	s_load_dwordx2 s[18:19], s[0:1], 0x0
	s_waitcnt lgkmcnt(0)
	s_ashr_i32 s20, s44, 31
	s_mul_hi_u32 s21, s5, s44
	s_mul_i32 s20, s5, s20
	s_add_i32 s21, s21, s20
	s_mul_i32 s20, s5, s44
	v_lshl_or_b32 v3, v56, 2, v1
	s_lshl_b64 s[20:21], s[20:21], 1
	s_add_u32 s18, s18, s20
	v_add_lshl_u32 v4, v3, s29, 6
	s_addc_u32 s19, s19, s21
	v_ashrrev_i32_e32 v5, 31, v4
	v_mov_b32_e32 v39, 0
	v_lshl_add_u64 v[4:5], v[4:5], 1, s[18:19]
	v_lshlrev_b32_e32 v8, 1, v38
	v_mov_b32_e32 v9, v39
	v_lshl_add_u64 v[4:5], v[4:5], 0, v[8:9]
	global_load_dwordx4 v[8:11], v[4:5], off
	v_and_b32_e32 v4, 3, v0
	v_lshlrev_b32_e32 v5, 9, v54
	v_lshlrev_b32_e32 v3, 5, v3
	;; [unrolled: 1-line block ×3, first 2 shown]
	v_and_b32_e32 v5, 0x1800, v5
	v_or3_b32 v3, v5, v4, v3
	s_waitcnt vmcnt(0)
	ds_write_b128 v3, v[8:11]
.LBB127_13:
	s_or_b64 exec, exec, s[6:7]
	s_waitcnt lgkmcnt(0)
	s_mul_i32 s4, s4, s46
	s_mov_b32 s5, 0
	s_lshl_b64 s[4:5], s[4:5], 1
	s_add_u32 s8, s8, s4
	s_addc_u32 s9, s9, s5
	s_waitcnt vmcnt(3)
	v_mad_i64_i32 v[2:3], s[18:19], v2, s45, 0
	v_lshl_add_u64 v[2:3], v[2:3], 1, s[8:9]
	v_lshlrev_b64 v[8:9], 1, v[38:39]
	v_lshlrev_b32_e32 v42, 9, v1
	v_lshl_add_u64 v[2:3], v[2:3], 0, v[8:9]
	v_mov_b32_e32 v43, 0
	v_lshl_add_u64 v[16:17], v[2:3], 0, v[42:43]
	s_load_dword s33, s[0:1], 0x98
	s_load_dword s6, s[0:1], 0x1c
	s_waitcnt lgkmcnt(0)
	s_barrier
	global_load_dwordx4 v[2:5], v[16:17], off
	s_waitcnt vmcnt(3)
	v_mad_i64_i32 v[10:11], s[18:19], v7, s45, 0
	v_mov_b32_e32 v12, 0x100
	v_lshl_or_b32 v34, v54, 4, v12
	v_mov_b32_e32 v35, v43
	v_lshl_add_u64 v[10:11], v[10:11], 1, s[8:9]
	v_lshl_add_u64 v[10:11], v[10:11], 0, v[34:35]
	;; [unrolled: 1-line block ×3, first 2 shown]
	global_load_dwordx4 v[10:13], v[22:23], off
	s_waitcnt vmcnt(3)
	v_mad_i64_i32 v[6:7], s[18:19], v6, s45, 0
	v_lshl_add_u64 v[6:7], v[6:7], 1, s[8:9]
	v_lshl_add_u64 v[6:7], v[6:7], 0, v[8:9]
	v_lshl_add_u64 v[24:25], v[6:7], 0, v[42:43]
	global_load_dwordx4 v[18:21], v[24:25], off
	global_load_dwordx4 v[6:9], v[16:17], off offset:2048
	s_waitcnt vmcnt(4)
	v_mad_i64_i32 v[36:37], s[18:19], v14, s45, 0
	global_load_dwordx4 v[14:17], v[22:23], off offset:2048
	global_load_dwordx4 v[30:33], v[24:25], off offset:2048
	s_ashr_i32 s7, s16, 31
	v_and_or_b32 v52, v0, 48, s16
	v_lshl_add_u64 v[36:37], v[36:37], 1, s[8:9]
	s_lshr_b32 s7, s7, 27
	v_lshl_add_u64 v[34:35], v[36:37], 0, v[34:35]
	v_add_u32_e32 v36, s7, v52
	v_mov_b32_e32 v53, s17
	v_lshl_add_u64 v[40:41], v[34:35], 0, v[42:43]
	v_ashrrev_i32_e32 v34, 5, v36
	v_cmp_gt_i32_e32 vcc, s40, v52
	v_lshl_or_b32 v55, v54, 5, v42
	ds_read_b128 v[26:29], v55
	ds_read_b128 v[22:25], v55 offset:2048
	v_cndmask_b32_e32 v34, v53, v34, vcc
	v_ashrrev_i32_e32 v35, 31, v34
	v_lshl_add_u64 v[34:35], v[34:35], 2, s[12:13]
	global_load_dword v66, v[34:35], off
	s_nop 0
	global_load_dwordx4 v[34:37], v[40:41], off
	global_load_dwordx4 v[58:61], v[40:41], off offset:2048
	v_or_b32_e32 v44, 64, v52
	v_add_u32_e32 v45, s7, v44
	v_ashrrev_i32_e32 v42, 5, v45
	v_cmp_gt_i32_e32 vcc, s40, v44
	v_or_b32_e32 v40, s29, v54
	v_ashrrev_i32_e32 v41, 31, v40
	v_cndmask_b32_e32 v44, v53, v42, vcc
	v_ashrrev_i32_e32 v45, 31, v44
	v_lshl_add_u64 v[44:45], v[44:45], 2, s[12:13]
	global_load_dword v67, v[44:45], off
	v_and_b32_e32 v42, 16, v0
	s_add_u32 s4, s10, s4
	s_addc_u32 s5, s11, s5
	v_lshlrev_b32_e32 v42, 1, v42
	s_mov_b32 s42, 0xff7fffff
	s_waitcnt vmcnt(7) lgkmcnt(1)
	v_mfma_f32_16x16x16_f16 v[62:65], v[18:19], v[26:27], 0
	v_mfma_f32_16x16x16_f16 v[44:47], v[2:3], v[26:27], 0
	v_lshl_add_u64 v[2:3], v[40:41], 2, s[14:15]
	global_load_dword v41, v[2:3], off
	v_mfma_f32_16x16x16_f16 v[48:51], v[10:11], v[26:27], 0
	v_mfma_f32_16x16x16_f16 v[2:5], v[4:5], v[28:29], v[44:47]
	s_nop 2
	v_or_b32_e32 v45, 0x80, v52
	v_mfma_f32_16x16x16_f16 v[10:13], v[12:13], v[28:29], v[48:51]
	v_or_b32_e32 v46, 0xc0, v52
	v_add_u32_e32 v47, s7, v45
	v_ashrrev_i32_e32 v47, 5, v47
	v_mfma_f32_16x16x16_f16 v[18:21], v[20:21], v[28:29], v[62:65]
	v_add_u32_e32 v48, s7, v46
	v_cmp_gt_i32_e32 vcc, s40, v45
	v_ashrrev_i32_e32 v48, 5, v48
	s_waitcnt vmcnt(7) lgkmcnt(0)
	v_mfma_f32_16x16x16_f16 v[2:5], v[6:7], v[22:23], v[2:5]
	v_cndmask_b32_e32 v6, v53, v47, vcc
	v_cmp_gt_i32_e32 vcc, s40, v46
	v_ashrrev_i32_e32 v7, 31, v6
	s_waitcnt vmcnt(6)
	v_mfma_f32_16x16x16_f16 v[10:13], v[14:15], v[22:23], v[10:13]
	v_cndmask_b32_e32 v14, v53, v48, vcc
	v_lshlrev_b32_e32 v44, 6, v54
	v_ashrrev_i32_e32 v15, 31, v14
	s_waitcnt vmcnt(5)
	v_mfma_f32_16x16x16_f16 v[18:21], v[30:31], v[22:23], v[18:21]
	v_lshl_add_u64 v[6:7], v[6:7], 2, s[12:13]
	v_lshl_add_u64 v[48:49], s[4:5], 0, v[42:43]
	v_lshl_or_b32 v42, v56, 10, v44
	v_mfma_f32_16x16x16_f16 v[44:47], v[8:9], v[24:25], v[2:5]
	s_nop 2
	v_lshl_add_u64 v[2:3], v[14:15], 2, s[12:13]
	global_load_dword v52, v[6:7], off
	global_load_dword v53, v[2:3], off
	v_mfma_f32_16x16x16_f16 v[62:65], v[16:17], v[24:25], v[10:13]
	v_pk_mul_f32 v[50:51], s[6:7], v[46:47] op_sel_hi:[0,1]
	s_waitcnt vmcnt(6)
	v_mad_i64_i32 v[2:3], s[4:5], v66, s45, 0
	v_mfma_f32_16x16x16_f16 v[16:19], v[32:33], v[24:25], v[18:21]
	v_lshl_add_u64 v[10:11], v[48:49], 0, v[42:43]
	s_waitcnt vmcnt(3)
	v_mad_i64_i32 v[12:13], s[4:5], v67, s45, 0
	v_mfma_f32_16x16x16_f16 v[30:33], v[34:35], v[26:27], 0
	v_lshl_add_u64 v[14:15], v[12:13], 1, v[10:11]
	v_pk_mul_f32 v[12:13], s[6:7], v[44:45] op_sel_hi:[0,1]
	s_nop 0
	v_pk_mul_f32 v[42:43], s[6:7], v[18:19] op_sel_hi:[0,1]
	v_mfma_f32_16x16x16_f16 v[26:29], v[36:37], v[28:29], v[30:33]
	v_pk_mul_f32 v[44:45], s[6:7], v[16:17] op_sel_hi:[0,1]
	v_pk_mul_f32 v[46:47], s[6:7], v[64:65] op_sel_hi:[0,1]
	;; [unrolled: 1-line block ×3, first 2 shown]
	v_mfma_f32_16x16x16_f16 v[20:23], v[58:59], v[22:23], v[26:29]
	v_lshl_add_u64 v[2:3], v[2:3], 1, v[10:11]
	global_load_dwordx4 v[6:9], v[2:3], off
	s_nop 0
	global_load_dwordx4 v[2:5], v[2:3], off offset:16
	s_nop 0
	global_load_dwordx4 v[30:33], v[14:15], off
	global_load_dwordx4 v[26:29], v[14:15], off offset:16
	v_mfma_f32_16x16x16_f16 v[16:19], v[60:61], v[24:25], v[20:23]
	s_nop 6
	v_pk_mul_f32 v[36:37], s[6:7], v[16:17] op_sel_hi:[0,1]
	v_and_b32_e32 v16, 0xc0, v0
	v_add_u32_e32 v16, s16, v16
	v_lshl_or_b32 v16, v1, 2, v16
	v_or_b32_e32 v17, 1, v16
	v_pk_mul_f32 v[34:35], s[6:7], v[18:19] op_sel_hi:[0,1]
	v_subrev_u32_e32 v18, s40, v17
	v_add_u32_e32 v20, 1, v18
	v_add_u32_e32 v21, 2, v18
	v_cvt_f32_i32_e32 v19, v18
	v_cvt_f32_i32_e32 v20, v20
	;; [unrolled: 1-line block ×3, first 2 shown]
	v_add_u32_e32 v22, 3, v18
	v_cvt_f32_i32_e32 v22, v22
	v_cmp_gt_i32_e64 s[4:5], s40, v16
	s_waitcnt vmcnt(6)
	v_fma_f32 v12, v41, v19, v12
	v_fmac_f32_e32 v13, v41, v20
	v_fma_f32 v50, v41, v21, v50
	v_add_u32_e32 v19, 16, v18
	v_add_u32_e32 v20, 17, v18
	;; [unrolled: 1-line block ×3, first 2 shown]
	v_cvt_f32_i32_e32 v19, v19
	v_cvt_f32_i32_e32 v20, v20
	;; [unrolled: 1-line block ×3, first 2 shown]
	v_fmac_f32_e32 v51, v41, v22
	v_add_u32_e32 v22, 19, v18
	v_fma_f32 v48, v41, v19, v48
	v_fmac_f32_e32 v49, v41, v20
	v_fma_f32 v46, v41, v21, v46
	v_add_u32_e32 v19, 32, v18
	v_add_u32_e32 v20, 33, v18
	;; [unrolled: 1-line block ×3, first 2 shown]
	v_cvt_f32_i32_e32 v22, v22
	v_cvt_f32_i32_e32 v19, v19
	v_cvt_f32_i32_e32 v20, v20
	v_cvt_f32_i32_e32 v21, v21
	v_fmac_f32_e32 v47, v41, v22
	v_add_u32_e32 v22, 35, v18
	v_fma_f32 v44, v41, v19, v44
	v_fmac_f32_e32 v45, v41, v20
	v_fma_f32 v42, v41, v21, v42
	v_add_u32_e32 v19, 48, v18
	v_add_u32_e32 v20, 49, v18
	;; [unrolled: 1-line block ×4, first 2 shown]
	v_cvt_f32_i32_e32 v18, v18
	v_cvt_f32_i32_e32 v19, v19
	;; [unrolled: 1-line block ×3, first 2 shown]
	v_cmp_gt_i32_e64 s[34:35], s40, v17
	v_fmac_f32_e32 v35, v41, v18
	v_mov_b32_e32 v18, 0xff7fffff
	v_fma_f32 v36, v41, v19, v36
	v_cndmask_b32_e64 v19, v18, v12, s[4:5]
	v_cndmask_b32_e64 v17, v18, v13, s[34:35]
	v_fmac_f32_e32 v37, v41, v20
	v_max3_f32 v17, v19, s42, v17
	v_or_b32_e32 v19, 2, v16
	v_or_b32_e32 v20, 3, v16
	v_cmp_gt_i32_e64 s[36:37], s40, v19
	v_cmp_gt_i32_e64 s[38:39], s40, v20
	v_cvt_f32_i32_e32 v22, v22
	v_cndmask_b32_e64 v19, v18, v50, s[36:37]
	v_cndmask_b32_e64 v20, v18, v51, s[38:39]
	v_max3_f32 v17, v17, v19, v20
	v_or_b32_e32 v19, 16, v16
	v_or_b32_e32 v20, 17, v16
	v_cmp_gt_i32_e64 s[24:25], s40, v19
	v_cmp_gt_i32_e64 s[26:27], s40, v20
	v_fmac_f32_e32 v43, v41, v22
	v_cndmask_b32_e64 v19, v18, v48, s[24:25]
	v_cndmask_b32_e64 v20, v18, v49, s[26:27]
	v_max3_f32 v17, v17, v19, v20
	v_or_b32_e32 v19, 18, v16
	v_or_b32_e32 v20, 19, v16
	v_cmp_gt_i32_e64 s[20:21], s40, v19
	v_cmp_gt_i32_e64 s[22:23], s40, v20
	v_cvt_f32_i32_e32 v21, v21
	v_cndmask_b32_e64 v19, v18, v46, s[20:21]
	v_cndmask_b32_e64 v20, v18, v47, s[22:23]
	v_max3_f32 v17, v17, v19, v20
	v_or_b32_e32 v19, 32, v16
	v_or_b32_e32 v20, 33, v16
	v_cmp_gt_i32_e64 s[16:17], s40, v19
	v_cmp_gt_i32_e64 s[18:19], s40, v20
	v_fma_f32 v34, v41, v21, v34
	v_cndmask_b32_e64 v19, v18, v44, s[16:17]
	v_cndmask_b32_e64 v20, v18, v45, s[18:19]
	v_max3_f32 v17, v17, v19, v20
	v_or_b32_e32 v19, 34, v16
	v_or_b32_e32 v20, 35, v16
	v_cmp_gt_i32_e64 s[12:13], s40, v19
	v_cmp_gt_i32_e64 s[14:15], s40, v20
	s_nop 0
	v_cndmask_b32_e64 v19, v18, v42, s[12:13]
	v_cndmask_b32_e64 v20, v18, v43, s[14:15]
	v_max3_f32 v17, v17, v19, v20
	v_or_b32_e32 v19, 48, v16
	v_or_b32_e32 v20, 49, v16
	v_cmp_gt_i32_e64 s[8:9], s40, v19
	v_cmp_gt_i32_e64 s[10:11], s40, v20
	s_nop 0
	v_cndmask_b32_e64 v19, v18, v36, s[8:9]
	v_cndmask_b32_e64 v20, v18, v37, s[10:11]
	v_max3_f32 v17, v17, v19, v20
	v_or_b32_e32 v19, 50, v16
	v_or_b32_e32 v16, 51, v16
	v_cmp_gt_i32_e32 vcc, s40, v19
	v_cmp_gt_i32_e64 s[6:7], s40, v16
	s_nop 0
	v_cndmask_b32_e32 v19, v18, v34, vcc
	v_cndmask_b32_e64 v16, v18, v35, s[6:7]
	v_max3_f32 v16, v17, v19, v16
	v_mbcnt_lo_u32_b32 v17, -1, 0
	v_mbcnt_hi_u32_b32 v17, -1, v17
	v_and_b32_e32 v18, 64, v17
	v_add_u32_e32 v18, 64, v18
	v_xor_b32_e32 v19, 32, v17
	v_cmp_lt_i32_e64 s[40:41], v19, v18
	s_nop 1
	v_cndmask_b32_e64 v19, v17, v19, s[40:41]
	v_lshlrev_b32_e32 v58, 2, v19
	ds_bpermute_b32 v19, v58, v16
	s_waitcnt vmcnt(5)
	v_mad_i64_i32 v[14:15], s[40:41], v52, s45, 0
	v_lshl_add_u64 v[14:15], v[14:15], 1, v[10:11]
	s_waitcnt lgkmcnt(0)
	v_max_f32_e32 v19, v19, v19
	v_max_f32_e32 v16, v16, v19
	v_xor_b32_e32 v19, 16, v17
	v_cmp_lt_i32_e64 s[40:41], v19, v18
	s_nop 1
	v_cndmask_b32_e64 v17, v17, v19, s[40:41]
	v_lshlrev_b32_e32 v60, 2, v17
	ds_bpermute_b32 v17, v60, v16
	global_load_dwordx4 v[22:25], v[14:15], off
	global_load_dwordx4 v[18:21], v[14:15], off offset:16
	s_waitcnt vmcnt(6)
	v_mad_i64_i32 v[14:15], s[40:41], v53, s45, 0
	v_lshl_add_u64 v[10:11], v[14:15], 1, v[10:11]
	s_waitcnt lgkmcnt(0)
	v_max_f32_e32 v14, v17, v17
	v_max_f32_e32 v41, v16, v14
	v_sub_f32_e32 v12, v12, v41
	v_mul_f32_e32 v12, 0x3fb8aa3b, v12
	v_exp_f32_e32 v52, v12
	v_sub_f32_e32 v12, v13, v41
	v_mul_f32_e32 v12, 0x3fb8aa3b, v12
	v_exp_f32_e32 v53, v12
	global_load_dwordx4 v[14:17], v[10:11], off
	s_nop 0
	global_load_dwordx4 v[10:13], v[10:11], off offset:16
	v_sub_f32_e32 v50, v50, v41
	v_mul_f32_e32 v50, 0x3fb8aa3b, v50
	v_sub_f32_e32 v51, v51, v41
	v_exp_f32_e32 v50, v50
	v_mul_f32_e32 v51, 0x3fb8aa3b, v51
	v_sub_f32_e32 v48, v48, v41
	v_exp_f32_e32 v51, v51
	v_mul_f32_e32 v48, 0x3fb8aa3b, v48
	v_sub_f32_e32 v49, v49, v41
	v_cndmask_b32_e64 v52, 0, v52, s[4:5]
	v_exp_f32_e32 v48, v48
	v_mul_f32_e32 v49, 0x3fb8aa3b, v49
	v_sub_f32_e32 v46, v46, v41
	v_add_f32_e32 v59, 0, v52
	v_cndmask_b32_e64 v53, 0, v53, s[34:35]
	v_exp_f32_e32 v49, v49
	v_mul_f32_e32 v46, 0x3fb8aa3b, v46
	v_sub_f32_e32 v47, v47, v41
	v_add_f32_e32 v59, v59, v53
	v_cndmask_b32_e64 v50, 0, v50, s[36:37]
	v_exp_f32_e32 v46, v46
	v_mul_f32_e32 v47, 0x3fb8aa3b, v47
	v_sub_f32_e32 v44, v44, v41
	v_add_f32_e32 v59, v59, v50
	v_cndmask_b32_e64 v51, 0, v51, s[38:39]
	v_exp_f32_e32 v47, v47
	v_mul_f32_e32 v44, 0x3fb8aa3b, v44
	v_sub_f32_e32 v45, v45, v41
	v_add_f32_e32 v59, v59, v51
	v_cndmask_b32_e64 v48, 0, v48, s[24:25]
	v_exp_f32_e32 v44, v44
	v_mul_f32_e32 v45, 0x3fb8aa3b, v45
	v_sub_f32_e32 v42, v42, v41
	v_add_f32_e32 v59, v59, v48
	v_cndmask_b32_e64 v49, 0, v49, s[26:27]
	v_exp_f32_e32 v45, v45
	v_mul_f32_e32 v42, 0x3fb8aa3b, v42
	v_sub_f32_e32 v43, v43, v41
	v_add_f32_e32 v59, v59, v49
	v_cndmask_b32_e64 v46, 0, v46, s[20:21]
	v_exp_f32_e32 v42, v42
	v_mul_f32_e32 v43, 0x3fb8aa3b, v43
	v_sub_f32_e32 v36, v36, v41
	v_add_f32_e32 v59, v59, v46
	v_cndmask_b32_e64 v47, 0, v47, s[22:23]
	v_exp_f32_e32 v43, v43
	v_mul_f32_e32 v36, 0x3fb8aa3b, v36
	v_sub_f32_e32 v37, v37, v41
	v_add_f32_e32 v59, v59, v47
	v_cndmask_b32_e64 v44, 0, v44, s[16:17]
	v_exp_f32_e32 v36, v36
	v_mul_f32_e32 v37, 0x3fb8aa3b, v37
	v_sub_f32_e32 v34, v34, v41
	v_add_f32_e32 v59, v59, v44
	v_cndmask_b32_e64 v45, 0, v45, s[18:19]
	v_exp_f32_e32 v37, v37
	v_mul_f32_e32 v34, 0x3fb8aa3b, v34
	v_sub_f32_e32 v35, v35, v41
	v_add_f32_e32 v59, v59, v45
	v_cndmask_b32_e64 v42, 0, v42, s[12:13]
	v_exp_f32_e32 v34, v34
	v_mul_f32_e32 v35, 0x3fb8aa3b, v35
	v_add_f32_e32 v59, v59, v42
	v_cndmask_b32_e64 v43, 0, v43, s[14:15]
	v_exp_f32_e32 v35, v35
	v_add_f32_e32 v59, v59, v43
	v_cndmask_b32_e64 v36, 0, v36, s[8:9]
	v_add_f32_e32 v59, v59, v36
	v_cndmask_b32_e64 v37, 0, v37, s[10:11]
	v_add_f32_e32 v59, v59, v37
	v_cndmask_b32_e32 v34, 0, v34, vcc
	v_add_f32_e32 v59, v59, v34
	v_cndmask_b32_e64 v35, 0, v35, s[6:7]
	v_add_f32_e32 v59, v59, v35
	ds_bpermute_b32 v58, v58, v59
	v_cmp_gt_u32_e32 vcc, 16, v57
	s_waitcnt lgkmcnt(0)
	s_barrier
	v_add_f32_e32 v59, v59, v58
	ds_bpermute_b32 v60, v60, v59
	v_lshlrev_b32_e32 v58, 2, v54
	s_and_saveexec_b64 s[4:5], vcc
	s_cbranch_execz .LBB127_15
; %bb.14:
	s_waitcnt lgkmcnt(0)
	v_add_f32_e32 v57, v59, v60
	v_lshl_or_b32 v59, v56, 6, v58
	ds_write2st64_b32 v59, v41, v57 offset1:1
.LBB127_15:
	s_or_b64 exec, exec, s[4:5]
	s_load_dword s6, s[0:1], 0x94
	s_waitcnt lgkmcnt(0)
	s_barrier
	ds_read2_b32 v[60:61], v58 offset1:16
	ds_read2_b32 v[62:63], v58 offset0:32 offset1:48
	ds_read2_b32 v[64:65], v58 offset0:64 offset1:80
	s_lshl_b32 s7, s33, 4
	s_waitcnt lgkmcnt(2)
	v_max3_f32 v41, v60, s42, v61
	s_waitcnt lgkmcnt(1)
	v_max3_f32 v57, v41, v62, v63
	v_sub_f32_e32 v41, v60, v57
	v_mul_f32_e32 v41, 0x3fb8aa3b, v41
	v_sub_f32_e32 v59, v61, v57
	v_sub_f32_e32 v60, v62, v57
	v_exp_f32_e32 v41, v41
	v_mul_f32_e32 v59, 0x3fb8aa3b, v59
	v_mul_f32_e32 v60, 0x3fb8aa3b, v60
	v_exp_f32_e32 v59, v59
	v_exp_f32_e32 v62, v60
	ds_read2_b32 v[60:61], v58 offset0:96 offset1:112
	v_sub_f32_e32 v58, v63, v57
	v_mul_f32_e32 v58, 0x3fb8aa3b, v58
	v_exp_f32_e32 v63, v58
	s_waitcnt lgkmcnt(1)
	v_fma_f32 v58, v41, v64, 0
	v_fmac_f32_e32 v58, v59, v65
	s_waitcnt lgkmcnt(0)
	v_fmac_f32_e32 v58, v62, v60
	v_fmac_f32_e32 v58, v63, v61
	v_add_f32_e32 v60, 0x358637bd, v58
	v_div_scale_f32 v61, s[4:5], v60, v60, 1.0
	v_rcp_f32_e32 v64, v61
	s_barrier
	v_fma_f32 v65, -v61, v64, 1.0
	v_fmac_f32_e32 v64, v65, v64
	v_div_scale_f32 v65, vcc, 1.0, v60, 1.0
	v_mul_f32_e32 v66, v65, v64
	v_fma_f32 v67, -v61, v66, v65
	v_fmac_f32_e32 v66, v67, v64
	v_fma_f32 v61, -v61, v66, v65
	v_div_fmas_f32 v61, v61, v64, v66
	v_cmp_eq_u32_e32 vcc, 1, v56
	v_div_fixup_f32 v60, v61, v60, 1.0
	s_nop 0
	v_cndmask_b32_e32 v41, v41, v59, vcc
	v_cmp_eq_u32_e32 vcc, 2, v56
	s_nop 1
	v_cndmask_b32_e32 v41, v41, v62, vcc
	v_cmp_eq_u32_e32 vcc, 3, v56
	s_nop 1
	v_cndmask_b32_e32 v41, v41, v63, vcc
	v_mul_f32_e32 v60, v41, v60
	v_pk_mul_f32 v[50:51], v[60:61], v[50:51] op_sel_hi:[0,1]
	v_pk_mul_f32 v[52:53], v[60:61], v[52:53] op_sel_hi:[0,1]
	v_cvt_f16_f32_e32 v41, v52
	v_cvt_f16_f32_e32 v52, v53
	;; [unrolled: 1-line block ×4, first 2 shown]
	v_pk_mul_f32 v[46:47], v[60:61], v[46:47] op_sel_hi:[0,1]
	v_pk_mul_f32 v[48:49], v[60:61], v[48:49] op_sel_hi:[0,1]
	v_cvt_f16_f32_e32 v48, v48
	v_pack_b32_f16 v51, v53, v51
	v_cvt_f16_f32_e32 v49, v49
	v_cvt_f16_f32_e32 v53, v46
	;; [unrolled: 1-line block ×3, first 2 shown]
	v_pack_b32_f16 v50, v41, v52
	v_lshlrev_b32_e32 v41, 3, v1
	v_lshlrev_b32_e32 v52, 5, v54
	;; [unrolled: 1-line block ×3, first 2 shown]
	v_pk_mul_f32 v[42:43], v[60:61], v[42:43] op_sel_hi:[0,1]
	v_pk_mul_f32 v[44:45], v[60:61], v[44:45] op_sel_hi:[0,1]
	;; [unrolled: 1-line block ×4, first 2 shown]
	v_or3_b32 v46, v46, v52, v41
	v_pack_b32_f16 v48, v48, v49
	v_pack_b32_f16 v49, v53, v47
	v_cvt_f16_f32_e32 v41, v44
	v_cvt_f16_f32_e32 v44, v45
	;; [unrolled: 1-line block ×8, first 2 shown]
	v_pack_b32_f16 v34, v41, v44
	v_pack_b32_f16 v35, v42, v43
	;; [unrolled: 1-line block ×4, first 2 shown]
	v_cmp_gt_u32_e32 vcc, 16, v0
	ds_write2st64_b64 v46, v[50:51], v[48:49] offset1:1
	ds_write2st64_b64 v46, v[34:35], v[36:37] offset0:2 offset1:3
	s_and_saveexec_b64 s[4:5], vcc
	s_cbranch_execz .LBB127_17
; %bb.16:
	v_mov_b32_e32 v41, 0
	v_mov_b32_e32 v34, s7
	s_mul_i32 s3, s3, s7
	v_mad_u64_u32 v[34:35], s[12:13], s2, v34, v[40:41]
	v_mov_b32_e32 v40, s28
	s_load_dwordx4 s[8:11], s[0:1], 0x58
	v_add_u32_e32 v37, s3, v35
	v_mad_u64_u32 v[34:35], s[12:13], v34, s6, v[40:41]
	v_mov_b32_e32 v36, v35
	v_mad_u64_u32 v[36:37], s[12:13], v37, s6, v[36:37]
	v_mov_b32_e32 v35, v36
	v_lshlrev_b64 v[34:35], 2, v[34:35]
	s_waitcnt lgkmcnt(0)
	v_lshl_add_u64 v[36:37], s[10:11], 0, v[34:35]
	v_lshl_add_u64 v[34:35], s[8:9], 0, v[34:35]
	global_store_dword v[36:37], v57, off
	global_store_dword v[34:35], v58, off
.LBB127_17:
	s_or_b64 exec, exec, s[4:5]
	s_waitcnt lgkmcnt(0)
	s_barrier
	ds_read_b128 v[34:37], v55
	ds_read_b128 v[40:43], v55 offset:16
	s_waitcnt vmcnt(7) lgkmcnt(1)
	v_mfma_f32_16x16x16_f16 v[48:51], v[6:7], v[34:35], 0
	v_cmp_gt_u32_e32 vcc, 64, v0
	s_mov_b32 s3, 0
	s_and_b64 s[4:5], vcc, s[30:31]
	v_mfma_f32_16x16x16_f16 v[6:9], v[8:9], v[36:37], v[48:51]
	s_waitcnt vmcnt(6) lgkmcnt(0)
	v_mfma_f32_16x16x16_f16 v[6:9], v[2:3], v[40:41], v[6:9]
	v_mfma_f32_16x16x16_f16 v[2:5], v[4:5], v[42:43], v[6:9]
	s_nop 5
	ds_read_b128 v[6:9], v55 offset:2048
	ds_read_b128 v[34:37], v55 offset:2064
	s_waitcnt vmcnt(5) lgkmcnt(1)
	v_mfma_f32_16x16x16_f16 v[2:5], v[30:31], v[6:7], v[2:5]
	v_mfma_f32_16x16x16_f16 v[2:5], v[32:33], v[8:9], v[2:5]
	s_waitcnt vmcnt(4) lgkmcnt(0)
	v_mfma_f32_16x16x16_f16 v[2:5], v[26:27], v[34:35], v[2:5]
	v_mfma_f32_16x16x16_f16 v[2:5], v[28:29], v[36:37], v[2:5]
	ds_read_b128 v[6:9], v55 offset:4096
	ds_read_b128 v[26:29], v55 offset:4112
	s_waitcnt vmcnt(3) lgkmcnt(1)
	v_mfma_f32_16x16x16_f16 v[2:5], v[22:23], v[6:7], v[2:5]
	v_mfma_f32_16x16x16_f16 v[2:5], v[24:25], v[8:9], v[2:5]
	s_waitcnt vmcnt(2) lgkmcnt(0)
	v_mfma_f32_16x16x16_f16 v[2:5], v[18:19], v[26:27], v[2:5]
	v_mfma_f32_16x16x16_f16 v[2:5], v[20:21], v[28:29], v[2:5]
	ds_read_b128 v[6:9], v55 offset:6144
	ds_read_b128 v[18:21], v55 offset:6160
	s_waitcnt lgkmcnt(0)
	s_barrier
	s_waitcnt vmcnt(1)
	v_mfma_f32_16x16x16_f16 v[2:5], v[14:15], v[6:7], v[2:5]
	v_mfma_f32_16x16x16_f16 v[2:5], v[16:17], v[8:9], v[2:5]
	s_waitcnt vmcnt(0)
	v_mfma_f32_16x16x16_f16 v[2:5], v[10:11], v[18:19], v[2:5]
	v_mfma_f32_16x16x16_f16 v[2:5], v[12:13], v[20:21], v[2:5]
	s_nop 6
	v_cvt_f16_f32_e32 v2, v2
	v_cvt_f16_f32_e32 v3, v3
	;; [unrolled: 1-line block ×4, first 2 shown]
	v_pack_b32_f16 v2, v2, v3
	v_pack_b32_f16 v3, v4, v5
	ds_write_b64 v46, v[2:3]
	s_waitcnt lgkmcnt(0)
	s_barrier
	s_and_saveexec_b64 s[8:9], s[4:5]
	s_cbranch_execz .LBB127_19
; %bb.18:
	s_load_dwordx2 s[0:1], s[0:1], 0x68
	s_lshl_b32 s6, s6, 6
	s_mul_i32 s2, s7, s2
	s_mul_hi_u32 s5, s2, s6
	s_mul_i32 s4, s2, s6
	s_lshl_b64 s[4:5], s[4:5], 1
	s_waitcnt lgkmcnt(0)
	s_add_u32 s4, s0, s4
	s_addc_u32 s5, s1, s5
	s_lshl_b32 s2, s28, 6
	v_lshlrev_b32_e32 v2, 10, v0
	v_lshlrev_b32_e32 v0, 4, v0
	s_lshl_b64 s[0:1], s[2:3], 1
	v_and_b32_e32 v2, 0x1800, v2
	v_lshlrev_b32_e32 v3, 5, v1
	v_and_b32_e32 v0, 16, v0
	s_add_u32 s0, s4, s0
	v_or3_b32 v0, v2, v3, v0
	s_addc_u32 s1, s5, s1
	v_or_b32_e32 v20, s29, v1
	ds_read_b128 v[2:5], v0
	ds_read_b128 v[6:9], v0 offset:128
	ds_read_b128 v[10:13], v0 offset:256
	;; [unrolled: 1-line block ×3, first 2 shown]
	v_lshl_add_u64 v[18:19], v[38:39], 1, s[0:1]
	v_mad_u64_u32 v[0:1], s[0:1], v20, s6, 0
	v_lshl_add_u64 v[0:1], v[0:1], 1, v[18:19]
	s_waitcnt lgkmcnt(3)
	global_store_dwordx4 v[0:1], v[2:5], off
	v_or_b32_e32 v0, 4, v20
	v_mad_u64_u32 v[0:1], s[0:1], v0, s6, 0
	v_lshl_add_u64 v[0:1], v[0:1], 1, v[18:19]
	s_waitcnt lgkmcnt(2)
	global_store_dwordx4 v[0:1], v[6:9], off
	v_or_b32_e32 v0, 8, v20
	;; [unrolled: 5-line block ×3, first 2 shown]
	v_mad_u64_u32 v[0:1], s[0:1], v0, s6, 0
	v_lshl_add_u64 v[0:1], v[0:1], 1, v[18:19]
	s_waitcnt lgkmcnt(0)
	global_store_dwordx4 v[0:1], v[14:17], off
.LBB127_19:
	s_endpgm
	.section	.rodata,"a",@progbits
	.p2align	6, 0x0
	.amdhsa_kernel _Z39paged_attention_ll4mi_QKV_mfma16_kernelIDF16_DF16_LN4vllm18Fp8KVCacheDataTypeE0EhLi32ELi64ELi256ELb1ELi16EEvPKT_PKT0_S7_ifPKiS9_S9_iPKfiiiPfSC_PS2_PT2_iSB_SB_
		.amdhsa_group_segment_fixed_size 8192
		.amdhsa_private_segment_fixed_size 0
		.amdhsa_kernarg_size 400
		.amdhsa_user_sgpr_count 2
		.amdhsa_user_sgpr_dispatch_ptr 0
		.amdhsa_user_sgpr_queue_ptr 0
		.amdhsa_user_sgpr_kernarg_segment_ptr 1
		.amdhsa_user_sgpr_dispatch_id 0
		.amdhsa_user_sgpr_kernarg_preload_length 0
		.amdhsa_user_sgpr_kernarg_preload_offset 0
		.amdhsa_user_sgpr_private_segment_size 0
		.amdhsa_uses_dynamic_stack 0
		.amdhsa_enable_private_segment 0
		.amdhsa_system_sgpr_workgroup_id_x 1
		.amdhsa_system_sgpr_workgroup_id_y 1
		.amdhsa_system_sgpr_workgroup_id_z 1
		.amdhsa_system_sgpr_workgroup_info 0
		.amdhsa_system_vgpr_workitem_id 0
		.amdhsa_next_free_vgpr 68
		.amdhsa_next_free_sgpr 48
		.amdhsa_accum_offset 68
		.amdhsa_reserve_vcc 1
		.amdhsa_float_round_mode_32 0
		.amdhsa_float_round_mode_16_64 0
		.amdhsa_float_denorm_mode_32 3
		.amdhsa_float_denorm_mode_16_64 3
		.amdhsa_dx10_clamp 1
		.amdhsa_ieee_mode 1
		.amdhsa_fp16_overflow 0
		.amdhsa_tg_split 0
		.amdhsa_exception_fp_ieee_invalid_op 0
		.amdhsa_exception_fp_denorm_src 0
		.amdhsa_exception_fp_ieee_div_zero 0
		.amdhsa_exception_fp_ieee_overflow 0
		.amdhsa_exception_fp_ieee_underflow 0
		.amdhsa_exception_fp_ieee_inexact 0
		.amdhsa_exception_int_div_zero 0
	.end_amdhsa_kernel
	.section	.text._Z39paged_attention_ll4mi_QKV_mfma16_kernelIDF16_DF16_LN4vllm18Fp8KVCacheDataTypeE0EhLi32ELi64ELi256ELb1ELi16EEvPKT_PKT0_S7_ifPKiS9_S9_iPKfiiiPfSC_PS2_PT2_iSB_SB_,"axG",@progbits,_Z39paged_attention_ll4mi_QKV_mfma16_kernelIDF16_DF16_LN4vllm18Fp8KVCacheDataTypeE0EhLi32ELi64ELi256ELb1ELi16EEvPKT_PKT0_S7_ifPKiS9_S9_iPKfiiiPfSC_PS2_PT2_iSB_SB_,comdat
.Lfunc_end127:
	.size	_Z39paged_attention_ll4mi_QKV_mfma16_kernelIDF16_DF16_LN4vllm18Fp8KVCacheDataTypeE0EhLi32ELi64ELi256ELb1ELi16EEvPKT_PKT0_S7_ifPKiS9_S9_iPKfiiiPfSC_PS2_PT2_iSB_SB_, .Lfunc_end127-_Z39paged_attention_ll4mi_QKV_mfma16_kernelIDF16_DF16_LN4vllm18Fp8KVCacheDataTypeE0EhLi32ELi64ELi256ELb1ELi16EEvPKT_PKT0_S7_ifPKiS9_S9_iPKfiiiPfSC_PS2_PT2_iSB_SB_
                                        ; -- End function
	.section	.AMDGPU.csdata,"",@progbits
; Kernel info:
; codeLenInByte = 4176
; NumSgprs: 54
; NumVgprs: 68
; NumAgprs: 0
; TotalNumVgprs: 68
; ScratchSize: 0
; MemoryBound: 0
; FloatMode: 240
; IeeeMode: 1
; LDSByteSize: 8192 bytes/workgroup (compile time only)
; SGPRBlocks: 6
; VGPRBlocks: 8
; NumSGPRsForWavesPerEU: 54
; NumVGPRsForWavesPerEU: 68
; AccumOffset: 68
; Occupancy: 7
; WaveLimiterHint : 1
; COMPUTE_PGM_RSRC2:SCRATCH_EN: 0
; COMPUTE_PGM_RSRC2:USER_SGPR: 2
; COMPUTE_PGM_RSRC2:TRAP_HANDLER: 0
; COMPUTE_PGM_RSRC2:TGID_X_EN: 1
; COMPUTE_PGM_RSRC2:TGID_Y_EN: 1
; COMPUTE_PGM_RSRC2:TGID_Z_EN: 1
; COMPUTE_PGM_RSRC2:TIDIG_COMP_CNT: 0
; COMPUTE_PGM_RSRC3_GFX90A:ACCUM_OFFSET: 16
; COMPUTE_PGM_RSRC3_GFX90A:TG_SPLIT: 0
	.section	.text._Z39paged_attention_ll4mi_QKV_mfma16_kernelIDF16_DF16_LN4vllm18Fp8KVCacheDataTypeE0EhLi32ELi64ELi256ELb1ELi1EEvPKT_PKT0_S7_ifPKiS9_S9_iPKfiiiPfSC_PS2_PT2_iSB_SB_,"axG",@progbits,_Z39paged_attention_ll4mi_QKV_mfma16_kernelIDF16_DF16_LN4vllm18Fp8KVCacheDataTypeE0EhLi32ELi64ELi256ELb1ELi1EEvPKT_PKT0_S7_ifPKiS9_S9_iPKfiiiPfSC_PS2_PT2_iSB_SB_,comdat
	.protected	_Z39paged_attention_ll4mi_QKV_mfma16_kernelIDF16_DF16_LN4vllm18Fp8KVCacheDataTypeE0EhLi32ELi64ELi256ELb1ELi1EEvPKT_PKT0_S7_ifPKiS9_S9_iPKfiiiPfSC_PS2_PT2_iSB_SB_ ; -- Begin function _Z39paged_attention_ll4mi_QKV_mfma16_kernelIDF16_DF16_LN4vllm18Fp8KVCacheDataTypeE0EhLi32ELi64ELi256ELb1ELi1EEvPKT_PKT0_S7_ifPKiS9_S9_iPKfiiiPfSC_PS2_PT2_iSB_SB_
	.globl	_Z39paged_attention_ll4mi_QKV_mfma16_kernelIDF16_DF16_LN4vllm18Fp8KVCacheDataTypeE0EhLi32ELi64ELi256ELb1ELi1EEvPKT_PKT0_S7_ifPKiS9_S9_iPKfiiiPfSC_PS2_PT2_iSB_SB_
	.p2align	8
	.type	_Z39paged_attention_ll4mi_QKV_mfma16_kernelIDF16_DF16_LN4vllm18Fp8KVCacheDataTypeE0EhLi32ELi64ELi256ELb1ELi1EEvPKT_PKT0_S7_ifPKiS9_S9_iPKfiiiPfSC_PS2_PT2_iSB_SB_,@function
_Z39paged_attention_ll4mi_QKV_mfma16_kernelIDF16_DF16_LN4vllm18Fp8KVCacheDataTypeE0EhLi32ELi64ELi256ELb1ELi1EEvPKT_PKT0_S7_ifPKiS9_S9_iPKfiiiPfSC_PS2_PT2_iSB_SB_: ; @_Z39paged_attention_ll4mi_QKV_mfma16_kernelIDF16_DF16_LN4vllm18Fp8KVCacheDataTypeE0EhLi32ELi64ELi256ELb1ELi1EEvPKT_PKT0_S7_ifPKiS9_S9_iPKfiiiPfSC_PS2_PT2_iSB_SB_
; %bb.0:
	s_load_dwordx2 s[6:7], s[0:1], 0x30
	s_mov_b32 s30, s3
	s_mov_b64 s[10:11], 0
	s_waitcnt lgkmcnt(0)
	s_cmp_lg_u64 s[6:7], 0
	s_cselect_b64 s[8:9], -1, 0
	s_and_b64 vcc, exec, s[8:9]
	s_cbranch_vccz .LBB128_7
; %bb.1:
	s_add_i32 s12, s2, 1
	s_mov_b32 s13, 0
	s_lshl_b64 s[14:15], s[12:13], 2
	s_add_u32 s14, s6, s14
	s_mov_b32 s3, s13
	s_addc_u32 s15, s7, s15
	s_lshl_b64 s[12:13], s[2:3], 2
	s_add_u32 s12, s6, s12
	s_addc_u32 s13, s7, s13
	s_load_dword s5, s[14:15], 0x0
	s_load_dword s16, s[12:13], 0x0
	s_waitcnt lgkmcnt(0)
	s_sub_i32 s5, s5, s16
	s_cmp_eq_u32 s5, 1
	s_cselect_b64 s[12:13], -1, 0
	s_andn2_b64 vcc, exec, s[10:11]
	s_cbranch_vccnz .LBB128_3
.LBB128_2:
	s_mov_b32 s3, 0
	s_mov_b64 s[12:13], -1
.LBB128_3:
	s_andn2_b64 vcc, exec, s[12:13]
	s_cbranch_vccnz .LBB128_21
; %bb.4:
	s_load_dwordx2 s[10:11], s[0:1], 0x28
	s_lshl_b64 s[12:13], s[2:3], 2
	s_waitcnt lgkmcnt(0)
	s_add_u32 s10, s10, s12
	s_addc_u32 s11, s11, s13
	s_load_dword s31, s[10:11], 0x0
	s_lshl_b32 s16, s30, 8
	s_waitcnt lgkmcnt(0)
	s_cmp_ge_i32 s16, s31
	s_cbranch_scc1 .LBB128_21
; %bb.5:
	s_load_dwordx2 s[10:11], s[0:1], 0x20
	s_load_dword s5, s[0:1], 0x38
	s_add_i32 s14, s31, 31
	s_ashr_i32 s15, s14, 31
	v_and_b32_e32 v1, 0xcf, v0
	s_lshr_b32 s15, s15, 27
	v_add_u32_e32 v1, s16, v1
	s_add_i32 s14, s14, s15
	v_ashrrev_i32_e32 v2, 31, v1
	s_ashr_i32 s17, s14, 5
	v_lshrrev_b32_e32 v6, 27, v2
	s_add_i32 s17, s17, -1
	s_waitcnt lgkmcnt(0)
	s_mul_i32 s14, s2, s5
	s_mov_b32 s15, 0
	v_add_u32_e32 v2, v1, v6
	s_lshl_b64 s[14:15], s[14:15], 2
	v_ashrrev_i32_e32 v2, 5, v2
	v_mov_b32_e32 v7, s17
	v_cmp_gt_i32_e32 vcc, s31, v1
	s_add_u32 s10, s10, s14
	s_addc_u32 s11, s11, s15
	v_cndmask_b32_e32 v2, v7, v2, vcc
	v_ashrrev_i32_e32 v3, 31, v2
	v_lshl_add_u64 v[4:5], v[2:3], 2, s[10:11]
	v_or_b32_e32 v2, 16, v1
	v_add_u32_e32 v3, v2, v6
	v_ashrrev_i32_e32 v3, 5, v3
	v_cmp_gt_i32_e32 vcc, s31, v2
	s_nop 1
	v_cndmask_b32_e32 v2, v7, v3, vcc
	v_ashrrev_i32_e32 v3, 31, v2
	v_lshl_add_u64 v[8:9], v[2:3], 2, s[10:11]
	v_or_b32_e32 v2, 32, v1
	v_add_u32_e32 v3, v2, v6
	v_ashrrev_i32_e32 v3, 5, v3
	v_cmp_gt_i32_e32 vcc, s31, v2
	v_or_b32_e32 v1, 48, v1
	s_nop 0
	v_cndmask_b32_e32 v2, v7, v3, vcc
	v_ashrrev_i32_e32 v3, 31, v2
	v_lshl_add_u64 v[12:13], v[2:3], 2, s[10:11]
	v_add_u32_e32 v2, v1, v6
	v_ashrrev_i32_e32 v2, 5, v2
	v_cmp_gt_i32_e32 vcc, s31, v1
	s_nop 1
	v_cndmask_b32_e32 v2, v7, v2, vcc
	v_ashrrev_i32_e32 v3, 31, v2
	v_lshl_add_u64 v[16:17], v[2:3], 2, s[10:11]
	global_load_dword v2, v[4:5], off
	global_load_dword v6, v[8:9], off
	;; [unrolled: 1-line block ×4, first 2 shown]
	s_andn2_b64 vcc, exec, s[8:9]
	s_cbranch_vccnz .LBB128_8
; %bb.6:
	s_add_u32 s6, s6, s12
	s_addc_u32 s7, s7, s13
	s_load_dword s5, s[6:7], 0x0
	s_branch .LBB128_9
.LBB128_7:
	s_mov_b64 s[12:13], 0
	s_branch .LBB128_2
.LBB128_8:
	s_mov_b32 s5, s2
.LBB128_9:
	s_load_dwordx2 s[14:15], s[0:1], 0x8
	s_load_dwordx4 s[44:47], s[0:1], 0x48
	v_lshrrev_b32_e32 v52, 6, v0
	v_bfe_u32 v1, v0, 4, 2
	v_lshl_or_b32 v3, v52, 2, v1
	v_and_b32_e32 v53, 15, v0
	v_cmp_ne_u32_e32 vcc, 0, v3
	v_cmp_lt_u32_e64 s[8:9], 7, v53
	v_lshlrev_b32_e32 v42, 3, v53
	v_cmp_gt_u32_e64 s[6:7], 8, v53
	s_or_b64 s[8:9], s[8:9], vcc
	s_and_saveexec_b64 s[12:13], s[8:9]
	s_xor_b64 s[8:9], exec, s[12:13]
; %bb.10:
	v_mov_b32_e32 v43, 0
; %bb.11:
	s_or_saveexec_b64 s[12:13], s[8:9]
	s_load_dwordx2 s[8:9], s[0:1], 0x10
	s_xor_b64 exec, exec, s[12:13]
	s_cbranch_execz .LBB128_13
; %bb.12:
	s_load_dwordx2 s[18:19], s[0:1], 0x0
	s_waitcnt lgkmcnt(0)
	s_ashr_i32 s20, s44, 31
	s_mul_hi_u32 s21, s5, s44
	s_mul_i32 s20, s5, s20
	s_add_i32 s21, s21, s20
	s_mul_i32 s20, s5, s44
	s_lshl_b64 s[20:21], s[20:21], 1
	s_add_u32 s5, s18, s20
	s_addc_u32 s20, s19, s21
	s_lshl_b32 s18, s4, 6
	s_ashr_i32 s19, s18, 31
	s_lshl_b64 s[18:19], s[18:19], 1
	s_add_u32 s18, s5, s18
	s_addc_u32 s19, s20, s19
	v_lshlrev_b32_e32 v3, 1, v42
	global_load_dwordx4 v[16:19], v3, s[18:19]
	v_and_b32_e32 v3, 3, v0
	v_lshlrev_b32_e32 v4, 9, v53
	v_lshlrev_b32_e32 v3, 9, v3
	s_movk_i32 s5, 0x1800
	v_mov_b32_e32 v43, 0
	v_and_or_b32 v3, v4, s5, v3
	s_waitcnt vmcnt(0)
	ds_write_b128 v3, v[16:19]
.LBB128_13:
	s_or_b64 exec, exec, s[12:13]
	s_waitcnt lgkmcnt(0)
	s_mul_i32 s12, s4, s46
	s_mov_b32 s13, 0
	s_lshl_b64 s[12:13], s[12:13], 1
	s_add_u32 s14, s14, s12
	s_addc_u32 s15, s15, s13
	s_waitcnt vmcnt(3)
	v_mad_i64_i32 v[2:3], s[18:19], v2, s45, 0
	v_lshl_add_u64 v[2:3], v[2:3], 1, s[14:15]
	v_lshlrev_b64 v[12:13], 1, v[42:43]
	v_lshlrev_b32_e32 v44, 9, v1
	v_lshl_add_u64 v[2:3], v[2:3], 0, v[12:13]
	v_mov_b32_e32 v45, 0
	v_lshl_add_u64 v[8:9], v[2:3], 0, v[44:45]
	s_barrier
	global_load_dwordx4 v[22:25], v[8:9], off
	global_load_dwordx4 v[2:5], v[8:9], off offset:2048
	s_waitcnt vmcnt(4)
	v_mad_i64_i32 v[6:7], s[18:19], v6, s45, 0
	v_mov_b32_e32 v8, 0x100
	v_lshl_add_u64 v[6:7], v[6:7], 1, s[14:15]
	v_lshl_or_b32 v16, v53, 4, v8
	v_mov_b32_e32 v17, v45
	s_waitcnt vmcnt(3)
	v_mad_i64_i32 v[10:11], s[18:19], v10, s45, 0
	v_lshl_add_u64 v[6:7], v[6:7], 0, v[16:17]
	v_lshl_add_u64 v[10:11], v[10:11], 1, s[14:15]
	s_waitcnt vmcnt(2)
	v_mad_i64_i32 v[14:15], s[18:19], v14, s45, 0
	v_lshl_add_u64 v[18:19], v[6:7], 0, v[44:45]
	v_lshl_add_u64 v[10:11], v[10:11], 0, v[12:13]
	;; [unrolled: 1-line block ×3, first 2 shown]
	global_load_dwordx4 v[26:29], v[18:19], off
	global_load_dwordx4 v[6:9], v[18:19], off offset:2048
	v_lshl_add_u64 v[18:19], v[10:11], 0, v[44:45]
	v_lshl_add_u64 v[14:15], v[14:15], 0, v[16:17]
	global_load_dwordx4 v[30:33], v[18:19], off
	global_load_dwordx4 v[10:13], v[18:19], off offset:2048
	v_lshl_add_u64 v[18:19], v[14:15], 0, v[44:45]
	global_load_dwordx4 v[34:37], v[18:19], off
	global_load_dwordx4 v[14:17], v[18:19], off offset:2048
	ds_read_b128 v[38:41], v44
	ds_read_b128 v[18:21], v44 offset:2048
	v_and_b32_e32 v54, 63, v0
	v_cmp_eq_u32_e32 vcc, 0, v53
	v_mov_b32_e32 v48, 0
	s_and_saveexec_b64 s[14:15], vcc
	s_cbranch_execz .LBB128_15
; %bb.14:
	s_load_dwordx2 s[18:19], s[0:1], 0x40
	s_ashr_i32 s5, s4, 31
	s_lshl_b64 s[20:21], s[4:5], 2
	s_waitcnt lgkmcnt(0)
	s_add_u32 s18, s18, s20
	s_addc_u32 s19, s19, s21
	s_load_dword s5, s[18:19], 0x0
	s_waitcnt lgkmcnt(0)
	v_mov_b32_e32 v48, s5
.LBB128_15:
	s_or_b64 exec, exec, s[14:15]
	s_ashr_i32 s5, s16, 31
	v_and_or_b32 v44, v0, 48, s16
	s_lshr_b32 s5, s5, 27
	v_add_u32_e32 v46, s5, v44
	v_or_b32_e32 v50, 64, v44
	v_ashrrev_i32_e32 v46, 5, v46
	v_mov_b32_e32 v49, s17
	v_cmp_gt_i32_e32 vcc, s31, v44
	v_add_u32_e32 v51, s5, v50
	s_waitcnt vmcnt(7) lgkmcnt(1)
	v_mfma_f32_16x16x16_f16 v[56:59], v[22:23], v[38:39], 0
	v_cndmask_b32_e32 v46, v49, v46, vcc
	v_ashrrev_i32_e32 v22, 5, v51
	v_cmp_gt_i32_e32 vcc, s31, v50
	v_ashrrev_i32_e32 v47, 31, v46
	v_lshl_add_u64 v[46:47], v[46:47], 2, s[10:11]
	v_cndmask_b32_e32 v22, v49, v22, vcc
	v_ashrrev_i32_e32 v23, 31, v22
	v_lshl_add_u64 v[22:23], v[22:23], 2, s[10:11]
	global_load_dword v55, v[46:47], off
	global_load_dword v72, v[22:23], off
	s_waitcnt vmcnt(3)
	v_mfma_f32_16x16x16_f16 v[68:71], v[34:35], v[38:39], 0
	v_or_b32_e32 v46, 0xc0, v44
	v_add_u32_e32 v50, s5, v46
	s_add_u32 s8, s8, s12
	v_mfma_f32_16x16x16_f16 v[60:63], v[26:27], v[38:39], 0
	s_addc_u32 s9, s9, s13
	s_load_dword s14, s[0:1], 0x1c
	v_mfma_f32_16x16x16_f16 v[64:67], v[30:31], v[38:39], 0
	v_and_b32_e32 v31, 0xc0, v0
	v_or_b32_e32 v38, 0x80, v44
	v_add_u32_e32 v34, s16, v31
	v_mfma_f32_16x16x16_f16 v[22:25], v[24:25], v[40:41], v[56:59]
	v_and_b32_e32 v30, 16, v0
	v_add_u32_e32 v47, s5, v38
	v_lshlrev_b32_e32 v44, 1, v30
	v_lshl_or_b32 v56, v1, 2, v34
	v_mfma_f32_16x16x16_f16 v[34:37], v[36:37], v[40:41], v[68:71]
	v_cmp_gt_i32_e32 vcc, s31, v38
	v_lshlrev_b32_e32 v39, 6, v53
	v_or_b32_e32 v57, 1, v56
	v_mfma_f32_16x16x16_f16 v[26:29], v[28:29], v[40:41], v[60:63]
	v_cmp_gt_i32_e64 s[34:35], s31, v56
	v_cmp_gt_i32_e64 s[36:37], s31, v57
	s_mov_b32 s5, 0xff7fffff
	v_mfma_f32_16x16x16_f16 v[30:33], v[32:33], v[40:41], v[64:67]
	v_ashrrev_i32_e32 v40, 5, v47
	v_ashrrev_i32_e32 v41, 5, v50
	v_cndmask_b32_e32 v38, v49, v40, vcc
	v_cmp_gt_i32_e32 vcc, s31, v46
	s_waitcnt lgkmcnt(0)
	v_mfma_f32_16x16x16_f16 v[22:25], v[2:3], v[18:19], v[22:25]
	v_lshl_add_u64 v[2:3], s[8:9], 0, v[44:45]
	v_cndmask_b32_e32 v40, v49, v41, vcc
	v_lshl_or_b32 v44, v52, 10, v39
	v_ashrrev_i32_e32 v39, 31, v38
	v_ashrrev_i32_e32 v41, 31, v40
	s_waitcnt vmcnt(2)
	v_mfma_f32_16x16x16_f16 v[34:37], v[14:15], v[18:19], v[34:37]
	v_lshl_add_u64 v[14:15], v[38:39], 2, s[10:11]
	v_subrev_u32_e32 v49, s31, v57
	v_cvt_f32_i32_e32 v58, v49
	v_mfma_f32_16x16x16_f16 v[26:29], v[6:7], v[18:19], v[26:29]
	v_mfma_f32_16x16x16_f16 v[30:33], v[10:11], v[18:19], v[30:33]
	v_lshl_add_u64 v[18:19], v[40:41], 2, s[10:11]
	global_load_dword v59, v[14:15], off
	global_load_dword v60, v[18:19], off
	v_lshl_add_u64 v[10:11], v[2:3], 0, v[44:45]
	v_mfma_f32_16x16x16_f16 v[2:5], v[4:5], v[20:21], v[22:25]
	v_add_u32_e32 v44, 1, v49
	v_add_u32_e32 v45, 3, v49
	;; [unrolled: 1-line block ×3, first 2 shown]
	v_mfma_f32_16x16x16_f16 v[14:17], v[16:17], v[20:21], v[34:37]
	v_add_u32_e32 v22, 2, v49
	s_nop 1
	v_pk_mul_f32 v[50:51], s[14:15], v[4:5] op_sel_hi:[0,1]
	v_cvt_f32_i32_e32 v18, v18
	v_mfma_f32_16x16x16_f16 v[6:9], v[8:9], v[20:21], v[26:29]
	v_add_u32_e32 v19, 19, v49
	v_pk_mul_f32 v[34:35], s[14:15], v[16:17] op_sel_hi:[0,1]
	v_pk_mul_f32 v[36:37], s[14:15], v[14:15] op_sel_hi:[0,1]
	v_cvt_f32_i32_e32 v27, v22
	v_mfma_f32_16x16x16_f16 v[22:25], v[12:13], v[20:21], v[30:33]
	v_pk_mul_f32 v[12:13], s[14:15], v[2:3] op_sel_hi:[0,1]
	v_cvt_f32_i32_e32 v26, v44
	v_cvt_f32_i32_e32 v28, v45
	v_pk_mul_f32 v[44:45], s[14:15], v[8:9] op_sel_hi:[0,1]
	v_pk_mul_f32 v[46:47], s[14:15], v[6:7] op_sel_hi:[0,1]
	v_cvt_f32_i32_e32 v19, v19
	v_fma_f32 v44, v48, v18, v44
	v_add_u32_e32 v18, 34, v49
	v_cvt_f32_i32_e32 v18, v18
	v_fmac_f32_e32 v45, v48, v19
	v_add_u32_e32 v19, 35, v49
	v_cvt_f32_i32_e32 v19, v19
	v_pk_mul_f32 v[40:41], s[14:15], v[22:23] op_sel_hi:[0,1]
	v_pk_mul_f32 v[38:39], s[14:15], v[24:25] op_sel_hi:[0,1]
	v_fma_f32 v38, v48, v18, v38
	v_add_u32_e32 v18, 50, v49
	s_waitcnt vmcnt(3)
	v_mad_i64_i32 v[2:3], s[8:9], v55, s45, 0
	s_waitcnt vmcnt(2)
	v_mad_i64_i32 v[4:5], s[8:9], v72, s45, 0
	v_lshl_add_u64 v[16:17], v[2:3], 1, v[10:11]
	v_lshl_add_u64 v[14:15], v[4:5], 1, v[10:11]
	global_load_dwordx4 v[6:9], v[16:17], off
	global_load_dwordx4 v[2:5], v[16:17], off offset:16
	v_add_u32_e32 v16, 16, v49
	v_cvt_f32_i32_e32 v16, v16
	v_add_u32_e32 v17, 17, v49
	v_cvt_f32_i32_e32 v17, v17
	v_fmac_f32_e32 v39, v48, v19
	v_fma_f32 v46, v48, v16, v46
	v_add_u32_e32 v16, 32, v49
	v_fmac_f32_e32 v47, v48, v17
	v_cvt_f32_i32_e32 v16, v16
	v_add_u32_e32 v17, 33, v49
	v_cvt_f32_i32_e32 v17, v17
	v_cvt_f32_i32_e32 v18, v18
	v_fma_f32 v40, v48, v16, v40
	v_add_u32_e32 v16, 48, v49
	v_fmac_f32_e32 v41, v48, v17
	v_cvt_f32_i32_e32 v16, v16
	v_add_u32_e32 v17, 49, v49
	v_cvt_f32_i32_e32 v17, v17
	v_add_u32_e32 v19, 51, v49
	v_cvt_f32_i32_e32 v19, v19
	v_fma_f32 v12, v48, v58, v12
	v_fmac_f32_e32 v13, v48, v26
	v_fma_f32 v36, v48, v16, v36
	v_mov_b32_e32 v16, 0xff7fffff
	v_fmac_f32_e32 v37, v48, v17
	v_fma_f32 v34, v48, v18, v34
	v_cndmask_b32_e64 v17, v16, v12, s[34:35]
	v_cndmask_b32_e64 v18, v16, v13, s[36:37]
	v_fmac_f32_e32 v35, v48, v19
	v_max3_f32 v17, v17, s5, v18
	v_or_b32_e32 v18, 2, v56
	v_or_b32_e32 v19, 3, v56
	v_fma_f32 v50, v48, v27, v50
	v_fmac_f32_e32 v51, v48, v28
	v_cmp_gt_i32_e64 s[38:39], s31, v18
	v_cmp_gt_i32_e64 s[40:41], s31, v19
	global_load_dwordx4 v[30:33], v[14:15], off
	global_load_dwordx4 v[26:29], v[14:15], off offset:16
	v_cndmask_b32_e64 v18, v16, v50, s[38:39]
	v_cndmask_b32_e64 v19, v16, v51, s[40:41]
	v_max3_f32 v17, v17, v18, v19
	v_or_b32_e32 v18, 16, v56
	v_or_b32_e32 v19, 17, v56
	v_cmp_gt_i32_e64 s[26:27], s31, v18
	v_cmp_gt_i32_e64 s[28:29], s31, v19
	s_nop 0
	v_cndmask_b32_e64 v18, v16, v46, s[26:27]
	v_cndmask_b32_e64 v19, v16, v47, s[28:29]
	v_max3_f32 v17, v17, v18, v19
	v_or_b32_e32 v18, 18, v56
	v_or_b32_e32 v19, 19, v56
	v_cmp_gt_i32_e64 s[22:23], s31, v18
	v_cmp_gt_i32_e64 s[24:25], s31, v19
	s_nop 0
	v_cndmask_b32_e64 v18, v16, v44, s[22:23]
	v_cndmask_b32_e64 v19, v16, v45, s[24:25]
	v_max3_f32 v17, v17, v18, v19
	v_or_b32_e32 v18, 32, v56
	v_or_b32_e32 v19, 33, v56
	v_cmp_gt_i32_e64 s[18:19], s31, v18
	v_cmp_gt_i32_e64 s[20:21], s31, v19
	s_nop 0
	v_cndmask_b32_e64 v18, v16, v40, s[18:19]
	v_cndmask_b32_e64 v19, v16, v41, s[20:21]
	v_max3_f32 v17, v17, v18, v19
	v_or_b32_e32 v18, 34, v56
	v_or_b32_e32 v19, 35, v56
	v_cmp_gt_i32_e64 s[14:15], s31, v18
	v_cmp_gt_i32_e64 s[16:17], s31, v19
	s_nop 0
	v_cndmask_b32_e64 v18, v16, v38, s[14:15]
	v_cndmask_b32_e64 v19, v16, v39, s[16:17]
	v_max3_f32 v17, v17, v18, v19
	v_or_b32_e32 v18, 48, v56
	v_or_b32_e32 v19, 49, v56
	v_cmp_gt_i32_e64 s[10:11], s31, v18
	v_cmp_gt_i32_e64 s[12:13], s31, v19
	s_nop 0
	v_cndmask_b32_e64 v18, v16, v36, s[10:11]
	v_cndmask_b32_e64 v19, v16, v37, s[12:13]
	v_max3_f32 v17, v17, v18, v19
	v_or_b32_e32 v18, 50, v56
	v_or_b32_e32 v19, 51, v56
	v_cmp_gt_i32_e32 vcc, s31, v18
	v_cmp_gt_i32_e64 s[8:9], s31, v19
	s_nop 0
	v_cndmask_b32_e32 v18, v16, v34, vcc
	v_cndmask_b32_e64 v16, v16, v35, s[8:9]
	v_max3_f32 v16, v17, v18, v16
	v_mbcnt_lo_u32_b32 v17, -1, 0
	v_mbcnt_hi_u32_b32 v17, -1, v17
	v_and_b32_e32 v18, 64, v17
	v_add_u32_e32 v18, 64, v18
	v_xor_b32_e32 v19, 32, v17
	v_cmp_lt_i32_e64 s[42:43], v19, v18
	s_nop 1
	v_cndmask_b32_e64 v19, v17, v19, s[42:43]
	v_lshlrev_b32_e32 v56, 2, v19
	ds_bpermute_b32 v19, v56, v16
	s_waitcnt vmcnt(5)
	v_mad_i64_i32 v[14:15], s[42:43], v59, s45, 0
	v_lshl_add_u64 v[14:15], v[14:15], 1, v[10:11]
	s_waitcnt lgkmcnt(0)
	v_max_f32_e32 v19, v19, v19
	v_max_f32_e32 v16, v16, v19
	v_xor_b32_e32 v19, 16, v17
	v_cmp_lt_i32_e64 s[42:43], v19, v18
	s_nop 1
	v_cndmask_b32_e64 v17, v17, v19, s[42:43]
	v_lshlrev_b32_e32 v58, 2, v17
	ds_bpermute_b32 v17, v58, v16
	global_load_dwordx4 v[22:25], v[14:15], off
	global_load_dwordx4 v[18:21], v[14:15], off offset:16
	s_waitcnt vmcnt(6)
	v_mad_i64_i32 v[14:15], s[42:43], v60, s45, 0
	v_lshl_add_u64 v[10:11], v[14:15], 1, v[10:11]
	s_waitcnt lgkmcnt(0)
	v_max_f32_e32 v14, v17, v17
	v_max_f32_e32 v55, v16, v14
	v_sub_f32_e32 v12, v12, v55
	v_mul_f32_e32 v12, 0x3fb8aa3b, v12
	v_exp_f32_e32 v48, v12
	v_sub_f32_e32 v12, v13, v55
	v_mul_f32_e32 v12, 0x3fb8aa3b, v12
	v_exp_f32_e32 v49, v12
	global_load_dwordx4 v[14:17], v[10:11], off
	s_nop 0
	global_load_dwordx4 v[10:13], v[10:11], off offset:16
	v_sub_f32_e32 v50, v50, v55
	v_mul_f32_e32 v50, 0x3fb8aa3b, v50
	v_sub_f32_e32 v51, v51, v55
	v_exp_f32_e32 v50, v50
	v_mul_f32_e32 v51, 0x3fb8aa3b, v51
	v_sub_f32_e32 v46, v46, v55
	v_exp_f32_e32 v51, v51
	v_mul_f32_e32 v46, 0x3fb8aa3b, v46
	v_sub_f32_e32 v47, v47, v55
	v_cndmask_b32_e64 v48, 0, v48, s[34:35]
	v_exp_f32_e32 v46, v46
	v_mul_f32_e32 v47, 0x3fb8aa3b, v47
	v_sub_f32_e32 v44, v44, v55
	v_add_f32_e32 v57, 0, v48
	v_cndmask_b32_e64 v49, 0, v49, s[36:37]
	v_exp_f32_e32 v47, v47
	v_mul_f32_e32 v44, 0x3fb8aa3b, v44
	v_sub_f32_e32 v45, v45, v55
	v_add_f32_e32 v57, v57, v49
	;; [unrolled: 5-line block ×10, first 2 shown]
	v_cndmask_b32_e64 v38, 0, v38, s[14:15]
	v_exp_f32_e32 v34, v34
	v_mul_f32_e32 v35, 0x3fb8aa3b, v35
	v_add_f32_e32 v57, v57, v38
	v_cndmask_b32_e64 v39, 0, v39, s[16:17]
	v_exp_f32_e32 v35, v35
	v_add_f32_e32 v57, v57, v39
	v_cndmask_b32_e64 v36, 0, v36, s[10:11]
	v_add_f32_e32 v57, v57, v36
	v_cndmask_b32_e64 v37, 0, v37, s[12:13]
	v_add_f32_e32 v57, v57, v37
	v_cndmask_b32_e32 v34, 0, v34, vcc
	v_add_f32_e32 v57, v57, v34
	v_cndmask_b32_e64 v35, 0, v35, s[8:9]
	v_add_f32_e32 v57, v57, v35
	ds_bpermute_b32 v56, v56, v57
	v_cmp_gt_u32_e64 s[8:9], 16, v54
	s_waitcnt lgkmcnt(0)
	s_barrier
	v_add_f32_e32 v57, v57, v56
	ds_bpermute_b32 v58, v58, v57
	v_lshlrev_b32_e32 v56, 2, v53
	s_and_saveexec_b64 s[10:11], s[8:9]
	s_cbranch_execz .LBB128_17
; %bb.16:
	s_waitcnt lgkmcnt(0)
	v_add_f32_e32 v54, v57, v58
	v_lshl_or_b32 v57, v52, 6, v56
	ds_write2st64_b32 v57, v55, v54 offset1:1
.LBB128_17:
	s_or_b64 exec, exec, s[10:11]
	s_load_dwordx2 s[10:11], s[0:1], 0x94
	s_waitcnt lgkmcnt(0)
	s_barrier
	ds_read2_b32 v[58:59], v56 offset1:16
	ds_read2_b32 v[60:61], v56 offset0:32 offset1:48
	ds_read2_b32 v[62:63], v56 offset0:64 offset1:80
	;; [unrolled: 1-line block ×3, first 2 shown]
	s_waitcnt lgkmcnt(0)
	v_max3_f32 v54, v58, s5, v59
	v_max3_f32 v54, v54, v60, v61
	v_sub_f32_e32 v55, v58, v54
	v_mul_f32_e32 v55, 0x3fb8aa3b, v55
	v_exp_f32_e32 v58, v55
	v_sub_f32_e32 v55, v59, v54
	v_mul_f32_e32 v55, 0x3fb8aa3b, v55
	v_exp_f32_e32 v59, v55
	;; [unrolled: 3-line block ×4, first 2 shown]
	v_fma_f32 v55, v58, v62, 0
	v_fmac_f32_e32 v55, v59, v63
	v_fmac_f32_e32 v55, v60, v56
	;; [unrolled: 1-line block ×3, first 2 shown]
	v_add_f32_e32 v57, 0x358637bd, v55
	v_div_scale_f32 v62, s[12:13], v57, v57, 1.0
	v_rcp_f32_e32 v63, v62
	s_barrier
	v_mov_b32_e32 v56, 0
	v_fma_f32 v64, -v62, v63, 1.0
	v_fmac_f32_e32 v63, v64, v63
	v_div_scale_f32 v64, vcc, 1.0, v57, 1.0
	v_mul_f32_e32 v65, v64, v63
	v_fma_f32 v66, -v62, v65, v64
	v_fmac_f32_e32 v65, v66, v63
	v_fma_f32 v62, -v62, v65, v64
	v_div_fmas_f32 v62, v62, v63, v65
	v_cmp_eq_u32_e32 vcc, 1, v52
	v_div_fixup_f32 v57, v62, v57, 1.0
	s_nop 0
	v_cndmask_b32_e32 v58, v58, v59, vcc
	v_cmp_eq_u32_e32 vcc, 2, v52
	s_nop 1
	v_cndmask_b32_e32 v58, v58, v60, vcc
	v_cmp_eq_u32_e32 vcc, 3, v52
	s_nop 1
	v_cndmask_b32_e32 v58, v58, v61, vcc
	v_mul_f32_e32 v58, v58, v57
	v_pk_mul_f32 v[48:49], v[58:59], v[48:49] op_sel_hi:[0,1]
	v_cvt_f16_f32_e32 v48, v48
	v_cvt_f16_f32_e32 v49, v49
	v_pk_mul_f32 v[50:51], v[58:59], v[50:51] op_sel_hi:[0,1]
	v_pk_mul_f32 v[44:45], v[58:59], v[44:45] op_sel_hi:[0,1]
	v_pk_mul_f32 v[46:47], v[58:59], v[46:47] op_sel_hi:[0,1]
	v_cvt_f16_f32_e32 v57, v50
	v_cvt_f16_f32_e32 v51, v51
	v_pack_b32_f16 v50, v48, v49
	v_lshlrev_b32_e32 v48, 5, v53
	v_cvt_f16_f32_e32 v46, v46
	v_cvt_f16_f32_e32 v47, v47
	;; [unrolled: 1-line block ×4, first 2 shown]
	v_lshlrev_b32_e32 v49, 3, v1
	v_lshlrev_b32_e32 v44, 11, v52
	v_pack_b32_f16 v51, v57, v51
	v_or3_b32 v44, v44, v48, v49
	v_pack_b32_f16 v46, v46, v47
	v_pack_b32_f16 v47, v53, v45
	v_pk_mul_f32 v[38:39], v[58:59], v[38:39] op_sel_hi:[0,1]
	v_pk_mul_f32 v[40:41], v[58:59], v[40:41] op_sel_hi:[0,1]
	;; [unrolled: 1-line block ×4, first 2 shown]
	ds_write2st64_b64 v44, v[50:51], v[46:47] offset1:1
	v_cvt_f16_f32_e32 v40, v40
	v_cvt_f16_f32_e32 v41, v41
	;; [unrolled: 1-line block ×8, first 2 shown]
	v_pack_b32_f16 v34, v40, v41
	v_pack_b32_f16 v35, v38, v39
	;; [unrolled: 1-line block ×4, first 2 shown]
	v_cmp_eq_u32_e32 vcc, 0, v0
	ds_write2st64_b64 v44, v[34:35], v[36:37] offset0:2 offset1:3
	s_and_saveexec_b64 s[12:13], vcc
	s_cbranch_execz .LBB128_19
; %bb.18:
	s_mul_i32 s3, s3, s11
	s_mul_hi_u32 s5, s2, s11
	s_add_i32 s5, s5, s3
	s_mul_i32 s3, s2, s11
	s_add_u32 s3, s3, s4
	s_addc_u32 s5, s5, 0
	s_load_dwordx4 s[16:19], s[0:1], 0x58
	s_mul_i32 s5, s5, s10
	s_mul_hi_u32 s14, s3, s10
	s_add_i32 s5, s14, s5
	s_mul_i32 s3, s3, s10
	s_add_u32 s14, s3, s30
	s_addc_u32 s15, s5, 0
	s_lshl_b64 s[14:15], s[14:15], 2
	s_waitcnt lgkmcnt(0)
	s_add_u32 s18, s18, s14
	s_addc_u32 s19, s19, s15
	s_add_u32 s14, s16, s14
	s_addc_u32 s15, s17, s15
	global_store_dword v56, v54, s[18:19]
	global_store_dword v56, v55, s[14:15]
.LBB128_19:
	s_or_b64 exec, exec, s[12:13]
	v_lshl_or_b32 v45, v1, 9, v48
	s_waitcnt lgkmcnt(0)
	s_barrier
	ds_read_b128 v[34:37], v45
	ds_read_b128 v[38:41], v45 offset:16
	s_waitcnt vmcnt(7) lgkmcnt(1)
	v_mfma_f32_16x16x16_f16 v[46:49], v[6:7], v[34:35], 0
	v_cmp_gt_u32_e32 vcc, 64, v0
	s_and_b64 s[6:7], s[6:7], vcc
	s_mov_b32 s3, 0
	v_mfma_f32_16x16x16_f16 v[6:9], v[8:9], v[36:37], v[46:49]
	s_and_b64 s[6:7], s[6:7], s[8:9]
	s_waitcnt vmcnt(6) lgkmcnt(0)
	v_mfma_f32_16x16x16_f16 v[6:9], v[2:3], v[38:39], v[6:9]
	v_mfma_f32_16x16x16_f16 v[2:5], v[4:5], v[40:41], v[6:9]
	s_nop 5
	ds_read_b128 v[6:9], v45 offset:2048
	ds_read_b128 v[34:37], v45 offset:2064
	s_waitcnt vmcnt(5) lgkmcnt(1)
	v_mfma_f32_16x16x16_f16 v[2:5], v[30:31], v[6:7], v[2:5]
	v_mfma_f32_16x16x16_f16 v[2:5], v[32:33], v[8:9], v[2:5]
	s_waitcnt vmcnt(4) lgkmcnt(0)
	v_mfma_f32_16x16x16_f16 v[2:5], v[26:27], v[34:35], v[2:5]
	v_mfma_f32_16x16x16_f16 v[2:5], v[28:29], v[36:37], v[2:5]
	ds_read_b128 v[6:9], v45 offset:4096
	ds_read_b128 v[26:29], v45 offset:4112
	s_waitcnt vmcnt(3) lgkmcnt(1)
	v_mfma_f32_16x16x16_f16 v[2:5], v[22:23], v[6:7], v[2:5]
	v_mfma_f32_16x16x16_f16 v[2:5], v[24:25], v[8:9], v[2:5]
	s_waitcnt vmcnt(2) lgkmcnt(0)
	v_mfma_f32_16x16x16_f16 v[2:5], v[18:19], v[26:27], v[2:5]
	v_mfma_f32_16x16x16_f16 v[2:5], v[20:21], v[28:29], v[2:5]
	ds_read_b128 v[6:9], v45 offset:6144
	ds_read_b128 v[18:21], v45 offset:6160
	s_waitcnt lgkmcnt(0)
	s_barrier
	s_waitcnt vmcnt(1)
	v_mfma_f32_16x16x16_f16 v[2:5], v[14:15], v[6:7], v[2:5]
	v_mfma_f32_16x16x16_f16 v[2:5], v[16:17], v[8:9], v[2:5]
	s_waitcnt vmcnt(0)
	v_mfma_f32_16x16x16_f16 v[2:5], v[10:11], v[18:19], v[2:5]
	v_mfma_f32_16x16x16_f16 v[2:5], v[12:13], v[20:21], v[2:5]
	s_nop 6
	v_cvt_f16_f32_e32 v2, v2
	v_cvt_f16_f32_e32 v3, v3
	;; [unrolled: 1-line block ×4, first 2 shown]
	v_pack_b32_f16 v2, v2, v3
	v_pack_b32_f16 v3, v4, v5
	ds_write_b64 v44, v[2:3]
	s_waitcnt lgkmcnt(0)
	s_barrier
	s_and_saveexec_b64 s[8:9], s[6:7]
	s_cbranch_execz .LBB128_21
; %bb.20:
	s_load_dwordx2 s[0:1], s[0:1], 0x68
	s_mul_i32 s2, s11, s2
	s_lshl_b32 s5, s10, 6
	s_mul_hi_u32 s7, s2, s5
	s_mul_i32 s6, s2, s5
	s_lshl_b64 s[6:7], s[6:7], 1
	s_waitcnt lgkmcnt(0)
	s_add_u32 s6, s0, s6
	v_lshlrev_b32_e32 v2, 10, v0
	v_lshlrev_b32_e32 v0, 4, v0
	s_addc_u32 s7, s1, s7
	s_lshl_b32 s2, s30, 6
	v_and_b32_e32 v2, 0x1800, v2
	v_lshlrev_b32_e32 v1, 5, v1
	v_and_b32_e32 v0, 16, v0
	s_lshl_b64 s[0:1], s[2:3], 1
	v_or3_b32 v0, v2, v1, v0
	s_add_u32 s2, s6, s0
	ds_read_b128 v[0:3], v0
	s_addc_u32 s3, s7, s1
	s_mul_hi_u32 s1, s5, s4
	s_mul_i32 s0, s5, s4
	s_lshl_b64 s[0:1], s[0:1], 1
	s_add_u32 s0, s2, s0
	s_addc_u32 s1, s3, s1
	v_lshl_add_u64 v[4:5], v[42:43], 1, s[0:1]
	s_waitcnt lgkmcnt(0)
	global_store_dwordx4 v[4:5], v[0:3], off
.LBB128_21:
	s_endpgm
	.section	.rodata,"a",@progbits
	.p2align	6, 0x0
	.amdhsa_kernel _Z39paged_attention_ll4mi_QKV_mfma16_kernelIDF16_DF16_LN4vllm18Fp8KVCacheDataTypeE0EhLi32ELi64ELi256ELb1ELi1EEvPKT_PKT0_S7_ifPKiS9_S9_iPKfiiiPfSC_PS2_PT2_iSB_SB_
		.amdhsa_group_segment_fixed_size 8192
		.amdhsa_private_segment_fixed_size 0
		.amdhsa_kernarg_size 400
		.amdhsa_user_sgpr_count 2
		.amdhsa_user_sgpr_dispatch_ptr 0
		.amdhsa_user_sgpr_queue_ptr 0
		.amdhsa_user_sgpr_kernarg_segment_ptr 1
		.amdhsa_user_sgpr_dispatch_id 0
		.amdhsa_user_sgpr_kernarg_preload_length 0
		.amdhsa_user_sgpr_kernarg_preload_offset 0
		.amdhsa_user_sgpr_private_segment_size 0
		.amdhsa_uses_dynamic_stack 0
		.amdhsa_enable_private_segment 0
		.amdhsa_system_sgpr_workgroup_id_x 1
		.amdhsa_system_sgpr_workgroup_id_y 1
		.amdhsa_system_sgpr_workgroup_id_z 1
		.amdhsa_system_sgpr_workgroup_info 0
		.amdhsa_system_vgpr_workitem_id 0
		.amdhsa_next_free_vgpr 73
		.amdhsa_next_free_sgpr 48
		.amdhsa_accum_offset 76
		.amdhsa_reserve_vcc 1
		.amdhsa_float_round_mode_32 0
		.amdhsa_float_round_mode_16_64 0
		.amdhsa_float_denorm_mode_32 3
		.amdhsa_float_denorm_mode_16_64 3
		.amdhsa_dx10_clamp 1
		.amdhsa_ieee_mode 1
		.amdhsa_fp16_overflow 0
		.amdhsa_tg_split 0
		.amdhsa_exception_fp_ieee_invalid_op 0
		.amdhsa_exception_fp_denorm_src 0
		.amdhsa_exception_fp_ieee_div_zero 0
		.amdhsa_exception_fp_ieee_overflow 0
		.amdhsa_exception_fp_ieee_underflow 0
		.amdhsa_exception_fp_ieee_inexact 0
		.amdhsa_exception_int_div_zero 0
	.end_amdhsa_kernel
	.section	.text._Z39paged_attention_ll4mi_QKV_mfma16_kernelIDF16_DF16_LN4vllm18Fp8KVCacheDataTypeE0EhLi32ELi64ELi256ELb1ELi1EEvPKT_PKT0_S7_ifPKiS9_S9_iPKfiiiPfSC_PS2_PT2_iSB_SB_,"axG",@progbits,_Z39paged_attention_ll4mi_QKV_mfma16_kernelIDF16_DF16_LN4vllm18Fp8KVCacheDataTypeE0EhLi32ELi64ELi256ELb1ELi1EEvPKT_PKT0_S7_ifPKiS9_S9_iPKfiiiPfSC_PS2_PT2_iSB_SB_,comdat
.Lfunc_end128:
	.size	_Z39paged_attention_ll4mi_QKV_mfma16_kernelIDF16_DF16_LN4vllm18Fp8KVCacheDataTypeE0EhLi32ELi64ELi256ELb1ELi1EEvPKT_PKT0_S7_ifPKiS9_S9_iPKfiiiPfSC_PS2_PT2_iSB_SB_, .Lfunc_end128-_Z39paged_attention_ll4mi_QKV_mfma16_kernelIDF16_DF16_LN4vllm18Fp8KVCacheDataTypeE0EhLi32ELi64ELi256ELb1ELi1EEvPKT_PKT0_S7_ifPKiS9_S9_iPKfiiiPfSC_PS2_PT2_iSB_SB_
                                        ; -- End function
	.section	.AMDGPU.csdata,"",@progbits
; Kernel info:
; codeLenInByte = 4028
; NumSgprs: 54
; NumVgprs: 73
; NumAgprs: 0
; TotalNumVgprs: 73
; ScratchSize: 0
; MemoryBound: 0
; FloatMode: 240
; IeeeMode: 1
; LDSByteSize: 8192 bytes/workgroup (compile time only)
; SGPRBlocks: 6
; VGPRBlocks: 9
; NumSGPRsForWavesPerEU: 54
; NumVGPRsForWavesPerEU: 73
; AccumOffset: 76
; Occupancy: 6
; WaveLimiterHint : 1
; COMPUTE_PGM_RSRC2:SCRATCH_EN: 0
; COMPUTE_PGM_RSRC2:USER_SGPR: 2
; COMPUTE_PGM_RSRC2:TRAP_HANDLER: 0
; COMPUTE_PGM_RSRC2:TGID_X_EN: 1
; COMPUTE_PGM_RSRC2:TGID_Y_EN: 1
; COMPUTE_PGM_RSRC2:TGID_Z_EN: 1
; COMPUTE_PGM_RSRC2:TIDIG_COMP_CNT: 0
; COMPUTE_PGM_RSRC3_GFX90A:ACCUM_OFFSET: 18
; COMPUTE_PGM_RSRC3_GFX90A:TG_SPLIT: 0
	.section	.text._Z39paged_attention_ll4mi_QKV_mfma16_kernelIDF16_DF16_LN4vllm18Fp8KVCacheDataTypeE0EhLi32ELi64ELi256ELb1ELi2EEvPKT_PKT0_S7_ifPKiS9_S9_iPKfiiiPfSC_PS2_PT2_iSB_SB_,"axG",@progbits,_Z39paged_attention_ll4mi_QKV_mfma16_kernelIDF16_DF16_LN4vllm18Fp8KVCacheDataTypeE0EhLi32ELi64ELi256ELb1ELi2EEvPKT_PKT0_S7_ifPKiS9_S9_iPKfiiiPfSC_PS2_PT2_iSB_SB_,comdat
	.protected	_Z39paged_attention_ll4mi_QKV_mfma16_kernelIDF16_DF16_LN4vllm18Fp8KVCacheDataTypeE0EhLi32ELi64ELi256ELb1ELi2EEvPKT_PKT0_S7_ifPKiS9_S9_iPKfiiiPfSC_PS2_PT2_iSB_SB_ ; -- Begin function _Z39paged_attention_ll4mi_QKV_mfma16_kernelIDF16_DF16_LN4vllm18Fp8KVCacheDataTypeE0EhLi32ELi64ELi256ELb1ELi2EEvPKT_PKT0_S7_ifPKiS9_S9_iPKfiiiPfSC_PS2_PT2_iSB_SB_
	.globl	_Z39paged_attention_ll4mi_QKV_mfma16_kernelIDF16_DF16_LN4vllm18Fp8KVCacheDataTypeE0EhLi32ELi64ELi256ELb1ELi2EEvPKT_PKT0_S7_ifPKiS9_S9_iPKfiiiPfSC_PS2_PT2_iSB_SB_
	.p2align	8
	.type	_Z39paged_attention_ll4mi_QKV_mfma16_kernelIDF16_DF16_LN4vllm18Fp8KVCacheDataTypeE0EhLi32ELi64ELi256ELb1ELi2EEvPKT_PKT0_S7_ifPKiS9_S9_iPKfiiiPfSC_PS2_PT2_iSB_SB_,@function
_Z39paged_attention_ll4mi_QKV_mfma16_kernelIDF16_DF16_LN4vllm18Fp8KVCacheDataTypeE0EhLi32ELi64ELi256ELb1ELi2EEvPKT_PKT0_S7_ifPKiS9_S9_iPKfiiiPfSC_PS2_PT2_iSB_SB_: ; @_Z39paged_attention_ll4mi_QKV_mfma16_kernelIDF16_DF16_LN4vllm18Fp8KVCacheDataTypeE0EhLi32ELi64ELi256ELb1ELi2EEvPKT_PKT0_S7_ifPKiS9_S9_iPKfiiiPfSC_PS2_PT2_iSB_SB_
; %bb.0:
	s_load_dwordx2 s[6:7], s[0:1], 0x30
	s_mov_b32 s28, s3
	s_mov_b64 s[8:9], 0
	s_waitcnt lgkmcnt(0)
	s_cmp_lg_u64 s[6:7], 0
	s_cselect_b64 s[10:11], -1, 0
	s_and_b64 vcc, exec, s[10:11]
	s_cbranch_vccz .LBB129_7
; %bb.1:
	s_add_i32 s12, s2, 1
	s_mov_b32 s13, 0
	s_lshl_b64 s[14:15], s[12:13], 2
	s_add_u32 s14, s6, s14
	s_mov_b32 s3, s13
	s_addc_u32 s15, s7, s15
	s_lshl_b64 s[12:13], s[2:3], 2
	s_add_u32 s12, s6, s12
	s_addc_u32 s13, s7, s13
	s_load_dword s5, s[14:15], 0x0
	s_load_dword s16, s[12:13], 0x0
	s_waitcnt lgkmcnt(0)
	s_sub_i32 s5, s5, s16
	s_cmp_eq_u32 s5, 1
	s_cselect_b64 s[12:13], -1, 0
	s_andn2_b64 vcc, exec, s[8:9]
	s_cbranch_vccnz .LBB129_3
.LBB129_2:
	s_mov_b32 s3, 0
	s_mov_b64 s[12:13], -1
.LBB129_3:
	s_andn2_b64 vcc, exec, s[12:13]
	s_cbranch_vccnz .LBB129_21
; %bb.4:
	s_load_dwordx2 s[8:9], s[0:1], 0x28
	s_lshl_b64 s[12:13], s[2:3], 2
	s_waitcnt lgkmcnt(0)
	s_add_u32 s8, s8, s12
	s_addc_u32 s9, s9, s13
	s_load_dword s33, s[8:9], 0x0
	s_lshl_b32 s14, s28, 8
	s_waitcnt lgkmcnt(0)
	s_cmp_ge_i32 s14, s33
	s_cbranch_scc1 .LBB129_21
; %bb.5:
	s_load_dwordx2 s[8:9], s[0:1], 0x20
	s_load_dword s5, s[0:1], 0x38
	s_add_i32 s15, s33, 31
	s_ashr_i32 s16, s15, 31
	v_and_b32_e32 v1, 0xcf, v0
	s_lshr_b32 s16, s16, 27
	v_add_u32_e32 v1, s14, v1
	s_add_i32 s15, s15, s16
	v_ashrrev_i32_e32 v2, 31, v1
	s_ashr_i32 s15, s15, 5
	v_lshrrev_b32_e32 v6, 27, v2
	s_add_i32 s15, s15, -1
	s_waitcnt lgkmcnt(0)
	s_mul_i32 s16, s2, s5
	s_mov_b32 s17, 0
	v_add_u32_e32 v2, v1, v6
	s_lshl_b64 s[16:17], s[16:17], 2
	v_ashrrev_i32_e32 v2, 5, v2
	v_mov_b32_e32 v7, s15
	v_cmp_gt_i32_e32 vcc, s33, v1
	s_add_u32 s8, s8, s16
	s_addc_u32 s9, s9, s17
	v_cndmask_b32_e32 v2, v7, v2, vcc
	v_ashrrev_i32_e32 v3, 31, v2
	v_lshl_add_u64 v[4:5], v[2:3], 2, s[8:9]
	v_or_b32_e32 v2, 16, v1
	v_add_u32_e32 v3, v2, v6
	v_ashrrev_i32_e32 v3, 5, v3
	v_cmp_gt_i32_e32 vcc, s33, v2
	s_nop 1
	v_cndmask_b32_e32 v2, v7, v3, vcc
	v_ashrrev_i32_e32 v3, 31, v2
	v_lshl_add_u64 v[8:9], v[2:3], 2, s[8:9]
	v_or_b32_e32 v2, 32, v1
	v_add_u32_e32 v3, v2, v6
	v_ashrrev_i32_e32 v3, 5, v3
	v_cmp_gt_i32_e32 vcc, s33, v2
	v_or_b32_e32 v1, 48, v1
	s_nop 0
	v_cndmask_b32_e32 v2, v7, v3, vcc
	v_ashrrev_i32_e32 v3, 31, v2
	v_lshl_add_u64 v[12:13], v[2:3], 2, s[8:9]
	v_add_u32_e32 v2, v1, v6
	v_ashrrev_i32_e32 v2, 5, v2
	v_cmp_gt_i32_e32 vcc, s33, v1
	s_nop 1
	v_cndmask_b32_e32 v2, v7, v2, vcc
	v_ashrrev_i32_e32 v3, 31, v2
	v_lshl_add_u64 v[16:17], v[2:3], 2, s[8:9]
	global_load_dword v2, v[4:5], off
	global_load_dword v6, v[8:9], off
	;; [unrolled: 1-line block ×4, first 2 shown]
	s_andn2_b64 vcc, exec, s[10:11]
	s_cbranch_vccnz .LBB129_8
; %bb.6:
	s_add_u32 s6, s6, s12
	s_addc_u32 s7, s7, s13
	s_load_dword s5, s[6:7], 0x0
	s_branch .LBB129_9
.LBB129_7:
	s_mov_b64 s[12:13], 0
	s_branch .LBB129_2
.LBB129_8:
	s_mov_b32 s5, s2
.LBB129_9:
	s_load_dwordx2 s[10:11], s[0:1], 0x8
	s_load_dwordx4 s[44:47], s[0:1], 0x48
	v_lshrrev_b32_e32 v53, 6, v0
	v_bfe_u32 v1, v0, 4, 2
	v_lshl_or_b32 v3, v53, 2, v1
	v_and_b32_e32 v54, 15, v0
	v_cmp_lt_u32_e32 vcc, 1, v3
	v_cmp_lt_u32_e64 s[6:7], 7, v54
	v_lshlrev_b32_e32 v42, 3, v54
	v_cmp_gt_u32_e64 s[30:31], 8, v54
	s_or_b64 s[6:7], s[6:7], vcc
	s_and_saveexec_b64 s[12:13], s[6:7]
	s_xor_b64 s[6:7], exec, s[12:13]
; %bb.10:
	v_mov_b32_e32 v43, 0
                                        ; implicit-def: $vgpr3
; %bb.11:
	s_or_saveexec_b64 s[12:13], s[6:7]
	s_load_dwordx2 s[6:7], s[0:1], 0x10
	s_lshl_b32 s29, s4, 1
	s_xor_b64 exec, exec, s[12:13]
	s_cbranch_execz .LBB129_13
; %bb.12:
	s_load_dwordx2 s[16:17], s[0:1], 0x0
	s_waitcnt lgkmcnt(0)
	s_ashr_i32 s18, s44, 31
	s_mul_hi_u32 s19, s5, s44
	s_mul_i32 s18, s5, s18
	s_add_i32 s19, s19, s18
	s_mul_i32 s18, s5, s44
	s_lshl_b64 s[18:19], s[18:19], 1
	s_add_u32 s16, s16, s18
	v_add_lshl_u32 v4, v1, s29, 6
	s_addc_u32 s17, s17, s19
	v_ashrrev_i32_e32 v5, 31, v4
	v_mov_b32_e32 v43, 0
	v_lshl_add_u64 v[4:5], v[4:5], 1, s[16:17]
	v_lshlrev_b32_e32 v8, 1, v42
	v_mov_b32_e32 v9, v43
	v_lshl_add_u64 v[4:5], v[4:5], 0, v[8:9]
	global_load_dwordx4 v[16:19], v[4:5], off
	v_and_b32_e32 v4, 3, v0
	v_lshlrev_b32_e32 v5, 9, v54
	v_lshlrev_b32_e32 v3, 5, v3
	;; [unrolled: 1-line block ×3, first 2 shown]
	v_and_b32_e32 v5, 0x1800, v5
	v_or3_b32 v3, v5, v4, v3
	s_waitcnt vmcnt(0)
	ds_write_b128 v3, v[16:19]
.LBB129_13:
	s_or_b64 exec, exec, s[12:13]
	s_waitcnt lgkmcnt(0)
	s_mul_i32 s4, s4, s46
	s_mov_b32 s5, 0
	s_lshl_b64 s[4:5], s[4:5], 1
	s_add_u32 s10, s10, s4
	s_addc_u32 s11, s11, s5
	s_waitcnt vmcnt(3)
	v_mad_i64_i32 v[2:3], s[12:13], v2, s45, 0
	v_lshl_add_u64 v[2:3], v[2:3], 1, s[10:11]
	v_lshlrev_b64 v[12:13], 1, v[42:43]
	v_lshlrev_b32_e32 v44, 9, v1
	v_lshl_add_u64 v[2:3], v[2:3], 0, v[12:13]
	v_mov_b32_e32 v45, 0
	v_lshl_add_u64 v[8:9], v[2:3], 0, v[44:45]
	s_barrier
	global_load_dwordx4 v[22:25], v[8:9], off
	global_load_dwordx4 v[2:5], v[8:9], off offset:2048
	s_waitcnt vmcnt(4)
	v_mad_i64_i32 v[6:7], s[12:13], v6, s45, 0
	v_mov_b32_e32 v8, 0x100
	v_lshl_add_u64 v[6:7], v[6:7], 1, s[10:11]
	v_lshl_or_b32 v16, v54, 4, v8
	v_mov_b32_e32 v17, v45
	s_waitcnt vmcnt(3)
	v_mad_i64_i32 v[10:11], s[12:13], v10, s45, 0
	v_lshl_add_u64 v[6:7], v[6:7], 0, v[16:17]
	v_lshl_add_u64 v[10:11], v[10:11], 1, s[10:11]
	s_waitcnt vmcnt(2)
	v_mad_i64_i32 v[14:15], s[12:13], v14, s45, 0
	v_lshl_add_u64 v[18:19], v[6:7], 0, v[44:45]
	v_lshl_add_u64 v[10:11], v[10:11], 0, v[12:13]
	;; [unrolled: 1-line block ×3, first 2 shown]
	global_load_dwordx4 v[26:29], v[18:19], off
	global_load_dwordx4 v[6:9], v[18:19], off offset:2048
	v_lshl_add_u64 v[18:19], v[10:11], 0, v[44:45]
	v_lshl_add_u64 v[14:15], v[14:15], 0, v[16:17]
	global_load_dwordx4 v[30:33], v[18:19], off
	global_load_dwordx4 v[10:13], v[18:19], off offset:2048
	v_lshl_add_u64 v[18:19], v[14:15], 0, v[44:45]
	global_load_dwordx4 v[34:37], v[18:19], off
	global_load_dwordx4 v[14:17], v[18:19], off offset:2048
	v_and_b32_e32 v18, 1, v0
	v_lshl_or_b32 v18, v18, 5, v44
	ds_read_b128 v[38:41], v18
	ds_read_b128 v[18:21], v18 offset:2048
	v_and_b32_e32 v52, 63, v0
	v_cmp_gt_u32_e32 vcc, 2, v54
	v_mov_b32_e32 v48, 0
	s_and_saveexec_b64 s[10:11], vcc
	s_cbranch_execz .LBB129_15
; %bb.14:
	s_load_dwordx2 s[12:13], s[0:1], 0x40
	v_or_b32_e32 v46, s29, v54
	v_ashrrev_i32_e32 v47, 31, v46
	s_waitcnt lgkmcnt(0)
	v_lshl_add_u64 v[46:47], v[46:47], 2, s[12:13]
	global_load_dword v48, v[46:47], off
.LBB129_15:
	s_or_b64 exec, exec, s[10:11]
	s_ashr_i32 s10, s14, 31
	v_and_or_b32 v44, v0, 48, s14
	s_lshr_b32 s11, s10, 27
	v_add_u32_e32 v46, s11, v44
	v_or_b32_e32 v50, 64, v44
	v_ashrrev_i32_e32 v46, 5, v46
	v_mov_b32_e32 v49, s15
	v_cmp_gt_i32_e32 vcc, s33, v44
	v_add_u32_e32 v51, s11, v50
	s_waitcnt vmcnt(7) lgkmcnt(1)
	v_mfma_f32_16x16x16_f16 v[56:59], v[22:23], v[38:39], 0
	v_cndmask_b32_e32 v46, v49, v46, vcc
	v_ashrrev_i32_e32 v22, 5, v51
	v_cmp_gt_i32_e32 vcc, s33, v50
	v_ashrrev_i32_e32 v47, 31, v46
	v_lshl_add_u64 v[46:47], v[46:47], 2, s[8:9]
	v_cndmask_b32_e32 v22, v49, v22, vcc
	v_ashrrev_i32_e32 v23, 31, v22
	v_lshl_add_u64 v[22:23], v[22:23], 2, s[8:9]
	global_load_dword v55, v[46:47], off
	global_load_dword v72, v[22:23], off
	s_waitcnt vmcnt(3)
	v_mfma_f32_16x16x16_f16 v[68:71], v[34:35], v[38:39], 0
	v_or_b32_e32 v46, 0xc0, v44
	v_add_u32_e32 v50, s11, v46
	s_add_u32 s4, s6, s4
	v_mfma_f32_16x16x16_f16 v[60:63], v[26:27], v[38:39], 0
	s_addc_u32 s5, s7, s5
	s_load_dword s10, s[0:1], 0x1c
	s_mov_b32 s42, 0xff7fffff
	v_mfma_f32_16x16x16_f16 v[64:67], v[30:31], v[38:39], 0
	v_and_b32_e32 v31, 0xc0, v0
	v_or_b32_e32 v38, 0x80, v44
	v_add_u32_e32 v34, s14, v31
	v_mfma_f32_16x16x16_f16 v[22:25], v[24:25], v[40:41], v[56:59]
	v_and_b32_e32 v30, 16, v0
	v_add_u32_e32 v47, s11, v38
	v_lshlrev_b32_e32 v44, 1, v30
	v_lshl_or_b32 v56, v1, 2, v34
	v_mfma_f32_16x16x16_f16 v[34:37], v[36:37], v[40:41], v[68:71]
	v_cmp_gt_i32_e32 vcc, s33, v38
	v_lshlrev_b32_e32 v39, 6, v54
	v_or_b32_e32 v57, 1, v56
	v_mfma_f32_16x16x16_f16 v[26:29], v[28:29], v[40:41], v[60:63]
	v_cmp_gt_i32_e64 s[34:35], s33, v57
	v_mfma_f32_16x16x16_f16 v[30:33], v[32:33], v[40:41], v[64:67]
	v_ashrrev_i32_e32 v40, 5, v47
	v_ashrrev_i32_e32 v41, 5, v50
	v_cndmask_b32_e32 v38, v49, v40, vcc
	v_cmp_gt_i32_e32 vcc, s33, v46
	s_waitcnt lgkmcnt(0)
	v_mfma_f32_16x16x16_f16 v[22:25], v[2:3], v[18:19], v[22:25]
	v_lshl_add_u64 v[2:3], s[4:5], 0, v[44:45]
	v_cndmask_b32_e32 v40, v49, v41, vcc
	v_lshl_or_b32 v44, v53, 10, v39
	v_ashrrev_i32_e32 v39, 31, v38
	v_ashrrev_i32_e32 v41, 31, v40
	s_waitcnt vmcnt(2)
	v_mfma_f32_16x16x16_f16 v[34:37], v[14:15], v[18:19], v[34:37]
	v_lshl_add_u64 v[14:15], v[38:39], 2, s[8:9]
	v_subrev_u32_e32 v49, s33, v57
	v_cvt_f32_i32_e32 v58, v49
	v_mfma_f32_16x16x16_f16 v[26:29], v[6:7], v[18:19], v[26:29]
	v_mfma_f32_16x16x16_f16 v[30:33], v[10:11], v[18:19], v[30:33]
	v_lshl_add_u64 v[18:19], v[40:41], 2, s[8:9]
	global_load_dword v59, v[14:15], off
	global_load_dword v60, v[18:19], off
	v_lshl_add_u64 v[10:11], v[2:3], 0, v[44:45]
	v_mfma_f32_16x16x16_f16 v[2:5], v[4:5], v[20:21], v[22:25]
	v_add_u32_e32 v44, 1, v49
	v_add_u32_e32 v45, 3, v49
	;; [unrolled: 1-line block ×3, first 2 shown]
	v_mfma_f32_16x16x16_f16 v[14:17], v[16:17], v[20:21], v[34:37]
	v_add_u32_e32 v22, 2, v49
	s_nop 1
	v_pk_mul_f32 v[50:51], s[10:11], v[4:5] op_sel_hi:[0,1]
	v_cvt_f32_i32_e32 v18, v18
	v_mfma_f32_16x16x16_f16 v[6:9], v[8:9], v[20:21], v[26:29]
	v_add_u32_e32 v19, 19, v49
	v_pk_mul_f32 v[34:35], s[10:11], v[16:17] op_sel_hi:[0,1]
	v_pk_mul_f32 v[36:37], s[10:11], v[14:15] op_sel_hi:[0,1]
	v_cvt_f32_i32_e32 v27, v22
	v_mfma_f32_16x16x16_f16 v[22:25], v[12:13], v[20:21], v[30:33]
	v_pk_mul_f32 v[12:13], s[10:11], v[2:3] op_sel_hi:[0,1]
	v_cvt_f32_i32_e32 v26, v44
	v_cvt_f32_i32_e32 v28, v45
	v_pk_mul_f32 v[44:45], s[10:11], v[8:9] op_sel_hi:[0,1]
	v_pk_mul_f32 v[46:47], s[10:11], v[6:7] op_sel_hi:[0,1]
	v_cvt_f32_i32_e32 v19, v19
	v_fma_f32 v44, v48, v18, v44
	v_add_u32_e32 v18, 34, v49
	v_cvt_f32_i32_e32 v18, v18
	v_fmac_f32_e32 v45, v48, v19
	v_add_u32_e32 v19, 35, v49
	v_cvt_f32_i32_e32 v19, v19
	v_pk_mul_f32 v[40:41], s[10:11], v[22:23] op_sel_hi:[0,1]
	v_pk_mul_f32 v[38:39], s[10:11], v[24:25] op_sel_hi:[0,1]
	v_fma_f32 v38, v48, v18, v38
	v_add_u32_e32 v18, 50, v49
	s_waitcnt vmcnt(3)
	v_mad_i64_i32 v[2:3], s[4:5], v55, s45, 0
	s_waitcnt vmcnt(2)
	v_mad_i64_i32 v[4:5], s[4:5], v72, s45, 0
	v_lshl_add_u64 v[16:17], v[2:3], 1, v[10:11]
	v_lshl_add_u64 v[14:15], v[4:5], 1, v[10:11]
	global_load_dwordx4 v[6:9], v[16:17], off
	global_load_dwordx4 v[2:5], v[16:17], off offset:16
	v_add_u32_e32 v16, 16, v49
	v_cvt_f32_i32_e32 v16, v16
	v_add_u32_e32 v17, 17, v49
	v_cvt_f32_i32_e32 v17, v17
	v_fmac_f32_e32 v39, v48, v19
	v_fma_f32 v46, v48, v16, v46
	v_add_u32_e32 v16, 32, v49
	v_fmac_f32_e32 v47, v48, v17
	v_cvt_f32_i32_e32 v16, v16
	v_add_u32_e32 v17, 33, v49
	v_cvt_f32_i32_e32 v17, v17
	v_cvt_f32_i32_e32 v18, v18
	v_fma_f32 v40, v48, v16, v40
	v_add_u32_e32 v16, 48, v49
	v_fmac_f32_e32 v41, v48, v17
	v_cvt_f32_i32_e32 v16, v16
	v_add_u32_e32 v17, 49, v49
	v_cvt_f32_i32_e32 v17, v17
	v_add_u32_e32 v19, 51, v49
	v_cvt_f32_i32_e32 v19, v19
	v_fma_f32 v12, v48, v58, v12
	v_fmac_f32_e32 v13, v48, v26
	v_fma_f32 v36, v48, v16, v36
	v_mov_b32_e32 v16, 0xff7fffff
	v_cmp_gt_i32_e64 s[4:5], s33, v56
	v_fmac_f32_e32 v37, v48, v17
	v_fma_f32 v34, v48, v18, v34
	v_cndmask_b32_e64 v17, v16, v12, s[4:5]
	v_cndmask_b32_e64 v18, v16, v13, s[34:35]
	v_fmac_f32_e32 v35, v48, v19
	v_max3_f32 v17, v17, s42, v18
	v_or_b32_e32 v18, 2, v56
	v_or_b32_e32 v19, 3, v56
	v_fma_f32 v50, v48, v27, v50
	v_fmac_f32_e32 v51, v48, v28
	v_cmp_gt_i32_e64 s[36:37], s33, v18
	v_cmp_gt_i32_e64 s[38:39], s33, v19
	global_load_dwordx4 v[30:33], v[14:15], off
	global_load_dwordx4 v[26:29], v[14:15], off offset:16
	v_cndmask_b32_e64 v18, v16, v50, s[36:37]
	v_cndmask_b32_e64 v19, v16, v51, s[38:39]
	v_max3_f32 v17, v17, v18, v19
	v_or_b32_e32 v18, 16, v56
	v_or_b32_e32 v19, 17, v56
	v_cmp_gt_i32_e64 s[24:25], s33, v18
	v_cmp_gt_i32_e64 s[26:27], s33, v19
	s_nop 0
	v_cndmask_b32_e64 v18, v16, v46, s[24:25]
	v_cndmask_b32_e64 v19, v16, v47, s[26:27]
	v_max3_f32 v17, v17, v18, v19
	v_or_b32_e32 v18, 18, v56
	v_or_b32_e32 v19, 19, v56
	v_cmp_gt_i32_e64 s[20:21], s33, v18
	v_cmp_gt_i32_e64 s[22:23], s33, v19
	s_nop 0
	;; [unrolled: 8-line block ×5, first 2 shown]
	v_cndmask_b32_e64 v18, v16, v36, s[8:9]
	v_cndmask_b32_e64 v19, v16, v37, s[10:11]
	v_max3_f32 v17, v17, v18, v19
	v_or_b32_e32 v18, 50, v56
	v_or_b32_e32 v19, 51, v56
	v_cmp_gt_i32_e32 vcc, s33, v18
	v_cmp_gt_i32_e64 s[6:7], s33, v19
	s_nop 0
	v_cndmask_b32_e32 v18, v16, v34, vcc
	v_cndmask_b32_e64 v16, v16, v35, s[6:7]
	v_max3_f32 v16, v17, v18, v16
	v_mbcnt_lo_u32_b32 v17, -1, 0
	v_mbcnt_hi_u32_b32 v17, -1, v17
	v_and_b32_e32 v18, 64, v17
	v_add_u32_e32 v18, 64, v18
	v_xor_b32_e32 v19, 32, v17
	v_cmp_lt_i32_e64 s[40:41], v19, v18
	s_nop 1
	v_cndmask_b32_e64 v19, v17, v19, s[40:41]
	v_lshlrev_b32_e32 v56, 2, v19
	ds_bpermute_b32 v19, v56, v16
	s_waitcnt vmcnt(5)
	v_mad_i64_i32 v[14:15], s[40:41], v59, s45, 0
	v_lshl_add_u64 v[14:15], v[14:15], 1, v[10:11]
	s_waitcnt lgkmcnt(0)
	v_max_f32_e32 v19, v19, v19
	v_max_f32_e32 v16, v16, v19
	v_xor_b32_e32 v19, 16, v17
	v_cmp_lt_i32_e64 s[40:41], v19, v18
	s_nop 1
	v_cndmask_b32_e64 v17, v17, v19, s[40:41]
	v_lshlrev_b32_e32 v58, 2, v17
	ds_bpermute_b32 v17, v58, v16
	global_load_dwordx4 v[22:25], v[14:15], off
	global_load_dwordx4 v[18:21], v[14:15], off offset:16
	s_waitcnt vmcnt(6)
	v_mad_i64_i32 v[14:15], s[40:41], v60, s45, 0
	v_lshl_add_u64 v[10:11], v[14:15], 1, v[10:11]
	s_waitcnt lgkmcnt(0)
	v_max_f32_e32 v14, v17, v17
	v_max_f32_e32 v55, v16, v14
	v_sub_f32_e32 v12, v12, v55
	v_mul_f32_e32 v12, 0x3fb8aa3b, v12
	v_exp_f32_e32 v48, v12
	v_sub_f32_e32 v12, v13, v55
	v_mul_f32_e32 v12, 0x3fb8aa3b, v12
	v_exp_f32_e32 v49, v12
	global_load_dwordx4 v[14:17], v[10:11], off
	s_nop 0
	global_load_dwordx4 v[10:13], v[10:11], off offset:16
	v_sub_f32_e32 v50, v50, v55
	v_mul_f32_e32 v50, 0x3fb8aa3b, v50
	v_sub_f32_e32 v51, v51, v55
	v_exp_f32_e32 v50, v50
	v_mul_f32_e32 v51, 0x3fb8aa3b, v51
	v_sub_f32_e32 v46, v46, v55
	v_exp_f32_e32 v51, v51
	v_mul_f32_e32 v46, 0x3fb8aa3b, v46
	v_sub_f32_e32 v47, v47, v55
	v_cndmask_b32_e64 v48, 0, v48, s[4:5]
	v_exp_f32_e32 v46, v46
	v_mul_f32_e32 v47, 0x3fb8aa3b, v47
	v_sub_f32_e32 v44, v44, v55
	v_add_f32_e32 v57, 0, v48
	v_cndmask_b32_e64 v49, 0, v49, s[34:35]
	v_exp_f32_e32 v47, v47
	v_mul_f32_e32 v44, 0x3fb8aa3b, v44
	v_sub_f32_e32 v45, v45, v55
	v_add_f32_e32 v57, v57, v49
	v_cndmask_b32_e64 v50, 0, v50, s[36:37]
	v_exp_f32_e32 v44, v44
	v_mul_f32_e32 v45, 0x3fb8aa3b, v45
	v_sub_f32_e32 v40, v40, v55
	v_add_f32_e32 v57, v57, v50
	v_cndmask_b32_e64 v51, 0, v51, s[38:39]
	v_exp_f32_e32 v45, v45
	v_mul_f32_e32 v40, 0x3fb8aa3b, v40
	v_sub_f32_e32 v41, v41, v55
	v_add_f32_e32 v57, v57, v51
	v_cndmask_b32_e64 v46, 0, v46, s[24:25]
	v_exp_f32_e32 v40, v40
	v_mul_f32_e32 v41, 0x3fb8aa3b, v41
	v_sub_f32_e32 v38, v38, v55
	v_add_f32_e32 v57, v57, v46
	v_cndmask_b32_e64 v47, 0, v47, s[26:27]
	v_exp_f32_e32 v41, v41
	v_mul_f32_e32 v38, 0x3fb8aa3b, v38
	v_sub_f32_e32 v39, v39, v55
	v_add_f32_e32 v57, v57, v47
	v_cndmask_b32_e64 v44, 0, v44, s[20:21]
	v_exp_f32_e32 v38, v38
	v_mul_f32_e32 v39, 0x3fb8aa3b, v39
	v_sub_f32_e32 v36, v36, v55
	v_add_f32_e32 v57, v57, v44
	v_cndmask_b32_e64 v45, 0, v45, s[22:23]
	v_exp_f32_e32 v39, v39
	v_mul_f32_e32 v36, 0x3fb8aa3b, v36
	v_sub_f32_e32 v37, v37, v55
	v_add_f32_e32 v57, v57, v45
	v_cndmask_b32_e64 v40, 0, v40, s[16:17]
	v_exp_f32_e32 v36, v36
	v_mul_f32_e32 v37, 0x3fb8aa3b, v37
	v_sub_f32_e32 v34, v34, v55
	v_add_f32_e32 v57, v57, v40
	v_cndmask_b32_e64 v41, 0, v41, s[18:19]
	v_exp_f32_e32 v37, v37
	v_mul_f32_e32 v34, 0x3fb8aa3b, v34
	v_sub_f32_e32 v35, v35, v55
	v_add_f32_e32 v57, v57, v41
	v_cndmask_b32_e64 v38, 0, v38, s[12:13]
	v_exp_f32_e32 v34, v34
	v_mul_f32_e32 v35, 0x3fb8aa3b, v35
	v_add_f32_e32 v57, v57, v38
	v_cndmask_b32_e64 v39, 0, v39, s[14:15]
	v_exp_f32_e32 v35, v35
	v_add_f32_e32 v57, v57, v39
	v_cndmask_b32_e64 v36, 0, v36, s[8:9]
	v_add_f32_e32 v57, v57, v36
	v_cndmask_b32_e64 v37, 0, v37, s[10:11]
	v_add_f32_e32 v57, v57, v37
	v_cndmask_b32_e32 v34, 0, v34, vcc
	v_add_f32_e32 v57, v57, v34
	v_cndmask_b32_e64 v35, 0, v35, s[6:7]
	v_add_f32_e32 v57, v57, v35
	ds_bpermute_b32 v56, v56, v57
	s_load_dword s7, s[0:1], 0x98
	v_cmp_gt_u32_e32 vcc, 16, v52
	s_waitcnt lgkmcnt(0)
	s_barrier
	v_add_f32_e32 v57, v57, v56
	ds_bpermute_b32 v58, v58, v57
	v_lshlrev_b32_e32 v56, 2, v54
	s_waitcnt lgkmcnt(0)
	s_and_saveexec_b64 s[4:5], vcc
	s_cbranch_execz .LBB129_17
; %bb.16:
	v_add_f32_e32 v57, v57, v58
	v_lshl_or_b32 v58, v53, 6, v56
	ds_write2st64_b32 v58, v55, v57 offset1:1
.LBB129_17:
	s_or_b64 exec, exec, s[4:5]
	s_load_dword s6, s[0:1], 0x94
	s_waitcnt lgkmcnt(0)
	s_barrier
	ds_read2_b32 v[58:59], v56 offset1:16
	ds_read2_b32 v[60:61], v56 offset0:32 offset1:48
	ds_read2_b32 v[62:63], v56 offset0:64 offset1:80
	s_lshl_b32 s7, s7, 1
	s_waitcnt lgkmcnt(2)
	v_max3_f32 v55, v58, s42, v59
	s_waitcnt lgkmcnt(1)
	v_max3_f32 v55, v55, v60, v61
	v_sub_f32_e32 v57, v58, v55
	v_sub_f32_e32 v58, v59, v55
	v_mul_f32_e32 v58, 0x3fb8aa3b, v58
	v_mul_f32_e32 v57, 0x3fb8aa3b, v57
	v_exp_f32_e32 v64, v58
	v_sub_f32_e32 v58, v60, v55
	v_exp_f32_e32 v57, v57
	v_mul_f32_e32 v58, 0x3fb8aa3b, v58
	v_exp_f32_e32 v60, v58
	ds_read2_b32 v[58:59], v56 offset0:96 offset1:112
	v_sub_f32_e32 v56, v61, v55
	v_mul_f32_e32 v56, 0x3fb8aa3b, v56
	v_exp_f32_e32 v61, v56
	s_waitcnt lgkmcnt(1)
	v_fma_f32 v56, v57, v62, 0
	v_fmac_f32_e32 v56, v64, v63
	s_waitcnt lgkmcnt(0)
	v_fmac_f32_e32 v56, v60, v58
	v_fmac_f32_e32 v56, v61, v59
	v_add_f32_e32 v58, 0x358637bd, v56
	v_div_scale_f32 v59, s[4:5], v58, v58, 1.0
	v_rcp_f32_e32 v62, v59
	s_barrier
	v_fma_f32 v63, -v59, v62, 1.0
	v_fmac_f32_e32 v62, v63, v62
	v_div_scale_f32 v63, vcc, 1.0, v58, 1.0
	v_mul_f32_e32 v65, v63, v62
	v_fma_f32 v66, -v59, v65, v63
	v_fmac_f32_e32 v65, v66, v62
	v_fma_f32 v59, -v59, v65, v63
	v_div_fmas_f32 v59, v59, v62, v65
	v_cmp_eq_u32_e32 vcc, 1, v53
	v_div_fixup_f32 v58, v59, v58, 1.0
	s_nop 0
	v_cndmask_b32_e32 v57, v57, v64, vcc
	v_cmp_eq_u32_e32 vcc, 2, v53
	s_nop 1
	v_cndmask_b32_e32 v57, v57, v60, vcc
	v_cmp_eq_u32_e32 vcc, 3, v53
	s_nop 1
	v_cndmask_b32_e32 v57, v57, v61, vcc
	v_mul_f32_e32 v58, v57, v58
	v_pk_mul_f32 v[48:49], v[58:59], v[48:49] op_sel_hi:[0,1]
	v_cvt_f16_f32_e32 v48, v48
	v_cvt_f16_f32_e32 v49, v49
	v_pk_mul_f32 v[50:51], v[58:59], v[50:51] op_sel_hi:[0,1]
	v_pk_mul_f32 v[44:45], v[58:59], v[44:45] op_sel_hi:[0,1]
	;; [unrolled: 1-line block ×3, first 2 shown]
	v_cvt_f16_f32_e32 v57, v50
	v_cvt_f16_f32_e32 v51, v51
	v_pack_b32_f16 v50, v48, v49
	v_lshlrev_b32_e32 v48, 5, v54
	v_cvt_f16_f32_e32 v46, v46
	v_cvt_f16_f32_e32 v47, v47
	;; [unrolled: 1-line block ×4, first 2 shown]
	v_lshlrev_b32_e32 v49, 3, v1
	v_lshlrev_b32_e32 v44, 11, v53
	v_pack_b32_f16 v51, v57, v51
	v_or3_b32 v44, v44, v48, v49
	v_pack_b32_f16 v46, v46, v47
	v_pack_b32_f16 v47, v54, v45
	v_pk_mul_f32 v[38:39], v[58:59], v[38:39] op_sel_hi:[0,1]
	v_pk_mul_f32 v[40:41], v[58:59], v[40:41] op_sel_hi:[0,1]
	;; [unrolled: 1-line block ×4, first 2 shown]
	ds_write2st64_b64 v44, v[50:51], v[46:47] offset1:1
	v_cvt_f16_f32_e32 v40, v40
	v_cvt_f16_f32_e32 v41, v41
	;; [unrolled: 1-line block ×8, first 2 shown]
	v_pack_b32_f16 v34, v40, v41
	v_pack_b32_f16 v35, v38, v39
	;; [unrolled: 1-line block ×4, first 2 shown]
	v_cmp_gt_u32_e32 vcc, 2, v0
	ds_write2st64_b64 v44, v[34:35], v[36:37] offset0:2 offset1:3
	s_and_saveexec_b64 s[4:5], vcc
	s_cbranch_execz .LBB129_19
; %bb.18:
	v_or_b32_e32 v34, s29, v0
	v_mov_b32_e32 v35, 0
	v_mov_b32_e32 v36, s7
	v_mad_u64_u32 v[36:37], s[12:13], s2, v36, v[34:35]
	v_mov_b32_e32 v34, s28
	s_load_dwordx4 s[8:11], s[0:1], 0x58
	s_mul_i32 s3, s3, s7
	v_mad_u64_u32 v[34:35], s[12:13], v36, s6, v[34:35]
	v_add_u32_e32 v37, s3, v37
	v_mov_b32_e32 v36, v35
	v_mad_u64_u32 v[36:37], s[12:13], v37, s6, v[36:37]
	v_mov_b32_e32 v35, v36
	v_lshlrev_b64 v[34:35], 2, v[34:35]
	s_waitcnt lgkmcnt(0)
	v_lshl_add_u64 v[36:37], s[10:11], 0, v[34:35]
	v_lshl_add_u64 v[34:35], s[8:9], 0, v[34:35]
	global_store_dword v[36:37], v55, off
	global_store_dword v[34:35], v56, off
.LBB129_19:
	s_or_b64 exec, exec, s[4:5]
	v_lshl_or_b32 v45, v1, 9, v48
	s_waitcnt lgkmcnt(0)
	s_barrier
	ds_read_b128 v[34:37], v45
	ds_read_b128 v[38:41], v45 offset:16
	s_waitcnt vmcnt(7) lgkmcnt(1)
	v_mfma_f32_16x16x16_f16 v[46:49], v[6:7], v[34:35], 0
	v_cmp_gt_u32_e32 vcc, 64, v0
	v_cmp_gt_u32_e64 s[4:5], 32, v52
	s_and_b64 s[4:5], s[4:5], vcc
	v_mfma_f32_16x16x16_f16 v[6:9], v[8:9], v[36:37], v[46:49]
	s_mov_b32 s3, 0
	s_and_b64 s[4:5], s[4:5], s[30:31]
	s_waitcnt vmcnt(6) lgkmcnt(0)
	v_mfma_f32_16x16x16_f16 v[6:9], v[2:3], v[38:39], v[6:9]
	v_mfma_f32_16x16x16_f16 v[2:5], v[4:5], v[40:41], v[6:9]
	s_nop 5
	ds_read_b128 v[6:9], v45 offset:2048
	ds_read_b128 v[34:37], v45 offset:2064
	s_waitcnt vmcnt(5) lgkmcnt(1)
	v_mfma_f32_16x16x16_f16 v[2:5], v[30:31], v[6:7], v[2:5]
	v_mfma_f32_16x16x16_f16 v[2:5], v[32:33], v[8:9], v[2:5]
	s_waitcnt vmcnt(4) lgkmcnt(0)
	v_mfma_f32_16x16x16_f16 v[2:5], v[26:27], v[34:35], v[2:5]
	v_mfma_f32_16x16x16_f16 v[2:5], v[28:29], v[36:37], v[2:5]
	ds_read_b128 v[6:9], v45 offset:4096
	ds_read_b128 v[26:29], v45 offset:4112
	s_waitcnt vmcnt(3) lgkmcnt(1)
	v_mfma_f32_16x16x16_f16 v[2:5], v[22:23], v[6:7], v[2:5]
	v_mfma_f32_16x16x16_f16 v[2:5], v[24:25], v[8:9], v[2:5]
	s_waitcnt vmcnt(2) lgkmcnt(0)
	v_mfma_f32_16x16x16_f16 v[2:5], v[18:19], v[26:27], v[2:5]
	v_mfma_f32_16x16x16_f16 v[2:5], v[20:21], v[28:29], v[2:5]
	ds_read_b128 v[6:9], v45 offset:6144
	ds_read_b128 v[18:21], v45 offset:6160
	s_waitcnt lgkmcnt(0)
	s_barrier
	s_waitcnt vmcnt(1)
	v_mfma_f32_16x16x16_f16 v[2:5], v[14:15], v[6:7], v[2:5]
	v_mfma_f32_16x16x16_f16 v[2:5], v[16:17], v[8:9], v[2:5]
	s_waitcnt vmcnt(0)
	v_mfma_f32_16x16x16_f16 v[2:5], v[10:11], v[18:19], v[2:5]
	v_mfma_f32_16x16x16_f16 v[2:5], v[12:13], v[20:21], v[2:5]
	s_nop 6
	v_cvt_f16_f32_e32 v2, v2
	v_cvt_f16_f32_e32 v3, v3
	;; [unrolled: 1-line block ×4, first 2 shown]
	v_pack_b32_f16 v2, v2, v3
	v_pack_b32_f16 v3, v4, v5
	ds_write_b64 v44, v[2:3]
	s_waitcnt lgkmcnt(0)
	s_barrier
	s_and_saveexec_b64 s[8:9], s[4:5]
	s_cbranch_execz .LBB129_21
; %bb.20:
	s_load_dwordx2 s[0:1], s[0:1], 0x68
	s_mul_i32 s2, s7, s2
	s_lshl_b32 s6, s6, 6
	s_mul_hi_u32 s5, s2, s6
	s_mul_i32 s4, s2, s6
	v_lshlrev_b32_e32 v2, 10, v0
	v_lshlrev_b32_e32 v0, 4, v0
	s_lshl_b64 s[4:5], s[4:5], 1
	v_and_b32_e32 v2, 0x1800, v2
	v_lshlrev_b32_e32 v3, 5, v1
	v_and_b32_e32 v0, 16, v0
	s_waitcnt lgkmcnt(0)
	s_add_u32 s4, s0, s4
	v_or3_b32 v0, v2, v3, v0
	s_addc_u32 s5, s1, s5
	s_lshl_b32 s2, s28, 6
	ds_read_b128 v[2:5], v0
	s_lshl_b64 s[0:1], s[2:3], 1
	s_add_u32 s0, s4, s0
	v_or_b32_e32 v0, s29, v1
	s_addc_u32 s1, s5, s1
	v_mad_u64_u32 v[0:1], s[2:3], s6, v0, 0
	v_lshl_add_u64 v[0:1], v[0:1], 1, s[0:1]
	v_lshl_add_u64 v[0:1], v[42:43], 1, v[0:1]
	s_waitcnt lgkmcnt(0)
	global_store_dwordx4 v[0:1], v[2:5], off
.LBB129_21:
	s_endpgm
	.section	.rodata,"a",@progbits
	.p2align	6, 0x0
	.amdhsa_kernel _Z39paged_attention_ll4mi_QKV_mfma16_kernelIDF16_DF16_LN4vllm18Fp8KVCacheDataTypeE0EhLi32ELi64ELi256ELb1ELi2EEvPKT_PKT0_S7_ifPKiS9_S9_iPKfiiiPfSC_PS2_PT2_iSB_SB_
		.amdhsa_group_segment_fixed_size 8192
		.amdhsa_private_segment_fixed_size 0
		.amdhsa_kernarg_size 400
		.amdhsa_user_sgpr_count 2
		.amdhsa_user_sgpr_dispatch_ptr 0
		.amdhsa_user_sgpr_queue_ptr 0
		.amdhsa_user_sgpr_kernarg_segment_ptr 1
		.amdhsa_user_sgpr_dispatch_id 0
		.amdhsa_user_sgpr_kernarg_preload_length 0
		.amdhsa_user_sgpr_kernarg_preload_offset 0
		.amdhsa_user_sgpr_private_segment_size 0
		.amdhsa_uses_dynamic_stack 0
		.amdhsa_enable_private_segment 0
		.amdhsa_system_sgpr_workgroup_id_x 1
		.amdhsa_system_sgpr_workgroup_id_y 1
		.amdhsa_system_sgpr_workgroup_id_z 1
		.amdhsa_system_sgpr_workgroup_info 0
		.amdhsa_system_vgpr_workitem_id 0
		.amdhsa_next_free_vgpr 73
		.amdhsa_next_free_sgpr 48
		.amdhsa_accum_offset 76
		.amdhsa_reserve_vcc 1
		.amdhsa_float_round_mode_32 0
		.amdhsa_float_round_mode_16_64 0
		.amdhsa_float_denorm_mode_32 3
		.amdhsa_float_denorm_mode_16_64 3
		.amdhsa_dx10_clamp 1
		.amdhsa_ieee_mode 1
		.amdhsa_fp16_overflow 0
		.amdhsa_tg_split 0
		.amdhsa_exception_fp_ieee_invalid_op 0
		.amdhsa_exception_fp_denorm_src 0
		.amdhsa_exception_fp_ieee_div_zero 0
		.amdhsa_exception_fp_ieee_overflow 0
		.amdhsa_exception_fp_ieee_underflow 0
		.amdhsa_exception_fp_ieee_inexact 0
		.amdhsa_exception_int_div_zero 0
	.end_amdhsa_kernel
	.section	.text._Z39paged_attention_ll4mi_QKV_mfma16_kernelIDF16_DF16_LN4vllm18Fp8KVCacheDataTypeE0EhLi32ELi64ELi256ELb1ELi2EEvPKT_PKT0_S7_ifPKiS9_S9_iPKfiiiPfSC_PS2_PT2_iSB_SB_,"axG",@progbits,_Z39paged_attention_ll4mi_QKV_mfma16_kernelIDF16_DF16_LN4vllm18Fp8KVCacheDataTypeE0EhLi32ELi64ELi256ELb1ELi2EEvPKT_PKT0_S7_ifPKiS9_S9_iPKfiiiPfSC_PS2_PT2_iSB_SB_,comdat
.Lfunc_end129:
	.size	_Z39paged_attention_ll4mi_QKV_mfma16_kernelIDF16_DF16_LN4vllm18Fp8KVCacheDataTypeE0EhLi32ELi64ELi256ELb1ELi2EEvPKT_PKT0_S7_ifPKiS9_S9_iPKfiiiPfSC_PS2_PT2_iSB_SB_, .Lfunc_end129-_Z39paged_attention_ll4mi_QKV_mfma16_kernelIDF16_DF16_LN4vllm18Fp8KVCacheDataTypeE0EhLi32ELi64ELi256ELb1ELi2EEvPKT_PKT0_S7_ifPKiS9_S9_iPKfiiiPfSC_PS2_PT2_iSB_SB_
                                        ; -- End function
	.section	.AMDGPU.csdata,"",@progbits
; Kernel info:
; codeLenInByte = 4092
; NumSgprs: 54
; NumVgprs: 73
; NumAgprs: 0
; TotalNumVgprs: 73
; ScratchSize: 0
; MemoryBound: 0
; FloatMode: 240
; IeeeMode: 1
; LDSByteSize: 8192 bytes/workgroup (compile time only)
; SGPRBlocks: 6
; VGPRBlocks: 9
; NumSGPRsForWavesPerEU: 54
; NumVGPRsForWavesPerEU: 73
; AccumOffset: 76
; Occupancy: 6
; WaveLimiterHint : 1
; COMPUTE_PGM_RSRC2:SCRATCH_EN: 0
; COMPUTE_PGM_RSRC2:USER_SGPR: 2
; COMPUTE_PGM_RSRC2:TRAP_HANDLER: 0
; COMPUTE_PGM_RSRC2:TGID_X_EN: 1
; COMPUTE_PGM_RSRC2:TGID_Y_EN: 1
; COMPUTE_PGM_RSRC2:TGID_Z_EN: 1
; COMPUTE_PGM_RSRC2:TIDIG_COMP_CNT: 0
; COMPUTE_PGM_RSRC3_GFX90A:ACCUM_OFFSET: 18
; COMPUTE_PGM_RSRC3_GFX90A:TG_SPLIT: 0
	.section	.text._Z39paged_attention_ll4mi_QKV_mfma16_kernelIDF16_DF16_LN4vllm18Fp8KVCacheDataTypeE0EhLi32ELi64ELi256ELb1ELi3EEvPKT_PKT0_S7_ifPKiS9_S9_iPKfiiiPfSC_PS2_PT2_iSB_SB_,"axG",@progbits,_Z39paged_attention_ll4mi_QKV_mfma16_kernelIDF16_DF16_LN4vllm18Fp8KVCacheDataTypeE0EhLi32ELi64ELi256ELb1ELi3EEvPKT_PKT0_S7_ifPKiS9_S9_iPKfiiiPfSC_PS2_PT2_iSB_SB_,comdat
	.protected	_Z39paged_attention_ll4mi_QKV_mfma16_kernelIDF16_DF16_LN4vllm18Fp8KVCacheDataTypeE0EhLi32ELi64ELi256ELb1ELi3EEvPKT_PKT0_S7_ifPKiS9_S9_iPKfiiiPfSC_PS2_PT2_iSB_SB_ ; -- Begin function _Z39paged_attention_ll4mi_QKV_mfma16_kernelIDF16_DF16_LN4vllm18Fp8KVCacheDataTypeE0EhLi32ELi64ELi256ELb1ELi3EEvPKT_PKT0_S7_ifPKiS9_S9_iPKfiiiPfSC_PS2_PT2_iSB_SB_
	.globl	_Z39paged_attention_ll4mi_QKV_mfma16_kernelIDF16_DF16_LN4vllm18Fp8KVCacheDataTypeE0EhLi32ELi64ELi256ELb1ELi3EEvPKT_PKT0_S7_ifPKiS9_S9_iPKfiiiPfSC_PS2_PT2_iSB_SB_
	.p2align	8
	.type	_Z39paged_attention_ll4mi_QKV_mfma16_kernelIDF16_DF16_LN4vllm18Fp8KVCacheDataTypeE0EhLi32ELi64ELi256ELb1ELi3EEvPKT_PKT0_S7_ifPKiS9_S9_iPKfiiiPfSC_PS2_PT2_iSB_SB_,@function
_Z39paged_attention_ll4mi_QKV_mfma16_kernelIDF16_DF16_LN4vllm18Fp8KVCacheDataTypeE0EhLi32ELi64ELi256ELb1ELi3EEvPKT_PKT0_S7_ifPKiS9_S9_iPKfiiiPfSC_PS2_PT2_iSB_SB_: ; @_Z39paged_attention_ll4mi_QKV_mfma16_kernelIDF16_DF16_LN4vllm18Fp8KVCacheDataTypeE0EhLi32ELi64ELi256ELb1ELi3EEvPKT_PKT0_S7_ifPKiS9_S9_iPKfiiiPfSC_PS2_PT2_iSB_SB_
; %bb.0:
	s_load_dwordx2 s[6:7], s[0:1], 0x30
	s_mov_b32 s28, s3
	s_mov_b64 s[8:9], 0
	s_waitcnt lgkmcnt(0)
	s_cmp_lg_u64 s[6:7], 0
	s_cselect_b64 s[10:11], -1, 0
	s_and_b64 vcc, exec, s[10:11]
	s_cbranch_vccz .LBB130_7
; %bb.1:
	s_add_i32 s12, s2, 1
	s_mov_b32 s13, 0
	s_lshl_b64 s[14:15], s[12:13], 2
	s_add_u32 s14, s6, s14
	s_mov_b32 s3, s13
	s_addc_u32 s15, s7, s15
	s_lshl_b64 s[12:13], s[2:3], 2
	s_add_u32 s12, s6, s12
	s_addc_u32 s13, s7, s13
	s_load_dword s5, s[14:15], 0x0
	s_load_dword s16, s[12:13], 0x0
	s_waitcnt lgkmcnt(0)
	s_sub_i32 s5, s5, s16
	s_cmp_eq_u32 s5, 1
	s_cselect_b64 s[12:13], -1, 0
	s_andn2_b64 vcc, exec, s[8:9]
	s_cbranch_vccnz .LBB130_3
.LBB130_2:
	s_mov_b32 s3, 0
	s_mov_b64 s[12:13], -1
.LBB130_3:
	s_andn2_b64 vcc, exec, s[12:13]
	s_cbranch_vccnz .LBB130_21
; %bb.4:
	s_load_dwordx2 s[8:9], s[0:1], 0x28
	s_lshl_b64 s[12:13], s[2:3], 2
	s_waitcnt lgkmcnt(0)
	s_add_u32 s8, s8, s12
	s_addc_u32 s9, s9, s13
	s_load_dword s29, s[8:9], 0x0
	s_lshl_b32 s14, s28, 8
	s_waitcnt lgkmcnt(0)
	s_cmp_ge_i32 s14, s29
	s_cbranch_scc1 .LBB130_21
; %bb.5:
	s_load_dwordx2 s[8:9], s[0:1], 0x20
	s_load_dword s5, s[0:1], 0x38
	s_add_i32 s15, s29, 31
	s_ashr_i32 s16, s15, 31
	v_and_b32_e32 v1, 0xcf, v0
	s_lshr_b32 s16, s16, 27
	v_add_u32_e32 v1, s14, v1
	s_add_i32 s15, s15, s16
	v_ashrrev_i32_e32 v2, 31, v1
	s_ashr_i32 s15, s15, 5
	v_lshrrev_b32_e32 v6, 27, v2
	s_add_i32 s15, s15, -1
	s_waitcnt lgkmcnt(0)
	s_mul_i32 s16, s2, s5
	s_mov_b32 s17, 0
	v_add_u32_e32 v2, v1, v6
	s_lshl_b64 s[16:17], s[16:17], 2
	v_ashrrev_i32_e32 v2, 5, v2
	v_mov_b32_e32 v7, s15
	v_cmp_gt_i32_e32 vcc, s29, v1
	s_add_u32 s8, s8, s16
	s_addc_u32 s9, s9, s17
	v_cndmask_b32_e32 v2, v7, v2, vcc
	v_ashrrev_i32_e32 v3, 31, v2
	v_lshl_add_u64 v[4:5], v[2:3], 2, s[8:9]
	v_or_b32_e32 v2, 16, v1
	v_add_u32_e32 v3, v2, v6
	v_ashrrev_i32_e32 v3, 5, v3
	v_cmp_gt_i32_e32 vcc, s29, v2
	s_nop 1
	v_cndmask_b32_e32 v2, v7, v3, vcc
	v_ashrrev_i32_e32 v3, 31, v2
	v_lshl_add_u64 v[8:9], v[2:3], 2, s[8:9]
	v_or_b32_e32 v2, 32, v1
	v_add_u32_e32 v3, v2, v6
	v_ashrrev_i32_e32 v3, 5, v3
	v_cmp_gt_i32_e32 vcc, s29, v2
	v_or_b32_e32 v1, 48, v1
	s_nop 0
	v_cndmask_b32_e32 v2, v7, v3, vcc
	v_ashrrev_i32_e32 v3, 31, v2
	v_lshl_add_u64 v[12:13], v[2:3], 2, s[8:9]
	v_add_u32_e32 v2, v1, v6
	v_ashrrev_i32_e32 v2, 5, v2
	v_cmp_gt_i32_e32 vcc, s29, v1
	s_nop 1
	v_cndmask_b32_e32 v2, v7, v2, vcc
	v_ashrrev_i32_e32 v3, 31, v2
	v_lshl_add_u64 v[16:17], v[2:3], 2, s[8:9]
	global_load_dword v2, v[4:5], off
	global_load_dword v6, v[8:9], off
	;; [unrolled: 1-line block ×4, first 2 shown]
	s_andn2_b64 vcc, exec, s[10:11]
	s_cbranch_vccnz .LBB130_8
; %bb.6:
	s_add_u32 s6, s6, s12
	s_addc_u32 s7, s7, s13
	s_load_dword s5, s[6:7], 0x0
	s_branch .LBB130_9
.LBB130_7:
	s_mov_b64 s[12:13], 0
	s_branch .LBB130_2
.LBB130_8:
	s_mov_b32 s5, s2
.LBB130_9:
	s_load_dwordx2 s[10:11], s[0:1], 0x8
	s_load_dwordx4 s[44:47], s[0:1], 0x48
	v_lshrrev_b32_e32 v45, 6, v0
	v_bfe_u32 v1, v0, 4, 2
	v_lshl_or_b32 v3, v45, 2, v1
	v_and_b32_e32 v44, 15, v0
	v_cmp_lt_u32_e32 vcc, 2, v3
	v_cmp_lt_u32_e64 s[6:7], 7, v44
	s_mul_i32 s42, s4, 3
	v_lshlrev_b32_e32 v42, 3, v44
	v_cmp_gt_u32_e64 s[30:31], 8, v44
	s_or_b64 s[6:7], s[6:7], vcc
	s_and_saveexec_b64 s[12:13], s[6:7]
	s_xor_b64 s[6:7], exec, s[12:13]
; %bb.10:
	v_mov_b32_e32 v43, 0
                                        ; implicit-def: $vgpr3
; %bb.11:
	s_or_saveexec_b64 s[12:13], s[6:7]
	s_load_dwordx2 s[6:7], s[0:1], 0x10
	v_add_u32_e32 v54, s42, v1
	s_xor_b64 exec, exec, s[12:13]
	s_cbranch_execz .LBB130_13
; %bb.12:
	s_load_dwordx2 s[16:17], s[0:1], 0x0
	s_waitcnt lgkmcnt(0)
	s_ashr_i32 s18, s44, 31
	s_mul_hi_u32 s19, s5, s44
	s_mul_i32 s18, s5, s18
	s_add_i32 s19, s19, s18
	s_mul_i32 s18, s5, s44
	s_lshl_b64 s[18:19], s[18:19], 1
	s_add_u32 s16, s16, s18
	v_lshlrev_b32_e32 v4, 6, v54
	s_addc_u32 s17, s17, s19
	v_ashrrev_i32_e32 v5, 31, v4
	v_mov_b32_e32 v43, 0
	v_lshl_add_u64 v[4:5], v[4:5], 1, s[16:17]
	v_lshlrev_b32_e32 v8, 1, v42
	v_mov_b32_e32 v9, v43
	v_lshl_add_u64 v[4:5], v[4:5], 0, v[8:9]
	global_load_dwordx4 v[16:19], v[4:5], off
	v_and_b32_e32 v4, 3, v0
	v_lshlrev_b32_e32 v5, 9, v44
	v_lshlrev_b32_e32 v3, 5, v3
	v_lshlrev_b32_e32 v4, 9, v4
	v_and_b32_e32 v5, 0x1800, v5
	v_or3_b32 v3, v5, v4, v3
	s_waitcnt vmcnt(0)
	ds_write_b128 v3, v[16:19]
.LBB130_13:
	s_or_b64 exec, exec, s[12:13]
	s_waitcnt lgkmcnt(0)
	s_mul_i32 s4, s4, s46
	s_mov_b32 s5, 0
	s_lshl_b64 s[4:5], s[4:5], 1
	s_add_u32 s10, s10, s4
	s_addc_u32 s11, s11, s5
	s_waitcnt vmcnt(3)
	v_mad_i64_i32 v[2:3], s[12:13], v2, s45, 0
	v_lshl_add_u64 v[2:3], v[2:3], 1, s[10:11]
	v_lshlrev_b64 v[12:13], 1, v[42:43]
	v_lshlrev_b32_e32 v46, 9, v1
	v_lshl_add_u64 v[2:3], v[2:3], 0, v[12:13]
	v_mov_b32_e32 v47, 0
	v_lshl_add_u64 v[8:9], v[2:3], 0, v[46:47]
	s_barrier
	global_load_dwordx4 v[22:25], v[8:9], off
	global_load_dwordx4 v[2:5], v[8:9], off offset:2048
	s_waitcnt vmcnt(4)
	v_mad_i64_i32 v[6:7], s[12:13], v6, s45, 0
	v_mov_b32_e32 v8, 0x100
	v_lshl_add_u64 v[6:7], v[6:7], 1, s[10:11]
	v_lshl_or_b32 v16, v44, 4, v8
	v_mov_b32_e32 v17, v47
	s_waitcnt vmcnt(3)
	v_mad_i64_i32 v[10:11], s[12:13], v10, s45, 0
	v_lshl_add_u64 v[6:7], v[6:7], 0, v[16:17]
	v_lshl_add_u64 v[10:11], v[10:11], 1, s[10:11]
	s_waitcnt vmcnt(2)
	v_mad_i64_i32 v[14:15], s[12:13], v14, s45, 0
	v_lshl_add_u64 v[18:19], v[6:7], 0, v[46:47]
	v_lshl_add_u64 v[10:11], v[10:11], 0, v[12:13]
	;; [unrolled: 1-line block ×3, first 2 shown]
	global_load_dwordx4 v[26:29], v[18:19], off
	global_load_dwordx4 v[6:9], v[18:19], off offset:2048
	v_lshl_add_u64 v[18:19], v[10:11], 0, v[46:47]
	v_lshl_add_u64 v[14:15], v[14:15], 0, v[16:17]
	global_load_dwordx4 v[30:33], v[18:19], off
	global_load_dwordx4 v[10:13], v[18:19], off offset:2048
	v_lshl_add_u64 v[18:19], v[14:15], 0, v[46:47]
	global_load_dwordx4 v[34:37], v[18:19], off
	global_load_dwordx4 v[14:17], v[18:19], off offset:2048
	v_mul_lo_u16_e32 v18, 0x56, v44
	v_mov_b32_e32 v19, 3
	v_mul_lo_u16_sdwa v18, v18, v19 dst_sel:DWORD dst_unused:UNUSED_PAD src0_sel:BYTE_1 src1_sel:DWORD
	v_sub_u16_e32 v18, v44, v18
	v_and_b32_e32 v18, 0xff, v18
	v_lshl_add_u32 v18, v18, 5, v46
	ds_read_b128 v[38:41], v18
	ds_read_b128 v[18:21], v18 offset:2048
	v_and_b32_e32 v55, 63, v0
	v_cmp_gt_u32_e32 vcc, 3, v44
	v_mov_b32_e32 v50, 0
	s_and_saveexec_b64 s[10:11], vcc
	s_cbranch_execz .LBB130_15
; %bb.14:
	s_load_dwordx2 s[12:13], s[0:1], 0x40
	v_add_u32_e32 v48, s42, v44
	v_ashrrev_i32_e32 v49, 31, v48
	s_waitcnt lgkmcnt(0)
	v_lshl_add_u64 v[48:49], v[48:49], 2, s[12:13]
	global_load_dword v50, v[48:49], off
.LBB130_15:
	s_or_b64 exec, exec, s[10:11]
	s_ashr_i32 s10, s14, 31
	v_and_or_b32 v46, v0, 48, s14
	s_lshr_b32 s11, s10, 27
	v_add_u32_e32 v48, s11, v46
	v_or_b32_e32 v52, 64, v46
	v_ashrrev_i32_e32 v48, 5, v48
	v_mov_b32_e32 v51, s15
	v_cmp_gt_i32_e32 vcc, s29, v46
	v_add_u32_e32 v53, s11, v52
	s_waitcnt vmcnt(7) lgkmcnt(1)
	v_mfma_f32_16x16x16_f16 v[56:59], v[22:23], v[38:39], 0
	v_cndmask_b32_e32 v48, v51, v48, vcc
	v_ashrrev_i32_e32 v22, 5, v53
	v_cmp_gt_i32_e32 vcc, s29, v52
	v_ashrrev_i32_e32 v49, 31, v48
	v_lshl_add_u64 v[48:49], v[48:49], 2, s[8:9]
	v_cndmask_b32_e32 v22, v51, v22, vcc
	v_ashrrev_i32_e32 v23, 31, v22
	v_lshl_add_u64 v[22:23], v[22:23], 2, s[8:9]
	global_load_dword v72, v[48:49], off
	global_load_dword v73, v[22:23], off
	s_waitcnt vmcnt(3)
	v_mfma_f32_16x16x16_f16 v[68:71], v[34:35], v[38:39], 0
	v_or_b32_e32 v48, 0xc0, v46
	v_add_u32_e32 v52, s11, v48
	s_add_u32 s4, s6, s4
	v_mfma_f32_16x16x16_f16 v[60:63], v[26:27], v[38:39], 0
	s_addc_u32 s5, s7, s5
	s_load_dword s10, s[0:1], 0x1c
	s_mov_b32 s33, 0xff7fffff
	v_mfma_f32_16x16x16_f16 v[64:67], v[30:31], v[38:39], 0
	v_and_b32_e32 v31, 0xc0, v0
	v_or_b32_e32 v38, 0x80, v46
	v_add_u32_e32 v34, s14, v31
	v_mfma_f32_16x16x16_f16 v[22:25], v[24:25], v[40:41], v[56:59]
	v_and_b32_e32 v30, 16, v0
	v_add_u32_e32 v49, s11, v38
	v_lshlrev_b32_e32 v46, 1, v30
	v_lshl_or_b32 v56, v1, 2, v34
	v_mfma_f32_16x16x16_f16 v[34:37], v[36:37], v[40:41], v[68:71]
	v_cmp_gt_i32_e32 vcc, s29, v38
	v_lshlrev_b32_e32 v39, 6, v44
	v_or_b32_e32 v57, 1, v56
	v_mfma_f32_16x16x16_f16 v[26:29], v[28:29], v[40:41], v[60:63]
	v_cmp_gt_i32_e64 s[34:35], s29, v57
	v_mfma_f32_16x16x16_f16 v[30:33], v[32:33], v[40:41], v[64:67]
	v_ashrrev_i32_e32 v40, 5, v49
	v_ashrrev_i32_e32 v41, 5, v52
	v_cndmask_b32_e32 v38, v51, v40, vcc
	v_cmp_gt_i32_e32 vcc, s29, v48
	s_waitcnt lgkmcnt(0)
	v_mfma_f32_16x16x16_f16 v[22:25], v[2:3], v[18:19], v[22:25]
	v_lshl_add_u64 v[2:3], s[4:5], 0, v[46:47]
	v_cndmask_b32_e32 v40, v51, v41, vcc
	v_lshl_or_b32 v46, v45, 10, v39
	v_ashrrev_i32_e32 v39, 31, v38
	v_ashrrev_i32_e32 v41, 31, v40
	s_waitcnt vmcnt(2)
	v_mfma_f32_16x16x16_f16 v[34:37], v[14:15], v[18:19], v[34:37]
	v_lshl_add_u64 v[14:15], v[38:39], 2, s[8:9]
	v_subrev_u32_e32 v51, s29, v57
	v_cvt_f32_i32_e32 v58, v51
	v_mfma_f32_16x16x16_f16 v[26:29], v[6:7], v[18:19], v[26:29]
	v_mfma_f32_16x16x16_f16 v[30:33], v[10:11], v[18:19], v[30:33]
	v_lshl_add_u64 v[18:19], v[40:41], 2, s[8:9]
	global_load_dword v59, v[14:15], off
	global_load_dword v60, v[18:19], off
	v_lshl_add_u64 v[10:11], v[2:3], 0, v[46:47]
	v_mfma_f32_16x16x16_f16 v[2:5], v[4:5], v[20:21], v[22:25]
	v_add_u32_e32 v46, 1, v51
	v_add_u32_e32 v47, 3, v51
	;; [unrolled: 1-line block ×3, first 2 shown]
	v_mfma_f32_16x16x16_f16 v[14:17], v[16:17], v[20:21], v[34:37]
	v_add_u32_e32 v22, 2, v51
	s_nop 1
	v_pk_mul_f32 v[52:53], s[10:11], v[4:5] op_sel_hi:[0,1]
	v_cvt_f32_i32_e32 v18, v18
	v_mfma_f32_16x16x16_f16 v[6:9], v[8:9], v[20:21], v[26:29]
	v_add_u32_e32 v19, 19, v51
	v_pk_mul_f32 v[34:35], s[10:11], v[16:17] op_sel_hi:[0,1]
	v_pk_mul_f32 v[36:37], s[10:11], v[14:15] op_sel_hi:[0,1]
	v_cvt_f32_i32_e32 v27, v22
	v_mfma_f32_16x16x16_f16 v[22:25], v[12:13], v[20:21], v[30:33]
	v_pk_mul_f32 v[12:13], s[10:11], v[2:3] op_sel_hi:[0,1]
	v_cvt_f32_i32_e32 v26, v46
	v_cvt_f32_i32_e32 v28, v47
	v_pk_mul_f32 v[46:47], s[10:11], v[8:9] op_sel_hi:[0,1]
	v_pk_mul_f32 v[48:49], s[10:11], v[6:7] op_sel_hi:[0,1]
	v_cvt_f32_i32_e32 v19, v19
	v_fma_f32 v46, v50, v18, v46
	v_add_u32_e32 v18, 34, v51
	v_cvt_f32_i32_e32 v18, v18
	v_fmac_f32_e32 v47, v50, v19
	v_add_u32_e32 v19, 35, v51
	v_cvt_f32_i32_e32 v19, v19
	v_pk_mul_f32 v[40:41], s[10:11], v[22:23] op_sel_hi:[0,1]
	v_pk_mul_f32 v[38:39], s[10:11], v[24:25] op_sel_hi:[0,1]
	v_fma_f32 v38, v50, v18, v38
	v_add_u32_e32 v18, 50, v51
	s_waitcnt vmcnt(3)
	v_mad_i64_i32 v[2:3], s[4:5], v72, s45, 0
	s_waitcnt vmcnt(2)
	v_mad_i64_i32 v[4:5], s[4:5], v73, s45, 0
	v_lshl_add_u64 v[16:17], v[2:3], 1, v[10:11]
	v_lshl_add_u64 v[14:15], v[4:5], 1, v[10:11]
	global_load_dwordx4 v[6:9], v[16:17], off
	global_load_dwordx4 v[2:5], v[16:17], off offset:16
	v_add_u32_e32 v16, 16, v51
	v_cvt_f32_i32_e32 v16, v16
	v_add_u32_e32 v17, 17, v51
	v_cvt_f32_i32_e32 v17, v17
	v_fmac_f32_e32 v39, v50, v19
	v_fma_f32 v48, v50, v16, v48
	v_add_u32_e32 v16, 32, v51
	v_fmac_f32_e32 v49, v50, v17
	v_cvt_f32_i32_e32 v16, v16
	v_add_u32_e32 v17, 33, v51
	v_cvt_f32_i32_e32 v17, v17
	v_cvt_f32_i32_e32 v18, v18
	v_fma_f32 v40, v50, v16, v40
	v_add_u32_e32 v16, 48, v51
	v_fmac_f32_e32 v41, v50, v17
	v_cvt_f32_i32_e32 v16, v16
	v_add_u32_e32 v17, 49, v51
	v_cvt_f32_i32_e32 v17, v17
	v_add_u32_e32 v19, 51, v51
	v_cvt_f32_i32_e32 v19, v19
	v_fma_f32 v12, v50, v58, v12
	v_fmac_f32_e32 v13, v50, v26
	v_fma_f32 v36, v50, v16, v36
	v_mov_b32_e32 v16, 0xff7fffff
	v_cmp_gt_i32_e64 s[4:5], s29, v56
	v_fmac_f32_e32 v37, v50, v17
	v_fma_f32 v34, v50, v18, v34
	v_cndmask_b32_e64 v17, v16, v12, s[4:5]
	v_cndmask_b32_e64 v18, v16, v13, s[34:35]
	v_fmac_f32_e32 v35, v50, v19
	v_max3_f32 v17, v17, s33, v18
	v_or_b32_e32 v18, 2, v56
	v_or_b32_e32 v19, 3, v56
	v_fma_f32 v52, v50, v27, v52
	v_fmac_f32_e32 v53, v50, v28
	v_cmp_gt_i32_e64 s[36:37], s29, v18
	v_cmp_gt_i32_e64 s[38:39], s29, v19
	global_load_dwordx4 v[30:33], v[14:15], off
	global_load_dwordx4 v[26:29], v[14:15], off offset:16
	v_cndmask_b32_e64 v18, v16, v52, s[36:37]
	v_cndmask_b32_e64 v19, v16, v53, s[38:39]
	v_max3_f32 v17, v17, v18, v19
	v_or_b32_e32 v18, 16, v56
	v_or_b32_e32 v19, 17, v56
	v_cmp_gt_i32_e64 s[24:25], s29, v18
	v_cmp_gt_i32_e64 s[26:27], s29, v19
	s_nop 0
	v_cndmask_b32_e64 v18, v16, v48, s[24:25]
	v_cndmask_b32_e64 v19, v16, v49, s[26:27]
	v_max3_f32 v17, v17, v18, v19
	v_or_b32_e32 v18, 18, v56
	v_or_b32_e32 v19, 19, v56
	v_cmp_gt_i32_e64 s[20:21], s29, v18
	v_cmp_gt_i32_e64 s[22:23], s29, v19
	s_nop 0
	;; [unrolled: 8-line block ×5, first 2 shown]
	v_cndmask_b32_e64 v18, v16, v36, s[8:9]
	v_cndmask_b32_e64 v19, v16, v37, s[10:11]
	v_max3_f32 v17, v17, v18, v19
	v_or_b32_e32 v18, 50, v56
	v_or_b32_e32 v19, 51, v56
	v_cmp_gt_i32_e32 vcc, s29, v18
	v_cmp_gt_i32_e64 s[6:7], s29, v19
	s_nop 0
	v_cndmask_b32_e32 v18, v16, v34, vcc
	v_cndmask_b32_e64 v16, v16, v35, s[6:7]
	v_max3_f32 v16, v17, v18, v16
	v_mbcnt_lo_u32_b32 v17, -1, 0
	v_mbcnt_hi_u32_b32 v17, -1, v17
	v_and_b32_e32 v18, 64, v17
	v_add_u32_e32 v18, 64, v18
	v_xor_b32_e32 v19, 32, v17
	v_cmp_lt_i32_e64 s[40:41], v19, v18
	s_nop 1
	v_cndmask_b32_e64 v19, v17, v19, s[40:41]
	v_lshlrev_b32_e32 v57, 2, v19
	ds_bpermute_b32 v19, v57, v16
	s_waitcnt vmcnt(5)
	v_mad_i64_i32 v[14:15], s[40:41], v59, s45, 0
	v_lshl_add_u64 v[14:15], v[14:15], 1, v[10:11]
	s_waitcnt lgkmcnt(0)
	v_max_f32_e32 v19, v19, v19
	v_max_f32_e32 v16, v16, v19
	v_xor_b32_e32 v19, 16, v17
	v_cmp_lt_i32_e64 s[40:41], v19, v18
	s_nop 1
	v_cndmask_b32_e64 v17, v17, v19, s[40:41]
	v_lshlrev_b32_e32 v59, 2, v17
	ds_bpermute_b32 v17, v59, v16
	global_load_dwordx4 v[22:25], v[14:15], off
	global_load_dwordx4 v[18:21], v[14:15], off offset:16
	s_waitcnt vmcnt(6)
	v_mad_i64_i32 v[14:15], s[40:41], v60, s45, 0
	v_lshl_add_u64 v[10:11], v[14:15], 1, v[10:11]
	s_waitcnt lgkmcnt(0)
	v_max_f32_e32 v14, v17, v17
	v_max_f32_e32 v56, v16, v14
	v_sub_f32_e32 v12, v12, v56
	v_mul_f32_e32 v12, 0x3fb8aa3b, v12
	v_exp_f32_e32 v50, v12
	v_sub_f32_e32 v12, v13, v56
	v_mul_f32_e32 v12, 0x3fb8aa3b, v12
	v_exp_f32_e32 v51, v12
	global_load_dwordx4 v[14:17], v[10:11], off
	s_nop 0
	global_load_dwordx4 v[10:13], v[10:11], off offset:16
	v_sub_f32_e32 v52, v52, v56
	v_mul_f32_e32 v52, 0x3fb8aa3b, v52
	v_sub_f32_e32 v53, v53, v56
	v_exp_f32_e32 v52, v52
	v_mul_f32_e32 v53, 0x3fb8aa3b, v53
	v_sub_f32_e32 v48, v48, v56
	v_exp_f32_e32 v53, v53
	v_mul_f32_e32 v48, 0x3fb8aa3b, v48
	v_sub_f32_e32 v49, v49, v56
	v_cndmask_b32_e64 v50, 0, v50, s[4:5]
	v_exp_f32_e32 v48, v48
	v_mul_f32_e32 v49, 0x3fb8aa3b, v49
	v_sub_f32_e32 v46, v46, v56
	v_add_f32_e32 v58, 0, v50
	v_cndmask_b32_e64 v51, 0, v51, s[34:35]
	v_exp_f32_e32 v49, v49
	v_mul_f32_e32 v46, 0x3fb8aa3b, v46
	v_sub_f32_e32 v47, v47, v56
	v_add_f32_e32 v58, v58, v51
	;; [unrolled: 5-line block ×10, first 2 shown]
	v_cndmask_b32_e64 v38, 0, v38, s[12:13]
	v_exp_f32_e32 v34, v34
	v_mul_f32_e32 v35, 0x3fb8aa3b, v35
	v_add_f32_e32 v58, v58, v38
	v_cndmask_b32_e64 v39, 0, v39, s[14:15]
	v_exp_f32_e32 v35, v35
	v_add_f32_e32 v58, v58, v39
	v_cndmask_b32_e64 v36, 0, v36, s[8:9]
	v_add_f32_e32 v58, v58, v36
	v_cndmask_b32_e64 v37, 0, v37, s[10:11]
	v_add_f32_e32 v58, v58, v37
	v_cndmask_b32_e32 v34, 0, v34, vcc
	v_add_f32_e32 v58, v58, v34
	v_cndmask_b32_e64 v35, 0, v35, s[6:7]
	v_add_f32_e32 v58, v58, v35
	ds_bpermute_b32 v57, v57, v58
	s_load_dword s7, s[0:1], 0x98
	v_cmp_gt_u32_e32 vcc, 16, v55
	s_waitcnt lgkmcnt(0)
	s_barrier
	v_add_f32_e32 v58, v58, v57
	ds_bpermute_b32 v59, v59, v58
	v_lshlrev_b32_e32 v57, 2, v44
	s_waitcnt lgkmcnt(0)
	s_and_saveexec_b64 s[4:5], vcc
	s_cbranch_execz .LBB130_17
; %bb.16:
	v_add_f32_e32 v55, v58, v59
	v_lshl_or_b32 v58, v45, 6, v57
	ds_write2st64_b32 v58, v56, v55 offset1:1
.LBB130_17:
	s_or_b64 exec, exec, s[4:5]
	s_load_dword s6, s[0:1], 0x94
	s_waitcnt lgkmcnt(0)
	s_barrier
	ds_read2_b32 v[58:59], v57 offset1:16
	ds_read2_b32 v[60:61], v57 offset0:32 offset1:48
	ds_read2_b32 v[62:63], v57 offset0:64 offset1:80
	s_mul_i32 s7, s7, 3
	s_waitcnt lgkmcnt(2)
	v_max3_f32 v55, v58, s33, v59
	s_waitcnt lgkmcnt(1)
	v_max3_f32 v55, v55, v60, v61
	v_sub_f32_e32 v56, v58, v55
	v_mul_f32_e32 v56, 0x3fb8aa3b, v56
	v_exp_f32_e32 v64, v56
	v_sub_f32_e32 v56, v59, v55
	v_mul_f32_e32 v56, 0x3fb8aa3b, v56
	v_exp_f32_e32 v65, v56
	;; [unrolled: 3-line block ×3, first 2 shown]
	ds_read2_b32 v[58:59], v57 offset0:96 offset1:112
	v_sub_f32_e32 v56, v61, v55
	v_mul_f32_e32 v56, 0x3fb8aa3b, v56
	v_exp_f32_e32 v57, v56
	s_waitcnt lgkmcnt(1)
	v_fma_f32 v56, v64, v62, 0
	v_fmac_f32_e32 v56, v65, v63
	s_waitcnt lgkmcnt(0)
	v_fmac_f32_e32 v56, v60, v58
	v_fmac_f32_e32 v56, v57, v59
	v_add_f32_e32 v58, 0x358637bd, v56
	v_div_scale_f32 v59, s[4:5], v58, v58, 1.0
	v_rcp_f32_e32 v61, v59
	s_barrier
	v_fma_f32 v62, -v59, v61, 1.0
	v_fmac_f32_e32 v61, v62, v61
	v_div_scale_f32 v62, vcc, 1.0, v58, 1.0
	v_mul_f32_e32 v63, v62, v61
	v_fma_f32 v66, -v59, v63, v62
	v_fmac_f32_e32 v63, v66, v61
	v_fma_f32 v59, -v59, v63, v62
	v_div_fmas_f32 v59, v59, v61, v63
	v_cmp_eq_u32_e32 vcc, 1, v45
	v_div_fixup_f32 v58, v59, v58, 1.0
	s_nop 0
	v_cndmask_b32_e32 v59, v64, v65, vcc
	v_cmp_eq_u32_e32 vcc, 2, v45
	s_nop 1
	v_cndmask_b32_e32 v59, v59, v60, vcc
	v_cmp_eq_u32_e32 vcc, 3, v45
	v_lshlrev_b32_e32 v45, 11, v45
	s_nop 0
	v_cndmask_b32_e32 v57, v59, v57, vcc
	v_mul_f32_e32 v58, v57, v58
	v_pk_mul_f32 v[52:53], v[58:59], v[52:53] op_sel_hi:[0,1]
	v_cvt_f16_f32_e32 v57, v52
	v_cvt_f16_f32_e32 v53, v53
	v_pk_mul_f32 v[50:51], v[58:59], v[50:51] op_sel_hi:[0,1]
	v_cvt_f16_f32_e32 v50, v50
	v_cvt_f16_f32_e32 v51, v51
	v_pk_mul_f32 v[46:47], v[58:59], v[46:47] op_sel_hi:[0,1]
	v_pk_mul_f32 v[48:49], v[58:59], v[48:49] op_sel_hi:[0,1]
	v_pack_b32_f16 v53, v57, v53
	v_cvt_f16_f32_e32 v48, v48
	v_cvt_f16_f32_e32 v49, v49
	;; [unrolled: 1-line block ×4, first 2 shown]
	v_pack_b32_f16 v52, v50, v51
	v_lshlrev_b32_e32 v51, 3, v1
	v_lshlrev_b32_e32 v50, 5, v44
	v_pk_mul_f32 v[38:39], v[58:59], v[38:39] op_sel_hi:[0,1]
	v_pk_mul_f32 v[40:41], v[58:59], v[40:41] op_sel_hi:[0,1]
	;; [unrolled: 1-line block ×4, first 2 shown]
	v_or3_b32 v46, v45, v50, v51
	v_pack_b32_f16 v48, v48, v49
	v_pack_b32_f16 v49, v57, v47
	v_cvt_f16_f32_e32 v40, v40
	v_cvt_f16_f32_e32 v41, v41
	;; [unrolled: 1-line block ×8, first 2 shown]
	v_pack_b32_f16 v34, v40, v41
	v_pack_b32_f16 v35, v38, v39
	;; [unrolled: 1-line block ×4, first 2 shown]
	v_cmp_gt_u32_e32 vcc, 3, v0
	ds_write2st64_b64 v46, v[52:53], v[48:49] offset1:1
	ds_write2st64_b64 v46, v[34:35], v[36:37] offset0:2 offset1:3
	s_and_saveexec_b64 s[4:5], vcc
	s_cbranch_execz .LBB130_19
; %bb.18:
	s_mov_b32 s43, 0
	v_mov_b32_e32 v45, 0
	v_lshl_add_u64 v[34:35], s[42:43], 0, v[44:45]
	v_mov_b32_e32 v36, s7
	v_mad_u64_u32 v[34:35], s[12:13], s2, v36, v[34:35]
	s_mul_i32 s3, s3, s7
	v_mov_b32_e32 v44, s28
	s_load_dwordx4 s[8:11], s[0:1], 0x58
	v_add_u32_e32 v37, s3, v35
	v_mad_u64_u32 v[34:35], s[12:13], v34, s6, v[44:45]
	v_mov_b32_e32 v36, v35
	v_mad_u64_u32 v[36:37], s[12:13], v37, s6, v[36:37]
	v_mov_b32_e32 v35, v36
	v_lshlrev_b64 v[34:35], 2, v[34:35]
	s_waitcnt lgkmcnt(0)
	v_lshl_add_u64 v[36:37], s[10:11], 0, v[34:35]
	v_lshl_add_u64 v[34:35], s[8:9], 0, v[34:35]
	global_store_dword v[36:37], v55, off
	global_store_dword v[34:35], v56, off
.LBB130_19:
	s_or_b64 exec, exec, s[4:5]
	v_lshl_or_b32 v44, v1, 9, v50
	s_waitcnt lgkmcnt(0)
	s_barrier
	ds_read_b128 v[34:37], v44
	ds_read_b128 v[38:41], v44 offset:16
	s_waitcnt vmcnt(7) lgkmcnt(1)
	v_mfma_f32_16x16x16_f16 v[48:51], v[6:7], v[34:35], 0
	v_cmp_gt_u32_e32 vcc, 64, v0
	v_cmp_ne_u32_e64 s[4:5], 3, v1
	s_and_b64 s[4:5], s[4:5], vcc
	v_mfma_f32_16x16x16_f16 v[6:9], v[8:9], v[36:37], v[48:51]
	s_mov_b32 s3, 0
	s_and_b64 s[4:5], s[4:5], s[30:31]
	s_waitcnt vmcnt(6) lgkmcnt(0)
	v_mfma_f32_16x16x16_f16 v[6:9], v[2:3], v[38:39], v[6:9]
	v_mfma_f32_16x16x16_f16 v[2:5], v[4:5], v[40:41], v[6:9]
	s_nop 5
	ds_read_b128 v[6:9], v44 offset:2048
	ds_read_b128 v[34:37], v44 offset:2064
	s_waitcnt vmcnt(5) lgkmcnt(1)
	v_mfma_f32_16x16x16_f16 v[2:5], v[30:31], v[6:7], v[2:5]
	v_mfma_f32_16x16x16_f16 v[2:5], v[32:33], v[8:9], v[2:5]
	s_waitcnt vmcnt(4) lgkmcnt(0)
	v_mfma_f32_16x16x16_f16 v[2:5], v[26:27], v[34:35], v[2:5]
	v_mfma_f32_16x16x16_f16 v[2:5], v[28:29], v[36:37], v[2:5]
	ds_read_b128 v[6:9], v44 offset:4096
	ds_read_b128 v[26:29], v44 offset:4112
	s_waitcnt vmcnt(3) lgkmcnt(1)
	v_mfma_f32_16x16x16_f16 v[2:5], v[22:23], v[6:7], v[2:5]
	v_mfma_f32_16x16x16_f16 v[2:5], v[24:25], v[8:9], v[2:5]
	s_waitcnt vmcnt(2) lgkmcnt(0)
	v_mfma_f32_16x16x16_f16 v[2:5], v[18:19], v[26:27], v[2:5]
	v_mfma_f32_16x16x16_f16 v[2:5], v[20:21], v[28:29], v[2:5]
	ds_read_b128 v[6:9], v44 offset:6144
	ds_read_b128 v[18:21], v44 offset:6160
	s_waitcnt lgkmcnt(0)
	s_barrier
	s_waitcnt vmcnt(1)
	v_mfma_f32_16x16x16_f16 v[2:5], v[14:15], v[6:7], v[2:5]
	v_mfma_f32_16x16x16_f16 v[2:5], v[16:17], v[8:9], v[2:5]
	s_waitcnt vmcnt(0)
	v_mfma_f32_16x16x16_f16 v[2:5], v[10:11], v[18:19], v[2:5]
	v_mfma_f32_16x16x16_f16 v[2:5], v[12:13], v[20:21], v[2:5]
	s_nop 6
	v_cvt_f16_f32_e32 v2, v2
	v_cvt_f16_f32_e32 v3, v3
	;; [unrolled: 1-line block ×4, first 2 shown]
	v_pack_b32_f16 v2, v2, v3
	v_pack_b32_f16 v3, v4, v5
	ds_write_b64 v46, v[2:3]
	s_waitcnt lgkmcnt(0)
	s_barrier
	s_and_saveexec_b64 s[8:9], s[4:5]
	s_cbranch_execz .LBB130_21
; %bb.20:
	s_load_dwordx2 s[0:1], s[0:1], 0x68
	s_mul_i32 s2, s7, s2
	s_lshl_b32 s6, s6, 6
	s_mul_hi_u32 s5, s2, s6
	s_mul_i32 s4, s2, s6
	v_lshlrev_b32_e32 v2, 10, v0
	v_lshlrev_b32_e32 v0, 4, v0
	s_lshl_b64 s[4:5], s[4:5], 1
	v_and_b32_e32 v2, 0x1800, v2
	v_lshlrev_b32_e32 v1, 5, v1
	v_and_b32_e32 v0, 16, v0
	s_waitcnt lgkmcnt(0)
	s_add_u32 s4, s0, s4
	v_or3_b32 v0, v2, v1, v0
	s_addc_u32 s5, s1, s5
	s_lshl_b32 s2, s28, 6
	ds_read_b128 v[0:3], v0
	s_lshl_b64 s[0:1], s[2:3], 1
	s_add_u32 s0, s4, s0
	s_addc_u32 s1, s5, s1
	v_mad_u64_u32 v[4:5], s[2:3], s6, v54, 0
	v_lshl_add_u64 v[4:5], v[4:5], 1, s[0:1]
	v_lshl_add_u64 v[4:5], v[42:43], 1, v[4:5]
	s_waitcnt lgkmcnt(0)
	global_store_dwordx4 v[4:5], v[0:3], off
.LBB130_21:
	s_endpgm
	.section	.rodata,"a",@progbits
	.p2align	6, 0x0
	.amdhsa_kernel _Z39paged_attention_ll4mi_QKV_mfma16_kernelIDF16_DF16_LN4vllm18Fp8KVCacheDataTypeE0EhLi32ELi64ELi256ELb1ELi3EEvPKT_PKT0_S7_ifPKiS9_S9_iPKfiiiPfSC_PS2_PT2_iSB_SB_
		.amdhsa_group_segment_fixed_size 8192
		.amdhsa_private_segment_fixed_size 0
		.amdhsa_kernarg_size 400
		.amdhsa_user_sgpr_count 2
		.amdhsa_user_sgpr_dispatch_ptr 0
		.amdhsa_user_sgpr_queue_ptr 0
		.amdhsa_user_sgpr_kernarg_segment_ptr 1
		.amdhsa_user_sgpr_dispatch_id 0
		.amdhsa_user_sgpr_kernarg_preload_length 0
		.amdhsa_user_sgpr_kernarg_preload_offset 0
		.amdhsa_user_sgpr_private_segment_size 0
		.amdhsa_uses_dynamic_stack 0
		.amdhsa_enable_private_segment 0
		.amdhsa_system_sgpr_workgroup_id_x 1
		.amdhsa_system_sgpr_workgroup_id_y 1
		.amdhsa_system_sgpr_workgroup_id_z 1
		.amdhsa_system_sgpr_workgroup_info 0
		.amdhsa_system_vgpr_workitem_id 0
		.amdhsa_next_free_vgpr 74
		.amdhsa_next_free_sgpr 48
		.amdhsa_accum_offset 76
		.amdhsa_reserve_vcc 1
		.amdhsa_float_round_mode_32 0
		.amdhsa_float_round_mode_16_64 0
		.amdhsa_float_denorm_mode_32 3
		.amdhsa_float_denorm_mode_16_64 3
		.amdhsa_dx10_clamp 1
		.amdhsa_ieee_mode 1
		.amdhsa_fp16_overflow 0
		.amdhsa_tg_split 0
		.amdhsa_exception_fp_ieee_invalid_op 0
		.amdhsa_exception_fp_denorm_src 0
		.amdhsa_exception_fp_ieee_div_zero 0
		.amdhsa_exception_fp_ieee_overflow 0
		.amdhsa_exception_fp_ieee_underflow 0
		.amdhsa_exception_fp_ieee_inexact 0
		.amdhsa_exception_int_div_zero 0
	.end_amdhsa_kernel
	.section	.text._Z39paged_attention_ll4mi_QKV_mfma16_kernelIDF16_DF16_LN4vllm18Fp8KVCacheDataTypeE0EhLi32ELi64ELi256ELb1ELi3EEvPKT_PKT0_S7_ifPKiS9_S9_iPKfiiiPfSC_PS2_PT2_iSB_SB_,"axG",@progbits,_Z39paged_attention_ll4mi_QKV_mfma16_kernelIDF16_DF16_LN4vllm18Fp8KVCacheDataTypeE0EhLi32ELi64ELi256ELb1ELi3EEvPKT_PKT0_S7_ifPKiS9_S9_iPKfiiiPfSC_PS2_PT2_iSB_SB_,comdat
.Lfunc_end130:
	.size	_Z39paged_attention_ll4mi_QKV_mfma16_kernelIDF16_DF16_LN4vllm18Fp8KVCacheDataTypeE0EhLi32ELi64ELi256ELb1ELi3EEvPKT_PKT0_S7_ifPKiS9_S9_iPKfiiiPfSC_PS2_PT2_iSB_SB_, .Lfunc_end130-_Z39paged_attention_ll4mi_QKV_mfma16_kernelIDF16_DF16_LN4vllm18Fp8KVCacheDataTypeE0EhLi32ELi64ELi256ELb1ELi3EEvPKT_PKT0_S7_ifPKiS9_S9_iPKfiiiPfSC_PS2_PT2_iSB_SB_
                                        ; -- End function
	.section	.AMDGPU.csdata,"",@progbits
; Kernel info:
; codeLenInByte = 4124
; NumSgprs: 54
; NumVgprs: 74
; NumAgprs: 0
; TotalNumVgprs: 74
; ScratchSize: 0
; MemoryBound: 0
; FloatMode: 240
; IeeeMode: 1
; LDSByteSize: 8192 bytes/workgroup (compile time only)
; SGPRBlocks: 6
; VGPRBlocks: 9
; NumSGPRsForWavesPerEU: 54
; NumVGPRsForWavesPerEU: 74
; AccumOffset: 76
; Occupancy: 6
; WaveLimiterHint : 1
; COMPUTE_PGM_RSRC2:SCRATCH_EN: 0
; COMPUTE_PGM_RSRC2:USER_SGPR: 2
; COMPUTE_PGM_RSRC2:TRAP_HANDLER: 0
; COMPUTE_PGM_RSRC2:TGID_X_EN: 1
; COMPUTE_PGM_RSRC2:TGID_Y_EN: 1
; COMPUTE_PGM_RSRC2:TGID_Z_EN: 1
; COMPUTE_PGM_RSRC2:TIDIG_COMP_CNT: 0
; COMPUTE_PGM_RSRC3_GFX90A:ACCUM_OFFSET: 18
; COMPUTE_PGM_RSRC3_GFX90A:TG_SPLIT: 0
	.section	.text._Z39paged_attention_ll4mi_QKV_mfma16_kernelIDF16_DF16_LN4vllm18Fp8KVCacheDataTypeE0EhLi32ELi64ELi256ELb1ELi4EEvPKT_PKT0_S7_ifPKiS9_S9_iPKfiiiPfSC_PS2_PT2_iSB_SB_,"axG",@progbits,_Z39paged_attention_ll4mi_QKV_mfma16_kernelIDF16_DF16_LN4vllm18Fp8KVCacheDataTypeE0EhLi32ELi64ELi256ELb1ELi4EEvPKT_PKT0_S7_ifPKiS9_S9_iPKfiiiPfSC_PS2_PT2_iSB_SB_,comdat
	.protected	_Z39paged_attention_ll4mi_QKV_mfma16_kernelIDF16_DF16_LN4vllm18Fp8KVCacheDataTypeE0EhLi32ELi64ELi256ELb1ELi4EEvPKT_PKT0_S7_ifPKiS9_S9_iPKfiiiPfSC_PS2_PT2_iSB_SB_ ; -- Begin function _Z39paged_attention_ll4mi_QKV_mfma16_kernelIDF16_DF16_LN4vllm18Fp8KVCacheDataTypeE0EhLi32ELi64ELi256ELb1ELi4EEvPKT_PKT0_S7_ifPKiS9_S9_iPKfiiiPfSC_PS2_PT2_iSB_SB_
	.globl	_Z39paged_attention_ll4mi_QKV_mfma16_kernelIDF16_DF16_LN4vllm18Fp8KVCacheDataTypeE0EhLi32ELi64ELi256ELb1ELi4EEvPKT_PKT0_S7_ifPKiS9_S9_iPKfiiiPfSC_PS2_PT2_iSB_SB_
	.p2align	8
	.type	_Z39paged_attention_ll4mi_QKV_mfma16_kernelIDF16_DF16_LN4vllm18Fp8KVCacheDataTypeE0EhLi32ELi64ELi256ELb1ELi4EEvPKT_PKT0_S7_ifPKiS9_S9_iPKfiiiPfSC_PS2_PT2_iSB_SB_,@function
_Z39paged_attention_ll4mi_QKV_mfma16_kernelIDF16_DF16_LN4vllm18Fp8KVCacheDataTypeE0EhLi32ELi64ELi256ELb1ELi4EEvPKT_PKT0_S7_ifPKiS9_S9_iPKfiiiPfSC_PS2_PT2_iSB_SB_: ; @_Z39paged_attention_ll4mi_QKV_mfma16_kernelIDF16_DF16_LN4vllm18Fp8KVCacheDataTypeE0EhLi32ELi64ELi256ELb1ELi4EEvPKT_PKT0_S7_ifPKiS9_S9_iPKfiiiPfSC_PS2_PT2_iSB_SB_
; %bb.0:
	s_load_dwordx2 s[6:7], s[0:1], 0x30
	s_mov_b32 s26, s3
	s_mov_b64 s[8:9], 0
	s_waitcnt lgkmcnt(0)
	s_cmp_lg_u64 s[6:7], 0
	s_cselect_b64 s[10:11], -1, 0
	s_and_b64 vcc, exec, s[10:11]
	s_cbranch_vccz .LBB131_7
; %bb.1:
	s_add_i32 s12, s2, 1
	s_mov_b32 s13, 0
	s_lshl_b64 s[14:15], s[12:13], 2
	s_add_u32 s14, s6, s14
	s_mov_b32 s3, s13
	s_addc_u32 s15, s7, s15
	s_lshl_b64 s[12:13], s[2:3], 2
	s_add_u32 s12, s6, s12
	s_addc_u32 s13, s7, s13
	s_load_dword s5, s[14:15], 0x0
	s_load_dword s16, s[12:13], 0x0
	s_waitcnt lgkmcnt(0)
	s_sub_i32 s5, s5, s16
	s_cmp_eq_u32 s5, 1
	s_cselect_b64 s[12:13], -1, 0
	s_andn2_b64 vcc, exec, s[8:9]
	s_cbranch_vccnz .LBB131_3
.LBB131_2:
	s_mov_b32 s3, 0
	s_mov_b64 s[12:13], -1
.LBB131_3:
	s_andn2_b64 vcc, exec, s[12:13]
	s_cbranch_vccnz .LBB131_21
; %bb.4:
	s_load_dwordx2 s[8:9], s[0:1], 0x28
	s_lshl_b64 s[12:13], s[2:3], 2
	s_waitcnt lgkmcnt(0)
	s_add_u32 s8, s8, s12
	s_addc_u32 s9, s9, s13
	s_load_dword s33, s[8:9], 0x0
	s_lshl_b32 s14, s26, 8
	s_waitcnt lgkmcnt(0)
	s_cmp_ge_i32 s14, s33
	s_cbranch_scc1 .LBB131_21
; %bb.5:
	s_load_dwordx2 s[8:9], s[0:1], 0x20
	s_load_dword s5, s[0:1], 0x38
	s_add_i32 s15, s33, 31
	s_ashr_i32 s16, s15, 31
	v_and_b32_e32 v1, 0xcf, v0
	s_lshr_b32 s16, s16, 27
	v_add_u32_e32 v1, s14, v1
	s_add_i32 s15, s15, s16
	v_ashrrev_i32_e32 v2, 31, v1
	s_ashr_i32 s15, s15, 5
	v_lshrrev_b32_e32 v6, 27, v2
	s_add_i32 s15, s15, -1
	s_waitcnt lgkmcnt(0)
	s_mul_i32 s16, s2, s5
	s_mov_b32 s17, 0
	v_add_u32_e32 v2, v1, v6
	s_lshl_b64 s[16:17], s[16:17], 2
	v_ashrrev_i32_e32 v2, 5, v2
	v_mov_b32_e32 v7, s15
	v_cmp_gt_i32_e32 vcc, s33, v1
	s_add_u32 s8, s8, s16
	s_addc_u32 s9, s9, s17
	v_cndmask_b32_e32 v2, v7, v2, vcc
	v_ashrrev_i32_e32 v3, 31, v2
	v_lshl_add_u64 v[4:5], v[2:3], 2, s[8:9]
	v_or_b32_e32 v2, 16, v1
	v_add_u32_e32 v3, v2, v6
	v_ashrrev_i32_e32 v3, 5, v3
	v_cmp_gt_i32_e32 vcc, s33, v2
	s_nop 1
	v_cndmask_b32_e32 v2, v7, v3, vcc
	v_ashrrev_i32_e32 v3, 31, v2
	v_lshl_add_u64 v[8:9], v[2:3], 2, s[8:9]
	v_or_b32_e32 v2, 32, v1
	v_add_u32_e32 v3, v2, v6
	v_ashrrev_i32_e32 v3, 5, v3
	v_cmp_gt_i32_e32 vcc, s33, v2
	v_or_b32_e32 v1, 48, v1
	s_nop 0
	v_cndmask_b32_e32 v2, v7, v3, vcc
	v_ashrrev_i32_e32 v3, 31, v2
	v_lshl_add_u64 v[12:13], v[2:3], 2, s[8:9]
	v_add_u32_e32 v2, v1, v6
	v_ashrrev_i32_e32 v2, 5, v2
	v_cmp_gt_i32_e32 vcc, s33, v1
	s_nop 1
	v_cndmask_b32_e32 v2, v7, v2, vcc
	v_ashrrev_i32_e32 v3, 31, v2
	v_lshl_add_u64 v[16:17], v[2:3], 2, s[8:9]
	global_load_dword v2, v[4:5], off
	global_load_dword v6, v[8:9], off
	;; [unrolled: 1-line block ×4, first 2 shown]
	s_andn2_b64 vcc, exec, s[10:11]
	s_cbranch_vccnz .LBB131_8
; %bb.6:
	s_add_u32 s6, s6, s12
	s_addc_u32 s7, s7, s13
	s_load_dword s5, s[6:7], 0x0
	s_branch .LBB131_9
.LBB131_7:
	s_mov_b64 s[12:13], 0
	s_branch .LBB131_2
.LBB131_8:
	s_mov_b32 s5, s2
.LBB131_9:
	s_load_dwordx2 s[10:11], s[0:1], 0x8
	s_load_dwordx4 s[40:43], s[0:1], 0x48
	v_and_b32_e32 v54, 15, v0
	v_cmp_gt_u32_e32 vcc, 64, v0
	v_cmp_gt_u32_e64 s[6:7], 8, v54
	s_and_b64 s[44:45], vcc, s[6:7]
	v_bfe_u32 v53, v0, 4, 2
	s_lshl_b32 s27, s4, 2
	v_lshlrev_b32_e32 v42, 3, v54
	s_xor_b64 s[6:7], s[44:45], -1
	s_and_saveexec_b64 s[12:13], s[6:7]
	s_xor_b64 s[6:7], exec, s[12:13]
; %bb.10:
	v_mov_b32_e32 v43, 0
; %bb.11:
	s_or_saveexec_b64 s[12:13], s[6:7]
	s_load_dwordx2 s[6:7], s[0:1], 0x10
	v_lshrrev_b32_e32 v55, 6, v0
	v_or_b32_e32 v1, s27, v53
	v_and_b32_e32 v18, 3, v0
	v_lshlrev_b32_e32 v52, 5, v53
	s_xor_b64 exec, exec, s[12:13]
	s_cbranch_execz .LBB131_13
; %bb.12:
	s_load_dwordx2 s[16:17], s[0:1], 0x0
	s_waitcnt lgkmcnt(0)
	s_ashr_i32 s18, s40, 31
	s_mul_hi_u32 s19, s5, s40
	s_mul_i32 s18, s5, s18
	s_add_i32 s19, s19, s18
	s_mul_i32 s18, s5, s40
	s_lshl_b64 s[18:19], s[18:19], 1
	s_add_u32 s16, s16, s18
	v_lshlrev_b32_e32 v4, 6, v1
	s_addc_u32 s17, s17, s19
	v_ashrrev_i32_e32 v5, 31, v4
	v_mov_b32_e32 v43, 0
	v_lshl_add_u64 v[4:5], v[4:5], 1, s[16:17]
	v_lshlrev_b32_e32 v8, 1, v42
	v_mov_b32_e32 v9, v43
	v_lshl_add_u64 v[4:5], v[4:5], 0, v[8:9]
	global_load_dwordx4 v[20:23], v[4:5], off
	v_lshlrev_b32_e32 v5, 9, v54
	v_lshl_or_b32 v3, v55, 7, v52
	v_lshlrev_b32_e32 v4, 9, v18
	v_and_b32_e32 v5, 0x1800, v5
	v_or3_b32 v3, v5, v4, v3
	s_waitcnt vmcnt(0)
	ds_write_b128 v3, v[20:23]
.LBB131_13:
	s_or_b64 exec, exec, s[12:13]
	s_waitcnt lgkmcnt(0)
	s_mul_i32 s4, s4, s42
	s_mov_b32 s5, 0
	s_lshl_b64 s[4:5], s[4:5], 1
	s_add_u32 s10, s10, s4
	s_addc_u32 s11, s11, s5
	s_waitcnt vmcnt(3)
	v_mad_i64_i32 v[2:3], s[12:13], v2, s41, 0
	v_lshl_add_u64 v[2:3], v[2:3], 1, s[10:11]
	v_lshlrev_b64 v[12:13], 1, v[42:43]
	v_lshlrev_b32_e32 v44, 9, v53
	v_lshl_add_u64 v[2:3], v[2:3], 0, v[12:13]
	v_mov_b32_e32 v45, 0
	v_lshl_add_u64 v[8:9], v[2:3], 0, v[44:45]
	s_barrier
	global_load_dwordx4 v[22:25], v[8:9], off
	global_load_dwordx4 v[2:5], v[8:9], off offset:2048
	s_waitcnt vmcnt(4)
	v_mad_i64_i32 v[6:7], s[12:13], v6, s41, 0
	v_mov_b32_e32 v8, 0x100
	v_lshl_add_u64 v[6:7], v[6:7], 1, s[10:11]
	v_lshl_or_b32 v16, v54, 4, v8
	v_mov_b32_e32 v17, v45
	s_waitcnt vmcnt(3)
	v_mad_i64_i32 v[10:11], s[12:13], v10, s41, 0
	v_lshl_add_u64 v[6:7], v[6:7], 0, v[16:17]
	v_lshl_add_u64 v[10:11], v[10:11], 1, s[10:11]
	s_waitcnt vmcnt(2)
	v_mad_i64_i32 v[14:15], s[12:13], v14, s41, 0
	v_lshl_add_u64 v[20:21], v[6:7], 0, v[44:45]
	v_lshl_add_u64 v[10:11], v[10:11], 0, v[12:13]
	;; [unrolled: 1-line block ×3, first 2 shown]
	global_load_dwordx4 v[26:29], v[20:21], off
	global_load_dwordx4 v[6:9], v[20:21], off offset:2048
	v_lshl_add_u64 v[20:21], v[10:11], 0, v[44:45]
	v_lshl_add_u64 v[14:15], v[14:15], 0, v[16:17]
	global_load_dwordx4 v[30:33], v[20:21], off
	global_load_dwordx4 v[10:13], v[20:21], off offset:2048
	v_lshl_add_u64 v[20:21], v[14:15], 0, v[44:45]
	global_load_dwordx4 v[34:37], v[20:21], off
	global_load_dwordx4 v[14:17], v[20:21], off offset:2048
	v_lshl_or_b32 v18, v18, 5, v44
	ds_read_b128 v[38:41], v18
	ds_read_b128 v[18:21], v18 offset:2048
	v_and_b32_e32 v56, 63, v0
	v_cmp_gt_u32_e32 vcc, 4, v54
	v_mov_b32_e32 v48, 0
	s_and_saveexec_b64 s[10:11], vcc
	s_cbranch_execz .LBB131_15
; %bb.14:
	s_load_dwordx2 s[12:13], s[0:1], 0x40
	v_or_b32_e32 v46, s27, v54
	v_ashrrev_i32_e32 v47, 31, v46
	s_waitcnt lgkmcnt(0)
	v_lshl_add_u64 v[46:47], v[46:47], 2, s[12:13]
	global_load_dword v48, v[46:47], off
.LBB131_15:
	s_or_b64 exec, exec, s[10:11]
	s_ashr_i32 s10, s14, 31
	v_and_or_b32 v44, v0, 48, s14
	s_lshr_b32 s11, s10, 27
	v_add_u32_e32 v46, s11, v44
	v_or_b32_e32 v50, 64, v44
	v_ashrrev_i32_e32 v46, 5, v46
	v_mov_b32_e32 v49, s15
	v_cmp_gt_i32_e32 vcc, s33, v44
	v_add_u32_e32 v51, s11, v50
	s_waitcnt vmcnt(7) lgkmcnt(1)
	v_mfma_f32_16x16x16_f16 v[58:61], v[22:23], v[38:39], 0
	v_cndmask_b32_e32 v46, v49, v46, vcc
	v_ashrrev_i32_e32 v22, 5, v51
	v_cmp_gt_i32_e32 vcc, s33, v50
	v_ashrrev_i32_e32 v47, 31, v46
	v_lshl_add_u64 v[46:47], v[46:47], 2, s[8:9]
	v_cndmask_b32_e32 v22, v49, v22, vcc
	v_ashrrev_i32_e32 v23, 31, v22
	v_lshl_add_u64 v[22:23], v[22:23], 2, s[8:9]
	global_load_dword v57, v[46:47], off
	global_load_dword v74, v[22:23], off
	s_waitcnt vmcnt(3)
	v_mfma_f32_16x16x16_f16 v[70:73], v[34:35], v[38:39], 0
	v_or_b32_e32 v46, 0xc0, v44
	v_add_u32_e32 v50, s11, v46
	s_add_u32 s4, s6, s4
	v_mfma_f32_16x16x16_f16 v[62:65], v[26:27], v[38:39], 0
	s_addc_u32 s5, s7, s5
	s_load_dword s10, s[0:1], 0x1c
	s_mov_b32 s40, 0xff7fffff
	v_mfma_f32_16x16x16_f16 v[66:69], v[30:31], v[38:39], 0
	v_and_b32_e32 v31, 0xc0, v0
	v_or_b32_e32 v38, 0x80, v44
	v_add_u32_e32 v34, s14, v31
	v_mfma_f32_16x16x16_f16 v[22:25], v[24:25], v[40:41], v[58:61]
	v_and_b32_e32 v30, 16, v0
	v_add_u32_e32 v47, s11, v38
	v_lshlrev_b32_e32 v44, 1, v30
	v_lshl_or_b32 v58, v53, 2, v34
	v_mfma_f32_16x16x16_f16 v[34:37], v[36:37], v[40:41], v[70:73]
	v_cmp_gt_i32_e32 vcc, s33, v38
	v_lshlrev_b32_e32 v39, 6, v54
	v_or_b32_e32 v59, 1, v58
	v_mfma_f32_16x16x16_f16 v[26:29], v[28:29], v[40:41], v[62:65]
	v_cmp_gt_i32_e64 s[28:29], s33, v58
	v_cmp_gt_i32_e64 s[30:31], s33, v59
	v_mfma_f32_16x16x16_f16 v[30:33], v[32:33], v[40:41], v[66:69]
	v_ashrrev_i32_e32 v40, 5, v47
	v_ashrrev_i32_e32 v41, 5, v50
	v_cndmask_b32_e32 v38, v49, v40, vcc
	v_cmp_gt_i32_e32 vcc, s33, v46
	s_waitcnt lgkmcnt(0)
	v_mfma_f32_16x16x16_f16 v[22:25], v[2:3], v[18:19], v[22:25]
	v_lshl_add_u64 v[2:3], s[4:5], 0, v[44:45]
	v_cndmask_b32_e32 v40, v49, v41, vcc
	v_lshl_or_b32 v44, v55, 10, v39
	v_ashrrev_i32_e32 v39, 31, v38
	v_ashrrev_i32_e32 v41, 31, v40
	s_waitcnt vmcnt(2)
	v_mfma_f32_16x16x16_f16 v[34:37], v[14:15], v[18:19], v[34:37]
	v_lshl_add_u64 v[14:15], v[38:39], 2, s[8:9]
	v_subrev_u32_e32 v49, s33, v59
	v_cvt_f32_i32_e32 v60, v49
	v_mfma_f32_16x16x16_f16 v[26:29], v[6:7], v[18:19], v[26:29]
	v_mfma_f32_16x16x16_f16 v[30:33], v[10:11], v[18:19], v[30:33]
	v_lshl_add_u64 v[18:19], v[40:41], 2, s[8:9]
	global_load_dword v61, v[14:15], off
	global_load_dword v62, v[18:19], off
	v_lshl_add_u64 v[10:11], v[2:3], 0, v[44:45]
	v_mfma_f32_16x16x16_f16 v[2:5], v[4:5], v[20:21], v[22:25]
	v_add_u32_e32 v44, 1, v49
	v_add_u32_e32 v45, 3, v49
	;; [unrolled: 1-line block ×3, first 2 shown]
	v_mfma_f32_16x16x16_f16 v[14:17], v[16:17], v[20:21], v[34:37]
	v_add_u32_e32 v22, 2, v49
	s_nop 1
	v_pk_mul_f32 v[50:51], s[10:11], v[4:5] op_sel_hi:[0,1]
	v_cvt_f32_i32_e32 v18, v18
	v_mfma_f32_16x16x16_f16 v[6:9], v[8:9], v[20:21], v[26:29]
	v_add_u32_e32 v19, 19, v49
	v_pk_mul_f32 v[34:35], s[10:11], v[16:17] op_sel_hi:[0,1]
	v_pk_mul_f32 v[36:37], s[10:11], v[14:15] op_sel_hi:[0,1]
	v_cvt_f32_i32_e32 v27, v22
	v_mfma_f32_16x16x16_f16 v[22:25], v[12:13], v[20:21], v[30:33]
	v_pk_mul_f32 v[12:13], s[10:11], v[2:3] op_sel_hi:[0,1]
	v_cvt_f32_i32_e32 v26, v44
	v_cvt_f32_i32_e32 v28, v45
	v_pk_mul_f32 v[44:45], s[10:11], v[8:9] op_sel_hi:[0,1]
	v_pk_mul_f32 v[46:47], s[10:11], v[6:7] op_sel_hi:[0,1]
	v_cvt_f32_i32_e32 v19, v19
	v_fma_f32 v44, v48, v18, v44
	v_add_u32_e32 v18, 34, v49
	v_cvt_f32_i32_e32 v18, v18
	v_fmac_f32_e32 v45, v48, v19
	v_add_u32_e32 v19, 35, v49
	v_cvt_f32_i32_e32 v19, v19
	v_pk_mul_f32 v[40:41], s[10:11], v[22:23] op_sel_hi:[0,1]
	v_pk_mul_f32 v[38:39], s[10:11], v[24:25] op_sel_hi:[0,1]
	v_fma_f32 v38, v48, v18, v38
	v_add_u32_e32 v18, 50, v49
	s_waitcnt vmcnt(3)
	v_mad_i64_i32 v[2:3], s[4:5], v57, s41, 0
	s_waitcnt vmcnt(2)
	v_mad_i64_i32 v[4:5], s[4:5], v74, s41, 0
	v_lshl_add_u64 v[16:17], v[2:3], 1, v[10:11]
	v_lshl_add_u64 v[14:15], v[4:5], 1, v[10:11]
	global_load_dwordx4 v[6:9], v[16:17], off
	global_load_dwordx4 v[2:5], v[16:17], off offset:16
	v_add_u32_e32 v16, 16, v49
	v_cvt_f32_i32_e32 v16, v16
	v_add_u32_e32 v17, 17, v49
	v_cvt_f32_i32_e32 v17, v17
	v_fmac_f32_e32 v39, v48, v19
	v_fma_f32 v46, v48, v16, v46
	v_add_u32_e32 v16, 32, v49
	v_fmac_f32_e32 v47, v48, v17
	v_cvt_f32_i32_e32 v16, v16
	v_add_u32_e32 v17, 33, v49
	v_cvt_f32_i32_e32 v17, v17
	v_cvt_f32_i32_e32 v18, v18
	v_fma_f32 v40, v48, v16, v40
	v_add_u32_e32 v16, 48, v49
	v_fmac_f32_e32 v41, v48, v17
	v_cvt_f32_i32_e32 v16, v16
	v_add_u32_e32 v17, 49, v49
	v_cvt_f32_i32_e32 v17, v17
	v_add_u32_e32 v19, 51, v49
	v_cvt_f32_i32_e32 v19, v19
	v_fma_f32 v12, v48, v60, v12
	v_fmac_f32_e32 v13, v48, v26
	v_fma_f32 v36, v48, v16, v36
	v_mov_b32_e32 v16, 0xff7fffff
	v_fmac_f32_e32 v37, v48, v17
	v_fma_f32 v34, v48, v18, v34
	v_cndmask_b32_e64 v17, v16, v12, s[28:29]
	v_cndmask_b32_e64 v18, v16, v13, s[30:31]
	v_fmac_f32_e32 v35, v48, v19
	v_max3_f32 v17, v17, s40, v18
	v_or_b32_e32 v18, 2, v58
	v_or_b32_e32 v19, 3, v58
	v_fma_f32 v50, v48, v27, v50
	v_fmac_f32_e32 v51, v48, v28
	v_cmp_gt_i32_e64 s[34:35], s33, v18
	v_cmp_gt_i32_e64 s[36:37], s33, v19
	global_load_dwordx4 v[30:33], v[14:15], off
	global_load_dwordx4 v[26:29], v[14:15], off offset:16
	v_cndmask_b32_e64 v18, v16, v50, s[34:35]
	v_cndmask_b32_e64 v19, v16, v51, s[36:37]
	v_max3_f32 v17, v17, v18, v19
	v_or_b32_e32 v18, 16, v58
	v_or_b32_e32 v19, 17, v58
	v_cmp_gt_i32_e64 s[22:23], s33, v18
	v_cmp_gt_i32_e64 s[24:25], s33, v19
	s_nop 0
	v_cndmask_b32_e64 v18, v16, v46, s[22:23]
	v_cndmask_b32_e64 v19, v16, v47, s[24:25]
	v_max3_f32 v17, v17, v18, v19
	v_or_b32_e32 v18, 18, v58
	v_or_b32_e32 v19, 19, v58
	v_cmp_gt_i32_e64 s[18:19], s33, v18
	v_cmp_gt_i32_e64 s[20:21], s33, v19
	s_nop 0
	;; [unrolled: 8-line block ×5, first 2 shown]
	v_cndmask_b32_e64 v18, v16, v36, s[6:7]
	v_cndmask_b32_e64 v19, v16, v37, s[8:9]
	v_max3_f32 v17, v17, v18, v19
	v_or_b32_e32 v18, 50, v58
	v_or_b32_e32 v19, 51, v58
	v_cmp_gt_i32_e32 vcc, s33, v18
	v_cmp_gt_i32_e64 s[4:5], s33, v19
	s_nop 0
	v_cndmask_b32_e32 v18, v16, v34, vcc
	v_cndmask_b32_e64 v16, v16, v35, s[4:5]
	v_max3_f32 v16, v17, v18, v16
	v_mbcnt_lo_u32_b32 v17, -1, 0
	v_mbcnt_hi_u32_b32 v17, -1, v17
	v_and_b32_e32 v18, 64, v17
	v_add_u32_e32 v18, 64, v18
	v_xor_b32_e32 v19, 32, v17
	v_cmp_lt_i32_e64 s[38:39], v19, v18
	s_nop 1
	v_cndmask_b32_e64 v19, v17, v19, s[38:39]
	v_lshlrev_b32_e32 v58, 2, v19
	ds_bpermute_b32 v19, v58, v16
	s_waitcnt vmcnt(5)
	v_mad_i64_i32 v[14:15], s[38:39], v61, s41, 0
	v_lshl_add_u64 v[14:15], v[14:15], 1, v[10:11]
	s_waitcnt lgkmcnt(0)
	v_max_f32_e32 v19, v19, v19
	v_max_f32_e32 v16, v16, v19
	v_xor_b32_e32 v19, 16, v17
	v_cmp_lt_i32_e64 s[38:39], v19, v18
	s_nop 1
	v_cndmask_b32_e64 v17, v17, v19, s[38:39]
	v_lshlrev_b32_e32 v60, 2, v17
	ds_bpermute_b32 v17, v60, v16
	global_load_dwordx4 v[22:25], v[14:15], off
	global_load_dwordx4 v[18:21], v[14:15], off offset:16
	s_waitcnt vmcnt(6)
	v_mad_i64_i32 v[14:15], s[38:39], v62, s41, 0
	v_lshl_add_u64 v[10:11], v[14:15], 1, v[10:11]
	s_waitcnt lgkmcnt(0)
	v_max_f32_e32 v14, v17, v17
	v_max_f32_e32 v57, v16, v14
	v_sub_f32_e32 v12, v12, v57
	v_mul_f32_e32 v12, 0x3fb8aa3b, v12
	v_exp_f32_e32 v48, v12
	v_sub_f32_e32 v12, v13, v57
	v_mul_f32_e32 v12, 0x3fb8aa3b, v12
	v_exp_f32_e32 v49, v12
	global_load_dwordx4 v[14:17], v[10:11], off
	s_nop 0
	global_load_dwordx4 v[10:13], v[10:11], off offset:16
	v_sub_f32_e32 v50, v50, v57
	v_mul_f32_e32 v50, 0x3fb8aa3b, v50
	v_sub_f32_e32 v51, v51, v57
	v_exp_f32_e32 v50, v50
	v_mul_f32_e32 v51, 0x3fb8aa3b, v51
	v_sub_f32_e32 v46, v46, v57
	v_exp_f32_e32 v51, v51
	v_mul_f32_e32 v46, 0x3fb8aa3b, v46
	v_sub_f32_e32 v47, v47, v57
	v_cndmask_b32_e64 v48, 0, v48, s[28:29]
	v_exp_f32_e32 v46, v46
	v_mul_f32_e32 v47, 0x3fb8aa3b, v47
	v_sub_f32_e32 v44, v44, v57
	v_add_f32_e32 v59, 0, v48
	v_cndmask_b32_e64 v49, 0, v49, s[30:31]
	v_exp_f32_e32 v47, v47
	v_mul_f32_e32 v44, 0x3fb8aa3b, v44
	v_sub_f32_e32 v45, v45, v57
	v_add_f32_e32 v59, v59, v49
	;; [unrolled: 5-line block ×10, first 2 shown]
	v_cndmask_b32_e64 v38, 0, v38, s[10:11]
	v_exp_f32_e32 v34, v34
	v_mul_f32_e32 v35, 0x3fb8aa3b, v35
	v_add_f32_e32 v59, v59, v38
	v_cndmask_b32_e64 v39, 0, v39, s[12:13]
	v_exp_f32_e32 v35, v35
	v_add_f32_e32 v59, v59, v39
	v_cndmask_b32_e64 v36, 0, v36, s[6:7]
	v_add_f32_e32 v59, v59, v36
	v_cndmask_b32_e64 v37, 0, v37, s[8:9]
	v_add_f32_e32 v59, v59, v37
	v_cndmask_b32_e32 v34, 0, v34, vcc
	v_add_f32_e32 v59, v59, v34
	v_cndmask_b32_e64 v35, 0, v35, s[4:5]
	v_add_f32_e32 v59, v59, v35
	ds_bpermute_b32 v58, v58, v59
	s_load_dword s7, s[0:1], 0x98
	v_cmp_gt_u32_e32 vcc, 16, v56
	s_waitcnt lgkmcnt(0)
	s_barrier
	v_add_f32_e32 v59, v59, v58
	ds_bpermute_b32 v60, v60, v59
	v_lshlrev_b32_e32 v58, 2, v54
	s_waitcnt lgkmcnt(0)
	s_and_saveexec_b64 s[4:5], vcc
	s_cbranch_execz .LBB131_17
; %bb.16:
	v_add_f32_e32 v56, v59, v60
	v_lshl_or_b32 v59, v55, 6, v58
	ds_write2st64_b32 v59, v57, v56 offset1:1
.LBB131_17:
	s_or_b64 exec, exec, s[4:5]
	s_load_dword s6, s[0:1], 0x94
	s_waitcnt lgkmcnt(0)
	s_barrier
	ds_read2_b32 v[60:61], v58 offset1:16
	ds_read2_b32 v[62:63], v58 offset0:32 offset1:48
	ds_read2_b32 v[64:65], v58 offset0:64 offset1:80
	ds_read2_b32 v[58:59], v58 offset0:96 offset1:112
	s_waitcnt lgkmcnt(0)
	v_max3_f32 v56, v60, s40, v61
	v_max3_f32 v56, v56, v62, v63
	v_sub_f32_e32 v57, v60, v56
	v_mul_f32_e32 v57, 0x3fb8aa3b, v57
	v_exp_f32_e32 v60, v57
	v_sub_f32_e32 v57, v61, v56
	v_mul_f32_e32 v57, 0x3fb8aa3b, v57
	v_exp_f32_e32 v61, v57
	v_sub_f32_e32 v57, v62, v56
	v_mul_f32_e32 v57, 0x3fb8aa3b, v57
	v_exp_f32_e32 v62, v57
	v_sub_f32_e32 v57, v63, v56
	v_mul_f32_e32 v57, 0x3fb8aa3b, v57
	v_exp_f32_e32 v63, v57
	v_fma_f32 v57, v60, v64, 0
	v_fmac_f32_e32 v57, v61, v65
	v_fmac_f32_e32 v57, v62, v58
	;; [unrolled: 1-line block ×3, first 2 shown]
	v_add_f32_e32 v58, 0x358637bd, v57
	v_div_scale_f32 v59, s[4:5], v58, v58, 1.0
	v_rcp_f32_e32 v64, v59
	s_barrier
	s_lshl_b32 s7, s7, 2
	v_fma_f32 v65, -v59, v64, 1.0
	v_fmac_f32_e32 v64, v65, v64
	v_div_scale_f32 v65, vcc, 1.0, v58, 1.0
	v_mul_f32_e32 v66, v65, v64
	v_fma_f32 v67, -v59, v66, v65
	v_fmac_f32_e32 v66, v67, v64
	v_fma_f32 v59, -v59, v66, v65
	v_div_fmas_f32 v59, v59, v64, v66
	v_cmp_eq_u32_e32 vcc, 1, v55
	v_div_fixup_f32 v58, v59, v58, 1.0
	s_nop 0
	v_cndmask_b32_e32 v59, v60, v61, vcc
	v_cmp_eq_u32_e32 vcc, 2, v55
	s_nop 1
	v_cndmask_b32_e32 v59, v59, v62, vcc
	v_cmp_eq_u32_e32 vcc, 3, v55
	s_nop 1
	v_cndmask_b32_e32 v59, v59, v63, vcc
	v_mul_f32_e32 v58, v59, v58
	v_pk_mul_f32 v[50:51], v[58:59], v[50:51] op_sel_hi:[0,1]
	v_pk_mul_f32 v[48:49], v[58:59], v[48:49] op_sel_hi:[0,1]
	v_cvt_f16_f32_e32 v59, v50
	v_cvt_f16_f32_e32 v48, v48
	;; [unrolled: 1-line block ×4, first 2 shown]
	v_pk_mul_f32 v[44:45], v[58:59], v[44:45] op_sel_hi:[0,1]
	v_pk_mul_f32 v[46:47], v[58:59], v[46:47] op_sel_hi:[0,1]
	v_pack_b32_f16 v50, v48, v49
	v_lshlrev_b32_e32 v48, 5, v54
	v_cvt_f16_f32_e32 v46, v46
	v_cvt_f16_f32_e32 v47, v47
	;; [unrolled: 1-line block ×4, first 2 shown]
	v_lshlrev_b32_e32 v49, 3, v53
	v_lshlrev_b32_e32 v44, 11, v55
	v_pack_b32_f16 v51, v59, v51
	v_or3_b32 v44, v44, v48, v49
	v_pack_b32_f16 v46, v46, v47
	v_pack_b32_f16 v47, v54, v45
	v_pk_mul_f32 v[38:39], v[58:59], v[38:39] op_sel_hi:[0,1]
	v_pk_mul_f32 v[40:41], v[58:59], v[40:41] op_sel_hi:[0,1]
	;; [unrolled: 1-line block ×4, first 2 shown]
	ds_write2st64_b64 v44, v[50:51], v[46:47] offset1:1
	v_cvt_f16_f32_e32 v40, v40
	v_cvt_f16_f32_e32 v41, v41
	;; [unrolled: 1-line block ×8, first 2 shown]
	v_pack_b32_f16 v34, v40, v41
	v_pack_b32_f16 v35, v38, v39
	;; [unrolled: 1-line block ×4, first 2 shown]
	v_cmp_gt_u32_e32 vcc, 4, v0
	ds_write2st64_b64 v44, v[34:35], v[36:37] offset0:2 offset1:3
	s_and_saveexec_b64 s[4:5], vcc
	s_cbranch_execz .LBB131_19
; %bb.18:
	v_or_b32_e32 v34, s27, v0
	v_mov_b32_e32 v35, 0
	v_mov_b32_e32 v36, s7
	v_mad_u64_u32 v[36:37], s[12:13], s2, v36, v[34:35]
	v_mov_b32_e32 v34, s26
	s_load_dwordx4 s[8:11], s[0:1], 0x58
	s_mul_i32 s3, s3, s7
	v_mad_u64_u32 v[34:35], s[12:13], v36, s6, v[34:35]
	v_add_u32_e32 v37, s3, v37
	v_mov_b32_e32 v36, v35
	v_mad_u64_u32 v[36:37], s[12:13], v37, s6, v[36:37]
	v_mov_b32_e32 v35, v36
	v_lshlrev_b64 v[34:35], 2, v[34:35]
	s_waitcnt lgkmcnt(0)
	v_lshl_add_u64 v[36:37], s[10:11], 0, v[34:35]
	v_lshl_add_u64 v[34:35], s[8:9], 0, v[34:35]
	global_store_dword v[36:37], v56, off
	global_store_dword v[34:35], v57, off
.LBB131_19:
	s_or_b64 exec, exec, s[4:5]
	v_lshl_or_b32 v45, v53, 9, v48
	s_waitcnt lgkmcnt(0)
	s_barrier
	ds_read_b128 v[34:37], v45
	ds_read_b128 v[38:41], v45 offset:16
	s_waitcnt vmcnt(7) lgkmcnt(1)
	v_mfma_f32_16x16x16_f16 v[46:49], v[6:7], v[34:35], 0
	s_mov_b32 s3, 0
	v_mfma_f32_16x16x16_f16 v[6:9], v[8:9], v[36:37], v[46:49]
	s_waitcnt vmcnt(6) lgkmcnt(0)
	v_mfma_f32_16x16x16_f16 v[6:9], v[2:3], v[38:39], v[6:9]
	v_mfma_f32_16x16x16_f16 v[2:5], v[4:5], v[40:41], v[6:9]
	s_nop 5
	ds_read_b128 v[6:9], v45 offset:2048
	ds_read_b128 v[34:37], v45 offset:2064
	s_waitcnt vmcnt(5) lgkmcnt(1)
	v_mfma_f32_16x16x16_f16 v[2:5], v[30:31], v[6:7], v[2:5]
	v_mfma_f32_16x16x16_f16 v[2:5], v[32:33], v[8:9], v[2:5]
	s_waitcnt vmcnt(4) lgkmcnt(0)
	v_mfma_f32_16x16x16_f16 v[2:5], v[26:27], v[34:35], v[2:5]
	v_mfma_f32_16x16x16_f16 v[2:5], v[28:29], v[36:37], v[2:5]
	ds_read_b128 v[6:9], v45 offset:4096
	ds_read_b128 v[26:29], v45 offset:4112
	s_waitcnt vmcnt(3) lgkmcnt(1)
	v_mfma_f32_16x16x16_f16 v[2:5], v[22:23], v[6:7], v[2:5]
	v_mfma_f32_16x16x16_f16 v[2:5], v[24:25], v[8:9], v[2:5]
	s_waitcnt vmcnt(2) lgkmcnt(0)
	v_mfma_f32_16x16x16_f16 v[2:5], v[18:19], v[26:27], v[2:5]
	v_mfma_f32_16x16x16_f16 v[2:5], v[20:21], v[28:29], v[2:5]
	ds_read_b128 v[6:9], v45 offset:6144
	ds_read_b128 v[18:21], v45 offset:6160
	s_waitcnt lgkmcnt(0)
	s_barrier
	s_waitcnt vmcnt(1)
	v_mfma_f32_16x16x16_f16 v[2:5], v[14:15], v[6:7], v[2:5]
	v_mfma_f32_16x16x16_f16 v[2:5], v[16:17], v[8:9], v[2:5]
	s_waitcnt vmcnt(0)
	v_mfma_f32_16x16x16_f16 v[2:5], v[10:11], v[18:19], v[2:5]
	v_mfma_f32_16x16x16_f16 v[2:5], v[12:13], v[20:21], v[2:5]
	s_nop 6
	v_cvt_f16_f32_e32 v2, v2
	v_cvt_f16_f32_e32 v3, v3
	;; [unrolled: 1-line block ×4, first 2 shown]
	v_pack_b32_f16 v2, v2, v3
	v_pack_b32_f16 v3, v4, v5
	ds_write_b64 v44, v[2:3]
	s_waitcnt lgkmcnt(0)
	s_barrier
	s_and_saveexec_b64 s[4:5], s[44:45]
	s_cbranch_execz .LBB131_21
; %bb.20:
	s_load_dwordx2 s[0:1], s[0:1], 0x68
	s_lshl_b32 s6, s6, 6
	s_mul_i32 s2, s7, s2
	s_mul_hi_u32 s5, s2, s6
	s_mul_i32 s4, s2, s6
	v_lshlrev_b32_e32 v2, 10, v0
	v_lshlrev_b32_e32 v0, 4, v0
	s_lshl_b64 s[4:5], s[4:5], 1
	v_and_b32_e32 v2, 0x1800, v2
	v_and_b32_e32 v0, 16, v0
	s_waitcnt lgkmcnt(0)
	s_add_u32 s4, s0, s4
	v_or3_b32 v0, v2, v52, v0
	s_addc_u32 s5, s1, s5
	s_lshl_b32 s2, s26, 6
	ds_read_b128 v[2:5], v0
	s_lshl_b64 s[0:1], s[2:3], 1
	s_add_u32 s0, s4, s0
	s_addc_u32 s1, s5, s1
	v_mad_u64_u32 v[0:1], s[2:3], s6, v1, 0
	v_lshl_add_u64 v[0:1], v[0:1], 1, s[0:1]
	v_lshl_add_u64 v[0:1], v[42:43], 1, v[0:1]
	s_waitcnt lgkmcnt(0)
	global_store_dwordx4 v[0:1], v[2:5], off
.LBB131_21:
	s_endpgm
	.section	.rodata,"a",@progbits
	.p2align	6, 0x0
	.amdhsa_kernel _Z39paged_attention_ll4mi_QKV_mfma16_kernelIDF16_DF16_LN4vllm18Fp8KVCacheDataTypeE0EhLi32ELi64ELi256ELb1ELi4EEvPKT_PKT0_S7_ifPKiS9_S9_iPKfiiiPfSC_PS2_PT2_iSB_SB_
		.amdhsa_group_segment_fixed_size 8192
		.amdhsa_private_segment_fixed_size 0
		.amdhsa_kernarg_size 400
		.amdhsa_user_sgpr_count 2
		.amdhsa_user_sgpr_dispatch_ptr 0
		.amdhsa_user_sgpr_queue_ptr 0
		.amdhsa_user_sgpr_kernarg_segment_ptr 1
		.amdhsa_user_sgpr_dispatch_id 0
		.amdhsa_user_sgpr_kernarg_preload_length 0
		.amdhsa_user_sgpr_kernarg_preload_offset 0
		.amdhsa_user_sgpr_private_segment_size 0
		.amdhsa_uses_dynamic_stack 0
		.amdhsa_enable_private_segment 0
		.amdhsa_system_sgpr_workgroup_id_x 1
		.amdhsa_system_sgpr_workgroup_id_y 1
		.amdhsa_system_sgpr_workgroup_id_z 1
		.amdhsa_system_sgpr_workgroup_info 0
		.amdhsa_system_vgpr_workitem_id 0
		.amdhsa_next_free_vgpr 75
		.amdhsa_next_free_sgpr 46
		.amdhsa_accum_offset 76
		.amdhsa_reserve_vcc 1
		.amdhsa_float_round_mode_32 0
		.amdhsa_float_round_mode_16_64 0
		.amdhsa_float_denorm_mode_32 3
		.amdhsa_float_denorm_mode_16_64 3
		.amdhsa_dx10_clamp 1
		.amdhsa_ieee_mode 1
		.amdhsa_fp16_overflow 0
		.amdhsa_tg_split 0
		.amdhsa_exception_fp_ieee_invalid_op 0
		.amdhsa_exception_fp_denorm_src 0
		.amdhsa_exception_fp_ieee_div_zero 0
		.amdhsa_exception_fp_ieee_overflow 0
		.amdhsa_exception_fp_ieee_underflow 0
		.amdhsa_exception_fp_ieee_inexact 0
		.amdhsa_exception_int_div_zero 0
	.end_amdhsa_kernel
	.section	.text._Z39paged_attention_ll4mi_QKV_mfma16_kernelIDF16_DF16_LN4vllm18Fp8KVCacheDataTypeE0EhLi32ELi64ELi256ELb1ELi4EEvPKT_PKT0_S7_ifPKiS9_S9_iPKfiiiPfSC_PS2_PT2_iSB_SB_,"axG",@progbits,_Z39paged_attention_ll4mi_QKV_mfma16_kernelIDF16_DF16_LN4vllm18Fp8KVCacheDataTypeE0EhLi32ELi64ELi256ELb1ELi4EEvPKT_PKT0_S7_ifPKiS9_S9_iPKfiiiPfSC_PS2_PT2_iSB_SB_,comdat
.Lfunc_end131:
	.size	_Z39paged_attention_ll4mi_QKV_mfma16_kernelIDF16_DF16_LN4vllm18Fp8KVCacheDataTypeE0EhLi32ELi64ELi256ELb1ELi4EEvPKT_PKT0_S7_ifPKiS9_S9_iPKfiiiPfSC_PS2_PT2_iSB_SB_, .Lfunc_end131-_Z39paged_attention_ll4mi_QKV_mfma16_kernelIDF16_DF16_LN4vllm18Fp8KVCacheDataTypeE0EhLi32ELi64ELi256ELb1ELi4EEvPKT_PKT0_S7_ifPKiS9_S9_iPKfiiiPfSC_PS2_PT2_iSB_SB_
                                        ; -- End function
	.section	.AMDGPU.csdata,"",@progbits
; Kernel info:
; codeLenInByte = 4044
; NumSgprs: 52
; NumVgprs: 75
; NumAgprs: 0
; TotalNumVgprs: 75
; ScratchSize: 0
; MemoryBound: 0
; FloatMode: 240
; IeeeMode: 1
; LDSByteSize: 8192 bytes/workgroup (compile time only)
; SGPRBlocks: 6
; VGPRBlocks: 9
; NumSGPRsForWavesPerEU: 52
; NumVGPRsForWavesPerEU: 75
; AccumOffset: 76
; Occupancy: 6
; WaveLimiterHint : 1
; COMPUTE_PGM_RSRC2:SCRATCH_EN: 0
; COMPUTE_PGM_RSRC2:USER_SGPR: 2
; COMPUTE_PGM_RSRC2:TRAP_HANDLER: 0
; COMPUTE_PGM_RSRC2:TGID_X_EN: 1
; COMPUTE_PGM_RSRC2:TGID_Y_EN: 1
; COMPUTE_PGM_RSRC2:TGID_Z_EN: 1
; COMPUTE_PGM_RSRC2:TIDIG_COMP_CNT: 0
; COMPUTE_PGM_RSRC3_GFX90A:ACCUM_OFFSET: 18
; COMPUTE_PGM_RSRC3_GFX90A:TG_SPLIT: 0
	.section	.text._Z38paged_attention_ll4mi_QKV_mfma4_kernelIDF16_DF16_LN4vllm18Fp8KVCacheDataTypeE0EhLi32ELi64ELi256ELb0ELi1EEvPKT_PKT0_S7_ifPKiS9_S9_iPKfiiiPfSC_PS2_PT2_iSB_SB_,"axG",@progbits,_Z38paged_attention_ll4mi_QKV_mfma4_kernelIDF16_DF16_LN4vllm18Fp8KVCacheDataTypeE0EhLi32ELi64ELi256ELb0ELi1EEvPKT_PKT0_S7_ifPKiS9_S9_iPKfiiiPfSC_PS2_PT2_iSB_SB_,comdat
	.protected	_Z38paged_attention_ll4mi_QKV_mfma4_kernelIDF16_DF16_LN4vllm18Fp8KVCacheDataTypeE0EhLi32ELi64ELi256ELb0ELi1EEvPKT_PKT0_S7_ifPKiS9_S9_iPKfiiiPfSC_PS2_PT2_iSB_SB_ ; -- Begin function _Z38paged_attention_ll4mi_QKV_mfma4_kernelIDF16_DF16_LN4vllm18Fp8KVCacheDataTypeE0EhLi32ELi64ELi256ELb0ELi1EEvPKT_PKT0_S7_ifPKiS9_S9_iPKfiiiPfSC_PS2_PT2_iSB_SB_
	.globl	_Z38paged_attention_ll4mi_QKV_mfma4_kernelIDF16_DF16_LN4vllm18Fp8KVCacheDataTypeE0EhLi32ELi64ELi256ELb0ELi1EEvPKT_PKT0_S7_ifPKiS9_S9_iPKfiiiPfSC_PS2_PT2_iSB_SB_
	.p2align	8
	.type	_Z38paged_attention_ll4mi_QKV_mfma4_kernelIDF16_DF16_LN4vllm18Fp8KVCacheDataTypeE0EhLi32ELi64ELi256ELb0ELi1EEvPKT_PKT0_S7_ifPKiS9_S9_iPKfiiiPfSC_PS2_PT2_iSB_SB_,@function
_Z38paged_attention_ll4mi_QKV_mfma4_kernelIDF16_DF16_LN4vllm18Fp8KVCacheDataTypeE0EhLi32ELi64ELi256ELb0ELi1EEvPKT_PKT0_S7_ifPKiS9_S9_iPKfiiiPfSC_PS2_PT2_iSB_SB_: ; @_Z38paged_attention_ll4mi_QKV_mfma4_kernelIDF16_DF16_LN4vllm18Fp8KVCacheDataTypeE0EhLi32ELi64ELi256ELb0ELi1EEvPKT_PKT0_S7_ifPKiS9_S9_iPKfiiiPfSC_PS2_PT2_iSB_SB_
; %bb.0:
	s_load_dwordx2 s[16:17], s[0:1], 0x30
	s_mov_b32 s20, s3
	s_mov_b64 s[6:7], 0
	s_waitcnt lgkmcnt(0)
	s_cmp_lg_u64 s[16:17], 0
	s_cselect_b64 s[18:19], -1, 0
	s_and_b64 vcc, exec, s[18:19]
	s_cbranch_vccz .LBB132_10
; %bb.1:
	s_add_i32 s8, s2, 1
	s_mov_b32 s9, 0
	s_lshl_b64 s[10:11], s[8:9], 2
	s_add_u32 s10, s16, s10
	s_mov_b32 s3, s9
	s_addc_u32 s11, s17, s11
	s_lshl_b64 s[8:9], s[2:3], 2
	s_add_u32 s8, s16, s8
	s_addc_u32 s9, s17, s9
	s_load_dword s5, s[10:11], 0x0
	s_load_dword s12, s[8:9], 0x0
	s_waitcnt lgkmcnt(0)
	s_sub_i32 s5, s5, s12
	s_cmp_eq_u32 s5, 1
	s_cselect_b64 s[8:9], -1, 0
	s_andn2_b64 vcc, exec, s[6:7]
	s_cbranch_vccnz .LBB132_3
.LBB132_2:
	s_mov_b32 s3, 0
	s_mov_b64 s[8:9], -1
.LBB132_3:
	s_andn2_b64 vcc, exec, s[8:9]
	s_cbranch_vccnz .LBB132_23
; %bb.4:
	s_load_dword s5, s[0:1], 0x9c
	s_load_dwordx2 s[6:7], s[0:1], 0x28
	s_add_u32 s24, s0, 0x90
	s_addc_u32 s25, s1, 0
	s_lshl_b64 s[28:29], s[2:3], 2
	s_waitcnt lgkmcnt(0)
	s_and_b32 s5, s5, 0xffff
	s_add_u32 s6, s6, s28
	s_addc_u32 s7, s7, s29
	s_load_dword s3, s[6:7], 0x0
	s_mul_i32 s10, s20, s5
	s_waitcnt lgkmcnt(0)
	s_cmp_ge_i32 s10, s3
	s_cbranch_scc1 .LBB132_23
; %bb.5:
	v_and_b32_e32 v2, 0xc0, v0
	v_add_u32_e32 v2, s10, v2
	v_lshrrev_b32_e32 v1, 6, v0
	v_cmp_gt_i32_e64 s[6:7], s3, v2
	v_cmp_le_i32_e32 vcc, s3, v2
                                        ; implicit-def: $sgpr21
                                        ; implicit-def: $sgpr11
	s_and_saveexec_b64 s[8:9], vcc
	s_xor_b64 s[8:9], exec, s[8:9]
	s_cbranch_execz .LBB132_7
; %bb.6:
	v_mul_u32_u24_e32 v2, 20, v1
	v_or_b32_e32 v2, 0xa00, v2
	v_mov_b32_e32 v3, 0xa50
	v_mov_b32_e32 v4, 0xff7fffff
	v_mad_u32_u24 v3, v1, 20, v3
	ds_write2_b32 v2, v4, v4 offset1:1
	v_mov_b32_e32 v2, 0
	ds_write2_b32 v3, v2, v2 offset1:1
	v_mov_b32_e32 v3, 0xa08
	s_mov_b32 s11, 0xff7fffff
	s_mov_b32 s21, 0
	v_mad_u32_u24 v3, v1, 20, v3
	v_mov_b32_e32 v5, 0xa58
	v_mad_u32_u24 v5, v1, 20, v5
	ds_write2_b32 v3, v4, v4 offset1:1
	ds_write2_b32 v5, v2, v2 offset1:1
                                        ; implicit-def: $vgpr2
.LBB132_7:
	s_or_saveexec_b64 s[26:27], s[8:9]
	s_load_dwordx2 s[22:23], s[0:1], 0x68
	s_load_dwordx4 s[12:15], s[0:1], 0x58
	s_load_dword s5, s[24:25], 0x4
	v_and_b32_e32 v40, 63, v0
	v_and_b32_e32 v39, 3, v0
	v_mov_b32_e32 v37, s21
	v_mov_b32_e32 v41, s11
	;; [unrolled: 1-line block ×5, first 2 shown]
                                        ; implicit-def: $vgpr3
                                        ; implicit-def: $vgpr7
                                        ; implicit-def: $vgpr11
                                        ; implicit-def: $vgpr15
                                        ; implicit-def: $vgpr19
                                        ; implicit-def: $vgpr23
                                        ; implicit-def: $vgpr27
                                        ; implicit-def: $vgpr31
	s_xor_b64 exec, exec, s[26:27]
	s_cbranch_execz .LBB132_17
; %bb.8:
	s_add_i32 s21, s3, 31
	s_load_dwordx2 s[8:9], s[0:1], 0x20
	s_load_dword s11, s[0:1], 0x38
	s_ashr_i32 s30, s21, 31
	s_lshr_b32 s30, s30, 27
	v_add_u32_e32 v38, s10, v0
	s_add_i32 s21, s21, s30
	v_ashrrev_i32_e32 v3, 31, v38
	s_ashr_i32 s21, s21, 5
	v_lshrrev_b32_e32 v3, 27, v3
	s_add_i32 s21, s21, -1
	v_add_u32_e32 v3, v38, v3
	s_waitcnt lgkmcnt(0)
	s_mul_i32 s30, s2, s11
	s_mov_b32 s31, 0
	v_ashrrev_i32_e32 v3, 5, v3
	v_mov_b32_e32 v4, s21
	v_cmp_gt_i32_e32 vcc, s3, v38
	s_lshl_b64 s[30:31], s[30:31], 2
	s_add_u32 s8, s8, s30
	v_cndmask_b32_e32 v4, v4, v3, vcc
	v_ashrrev_i32_e32 v3, 31, v2
	v_lshrrev_b32_e32 v3, 27, v3
	s_addc_u32 s9, s9, s31
	v_ashrrev_i32_e32 v5, 31, v4
	v_add_u32_e32 v2, v2, v3
	v_lshl_add_u64 v[6:7], v[4:5], 2, s[8:9]
	v_ashrrev_i32_e32 v4, 5, v2
	v_min_i32_e32 v2, s21, v4
	v_ashrrev_i32_e32 v3, 31, v2
	v_lshl_add_u64 v[8:9], v[2:3], 2, s[8:9]
	v_add_u32_e32 v2, 1, v4
	v_min_i32_e32 v2, s21, v2
	v_ashrrev_i32_e32 v3, 31, v2
	v_lshl_add_u64 v[10:11], v[2:3], 2, s[8:9]
	global_load_dword v2, v[6:7], off
	global_load_dword v5, v[8:9], off
	;; [unrolled: 1-line block ×3, first 2 shown]
	s_load_dwordx4 s[8:11], s[0:1], 0x8
	s_andn2_b64 vcc, exec, s[18:19]
	s_cbranch_vccnz .LBB132_11
; %bb.9:
	s_add_u32 s16, s16, s28
	s_addc_u32 s17, s17, s29
	s_load_dword s21, s[16:17], 0x0
	s_branch .LBB132_12
.LBB132_10:
	s_mov_b64 s[8:9], 0
	s_branch .LBB132_2
.LBB132_11:
	s_mov_b32 s21, s2
.LBB132_12:
	s_load_dwordx4 s[16:19], s[0:1], 0x48
	v_cmp_eq_u32_e32 vcc, 0, v39
	s_mov_b32 s29, 0
	v_mov_b32_e32 v41, 0
	v_mov_b32_e32 v3, 0
	;; [unrolled: 1-line block ×6, first 2 shown]
	s_and_saveexec_b64 s[30:31], vcc
	s_cbranch_execz .LBB132_14
; %bb.13:
	s_load_dwordx2 s[34:35], s[0:1], 0x0
	s_waitcnt lgkmcnt(0)
	s_ashr_i32 s19, s16, 31
	s_mul_hi_u32 s28, s21, s16
	s_mul_i32 s19, s21, s19
	s_add_i32 s37, s28, s19
	s_mul_i32 s36, s21, s16
	s_lshl_b64 s[36:37], s[36:37], 1
	s_add_u32 s16, s34, s36
	s_addc_u32 s19, s35, s37
	s_lshl_b32 s28, s4, 6
	s_lshl_b64 s[34:35], s[28:29], 1
	s_add_u32 s34, s16, s34
	s_addc_u32 s35, s19, s35
	v_lshlrev_b32_e32 v6, 2, v40
	global_load_dwordx4 v[34:37], v6, s[34:35]
	v_mov_b32_e32 v41, 1.0
.LBB132_14:
	s_or_b64 exec, exec, s[30:31]
	s_waitcnt lgkmcnt(0)
	s_mul_i32 s28, s4, s18
	s_lshl_b64 s[18:19], s[28:29], 1
	s_add_u32 s8, s18, s8
	s_waitcnt vmcnt(2)
	v_mad_i64_i32 v[6:7], s[30:31], v2, s17, 0
	s_addc_u32 s9, s19, s9
	v_and_b32_e32 v2, 31, v0
	v_lshl_add_u64 v[6:7], v[6:7], 1, s[8:9]
	v_lshlrev_b32_e32 v2, 4, v2
	v_lshl_add_u64 v[30:31], v[6:7], 0, v[2:3]
	global_load_dwordx4 v[6:9], v[30:31], off
	global_load_dwordx4 v[10:13], v[30:31], off offset:512
	global_load_dwordx4 v[14:17], v[30:31], off offset:1024
	;; [unrolled: 1-line block ×7, first 2 shown]
	s_waitcnt vmcnt(9)
	v_mul_hi_i32 v2, v5, s17
	s_add_u32 s8, s10, s18
	s_waitcnt vmcnt(8)
	v_mul_hi_i32 v30, v4, s17
	v_ashrrev_i32_e32 v32, 31, v2
	s_addc_u32 s9, s11, s19
	v_lshlrev_b32_e32 v2, 6, v40
	v_ashrrev_i32_e32 v33, 31, v30
	v_lshl_add_u64 v[30:31], s[8:9], 0, v[2:3]
	v_lshrrev_b32_e32 v2, 29, v32
	s_load_dword s0, s[0:1], 0x1c
	v_cmp_eq_u32_e32 vcc, 1, v39
	v_and_b32_e32 v55, -4, v38
	v_or_b32_e32 v38, 3, v38
	v_cndmask_b32_e64 v52, 0, 1.0, vcc
	v_cmp_eq_u32_e32 vcc, 2, v39
	v_cmp_gt_i32_e64 s[10:11], s3, v38
	v_lshlrev_b32_e32 v56, 2, v0
	v_cndmask_b32_e64 v53, 0, 1.0, vcc
	v_cmp_eq_u32_e32 vcc, 3, v39
	s_waitcnt vmcnt(7)
	v_mfma_f32_4x4x4_16b_f16 a[0:3], v[34:35], v[6:7], 0 cbsz:4
	v_mad_i64_i32 v[6:7], s[8:9], v5, s17, v[2:3]
	s_nop 0
	v_mfma_f32_4x4x4_16b_f16 a[0:3], v[36:37], v[8:9], a[0:3] cbsz:4
	v_lshrrev_b32_e32 v2, 29, v33
	v_mad_i64_i32 v[2:3], s[8:9], v4, s17, v[2:3]
	s_waitcnt vmcnt(6)
	v_mfma_f32_4x4x4_16b_f16 a[0:3], v[34:35], v[10:11], a[0:3] cbsz:4 abid:1
	v_lshlrev_b64 v[6:7], 1, v[6:7]
	v_lshlrev_b64 v[32:33], 1, v[2:3]
	v_mfma_f32_4x4x4_16b_f16 a[0:3], v[36:37], v[12:13], a[0:3] cbsz:4 abid:1
	v_and_b32_e32 v6, -16, v6
	v_and_b32_e32 v32, -16, v32
	s_waitcnt vmcnt(5)
	v_mfma_f32_4x4x4_16b_f16 a[0:3], v[34:35], v[14:15], a[0:3] cbsz:4 abid:2
	v_lshl_add_u64 v[50:51], v[30:31], 0, v[32:33]
	v_cndmask_b32_e64 v54, 0, 1.0, vcc
	v_mfma_f32_4x4x4_16b_f16 a[0:3], v[36:37], v[16:17], a[0:3] cbsz:4 abid:2
	v_cmp_gt_i32_e32 vcc, s3, v55
	s_waitcnt vmcnt(4)
	v_mfma_f32_4x4x4_16b_f16 a[0:3], v[34:35], v[18:19], a[0:3] cbsz:4 abid:3
	v_lshl_add_u64 v[18:19], v[30:31], 0, v[6:7]
	global_load_dwordx4 v[2:5], v[18:19], off
	global_load_dwordx4 v[6:9], v[18:19], off offset:16
	v_mfma_f32_4x4x4_16b_f16 a[0:3], v[36:37], v[20:21], a[0:3] cbsz:4 abid:3
	global_load_dwordx4 v[10:13], v[18:19], off offset:32
	global_load_dwordx4 v[14:17], v[18:19], off offset:48
	s_waitcnt vmcnt(7)
	v_mfma_f32_4x4x4_16b_f16 a[0:3], v[34:35], v[22:23], a[0:3] cbsz:4 abid:4
	s_nop 1
	v_mfma_f32_4x4x4_16b_f16 a[0:3], v[36:37], v[24:25], a[0:3] cbsz:4 abid:4
	global_load_dwordx4 v[18:21], v[50:51], off
	global_load_dwordx4 v[22:25], v[50:51], off offset:16
	s_waitcnt vmcnt(8)
	v_mfma_f32_4x4x4_16b_f16 a[0:3], v[34:35], v[26:27], a[0:3] cbsz:4 abid:5
	s_nop 1
	v_mfma_f32_4x4x4_16b_f16 a[0:3], v[36:37], v[28:29], a[0:3] cbsz:4 abid:5
	global_load_dwordx4 v[26:29], v[50:51], off offset:32
	global_load_dwordx4 v[30:33], v[50:51], off offset:48
	s_waitcnt vmcnt(9)
	v_mfma_f32_4x4x4_16b_f16 a[0:3], v[34:35], v[42:43], a[0:3] cbsz:4 abid:6
	v_mov_b32_e32 v42, 0xff7fffff
	v_and_or_b32 v43, v56, 48, v39
	v_mfma_f32_4x4x4_16b_f16 a[0:3], v[36:37], v[44:45], a[0:3] cbsz:4 abid:6
	v_lshlrev_b32_e32 v43, 2, v43
	s_waitcnt vmcnt(8)
	v_mfma_f32_4x4x4_16b_f16 a[0:3], v[34:35], v[46:47], a[0:3] cbsz:4 abid:7
	s_nop 1
	v_mfma_f32_4x4x4_16b_f16 a[0:3], v[36:37], v[48:49], a[0:3] cbsz:4 abid:7
	s_nop 4
	v_accvgpr_read_b32 v35, a1
	v_accvgpr_read_b32 v34, a0
	s_waitcnt lgkmcnt(0)
	v_pk_mul_f32 v[34:35], s[0:1], v[34:35] op_sel_hi:[0,1]
	v_accvgpr_read_b32 v37, a3
	v_accvgpr_read_b32 v36, a2
	v_pk_mul_f32 v[36:37], s[0:1], v[36:37] op_sel_hi:[0,1]
	v_mfma_f32_4x4x1_16b_f32 a[0:3], v34, v41, 0
	v_or_b32_e32 v34, 1, v55
	s_nop 0
	v_mfma_f32_4x4x1_16b_f32 a[0:3], v35, v52, a[0:3]
	v_cmp_gt_i32_e64 s[0:1], s3, v34
	v_or_b32_e32 v35, 2, v55
	v_mfma_f32_4x4x1_16b_f32 a[0:3], v36, v53, a[0:3]
	v_cmp_gt_i32_e64 s[8:9], s3, v35
	s_nop 0
	v_mfma_f32_4x4x1_16b_f32 a[0:3], v37, v54, a[0:3]
	s_nop 3
	v_accvgpr_read_b32 v36, a0
	v_max_f32_e32 v41, v36, v36
	v_accvgpr_read_b32 v37, a1
	v_max_f32_e32 v41, 0xff7fffff, v41
	v_max_f32_e32 v46, v37, v37
	v_cndmask_b32_e32 v41, v42, v41, vcc
	v_accvgpr_read_b32 v44, a2
	v_max_f32_e32 v42, v41, v46
	v_max_f32_e32 v47, v44, v44
	v_cndmask_b32_e64 v34, v41, v42, s[0:1]
	v_accvgpr_read_b32 v45, a3
	v_max_f32_e32 v41, v34, v47
	v_max_f32_e32 v48, v45, v45
	v_cndmask_b32_e64 v34, v34, v41, s[8:9]
	v_max_f32_e32 v35, v34, v48
	v_cndmask_b32_e64 v34, v34, v35, s[10:11]
	;;#ASMSTART
	v_nop
 v_nop
 v_max_f32_dpp v34, v34, v34 row_ror:4
	;;#ASMEND
	s_nop 0
	;;#ASMSTART
	v_nop
 v_nop
 v_max_f32_dpp v34, v34, v34 row_ror:8
	;;#ASMEND
	ds_bpermute_b32 v34, v43, v34
	s_waitcnt lgkmcnt(0)
	;;#ASMSTART
	v_nop
 v_nop
 v_max_f32_dpp v34, v34, v34 row_ror:4
	;;#ASMEND
	s_nop 0
	;;#ASMSTART
	v_nop
 v_nop
 v_max_f32_dpp v41, v34, v34 row_ror:8
	;;#ASMEND
	s_nop 0
	v_sub_f32_e32 v34, v36, v41
	v_sub_f32_e32 v35, v37, v41
	v_mul_f32_e32 v34, 0x3fb8aa3b, v34
	v_sub_f32_e32 v36, v44, v41
	v_mul_f32_e32 v35, 0x3fb8aa3b, v35
	v_exp_f32_e32 v34, v34
	v_sub_f32_e32 v37, v45, v41
	v_mul_f32_e32 v36, 0x3fb8aa3b, v36
	v_exp_f32_e32 v35, v35
	v_mul_f32_e32 v37, 0x3fb8aa3b, v37
	v_exp_f32_e32 v36, v36
	v_exp_f32_e32 v37, v37
	v_cndmask_b32_e32 v34, 0, v34, vcc
	v_cndmask_b32_e64 v35, 0, v35, s[0:1]
	v_add_f32_e32 v38, 0, v34
	v_cndmask_b32_e64 v36, 0, v36, s[8:9]
	v_add_f32_e32 v38, v38, v35
	;; [unrolled: 2-line block ×3, first 2 shown]
	v_add_f32_e32 v38, v38, v37
	;;#ASMSTART
	v_nop
 v_nop
 v_add_f32_dpp v38, v38, v38 row_ror:4
	;;#ASMEND
	v_cmp_gt_u32_e32 vcc, 4, v40
	;;#ASMSTART
	v_nop
 v_nop
 v_add_f32_dpp v38, v38, v38 row_ror:8
	;;#ASMEND
	ds_bpermute_b32 v38, v43, v38
	s_waitcnt lgkmcnt(0)
	;;#ASMSTART
	v_nop
 v_nop
 v_add_f32_dpp v38, v38, v38 row_ror:4
	;;#ASMEND
	s_nop 0
	;;#ASMSTART
	v_nop
 v_nop
 v_add_f32_dpp v38, v38, v38 row_ror:8
	;;#ASMEND
	s_and_saveexec_b64 s[0:1], vcc
	s_cbranch_execz .LBB132_16
; %bb.15:
	v_mul_u32_u24_e32 v42, 20, v1
	v_lshl_add_u32 v42, v39, 2, v42
	v_add_u32_e32 v42, 0x800, v42
	ds_write2_b32 v42, v41, v38 offset0:128 offset1:148
.LBB132_16:
	s_or_b64 exec, exec, s[0:1]
.LBB132_17:
	s_or_b64 exec, exec, s[26:27]
	s_waitcnt lgkmcnt(0)
	s_barrier
	s_load_dword s0, s[24:25], 0x8
	v_lshlrev_b32_e32 v38, 2, v39
	v_add_u32_e32 v43, 0x800, v38
	ds_read2_b32 v[44:45], v43 offset0:128 offset1:133
	ds_read2_b32 v[46:47], v43 offset0:138 offset1:143
	s_mul_i32 s1, s5, s2
	s_waitcnt lgkmcnt(0)
	s_mul_i32 s0, s1, s0
	s_mov_b32 s1, 0xff7fffff
	v_max3_f32 v38, v44, s1, v45
	v_max3_f32 v42, v38, v46, v47
	v_sub_f32_e32 v38, v44, v42
	v_sub_f32_e32 v44, v45, v42
	v_mul_f32_e32 v44, 0x3fb8aa3b, v44
	ds_read2_b32 v[48:49], v43 offset0:148 offset1:153
	v_mul_f32_e32 v38, 0x3fb8aa3b, v38
	v_exp_f32_e32 v51, v44
	ds_read2_b32 v[44:45], v43 offset0:158 offset1:163
	v_sub_f32_e32 v43, v46, v42
	v_exp_f32_e32 v50, v38
	v_mul_f32_e32 v43, 0x3fb8aa3b, v43
	v_exp_f32_e32 v46, v43
	v_sub_f32_e32 v43, v47, v42
	v_mul_f32_e32 v43, 0x3fb8aa3b, v43
	v_exp_f32_e32 v47, v43
	s_waitcnt lgkmcnt(1)
	v_fma_f32 v43, v50, v48, 0
	v_fmac_f32_e32 v43, v51, v49
	s_waitcnt lgkmcnt(0)
	v_fmac_f32_e32 v43, v46, v44
	v_mov_b32_e32 v38, 0
	v_fmac_f32_e32 v43, v47, v45
	s_mov_b32 s1, 0
	v_cmp_eq_u32_e32 vcc, 0, v39
	s_and_saveexec_b64 s[2:3], vcc
	s_cbranch_execz .LBB132_19
; %bb.18:
	s_lshl_b64 s[8:9], s[0:1], 2
	s_add_u32 s12, s12, s8
	s_mov_b32 s21, s1
	s_addc_u32 s13, s13, s9
	s_lshl_b64 s[10:11], s[20:21], 2
	s_add_u32 s12, s12, s10
	s_addc_u32 s13, s13, s11
	s_add_u32 s8, s14, s8
	s_addc_u32 s9, s15, s9
	;; [unrolled: 2-line block ×3, first 2 shown]
	s_mul_i32 s8, s5, s4
	s_mov_b32 s9, s1
	s_lshl_b64 s[8:9], s[8:9], 2
	s_add_u32 s10, s12, s8
	s_addc_u32 s11, s13, s9
	s_add_u32 s8, s14, s8
	s_addc_u32 s9, s15, s9
	global_store_dword v38, v42, s[8:9]
	global_store_dword v38, v43, s[10:11]
.LBB132_19:
	s_or_b64 exec, exec, s[2:3]
	v_mov_b32_e32 v39, 0
	s_and_saveexec_b64 s[2:3], s[6:7]
	s_cbranch_execz .LBB132_21
; %bb.20:
	v_add_f32_e32 v38, 0x358637bd, v43
	v_div_scale_f32 v39, s[6:7], v38, v38, 1.0
	v_rcp_f32_e32 v43, v39
	v_div_scale_f32 v44, vcc, 1.0, v38, 1.0
	v_sub_f32_e32 v41, v41, v42
	v_fma_f32 v45, -v39, v43, 1.0
	v_fmac_f32_e32 v43, v45, v43
	v_mul_f32_e32 v45, v44, v43
	v_fma_f32 v46, -v39, v45, v44
	v_mul_f32_e32 v41, 0x3fb8aa3b, v41
	v_fmac_f32_e32 v45, v46, v43
	v_exp_f32_e32 v41, v41
	v_fma_f32 v39, -v39, v45, v44
	v_div_fmas_f32 v39, v39, v43, v45
	v_div_fixup_f32 v38, v39, v38, 1.0
	v_mul_f32_e32 v38, v41, v38
	v_pk_mul_f32 v[36:37], v[36:37], v[38:39] op_sel_hi:[1,0]
	v_pk_mul_f32 v[34:35], v[34:35], v[38:39] op_sel_hi:[1,0]
	v_cvt_f16_f32_e32 v36, v36
	v_cvt_f16_f32_e32 v34, v34
	;; [unrolled: 1-line block ×4, first 2 shown]
	s_mov_b32 s1, 0x5040100
	v_pack_b32_f16 v34, v34, v35
	v_pack_b32_f16 v35, v36, v37
	s_waitcnt vmcnt(7)
	s_nop 0
	v_mfma_f32_4x4x4_16b_f16 a[0:3], v[34:35], v[2:3], 0 cbsz:4
	s_nop 1
	v_mfma_f32_4x4x4_16b_f16 a[0:3], v[34:35], v[4:5], a[0:3] cbsz:4 abid:1
	s_waitcnt vmcnt(6)
	s_nop 0
	v_mfma_f32_4x4x4_16b_f16 a[0:3], v[34:35], v[6:7], a[0:3] cbsz:4 abid:2
	s_nop 1
	v_mfma_f32_4x4x4_16b_f16 a[0:3], v[34:35], v[8:9], a[0:3] cbsz:4 abid:3
	s_waitcnt vmcnt(5)
	s_nop 0
	v_mfma_f32_4x4x4_16b_f16 a[0:3], v[34:35], v[10:11], a[0:3] cbsz:4 abid:4
	;; [unrolled: 5-line block ×7, first 2 shown]
	s_nop 1
	v_mfma_f32_4x4x4_16b_f16 a[0:3], v[34:35], v[32:33], a[0:3] cbsz:4 abid:15
	s_nop 4
	v_accvgpr_read_b32 v2, a0
	v_accvgpr_read_b32 v3, a1
	v_accvgpr_read_b32 v4, a2
	v_accvgpr_read_b32 v5, a3
	v_cvt_f16_f32_e32 v2, v2
	v_cvt_f16_f32_e32 v3, v3
	;; [unrolled: 1-line block ×4, first 2 shown]
	v_perm_b32 v38, v3, v2, s1
	v_perm_b32 v39, v5, v4, s1
.LBB132_21:
	s_or_b64 exec, exec, s[2:3]
	v_lshlrev_b32_e32 v1, 3, v1
	v_mad_u32_u24 v1, v40, 40, v1
	v_cmp_gt_u32_e32 vcc, 64, v0
	ds_write_b64 v1, v[38:39]
	s_waitcnt lgkmcnt(0)
	s_barrier
	s_and_saveexec_b64 s[2:3], vcc
	s_cbranch_execz .LBB132_23
; %bb.22:
	v_mul_u32_u24_e32 v1, 40, v40
	s_waitcnt vmcnt(7)
	ds_read2_b64 v[2:5], v1 offset1:1
	s_waitcnt vmcnt(6)
	ds_read2_b64 v[6:9], v1 offset0:2 offset1:3
	s_lshl_b32 s0, s0, 6
	s_mov_b32 s1, 0
	s_lshl_b64 s[2:3], s[0:1], 1
	s_add_u32 s2, s22, s2
	s_addc_u32 s3, s23, s3
	s_lshl_b32 s0, s20, 6
	s_lshl_b64 s[0:1], s[0:1], 1
	s_waitcnt lgkmcnt(1)
	v_pk_add_f16 v2, v2, 0
	s_add_u32 s0, s2, s0
	s_mul_i32 s4, s4, s5
	v_pk_add_f16 v2, v2, v4
	s_addc_u32 s1, s3, s1
	v_lshl_or_b32 v0, s4, 6, v0
	v_mov_b32_e32 v1, 0
	s_waitcnt lgkmcnt(0)
	v_pk_add_f16 v2, v2, v6
	v_lshl_add_u64 v[0:1], v[0:1], 1, s[0:1]
	v_pk_add_f16 v2, v2, v8
	global_store_short v[0:1], v2, off
.LBB132_23:
	s_endpgm
	.section	.rodata,"a",@progbits
	.p2align	6, 0x0
	.amdhsa_kernel _Z38paged_attention_ll4mi_QKV_mfma4_kernelIDF16_DF16_LN4vllm18Fp8KVCacheDataTypeE0EhLi32ELi64ELi256ELb0ELi1EEvPKT_PKT0_S7_ifPKiS9_S9_iPKfiiiPfSC_PS2_PT2_iSB_SB_
		.amdhsa_group_segment_fixed_size 2720
		.amdhsa_private_segment_fixed_size 0
		.amdhsa_kernarg_size 400
		.amdhsa_user_sgpr_count 2
		.amdhsa_user_sgpr_dispatch_ptr 0
		.amdhsa_user_sgpr_queue_ptr 0
		.amdhsa_user_sgpr_kernarg_segment_ptr 1
		.amdhsa_user_sgpr_dispatch_id 0
		.amdhsa_user_sgpr_kernarg_preload_length 0
		.amdhsa_user_sgpr_kernarg_preload_offset 0
		.amdhsa_user_sgpr_private_segment_size 0
		.amdhsa_uses_dynamic_stack 0
		.amdhsa_enable_private_segment 0
		.amdhsa_system_sgpr_workgroup_id_x 1
		.amdhsa_system_sgpr_workgroup_id_y 1
		.amdhsa_system_sgpr_workgroup_id_z 1
		.amdhsa_system_sgpr_workgroup_info 0
		.amdhsa_system_vgpr_workitem_id 0
		.amdhsa_next_free_vgpr 64
		.amdhsa_next_free_sgpr 38
		.amdhsa_accum_offset 60
		.amdhsa_reserve_vcc 1
		.amdhsa_float_round_mode_32 0
		.amdhsa_float_round_mode_16_64 0
		.amdhsa_float_denorm_mode_32 3
		.amdhsa_float_denorm_mode_16_64 3
		.amdhsa_dx10_clamp 1
		.amdhsa_ieee_mode 1
		.amdhsa_fp16_overflow 0
		.amdhsa_tg_split 0
		.amdhsa_exception_fp_ieee_invalid_op 0
		.amdhsa_exception_fp_denorm_src 0
		.amdhsa_exception_fp_ieee_div_zero 0
		.amdhsa_exception_fp_ieee_overflow 0
		.amdhsa_exception_fp_ieee_underflow 0
		.amdhsa_exception_fp_ieee_inexact 0
		.amdhsa_exception_int_div_zero 0
	.end_amdhsa_kernel
	.section	.text._Z38paged_attention_ll4mi_QKV_mfma4_kernelIDF16_DF16_LN4vllm18Fp8KVCacheDataTypeE0EhLi32ELi64ELi256ELb0ELi1EEvPKT_PKT0_S7_ifPKiS9_S9_iPKfiiiPfSC_PS2_PT2_iSB_SB_,"axG",@progbits,_Z38paged_attention_ll4mi_QKV_mfma4_kernelIDF16_DF16_LN4vllm18Fp8KVCacheDataTypeE0EhLi32ELi64ELi256ELb0ELi1EEvPKT_PKT0_S7_ifPKiS9_S9_iPKfiiiPfSC_PS2_PT2_iSB_SB_,comdat
.Lfunc_end132:
	.size	_Z38paged_attention_ll4mi_QKV_mfma4_kernelIDF16_DF16_LN4vllm18Fp8KVCacheDataTypeE0EhLi32ELi64ELi256ELb0ELi1EEvPKT_PKT0_S7_ifPKiS9_S9_iPKfiiiPfSC_PS2_PT2_iSB_SB_, .Lfunc_end132-_Z38paged_attention_ll4mi_QKV_mfma4_kernelIDF16_DF16_LN4vllm18Fp8KVCacheDataTypeE0EhLi32ELi64ELi256ELb0ELi1EEvPKT_PKT0_S7_ifPKiS9_S9_iPKfiiiPfSC_PS2_PT2_iSB_SB_
                                        ; -- End function
	.section	.AMDGPU.csdata,"",@progbits
; Kernel info:
; codeLenInByte = 2900
; NumSgprs: 44
; NumVgprs: 57
; NumAgprs: 4
; TotalNumVgprs: 64
; ScratchSize: 0
; MemoryBound: 0
; FloatMode: 240
; IeeeMode: 1
; LDSByteSize: 2720 bytes/workgroup (compile time only)
; SGPRBlocks: 5
; VGPRBlocks: 7
; NumSGPRsForWavesPerEU: 44
; NumVGPRsForWavesPerEU: 64
; AccumOffset: 60
; Occupancy: 8
; WaveLimiterHint : 1
; COMPUTE_PGM_RSRC2:SCRATCH_EN: 0
; COMPUTE_PGM_RSRC2:USER_SGPR: 2
; COMPUTE_PGM_RSRC2:TRAP_HANDLER: 0
; COMPUTE_PGM_RSRC2:TGID_X_EN: 1
; COMPUTE_PGM_RSRC2:TGID_Y_EN: 1
; COMPUTE_PGM_RSRC2:TGID_Z_EN: 1
; COMPUTE_PGM_RSRC2:TIDIG_COMP_CNT: 0
; COMPUTE_PGM_RSRC3_GFX90A:ACCUM_OFFSET: 14
; COMPUTE_PGM_RSRC3_GFX90A:TG_SPLIT: 0
	.section	.text._Z38paged_attention_ll4mi_QKV_mfma4_kernelIDF16_DF16_LN4vllm18Fp8KVCacheDataTypeE0EhLi32ELi64ELi256ELb0ELi2EEvPKT_PKT0_S7_ifPKiS9_S9_iPKfiiiPfSC_PS2_PT2_iSB_SB_,"axG",@progbits,_Z38paged_attention_ll4mi_QKV_mfma4_kernelIDF16_DF16_LN4vllm18Fp8KVCacheDataTypeE0EhLi32ELi64ELi256ELb0ELi2EEvPKT_PKT0_S7_ifPKiS9_S9_iPKfiiiPfSC_PS2_PT2_iSB_SB_,comdat
	.protected	_Z38paged_attention_ll4mi_QKV_mfma4_kernelIDF16_DF16_LN4vllm18Fp8KVCacheDataTypeE0EhLi32ELi64ELi256ELb0ELi2EEvPKT_PKT0_S7_ifPKiS9_S9_iPKfiiiPfSC_PS2_PT2_iSB_SB_ ; -- Begin function _Z38paged_attention_ll4mi_QKV_mfma4_kernelIDF16_DF16_LN4vllm18Fp8KVCacheDataTypeE0EhLi32ELi64ELi256ELb0ELi2EEvPKT_PKT0_S7_ifPKiS9_S9_iPKfiiiPfSC_PS2_PT2_iSB_SB_
	.globl	_Z38paged_attention_ll4mi_QKV_mfma4_kernelIDF16_DF16_LN4vllm18Fp8KVCacheDataTypeE0EhLi32ELi64ELi256ELb0ELi2EEvPKT_PKT0_S7_ifPKiS9_S9_iPKfiiiPfSC_PS2_PT2_iSB_SB_
	.p2align	8
	.type	_Z38paged_attention_ll4mi_QKV_mfma4_kernelIDF16_DF16_LN4vllm18Fp8KVCacheDataTypeE0EhLi32ELi64ELi256ELb0ELi2EEvPKT_PKT0_S7_ifPKiS9_S9_iPKfiiiPfSC_PS2_PT2_iSB_SB_,@function
_Z38paged_attention_ll4mi_QKV_mfma4_kernelIDF16_DF16_LN4vllm18Fp8KVCacheDataTypeE0EhLi32ELi64ELi256ELb0ELi2EEvPKT_PKT0_S7_ifPKiS9_S9_iPKfiiiPfSC_PS2_PT2_iSB_SB_: ; @_Z38paged_attention_ll4mi_QKV_mfma4_kernelIDF16_DF16_LN4vllm18Fp8KVCacheDataTypeE0EhLi32ELi64ELi256ELb0ELi2EEvPKT_PKT0_S7_ifPKiS9_S9_iPKfiiiPfSC_PS2_PT2_iSB_SB_
; %bb.0:
	s_load_dwordx2 s[16:17], s[0:1], 0x30
	s_mov_b32 s20, s3
	s_mov_b64 s[6:7], 0
	s_waitcnt lgkmcnt(0)
	s_cmp_lg_u64 s[16:17], 0
	s_cselect_b64 s[18:19], -1, 0
	s_and_b64 vcc, exec, s[18:19]
	s_cbranch_vccz .LBB133_10
; %bb.1:
	s_add_i32 s8, s2, 1
	s_mov_b32 s9, 0
	s_lshl_b64 s[10:11], s[8:9], 2
	s_add_u32 s10, s16, s10
	s_mov_b32 s3, s9
	s_addc_u32 s11, s17, s11
	s_lshl_b64 s[8:9], s[2:3], 2
	s_add_u32 s8, s16, s8
	s_addc_u32 s9, s17, s9
	s_load_dword s5, s[10:11], 0x0
	s_load_dword s12, s[8:9], 0x0
	s_waitcnt lgkmcnt(0)
	s_sub_i32 s5, s5, s12
	s_cmp_eq_u32 s5, 1
	s_cselect_b64 s[8:9], -1, 0
	s_andn2_b64 vcc, exec, s[6:7]
	s_cbranch_vccnz .LBB133_3
.LBB133_2:
	s_mov_b32 s3, 0
	s_mov_b64 s[8:9], -1
.LBB133_3:
	s_andn2_b64 vcc, exec, s[8:9]
	s_cbranch_vccnz .LBB133_23
; %bb.4:
	s_load_dword s5, s[0:1], 0x9c
	s_load_dwordx2 s[6:7], s[0:1], 0x28
	s_add_u32 s24, s0, 0x90
	s_addc_u32 s25, s1, 0
	s_lshl_b64 s[28:29], s[2:3], 2
	s_waitcnt lgkmcnt(0)
	s_and_b32 s5, s5, 0xffff
	s_add_u32 s6, s6, s28
	s_addc_u32 s7, s7, s29
	s_load_dword s3, s[6:7], 0x0
	s_mul_i32 s10, s20, s5
	s_waitcnt lgkmcnt(0)
	s_cmp_ge_i32 s10, s3
	s_cbranch_scc1 .LBB133_23
; %bb.5:
	v_and_b32_e32 v2, 0xc0, v0
	v_add_u32_e32 v2, s10, v2
	v_lshrrev_b32_e32 v1, 6, v0
	v_cmp_gt_i32_e64 s[6:7], s3, v2
	v_cmp_le_i32_e32 vcc, s3, v2
                                        ; implicit-def: $sgpr21
                                        ; implicit-def: $sgpr11
	s_and_saveexec_b64 s[8:9], vcc
	s_xor_b64 s[8:9], exec, s[8:9]
	s_cbranch_execz .LBB133_7
; %bb.6:
	v_mul_u32_u24_e32 v2, 20, v1
	v_or_b32_e32 v2, 0xa00, v2
	v_mov_b32_e32 v3, 0xa50
	v_mov_b32_e32 v4, 0xff7fffff
	v_mad_u32_u24 v3, v1, 20, v3
	ds_write2_b32 v2, v4, v4 offset1:1
	v_mov_b32_e32 v2, 0
	ds_write2_b32 v3, v2, v2 offset1:1
	v_mov_b32_e32 v3, 0xa08
	s_mov_b32 s11, 0xff7fffff
	s_mov_b32 s21, 0
	v_mad_u32_u24 v3, v1, 20, v3
	v_mov_b32_e32 v5, 0xa58
	v_mad_u32_u24 v5, v1, 20, v5
	ds_write2_b32 v3, v4, v4 offset1:1
	ds_write2_b32 v5, v2, v2 offset1:1
                                        ; implicit-def: $vgpr2
.LBB133_7:
	s_or_saveexec_b64 s[26:27], s[8:9]
	s_load_dwordx2 s[22:23], s[0:1], 0x68
	s_load_dwordx4 s[12:15], s[0:1], 0x58
	s_load_dword s5, s[24:25], 0x4
	v_and_b32_e32 v40, 63, v0
	v_and_b32_e32 v38, 3, v0
	v_mov_b32_e32 v37, s21
	v_mov_b32_e32 v41, s11
	;; [unrolled: 1-line block ×5, first 2 shown]
                                        ; implicit-def: $vgpr3
                                        ; implicit-def: $vgpr7
                                        ; implicit-def: $vgpr11
                                        ; implicit-def: $vgpr15
                                        ; implicit-def: $vgpr19
                                        ; implicit-def: $vgpr23
                                        ; implicit-def: $vgpr27
                                        ; implicit-def: $vgpr31
	s_xor_b64 exec, exec, s[26:27]
	s_cbranch_execz .LBB133_17
; %bb.8:
	s_add_i32 s21, s3, 31
	s_load_dwordx2 s[8:9], s[0:1], 0x20
	s_load_dword s11, s[0:1], 0x38
	s_ashr_i32 s30, s21, 31
	s_lshr_b32 s30, s30, 27
	v_add_u32_e32 v39, s10, v0
	s_add_i32 s21, s21, s30
	v_ashrrev_i32_e32 v3, 31, v39
	s_ashr_i32 s21, s21, 5
	v_lshrrev_b32_e32 v3, 27, v3
	s_add_i32 s21, s21, -1
	v_add_u32_e32 v3, v39, v3
	s_waitcnt lgkmcnt(0)
	s_mul_i32 s30, s2, s11
	s_mov_b32 s31, 0
	v_ashrrev_i32_e32 v3, 5, v3
	v_mov_b32_e32 v4, s21
	v_cmp_gt_i32_e32 vcc, s3, v39
	s_lshl_b64 s[30:31], s[30:31], 2
	s_add_u32 s8, s8, s30
	v_cndmask_b32_e32 v4, v4, v3, vcc
	v_ashrrev_i32_e32 v3, 31, v2
	v_lshrrev_b32_e32 v3, 27, v3
	s_addc_u32 s9, s9, s31
	v_ashrrev_i32_e32 v5, 31, v4
	v_add_u32_e32 v2, v2, v3
	v_lshl_add_u64 v[6:7], v[4:5], 2, s[8:9]
	v_ashrrev_i32_e32 v4, 5, v2
	v_min_i32_e32 v2, s21, v4
	v_ashrrev_i32_e32 v3, 31, v2
	v_lshl_add_u64 v[8:9], v[2:3], 2, s[8:9]
	v_add_u32_e32 v2, 1, v4
	v_min_i32_e32 v2, s21, v2
	v_ashrrev_i32_e32 v3, 31, v2
	v_lshl_add_u64 v[10:11], v[2:3], 2, s[8:9]
	global_load_dword v2, v[6:7], off
	global_load_dword v5, v[8:9], off
	global_load_dword v4, v[10:11], off
	s_load_dwordx4 s[8:11], s[0:1], 0x8
	s_andn2_b64 vcc, exec, s[18:19]
	s_cbranch_vccnz .LBB133_11
; %bb.9:
	s_add_u32 s16, s16, s28
	s_addc_u32 s17, s17, s29
	s_load_dword s21, s[16:17], 0x0
	s_branch .LBB133_12
.LBB133_10:
	s_mov_b64 s[8:9], 0
	s_branch .LBB133_2
.LBB133_11:
	s_mov_b32 s21, s2
.LBB133_12:
	s_load_dwordx4 s[16:19], s[0:1], 0x48
	v_cmp_gt_u32_e32 vcc, 2, v38
	s_mov_b32 s29, 0
	v_mov_b32_e32 v3, 0
	v_mov_b32_e32 v34, 0
	;; [unrolled: 1-line block ×5, first 2 shown]
	s_and_saveexec_b64 s[30:31], vcc
	s_cbranch_execz .LBB133_14
; %bb.13:
	s_load_dwordx2 s[34:35], s[0:1], 0x0
	s_waitcnt lgkmcnt(0)
	s_ashr_i32 s19, s16, 31
	s_mul_hi_u32 s28, s21, s16
	s_mul_i32 s19, s21, s19
	s_add_i32 s37, s28, s19
	s_mul_i32 s36, s21, s16
	s_lshl_b64 s[36:37], s[36:37], 1
	s_add_u32 s16, s34, s36
	s_addc_u32 s19, s35, s37
	s_lshl_b32 s28, s4, 7
	s_lshl_b64 s[34:35], s[28:29], 1
	s_add_u32 s34, s16, s34
	v_lshlrev_b32_e32 v6, 3, v38
	v_lshrrev_b32_e32 v7, 2, v40
	s_addc_u32 s35, s19, s35
	v_add_lshl_u32 v6, v6, v7, 4
	global_load_dwordx4 v[34:37], v6, s[34:35]
.LBB133_14:
	s_or_b64 exec, exec, s[30:31]
	s_waitcnt lgkmcnt(0)
	s_mul_i32 s28, s4, s18
	s_lshl_b64 s[18:19], s[28:29], 1
	s_add_u32 s8, s18, s8
	s_waitcnt vmcnt(2)
	v_mad_i64_i32 v[6:7], s[30:31], v2, s17, 0
	s_addc_u32 s9, s19, s9
	v_and_b32_e32 v2, 31, v0
	v_lshl_add_u64 v[6:7], v[6:7], 1, s[8:9]
	v_lshlrev_b32_e32 v2, 4, v2
	v_lshl_add_u64 v[30:31], v[6:7], 0, v[2:3]
	global_load_dwordx4 v[6:9], v[30:31], off
	global_load_dwordx4 v[10:13], v[30:31], off offset:512
	global_load_dwordx4 v[14:17], v[30:31], off offset:1024
	;; [unrolled: 1-line block ×7, first 2 shown]
	s_waitcnt vmcnt(9)
	v_mul_hi_i32 v2, v5, s17
	s_add_u32 s8, s10, s18
	s_waitcnt vmcnt(8)
	v_mul_hi_i32 v30, v4, s17
	v_ashrrev_i32_e32 v32, 31, v2
	s_addc_u32 s9, s11, s19
	v_lshlrev_b32_e32 v2, 6, v40
	v_ashrrev_i32_e32 v33, 31, v30
	v_lshl_add_u64 v[30:31], s[8:9], 0, v[2:3]
	v_lshrrev_b32_e32 v2, 29, v32
	s_load_dword s0, s[0:1], 0x1c
	v_cmp_eq_u32_e32 vcc, 0, v38
	v_and_b32_e32 v55, -4, v39
	v_or_b32_e32 v39, 3, v39
	v_cndmask_b32_e64 v41, 0, 1.0, vcc
	v_cmp_eq_u32_e32 vcc, 1, v38
	v_cmp_gt_i32_e64 s[10:11], s3, v39
	v_lshlrev_b32_e32 v56, 2, v0
	v_cndmask_b32_e64 v52, 0, 1.0, vcc
	v_cmp_eq_u32_e32 vcc, 2, v38
	s_waitcnt vmcnt(7)
	v_mfma_f32_4x4x4_16b_f16 a[0:3], v[34:35], v[6:7], 0 cbsz:4
	v_mad_i64_i32 v[6:7], s[8:9], v5, s17, v[2:3]
	s_nop 0
	v_mfma_f32_4x4x4_16b_f16 a[0:3], v[36:37], v[8:9], a[0:3] cbsz:4
	v_lshrrev_b32_e32 v2, 29, v33
	v_mad_i64_i32 v[2:3], s[8:9], v4, s17, v[2:3]
	s_waitcnt vmcnt(6)
	v_mfma_f32_4x4x4_16b_f16 a[0:3], v[34:35], v[10:11], a[0:3] cbsz:4 abid:1
	v_lshlrev_b64 v[6:7], 1, v[6:7]
	v_lshlrev_b64 v[32:33], 1, v[2:3]
	v_mfma_f32_4x4x4_16b_f16 a[0:3], v[36:37], v[12:13], a[0:3] cbsz:4 abid:1
	v_and_b32_e32 v6, -16, v6
	v_and_b32_e32 v32, -16, v32
	s_waitcnt vmcnt(5)
	v_mfma_f32_4x4x4_16b_f16 a[0:3], v[34:35], v[14:15], a[0:3] cbsz:4 abid:2
	v_lshl_add_u64 v[50:51], v[30:31], 0, v[32:33]
	v_cndmask_b32_e64 v53, 0, 1.0, vcc
	v_mfma_f32_4x4x4_16b_f16 a[0:3], v[36:37], v[16:17], a[0:3] cbsz:4 abid:2
	v_cmp_eq_u32_e32 vcc, 3, v38
	s_waitcnt vmcnt(4)
	v_mfma_f32_4x4x4_16b_f16 a[0:3], v[34:35], v[18:19], a[0:3] cbsz:4 abid:3
	v_lshl_add_u64 v[18:19], v[30:31], 0, v[6:7]
	global_load_dwordx4 v[2:5], v[18:19], off
	global_load_dwordx4 v[6:9], v[18:19], off offset:16
	v_mfma_f32_4x4x4_16b_f16 a[0:3], v[36:37], v[20:21], a[0:3] cbsz:4 abid:3
	global_load_dwordx4 v[10:13], v[18:19], off offset:32
	global_load_dwordx4 v[14:17], v[18:19], off offset:48
	s_waitcnt vmcnt(7)
	v_mfma_f32_4x4x4_16b_f16 a[0:3], v[34:35], v[22:23], a[0:3] cbsz:4 abid:4
	v_cndmask_b32_e64 v54, 0, 1.0, vcc
	v_cmp_gt_i32_e32 vcc, s3, v55
	v_mfma_f32_4x4x4_16b_f16 a[0:3], v[36:37], v[24:25], a[0:3] cbsz:4 abid:4
	global_load_dwordx4 v[18:21], v[50:51], off
	global_load_dwordx4 v[22:25], v[50:51], off offset:16
	s_waitcnt vmcnt(8)
	v_mfma_f32_4x4x4_16b_f16 a[0:3], v[34:35], v[26:27], a[0:3] cbsz:4 abid:5
	s_nop 1
	v_mfma_f32_4x4x4_16b_f16 a[0:3], v[36:37], v[28:29], a[0:3] cbsz:4 abid:5
	global_load_dwordx4 v[26:29], v[50:51], off offset:32
	global_load_dwordx4 v[30:33], v[50:51], off offset:48
	s_waitcnt vmcnt(9)
	v_mfma_f32_4x4x4_16b_f16 a[0:3], v[34:35], v[42:43], a[0:3] cbsz:4 abid:6
	v_mov_b32_e32 v42, 0xff7fffff
	v_and_or_b32 v43, v56, 48, v38
	v_mfma_f32_4x4x4_16b_f16 a[0:3], v[36:37], v[44:45], a[0:3] cbsz:4 abid:6
	v_lshlrev_b32_e32 v43, 2, v43
	s_waitcnt vmcnt(8)
	v_mfma_f32_4x4x4_16b_f16 a[0:3], v[34:35], v[46:47], a[0:3] cbsz:4 abid:7
	s_nop 1
	v_mfma_f32_4x4x4_16b_f16 a[0:3], v[36:37], v[48:49], a[0:3] cbsz:4 abid:7
	s_nop 4
	v_accvgpr_read_b32 v35, a1
	v_accvgpr_read_b32 v34, a0
	s_waitcnt lgkmcnt(0)
	v_pk_mul_f32 v[34:35], s[0:1], v[34:35] op_sel_hi:[0,1]
	v_accvgpr_read_b32 v37, a3
	v_accvgpr_read_b32 v36, a2
	v_pk_mul_f32 v[36:37], s[0:1], v[36:37] op_sel_hi:[0,1]
	v_mfma_f32_4x4x1_16b_f32 a[0:3], v34, v41, 0
	v_or_b32_e32 v34, 1, v55
	s_nop 0
	v_mfma_f32_4x4x1_16b_f32 a[0:3], v35, v52, a[0:3]
	v_cmp_gt_i32_e64 s[0:1], s3, v34
	v_or_b32_e32 v35, 2, v55
	v_mfma_f32_4x4x1_16b_f32 a[0:3], v36, v53, a[0:3]
	v_cmp_gt_i32_e64 s[8:9], s3, v35
	s_nop 0
	v_mfma_f32_4x4x1_16b_f32 a[0:3], v37, v54, a[0:3]
	s_nop 3
	v_accvgpr_read_b32 v36, a0
	v_max_f32_e32 v41, v36, v36
	v_accvgpr_read_b32 v37, a1
	v_max_f32_e32 v41, 0xff7fffff, v41
	v_max_f32_e32 v46, v37, v37
	v_cndmask_b32_e32 v41, v42, v41, vcc
	v_accvgpr_read_b32 v44, a2
	v_max_f32_e32 v42, v41, v46
	v_max_f32_e32 v47, v44, v44
	v_cndmask_b32_e64 v34, v41, v42, s[0:1]
	v_accvgpr_read_b32 v45, a3
	v_max_f32_e32 v41, v34, v47
	v_max_f32_e32 v48, v45, v45
	v_cndmask_b32_e64 v34, v34, v41, s[8:9]
	v_max_f32_e32 v35, v34, v48
	v_cndmask_b32_e64 v34, v34, v35, s[10:11]
	;;#ASMSTART
	v_nop
 v_nop
 v_max_f32_dpp v34, v34, v34 row_ror:4
	;;#ASMEND
	s_nop 0
	;;#ASMSTART
	v_nop
 v_nop
 v_max_f32_dpp v34, v34, v34 row_ror:8
	;;#ASMEND
	ds_bpermute_b32 v34, v43, v34
	s_waitcnt lgkmcnt(0)
	;;#ASMSTART
	v_nop
 v_nop
 v_max_f32_dpp v34, v34, v34 row_ror:4
	;;#ASMEND
	s_nop 0
	;;#ASMSTART
	v_nop
 v_nop
 v_max_f32_dpp v41, v34, v34 row_ror:8
	;;#ASMEND
	s_nop 0
	v_sub_f32_e32 v34, v36, v41
	v_sub_f32_e32 v35, v37, v41
	v_mul_f32_e32 v34, 0x3fb8aa3b, v34
	v_sub_f32_e32 v36, v44, v41
	v_mul_f32_e32 v35, 0x3fb8aa3b, v35
	v_exp_f32_e32 v34, v34
	v_sub_f32_e32 v37, v45, v41
	v_mul_f32_e32 v36, 0x3fb8aa3b, v36
	v_exp_f32_e32 v35, v35
	v_mul_f32_e32 v37, 0x3fb8aa3b, v37
	v_exp_f32_e32 v36, v36
	v_exp_f32_e32 v37, v37
	v_cndmask_b32_e32 v34, 0, v34, vcc
	v_cndmask_b32_e64 v35, 0, v35, s[0:1]
	v_add_f32_e32 v39, 0, v34
	v_cndmask_b32_e64 v36, 0, v36, s[8:9]
	v_add_f32_e32 v39, v39, v35
	v_cndmask_b32_e64 v37, 0, v37, s[10:11]
	v_add_f32_e32 v39, v39, v36
	v_add_f32_e32 v39, v39, v37
	;;#ASMSTART
	v_nop
 v_nop
 v_add_f32_dpp v39, v39, v39 row_ror:4
	;;#ASMEND
	v_cmp_gt_u32_e32 vcc, 4, v40
	;;#ASMSTART
	v_nop
 v_nop
 v_add_f32_dpp v39, v39, v39 row_ror:8
	;;#ASMEND
	ds_bpermute_b32 v39, v43, v39
	s_waitcnt lgkmcnt(0)
	;;#ASMSTART
	v_nop
 v_nop
 v_add_f32_dpp v39, v39, v39 row_ror:4
	;;#ASMEND
	s_nop 0
	;;#ASMSTART
	v_nop
 v_nop
 v_add_f32_dpp v39, v39, v39 row_ror:8
	;;#ASMEND
	s_and_saveexec_b64 s[0:1], vcc
	s_cbranch_execz .LBB133_16
; %bb.15:
	v_mul_u32_u24_e32 v42, 20, v1
	v_lshl_add_u32 v42, v38, 2, v42
	v_add_u32_e32 v42, 0x800, v42
	ds_write2_b32 v42, v41, v39 offset0:128 offset1:148
.LBB133_16:
	s_or_b64 exec, exec, s[0:1]
.LBB133_17:
	s_or_b64 exec, exec, s[26:27]
	s_waitcnt lgkmcnt(0)
	s_barrier
	s_load_dword s0, s[24:25], 0x8
	v_lshlrev_b32_e32 v39, 2, v38
	v_add_u32_e32 v39, 0x800, v39
	ds_read2_b32 v[44:45], v39 offset0:128 offset1:133
	ds_read2_b32 v[46:47], v39 offset0:138 offset1:143
	s_mul_i32 s1, s2, s5
	s_waitcnt lgkmcnt(0)
	s_mul_i32 s1, s1, s0
	s_lshl_b32 s0, s1, 1
	s_mov_b32 s1, 0xff7fffff
	v_max3_f32 v42, v44, s1, v45
	v_max3_f32 v42, v42, v46, v47
	v_sub_f32_e32 v43, v44, v42
	v_sub_f32_e32 v44, v45, v42
	ds_read2_b32 v[48:49], v39 offset0:148 offset1:153
	v_mul_f32_e32 v43, 0x3fb8aa3b, v43
	v_mul_f32_e32 v44, 0x3fb8aa3b, v44
	v_exp_f32_e32 v43, v43
	v_exp_f32_e32 v50, v44
	ds_read2_b32 v[44:45], v39 offset0:158 offset1:163
	v_sub_f32_e32 v39, v46, v42
	v_mul_f32_e32 v39, 0x3fb8aa3b, v39
	v_sub_f32_e32 v46, v47, v42
	v_exp_f32_e32 v39, v39
	v_mul_f32_e32 v46, 0x3fb8aa3b, v46
	v_exp_f32_e32 v46, v46
	s_waitcnt lgkmcnt(1)
	v_fma_f32 v43, v43, v48, 0
	v_fmac_f32_e32 v43, v50, v49
	s_waitcnt lgkmcnt(0)
	v_fmac_f32_e32 v43, v39, v44
	s_lshl_b32 s4, s4, 1
	v_fmac_f32_e32 v43, v46, v45
	v_cmp_gt_u32_e32 vcc, 2, v38
	s_and_saveexec_b64 s[2:3], vcc
	s_cbranch_execz .LBB133_19
; %bb.18:
	s_mov_b32 s1, 0
	s_lshl_b64 s[8:9], s[0:1], 2
	s_add_u32 s12, s12, s8
	s_mov_b32 s21, s1
	s_addc_u32 s13, s13, s9
	s_lshl_b64 s[10:11], s[20:21], 2
	s_add_u32 s12, s12, s10
	s_addc_u32 s13, s13, s11
	s_add_u32 s1, s14, s8
	s_addc_u32 s9, s15, s9
	v_or_b32_e32 v38, s4, v38
	s_add_u32 s8, s1, s10
	v_mul_lo_u32 v38, s5, v38
	v_mov_b32_e32 v39, 0
	s_addc_u32 s9, s9, s11
	v_lshlrev_b64 v[38:39], 2, v[38:39]
	v_lshl_add_u64 v[44:45], s[12:13], 0, v[38:39]
	v_lshl_add_u64 v[38:39], s[8:9], 0, v[38:39]
	global_store_dword v[38:39], v42, off
	global_store_dword v[44:45], v43, off
.LBB133_19:
	s_or_b64 exec, exec, s[2:3]
	v_mov_b32_e32 v38, 0
	v_mov_b32_e32 v39, 0
	s_and_saveexec_b64 s[2:3], s[6:7]
	s_cbranch_execz .LBB133_21
; %bb.20:
	v_add_f32_e32 v38, 0x358637bd, v43
	v_div_scale_f32 v39, s[6:7], v38, v38, 1.0
	v_rcp_f32_e32 v43, v39
	v_div_scale_f32 v44, vcc, 1.0, v38, 1.0
	v_sub_f32_e32 v41, v41, v42
	v_fma_f32 v45, -v39, v43, 1.0
	v_fmac_f32_e32 v43, v45, v43
	v_mul_f32_e32 v45, v44, v43
	v_fma_f32 v46, -v39, v45, v44
	v_mul_f32_e32 v41, 0x3fb8aa3b, v41
	v_fmac_f32_e32 v45, v46, v43
	v_exp_f32_e32 v41, v41
	v_fma_f32 v39, -v39, v45, v44
	v_div_fmas_f32 v39, v39, v43, v45
	v_div_fixup_f32 v38, v39, v38, 1.0
	v_mul_f32_e32 v38, v41, v38
	v_pk_mul_f32 v[36:37], v[36:37], v[38:39] op_sel_hi:[1,0]
	v_pk_mul_f32 v[34:35], v[34:35], v[38:39] op_sel_hi:[1,0]
	v_cvt_f16_f32_e32 v36, v36
	v_cvt_f16_f32_e32 v34, v34
	;; [unrolled: 1-line block ×4, first 2 shown]
	s_mov_b32 s1, 0x5040100
	v_pack_b32_f16 v34, v34, v35
	v_pack_b32_f16 v35, v36, v37
	s_waitcnt vmcnt(7)
	s_nop 0
	v_mfma_f32_4x4x4_16b_f16 a[0:3], v[34:35], v[2:3], 0 cbsz:4
	s_nop 1
	v_mfma_f32_4x4x4_16b_f16 a[0:3], v[34:35], v[4:5], a[0:3] cbsz:4 abid:1
	s_waitcnt vmcnt(6)
	s_nop 0
	v_mfma_f32_4x4x4_16b_f16 a[0:3], v[34:35], v[6:7], a[0:3] cbsz:4 abid:2
	s_nop 1
	v_mfma_f32_4x4x4_16b_f16 a[0:3], v[34:35], v[8:9], a[0:3] cbsz:4 abid:3
	s_waitcnt vmcnt(5)
	s_nop 0
	v_mfma_f32_4x4x4_16b_f16 a[0:3], v[34:35], v[10:11], a[0:3] cbsz:4 abid:4
	;; [unrolled: 5-line block ×7, first 2 shown]
	s_nop 1
	v_mfma_f32_4x4x4_16b_f16 a[0:3], v[34:35], v[32:33], a[0:3] cbsz:4 abid:15
	s_nop 4
	v_accvgpr_read_b32 v2, a0
	v_accvgpr_read_b32 v3, a1
	;; [unrolled: 1-line block ×4, first 2 shown]
	v_cvt_f16_f32_e32 v2, v2
	v_cvt_f16_f32_e32 v3, v3
	;; [unrolled: 1-line block ×4, first 2 shown]
	v_perm_b32 v38, v3, v2, s1
	v_perm_b32 v39, v5, v4, s1
.LBB133_21:
	s_or_b64 exec, exec, s[2:3]
	v_lshlrev_b32_e32 v1, 3, v1
	v_mad_u32_u24 v1, v40, 40, v1
	v_cmp_gt_u32_e32 vcc, 64, v0
	ds_write_b64 v1, v[38:39]
	s_waitcnt lgkmcnt(0)
	s_barrier
	s_and_saveexec_b64 s[2:3], vcc
	s_cbranch_execz .LBB133_23
; %bb.22:
	s_mov_b32 s1, 0
	s_lshl_b32 s0, s0, 6
	v_mul_u32_u24_e32 v1, 40, v40
	s_lshl_b64 s[2:3], s[0:1], 1
	s_waitcnt vmcnt(7)
	ds_read2_b64 v[2:5], v1 offset1:1
	s_waitcnt vmcnt(6)
	ds_read2_b64 v[6:9], v1 offset0:2 offset1:3
	s_add_u32 s2, s22, s2
	s_addc_u32 s3, s23, s3
	s_lshl_b32 s0, s20, 6
	s_lshl_b64 s[0:1], s[0:1], 1
	s_add_u32 s0, s2, s0
	s_addc_u32 s1, s3, s1
	s_lshl_b32 s2, s5, 6
	s_waitcnt lgkmcnt(1)
	v_pk_add_f16 v1, v2, 0
	s_mul_i32 s3, s2, s4
	v_pk_add_f16 v1, v1, v4
	v_or_b32_e32 v2, s3, v0
	v_mov_b32_e32 v3, 0
	s_add_i32 s3, s3, s2
	s_waitcnt lgkmcnt(0)
	v_pk_add_f16 v1, v1, v6
	v_lshl_add_u64 v[4:5], v[2:3], 1, s[0:1]
	v_or_b32_e32 v2, s3, v0
	v_pk_add_f16 v6, v1, v8
	v_lshl_add_u64 v[0:1], v[2:3], 1, s[0:1]
	global_store_short v[4:5], v6, off
	global_store_short_d16_hi v[0:1], v6, off
.LBB133_23:
	s_endpgm
	.section	.rodata,"a",@progbits
	.p2align	6, 0x0
	.amdhsa_kernel _Z38paged_attention_ll4mi_QKV_mfma4_kernelIDF16_DF16_LN4vllm18Fp8KVCacheDataTypeE0EhLi32ELi64ELi256ELb0ELi2EEvPKT_PKT0_S7_ifPKiS9_S9_iPKfiiiPfSC_PS2_PT2_iSB_SB_
		.amdhsa_group_segment_fixed_size 2720
		.amdhsa_private_segment_fixed_size 0
		.amdhsa_kernarg_size 400
		.amdhsa_user_sgpr_count 2
		.amdhsa_user_sgpr_dispatch_ptr 0
		.amdhsa_user_sgpr_queue_ptr 0
		.amdhsa_user_sgpr_kernarg_segment_ptr 1
		.amdhsa_user_sgpr_dispatch_id 0
		.amdhsa_user_sgpr_kernarg_preload_length 0
		.amdhsa_user_sgpr_kernarg_preload_offset 0
		.amdhsa_user_sgpr_private_segment_size 0
		.amdhsa_uses_dynamic_stack 0
		.amdhsa_enable_private_segment 0
		.amdhsa_system_sgpr_workgroup_id_x 1
		.amdhsa_system_sgpr_workgroup_id_y 1
		.amdhsa_system_sgpr_workgroup_id_z 1
		.amdhsa_system_sgpr_workgroup_info 0
		.amdhsa_system_vgpr_workitem_id 0
		.amdhsa_next_free_vgpr 64
		.amdhsa_next_free_sgpr 38
		.amdhsa_accum_offset 60
		.amdhsa_reserve_vcc 1
		.amdhsa_float_round_mode_32 0
		.amdhsa_float_round_mode_16_64 0
		.amdhsa_float_denorm_mode_32 3
		.amdhsa_float_denorm_mode_16_64 3
		.amdhsa_dx10_clamp 1
		.amdhsa_ieee_mode 1
		.amdhsa_fp16_overflow 0
		.amdhsa_tg_split 0
		.amdhsa_exception_fp_ieee_invalid_op 0
		.amdhsa_exception_fp_denorm_src 0
		.amdhsa_exception_fp_ieee_div_zero 0
		.amdhsa_exception_fp_ieee_overflow 0
		.amdhsa_exception_fp_ieee_underflow 0
		.amdhsa_exception_fp_ieee_inexact 0
		.amdhsa_exception_int_div_zero 0
	.end_amdhsa_kernel
	.section	.text._Z38paged_attention_ll4mi_QKV_mfma4_kernelIDF16_DF16_LN4vllm18Fp8KVCacheDataTypeE0EhLi32ELi64ELi256ELb0ELi2EEvPKT_PKT0_S7_ifPKiS9_S9_iPKfiiiPfSC_PS2_PT2_iSB_SB_,"axG",@progbits,_Z38paged_attention_ll4mi_QKV_mfma4_kernelIDF16_DF16_LN4vllm18Fp8KVCacheDataTypeE0EhLi32ELi64ELi256ELb0ELi2EEvPKT_PKT0_S7_ifPKiS9_S9_iPKfiiiPfSC_PS2_PT2_iSB_SB_,comdat
.Lfunc_end133:
	.size	_Z38paged_attention_ll4mi_QKV_mfma4_kernelIDF16_DF16_LN4vllm18Fp8KVCacheDataTypeE0EhLi32ELi64ELi256ELb0ELi2EEvPKT_PKT0_S7_ifPKiS9_S9_iPKfiiiPfSC_PS2_PT2_iSB_SB_, .Lfunc_end133-_Z38paged_attention_ll4mi_QKV_mfma4_kernelIDF16_DF16_LN4vllm18Fp8KVCacheDataTypeE0EhLi32ELi64ELi256ELb0ELi2EEvPKT_PKT0_S7_ifPKiS9_S9_iPKfiiiPfSC_PS2_PT2_iSB_SB_
                                        ; -- End function
	.section	.AMDGPU.csdata,"",@progbits
; Kernel info:
; codeLenInByte = 2956
; NumSgprs: 44
; NumVgprs: 57
; NumAgprs: 4
; TotalNumVgprs: 64
; ScratchSize: 0
; MemoryBound: 0
; FloatMode: 240
; IeeeMode: 1
; LDSByteSize: 2720 bytes/workgroup (compile time only)
; SGPRBlocks: 5
; VGPRBlocks: 7
; NumSGPRsForWavesPerEU: 44
; NumVGPRsForWavesPerEU: 64
; AccumOffset: 60
; Occupancy: 8
; WaveLimiterHint : 1
; COMPUTE_PGM_RSRC2:SCRATCH_EN: 0
; COMPUTE_PGM_RSRC2:USER_SGPR: 2
; COMPUTE_PGM_RSRC2:TRAP_HANDLER: 0
; COMPUTE_PGM_RSRC2:TGID_X_EN: 1
; COMPUTE_PGM_RSRC2:TGID_Y_EN: 1
; COMPUTE_PGM_RSRC2:TGID_Z_EN: 1
; COMPUTE_PGM_RSRC2:TIDIG_COMP_CNT: 0
; COMPUTE_PGM_RSRC3_GFX90A:ACCUM_OFFSET: 14
; COMPUTE_PGM_RSRC3_GFX90A:TG_SPLIT: 0
	.section	.text._Z38paged_attention_ll4mi_QKV_mfma4_kernelIDF16_DF16_LN4vllm18Fp8KVCacheDataTypeE0EhLi32ELi64ELi256ELb0ELi3EEvPKT_PKT0_S7_ifPKiS9_S9_iPKfiiiPfSC_PS2_PT2_iSB_SB_,"axG",@progbits,_Z38paged_attention_ll4mi_QKV_mfma4_kernelIDF16_DF16_LN4vllm18Fp8KVCacheDataTypeE0EhLi32ELi64ELi256ELb0ELi3EEvPKT_PKT0_S7_ifPKiS9_S9_iPKfiiiPfSC_PS2_PT2_iSB_SB_,comdat
	.protected	_Z38paged_attention_ll4mi_QKV_mfma4_kernelIDF16_DF16_LN4vllm18Fp8KVCacheDataTypeE0EhLi32ELi64ELi256ELb0ELi3EEvPKT_PKT0_S7_ifPKiS9_S9_iPKfiiiPfSC_PS2_PT2_iSB_SB_ ; -- Begin function _Z38paged_attention_ll4mi_QKV_mfma4_kernelIDF16_DF16_LN4vllm18Fp8KVCacheDataTypeE0EhLi32ELi64ELi256ELb0ELi3EEvPKT_PKT0_S7_ifPKiS9_S9_iPKfiiiPfSC_PS2_PT2_iSB_SB_
	.globl	_Z38paged_attention_ll4mi_QKV_mfma4_kernelIDF16_DF16_LN4vllm18Fp8KVCacheDataTypeE0EhLi32ELi64ELi256ELb0ELi3EEvPKT_PKT0_S7_ifPKiS9_S9_iPKfiiiPfSC_PS2_PT2_iSB_SB_
	.p2align	8
	.type	_Z38paged_attention_ll4mi_QKV_mfma4_kernelIDF16_DF16_LN4vllm18Fp8KVCacheDataTypeE0EhLi32ELi64ELi256ELb0ELi3EEvPKT_PKT0_S7_ifPKiS9_S9_iPKfiiiPfSC_PS2_PT2_iSB_SB_,@function
_Z38paged_attention_ll4mi_QKV_mfma4_kernelIDF16_DF16_LN4vllm18Fp8KVCacheDataTypeE0EhLi32ELi64ELi256ELb0ELi3EEvPKT_PKT0_S7_ifPKiS9_S9_iPKfiiiPfSC_PS2_PT2_iSB_SB_: ; @_Z38paged_attention_ll4mi_QKV_mfma4_kernelIDF16_DF16_LN4vllm18Fp8KVCacheDataTypeE0EhLi32ELi64ELi256ELb0ELi3EEvPKT_PKT0_S7_ifPKiS9_S9_iPKfiiiPfSC_PS2_PT2_iSB_SB_
; %bb.0:
	s_load_dwordx2 s[16:17], s[0:1], 0x30
	s_mov_b32 s20, s3
	s_mov_b64 s[6:7], 0
	s_waitcnt lgkmcnt(0)
	s_cmp_lg_u64 s[16:17], 0
	s_cselect_b64 s[18:19], -1, 0
	s_and_b64 vcc, exec, s[18:19]
	s_cbranch_vccz .LBB134_10
; %bb.1:
	s_add_i32 s8, s2, 1
	s_mov_b32 s9, 0
	s_lshl_b64 s[10:11], s[8:9], 2
	s_add_u32 s10, s16, s10
	s_mov_b32 s3, s9
	s_addc_u32 s11, s17, s11
	s_lshl_b64 s[8:9], s[2:3], 2
	s_add_u32 s8, s16, s8
	s_addc_u32 s9, s17, s9
	s_load_dword s5, s[10:11], 0x0
	s_load_dword s12, s[8:9], 0x0
	s_waitcnt lgkmcnt(0)
	s_sub_i32 s5, s5, s12
	s_cmp_eq_u32 s5, 1
	s_cselect_b64 s[8:9], -1, 0
	s_andn2_b64 vcc, exec, s[6:7]
	s_cbranch_vccnz .LBB134_3
.LBB134_2:
	s_mov_b32 s3, 0
	s_mov_b64 s[8:9], -1
.LBB134_3:
	s_andn2_b64 vcc, exec, s[8:9]
	s_cbranch_vccnz .LBB134_23
; %bb.4:
	s_load_dword s5, s[0:1], 0x9c
	s_load_dwordx2 s[6:7], s[0:1], 0x28
	s_add_u32 s24, s0, 0x90
	s_addc_u32 s25, s1, 0
	s_lshl_b64 s[28:29], s[2:3], 2
	s_waitcnt lgkmcnt(0)
	s_and_b32 s5, s5, 0xffff
	s_add_u32 s6, s6, s28
	s_addc_u32 s7, s7, s29
	s_load_dword s3, s[6:7], 0x0
	s_mul_i32 s10, s20, s5
	s_waitcnt lgkmcnt(0)
	s_cmp_ge_i32 s10, s3
	s_cbranch_scc1 .LBB134_23
; %bb.5:
	v_and_b32_e32 v2, 0xc0, v0
	v_add_u32_e32 v2, s10, v2
	v_lshrrev_b32_e32 v1, 6, v0
	v_cmp_gt_i32_e64 s[6:7], s3, v2
	v_cmp_le_i32_e32 vcc, s3, v2
                                        ; implicit-def: $sgpr21
                                        ; implicit-def: $sgpr11
	s_and_saveexec_b64 s[8:9], vcc
	s_xor_b64 s[8:9], exec, s[8:9]
	s_cbranch_execz .LBB134_7
; %bb.6:
	v_mul_u32_u24_e32 v2, 20, v1
	v_or_b32_e32 v2, 0xa00, v2
	v_mov_b32_e32 v3, 0xa50
	v_mov_b32_e32 v4, 0xff7fffff
	v_mad_u32_u24 v3, v1, 20, v3
	ds_write2_b32 v2, v4, v4 offset1:1
	v_mov_b32_e32 v2, 0
	ds_write2_b32 v3, v2, v2 offset1:1
	v_mov_b32_e32 v3, 0xa08
	s_mov_b32 s11, 0xff7fffff
	s_mov_b32 s21, 0
	v_mad_u32_u24 v3, v1, 20, v3
	v_mov_b32_e32 v5, 0xa58
	v_mad_u32_u24 v5, v1, 20, v5
	ds_write2_b32 v3, v4, v4 offset1:1
	ds_write2_b32 v5, v2, v2 offset1:1
                                        ; implicit-def: $vgpr2
.LBB134_7:
	s_or_saveexec_b64 s[26:27], s[8:9]
	s_load_dwordx2 s[22:23], s[0:1], 0x68
	s_load_dwordx4 s[12:15], s[0:1], 0x58
	s_load_dword s5, s[24:25], 0x4
	v_and_b32_e32 v40, 63, v0
	v_and_b32_e32 v38, 3, v0
	v_mov_b32_e32 v37, s21
	v_mov_b32_e32 v41, s11
	;; [unrolled: 1-line block ×5, first 2 shown]
                                        ; implicit-def: $vgpr3
                                        ; implicit-def: $vgpr7
                                        ; implicit-def: $vgpr11
                                        ; implicit-def: $vgpr15
                                        ; implicit-def: $vgpr19
                                        ; implicit-def: $vgpr23
                                        ; implicit-def: $vgpr27
                                        ; implicit-def: $vgpr31
	s_xor_b64 exec, exec, s[26:27]
	s_cbranch_execz .LBB134_17
; %bb.8:
	s_add_i32 s21, s3, 31
	s_load_dwordx2 s[8:9], s[0:1], 0x20
	s_load_dword s11, s[0:1], 0x38
	s_ashr_i32 s30, s21, 31
	s_lshr_b32 s30, s30, 27
	v_add_u32_e32 v39, s10, v0
	s_add_i32 s21, s21, s30
	v_ashrrev_i32_e32 v3, 31, v39
	s_ashr_i32 s21, s21, 5
	v_lshrrev_b32_e32 v3, 27, v3
	s_add_i32 s21, s21, -1
	v_add_u32_e32 v3, v39, v3
	s_waitcnt lgkmcnt(0)
	s_mul_i32 s30, s2, s11
	s_mov_b32 s31, 0
	v_ashrrev_i32_e32 v3, 5, v3
	v_mov_b32_e32 v4, s21
	v_cmp_gt_i32_e32 vcc, s3, v39
	s_lshl_b64 s[30:31], s[30:31], 2
	s_add_u32 s8, s8, s30
	v_cndmask_b32_e32 v4, v4, v3, vcc
	v_ashrrev_i32_e32 v3, 31, v2
	v_lshrrev_b32_e32 v3, 27, v3
	s_addc_u32 s9, s9, s31
	v_ashrrev_i32_e32 v5, 31, v4
	v_add_u32_e32 v2, v2, v3
	v_lshl_add_u64 v[6:7], v[4:5], 2, s[8:9]
	v_ashrrev_i32_e32 v4, 5, v2
	v_min_i32_e32 v2, s21, v4
	v_ashrrev_i32_e32 v3, 31, v2
	v_lshl_add_u64 v[8:9], v[2:3], 2, s[8:9]
	v_add_u32_e32 v2, 1, v4
	v_min_i32_e32 v2, s21, v2
	v_ashrrev_i32_e32 v3, 31, v2
	v_lshl_add_u64 v[10:11], v[2:3], 2, s[8:9]
	global_load_dword v2, v[6:7], off
	global_load_dword v5, v[8:9], off
	;; [unrolled: 1-line block ×3, first 2 shown]
	s_load_dwordx4 s[8:11], s[0:1], 0x8
	s_andn2_b64 vcc, exec, s[18:19]
	s_cbranch_vccnz .LBB134_11
; %bb.9:
	s_add_u32 s16, s16, s28
	s_addc_u32 s17, s17, s29
	s_load_dword s21, s[16:17], 0x0
	s_branch .LBB134_12
.LBB134_10:
	s_mov_b64 s[8:9], 0
	s_branch .LBB134_2
.LBB134_11:
	s_mov_b32 s21, s2
.LBB134_12:
	s_load_dwordx4 s[16:19], s[0:1], 0x48
	v_cmp_ne_u32_e32 vcc, 3, v38
	s_mov_b32 s29, 0
	v_mov_b32_e32 v41, 1.0
	v_mov_b32_e32 v3, 0
	v_mov_b32_e32 v34, 0
	;; [unrolled: 1-line block ×5, first 2 shown]
	s_and_saveexec_b64 s[30:31], vcc
	s_cbranch_execz .LBB134_14
; %bb.13:
	s_load_dwordx2 s[34:35], s[0:1], 0x0
	s_waitcnt lgkmcnt(0)
	s_ashr_i32 s19, s16, 31
	s_mul_hi_u32 s28, s21, s16
	s_mul_i32 s19, s21, s19
	s_add_i32 s37, s28, s19
	s_mul_i32 s36, s21, s16
	s_lshl_b64 s[36:37], s[36:37], 1
	s_add_u32 s16, s34, s36
	s_mul_i32 s28, s4, 0xc0
	s_addc_u32 s19, s35, s37
	s_lshl_b64 s[34:35], s[28:29], 1
	s_add_u32 s34, s16, s34
	v_lshlrev_b32_e32 v6, 3, v38
	v_lshrrev_b32_e32 v7, 2, v40
	s_addc_u32 s35, s19, s35
	v_add_lshl_u32 v6, v6, v7, 4
	global_load_dwordx4 v[34:37], v6, s[34:35]
	v_mov_b32_e32 v41, 0
.LBB134_14:
	s_or_b64 exec, exec, s[30:31]
	s_waitcnt lgkmcnt(0)
	s_mul_i32 s28, s4, s18
	s_lshl_b64 s[18:19], s[28:29], 1
	s_add_u32 s8, s18, s8
	s_waitcnt vmcnt(2)
	v_mad_i64_i32 v[6:7], s[30:31], v2, s17, 0
	s_addc_u32 s9, s19, s9
	v_and_b32_e32 v2, 31, v0
	v_lshl_add_u64 v[6:7], v[6:7], 1, s[8:9]
	v_lshlrev_b32_e32 v2, 4, v2
	v_lshl_add_u64 v[30:31], v[6:7], 0, v[2:3]
	global_load_dwordx4 v[6:9], v[30:31], off
	global_load_dwordx4 v[10:13], v[30:31], off offset:512
	global_load_dwordx4 v[14:17], v[30:31], off offset:1024
	;; [unrolled: 1-line block ×7, first 2 shown]
	s_waitcnt vmcnt(9)
	v_mul_hi_i32 v2, v5, s17
	s_add_u32 s8, s10, s18
	s_waitcnt vmcnt(8)
	v_mul_hi_i32 v30, v4, s17
	v_ashrrev_i32_e32 v32, 31, v2
	s_addc_u32 s9, s11, s19
	v_lshlrev_b32_e32 v2, 6, v40
	v_ashrrev_i32_e32 v33, 31, v30
	v_lshl_add_u64 v[30:31], s[8:9], 0, v[2:3]
	v_lshrrev_b32_e32 v2, 29, v32
	s_load_dword s0, s[0:1], 0x1c
	v_cmp_eq_u32_e32 vcc, 0, v38
	v_and_b32_e32 v55, -4, v39
	v_or_b32_e32 v39, 3, v39
	v_cndmask_b32_e64 v52, 0, 1.0, vcc
	v_cmp_eq_u32_e32 vcc, 1, v38
	v_cmp_gt_i32_e64 s[10:11], s3, v39
	v_lshlrev_b32_e32 v56, 2, v0
	v_cndmask_b32_e64 v53, 0, 1.0, vcc
	v_cmp_eq_u32_e32 vcc, 2, v38
	s_waitcnt vmcnt(7)
	v_mfma_f32_4x4x4_16b_f16 a[0:3], v[34:35], v[6:7], 0 cbsz:4
	v_mad_i64_i32 v[6:7], s[8:9], v5, s17, v[2:3]
	s_nop 0
	v_mfma_f32_4x4x4_16b_f16 a[0:3], v[36:37], v[8:9], a[0:3] cbsz:4
	v_lshrrev_b32_e32 v2, 29, v33
	v_mad_i64_i32 v[2:3], s[8:9], v4, s17, v[2:3]
	s_waitcnt vmcnt(6)
	v_mfma_f32_4x4x4_16b_f16 a[0:3], v[34:35], v[10:11], a[0:3] cbsz:4 abid:1
	v_lshlrev_b64 v[6:7], 1, v[6:7]
	v_lshlrev_b64 v[32:33], 1, v[2:3]
	v_mfma_f32_4x4x4_16b_f16 a[0:3], v[36:37], v[12:13], a[0:3] cbsz:4 abid:1
	v_and_b32_e32 v6, -16, v6
	v_and_b32_e32 v32, -16, v32
	s_waitcnt vmcnt(5)
	v_mfma_f32_4x4x4_16b_f16 a[0:3], v[34:35], v[14:15], a[0:3] cbsz:4 abid:2
	v_lshl_add_u64 v[50:51], v[30:31], 0, v[32:33]
	v_cndmask_b32_e64 v54, 0, 1.0, vcc
	v_mfma_f32_4x4x4_16b_f16 a[0:3], v[36:37], v[16:17], a[0:3] cbsz:4 abid:2
	v_cmp_gt_i32_e32 vcc, s3, v55
	s_waitcnt vmcnt(4)
	v_mfma_f32_4x4x4_16b_f16 a[0:3], v[34:35], v[18:19], a[0:3] cbsz:4 abid:3
	v_lshl_add_u64 v[18:19], v[30:31], 0, v[6:7]
	global_load_dwordx4 v[2:5], v[18:19], off
	global_load_dwordx4 v[6:9], v[18:19], off offset:16
	v_mfma_f32_4x4x4_16b_f16 a[0:3], v[36:37], v[20:21], a[0:3] cbsz:4 abid:3
	global_load_dwordx4 v[10:13], v[18:19], off offset:32
	global_load_dwordx4 v[14:17], v[18:19], off offset:48
	s_waitcnt vmcnt(7)
	v_mfma_f32_4x4x4_16b_f16 a[0:3], v[34:35], v[22:23], a[0:3] cbsz:4 abid:4
	s_nop 1
	v_mfma_f32_4x4x4_16b_f16 a[0:3], v[36:37], v[24:25], a[0:3] cbsz:4 abid:4
	global_load_dwordx4 v[18:21], v[50:51], off
	global_load_dwordx4 v[22:25], v[50:51], off offset:16
	s_waitcnt vmcnt(8)
	v_mfma_f32_4x4x4_16b_f16 a[0:3], v[34:35], v[26:27], a[0:3] cbsz:4 abid:5
	s_nop 1
	v_mfma_f32_4x4x4_16b_f16 a[0:3], v[36:37], v[28:29], a[0:3] cbsz:4 abid:5
	global_load_dwordx4 v[26:29], v[50:51], off offset:32
	global_load_dwordx4 v[30:33], v[50:51], off offset:48
	s_waitcnt vmcnt(9)
	v_mfma_f32_4x4x4_16b_f16 a[0:3], v[34:35], v[42:43], a[0:3] cbsz:4 abid:6
	v_mov_b32_e32 v42, 0xff7fffff
	v_and_or_b32 v43, v56, 48, v38
	v_mfma_f32_4x4x4_16b_f16 a[0:3], v[36:37], v[44:45], a[0:3] cbsz:4 abid:6
	v_lshlrev_b32_e32 v43, 2, v43
	s_waitcnt vmcnt(8)
	v_mfma_f32_4x4x4_16b_f16 a[0:3], v[34:35], v[46:47], a[0:3] cbsz:4 abid:7
	s_nop 1
	v_mfma_f32_4x4x4_16b_f16 a[0:3], v[36:37], v[48:49], a[0:3] cbsz:4 abid:7
	s_nop 4
	v_accvgpr_read_b32 v35, a1
	v_accvgpr_read_b32 v34, a0
	s_waitcnt lgkmcnt(0)
	v_pk_mul_f32 v[34:35], s[0:1], v[34:35] op_sel_hi:[0,1]
	v_accvgpr_read_b32 v37, a3
	v_accvgpr_read_b32 v36, a2
	v_pk_mul_f32 v[36:37], s[0:1], v[36:37] op_sel_hi:[0,1]
	v_mfma_f32_4x4x1_16b_f32 a[0:3], v34, v52, 0
	v_or_b32_e32 v34, 1, v55
	s_nop 0
	v_mfma_f32_4x4x1_16b_f32 a[0:3], v35, v53, a[0:3]
	v_cmp_gt_i32_e64 s[0:1], s3, v34
	v_or_b32_e32 v35, 2, v55
	v_mfma_f32_4x4x1_16b_f32 a[0:3], v36, v54, a[0:3]
	v_cmp_gt_i32_e64 s[8:9], s3, v35
	s_nop 0
	v_mfma_f32_4x4x1_16b_f32 a[0:3], v37, v41, a[0:3]
	s_nop 3
	v_accvgpr_read_b32 v36, a0
	v_max_f32_e32 v41, v36, v36
	v_accvgpr_read_b32 v37, a1
	v_max_f32_e32 v41, 0xff7fffff, v41
	v_max_f32_e32 v46, v37, v37
	v_cndmask_b32_e32 v41, v42, v41, vcc
	v_accvgpr_read_b32 v44, a2
	v_max_f32_e32 v42, v41, v46
	v_max_f32_e32 v47, v44, v44
	v_cndmask_b32_e64 v34, v41, v42, s[0:1]
	v_accvgpr_read_b32 v45, a3
	v_max_f32_e32 v41, v34, v47
	v_max_f32_e32 v48, v45, v45
	v_cndmask_b32_e64 v34, v34, v41, s[8:9]
	v_max_f32_e32 v35, v34, v48
	v_cndmask_b32_e64 v34, v34, v35, s[10:11]
	;;#ASMSTART
	v_nop
 v_nop
 v_max_f32_dpp v34, v34, v34 row_ror:4
	;;#ASMEND
	s_nop 0
	;;#ASMSTART
	v_nop
 v_nop
 v_max_f32_dpp v34, v34, v34 row_ror:8
	;;#ASMEND
	ds_bpermute_b32 v34, v43, v34
	s_waitcnt lgkmcnt(0)
	;;#ASMSTART
	v_nop
 v_nop
 v_max_f32_dpp v34, v34, v34 row_ror:4
	;;#ASMEND
	s_nop 0
	;;#ASMSTART
	v_nop
 v_nop
 v_max_f32_dpp v41, v34, v34 row_ror:8
	;;#ASMEND
	s_nop 0
	v_sub_f32_e32 v34, v36, v41
	v_sub_f32_e32 v35, v37, v41
	v_mul_f32_e32 v34, 0x3fb8aa3b, v34
	v_sub_f32_e32 v36, v44, v41
	v_mul_f32_e32 v35, 0x3fb8aa3b, v35
	v_exp_f32_e32 v34, v34
	v_sub_f32_e32 v37, v45, v41
	v_mul_f32_e32 v36, 0x3fb8aa3b, v36
	v_exp_f32_e32 v35, v35
	v_mul_f32_e32 v37, 0x3fb8aa3b, v37
	v_exp_f32_e32 v36, v36
	v_exp_f32_e32 v37, v37
	v_cndmask_b32_e32 v34, 0, v34, vcc
	v_cndmask_b32_e64 v35, 0, v35, s[0:1]
	v_add_f32_e32 v39, 0, v34
	v_cndmask_b32_e64 v36, 0, v36, s[8:9]
	v_add_f32_e32 v39, v39, v35
	;; [unrolled: 2-line block ×3, first 2 shown]
	v_add_f32_e32 v39, v39, v37
	;;#ASMSTART
	v_nop
 v_nop
 v_add_f32_dpp v39, v39, v39 row_ror:4
	;;#ASMEND
	v_cmp_gt_u32_e32 vcc, 4, v40
	;;#ASMSTART
	v_nop
 v_nop
 v_add_f32_dpp v39, v39, v39 row_ror:8
	;;#ASMEND
	ds_bpermute_b32 v39, v43, v39
	s_waitcnt lgkmcnt(0)
	;;#ASMSTART
	v_nop
 v_nop
 v_add_f32_dpp v39, v39, v39 row_ror:4
	;;#ASMEND
	s_nop 0
	;;#ASMSTART
	v_nop
 v_nop
 v_add_f32_dpp v39, v39, v39 row_ror:8
	;;#ASMEND
	s_and_saveexec_b64 s[0:1], vcc
	s_cbranch_execz .LBB134_16
; %bb.15:
	v_mul_u32_u24_e32 v42, 20, v1
	v_lshl_add_u32 v42, v38, 2, v42
	v_add_u32_e32 v42, 0x800, v42
	ds_write2_b32 v42, v41, v39 offset0:128 offset1:148
.LBB134_16:
	s_or_b64 exec, exec, s[0:1]
.LBB134_17:
	s_or_b64 exec, exec, s[26:27]
	s_waitcnt lgkmcnt(0)
	s_barrier
	s_load_dword s0, s[24:25], 0x8
	v_lshlrev_b32_e32 v39, 2, v38
	v_add_u32_e32 v39, 0x800, v39
	ds_read2_b32 v[44:45], v39 offset0:128 offset1:133
	ds_read2_b32 v[46:47], v39 offset0:138 offset1:143
	s_mul_i32 s1, s2, s5
	s_waitcnt lgkmcnt(0)
	s_mul_i32 s0, s1, s0
	s_mov_b32 s1, 0xff7fffff
	v_max3_f32 v42, v44, s1, v45
	v_max3_f32 v42, v42, v46, v47
	v_sub_f32_e32 v43, v44, v42
	v_sub_f32_e32 v44, v45, v42
	ds_read2_b32 v[48:49], v39 offset0:148 offset1:153
	v_mul_f32_e32 v43, 0x3fb8aa3b, v43
	v_mul_f32_e32 v44, 0x3fb8aa3b, v44
	v_exp_f32_e32 v43, v43
	v_exp_f32_e32 v50, v44
	ds_read2_b32 v[44:45], v39 offset0:158 offset1:163
	v_sub_f32_e32 v39, v46, v42
	v_mul_f32_e32 v39, 0x3fb8aa3b, v39
	v_sub_f32_e32 v46, v47, v42
	v_exp_f32_e32 v39, v39
	v_mul_f32_e32 v46, 0x3fb8aa3b, v46
	v_exp_f32_e32 v46, v46
	s_waitcnt lgkmcnt(1)
	v_fma_f32 v43, v43, v48, 0
	v_fmac_f32_e32 v43, v50, v49
	s_waitcnt lgkmcnt(0)
	v_fmac_f32_e32 v43, v39, v44
	s_mul_i32 s4, s4, 3
	s_mul_i32 s0, s0, 3
	v_fmac_f32_e32 v43, v46, v45
	v_cmp_ne_u32_e32 vcc, 3, v38
	s_and_saveexec_b64 s[2:3], vcc
	s_cbranch_execz .LBB134_19
; %bb.18:
	s_mov_b32 s1, 0
	s_lshl_b64 s[8:9], s[0:1], 2
	s_add_u32 s12, s12, s8
	s_mov_b32 s21, s1
	s_addc_u32 s13, s13, s9
	s_lshl_b64 s[10:11], s[20:21], 2
	s_add_u32 s12, s12, s10
	s_addc_u32 s13, s13, s11
	s_add_u32 s1, s14, s8
	s_addc_u32 s9, s15, s9
	v_add_u32_e32 v38, s4, v38
	s_add_u32 s8, s1, s10
	v_mul_lo_u32 v38, s5, v38
	v_mov_b32_e32 v39, 0
	s_addc_u32 s9, s9, s11
	v_lshlrev_b64 v[38:39], 2, v[38:39]
	v_lshl_add_u64 v[44:45], s[12:13], 0, v[38:39]
	v_lshl_add_u64 v[38:39], s[8:9], 0, v[38:39]
	global_store_dword v[38:39], v42, off
	global_store_dword v[44:45], v43, off
.LBB134_19:
	s_or_b64 exec, exec, s[2:3]
	v_mov_b32_e32 v38, 0
	v_mov_b32_e32 v39, 0
	s_and_saveexec_b64 s[2:3], s[6:7]
	s_cbranch_execz .LBB134_21
; %bb.20:
	v_add_f32_e32 v38, 0x358637bd, v43
	v_div_scale_f32 v39, s[6:7], v38, v38, 1.0
	v_rcp_f32_e32 v43, v39
	v_div_scale_f32 v44, vcc, 1.0, v38, 1.0
	v_sub_f32_e32 v41, v41, v42
	v_fma_f32 v45, -v39, v43, 1.0
	v_fmac_f32_e32 v43, v45, v43
	v_mul_f32_e32 v45, v44, v43
	v_fma_f32 v46, -v39, v45, v44
	v_mul_f32_e32 v41, 0x3fb8aa3b, v41
	v_fmac_f32_e32 v45, v46, v43
	v_exp_f32_e32 v41, v41
	v_fma_f32 v39, -v39, v45, v44
	v_div_fmas_f32 v39, v39, v43, v45
	v_div_fixup_f32 v38, v39, v38, 1.0
	v_mul_f32_e32 v38, v41, v38
	v_pk_mul_f32 v[36:37], v[36:37], v[38:39] op_sel_hi:[1,0]
	v_pk_mul_f32 v[34:35], v[34:35], v[38:39] op_sel_hi:[1,0]
	v_cvt_f16_f32_e32 v36, v36
	v_cvt_f16_f32_e32 v34, v34
	;; [unrolled: 1-line block ×4, first 2 shown]
	s_mov_b32 s1, 0x5040100
	v_pack_b32_f16 v34, v34, v35
	v_pack_b32_f16 v35, v36, v37
	s_waitcnt vmcnt(7)
	s_nop 0
	v_mfma_f32_4x4x4_16b_f16 a[0:3], v[34:35], v[2:3], 0 cbsz:4
	s_nop 1
	v_mfma_f32_4x4x4_16b_f16 a[0:3], v[34:35], v[4:5], a[0:3] cbsz:4 abid:1
	s_waitcnt vmcnt(6)
	s_nop 0
	v_mfma_f32_4x4x4_16b_f16 a[0:3], v[34:35], v[6:7], a[0:3] cbsz:4 abid:2
	s_nop 1
	v_mfma_f32_4x4x4_16b_f16 a[0:3], v[34:35], v[8:9], a[0:3] cbsz:4 abid:3
	s_waitcnt vmcnt(5)
	s_nop 0
	v_mfma_f32_4x4x4_16b_f16 a[0:3], v[34:35], v[10:11], a[0:3] cbsz:4 abid:4
	;; [unrolled: 5-line block ×7, first 2 shown]
	s_nop 1
	v_mfma_f32_4x4x4_16b_f16 a[0:3], v[34:35], v[32:33], a[0:3] cbsz:4 abid:15
	s_nop 4
	v_accvgpr_read_b32 v2, a0
	v_accvgpr_read_b32 v3, a1
	;; [unrolled: 1-line block ×4, first 2 shown]
	v_cvt_f16_f32_e32 v2, v2
	v_cvt_f16_f32_e32 v3, v3
	;; [unrolled: 1-line block ×4, first 2 shown]
	v_perm_b32 v38, v3, v2, s1
	v_perm_b32 v39, v5, v4, s1
.LBB134_21:
	s_or_b64 exec, exec, s[2:3]
	v_lshlrev_b32_e32 v1, 3, v1
	v_mad_u32_u24 v1, v40, 40, v1
	v_cmp_gt_u32_e32 vcc, 64, v0
	ds_write_b64 v1, v[38:39]
	s_waitcnt lgkmcnt(0)
	s_barrier
	s_and_saveexec_b64 s[2:3], vcc
	s_cbranch_execz .LBB134_23
; %bb.22:
	v_mul_u32_u24_e32 v1, 40, v40
	s_waitcnt vmcnt(7)
	ds_read2_b64 v[2:5], v1 offset1:1
	s_waitcnt vmcnt(6)
	ds_read2_b64 v[6:9], v1 offset0:2 offset1:3
	s_mov_b32 s1, 0
	s_lshl_b32 s0, s0, 6
	s_lshl_b64 s[2:3], s[0:1], 1
	s_add_u32 s2, s22, s2
	s_addc_u32 s3, s23, s3
	s_lshl_b32 s0, s20, 6
	s_lshl_b64 s[0:1], s[0:1], 1
	s_waitcnt lgkmcnt(1)
	v_pk_add_f16 v1, v2, 0
	v_pk_add_f16 v2, v3, 0
	s_add_u32 s0, s2, s0
	v_pk_add_f16 v2, v2, v5
	s_addc_u32 s1, s3, s1
	s_lshl_b32 s2, s5, 6
	v_pk_add_f16 v1, v1, v4
	s_waitcnt lgkmcnt(0)
	v_pk_add_f16 v2, v2, v7
	s_mul_i32 s3, s2, s4
	v_pk_add_f16 v1, v1, v6
	v_pk_add_f16 v6, v2, v9
	v_or_b32_e32 v2, s3, v0
	v_mov_b32_e32 v3, 0
	s_add_i32 s3, s3, s2
	v_pk_add_f16 v1, v1, v8
	v_lshl_add_u64 v[4:5], v[2:3], 1, s[0:1]
	v_or_b32_e32 v2, s3, v0
	s_add_i32 s3, s3, s2
	global_store_short v[4:5], v1, off
	v_lshl_add_u64 v[4:5], v[2:3], 1, s[0:1]
	v_or_b32_e32 v2, s3, v0
	global_store_short_d16_hi v[4:5], v1, off
	v_lshl_add_u64 v[0:1], v[2:3], 1, s[0:1]
	global_store_short v[0:1], v6, off
.LBB134_23:
	s_endpgm
	.section	.rodata,"a",@progbits
	.p2align	6, 0x0
	.amdhsa_kernel _Z38paged_attention_ll4mi_QKV_mfma4_kernelIDF16_DF16_LN4vllm18Fp8KVCacheDataTypeE0EhLi32ELi64ELi256ELb0ELi3EEvPKT_PKT0_S7_ifPKiS9_S9_iPKfiiiPfSC_PS2_PT2_iSB_SB_
		.amdhsa_group_segment_fixed_size 2720
		.amdhsa_private_segment_fixed_size 0
		.amdhsa_kernarg_size 400
		.amdhsa_user_sgpr_count 2
		.amdhsa_user_sgpr_dispatch_ptr 0
		.amdhsa_user_sgpr_queue_ptr 0
		.amdhsa_user_sgpr_kernarg_segment_ptr 1
		.amdhsa_user_sgpr_dispatch_id 0
		.amdhsa_user_sgpr_kernarg_preload_length 0
		.amdhsa_user_sgpr_kernarg_preload_offset 0
		.amdhsa_user_sgpr_private_segment_size 0
		.amdhsa_uses_dynamic_stack 0
		.amdhsa_enable_private_segment 0
		.amdhsa_system_sgpr_workgroup_id_x 1
		.amdhsa_system_sgpr_workgroup_id_y 1
		.amdhsa_system_sgpr_workgroup_id_z 1
		.amdhsa_system_sgpr_workgroup_info 0
		.amdhsa_system_vgpr_workitem_id 0
		.amdhsa_next_free_vgpr 64
		.amdhsa_next_free_sgpr 38
		.amdhsa_accum_offset 60
		.amdhsa_reserve_vcc 1
		.amdhsa_float_round_mode_32 0
		.amdhsa_float_round_mode_16_64 0
		.amdhsa_float_denorm_mode_32 3
		.amdhsa_float_denorm_mode_16_64 3
		.amdhsa_dx10_clamp 1
		.amdhsa_ieee_mode 1
		.amdhsa_fp16_overflow 0
		.amdhsa_tg_split 0
		.amdhsa_exception_fp_ieee_invalid_op 0
		.amdhsa_exception_fp_denorm_src 0
		.amdhsa_exception_fp_ieee_div_zero 0
		.amdhsa_exception_fp_ieee_overflow 0
		.amdhsa_exception_fp_ieee_underflow 0
		.amdhsa_exception_fp_ieee_inexact 0
		.amdhsa_exception_int_div_zero 0
	.end_amdhsa_kernel
	.section	.text._Z38paged_attention_ll4mi_QKV_mfma4_kernelIDF16_DF16_LN4vllm18Fp8KVCacheDataTypeE0EhLi32ELi64ELi256ELb0ELi3EEvPKT_PKT0_S7_ifPKiS9_S9_iPKfiiiPfSC_PS2_PT2_iSB_SB_,"axG",@progbits,_Z38paged_attention_ll4mi_QKV_mfma4_kernelIDF16_DF16_LN4vllm18Fp8KVCacheDataTypeE0EhLi32ELi64ELi256ELb0ELi3EEvPKT_PKT0_S7_ifPKiS9_S9_iPKfiiiPfSC_PS2_PT2_iSB_SB_,comdat
.Lfunc_end134:
	.size	_Z38paged_attention_ll4mi_QKV_mfma4_kernelIDF16_DF16_LN4vllm18Fp8KVCacheDataTypeE0EhLi32ELi64ELi256ELb0ELi3EEvPKT_PKT0_S7_ifPKiS9_S9_iPKfiiiPfSC_PS2_PT2_iSB_SB_, .Lfunc_end134-_Z38paged_attention_ll4mi_QKV_mfma4_kernelIDF16_DF16_LN4vllm18Fp8KVCacheDataTypeE0EhLi32ELi64ELi256ELb0ELi3EEvPKT_PKT0_S7_ifPKiS9_S9_iPKfiiiPfSC_PS2_PT2_iSB_SB_
                                        ; -- End function
	.section	.AMDGPU.csdata,"",@progbits
; Kernel info:
; codeLenInByte = 3016
; NumSgprs: 44
; NumVgprs: 57
; NumAgprs: 4
; TotalNumVgprs: 64
; ScratchSize: 0
; MemoryBound: 0
; FloatMode: 240
; IeeeMode: 1
; LDSByteSize: 2720 bytes/workgroup (compile time only)
; SGPRBlocks: 5
; VGPRBlocks: 7
; NumSGPRsForWavesPerEU: 44
; NumVGPRsForWavesPerEU: 64
; AccumOffset: 60
; Occupancy: 8
; WaveLimiterHint : 1
; COMPUTE_PGM_RSRC2:SCRATCH_EN: 0
; COMPUTE_PGM_RSRC2:USER_SGPR: 2
; COMPUTE_PGM_RSRC2:TRAP_HANDLER: 0
; COMPUTE_PGM_RSRC2:TGID_X_EN: 1
; COMPUTE_PGM_RSRC2:TGID_Y_EN: 1
; COMPUTE_PGM_RSRC2:TGID_Z_EN: 1
; COMPUTE_PGM_RSRC2:TIDIG_COMP_CNT: 0
; COMPUTE_PGM_RSRC3_GFX90A:ACCUM_OFFSET: 14
; COMPUTE_PGM_RSRC3_GFX90A:TG_SPLIT: 0
	.section	.text._Z38paged_attention_ll4mi_QKV_mfma4_kernelIDF16_DF16_LN4vllm18Fp8KVCacheDataTypeE0EhLi32ELi64ELi256ELb0ELi4EEvPKT_PKT0_S7_ifPKiS9_S9_iPKfiiiPfSC_PS2_PT2_iSB_SB_,"axG",@progbits,_Z38paged_attention_ll4mi_QKV_mfma4_kernelIDF16_DF16_LN4vllm18Fp8KVCacheDataTypeE0EhLi32ELi64ELi256ELb0ELi4EEvPKT_PKT0_S7_ifPKiS9_S9_iPKfiiiPfSC_PS2_PT2_iSB_SB_,comdat
	.protected	_Z38paged_attention_ll4mi_QKV_mfma4_kernelIDF16_DF16_LN4vllm18Fp8KVCacheDataTypeE0EhLi32ELi64ELi256ELb0ELi4EEvPKT_PKT0_S7_ifPKiS9_S9_iPKfiiiPfSC_PS2_PT2_iSB_SB_ ; -- Begin function _Z38paged_attention_ll4mi_QKV_mfma4_kernelIDF16_DF16_LN4vllm18Fp8KVCacheDataTypeE0EhLi32ELi64ELi256ELb0ELi4EEvPKT_PKT0_S7_ifPKiS9_S9_iPKfiiiPfSC_PS2_PT2_iSB_SB_
	.globl	_Z38paged_attention_ll4mi_QKV_mfma4_kernelIDF16_DF16_LN4vllm18Fp8KVCacheDataTypeE0EhLi32ELi64ELi256ELb0ELi4EEvPKT_PKT0_S7_ifPKiS9_S9_iPKfiiiPfSC_PS2_PT2_iSB_SB_
	.p2align	8
	.type	_Z38paged_attention_ll4mi_QKV_mfma4_kernelIDF16_DF16_LN4vllm18Fp8KVCacheDataTypeE0EhLi32ELi64ELi256ELb0ELi4EEvPKT_PKT0_S7_ifPKiS9_S9_iPKfiiiPfSC_PS2_PT2_iSB_SB_,@function
_Z38paged_attention_ll4mi_QKV_mfma4_kernelIDF16_DF16_LN4vllm18Fp8KVCacheDataTypeE0EhLi32ELi64ELi256ELb0ELi4EEvPKT_PKT0_S7_ifPKiS9_S9_iPKfiiiPfSC_PS2_PT2_iSB_SB_: ; @_Z38paged_attention_ll4mi_QKV_mfma4_kernelIDF16_DF16_LN4vllm18Fp8KVCacheDataTypeE0EhLi32ELi64ELi256ELb0ELi4EEvPKT_PKT0_S7_ifPKiS9_S9_iPKfiiiPfSC_PS2_PT2_iSB_SB_
; %bb.0:
	s_load_dwordx2 s[8:9], s[0:1], 0x30
	s_mov_b32 s20, s3
	s_mov_b64 s[6:7], 0
	s_waitcnt lgkmcnt(0)
	s_cmp_lg_u64 s[8:9], 0
	s_cselect_b64 s[10:11], -1, 0
	s_and_b64 vcc, exec, s[10:11]
	s_cbranch_vccz .LBB135_18
; %bb.1:
	s_add_i32 s12, s2, 1
	s_mov_b32 s13, 0
	s_lshl_b64 s[14:15], s[12:13], 2
	s_add_u32 s14, s8, s14
	s_mov_b32 s3, s13
	s_addc_u32 s15, s9, s15
	s_lshl_b64 s[12:13], s[2:3], 2
	s_add_u32 s12, s8, s12
	s_addc_u32 s13, s9, s13
	s_load_dword s5, s[14:15], 0x0
	s_load_dword s16, s[12:13], 0x0
	s_mov_b64 s[30:31], s[2:3]
	s_waitcnt lgkmcnt(0)
	s_sub_i32 s5, s5, s16
	s_cmp_eq_u32 s5, 1
	s_cselect_b64 s[12:13], -1, 0
	s_andn2_b64 vcc, exec, s[6:7]
	s_cbranch_vccnz .LBB135_3
.LBB135_2:
	s_mov_b32 s3, 0
	s_mov_b64 s[12:13], -1
	s_mov_b64 s[30:31], s[2:3]
.LBB135_3:
	s_andn2_b64 vcc, exec, s[12:13]
	s_cbranch_vccnz .LBB135_17
; %bb.4:
	s_load_dword s3, s[0:1], 0x9c
	s_load_dwordx2 s[6:7], s[0:1], 0x28
	s_add_u32 s24, s0, 0x90
	s_addc_u32 s25, s1, 0
	s_lshl_b64 s[34:35], s[30:31], 2
	s_waitcnt lgkmcnt(0)
	s_and_b32 s5, s3, 0xffff
	s_add_u32 s6, s6, s34
	s_addc_u32 s7, s7, s35
	s_load_dword s3, s[6:7], 0x0
	s_mul_i32 s16, s20, s5
	s_waitcnt lgkmcnt(0)
	s_cmp_ge_i32 s16, s3
	s_cbranch_scc1 .LBB135_17
; %bb.5:
	v_and_b32_e32 v2, 0xc0, v0
	v_add_u32_e32 v2, s16, v2
	v_lshrrev_b32_e32 v1, 6, v0
	v_cmp_gt_i32_e64 s[6:7], s3, v2
	v_cmp_le_i32_e32 vcc, s3, v2
                                        ; implicit-def: $sgpr18
                                        ; implicit-def: $sgpr17
	s_and_saveexec_b64 s[12:13], vcc
	s_xor_b64 s[12:13], exec, s[12:13]
	s_cbranch_execz .LBB135_7
; %bb.6:
	v_mul_u32_u24_e32 v2, 20, v1
	v_or_b32_e32 v2, 0xa00, v2
	v_mov_b32_e32 v3, 0xa50
	v_mov_b32_e32 v4, 0xff7fffff
	v_mad_u32_u24 v3, v1, 20, v3
	ds_write2_b32 v2, v4, v4 offset1:1
	v_mov_b32_e32 v2, 0
	ds_write2_b32 v3, v2, v2 offset1:1
	v_mov_b32_e32 v3, 0xa08
	s_mov_b32 s17, 0xff7fffff
	s_mov_b32 s18, 0
	v_mad_u32_u24 v3, v1, 20, v3
	v_mov_b32_e32 v5, 0xa58
	v_mad_u32_u24 v5, v1, 20, v5
	ds_write2_b32 v3, v4, v4 offset1:1
	ds_write2_b32 v5, v2, v2 offset1:1
                                        ; implicit-def: $vgpr2
.LBB135_7:
	s_or_saveexec_b64 s[26:27], s[12:13]
	s_load_dwordx2 s[22:23], s[0:1], 0x68
	s_load_dwordx4 s[12:15], s[0:1], 0x58
	s_load_dword s5, s[24:25], 0x4
	v_and_b32_e32 v40, 63, v0
	v_and_b32_e32 v38, 3, v0
	v_mov_b32_e32 v37, s18
	v_mov_b32_e32 v41, s17
	;; [unrolled: 1-line block ×5, first 2 shown]
                                        ; implicit-def: $vgpr3
                                        ; implicit-def: $vgpr7
                                        ; implicit-def: $vgpr11
                                        ; implicit-def: $vgpr15
                                        ; implicit-def: $vgpr19
                                        ; implicit-def: $vgpr23
                                        ; implicit-def: $vgpr27
                                        ; implicit-def: $vgpr31
	s_xor_b64 exec, exec, s[26:27]
	s_cbranch_execz .LBB135_13
; %bb.8:
	s_add_i32 s21, s3, 31
	s_load_dwordx2 s[18:19], s[0:1], 0x20
	s_load_dword s17, s[0:1], 0x38
	s_ashr_i32 s28, s21, 31
	s_lshr_b32 s28, s28, 27
	v_add_u32_e32 v34, s16, v0
	s_add_i32 s21, s21, s28
	v_ashrrev_i32_e32 v3, 31, v34
	s_ashr_i32 s21, s21, 5
	v_lshrrev_b32_e32 v3, 27, v3
	s_add_i32 s21, s21, -1
	v_add_u32_e32 v3, v34, v3
	s_waitcnt lgkmcnt(0)
	s_mul_i32 s36, s2, s17
	s_mov_b32 s37, 0
	v_ashrrev_i32_e32 v3, 5, v3
	v_mov_b32_e32 v4, s21
	v_cmp_gt_i32_e32 vcc, s3, v34
	s_lshl_b64 s[28:29], s[36:37], 2
	s_add_u32 s18, s18, s28
	v_cndmask_b32_e32 v4, v4, v3, vcc
	v_ashrrev_i32_e32 v3, 31, v2
	v_lshrrev_b32_e32 v3, 27, v3
	s_addc_u32 s19, s19, s29
	v_ashrrev_i32_e32 v5, 31, v4
	v_add_u32_e32 v2, v2, v3
	v_lshl_add_u64 v[6:7], v[4:5], 2, s[18:19]
	v_ashrrev_i32_e32 v4, 5, v2
	v_min_i32_e32 v2, s21, v4
	v_ashrrev_i32_e32 v3, 31, v2
	v_lshl_add_u64 v[8:9], v[2:3], 2, s[18:19]
	v_add_u32_e32 v2, 1, v4
	v_min_i32_e32 v2, s21, v2
	v_ashrrev_i32_e32 v3, 31, v2
	v_lshl_add_u64 v[10:11], v[2:3], 2, s[18:19]
	global_load_dword v4, v[6:7], off
	global_load_dword v3, v[8:9], off
	;; [unrolled: 1-line block ×3, first 2 shown]
	s_load_dwordx4 s[16:19], s[0:1], 0x0
	s_load_dwordx2 s[28:29], s[0:1], 0x10
	s_andn2_b64 vcc, exec, s[10:11]
	s_cbranch_vccnz .LBB135_10
; %bb.9:
	s_add_u32 s8, s8, s34
	s_addc_u32 s9, s9, s35
	s_load_dword s36, s[8:9], 0x0
	s_waitcnt lgkmcnt(0)
	s_mov_b64 s[30:31], s[36:37]
.LBB135_10:
	s_load_dwordx4 s[8:11], s[0:1], 0x48
	v_lshrrev_b32_e32 v5, 2, v40
	v_lshlrev_b32_e32 v6, 3, v38
	v_add_lshl_u32 v5, v6, v5, 4
	v_and_b32_e32 v6, 31, v0
	s_waitcnt lgkmcnt(0)
	s_ashr_i32 s11, s8, 31
	s_mul_hi_u32 s21, s30, s8
	s_mul_i32 s31, s31, s8
	s_mul_i32 s34, s30, s8
	;; [unrolled: 1-line block ×3, first 2 shown]
	s_add_i32 s8, s21, s8
	s_add_i32 s35, s8, s31
	s_lshl_b64 s[30:31], s[34:35], 1
	s_add_u32 s8, s16, s30
	s_addc_u32 s11, s17, s31
	s_lshl_b32 s36, s4, 8
	s_lshl_b64 s[16:17], s[36:37], 1
	s_add_u32 s16, s8, s16
	s_addc_u32 s17, s11, s17
	global_load_dwordx4 v[42:45], v5, s[16:17]
	s_mul_i32 s36, s4, s10
	s_waitcnt vmcnt(3)
	v_mad_i64_i32 v[4:5], s[16:17], v4, s9, 0
	s_lshl_b64 s[10:11], s[36:37], 1
	s_add_u32 s16, s10, s18
	s_addc_u32 s17, s11, s19
	v_lshl_add_u64 v[4:5], v[4:5], 1, s[16:17]
	v_lshlrev_b32_e32 v28, 4, v6
	v_mov_b32_e32 v29, 0
	v_lshl_add_u64 v[30:31], v[4:5], 0, v[28:29]
	global_load_dwordx4 v[4:7], v[30:31], off
	global_load_dwordx4 v[8:11], v[30:31], off offset:512
	global_load_dwordx4 v[12:15], v[30:31], off offset:1024
	;; [unrolled: 1-line block ×7, first 2 shown]
	s_waitcnt vmcnt(10)
	v_mul_hi_i32 v28, v3, s9
	s_add_u32 s10, s28, s10
	s_waitcnt vmcnt(9)
	v_mul_hi_i32 v30, v2, s9
	v_ashrrev_i32_e32 v32, 31, v28
	s_addc_u32 s11, s29, s11
	v_lshlrev_b32_e32 v28, 6, v40
	v_ashrrev_i32_e32 v33, 31, v30
	v_lshl_add_u64 v[30:31], s[10:11], 0, v[28:29]
	v_lshrrev_b32_e32 v28, 29, v32
	s_load_dword s0, s[0:1], 0x1c
	v_and_b32_e32 v56, -4, v34
	v_cmp_eq_u32_e32 vcc, 0, v38
	v_lshlrev_b32_e32 v57, 2, v0
	s_waitcnt vmcnt(7)
	v_mfma_f32_4x4x4_16b_f16 a[0:3], v[42:43], v[4:5], 0 cbsz:4
	v_mad_i64_i32 v[4:5], s[10:11], v3, s9, v[28:29]
	s_nop 0
	v_mfma_f32_4x4x4_16b_f16 a[0:3], v[44:45], v[6:7], a[0:3] cbsz:4
	v_lshrrev_b32_e32 v28, 29, v33
	v_mad_i64_i32 v[2:3], s[8:9], v2, s9, v[28:29]
	s_waitcnt vmcnt(6)
	v_mfma_f32_4x4x4_16b_f16 a[0:3], v[42:43], v[8:9], a[0:3] cbsz:4 abid:1
	v_lshlrev_b64 v[4:5], 1, v[4:5]
	v_lshlrev_b64 v[28:29], 1, v[2:3]
	v_mfma_f32_4x4x4_16b_f16 a[0:3], v[44:45], v[10:11], a[0:3] cbsz:4 abid:1
	v_and_b32_e32 v4, -16, v4
	v_and_b32_e32 v28, -16, v28
	s_waitcnt vmcnt(5)
	v_mfma_f32_4x4x4_16b_f16 a[0:3], v[42:43], v[12:13], a[0:3] cbsz:4 abid:2
	v_lshl_add_u64 v[32:33], v[30:31], 0, v[4:5]
	v_lshl_add_u64 v[36:37], v[30:31], 0, v[28:29]
	v_mfma_f32_4x4x4_16b_f16 a[0:3], v[44:45], v[14:15], a[0:3] cbsz:4 abid:2
	global_load_dwordx4 v[2:5], v[32:33], off
	global_load_dwordx4 v[6:9], v[32:33], off offset:16
	s_waitcnt vmcnt(6)
	v_mfma_f32_4x4x4_16b_f16 a[0:3], v[42:43], v[16:17], a[0:3] cbsz:4 abid:3
	global_load_dwordx4 v[10:13], v[32:33], off offset:32
	global_load_dwordx4 v[14:17], v[32:33], off offset:48
	v_mfma_f32_4x4x4_16b_f16 a[0:3], v[44:45], v[18:19], a[0:3] cbsz:4 abid:3
	v_cndmask_b32_e64 v39, 0, 1.0, vcc
	v_cmp_eq_u32_e32 vcc, 1, v38
	s_waitcnt vmcnt(7)
	v_mfma_f32_4x4x4_16b_f16 a[0:3], v[42:43], v[20:21], a[0:3] cbsz:4 abid:4
	v_cndmask_b32_e64 v41, 0, 1.0, vcc
	s_nop 0
	v_mfma_f32_4x4x4_16b_f16 a[0:3], v[44:45], v[22:23], a[0:3] cbsz:4 abid:4
	v_cmp_eq_u32_e32 vcc, 2, v38
	s_waitcnt vmcnt(6)
	v_mfma_f32_4x4x4_16b_f16 a[0:3], v[42:43], v[24:25], a[0:3] cbsz:4 abid:5
	global_load_dwordx4 v[18:21], v[36:37], off
	global_load_dwordx4 v[22:25], v[36:37], off offset:16
	v_mfma_f32_4x4x4_16b_f16 a[0:3], v[44:45], v[26:27], a[0:3] cbsz:4 abid:5
	global_load_dwordx4 v[26:29], v[36:37], off offset:32
	global_load_dwordx4 v[30:33], v[36:37], off offset:48
	s_waitcnt vmcnt(9)
	v_mfma_f32_4x4x4_16b_f16 a[0:3], v[42:43], v[46:47], a[0:3] cbsz:4 abid:6
	v_cndmask_b32_e64 v54, 0, 1.0, vcc
	v_cmp_eq_u32_e32 vcc, 3, v38
	v_mfma_f32_4x4x4_16b_f16 a[0:3], v[44:45], v[48:49], a[0:3] cbsz:4 abid:6
	v_mov_b32_e32 v46, 0xff7fffff
	v_cndmask_b32_e64 v55, 0, 1.0, vcc
	s_waitcnt vmcnt(8)
	v_mfma_f32_4x4x4_16b_f16 a[0:3], v[42:43], v[50:51], a[0:3] cbsz:4 abid:7
	v_or_b32_e32 v42, 3, v34
	v_cmp_gt_i32_e32 vcc, s3, v56
	v_mfma_f32_4x4x4_16b_f16 a[0:3], v[44:45], v[52:53], a[0:3] cbsz:4 abid:7
	v_and_or_b32 v43, v57, 48, v38
	v_cmp_gt_i32_e64 s[10:11], s3, v42
	s_nop 2
	v_accvgpr_read_b32 v35, a1
	v_accvgpr_read_b32 v34, a0
	s_waitcnt lgkmcnt(0)
	v_pk_mul_f32 v[34:35], s[0:1], v[34:35] op_sel_hi:[0,1]
	v_accvgpr_read_b32 v37, a3
	v_accvgpr_read_b32 v36, a2
	v_pk_mul_f32 v[36:37], s[0:1], v[36:37] op_sel_hi:[0,1]
	v_mfma_f32_4x4x1_16b_f32 a[0:3], v34, v39, 0
	v_or_b32_e32 v34, 1, v56
	s_nop 0
	v_mfma_f32_4x4x1_16b_f32 a[0:3], v35, v41, a[0:3]
	v_lshlrev_b32_e32 v39, 2, v43
	v_cmp_gt_i32_e64 s[0:1], s3, v34
	v_mfma_f32_4x4x1_16b_f32 a[0:3], v36, v54, a[0:3]
	v_or_b32_e32 v35, 2, v56
	v_cmp_gt_i32_e64 s[8:9], s3, v35
	v_mfma_f32_4x4x1_16b_f32 a[0:3], v37, v55, a[0:3]
	s_nop 3
	v_accvgpr_read_b32 v36, a0
	v_max_f32_e32 v41, v36, v36
	v_accvgpr_read_b32 v37, a1
	v_max_f32_e32 v41, 0xff7fffff, v41
	v_max_f32_e32 v45, v37, v37
	v_cndmask_b32_e32 v41, v46, v41, vcc
	v_accvgpr_read_b32 v43, a2
	v_max_f32_e32 v45, v41, v45
	v_max_f32_e32 v47, v43, v43
	v_cndmask_b32_e64 v34, v41, v45, s[0:1]
	v_accvgpr_read_b32 v44, a3
	v_max_f32_e32 v41, v34, v47
	v_max_f32_e32 v48, v44, v44
	v_cndmask_b32_e64 v34, v34, v41, s[8:9]
	v_max_f32_e32 v35, v34, v48
	v_cndmask_b32_e64 v34, v34, v35, s[10:11]
	;;#ASMSTART
	v_nop
 v_nop
 v_max_f32_dpp v34, v34, v34 row_ror:4
	;;#ASMEND
	s_nop 0
	;;#ASMSTART
	v_nop
 v_nop
 v_max_f32_dpp v34, v34, v34 row_ror:8
	;;#ASMEND
	ds_bpermute_b32 v34, v39, v34
	s_waitcnt lgkmcnt(0)
	;;#ASMSTART
	v_nop
 v_nop
 v_max_f32_dpp v34, v34, v34 row_ror:4
	;;#ASMEND
	s_nop 0
	;;#ASMSTART
	v_nop
 v_nop
 v_max_f32_dpp v41, v34, v34 row_ror:8
	;;#ASMEND
	s_nop 0
	v_sub_f32_e32 v34, v36, v41
	v_sub_f32_e32 v35, v37, v41
	v_mul_f32_e32 v34, 0x3fb8aa3b, v34
	v_sub_f32_e32 v36, v43, v41
	v_mul_f32_e32 v35, 0x3fb8aa3b, v35
	v_exp_f32_e32 v34, v34
	v_sub_f32_e32 v37, v44, v41
	v_mul_f32_e32 v36, 0x3fb8aa3b, v36
	v_exp_f32_e32 v35, v35
	v_mul_f32_e32 v37, 0x3fb8aa3b, v37
	v_exp_f32_e32 v36, v36
	v_exp_f32_e32 v37, v37
	v_cndmask_b32_e32 v34, 0, v34, vcc
	v_cndmask_b32_e64 v35, 0, v35, s[0:1]
	v_add_f32_e32 v42, 0, v34
	v_cndmask_b32_e64 v36, 0, v36, s[8:9]
	v_add_f32_e32 v42, v42, v35
	;; [unrolled: 2-line block ×3, first 2 shown]
	v_add_f32_e32 v42, v42, v37
	;;#ASMSTART
	v_nop
 v_nop
 v_add_f32_dpp v42, v42, v42 row_ror:4
	;;#ASMEND
	v_cmp_gt_u32_e32 vcc, 4, v40
	;;#ASMSTART
	v_nop
 v_nop
 v_add_f32_dpp v42, v42, v42 row_ror:8
	;;#ASMEND
	ds_bpermute_b32 v39, v39, v42
	s_waitcnt lgkmcnt(0)
	;;#ASMSTART
	v_nop
 v_nop
 v_add_f32_dpp v39, v39, v39 row_ror:4
	;;#ASMEND
	s_nop 0
	;;#ASMSTART
	v_nop
 v_nop
 v_add_f32_dpp v39, v39, v39 row_ror:8
	;;#ASMEND
	s_and_saveexec_b64 s[0:1], vcc
	s_cbranch_execz .LBB135_12
; %bb.11:
	v_mul_u32_u24_e32 v42, 20, v1
	v_lshl_add_u32 v42, v38, 2, v42
	v_add_u32_e32 v42, 0x800, v42
	ds_write2_b32 v42, v41, v39 offset0:128 offset1:148
.LBB135_12:
	s_or_b64 exec, exec, s[0:1]
.LBB135_13:
	s_or_b64 exec, exec, s[26:27]
	v_lshlrev_b32_e32 v39, 2, v38
	v_add_u32_e32 v39, 0x800, v39
	s_waitcnt lgkmcnt(0)
	s_barrier
	s_load_dword s0, s[24:25], 0x8
	ds_read2_b32 v[44:45], v39 offset0:128 offset1:133
	ds_read2_b32 v[46:47], v39 offset0:138 offset1:143
	s_mov_b32 s8, 0xff7fffff
	s_mul_i32 s1, s2, s5
	s_lshl_b32 s4, s4, 2
	s_waitcnt lgkmcnt(0)
	v_max3_f32 v42, v44, s8, v45
	s_mul_i32 s1, s1, s0
	v_max3_f32 v42, v42, v46, v47
	s_lshl_b32 s0, s1, 2
	s_mov_b32 s1, 0
	v_sub_f32_e32 v43, v44, v42
	v_sub_f32_e32 v44, v45, v42
	s_lshl_b64 s[2:3], s[0:1], 2
	ds_read2_b32 v[48:49], v39 offset0:148 offset1:153
	v_mul_f32_e32 v43, 0x3fb8aa3b, v43
	v_mul_f32_e32 v44, 0x3fb8aa3b, v44
	s_mov_b32 s21, s1
	s_add_u32 s1, s12, s2
	v_exp_f32_e32 v43, v43
	v_exp_f32_e32 v50, v44
	ds_read2_b32 v[44:45], v39 offset0:158 offset1:163
	v_sub_f32_e32 v39, v46, v42
	s_addc_u32 s10, s13, s3
	v_mul_f32_e32 v39, 0x3fb8aa3b, v39
	v_sub_f32_e32 v46, v47, v42
	s_add_u32 s8, s14, s2
	v_exp_f32_e32 v39, v39
	v_mul_f32_e32 v46, 0x3fb8aa3b, v46
	s_addc_u32 s9, s15, s3
	s_lshl_b64 s[2:3], s[20:21], 2
	v_exp_f32_e32 v46, v46
	s_add_u32 s8, s8, s2
	s_waitcnt lgkmcnt(1)
	v_fma_f32 v43, v43, v48, 0
	s_addc_u32 s9, s9, s3
	v_fmac_f32_e32 v43, v50, v49
	v_or_b32_e32 v38, s4, v38
	s_waitcnt lgkmcnt(0)
	v_fmac_f32_e32 v43, v39, v44
	s_add_u32 s2, s1, s2
	v_mul_lo_u32 v38, s5, v38
	v_mov_b32_e32 v39, 0
	v_fmac_f32_e32 v43, v46, v45
	s_addc_u32 s3, s10, s3
	v_lshlrev_b64 v[44:45], 2, v[38:39]
	v_lshl_add_u64 v[46:47], s[8:9], 0, v[44:45]
	v_lshl_add_u64 v[44:45], s[2:3], 0, v[44:45]
	v_mov_b32_e32 v38, v39
	global_store_dword v[46:47], v42, off
	global_store_dword v[44:45], v43, off
	s_and_saveexec_b64 s[2:3], s[6:7]
	s_cbranch_execz .LBB135_15
; %bb.14:
	v_add_f32_e32 v38, 0x358637bd, v43
	v_div_scale_f32 v39, s[6:7], v38, v38, 1.0
	v_rcp_f32_e32 v43, v39
	v_div_scale_f32 v44, vcc, 1.0, v38, 1.0
	v_sub_f32_e32 v41, v41, v42
	v_fma_f32 v45, -v39, v43, 1.0
	v_fmac_f32_e32 v43, v45, v43
	v_mul_f32_e32 v45, v44, v43
	v_fma_f32 v46, -v39, v45, v44
	v_mul_f32_e32 v41, 0x3fb8aa3b, v41
	v_fmac_f32_e32 v45, v46, v43
	v_exp_f32_e32 v41, v41
	v_fma_f32 v39, -v39, v45, v44
	v_div_fmas_f32 v39, v39, v43, v45
	v_div_fixup_f32 v38, v39, v38, 1.0
	v_mul_f32_e32 v38, v41, v38
	v_pk_mul_f32 v[36:37], v[36:37], v[38:39] op_sel_hi:[1,0]
	v_pk_mul_f32 v[34:35], v[34:35], v[38:39] op_sel_hi:[1,0]
	v_cvt_f16_f32_e32 v36, v36
	v_cvt_f16_f32_e32 v34, v34
	;; [unrolled: 1-line block ×4, first 2 shown]
	s_mov_b32 s1, 0x5040100
	v_pack_b32_f16 v34, v34, v35
	v_pack_b32_f16 v35, v36, v37
	s_waitcnt vmcnt(9)
	s_nop 0
	v_mfma_f32_4x4x4_16b_f16 a[0:3], v[34:35], v[2:3], 0 cbsz:4
	s_nop 1
	v_mfma_f32_4x4x4_16b_f16 a[0:3], v[34:35], v[4:5], a[0:3] cbsz:4 abid:1
	s_waitcnt vmcnt(8)
	s_nop 0
	v_mfma_f32_4x4x4_16b_f16 a[0:3], v[34:35], v[6:7], a[0:3] cbsz:4 abid:2
	s_nop 1
	v_mfma_f32_4x4x4_16b_f16 a[0:3], v[34:35], v[8:9], a[0:3] cbsz:4 abid:3
	s_waitcnt vmcnt(7)
	s_nop 0
	v_mfma_f32_4x4x4_16b_f16 a[0:3], v[34:35], v[10:11], a[0:3] cbsz:4 abid:4
	;; [unrolled: 5-line block ×7, first 2 shown]
	s_nop 1
	v_mfma_f32_4x4x4_16b_f16 a[0:3], v[34:35], v[32:33], a[0:3] cbsz:4 abid:15
	s_nop 4
	v_accvgpr_read_b32 v2, a0
	v_accvgpr_read_b32 v3, a1
	;; [unrolled: 1-line block ×4, first 2 shown]
	v_cvt_f16_f32_e32 v2, v2
	v_cvt_f16_f32_e32 v3, v3
	;; [unrolled: 1-line block ×4, first 2 shown]
	v_perm_b32 v38, v3, v2, s1
	v_perm_b32 v39, v5, v4, s1
.LBB135_15:
	s_or_b64 exec, exec, s[2:3]
	v_lshlrev_b32_e32 v1, 3, v1
	v_mad_u32_u24 v1, v40, 40, v1
	v_cmp_gt_u32_e32 vcc, 64, v0
	ds_write_b64 v1, v[38:39]
	s_waitcnt lgkmcnt(0)
	s_barrier
	s_and_saveexec_b64 s[2:3], vcc
	s_cbranch_execz .LBB135_17
; %bb.16:
	v_mul_u32_u24_e32 v1, 40, v40
	s_waitcnt vmcnt(9)
	ds_read2_b64 v[2:5], v1 offset1:1
	s_waitcnt vmcnt(8)
	ds_read2_b64 v[6:9], v1 offset0:2 offset1:3
	s_mov_b32 s1, 0
	s_lshl_b32 s0, s0, 6
	s_lshl_b64 s[2:3], s[0:1], 1
	s_add_u32 s2, s22, s2
	s_addc_u32 s3, s23, s3
	s_lshl_b32 s0, s20, 6
	s_lshl_b64 s[0:1], s[0:1], 1
	s_waitcnt lgkmcnt(1)
	v_pk_add_f16 v1, v2, 0
	v_pk_add_f16 v2, v3, 0
	s_add_u32 s0, s2, s0
	v_pk_add_f16 v2, v2, v5
	s_addc_u32 s1, s3, s1
	s_lshl_b32 s2, s5, 6
	v_pk_add_f16 v1, v1, v4
	s_waitcnt lgkmcnt(0)
	v_pk_add_f16 v2, v2, v7
	s_mul_i32 s3, s2, s4
	v_pk_add_f16 v1, v1, v6
	v_pk_add_f16 v6, v2, v9
	v_or_b32_e32 v2, s3, v0
	v_mov_b32_e32 v3, 0
	s_add_i32 s3, s3, s2
	v_pk_add_f16 v1, v1, v8
	v_lshl_add_u64 v[4:5], v[2:3], 1, s[0:1]
	v_or_b32_e32 v2, s3, v0
	s_add_i32 s3, s3, s2
	global_store_short v[4:5], v1, off
	v_lshl_add_u64 v[4:5], v[2:3], 1, s[0:1]
	v_or_b32_e32 v2, s3, v0
	s_add_i32 s3, s3, s2
	global_store_short_d16_hi v[4:5], v1, off
	v_lshl_add_u64 v[4:5], v[2:3], 1, s[0:1]
	v_or_b32_e32 v2, s3, v0
	v_lshl_add_u64 v[0:1], v[2:3], 1, s[0:1]
	global_store_short v[4:5], v6, off
	global_store_short_d16_hi v[0:1], v6, off
.LBB135_17:
	s_endpgm
.LBB135_18:
	s_mov_b64 s[12:13], 0
                                        ; implicit-def: $sgpr30_sgpr31
	s_branch .LBB135_2
	.section	.rodata,"a",@progbits
	.p2align	6, 0x0
	.amdhsa_kernel _Z38paged_attention_ll4mi_QKV_mfma4_kernelIDF16_DF16_LN4vllm18Fp8KVCacheDataTypeE0EhLi32ELi64ELi256ELb0ELi4EEvPKT_PKT0_S7_ifPKiS9_S9_iPKfiiiPfSC_PS2_PT2_iSB_SB_
		.amdhsa_group_segment_fixed_size 2720
		.amdhsa_private_segment_fixed_size 0
		.amdhsa_kernarg_size 400
		.amdhsa_user_sgpr_count 2
		.amdhsa_user_sgpr_dispatch_ptr 0
		.amdhsa_user_sgpr_queue_ptr 0
		.amdhsa_user_sgpr_kernarg_segment_ptr 1
		.amdhsa_user_sgpr_dispatch_id 0
		.amdhsa_user_sgpr_kernarg_preload_length 0
		.amdhsa_user_sgpr_kernarg_preload_offset 0
		.amdhsa_user_sgpr_private_segment_size 0
		.amdhsa_uses_dynamic_stack 0
		.amdhsa_enable_private_segment 0
		.amdhsa_system_sgpr_workgroup_id_x 1
		.amdhsa_system_sgpr_workgroup_id_y 1
		.amdhsa_system_sgpr_workgroup_id_z 1
		.amdhsa_system_sgpr_workgroup_info 0
		.amdhsa_system_vgpr_workitem_id 0
		.amdhsa_next_free_vgpr 64
		.amdhsa_next_free_sgpr 38
		.amdhsa_accum_offset 60
		.amdhsa_reserve_vcc 1
		.amdhsa_float_round_mode_32 0
		.amdhsa_float_round_mode_16_64 0
		.amdhsa_float_denorm_mode_32 3
		.amdhsa_float_denorm_mode_16_64 3
		.amdhsa_dx10_clamp 1
		.amdhsa_ieee_mode 1
		.amdhsa_fp16_overflow 0
		.amdhsa_tg_split 0
		.amdhsa_exception_fp_ieee_invalid_op 0
		.amdhsa_exception_fp_denorm_src 0
		.amdhsa_exception_fp_ieee_div_zero 0
		.amdhsa_exception_fp_ieee_overflow 0
		.amdhsa_exception_fp_ieee_underflow 0
		.amdhsa_exception_fp_ieee_inexact 0
		.amdhsa_exception_int_div_zero 0
	.end_amdhsa_kernel
	.section	.text._Z38paged_attention_ll4mi_QKV_mfma4_kernelIDF16_DF16_LN4vllm18Fp8KVCacheDataTypeE0EhLi32ELi64ELi256ELb0ELi4EEvPKT_PKT0_S7_ifPKiS9_S9_iPKfiiiPfSC_PS2_PT2_iSB_SB_,"axG",@progbits,_Z38paged_attention_ll4mi_QKV_mfma4_kernelIDF16_DF16_LN4vllm18Fp8KVCacheDataTypeE0EhLi32ELi64ELi256ELb0ELi4EEvPKT_PKT0_S7_ifPKiS9_S9_iPKfiiiPfSC_PS2_PT2_iSB_SB_,comdat
.Lfunc_end135:
	.size	_Z38paged_attention_ll4mi_QKV_mfma4_kernelIDF16_DF16_LN4vllm18Fp8KVCacheDataTypeE0EhLi32ELi64ELi256ELb0ELi4EEvPKT_PKT0_S7_ifPKiS9_S9_iPKfiiiPfSC_PS2_PT2_iSB_SB_, .Lfunc_end135-_Z38paged_attention_ll4mi_QKV_mfma4_kernelIDF16_DF16_LN4vllm18Fp8KVCacheDataTypeE0EhLi32ELi64ELi256ELb0ELi4EEvPKT_PKT0_S7_ifPKiS9_S9_iPKfiiiPfSC_PS2_PT2_iSB_SB_
                                        ; -- End function
	.section	.AMDGPU.csdata,"",@progbits
; Kernel info:
; codeLenInByte = 2984
; NumSgprs: 44
; NumVgprs: 58
; NumAgprs: 4
; TotalNumVgprs: 64
; ScratchSize: 0
; MemoryBound: 0
; FloatMode: 240
; IeeeMode: 1
; LDSByteSize: 2720 bytes/workgroup (compile time only)
; SGPRBlocks: 5
; VGPRBlocks: 7
; NumSGPRsForWavesPerEU: 44
; NumVGPRsForWavesPerEU: 64
; AccumOffset: 60
; Occupancy: 8
; WaveLimiterHint : 1
; COMPUTE_PGM_RSRC2:SCRATCH_EN: 0
; COMPUTE_PGM_RSRC2:USER_SGPR: 2
; COMPUTE_PGM_RSRC2:TRAP_HANDLER: 0
; COMPUTE_PGM_RSRC2:TGID_X_EN: 1
; COMPUTE_PGM_RSRC2:TGID_Y_EN: 1
; COMPUTE_PGM_RSRC2:TGID_Z_EN: 1
; COMPUTE_PGM_RSRC2:TIDIG_COMP_CNT: 0
; COMPUTE_PGM_RSRC3_GFX90A:ACCUM_OFFSET: 14
; COMPUTE_PGM_RSRC3_GFX90A:TG_SPLIT: 0
	.section	.text._Z39paged_attention_ll4mi_QKV_mfma16_kernelIDF16_DF16_LN4vllm18Fp8KVCacheDataTypeE0EhLi32ELi64ELi256ELb0ELi5EEvPKT_PKT0_S7_ifPKiS9_S9_iPKfiiiPfSC_PS2_PT2_iSB_SB_,"axG",@progbits,_Z39paged_attention_ll4mi_QKV_mfma16_kernelIDF16_DF16_LN4vllm18Fp8KVCacheDataTypeE0EhLi32ELi64ELi256ELb0ELi5EEvPKT_PKT0_S7_ifPKiS9_S9_iPKfiiiPfSC_PS2_PT2_iSB_SB_,comdat
	.protected	_Z39paged_attention_ll4mi_QKV_mfma16_kernelIDF16_DF16_LN4vllm18Fp8KVCacheDataTypeE0EhLi32ELi64ELi256ELb0ELi5EEvPKT_PKT0_S7_ifPKiS9_S9_iPKfiiiPfSC_PS2_PT2_iSB_SB_ ; -- Begin function _Z39paged_attention_ll4mi_QKV_mfma16_kernelIDF16_DF16_LN4vllm18Fp8KVCacheDataTypeE0EhLi32ELi64ELi256ELb0ELi5EEvPKT_PKT0_S7_ifPKiS9_S9_iPKfiiiPfSC_PS2_PT2_iSB_SB_
	.globl	_Z39paged_attention_ll4mi_QKV_mfma16_kernelIDF16_DF16_LN4vllm18Fp8KVCacheDataTypeE0EhLi32ELi64ELi256ELb0ELi5EEvPKT_PKT0_S7_ifPKiS9_S9_iPKfiiiPfSC_PS2_PT2_iSB_SB_
	.p2align	8
	.type	_Z39paged_attention_ll4mi_QKV_mfma16_kernelIDF16_DF16_LN4vllm18Fp8KVCacheDataTypeE0EhLi32ELi64ELi256ELb0ELi5EEvPKT_PKT0_S7_ifPKiS9_S9_iPKfiiiPfSC_PS2_PT2_iSB_SB_,@function
_Z39paged_attention_ll4mi_QKV_mfma16_kernelIDF16_DF16_LN4vllm18Fp8KVCacheDataTypeE0EhLi32ELi64ELi256ELb0ELi5EEvPKT_PKT0_S7_ifPKiS9_S9_iPKfiiiPfSC_PS2_PT2_iSB_SB_: ; @_Z39paged_attention_ll4mi_QKV_mfma16_kernelIDF16_DF16_LN4vllm18Fp8KVCacheDataTypeE0EhLi32ELi64ELi256ELb0ELi5EEvPKT_PKT0_S7_ifPKiS9_S9_iPKfiiiPfSC_PS2_PT2_iSB_SB_
; %bb.0:
	s_load_dwordx2 s[6:7], s[0:1], 0x30
	s_mov_b32 s28, s3
	s_mov_b64 s[10:11], 0
	s_waitcnt lgkmcnt(0)
	s_cmp_lg_u64 s[6:7], 0
	s_cselect_b64 s[8:9], -1, 0
	s_and_b64 vcc, exec, s[8:9]
	s_cbranch_vccz .LBB136_7
; %bb.1:
	s_add_i32 s12, s2, 1
	s_mov_b32 s13, 0
	s_lshl_b64 s[14:15], s[12:13], 2
	s_add_u32 s14, s6, s14
	s_mov_b32 s3, s13
	s_addc_u32 s15, s7, s15
	s_lshl_b64 s[12:13], s[2:3], 2
	s_add_u32 s12, s6, s12
	s_addc_u32 s13, s7, s13
	s_load_dword s5, s[14:15], 0x0
	s_load_dword s16, s[12:13], 0x0
	s_waitcnt lgkmcnt(0)
	s_sub_i32 s5, s5, s16
	s_cmp_eq_u32 s5, 1
	s_cselect_b64 s[12:13], -1, 0
	s_andn2_b64 vcc, exec, s[10:11]
	s_cbranch_vccnz .LBB136_3
.LBB136_2:
	s_mov_b32 s3, 0
	s_mov_b64 s[12:13], -1
.LBB136_3:
	s_andn2_b64 vcc, exec, s[12:13]
	s_cbranch_vccnz .LBB136_20
; %bb.4:
	s_load_dwordx2 s[12:13], s[0:1], 0x28
	s_lshl_b64 s[10:11], s[2:3], 2
	s_waitcnt lgkmcnt(0)
	s_add_u32 s12, s12, s10
	s_addc_u32 s13, s13, s11
	s_load_dword s33, s[12:13], 0x0
	s_lshl_b32 s14, s28, 8
	s_waitcnt lgkmcnt(0)
	s_cmp_ge_i32 s14, s33
	s_cbranch_scc1 .LBB136_20
; %bb.5:
	s_load_dwordx2 s[12:13], s[0:1], 0x20
	s_load_dword s5, s[0:1], 0x38
	s_add_i32 s15, s33, 31
	s_ashr_i32 s16, s15, 31
	v_and_b32_e32 v1, 0xcf, v0
	s_lshr_b32 s16, s16, 27
	v_add_u32_e32 v1, s14, v1
	s_add_i32 s15, s15, s16
	v_ashrrev_i32_e32 v2, 31, v1
	s_ashr_i32 s15, s15, 5
	v_lshrrev_b32_e32 v10, 27, v2
	s_add_i32 s15, s15, -1
	s_waitcnt lgkmcnt(0)
	s_mul_i32 s16, s2, s5
	s_mov_b32 s17, 0
	v_add_u32_e32 v2, v1, v10
	s_lshl_b64 s[16:17], s[16:17], 2
	v_ashrrev_i32_e32 v2, 5, v2
	v_mov_b32_e32 v11, s15
	v_cmp_gt_i32_e32 vcc, s33, v1
	s_add_u32 s12, s12, s16
	s_addc_u32 s13, s13, s17
	v_cndmask_b32_e32 v2, v11, v2, vcc
	v_ashrrev_i32_e32 v3, 31, v2
	v_lshl_add_u64 v[4:5], v[2:3], 2, s[12:13]
	v_or_b32_e32 v2, 16, v1
	v_add_u32_e32 v3, v2, v10
	v_ashrrev_i32_e32 v3, 5, v3
	v_cmp_gt_i32_e32 vcc, s33, v2
	s_nop 1
	v_cndmask_b32_e32 v2, v11, v3, vcc
	v_ashrrev_i32_e32 v3, 31, v2
	v_lshl_add_u64 v[6:7], v[2:3], 2, s[12:13]
	v_or_b32_e32 v2, 32, v1
	v_add_u32_e32 v3, v2, v10
	v_ashrrev_i32_e32 v3, 5, v3
	v_cmp_gt_i32_e32 vcc, s33, v2
	v_or_b32_e32 v1, 48, v1
	s_nop 0
	v_cndmask_b32_e32 v2, v11, v3, vcc
	v_ashrrev_i32_e32 v3, 31, v2
	v_lshl_add_u64 v[8:9], v[2:3], 2, s[12:13]
	v_add_u32_e32 v2, v1, v10
	v_ashrrev_i32_e32 v2, 5, v2
	v_cmp_gt_i32_e32 vcc, s33, v1
	s_nop 1
	v_cndmask_b32_e32 v2, v11, v2, vcc
	v_ashrrev_i32_e32 v3, 31, v2
	v_lshl_add_u64 v[12:13], v[2:3], 2, s[12:13]
	global_load_dword v3, v[4:5], off
	global_load_dword v2, v[6:7], off
	;; [unrolled: 1-line block ×4, first 2 shown]
	s_andn2_b64 vcc, exec, s[8:9]
	s_cbranch_vccnz .LBB136_8
; %bb.6:
	s_add_u32 s6, s6, s10
	s_addc_u32 s7, s7, s11
	s_load_dword s5, s[6:7], 0x0
	s_branch .LBB136_9
.LBB136_7:
	s_mov_b64 s[12:13], 0
	s_branch .LBB136_2
.LBB136_8:
	s_mov_b32 s5, s2
.LBB136_9:
	s_load_dwordx4 s[8:11], s[0:1], 0x8
	s_load_dwordx4 s[44:47], s[0:1], 0x48
	v_lshrrev_b32_e32 v1, 6, v0
	v_bfe_u32 v54, v0, 4, 2
	v_lshl_or_b32 v4, v1, 2, v54
	v_and_b32_e32 v36, 15, v0
	v_cmp_lt_u32_e32 vcc, 4, v4
	v_cmp_lt_u32_e64 s[6:7], 7, v36
	v_lshlrev_b32_e32 v34, 3, v36
	v_cmp_gt_u32_e64 s[30:31], 8, v36
	s_or_b64 s[6:7], s[6:7], vcc
	s_and_saveexec_b64 s[16:17], s[6:7]
	s_xor_b64 s[6:7], exec, s[16:17]
; %bb.10:
	v_mov_b32_e32 v35, 0
                                        ; implicit-def: $vgpr4
; %bb.11:
	s_or_saveexec_b64 s[6:7], s[6:7]
	v_and_b32_e32 v37, 63, v0
	s_mul_i32 s42, s4, 5
	s_xor_b64 exec, exec, s[6:7]
	s_cbranch_execz .LBB136_13
; %bb.12:
	s_load_dwordx2 s[16:17], s[0:1], 0x0
	s_waitcnt lgkmcnt(0)
	s_ashr_i32 s18, s44, 31
	s_mul_hi_u32 s19, s5, s44
	s_mul_i32 s18, s5, s18
	s_add_i32 s19, s19, s18
	s_mul_i32 s18, s5, s44
	s_lshl_b64 s[18:19], s[18:19], 1
	s_add_u32 s16, s16, s18
	v_add_lshl_u32 v6, v4, s42, 6
	s_addc_u32 s17, s17, s19
	v_ashrrev_i32_e32 v7, 31, v6
	v_mov_b32_e32 v35, 0
	v_lshl_add_u64 v[6:7], v[6:7], 1, s[16:17]
	v_lshlrev_b32_e32 v8, 1, v34
	v_mov_b32_e32 v9, v35
	v_lshl_add_u64 v[6:7], v[6:7], 0, v[8:9]
	global_load_dwordx4 v[6:9], v[6:7], off
	v_and_b32_e32 v5, 3, v0
	v_lshlrev_b32_e32 v11, 9, v36
	v_lshlrev_b32_e32 v4, 5, v4
	;; [unrolled: 1-line block ×3, first 2 shown]
	v_and_b32_e32 v11, 0x1800, v11
	v_or3_b32 v4, v11, v5, v4
	s_waitcnt vmcnt(0)
	ds_write_b128 v4, v[6:9]
.LBB136_13:
	s_or_b64 exec, exec, s[6:7]
	s_waitcnt lgkmcnt(0)
	s_mul_i32 s4, s4, s46
	s_mov_b32 s5, 0
	s_lshl_b64 s[4:5], s[4:5], 1
	s_add_u32 s8, s8, s4
	s_addc_u32 s9, s9, s5
	s_waitcnt vmcnt(3)
	v_mad_i64_i32 v[4:5], s[16:17], v3, s45, 0
	v_lshl_add_u64 v[4:5], v[4:5], 1, s[8:9]
	v_lshlrev_b64 v[12:13], 1, v[34:35]
	v_lshlrev_b32_e32 v38, 9, v54
	v_lshl_add_u64 v[4:5], v[4:5], 0, v[12:13]
	v_mov_b32_e32 v39, 0
	v_lshl_add_u64 v[14:15], v[4:5], 0, v[38:39]
	s_waitcnt vmcnt(2)
	v_mad_i64_i32 v[2:3], s[16:17], v2, s45, 0
	v_mov_b32_e32 v4, 0x100
	v_lshl_add_u64 v[2:3], v[2:3], 1, s[8:9]
	v_lshl_or_b32 v30, v36, 4, v4
	v_mov_b32_e32 v31, v39
	s_load_dword s29, s[0:1], 0x98
	s_load_dword s6, s[0:1], 0x1c
	s_waitcnt lgkmcnt(0)
	s_barrier
	v_lshl_add_u64 v[2:3], v[2:3], 0, v[30:31]
	global_load_dwordx4 v[6:9], v[14:15], off
	global_load_dwordx4 v[22:25], v[14:15], off offset:2048
	v_lshl_add_u64 v[18:19], v[2:3], 0, v[38:39]
	global_load_dwordx4 v[2:5], v[18:19], off
	global_load_dwordx4 v[26:29], v[18:19], off offset:2048
	s_waitcnt vmcnt(5)
	v_mad_i64_i32 v[10:11], s[16:17], v10, s45, 0
	v_lshl_add_u64 v[10:11], v[10:11], 1, s[8:9]
	v_lshl_add_u64 v[10:11], v[10:11], 0, v[12:13]
	;; [unrolled: 1-line block ×3, first 2 shown]
	global_load_dwordx4 v[10:13], v[32:33], off
	v_mul_lo_u16_e32 v20, 52, v36
	v_mov_b32_e32 v21, 5
	s_waitcnt vmcnt(5)
	v_mad_i64_i32 v[16:17], s[16:17], v16, s45, 0
	v_mul_lo_u16_sdwa v14, v20, v21 dst_sel:DWORD dst_unused:UNUSED_PAD src0_sel:BYTE_1 src1_sel:DWORD
	v_sub_u16_e32 v14, v36, v14
	v_lshl_add_u64 v[40:41], v[16:17], 1, s[8:9]
	v_and_b32_e32 v14, 0xff, v14
	v_lshl_add_u64 v[30:31], v[40:41], 0, v[30:31]
	v_lshl_add_u32 v14, v14, 5, v38
	v_lshl_add_u64 v[40:41], v[30:31], 0, v[38:39]
	ds_read_b128 v[18:21], v14
	ds_read_b128 v[14:17], v14 offset:2048
	global_load_dwordx4 v[30:33], v[32:33], off offset:2048
	s_ashr_i32 s7, s14, 31
	global_load_dwordx4 v[46:49], v[40:41], off
	global_load_dwordx4 v[60:63], v[40:41], off offset:2048
	v_and_or_b32 v55, v0, 48, s14
	s_lshr_b32 s7, s7, 27
	v_add_u32_e32 v42, s7, v55
	v_mov_b32_e32 v64, s15
	v_or_b32_e32 v50, 64, v55
	v_ashrrev_i32_e32 v38, 5, v42
	v_cmp_gt_i32_e32 vcc, s33, v55
	v_add_u32_e32 v43, s7, v50
	v_ashrrev_i32_e32 v51, 5, v43
	v_cndmask_b32_e32 v42, v64, v38, vcc
	v_ashrrev_i32_e32 v43, 31, v42
	v_lshl_add_u64 v[42:43], v[42:43], 2, s[12:13]
	v_cmp_gt_i32_e32 vcc, s33, v50
	global_load_dword v65, v[42:43], off
	v_or_b32_e32 v40, 0x80, v55
	v_and_b32_e32 v38, 16, v0
	s_add_u32 s4, s10, s4
	v_lshlrev_b32_e32 v41, 6, v36
	s_addc_u32 s5, s11, s5
	v_lshlrev_b32_e32 v38, 1, v38
	s_mov_b32 s43, 0xff7fffff
	s_waitcnt vmcnt(8) lgkmcnt(1)
	v_mfma_f32_16x16x16_f16 v[42:45], v[6:7], v[18:19], 0
	v_cndmask_b32_e32 v6, v64, v51, vcc
	v_ashrrev_i32_e32 v7, 31, v6
	v_cmp_gt_i32_e32 vcc, s33, v40
	s_waitcnt vmcnt(6)
	v_mfma_f32_16x16x16_f16 v[50:53], v[2:3], v[18:19], 0
	v_lshl_add_u64 v[2:3], v[6:7], 2, s[12:13]
	global_load_dword v66, v[2:3], off
	v_mfma_f32_16x16x16_f16 v[6:9], v[8:9], v[20:21], v[42:45]
	v_mfma_f32_16x16x16_f16 v[2:5], v[4:5], v[20:21], v[50:53]
	s_nop 1
	v_or_b32_e32 v42, 0xc0, v55
	v_add_u32_e32 v43, s7, v40
	v_add_u32_e32 v44, s7, v42
	s_waitcnt lgkmcnt(0)
	v_mfma_f32_16x16x16_f16 v[6:9], v[22:23], v[14:15], v[6:9]
	v_ashrrev_i32_e32 v43, 5, v43
	v_ashrrev_i32_e32 v44, 5, v44
	v_cndmask_b32_e32 v40, v64, v43, vcc
	s_waitcnt vmcnt(5)
	v_mfma_f32_16x16x16_f16 v[56:59], v[10:11], v[18:19], 0
	v_cmp_gt_i32_e32 vcc, s33, v42
	v_mfma_f32_16x16x16_f16 v[2:5], v[26:27], v[14:15], v[2:5]
	s_nop 0
	v_cndmask_b32_e32 v42, v64, v44, vcc
	v_lshl_add_u64 v[44:45], s[4:5], 0, v[38:39]
	v_lshl_or_b32 v38, v1, 10, v41
	v_ashrrev_i32_e32 v41, 31, v40
	v_mfma_f32_16x16x16_f16 v[22:25], v[24:25], v[16:17], v[6:9]
	v_ashrrev_i32_e32 v43, 31, v42
	s_nop 1
	v_lshl_add_u64 v[6:7], v[40:41], 2, s[12:13]
	v_mfma_f32_16x16x16_f16 v[10:13], v[12:13], v[20:21], v[56:59]
	s_nop 1
	v_pk_mul_f32 v[50:51], s[6:7], v[24:25] op_sel_hi:[0,1]
	v_mfma_f32_16x16x16_f16 v[26:29], v[28:29], v[16:17], v[2:5]
	s_nop 2
	v_lshl_add_u64 v[2:3], v[42:43], 2, s[12:13]
	global_load_dword v55, v[6:7], off
	global_load_dword v58, v[2:3], off
	s_waitcnt vmcnt(6)
	v_mfma_f32_16x16x16_f16 v[2:5], v[30:31], v[14:15], v[10:13]
	s_waitcnt vmcnt(3)
	v_mad_i64_i32 v[6:7], s[4:5], v65, s45, 0
	v_pk_mul_f32 v[42:43], s[6:7], v[26:27] op_sel_hi:[0,1]
	v_lshl_add_u64 v[10:11], v[44:45], 0, v[38:39]
	v_mfma_f32_16x16x16_f16 v[38:41], v[46:47], v[18:19], 0
	v_pk_mul_f32 v[52:53], s[6:7], v[28:29] op_sel_hi:[0,1]
	s_waitcnt vmcnt(2)
	v_mad_i64_i32 v[12:13], s[4:5], v66, s45, 0
	v_mfma_f32_16x16x16_f16 v[18:21], v[48:49], v[20:21], v[38:41]
	v_lshl_add_u64 v[56:57], v[12:13], 1, v[10:11]
	v_pk_mul_f32 v[12:13], s[6:7], v[22:23] op_sel_hi:[0,1]
	v_mfma_f32_16x16x16_f16 v[18:21], v[60:61], v[14:15], v[18:21]
	v_mfma_f32_16x16x16_f16 v[30:33], v[32:33], v[16:17], v[2:5]
	;; [unrolled: 1-line block ×3, first 2 shown]
	s_nop 1
	v_lshl_add_u64 v[2:3], v[6:7], 1, v[10:11]
	s_nop 2
	v_pk_mul_f32 v[48:49], s[6:7], v[30:31] op_sel_hi:[0,1]
	v_pk_mul_f32 v[46:47], s[6:7], v[32:33] op_sel_hi:[0,1]
	global_load_dwordx4 v[6:9], v[2:3], off
	s_nop 0
	global_load_dwordx4 v[2:5], v[2:3], off offset:16
	v_pk_mul_f32 v[44:45], s[6:7], v[14:15] op_sel_hi:[0,1]
	v_and_b32_e32 v14, 0xc0, v0
	v_add_u32_e32 v14, s14, v14
	v_lshl_or_b32 v14, v54, 2, v14
	v_pk_mul_f32 v[38:39], s[6:7], v[16:17] op_sel_hi:[0,1]
	v_or_b32_e32 v17, 1, v14
	v_mov_b32_e32 v15, 0xff7fffff
	v_cmp_gt_i32_e64 s[4:5], s33, v14
	v_cmp_gt_i32_e64 s[34:35], s33, v17
	v_or_b32_e32 v18, 3, v14
	v_cndmask_b32_e64 v16, v15, v12, s[4:5]
	v_cndmask_b32_e64 v17, v15, v13, s[34:35]
	v_max3_f32 v16, v16, s43, v17
	v_or_b32_e32 v17, 2, v14
	v_cmp_gt_i32_e64 s[36:37], s33, v17
	v_cmp_gt_i32_e64 s[38:39], s33, v18
	global_load_dwordx4 v[30:33], v[56:57], off
	global_load_dwordx4 v[26:29], v[56:57], off offset:16
	v_cndmask_b32_e64 v17, v15, v50, s[36:37]
	v_cndmask_b32_e64 v18, v15, v51, s[38:39]
	v_max3_f32 v16, v16, v17, v18
	v_or_b32_e32 v17, 16, v14
	v_or_b32_e32 v18, 17, v14
	v_cmp_gt_i32_e64 s[24:25], s33, v17
	v_cmp_gt_i32_e64 s[26:27], s33, v18
	s_nop 0
	v_cndmask_b32_e64 v17, v15, v42, s[24:25]
	v_cndmask_b32_e64 v18, v15, v43, s[26:27]
	v_max3_f32 v16, v16, v17, v18
	v_or_b32_e32 v17, 18, v14
	v_or_b32_e32 v18, 19, v14
	v_cmp_gt_i32_e64 s[20:21], s33, v17
	v_cmp_gt_i32_e64 s[22:23], s33, v18
	s_nop 0
	;; [unrolled: 8-line block ×5, first 2 shown]
	v_cndmask_b32_e64 v17, v15, v44, s[8:9]
	v_cndmask_b32_e64 v18, v15, v45, s[10:11]
	v_max3_f32 v16, v16, v17, v18
	v_or_b32_e32 v17, 50, v14
	v_or_b32_e32 v14, 51, v14
	v_cmp_gt_i32_e32 vcc, s33, v17
	v_cmp_gt_i32_e64 s[6:7], s33, v14
	s_nop 0
	v_cndmask_b32_e32 v17, v15, v38, vcc
	v_cndmask_b32_e64 v14, v15, v39, s[6:7]
	v_max3_f32 v16, v16, v17, v14
	v_mbcnt_lo_u32_b32 v14, -1, 0
	v_mbcnt_hi_u32_b32 v17, -1, v14
	v_and_b32_e32 v14, 64, v17
	v_add_u32_e32 v18, 64, v14
	v_xor_b32_e32 v14, 32, v17
	v_cmp_lt_i32_e64 s[40:41], v14, v18
	s_nop 1
	v_cndmask_b32_e64 v14, v17, v14, s[40:41]
	v_lshlrev_b32_e32 v59, 2, v14
	ds_bpermute_b32 v19, v59, v16
	s_waitcnt vmcnt(5)
	v_mad_i64_i32 v[14:15], s[40:41], v55, s45, 0
	v_lshl_add_u64 v[14:15], v[14:15], 1, v[10:11]
	s_waitcnt lgkmcnt(0)
	v_max_f32_e32 v19, v19, v19
	v_max_f32_e32 v16, v16, v19
	v_xor_b32_e32 v19, 16, v17
	v_cmp_lt_i32_e64 s[40:41], v19, v18
	s_nop 1
	v_cndmask_b32_e64 v17, v17, v19, s[40:41]
	v_lshlrev_b32_e32 v57, 2, v17
	ds_bpermute_b32 v17, v57, v16
	global_load_dwordx4 v[22:25], v[14:15], off
	global_load_dwordx4 v[18:21], v[14:15], off offset:16
	s_waitcnt vmcnt(6)
	v_mad_i64_i32 v[14:15], s[40:41], v58, s45, 0
	v_lshl_add_u64 v[10:11], v[14:15], 1, v[10:11]
	s_waitcnt lgkmcnt(0)
	v_max_f32_e32 v14, v17, v17
	v_max_f32_e32 v55, v16, v14
	v_sub_f32_e32 v12, v12, v55
	v_mul_f32_e32 v12, 0x3fb8aa3b, v12
	v_exp_f32_e32 v40, v12
	v_sub_f32_e32 v12, v13, v55
	v_mul_f32_e32 v12, 0x3fb8aa3b, v12
	v_exp_f32_e32 v41, v12
	global_load_dwordx4 v[14:17], v[10:11], off
	s_nop 0
	global_load_dwordx4 v[10:13], v[10:11], off offset:16
	v_sub_f32_e32 v50, v50, v55
	v_mul_f32_e32 v50, 0x3fb8aa3b, v50
	v_sub_f32_e32 v51, v51, v55
	v_exp_f32_e32 v50, v50
	v_mul_f32_e32 v51, 0x3fb8aa3b, v51
	v_sub_f32_e32 v42, v42, v55
	v_exp_f32_e32 v51, v51
	v_mul_f32_e32 v42, 0x3fb8aa3b, v42
	v_sub_f32_e32 v43, v43, v55
	v_cndmask_b32_e64 v40, 0, v40, s[4:5]
	v_exp_f32_e32 v42, v42
	v_mul_f32_e32 v43, 0x3fb8aa3b, v43
	v_sub_f32_e32 v52, v52, v55
	v_add_f32_e32 v56, 0, v40
	v_cndmask_b32_e64 v41, 0, v41, s[34:35]
	v_exp_f32_e32 v43, v43
	v_mul_f32_e32 v52, 0x3fb8aa3b, v52
	v_sub_f32_e32 v53, v53, v55
	v_add_f32_e32 v56, v56, v41
	;; [unrolled: 5-line block ×10, first 2 shown]
	v_cndmask_b32_e64 v46, 0, v46, s[12:13]
	v_exp_f32_e32 v38, v38
	v_mul_f32_e32 v39, 0x3fb8aa3b, v39
	v_add_f32_e32 v56, v56, v46
	v_cndmask_b32_e64 v47, 0, v47, s[14:15]
	v_exp_f32_e32 v39, v39
	v_add_f32_e32 v56, v56, v47
	v_cndmask_b32_e64 v44, 0, v44, s[8:9]
	v_add_f32_e32 v56, v56, v44
	v_cndmask_b32_e64 v45, 0, v45, s[10:11]
	v_add_f32_e32 v56, v56, v45
	v_cndmask_b32_e32 v38, 0, v38, vcc
	v_add_f32_e32 v56, v56, v38
	v_cndmask_b32_e64 v39, 0, v39, s[6:7]
	v_add_f32_e32 v56, v56, v39
	ds_bpermute_b32 v58, v59, v56
	v_cmp_gt_u32_e64 s[6:7], 16, v37
	v_lshlrev_b32_e32 v37, 2, v36
	s_waitcnt lgkmcnt(0)
	s_barrier
	v_add_f32_e32 v56, v56, v58
	ds_bpermute_b32 v57, v57, v56
	s_waitcnt lgkmcnt(0)
	s_and_saveexec_b64 s[4:5], s[6:7]
	s_cbranch_execz .LBB136_15
; %bb.14:
	v_add_f32_e32 v56, v56, v57
	v_lshl_or_b32 v57, v1, 6, v37
	ds_write2st64_b32 v57, v55, v56 offset1:1
.LBB136_15:
	s_or_b64 exec, exec, s[4:5]
	s_load_dword s8, s[0:1], 0x94
	s_waitcnt lgkmcnt(0)
	s_barrier
	ds_read2_b32 v[56:57], v37 offset1:16
	ds_read2_b32 v[58:59], v37 offset0:32 offset1:48
	ds_read2_b32 v[60:61], v37 offset0:64 offset1:80
	;; [unrolled: 1-line block ×3, first 2 shown]
	s_waitcnt lgkmcnt(0)
	v_max3_f32 v55, v56, s43, v57
	v_max3_f32 v55, v55, v58, v59
	v_sub_f32_e32 v56, v56, v55
	v_mul_f32_e32 v56, 0x3fb8aa3b, v56
	v_exp_f32_e32 v64, v56
	v_sub_f32_e32 v56, v57, v55
	v_mul_f32_e32 v56, 0x3fb8aa3b, v56
	v_exp_f32_e32 v57, v56
	v_sub_f32_e32 v56, v58, v55
	v_mul_f32_e32 v56, 0x3fb8aa3b, v56
	v_sub_f32_e32 v37, v59, v55
	v_exp_f32_e32 v58, v56
	v_mul_f32_e32 v37, 0x3fb8aa3b, v37
	v_exp_f32_e32 v37, v37
	v_fma_f32 v56, v64, v60, 0
	v_fmac_f32_e32 v56, v57, v61
	v_fmac_f32_e32 v56, v58, v62
	;; [unrolled: 1-line block ×3, first 2 shown]
	v_add_f32_e32 v59, 0x358637bd, v56
	v_div_scale_f32 v60, s[4:5], v59, v59, 1.0
	v_rcp_f32_e32 v61, v60
	s_barrier
	s_mul_i32 s9, s29, 5
	v_fma_f32 v62, -v60, v61, 1.0
	v_fmac_f32_e32 v61, v62, v61
	v_div_scale_f32 v62, vcc, 1.0, v59, 1.0
	v_mul_f32_e32 v63, v62, v61
	v_fma_f32 v65, -v60, v63, v62
	v_fmac_f32_e32 v63, v65, v61
	v_fma_f32 v60, -v60, v63, v62
	v_div_fmas_f32 v60, v60, v61, v63
	v_cmp_eq_u32_e32 vcc, 1, v1
	v_div_fixup_f32 v59, v60, v59, 1.0
	s_nop 0
	v_cndmask_b32_e32 v57, v64, v57, vcc
	v_cmp_eq_u32_e32 vcc, 2, v1
	s_nop 1
	v_cndmask_b32_e32 v57, v57, v58, vcc
	v_cmp_eq_u32_e32 vcc, 3, v1
	v_lshlrev_b32_e32 v1, 11, v1
	s_nop 0
	v_cndmask_b32_e32 v37, v57, v37, vcc
	v_mul_f32_e32 v58, v37, v59
	v_pk_mul_f32 v[50:51], v[58:59], v[50:51] op_sel_hi:[0,1]
	v_pk_mul_f32 v[40:41], v[58:59], v[40:41] op_sel_hi:[0,1]
	v_cvt_f16_f32_e32 v37, v40
	v_cvt_f16_f32_e32 v40, v41
	;; [unrolled: 1-line block ×4, first 2 shown]
	v_pk_mul_f32 v[52:53], v[58:59], v[52:53] op_sel_hi:[0,1]
	v_pk_mul_f32 v[42:43], v[58:59], v[42:43] op_sel_hi:[0,1]
	v_pack_b32_f16 v50, v37, v40
	v_pack_b32_f16 v51, v41, v51
	v_cvt_f16_f32_e32 v41, v42
	v_cvt_f16_f32_e32 v42, v43
	;; [unrolled: 1-line block ×4, first 2 shown]
	v_lshlrev_b32_e32 v37, 3, v54
	v_lshlrev_b32_e32 v40, 5, v36
	v_or3_b32 v1, v1, v40, v37
	v_pack_b32_f16 v42, v41, v42
	v_pack_b32_f16 v43, v43, v52
	ds_write2st64_b64 v1, v[50:51], v[42:43] offset1:1
	v_pk_mul_f32 v[42:43], v[58:59], v[46:47] op_sel_hi:[0,1]
	v_pk_mul_f32 v[46:47], v[58:59], v[48:49] op_sel_hi:[0,1]
	v_cvt_f16_f32_e32 v37, v46
	v_cvt_f16_f32_e32 v41, v47
	;; [unrolled: 1-line block ×4, first 2 shown]
	v_pk_mul_f32 v[38:39], v[58:59], v[38:39] op_sel_hi:[0,1]
	v_pk_mul_f32 v[42:43], v[58:59], v[44:45] op_sel_hi:[0,1]
	v_cvt_f16_f32_e32 v42, v42
	v_cvt_f16_f32_e32 v43, v43
	;; [unrolled: 1-line block ×4, first 2 shown]
	v_pack_b32_f16 v38, v37, v41
	v_pack_b32_f16 v39, v46, v47
	;; [unrolled: 1-line block ×4, first 2 shown]
	v_cmp_gt_u32_e32 vcc, 5, v0
	ds_write2st64_b64 v1, v[38:39], v[42:43] offset0:2 offset1:3
	s_and_saveexec_b64 s[4:5], vcc
	s_cbranch_execz .LBB136_17
; %bb.16:
	s_mov_b32 s43, 0
	v_mov_b32_e32 v37, 0
	v_lshl_add_u64 v[38:39], s[42:43], 0, v[36:37]
	v_mov_b32_e32 v36, s9
	v_mad_u64_u32 v[38:39], s[10:11], s2, v36, v[38:39]
	v_mov_b32_e32 v36, s28
	s_load_dwordx4 s[12:15], s[0:1], 0x58
	s_mul_i32 s3, s3, s9
	v_mad_u64_u32 v[36:37], s[10:11], v38, s8, v[36:37]
	v_add_u32_e32 v39, s3, v39
	v_mov_b32_e32 v38, v37
	v_mad_u64_u32 v[38:39], s[10:11], v39, s8, v[38:39]
	v_mov_b32_e32 v37, v38
	v_lshlrev_b64 v[36:37], 2, v[36:37]
	s_waitcnt lgkmcnt(0)
	v_lshl_add_u64 v[38:39], s[14:15], 0, v[36:37]
	v_lshl_add_u64 v[36:37], s[12:13], 0, v[36:37]
	global_store_dword v[38:39], v55, off
	global_store_dword v[36:37], v56, off
.LBB136_17:
	s_or_b64 exec, exec, s[4:5]
	v_lshl_or_b32 v48, v54, 9, v40
	s_waitcnt lgkmcnt(0)
	s_barrier
	ds_read_b128 v[36:39], v48
	ds_read_b128 v[40:43], v48 offset:16
	s_waitcnt vmcnt(7) lgkmcnt(1)
	v_mfma_f32_16x16x16_f16 v[44:47], v[6:7], v[36:37], 0
	v_cmp_gt_u32_e32 vcc, 64, v0
	s_mov_b32 s3, 0
	s_and_b64 s[4:5], vcc, s[30:31]
	v_mfma_f32_16x16x16_f16 v[6:9], v[8:9], v[38:39], v[44:47]
	s_waitcnt vmcnt(6) lgkmcnt(0)
	v_mfma_f32_16x16x16_f16 v[6:9], v[2:3], v[40:41], v[6:9]
	v_mfma_f32_16x16x16_f16 v[2:5], v[4:5], v[42:43], v[6:9]
	s_nop 5
	ds_read_b128 v[6:9], v48 offset:2048
	ds_read_b128 v[36:39], v48 offset:2064
	s_waitcnt vmcnt(5) lgkmcnt(1)
	v_mfma_f32_16x16x16_f16 v[2:5], v[30:31], v[6:7], v[2:5]
	v_mfma_f32_16x16x16_f16 v[2:5], v[32:33], v[8:9], v[2:5]
	s_waitcnt vmcnt(4) lgkmcnt(0)
	v_mfma_f32_16x16x16_f16 v[2:5], v[26:27], v[36:37], v[2:5]
	v_mfma_f32_16x16x16_f16 v[2:5], v[28:29], v[38:39], v[2:5]
	ds_read_b128 v[6:9], v48 offset:4096
	ds_read_b128 v[26:29], v48 offset:4112
	s_waitcnt vmcnt(3) lgkmcnt(1)
	v_mfma_f32_16x16x16_f16 v[2:5], v[22:23], v[6:7], v[2:5]
	v_mfma_f32_16x16x16_f16 v[2:5], v[24:25], v[8:9], v[2:5]
	s_waitcnt vmcnt(2) lgkmcnt(0)
	v_mfma_f32_16x16x16_f16 v[2:5], v[18:19], v[26:27], v[2:5]
	v_mfma_f32_16x16x16_f16 v[2:5], v[20:21], v[28:29], v[2:5]
	ds_read_b128 v[6:9], v48 offset:6144
	ds_read_b128 v[18:21], v48 offset:6160
	s_waitcnt lgkmcnt(0)
	s_barrier
	s_waitcnt vmcnt(1)
	v_mfma_f32_16x16x16_f16 v[2:5], v[14:15], v[6:7], v[2:5]
	v_mfma_f32_16x16x16_f16 v[2:5], v[16:17], v[8:9], v[2:5]
	s_waitcnt vmcnt(0)
	v_mfma_f32_16x16x16_f16 v[2:5], v[10:11], v[18:19], v[2:5]
	v_mfma_f32_16x16x16_f16 v[2:5], v[12:13], v[20:21], v[2:5]
	s_nop 6
	v_cvt_f16_f32_e32 v2, v2
	v_cvt_f16_f32_e32 v3, v3
	;; [unrolled: 1-line block ×4, first 2 shown]
	v_pack_b32_f16 v2, v2, v3
	v_pack_b32_f16 v3, v4, v5
	ds_write_b64 v1, v[2:3]
	s_waitcnt lgkmcnt(0)
	s_barrier
	s_and_saveexec_b64 s[10:11], s[4:5]
	s_cbranch_execz .LBB136_20
; %bb.18:
	s_load_dwordx2 s[4:5], s[0:1], 0x68
	s_lshl_b32 s0, s8, 6
	s_mul_i32 s1, s9, s2
	s_mul_hi_u32 s9, s1, s0
	s_mul_i32 s8, s1, s0
	v_lshlrev_b32_e32 v1, 10, v0
	v_lshlrev_b32_e32 v0, 4, v0
	s_lshl_b64 s[8:9], s[8:9], 1
	v_and_b32_e32 v1, 0x1800, v1
	v_lshlrev_b32_e32 v2, 5, v54
	v_and_b32_e32 v0, 16, v0
	s_waitcnt lgkmcnt(0)
	s_add_u32 s1, s4, s8
	v_or3_b32 v2, v1, v2, v0
	s_addc_u32 s4, s5, s9
	s_lshl_b32 s2, s28, 6
	s_lshl_b64 s[2:3], s[2:3], 1
	ds_read_b128 v[4:7], v2
	s_add_u32 s2, s1, s2
	s_addc_u32 s3, s4, s3
	v_add_u32_e32 v3, s42, v54
	v_lshl_add_u64 v[0:1], v[34:35], 1, s[2:3]
	v_mad_u64_u32 v[8:9], s[2:3], v3, s0, 0
	v_lshl_add_u64 v[8:9], v[8:9], 1, v[0:1]
	s_waitcnt lgkmcnt(0)
	global_store_dwordx4 v[8:9], v[4:7], off
	s_and_b64 exec, exec, s[6:7]
	s_cbranch_execz .LBB136_20
; %bb.19:
	ds_read_b128 v[2:5], v2 offset:128
	v_add3_u32 v6, s42, v54, 4
	v_mad_u64_u32 v[6:7], s[0:1], v6, s0, 0
	v_lshl_add_u64 v[0:1], v[6:7], 1, v[0:1]
	s_waitcnt lgkmcnt(0)
	global_store_dwordx4 v[0:1], v[2:5], off
.LBB136_20:
	s_endpgm
	.section	.rodata,"a",@progbits
	.p2align	6, 0x0
	.amdhsa_kernel _Z39paged_attention_ll4mi_QKV_mfma16_kernelIDF16_DF16_LN4vllm18Fp8KVCacheDataTypeE0EhLi32ELi64ELi256ELb0ELi5EEvPKT_PKT0_S7_ifPKiS9_S9_iPKfiiiPfSC_PS2_PT2_iSB_SB_
		.amdhsa_group_segment_fixed_size 8192
		.amdhsa_private_segment_fixed_size 0
		.amdhsa_kernarg_size 400
		.amdhsa_user_sgpr_count 2
		.amdhsa_user_sgpr_dispatch_ptr 0
		.amdhsa_user_sgpr_queue_ptr 0
		.amdhsa_user_sgpr_kernarg_segment_ptr 1
		.amdhsa_user_sgpr_dispatch_id 0
		.amdhsa_user_sgpr_kernarg_preload_length 0
		.amdhsa_user_sgpr_kernarg_preload_offset 0
		.amdhsa_user_sgpr_private_segment_size 0
		.amdhsa_uses_dynamic_stack 0
		.amdhsa_enable_private_segment 0
		.amdhsa_system_sgpr_workgroup_id_x 1
		.amdhsa_system_sgpr_workgroup_id_y 1
		.amdhsa_system_sgpr_workgroup_id_z 1
		.amdhsa_system_sgpr_workgroup_info 0
		.amdhsa_system_vgpr_workitem_id 0
		.amdhsa_next_free_vgpr 67
		.amdhsa_next_free_sgpr 48
		.amdhsa_accum_offset 68
		.amdhsa_reserve_vcc 1
		.amdhsa_float_round_mode_32 0
		.amdhsa_float_round_mode_16_64 0
		.amdhsa_float_denorm_mode_32 3
		.amdhsa_float_denorm_mode_16_64 3
		.amdhsa_dx10_clamp 1
		.amdhsa_ieee_mode 1
		.amdhsa_fp16_overflow 0
		.amdhsa_tg_split 0
		.amdhsa_exception_fp_ieee_invalid_op 0
		.amdhsa_exception_fp_denorm_src 0
		.amdhsa_exception_fp_ieee_div_zero 0
		.amdhsa_exception_fp_ieee_overflow 0
		.amdhsa_exception_fp_ieee_underflow 0
		.amdhsa_exception_fp_ieee_inexact 0
		.amdhsa_exception_int_div_zero 0
	.end_amdhsa_kernel
	.section	.text._Z39paged_attention_ll4mi_QKV_mfma16_kernelIDF16_DF16_LN4vllm18Fp8KVCacheDataTypeE0EhLi32ELi64ELi256ELb0ELi5EEvPKT_PKT0_S7_ifPKiS9_S9_iPKfiiiPfSC_PS2_PT2_iSB_SB_,"axG",@progbits,_Z39paged_attention_ll4mi_QKV_mfma16_kernelIDF16_DF16_LN4vllm18Fp8KVCacheDataTypeE0EhLi32ELi64ELi256ELb0ELi5EEvPKT_PKT0_S7_ifPKiS9_S9_iPKfiiiPfSC_PS2_PT2_iSB_SB_,comdat
.Lfunc_end136:
	.size	_Z39paged_attention_ll4mi_QKV_mfma16_kernelIDF16_DF16_LN4vllm18Fp8KVCacheDataTypeE0EhLi32ELi64ELi256ELb0ELi5EEvPKT_PKT0_S7_ifPKiS9_S9_iPKfiiiPfSC_PS2_PT2_iSB_SB_, .Lfunc_end136-_Z39paged_attention_ll4mi_QKV_mfma16_kernelIDF16_DF16_LN4vllm18Fp8KVCacheDataTypeE0EhLi32ELi64ELi256ELb0ELi5EEvPKT_PKT0_S7_ifPKiS9_S9_iPKfiiiPfSC_PS2_PT2_iSB_SB_
                                        ; -- End function
	.section	.AMDGPU.csdata,"",@progbits
; Kernel info:
; codeLenInByte = 3904
; NumSgprs: 54
; NumVgprs: 67
; NumAgprs: 0
; TotalNumVgprs: 67
; ScratchSize: 0
; MemoryBound: 0
; FloatMode: 240
; IeeeMode: 1
; LDSByteSize: 8192 bytes/workgroup (compile time only)
; SGPRBlocks: 6
; VGPRBlocks: 8
; NumSGPRsForWavesPerEU: 54
; NumVGPRsForWavesPerEU: 67
; AccumOffset: 68
; Occupancy: 7
; WaveLimiterHint : 1
; COMPUTE_PGM_RSRC2:SCRATCH_EN: 0
; COMPUTE_PGM_RSRC2:USER_SGPR: 2
; COMPUTE_PGM_RSRC2:TRAP_HANDLER: 0
; COMPUTE_PGM_RSRC2:TGID_X_EN: 1
; COMPUTE_PGM_RSRC2:TGID_Y_EN: 1
; COMPUTE_PGM_RSRC2:TGID_Z_EN: 1
; COMPUTE_PGM_RSRC2:TIDIG_COMP_CNT: 0
; COMPUTE_PGM_RSRC3_GFX90A:ACCUM_OFFSET: 16
; COMPUTE_PGM_RSRC3_GFX90A:TG_SPLIT: 0
	.section	.text._Z39paged_attention_ll4mi_QKV_mfma16_kernelIDF16_DF16_LN4vllm18Fp8KVCacheDataTypeE0EhLi32ELi64ELi256ELb0ELi6EEvPKT_PKT0_S7_ifPKiS9_S9_iPKfiiiPfSC_PS2_PT2_iSB_SB_,"axG",@progbits,_Z39paged_attention_ll4mi_QKV_mfma16_kernelIDF16_DF16_LN4vllm18Fp8KVCacheDataTypeE0EhLi32ELi64ELi256ELb0ELi6EEvPKT_PKT0_S7_ifPKiS9_S9_iPKfiiiPfSC_PS2_PT2_iSB_SB_,comdat
	.protected	_Z39paged_attention_ll4mi_QKV_mfma16_kernelIDF16_DF16_LN4vllm18Fp8KVCacheDataTypeE0EhLi32ELi64ELi256ELb0ELi6EEvPKT_PKT0_S7_ifPKiS9_S9_iPKfiiiPfSC_PS2_PT2_iSB_SB_ ; -- Begin function _Z39paged_attention_ll4mi_QKV_mfma16_kernelIDF16_DF16_LN4vllm18Fp8KVCacheDataTypeE0EhLi32ELi64ELi256ELb0ELi6EEvPKT_PKT0_S7_ifPKiS9_S9_iPKfiiiPfSC_PS2_PT2_iSB_SB_
	.globl	_Z39paged_attention_ll4mi_QKV_mfma16_kernelIDF16_DF16_LN4vllm18Fp8KVCacheDataTypeE0EhLi32ELi64ELi256ELb0ELi6EEvPKT_PKT0_S7_ifPKiS9_S9_iPKfiiiPfSC_PS2_PT2_iSB_SB_
	.p2align	8
	.type	_Z39paged_attention_ll4mi_QKV_mfma16_kernelIDF16_DF16_LN4vllm18Fp8KVCacheDataTypeE0EhLi32ELi64ELi256ELb0ELi6EEvPKT_PKT0_S7_ifPKiS9_S9_iPKfiiiPfSC_PS2_PT2_iSB_SB_,@function
_Z39paged_attention_ll4mi_QKV_mfma16_kernelIDF16_DF16_LN4vllm18Fp8KVCacheDataTypeE0EhLi32ELi64ELi256ELb0ELi6EEvPKT_PKT0_S7_ifPKiS9_S9_iPKfiiiPfSC_PS2_PT2_iSB_SB_: ; @_Z39paged_attention_ll4mi_QKV_mfma16_kernelIDF16_DF16_LN4vllm18Fp8KVCacheDataTypeE0EhLi32ELi64ELi256ELb0ELi6EEvPKT_PKT0_S7_ifPKiS9_S9_iPKfiiiPfSC_PS2_PT2_iSB_SB_
; %bb.0:
	s_load_dwordx2 s[6:7], s[0:1], 0x30
	s_mov_b32 s28, s3
	s_mov_b64 s[10:11], 0
	s_waitcnt lgkmcnt(0)
	s_cmp_lg_u64 s[6:7], 0
	s_cselect_b64 s[8:9], -1, 0
	s_and_b64 vcc, exec, s[8:9]
	s_cbranch_vccz .LBB137_7
; %bb.1:
	s_add_i32 s12, s2, 1
	s_mov_b32 s13, 0
	s_lshl_b64 s[14:15], s[12:13], 2
	s_add_u32 s14, s6, s14
	s_mov_b32 s3, s13
	s_addc_u32 s15, s7, s15
	s_lshl_b64 s[12:13], s[2:3], 2
	s_add_u32 s12, s6, s12
	s_addc_u32 s13, s7, s13
	s_load_dword s5, s[14:15], 0x0
	s_load_dword s16, s[12:13], 0x0
	s_waitcnt lgkmcnt(0)
	s_sub_i32 s5, s5, s16
	s_cmp_eq_u32 s5, 1
	s_cselect_b64 s[12:13], -1, 0
	s_andn2_b64 vcc, exec, s[10:11]
	s_cbranch_vccnz .LBB137_3
.LBB137_2:
	s_mov_b32 s3, 0
	s_mov_b64 s[12:13], -1
.LBB137_3:
	s_andn2_b64 vcc, exec, s[12:13]
	s_cbranch_vccnz .LBB137_20
; %bb.4:
	s_load_dwordx2 s[12:13], s[0:1], 0x28
	s_lshl_b64 s[10:11], s[2:3], 2
	s_waitcnt lgkmcnt(0)
	s_add_u32 s12, s12, s10
	s_addc_u32 s13, s13, s11
	s_load_dword s33, s[12:13], 0x0
	s_lshl_b32 s14, s28, 8
	s_waitcnt lgkmcnt(0)
	s_cmp_ge_i32 s14, s33
	s_cbranch_scc1 .LBB137_20
; %bb.5:
	s_load_dwordx2 s[12:13], s[0:1], 0x20
	s_load_dword s5, s[0:1], 0x38
	s_add_i32 s15, s33, 31
	s_ashr_i32 s16, s15, 31
	v_and_b32_e32 v1, 0xcf, v0
	s_lshr_b32 s16, s16, 27
	v_add_u32_e32 v1, s14, v1
	s_add_i32 s15, s15, s16
	v_ashrrev_i32_e32 v2, 31, v1
	s_ashr_i32 s15, s15, 5
	v_lshrrev_b32_e32 v10, 27, v2
	s_add_i32 s15, s15, -1
	s_waitcnt lgkmcnt(0)
	s_mul_i32 s16, s2, s5
	s_mov_b32 s17, 0
	v_add_u32_e32 v2, v1, v10
	s_lshl_b64 s[16:17], s[16:17], 2
	v_ashrrev_i32_e32 v2, 5, v2
	v_mov_b32_e32 v11, s15
	v_cmp_gt_i32_e32 vcc, s33, v1
	s_add_u32 s12, s12, s16
	s_addc_u32 s13, s13, s17
	v_cndmask_b32_e32 v2, v11, v2, vcc
	v_ashrrev_i32_e32 v3, 31, v2
	v_lshl_add_u64 v[4:5], v[2:3], 2, s[12:13]
	v_or_b32_e32 v2, 16, v1
	v_add_u32_e32 v3, v2, v10
	v_ashrrev_i32_e32 v3, 5, v3
	v_cmp_gt_i32_e32 vcc, s33, v2
	s_nop 1
	v_cndmask_b32_e32 v2, v11, v3, vcc
	v_ashrrev_i32_e32 v3, 31, v2
	v_lshl_add_u64 v[6:7], v[2:3], 2, s[12:13]
	v_or_b32_e32 v2, 32, v1
	v_add_u32_e32 v3, v2, v10
	v_ashrrev_i32_e32 v3, 5, v3
	v_cmp_gt_i32_e32 vcc, s33, v2
	v_or_b32_e32 v1, 48, v1
	s_nop 0
	v_cndmask_b32_e32 v2, v11, v3, vcc
	v_ashrrev_i32_e32 v3, 31, v2
	v_lshl_add_u64 v[8:9], v[2:3], 2, s[12:13]
	v_add_u32_e32 v2, v1, v10
	v_ashrrev_i32_e32 v2, 5, v2
	v_cmp_gt_i32_e32 vcc, s33, v1
	s_nop 1
	v_cndmask_b32_e32 v2, v11, v2, vcc
	v_ashrrev_i32_e32 v3, 31, v2
	v_lshl_add_u64 v[12:13], v[2:3], 2, s[12:13]
	global_load_dword v3, v[4:5], off
	global_load_dword v2, v[6:7], off
	;; [unrolled: 1-line block ×4, first 2 shown]
	s_andn2_b64 vcc, exec, s[8:9]
	s_cbranch_vccnz .LBB137_8
; %bb.6:
	s_add_u32 s6, s6, s10
	s_addc_u32 s7, s7, s11
	s_load_dword s5, s[6:7], 0x0
	s_branch .LBB137_9
.LBB137_7:
	s_mov_b64 s[12:13], 0
	s_branch .LBB137_2
.LBB137_8:
	s_mov_b32 s5, s2
.LBB137_9:
	s_load_dwordx4 s[8:11], s[0:1], 0x8
	s_load_dwordx4 s[44:47], s[0:1], 0x48
	v_lshrrev_b32_e32 v1, 6, v0
	v_bfe_u32 v54, v0, 4, 2
	v_lshl_or_b32 v4, v1, 2, v54
	v_and_b32_e32 v36, 15, v0
	v_cmp_lt_u32_e32 vcc, 5, v4
	v_cmp_lt_u32_e64 s[6:7], 7, v36
	v_lshlrev_b32_e32 v34, 3, v36
	v_cmp_gt_u32_e64 s[30:31], 8, v36
	s_or_b64 s[6:7], s[6:7], vcc
	s_and_saveexec_b64 s[16:17], s[6:7]
	s_xor_b64 s[6:7], exec, s[16:17]
; %bb.10:
	v_mov_b32_e32 v35, 0
                                        ; implicit-def: $vgpr4
; %bb.11:
	s_or_saveexec_b64 s[6:7], s[6:7]
	v_and_b32_e32 v37, 63, v0
	s_mul_i32 s42, s4, 6
	s_xor_b64 exec, exec, s[6:7]
	s_cbranch_execz .LBB137_13
; %bb.12:
	s_load_dwordx2 s[16:17], s[0:1], 0x0
	s_waitcnt lgkmcnt(0)
	s_ashr_i32 s18, s44, 31
	s_mul_hi_u32 s19, s5, s44
	s_mul_i32 s18, s5, s18
	s_add_i32 s19, s19, s18
	s_mul_i32 s18, s5, s44
	s_lshl_b64 s[18:19], s[18:19], 1
	s_add_u32 s16, s16, s18
	v_add_lshl_u32 v6, v4, s42, 6
	s_addc_u32 s17, s17, s19
	v_ashrrev_i32_e32 v7, 31, v6
	v_mov_b32_e32 v35, 0
	v_lshl_add_u64 v[6:7], v[6:7], 1, s[16:17]
	v_lshlrev_b32_e32 v8, 1, v34
	v_mov_b32_e32 v9, v35
	v_lshl_add_u64 v[6:7], v[6:7], 0, v[8:9]
	global_load_dwordx4 v[6:9], v[6:7], off
	v_and_b32_e32 v5, 3, v0
	v_lshlrev_b32_e32 v11, 9, v36
	v_lshlrev_b32_e32 v4, 5, v4
	;; [unrolled: 1-line block ×3, first 2 shown]
	v_and_b32_e32 v11, 0x1800, v11
	v_or3_b32 v4, v11, v5, v4
	s_waitcnt vmcnt(0)
	ds_write_b128 v4, v[6:9]
.LBB137_13:
	s_or_b64 exec, exec, s[6:7]
	s_waitcnt lgkmcnt(0)
	s_mul_i32 s4, s4, s46
	s_mov_b32 s5, 0
	s_lshl_b64 s[4:5], s[4:5], 1
	s_add_u32 s8, s8, s4
	s_addc_u32 s9, s9, s5
	s_waitcnt vmcnt(3)
	v_mad_i64_i32 v[4:5], s[16:17], v3, s45, 0
	v_lshl_add_u64 v[4:5], v[4:5], 1, s[8:9]
	v_lshlrev_b64 v[12:13], 1, v[34:35]
	v_lshlrev_b32_e32 v38, 9, v54
	v_lshl_add_u64 v[4:5], v[4:5], 0, v[12:13]
	v_mov_b32_e32 v39, 0
	v_lshl_add_u64 v[14:15], v[4:5], 0, v[38:39]
	s_waitcnt vmcnt(2)
	v_mad_i64_i32 v[2:3], s[16:17], v2, s45, 0
	v_mov_b32_e32 v4, 0x100
	v_lshl_add_u64 v[2:3], v[2:3], 1, s[8:9]
	v_lshl_or_b32 v30, v36, 4, v4
	v_mov_b32_e32 v31, v39
	s_load_dword s29, s[0:1], 0x98
	s_load_dword s6, s[0:1], 0x1c
	s_waitcnt lgkmcnt(0)
	s_barrier
	v_lshl_add_u64 v[2:3], v[2:3], 0, v[30:31]
	global_load_dwordx4 v[6:9], v[14:15], off
	global_load_dwordx4 v[22:25], v[14:15], off offset:2048
	v_lshl_add_u64 v[18:19], v[2:3], 0, v[38:39]
	global_load_dwordx4 v[2:5], v[18:19], off
	global_load_dwordx4 v[26:29], v[18:19], off offset:2048
	s_waitcnt vmcnt(5)
	v_mad_i64_i32 v[10:11], s[16:17], v10, s45, 0
	v_lshl_add_u64 v[10:11], v[10:11], 1, s[8:9]
	v_lshl_add_u64 v[10:11], v[10:11], 0, v[12:13]
	;; [unrolled: 1-line block ×3, first 2 shown]
	global_load_dwordx4 v[10:13], v[32:33], off
	v_mul_lo_u16_e32 v20, 43, v36
	v_mov_b32_e32 v21, 6
	s_waitcnt vmcnt(5)
	v_mad_i64_i32 v[16:17], s[16:17], v16, s45, 0
	v_mul_lo_u16_sdwa v14, v20, v21 dst_sel:DWORD dst_unused:UNUSED_PAD src0_sel:BYTE_1 src1_sel:DWORD
	v_sub_u16_e32 v14, v36, v14
	v_lshl_add_u64 v[40:41], v[16:17], 1, s[8:9]
	v_and_b32_e32 v14, 0xff, v14
	v_lshl_add_u64 v[30:31], v[40:41], 0, v[30:31]
	v_lshl_add_u32 v14, v14, 5, v38
	v_lshl_add_u64 v[40:41], v[30:31], 0, v[38:39]
	ds_read_b128 v[18:21], v14
	ds_read_b128 v[14:17], v14 offset:2048
	global_load_dwordx4 v[30:33], v[32:33], off offset:2048
	s_ashr_i32 s7, s14, 31
	global_load_dwordx4 v[46:49], v[40:41], off
	global_load_dwordx4 v[60:63], v[40:41], off offset:2048
	v_and_or_b32 v55, v0, 48, s14
	s_lshr_b32 s7, s7, 27
	v_add_u32_e32 v42, s7, v55
	v_mov_b32_e32 v64, s15
	v_or_b32_e32 v50, 64, v55
	v_ashrrev_i32_e32 v38, 5, v42
	v_cmp_gt_i32_e32 vcc, s33, v55
	v_add_u32_e32 v43, s7, v50
	v_ashrrev_i32_e32 v51, 5, v43
	v_cndmask_b32_e32 v42, v64, v38, vcc
	v_ashrrev_i32_e32 v43, 31, v42
	v_lshl_add_u64 v[42:43], v[42:43], 2, s[12:13]
	v_cmp_gt_i32_e32 vcc, s33, v50
	global_load_dword v65, v[42:43], off
	v_or_b32_e32 v40, 0x80, v55
	v_and_b32_e32 v38, 16, v0
	s_add_u32 s4, s10, s4
	v_lshlrev_b32_e32 v41, 6, v36
	s_addc_u32 s5, s11, s5
	v_lshlrev_b32_e32 v38, 1, v38
	s_mov_b32 s43, 0xff7fffff
	s_waitcnt vmcnt(8) lgkmcnt(1)
	v_mfma_f32_16x16x16_f16 v[42:45], v[6:7], v[18:19], 0
	v_cndmask_b32_e32 v6, v64, v51, vcc
	v_ashrrev_i32_e32 v7, 31, v6
	v_cmp_gt_i32_e32 vcc, s33, v40
	s_waitcnt vmcnt(6)
	v_mfma_f32_16x16x16_f16 v[50:53], v[2:3], v[18:19], 0
	v_lshl_add_u64 v[2:3], v[6:7], 2, s[12:13]
	global_load_dword v66, v[2:3], off
	v_mfma_f32_16x16x16_f16 v[6:9], v[8:9], v[20:21], v[42:45]
	v_mfma_f32_16x16x16_f16 v[2:5], v[4:5], v[20:21], v[50:53]
	s_nop 1
	v_or_b32_e32 v42, 0xc0, v55
	v_add_u32_e32 v43, s7, v40
	v_add_u32_e32 v44, s7, v42
	s_waitcnt lgkmcnt(0)
	v_mfma_f32_16x16x16_f16 v[6:9], v[22:23], v[14:15], v[6:9]
	v_ashrrev_i32_e32 v43, 5, v43
	v_ashrrev_i32_e32 v44, 5, v44
	v_cndmask_b32_e32 v40, v64, v43, vcc
	s_waitcnt vmcnt(5)
	v_mfma_f32_16x16x16_f16 v[56:59], v[10:11], v[18:19], 0
	v_cmp_gt_i32_e32 vcc, s33, v42
	v_mfma_f32_16x16x16_f16 v[2:5], v[26:27], v[14:15], v[2:5]
	s_nop 0
	v_cndmask_b32_e32 v42, v64, v44, vcc
	v_lshl_add_u64 v[44:45], s[4:5], 0, v[38:39]
	v_lshl_or_b32 v38, v1, 10, v41
	v_ashrrev_i32_e32 v41, 31, v40
	v_mfma_f32_16x16x16_f16 v[22:25], v[24:25], v[16:17], v[6:9]
	v_ashrrev_i32_e32 v43, 31, v42
	s_nop 1
	v_lshl_add_u64 v[6:7], v[40:41], 2, s[12:13]
	v_mfma_f32_16x16x16_f16 v[10:13], v[12:13], v[20:21], v[56:59]
	s_nop 1
	v_pk_mul_f32 v[50:51], s[6:7], v[24:25] op_sel_hi:[0,1]
	v_mfma_f32_16x16x16_f16 v[26:29], v[28:29], v[16:17], v[2:5]
	s_nop 2
	v_lshl_add_u64 v[2:3], v[42:43], 2, s[12:13]
	global_load_dword v55, v[6:7], off
	global_load_dword v58, v[2:3], off
	s_waitcnt vmcnt(6)
	v_mfma_f32_16x16x16_f16 v[2:5], v[30:31], v[14:15], v[10:13]
	s_waitcnt vmcnt(3)
	v_mad_i64_i32 v[6:7], s[4:5], v65, s45, 0
	v_pk_mul_f32 v[42:43], s[6:7], v[26:27] op_sel_hi:[0,1]
	v_lshl_add_u64 v[10:11], v[44:45], 0, v[38:39]
	v_mfma_f32_16x16x16_f16 v[38:41], v[46:47], v[18:19], 0
	v_pk_mul_f32 v[52:53], s[6:7], v[28:29] op_sel_hi:[0,1]
	s_waitcnt vmcnt(2)
	v_mad_i64_i32 v[12:13], s[4:5], v66, s45, 0
	v_mfma_f32_16x16x16_f16 v[18:21], v[48:49], v[20:21], v[38:41]
	v_lshl_add_u64 v[56:57], v[12:13], 1, v[10:11]
	v_pk_mul_f32 v[12:13], s[6:7], v[22:23] op_sel_hi:[0,1]
	v_mfma_f32_16x16x16_f16 v[18:21], v[60:61], v[14:15], v[18:21]
	v_mfma_f32_16x16x16_f16 v[30:33], v[32:33], v[16:17], v[2:5]
	;; [unrolled: 1-line block ×3, first 2 shown]
	s_nop 1
	v_lshl_add_u64 v[2:3], v[6:7], 1, v[10:11]
	s_nop 2
	v_pk_mul_f32 v[48:49], s[6:7], v[30:31] op_sel_hi:[0,1]
	v_pk_mul_f32 v[46:47], s[6:7], v[32:33] op_sel_hi:[0,1]
	global_load_dwordx4 v[6:9], v[2:3], off
	s_nop 0
	global_load_dwordx4 v[2:5], v[2:3], off offset:16
	v_pk_mul_f32 v[44:45], s[6:7], v[14:15] op_sel_hi:[0,1]
	v_and_b32_e32 v14, 0xc0, v0
	v_add_u32_e32 v14, s14, v14
	v_lshl_or_b32 v14, v54, 2, v14
	v_pk_mul_f32 v[38:39], s[6:7], v[16:17] op_sel_hi:[0,1]
	v_or_b32_e32 v17, 1, v14
	v_mov_b32_e32 v15, 0xff7fffff
	v_cmp_gt_i32_e64 s[4:5], s33, v14
	v_cmp_gt_i32_e64 s[34:35], s33, v17
	v_or_b32_e32 v18, 3, v14
	v_cndmask_b32_e64 v16, v15, v12, s[4:5]
	v_cndmask_b32_e64 v17, v15, v13, s[34:35]
	v_max3_f32 v16, v16, s43, v17
	v_or_b32_e32 v17, 2, v14
	v_cmp_gt_i32_e64 s[36:37], s33, v17
	v_cmp_gt_i32_e64 s[38:39], s33, v18
	global_load_dwordx4 v[30:33], v[56:57], off
	global_load_dwordx4 v[26:29], v[56:57], off offset:16
	v_cndmask_b32_e64 v17, v15, v50, s[36:37]
	v_cndmask_b32_e64 v18, v15, v51, s[38:39]
	v_max3_f32 v16, v16, v17, v18
	v_or_b32_e32 v17, 16, v14
	v_or_b32_e32 v18, 17, v14
	v_cmp_gt_i32_e64 s[24:25], s33, v17
	v_cmp_gt_i32_e64 s[26:27], s33, v18
	s_nop 0
	v_cndmask_b32_e64 v17, v15, v42, s[24:25]
	v_cndmask_b32_e64 v18, v15, v43, s[26:27]
	v_max3_f32 v16, v16, v17, v18
	v_or_b32_e32 v17, 18, v14
	v_or_b32_e32 v18, 19, v14
	v_cmp_gt_i32_e64 s[20:21], s33, v17
	v_cmp_gt_i32_e64 s[22:23], s33, v18
	s_nop 0
	;; [unrolled: 8-line block ×5, first 2 shown]
	v_cndmask_b32_e64 v17, v15, v44, s[8:9]
	v_cndmask_b32_e64 v18, v15, v45, s[10:11]
	v_max3_f32 v16, v16, v17, v18
	v_or_b32_e32 v17, 50, v14
	v_or_b32_e32 v14, 51, v14
	v_cmp_gt_i32_e32 vcc, s33, v17
	v_cmp_gt_i32_e64 s[6:7], s33, v14
	s_nop 0
	v_cndmask_b32_e32 v17, v15, v38, vcc
	v_cndmask_b32_e64 v14, v15, v39, s[6:7]
	v_max3_f32 v16, v16, v17, v14
	v_mbcnt_lo_u32_b32 v14, -1, 0
	v_mbcnt_hi_u32_b32 v17, -1, v14
	v_and_b32_e32 v14, 64, v17
	v_add_u32_e32 v18, 64, v14
	v_xor_b32_e32 v14, 32, v17
	v_cmp_lt_i32_e64 s[40:41], v14, v18
	s_nop 1
	v_cndmask_b32_e64 v14, v17, v14, s[40:41]
	v_lshlrev_b32_e32 v59, 2, v14
	ds_bpermute_b32 v19, v59, v16
	s_waitcnt vmcnt(5)
	v_mad_i64_i32 v[14:15], s[40:41], v55, s45, 0
	v_lshl_add_u64 v[14:15], v[14:15], 1, v[10:11]
	s_waitcnt lgkmcnt(0)
	v_max_f32_e32 v19, v19, v19
	v_max_f32_e32 v16, v16, v19
	v_xor_b32_e32 v19, 16, v17
	v_cmp_lt_i32_e64 s[40:41], v19, v18
	s_nop 1
	v_cndmask_b32_e64 v17, v17, v19, s[40:41]
	v_lshlrev_b32_e32 v57, 2, v17
	ds_bpermute_b32 v17, v57, v16
	global_load_dwordx4 v[22:25], v[14:15], off
	global_load_dwordx4 v[18:21], v[14:15], off offset:16
	s_waitcnt vmcnt(6)
	v_mad_i64_i32 v[14:15], s[40:41], v58, s45, 0
	v_lshl_add_u64 v[10:11], v[14:15], 1, v[10:11]
	s_waitcnt lgkmcnt(0)
	v_max_f32_e32 v14, v17, v17
	v_max_f32_e32 v55, v16, v14
	v_sub_f32_e32 v12, v12, v55
	v_mul_f32_e32 v12, 0x3fb8aa3b, v12
	v_exp_f32_e32 v40, v12
	v_sub_f32_e32 v12, v13, v55
	v_mul_f32_e32 v12, 0x3fb8aa3b, v12
	v_exp_f32_e32 v41, v12
	global_load_dwordx4 v[14:17], v[10:11], off
	s_nop 0
	global_load_dwordx4 v[10:13], v[10:11], off offset:16
	v_sub_f32_e32 v50, v50, v55
	v_mul_f32_e32 v50, 0x3fb8aa3b, v50
	v_sub_f32_e32 v51, v51, v55
	v_exp_f32_e32 v50, v50
	v_mul_f32_e32 v51, 0x3fb8aa3b, v51
	v_sub_f32_e32 v42, v42, v55
	v_exp_f32_e32 v51, v51
	v_mul_f32_e32 v42, 0x3fb8aa3b, v42
	v_sub_f32_e32 v43, v43, v55
	v_cndmask_b32_e64 v40, 0, v40, s[4:5]
	v_exp_f32_e32 v42, v42
	v_mul_f32_e32 v43, 0x3fb8aa3b, v43
	v_sub_f32_e32 v52, v52, v55
	v_add_f32_e32 v56, 0, v40
	v_cndmask_b32_e64 v41, 0, v41, s[34:35]
	v_exp_f32_e32 v43, v43
	v_mul_f32_e32 v52, 0x3fb8aa3b, v52
	v_sub_f32_e32 v53, v53, v55
	v_add_f32_e32 v56, v56, v41
	;; [unrolled: 5-line block ×10, first 2 shown]
	v_cndmask_b32_e64 v46, 0, v46, s[12:13]
	v_exp_f32_e32 v38, v38
	v_mul_f32_e32 v39, 0x3fb8aa3b, v39
	v_add_f32_e32 v56, v56, v46
	v_cndmask_b32_e64 v47, 0, v47, s[14:15]
	v_exp_f32_e32 v39, v39
	v_add_f32_e32 v56, v56, v47
	v_cndmask_b32_e64 v44, 0, v44, s[8:9]
	v_add_f32_e32 v56, v56, v44
	v_cndmask_b32_e64 v45, 0, v45, s[10:11]
	v_add_f32_e32 v56, v56, v45
	v_cndmask_b32_e32 v38, 0, v38, vcc
	v_add_f32_e32 v56, v56, v38
	v_cndmask_b32_e64 v39, 0, v39, s[6:7]
	v_add_f32_e32 v56, v56, v39
	ds_bpermute_b32 v58, v59, v56
	v_cmp_gt_u32_e32 vcc, 16, v37
	v_lshlrev_b32_e32 v37, 2, v36
	s_waitcnt lgkmcnt(0)
	s_barrier
	v_add_f32_e32 v56, v56, v58
	ds_bpermute_b32 v57, v57, v56
	s_waitcnt lgkmcnt(0)
	s_and_saveexec_b64 s[4:5], vcc
	s_cbranch_execz .LBB137_15
; %bb.14:
	v_add_f32_e32 v56, v56, v57
	v_lshl_or_b32 v57, v1, 6, v37
	ds_write2st64_b32 v57, v55, v56 offset1:1
.LBB137_15:
	s_or_b64 exec, exec, s[4:5]
	s_load_dword s6, s[0:1], 0x94
	s_waitcnt lgkmcnt(0)
	s_barrier
	ds_read2_b32 v[56:57], v37 offset1:16
	ds_read2_b32 v[58:59], v37 offset0:32 offset1:48
	ds_read2_b32 v[60:61], v37 offset0:64 offset1:80
	;; [unrolled: 1-line block ×3, first 2 shown]
	s_waitcnt lgkmcnt(0)
	v_max3_f32 v55, v56, s43, v57
	v_max3_f32 v55, v55, v58, v59
	v_sub_f32_e32 v56, v56, v55
	v_mul_f32_e32 v56, 0x3fb8aa3b, v56
	v_exp_f32_e32 v64, v56
	v_sub_f32_e32 v56, v57, v55
	v_mul_f32_e32 v56, 0x3fb8aa3b, v56
	v_exp_f32_e32 v57, v56
	v_sub_f32_e32 v56, v58, v55
	v_mul_f32_e32 v56, 0x3fb8aa3b, v56
	v_sub_f32_e32 v37, v59, v55
	v_exp_f32_e32 v58, v56
	v_mul_f32_e32 v37, 0x3fb8aa3b, v37
	v_exp_f32_e32 v37, v37
	v_fma_f32 v56, v64, v60, 0
	v_fmac_f32_e32 v56, v57, v61
	v_fmac_f32_e32 v56, v58, v62
	;; [unrolled: 1-line block ×3, first 2 shown]
	v_add_f32_e32 v59, 0x358637bd, v56
	v_div_scale_f32 v60, s[4:5], v59, v59, 1.0
	v_rcp_f32_e32 v61, v60
	s_barrier
	s_mul_i32 s7, s29, 6
	v_fma_f32 v62, -v60, v61, 1.0
	v_fmac_f32_e32 v61, v62, v61
	v_div_scale_f32 v62, vcc, 1.0, v59, 1.0
	v_mul_f32_e32 v63, v62, v61
	v_fma_f32 v65, -v60, v63, v62
	v_fmac_f32_e32 v63, v65, v61
	v_fma_f32 v60, -v60, v63, v62
	v_div_fmas_f32 v60, v60, v61, v63
	v_cmp_eq_u32_e32 vcc, 1, v1
	v_div_fixup_f32 v59, v60, v59, 1.0
	s_nop 0
	v_cndmask_b32_e32 v57, v64, v57, vcc
	v_cmp_eq_u32_e32 vcc, 2, v1
	s_nop 1
	v_cndmask_b32_e32 v57, v57, v58, vcc
	v_cmp_eq_u32_e32 vcc, 3, v1
	v_lshlrev_b32_e32 v1, 11, v1
	s_nop 0
	v_cndmask_b32_e32 v37, v57, v37, vcc
	v_mul_f32_e32 v58, v37, v59
	v_pk_mul_f32 v[50:51], v[58:59], v[50:51] op_sel_hi:[0,1]
	v_pk_mul_f32 v[40:41], v[58:59], v[40:41] op_sel_hi:[0,1]
	v_cvt_f16_f32_e32 v37, v40
	v_cvt_f16_f32_e32 v40, v41
	;; [unrolled: 1-line block ×4, first 2 shown]
	v_pk_mul_f32 v[52:53], v[58:59], v[52:53] op_sel_hi:[0,1]
	v_pk_mul_f32 v[42:43], v[58:59], v[42:43] op_sel_hi:[0,1]
	v_pack_b32_f16 v50, v37, v40
	v_pack_b32_f16 v51, v41, v51
	v_cvt_f16_f32_e32 v41, v42
	v_cvt_f16_f32_e32 v42, v43
	;; [unrolled: 1-line block ×4, first 2 shown]
	v_lshlrev_b32_e32 v37, 3, v54
	v_lshlrev_b32_e32 v40, 5, v36
	v_or3_b32 v1, v1, v40, v37
	v_pack_b32_f16 v42, v41, v42
	v_pack_b32_f16 v43, v43, v52
	ds_write2st64_b64 v1, v[50:51], v[42:43] offset1:1
	v_pk_mul_f32 v[42:43], v[58:59], v[46:47] op_sel_hi:[0,1]
	v_pk_mul_f32 v[46:47], v[58:59], v[48:49] op_sel_hi:[0,1]
	v_cvt_f16_f32_e32 v37, v46
	v_cvt_f16_f32_e32 v41, v47
	;; [unrolled: 1-line block ×4, first 2 shown]
	v_pk_mul_f32 v[38:39], v[58:59], v[38:39] op_sel_hi:[0,1]
	v_pk_mul_f32 v[42:43], v[58:59], v[44:45] op_sel_hi:[0,1]
	v_cvt_f16_f32_e32 v42, v42
	v_cvt_f16_f32_e32 v43, v43
	;; [unrolled: 1-line block ×4, first 2 shown]
	v_pack_b32_f16 v38, v37, v41
	v_pack_b32_f16 v39, v46, v47
	;; [unrolled: 1-line block ×4, first 2 shown]
	v_cmp_gt_u32_e32 vcc, 6, v0
	ds_write2st64_b64 v1, v[38:39], v[42:43] offset0:2 offset1:3
	s_and_saveexec_b64 s[4:5], vcc
	s_cbranch_execz .LBB137_17
; %bb.16:
	s_mov_b32 s43, 0
	v_mov_b32_e32 v37, 0
	v_lshl_add_u64 v[38:39], s[42:43], 0, v[36:37]
	v_mov_b32_e32 v36, s7
	v_mad_u64_u32 v[38:39], s[12:13], s2, v36, v[38:39]
	v_mov_b32_e32 v36, s28
	s_load_dwordx4 s[8:11], s[0:1], 0x58
	s_mul_i32 s3, s3, s7
	v_mad_u64_u32 v[36:37], s[12:13], v38, s6, v[36:37]
	v_add_u32_e32 v39, s3, v39
	v_mov_b32_e32 v38, v37
	v_mad_u64_u32 v[38:39], s[12:13], v39, s6, v[38:39]
	v_mov_b32_e32 v37, v38
	v_lshlrev_b64 v[36:37], 2, v[36:37]
	s_waitcnt lgkmcnt(0)
	v_lshl_add_u64 v[38:39], s[10:11], 0, v[36:37]
	v_lshl_add_u64 v[36:37], s[8:9], 0, v[36:37]
	global_store_dword v[38:39], v55, off
	global_store_dword v[36:37], v56, off
.LBB137_17:
	s_or_b64 exec, exec, s[4:5]
	v_lshl_or_b32 v48, v54, 9, v40
	s_waitcnt lgkmcnt(0)
	s_barrier
	ds_read_b128 v[36:39], v48
	ds_read_b128 v[40:43], v48 offset:16
	s_waitcnt vmcnt(7) lgkmcnt(1)
	v_mfma_f32_16x16x16_f16 v[44:47], v[6:7], v[36:37], 0
	v_cmp_gt_u32_e32 vcc, 64, v0
	s_mov_b32 s3, 0
	s_and_b64 s[4:5], vcc, s[30:31]
	v_mfma_f32_16x16x16_f16 v[6:9], v[8:9], v[38:39], v[44:47]
	s_waitcnt vmcnt(6) lgkmcnt(0)
	v_mfma_f32_16x16x16_f16 v[6:9], v[2:3], v[40:41], v[6:9]
	v_mfma_f32_16x16x16_f16 v[2:5], v[4:5], v[42:43], v[6:9]
	s_nop 5
	ds_read_b128 v[6:9], v48 offset:2048
	ds_read_b128 v[36:39], v48 offset:2064
	s_waitcnt vmcnt(5) lgkmcnt(1)
	v_mfma_f32_16x16x16_f16 v[2:5], v[30:31], v[6:7], v[2:5]
	v_mfma_f32_16x16x16_f16 v[2:5], v[32:33], v[8:9], v[2:5]
	s_waitcnt vmcnt(4) lgkmcnt(0)
	v_mfma_f32_16x16x16_f16 v[2:5], v[26:27], v[36:37], v[2:5]
	v_mfma_f32_16x16x16_f16 v[2:5], v[28:29], v[38:39], v[2:5]
	ds_read_b128 v[6:9], v48 offset:4096
	ds_read_b128 v[26:29], v48 offset:4112
	s_waitcnt vmcnt(3) lgkmcnt(1)
	v_mfma_f32_16x16x16_f16 v[2:5], v[22:23], v[6:7], v[2:5]
	v_mfma_f32_16x16x16_f16 v[2:5], v[24:25], v[8:9], v[2:5]
	s_waitcnt vmcnt(2) lgkmcnt(0)
	v_mfma_f32_16x16x16_f16 v[2:5], v[18:19], v[26:27], v[2:5]
	v_mfma_f32_16x16x16_f16 v[2:5], v[20:21], v[28:29], v[2:5]
	ds_read_b128 v[6:9], v48 offset:6144
	ds_read_b128 v[18:21], v48 offset:6160
	s_waitcnt lgkmcnt(0)
	s_barrier
	s_waitcnt vmcnt(1)
	v_mfma_f32_16x16x16_f16 v[2:5], v[14:15], v[6:7], v[2:5]
	v_mfma_f32_16x16x16_f16 v[2:5], v[16:17], v[8:9], v[2:5]
	s_waitcnt vmcnt(0)
	v_mfma_f32_16x16x16_f16 v[2:5], v[10:11], v[18:19], v[2:5]
	v_mfma_f32_16x16x16_f16 v[2:5], v[12:13], v[20:21], v[2:5]
	s_nop 6
	v_cvt_f16_f32_e32 v2, v2
	v_cvt_f16_f32_e32 v3, v3
	;; [unrolled: 1-line block ×4, first 2 shown]
	v_pack_b32_f16 v2, v2, v3
	v_pack_b32_f16 v3, v4, v5
	ds_write_b64 v1, v[2:3]
	s_waitcnt lgkmcnt(0)
	s_barrier
	s_and_saveexec_b64 s[8:9], s[4:5]
	s_cbranch_execz .LBB137_20
; %bb.18:
	s_load_dwordx2 s[4:5], s[0:1], 0x68
	s_lshl_b32 s0, s6, 6
	s_mul_i32 s1, s7, s2
	s_mul_hi_u32 s7, s1, s0
	s_mul_i32 s6, s1, s0
	v_lshlrev_b32_e32 v1, 10, v0
	v_lshlrev_b32_e32 v0, 4, v0
	s_lshl_b64 s[6:7], s[6:7], 1
	v_and_b32_e32 v1, 0x1800, v1
	v_lshlrev_b32_e32 v3, 5, v54
	v_and_b32_e32 v0, 16, v0
	s_waitcnt lgkmcnt(0)
	s_add_u32 s1, s4, s6
	v_or3_b32 v3, v1, v3, v0
	s_addc_u32 s4, s5, s7
	s_lshl_b32 s2, s28, 6
	s_lshl_b64 s[2:3], s[2:3], 1
	ds_read_b128 v[4:7], v3
	s_add_u32 s2, s1, s2
	s_addc_u32 s3, s4, s3
	v_add_u32_e32 v8, s42, v54
	v_or_b32_e32 v2, 4, v54
	v_lshl_add_u64 v[0:1], v[34:35], 1, s[2:3]
	v_mad_u64_u32 v[8:9], s[2:3], v8, s0, 0
	v_lshl_add_u64 v[8:9], v[8:9], 1, v[0:1]
	v_cmp_gt_u32_e32 vcc, 6, v2
	s_waitcnt lgkmcnt(0)
	global_store_dwordx4 v[8:9], v[4:7], off
	s_and_b64 exec, exec, vcc
	s_cbranch_execz .LBB137_20
; %bb.19:
	ds_read_b128 v[4:7], v3 offset:128
	v_add_u32_e32 v2, s42, v2
	v_mad_u64_u32 v[2:3], s[0:1], v2, s0, 0
	v_lshl_add_u64 v[0:1], v[2:3], 1, v[0:1]
	s_waitcnt lgkmcnt(0)
	global_store_dwordx4 v[0:1], v[4:7], off
.LBB137_20:
	s_endpgm
	.section	.rodata,"a",@progbits
	.p2align	6, 0x0
	.amdhsa_kernel _Z39paged_attention_ll4mi_QKV_mfma16_kernelIDF16_DF16_LN4vllm18Fp8KVCacheDataTypeE0EhLi32ELi64ELi256ELb0ELi6EEvPKT_PKT0_S7_ifPKiS9_S9_iPKfiiiPfSC_PS2_PT2_iSB_SB_
		.amdhsa_group_segment_fixed_size 8192
		.amdhsa_private_segment_fixed_size 0
		.amdhsa_kernarg_size 400
		.amdhsa_user_sgpr_count 2
		.amdhsa_user_sgpr_dispatch_ptr 0
		.amdhsa_user_sgpr_queue_ptr 0
		.amdhsa_user_sgpr_kernarg_segment_ptr 1
		.amdhsa_user_sgpr_dispatch_id 0
		.amdhsa_user_sgpr_kernarg_preload_length 0
		.amdhsa_user_sgpr_kernarg_preload_offset 0
		.amdhsa_user_sgpr_private_segment_size 0
		.amdhsa_uses_dynamic_stack 0
		.amdhsa_enable_private_segment 0
		.amdhsa_system_sgpr_workgroup_id_x 1
		.amdhsa_system_sgpr_workgroup_id_y 1
		.amdhsa_system_sgpr_workgroup_id_z 1
		.amdhsa_system_sgpr_workgroup_info 0
		.amdhsa_system_vgpr_workitem_id 0
		.amdhsa_next_free_vgpr 67
		.amdhsa_next_free_sgpr 48
		.amdhsa_accum_offset 68
		.amdhsa_reserve_vcc 1
		.amdhsa_float_round_mode_32 0
		.amdhsa_float_round_mode_16_64 0
		.amdhsa_float_denorm_mode_32 3
		.amdhsa_float_denorm_mode_16_64 3
		.amdhsa_dx10_clamp 1
		.amdhsa_ieee_mode 1
		.amdhsa_fp16_overflow 0
		.amdhsa_tg_split 0
		.amdhsa_exception_fp_ieee_invalid_op 0
		.amdhsa_exception_fp_denorm_src 0
		.amdhsa_exception_fp_ieee_div_zero 0
		.amdhsa_exception_fp_ieee_overflow 0
		.amdhsa_exception_fp_ieee_underflow 0
		.amdhsa_exception_fp_ieee_inexact 0
		.amdhsa_exception_int_div_zero 0
	.end_amdhsa_kernel
	.section	.text._Z39paged_attention_ll4mi_QKV_mfma16_kernelIDF16_DF16_LN4vllm18Fp8KVCacheDataTypeE0EhLi32ELi64ELi256ELb0ELi6EEvPKT_PKT0_S7_ifPKiS9_S9_iPKfiiiPfSC_PS2_PT2_iSB_SB_,"axG",@progbits,_Z39paged_attention_ll4mi_QKV_mfma16_kernelIDF16_DF16_LN4vllm18Fp8KVCacheDataTypeE0EhLi32ELi64ELi256ELb0ELi6EEvPKT_PKT0_S7_ifPKiS9_S9_iPKfiiiPfSC_PS2_PT2_iSB_SB_,comdat
.Lfunc_end137:
	.size	_Z39paged_attention_ll4mi_QKV_mfma16_kernelIDF16_DF16_LN4vllm18Fp8KVCacheDataTypeE0EhLi32ELi64ELi256ELb0ELi6EEvPKT_PKT0_S7_ifPKiS9_S9_iPKfiiiPfSC_PS2_PT2_iSB_SB_, .Lfunc_end137-_Z39paged_attention_ll4mi_QKV_mfma16_kernelIDF16_DF16_LN4vllm18Fp8KVCacheDataTypeE0EhLi32ELi64ELi256ELb0ELi6EEvPKT_PKT0_S7_ifPKiS9_S9_iPKfiiiPfSC_PS2_PT2_iSB_SB_
                                        ; -- End function
	.section	.AMDGPU.csdata,"",@progbits
; Kernel info:
; codeLenInByte = 3904
; NumSgprs: 54
; NumVgprs: 67
; NumAgprs: 0
; TotalNumVgprs: 67
; ScratchSize: 0
; MemoryBound: 0
; FloatMode: 240
; IeeeMode: 1
; LDSByteSize: 8192 bytes/workgroup (compile time only)
; SGPRBlocks: 6
; VGPRBlocks: 8
; NumSGPRsForWavesPerEU: 54
; NumVGPRsForWavesPerEU: 67
; AccumOffset: 68
; Occupancy: 7
; WaveLimiterHint : 1
; COMPUTE_PGM_RSRC2:SCRATCH_EN: 0
; COMPUTE_PGM_RSRC2:USER_SGPR: 2
; COMPUTE_PGM_RSRC2:TRAP_HANDLER: 0
; COMPUTE_PGM_RSRC2:TGID_X_EN: 1
; COMPUTE_PGM_RSRC2:TGID_Y_EN: 1
; COMPUTE_PGM_RSRC2:TGID_Z_EN: 1
; COMPUTE_PGM_RSRC2:TIDIG_COMP_CNT: 0
; COMPUTE_PGM_RSRC3_GFX90A:ACCUM_OFFSET: 16
; COMPUTE_PGM_RSRC3_GFX90A:TG_SPLIT: 0
	.section	.text._Z39paged_attention_ll4mi_QKV_mfma16_kernelIDF16_DF16_LN4vllm18Fp8KVCacheDataTypeE0EhLi32ELi64ELi256ELb0ELi7EEvPKT_PKT0_S7_ifPKiS9_S9_iPKfiiiPfSC_PS2_PT2_iSB_SB_,"axG",@progbits,_Z39paged_attention_ll4mi_QKV_mfma16_kernelIDF16_DF16_LN4vllm18Fp8KVCacheDataTypeE0EhLi32ELi64ELi256ELb0ELi7EEvPKT_PKT0_S7_ifPKiS9_S9_iPKfiiiPfSC_PS2_PT2_iSB_SB_,comdat
	.protected	_Z39paged_attention_ll4mi_QKV_mfma16_kernelIDF16_DF16_LN4vllm18Fp8KVCacheDataTypeE0EhLi32ELi64ELi256ELb0ELi7EEvPKT_PKT0_S7_ifPKiS9_S9_iPKfiiiPfSC_PS2_PT2_iSB_SB_ ; -- Begin function _Z39paged_attention_ll4mi_QKV_mfma16_kernelIDF16_DF16_LN4vllm18Fp8KVCacheDataTypeE0EhLi32ELi64ELi256ELb0ELi7EEvPKT_PKT0_S7_ifPKiS9_S9_iPKfiiiPfSC_PS2_PT2_iSB_SB_
	.globl	_Z39paged_attention_ll4mi_QKV_mfma16_kernelIDF16_DF16_LN4vllm18Fp8KVCacheDataTypeE0EhLi32ELi64ELi256ELb0ELi7EEvPKT_PKT0_S7_ifPKiS9_S9_iPKfiiiPfSC_PS2_PT2_iSB_SB_
	.p2align	8
	.type	_Z39paged_attention_ll4mi_QKV_mfma16_kernelIDF16_DF16_LN4vllm18Fp8KVCacheDataTypeE0EhLi32ELi64ELi256ELb0ELi7EEvPKT_PKT0_S7_ifPKiS9_S9_iPKfiiiPfSC_PS2_PT2_iSB_SB_,@function
_Z39paged_attention_ll4mi_QKV_mfma16_kernelIDF16_DF16_LN4vllm18Fp8KVCacheDataTypeE0EhLi32ELi64ELi256ELb0ELi7EEvPKT_PKT0_S7_ifPKiS9_S9_iPKfiiiPfSC_PS2_PT2_iSB_SB_: ; @_Z39paged_attention_ll4mi_QKV_mfma16_kernelIDF16_DF16_LN4vllm18Fp8KVCacheDataTypeE0EhLi32ELi64ELi256ELb0ELi7EEvPKT_PKT0_S7_ifPKiS9_S9_iPKfiiiPfSC_PS2_PT2_iSB_SB_
; %bb.0:
	s_load_dwordx2 s[6:7], s[0:1], 0x30
	s_mov_b32 s28, s3
	s_mov_b64 s[10:11], 0
	s_waitcnt lgkmcnt(0)
	s_cmp_lg_u64 s[6:7], 0
	s_cselect_b64 s[8:9], -1, 0
	s_and_b64 vcc, exec, s[8:9]
	s_cbranch_vccz .LBB138_7
; %bb.1:
	s_add_i32 s12, s2, 1
	s_mov_b32 s13, 0
	s_lshl_b64 s[14:15], s[12:13], 2
	s_add_u32 s14, s6, s14
	s_mov_b32 s3, s13
	s_addc_u32 s15, s7, s15
	s_lshl_b64 s[12:13], s[2:3], 2
	s_add_u32 s12, s6, s12
	s_addc_u32 s13, s7, s13
	s_load_dword s5, s[14:15], 0x0
	s_load_dword s16, s[12:13], 0x0
	s_waitcnt lgkmcnt(0)
	s_sub_i32 s5, s5, s16
	s_cmp_eq_u32 s5, 1
	s_cselect_b64 s[12:13], -1, 0
	s_andn2_b64 vcc, exec, s[10:11]
	s_cbranch_vccnz .LBB138_3
.LBB138_2:
	s_mov_b32 s3, 0
	s_mov_b64 s[12:13], -1
.LBB138_3:
	s_andn2_b64 vcc, exec, s[12:13]
	s_cbranch_vccnz .LBB138_20
; %bb.4:
	s_load_dwordx2 s[12:13], s[0:1], 0x28
	s_lshl_b64 s[10:11], s[2:3], 2
	s_waitcnt lgkmcnt(0)
	s_add_u32 s12, s12, s10
	s_addc_u32 s13, s13, s11
	s_load_dword s33, s[12:13], 0x0
	s_lshl_b32 s14, s28, 8
	s_waitcnt lgkmcnt(0)
	s_cmp_ge_i32 s14, s33
	s_cbranch_scc1 .LBB138_20
; %bb.5:
	s_load_dwordx2 s[12:13], s[0:1], 0x20
	s_load_dword s5, s[0:1], 0x38
	s_add_i32 s15, s33, 31
	s_ashr_i32 s16, s15, 31
	v_and_b32_e32 v1, 0xcf, v0
	s_lshr_b32 s16, s16, 27
	v_add_u32_e32 v1, s14, v1
	s_add_i32 s15, s15, s16
	v_ashrrev_i32_e32 v2, 31, v1
	s_ashr_i32 s15, s15, 5
	v_lshrrev_b32_e32 v10, 27, v2
	s_add_i32 s15, s15, -1
	s_waitcnt lgkmcnt(0)
	s_mul_i32 s16, s2, s5
	s_mov_b32 s17, 0
	v_add_u32_e32 v2, v1, v10
	s_lshl_b64 s[16:17], s[16:17], 2
	v_ashrrev_i32_e32 v2, 5, v2
	v_mov_b32_e32 v11, s15
	v_cmp_gt_i32_e32 vcc, s33, v1
	s_add_u32 s12, s12, s16
	s_addc_u32 s13, s13, s17
	v_cndmask_b32_e32 v2, v11, v2, vcc
	v_ashrrev_i32_e32 v3, 31, v2
	v_lshl_add_u64 v[4:5], v[2:3], 2, s[12:13]
	v_or_b32_e32 v2, 16, v1
	v_add_u32_e32 v3, v2, v10
	v_ashrrev_i32_e32 v3, 5, v3
	v_cmp_gt_i32_e32 vcc, s33, v2
	s_nop 1
	v_cndmask_b32_e32 v2, v11, v3, vcc
	v_ashrrev_i32_e32 v3, 31, v2
	v_lshl_add_u64 v[6:7], v[2:3], 2, s[12:13]
	v_or_b32_e32 v2, 32, v1
	v_add_u32_e32 v3, v2, v10
	v_ashrrev_i32_e32 v3, 5, v3
	v_cmp_gt_i32_e32 vcc, s33, v2
	v_or_b32_e32 v1, 48, v1
	s_nop 0
	v_cndmask_b32_e32 v2, v11, v3, vcc
	v_ashrrev_i32_e32 v3, 31, v2
	v_lshl_add_u64 v[8:9], v[2:3], 2, s[12:13]
	v_add_u32_e32 v2, v1, v10
	v_ashrrev_i32_e32 v2, 5, v2
	v_cmp_gt_i32_e32 vcc, s33, v1
	s_nop 1
	v_cndmask_b32_e32 v2, v11, v2, vcc
	v_ashrrev_i32_e32 v3, 31, v2
	v_lshl_add_u64 v[12:13], v[2:3], 2, s[12:13]
	global_load_dword v3, v[4:5], off
	global_load_dword v2, v[6:7], off
	;; [unrolled: 1-line block ×4, first 2 shown]
	s_andn2_b64 vcc, exec, s[8:9]
	s_cbranch_vccnz .LBB138_8
; %bb.6:
	s_add_u32 s6, s6, s10
	s_addc_u32 s7, s7, s11
	s_load_dword s5, s[6:7], 0x0
	s_branch .LBB138_9
.LBB138_7:
	s_mov_b64 s[12:13], 0
	s_branch .LBB138_2
.LBB138_8:
	s_mov_b32 s5, s2
.LBB138_9:
	s_load_dwordx4 s[8:11], s[0:1], 0x8
	s_load_dwordx4 s[44:47], s[0:1], 0x48
	v_lshrrev_b32_e32 v1, 6, v0
	v_bfe_u32 v54, v0, 4, 2
	v_lshl_or_b32 v4, v1, 2, v54
	v_and_b32_e32 v36, 15, v0
	v_cmp_lt_u32_e32 vcc, 6, v4
	v_cmp_lt_u32_e64 s[6:7], 7, v36
	v_lshlrev_b32_e32 v34, 3, v36
	v_cmp_gt_u32_e64 s[30:31], 8, v36
	s_or_b64 s[6:7], s[6:7], vcc
	s_and_saveexec_b64 s[16:17], s[6:7]
	s_xor_b64 s[6:7], exec, s[16:17]
; %bb.10:
	v_mov_b32_e32 v35, 0
                                        ; implicit-def: $vgpr4
; %bb.11:
	s_or_saveexec_b64 s[6:7], s[6:7]
	v_and_b32_e32 v37, 63, v0
	s_mul_i32 s42, s4, 7
	s_xor_b64 exec, exec, s[6:7]
	s_cbranch_execz .LBB138_13
; %bb.12:
	s_load_dwordx2 s[16:17], s[0:1], 0x0
	s_waitcnt lgkmcnt(0)
	s_ashr_i32 s18, s44, 31
	s_mul_hi_u32 s19, s5, s44
	s_mul_i32 s18, s5, s18
	s_add_i32 s19, s19, s18
	s_mul_i32 s18, s5, s44
	s_lshl_b64 s[18:19], s[18:19], 1
	s_add_u32 s16, s16, s18
	v_add_lshl_u32 v6, v4, s42, 6
	s_addc_u32 s17, s17, s19
	v_ashrrev_i32_e32 v7, 31, v6
	v_mov_b32_e32 v35, 0
	v_lshl_add_u64 v[6:7], v[6:7], 1, s[16:17]
	v_lshlrev_b32_e32 v8, 1, v34
	v_mov_b32_e32 v9, v35
	v_lshl_add_u64 v[6:7], v[6:7], 0, v[8:9]
	global_load_dwordx4 v[6:9], v[6:7], off
	v_and_b32_e32 v5, 3, v0
	v_lshlrev_b32_e32 v11, 9, v36
	v_lshlrev_b32_e32 v4, 5, v4
	;; [unrolled: 1-line block ×3, first 2 shown]
	v_and_b32_e32 v11, 0x1800, v11
	v_or3_b32 v4, v11, v5, v4
	s_waitcnt vmcnt(0)
	ds_write_b128 v4, v[6:9]
.LBB138_13:
	s_or_b64 exec, exec, s[6:7]
	s_waitcnt lgkmcnt(0)
	s_mul_i32 s4, s4, s46
	s_mov_b32 s5, 0
	s_lshl_b64 s[4:5], s[4:5], 1
	s_add_u32 s8, s8, s4
	s_addc_u32 s9, s9, s5
	s_waitcnt vmcnt(3)
	v_mad_i64_i32 v[4:5], s[16:17], v3, s45, 0
	v_lshl_add_u64 v[4:5], v[4:5], 1, s[8:9]
	v_lshlrev_b64 v[12:13], 1, v[34:35]
	v_lshlrev_b32_e32 v38, 9, v54
	v_lshl_add_u64 v[4:5], v[4:5], 0, v[12:13]
	v_mov_b32_e32 v39, 0
	v_lshl_add_u64 v[14:15], v[4:5], 0, v[38:39]
	s_waitcnt vmcnt(2)
	v_mad_i64_i32 v[2:3], s[16:17], v2, s45, 0
	v_mov_b32_e32 v4, 0x100
	v_lshl_add_u64 v[2:3], v[2:3], 1, s[8:9]
	v_lshl_or_b32 v30, v36, 4, v4
	v_mov_b32_e32 v31, v39
	s_load_dword s29, s[0:1], 0x98
	s_load_dword s6, s[0:1], 0x1c
	s_waitcnt lgkmcnt(0)
	s_barrier
	v_lshl_add_u64 v[2:3], v[2:3], 0, v[30:31]
	global_load_dwordx4 v[6:9], v[14:15], off
	global_load_dwordx4 v[22:25], v[14:15], off offset:2048
	v_lshl_add_u64 v[18:19], v[2:3], 0, v[38:39]
	global_load_dwordx4 v[2:5], v[18:19], off
	global_load_dwordx4 v[26:29], v[18:19], off offset:2048
	s_waitcnt vmcnt(5)
	v_mad_i64_i32 v[10:11], s[16:17], v10, s45, 0
	v_lshl_add_u64 v[10:11], v[10:11], 1, s[8:9]
	v_lshl_add_u64 v[10:11], v[10:11], 0, v[12:13]
	;; [unrolled: 1-line block ×3, first 2 shown]
	global_load_dwordx4 v[10:13], v[32:33], off
	v_mul_lo_u16_e32 v20, 37, v36
	v_mov_b32_e32 v21, 7
	s_waitcnt vmcnt(5)
	v_mad_i64_i32 v[16:17], s[16:17], v16, s45, 0
	v_mul_lo_u16_sdwa v14, v20, v21 dst_sel:DWORD dst_unused:UNUSED_PAD src0_sel:BYTE_1 src1_sel:DWORD
	v_sub_u16_e32 v14, v36, v14
	v_lshl_add_u64 v[40:41], v[16:17], 1, s[8:9]
	v_and_b32_e32 v14, 0xff, v14
	v_lshl_add_u64 v[30:31], v[40:41], 0, v[30:31]
	v_lshl_add_u32 v14, v14, 5, v38
	v_lshl_add_u64 v[40:41], v[30:31], 0, v[38:39]
	ds_read_b128 v[18:21], v14
	ds_read_b128 v[14:17], v14 offset:2048
	global_load_dwordx4 v[30:33], v[32:33], off offset:2048
	s_ashr_i32 s7, s14, 31
	global_load_dwordx4 v[46:49], v[40:41], off
	global_load_dwordx4 v[60:63], v[40:41], off offset:2048
	v_and_or_b32 v55, v0, 48, s14
	s_lshr_b32 s7, s7, 27
	v_add_u32_e32 v42, s7, v55
	v_mov_b32_e32 v64, s15
	v_or_b32_e32 v50, 64, v55
	v_ashrrev_i32_e32 v38, 5, v42
	v_cmp_gt_i32_e32 vcc, s33, v55
	v_add_u32_e32 v43, s7, v50
	v_ashrrev_i32_e32 v51, 5, v43
	v_cndmask_b32_e32 v42, v64, v38, vcc
	v_ashrrev_i32_e32 v43, 31, v42
	v_lshl_add_u64 v[42:43], v[42:43], 2, s[12:13]
	v_cmp_gt_i32_e32 vcc, s33, v50
	global_load_dword v65, v[42:43], off
	v_or_b32_e32 v40, 0x80, v55
	v_and_b32_e32 v38, 16, v0
	s_add_u32 s4, s10, s4
	v_lshlrev_b32_e32 v41, 6, v36
	s_addc_u32 s5, s11, s5
	v_lshlrev_b32_e32 v38, 1, v38
	s_mov_b32 s43, 0xff7fffff
	s_waitcnt vmcnt(8) lgkmcnt(1)
	v_mfma_f32_16x16x16_f16 v[42:45], v[6:7], v[18:19], 0
	v_cndmask_b32_e32 v6, v64, v51, vcc
	v_ashrrev_i32_e32 v7, 31, v6
	v_cmp_gt_i32_e32 vcc, s33, v40
	s_waitcnt vmcnt(6)
	v_mfma_f32_16x16x16_f16 v[50:53], v[2:3], v[18:19], 0
	v_lshl_add_u64 v[2:3], v[6:7], 2, s[12:13]
	global_load_dword v66, v[2:3], off
	v_mfma_f32_16x16x16_f16 v[6:9], v[8:9], v[20:21], v[42:45]
	v_mfma_f32_16x16x16_f16 v[2:5], v[4:5], v[20:21], v[50:53]
	s_nop 1
	v_or_b32_e32 v42, 0xc0, v55
	v_add_u32_e32 v43, s7, v40
	v_add_u32_e32 v44, s7, v42
	s_waitcnt lgkmcnt(0)
	v_mfma_f32_16x16x16_f16 v[6:9], v[22:23], v[14:15], v[6:9]
	v_ashrrev_i32_e32 v43, 5, v43
	v_ashrrev_i32_e32 v44, 5, v44
	v_cndmask_b32_e32 v40, v64, v43, vcc
	s_waitcnt vmcnt(5)
	v_mfma_f32_16x16x16_f16 v[56:59], v[10:11], v[18:19], 0
	v_cmp_gt_i32_e32 vcc, s33, v42
	v_mfma_f32_16x16x16_f16 v[2:5], v[26:27], v[14:15], v[2:5]
	s_nop 0
	v_cndmask_b32_e32 v42, v64, v44, vcc
	v_lshl_add_u64 v[44:45], s[4:5], 0, v[38:39]
	v_lshl_or_b32 v38, v1, 10, v41
	v_ashrrev_i32_e32 v41, 31, v40
	v_mfma_f32_16x16x16_f16 v[22:25], v[24:25], v[16:17], v[6:9]
	v_ashrrev_i32_e32 v43, 31, v42
	s_nop 1
	v_lshl_add_u64 v[6:7], v[40:41], 2, s[12:13]
	v_mfma_f32_16x16x16_f16 v[10:13], v[12:13], v[20:21], v[56:59]
	s_nop 1
	v_pk_mul_f32 v[50:51], s[6:7], v[24:25] op_sel_hi:[0,1]
	v_mfma_f32_16x16x16_f16 v[26:29], v[28:29], v[16:17], v[2:5]
	s_nop 2
	v_lshl_add_u64 v[2:3], v[42:43], 2, s[12:13]
	global_load_dword v55, v[6:7], off
	global_load_dword v58, v[2:3], off
	s_waitcnt vmcnt(6)
	v_mfma_f32_16x16x16_f16 v[2:5], v[30:31], v[14:15], v[10:13]
	s_waitcnt vmcnt(3)
	v_mad_i64_i32 v[6:7], s[4:5], v65, s45, 0
	v_pk_mul_f32 v[42:43], s[6:7], v[26:27] op_sel_hi:[0,1]
	v_lshl_add_u64 v[10:11], v[44:45], 0, v[38:39]
	v_mfma_f32_16x16x16_f16 v[38:41], v[46:47], v[18:19], 0
	v_pk_mul_f32 v[52:53], s[6:7], v[28:29] op_sel_hi:[0,1]
	s_waitcnt vmcnt(2)
	v_mad_i64_i32 v[12:13], s[4:5], v66, s45, 0
	v_mfma_f32_16x16x16_f16 v[18:21], v[48:49], v[20:21], v[38:41]
	v_lshl_add_u64 v[56:57], v[12:13], 1, v[10:11]
	v_pk_mul_f32 v[12:13], s[6:7], v[22:23] op_sel_hi:[0,1]
	v_mfma_f32_16x16x16_f16 v[18:21], v[60:61], v[14:15], v[18:21]
	v_mfma_f32_16x16x16_f16 v[30:33], v[32:33], v[16:17], v[2:5]
	;; [unrolled: 1-line block ×3, first 2 shown]
	s_nop 1
	v_lshl_add_u64 v[2:3], v[6:7], 1, v[10:11]
	s_nop 2
	v_pk_mul_f32 v[48:49], s[6:7], v[30:31] op_sel_hi:[0,1]
	v_pk_mul_f32 v[46:47], s[6:7], v[32:33] op_sel_hi:[0,1]
	global_load_dwordx4 v[6:9], v[2:3], off
	s_nop 0
	global_load_dwordx4 v[2:5], v[2:3], off offset:16
	v_pk_mul_f32 v[44:45], s[6:7], v[14:15] op_sel_hi:[0,1]
	v_and_b32_e32 v14, 0xc0, v0
	v_add_u32_e32 v14, s14, v14
	v_lshl_or_b32 v14, v54, 2, v14
	v_pk_mul_f32 v[38:39], s[6:7], v[16:17] op_sel_hi:[0,1]
	v_or_b32_e32 v17, 1, v14
	v_mov_b32_e32 v15, 0xff7fffff
	v_cmp_gt_i32_e64 s[4:5], s33, v14
	v_cmp_gt_i32_e64 s[34:35], s33, v17
	v_or_b32_e32 v18, 3, v14
	v_cndmask_b32_e64 v16, v15, v12, s[4:5]
	v_cndmask_b32_e64 v17, v15, v13, s[34:35]
	v_max3_f32 v16, v16, s43, v17
	v_or_b32_e32 v17, 2, v14
	v_cmp_gt_i32_e64 s[36:37], s33, v17
	v_cmp_gt_i32_e64 s[38:39], s33, v18
	global_load_dwordx4 v[30:33], v[56:57], off
	global_load_dwordx4 v[26:29], v[56:57], off offset:16
	v_cndmask_b32_e64 v17, v15, v50, s[36:37]
	v_cndmask_b32_e64 v18, v15, v51, s[38:39]
	v_max3_f32 v16, v16, v17, v18
	v_or_b32_e32 v17, 16, v14
	v_or_b32_e32 v18, 17, v14
	v_cmp_gt_i32_e64 s[24:25], s33, v17
	v_cmp_gt_i32_e64 s[26:27], s33, v18
	s_nop 0
	v_cndmask_b32_e64 v17, v15, v42, s[24:25]
	v_cndmask_b32_e64 v18, v15, v43, s[26:27]
	v_max3_f32 v16, v16, v17, v18
	v_or_b32_e32 v17, 18, v14
	v_or_b32_e32 v18, 19, v14
	v_cmp_gt_i32_e64 s[20:21], s33, v17
	v_cmp_gt_i32_e64 s[22:23], s33, v18
	s_nop 0
	;; [unrolled: 8-line block ×5, first 2 shown]
	v_cndmask_b32_e64 v17, v15, v44, s[8:9]
	v_cndmask_b32_e64 v18, v15, v45, s[10:11]
	v_max3_f32 v16, v16, v17, v18
	v_or_b32_e32 v17, 50, v14
	v_or_b32_e32 v14, 51, v14
	v_cmp_gt_i32_e32 vcc, s33, v17
	v_cmp_gt_i32_e64 s[6:7], s33, v14
	s_nop 0
	v_cndmask_b32_e32 v17, v15, v38, vcc
	v_cndmask_b32_e64 v14, v15, v39, s[6:7]
	v_max3_f32 v16, v16, v17, v14
	v_mbcnt_lo_u32_b32 v14, -1, 0
	v_mbcnt_hi_u32_b32 v17, -1, v14
	v_and_b32_e32 v14, 64, v17
	v_add_u32_e32 v18, 64, v14
	v_xor_b32_e32 v14, 32, v17
	v_cmp_lt_i32_e64 s[40:41], v14, v18
	s_nop 1
	v_cndmask_b32_e64 v14, v17, v14, s[40:41]
	v_lshlrev_b32_e32 v59, 2, v14
	ds_bpermute_b32 v19, v59, v16
	s_waitcnt vmcnt(5)
	v_mad_i64_i32 v[14:15], s[40:41], v55, s45, 0
	v_lshl_add_u64 v[14:15], v[14:15], 1, v[10:11]
	s_waitcnt lgkmcnt(0)
	v_max_f32_e32 v19, v19, v19
	v_max_f32_e32 v16, v16, v19
	v_xor_b32_e32 v19, 16, v17
	v_cmp_lt_i32_e64 s[40:41], v19, v18
	s_nop 1
	v_cndmask_b32_e64 v17, v17, v19, s[40:41]
	v_lshlrev_b32_e32 v57, 2, v17
	ds_bpermute_b32 v17, v57, v16
	global_load_dwordx4 v[22:25], v[14:15], off
	global_load_dwordx4 v[18:21], v[14:15], off offset:16
	s_waitcnt vmcnt(6)
	v_mad_i64_i32 v[14:15], s[40:41], v58, s45, 0
	v_lshl_add_u64 v[10:11], v[14:15], 1, v[10:11]
	s_waitcnt lgkmcnt(0)
	v_max_f32_e32 v14, v17, v17
	v_max_f32_e32 v55, v16, v14
	v_sub_f32_e32 v12, v12, v55
	v_mul_f32_e32 v12, 0x3fb8aa3b, v12
	v_exp_f32_e32 v40, v12
	v_sub_f32_e32 v12, v13, v55
	v_mul_f32_e32 v12, 0x3fb8aa3b, v12
	v_exp_f32_e32 v41, v12
	global_load_dwordx4 v[14:17], v[10:11], off
	s_nop 0
	global_load_dwordx4 v[10:13], v[10:11], off offset:16
	v_sub_f32_e32 v50, v50, v55
	v_mul_f32_e32 v50, 0x3fb8aa3b, v50
	v_sub_f32_e32 v51, v51, v55
	v_exp_f32_e32 v50, v50
	v_mul_f32_e32 v51, 0x3fb8aa3b, v51
	v_sub_f32_e32 v42, v42, v55
	v_exp_f32_e32 v51, v51
	v_mul_f32_e32 v42, 0x3fb8aa3b, v42
	v_sub_f32_e32 v43, v43, v55
	v_cndmask_b32_e64 v40, 0, v40, s[4:5]
	v_exp_f32_e32 v42, v42
	v_mul_f32_e32 v43, 0x3fb8aa3b, v43
	v_sub_f32_e32 v52, v52, v55
	v_add_f32_e32 v56, 0, v40
	v_cndmask_b32_e64 v41, 0, v41, s[34:35]
	v_exp_f32_e32 v43, v43
	v_mul_f32_e32 v52, 0x3fb8aa3b, v52
	v_sub_f32_e32 v53, v53, v55
	v_add_f32_e32 v56, v56, v41
	v_cndmask_b32_e64 v50, 0, v50, s[36:37]
	v_exp_f32_e32 v52, v52
	v_mul_f32_e32 v53, 0x3fb8aa3b, v53
	v_sub_f32_e32 v48, v48, v55
	v_add_f32_e32 v56, v56, v50
	v_cndmask_b32_e64 v51, 0, v51, s[38:39]
	v_exp_f32_e32 v53, v53
	v_mul_f32_e32 v48, 0x3fb8aa3b, v48
	v_sub_f32_e32 v49, v49, v55
	v_add_f32_e32 v56, v56, v51
	v_cndmask_b32_e64 v42, 0, v42, s[24:25]
	v_exp_f32_e32 v48, v48
	v_mul_f32_e32 v49, 0x3fb8aa3b, v49
	v_sub_f32_e32 v46, v46, v55
	v_add_f32_e32 v56, v56, v42
	v_cndmask_b32_e64 v43, 0, v43, s[26:27]
	v_exp_f32_e32 v49, v49
	v_mul_f32_e32 v46, 0x3fb8aa3b, v46
	v_sub_f32_e32 v47, v47, v55
	v_add_f32_e32 v56, v56, v43
	v_cndmask_b32_e64 v52, 0, v52, s[20:21]
	v_exp_f32_e32 v46, v46
	v_mul_f32_e32 v47, 0x3fb8aa3b, v47
	v_sub_f32_e32 v44, v44, v55
	v_add_f32_e32 v56, v56, v52
	v_cndmask_b32_e64 v53, 0, v53, s[22:23]
	v_exp_f32_e32 v47, v47
	v_mul_f32_e32 v44, 0x3fb8aa3b, v44
	v_sub_f32_e32 v45, v45, v55
	v_add_f32_e32 v56, v56, v53
	v_cndmask_b32_e64 v48, 0, v48, s[16:17]
	v_exp_f32_e32 v44, v44
	v_mul_f32_e32 v45, 0x3fb8aa3b, v45
	v_sub_f32_e32 v38, v38, v55
	v_add_f32_e32 v56, v56, v48
	v_cndmask_b32_e64 v49, 0, v49, s[18:19]
	v_exp_f32_e32 v45, v45
	v_mul_f32_e32 v38, 0x3fb8aa3b, v38
	v_sub_f32_e32 v39, v39, v55
	v_add_f32_e32 v56, v56, v49
	v_cndmask_b32_e64 v46, 0, v46, s[12:13]
	v_exp_f32_e32 v38, v38
	v_mul_f32_e32 v39, 0x3fb8aa3b, v39
	v_add_f32_e32 v56, v56, v46
	v_cndmask_b32_e64 v47, 0, v47, s[14:15]
	v_exp_f32_e32 v39, v39
	v_add_f32_e32 v56, v56, v47
	v_cndmask_b32_e64 v44, 0, v44, s[8:9]
	v_add_f32_e32 v56, v56, v44
	v_cndmask_b32_e64 v45, 0, v45, s[10:11]
	v_add_f32_e32 v56, v56, v45
	v_cndmask_b32_e32 v38, 0, v38, vcc
	v_add_f32_e32 v56, v56, v38
	v_cndmask_b32_e64 v39, 0, v39, s[6:7]
	v_add_f32_e32 v56, v56, v39
	ds_bpermute_b32 v58, v59, v56
	v_cmp_gt_u32_e32 vcc, 16, v37
	v_lshlrev_b32_e32 v37, 2, v36
	s_waitcnt lgkmcnt(0)
	s_barrier
	v_add_f32_e32 v56, v56, v58
	ds_bpermute_b32 v57, v57, v56
	s_waitcnt lgkmcnt(0)
	s_and_saveexec_b64 s[4:5], vcc
	s_cbranch_execz .LBB138_15
; %bb.14:
	v_add_f32_e32 v56, v56, v57
	v_lshl_or_b32 v57, v1, 6, v37
	ds_write2st64_b32 v57, v55, v56 offset1:1
.LBB138_15:
	s_or_b64 exec, exec, s[4:5]
	s_load_dword s6, s[0:1], 0x94
	s_waitcnt lgkmcnt(0)
	s_barrier
	ds_read2_b32 v[56:57], v37 offset1:16
	ds_read2_b32 v[58:59], v37 offset0:32 offset1:48
	ds_read2_b32 v[60:61], v37 offset0:64 offset1:80
	;; [unrolled: 1-line block ×3, first 2 shown]
	s_waitcnt lgkmcnt(0)
	v_max3_f32 v55, v56, s43, v57
	v_max3_f32 v55, v55, v58, v59
	v_sub_f32_e32 v56, v56, v55
	v_mul_f32_e32 v56, 0x3fb8aa3b, v56
	v_exp_f32_e32 v64, v56
	v_sub_f32_e32 v56, v57, v55
	v_mul_f32_e32 v56, 0x3fb8aa3b, v56
	v_exp_f32_e32 v57, v56
	v_sub_f32_e32 v56, v58, v55
	v_mul_f32_e32 v56, 0x3fb8aa3b, v56
	v_sub_f32_e32 v37, v59, v55
	v_exp_f32_e32 v58, v56
	v_mul_f32_e32 v37, 0x3fb8aa3b, v37
	v_exp_f32_e32 v37, v37
	v_fma_f32 v56, v64, v60, 0
	v_fmac_f32_e32 v56, v57, v61
	v_fmac_f32_e32 v56, v58, v62
	v_fmac_f32_e32 v56, v37, v63
	v_add_f32_e32 v59, 0x358637bd, v56
	v_div_scale_f32 v60, s[4:5], v59, v59, 1.0
	v_rcp_f32_e32 v61, v60
	s_barrier
	s_mul_i32 s7, s29, 7
	v_fma_f32 v62, -v60, v61, 1.0
	v_fmac_f32_e32 v61, v62, v61
	v_div_scale_f32 v62, vcc, 1.0, v59, 1.0
	v_mul_f32_e32 v63, v62, v61
	v_fma_f32 v65, -v60, v63, v62
	v_fmac_f32_e32 v63, v65, v61
	v_fma_f32 v60, -v60, v63, v62
	v_div_fmas_f32 v60, v60, v61, v63
	v_cmp_eq_u32_e32 vcc, 1, v1
	v_div_fixup_f32 v59, v60, v59, 1.0
	s_nop 0
	v_cndmask_b32_e32 v57, v64, v57, vcc
	v_cmp_eq_u32_e32 vcc, 2, v1
	s_nop 1
	v_cndmask_b32_e32 v57, v57, v58, vcc
	v_cmp_eq_u32_e32 vcc, 3, v1
	v_lshlrev_b32_e32 v1, 11, v1
	s_nop 0
	v_cndmask_b32_e32 v37, v57, v37, vcc
	v_mul_f32_e32 v58, v37, v59
	v_pk_mul_f32 v[50:51], v[58:59], v[50:51] op_sel_hi:[0,1]
	v_pk_mul_f32 v[40:41], v[58:59], v[40:41] op_sel_hi:[0,1]
	v_cvt_f16_f32_e32 v37, v40
	v_cvt_f16_f32_e32 v40, v41
	;; [unrolled: 1-line block ×4, first 2 shown]
	v_pk_mul_f32 v[52:53], v[58:59], v[52:53] op_sel_hi:[0,1]
	v_pk_mul_f32 v[42:43], v[58:59], v[42:43] op_sel_hi:[0,1]
	v_pack_b32_f16 v50, v37, v40
	v_pack_b32_f16 v51, v41, v51
	v_cvt_f16_f32_e32 v41, v42
	v_cvt_f16_f32_e32 v42, v43
	;; [unrolled: 1-line block ×4, first 2 shown]
	v_lshlrev_b32_e32 v37, 3, v54
	v_lshlrev_b32_e32 v40, 5, v36
	v_or3_b32 v1, v1, v40, v37
	v_pack_b32_f16 v42, v41, v42
	v_pack_b32_f16 v43, v43, v52
	ds_write2st64_b64 v1, v[50:51], v[42:43] offset1:1
	v_pk_mul_f32 v[42:43], v[58:59], v[46:47] op_sel_hi:[0,1]
	v_pk_mul_f32 v[46:47], v[58:59], v[48:49] op_sel_hi:[0,1]
	v_cvt_f16_f32_e32 v37, v46
	v_cvt_f16_f32_e32 v41, v47
	;; [unrolled: 1-line block ×4, first 2 shown]
	v_pk_mul_f32 v[38:39], v[58:59], v[38:39] op_sel_hi:[0,1]
	v_pk_mul_f32 v[42:43], v[58:59], v[44:45] op_sel_hi:[0,1]
	v_cvt_f16_f32_e32 v42, v42
	v_cvt_f16_f32_e32 v43, v43
	;; [unrolled: 1-line block ×4, first 2 shown]
	v_pack_b32_f16 v38, v37, v41
	v_pack_b32_f16 v39, v46, v47
	;; [unrolled: 1-line block ×4, first 2 shown]
	v_cmp_gt_u32_e32 vcc, 7, v0
	ds_write2st64_b64 v1, v[38:39], v[42:43] offset0:2 offset1:3
	s_and_saveexec_b64 s[4:5], vcc
	s_cbranch_execz .LBB138_17
; %bb.16:
	s_mov_b32 s43, 0
	v_mov_b32_e32 v37, 0
	v_lshl_add_u64 v[38:39], s[42:43], 0, v[36:37]
	v_mov_b32_e32 v36, s7
	v_mad_u64_u32 v[38:39], s[12:13], s2, v36, v[38:39]
	v_mov_b32_e32 v36, s28
	s_load_dwordx4 s[8:11], s[0:1], 0x58
	s_mul_i32 s3, s3, s7
	v_mad_u64_u32 v[36:37], s[12:13], v38, s6, v[36:37]
	v_add_u32_e32 v39, s3, v39
	v_mov_b32_e32 v38, v37
	v_mad_u64_u32 v[38:39], s[12:13], v39, s6, v[38:39]
	v_mov_b32_e32 v37, v38
	v_lshlrev_b64 v[36:37], 2, v[36:37]
	s_waitcnt lgkmcnt(0)
	v_lshl_add_u64 v[38:39], s[10:11], 0, v[36:37]
	v_lshl_add_u64 v[36:37], s[8:9], 0, v[36:37]
	global_store_dword v[38:39], v55, off
	global_store_dword v[36:37], v56, off
.LBB138_17:
	s_or_b64 exec, exec, s[4:5]
	v_lshl_or_b32 v48, v54, 9, v40
	s_waitcnt lgkmcnt(0)
	s_barrier
	ds_read_b128 v[36:39], v48
	ds_read_b128 v[40:43], v48 offset:16
	s_waitcnt vmcnt(7) lgkmcnt(1)
	v_mfma_f32_16x16x16_f16 v[44:47], v[6:7], v[36:37], 0
	v_cmp_gt_u32_e32 vcc, 64, v0
	s_mov_b32 s3, 0
	s_and_b64 s[4:5], vcc, s[30:31]
	v_mfma_f32_16x16x16_f16 v[6:9], v[8:9], v[38:39], v[44:47]
	s_waitcnt vmcnt(6) lgkmcnt(0)
	v_mfma_f32_16x16x16_f16 v[6:9], v[2:3], v[40:41], v[6:9]
	v_mfma_f32_16x16x16_f16 v[2:5], v[4:5], v[42:43], v[6:9]
	s_nop 5
	ds_read_b128 v[6:9], v48 offset:2048
	ds_read_b128 v[36:39], v48 offset:2064
	s_waitcnt vmcnt(5) lgkmcnt(1)
	v_mfma_f32_16x16x16_f16 v[2:5], v[30:31], v[6:7], v[2:5]
	v_mfma_f32_16x16x16_f16 v[2:5], v[32:33], v[8:9], v[2:5]
	s_waitcnt vmcnt(4) lgkmcnt(0)
	v_mfma_f32_16x16x16_f16 v[2:5], v[26:27], v[36:37], v[2:5]
	v_mfma_f32_16x16x16_f16 v[2:5], v[28:29], v[38:39], v[2:5]
	ds_read_b128 v[6:9], v48 offset:4096
	ds_read_b128 v[26:29], v48 offset:4112
	s_waitcnt vmcnt(3) lgkmcnt(1)
	v_mfma_f32_16x16x16_f16 v[2:5], v[22:23], v[6:7], v[2:5]
	v_mfma_f32_16x16x16_f16 v[2:5], v[24:25], v[8:9], v[2:5]
	s_waitcnt vmcnt(2) lgkmcnt(0)
	v_mfma_f32_16x16x16_f16 v[2:5], v[18:19], v[26:27], v[2:5]
	v_mfma_f32_16x16x16_f16 v[2:5], v[20:21], v[28:29], v[2:5]
	ds_read_b128 v[6:9], v48 offset:6144
	ds_read_b128 v[18:21], v48 offset:6160
	s_waitcnt lgkmcnt(0)
	s_barrier
	s_waitcnt vmcnt(1)
	v_mfma_f32_16x16x16_f16 v[2:5], v[14:15], v[6:7], v[2:5]
	v_mfma_f32_16x16x16_f16 v[2:5], v[16:17], v[8:9], v[2:5]
	s_waitcnt vmcnt(0)
	v_mfma_f32_16x16x16_f16 v[2:5], v[10:11], v[18:19], v[2:5]
	v_mfma_f32_16x16x16_f16 v[2:5], v[12:13], v[20:21], v[2:5]
	s_nop 6
	v_cvt_f16_f32_e32 v2, v2
	v_cvt_f16_f32_e32 v3, v3
	;; [unrolled: 1-line block ×4, first 2 shown]
	v_pack_b32_f16 v2, v2, v3
	v_pack_b32_f16 v3, v4, v5
	ds_write_b64 v1, v[2:3]
	s_waitcnt lgkmcnt(0)
	s_barrier
	s_and_saveexec_b64 s[8:9], s[4:5]
	s_cbranch_execz .LBB138_20
; %bb.18:
	s_load_dwordx2 s[4:5], s[0:1], 0x68
	s_lshl_b32 s0, s6, 6
	s_mul_i32 s1, s7, s2
	s_mul_hi_u32 s7, s1, s0
	s_mul_i32 s6, s1, s0
	v_lshlrev_b32_e32 v1, 10, v0
	v_lshlrev_b32_e32 v0, 4, v0
	s_lshl_b64 s[6:7], s[6:7], 1
	v_and_b32_e32 v1, 0x1800, v1
	v_lshlrev_b32_e32 v2, 5, v54
	v_and_b32_e32 v0, 16, v0
	s_waitcnt lgkmcnt(0)
	s_add_u32 s1, s4, s6
	v_or3_b32 v2, v1, v2, v0
	s_addc_u32 s4, s5, s7
	s_lshl_b32 s2, s28, 6
	s_lshl_b64 s[2:3], s[2:3], 1
	ds_read_b128 v[4:7], v2
	s_add_u32 s2, s1, s2
	s_addc_u32 s3, s4, s3
	v_add_u32_e32 v3, s42, v54
	v_lshl_add_u64 v[0:1], v[34:35], 1, s[2:3]
	v_mad_u64_u32 v[8:9], s[2:3], v3, s0, 0
	v_lshl_add_u64 v[8:9], v[8:9], 1, v[0:1]
	v_cmp_ne_u32_e32 vcc, 3, v54
	s_waitcnt lgkmcnt(0)
	global_store_dwordx4 v[8:9], v[4:7], off
	s_and_b64 exec, exec, vcc
	s_cbranch_execz .LBB138_20
; %bb.19:
	ds_read_b128 v[2:5], v2 offset:128
	v_add3_u32 v6, s42, v54, 4
	v_mad_u64_u32 v[6:7], s[0:1], v6, s0, 0
	v_lshl_add_u64 v[0:1], v[6:7], 1, v[0:1]
	s_waitcnt lgkmcnt(0)
	global_store_dwordx4 v[0:1], v[2:5], off
.LBB138_20:
	s_endpgm
	.section	.rodata,"a",@progbits
	.p2align	6, 0x0
	.amdhsa_kernel _Z39paged_attention_ll4mi_QKV_mfma16_kernelIDF16_DF16_LN4vllm18Fp8KVCacheDataTypeE0EhLi32ELi64ELi256ELb0ELi7EEvPKT_PKT0_S7_ifPKiS9_S9_iPKfiiiPfSC_PS2_PT2_iSB_SB_
		.amdhsa_group_segment_fixed_size 8192
		.amdhsa_private_segment_fixed_size 0
		.amdhsa_kernarg_size 400
		.amdhsa_user_sgpr_count 2
		.amdhsa_user_sgpr_dispatch_ptr 0
		.amdhsa_user_sgpr_queue_ptr 0
		.amdhsa_user_sgpr_kernarg_segment_ptr 1
		.amdhsa_user_sgpr_dispatch_id 0
		.amdhsa_user_sgpr_kernarg_preload_length 0
		.amdhsa_user_sgpr_kernarg_preload_offset 0
		.amdhsa_user_sgpr_private_segment_size 0
		.amdhsa_uses_dynamic_stack 0
		.amdhsa_enable_private_segment 0
		.amdhsa_system_sgpr_workgroup_id_x 1
		.amdhsa_system_sgpr_workgroup_id_y 1
		.amdhsa_system_sgpr_workgroup_id_z 1
		.amdhsa_system_sgpr_workgroup_info 0
		.amdhsa_system_vgpr_workitem_id 0
		.amdhsa_next_free_vgpr 67
		.amdhsa_next_free_sgpr 48
		.amdhsa_accum_offset 68
		.amdhsa_reserve_vcc 1
		.amdhsa_float_round_mode_32 0
		.amdhsa_float_round_mode_16_64 0
		.amdhsa_float_denorm_mode_32 3
		.amdhsa_float_denorm_mode_16_64 3
		.amdhsa_dx10_clamp 1
		.amdhsa_ieee_mode 1
		.amdhsa_fp16_overflow 0
		.amdhsa_tg_split 0
		.amdhsa_exception_fp_ieee_invalid_op 0
		.amdhsa_exception_fp_denorm_src 0
		.amdhsa_exception_fp_ieee_div_zero 0
		.amdhsa_exception_fp_ieee_overflow 0
		.amdhsa_exception_fp_ieee_underflow 0
		.amdhsa_exception_fp_ieee_inexact 0
		.amdhsa_exception_int_div_zero 0
	.end_amdhsa_kernel
	.section	.text._Z39paged_attention_ll4mi_QKV_mfma16_kernelIDF16_DF16_LN4vllm18Fp8KVCacheDataTypeE0EhLi32ELi64ELi256ELb0ELi7EEvPKT_PKT0_S7_ifPKiS9_S9_iPKfiiiPfSC_PS2_PT2_iSB_SB_,"axG",@progbits,_Z39paged_attention_ll4mi_QKV_mfma16_kernelIDF16_DF16_LN4vllm18Fp8KVCacheDataTypeE0EhLi32ELi64ELi256ELb0ELi7EEvPKT_PKT0_S7_ifPKiS9_S9_iPKfiiiPfSC_PS2_PT2_iSB_SB_,comdat
.Lfunc_end138:
	.size	_Z39paged_attention_ll4mi_QKV_mfma16_kernelIDF16_DF16_LN4vllm18Fp8KVCacheDataTypeE0EhLi32ELi64ELi256ELb0ELi7EEvPKT_PKT0_S7_ifPKiS9_S9_iPKfiiiPfSC_PS2_PT2_iSB_SB_, .Lfunc_end138-_Z39paged_attention_ll4mi_QKV_mfma16_kernelIDF16_DF16_LN4vllm18Fp8KVCacheDataTypeE0EhLi32ELi64ELi256ELb0ELi7EEvPKT_PKT0_S7_ifPKiS9_S9_iPKfiiiPfSC_PS2_PT2_iSB_SB_
                                        ; -- End function
	.section	.AMDGPU.csdata,"",@progbits
; Kernel info:
; codeLenInByte = 3904
; NumSgprs: 54
; NumVgprs: 67
; NumAgprs: 0
; TotalNumVgprs: 67
; ScratchSize: 0
; MemoryBound: 0
; FloatMode: 240
; IeeeMode: 1
; LDSByteSize: 8192 bytes/workgroup (compile time only)
; SGPRBlocks: 6
; VGPRBlocks: 8
; NumSGPRsForWavesPerEU: 54
; NumVGPRsForWavesPerEU: 67
; AccumOffset: 68
; Occupancy: 7
; WaveLimiterHint : 1
; COMPUTE_PGM_RSRC2:SCRATCH_EN: 0
; COMPUTE_PGM_RSRC2:USER_SGPR: 2
; COMPUTE_PGM_RSRC2:TRAP_HANDLER: 0
; COMPUTE_PGM_RSRC2:TGID_X_EN: 1
; COMPUTE_PGM_RSRC2:TGID_Y_EN: 1
; COMPUTE_PGM_RSRC2:TGID_Z_EN: 1
; COMPUTE_PGM_RSRC2:TIDIG_COMP_CNT: 0
; COMPUTE_PGM_RSRC3_GFX90A:ACCUM_OFFSET: 16
; COMPUTE_PGM_RSRC3_GFX90A:TG_SPLIT: 0
	.section	.text._Z39paged_attention_ll4mi_QKV_mfma16_kernelIDF16_DF16_LN4vllm18Fp8KVCacheDataTypeE0EhLi32ELi64ELi256ELb0ELi8EEvPKT_PKT0_S7_ifPKiS9_S9_iPKfiiiPfSC_PS2_PT2_iSB_SB_,"axG",@progbits,_Z39paged_attention_ll4mi_QKV_mfma16_kernelIDF16_DF16_LN4vllm18Fp8KVCacheDataTypeE0EhLi32ELi64ELi256ELb0ELi8EEvPKT_PKT0_S7_ifPKiS9_S9_iPKfiiiPfSC_PS2_PT2_iSB_SB_,comdat
	.protected	_Z39paged_attention_ll4mi_QKV_mfma16_kernelIDF16_DF16_LN4vllm18Fp8KVCacheDataTypeE0EhLi32ELi64ELi256ELb0ELi8EEvPKT_PKT0_S7_ifPKiS9_S9_iPKfiiiPfSC_PS2_PT2_iSB_SB_ ; -- Begin function _Z39paged_attention_ll4mi_QKV_mfma16_kernelIDF16_DF16_LN4vllm18Fp8KVCacheDataTypeE0EhLi32ELi64ELi256ELb0ELi8EEvPKT_PKT0_S7_ifPKiS9_S9_iPKfiiiPfSC_PS2_PT2_iSB_SB_
	.globl	_Z39paged_attention_ll4mi_QKV_mfma16_kernelIDF16_DF16_LN4vllm18Fp8KVCacheDataTypeE0EhLi32ELi64ELi256ELb0ELi8EEvPKT_PKT0_S7_ifPKiS9_S9_iPKfiiiPfSC_PS2_PT2_iSB_SB_
	.p2align	8
	.type	_Z39paged_attention_ll4mi_QKV_mfma16_kernelIDF16_DF16_LN4vllm18Fp8KVCacheDataTypeE0EhLi32ELi64ELi256ELb0ELi8EEvPKT_PKT0_S7_ifPKiS9_S9_iPKfiiiPfSC_PS2_PT2_iSB_SB_,@function
_Z39paged_attention_ll4mi_QKV_mfma16_kernelIDF16_DF16_LN4vllm18Fp8KVCacheDataTypeE0EhLi32ELi64ELi256ELb0ELi8EEvPKT_PKT0_S7_ifPKiS9_S9_iPKfiiiPfSC_PS2_PT2_iSB_SB_: ; @_Z39paged_attention_ll4mi_QKV_mfma16_kernelIDF16_DF16_LN4vllm18Fp8KVCacheDataTypeE0EhLi32ELi64ELi256ELb0ELi8EEvPKT_PKT0_S7_ifPKiS9_S9_iPKfiiiPfSC_PS2_PT2_iSB_SB_
; %bb.0:
	s_load_dwordx2 s[6:7], s[0:1], 0x30
	s_mov_b32 s28, s3
	s_mov_b64 s[10:11], 0
	s_waitcnt lgkmcnt(0)
	s_cmp_lg_u64 s[6:7], 0
	s_cselect_b64 s[8:9], -1, 0
	s_and_b64 vcc, exec, s[8:9]
	s_cbranch_vccz .LBB139_7
; %bb.1:
	s_add_i32 s12, s2, 1
	s_mov_b32 s13, 0
	s_lshl_b64 s[14:15], s[12:13], 2
	s_add_u32 s14, s6, s14
	s_mov_b32 s3, s13
	s_addc_u32 s15, s7, s15
	s_lshl_b64 s[12:13], s[2:3], 2
	s_add_u32 s12, s6, s12
	s_addc_u32 s13, s7, s13
	s_load_dword s5, s[14:15], 0x0
	s_load_dword s16, s[12:13], 0x0
	s_waitcnt lgkmcnt(0)
	s_sub_i32 s5, s5, s16
	s_cmp_eq_u32 s5, 1
	s_cselect_b64 s[12:13], -1, 0
	s_andn2_b64 vcc, exec, s[10:11]
	s_cbranch_vccnz .LBB139_3
.LBB139_2:
	s_mov_b32 s3, 0
	s_mov_b64 s[12:13], -1
.LBB139_3:
	s_andn2_b64 vcc, exec, s[12:13]
	s_cbranch_vccnz .LBB139_19
; %bb.4:
	s_load_dwordx2 s[12:13], s[0:1], 0x28
	s_lshl_b64 s[10:11], s[2:3], 2
	s_waitcnt lgkmcnt(0)
	s_add_u32 s12, s12, s10
	s_addc_u32 s13, s13, s11
	s_load_dword s40, s[12:13], 0x0
	s_lshl_b32 s14, s28, 8
	s_waitcnt lgkmcnt(0)
	s_cmp_ge_i32 s14, s40
	s_cbranch_scc1 .LBB139_19
; %bb.5:
	s_load_dwordx2 s[12:13], s[0:1], 0x20
	s_load_dword s5, s[0:1], 0x38
	s_add_i32 s15, s40, 31
	s_ashr_i32 s16, s15, 31
	v_and_b32_e32 v1, 0xcf, v0
	s_lshr_b32 s16, s16, 27
	v_add_u32_e32 v1, s14, v1
	s_add_i32 s15, s15, s16
	v_ashrrev_i32_e32 v2, 31, v1
	s_ashr_i32 s15, s15, 5
	v_lshrrev_b32_e32 v10, 27, v2
	s_add_i32 s15, s15, -1
	s_waitcnt lgkmcnt(0)
	s_mul_i32 s16, s2, s5
	s_mov_b32 s17, 0
	v_add_u32_e32 v2, v1, v10
	s_lshl_b64 s[16:17], s[16:17], 2
	v_ashrrev_i32_e32 v2, 5, v2
	v_mov_b32_e32 v11, s15
	v_cmp_gt_i32_e32 vcc, s40, v1
	s_add_u32 s12, s12, s16
	s_addc_u32 s13, s13, s17
	v_cndmask_b32_e32 v2, v11, v2, vcc
	v_ashrrev_i32_e32 v3, 31, v2
	v_lshl_add_u64 v[4:5], v[2:3], 2, s[12:13]
	v_or_b32_e32 v2, 16, v1
	v_add_u32_e32 v3, v2, v10
	v_ashrrev_i32_e32 v3, 5, v3
	v_cmp_gt_i32_e32 vcc, s40, v2
	s_nop 1
	v_cndmask_b32_e32 v2, v11, v3, vcc
	v_ashrrev_i32_e32 v3, 31, v2
	v_lshl_add_u64 v[6:7], v[2:3], 2, s[12:13]
	v_or_b32_e32 v2, 32, v1
	v_add_u32_e32 v3, v2, v10
	v_ashrrev_i32_e32 v3, 5, v3
	v_cmp_gt_i32_e32 vcc, s40, v2
	v_or_b32_e32 v1, 48, v1
	s_nop 0
	v_cndmask_b32_e32 v2, v11, v3, vcc
	v_ashrrev_i32_e32 v3, 31, v2
	v_lshl_add_u64 v[8:9], v[2:3], 2, s[12:13]
	v_add_u32_e32 v2, v1, v10
	v_ashrrev_i32_e32 v2, 5, v2
	v_cmp_gt_i32_e32 vcc, s40, v1
	s_nop 1
	v_cndmask_b32_e32 v2, v11, v2, vcc
	v_ashrrev_i32_e32 v3, 31, v2
	v_lshl_add_u64 v[12:13], v[2:3], 2, s[12:13]
	global_load_dword v3, v[4:5], off
	global_load_dword v2, v[6:7], off
	;; [unrolled: 1-line block ×4, first 2 shown]
	s_andn2_b64 vcc, exec, s[8:9]
	s_cbranch_vccnz .LBB139_8
; %bb.6:
	s_add_u32 s6, s6, s10
	s_addc_u32 s7, s7, s11
	s_load_dword s5, s[6:7], 0x0
	s_branch .LBB139_9
.LBB139_7:
	s_mov_b64 s[12:13], 0
	s_branch .LBB139_2
.LBB139_8:
	s_mov_b32 s5, s2
.LBB139_9:
	s_load_dwordx4 s[8:11], s[0:1], 0x8
	s_load_dwordx4 s[44:47], s[0:1], 0x48
	v_and_b32_e32 v52, 15, v0
	s_movk_i32 s6, 0x7f
	v_cmp_lt_u32_e32 vcc, s6, v0
	v_cmp_lt_u32_e64 s[6:7], 7, v52
	v_lshlrev_b32_e32 v34, 3, v52
	v_cmp_gt_u32_e64 s[30:31], 8, v52
	s_or_b64 s[6:7], vcc, s[6:7]
	s_and_saveexec_b64 s[16:17], s[6:7]
	s_xor_b64 s[6:7], exec, s[16:17]
; %bb.10:
	v_mov_b32_e32 v35, 0
; %bb.11:
	s_or_saveexec_b64 s[6:7], s[6:7]
	v_lshrrev_b32_e32 v53, 6, v0
	v_and_b32_e32 v54, 63, v0
	s_lshl_b32 s29, s4, 3
	v_bfe_u32 v1, v0, 4, 2
	s_xor_b64 exec, exec, s[6:7]
	s_cbranch_execz .LBB139_13
; %bb.12:
	s_load_dwordx2 s[16:17], s[0:1], 0x0
	s_waitcnt lgkmcnt(0)
	s_ashr_i32 s18, s44, 31
	s_mul_hi_u32 s19, s5, s44
	s_mul_i32 s18, s5, s18
	s_add_i32 s19, s19, s18
	s_mul_i32 s18, s5, s44
	v_lshl_or_b32 v8, v53, 2, v1
	s_lshl_b64 s[18:19], s[18:19], 1
	s_add_u32 s16, s16, s18
	v_add_lshl_u32 v4, v8, s29, 6
	s_addc_u32 s17, s17, s19
	v_ashrrev_i32_e32 v5, 31, v4
	v_mov_b32_e32 v35, 0
	v_lshl_add_u64 v[4:5], v[4:5], 1, s[16:17]
	v_lshlrev_b32_e32 v6, 1, v34
	v_mov_b32_e32 v7, v35
	v_lshl_add_u64 v[4:5], v[4:5], 0, v[6:7]
	global_load_dwordx4 v[4:7], v[4:5], off
	v_and_b32_e32 v9, 3, v0
	v_lshlrev_b32_e32 v11, 9, v52
	v_lshlrev_b32_e32 v8, 5, v8
	;; [unrolled: 1-line block ×3, first 2 shown]
	v_and_b32_e32 v11, 0x1800, v11
	v_or3_b32 v8, v11, v9, v8
	s_waitcnt vmcnt(0)
	ds_write_b128 v8, v[4:7]
.LBB139_13:
	s_or_b64 exec, exec, s[6:7]
	s_waitcnt lgkmcnt(0)
	s_mul_i32 s4, s4, s46
	s_mov_b32 s5, 0
	s_lshl_b64 s[4:5], s[4:5], 1
	s_add_u32 s8, s8, s4
	s_addc_u32 s9, s9, s5
	s_waitcnt vmcnt(3)
	v_mad_i64_i32 v[4:5], s[16:17], v3, s45, 0
	v_lshl_add_u64 v[4:5], v[4:5], 1, s[8:9]
	v_lshlrev_b64 v[12:13], 1, v[34:35]
	v_lshlrev_b32_e32 v36, 9, v1
	v_lshl_add_u64 v[4:5], v[4:5], 0, v[12:13]
	v_mov_b32_e32 v37, 0
	v_lshl_add_u64 v[20:21], v[4:5], 0, v[36:37]
	s_waitcnt vmcnt(2)
	v_mad_i64_i32 v[2:3], s[16:17], v2, s45, 0
	v_mov_b32_e32 v4, 0x100
	v_lshl_add_u64 v[2:3], v[2:3], 1, s[8:9]
	v_lshl_or_b32 v38, v52, 4, v4
	v_mov_b32_e32 v39, v37
	s_load_dword s33, s[0:1], 0x98
	s_load_dword s6, s[0:1], 0x1c
	s_waitcnt lgkmcnt(0)
	s_barrier
	v_lshl_add_u64 v[2:3], v[2:3], 0, v[38:39]
	global_load_dwordx4 v[6:9], v[20:21], off
	v_lshl_add_u64 v[22:23], v[2:3], 0, v[36:37]
	global_load_dwordx4 v[2:5], v[22:23], off
	global_load_dwordx4 v[26:29], v[22:23], off offset:2048
	s_waitcnt vmcnt(4)
	v_mad_i64_i32 v[10:11], s[16:17], v10, s45, 0
	v_lshl_add_u64 v[10:11], v[10:11], 1, s[8:9]
	v_lshl_add_u64 v[10:11], v[10:11], 0, v[12:13]
	;; [unrolled: 1-line block ×3, first 2 shown]
	global_load_dwordx4 v[10:13], v[20:21], off offset:2048
	global_load_dwordx4 v[14:17], v[24:25], off
	global_load_dwordx4 v[30:33], v[24:25], off offset:2048
	s_waitcnt vmcnt(6)
	v_mad_i64_i32 v[40:41], s[16:17], v18, s45, 0
	v_lshl_add_u64 v[40:41], v[40:41], 1, s[8:9]
	v_and_b32_e32 v19, 7, v0
	v_lshl_add_u64 v[38:39], v[40:41], 0, v[38:39]
	v_lshl_or_b32 v18, v19, 5, v36
	v_lshl_add_u64 v[38:39], v[38:39], 0, v[36:37]
	ds_read_b128 v[22:25], v18
	ds_read_b128 v[18:21], v18 offset:2048
	global_load_dwordx4 v[44:47], v[38:39], off
	global_load_dwordx4 v[60:63], v[38:39], off offset:2048
	s_ashr_i32 s7, s14, 31
	v_and_or_b32 v55, v0, 48, s14
	s_lshr_b32 s7, s7, 27
	v_add_u32_e32 v40, s7, v55
	v_mov_b32_e32 v64, s15
	v_or_b32_e32 v48, 64, v55
	v_ashrrev_i32_e32 v36, 5, v40
	v_cmp_gt_i32_e32 vcc, s40, v55
	v_add_u32_e32 v41, s7, v48
	v_ashrrev_i32_e32 v49, 5, v41
	v_cndmask_b32_e32 v40, v64, v36, vcc
	v_ashrrev_i32_e32 v41, 31, v40
	v_lshl_add_u64 v[40:41], v[40:41], 2, s[12:13]
	v_cmp_gt_i32_e32 vcc, s40, v48
	global_load_dword v65, v[40:41], off
	v_or_b32_e32 v39, 0x80, v55
	v_and_b32_e32 v36, 16, v0
	s_add_u32 s4, s10, s4
	v_lshlrev_b32_e32 v38, 6, v52
	s_addc_u32 s5, s11, s5
	v_lshlrev_b32_e32 v36, 1, v36
	s_mov_b32 s42, 0xff7fffff
	s_waitcnt vmcnt(8) lgkmcnt(1)
	v_mfma_f32_16x16x16_f16 v[40:43], v[6:7], v[22:23], 0
	v_cndmask_b32_e32 v6, v64, v49, vcc
	v_ashrrev_i32_e32 v7, 31, v6
	v_cmp_gt_i32_e32 vcc, s40, v39
	s_waitcnt vmcnt(7)
	v_mfma_f32_16x16x16_f16 v[48:51], v[2:3], v[22:23], 0
	v_lshl_add_u64 v[2:3], v[6:7], 2, s[12:13]
	global_load_dword v66, v[2:3], off
	v_mfma_f32_16x16x16_f16 v[6:9], v[8:9], v[24:25], v[40:43]
	v_mfma_f32_16x16x16_f16 v[2:5], v[4:5], v[24:25], v[48:51]
	s_nop 1
	v_or_b32_e32 v40, 0xc0, v55
	v_add_u32_e32 v41, s7, v39
	v_add_u32_e32 v42, s7, v40
	s_waitcnt vmcnt(6) lgkmcnt(0)
	v_mfma_f32_16x16x16_f16 v[6:9], v[10:11], v[18:19], v[6:9]
	v_ashrrev_i32_e32 v41, 5, v41
	v_ashrrev_i32_e32 v43, 5, v42
	v_cndmask_b32_e32 v42, v64, v41, vcc
	s_waitcnt vmcnt(5)
	v_mfma_f32_16x16x16_f16 v[56:59], v[14:15], v[22:23], 0
	v_cmp_gt_i32_e32 vcc, s40, v40
	v_lshl_add_u64 v[10:11], s[4:5], 0, v[36:37]
	v_lshl_or_b32 v36, v53, 10, v38
	v_mfma_f32_16x16x16_f16 v[2:5], v[26:27], v[18:19], v[2:5]
	v_cndmask_b32_e32 v26, v64, v43, vcc
	v_ashrrev_i32_e32 v43, 31, v42
	v_ashrrev_i32_e32 v27, 31, v26
	v_mfma_f32_16x16x16_f16 v[38:41], v[12:13], v[20:21], v[6:9]
	v_lshl_add_u64 v[10:11], v[10:11], 0, v[36:37]
	s_waitcnt vmcnt(0)
	v_mad_i64_i32 v[12:13], s[4:5], v66, s45, 0
	v_lshl_add_u64 v[6:7], v[42:43], 2, s[12:13]
	v_mfma_f32_16x16x16_f16 v[14:17], v[16:17], v[24:25], v[56:59]
	v_lshl_add_u64 v[8:9], v[26:27], 2, s[12:13]
	global_load_dword v55, v[6:7], off
	s_nop 0
	global_load_dword v58, v[8:9], off
	v_lshl_add_u64 v[56:57], v[12:13], 1, v[10:11]
	v_mfma_f32_16x16x16_f16 v[14:17], v[30:31], v[18:19], v[14:17]
	v_pk_mul_f32 v[12:13], s[6:7], v[38:39] op_sel_hi:[0,1]
	v_pk_mul_f32 v[48:49], s[6:7], v[40:41] op_sel_hi:[0,1]
	v_mfma_f32_16x16x16_f16 v[14:17], v[32:33], v[20:21], v[14:17]
	v_mfma_f32_16x16x16_f16 v[30:33], v[44:45], v[22:23], 0
	v_mfma_f32_16x16x16_f16 v[22:25], v[46:47], v[24:25], v[30:33]
	s_nop 4
	v_pk_mul_f32 v[44:45], s[6:7], v[16:17] op_sel_hi:[0,1]
	v_pk_mul_f32 v[46:47], s[6:7], v[14:15] op_sel_hi:[0,1]
	v_mfma_f32_16x16x16_f16 v[22:25], v[60:61], v[18:19], v[22:25]
	v_mfma_f32_16x16x16_f16 v[14:17], v[62:63], v[20:21], v[22:25]
	;; [unrolled: 1-line block ×3, first 2 shown]
	s_nop 5
	v_pk_mul_f32 v[42:43], s[6:7], v[14:15] op_sel_hi:[0,1]
	v_and_b32_e32 v14, 0xc0, v0
	v_add_u32_e32 v14, s14, v14
	v_lshl_or_b32 v14, v1, 2, v14
	v_mad_i64_i32 v[2:3], s[4:5], v65, s45, 0
	v_pk_mul_f32 v[36:37], s[6:7], v[16:17] op_sel_hi:[0,1]
	v_or_b32_e32 v17, 1, v14
	v_mov_b32_e32 v15, 0xff7fffff
	v_cmp_gt_i32_e64 s[4:5], s40, v14
	v_cmp_gt_i32_e64 s[34:35], s40, v17
	v_or_b32_e32 v18, 3, v14
	v_cndmask_b32_e64 v16, v15, v12, s[4:5]
	v_cndmask_b32_e64 v17, v15, v13, s[34:35]
	v_max3_f32 v16, v16, s42, v17
	v_or_b32_e32 v17, 2, v14
	v_cmp_gt_i32_e64 s[36:37], s40, v17
	v_cmp_gt_i32_e64 s[38:39], s40, v18
	v_pk_mul_f32 v[40:41], s[6:7], v[26:27] op_sel_hi:[0,1]
	v_cndmask_b32_e64 v17, v15, v48, s[36:37]
	v_cndmask_b32_e64 v18, v15, v49, s[38:39]
	v_max3_f32 v16, v16, v17, v18
	v_or_b32_e32 v17, 16, v14
	v_or_b32_e32 v18, 17, v14
	v_cmp_gt_i32_e64 s[24:25], s40, v17
	v_cmp_gt_i32_e64 s[26:27], s40, v18
	v_pk_mul_f32 v[50:51], s[6:7], v[28:29] op_sel_hi:[0,1]
	v_cndmask_b32_e64 v17, v15, v40, s[24:25]
	v_cndmask_b32_e64 v18, v15, v41, s[26:27]
	v_max3_f32 v16, v16, v17, v18
	v_or_b32_e32 v17, 18, v14
	v_or_b32_e32 v18, 19, v14
	v_cmp_gt_i32_e64 s[20:21], s40, v17
	v_cmp_gt_i32_e64 s[22:23], s40, v18
	v_lshl_add_u64 v[2:3], v[2:3], 1, v[10:11]
	v_cndmask_b32_e64 v17, v15, v50, s[20:21]
	v_cndmask_b32_e64 v18, v15, v51, s[22:23]
	v_max3_f32 v16, v16, v17, v18
	v_or_b32_e32 v17, 32, v14
	v_or_b32_e32 v18, 33, v14
	v_cmp_gt_i32_e64 s[16:17], s40, v17
	v_cmp_gt_i32_e64 s[18:19], s40, v18
	global_load_dwordx4 v[6:9], v[2:3], off
	s_nop 0
	global_load_dwordx4 v[2:5], v[2:3], off offset:16
	v_cndmask_b32_e64 v17, v15, v46, s[16:17]
	v_cndmask_b32_e64 v18, v15, v47, s[18:19]
	v_max3_f32 v16, v16, v17, v18
	v_or_b32_e32 v17, 34, v14
	v_or_b32_e32 v18, 35, v14
	v_cmp_gt_i32_e64 s[12:13], s40, v17
	v_cmp_gt_i32_e64 s[14:15], s40, v18
	global_load_dwordx4 v[30:33], v[56:57], off
	global_load_dwordx4 v[26:29], v[56:57], off offset:16
	v_cndmask_b32_e64 v17, v15, v44, s[12:13]
	v_cndmask_b32_e64 v18, v15, v45, s[14:15]
	v_max3_f32 v16, v16, v17, v18
	v_or_b32_e32 v17, 48, v14
	v_or_b32_e32 v18, 49, v14
	v_cmp_gt_i32_e64 s[8:9], s40, v17
	v_cmp_gt_i32_e64 s[10:11], s40, v18
	s_nop 0
	v_cndmask_b32_e64 v17, v15, v42, s[8:9]
	v_cndmask_b32_e64 v18, v15, v43, s[10:11]
	v_max3_f32 v16, v16, v17, v18
	v_or_b32_e32 v17, 50, v14
	v_or_b32_e32 v14, 51, v14
	v_cmp_gt_i32_e32 vcc, s40, v17
	v_cmp_gt_i32_e64 s[6:7], s40, v14
	s_nop 0
	v_cndmask_b32_e32 v17, v15, v36, vcc
	v_cndmask_b32_e64 v14, v15, v37, s[6:7]
	v_max3_f32 v16, v16, v17, v14
	v_mbcnt_lo_u32_b32 v14, -1, 0
	v_mbcnt_hi_u32_b32 v17, -1, v14
	v_and_b32_e32 v14, 64, v17
	v_add_u32_e32 v18, 64, v14
	v_xor_b32_e32 v14, 32, v17
	v_cmp_lt_i32_e64 s[40:41], v14, v18
	s_nop 1
	v_cndmask_b32_e64 v14, v17, v14, s[40:41]
	v_lshlrev_b32_e32 v59, 2, v14
	ds_bpermute_b32 v19, v59, v16
	s_waitcnt vmcnt(5)
	v_mad_i64_i32 v[14:15], s[40:41], v55, s45, 0
	v_lshl_add_u64 v[14:15], v[14:15], 1, v[10:11]
	s_waitcnt lgkmcnt(0)
	v_max_f32_e32 v19, v19, v19
	v_max_f32_e32 v16, v16, v19
	v_xor_b32_e32 v19, 16, v17
	v_cmp_lt_i32_e64 s[40:41], v19, v18
	s_nop 1
	v_cndmask_b32_e64 v17, v17, v19, s[40:41]
	v_lshlrev_b32_e32 v56, 2, v17
	ds_bpermute_b32 v17, v56, v16
	global_load_dwordx4 v[22:25], v[14:15], off
	global_load_dwordx4 v[18:21], v[14:15], off offset:16
	s_waitcnt vmcnt(6)
	v_mad_i64_i32 v[14:15], s[40:41], v58, s45, 0
	v_lshl_add_u64 v[10:11], v[14:15], 1, v[10:11]
	s_waitcnt lgkmcnt(0)
	v_max_f32_e32 v14, v17, v17
	v_max_f32_e32 v55, v16, v14
	v_sub_f32_e32 v12, v12, v55
	v_mul_f32_e32 v12, 0x3fb8aa3b, v12
	v_exp_f32_e32 v38, v12
	v_sub_f32_e32 v12, v13, v55
	v_mul_f32_e32 v12, 0x3fb8aa3b, v12
	v_exp_f32_e32 v39, v12
	global_load_dwordx4 v[14:17], v[10:11], off
	s_nop 0
	global_load_dwordx4 v[10:13], v[10:11], off offset:16
	v_sub_f32_e32 v48, v48, v55
	v_mul_f32_e32 v48, 0x3fb8aa3b, v48
	v_sub_f32_e32 v49, v49, v55
	v_exp_f32_e32 v48, v48
	v_mul_f32_e32 v49, 0x3fb8aa3b, v49
	v_sub_f32_e32 v40, v40, v55
	v_exp_f32_e32 v49, v49
	v_mul_f32_e32 v40, 0x3fb8aa3b, v40
	v_sub_f32_e32 v41, v41, v55
	v_cndmask_b32_e64 v38, 0, v38, s[4:5]
	v_exp_f32_e32 v40, v40
	v_mul_f32_e32 v41, 0x3fb8aa3b, v41
	v_sub_f32_e32 v50, v50, v55
	v_add_f32_e32 v57, 0, v38
	v_cndmask_b32_e64 v39, 0, v39, s[34:35]
	v_exp_f32_e32 v41, v41
	v_mul_f32_e32 v50, 0x3fb8aa3b, v50
	v_sub_f32_e32 v51, v51, v55
	v_add_f32_e32 v57, v57, v39
	;; [unrolled: 5-line block ×10, first 2 shown]
	v_cndmask_b32_e64 v44, 0, v44, s[12:13]
	v_exp_f32_e32 v36, v36
	v_mul_f32_e32 v37, 0x3fb8aa3b, v37
	v_add_f32_e32 v57, v57, v44
	v_cndmask_b32_e64 v45, 0, v45, s[14:15]
	v_exp_f32_e32 v37, v37
	v_add_f32_e32 v57, v57, v45
	v_cndmask_b32_e64 v42, 0, v42, s[8:9]
	v_add_f32_e32 v57, v57, v42
	v_cndmask_b32_e64 v43, 0, v43, s[10:11]
	v_add_f32_e32 v57, v57, v43
	v_cndmask_b32_e32 v36, 0, v36, vcc
	v_add_f32_e32 v57, v57, v36
	v_cndmask_b32_e64 v37, 0, v37, s[6:7]
	v_add_f32_e32 v57, v57, v37
	ds_bpermute_b32 v58, v59, v57
	v_cmp_gt_u32_e32 vcc, 16, v54
	s_waitcnt lgkmcnt(0)
	s_barrier
	v_add_f32_e32 v57, v57, v58
	ds_bpermute_b32 v58, v56, v57
	v_lshlrev_b32_e32 v56, 2, v52
	s_and_saveexec_b64 s[4:5], vcc
	s_cbranch_execz .LBB139_15
; %bb.14:
	s_waitcnt lgkmcnt(0)
	v_add_f32_e32 v54, v57, v58
	v_lshl_or_b32 v57, v53, 6, v56
	ds_write2st64_b32 v57, v55, v54 offset1:1
.LBB139_15:
	s_or_b64 exec, exec, s[4:5]
	s_load_dword s6, s[0:1], 0x94
	s_waitcnt lgkmcnt(0)
	s_barrier
	ds_read2_b32 v[58:59], v56 offset1:16
	ds_read2_b32 v[60:61], v56 offset0:32 offset1:48
	ds_read2_b32 v[62:63], v56 offset0:64 offset1:80
	;; [unrolled: 1-line block ×3, first 2 shown]
	s_waitcnt lgkmcnt(0)
	v_max3_f32 v54, v58, s42, v59
	v_max3_f32 v54, v54, v60, v61
	v_sub_f32_e32 v55, v58, v54
	v_mul_f32_e32 v55, 0x3fb8aa3b, v55
	v_exp_f32_e32 v58, v55
	v_sub_f32_e32 v55, v59, v54
	v_mul_f32_e32 v55, 0x3fb8aa3b, v55
	v_exp_f32_e32 v59, v55
	;; [unrolled: 3-line block ×4, first 2 shown]
	v_fma_f32 v55, v58, v62, 0
	v_fmac_f32_e32 v55, v59, v63
	v_fmac_f32_e32 v55, v60, v56
	v_fmac_f32_e32 v55, v61, v57
	v_add_f32_e32 v56, 0x358637bd, v55
	v_div_scale_f32 v57, s[4:5], v56, v56, 1.0
	v_rcp_f32_e32 v62, v57
	s_barrier
	s_lshl_b32 s7, s33, 3
	v_fma_f32 v63, -v57, v62, 1.0
	v_fmac_f32_e32 v62, v63, v62
	v_div_scale_f32 v63, vcc, 1.0, v56, 1.0
	v_mul_f32_e32 v64, v63, v62
	v_fma_f32 v65, -v57, v64, v63
	v_fmac_f32_e32 v64, v65, v62
	v_fma_f32 v57, -v57, v64, v63
	v_div_fmas_f32 v57, v57, v62, v64
	v_cmp_eq_u32_e32 vcc, 1, v53
	v_div_fixup_f32 v56, v57, v56, 1.0
	s_nop 0
	v_cndmask_b32_e32 v57, v58, v59, vcc
	v_cmp_eq_u32_e32 vcc, 2, v53
	s_nop 1
	v_cndmask_b32_e32 v57, v57, v60, vcc
	v_cmp_eq_u32_e32 vcc, 3, v53
	s_nop 1
	v_cndmask_b32_e32 v57, v57, v61, vcc
	v_mul_f32_e32 v56, v57, v56
	v_pk_mul_f32 v[48:49], v[56:57], v[48:49] op_sel_hi:[0,1]
	v_pk_mul_f32 v[38:39], v[56:57], v[38:39] op_sel_hi:[0,1]
	v_cvt_f16_f32_e32 v57, v48
	v_cvt_f16_f32_e32 v38, v38
	;; [unrolled: 1-line block ×4, first 2 shown]
	v_pk_mul_f32 v[50:51], v[56:57], v[50:51] op_sel_hi:[0,1]
	v_pk_mul_f32 v[40:41], v[56:57], v[40:41] op_sel_hi:[0,1]
	v_cvt_f16_f32_e32 v40, v40
	v_cvt_f16_f32_e32 v41, v41
	v_cvt_f16_f32_e32 v50, v50
	v_cvt_f16_f32_e32 v51, v51
	v_pack_b32_f16 v48, v38, v39
	v_lshlrev_b32_e32 v38, 3, v1
	v_lshlrev_b32_e32 v39, 5, v52
	;; [unrolled: 1-line block ×3, first 2 shown]
	v_pack_b32_f16 v49, v57, v49
	v_or3_b32 v38, v52, v39, v38
	v_pack_b32_f16 v40, v40, v41
	v_pack_b32_f16 v41, v50, v51
	ds_write2st64_b64 v38, v[48:49], v[40:41] offset1:1
	v_pk_mul_f32 v[40:41], v[56:57], v[44:45] op_sel_hi:[0,1]
	v_pk_mul_f32 v[44:45], v[56:57], v[46:47] op_sel_hi:[0,1]
	v_cvt_f16_f32_e32 v46, v40
	v_cvt_f16_f32_e32 v47, v41
	v_pk_mul_f32 v[36:37], v[56:57], v[36:37] op_sel_hi:[0,1]
	v_pk_mul_f32 v[40:41], v[56:57], v[42:43] op_sel_hi:[0,1]
	v_cvt_f16_f32_e32 v44, v44
	v_cvt_f16_f32_e32 v45, v45
	;; [unrolled: 1-line block ×6, first 2 shown]
	v_pack_b32_f16 v36, v44, v45
	v_pack_b32_f16 v37, v46, v47
	;; [unrolled: 1-line block ×4, first 2 shown]
	v_cmp_gt_u32_e32 vcc, 8, v0
	ds_write2st64_b64 v38, v[36:37], v[40:41] offset0:2 offset1:3
	s_and_saveexec_b64 s[4:5], vcc
	s_cbranch_execz .LBB139_17
; %bb.16:
	v_or_b32_e32 v36, s29, v0
	v_mov_b32_e32 v37, 0
	v_mov_b32_e32 v40, s7
	v_mad_u64_u32 v[40:41], s[12:13], s2, v40, v[36:37]
	v_mov_b32_e32 v36, s28
	s_load_dwordx4 s[8:11], s[0:1], 0x58
	s_mul_i32 s3, s3, s7
	v_mad_u64_u32 v[36:37], s[12:13], v40, s6, v[36:37]
	v_add_u32_e32 v41, s3, v41
	v_mov_b32_e32 v40, v37
	v_mad_u64_u32 v[40:41], s[12:13], v41, s6, v[40:41]
	v_mov_b32_e32 v37, v40
	v_lshlrev_b64 v[36:37], 2, v[36:37]
	s_waitcnt lgkmcnt(0)
	v_lshl_add_u64 v[40:41], s[10:11], 0, v[36:37]
	v_lshl_add_u64 v[36:37], s[8:9], 0, v[36:37]
	global_store_dword v[40:41], v54, off
	global_store_dword v[36:37], v55, off
.LBB139_17:
	s_or_b64 exec, exec, s[4:5]
	v_lshl_or_b32 v36, v1, 9, v39
	s_waitcnt lgkmcnt(0)
	s_barrier
	ds_read_b128 v[40:43], v36
	ds_read_b128 v[44:47], v36 offset:16
	s_waitcnt vmcnt(7) lgkmcnt(1)
	v_mfma_f32_16x16x16_f16 v[48:51], v[6:7], v[40:41], 0
	v_cmp_gt_u32_e32 vcc, 64, v0
	s_mov_b32 s3, 0
	s_and_b64 s[4:5], vcc, s[30:31]
	v_mfma_f32_16x16x16_f16 v[6:9], v[8:9], v[42:43], v[48:51]
	s_waitcnt vmcnt(6) lgkmcnt(0)
	v_mfma_f32_16x16x16_f16 v[6:9], v[2:3], v[44:45], v[6:9]
	v_mfma_f32_16x16x16_f16 v[2:5], v[4:5], v[46:47], v[6:9]
	s_nop 5
	ds_read_b128 v[6:9], v36 offset:2048
	ds_read_b128 v[40:43], v36 offset:2064
	s_waitcnt vmcnt(5) lgkmcnt(1)
	v_mfma_f32_16x16x16_f16 v[2:5], v[30:31], v[6:7], v[2:5]
	v_mfma_f32_16x16x16_f16 v[2:5], v[32:33], v[8:9], v[2:5]
	s_waitcnt vmcnt(4) lgkmcnt(0)
	v_mfma_f32_16x16x16_f16 v[2:5], v[26:27], v[40:41], v[2:5]
	v_mfma_f32_16x16x16_f16 v[2:5], v[28:29], v[42:43], v[2:5]
	ds_read_b128 v[6:9], v36 offset:4096
	ds_read_b128 v[26:29], v36 offset:4112
	s_waitcnt vmcnt(3) lgkmcnt(1)
	v_mfma_f32_16x16x16_f16 v[2:5], v[22:23], v[6:7], v[2:5]
	v_mfma_f32_16x16x16_f16 v[2:5], v[24:25], v[8:9], v[2:5]
	s_waitcnt vmcnt(2) lgkmcnt(0)
	v_mfma_f32_16x16x16_f16 v[2:5], v[18:19], v[26:27], v[2:5]
	v_mfma_f32_16x16x16_f16 v[2:5], v[20:21], v[28:29], v[2:5]
	ds_read_b128 v[6:9], v36 offset:6144
	ds_read_b128 v[18:21], v36 offset:6160
	s_waitcnt lgkmcnt(0)
	s_barrier
	s_waitcnt vmcnt(1)
	v_mfma_f32_16x16x16_f16 v[2:5], v[14:15], v[6:7], v[2:5]
	v_mfma_f32_16x16x16_f16 v[2:5], v[16:17], v[8:9], v[2:5]
	s_waitcnt vmcnt(0)
	v_mfma_f32_16x16x16_f16 v[2:5], v[10:11], v[18:19], v[2:5]
	v_mfma_f32_16x16x16_f16 v[2:5], v[12:13], v[20:21], v[2:5]
	s_nop 6
	v_cvt_f16_f32_e32 v2, v2
	v_cvt_f16_f32_e32 v3, v3
	;; [unrolled: 1-line block ×4, first 2 shown]
	v_pack_b32_f16 v2, v2, v3
	v_pack_b32_f16 v3, v4, v5
	ds_write_b64 v38, v[2:3]
	s_waitcnt lgkmcnt(0)
	s_barrier
	s_and_saveexec_b64 s[8:9], s[4:5]
	s_cbranch_execz .LBB139_19
; %bb.18:
	s_load_dwordx2 s[0:1], s[0:1], 0x68
	s_lshl_b32 s6, s6, 6
	s_mul_i32 s2, s7, s2
	s_mul_hi_u32 s5, s2, s6
	s_mul_i32 s4, s2, s6
	s_lshl_b64 s[4:5], s[4:5], 1
	v_lshlrev_b32_e32 v2, 10, v0
	v_lshlrev_b32_e32 v0, 4, v0
	s_waitcnt lgkmcnt(0)
	s_add_u32 s4, s0, s4
	v_and_b32_e32 v2, 0x1800, v2
	v_lshlrev_b32_e32 v3, 5, v1
	v_and_b32_e32 v0, 16, v0
	s_addc_u32 s5, s1, s5
	s_lshl_b32 s2, s28, 6
	v_or3_b32 v0, v2, v3, v0
	s_lshl_b64 s[0:1], s[2:3], 1
	ds_read_b128 v[2:5], v0
	ds_read_b128 v[6:9], v0 offset:128
	s_add_u32 s0, s4, s0
	s_addc_u32 s1, s5, s1
	v_or_b32_e32 v12, s29, v1
	v_lshl_add_u64 v[10:11], v[34:35], 1, s[0:1]
	v_mad_u64_u32 v[0:1], s[0:1], v12, s6, 0
	v_lshl_add_u64 v[0:1], v[0:1], 1, v[10:11]
	s_waitcnt lgkmcnt(1)
	global_store_dwordx4 v[0:1], v[2:5], off
	v_or_b32_e32 v0, 4, v12
	v_mad_u64_u32 v[0:1], s[0:1], v0, s6, 0
	v_lshl_add_u64 v[0:1], v[0:1], 1, v[10:11]
	s_waitcnt lgkmcnt(0)
	global_store_dwordx4 v[0:1], v[6:9], off
.LBB139_19:
	s_endpgm
	.section	.rodata,"a",@progbits
	.p2align	6, 0x0
	.amdhsa_kernel _Z39paged_attention_ll4mi_QKV_mfma16_kernelIDF16_DF16_LN4vllm18Fp8KVCacheDataTypeE0EhLi32ELi64ELi256ELb0ELi8EEvPKT_PKT0_S7_ifPKiS9_S9_iPKfiiiPfSC_PS2_PT2_iSB_SB_
		.amdhsa_group_segment_fixed_size 8192
		.amdhsa_private_segment_fixed_size 0
		.amdhsa_kernarg_size 400
		.amdhsa_user_sgpr_count 2
		.amdhsa_user_sgpr_dispatch_ptr 0
		.amdhsa_user_sgpr_queue_ptr 0
		.amdhsa_user_sgpr_kernarg_segment_ptr 1
		.amdhsa_user_sgpr_dispatch_id 0
		.amdhsa_user_sgpr_kernarg_preload_length 0
		.amdhsa_user_sgpr_kernarg_preload_offset 0
		.amdhsa_user_sgpr_private_segment_size 0
		.amdhsa_uses_dynamic_stack 0
		.amdhsa_enable_private_segment 0
		.amdhsa_system_sgpr_workgroup_id_x 1
		.amdhsa_system_sgpr_workgroup_id_y 1
		.amdhsa_system_sgpr_workgroup_id_z 1
		.amdhsa_system_sgpr_workgroup_info 0
		.amdhsa_system_vgpr_workitem_id 0
		.amdhsa_next_free_vgpr 67
		.amdhsa_next_free_sgpr 48
		.amdhsa_accum_offset 68
		.amdhsa_reserve_vcc 1
		.amdhsa_float_round_mode_32 0
		.amdhsa_float_round_mode_16_64 0
		.amdhsa_float_denorm_mode_32 3
		.amdhsa_float_denorm_mode_16_64 3
		.amdhsa_dx10_clamp 1
		.amdhsa_ieee_mode 1
		.amdhsa_fp16_overflow 0
		.amdhsa_tg_split 0
		.amdhsa_exception_fp_ieee_invalid_op 0
		.amdhsa_exception_fp_denorm_src 0
		.amdhsa_exception_fp_ieee_div_zero 0
		.amdhsa_exception_fp_ieee_overflow 0
		.amdhsa_exception_fp_ieee_underflow 0
		.amdhsa_exception_fp_ieee_inexact 0
		.amdhsa_exception_int_div_zero 0
	.end_amdhsa_kernel
	.section	.text._Z39paged_attention_ll4mi_QKV_mfma16_kernelIDF16_DF16_LN4vllm18Fp8KVCacheDataTypeE0EhLi32ELi64ELi256ELb0ELi8EEvPKT_PKT0_S7_ifPKiS9_S9_iPKfiiiPfSC_PS2_PT2_iSB_SB_,"axG",@progbits,_Z39paged_attention_ll4mi_QKV_mfma16_kernelIDF16_DF16_LN4vllm18Fp8KVCacheDataTypeE0EhLi32ELi64ELi256ELb0ELi8EEvPKT_PKT0_S7_ifPKiS9_S9_iPKfiiiPfSC_PS2_PT2_iSB_SB_,comdat
.Lfunc_end139:
	.size	_Z39paged_attention_ll4mi_QKV_mfma16_kernelIDF16_DF16_LN4vllm18Fp8KVCacheDataTypeE0EhLi32ELi64ELi256ELb0ELi8EEvPKT_PKT0_S7_ifPKiS9_S9_iPKfiiiPfSC_PS2_PT2_iSB_SB_, .Lfunc_end139-_Z39paged_attention_ll4mi_QKV_mfma16_kernelIDF16_DF16_LN4vllm18Fp8KVCacheDataTypeE0EhLi32ELi64ELi256ELb0ELi8EEvPKT_PKT0_S7_ifPKiS9_S9_iPKfiiiPfSC_PS2_PT2_iSB_SB_
                                        ; -- End function
	.section	.AMDGPU.csdata,"",@progbits
; Kernel info:
; codeLenInByte = 3824
; NumSgprs: 54
; NumVgprs: 67
; NumAgprs: 0
; TotalNumVgprs: 67
; ScratchSize: 0
; MemoryBound: 0
; FloatMode: 240
; IeeeMode: 1
; LDSByteSize: 8192 bytes/workgroup (compile time only)
; SGPRBlocks: 6
; VGPRBlocks: 8
; NumSGPRsForWavesPerEU: 54
; NumVGPRsForWavesPerEU: 67
; AccumOffset: 68
; Occupancy: 7
; WaveLimiterHint : 1
; COMPUTE_PGM_RSRC2:SCRATCH_EN: 0
; COMPUTE_PGM_RSRC2:USER_SGPR: 2
; COMPUTE_PGM_RSRC2:TRAP_HANDLER: 0
; COMPUTE_PGM_RSRC2:TGID_X_EN: 1
; COMPUTE_PGM_RSRC2:TGID_Y_EN: 1
; COMPUTE_PGM_RSRC2:TGID_Z_EN: 1
; COMPUTE_PGM_RSRC2:TIDIG_COMP_CNT: 0
; COMPUTE_PGM_RSRC3_GFX90A:ACCUM_OFFSET: 16
; COMPUTE_PGM_RSRC3_GFX90A:TG_SPLIT: 0
	.section	.text._Z39paged_attention_ll4mi_QKV_mfma16_kernelIDF16_DF16_LN4vllm18Fp8KVCacheDataTypeE0EhLi32ELi64ELi256ELb0ELi9EEvPKT_PKT0_S7_ifPKiS9_S9_iPKfiiiPfSC_PS2_PT2_iSB_SB_,"axG",@progbits,_Z39paged_attention_ll4mi_QKV_mfma16_kernelIDF16_DF16_LN4vllm18Fp8KVCacheDataTypeE0EhLi32ELi64ELi256ELb0ELi9EEvPKT_PKT0_S7_ifPKiS9_S9_iPKfiiiPfSC_PS2_PT2_iSB_SB_,comdat
	.protected	_Z39paged_attention_ll4mi_QKV_mfma16_kernelIDF16_DF16_LN4vllm18Fp8KVCacheDataTypeE0EhLi32ELi64ELi256ELb0ELi9EEvPKT_PKT0_S7_ifPKiS9_S9_iPKfiiiPfSC_PS2_PT2_iSB_SB_ ; -- Begin function _Z39paged_attention_ll4mi_QKV_mfma16_kernelIDF16_DF16_LN4vllm18Fp8KVCacheDataTypeE0EhLi32ELi64ELi256ELb0ELi9EEvPKT_PKT0_S7_ifPKiS9_S9_iPKfiiiPfSC_PS2_PT2_iSB_SB_
	.globl	_Z39paged_attention_ll4mi_QKV_mfma16_kernelIDF16_DF16_LN4vllm18Fp8KVCacheDataTypeE0EhLi32ELi64ELi256ELb0ELi9EEvPKT_PKT0_S7_ifPKiS9_S9_iPKfiiiPfSC_PS2_PT2_iSB_SB_
	.p2align	8
	.type	_Z39paged_attention_ll4mi_QKV_mfma16_kernelIDF16_DF16_LN4vllm18Fp8KVCacheDataTypeE0EhLi32ELi64ELi256ELb0ELi9EEvPKT_PKT0_S7_ifPKiS9_S9_iPKfiiiPfSC_PS2_PT2_iSB_SB_,@function
_Z39paged_attention_ll4mi_QKV_mfma16_kernelIDF16_DF16_LN4vllm18Fp8KVCacheDataTypeE0EhLi32ELi64ELi256ELb0ELi9EEvPKT_PKT0_S7_ifPKiS9_S9_iPKfiiiPfSC_PS2_PT2_iSB_SB_: ; @_Z39paged_attention_ll4mi_QKV_mfma16_kernelIDF16_DF16_LN4vllm18Fp8KVCacheDataTypeE0EhLi32ELi64ELi256ELb0ELi9EEvPKT_PKT0_S7_ifPKiS9_S9_iPKfiiiPfSC_PS2_PT2_iSB_SB_
; %bb.0:
	s_load_dwordx2 s[6:7], s[0:1], 0x30
	s_mov_b32 s28, s3
	s_mov_b64 s[10:11], 0
	s_waitcnt lgkmcnt(0)
	s_cmp_lg_u64 s[6:7], 0
	s_cselect_b64 s[8:9], -1, 0
	s_and_b64 vcc, exec, s[8:9]
	s_cbranch_vccz .LBB140_7
; %bb.1:
	s_add_i32 s12, s2, 1
	s_mov_b32 s13, 0
	s_lshl_b64 s[14:15], s[12:13], 2
	s_add_u32 s14, s6, s14
	s_mov_b32 s3, s13
	s_addc_u32 s15, s7, s15
	s_lshl_b64 s[12:13], s[2:3], 2
	s_add_u32 s12, s6, s12
	s_addc_u32 s13, s7, s13
	s_load_dword s5, s[14:15], 0x0
	s_load_dword s16, s[12:13], 0x0
	s_waitcnt lgkmcnt(0)
	s_sub_i32 s5, s5, s16
	s_cmp_eq_u32 s5, 1
	s_cselect_b64 s[12:13], -1, 0
	s_andn2_b64 vcc, exec, s[10:11]
	s_cbranch_vccnz .LBB140_3
.LBB140_2:
	s_mov_b32 s3, 0
	s_mov_b64 s[12:13], -1
.LBB140_3:
	s_andn2_b64 vcc, exec, s[12:13]
	s_cbranch_vccnz .LBB140_20
; %bb.4:
	s_load_dwordx2 s[12:13], s[0:1], 0x28
	s_lshl_b64 s[10:11], s[2:3], 2
	s_waitcnt lgkmcnt(0)
	s_add_u32 s12, s12, s10
	s_addc_u32 s13, s13, s11
	s_load_dword s33, s[12:13], 0x0
	s_lshl_b32 s14, s28, 8
	s_waitcnt lgkmcnt(0)
	s_cmp_ge_i32 s14, s33
	s_cbranch_scc1 .LBB140_20
; %bb.5:
	s_load_dwordx2 s[12:13], s[0:1], 0x20
	s_load_dword s5, s[0:1], 0x38
	s_add_i32 s15, s33, 31
	s_ashr_i32 s16, s15, 31
	v_and_b32_e32 v1, 0xcf, v0
	s_lshr_b32 s16, s16, 27
	v_add_u32_e32 v1, s14, v1
	s_add_i32 s15, s15, s16
	v_ashrrev_i32_e32 v2, 31, v1
	s_ashr_i32 s15, s15, 5
	v_lshrrev_b32_e32 v10, 27, v2
	s_add_i32 s15, s15, -1
	s_waitcnt lgkmcnt(0)
	s_mul_i32 s16, s2, s5
	s_mov_b32 s17, 0
	v_add_u32_e32 v2, v1, v10
	s_lshl_b64 s[16:17], s[16:17], 2
	v_ashrrev_i32_e32 v2, 5, v2
	v_mov_b32_e32 v11, s15
	v_cmp_gt_i32_e32 vcc, s33, v1
	s_add_u32 s12, s12, s16
	s_addc_u32 s13, s13, s17
	v_cndmask_b32_e32 v2, v11, v2, vcc
	v_ashrrev_i32_e32 v3, 31, v2
	v_lshl_add_u64 v[4:5], v[2:3], 2, s[12:13]
	v_or_b32_e32 v2, 16, v1
	v_add_u32_e32 v3, v2, v10
	v_ashrrev_i32_e32 v3, 5, v3
	v_cmp_gt_i32_e32 vcc, s33, v2
	s_nop 1
	v_cndmask_b32_e32 v2, v11, v3, vcc
	v_ashrrev_i32_e32 v3, 31, v2
	v_lshl_add_u64 v[6:7], v[2:3], 2, s[12:13]
	v_or_b32_e32 v2, 32, v1
	v_add_u32_e32 v3, v2, v10
	v_ashrrev_i32_e32 v3, 5, v3
	v_cmp_gt_i32_e32 vcc, s33, v2
	v_or_b32_e32 v1, 48, v1
	s_nop 0
	v_cndmask_b32_e32 v2, v11, v3, vcc
	v_ashrrev_i32_e32 v3, 31, v2
	v_lshl_add_u64 v[8:9], v[2:3], 2, s[12:13]
	v_add_u32_e32 v2, v1, v10
	v_ashrrev_i32_e32 v2, 5, v2
	v_cmp_gt_i32_e32 vcc, s33, v1
	s_nop 1
	v_cndmask_b32_e32 v2, v11, v2, vcc
	v_ashrrev_i32_e32 v3, 31, v2
	v_lshl_add_u64 v[12:13], v[2:3], 2, s[12:13]
	global_load_dword v3, v[4:5], off
	global_load_dword v2, v[6:7], off
	;; [unrolled: 1-line block ×4, first 2 shown]
	s_andn2_b64 vcc, exec, s[8:9]
	s_cbranch_vccnz .LBB140_8
; %bb.6:
	s_add_u32 s6, s6, s10
	s_addc_u32 s7, s7, s11
	s_load_dword s5, s[6:7], 0x0
	s_branch .LBB140_9
.LBB140_7:
	s_mov_b64 s[12:13], 0
	s_branch .LBB140_2
.LBB140_8:
	s_mov_b32 s5, s2
.LBB140_9:
	s_load_dwordx4 s[8:11], s[0:1], 0x8
	s_load_dwordx4 s[44:47], s[0:1], 0x48
	v_lshrrev_b32_e32 v1, 6, v0
	v_bfe_u32 v54, v0, 4, 2
	v_lshl_or_b32 v4, v1, 2, v54
	v_and_b32_e32 v36, 15, v0
	v_cmp_lt_u32_e32 vcc, 8, v4
	v_cmp_lt_u32_e64 s[6:7], 7, v36
	v_lshlrev_b32_e32 v34, 3, v36
	v_cmp_gt_u32_e64 s[30:31], 8, v36
	s_or_b64 s[6:7], s[6:7], vcc
	s_and_saveexec_b64 s[16:17], s[6:7]
	s_xor_b64 s[6:7], exec, s[16:17]
; %bb.10:
	v_mov_b32_e32 v35, 0
                                        ; implicit-def: $vgpr4
; %bb.11:
	s_or_saveexec_b64 s[6:7], s[6:7]
	v_and_b32_e32 v37, 63, v0
	s_mul_i32 s42, s4, 9
	s_xor_b64 exec, exec, s[6:7]
	s_cbranch_execz .LBB140_13
; %bb.12:
	s_load_dwordx2 s[16:17], s[0:1], 0x0
	s_waitcnt lgkmcnt(0)
	s_ashr_i32 s18, s44, 31
	s_mul_hi_u32 s19, s5, s44
	s_mul_i32 s18, s5, s18
	s_add_i32 s19, s19, s18
	s_mul_i32 s18, s5, s44
	s_lshl_b64 s[18:19], s[18:19], 1
	s_add_u32 s16, s16, s18
	v_add_lshl_u32 v6, v4, s42, 6
	s_addc_u32 s17, s17, s19
	v_ashrrev_i32_e32 v7, 31, v6
	v_mov_b32_e32 v35, 0
	v_lshl_add_u64 v[6:7], v[6:7], 1, s[16:17]
	v_lshlrev_b32_e32 v8, 1, v34
	v_mov_b32_e32 v9, v35
	v_lshl_add_u64 v[6:7], v[6:7], 0, v[8:9]
	global_load_dwordx4 v[6:9], v[6:7], off
	v_and_b32_e32 v5, 3, v0
	v_lshlrev_b32_e32 v11, 9, v36
	v_lshlrev_b32_e32 v4, 5, v4
	;; [unrolled: 1-line block ×3, first 2 shown]
	v_and_b32_e32 v11, 0x1800, v11
	v_or3_b32 v4, v11, v5, v4
	s_waitcnt vmcnt(0)
	ds_write_b128 v4, v[6:9]
.LBB140_13:
	s_or_b64 exec, exec, s[6:7]
	s_waitcnt lgkmcnt(0)
	s_mul_i32 s4, s4, s46
	s_mov_b32 s5, 0
	s_lshl_b64 s[4:5], s[4:5], 1
	s_add_u32 s8, s8, s4
	s_addc_u32 s9, s9, s5
	s_waitcnt vmcnt(3)
	v_mad_i64_i32 v[4:5], s[16:17], v3, s45, 0
	v_lshl_add_u64 v[4:5], v[4:5], 1, s[8:9]
	v_lshlrev_b64 v[12:13], 1, v[34:35]
	v_lshlrev_b32_e32 v38, 9, v54
	v_lshl_add_u64 v[4:5], v[4:5], 0, v[12:13]
	v_mov_b32_e32 v39, 0
	v_lshl_add_u64 v[14:15], v[4:5], 0, v[38:39]
	s_waitcnt vmcnt(2)
	v_mad_i64_i32 v[2:3], s[16:17], v2, s45, 0
	v_mov_b32_e32 v4, 0x100
	v_lshl_add_u64 v[2:3], v[2:3], 1, s[8:9]
	v_lshl_or_b32 v40, v36, 4, v4
	v_mov_b32_e32 v41, v39
	s_load_dword s29, s[0:1], 0x98
	s_load_dword s6, s[0:1], 0x1c
	s_waitcnt lgkmcnt(0)
	s_barrier
	v_lshl_add_u64 v[2:3], v[2:3], 0, v[40:41]
	global_load_dwordx4 v[6:9], v[14:15], off
	global_load_dwordx4 v[22:25], v[14:15], off offset:2048
	v_lshl_add_u64 v[18:19], v[2:3], 0, v[38:39]
	global_load_dwordx4 v[2:5], v[18:19], off
	global_load_dwordx4 v[26:29], v[18:19], off offset:2048
	s_waitcnt vmcnt(5)
	v_mad_i64_i32 v[10:11], s[16:17], v10, s45, 0
	v_lshl_add_u64 v[10:11], v[10:11], 1, s[8:9]
	v_lshl_add_u64 v[10:11], v[10:11], 0, v[12:13]
	;; [unrolled: 1-line block ×3, first 2 shown]
	global_load_dwordx4 v[10:13], v[20:21], off
	global_load_dwordx4 v[30:33], v[20:21], off offset:2048
	s_waitcnt vmcnt(6)
	v_mad_i64_i32 v[42:43], s[16:17], v16, s45, 0
	v_add_u32_e32 v17, -9, v36
	v_cmp_gt_u32_e32 vcc, 9, v36
	v_lshl_add_u64 v[42:43], v[42:43], 1, s[8:9]
	v_lshl_add_u64 v[40:41], v[42:43], 0, v[40:41]
	v_cndmask_b32_e32 v14, v17, v36, vcc
	v_lshl_add_u32 v14, v14, 5, v38
	v_lshl_add_u64 v[40:41], v[40:41], 0, v[38:39]
	ds_read_b128 v[18:21], v14
	ds_read_b128 v[14:17], v14 offset:2048
	global_load_dwordx4 v[46:49], v[40:41], off
	global_load_dwordx4 v[60:63], v[40:41], off offset:2048
	s_ashr_i32 s7, s14, 31
	v_and_or_b32 v55, v0, 48, s14
	s_lshr_b32 s7, s7, 27
	v_add_u32_e32 v42, s7, v55
	v_mov_b32_e32 v64, s15
	v_or_b32_e32 v50, 64, v55
	v_ashrrev_i32_e32 v38, 5, v42
	v_cmp_gt_i32_e32 vcc, s33, v55
	v_add_u32_e32 v43, s7, v50
	v_ashrrev_i32_e32 v51, 5, v43
	v_cndmask_b32_e32 v42, v64, v38, vcc
	v_ashrrev_i32_e32 v43, 31, v42
	v_lshl_add_u64 v[42:43], v[42:43], 2, s[12:13]
	v_cmp_gt_i32_e32 vcc, s33, v50
	global_load_dword v65, v[42:43], off
	v_or_b32_e32 v40, 0x80, v55
	v_or_b32_e32 v41, 0xc0, v55
	v_and_b32_e32 v38, 16, v0
	s_add_u32 s4, s10, s4
	s_addc_u32 s5, s11, s5
	v_lshlrev_b32_e32 v38, 1, v38
	s_mov_b32 s43, 0xff7fffff
	s_waitcnt vmcnt(8) lgkmcnt(1)
	v_mfma_f32_16x16x16_f16 v[42:45], v[6:7], v[18:19], 0
	v_cndmask_b32_e32 v6, v64, v51, vcc
	v_ashrrev_i32_e32 v7, 31, v6
	v_cmp_gt_i32_e32 vcc, s33, v40
	s_waitcnt vmcnt(6)
	v_mfma_f32_16x16x16_f16 v[50:53], v[2:3], v[18:19], 0
	v_lshl_add_u64 v[2:3], v[6:7], 2, s[12:13]
	global_load_dword v66, v[2:3], off
	v_mfma_f32_16x16x16_f16 v[6:9], v[8:9], v[20:21], v[42:45]
	v_mfma_f32_16x16x16_f16 v[2:5], v[4:5], v[20:21], v[50:53]
	s_nop 1
	v_add_u32_e32 v42, s7, v40
	v_add_u32_e32 v43, s7, v41
	v_ashrrev_i32_e32 v42, 5, v42
	s_waitcnt lgkmcnt(0)
	v_mfma_f32_16x16x16_f16 v[6:9], v[22:23], v[14:15], v[6:9]
	v_lshlrev_b32_e32 v45, 6, v36
	v_ashrrev_i32_e32 v43, 5, v43
	v_cndmask_b32_e32 v44, v64, v42, vcc
	s_waitcnt vmcnt(5)
	v_mfma_f32_16x16x16_f16 v[56:59], v[10:11], v[18:19], 0
	v_cmp_gt_i32_e32 vcc, s33, v41
	v_lshl_add_u64 v[50:51], s[4:5], 0, v[38:39]
	v_lshl_or_b32 v38, v1, 10, v45
	v_mfma_f32_16x16x16_f16 v[2:5], v[26:27], v[14:15], v[2:5]
	v_cndmask_b32_e32 v26, v64, v43, vcc
	v_ashrrev_i32_e32 v45, 31, v44
	v_ashrrev_i32_e32 v27, 31, v26
	v_mfma_f32_16x16x16_f16 v[22:25], v[24:25], v[16:17], v[6:9]
	s_nop 2
	v_lshl_add_u64 v[6:7], v[44:45], 2, s[12:13]
	v_mfma_f32_16x16x16_f16 v[10:13], v[12:13], v[20:21], v[56:59]
	v_lshl_add_u64 v[8:9], v[26:27], 2, s[12:13]
	global_load_dword v55, v[6:7], off
	s_nop 0
	global_load_dword v58, v[8:9], off
	s_waitcnt vmcnt(6)
	v_mfma_f32_16x16x16_f16 v[40:43], v[30:31], v[14:15], v[10:13]
	s_nop 2
	v_lshl_add_u64 v[10:11], v[50:51], 0, v[38:39]
	v_mfma_f32_16x16x16_f16 v[30:33], v[32:33], v[16:17], v[40:43]
	v_pk_mul_f32 v[50:51], s[6:7], v[24:25] op_sel_hi:[0,1]
	s_waitcnt vmcnt(2)
	v_mad_i64_i32 v[12:13], s[4:5], v66, s45, 0
	v_mfma_f32_16x16x16_f16 v[38:41], v[46:47], v[18:19], 0
	v_lshl_add_u64 v[56:57], v[12:13], 1, v[10:11]
	v_pk_mul_f32 v[12:13], s[6:7], v[22:23] op_sel_hi:[0,1]
	s_nop 0
	v_pk_mul_f32 v[46:47], s[6:7], v[32:33] op_sel_hi:[0,1]
	v_mfma_f32_16x16x16_f16 v[18:21], v[48:49], v[20:21], v[38:41]
	v_pk_mul_f32 v[48:49], s[6:7], v[30:31] op_sel_hi:[0,1]
	v_mfma_f32_16x16x16_f16 v[18:21], v[60:61], v[14:15], v[18:21]
	v_mfma_f32_16x16x16_f16 v[26:29], v[28:29], v[16:17], v[2:5]
	;; [unrolled: 1-line block ×3, first 2 shown]
	s_nop 1
	v_mad_i64_i32 v[2:3], s[4:5], v65, s45, 0
	s_nop 2
	v_pk_mul_f32 v[42:43], s[6:7], v[26:27] op_sel_hi:[0,1]
	v_pk_mul_f32 v[52:53], s[6:7], v[28:29] op_sel_hi:[0,1]
	v_lshl_add_u64 v[2:3], v[2:3], 1, v[10:11]
	v_pk_mul_f32 v[44:45], s[6:7], v[14:15] op_sel_hi:[0,1]
	v_and_b32_e32 v14, 0xc0, v0
	v_add_u32_e32 v14, s14, v14
	v_lshl_or_b32 v14, v54, 2, v14
	v_pk_mul_f32 v[38:39], s[6:7], v[16:17] op_sel_hi:[0,1]
	v_or_b32_e32 v17, 1, v14
	v_mov_b32_e32 v15, 0xff7fffff
	v_cmp_gt_i32_e64 s[4:5], s33, v14
	v_cmp_gt_i32_e64 s[34:35], s33, v17
	v_or_b32_e32 v18, 3, v14
	v_cndmask_b32_e64 v16, v15, v12, s[4:5]
	v_cndmask_b32_e64 v17, v15, v13, s[34:35]
	v_max3_f32 v16, v16, s43, v17
	v_or_b32_e32 v17, 2, v14
	v_cmp_gt_i32_e64 s[36:37], s33, v17
	v_cmp_gt_i32_e64 s[38:39], s33, v18
	global_load_dwordx4 v[6:9], v[2:3], off
	s_nop 0
	global_load_dwordx4 v[2:5], v[2:3], off offset:16
	v_cndmask_b32_e64 v17, v15, v50, s[36:37]
	v_cndmask_b32_e64 v18, v15, v51, s[38:39]
	v_max3_f32 v16, v16, v17, v18
	v_or_b32_e32 v17, 16, v14
	v_or_b32_e32 v18, 17, v14
	v_cmp_gt_i32_e64 s[24:25], s33, v17
	v_cmp_gt_i32_e64 s[26:27], s33, v18
	global_load_dwordx4 v[30:33], v[56:57], off
	global_load_dwordx4 v[26:29], v[56:57], off offset:16
	v_cndmask_b32_e64 v17, v15, v42, s[24:25]
	v_cndmask_b32_e64 v18, v15, v43, s[26:27]
	v_max3_f32 v16, v16, v17, v18
	v_or_b32_e32 v17, 18, v14
	v_or_b32_e32 v18, 19, v14
	v_cmp_gt_i32_e64 s[20:21], s33, v17
	v_cmp_gt_i32_e64 s[22:23], s33, v18
	s_nop 0
	v_cndmask_b32_e64 v17, v15, v52, s[20:21]
	v_cndmask_b32_e64 v18, v15, v53, s[22:23]
	v_max3_f32 v16, v16, v17, v18
	v_or_b32_e32 v17, 32, v14
	v_or_b32_e32 v18, 33, v14
	v_cmp_gt_i32_e64 s[16:17], s33, v17
	v_cmp_gt_i32_e64 s[18:19], s33, v18
	s_nop 0
	;; [unrolled: 8-line block ×4, first 2 shown]
	v_cndmask_b32_e64 v17, v15, v44, s[8:9]
	v_cndmask_b32_e64 v18, v15, v45, s[10:11]
	v_max3_f32 v16, v16, v17, v18
	v_or_b32_e32 v17, 50, v14
	v_or_b32_e32 v14, 51, v14
	v_cmp_gt_i32_e32 vcc, s33, v17
	v_cmp_gt_i32_e64 s[6:7], s33, v14
	s_nop 0
	v_cndmask_b32_e32 v17, v15, v38, vcc
	v_cndmask_b32_e64 v14, v15, v39, s[6:7]
	v_max3_f32 v16, v16, v17, v14
	v_mbcnt_lo_u32_b32 v14, -1, 0
	v_mbcnt_hi_u32_b32 v17, -1, v14
	v_and_b32_e32 v14, 64, v17
	v_add_u32_e32 v18, 64, v14
	v_xor_b32_e32 v14, 32, v17
	v_cmp_lt_i32_e64 s[40:41], v14, v18
	s_nop 1
	v_cndmask_b32_e64 v14, v17, v14, s[40:41]
	v_lshlrev_b32_e32 v59, 2, v14
	ds_bpermute_b32 v19, v59, v16
	s_waitcnt vmcnt(5)
	v_mad_i64_i32 v[14:15], s[40:41], v55, s45, 0
	v_lshl_add_u64 v[14:15], v[14:15], 1, v[10:11]
	s_waitcnt lgkmcnt(0)
	v_max_f32_e32 v19, v19, v19
	v_max_f32_e32 v16, v16, v19
	v_xor_b32_e32 v19, 16, v17
	v_cmp_lt_i32_e64 s[40:41], v19, v18
	s_nop 1
	v_cndmask_b32_e64 v17, v17, v19, s[40:41]
	v_lshlrev_b32_e32 v57, 2, v17
	ds_bpermute_b32 v17, v57, v16
	global_load_dwordx4 v[22:25], v[14:15], off
	global_load_dwordx4 v[18:21], v[14:15], off offset:16
	s_waitcnt vmcnt(6)
	v_mad_i64_i32 v[14:15], s[40:41], v58, s45, 0
	v_lshl_add_u64 v[10:11], v[14:15], 1, v[10:11]
	s_waitcnt lgkmcnt(0)
	v_max_f32_e32 v14, v17, v17
	v_max_f32_e32 v55, v16, v14
	v_sub_f32_e32 v12, v12, v55
	v_mul_f32_e32 v12, 0x3fb8aa3b, v12
	v_exp_f32_e32 v40, v12
	v_sub_f32_e32 v12, v13, v55
	v_mul_f32_e32 v12, 0x3fb8aa3b, v12
	v_exp_f32_e32 v41, v12
	global_load_dwordx4 v[14:17], v[10:11], off
	s_nop 0
	global_load_dwordx4 v[10:13], v[10:11], off offset:16
	v_sub_f32_e32 v50, v50, v55
	v_mul_f32_e32 v50, 0x3fb8aa3b, v50
	v_sub_f32_e32 v51, v51, v55
	v_exp_f32_e32 v50, v50
	v_mul_f32_e32 v51, 0x3fb8aa3b, v51
	v_sub_f32_e32 v42, v42, v55
	v_exp_f32_e32 v51, v51
	v_mul_f32_e32 v42, 0x3fb8aa3b, v42
	v_sub_f32_e32 v43, v43, v55
	v_cndmask_b32_e64 v40, 0, v40, s[4:5]
	v_exp_f32_e32 v42, v42
	v_mul_f32_e32 v43, 0x3fb8aa3b, v43
	v_sub_f32_e32 v52, v52, v55
	v_add_f32_e32 v56, 0, v40
	v_cndmask_b32_e64 v41, 0, v41, s[34:35]
	v_exp_f32_e32 v43, v43
	v_mul_f32_e32 v52, 0x3fb8aa3b, v52
	v_sub_f32_e32 v53, v53, v55
	v_add_f32_e32 v56, v56, v41
	;; [unrolled: 5-line block ×10, first 2 shown]
	v_cndmask_b32_e64 v46, 0, v46, s[12:13]
	v_exp_f32_e32 v38, v38
	v_mul_f32_e32 v39, 0x3fb8aa3b, v39
	v_add_f32_e32 v56, v56, v46
	v_cndmask_b32_e64 v47, 0, v47, s[14:15]
	v_exp_f32_e32 v39, v39
	v_add_f32_e32 v56, v56, v47
	v_cndmask_b32_e64 v44, 0, v44, s[8:9]
	v_add_f32_e32 v56, v56, v44
	v_cndmask_b32_e64 v45, 0, v45, s[10:11]
	v_add_f32_e32 v56, v56, v45
	v_cndmask_b32_e32 v38, 0, v38, vcc
	v_add_f32_e32 v56, v56, v38
	v_cndmask_b32_e64 v39, 0, v39, s[6:7]
	v_add_f32_e32 v56, v56, v39
	ds_bpermute_b32 v58, v59, v56
	v_cmp_gt_u32_e64 s[6:7], 16, v37
	v_lshlrev_b32_e32 v37, 2, v36
	s_waitcnt lgkmcnt(0)
	s_barrier
	v_add_f32_e32 v56, v56, v58
	ds_bpermute_b32 v57, v57, v56
	s_waitcnt lgkmcnt(0)
	s_and_saveexec_b64 s[4:5], s[6:7]
	s_cbranch_execz .LBB140_15
; %bb.14:
	v_add_f32_e32 v56, v56, v57
	v_lshl_or_b32 v57, v1, 6, v37
	ds_write2st64_b32 v57, v55, v56 offset1:1
.LBB140_15:
	s_or_b64 exec, exec, s[4:5]
	s_load_dword s8, s[0:1], 0x94
	s_waitcnt lgkmcnt(0)
	s_barrier
	ds_read2_b32 v[56:57], v37 offset1:16
	ds_read2_b32 v[58:59], v37 offset0:32 offset1:48
	ds_read2_b32 v[60:61], v37 offset0:64 offset1:80
	;; [unrolled: 1-line block ×3, first 2 shown]
	s_waitcnt lgkmcnt(0)
	v_max3_f32 v55, v56, s43, v57
	v_max3_f32 v55, v55, v58, v59
	v_sub_f32_e32 v56, v56, v55
	v_mul_f32_e32 v56, 0x3fb8aa3b, v56
	v_exp_f32_e32 v64, v56
	v_sub_f32_e32 v56, v57, v55
	v_mul_f32_e32 v56, 0x3fb8aa3b, v56
	v_exp_f32_e32 v57, v56
	v_sub_f32_e32 v56, v58, v55
	v_mul_f32_e32 v56, 0x3fb8aa3b, v56
	v_sub_f32_e32 v37, v59, v55
	v_exp_f32_e32 v58, v56
	v_mul_f32_e32 v37, 0x3fb8aa3b, v37
	v_exp_f32_e32 v37, v37
	v_fma_f32 v56, v64, v60, 0
	v_fmac_f32_e32 v56, v57, v61
	v_fmac_f32_e32 v56, v58, v62
	;; [unrolled: 1-line block ×3, first 2 shown]
	v_add_f32_e32 v59, 0x358637bd, v56
	v_div_scale_f32 v60, s[4:5], v59, v59, 1.0
	v_rcp_f32_e32 v61, v60
	s_barrier
	s_mul_i32 s9, s29, 9
	v_fma_f32 v62, -v60, v61, 1.0
	v_fmac_f32_e32 v61, v62, v61
	v_div_scale_f32 v62, vcc, 1.0, v59, 1.0
	v_mul_f32_e32 v63, v62, v61
	v_fma_f32 v65, -v60, v63, v62
	v_fmac_f32_e32 v63, v65, v61
	v_fma_f32 v60, -v60, v63, v62
	v_div_fmas_f32 v60, v60, v61, v63
	v_cmp_eq_u32_e32 vcc, 1, v1
	v_div_fixup_f32 v59, v60, v59, 1.0
	s_nop 0
	v_cndmask_b32_e32 v57, v64, v57, vcc
	v_cmp_eq_u32_e32 vcc, 2, v1
	s_nop 1
	v_cndmask_b32_e32 v57, v57, v58, vcc
	v_cmp_eq_u32_e32 vcc, 3, v1
	v_lshlrev_b32_e32 v1, 11, v1
	s_nop 0
	v_cndmask_b32_e32 v37, v57, v37, vcc
	v_mul_f32_e32 v58, v37, v59
	v_pk_mul_f32 v[50:51], v[58:59], v[50:51] op_sel_hi:[0,1]
	v_pk_mul_f32 v[40:41], v[58:59], v[40:41] op_sel_hi:[0,1]
	v_cvt_f16_f32_e32 v37, v40
	v_cvt_f16_f32_e32 v40, v41
	;; [unrolled: 1-line block ×4, first 2 shown]
	v_pk_mul_f32 v[52:53], v[58:59], v[52:53] op_sel_hi:[0,1]
	v_pk_mul_f32 v[42:43], v[58:59], v[42:43] op_sel_hi:[0,1]
	v_pack_b32_f16 v50, v37, v40
	v_pack_b32_f16 v51, v41, v51
	v_cvt_f16_f32_e32 v41, v42
	v_cvt_f16_f32_e32 v42, v43
	;; [unrolled: 1-line block ×4, first 2 shown]
	v_lshlrev_b32_e32 v37, 3, v54
	v_lshlrev_b32_e32 v40, 5, v36
	v_or3_b32 v1, v1, v40, v37
	v_pack_b32_f16 v42, v41, v42
	v_pack_b32_f16 v43, v43, v52
	ds_write2st64_b64 v1, v[50:51], v[42:43] offset1:1
	v_pk_mul_f32 v[42:43], v[58:59], v[46:47] op_sel_hi:[0,1]
	v_pk_mul_f32 v[46:47], v[58:59], v[48:49] op_sel_hi:[0,1]
	v_cvt_f16_f32_e32 v37, v46
	v_cvt_f16_f32_e32 v41, v47
	;; [unrolled: 1-line block ×4, first 2 shown]
	v_pk_mul_f32 v[38:39], v[58:59], v[38:39] op_sel_hi:[0,1]
	v_pk_mul_f32 v[42:43], v[58:59], v[44:45] op_sel_hi:[0,1]
	v_cvt_f16_f32_e32 v42, v42
	v_cvt_f16_f32_e32 v43, v43
	;; [unrolled: 1-line block ×4, first 2 shown]
	v_pack_b32_f16 v38, v37, v41
	v_pack_b32_f16 v39, v46, v47
	;; [unrolled: 1-line block ×4, first 2 shown]
	v_cmp_gt_u32_e32 vcc, 9, v0
	ds_write2st64_b64 v1, v[38:39], v[42:43] offset0:2 offset1:3
	s_and_saveexec_b64 s[4:5], vcc
	s_cbranch_execz .LBB140_17
; %bb.16:
	s_mov_b32 s43, 0
	v_mov_b32_e32 v37, 0
	v_lshl_add_u64 v[38:39], s[42:43], 0, v[36:37]
	v_mov_b32_e32 v36, s9
	v_mad_u64_u32 v[38:39], s[10:11], s2, v36, v[38:39]
	v_mov_b32_e32 v36, s28
	s_load_dwordx4 s[12:15], s[0:1], 0x58
	s_mul_i32 s3, s3, s9
	v_mad_u64_u32 v[36:37], s[10:11], v38, s8, v[36:37]
	v_add_u32_e32 v39, s3, v39
	v_mov_b32_e32 v38, v37
	v_mad_u64_u32 v[38:39], s[10:11], v39, s8, v[38:39]
	v_mov_b32_e32 v37, v38
	v_lshlrev_b64 v[36:37], 2, v[36:37]
	s_waitcnt lgkmcnt(0)
	v_lshl_add_u64 v[38:39], s[14:15], 0, v[36:37]
	v_lshl_add_u64 v[36:37], s[12:13], 0, v[36:37]
	global_store_dword v[38:39], v55, off
	global_store_dword v[36:37], v56, off
.LBB140_17:
	s_or_b64 exec, exec, s[4:5]
	v_lshl_or_b32 v48, v54, 9, v40
	s_waitcnt lgkmcnt(0)
	s_barrier
	ds_read_b128 v[36:39], v48
	ds_read_b128 v[40:43], v48 offset:16
	s_waitcnt vmcnt(7) lgkmcnt(1)
	v_mfma_f32_16x16x16_f16 v[44:47], v[6:7], v[36:37], 0
	v_cmp_gt_u32_e32 vcc, 64, v0
	s_mov_b32 s3, 0
	s_and_b64 s[4:5], vcc, s[30:31]
	v_mfma_f32_16x16x16_f16 v[6:9], v[8:9], v[38:39], v[44:47]
	s_waitcnt vmcnt(6) lgkmcnt(0)
	v_mfma_f32_16x16x16_f16 v[6:9], v[2:3], v[40:41], v[6:9]
	v_mfma_f32_16x16x16_f16 v[2:5], v[4:5], v[42:43], v[6:9]
	s_nop 5
	ds_read_b128 v[6:9], v48 offset:2048
	ds_read_b128 v[36:39], v48 offset:2064
	s_waitcnt vmcnt(5) lgkmcnt(1)
	v_mfma_f32_16x16x16_f16 v[2:5], v[30:31], v[6:7], v[2:5]
	v_mfma_f32_16x16x16_f16 v[2:5], v[32:33], v[8:9], v[2:5]
	s_waitcnt vmcnt(4) lgkmcnt(0)
	v_mfma_f32_16x16x16_f16 v[2:5], v[26:27], v[36:37], v[2:5]
	v_mfma_f32_16x16x16_f16 v[2:5], v[28:29], v[38:39], v[2:5]
	ds_read_b128 v[6:9], v48 offset:4096
	ds_read_b128 v[26:29], v48 offset:4112
	s_waitcnt vmcnt(3) lgkmcnt(1)
	v_mfma_f32_16x16x16_f16 v[2:5], v[22:23], v[6:7], v[2:5]
	v_mfma_f32_16x16x16_f16 v[2:5], v[24:25], v[8:9], v[2:5]
	s_waitcnt vmcnt(2) lgkmcnt(0)
	v_mfma_f32_16x16x16_f16 v[2:5], v[18:19], v[26:27], v[2:5]
	v_mfma_f32_16x16x16_f16 v[2:5], v[20:21], v[28:29], v[2:5]
	ds_read_b128 v[6:9], v48 offset:6144
	ds_read_b128 v[18:21], v48 offset:6160
	s_waitcnt lgkmcnt(0)
	s_barrier
	s_waitcnt vmcnt(1)
	v_mfma_f32_16x16x16_f16 v[2:5], v[14:15], v[6:7], v[2:5]
	v_mfma_f32_16x16x16_f16 v[2:5], v[16:17], v[8:9], v[2:5]
	s_waitcnt vmcnt(0)
	v_mfma_f32_16x16x16_f16 v[2:5], v[10:11], v[18:19], v[2:5]
	v_mfma_f32_16x16x16_f16 v[2:5], v[12:13], v[20:21], v[2:5]
	s_nop 6
	v_cvt_f16_f32_e32 v2, v2
	v_cvt_f16_f32_e32 v3, v3
	;; [unrolled: 1-line block ×4, first 2 shown]
	v_pack_b32_f16 v2, v2, v3
	v_pack_b32_f16 v3, v4, v5
	ds_write_b64 v1, v[2:3]
	s_waitcnt lgkmcnt(0)
	s_barrier
	s_and_saveexec_b64 s[10:11], s[4:5]
	s_cbranch_execz .LBB140_20
; %bb.18:
	s_load_dwordx2 s[4:5], s[0:1], 0x68
	s_lshl_b32 s0, s8, 6
	s_mul_i32 s1, s9, s2
	s_mul_hi_u32 s9, s1, s0
	s_mul_i32 s8, s1, s0
	v_lshlrev_b32_e32 v1, 10, v0
	v_lshlrev_b32_e32 v0, 4, v0
	s_lshl_b64 s[8:9], s[8:9], 1
	v_and_b32_e32 v1, 0x1800, v1
	v_lshlrev_b32_e32 v2, 5, v54
	v_and_b32_e32 v0, 16, v0
	s_waitcnt lgkmcnt(0)
	s_add_u32 s1, s4, s8
	v_or3_b32 v2, v1, v2, v0
	s_addc_u32 s4, s5, s9
	s_lshl_b32 s2, s28, 6
	s_lshl_b64 s[2:3], s[2:3], 1
	ds_read_b128 v[4:7], v2 offset:128
	ds_read_b128 v[8:11], v2
	s_add_u32 s2, s1, s2
	s_addc_u32 s3, s4, s3
	v_add_u32_e32 v3, s42, v54
	v_lshl_add_u64 v[0:1], v[34:35], 1, s[2:3]
	v_mad_u64_u32 v[12:13], s[2:3], v3, s0, 0
	v_lshl_add_u64 v[12:13], v[12:13], 1, v[0:1]
	v_add_u32_e32 v3, 4, v3
	s_waitcnt lgkmcnt(0)
	global_store_dwordx4 v[12:13], v[8:11], off
	s_nop 1
	v_mad_u64_u32 v[8:9], s[2:3], v3, s0, 0
	v_lshl_add_u64 v[8:9], v[8:9], 1, v[0:1]
	global_store_dwordx4 v[8:9], v[4:7], off
	s_and_b64 exec, exec, s[6:7]
	s_cbranch_execz .LBB140_20
; %bb.19:
	ds_read_b128 v[2:5], v2 offset:256
	v_add3_u32 v6, s42, v54, 8
	v_mad_u64_u32 v[6:7], s[0:1], v6, s0, 0
	v_lshl_add_u64 v[0:1], v[6:7], 1, v[0:1]
	s_waitcnt lgkmcnt(0)
	global_store_dwordx4 v[0:1], v[2:5], off
.LBB140_20:
	s_endpgm
	.section	.rodata,"a",@progbits
	.p2align	6, 0x0
	.amdhsa_kernel _Z39paged_attention_ll4mi_QKV_mfma16_kernelIDF16_DF16_LN4vllm18Fp8KVCacheDataTypeE0EhLi32ELi64ELi256ELb0ELi9EEvPKT_PKT0_S7_ifPKiS9_S9_iPKfiiiPfSC_PS2_PT2_iSB_SB_
		.amdhsa_group_segment_fixed_size 8192
		.amdhsa_private_segment_fixed_size 0
		.amdhsa_kernarg_size 400
		.amdhsa_user_sgpr_count 2
		.amdhsa_user_sgpr_dispatch_ptr 0
		.amdhsa_user_sgpr_queue_ptr 0
		.amdhsa_user_sgpr_kernarg_segment_ptr 1
		.amdhsa_user_sgpr_dispatch_id 0
		.amdhsa_user_sgpr_kernarg_preload_length 0
		.amdhsa_user_sgpr_kernarg_preload_offset 0
		.amdhsa_user_sgpr_private_segment_size 0
		.amdhsa_uses_dynamic_stack 0
		.amdhsa_enable_private_segment 0
		.amdhsa_system_sgpr_workgroup_id_x 1
		.amdhsa_system_sgpr_workgroup_id_y 1
		.amdhsa_system_sgpr_workgroup_id_z 1
		.amdhsa_system_sgpr_workgroup_info 0
		.amdhsa_system_vgpr_workitem_id 0
		.amdhsa_next_free_vgpr 67
		.amdhsa_next_free_sgpr 48
		.amdhsa_accum_offset 68
		.amdhsa_reserve_vcc 1
		.amdhsa_float_round_mode_32 0
		.amdhsa_float_round_mode_16_64 0
		.amdhsa_float_denorm_mode_32 3
		.amdhsa_float_denorm_mode_16_64 3
		.amdhsa_dx10_clamp 1
		.amdhsa_ieee_mode 1
		.amdhsa_fp16_overflow 0
		.amdhsa_tg_split 0
		.amdhsa_exception_fp_ieee_invalid_op 0
		.amdhsa_exception_fp_denorm_src 0
		.amdhsa_exception_fp_ieee_div_zero 0
		.amdhsa_exception_fp_ieee_overflow 0
		.amdhsa_exception_fp_ieee_underflow 0
		.amdhsa_exception_fp_ieee_inexact 0
		.amdhsa_exception_int_div_zero 0
	.end_amdhsa_kernel
	.section	.text._Z39paged_attention_ll4mi_QKV_mfma16_kernelIDF16_DF16_LN4vllm18Fp8KVCacheDataTypeE0EhLi32ELi64ELi256ELb0ELi9EEvPKT_PKT0_S7_ifPKiS9_S9_iPKfiiiPfSC_PS2_PT2_iSB_SB_,"axG",@progbits,_Z39paged_attention_ll4mi_QKV_mfma16_kernelIDF16_DF16_LN4vllm18Fp8KVCacheDataTypeE0EhLi32ELi64ELi256ELb0ELi9EEvPKT_PKT0_S7_ifPKiS9_S9_iPKfiiiPfSC_PS2_PT2_iSB_SB_,comdat
.Lfunc_end140:
	.size	_Z39paged_attention_ll4mi_QKV_mfma16_kernelIDF16_DF16_LN4vllm18Fp8KVCacheDataTypeE0EhLi32ELi64ELi256ELb0ELi9EEvPKT_PKT0_S7_ifPKiS9_S9_iPKfiiiPfSC_PS2_PT2_iSB_SB_, .Lfunc_end140-_Z39paged_attention_ll4mi_QKV_mfma16_kernelIDF16_DF16_LN4vllm18Fp8KVCacheDataTypeE0EhLi32ELi64ELi256ELb0ELi9EEvPKT_PKT0_S7_ifPKiS9_S9_iPKfiiiPfSC_PS2_PT2_iSB_SB_
                                        ; -- End function
	.section	.AMDGPU.csdata,"",@progbits
; Kernel info:
; codeLenInByte = 3920
; NumSgprs: 54
; NumVgprs: 67
; NumAgprs: 0
; TotalNumVgprs: 67
; ScratchSize: 0
; MemoryBound: 0
; FloatMode: 240
; IeeeMode: 1
; LDSByteSize: 8192 bytes/workgroup (compile time only)
; SGPRBlocks: 6
; VGPRBlocks: 8
; NumSGPRsForWavesPerEU: 54
; NumVGPRsForWavesPerEU: 67
; AccumOffset: 68
; Occupancy: 7
; WaveLimiterHint : 1
; COMPUTE_PGM_RSRC2:SCRATCH_EN: 0
; COMPUTE_PGM_RSRC2:USER_SGPR: 2
; COMPUTE_PGM_RSRC2:TRAP_HANDLER: 0
; COMPUTE_PGM_RSRC2:TGID_X_EN: 1
; COMPUTE_PGM_RSRC2:TGID_Y_EN: 1
; COMPUTE_PGM_RSRC2:TGID_Z_EN: 1
; COMPUTE_PGM_RSRC2:TIDIG_COMP_CNT: 0
; COMPUTE_PGM_RSRC3_GFX90A:ACCUM_OFFSET: 16
; COMPUTE_PGM_RSRC3_GFX90A:TG_SPLIT: 0
	.section	.text._Z39paged_attention_ll4mi_QKV_mfma16_kernelIDF16_DF16_LN4vllm18Fp8KVCacheDataTypeE0EhLi32ELi64ELi256ELb0ELi10EEvPKT_PKT0_S7_ifPKiS9_S9_iPKfiiiPfSC_PS2_PT2_iSB_SB_,"axG",@progbits,_Z39paged_attention_ll4mi_QKV_mfma16_kernelIDF16_DF16_LN4vllm18Fp8KVCacheDataTypeE0EhLi32ELi64ELi256ELb0ELi10EEvPKT_PKT0_S7_ifPKiS9_S9_iPKfiiiPfSC_PS2_PT2_iSB_SB_,comdat
	.protected	_Z39paged_attention_ll4mi_QKV_mfma16_kernelIDF16_DF16_LN4vllm18Fp8KVCacheDataTypeE0EhLi32ELi64ELi256ELb0ELi10EEvPKT_PKT0_S7_ifPKiS9_S9_iPKfiiiPfSC_PS2_PT2_iSB_SB_ ; -- Begin function _Z39paged_attention_ll4mi_QKV_mfma16_kernelIDF16_DF16_LN4vllm18Fp8KVCacheDataTypeE0EhLi32ELi64ELi256ELb0ELi10EEvPKT_PKT0_S7_ifPKiS9_S9_iPKfiiiPfSC_PS2_PT2_iSB_SB_
	.globl	_Z39paged_attention_ll4mi_QKV_mfma16_kernelIDF16_DF16_LN4vllm18Fp8KVCacheDataTypeE0EhLi32ELi64ELi256ELb0ELi10EEvPKT_PKT0_S7_ifPKiS9_S9_iPKfiiiPfSC_PS2_PT2_iSB_SB_
	.p2align	8
	.type	_Z39paged_attention_ll4mi_QKV_mfma16_kernelIDF16_DF16_LN4vllm18Fp8KVCacheDataTypeE0EhLi32ELi64ELi256ELb0ELi10EEvPKT_PKT0_S7_ifPKiS9_S9_iPKfiiiPfSC_PS2_PT2_iSB_SB_,@function
_Z39paged_attention_ll4mi_QKV_mfma16_kernelIDF16_DF16_LN4vllm18Fp8KVCacheDataTypeE0EhLi32ELi64ELi256ELb0ELi10EEvPKT_PKT0_S7_ifPKiS9_S9_iPKfiiiPfSC_PS2_PT2_iSB_SB_: ; @_Z39paged_attention_ll4mi_QKV_mfma16_kernelIDF16_DF16_LN4vllm18Fp8KVCacheDataTypeE0EhLi32ELi64ELi256ELb0ELi10EEvPKT_PKT0_S7_ifPKiS9_S9_iPKfiiiPfSC_PS2_PT2_iSB_SB_
; %bb.0:
	s_load_dwordx2 s[6:7], s[0:1], 0x30
	s_mov_b32 s28, s3
	s_mov_b64 s[10:11], 0
	s_waitcnt lgkmcnt(0)
	s_cmp_lg_u64 s[6:7], 0
	s_cselect_b64 s[8:9], -1, 0
	s_and_b64 vcc, exec, s[8:9]
	s_cbranch_vccz .LBB141_7
; %bb.1:
	s_add_i32 s12, s2, 1
	s_mov_b32 s13, 0
	s_lshl_b64 s[14:15], s[12:13], 2
	s_add_u32 s14, s6, s14
	s_mov_b32 s3, s13
	s_addc_u32 s15, s7, s15
	s_lshl_b64 s[12:13], s[2:3], 2
	s_add_u32 s12, s6, s12
	s_addc_u32 s13, s7, s13
	s_load_dword s5, s[14:15], 0x0
	s_load_dword s16, s[12:13], 0x0
	s_waitcnt lgkmcnt(0)
	s_sub_i32 s5, s5, s16
	s_cmp_eq_u32 s5, 1
	s_cselect_b64 s[12:13], -1, 0
	s_andn2_b64 vcc, exec, s[10:11]
	s_cbranch_vccnz .LBB141_3
.LBB141_2:
	s_mov_b32 s3, 0
	s_mov_b64 s[12:13], -1
.LBB141_3:
	s_andn2_b64 vcc, exec, s[12:13]
	s_cbranch_vccnz .LBB141_20
; %bb.4:
	s_load_dwordx2 s[12:13], s[0:1], 0x28
	s_lshl_b64 s[10:11], s[2:3], 2
	s_waitcnt lgkmcnt(0)
	s_add_u32 s12, s12, s10
	s_addc_u32 s13, s13, s11
	s_load_dword s33, s[12:13], 0x0
	s_lshl_b32 s14, s28, 8
	s_waitcnt lgkmcnt(0)
	s_cmp_ge_i32 s14, s33
	s_cbranch_scc1 .LBB141_20
; %bb.5:
	s_load_dwordx2 s[12:13], s[0:1], 0x20
	s_load_dword s5, s[0:1], 0x38
	s_add_i32 s15, s33, 31
	s_ashr_i32 s16, s15, 31
	v_and_b32_e32 v1, 0xcf, v0
	s_lshr_b32 s16, s16, 27
	v_add_u32_e32 v1, s14, v1
	s_add_i32 s15, s15, s16
	v_ashrrev_i32_e32 v2, 31, v1
	s_ashr_i32 s15, s15, 5
	v_lshrrev_b32_e32 v10, 27, v2
	s_add_i32 s15, s15, -1
	s_waitcnt lgkmcnt(0)
	s_mul_i32 s16, s2, s5
	s_mov_b32 s17, 0
	v_add_u32_e32 v2, v1, v10
	s_lshl_b64 s[16:17], s[16:17], 2
	v_ashrrev_i32_e32 v2, 5, v2
	v_mov_b32_e32 v11, s15
	v_cmp_gt_i32_e32 vcc, s33, v1
	s_add_u32 s12, s12, s16
	s_addc_u32 s13, s13, s17
	v_cndmask_b32_e32 v2, v11, v2, vcc
	v_ashrrev_i32_e32 v3, 31, v2
	v_lshl_add_u64 v[4:5], v[2:3], 2, s[12:13]
	v_or_b32_e32 v2, 16, v1
	v_add_u32_e32 v3, v2, v10
	v_ashrrev_i32_e32 v3, 5, v3
	v_cmp_gt_i32_e32 vcc, s33, v2
	s_nop 1
	v_cndmask_b32_e32 v2, v11, v3, vcc
	v_ashrrev_i32_e32 v3, 31, v2
	v_lshl_add_u64 v[6:7], v[2:3], 2, s[12:13]
	v_or_b32_e32 v2, 32, v1
	v_add_u32_e32 v3, v2, v10
	v_ashrrev_i32_e32 v3, 5, v3
	v_cmp_gt_i32_e32 vcc, s33, v2
	v_or_b32_e32 v1, 48, v1
	s_nop 0
	v_cndmask_b32_e32 v2, v11, v3, vcc
	v_ashrrev_i32_e32 v3, 31, v2
	v_lshl_add_u64 v[8:9], v[2:3], 2, s[12:13]
	v_add_u32_e32 v2, v1, v10
	v_ashrrev_i32_e32 v2, 5, v2
	v_cmp_gt_i32_e32 vcc, s33, v1
	s_nop 1
	v_cndmask_b32_e32 v2, v11, v2, vcc
	v_ashrrev_i32_e32 v3, 31, v2
	v_lshl_add_u64 v[12:13], v[2:3], 2, s[12:13]
	global_load_dword v3, v[4:5], off
	global_load_dword v2, v[6:7], off
	;; [unrolled: 1-line block ×4, first 2 shown]
	s_andn2_b64 vcc, exec, s[8:9]
	s_cbranch_vccnz .LBB141_8
; %bb.6:
	s_add_u32 s6, s6, s10
	s_addc_u32 s7, s7, s11
	s_load_dword s5, s[6:7], 0x0
	s_branch .LBB141_9
.LBB141_7:
	s_mov_b64 s[12:13], 0
	s_branch .LBB141_2
.LBB141_8:
	s_mov_b32 s5, s2
.LBB141_9:
	s_load_dwordx4 s[8:11], s[0:1], 0x8
	s_load_dwordx4 s[44:47], s[0:1], 0x48
	v_lshrrev_b32_e32 v1, 6, v0
	v_bfe_u32 v54, v0, 4, 2
	v_lshl_or_b32 v4, v1, 2, v54
	v_and_b32_e32 v36, 15, v0
	v_cmp_lt_u32_e32 vcc, 9, v4
	v_cmp_lt_u32_e64 s[6:7], 7, v36
	v_lshlrev_b32_e32 v34, 3, v36
	v_cmp_gt_u32_e64 s[30:31], 8, v36
	s_or_b64 s[6:7], s[6:7], vcc
	s_and_saveexec_b64 s[16:17], s[6:7]
	s_xor_b64 s[6:7], exec, s[16:17]
; %bb.10:
	v_mov_b32_e32 v35, 0
                                        ; implicit-def: $vgpr4
; %bb.11:
	s_or_saveexec_b64 s[6:7], s[6:7]
	v_and_b32_e32 v37, 63, v0
	s_mul_i32 s42, s4, 10
	s_xor_b64 exec, exec, s[6:7]
	s_cbranch_execz .LBB141_13
; %bb.12:
	s_load_dwordx2 s[16:17], s[0:1], 0x0
	s_waitcnt lgkmcnt(0)
	s_ashr_i32 s18, s44, 31
	s_mul_hi_u32 s19, s5, s44
	s_mul_i32 s18, s5, s18
	s_add_i32 s19, s19, s18
	s_mul_i32 s18, s5, s44
	s_lshl_b64 s[18:19], s[18:19], 1
	s_add_u32 s16, s16, s18
	v_add_lshl_u32 v6, v4, s42, 6
	s_addc_u32 s17, s17, s19
	v_ashrrev_i32_e32 v7, 31, v6
	v_mov_b32_e32 v35, 0
	v_lshl_add_u64 v[6:7], v[6:7], 1, s[16:17]
	v_lshlrev_b32_e32 v8, 1, v34
	v_mov_b32_e32 v9, v35
	v_lshl_add_u64 v[6:7], v[6:7], 0, v[8:9]
	global_load_dwordx4 v[6:9], v[6:7], off
	v_and_b32_e32 v5, 3, v0
	v_lshlrev_b32_e32 v11, 9, v36
	v_lshlrev_b32_e32 v4, 5, v4
	;; [unrolled: 1-line block ×3, first 2 shown]
	v_and_b32_e32 v11, 0x1800, v11
	v_or3_b32 v4, v11, v5, v4
	s_waitcnt vmcnt(0)
	ds_write_b128 v4, v[6:9]
.LBB141_13:
	s_or_b64 exec, exec, s[6:7]
	s_waitcnt lgkmcnt(0)
	s_mul_i32 s4, s4, s46
	s_mov_b32 s5, 0
	s_lshl_b64 s[4:5], s[4:5], 1
	s_add_u32 s8, s8, s4
	s_addc_u32 s9, s9, s5
	s_waitcnt vmcnt(3)
	v_mad_i64_i32 v[4:5], s[16:17], v3, s45, 0
	v_lshl_add_u64 v[4:5], v[4:5], 1, s[8:9]
	v_lshlrev_b64 v[12:13], 1, v[34:35]
	v_lshlrev_b32_e32 v38, 9, v54
	v_lshl_add_u64 v[4:5], v[4:5], 0, v[12:13]
	v_mov_b32_e32 v39, 0
	v_lshl_add_u64 v[14:15], v[4:5], 0, v[38:39]
	s_waitcnt vmcnt(2)
	v_mad_i64_i32 v[2:3], s[16:17], v2, s45, 0
	v_mov_b32_e32 v4, 0x100
	v_lshl_add_u64 v[2:3], v[2:3], 1, s[8:9]
	v_lshl_or_b32 v40, v36, 4, v4
	v_mov_b32_e32 v41, v39
	s_load_dword s29, s[0:1], 0x98
	s_load_dword s6, s[0:1], 0x1c
	s_waitcnt lgkmcnt(0)
	s_barrier
	v_lshl_add_u64 v[2:3], v[2:3], 0, v[40:41]
	global_load_dwordx4 v[6:9], v[14:15], off
	global_load_dwordx4 v[22:25], v[14:15], off offset:2048
	v_lshl_add_u64 v[18:19], v[2:3], 0, v[38:39]
	global_load_dwordx4 v[2:5], v[18:19], off
	global_load_dwordx4 v[26:29], v[18:19], off offset:2048
	s_waitcnt vmcnt(5)
	v_mad_i64_i32 v[10:11], s[16:17], v10, s45, 0
	v_lshl_add_u64 v[10:11], v[10:11], 1, s[8:9]
	v_lshl_add_u64 v[10:11], v[10:11], 0, v[12:13]
	;; [unrolled: 1-line block ×3, first 2 shown]
	global_load_dwordx4 v[10:13], v[20:21], off
	global_load_dwordx4 v[30:33], v[20:21], off offset:2048
	s_waitcnt vmcnt(6)
	v_mad_i64_i32 v[42:43], s[16:17], v16, s45, 0
	v_add_u32_e32 v17, -10, v36
	v_cmp_gt_u32_e32 vcc, 10, v36
	v_lshl_add_u64 v[42:43], v[42:43], 1, s[8:9]
	v_lshl_add_u64 v[40:41], v[42:43], 0, v[40:41]
	v_cndmask_b32_e32 v14, v17, v36, vcc
	v_lshl_add_u32 v14, v14, 5, v38
	v_lshl_add_u64 v[40:41], v[40:41], 0, v[38:39]
	ds_read_b128 v[18:21], v14
	ds_read_b128 v[14:17], v14 offset:2048
	global_load_dwordx4 v[46:49], v[40:41], off
	global_load_dwordx4 v[60:63], v[40:41], off offset:2048
	s_ashr_i32 s7, s14, 31
	v_and_or_b32 v55, v0, 48, s14
	s_lshr_b32 s7, s7, 27
	v_add_u32_e32 v42, s7, v55
	v_mov_b32_e32 v64, s15
	v_or_b32_e32 v50, 64, v55
	v_ashrrev_i32_e32 v38, 5, v42
	v_cmp_gt_i32_e32 vcc, s33, v55
	v_add_u32_e32 v43, s7, v50
	v_ashrrev_i32_e32 v51, 5, v43
	v_cndmask_b32_e32 v42, v64, v38, vcc
	v_ashrrev_i32_e32 v43, 31, v42
	v_lshl_add_u64 v[42:43], v[42:43], 2, s[12:13]
	v_cmp_gt_i32_e32 vcc, s33, v50
	global_load_dword v65, v[42:43], off
	v_or_b32_e32 v40, 0x80, v55
	v_or_b32_e32 v41, 0xc0, v55
	v_and_b32_e32 v38, 16, v0
	s_add_u32 s4, s10, s4
	s_addc_u32 s5, s11, s5
	v_lshlrev_b32_e32 v38, 1, v38
	s_mov_b32 s43, 0xff7fffff
	s_waitcnt vmcnt(8) lgkmcnt(1)
	v_mfma_f32_16x16x16_f16 v[42:45], v[6:7], v[18:19], 0
	v_cndmask_b32_e32 v6, v64, v51, vcc
	v_ashrrev_i32_e32 v7, 31, v6
	v_cmp_gt_i32_e32 vcc, s33, v40
	s_waitcnt vmcnt(6)
	v_mfma_f32_16x16x16_f16 v[50:53], v[2:3], v[18:19], 0
	v_lshl_add_u64 v[2:3], v[6:7], 2, s[12:13]
	global_load_dword v66, v[2:3], off
	v_mfma_f32_16x16x16_f16 v[6:9], v[8:9], v[20:21], v[42:45]
	v_mfma_f32_16x16x16_f16 v[2:5], v[4:5], v[20:21], v[50:53]
	s_nop 1
	v_add_u32_e32 v42, s7, v40
	v_add_u32_e32 v43, s7, v41
	v_ashrrev_i32_e32 v42, 5, v42
	s_waitcnt lgkmcnt(0)
	v_mfma_f32_16x16x16_f16 v[6:9], v[22:23], v[14:15], v[6:9]
	v_lshlrev_b32_e32 v45, 6, v36
	v_ashrrev_i32_e32 v43, 5, v43
	v_cndmask_b32_e32 v44, v64, v42, vcc
	s_waitcnt vmcnt(5)
	v_mfma_f32_16x16x16_f16 v[56:59], v[10:11], v[18:19], 0
	v_cmp_gt_i32_e32 vcc, s33, v41
	v_lshl_add_u64 v[50:51], s[4:5], 0, v[38:39]
	v_lshl_or_b32 v38, v1, 10, v45
	v_mfma_f32_16x16x16_f16 v[2:5], v[26:27], v[14:15], v[2:5]
	v_cndmask_b32_e32 v26, v64, v43, vcc
	v_ashrrev_i32_e32 v45, 31, v44
	v_ashrrev_i32_e32 v27, 31, v26
	v_mfma_f32_16x16x16_f16 v[22:25], v[24:25], v[16:17], v[6:9]
	s_nop 2
	v_lshl_add_u64 v[6:7], v[44:45], 2, s[12:13]
	v_mfma_f32_16x16x16_f16 v[10:13], v[12:13], v[20:21], v[56:59]
	v_lshl_add_u64 v[8:9], v[26:27], 2, s[12:13]
	global_load_dword v55, v[6:7], off
	s_nop 0
	global_load_dword v58, v[8:9], off
	s_waitcnt vmcnt(6)
	v_mfma_f32_16x16x16_f16 v[40:43], v[30:31], v[14:15], v[10:13]
	s_nop 2
	v_lshl_add_u64 v[10:11], v[50:51], 0, v[38:39]
	v_mfma_f32_16x16x16_f16 v[30:33], v[32:33], v[16:17], v[40:43]
	v_pk_mul_f32 v[50:51], s[6:7], v[24:25] op_sel_hi:[0,1]
	s_waitcnt vmcnt(2)
	v_mad_i64_i32 v[12:13], s[4:5], v66, s45, 0
	v_mfma_f32_16x16x16_f16 v[38:41], v[46:47], v[18:19], 0
	v_lshl_add_u64 v[56:57], v[12:13], 1, v[10:11]
	v_pk_mul_f32 v[12:13], s[6:7], v[22:23] op_sel_hi:[0,1]
	s_nop 0
	v_pk_mul_f32 v[46:47], s[6:7], v[32:33] op_sel_hi:[0,1]
	v_mfma_f32_16x16x16_f16 v[18:21], v[48:49], v[20:21], v[38:41]
	v_pk_mul_f32 v[48:49], s[6:7], v[30:31] op_sel_hi:[0,1]
	v_mfma_f32_16x16x16_f16 v[18:21], v[60:61], v[14:15], v[18:21]
	v_mfma_f32_16x16x16_f16 v[26:29], v[28:29], v[16:17], v[2:5]
	;; [unrolled: 1-line block ×3, first 2 shown]
	s_nop 1
	v_mad_i64_i32 v[2:3], s[4:5], v65, s45, 0
	s_nop 2
	v_pk_mul_f32 v[42:43], s[6:7], v[26:27] op_sel_hi:[0,1]
	v_pk_mul_f32 v[52:53], s[6:7], v[28:29] op_sel_hi:[0,1]
	v_lshl_add_u64 v[2:3], v[2:3], 1, v[10:11]
	v_pk_mul_f32 v[44:45], s[6:7], v[14:15] op_sel_hi:[0,1]
	v_and_b32_e32 v14, 0xc0, v0
	v_add_u32_e32 v14, s14, v14
	v_lshl_or_b32 v14, v54, 2, v14
	v_pk_mul_f32 v[38:39], s[6:7], v[16:17] op_sel_hi:[0,1]
	v_or_b32_e32 v17, 1, v14
	v_mov_b32_e32 v15, 0xff7fffff
	v_cmp_gt_i32_e64 s[4:5], s33, v14
	v_cmp_gt_i32_e64 s[34:35], s33, v17
	v_or_b32_e32 v18, 3, v14
	v_cndmask_b32_e64 v16, v15, v12, s[4:5]
	v_cndmask_b32_e64 v17, v15, v13, s[34:35]
	v_max3_f32 v16, v16, s43, v17
	v_or_b32_e32 v17, 2, v14
	v_cmp_gt_i32_e64 s[36:37], s33, v17
	v_cmp_gt_i32_e64 s[38:39], s33, v18
	global_load_dwordx4 v[6:9], v[2:3], off
	s_nop 0
	global_load_dwordx4 v[2:5], v[2:3], off offset:16
	v_cndmask_b32_e64 v17, v15, v50, s[36:37]
	v_cndmask_b32_e64 v18, v15, v51, s[38:39]
	v_max3_f32 v16, v16, v17, v18
	v_or_b32_e32 v17, 16, v14
	v_or_b32_e32 v18, 17, v14
	v_cmp_gt_i32_e64 s[24:25], s33, v17
	v_cmp_gt_i32_e64 s[26:27], s33, v18
	global_load_dwordx4 v[30:33], v[56:57], off
	global_load_dwordx4 v[26:29], v[56:57], off offset:16
	v_cndmask_b32_e64 v17, v15, v42, s[24:25]
	v_cndmask_b32_e64 v18, v15, v43, s[26:27]
	v_max3_f32 v16, v16, v17, v18
	v_or_b32_e32 v17, 18, v14
	v_or_b32_e32 v18, 19, v14
	v_cmp_gt_i32_e64 s[20:21], s33, v17
	v_cmp_gt_i32_e64 s[22:23], s33, v18
	s_nop 0
	v_cndmask_b32_e64 v17, v15, v52, s[20:21]
	v_cndmask_b32_e64 v18, v15, v53, s[22:23]
	v_max3_f32 v16, v16, v17, v18
	v_or_b32_e32 v17, 32, v14
	v_or_b32_e32 v18, 33, v14
	v_cmp_gt_i32_e64 s[16:17], s33, v17
	v_cmp_gt_i32_e64 s[18:19], s33, v18
	s_nop 0
	;; [unrolled: 8-line block ×4, first 2 shown]
	v_cndmask_b32_e64 v17, v15, v44, s[8:9]
	v_cndmask_b32_e64 v18, v15, v45, s[10:11]
	v_max3_f32 v16, v16, v17, v18
	v_or_b32_e32 v17, 50, v14
	v_or_b32_e32 v14, 51, v14
	v_cmp_gt_i32_e32 vcc, s33, v17
	v_cmp_gt_i32_e64 s[6:7], s33, v14
	s_nop 0
	v_cndmask_b32_e32 v17, v15, v38, vcc
	v_cndmask_b32_e64 v14, v15, v39, s[6:7]
	v_max3_f32 v16, v16, v17, v14
	v_mbcnt_lo_u32_b32 v14, -1, 0
	v_mbcnt_hi_u32_b32 v17, -1, v14
	v_and_b32_e32 v14, 64, v17
	v_add_u32_e32 v18, 64, v14
	v_xor_b32_e32 v14, 32, v17
	v_cmp_lt_i32_e64 s[40:41], v14, v18
	s_nop 1
	v_cndmask_b32_e64 v14, v17, v14, s[40:41]
	v_lshlrev_b32_e32 v59, 2, v14
	ds_bpermute_b32 v19, v59, v16
	s_waitcnt vmcnt(5)
	v_mad_i64_i32 v[14:15], s[40:41], v55, s45, 0
	v_lshl_add_u64 v[14:15], v[14:15], 1, v[10:11]
	s_waitcnt lgkmcnt(0)
	v_max_f32_e32 v19, v19, v19
	v_max_f32_e32 v16, v16, v19
	v_xor_b32_e32 v19, 16, v17
	v_cmp_lt_i32_e64 s[40:41], v19, v18
	s_nop 1
	v_cndmask_b32_e64 v17, v17, v19, s[40:41]
	v_lshlrev_b32_e32 v57, 2, v17
	ds_bpermute_b32 v17, v57, v16
	global_load_dwordx4 v[22:25], v[14:15], off
	global_load_dwordx4 v[18:21], v[14:15], off offset:16
	s_waitcnt vmcnt(6)
	v_mad_i64_i32 v[14:15], s[40:41], v58, s45, 0
	v_lshl_add_u64 v[10:11], v[14:15], 1, v[10:11]
	s_waitcnt lgkmcnt(0)
	v_max_f32_e32 v14, v17, v17
	v_max_f32_e32 v55, v16, v14
	v_sub_f32_e32 v12, v12, v55
	v_mul_f32_e32 v12, 0x3fb8aa3b, v12
	v_exp_f32_e32 v40, v12
	v_sub_f32_e32 v12, v13, v55
	v_mul_f32_e32 v12, 0x3fb8aa3b, v12
	v_exp_f32_e32 v41, v12
	global_load_dwordx4 v[14:17], v[10:11], off
	s_nop 0
	global_load_dwordx4 v[10:13], v[10:11], off offset:16
	v_sub_f32_e32 v50, v50, v55
	v_mul_f32_e32 v50, 0x3fb8aa3b, v50
	v_sub_f32_e32 v51, v51, v55
	v_exp_f32_e32 v50, v50
	v_mul_f32_e32 v51, 0x3fb8aa3b, v51
	v_sub_f32_e32 v42, v42, v55
	v_exp_f32_e32 v51, v51
	v_mul_f32_e32 v42, 0x3fb8aa3b, v42
	v_sub_f32_e32 v43, v43, v55
	v_cndmask_b32_e64 v40, 0, v40, s[4:5]
	v_exp_f32_e32 v42, v42
	v_mul_f32_e32 v43, 0x3fb8aa3b, v43
	v_sub_f32_e32 v52, v52, v55
	v_add_f32_e32 v56, 0, v40
	v_cndmask_b32_e64 v41, 0, v41, s[34:35]
	v_exp_f32_e32 v43, v43
	v_mul_f32_e32 v52, 0x3fb8aa3b, v52
	v_sub_f32_e32 v53, v53, v55
	v_add_f32_e32 v56, v56, v41
	;; [unrolled: 5-line block ×10, first 2 shown]
	v_cndmask_b32_e64 v46, 0, v46, s[12:13]
	v_exp_f32_e32 v38, v38
	v_mul_f32_e32 v39, 0x3fb8aa3b, v39
	v_add_f32_e32 v56, v56, v46
	v_cndmask_b32_e64 v47, 0, v47, s[14:15]
	v_exp_f32_e32 v39, v39
	v_add_f32_e32 v56, v56, v47
	v_cndmask_b32_e64 v44, 0, v44, s[8:9]
	v_add_f32_e32 v56, v56, v44
	v_cndmask_b32_e64 v45, 0, v45, s[10:11]
	v_add_f32_e32 v56, v56, v45
	v_cndmask_b32_e32 v38, 0, v38, vcc
	v_add_f32_e32 v56, v56, v38
	v_cndmask_b32_e64 v39, 0, v39, s[6:7]
	v_add_f32_e32 v56, v56, v39
	ds_bpermute_b32 v58, v59, v56
	v_cmp_gt_u32_e32 vcc, 16, v37
	v_lshlrev_b32_e32 v37, 2, v36
	s_waitcnt lgkmcnt(0)
	s_barrier
	v_add_f32_e32 v56, v56, v58
	ds_bpermute_b32 v57, v57, v56
	s_waitcnt lgkmcnt(0)
	s_and_saveexec_b64 s[4:5], vcc
	s_cbranch_execz .LBB141_15
; %bb.14:
	v_add_f32_e32 v56, v56, v57
	v_lshl_or_b32 v57, v1, 6, v37
	ds_write2st64_b32 v57, v55, v56 offset1:1
.LBB141_15:
	s_or_b64 exec, exec, s[4:5]
	s_load_dword s6, s[0:1], 0x94
	s_waitcnt lgkmcnt(0)
	s_barrier
	ds_read2_b32 v[56:57], v37 offset1:16
	ds_read2_b32 v[58:59], v37 offset0:32 offset1:48
	ds_read2_b32 v[60:61], v37 offset0:64 offset1:80
	ds_read2_b32 v[62:63], v37 offset0:96 offset1:112
	s_waitcnt lgkmcnt(0)
	v_max3_f32 v55, v56, s43, v57
	v_max3_f32 v55, v55, v58, v59
	v_sub_f32_e32 v56, v56, v55
	v_mul_f32_e32 v56, 0x3fb8aa3b, v56
	v_exp_f32_e32 v64, v56
	v_sub_f32_e32 v56, v57, v55
	v_mul_f32_e32 v56, 0x3fb8aa3b, v56
	v_exp_f32_e32 v57, v56
	v_sub_f32_e32 v56, v58, v55
	v_mul_f32_e32 v56, 0x3fb8aa3b, v56
	v_sub_f32_e32 v37, v59, v55
	v_exp_f32_e32 v58, v56
	v_mul_f32_e32 v37, 0x3fb8aa3b, v37
	v_exp_f32_e32 v37, v37
	v_fma_f32 v56, v64, v60, 0
	v_fmac_f32_e32 v56, v57, v61
	v_fmac_f32_e32 v56, v58, v62
	;; [unrolled: 1-line block ×3, first 2 shown]
	v_add_f32_e32 v59, 0x358637bd, v56
	v_div_scale_f32 v60, s[4:5], v59, v59, 1.0
	v_rcp_f32_e32 v61, v60
	s_barrier
	s_mul_i32 s7, s29, 10
	v_fma_f32 v62, -v60, v61, 1.0
	v_fmac_f32_e32 v61, v62, v61
	v_div_scale_f32 v62, vcc, 1.0, v59, 1.0
	v_mul_f32_e32 v63, v62, v61
	v_fma_f32 v65, -v60, v63, v62
	v_fmac_f32_e32 v63, v65, v61
	v_fma_f32 v60, -v60, v63, v62
	v_div_fmas_f32 v60, v60, v61, v63
	v_cmp_eq_u32_e32 vcc, 1, v1
	v_div_fixup_f32 v59, v60, v59, 1.0
	s_nop 0
	v_cndmask_b32_e32 v57, v64, v57, vcc
	v_cmp_eq_u32_e32 vcc, 2, v1
	s_nop 1
	v_cndmask_b32_e32 v57, v57, v58, vcc
	v_cmp_eq_u32_e32 vcc, 3, v1
	v_lshlrev_b32_e32 v1, 11, v1
	s_nop 0
	v_cndmask_b32_e32 v37, v57, v37, vcc
	v_mul_f32_e32 v58, v37, v59
	v_pk_mul_f32 v[50:51], v[58:59], v[50:51] op_sel_hi:[0,1]
	v_pk_mul_f32 v[40:41], v[58:59], v[40:41] op_sel_hi:[0,1]
	v_cvt_f16_f32_e32 v37, v40
	v_cvt_f16_f32_e32 v40, v41
	v_cvt_f16_f32_e32 v41, v50
	v_cvt_f16_f32_e32 v51, v51
	v_pk_mul_f32 v[52:53], v[58:59], v[52:53] op_sel_hi:[0,1]
	v_pk_mul_f32 v[42:43], v[58:59], v[42:43] op_sel_hi:[0,1]
	v_pack_b32_f16 v50, v37, v40
	v_pack_b32_f16 v51, v41, v51
	v_cvt_f16_f32_e32 v41, v42
	v_cvt_f16_f32_e32 v42, v43
	v_cvt_f16_f32_e32 v43, v52
	v_cvt_f16_f32_e32 v52, v53
	v_lshlrev_b32_e32 v37, 3, v54
	v_lshlrev_b32_e32 v40, 5, v36
	v_or3_b32 v1, v1, v40, v37
	v_pack_b32_f16 v42, v41, v42
	v_pack_b32_f16 v43, v43, v52
	ds_write2st64_b64 v1, v[50:51], v[42:43] offset1:1
	v_pk_mul_f32 v[42:43], v[58:59], v[46:47] op_sel_hi:[0,1]
	v_pk_mul_f32 v[46:47], v[58:59], v[48:49] op_sel_hi:[0,1]
	v_cvt_f16_f32_e32 v37, v46
	v_cvt_f16_f32_e32 v41, v47
	;; [unrolled: 1-line block ×4, first 2 shown]
	v_pk_mul_f32 v[38:39], v[58:59], v[38:39] op_sel_hi:[0,1]
	v_pk_mul_f32 v[42:43], v[58:59], v[44:45] op_sel_hi:[0,1]
	v_cvt_f16_f32_e32 v42, v42
	v_cvt_f16_f32_e32 v43, v43
	;; [unrolled: 1-line block ×4, first 2 shown]
	v_pack_b32_f16 v38, v37, v41
	v_pack_b32_f16 v39, v46, v47
	;; [unrolled: 1-line block ×4, first 2 shown]
	v_cmp_gt_u32_e32 vcc, 10, v0
	ds_write2st64_b64 v1, v[38:39], v[42:43] offset0:2 offset1:3
	s_and_saveexec_b64 s[4:5], vcc
	s_cbranch_execz .LBB141_17
; %bb.16:
	s_mov_b32 s43, 0
	v_mov_b32_e32 v37, 0
	v_lshl_add_u64 v[38:39], s[42:43], 0, v[36:37]
	v_mov_b32_e32 v36, s7
	v_mad_u64_u32 v[38:39], s[12:13], s2, v36, v[38:39]
	v_mov_b32_e32 v36, s28
	s_load_dwordx4 s[8:11], s[0:1], 0x58
	s_mul_i32 s3, s3, s7
	v_mad_u64_u32 v[36:37], s[12:13], v38, s6, v[36:37]
	v_add_u32_e32 v39, s3, v39
	v_mov_b32_e32 v38, v37
	v_mad_u64_u32 v[38:39], s[12:13], v39, s6, v[38:39]
	v_mov_b32_e32 v37, v38
	v_lshlrev_b64 v[36:37], 2, v[36:37]
	s_waitcnt lgkmcnt(0)
	v_lshl_add_u64 v[38:39], s[10:11], 0, v[36:37]
	v_lshl_add_u64 v[36:37], s[8:9], 0, v[36:37]
	global_store_dword v[38:39], v55, off
	global_store_dword v[36:37], v56, off
.LBB141_17:
	s_or_b64 exec, exec, s[4:5]
	v_lshl_or_b32 v48, v54, 9, v40
	s_waitcnt lgkmcnt(0)
	s_barrier
	ds_read_b128 v[36:39], v48
	ds_read_b128 v[40:43], v48 offset:16
	s_waitcnt vmcnt(7) lgkmcnt(1)
	v_mfma_f32_16x16x16_f16 v[44:47], v[6:7], v[36:37], 0
	v_cmp_gt_u32_e32 vcc, 64, v0
	s_mov_b32 s3, 0
	s_and_b64 s[4:5], vcc, s[30:31]
	v_mfma_f32_16x16x16_f16 v[6:9], v[8:9], v[38:39], v[44:47]
	s_waitcnt vmcnt(6) lgkmcnt(0)
	v_mfma_f32_16x16x16_f16 v[6:9], v[2:3], v[40:41], v[6:9]
	v_mfma_f32_16x16x16_f16 v[2:5], v[4:5], v[42:43], v[6:9]
	s_nop 5
	ds_read_b128 v[6:9], v48 offset:2048
	ds_read_b128 v[36:39], v48 offset:2064
	s_waitcnt vmcnt(5) lgkmcnt(1)
	v_mfma_f32_16x16x16_f16 v[2:5], v[30:31], v[6:7], v[2:5]
	v_mfma_f32_16x16x16_f16 v[2:5], v[32:33], v[8:9], v[2:5]
	s_waitcnt vmcnt(4) lgkmcnt(0)
	v_mfma_f32_16x16x16_f16 v[2:5], v[26:27], v[36:37], v[2:5]
	v_mfma_f32_16x16x16_f16 v[2:5], v[28:29], v[38:39], v[2:5]
	ds_read_b128 v[6:9], v48 offset:4096
	ds_read_b128 v[26:29], v48 offset:4112
	s_waitcnt vmcnt(3) lgkmcnt(1)
	v_mfma_f32_16x16x16_f16 v[2:5], v[22:23], v[6:7], v[2:5]
	v_mfma_f32_16x16x16_f16 v[2:5], v[24:25], v[8:9], v[2:5]
	s_waitcnt vmcnt(2) lgkmcnt(0)
	v_mfma_f32_16x16x16_f16 v[2:5], v[18:19], v[26:27], v[2:5]
	v_mfma_f32_16x16x16_f16 v[2:5], v[20:21], v[28:29], v[2:5]
	ds_read_b128 v[6:9], v48 offset:6144
	ds_read_b128 v[18:21], v48 offset:6160
	s_waitcnt lgkmcnt(0)
	s_barrier
	s_waitcnt vmcnt(1)
	v_mfma_f32_16x16x16_f16 v[2:5], v[14:15], v[6:7], v[2:5]
	v_mfma_f32_16x16x16_f16 v[2:5], v[16:17], v[8:9], v[2:5]
	s_waitcnt vmcnt(0)
	v_mfma_f32_16x16x16_f16 v[2:5], v[10:11], v[18:19], v[2:5]
	v_mfma_f32_16x16x16_f16 v[2:5], v[12:13], v[20:21], v[2:5]
	s_nop 6
	v_cvt_f16_f32_e32 v2, v2
	v_cvt_f16_f32_e32 v3, v3
	;; [unrolled: 1-line block ×4, first 2 shown]
	v_pack_b32_f16 v2, v2, v3
	v_pack_b32_f16 v3, v4, v5
	ds_write_b64 v1, v[2:3]
	s_waitcnt lgkmcnt(0)
	s_barrier
	s_and_saveexec_b64 s[8:9], s[4:5]
	s_cbranch_execz .LBB141_20
; %bb.18:
	s_load_dwordx2 s[4:5], s[0:1], 0x68
	s_lshl_b32 s0, s6, 6
	s_mul_i32 s1, s7, s2
	s_mul_hi_u32 s7, s1, s0
	s_mul_i32 s6, s1, s0
	v_lshlrev_b32_e32 v1, 10, v0
	v_lshlrev_b32_e32 v0, 4, v0
	s_lshl_b64 s[6:7], s[6:7], 1
	v_and_b32_e32 v1, 0x1800, v1
	v_lshlrev_b32_e32 v2, 5, v54
	v_and_b32_e32 v0, 16, v0
	s_waitcnt lgkmcnt(0)
	s_add_u32 s1, s4, s6
	v_or3_b32 v2, v1, v2, v0
	s_addc_u32 s4, s5, s7
	s_lshl_b32 s2, s28, 6
	s_lshl_b64 s[2:3], s[2:3], 1
	ds_read_b128 v[4:7], v2 offset:128
	ds_read_b128 v[8:11], v2
	s_add_u32 s2, s1, s2
	s_addc_u32 s3, s4, s3
	v_add_u32_e32 v14, s42, v54
	v_lshl_add_u64 v[0:1], v[34:35], 1, s[2:3]
	v_mad_u64_u32 v[12:13], s[2:3], v14, s0, 0
	v_lshl_add_u64 v[12:13], v[12:13], 1, v[0:1]
	s_waitcnt lgkmcnt(0)
	global_store_dwordx4 v[12:13], v[8:11], off
	v_or_b32_e32 v3, 8, v54
	v_cmp_gt_u32_e32 vcc, 10, v3
	v_add_u32_e32 v8, 4, v14
	v_mad_u64_u32 v[8:9], s[2:3], v8, s0, 0
	v_lshl_add_u64 v[8:9], v[8:9], 1, v[0:1]
	global_store_dwordx4 v[8:9], v[4:7], off
	s_and_b64 exec, exec, vcc
	s_cbranch_execz .LBB141_20
; %bb.19:
	ds_read_b128 v[4:7], v2 offset:256
	v_add_u32_e32 v2, s42, v3
	v_mad_u64_u32 v[2:3], s[0:1], v2, s0, 0
	v_lshl_add_u64 v[0:1], v[2:3], 1, v[0:1]
	s_waitcnt lgkmcnt(0)
	global_store_dwordx4 v[0:1], v[4:7], off
.LBB141_20:
	s_endpgm
	.section	.rodata,"a",@progbits
	.p2align	6, 0x0
	.amdhsa_kernel _Z39paged_attention_ll4mi_QKV_mfma16_kernelIDF16_DF16_LN4vllm18Fp8KVCacheDataTypeE0EhLi32ELi64ELi256ELb0ELi10EEvPKT_PKT0_S7_ifPKiS9_S9_iPKfiiiPfSC_PS2_PT2_iSB_SB_
		.amdhsa_group_segment_fixed_size 8192
		.amdhsa_private_segment_fixed_size 0
		.amdhsa_kernarg_size 400
		.amdhsa_user_sgpr_count 2
		.amdhsa_user_sgpr_dispatch_ptr 0
		.amdhsa_user_sgpr_queue_ptr 0
		.amdhsa_user_sgpr_kernarg_segment_ptr 1
		.amdhsa_user_sgpr_dispatch_id 0
		.amdhsa_user_sgpr_kernarg_preload_length 0
		.amdhsa_user_sgpr_kernarg_preload_offset 0
		.amdhsa_user_sgpr_private_segment_size 0
		.amdhsa_uses_dynamic_stack 0
		.amdhsa_enable_private_segment 0
		.amdhsa_system_sgpr_workgroup_id_x 1
		.amdhsa_system_sgpr_workgroup_id_y 1
		.amdhsa_system_sgpr_workgroup_id_z 1
		.amdhsa_system_sgpr_workgroup_info 0
		.amdhsa_system_vgpr_workitem_id 0
		.amdhsa_next_free_vgpr 67
		.amdhsa_next_free_sgpr 48
		.amdhsa_accum_offset 68
		.amdhsa_reserve_vcc 1
		.amdhsa_float_round_mode_32 0
		.amdhsa_float_round_mode_16_64 0
		.amdhsa_float_denorm_mode_32 3
		.amdhsa_float_denorm_mode_16_64 3
		.amdhsa_dx10_clamp 1
		.amdhsa_ieee_mode 1
		.amdhsa_fp16_overflow 0
		.amdhsa_tg_split 0
		.amdhsa_exception_fp_ieee_invalid_op 0
		.amdhsa_exception_fp_denorm_src 0
		.amdhsa_exception_fp_ieee_div_zero 0
		.amdhsa_exception_fp_ieee_overflow 0
		.amdhsa_exception_fp_ieee_underflow 0
		.amdhsa_exception_fp_ieee_inexact 0
		.amdhsa_exception_int_div_zero 0
	.end_amdhsa_kernel
	.section	.text._Z39paged_attention_ll4mi_QKV_mfma16_kernelIDF16_DF16_LN4vllm18Fp8KVCacheDataTypeE0EhLi32ELi64ELi256ELb0ELi10EEvPKT_PKT0_S7_ifPKiS9_S9_iPKfiiiPfSC_PS2_PT2_iSB_SB_,"axG",@progbits,_Z39paged_attention_ll4mi_QKV_mfma16_kernelIDF16_DF16_LN4vllm18Fp8KVCacheDataTypeE0EhLi32ELi64ELi256ELb0ELi10EEvPKT_PKT0_S7_ifPKiS9_S9_iPKfiiiPfSC_PS2_PT2_iSB_SB_,comdat
.Lfunc_end141:
	.size	_Z39paged_attention_ll4mi_QKV_mfma16_kernelIDF16_DF16_LN4vllm18Fp8KVCacheDataTypeE0EhLi32ELi64ELi256ELb0ELi10EEvPKT_PKT0_S7_ifPKiS9_S9_iPKfiiiPfSC_PS2_PT2_iSB_SB_, .Lfunc_end141-_Z39paged_attention_ll4mi_QKV_mfma16_kernelIDF16_DF16_LN4vllm18Fp8KVCacheDataTypeE0EhLi32ELi64ELi256ELb0ELi10EEvPKT_PKT0_S7_ifPKiS9_S9_iPKfiiiPfSC_PS2_PT2_iSB_SB_
                                        ; -- End function
	.section	.AMDGPU.csdata,"",@progbits
; Kernel info:
; codeLenInByte = 3916
; NumSgprs: 54
; NumVgprs: 67
; NumAgprs: 0
; TotalNumVgprs: 67
; ScratchSize: 0
; MemoryBound: 0
; FloatMode: 240
; IeeeMode: 1
; LDSByteSize: 8192 bytes/workgroup (compile time only)
; SGPRBlocks: 6
; VGPRBlocks: 8
; NumSGPRsForWavesPerEU: 54
; NumVGPRsForWavesPerEU: 67
; AccumOffset: 68
; Occupancy: 7
; WaveLimiterHint : 1
; COMPUTE_PGM_RSRC2:SCRATCH_EN: 0
; COMPUTE_PGM_RSRC2:USER_SGPR: 2
; COMPUTE_PGM_RSRC2:TRAP_HANDLER: 0
; COMPUTE_PGM_RSRC2:TGID_X_EN: 1
; COMPUTE_PGM_RSRC2:TGID_Y_EN: 1
; COMPUTE_PGM_RSRC2:TGID_Z_EN: 1
; COMPUTE_PGM_RSRC2:TIDIG_COMP_CNT: 0
; COMPUTE_PGM_RSRC3_GFX90A:ACCUM_OFFSET: 16
; COMPUTE_PGM_RSRC3_GFX90A:TG_SPLIT: 0
	.section	.text._Z39paged_attention_ll4mi_QKV_mfma16_kernelIDF16_DF16_LN4vllm18Fp8KVCacheDataTypeE0EhLi32ELi64ELi256ELb0ELi11EEvPKT_PKT0_S7_ifPKiS9_S9_iPKfiiiPfSC_PS2_PT2_iSB_SB_,"axG",@progbits,_Z39paged_attention_ll4mi_QKV_mfma16_kernelIDF16_DF16_LN4vllm18Fp8KVCacheDataTypeE0EhLi32ELi64ELi256ELb0ELi11EEvPKT_PKT0_S7_ifPKiS9_S9_iPKfiiiPfSC_PS2_PT2_iSB_SB_,comdat
	.protected	_Z39paged_attention_ll4mi_QKV_mfma16_kernelIDF16_DF16_LN4vllm18Fp8KVCacheDataTypeE0EhLi32ELi64ELi256ELb0ELi11EEvPKT_PKT0_S7_ifPKiS9_S9_iPKfiiiPfSC_PS2_PT2_iSB_SB_ ; -- Begin function _Z39paged_attention_ll4mi_QKV_mfma16_kernelIDF16_DF16_LN4vllm18Fp8KVCacheDataTypeE0EhLi32ELi64ELi256ELb0ELi11EEvPKT_PKT0_S7_ifPKiS9_S9_iPKfiiiPfSC_PS2_PT2_iSB_SB_
	.globl	_Z39paged_attention_ll4mi_QKV_mfma16_kernelIDF16_DF16_LN4vllm18Fp8KVCacheDataTypeE0EhLi32ELi64ELi256ELb0ELi11EEvPKT_PKT0_S7_ifPKiS9_S9_iPKfiiiPfSC_PS2_PT2_iSB_SB_
	.p2align	8
	.type	_Z39paged_attention_ll4mi_QKV_mfma16_kernelIDF16_DF16_LN4vllm18Fp8KVCacheDataTypeE0EhLi32ELi64ELi256ELb0ELi11EEvPKT_PKT0_S7_ifPKiS9_S9_iPKfiiiPfSC_PS2_PT2_iSB_SB_,@function
_Z39paged_attention_ll4mi_QKV_mfma16_kernelIDF16_DF16_LN4vllm18Fp8KVCacheDataTypeE0EhLi32ELi64ELi256ELb0ELi11EEvPKT_PKT0_S7_ifPKiS9_S9_iPKfiiiPfSC_PS2_PT2_iSB_SB_: ; @_Z39paged_attention_ll4mi_QKV_mfma16_kernelIDF16_DF16_LN4vllm18Fp8KVCacheDataTypeE0EhLi32ELi64ELi256ELb0ELi11EEvPKT_PKT0_S7_ifPKiS9_S9_iPKfiiiPfSC_PS2_PT2_iSB_SB_
; %bb.0:
	s_load_dwordx2 s[6:7], s[0:1], 0x30
	s_mov_b32 s28, s3
	s_mov_b64 s[10:11], 0
	s_waitcnt lgkmcnt(0)
	s_cmp_lg_u64 s[6:7], 0
	s_cselect_b64 s[8:9], -1, 0
	s_and_b64 vcc, exec, s[8:9]
	s_cbranch_vccz .LBB142_7
; %bb.1:
	s_add_i32 s12, s2, 1
	s_mov_b32 s13, 0
	s_lshl_b64 s[14:15], s[12:13], 2
	s_add_u32 s14, s6, s14
	s_mov_b32 s3, s13
	s_addc_u32 s15, s7, s15
	s_lshl_b64 s[12:13], s[2:3], 2
	s_add_u32 s12, s6, s12
	s_addc_u32 s13, s7, s13
	s_load_dword s5, s[14:15], 0x0
	s_load_dword s16, s[12:13], 0x0
	s_waitcnt lgkmcnt(0)
	s_sub_i32 s5, s5, s16
	s_cmp_eq_u32 s5, 1
	s_cselect_b64 s[12:13], -1, 0
	s_andn2_b64 vcc, exec, s[10:11]
	s_cbranch_vccnz .LBB142_3
.LBB142_2:
	s_mov_b32 s3, 0
	s_mov_b64 s[12:13], -1
.LBB142_3:
	s_andn2_b64 vcc, exec, s[12:13]
	s_cbranch_vccnz .LBB142_20
; %bb.4:
	s_load_dwordx2 s[12:13], s[0:1], 0x28
	s_lshl_b64 s[10:11], s[2:3], 2
	s_waitcnt lgkmcnt(0)
	s_add_u32 s12, s12, s10
	s_addc_u32 s13, s13, s11
	s_load_dword s33, s[12:13], 0x0
	s_lshl_b32 s14, s28, 8
	s_waitcnt lgkmcnt(0)
	s_cmp_ge_i32 s14, s33
	s_cbranch_scc1 .LBB142_20
; %bb.5:
	s_load_dwordx2 s[12:13], s[0:1], 0x20
	s_load_dword s5, s[0:1], 0x38
	s_add_i32 s15, s33, 31
	s_ashr_i32 s16, s15, 31
	v_and_b32_e32 v1, 0xcf, v0
	s_lshr_b32 s16, s16, 27
	v_add_u32_e32 v1, s14, v1
	s_add_i32 s15, s15, s16
	v_ashrrev_i32_e32 v2, 31, v1
	s_ashr_i32 s15, s15, 5
	v_lshrrev_b32_e32 v10, 27, v2
	s_add_i32 s15, s15, -1
	s_waitcnt lgkmcnt(0)
	s_mul_i32 s16, s2, s5
	s_mov_b32 s17, 0
	v_add_u32_e32 v2, v1, v10
	s_lshl_b64 s[16:17], s[16:17], 2
	v_ashrrev_i32_e32 v2, 5, v2
	v_mov_b32_e32 v11, s15
	v_cmp_gt_i32_e32 vcc, s33, v1
	s_add_u32 s12, s12, s16
	s_addc_u32 s13, s13, s17
	v_cndmask_b32_e32 v2, v11, v2, vcc
	v_ashrrev_i32_e32 v3, 31, v2
	v_lshl_add_u64 v[4:5], v[2:3], 2, s[12:13]
	v_or_b32_e32 v2, 16, v1
	v_add_u32_e32 v3, v2, v10
	v_ashrrev_i32_e32 v3, 5, v3
	v_cmp_gt_i32_e32 vcc, s33, v2
	s_nop 1
	v_cndmask_b32_e32 v2, v11, v3, vcc
	v_ashrrev_i32_e32 v3, 31, v2
	v_lshl_add_u64 v[6:7], v[2:3], 2, s[12:13]
	v_or_b32_e32 v2, 32, v1
	v_add_u32_e32 v3, v2, v10
	v_ashrrev_i32_e32 v3, 5, v3
	v_cmp_gt_i32_e32 vcc, s33, v2
	v_or_b32_e32 v1, 48, v1
	s_nop 0
	v_cndmask_b32_e32 v2, v11, v3, vcc
	v_ashrrev_i32_e32 v3, 31, v2
	v_lshl_add_u64 v[8:9], v[2:3], 2, s[12:13]
	v_add_u32_e32 v2, v1, v10
	v_ashrrev_i32_e32 v2, 5, v2
	v_cmp_gt_i32_e32 vcc, s33, v1
	s_nop 1
	v_cndmask_b32_e32 v2, v11, v2, vcc
	v_ashrrev_i32_e32 v3, 31, v2
	v_lshl_add_u64 v[12:13], v[2:3], 2, s[12:13]
	global_load_dword v3, v[4:5], off
	global_load_dword v2, v[6:7], off
	;; [unrolled: 1-line block ×4, first 2 shown]
	s_andn2_b64 vcc, exec, s[8:9]
	s_cbranch_vccnz .LBB142_8
; %bb.6:
	s_add_u32 s6, s6, s10
	s_addc_u32 s7, s7, s11
	s_load_dword s5, s[6:7], 0x0
	s_branch .LBB142_9
.LBB142_7:
	s_mov_b64 s[12:13], 0
	s_branch .LBB142_2
.LBB142_8:
	s_mov_b32 s5, s2
.LBB142_9:
	s_load_dwordx4 s[8:11], s[0:1], 0x8
	s_load_dwordx4 s[44:47], s[0:1], 0x48
	v_lshrrev_b32_e32 v1, 6, v0
	v_bfe_u32 v54, v0, 4, 2
	v_lshl_or_b32 v4, v1, 2, v54
	v_and_b32_e32 v36, 15, v0
	v_cmp_lt_u32_e32 vcc, 10, v4
	v_cmp_lt_u32_e64 s[6:7], 7, v36
	v_lshlrev_b32_e32 v34, 3, v36
	v_cmp_gt_u32_e64 s[30:31], 8, v36
	s_or_b64 s[6:7], s[6:7], vcc
	s_and_saveexec_b64 s[16:17], s[6:7]
	s_xor_b64 s[6:7], exec, s[16:17]
; %bb.10:
	v_mov_b32_e32 v35, 0
                                        ; implicit-def: $vgpr4
; %bb.11:
	s_or_saveexec_b64 s[6:7], s[6:7]
	v_and_b32_e32 v37, 63, v0
	s_mul_i32 s42, s4, 11
	s_xor_b64 exec, exec, s[6:7]
	s_cbranch_execz .LBB142_13
; %bb.12:
	s_load_dwordx2 s[16:17], s[0:1], 0x0
	s_waitcnt lgkmcnt(0)
	s_ashr_i32 s18, s44, 31
	s_mul_hi_u32 s19, s5, s44
	s_mul_i32 s18, s5, s18
	s_add_i32 s19, s19, s18
	s_mul_i32 s18, s5, s44
	s_lshl_b64 s[18:19], s[18:19], 1
	s_add_u32 s16, s16, s18
	v_add_lshl_u32 v6, v4, s42, 6
	s_addc_u32 s17, s17, s19
	v_ashrrev_i32_e32 v7, 31, v6
	v_mov_b32_e32 v35, 0
	v_lshl_add_u64 v[6:7], v[6:7], 1, s[16:17]
	v_lshlrev_b32_e32 v8, 1, v34
	v_mov_b32_e32 v9, v35
	v_lshl_add_u64 v[6:7], v[6:7], 0, v[8:9]
	global_load_dwordx4 v[6:9], v[6:7], off
	v_and_b32_e32 v5, 3, v0
	v_lshlrev_b32_e32 v11, 9, v36
	v_lshlrev_b32_e32 v4, 5, v4
	;; [unrolled: 1-line block ×3, first 2 shown]
	v_and_b32_e32 v11, 0x1800, v11
	v_or3_b32 v4, v11, v5, v4
	s_waitcnt vmcnt(0)
	ds_write_b128 v4, v[6:9]
.LBB142_13:
	s_or_b64 exec, exec, s[6:7]
	s_waitcnt lgkmcnt(0)
	s_mul_i32 s4, s4, s46
	s_mov_b32 s5, 0
	s_lshl_b64 s[4:5], s[4:5], 1
	s_add_u32 s8, s8, s4
	s_addc_u32 s9, s9, s5
	s_waitcnt vmcnt(3)
	v_mad_i64_i32 v[4:5], s[16:17], v3, s45, 0
	v_lshl_add_u64 v[4:5], v[4:5], 1, s[8:9]
	v_lshlrev_b64 v[12:13], 1, v[34:35]
	v_lshlrev_b32_e32 v38, 9, v54
	v_lshl_add_u64 v[4:5], v[4:5], 0, v[12:13]
	v_mov_b32_e32 v39, 0
	v_lshl_add_u64 v[14:15], v[4:5], 0, v[38:39]
	s_waitcnt vmcnt(2)
	v_mad_i64_i32 v[2:3], s[16:17], v2, s45, 0
	v_mov_b32_e32 v4, 0x100
	v_lshl_add_u64 v[2:3], v[2:3], 1, s[8:9]
	v_lshl_or_b32 v40, v36, 4, v4
	v_mov_b32_e32 v41, v39
	s_load_dword s29, s[0:1], 0x98
	s_load_dword s6, s[0:1], 0x1c
	s_waitcnt lgkmcnt(0)
	s_barrier
	v_lshl_add_u64 v[2:3], v[2:3], 0, v[40:41]
	global_load_dwordx4 v[6:9], v[14:15], off
	global_load_dwordx4 v[22:25], v[14:15], off offset:2048
	v_lshl_add_u64 v[18:19], v[2:3], 0, v[38:39]
	global_load_dwordx4 v[2:5], v[18:19], off
	global_load_dwordx4 v[26:29], v[18:19], off offset:2048
	s_waitcnt vmcnt(5)
	v_mad_i64_i32 v[10:11], s[16:17], v10, s45, 0
	v_lshl_add_u64 v[10:11], v[10:11], 1, s[8:9]
	v_lshl_add_u64 v[10:11], v[10:11], 0, v[12:13]
	;; [unrolled: 1-line block ×3, first 2 shown]
	global_load_dwordx4 v[10:13], v[20:21], off
	global_load_dwordx4 v[30:33], v[20:21], off offset:2048
	s_waitcnt vmcnt(6)
	v_mad_i64_i32 v[42:43], s[16:17], v16, s45, 0
	v_add_u32_e32 v17, -11, v36
	v_cmp_gt_u32_e32 vcc, 11, v36
	v_lshl_add_u64 v[42:43], v[42:43], 1, s[8:9]
	v_lshl_add_u64 v[40:41], v[42:43], 0, v[40:41]
	v_cndmask_b32_e32 v14, v17, v36, vcc
	v_lshl_add_u32 v14, v14, 5, v38
	v_lshl_add_u64 v[40:41], v[40:41], 0, v[38:39]
	ds_read_b128 v[18:21], v14
	ds_read_b128 v[14:17], v14 offset:2048
	global_load_dwordx4 v[46:49], v[40:41], off
	global_load_dwordx4 v[60:63], v[40:41], off offset:2048
	s_ashr_i32 s7, s14, 31
	v_and_or_b32 v55, v0, 48, s14
	s_lshr_b32 s7, s7, 27
	v_add_u32_e32 v42, s7, v55
	v_mov_b32_e32 v64, s15
	v_or_b32_e32 v50, 64, v55
	v_ashrrev_i32_e32 v38, 5, v42
	v_cmp_gt_i32_e32 vcc, s33, v55
	v_add_u32_e32 v43, s7, v50
	v_ashrrev_i32_e32 v51, 5, v43
	v_cndmask_b32_e32 v42, v64, v38, vcc
	v_ashrrev_i32_e32 v43, 31, v42
	v_lshl_add_u64 v[42:43], v[42:43], 2, s[12:13]
	v_cmp_gt_i32_e32 vcc, s33, v50
	global_load_dword v65, v[42:43], off
	v_or_b32_e32 v40, 0x80, v55
	v_or_b32_e32 v41, 0xc0, v55
	v_and_b32_e32 v38, 16, v0
	s_add_u32 s4, s10, s4
	s_addc_u32 s5, s11, s5
	v_lshlrev_b32_e32 v38, 1, v38
	s_mov_b32 s43, 0xff7fffff
	s_waitcnt vmcnt(8) lgkmcnt(1)
	v_mfma_f32_16x16x16_f16 v[42:45], v[6:7], v[18:19], 0
	v_cndmask_b32_e32 v6, v64, v51, vcc
	v_ashrrev_i32_e32 v7, 31, v6
	v_cmp_gt_i32_e32 vcc, s33, v40
	s_waitcnt vmcnt(6)
	v_mfma_f32_16x16x16_f16 v[50:53], v[2:3], v[18:19], 0
	v_lshl_add_u64 v[2:3], v[6:7], 2, s[12:13]
	global_load_dword v66, v[2:3], off
	v_mfma_f32_16x16x16_f16 v[6:9], v[8:9], v[20:21], v[42:45]
	v_mfma_f32_16x16x16_f16 v[2:5], v[4:5], v[20:21], v[50:53]
	s_nop 1
	v_add_u32_e32 v42, s7, v40
	v_add_u32_e32 v43, s7, v41
	v_ashrrev_i32_e32 v42, 5, v42
	s_waitcnt lgkmcnt(0)
	v_mfma_f32_16x16x16_f16 v[6:9], v[22:23], v[14:15], v[6:9]
	v_lshlrev_b32_e32 v45, 6, v36
	v_ashrrev_i32_e32 v43, 5, v43
	v_cndmask_b32_e32 v44, v64, v42, vcc
	s_waitcnt vmcnt(5)
	v_mfma_f32_16x16x16_f16 v[56:59], v[10:11], v[18:19], 0
	v_cmp_gt_i32_e32 vcc, s33, v41
	v_lshl_add_u64 v[50:51], s[4:5], 0, v[38:39]
	v_lshl_or_b32 v38, v1, 10, v45
	v_mfma_f32_16x16x16_f16 v[2:5], v[26:27], v[14:15], v[2:5]
	v_cndmask_b32_e32 v26, v64, v43, vcc
	v_ashrrev_i32_e32 v45, 31, v44
	v_ashrrev_i32_e32 v27, 31, v26
	v_mfma_f32_16x16x16_f16 v[22:25], v[24:25], v[16:17], v[6:9]
	s_nop 2
	v_lshl_add_u64 v[6:7], v[44:45], 2, s[12:13]
	v_mfma_f32_16x16x16_f16 v[10:13], v[12:13], v[20:21], v[56:59]
	v_lshl_add_u64 v[8:9], v[26:27], 2, s[12:13]
	global_load_dword v55, v[6:7], off
	s_nop 0
	global_load_dword v58, v[8:9], off
	s_waitcnt vmcnt(6)
	v_mfma_f32_16x16x16_f16 v[40:43], v[30:31], v[14:15], v[10:13]
	s_nop 2
	v_lshl_add_u64 v[10:11], v[50:51], 0, v[38:39]
	v_mfma_f32_16x16x16_f16 v[30:33], v[32:33], v[16:17], v[40:43]
	v_pk_mul_f32 v[50:51], s[6:7], v[24:25] op_sel_hi:[0,1]
	s_waitcnt vmcnt(2)
	v_mad_i64_i32 v[12:13], s[4:5], v66, s45, 0
	v_mfma_f32_16x16x16_f16 v[38:41], v[46:47], v[18:19], 0
	v_lshl_add_u64 v[56:57], v[12:13], 1, v[10:11]
	v_pk_mul_f32 v[12:13], s[6:7], v[22:23] op_sel_hi:[0,1]
	s_nop 0
	v_pk_mul_f32 v[46:47], s[6:7], v[32:33] op_sel_hi:[0,1]
	v_mfma_f32_16x16x16_f16 v[18:21], v[48:49], v[20:21], v[38:41]
	v_pk_mul_f32 v[48:49], s[6:7], v[30:31] op_sel_hi:[0,1]
	v_mfma_f32_16x16x16_f16 v[18:21], v[60:61], v[14:15], v[18:21]
	v_mfma_f32_16x16x16_f16 v[26:29], v[28:29], v[16:17], v[2:5]
	;; [unrolled: 1-line block ×3, first 2 shown]
	s_nop 1
	v_mad_i64_i32 v[2:3], s[4:5], v65, s45, 0
	s_nop 2
	v_pk_mul_f32 v[42:43], s[6:7], v[26:27] op_sel_hi:[0,1]
	v_pk_mul_f32 v[52:53], s[6:7], v[28:29] op_sel_hi:[0,1]
	v_lshl_add_u64 v[2:3], v[2:3], 1, v[10:11]
	v_pk_mul_f32 v[44:45], s[6:7], v[14:15] op_sel_hi:[0,1]
	v_and_b32_e32 v14, 0xc0, v0
	v_add_u32_e32 v14, s14, v14
	v_lshl_or_b32 v14, v54, 2, v14
	v_pk_mul_f32 v[38:39], s[6:7], v[16:17] op_sel_hi:[0,1]
	v_or_b32_e32 v17, 1, v14
	v_mov_b32_e32 v15, 0xff7fffff
	v_cmp_gt_i32_e64 s[4:5], s33, v14
	v_cmp_gt_i32_e64 s[34:35], s33, v17
	v_or_b32_e32 v18, 3, v14
	v_cndmask_b32_e64 v16, v15, v12, s[4:5]
	v_cndmask_b32_e64 v17, v15, v13, s[34:35]
	v_max3_f32 v16, v16, s43, v17
	v_or_b32_e32 v17, 2, v14
	v_cmp_gt_i32_e64 s[36:37], s33, v17
	v_cmp_gt_i32_e64 s[38:39], s33, v18
	global_load_dwordx4 v[6:9], v[2:3], off
	s_nop 0
	global_load_dwordx4 v[2:5], v[2:3], off offset:16
	v_cndmask_b32_e64 v17, v15, v50, s[36:37]
	v_cndmask_b32_e64 v18, v15, v51, s[38:39]
	v_max3_f32 v16, v16, v17, v18
	v_or_b32_e32 v17, 16, v14
	v_or_b32_e32 v18, 17, v14
	v_cmp_gt_i32_e64 s[24:25], s33, v17
	v_cmp_gt_i32_e64 s[26:27], s33, v18
	global_load_dwordx4 v[30:33], v[56:57], off
	global_load_dwordx4 v[26:29], v[56:57], off offset:16
	v_cndmask_b32_e64 v17, v15, v42, s[24:25]
	v_cndmask_b32_e64 v18, v15, v43, s[26:27]
	v_max3_f32 v16, v16, v17, v18
	v_or_b32_e32 v17, 18, v14
	v_or_b32_e32 v18, 19, v14
	v_cmp_gt_i32_e64 s[20:21], s33, v17
	v_cmp_gt_i32_e64 s[22:23], s33, v18
	s_nop 0
	v_cndmask_b32_e64 v17, v15, v52, s[20:21]
	v_cndmask_b32_e64 v18, v15, v53, s[22:23]
	v_max3_f32 v16, v16, v17, v18
	v_or_b32_e32 v17, 32, v14
	v_or_b32_e32 v18, 33, v14
	v_cmp_gt_i32_e64 s[16:17], s33, v17
	v_cmp_gt_i32_e64 s[18:19], s33, v18
	s_nop 0
	;; [unrolled: 8-line block ×4, first 2 shown]
	v_cndmask_b32_e64 v17, v15, v44, s[8:9]
	v_cndmask_b32_e64 v18, v15, v45, s[10:11]
	v_max3_f32 v16, v16, v17, v18
	v_or_b32_e32 v17, 50, v14
	v_or_b32_e32 v14, 51, v14
	v_cmp_gt_i32_e32 vcc, s33, v17
	v_cmp_gt_i32_e64 s[6:7], s33, v14
	s_nop 0
	v_cndmask_b32_e32 v17, v15, v38, vcc
	v_cndmask_b32_e64 v14, v15, v39, s[6:7]
	v_max3_f32 v16, v16, v17, v14
	v_mbcnt_lo_u32_b32 v14, -1, 0
	v_mbcnt_hi_u32_b32 v17, -1, v14
	v_and_b32_e32 v14, 64, v17
	v_add_u32_e32 v18, 64, v14
	v_xor_b32_e32 v14, 32, v17
	v_cmp_lt_i32_e64 s[40:41], v14, v18
	s_nop 1
	v_cndmask_b32_e64 v14, v17, v14, s[40:41]
	v_lshlrev_b32_e32 v59, 2, v14
	ds_bpermute_b32 v19, v59, v16
	s_waitcnt vmcnt(5)
	v_mad_i64_i32 v[14:15], s[40:41], v55, s45, 0
	v_lshl_add_u64 v[14:15], v[14:15], 1, v[10:11]
	s_waitcnt lgkmcnt(0)
	v_max_f32_e32 v19, v19, v19
	v_max_f32_e32 v16, v16, v19
	v_xor_b32_e32 v19, 16, v17
	v_cmp_lt_i32_e64 s[40:41], v19, v18
	s_nop 1
	v_cndmask_b32_e64 v17, v17, v19, s[40:41]
	v_lshlrev_b32_e32 v57, 2, v17
	ds_bpermute_b32 v17, v57, v16
	global_load_dwordx4 v[22:25], v[14:15], off
	global_load_dwordx4 v[18:21], v[14:15], off offset:16
	s_waitcnt vmcnt(6)
	v_mad_i64_i32 v[14:15], s[40:41], v58, s45, 0
	v_lshl_add_u64 v[10:11], v[14:15], 1, v[10:11]
	s_waitcnt lgkmcnt(0)
	v_max_f32_e32 v14, v17, v17
	v_max_f32_e32 v55, v16, v14
	v_sub_f32_e32 v12, v12, v55
	v_mul_f32_e32 v12, 0x3fb8aa3b, v12
	v_exp_f32_e32 v40, v12
	v_sub_f32_e32 v12, v13, v55
	v_mul_f32_e32 v12, 0x3fb8aa3b, v12
	v_exp_f32_e32 v41, v12
	global_load_dwordx4 v[14:17], v[10:11], off
	s_nop 0
	global_load_dwordx4 v[10:13], v[10:11], off offset:16
	v_sub_f32_e32 v50, v50, v55
	v_mul_f32_e32 v50, 0x3fb8aa3b, v50
	v_sub_f32_e32 v51, v51, v55
	v_exp_f32_e32 v50, v50
	v_mul_f32_e32 v51, 0x3fb8aa3b, v51
	v_sub_f32_e32 v42, v42, v55
	v_exp_f32_e32 v51, v51
	v_mul_f32_e32 v42, 0x3fb8aa3b, v42
	v_sub_f32_e32 v43, v43, v55
	v_cndmask_b32_e64 v40, 0, v40, s[4:5]
	v_exp_f32_e32 v42, v42
	v_mul_f32_e32 v43, 0x3fb8aa3b, v43
	v_sub_f32_e32 v52, v52, v55
	v_add_f32_e32 v56, 0, v40
	v_cndmask_b32_e64 v41, 0, v41, s[34:35]
	v_exp_f32_e32 v43, v43
	v_mul_f32_e32 v52, 0x3fb8aa3b, v52
	v_sub_f32_e32 v53, v53, v55
	v_add_f32_e32 v56, v56, v41
	;; [unrolled: 5-line block ×10, first 2 shown]
	v_cndmask_b32_e64 v46, 0, v46, s[12:13]
	v_exp_f32_e32 v38, v38
	v_mul_f32_e32 v39, 0x3fb8aa3b, v39
	v_add_f32_e32 v56, v56, v46
	v_cndmask_b32_e64 v47, 0, v47, s[14:15]
	v_exp_f32_e32 v39, v39
	v_add_f32_e32 v56, v56, v47
	v_cndmask_b32_e64 v44, 0, v44, s[8:9]
	v_add_f32_e32 v56, v56, v44
	v_cndmask_b32_e64 v45, 0, v45, s[10:11]
	v_add_f32_e32 v56, v56, v45
	v_cndmask_b32_e32 v38, 0, v38, vcc
	v_add_f32_e32 v56, v56, v38
	v_cndmask_b32_e64 v39, 0, v39, s[6:7]
	v_add_f32_e32 v56, v56, v39
	ds_bpermute_b32 v58, v59, v56
	v_cmp_gt_u32_e32 vcc, 16, v37
	v_lshlrev_b32_e32 v37, 2, v36
	s_waitcnt lgkmcnt(0)
	s_barrier
	v_add_f32_e32 v56, v56, v58
	ds_bpermute_b32 v57, v57, v56
	s_waitcnt lgkmcnt(0)
	s_and_saveexec_b64 s[4:5], vcc
	s_cbranch_execz .LBB142_15
; %bb.14:
	v_add_f32_e32 v56, v56, v57
	v_lshl_or_b32 v57, v1, 6, v37
	ds_write2st64_b32 v57, v55, v56 offset1:1
.LBB142_15:
	s_or_b64 exec, exec, s[4:5]
	s_load_dword s6, s[0:1], 0x94
	s_waitcnt lgkmcnt(0)
	s_barrier
	ds_read2_b32 v[56:57], v37 offset1:16
	ds_read2_b32 v[58:59], v37 offset0:32 offset1:48
	ds_read2_b32 v[60:61], v37 offset0:64 offset1:80
	;; [unrolled: 1-line block ×3, first 2 shown]
	s_waitcnt lgkmcnt(0)
	v_max3_f32 v55, v56, s43, v57
	v_max3_f32 v55, v55, v58, v59
	v_sub_f32_e32 v56, v56, v55
	v_mul_f32_e32 v56, 0x3fb8aa3b, v56
	v_exp_f32_e32 v64, v56
	v_sub_f32_e32 v56, v57, v55
	v_mul_f32_e32 v56, 0x3fb8aa3b, v56
	v_exp_f32_e32 v57, v56
	v_sub_f32_e32 v56, v58, v55
	v_mul_f32_e32 v56, 0x3fb8aa3b, v56
	v_sub_f32_e32 v37, v59, v55
	v_exp_f32_e32 v58, v56
	v_mul_f32_e32 v37, 0x3fb8aa3b, v37
	v_exp_f32_e32 v37, v37
	v_fma_f32 v56, v64, v60, 0
	v_fmac_f32_e32 v56, v57, v61
	v_fmac_f32_e32 v56, v58, v62
	;; [unrolled: 1-line block ×3, first 2 shown]
	v_add_f32_e32 v59, 0x358637bd, v56
	v_div_scale_f32 v60, s[4:5], v59, v59, 1.0
	v_rcp_f32_e32 v61, v60
	s_barrier
	s_mul_i32 s7, s29, 11
	v_fma_f32 v62, -v60, v61, 1.0
	v_fmac_f32_e32 v61, v62, v61
	v_div_scale_f32 v62, vcc, 1.0, v59, 1.0
	v_mul_f32_e32 v63, v62, v61
	v_fma_f32 v65, -v60, v63, v62
	v_fmac_f32_e32 v63, v65, v61
	v_fma_f32 v60, -v60, v63, v62
	v_div_fmas_f32 v60, v60, v61, v63
	v_cmp_eq_u32_e32 vcc, 1, v1
	v_div_fixup_f32 v59, v60, v59, 1.0
	s_nop 0
	v_cndmask_b32_e32 v57, v64, v57, vcc
	v_cmp_eq_u32_e32 vcc, 2, v1
	s_nop 1
	v_cndmask_b32_e32 v57, v57, v58, vcc
	v_cmp_eq_u32_e32 vcc, 3, v1
	v_lshlrev_b32_e32 v1, 11, v1
	s_nop 0
	v_cndmask_b32_e32 v37, v57, v37, vcc
	v_mul_f32_e32 v58, v37, v59
	v_pk_mul_f32 v[50:51], v[58:59], v[50:51] op_sel_hi:[0,1]
	v_pk_mul_f32 v[40:41], v[58:59], v[40:41] op_sel_hi:[0,1]
	v_cvt_f16_f32_e32 v37, v40
	v_cvt_f16_f32_e32 v40, v41
	;; [unrolled: 1-line block ×4, first 2 shown]
	v_pk_mul_f32 v[52:53], v[58:59], v[52:53] op_sel_hi:[0,1]
	v_pk_mul_f32 v[42:43], v[58:59], v[42:43] op_sel_hi:[0,1]
	v_pack_b32_f16 v50, v37, v40
	v_pack_b32_f16 v51, v41, v51
	v_cvt_f16_f32_e32 v41, v42
	v_cvt_f16_f32_e32 v42, v43
	;; [unrolled: 1-line block ×4, first 2 shown]
	v_lshlrev_b32_e32 v37, 3, v54
	v_lshlrev_b32_e32 v40, 5, v36
	v_or3_b32 v1, v1, v40, v37
	v_pack_b32_f16 v42, v41, v42
	v_pack_b32_f16 v43, v43, v52
	ds_write2st64_b64 v1, v[50:51], v[42:43] offset1:1
	v_pk_mul_f32 v[42:43], v[58:59], v[46:47] op_sel_hi:[0,1]
	v_pk_mul_f32 v[46:47], v[58:59], v[48:49] op_sel_hi:[0,1]
	v_cvt_f16_f32_e32 v37, v46
	v_cvt_f16_f32_e32 v41, v47
	;; [unrolled: 1-line block ×4, first 2 shown]
	v_pk_mul_f32 v[38:39], v[58:59], v[38:39] op_sel_hi:[0,1]
	v_pk_mul_f32 v[42:43], v[58:59], v[44:45] op_sel_hi:[0,1]
	v_cvt_f16_f32_e32 v42, v42
	v_cvt_f16_f32_e32 v43, v43
	;; [unrolled: 1-line block ×4, first 2 shown]
	v_pack_b32_f16 v38, v37, v41
	v_pack_b32_f16 v39, v46, v47
	;; [unrolled: 1-line block ×4, first 2 shown]
	v_cmp_gt_u32_e32 vcc, 11, v0
	ds_write2st64_b64 v1, v[38:39], v[42:43] offset0:2 offset1:3
	s_and_saveexec_b64 s[4:5], vcc
	s_cbranch_execz .LBB142_17
; %bb.16:
	s_mov_b32 s43, 0
	v_mov_b32_e32 v37, 0
	v_lshl_add_u64 v[38:39], s[42:43], 0, v[36:37]
	v_mov_b32_e32 v36, s7
	v_mad_u64_u32 v[38:39], s[12:13], s2, v36, v[38:39]
	v_mov_b32_e32 v36, s28
	s_load_dwordx4 s[8:11], s[0:1], 0x58
	s_mul_i32 s3, s3, s7
	v_mad_u64_u32 v[36:37], s[12:13], v38, s6, v[36:37]
	v_add_u32_e32 v39, s3, v39
	v_mov_b32_e32 v38, v37
	v_mad_u64_u32 v[38:39], s[12:13], v39, s6, v[38:39]
	v_mov_b32_e32 v37, v38
	v_lshlrev_b64 v[36:37], 2, v[36:37]
	s_waitcnt lgkmcnt(0)
	v_lshl_add_u64 v[38:39], s[10:11], 0, v[36:37]
	v_lshl_add_u64 v[36:37], s[8:9], 0, v[36:37]
	global_store_dword v[38:39], v55, off
	global_store_dword v[36:37], v56, off
.LBB142_17:
	s_or_b64 exec, exec, s[4:5]
	v_lshl_or_b32 v48, v54, 9, v40
	s_waitcnt lgkmcnt(0)
	s_barrier
	ds_read_b128 v[36:39], v48
	ds_read_b128 v[40:43], v48 offset:16
	s_waitcnt vmcnt(7) lgkmcnt(1)
	v_mfma_f32_16x16x16_f16 v[44:47], v[6:7], v[36:37], 0
	v_cmp_gt_u32_e32 vcc, 64, v0
	s_mov_b32 s3, 0
	s_and_b64 s[4:5], vcc, s[30:31]
	v_mfma_f32_16x16x16_f16 v[6:9], v[8:9], v[38:39], v[44:47]
	s_waitcnt vmcnt(6) lgkmcnt(0)
	v_mfma_f32_16x16x16_f16 v[6:9], v[2:3], v[40:41], v[6:9]
	v_mfma_f32_16x16x16_f16 v[2:5], v[4:5], v[42:43], v[6:9]
	s_nop 5
	ds_read_b128 v[6:9], v48 offset:2048
	ds_read_b128 v[36:39], v48 offset:2064
	s_waitcnt vmcnt(5) lgkmcnt(1)
	v_mfma_f32_16x16x16_f16 v[2:5], v[30:31], v[6:7], v[2:5]
	v_mfma_f32_16x16x16_f16 v[2:5], v[32:33], v[8:9], v[2:5]
	s_waitcnt vmcnt(4) lgkmcnt(0)
	v_mfma_f32_16x16x16_f16 v[2:5], v[26:27], v[36:37], v[2:5]
	v_mfma_f32_16x16x16_f16 v[2:5], v[28:29], v[38:39], v[2:5]
	ds_read_b128 v[6:9], v48 offset:4096
	ds_read_b128 v[26:29], v48 offset:4112
	s_waitcnt vmcnt(3) lgkmcnt(1)
	v_mfma_f32_16x16x16_f16 v[2:5], v[22:23], v[6:7], v[2:5]
	v_mfma_f32_16x16x16_f16 v[2:5], v[24:25], v[8:9], v[2:5]
	s_waitcnt vmcnt(2) lgkmcnt(0)
	v_mfma_f32_16x16x16_f16 v[2:5], v[18:19], v[26:27], v[2:5]
	v_mfma_f32_16x16x16_f16 v[2:5], v[20:21], v[28:29], v[2:5]
	ds_read_b128 v[6:9], v48 offset:6144
	ds_read_b128 v[18:21], v48 offset:6160
	s_waitcnt lgkmcnt(0)
	s_barrier
	s_waitcnt vmcnt(1)
	v_mfma_f32_16x16x16_f16 v[2:5], v[14:15], v[6:7], v[2:5]
	v_mfma_f32_16x16x16_f16 v[2:5], v[16:17], v[8:9], v[2:5]
	s_waitcnt vmcnt(0)
	v_mfma_f32_16x16x16_f16 v[2:5], v[10:11], v[18:19], v[2:5]
	v_mfma_f32_16x16x16_f16 v[2:5], v[12:13], v[20:21], v[2:5]
	s_nop 6
	v_cvt_f16_f32_e32 v2, v2
	v_cvt_f16_f32_e32 v3, v3
	v_cvt_f16_f32_e32 v4, v4
	v_cvt_f16_f32_e32 v5, v5
	v_pack_b32_f16 v2, v2, v3
	v_pack_b32_f16 v3, v4, v5
	ds_write_b64 v1, v[2:3]
	s_waitcnt lgkmcnt(0)
	s_barrier
	s_and_saveexec_b64 s[8:9], s[4:5]
	s_cbranch_execz .LBB142_20
; %bb.18:
	s_load_dwordx2 s[4:5], s[0:1], 0x68
	s_lshl_b32 s0, s6, 6
	s_mul_i32 s1, s7, s2
	s_mul_hi_u32 s7, s1, s0
	s_mul_i32 s6, s1, s0
	v_lshlrev_b32_e32 v1, 10, v0
	v_lshlrev_b32_e32 v0, 4, v0
	s_lshl_b64 s[6:7], s[6:7], 1
	v_and_b32_e32 v1, 0x1800, v1
	v_lshlrev_b32_e32 v2, 5, v54
	v_and_b32_e32 v0, 16, v0
	s_waitcnt lgkmcnt(0)
	s_add_u32 s1, s4, s6
	v_or3_b32 v2, v1, v2, v0
	s_addc_u32 s4, s5, s7
	s_lshl_b32 s2, s28, 6
	s_lshl_b64 s[2:3], s[2:3], 1
	ds_read_b128 v[4:7], v2 offset:128
	ds_read_b128 v[8:11], v2
	s_add_u32 s2, s1, s2
	s_addc_u32 s3, s4, s3
	v_add_u32_e32 v3, s42, v54
	v_lshl_add_u64 v[0:1], v[34:35], 1, s[2:3]
	v_mad_u64_u32 v[12:13], s[2:3], v3, s0, 0
	v_lshl_add_u64 v[12:13], v[12:13], 1, v[0:1]
	v_add_u32_e32 v3, 4, v3
	s_waitcnt lgkmcnt(0)
	global_store_dwordx4 v[12:13], v[8:11], off
	v_cmp_ne_u32_e32 vcc, 3, v54
	s_nop 0
	v_mad_u64_u32 v[8:9], s[2:3], v3, s0, 0
	v_lshl_add_u64 v[8:9], v[8:9], 1, v[0:1]
	global_store_dwordx4 v[8:9], v[4:7], off
	s_and_b64 exec, exec, vcc
	s_cbranch_execz .LBB142_20
; %bb.19:
	ds_read_b128 v[2:5], v2 offset:256
	v_add3_u32 v6, s42, v54, 8
	v_mad_u64_u32 v[6:7], s[0:1], v6, s0, 0
	v_lshl_add_u64 v[0:1], v[6:7], 1, v[0:1]
	s_waitcnt lgkmcnt(0)
	global_store_dwordx4 v[0:1], v[2:5], off
.LBB142_20:
	s_endpgm
	.section	.rodata,"a",@progbits
	.p2align	6, 0x0
	.amdhsa_kernel _Z39paged_attention_ll4mi_QKV_mfma16_kernelIDF16_DF16_LN4vllm18Fp8KVCacheDataTypeE0EhLi32ELi64ELi256ELb0ELi11EEvPKT_PKT0_S7_ifPKiS9_S9_iPKfiiiPfSC_PS2_PT2_iSB_SB_
		.amdhsa_group_segment_fixed_size 8192
		.amdhsa_private_segment_fixed_size 0
		.amdhsa_kernarg_size 400
		.amdhsa_user_sgpr_count 2
		.amdhsa_user_sgpr_dispatch_ptr 0
		.amdhsa_user_sgpr_queue_ptr 0
		.amdhsa_user_sgpr_kernarg_segment_ptr 1
		.amdhsa_user_sgpr_dispatch_id 0
		.amdhsa_user_sgpr_kernarg_preload_length 0
		.amdhsa_user_sgpr_kernarg_preload_offset 0
		.amdhsa_user_sgpr_private_segment_size 0
		.amdhsa_uses_dynamic_stack 0
		.amdhsa_enable_private_segment 0
		.amdhsa_system_sgpr_workgroup_id_x 1
		.amdhsa_system_sgpr_workgroup_id_y 1
		.amdhsa_system_sgpr_workgroup_id_z 1
		.amdhsa_system_sgpr_workgroup_info 0
		.amdhsa_system_vgpr_workitem_id 0
		.amdhsa_next_free_vgpr 67
		.amdhsa_next_free_sgpr 48
		.amdhsa_accum_offset 68
		.amdhsa_reserve_vcc 1
		.amdhsa_float_round_mode_32 0
		.amdhsa_float_round_mode_16_64 0
		.amdhsa_float_denorm_mode_32 3
		.amdhsa_float_denorm_mode_16_64 3
		.amdhsa_dx10_clamp 1
		.amdhsa_ieee_mode 1
		.amdhsa_fp16_overflow 0
		.amdhsa_tg_split 0
		.amdhsa_exception_fp_ieee_invalid_op 0
		.amdhsa_exception_fp_denorm_src 0
		.amdhsa_exception_fp_ieee_div_zero 0
		.amdhsa_exception_fp_ieee_overflow 0
		.amdhsa_exception_fp_ieee_underflow 0
		.amdhsa_exception_fp_ieee_inexact 0
		.amdhsa_exception_int_div_zero 0
	.end_amdhsa_kernel
	.section	.text._Z39paged_attention_ll4mi_QKV_mfma16_kernelIDF16_DF16_LN4vllm18Fp8KVCacheDataTypeE0EhLi32ELi64ELi256ELb0ELi11EEvPKT_PKT0_S7_ifPKiS9_S9_iPKfiiiPfSC_PS2_PT2_iSB_SB_,"axG",@progbits,_Z39paged_attention_ll4mi_QKV_mfma16_kernelIDF16_DF16_LN4vllm18Fp8KVCacheDataTypeE0EhLi32ELi64ELi256ELb0ELi11EEvPKT_PKT0_S7_ifPKiS9_S9_iPKfiiiPfSC_PS2_PT2_iSB_SB_,comdat
.Lfunc_end142:
	.size	_Z39paged_attention_ll4mi_QKV_mfma16_kernelIDF16_DF16_LN4vllm18Fp8KVCacheDataTypeE0EhLi32ELi64ELi256ELb0ELi11EEvPKT_PKT0_S7_ifPKiS9_S9_iPKfiiiPfSC_PS2_PT2_iSB_SB_, .Lfunc_end142-_Z39paged_attention_ll4mi_QKV_mfma16_kernelIDF16_DF16_LN4vllm18Fp8KVCacheDataTypeE0EhLi32ELi64ELi256ELb0ELi11EEvPKT_PKT0_S7_ifPKiS9_S9_iPKfiiiPfSC_PS2_PT2_iSB_SB_
                                        ; -- End function
	.section	.AMDGPU.csdata,"",@progbits
; Kernel info:
; codeLenInByte = 3920
; NumSgprs: 54
; NumVgprs: 67
; NumAgprs: 0
; TotalNumVgprs: 67
; ScratchSize: 0
; MemoryBound: 0
; FloatMode: 240
; IeeeMode: 1
; LDSByteSize: 8192 bytes/workgroup (compile time only)
; SGPRBlocks: 6
; VGPRBlocks: 8
; NumSGPRsForWavesPerEU: 54
; NumVGPRsForWavesPerEU: 67
; AccumOffset: 68
; Occupancy: 7
; WaveLimiterHint : 1
; COMPUTE_PGM_RSRC2:SCRATCH_EN: 0
; COMPUTE_PGM_RSRC2:USER_SGPR: 2
; COMPUTE_PGM_RSRC2:TRAP_HANDLER: 0
; COMPUTE_PGM_RSRC2:TGID_X_EN: 1
; COMPUTE_PGM_RSRC2:TGID_Y_EN: 1
; COMPUTE_PGM_RSRC2:TGID_Z_EN: 1
; COMPUTE_PGM_RSRC2:TIDIG_COMP_CNT: 0
; COMPUTE_PGM_RSRC3_GFX90A:ACCUM_OFFSET: 16
; COMPUTE_PGM_RSRC3_GFX90A:TG_SPLIT: 0
	.section	.text._Z39paged_attention_ll4mi_QKV_mfma16_kernelIDF16_DF16_LN4vllm18Fp8KVCacheDataTypeE0EhLi32ELi64ELi256ELb0ELi12EEvPKT_PKT0_S7_ifPKiS9_S9_iPKfiiiPfSC_PS2_PT2_iSB_SB_,"axG",@progbits,_Z39paged_attention_ll4mi_QKV_mfma16_kernelIDF16_DF16_LN4vllm18Fp8KVCacheDataTypeE0EhLi32ELi64ELi256ELb0ELi12EEvPKT_PKT0_S7_ifPKiS9_S9_iPKfiiiPfSC_PS2_PT2_iSB_SB_,comdat
	.protected	_Z39paged_attention_ll4mi_QKV_mfma16_kernelIDF16_DF16_LN4vllm18Fp8KVCacheDataTypeE0EhLi32ELi64ELi256ELb0ELi12EEvPKT_PKT0_S7_ifPKiS9_S9_iPKfiiiPfSC_PS2_PT2_iSB_SB_ ; -- Begin function _Z39paged_attention_ll4mi_QKV_mfma16_kernelIDF16_DF16_LN4vllm18Fp8KVCacheDataTypeE0EhLi32ELi64ELi256ELb0ELi12EEvPKT_PKT0_S7_ifPKiS9_S9_iPKfiiiPfSC_PS2_PT2_iSB_SB_
	.globl	_Z39paged_attention_ll4mi_QKV_mfma16_kernelIDF16_DF16_LN4vllm18Fp8KVCacheDataTypeE0EhLi32ELi64ELi256ELb0ELi12EEvPKT_PKT0_S7_ifPKiS9_S9_iPKfiiiPfSC_PS2_PT2_iSB_SB_
	.p2align	8
	.type	_Z39paged_attention_ll4mi_QKV_mfma16_kernelIDF16_DF16_LN4vllm18Fp8KVCacheDataTypeE0EhLi32ELi64ELi256ELb0ELi12EEvPKT_PKT0_S7_ifPKiS9_S9_iPKfiiiPfSC_PS2_PT2_iSB_SB_,@function
_Z39paged_attention_ll4mi_QKV_mfma16_kernelIDF16_DF16_LN4vllm18Fp8KVCacheDataTypeE0EhLi32ELi64ELi256ELb0ELi12EEvPKT_PKT0_S7_ifPKiS9_S9_iPKfiiiPfSC_PS2_PT2_iSB_SB_: ; @_Z39paged_attention_ll4mi_QKV_mfma16_kernelIDF16_DF16_LN4vllm18Fp8KVCacheDataTypeE0EhLi32ELi64ELi256ELb0ELi12EEvPKT_PKT0_S7_ifPKiS9_S9_iPKfiiiPfSC_PS2_PT2_iSB_SB_
; %bb.0:
	s_load_dwordx2 s[6:7], s[0:1], 0x30
	s_mov_b32 s28, s3
	s_mov_b64 s[10:11], 0
	s_waitcnt lgkmcnt(0)
	s_cmp_lg_u64 s[6:7], 0
	s_cselect_b64 s[8:9], -1, 0
	s_and_b64 vcc, exec, s[8:9]
	s_cbranch_vccz .LBB143_7
; %bb.1:
	s_add_i32 s12, s2, 1
	s_mov_b32 s13, 0
	s_lshl_b64 s[14:15], s[12:13], 2
	s_add_u32 s14, s6, s14
	s_mov_b32 s3, s13
	s_addc_u32 s15, s7, s15
	s_lshl_b64 s[12:13], s[2:3], 2
	s_add_u32 s12, s6, s12
	s_addc_u32 s13, s7, s13
	s_load_dword s5, s[14:15], 0x0
	s_load_dword s16, s[12:13], 0x0
	s_waitcnt lgkmcnt(0)
	s_sub_i32 s5, s5, s16
	s_cmp_eq_u32 s5, 1
	s_cselect_b64 s[12:13], -1, 0
	s_andn2_b64 vcc, exec, s[10:11]
	s_cbranch_vccnz .LBB143_3
.LBB143_2:
	s_mov_b32 s3, 0
	s_mov_b64 s[12:13], -1
.LBB143_3:
	s_andn2_b64 vcc, exec, s[12:13]
	s_cbranch_vccnz .LBB143_19
; %bb.4:
	s_load_dwordx2 s[12:13], s[0:1], 0x28
	s_lshl_b64 s[10:11], s[2:3], 2
	s_waitcnt lgkmcnt(0)
	s_add_u32 s12, s12, s10
	s_addc_u32 s13, s13, s11
	s_load_dword s33, s[12:13], 0x0
	s_lshl_b32 s14, s28, 8
	s_waitcnt lgkmcnt(0)
	s_cmp_ge_i32 s14, s33
	s_cbranch_scc1 .LBB143_19
; %bb.5:
	s_load_dwordx2 s[12:13], s[0:1], 0x20
	s_load_dword s5, s[0:1], 0x38
	s_add_i32 s15, s33, 31
	s_ashr_i32 s16, s15, 31
	v_and_b32_e32 v1, 0xcf, v0
	s_lshr_b32 s16, s16, 27
	v_add_u32_e32 v1, s14, v1
	s_add_i32 s15, s15, s16
	v_ashrrev_i32_e32 v2, 31, v1
	s_ashr_i32 s15, s15, 5
	v_lshrrev_b32_e32 v10, 27, v2
	s_add_i32 s15, s15, -1
	s_waitcnt lgkmcnt(0)
	s_mul_i32 s16, s2, s5
	s_mov_b32 s17, 0
	v_add_u32_e32 v2, v1, v10
	s_lshl_b64 s[16:17], s[16:17], 2
	v_ashrrev_i32_e32 v2, 5, v2
	v_mov_b32_e32 v11, s15
	v_cmp_gt_i32_e32 vcc, s33, v1
	s_add_u32 s12, s12, s16
	s_addc_u32 s13, s13, s17
	v_cndmask_b32_e32 v2, v11, v2, vcc
	v_ashrrev_i32_e32 v3, 31, v2
	v_lshl_add_u64 v[4:5], v[2:3], 2, s[12:13]
	v_or_b32_e32 v2, 16, v1
	v_add_u32_e32 v3, v2, v10
	v_ashrrev_i32_e32 v3, 5, v3
	v_cmp_gt_i32_e32 vcc, s33, v2
	s_nop 1
	v_cndmask_b32_e32 v2, v11, v3, vcc
	v_ashrrev_i32_e32 v3, 31, v2
	v_lshl_add_u64 v[6:7], v[2:3], 2, s[12:13]
	v_or_b32_e32 v2, 32, v1
	v_add_u32_e32 v3, v2, v10
	v_ashrrev_i32_e32 v3, 5, v3
	v_cmp_gt_i32_e32 vcc, s33, v2
	v_or_b32_e32 v1, 48, v1
	s_nop 0
	v_cndmask_b32_e32 v2, v11, v3, vcc
	v_ashrrev_i32_e32 v3, 31, v2
	v_lshl_add_u64 v[8:9], v[2:3], 2, s[12:13]
	v_add_u32_e32 v2, v1, v10
	v_ashrrev_i32_e32 v2, 5, v2
	v_cmp_gt_i32_e32 vcc, s33, v1
	s_nop 1
	v_cndmask_b32_e32 v2, v11, v2, vcc
	v_ashrrev_i32_e32 v3, 31, v2
	v_lshl_add_u64 v[12:13], v[2:3], 2, s[12:13]
	global_load_dword v3, v[4:5], off
	global_load_dword v2, v[6:7], off
	;; [unrolled: 1-line block ×4, first 2 shown]
	s_andn2_b64 vcc, exec, s[8:9]
	s_cbranch_vccnz .LBB143_8
; %bb.6:
	s_add_u32 s6, s6, s10
	s_addc_u32 s7, s7, s11
	s_load_dword s5, s[6:7], 0x0
	s_branch .LBB143_9
.LBB143_7:
	s_mov_b64 s[12:13], 0
	s_branch .LBB143_2
.LBB143_8:
	s_mov_b32 s5, s2
.LBB143_9:
	s_load_dwordx4 s[8:11], s[0:1], 0x8
	s_load_dwordx4 s[44:47], s[0:1], 0x48
	v_and_b32_e32 v36, 15, v0
	s_movk_i32 s6, 0xbf
	v_cmp_lt_u32_e32 vcc, s6, v0
	v_cmp_lt_u32_e64 s[6:7], 7, v36
	v_lshlrev_b32_e32 v34, 3, v36
	v_cmp_gt_u32_e64 s[30:31], 8, v36
	s_or_b64 s[6:7], vcc, s[6:7]
	s_and_saveexec_b64 s[16:17], s[6:7]
	s_xor_b64 s[6:7], exec, s[16:17]
; %bb.10:
	v_mov_b32_e32 v35, 0
; %bb.11:
	s_or_saveexec_b64 s[6:7], s[6:7]
	v_lshrrev_b32_e32 v37, 6, v0
	v_and_b32_e32 v54, 63, v0
	v_bfe_u32 v1, v0, 4, 2
	s_mul_i32 s42, s4, 12
	s_xor_b64 exec, exec, s[6:7]
	s_cbranch_execz .LBB143_13
; %bb.12:
	s_load_dwordx2 s[16:17], s[0:1], 0x0
	s_waitcnt lgkmcnt(0)
	s_ashr_i32 s18, s44, 31
	s_mul_hi_u32 s19, s5, s44
	s_mul_i32 s18, s5, s18
	s_add_i32 s19, s19, s18
	s_mul_i32 s18, s5, s44
	v_lshl_or_b32 v8, v37, 2, v1
	s_lshl_b64 s[18:19], s[18:19], 1
	s_add_u32 s16, s16, s18
	v_add_lshl_u32 v4, v8, s42, 6
	s_addc_u32 s17, s17, s19
	v_ashrrev_i32_e32 v5, 31, v4
	v_mov_b32_e32 v35, 0
	v_lshl_add_u64 v[4:5], v[4:5], 1, s[16:17]
	v_lshlrev_b32_e32 v6, 1, v34
	v_mov_b32_e32 v7, v35
	v_lshl_add_u64 v[4:5], v[4:5], 0, v[6:7]
	global_load_dwordx4 v[4:7], v[4:5], off
	v_and_b32_e32 v9, 3, v0
	v_lshlrev_b32_e32 v11, 9, v36
	v_lshlrev_b32_e32 v8, 5, v8
	;; [unrolled: 1-line block ×3, first 2 shown]
	v_and_b32_e32 v11, 0x1800, v11
	v_or3_b32 v8, v11, v9, v8
	s_waitcnt vmcnt(0)
	ds_write_b128 v8, v[4:7]
.LBB143_13:
	s_or_b64 exec, exec, s[6:7]
	s_waitcnt lgkmcnt(0)
	s_mul_i32 s4, s4, s46
	s_mov_b32 s5, 0
	s_lshl_b64 s[4:5], s[4:5], 1
	s_add_u32 s8, s8, s4
	s_addc_u32 s9, s9, s5
	s_waitcnt vmcnt(3)
	v_mad_i64_i32 v[4:5], s[16:17], v3, s45, 0
	v_lshl_add_u64 v[4:5], v[4:5], 1, s[8:9]
	v_lshlrev_b64 v[12:13], 1, v[34:35]
	v_lshlrev_b32_e32 v38, 9, v1
	v_lshl_add_u64 v[4:5], v[4:5], 0, v[12:13]
	v_mov_b32_e32 v39, 0
	v_lshl_add_u64 v[14:15], v[4:5], 0, v[38:39]
	s_waitcnt vmcnt(2)
	v_mad_i64_i32 v[2:3], s[16:17], v2, s45, 0
	v_mov_b32_e32 v4, 0x100
	v_lshl_add_u64 v[2:3], v[2:3], 1, s[8:9]
	v_lshl_or_b32 v40, v36, 4, v4
	v_mov_b32_e32 v41, v39
	s_load_dword s29, s[0:1], 0x98
	s_load_dword s6, s[0:1], 0x1c
	s_waitcnt lgkmcnt(0)
	s_barrier
	v_lshl_add_u64 v[2:3], v[2:3], 0, v[40:41]
	global_load_dwordx4 v[6:9], v[14:15], off
	global_load_dwordx4 v[22:25], v[14:15], off offset:2048
	v_lshl_add_u64 v[18:19], v[2:3], 0, v[38:39]
	global_load_dwordx4 v[2:5], v[18:19], off
	global_load_dwordx4 v[26:29], v[18:19], off offset:2048
	s_waitcnt vmcnt(5)
	v_mad_i64_i32 v[10:11], s[16:17], v10, s45, 0
	v_lshl_add_u64 v[10:11], v[10:11], 1, s[8:9]
	v_lshl_add_u64 v[10:11], v[10:11], 0, v[12:13]
	v_lshl_add_u64 v[20:21], v[10:11], 0, v[38:39]
	global_load_dwordx4 v[10:13], v[20:21], off
	global_load_dwordx4 v[30:33], v[20:21], off offset:2048
	s_waitcnt vmcnt(6)
	v_mad_i64_i32 v[42:43], s[16:17], v16, s45, 0
	v_add_u32_e32 v17, -12, v36
	v_cmp_gt_u32_e32 vcc, 12, v36
	v_lshl_add_u64 v[42:43], v[42:43], 1, s[8:9]
	v_lshl_add_u64 v[40:41], v[42:43], 0, v[40:41]
	v_cndmask_b32_e32 v14, v17, v36, vcc
	v_lshl_add_u32 v14, v14, 5, v38
	v_lshl_add_u64 v[40:41], v[40:41], 0, v[38:39]
	ds_read_b128 v[18:21], v14
	ds_read_b128 v[14:17], v14 offset:2048
	global_load_dwordx4 v[46:49], v[40:41], off
	global_load_dwordx4 v[60:63], v[40:41], off offset:2048
	s_ashr_i32 s7, s14, 31
	v_and_or_b32 v55, v0, 48, s14
	s_lshr_b32 s7, s7, 27
	v_add_u32_e32 v42, s7, v55
	v_mov_b32_e32 v64, s15
	v_or_b32_e32 v50, 64, v55
	v_ashrrev_i32_e32 v38, 5, v42
	v_cmp_gt_i32_e32 vcc, s33, v55
	v_add_u32_e32 v43, s7, v50
	v_ashrrev_i32_e32 v51, 5, v43
	v_cndmask_b32_e32 v42, v64, v38, vcc
	v_ashrrev_i32_e32 v43, 31, v42
	v_lshl_add_u64 v[42:43], v[42:43], 2, s[12:13]
	v_cmp_gt_i32_e32 vcc, s33, v50
	global_load_dword v65, v[42:43], off
	v_or_b32_e32 v40, 0x80, v55
	v_or_b32_e32 v41, 0xc0, v55
	v_and_b32_e32 v38, 16, v0
	s_add_u32 s4, s10, s4
	s_addc_u32 s5, s11, s5
	v_lshlrev_b32_e32 v38, 1, v38
	s_mov_b32 s43, 0xff7fffff
	s_waitcnt vmcnt(8) lgkmcnt(1)
	v_mfma_f32_16x16x16_f16 v[42:45], v[6:7], v[18:19], 0
	v_cndmask_b32_e32 v6, v64, v51, vcc
	v_ashrrev_i32_e32 v7, 31, v6
	v_cmp_gt_i32_e32 vcc, s33, v40
	s_waitcnt vmcnt(6)
	v_mfma_f32_16x16x16_f16 v[50:53], v[2:3], v[18:19], 0
	v_lshl_add_u64 v[2:3], v[6:7], 2, s[12:13]
	global_load_dword v66, v[2:3], off
	v_mfma_f32_16x16x16_f16 v[6:9], v[8:9], v[20:21], v[42:45]
	v_mfma_f32_16x16x16_f16 v[2:5], v[4:5], v[20:21], v[50:53]
	s_nop 1
	v_add_u32_e32 v42, s7, v40
	v_add_u32_e32 v43, s7, v41
	v_ashrrev_i32_e32 v42, 5, v42
	s_waitcnt lgkmcnt(0)
	v_mfma_f32_16x16x16_f16 v[6:9], v[22:23], v[14:15], v[6:9]
	v_lshlrev_b32_e32 v45, 6, v36
	v_ashrrev_i32_e32 v43, 5, v43
	v_cndmask_b32_e32 v44, v64, v42, vcc
	s_waitcnt vmcnt(5)
	v_mfma_f32_16x16x16_f16 v[56:59], v[10:11], v[18:19], 0
	v_cmp_gt_i32_e32 vcc, s33, v41
	v_lshl_add_u64 v[50:51], s[4:5], 0, v[38:39]
	v_lshl_or_b32 v38, v37, 10, v45
	v_mfma_f32_16x16x16_f16 v[2:5], v[26:27], v[14:15], v[2:5]
	v_cndmask_b32_e32 v26, v64, v43, vcc
	v_ashrrev_i32_e32 v45, 31, v44
	v_ashrrev_i32_e32 v27, 31, v26
	v_mfma_f32_16x16x16_f16 v[22:25], v[24:25], v[16:17], v[6:9]
	s_nop 2
	v_lshl_add_u64 v[6:7], v[44:45], 2, s[12:13]
	v_mfma_f32_16x16x16_f16 v[10:13], v[12:13], v[20:21], v[56:59]
	v_lshl_add_u64 v[8:9], v[26:27], 2, s[12:13]
	global_load_dword v55, v[6:7], off
	s_nop 0
	global_load_dword v58, v[8:9], off
	s_waitcnt vmcnt(6)
	v_mfma_f32_16x16x16_f16 v[40:43], v[30:31], v[14:15], v[10:13]
	s_nop 2
	v_lshl_add_u64 v[10:11], v[50:51], 0, v[38:39]
	v_mfma_f32_16x16x16_f16 v[30:33], v[32:33], v[16:17], v[40:43]
	v_pk_mul_f32 v[50:51], s[6:7], v[24:25] op_sel_hi:[0,1]
	s_waitcnt vmcnt(2)
	v_mad_i64_i32 v[12:13], s[4:5], v66, s45, 0
	v_mfma_f32_16x16x16_f16 v[38:41], v[46:47], v[18:19], 0
	v_lshl_add_u64 v[56:57], v[12:13], 1, v[10:11]
	v_pk_mul_f32 v[12:13], s[6:7], v[22:23] op_sel_hi:[0,1]
	s_nop 0
	v_pk_mul_f32 v[46:47], s[6:7], v[32:33] op_sel_hi:[0,1]
	v_mfma_f32_16x16x16_f16 v[18:21], v[48:49], v[20:21], v[38:41]
	v_pk_mul_f32 v[48:49], s[6:7], v[30:31] op_sel_hi:[0,1]
	v_mfma_f32_16x16x16_f16 v[18:21], v[60:61], v[14:15], v[18:21]
	v_mfma_f32_16x16x16_f16 v[26:29], v[28:29], v[16:17], v[2:5]
	;; [unrolled: 1-line block ×3, first 2 shown]
	s_nop 1
	v_mad_i64_i32 v[2:3], s[4:5], v65, s45, 0
	s_nop 2
	v_pk_mul_f32 v[42:43], s[6:7], v[26:27] op_sel_hi:[0,1]
	v_pk_mul_f32 v[52:53], s[6:7], v[28:29] op_sel_hi:[0,1]
	v_lshl_add_u64 v[2:3], v[2:3], 1, v[10:11]
	v_pk_mul_f32 v[44:45], s[6:7], v[14:15] op_sel_hi:[0,1]
	v_and_b32_e32 v14, 0xc0, v0
	v_add_u32_e32 v14, s14, v14
	v_lshl_or_b32 v14, v1, 2, v14
	v_pk_mul_f32 v[38:39], s[6:7], v[16:17] op_sel_hi:[0,1]
	v_or_b32_e32 v17, 1, v14
	v_mov_b32_e32 v15, 0xff7fffff
	v_cmp_gt_i32_e64 s[4:5], s33, v14
	v_cmp_gt_i32_e64 s[34:35], s33, v17
	v_or_b32_e32 v18, 3, v14
	v_cndmask_b32_e64 v16, v15, v12, s[4:5]
	v_cndmask_b32_e64 v17, v15, v13, s[34:35]
	v_max3_f32 v16, v16, s43, v17
	v_or_b32_e32 v17, 2, v14
	v_cmp_gt_i32_e64 s[36:37], s33, v17
	v_cmp_gt_i32_e64 s[38:39], s33, v18
	global_load_dwordx4 v[6:9], v[2:3], off
	s_nop 0
	global_load_dwordx4 v[2:5], v[2:3], off offset:16
	v_cndmask_b32_e64 v17, v15, v50, s[36:37]
	v_cndmask_b32_e64 v18, v15, v51, s[38:39]
	v_max3_f32 v16, v16, v17, v18
	v_or_b32_e32 v17, 16, v14
	v_or_b32_e32 v18, 17, v14
	v_cmp_gt_i32_e64 s[24:25], s33, v17
	v_cmp_gt_i32_e64 s[26:27], s33, v18
	global_load_dwordx4 v[30:33], v[56:57], off
	global_load_dwordx4 v[26:29], v[56:57], off offset:16
	v_cndmask_b32_e64 v17, v15, v42, s[24:25]
	v_cndmask_b32_e64 v18, v15, v43, s[26:27]
	v_max3_f32 v16, v16, v17, v18
	v_or_b32_e32 v17, 18, v14
	v_or_b32_e32 v18, 19, v14
	v_cmp_gt_i32_e64 s[20:21], s33, v17
	v_cmp_gt_i32_e64 s[22:23], s33, v18
	s_nop 0
	v_cndmask_b32_e64 v17, v15, v52, s[20:21]
	v_cndmask_b32_e64 v18, v15, v53, s[22:23]
	v_max3_f32 v16, v16, v17, v18
	v_or_b32_e32 v17, 32, v14
	v_or_b32_e32 v18, 33, v14
	v_cmp_gt_i32_e64 s[16:17], s33, v17
	v_cmp_gt_i32_e64 s[18:19], s33, v18
	s_nop 0
	;; [unrolled: 8-line block ×4, first 2 shown]
	v_cndmask_b32_e64 v17, v15, v44, s[8:9]
	v_cndmask_b32_e64 v18, v15, v45, s[10:11]
	v_max3_f32 v16, v16, v17, v18
	v_or_b32_e32 v17, 50, v14
	v_or_b32_e32 v14, 51, v14
	v_cmp_gt_i32_e32 vcc, s33, v17
	v_cmp_gt_i32_e64 s[6:7], s33, v14
	s_nop 0
	v_cndmask_b32_e32 v17, v15, v38, vcc
	v_cndmask_b32_e64 v14, v15, v39, s[6:7]
	v_max3_f32 v16, v16, v17, v14
	v_mbcnt_lo_u32_b32 v14, -1, 0
	v_mbcnt_hi_u32_b32 v17, -1, v14
	v_and_b32_e32 v14, 64, v17
	v_add_u32_e32 v18, 64, v14
	v_xor_b32_e32 v14, 32, v17
	v_cmp_lt_i32_e64 s[40:41], v14, v18
	s_nop 1
	v_cndmask_b32_e64 v14, v17, v14, s[40:41]
	v_lshlrev_b32_e32 v59, 2, v14
	ds_bpermute_b32 v19, v59, v16
	s_waitcnt vmcnt(5)
	v_mad_i64_i32 v[14:15], s[40:41], v55, s45, 0
	v_lshl_add_u64 v[14:15], v[14:15], 1, v[10:11]
	s_waitcnt lgkmcnt(0)
	v_max_f32_e32 v19, v19, v19
	v_max_f32_e32 v16, v16, v19
	v_xor_b32_e32 v19, 16, v17
	v_cmp_lt_i32_e64 s[40:41], v19, v18
	s_nop 1
	v_cndmask_b32_e64 v17, v17, v19, s[40:41]
	v_lshlrev_b32_e32 v56, 2, v17
	ds_bpermute_b32 v17, v56, v16
	global_load_dwordx4 v[22:25], v[14:15], off
	global_load_dwordx4 v[18:21], v[14:15], off offset:16
	s_waitcnt vmcnt(6)
	v_mad_i64_i32 v[14:15], s[40:41], v58, s45, 0
	v_lshl_add_u64 v[10:11], v[14:15], 1, v[10:11]
	s_waitcnt lgkmcnt(0)
	v_max_f32_e32 v14, v17, v17
	v_max_f32_e32 v55, v16, v14
	v_sub_f32_e32 v12, v12, v55
	v_mul_f32_e32 v12, 0x3fb8aa3b, v12
	v_exp_f32_e32 v40, v12
	v_sub_f32_e32 v12, v13, v55
	v_mul_f32_e32 v12, 0x3fb8aa3b, v12
	v_exp_f32_e32 v41, v12
	global_load_dwordx4 v[14:17], v[10:11], off
	s_nop 0
	global_load_dwordx4 v[10:13], v[10:11], off offset:16
	v_sub_f32_e32 v50, v50, v55
	v_mul_f32_e32 v50, 0x3fb8aa3b, v50
	v_sub_f32_e32 v51, v51, v55
	v_exp_f32_e32 v50, v50
	v_mul_f32_e32 v51, 0x3fb8aa3b, v51
	v_sub_f32_e32 v42, v42, v55
	v_exp_f32_e32 v51, v51
	v_mul_f32_e32 v42, 0x3fb8aa3b, v42
	v_sub_f32_e32 v43, v43, v55
	v_cndmask_b32_e64 v40, 0, v40, s[4:5]
	v_exp_f32_e32 v42, v42
	v_mul_f32_e32 v43, 0x3fb8aa3b, v43
	v_sub_f32_e32 v52, v52, v55
	v_add_f32_e32 v57, 0, v40
	v_cndmask_b32_e64 v41, 0, v41, s[34:35]
	v_exp_f32_e32 v43, v43
	v_mul_f32_e32 v52, 0x3fb8aa3b, v52
	v_sub_f32_e32 v53, v53, v55
	v_add_f32_e32 v57, v57, v41
	;; [unrolled: 5-line block ×10, first 2 shown]
	v_cndmask_b32_e64 v46, 0, v46, s[12:13]
	v_exp_f32_e32 v38, v38
	v_mul_f32_e32 v39, 0x3fb8aa3b, v39
	v_add_f32_e32 v57, v57, v46
	v_cndmask_b32_e64 v47, 0, v47, s[14:15]
	v_exp_f32_e32 v39, v39
	v_add_f32_e32 v57, v57, v47
	v_cndmask_b32_e64 v44, 0, v44, s[8:9]
	v_add_f32_e32 v57, v57, v44
	v_cndmask_b32_e64 v45, 0, v45, s[10:11]
	v_add_f32_e32 v57, v57, v45
	v_cndmask_b32_e32 v38, 0, v38, vcc
	v_add_f32_e32 v57, v57, v38
	v_cndmask_b32_e64 v39, 0, v39, s[6:7]
	v_add_f32_e32 v57, v57, v39
	ds_bpermute_b32 v58, v59, v57
	v_cmp_gt_u32_e32 vcc, 16, v54
	s_waitcnt lgkmcnt(0)
	s_barrier
	v_add_f32_e32 v57, v57, v58
	ds_bpermute_b32 v58, v56, v57
	v_lshlrev_b32_e32 v56, 2, v36
	s_and_saveexec_b64 s[4:5], vcc
	s_cbranch_execz .LBB143_15
; %bb.14:
	s_waitcnt lgkmcnt(0)
	v_add_f32_e32 v54, v57, v58
	v_lshl_or_b32 v57, v37, 6, v56
	ds_write2st64_b32 v57, v55, v54 offset1:1
.LBB143_15:
	s_or_b64 exec, exec, s[4:5]
	s_load_dword s6, s[0:1], 0x94
	s_waitcnt lgkmcnt(0)
	s_barrier
	ds_read2_b32 v[58:59], v56 offset1:16
	ds_read2_b32 v[60:61], v56 offset0:32 offset1:48
	ds_read2_b32 v[62:63], v56 offset0:64 offset1:80
	;; [unrolled: 1-line block ×3, first 2 shown]
	s_waitcnt lgkmcnt(0)
	v_max3_f32 v54, v58, s43, v59
	v_max3_f32 v54, v54, v60, v61
	v_sub_f32_e32 v55, v58, v54
	v_mul_f32_e32 v55, 0x3fb8aa3b, v55
	v_exp_f32_e32 v58, v55
	v_sub_f32_e32 v55, v59, v54
	v_mul_f32_e32 v55, 0x3fb8aa3b, v55
	v_exp_f32_e32 v59, v55
	;; [unrolled: 3-line block ×4, first 2 shown]
	v_fma_f32 v55, v58, v62, 0
	v_fmac_f32_e32 v55, v59, v63
	v_fmac_f32_e32 v55, v60, v56
	;; [unrolled: 1-line block ×3, first 2 shown]
	v_add_f32_e32 v56, 0x358637bd, v55
	v_div_scale_f32 v57, s[4:5], v56, v56, 1.0
	v_rcp_f32_e32 v62, v57
	s_barrier
	s_mul_i32 s7, s29, 12
	v_fma_f32 v63, -v57, v62, 1.0
	v_fmac_f32_e32 v62, v63, v62
	v_div_scale_f32 v63, vcc, 1.0, v56, 1.0
	v_mul_f32_e32 v64, v63, v62
	v_fma_f32 v65, -v57, v64, v63
	v_fmac_f32_e32 v64, v65, v62
	v_fma_f32 v57, -v57, v64, v63
	v_div_fmas_f32 v57, v57, v62, v64
	v_cmp_eq_u32_e32 vcc, 1, v37
	v_div_fixup_f32 v56, v57, v56, 1.0
	s_nop 0
	v_cndmask_b32_e32 v57, v58, v59, vcc
	v_cmp_eq_u32_e32 vcc, 2, v37
	s_nop 1
	v_cndmask_b32_e32 v57, v57, v60, vcc
	v_cmp_eq_u32_e32 vcc, 3, v37
	v_lshlrev_b32_e32 v37, 11, v37
	s_nop 0
	v_cndmask_b32_e32 v57, v57, v61, vcc
	v_mul_f32_e32 v56, v57, v56
	v_pk_mul_f32 v[50:51], v[56:57], v[50:51] op_sel_hi:[0,1]
	v_pk_mul_f32 v[40:41], v[56:57], v[40:41] op_sel_hi:[0,1]
	v_cvt_f16_f32_e32 v57, v50
	v_cvt_f16_f32_e32 v40, v40
	;; [unrolled: 1-line block ×4, first 2 shown]
	v_pk_mul_f32 v[52:53], v[56:57], v[52:53] op_sel_hi:[0,1]
	v_pk_mul_f32 v[42:43], v[56:57], v[42:43] op_sel_hi:[0,1]
	v_cvt_f16_f32_e32 v42, v42
	v_cvt_f16_f32_e32 v43, v43
	;; [unrolled: 1-line block ×4, first 2 shown]
	v_pack_b32_f16 v50, v40, v41
	v_lshlrev_b32_e32 v40, 3, v1
	v_lshlrev_b32_e32 v41, 5, v36
	v_pack_b32_f16 v51, v57, v51
	v_or3_b32 v40, v37, v41, v40
	v_pack_b32_f16 v42, v42, v43
	v_pack_b32_f16 v43, v52, v53
	ds_write2st64_b64 v40, v[50:51], v[42:43] offset1:1
	v_pk_mul_f32 v[42:43], v[56:57], v[46:47] op_sel_hi:[0,1]
	v_pk_mul_f32 v[46:47], v[56:57], v[48:49] op_sel_hi:[0,1]
	v_cvt_f16_f32_e32 v37, v46
	v_cvt_f16_f32_e32 v46, v47
	;; [unrolled: 1-line block ×4, first 2 shown]
	v_pk_mul_f32 v[38:39], v[56:57], v[38:39] op_sel_hi:[0,1]
	v_pk_mul_f32 v[42:43], v[56:57], v[44:45] op_sel_hi:[0,1]
	v_cvt_f16_f32_e32 v42, v42
	v_cvt_f16_f32_e32 v43, v43
	v_cvt_f16_f32_e32 v44, v38
	v_cvt_f16_f32_e32 v45, v39
	v_pack_b32_f16 v38, v37, v46
	v_pack_b32_f16 v39, v47, v48
	;; [unrolled: 1-line block ×4, first 2 shown]
	v_cmp_gt_u32_e32 vcc, 12, v0
	ds_write2st64_b64 v40, v[38:39], v[42:43] offset0:2 offset1:3
	s_and_saveexec_b64 s[4:5], vcc
	s_cbranch_execz .LBB143_17
; %bb.16:
	s_mov_b32 s43, 0
	v_mov_b32_e32 v37, 0
	v_lshl_add_u64 v[38:39], s[42:43], 0, v[36:37]
	v_mov_b32_e32 v36, s7
	v_mad_u64_u32 v[38:39], s[12:13], s2, v36, v[38:39]
	v_mov_b32_e32 v36, s28
	s_load_dwordx4 s[8:11], s[0:1], 0x58
	s_mul_i32 s3, s3, s7
	v_mad_u64_u32 v[36:37], s[12:13], v38, s6, v[36:37]
	v_add_u32_e32 v39, s3, v39
	v_mov_b32_e32 v38, v37
	v_mad_u64_u32 v[38:39], s[12:13], v39, s6, v[38:39]
	v_mov_b32_e32 v37, v38
	v_lshlrev_b64 v[36:37], 2, v[36:37]
	s_waitcnt lgkmcnt(0)
	v_lshl_add_u64 v[38:39], s[10:11], 0, v[36:37]
	v_lshl_add_u64 v[36:37], s[8:9], 0, v[36:37]
	global_store_dword v[38:39], v54, off
	global_store_dword v[36:37], v55, off
.LBB143_17:
	s_or_b64 exec, exec, s[4:5]
	v_lshl_or_b32 v41, v1, 9, v41
	s_waitcnt lgkmcnt(0)
	s_barrier
	ds_read_b128 v[36:39], v41
	ds_read_b128 v[42:45], v41 offset:16
	s_waitcnt vmcnt(7) lgkmcnt(1)
	v_mfma_f32_16x16x16_f16 v[46:49], v[6:7], v[36:37], 0
	v_cmp_gt_u32_e32 vcc, 64, v0
	s_mov_b32 s3, 0
	s_and_b64 s[4:5], vcc, s[30:31]
	v_mfma_f32_16x16x16_f16 v[6:9], v[8:9], v[38:39], v[46:49]
	s_waitcnt vmcnt(6) lgkmcnt(0)
	v_mfma_f32_16x16x16_f16 v[6:9], v[2:3], v[42:43], v[6:9]
	v_mfma_f32_16x16x16_f16 v[2:5], v[4:5], v[44:45], v[6:9]
	s_nop 5
	ds_read_b128 v[6:9], v41 offset:2048
	ds_read_b128 v[36:39], v41 offset:2064
	s_waitcnt vmcnt(5) lgkmcnt(1)
	v_mfma_f32_16x16x16_f16 v[2:5], v[30:31], v[6:7], v[2:5]
	v_mfma_f32_16x16x16_f16 v[2:5], v[32:33], v[8:9], v[2:5]
	s_waitcnt vmcnt(4) lgkmcnt(0)
	v_mfma_f32_16x16x16_f16 v[2:5], v[26:27], v[36:37], v[2:5]
	v_mfma_f32_16x16x16_f16 v[2:5], v[28:29], v[38:39], v[2:5]
	ds_read_b128 v[6:9], v41 offset:4096
	ds_read_b128 v[26:29], v41 offset:4112
	s_waitcnt vmcnt(3) lgkmcnt(1)
	v_mfma_f32_16x16x16_f16 v[2:5], v[22:23], v[6:7], v[2:5]
	v_mfma_f32_16x16x16_f16 v[2:5], v[24:25], v[8:9], v[2:5]
	s_waitcnt vmcnt(2) lgkmcnt(0)
	v_mfma_f32_16x16x16_f16 v[2:5], v[18:19], v[26:27], v[2:5]
	v_mfma_f32_16x16x16_f16 v[2:5], v[20:21], v[28:29], v[2:5]
	ds_read_b128 v[6:9], v41 offset:6144
	ds_read_b128 v[18:21], v41 offset:6160
	s_waitcnt lgkmcnt(0)
	s_barrier
	s_waitcnt vmcnt(1)
	v_mfma_f32_16x16x16_f16 v[2:5], v[14:15], v[6:7], v[2:5]
	v_mfma_f32_16x16x16_f16 v[2:5], v[16:17], v[8:9], v[2:5]
	s_waitcnt vmcnt(0)
	v_mfma_f32_16x16x16_f16 v[2:5], v[10:11], v[18:19], v[2:5]
	v_mfma_f32_16x16x16_f16 v[2:5], v[12:13], v[20:21], v[2:5]
	s_nop 6
	v_cvt_f16_f32_e32 v2, v2
	v_cvt_f16_f32_e32 v3, v3
	;; [unrolled: 1-line block ×4, first 2 shown]
	v_pack_b32_f16 v2, v2, v3
	v_pack_b32_f16 v3, v4, v5
	ds_write_b64 v40, v[2:3]
	s_waitcnt lgkmcnt(0)
	s_barrier
	s_and_saveexec_b64 s[8:9], s[4:5]
	s_cbranch_execz .LBB143_19
; %bb.18:
	s_load_dwordx2 s[0:1], s[0:1], 0x68
	s_lshl_b32 s6, s6, 6
	s_mul_i32 s2, s7, s2
	s_mul_hi_u32 s5, s2, s6
	s_mul_i32 s4, s2, s6
	s_lshl_b64 s[4:5], s[4:5], 1
	s_waitcnt lgkmcnt(0)
	s_add_u32 s4, s0, s4
	v_lshlrev_b32_e32 v2, 10, v0
	v_lshlrev_b32_e32 v0, 4, v0
	s_addc_u32 s5, s1, s5
	s_lshl_b32 s2, s28, 6
	v_and_b32_e32 v2, 0x1800, v2
	v_lshlrev_b32_e32 v3, 5, v1
	v_and_b32_e32 v0, 16, v0
	s_lshl_b64 s[0:1], s[2:3], 1
	v_or3_b32 v0, v2, v3, v0
	s_add_u32 s0, s4, s0
	ds_read_b128 v[2:5], v0
	ds_read_b128 v[6:9], v0 offset:128
	ds_read_b128 v[10:13], v0 offset:256
	s_addc_u32 s1, s5, s1
	v_or_b32_e32 v16, s42, v1
	v_lshl_add_u64 v[0:1], v[34:35], 1, s[0:1]
	v_mad_u64_u32 v[14:15], s[0:1], v16, s6, 0
	v_lshl_add_u64 v[14:15], v[14:15], 1, v[0:1]
	s_waitcnt lgkmcnt(2)
	global_store_dwordx4 v[14:15], v[2:5], off
	s_nop 1
	v_add_u32_e32 v2, 4, v16
	v_mad_u64_u32 v[2:3], s[0:1], v2, s6, 0
	v_lshl_add_u64 v[2:3], v[2:3], 1, v[0:1]
	s_waitcnt lgkmcnt(1)
	global_store_dwordx4 v[2:3], v[6:9], off
	v_add_u32_e32 v2, 8, v16
	v_mad_u64_u32 v[2:3], s[0:1], v2, s6, 0
	v_lshl_add_u64 v[0:1], v[2:3], 1, v[0:1]
	s_waitcnt lgkmcnt(0)
	global_store_dwordx4 v[0:1], v[10:13], off
.LBB143_19:
	s_endpgm
	.section	.rodata,"a",@progbits
	.p2align	6, 0x0
	.amdhsa_kernel _Z39paged_attention_ll4mi_QKV_mfma16_kernelIDF16_DF16_LN4vllm18Fp8KVCacheDataTypeE0EhLi32ELi64ELi256ELb0ELi12EEvPKT_PKT0_S7_ifPKiS9_S9_iPKfiiiPfSC_PS2_PT2_iSB_SB_
		.amdhsa_group_segment_fixed_size 8192
		.amdhsa_private_segment_fixed_size 0
		.amdhsa_kernarg_size 400
		.amdhsa_user_sgpr_count 2
		.amdhsa_user_sgpr_dispatch_ptr 0
		.amdhsa_user_sgpr_queue_ptr 0
		.amdhsa_user_sgpr_kernarg_segment_ptr 1
		.amdhsa_user_sgpr_dispatch_id 0
		.amdhsa_user_sgpr_kernarg_preload_length 0
		.amdhsa_user_sgpr_kernarg_preload_offset 0
		.amdhsa_user_sgpr_private_segment_size 0
		.amdhsa_uses_dynamic_stack 0
		.amdhsa_enable_private_segment 0
		.amdhsa_system_sgpr_workgroup_id_x 1
		.amdhsa_system_sgpr_workgroup_id_y 1
		.amdhsa_system_sgpr_workgroup_id_z 1
		.amdhsa_system_sgpr_workgroup_info 0
		.amdhsa_system_vgpr_workitem_id 0
		.amdhsa_next_free_vgpr 67
		.amdhsa_next_free_sgpr 48
		.amdhsa_accum_offset 68
		.amdhsa_reserve_vcc 1
		.amdhsa_float_round_mode_32 0
		.amdhsa_float_round_mode_16_64 0
		.amdhsa_float_denorm_mode_32 3
		.amdhsa_float_denorm_mode_16_64 3
		.amdhsa_dx10_clamp 1
		.amdhsa_ieee_mode 1
		.amdhsa_fp16_overflow 0
		.amdhsa_tg_split 0
		.amdhsa_exception_fp_ieee_invalid_op 0
		.amdhsa_exception_fp_denorm_src 0
		.amdhsa_exception_fp_ieee_div_zero 0
		.amdhsa_exception_fp_ieee_overflow 0
		.amdhsa_exception_fp_ieee_underflow 0
		.amdhsa_exception_fp_ieee_inexact 0
		.amdhsa_exception_int_div_zero 0
	.end_amdhsa_kernel
	.section	.text._Z39paged_attention_ll4mi_QKV_mfma16_kernelIDF16_DF16_LN4vllm18Fp8KVCacheDataTypeE0EhLi32ELi64ELi256ELb0ELi12EEvPKT_PKT0_S7_ifPKiS9_S9_iPKfiiiPfSC_PS2_PT2_iSB_SB_,"axG",@progbits,_Z39paged_attention_ll4mi_QKV_mfma16_kernelIDF16_DF16_LN4vllm18Fp8KVCacheDataTypeE0EhLi32ELi64ELi256ELb0ELi12EEvPKT_PKT0_S7_ifPKiS9_S9_iPKfiiiPfSC_PS2_PT2_iSB_SB_,comdat
.Lfunc_end143:
	.size	_Z39paged_attention_ll4mi_QKV_mfma16_kernelIDF16_DF16_LN4vllm18Fp8KVCacheDataTypeE0EhLi32ELi64ELi256ELb0ELi12EEvPKT_PKT0_S7_ifPKiS9_S9_iPKfiiiPfSC_PS2_PT2_iSB_SB_, .Lfunc_end143-_Z39paged_attention_ll4mi_QKV_mfma16_kernelIDF16_DF16_LN4vllm18Fp8KVCacheDataTypeE0EhLi32ELi64ELi256ELb0ELi12EEvPKT_PKT0_S7_ifPKiS9_S9_iPKfiiiPfSC_PS2_PT2_iSB_SB_
                                        ; -- End function
	.section	.AMDGPU.csdata,"",@progbits
; Kernel info:
; codeLenInByte = 3912
; NumSgprs: 54
; NumVgprs: 67
; NumAgprs: 0
; TotalNumVgprs: 67
; ScratchSize: 0
; MemoryBound: 0
; FloatMode: 240
; IeeeMode: 1
; LDSByteSize: 8192 bytes/workgroup (compile time only)
; SGPRBlocks: 6
; VGPRBlocks: 8
; NumSGPRsForWavesPerEU: 54
; NumVGPRsForWavesPerEU: 67
; AccumOffset: 68
; Occupancy: 7
; WaveLimiterHint : 1
; COMPUTE_PGM_RSRC2:SCRATCH_EN: 0
; COMPUTE_PGM_RSRC2:USER_SGPR: 2
; COMPUTE_PGM_RSRC2:TRAP_HANDLER: 0
; COMPUTE_PGM_RSRC2:TGID_X_EN: 1
; COMPUTE_PGM_RSRC2:TGID_Y_EN: 1
; COMPUTE_PGM_RSRC2:TGID_Z_EN: 1
; COMPUTE_PGM_RSRC2:TIDIG_COMP_CNT: 0
; COMPUTE_PGM_RSRC3_GFX90A:ACCUM_OFFSET: 16
; COMPUTE_PGM_RSRC3_GFX90A:TG_SPLIT: 0
	.section	.text._Z39paged_attention_ll4mi_QKV_mfma16_kernelIDF16_DF16_LN4vllm18Fp8KVCacheDataTypeE0EhLi32ELi64ELi256ELb0ELi13EEvPKT_PKT0_S7_ifPKiS9_S9_iPKfiiiPfSC_PS2_PT2_iSB_SB_,"axG",@progbits,_Z39paged_attention_ll4mi_QKV_mfma16_kernelIDF16_DF16_LN4vllm18Fp8KVCacheDataTypeE0EhLi32ELi64ELi256ELb0ELi13EEvPKT_PKT0_S7_ifPKiS9_S9_iPKfiiiPfSC_PS2_PT2_iSB_SB_,comdat
	.protected	_Z39paged_attention_ll4mi_QKV_mfma16_kernelIDF16_DF16_LN4vllm18Fp8KVCacheDataTypeE0EhLi32ELi64ELi256ELb0ELi13EEvPKT_PKT0_S7_ifPKiS9_S9_iPKfiiiPfSC_PS2_PT2_iSB_SB_ ; -- Begin function _Z39paged_attention_ll4mi_QKV_mfma16_kernelIDF16_DF16_LN4vllm18Fp8KVCacheDataTypeE0EhLi32ELi64ELi256ELb0ELi13EEvPKT_PKT0_S7_ifPKiS9_S9_iPKfiiiPfSC_PS2_PT2_iSB_SB_
	.globl	_Z39paged_attention_ll4mi_QKV_mfma16_kernelIDF16_DF16_LN4vllm18Fp8KVCacheDataTypeE0EhLi32ELi64ELi256ELb0ELi13EEvPKT_PKT0_S7_ifPKiS9_S9_iPKfiiiPfSC_PS2_PT2_iSB_SB_
	.p2align	8
	.type	_Z39paged_attention_ll4mi_QKV_mfma16_kernelIDF16_DF16_LN4vllm18Fp8KVCacheDataTypeE0EhLi32ELi64ELi256ELb0ELi13EEvPKT_PKT0_S7_ifPKiS9_S9_iPKfiiiPfSC_PS2_PT2_iSB_SB_,@function
_Z39paged_attention_ll4mi_QKV_mfma16_kernelIDF16_DF16_LN4vllm18Fp8KVCacheDataTypeE0EhLi32ELi64ELi256ELb0ELi13EEvPKT_PKT0_S7_ifPKiS9_S9_iPKfiiiPfSC_PS2_PT2_iSB_SB_: ; @_Z39paged_attention_ll4mi_QKV_mfma16_kernelIDF16_DF16_LN4vllm18Fp8KVCacheDataTypeE0EhLi32ELi64ELi256ELb0ELi13EEvPKT_PKT0_S7_ifPKiS9_S9_iPKfiiiPfSC_PS2_PT2_iSB_SB_
; %bb.0:
	s_load_dwordx2 s[6:7], s[0:1], 0x30
	s_mov_b32 s28, s3
	s_mov_b64 s[10:11], 0
	s_waitcnt lgkmcnt(0)
	s_cmp_lg_u64 s[6:7], 0
	s_cselect_b64 s[8:9], -1, 0
	s_and_b64 vcc, exec, s[8:9]
	s_cbranch_vccz .LBB144_7
; %bb.1:
	s_add_i32 s12, s2, 1
	s_mov_b32 s13, 0
	s_lshl_b64 s[14:15], s[12:13], 2
	s_add_u32 s14, s6, s14
	s_mov_b32 s3, s13
	s_addc_u32 s15, s7, s15
	s_lshl_b64 s[12:13], s[2:3], 2
	s_add_u32 s12, s6, s12
	s_addc_u32 s13, s7, s13
	s_load_dword s5, s[14:15], 0x0
	s_load_dword s16, s[12:13], 0x0
	s_waitcnt lgkmcnt(0)
	s_sub_i32 s5, s5, s16
	s_cmp_eq_u32 s5, 1
	s_cselect_b64 s[12:13], -1, 0
	s_andn2_b64 vcc, exec, s[10:11]
	s_cbranch_vccnz .LBB144_3
.LBB144_2:
	s_mov_b32 s3, 0
	s_mov_b64 s[12:13], -1
.LBB144_3:
	s_andn2_b64 vcc, exec, s[12:13]
	s_cbranch_vccnz .LBB144_20
; %bb.4:
	s_load_dwordx2 s[12:13], s[0:1], 0x28
	s_lshl_b64 s[10:11], s[2:3], 2
	s_waitcnt lgkmcnt(0)
	s_add_u32 s12, s12, s10
	s_addc_u32 s13, s13, s11
	s_load_dword s33, s[12:13], 0x0
	s_lshl_b32 s14, s28, 8
	s_waitcnt lgkmcnt(0)
	s_cmp_ge_i32 s14, s33
	s_cbranch_scc1 .LBB144_20
; %bb.5:
	s_load_dwordx2 s[12:13], s[0:1], 0x20
	s_load_dword s5, s[0:1], 0x38
	s_add_i32 s15, s33, 31
	s_ashr_i32 s16, s15, 31
	v_and_b32_e32 v1, 0xcf, v0
	s_lshr_b32 s16, s16, 27
	v_add_u32_e32 v1, s14, v1
	s_add_i32 s15, s15, s16
	v_ashrrev_i32_e32 v2, 31, v1
	s_ashr_i32 s15, s15, 5
	v_lshrrev_b32_e32 v10, 27, v2
	s_add_i32 s15, s15, -1
	s_waitcnt lgkmcnt(0)
	s_mul_i32 s16, s2, s5
	s_mov_b32 s17, 0
	v_add_u32_e32 v2, v1, v10
	s_lshl_b64 s[16:17], s[16:17], 2
	v_ashrrev_i32_e32 v2, 5, v2
	v_mov_b32_e32 v11, s15
	v_cmp_gt_i32_e32 vcc, s33, v1
	s_add_u32 s12, s12, s16
	s_addc_u32 s13, s13, s17
	v_cndmask_b32_e32 v2, v11, v2, vcc
	v_ashrrev_i32_e32 v3, 31, v2
	v_lshl_add_u64 v[4:5], v[2:3], 2, s[12:13]
	v_or_b32_e32 v2, 16, v1
	v_add_u32_e32 v3, v2, v10
	v_ashrrev_i32_e32 v3, 5, v3
	v_cmp_gt_i32_e32 vcc, s33, v2
	s_nop 1
	v_cndmask_b32_e32 v2, v11, v3, vcc
	v_ashrrev_i32_e32 v3, 31, v2
	v_lshl_add_u64 v[6:7], v[2:3], 2, s[12:13]
	v_or_b32_e32 v2, 32, v1
	v_add_u32_e32 v3, v2, v10
	v_ashrrev_i32_e32 v3, 5, v3
	v_cmp_gt_i32_e32 vcc, s33, v2
	v_or_b32_e32 v1, 48, v1
	s_nop 0
	v_cndmask_b32_e32 v2, v11, v3, vcc
	v_ashrrev_i32_e32 v3, 31, v2
	v_lshl_add_u64 v[8:9], v[2:3], 2, s[12:13]
	v_add_u32_e32 v2, v1, v10
	v_ashrrev_i32_e32 v2, 5, v2
	v_cmp_gt_i32_e32 vcc, s33, v1
	s_nop 1
	v_cndmask_b32_e32 v2, v11, v2, vcc
	v_ashrrev_i32_e32 v3, 31, v2
	v_lshl_add_u64 v[12:13], v[2:3], 2, s[12:13]
	global_load_dword v3, v[4:5], off
	global_load_dword v2, v[6:7], off
	;; [unrolled: 1-line block ×4, first 2 shown]
	s_andn2_b64 vcc, exec, s[8:9]
	s_cbranch_vccnz .LBB144_8
; %bb.6:
	s_add_u32 s6, s6, s10
	s_addc_u32 s7, s7, s11
	s_load_dword s5, s[6:7], 0x0
	s_branch .LBB144_9
.LBB144_7:
	s_mov_b64 s[12:13], 0
	s_branch .LBB144_2
.LBB144_8:
	s_mov_b32 s5, s2
.LBB144_9:
	s_load_dwordx4 s[8:11], s[0:1], 0x8
	s_load_dwordx4 s[44:47], s[0:1], 0x48
	v_lshrrev_b32_e32 v1, 6, v0
	v_bfe_u32 v54, v0, 4, 2
	v_lshl_or_b32 v4, v1, 2, v54
	v_and_b32_e32 v36, 15, v0
	v_cmp_lt_u32_e32 vcc, 12, v4
	v_cmp_lt_u32_e64 s[6:7], 7, v36
	v_lshlrev_b32_e32 v34, 3, v36
	v_cmp_gt_u32_e64 s[30:31], 8, v36
	s_or_b64 s[6:7], s[6:7], vcc
	s_and_saveexec_b64 s[16:17], s[6:7]
	s_xor_b64 s[6:7], exec, s[16:17]
; %bb.10:
	v_mov_b32_e32 v35, 0
                                        ; implicit-def: $vgpr4
; %bb.11:
	s_or_saveexec_b64 s[6:7], s[6:7]
	v_and_b32_e32 v37, 63, v0
	s_mul_i32 s42, s4, 13
	s_xor_b64 exec, exec, s[6:7]
	s_cbranch_execz .LBB144_13
; %bb.12:
	s_load_dwordx2 s[16:17], s[0:1], 0x0
	s_waitcnt lgkmcnt(0)
	s_ashr_i32 s18, s44, 31
	s_mul_hi_u32 s19, s5, s44
	s_mul_i32 s18, s5, s18
	s_add_i32 s19, s19, s18
	s_mul_i32 s18, s5, s44
	s_lshl_b64 s[18:19], s[18:19], 1
	s_add_u32 s16, s16, s18
	v_add_lshl_u32 v6, v4, s42, 6
	s_addc_u32 s17, s17, s19
	v_ashrrev_i32_e32 v7, 31, v6
	v_mov_b32_e32 v35, 0
	v_lshl_add_u64 v[6:7], v[6:7], 1, s[16:17]
	v_lshlrev_b32_e32 v8, 1, v34
	v_mov_b32_e32 v9, v35
	v_lshl_add_u64 v[6:7], v[6:7], 0, v[8:9]
	global_load_dwordx4 v[6:9], v[6:7], off
	v_and_b32_e32 v5, 3, v0
	v_lshlrev_b32_e32 v11, 9, v36
	v_lshlrev_b32_e32 v4, 5, v4
	;; [unrolled: 1-line block ×3, first 2 shown]
	v_and_b32_e32 v11, 0x1800, v11
	v_or3_b32 v4, v11, v5, v4
	s_waitcnt vmcnt(0)
	ds_write_b128 v4, v[6:9]
.LBB144_13:
	s_or_b64 exec, exec, s[6:7]
	s_waitcnt lgkmcnt(0)
	s_mul_i32 s4, s4, s46
	s_mov_b32 s5, 0
	s_lshl_b64 s[4:5], s[4:5], 1
	s_add_u32 s8, s8, s4
	s_addc_u32 s9, s9, s5
	s_waitcnt vmcnt(3)
	v_mad_i64_i32 v[4:5], s[16:17], v3, s45, 0
	v_lshl_add_u64 v[4:5], v[4:5], 1, s[8:9]
	v_lshlrev_b64 v[12:13], 1, v[34:35]
	v_lshlrev_b32_e32 v38, 9, v54
	v_lshl_add_u64 v[4:5], v[4:5], 0, v[12:13]
	v_mov_b32_e32 v39, 0
	v_lshl_add_u64 v[14:15], v[4:5], 0, v[38:39]
	s_waitcnt vmcnt(2)
	v_mad_i64_i32 v[2:3], s[16:17], v2, s45, 0
	v_mov_b32_e32 v4, 0x100
	v_lshl_add_u64 v[2:3], v[2:3], 1, s[8:9]
	v_lshl_or_b32 v40, v36, 4, v4
	v_mov_b32_e32 v41, v39
	s_load_dword s29, s[0:1], 0x98
	s_load_dword s6, s[0:1], 0x1c
	s_waitcnt lgkmcnt(0)
	s_barrier
	v_lshl_add_u64 v[2:3], v[2:3], 0, v[40:41]
	global_load_dwordx4 v[6:9], v[14:15], off
	global_load_dwordx4 v[22:25], v[14:15], off offset:2048
	v_lshl_add_u64 v[18:19], v[2:3], 0, v[38:39]
	global_load_dwordx4 v[2:5], v[18:19], off
	global_load_dwordx4 v[26:29], v[18:19], off offset:2048
	s_waitcnt vmcnt(5)
	v_mad_i64_i32 v[10:11], s[16:17], v10, s45, 0
	v_lshl_add_u64 v[10:11], v[10:11], 1, s[8:9]
	v_lshl_add_u64 v[10:11], v[10:11], 0, v[12:13]
	;; [unrolled: 1-line block ×3, first 2 shown]
	global_load_dwordx4 v[10:13], v[20:21], off
	global_load_dwordx4 v[30:33], v[20:21], off offset:2048
	s_waitcnt vmcnt(6)
	v_mad_i64_i32 v[42:43], s[16:17], v16, s45, 0
	v_add_u32_e32 v17, -13, v36
	v_cmp_gt_u32_e32 vcc, 13, v36
	v_lshl_add_u64 v[42:43], v[42:43], 1, s[8:9]
	v_lshl_add_u64 v[40:41], v[42:43], 0, v[40:41]
	v_cndmask_b32_e32 v14, v17, v36, vcc
	v_lshl_add_u32 v14, v14, 5, v38
	v_lshl_add_u64 v[40:41], v[40:41], 0, v[38:39]
	ds_read_b128 v[18:21], v14
	ds_read_b128 v[14:17], v14 offset:2048
	global_load_dwordx4 v[46:49], v[40:41], off
	global_load_dwordx4 v[60:63], v[40:41], off offset:2048
	s_ashr_i32 s7, s14, 31
	v_and_or_b32 v55, v0, 48, s14
	s_lshr_b32 s7, s7, 27
	v_add_u32_e32 v42, s7, v55
	v_mov_b32_e32 v64, s15
	v_or_b32_e32 v50, 64, v55
	v_ashrrev_i32_e32 v38, 5, v42
	v_cmp_gt_i32_e32 vcc, s33, v55
	v_add_u32_e32 v43, s7, v50
	v_ashrrev_i32_e32 v51, 5, v43
	v_cndmask_b32_e32 v42, v64, v38, vcc
	v_ashrrev_i32_e32 v43, 31, v42
	v_lshl_add_u64 v[42:43], v[42:43], 2, s[12:13]
	v_cmp_gt_i32_e32 vcc, s33, v50
	global_load_dword v65, v[42:43], off
	v_or_b32_e32 v40, 0x80, v55
	v_or_b32_e32 v41, 0xc0, v55
	v_and_b32_e32 v38, 16, v0
	s_add_u32 s4, s10, s4
	s_addc_u32 s5, s11, s5
	v_lshlrev_b32_e32 v38, 1, v38
	s_mov_b32 s43, 0xff7fffff
	s_waitcnt vmcnt(8) lgkmcnt(1)
	v_mfma_f32_16x16x16_f16 v[42:45], v[6:7], v[18:19], 0
	v_cndmask_b32_e32 v6, v64, v51, vcc
	v_ashrrev_i32_e32 v7, 31, v6
	v_cmp_gt_i32_e32 vcc, s33, v40
	s_waitcnt vmcnt(6)
	v_mfma_f32_16x16x16_f16 v[50:53], v[2:3], v[18:19], 0
	v_lshl_add_u64 v[2:3], v[6:7], 2, s[12:13]
	global_load_dword v66, v[2:3], off
	v_mfma_f32_16x16x16_f16 v[6:9], v[8:9], v[20:21], v[42:45]
	v_mfma_f32_16x16x16_f16 v[2:5], v[4:5], v[20:21], v[50:53]
	s_nop 1
	v_add_u32_e32 v42, s7, v40
	v_add_u32_e32 v43, s7, v41
	v_ashrrev_i32_e32 v42, 5, v42
	s_waitcnt lgkmcnt(0)
	v_mfma_f32_16x16x16_f16 v[6:9], v[22:23], v[14:15], v[6:9]
	v_lshlrev_b32_e32 v45, 6, v36
	v_ashrrev_i32_e32 v43, 5, v43
	v_cndmask_b32_e32 v44, v64, v42, vcc
	s_waitcnt vmcnt(5)
	v_mfma_f32_16x16x16_f16 v[56:59], v[10:11], v[18:19], 0
	v_cmp_gt_i32_e32 vcc, s33, v41
	v_lshl_add_u64 v[50:51], s[4:5], 0, v[38:39]
	v_lshl_or_b32 v38, v1, 10, v45
	v_mfma_f32_16x16x16_f16 v[2:5], v[26:27], v[14:15], v[2:5]
	v_cndmask_b32_e32 v26, v64, v43, vcc
	v_ashrrev_i32_e32 v45, 31, v44
	v_ashrrev_i32_e32 v27, 31, v26
	v_mfma_f32_16x16x16_f16 v[22:25], v[24:25], v[16:17], v[6:9]
	s_nop 2
	v_lshl_add_u64 v[6:7], v[44:45], 2, s[12:13]
	v_mfma_f32_16x16x16_f16 v[10:13], v[12:13], v[20:21], v[56:59]
	v_lshl_add_u64 v[8:9], v[26:27], 2, s[12:13]
	global_load_dword v55, v[6:7], off
	s_nop 0
	global_load_dword v58, v[8:9], off
	s_waitcnt vmcnt(6)
	v_mfma_f32_16x16x16_f16 v[40:43], v[30:31], v[14:15], v[10:13]
	s_nop 2
	v_lshl_add_u64 v[10:11], v[50:51], 0, v[38:39]
	v_mfma_f32_16x16x16_f16 v[30:33], v[32:33], v[16:17], v[40:43]
	v_pk_mul_f32 v[50:51], s[6:7], v[24:25] op_sel_hi:[0,1]
	s_waitcnt vmcnt(2)
	v_mad_i64_i32 v[12:13], s[4:5], v66, s45, 0
	v_mfma_f32_16x16x16_f16 v[38:41], v[46:47], v[18:19], 0
	v_lshl_add_u64 v[56:57], v[12:13], 1, v[10:11]
	v_pk_mul_f32 v[12:13], s[6:7], v[22:23] op_sel_hi:[0,1]
	s_nop 0
	v_pk_mul_f32 v[46:47], s[6:7], v[32:33] op_sel_hi:[0,1]
	v_mfma_f32_16x16x16_f16 v[18:21], v[48:49], v[20:21], v[38:41]
	v_pk_mul_f32 v[48:49], s[6:7], v[30:31] op_sel_hi:[0,1]
	v_mfma_f32_16x16x16_f16 v[18:21], v[60:61], v[14:15], v[18:21]
	v_mfma_f32_16x16x16_f16 v[26:29], v[28:29], v[16:17], v[2:5]
	;; [unrolled: 1-line block ×3, first 2 shown]
	s_nop 1
	v_mad_i64_i32 v[2:3], s[4:5], v65, s45, 0
	s_nop 2
	v_pk_mul_f32 v[42:43], s[6:7], v[26:27] op_sel_hi:[0,1]
	v_pk_mul_f32 v[52:53], s[6:7], v[28:29] op_sel_hi:[0,1]
	v_lshl_add_u64 v[2:3], v[2:3], 1, v[10:11]
	v_pk_mul_f32 v[44:45], s[6:7], v[14:15] op_sel_hi:[0,1]
	v_and_b32_e32 v14, 0xc0, v0
	v_add_u32_e32 v14, s14, v14
	v_lshl_or_b32 v14, v54, 2, v14
	v_pk_mul_f32 v[38:39], s[6:7], v[16:17] op_sel_hi:[0,1]
	v_or_b32_e32 v17, 1, v14
	v_mov_b32_e32 v15, 0xff7fffff
	v_cmp_gt_i32_e64 s[4:5], s33, v14
	v_cmp_gt_i32_e64 s[34:35], s33, v17
	v_or_b32_e32 v18, 3, v14
	v_cndmask_b32_e64 v16, v15, v12, s[4:5]
	v_cndmask_b32_e64 v17, v15, v13, s[34:35]
	v_max3_f32 v16, v16, s43, v17
	v_or_b32_e32 v17, 2, v14
	v_cmp_gt_i32_e64 s[36:37], s33, v17
	v_cmp_gt_i32_e64 s[38:39], s33, v18
	global_load_dwordx4 v[6:9], v[2:3], off
	s_nop 0
	global_load_dwordx4 v[2:5], v[2:3], off offset:16
	v_cndmask_b32_e64 v17, v15, v50, s[36:37]
	v_cndmask_b32_e64 v18, v15, v51, s[38:39]
	v_max3_f32 v16, v16, v17, v18
	v_or_b32_e32 v17, 16, v14
	v_or_b32_e32 v18, 17, v14
	v_cmp_gt_i32_e64 s[24:25], s33, v17
	v_cmp_gt_i32_e64 s[26:27], s33, v18
	global_load_dwordx4 v[30:33], v[56:57], off
	global_load_dwordx4 v[26:29], v[56:57], off offset:16
	v_cndmask_b32_e64 v17, v15, v42, s[24:25]
	v_cndmask_b32_e64 v18, v15, v43, s[26:27]
	v_max3_f32 v16, v16, v17, v18
	v_or_b32_e32 v17, 18, v14
	v_or_b32_e32 v18, 19, v14
	v_cmp_gt_i32_e64 s[20:21], s33, v17
	v_cmp_gt_i32_e64 s[22:23], s33, v18
	s_nop 0
	v_cndmask_b32_e64 v17, v15, v52, s[20:21]
	v_cndmask_b32_e64 v18, v15, v53, s[22:23]
	v_max3_f32 v16, v16, v17, v18
	v_or_b32_e32 v17, 32, v14
	v_or_b32_e32 v18, 33, v14
	v_cmp_gt_i32_e64 s[16:17], s33, v17
	v_cmp_gt_i32_e64 s[18:19], s33, v18
	s_nop 0
	;; [unrolled: 8-line block ×4, first 2 shown]
	v_cndmask_b32_e64 v17, v15, v44, s[8:9]
	v_cndmask_b32_e64 v18, v15, v45, s[10:11]
	v_max3_f32 v16, v16, v17, v18
	v_or_b32_e32 v17, 50, v14
	v_or_b32_e32 v14, 51, v14
	v_cmp_gt_i32_e32 vcc, s33, v17
	v_cmp_gt_i32_e64 s[6:7], s33, v14
	s_nop 0
	v_cndmask_b32_e32 v17, v15, v38, vcc
	v_cndmask_b32_e64 v14, v15, v39, s[6:7]
	v_max3_f32 v16, v16, v17, v14
	v_mbcnt_lo_u32_b32 v14, -1, 0
	v_mbcnt_hi_u32_b32 v17, -1, v14
	v_and_b32_e32 v14, 64, v17
	v_add_u32_e32 v18, 64, v14
	v_xor_b32_e32 v14, 32, v17
	v_cmp_lt_i32_e64 s[40:41], v14, v18
	s_nop 1
	v_cndmask_b32_e64 v14, v17, v14, s[40:41]
	v_lshlrev_b32_e32 v59, 2, v14
	ds_bpermute_b32 v19, v59, v16
	s_waitcnt vmcnt(5)
	v_mad_i64_i32 v[14:15], s[40:41], v55, s45, 0
	v_lshl_add_u64 v[14:15], v[14:15], 1, v[10:11]
	s_waitcnt lgkmcnt(0)
	v_max_f32_e32 v19, v19, v19
	v_max_f32_e32 v16, v16, v19
	v_xor_b32_e32 v19, 16, v17
	v_cmp_lt_i32_e64 s[40:41], v19, v18
	s_nop 1
	v_cndmask_b32_e64 v17, v17, v19, s[40:41]
	v_lshlrev_b32_e32 v57, 2, v17
	ds_bpermute_b32 v17, v57, v16
	global_load_dwordx4 v[22:25], v[14:15], off
	global_load_dwordx4 v[18:21], v[14:15], off offset:16
	s_waitcnt vmcnt(6)
	v_mad_i64_i32 v[14:15], s[40:41], v58, s45, 0
	v_lshl_add_u64 v[10:11], v[14:15], 1, v[10:11]
	s_waitcnt lgkmcnt(0)
	v_max_f32_e32 v14, v17, v17
	v_max_f32_e32 v55, v16, v14
	v_sub_f32_e32 v12, v12, v55
	v_mul_f32_e32 v12, 0x3fb8aa3b, v12
	v_exp_f32_e32 v40, v12
	v_sub_f32_e32 v12, v13, v55
	v_mul_f32_e32 v12, 0x3fb8aa3b, v12
	v_exp_f32_e32 v41, v12
	global_load_dwordx4 v[14:17], v[10:11], off
	s_nop 0
	global_load_dwordx4 v[10:13], v[10:11], off offset:16
	v_sub_f32_e32 v50, v50, v55
	v_mul_f32_e32 v50, 0x3fb8aa3b, v50
	v_sub_f32_e32 v51, v51, v55
	v_exp_f32_e32 v50, v50
	v_mul_f32_e32 v51, 0x3fb8aa3b, v51
	v_sub_f32_e32 v42, v42, v55
	v_exp_f32_e32 v51, v51
	v_mul_f32_e32 v42, 0x3fb8aa3b, v42
	v_sub_f32_e32 v43, v43, v55
	v_cndmask_b32_e64 v40, 0, v40, s[4:5]
	v_exp_f32_e32 v42, v42
	v_mul_f32_e32 v43, 0x3fb8aa3b, v43
	v_sub_f32_e32 v52, v52, v55
	v_add_f32_e32 v56, 0, v40
	v_cndmask_b32_e64 v41, 0, v41, s[34:35]
	v_exp_f32_e32 v43, v43
	v_mul_f32_e32 v52, 0x3fb8aa3b, v52
	v_sub_f32_e32 v53, v53, v55
	v_add_f32_e32 v56, v56, v41
	;; [unrolled: 5-line block ×10, first 2 shown]
	v_cndmask_b32_e64 v46, 0, v46, s[12:13]
	v_exp_f32_e32 v38, v38
	v_mul_f32_e32 v39, 0x3fb8aa3b, v39
	v_add_f32_e32 v56, v56, v46
	v_cndmask_b32_e64 v47, 0, v47, s[14:15]
	v_exp_f32_e32 v39, v39
	v_add_f32_e32 v56, v56, v47
	v_cndmask_b32_e64 v44, 0, v44, s[8:9]
	v_add_f32_e32 v56, v56, v44
	v_cndmask_b32_e64 v45, 0, v45, s[10:11]
	v_add_f32_e32 v56, v56, v45
	v_cndmask_b32_e32 v38, 0, v38, vcc
	v_add_f32_e32 v56, v56, v38
	v_cndmask_b32_e64 v39, 0, v39, s[6:7]
	v_add_f32_e32 v56, v56, v39
	ds_bpermute_b32 v58, v59, v56
	v_cmp_gt_u32_e64 s[6:7], 16, v37
	v_lshlrev_b32_e32 v37, 2, v36
	s_waitcnt lgkmcnt(0)
	s_barrier
	v_add_f32_e32 v56, v56, v58
	ds_bpermute_b32 v57, v57, v56
	s_waitcnt lgkmcnt(0)
	s_and_saveexec_b64 s[4:5], s[6:7]
	s_cbranch_execz .LBB144_15
; %bb.14:
	v_add_f32_e32 v56, v56, v57
	v_lshl_or_b32 v57, v1, 6, v37
	ds_write2st64_b32 v57, v55, v56 offset1:1
.LBB144_15:
	s_or_b64 exec, exec, s[4:5]
	s_load_dword s8, s[0:1], 0x94
	s_waitcnt lgkmcnt(0)
	s_barrier
	ds_read2_b32 v[56:57], v37 offset1:16
	ds_read2_b32 v[58:59], v37 offset0:32 offset1:48
	ds_read2_b32 v[60:61], v37 offset0:64 offset1:80
	;; [unrolled: 1-line block ×3, first 2 shown]
	s_waitcnt lgkmcnt(0)
	v_max3_f32 v55, v56, s43, v57
	v_max3_f32 v55, v55, v58, v59
	v_sub_f32_e32 v56, v56, v55
	v_mul_f32_e32 v56, 0x3fb8aa3b, v56
	v_exp_f32_e32 v64, v56
	v_sub_f32_e32 v56, v57, v55
	v_mul_f32_e32 v56, 0x3fb8aa3b, v56
	v_exp_f32_e32 v57, v56
	v_sub_f32_e32 v56, v58, v55
	v_mul_f32_e32 v56, 0x3fb8aa3b, v56
	v_sub_f32_e32 v37, v59, v55
	v_exp_f32_e32 v58, v56
	v_mul_f32_e32 v37, 0x3fb8aa3b, v37
	v_exp_f32_e32 v37, v37
	v_fma_f32 v56, v64, v60, 0
	v_fmac_f32_e32 v56, v57, v61
	v_fmac_f32_e32 v56, v58, v62
	;; [unrolled: 1-line block ×3, first 2 shown]
	v_add_f32_e32 v59, 0x358637bd, v56
	v_div_scale_f32 v60, s[4:5], v59, v59, 1.0
	v_rcp_f32_e32 v61, v60
	s_barrier
	s_mul_i32 s9, s29, 13
	v_fma_f32 v62, -v60, v61, 1.0
	v_fmac_f32_e32 v61, v62, v61
	v_div_scale_f32 v62, vcc, 1.0, v59, 1.0
	v_mul_f32_e32 v63, v62, v61
	v_fma_f32 v65, -v60, v63, v62
	v_fmac_f32_e32 v63, v65, v61
	v_fma_f32 v60, -v60, v63, v62
	v_div_fmas_f32 v60, v60, v61, v63
	v_cmp_eq_u32_e32 vcc, 1, v1
	v_div_fixup_f32 v59, v60, v59, 1.0
	s_nop 0
	v_cndmask_b32_e32 v57, v64, v57, vcc
	v_cmp_eq_u32_e32 vcc, 2, v1
	s_nop 1
	v_cndmask_b32_e32 v57, v57, v58, vcc
	v_cmp_eq_u32_e32 vcc, 3, v1
	v_lshlrev_b32_e32 v1, 11, v1
	s_nop 0
	v_cndmask_b32_e32 v37, v57, v37, vcc
	v_mul_f32_e32 v58, v37, v59
	v_pk_mul_f32 v[50:51], v[58:59], v[50:51] op_sel_hi:[0,1]
	v_pk_mul_f32 v[40:41], v[58:59], v[40:41] op_sel_hi:[0,1]
	v_cvt_f16_f32_e32 v37, v40
	v_cvt_f16_f32_e32 v40, v41
	;; [unrolled: 1-line block ×4, first 2 shown]
	v_pk_mul_f32 v[52:53], v[58:59], v[52:53] op_sel_hi:[0,1]
	v_pk_mul_f32 v[42:43], v[58:59], v[42:43] op_sel_hi:[0,1]
	v_pack_b32_f16 v50, v37, v40
	v_pack_b32_f16 v51, v41, v51
	v_cvt_f16_f32_e32 v41, v42
	v_cvt_f16_f32_e32 v42, v43
	v_cvt_f16_f32_e32 v43, v52
	v_cvt_f16_f32_e32 v52, v53
	v_lshlrev_b32_e32 v37, 3, v54
	v_lshlrev_b32_e32 v40, 5, v36
	v_or3_b32 v1, v1, v40, v37
	v_pack_b32_f16 v42, v41, v42
	v_pack_b32_f16 v43, v43, v52
	ds_write2st64_b64 v1, v[50:51], v[42:43] offset1:1
	v_pk_mul_f32 v[42:43], v[58:59], v[46:47] op_sel_hi:[0,1]
	v_pk_mul_f32 v[46:47], v[58:59], v[48:49] op_sel_hi:[0,1]
	v_cvt_f16_f32_e32 v37, v46
	v_cvt_f16_f32_e32 v41, v47
	;; [unrolled: 1-line block ×4, first 2 shown]
	v_pk_mul_f32 v[38:39], v[58:59], v[38:39] op_sel_hi:[0,1]
	v_pk_mul_f32 v[42:43], v[58:59], v[44:45] op_sel_hi:[0,1]
	v_cvt_f16_f32_e32 v42, v42
	v_cvt_f16_f32_e32 v43, v43
	;; [unrolled: 1-line block ×4, first 2 shown]
	v_pack_b32_f16 v38, v37, v41
	v_pack_b32_f16 v39, v46, v47
	;; [unrolled: 1-line block ×4, first 2 shown]
	v_cmp_gt_u32_e32 vcc, 13, v0
	ds_write2st64_b64 v1, v[38:39], v[42:43] offset0:2 offset1:3
	s_and_saveexec_b64 s[4:5], vcc
	s_cbranch_execz .LBB144_17
; %bb.16:
	s_mov_b32 s43, 0
	v_mov_b32_e32 v37, 0
	v_lshl_add_u64 v[38:39], s[42:43], 0, v[36:37]
	v_mov_b32_e32 v36, s9
	v_mad_u64_u32 v[38:39], s[10:11], s2, v36, v[38:39]
	v_mov_b32_e32 v36, s28
	s_load_dwordx4 s[12:15], s[0:1], 0x58
	s_mul_i32 s3, s3, s9
	v_mad_u64_u32 v[36:37], s[10:11], v38, s8, v[36:37]
	v_add_u32_e32 v39, s3, v39
	v_mov_b32_e32 v38, v37
	v_mad_u64_u32 v[38:39], s[10:11], v39, s8, v[38:39]
	v_mov_b32_e32 v37, v38
	v_lshlrev_b64 v[36:37], 2, v[36:37]
	s_waitcnt lgkmcnt(0)
	v_lshl_add_u64 v[38:39], s[14:15], 0, v[36:37]
	v_lshl_add_u64 v[36:37], s[12:13], 0, v[36:37]
	global_store_dword v[38:39], v55, off
	global_store_dword v[36:37], v56, off
.LBB144_17:
	s_or_b64 exec, exec, s[4:5]
	v_lshl_or_b32 v48, v54, 9, v40
	s_waitcnt lgkmcnt(0)
	s_barrier
	ds_read_b128 v[36:39], v48
	ds_read_b128 v[40:43], v48 offset:16
	s_waitcnt vmcnt(7) lgkmcnt(1)
	v_mfma_f32_16x16x16_f16 v[44:47], v[6:7], v[36:37], 0
	v_cmp_gt_u32_e32 vcc, 64, v0
	s_mov_b32 s3, 0
	s_and_b64 s[4:5], vcc, s[30:31]
	v_mfma_f32_16x16x16_f16 v[6:9], v[8:9], v[38:39], v[44:47]
	s_waitcnt vmcnt(6) lgkmcnt(0)
	v_mfma_f32_16x16x16_f16 v[6:9], v[2:3], v[40:41], v[6:9]
	v_mfma_f32_16x16x16_f16 v[2:5], v[4:5], v[42:43], v[6:9]
	s_nop 5
	ds_read_b128 v[6:9], v48 offset:2048
	ds_read_b128 v[36:39], v48 offset:2064
	s_waitcnt vmcnt(5) lgkmcnt(1)
	v_mfma_f32_16x16x16_f16 v[2:5], v[30:31], v[6:7], v[2:5]
	v_mfma_f32_16x16x16_f16 v[2:5], v[32:33], v[8:9], v[2:5]
	s_waitcnt vmcnt(4) lgkmcnt(0)
	v_mfma_f32_16x16x16_f16 v[2:5], v[26:27], v[36:37], v[2:5]
	v_mfma_f32_16x16x16_f16 v[2:5], v[28:29], v[38:39], v[2:5]
	ds_read_b128 v[6:9], v48 offset:4096
	ds_read_b128 v[26:29], v48 offset:4112
	s_waitcnt vmcnt(3) lgkmcnt(1)
	v_mfma_f32_16x16x16_f16 v[2:5], v[22:23], v[6:7], v[2:5]
	v_mfma_f32_16x16x16_f16 v[2:5], v[24:25], v[8:9], v[2:5]
	s_waitcnt vmcnt(2) lgkmcnt(0)
	v_mfma_f32_16x16x16_f16 v[2:5], v[18:19], v[26:27], v[2:5]
	v_mfma_f32_16x16x16_f16 v[2:5], v[20:21], v[28:29], v[2:5]
	ds_read_b128 v[6:9], v48 offset:6144
	ds_read_b128 v[18:21], v48 offset:6160
	s_waitcnt lgkmcnt(0)
	s_barrier
	s_waitcnt vmcnt(1)
	v_mfma_f32_16x16x16_f16 v[2:5], v[14:15], v[6:7], v[2:5]
	v_mfma_f32_16x16x16_f16 v[2:5], v[16:17], v[8:9], v[2:5]
	s_waitcnt vmcnt(0)
	v_mfma_f32_16x16x16_f16 v[2:5], v[10:11], v[18:19], v[2:5]
	v_mfma_f32_16x16x16_f16 v[2:5], v[12:13], v[20:21], v[2:5]
	s_nop 6
	v_cvt_f16_f32_e32 v2, v2
	v_cvt_f16_f32_e32 v3, v3
	;; [unrolled: 1-line block ×4, first 2 shown]
	v_pack_b32_f16 v2, v2, v3
	v_pack_b32_f16 v3, v4, v5
	ds_write_b64 v1, v[2:3]
	s_waitcnt lgkmcnt(0)
	s_barrier
	s_and_saveexec_b64 s[10:11], s[4:5]
	s_cbranch_execz .LBB144_20
; %bb.18:
	s_load_dwordx2 s[4:5], s[0:1], 0x68
	s_lshl_b32 s0, s8, 6
	s_mul_i32 s1, s9, s2
	s_mul_hi_u32 s9, s1, s0
	s_mul_i32 s8, s1, s0
	v_lshlrev_b32_e32 v1, 10, v0
	v_lshlrev_b32_e32 v0, 4, v0
	s_lshl_b64 s[8:9], s[8:9], 1
	v_and_b32_e32 v1, 0x1800, v1
	v_lshlrev_b32_e32 v2, 5, v54
	v_and_b32_e32 v0, 16, v0
	s_waitcnt lgkmcnt(0)
	s_add_u32 s1, s4, s8
	v_or3_b32 v2, v1, v2, v0
	s_addc_u32 s4, s5, s9
	s_lshl_b32 s2, s28, 6
	ds_read_b128 v[4:7], v2 offset:256
	s_lshl_b64 s[2:3], s[2:3], 1
	ds_read_b128 v[8:11], v2 offset:128
	ds_read_b128 v[12:15], v2
	s_add_u32 s2, s1, s2
	s_addc_u32 s3, s4, s3
	v_add_u32_e32 v3, s42, v54
	v_lshl_add_u64 v[0:1], v[34:35], 1, s[2:3]
	v_mad_u64_u32 v[16:17], s[2:3], v3, s0, 0
	v_lshl_add_u64 v[16:17], v[16:17], 1, v[0:1]
	s_waitcnt lgkmcnt(0)
	global_store_dwordx4 v[16:17], v[12:15], off
	s_nop 1
	v_add_u32_e32 v12, 4, v3
	v_mad_u64_u32 v[12:13], s[2:3], v12, s0, 0
	v_lshl_add_u64 v[12:13], v[12:13], 1, v[0:1]
	v_add_u32_e32 v3, 8, v3
	global_store_dwordx4 v[12:13], v[8:11], off
	s_nop 1
	v_mad_u64_u32 v[8:9], s[2:3], v3, s0, 0
	v_lshl_add_u64 v[8:9], v[8:9], 1, v[0:1]
	global_store_dwordx4 v[8:9], v[4:7], off
	s_and_b64 exec, exec, s[6:7]
	s_cbranch_execz .LBB144_20
; %bb.19:
	ds_read_b128 v[2:5], v2 offset:384
	v_add3_u32 v6, s42, v54, 12
	v_mad_u64_u32 v[6:7], s[0:1], v6, s0, 0
	v_lshl_add_u64 v[0:1], v[6:7], 1, v[0:1]
	s_waitcnt lgkmcnt(0)
	global_store_dwordx4 v[0:1], v[2:5], off
.LBB144_20:
	s_endpgm
	.section	.rodata,"a",@progbits
	.p2align	6, 0x0
	.amdhsa_kernel _Z39paged_attention_ll4mi_QKV_mfma16_kernelIDF16_DF16_LN4vllm18Fp8KVCacheDataTypeE0EhLi32ELi64ELi256ELb0ELi13EEvPKT_PKT0_S7_ifPKiS9_S9_iPKfiiiPfSC_PS2_PT2_iSB_SB_
		.amdhsa_group_segment_fixed_size 8192
		.amdhsa_private_segment_fixed_size 0
		.amdhsa_kernarg_size 400
		.amdhsa_user_sgpr_count 2
		.amdhsa_user_sgpr_dispatch_ptr 0
		.amdhsa_user_sgpr_queue_ptr 0
		.amdhsa_user_sgpr_kernarg_segment_ptr 1
		.amdhsa_user_sgpr_dispatch_id 0
		.amdhsa_user_sgpr_kernarg_preload_length 0
		.amdhsa_user_sgpr_kernarg_preload_offset 0
		.amdhsa_user_sgpr_private_segment_size 0
		.amdhsa_uses_dynamic_stack 0
		.amdhsa_enable_private_segment 0
		.amdhsa_system_sgpr_workgroup_id_x 1
		.amdhsa_system_sgpr_workgroup_id_y 1
		.amdhsa_system_sgpr_workgroup_id_z 1
		.amdhsa_system_sgpr_workgroup_info 0
		.amdhsa_system_vgpr_workitem_id 0
		.amdhsa_next_free_vgpr 67
		.amdhsa_next_free_sgpr 48
		.amdhsa_accum_offset 68
		.amdhsa_reserve_vcc 1
		.amdhsa_float_round_mode_32 0
		.amdhsa_float_round_mode_16_64 0
		.amdhsa_float_denorm_mode_32 3
		.amdhsa_float_denorm_mode_16_64 3
		.amdhsa_dx10_clamp 1
		.amdhsa_ieee_mode 1
		.amdhsa_fp16_overflow 0
		.amdhsa_tg_split 0
		.amdhsa_exception_fp_ieee_invalid_op 0
		.amdhsa_exception_fp_denorm_src 0
		.amdhsa_exception_fp_ieee_div_zero 0
		.amdhsa_exception_fp_ieee_overflow 0
		.amdhsa_exception_fp_ieee_underflow 0
		.amdhsa_exception_fp_ieee_inexact 0
		.amdhsa_exception_int_div_zero 0
	.end_amdhsa_kernel
	.section	.text._Z39paged_attention_ll4mi_QKV_mfma16_kernelIDF16_DF16_LN4vllm18Fp8KVCacheDataTypeE0EhLi32ELi64ELi256ELb0ELi13EEvPKT_PKT0_S7_ifPKiS9_S9_iPKfiiiPfSC_PS2_PT2_iSB_SB_,"axG",@progbits,_Z39paged_attention_ll4mi_QKV_mfma16_kernelIDF16_DF16_LN4vllm18Fp8KVCacheDataTypeE0EhLi32ELi64ELi256ELb0ELi13EEvPKT_PKT0_S7_ifPKiS9_S9_iPKfiiiPfSC_PS2_PT2_iSB_SB_,comdat
.Lfunc_end144:
	.size	_Z39paged_attention_ll4mi_QKV_mfma16_kernelIDF16_DF16_LN4vllm18Fp8KVCacheDataTypeE0EhLi32ELi64ELi256ELb0ELi13EEvPKT_PKT0_S7_ifPKiS9_S9_iPKfiiiPfSC_PS2_PT2_iSB_SB_, .Lfunc_end144-_Z39paged_attention_ll4mi_QKV_mfma16_kernelIDF16_DF16_LN4vllm18Fp8KVCacheDataTypeE0EhLi32ELi64ELi256ELb0ELi13EEvPKT_PKT0_S7_ifPKiS9_S9_iPKfiiiPfSC_PS2_PT2_iSB_SB_
                                        ; -- End function
	.section	.AMDGPU.csdata,"",@progbits
; Kernel info:
; codeLenInByte = 3960
; NumSgprs: 54
; NumVgprs: 67
; NumAgprs: 0
; TotalNumVgprs: 67
; ScratchSize: 0
; MemoryBound: 0
; FloatMode: 240
; IeeeMode: 1
; LDSByteSize: 8192 bytes/workgroup (compile time only)
; SGPRBlocks: 6
; VGPRBlocks: 8
; NumSGPRsForWavesPerEU: 54
; NumVGPRsForWavesPerEU: 67
; AccumOffset: 68
; Occupancy: 7
; WaveLimiterHint : 1
; COMPUTE_PGM_RSRC2:SCRATCH_EN: 0
; COMPUTE_PGM_RSRC2:USER_SGPR: 2
; COMPUTE_PGM_RSRC2:TRAP_HANDLER: 0
; COMPUTE_PGM_RSRC2:TGID_X_EN: 1
; COMPUTE_PGM_RSRC2:TGID_Y_EN: 1
; COMPUTE_PGM_RSRC2:TGID_Z_EN: 1
; COMPUTE_PGM_RSRC2:TIDIG_COMP_CNT: 0
; COMPUTE_PGM_RSRC3_GFX90A:ACCUM_OFFSET: 16
; COMPUTE_PGM_RSRC3_GFX90A:TG_SPLIT: 0
	.section	.text._Z39paged_attention_ll4mi_QKV_mfma16_kernelIDF16_DF16_LN4vllm18Fp8KVCacheDataTypeE0EhLi32ELi64ELi256ELb0ELi14EEvPKT_PKT0_S7_ifPKiS9_S9_iPKfiiiPfSC_PS2_PT2_iSB_SB_,"axG",@progbits,_Z39paged_attention_ll4mi_QKV_mfma16_kernelIDF16_DF16_LN4vllm18Fp8KVCacheDataTypeE0EhLi32ELi64ELi256ELb0ELi14EEvPKT_PKT0_S7_ifPKiS9_S9_iPKfiiiPfSC_PS2_PT2_iSB_SB_,comdat
	.protected	_Z39paged_attention_ll4mi_QKV_mfma16_kernelIDF16_DF16_LN4vllm18Fp8KVCacheDataTypeE0EhLi32ELi64ELi256ELb0ELi14EEvPKT_PKT0_S7_ifPKiS9_S9_iPKfiiiPfSC_PS2_PT2_iSB_SB_ ; -- Begin function _Z39paged_attention_ll4mi_QKV_mfma16_kernelIDF16_DF16_LN4vllm18Fp8KVCacheDataTypeE0EhLi32ELi64ELi256ELb0ELi14EEvPKT_PKT0_S7_ifPKiS9_S9_iPKfiiiPfSC_PS2_PT2_iSB_SB_
	.globl	_Z39paged_attention_ll4mi_QKV_mfma16_kernelIDF16_DF16_LN4vllm18Fp8KVCacheDataTypeE0EhLi32ELi64ELi256ELb0ELi14EEvPKT_PKT0_S7_ifPKiS9_S9_iPKfiiiPfSC_PS2_PT2_iSB_SB_
	.p2align	8
	.type	_Z39paged_attention_ll4mi_QKV_mfma16_kernelIDF16_DF16_LN4vllm18Fp8KVCacheDataTypeE0EhLi32ELi64ELi256ELb0ELi14EEvPKT_PKT0_S7_ifPKiS9_S9_iPKfiiiPfSC_PS2_PT2_iSB_SB_,@function
_Z39paged_attention_ll4mi_QKV_mfma16_kernelIDF16_DF16_LN4vllm18Fp8KVCacheDataTypeE0EhLi32ELi64ELi256ELb0ELi14EEvPKT_PKT0_S7_ifPKiS9_S9_iPKfiiiPfSC_PS2_PT2_iSB_SB_: ; @_Z39paged_attention_ll4mi_QKV_mfma16_kernelIDF16_DF16_LN4vllm18Fp8KVCacheDataTypeE0EhLi32ELi64ELi256ELb0ELi14EEvPKT_PKT0_S7_ifPKiS9_S9_iPKfiiiPfSC_PS2_PT2_iSB_SB_
; %bb.0:
	s_load_dwordx2 s[6:7], s[0:1], 0x30
	s_mov_b32 s28, s3
	s_mov_b64 s[10:11], 0
	s_waitcnt lgkmcnt(0)
	s_cmp_lg_u64 s[6:7], 0
	s_cselect_b64 s[8:9], -1, 0
	s_and_b64 vcc, exec, s[8:9]
	s_cbranch_vccz .LBB145_7
; %bb.1:
	s_add_i32 s12, s2, 1
	s_mov_b32 s13, 0
	s_lshl_b64 s[14:15], s[12:13], 2
	s_add_u32 s14, s6, s14
	s_mov_b32 s3, s13
	s_addc_u32 s15, s7, s15
	s_lshl_b64 s[12:13], s[2:3], 2
	s_add_u32 s12, s6, s12
	s_addc_u32 s13, s7, s13
	s_load_dword s5, s[14:15], 0x0
	s_load_dword s16, s[12:13], 0x0
	s_waitcnt lgkmcnt(0)
	s_sub_i32 s5, s5, s16
	s_cmp_eq_u32 s5, 1
	s_cselect_b64 s[12:13], -1, 0
	s_andn2_b64 vcc, exec, s[10:11]
	s_cbranch_vccnz .LBB145_3
.LBB145_2:
	s_mov_b32 s3, 0
	s_mov_b64 s[12:13], -1
.LBB145_3:
	s_andn2_b64 vcc, exec, s[12:13]
	s_cbranch_vccnz .LBB145_20
; %bb.4:
	s_load_dwordx2 s[12:13], s[0:1], 0x28
	s_lshl_b64 s[10:11], s[2:3], 2
	s_waitcnt lgkmcnt(0)
	s_add_u32 s12, s12, s10
	s_addc_u32 s13, s13, s11
	s_load_dword s33, s[12:13], 0x0
	s_lshl_b32 s14, s28, 8
	s_waitcnt lgkmcnt(0)
	s_cmp_ge_i32 s14, s33
	s_cbranch_scc1 .LBB145_20
; %bb.5:
	s_load_dwordx2 s[12:13], s[0:1], 0x20
	s_load_dword s5, s[0:1], 0x38
	s_add_i32 s15, s33, 31
	s_ashr_i32 s16, s15, 31
	v_and_b32_e32 v1, 0xcf, v0
	s_lshr_b32 s16, s16, 27
	v_add_u32_e32 v1, s14, v1
	s_add_i32 s15, s15, s16
	v_ashrrev_i32_e32 v2, 31, v1
	s_ashr_i32 s15, s15, 5
	v_lshrrev_b32_e32 v10, 27, v2
	s_add_i32 s15, s15, -1
	s_waitcnt lgkmcnt(0)
	s_mul_i32 s16, s2, s5
	s_mov_b32 s17, 0
	v_add_u32_e32 v2, v1, v10
	s_lshl_b64 s[16:17], s[16:17], 2
	v_ashrrev_i32_e32 v2, 5, v2
	v_mov_b32_e32 v11, s15
	v_cmp_gt_i32_e32 vcc, s33, v1
	s_add_u32 s12, s12, s16
	s_addc_u32 s13, s13, s17
	v_cndmask_b32_e32 v2, v11, v2, vcc
	v_ashrrev_i32_e32 v3, 31, v2
	v_lshl_add_u64 v[4:5], v[2:3], 2, s[12:13]
	v_or_b32_e32 v2, 16, v1
	v_add_u32_e32 v3, v2, v10
	v_ashrrev_i32_e32 v3, 5, v3
	v_cmp_gt_i32_e32 vcc, s33, v2
	s_nop 1
	v_cndmask_b32_e32 v2, v11, v3, vcc
	v_ashrrev_i32_e32 v3, 31, v2
	v_lshl_add_u64 v[6:7], v[2:3], 2, s[12:13]
	v_or_b32_e32 v2, 32, v1
	v_add_u32_e32 v3, v2, v10
	v_ashrrev_i32_e32 v3, 5, v3
	v_cmp_gt_i32_e32 vcc, s33, v2
	v_or_b32_e32 v1, 48, v1
	s_nop 0
	v_cndmask_b32_e32 v2, v11, v3, vcc
	v_ashrrev_i32_e32 v3, 31, v2
	v_lshl_add_u64 v[8:9], v[2:3], 2, s[12:13]
	v_add_u32_e32 v2, v1, v10
	v_ashrrev_i32_e32 v2, 5, v2
	v_cmp_gt_i32_e32 vcc, s33, v1
	s_nop 1
	v_cndmask_b32_e32 v2, v11, v2, vcc
	v_ashrrev_i32_e32 v3, 31, v2
	v_lshl_add_u64 v[12:13], v[2:3], 2, s[12:13]
	global_load_dword v3, v[4:5], off
	global_load_dword v2, v[6:7], off
	;; [unrolled: 1-line block ×4, first 2 shown]
	s_andn2_b64 vcc, exec, s[8:9]
	s_cbranch_vccnz .LBB145_8
; %bb.6:
	s_add_u32 s6, s6, s10
	s_addc_u32 s7, s7, s11
	s_load_dword s5, s[6:7], 0x0
	s_branch .LBB145_9
.LBB145_7:
	s_mov_b64 s[12:13], 0
	s_branch .LBB145_2
.LBB145_8:
	s_mov_b32 s5, s2
.LBB145_9:
	s_load_dwordx4 s[8:11], s[0:1], 0x8
	s_load_dwordx4 s[44:47], s[0:1], 0x48
	v_lshrrev_b32_e32 v1, 6, v0
	v_bfe_u32 v54, v0, 4, 2
	v_lshl_or_b32 v4, v1, 2, v54
	v_and_b32_e32 v36, 15, v0
	v_cmp_lt_u32_e32 vcc, 13, v4
	v_cmp_lt_u32_e64 s[6:7], 7, v36
	v_lshlrev_b32_e32 v34, 3, v36
	v_cmp_gt_u32_e64 s[30:31], 8, v36
	s_or_b64 s[6:7], s[6:7], vcc
	s_and_saveexec_b64 s[16:17], s[6:7]
	s_xor_b64 s[6:7], exec, s[16:17]
; %bb.10:
	v_mov_b32_e32 v35, 0
                                        ; implicit-def: $vgpr4
; %bb.11:
	s_or_saveexec_b64 s[6:7], s[6:7]
	v_and_b32_e32 v37, 63, v0
	s_mul_i32 s42, s4, 14
	s_xor_b64 exec, exec, s[6:7]
	s_cbranch_execz .LBB145_13
; %bb.12:
	s_load_dwordx2 s[16:17], s[0:1], 0x0
	s_waitcnt lgkmcnt(0)
	s_ashr_i32 s18, s44, 31
	s_mul_hi_u32 s19, s5, s44
	s_mul_i32 s18, s5, s18
	s_add_i32 s19, s19, s18
	s_mul_i32 s18, s5, s44
	s_lshl_b64 s[18:19], s[18:19], 1
	s_add_u32 s16, s16, s18
	v_add_lshl_u32 v6, v4, s42, 6
	s_addc_u32 s17, s17, s19
	v_ashrrev_i32_e32 v7, 31, v6
	v_mov_b32_e32 v35, 0
	v_lshl_add_u64 v[6:7], v[6:7], 1, s[16:17]
	v_lshlrev_b32_e32 v8, 1, v34
	v_mov_b32_e32 v9, v35
	v_lshl_add_u64 v[6:7], v[6:7], 0, v[8:9]
	global_load_dwordx4 v[6:9], v[6:7], off
	v_and_b32_e32 v5, 3, v0
	v_lshlrev_b32_e32 v11, 9, v36
	v_lshlrev_b32_e32 v4, 5, v4
	;; [unrolled: 1-line block ×3, first 2 shown]
	v_and_b32_e32 v11, 0x1800, v11
	v_or3_b32 v4, v11, v5, v4
	s_waitcnt vmcnt(0)
	ds_write_b128 v4, v[6:9]
.LBB145_13:
	s_or_b64 exec, exec, s[6:7]
	s_waitcnt lgkmcnt(0)
	s_mul_i32 s4, s4, s46
	s_mov_b32 s5, 0
	s_lshl_b64 s[4:5], s[4:5], 1
	s_add_u32 s8, s8, s4
	s_addc_u32 s9, s9, s5
	s_waitcnt vmcnt(3)
	v_mad_i64_i32 v[4:5], s[16:17], v3, s45, 0
	v_lshl_add_u64 v[4:5], v[4:5], 1, s[8:9]
	v_lshlrev_b64 v[12:13], 1, v[34:35]
	v_lshlrev_b32_e32 v38, 9, v54
	v_lshl_add_u64 v[4:5], v[4:5], 0, v[12:13]
	v_mov_b32_e32 v39, 0
	v_lshl_add_u64 v[14:15], v[4:5], 0, v[38:39]
	s_waitcnt vmcnt(2)
	v_mad_i64_i32 v[2:3], s[16:17], v2, s45, 0
	v_mov_b32_e32 v4, 0x100
	v_lshl_add_u64 v[2:3], v[2:3], 1, s[8:9]
	v_lshl_or_b32 v40, v36, 4, v4
	v_mov_b32_e32 v41, v39
	s_load_dword s29, s[0:1], 0x98
	s_load_dword s6, s[0:1], 0x1c
	s_waitcnt lgkmcnt(0)
	s_barrier
	v_lshl_add_u64 v[2:3], v[2:3], 0, v[40:41]
	global_load_dwordx4 v[6:9], v[14:15], off
	global_load_dwordx4 v[22:25], v[14:15], off offset:2048
	v_lshl_add_u64 v[18:19], v[2:3], 0, v[38:39]
	global_load_dwordx4 v[2:5], v[18:19], off
	global_load_dwordx4 v[26:29], v[18:19], off offset:2048
	s_waitcnt vmcnt(5)
	v_mad_i64_i32 v[10:11], s[16:17], v10, s45, 0
	v_lshl_add_u64 v[10:11], v[10:11], 1, s[8:9]
	v_lshl_add_u64 v[10:11], v[10:11], 0, v[12:13]
	;; [unrolled: 1-line block ×3, first 2 shown]
	global_load_dwordx4 v[10:13], v[20:21], off
	global_load_dwordx4 v[30:33], v[20:21], off offset:2048
	s_waitcnt vmcnt(6)
	v_mad_i64_i32 v[42:43], s[16:17], v16, s45, 0
	v_add_u32_e32 v17, -14, v36
	v_cmp_gt_u32_e32 vcc, 14, v36
	v_lshl_add_u64 v[42:43], v[42:43], 1, s[8:9]
	v_lshl_add_u64 v[40:41], v[42:43], 0, v[40:41]
	v_cndmask_b32_e32 v14, v17, v36, vcc
	v_lshl_add_u32 v14, v14, 5, v38
	v_lshl_add_u64 v[40:41], v[40:41], 0, v[38:39]
	ds_read_b128 v[18:21], v14
	ds_read_b128 v[14:17], v14 offset:2048
	global_load_dwordx4 v[46:49], v[40:41], off
	global_load_dwordx4 v[60:63], v[40:41], off offset:2048
	s_ashr_i32 s7, s14, 31
	v_and_or_b32 v55, v0, 48, s14
	s_lshr_b32 s7, s7, 27
	v_add_u32_e32 v42, s7, v55
	v_mov_b32_e32 v64, s15
	v_or_b32_e32 v50, 64, v55
	v_ashrrev_i32_e32 v38, 5, v42
	v_cmp_gt_i32_e32 vcc, s33, v55
	v_add_u32_e32 v43, s7, v50
	v_ashrrev_i32_e32 v51, 5, v43
	v_cndmask_b32_e32 v42, v64, v38, vcc
	v_ashrrev_i32_e32 v43, 31, v42
	v_lshl_add_u64 v[42:43], v[42:43], 2, s[12:13]
	v_cmp_gt_i32_e32 vcc, s33, v50
	global_load_dword v65, v[42:43], off
	v_or_b32_e32 v40, 0x80, v55
	v_or_b32_e32 v41, 0xc0, v55
	v_and_b32_e32 v38, 16, v0
	s_add_u32 s4, s10, s4
	s_addc_u32 s5, s11, s5
	v_lshlrev_b32_e32 v38, 1, v38
	s_mov_b32 s43, 0xff7fffff
	s_waitcnt vmcnt(8) lgkmcnt(1)
	v_mfma_f32_16x16x16_f16 v[42:45], v[6:7], v[18:19], 0
	v_cndmask_b32_e32 v6, v64, v51, vcc
	v_ashrrev_i32_e32 v7, 31, v6
	v_cmp_gt_i32_e32 vcc, s33, v40
	s_waitcnt vmcnt(6)
	v_mfma_f32_16x16x16_f16 v[50:53], v[2:3], v[18:19], 0
	v_lshl_add_u64 v[2:3], v[6:7], 2, s[12:13]
	global_load_dword v66, v[2:3], off
	v_mfma_f32_16x16x16_f16 v[6:9], v[8:9], v[20:21], v[42:45]
	v_mfma_f32_16x16x16_f16 v[2:5], v[4:5], v[20:21], v[50:53]
	s_nop 1
	v_add_u32_e32 v42, s7, v40
	v_add_u32_e32 v43, s7, v41
	v_ashrrev_i32_e32 v42, 5, v42
	s_waitcnt lgkmcnt(0)
	v_mfma_f32_16x16x16_f16 v[6:9], v[22:23], v[14:15], v[6:9]
	v_lshlrev_b32_e32 v45, 6, v36
	v_ashrrev_i32_e32 v43, 5, v43
	v_cndmask_b32_e32 v44, v64, v42, vcc
	s_waitcnt vmcnt(5)
	v_mfma_f32_16x16x16_f16 v[56:59], v[10:11], v[18:19], 0
	v_cmp_gt_i32_e32 vcc, s33, v41
	v_lshl_add_u64 v[50:51], s[4:5], 0, v[38:39]
	v_lshl_or_b32 v38, v1, 10, v45
	v_mfma_f32_16x16x16_f16 v[2:5], v[26:27], v[14:15], v[2:5]
	v_cndmask_b32_e32 v26, v64, v43, vcc
	v_ashrrev_i32_e32 v45, 31, v44
	v_ashrrev_i32_e32 v27, 31, v26
	v_mfma_f32_16x16x16_f16 v[22:25], v[24:25], v[16:17], v[6:9]
	s_nop 2
	v_lshl_add_u64 v[6:7], v[44:45], 2, s[12:13]
	v_mfma_f32_16x16x16_f16 v[10:13], v[12:13], v[20:21], v[56:59]
	v_lshl_add_u64 v[8:9], v[26:27], 2, s[12:13]
	global_load_dword v55, v[6:7], off
	s_nop 0
	global_load_dword v58, v[8:9], off
	s_waitcnt vmcnt(6)
	v_mfma_f32_16x16x16_f16 v[40:43], v[30:31], v[14:15], v[10:13]
	s_nop 2
	v_lshl_add_u64 v[10:11], v[50:51], 0, v[38:39]
	v_mfma_f32_16x16x16_f16 v[30:33], v[32:33], v[16:17], v[40:43]
	v_pk_mul_f32 v[50:51], s[6:7], v[24:25] op_sel_hi:[0,1]
	s_waitcnt vmcnt(2)
	v_mad_i64_i32 v[12:13], s[4:5], v66, s45, 0
	v_mfma_f32_16x16x16_f16 v[38:41], v[46:47], v[18:19], 0
	v_lshl_add_u64 v[56:57], v[12:13], 1, v[10:11]
	v_pk_mul_f32 v[12:13], s[6:7], v[22:23] op_sel_hi:[0,1]
	s_nop 0
	v_pk_mul_f32 v[46:47], s[6:7], v[32:33] op_sel_hi:[0,1]
	v_mfma_f32_16x16x16_f16 v[18:21], v[48:49], v[20:21], v[38:41]
	v_pk_mul_f32 v[48:49], s[6:7], v[30:31] op_sel_hi:[0,1]
	v_mfma_f32_16x16x16_f16 v[18:21], v[60:61], v[14:15], v[18:21]
	v_mfma_f32_16x16x16_f16 v[26:29], v[28:29], v[16:17], v[2:5]
	;; [unrolled: 1-line block ×3, first 2 shown]
	s_nop 1
	v_mad_i64_i32 v[2:3], s[4:5], v65, s45, 0
	s_nop 2
	v_pk_mul_f32 v[42:43], s[6:7], v[26:27] op_sel_hi:[0,1]
	v_pk_mul_f32 v[52:53], s[6:7], v[28:29] op_sel_hi:[0,1]
	v_lshl_add_u64 v[2:3], v[2:3], 1, v[10:11]
	v_pk_mul_f32 v[44:45], s[6:7], v[14:15] op_sel_hi:[0,1]
	v_and_b32_e32 v14, 0xc0, v0
	v_add_u32_e32 v14, s14, v14
	v_lshl_or_b32 v14, v54, 2, v14
	v_pk_mul_f32 v[38:39], s[6:7], v[16:17] op_sel_hi:[0,1]
	v_or_b32_e32 v17, 1, v14
	v_mov_b32_e32 v15, 0xff7fffff
	v_cmp_gt_i32_e64 s[4:5], s33, v14
	v_cmp_gt_i32_e64 s[34:35], s33, v17
	v_or_b32_e32 v18, 3, v14
	v_cndmask_b32_e64 v16, v15, v12, s[4:5]
	v_cndmask_b32_e64 v17, v15, v13, s[34:35]
	v_max3_f32 v16, v16, s43, v17
	v_or_b32_e32 v17, 2, v14
	v_cmp_gt_i32_e64 s[36:37], s33, v17
	v_cmp_gt_i32_e64 s[38:39], s33, v18
	global_load_dwordx4 v[6:9], v[2:3], off
	s_nop 0
	global_load_dwordx4 v[2:5], v[2:3], off offset:16
	v_cndmask_b32_e64 v17, v15, v50, s[36:37]
	v_cndmask_b32_e64 v18, v15, v51, s[38:39]
	v_max3_f32 v16, v16, v17, v18
	v_or_b32_e32 v17, 16, v14
	v_or_b32_e32 v18, 17, v14
	v_cmp_gt_i32_e64 s[24:25], s33, v17
	v_cmp_gt_i32_e64 s[26:27], s33, v18
	global_load_dwordx4 v[30:33], v[56:57], off
	global_load_dwordx4 v[26:29], v[56:57], off offset:16
	v_cndmask_b32_e64 v17, v15, v42, s[24:25]
	v_cndmask_b32_e64 v18, v15, v43, s[26:27]
	v_max3_f32 v16, v16, v17, v18
	v_or_b32_e32 v17, 18, v14
	v_or_b32_e32 v18, 19, v14
	v_cmp_gt_i32_e64 s[20:21], s33, v17
	v_cmp_gt_i32_e64 s[22:23], s33, v18
	s_nop 0
	v_cndmask_b32_e64 v17, v15, v52, s[20:21]
	v_cndmask_b32_e64 v18, v15, v53, s[22:23]
	v_max3_f32 v16, v16, v17, v18
	v_or_b32_e32 v17, 32, v14
	v_or_b32_e32 v18, 33, v14
	v_cmp_gt_i32_e64 s[16:17], s33, v17
	v_cmp_gt_i32_e64 s[18:19], s33, v18
	s_nop 0
	;; [unrolled: 8-line block ×4, first 2 shown]
	v_cndmask_b32_e64 v17, v15, v44, s[8:9]
	v_cndmask_b32_e64 v18, v15, v45, s[10:11]
	v_max3_f32 v16, v16, v17, v18
	v_or_b32_e32 v17, 50, v14
	v_or_b32_e32 v14, 51, v14
	v_cmp_gt_i32_e32 vcc, s33, v17
	v_cmp_gt_i32_e64 s[6:7], s33, v14
	s_nop 0
	v_cndmask_b32_e32 v17, v15, v38, vcc
	v_cndmask_b32_e64 v14, v15, v39, s[6:7]
	v_max3_f32 v16, v16, v17, v14
	v_mbcnt_lo_u32_b32 v14, -1, 0
	v_mbcnt_hi_u32_b32 v17, -1, v14
	v_and_b32_e32 v14, 64, v17
	v_add_u32_e32 v18, 64, v14
	v_xor_b32_e32 v14, 32, v17
	v_cmp_lt_i32_e64 s[40:41], v14, v18
	s_nop 1
	v_cndmask_b32_e64 v14, v17, v14, s[40:41]
	v_lshlrev_b32_e32 v59, 2, v14
	ds_bpermute_b32 v19, v59, v16
	s_waitcnt vmcnt(5)
	v_mad_i64_i32 v[14:15], s[40:41], v55, s45, 0
	v_lshl_add_u64 v[14:15], v[14:15], 1, v[10:11]
	s_waitcnt lgkmcnt(0)
	v_max_f32_e32 v19, v19, v19
	v_max_f32_e32 v16, v16, v19
	v_xor_b32_e32 v19, 16, v17
	v_cmp_lt_i32_e64 s[40:41], v19, v18
	s_nop 1
	v_cndmask_b32_e64 v17, v17, v19, s[40:41]
	v_lshlrev_b32_e32 v57, 2, v17
	ds_bpermute_b32 v17, v57, v16
	global_load_dwordx4 v[22:25], v[14:15], off
	global_load_dwordx4 v[18:21], v[14:15], off offset:16
	s_waitcnt vmcnt(6)
	v_mad_i64_i32 v[14:15], s[40:41], v58, s45, 0
	v_lshl_add_u64 v[10:11], v[14:15], 1, v[10:11]
	s_waitcnt lgkmcnt(0)
	v_max_f32_e32 v14, v17, v17
	v_max_f32_e32 v55, v16, v14
	v_sub_f32_e32 v12, v12, v55
	v_mul_f32_e32 v12, 0x3fb8aa3b, v12
	v_exp_f32_e32 v40, v12
	v_sub_f32_e32 v12, v13, v55
	v_mul_f32_e32 v12, 0x3fb8aa3b, v12
	v_exp_f32_e32 v41, v12
	global_load_dwordx4 v[14:17], v[10:11], off
	s_nop 0
	global_load_dwordx4 v[10:13], v[10:11], off offset:16
	v_sub_f32_e32 v50, v50, v55
	v_mul_f32_e32 v50, 0x3fb8aa3b, v50
	v_sub_f32_e32 v51, v51, v55
	v_exp_f32_e32 v50, v50
	v_mul_f32_e32 v51, 0x3fb8aa3b, v51
	v_sub_f32_e32 v42, v42, v55
	v_exp_f32_e32 v51, v51
	v_mul_f32_e32 v42, 0x3fb8aa3b, v42
	v_sub_f32_e32 v43, v43, v55
	v_cndmask_b32_e64 v40, 0, v40, s[4:5]
	v_exp_f32_e32 v42, v42
	v_mul_f32_e32 v43, 0x3fb8aa3b, v43
	v_sub_f32_e32 v52, v52, v55
	v_add_f32_e32 v56, 0, v40
	v_cndmask_b32_e64 v41, 0, v41, s[34:35]
	v_exp_f32_e32 v43, v43
	v_mul_f32_e32 v52, 0x3fb8aa3b, v52
	v_sub_f32_e32 v53, v53, v55
	v_add_f32_e32 v56, v56, v41
	;; [unrolled: 5-line block ×10, first 2 shown]
	v_cndmask_b32_e64 v46, 0, v46, s[12:13]
	v_exp_f32_e32 v38, v38
	v_mul_f32_e32 v39, 0x3fb8aa3b, v39
	v_add_f32_e32 v56, v56, v46
	v_cndmask_b32_e64 v47, 0, v47, s[14:15]
	v_exp_f32_e32 v39, v39
	v_add_f32_e32 v56, v56, v47
	v_cndmask_b32_e64 v44, 0, v44, s[8:9]
	v_add_f32_e32 v56, v56, v44
	v_cndmask_b32_e64 v45, 0, v45, s[10:11]
	v_add_f32_e32 v56, v56, v45
	v_cndmask_b32_e32 v38, 0, v38, vcc
	v_add_f32_e32 v56, v56, v38
	v_cndmask_b32_e64 v39, 0, v39, s[6:7]
	v_add_f32_e32 v56, v56, v39
	ds_bpermute_b32 v58, v59, v56
	v_cmp_gt_u32_e32 vcc, 16, v37
	v_lshlrev_b32_e32 v37, 2, v36
	s_waitcnt lgkmcnt(0)
	s_barrier
	v_add_f32_e32 v56, v56, v58
	ds_bpermute_b32 v57, v57, v56
	s_waitcnt lgkmcnt(0)
	s_and_saveexec_b64 s[4:5], vcc
	s_cbranch_execz .LBB145_15
; %bb.14:
	v_add_f32_e32 v56, v56, v57
	v_lshl_or_b32 v57, v1, 6, v37
	ds_write2st64_b32 v57, v55, v56 offset1:1
.LBB145_15:
	s_or_b64 exec, exec, s[4:5]
	s_load_dword s6, s[0:1], 0x94
	s_waitcnt lgkmcnt(0)
	s_barrier
	ds_read2_b32 v[56:57], v37 offset1:16
	ds_read2_b32 v[58:59], v37 offset0:32 offset1:48
	ds_read2_b32 v[60:61], v37 offset0:64 offset1:80
	;; [unrolled: 1-line block ×3, first 2 shown]
	s_waitcnt lgkmcnt(0)
	v_max3_f32 v55, v56, s43, v57
	v_max3_f32 v55, v55, v58, v59
	v_sub_f32_e32 v56, v56, v55
	v_mul_f32_e32 v56, 0x3fb8aa3b, v56
	v_exp_f32_e32 v64, v56
	v_sub_f32_e32 v56, v57, v55
	v_mul_f32_e32 v56, 0x3fb8aa3b, v56
	v_exp_f32_e32 v57, v56
	v_sub_f32_e32 v56, v58, v55
	v_mul_f32_e32 v56, 0x3fb8aa3b, v56
	v_sub_f32_e32 v37, v59, v55
	v_exp_f32_e32 v58, v56
	v_mul_f32_e32 v37, 0x3fb8aa3b, v37
	v_exp_f32_e32 v37, v37
	v_fma_f32 v56, v64, v60, 0
	v_fmac_f32_e32 v56, v57, v61
	v_fmac_f32_e32 v56, v58, v62
	;; [unrolled: 1-line block ×3, first 2 shown]
	v_add_f32_e32 v59, 0x358637bd, v56
	v_div_scale_f32 v60, s[4:5], v59, v59, 1.0
	v_rcp_f32_e32 v61, v60
	s_barrier
	s_mul_i32 s7, s29, 14
	v_fma_f32 v62, -v60, v61, 1.0
	v_fmac_f32_e32 v61, v62, v61
	v_div_scale_f32 v62, vcc, 1.0, v59, 1.0
	v_mul_f32_e32 v63, v62, v61
	v_fma_f32 v65, -v60, v63, v62
	v_fmac_f32_e32 v63, v65, v61
	v_fma_f32 v60, -v60, v63, v62
	v_div_fmas_f32 v60, v60, v61, v63
	v_cmp_eq_u32_e32 vcc, 1, v1
	v_div_fixup_f32 v59, v60, v59, 1.0
	s_nop 0
	v_cndmask_b32_e32 v57, v64, v57, vcc
	v_cmp_eq_u32_e32 vcc, 2, v1
	s_nop 1
	v_cndmask_b32_e32 v57, v57, v58, vcc
	v_cmp_eq_u32_e32 vcc, 3, v1
	v_lshlrev_b32_e32 v1, 11, v1
	s_nop 0
	v_cndmask_b32_e32 v37, v57, v37, vcc
	v_mul_f32_e32 v58, v37, v59
	v_pk_mul_f32 v[50:51], v[58:59], v[50:51] op_sel_hi:[0,1]
	v_pk_mul_f32 v[40:41], v[58:59], v[40:41] op_sel_hi:[0,1]
	v_cvt_f16_f32_e32 v37, v40
	v_cvt_f16_f32_e32 v40, v41
	;; [unrolled: 1-line block ×4, first 2 shown]
	v_pk_mul_f32 v[52:53], v[58:59], v[52:53] op_sel_hi:[0,1]
	v_pk_mul_f32 v[42:43], v[58:59], v[42:43] op_sel_hi:[0,1]
	v_pack_b32_f16 v50, v37, v40
	v_pack_b32_f16 v51, v41, v51
	v_cvt_f16_f32_e32 v41, v42
	v_cvt_f16_f32_e32 v42, v43
	;; [unrolled: 1-line block ×4, first 2 shown]
	v_lshlrev_b32_e32 v37, 3, v54
	v_lshlrev_b32_e32 v40, 5, v36
	v_or3_b32 v1, v1, v40, v37
	v_pack_b32_f16 v42, v41, v42
	v_pack_b32_f16 v43, v43, v52
	ds_write2st64_b64 v1, v[50:51], v[42:43] offset1:1
	v_pk_mul_f32 v[42:43], v[58:59], v[46:47] op_sel_hi:[0,1]
	v_pk_mul_f32 v[46:47], v[58:59], v[48:49] op_sel_hi:[0,1]
	v_cvt_f16_f32_e32 v37, v46
	v_cvt_f16_f32_e32 v41, v47
	;; [unrolled: 1-line block ×4, first 2 shown]
	v_pk_mul_f32 v[38:39], v[58:59], v[38:39] op_sel_hi:[0,1]
	v_pk_mul_f32 v[42:43], v[58:59], v[44:45] op_sel_hi:[0,1]
	v_cvt_f16_f32_e32 v42, v42
	v_cvt_f16_f32_e32 v43, v43
	;; [unrolled: 1-line block ×4, first 2 shown]
	v_pack_b32_f16 v38, v37, v41
	v_pack_b32_f16 v39, v46, v47
	v_pack_b32_f16 v42, v42, v43
	v_pack_b32_f16 v43, v44, v45
	v_cmp_gt_u32_e32 vcc, 14, v0
	ds_write2st64_b64 v1, v[38:39], v[42:43] offset0:2 offset1:3
	s_and_saveexec_b64 s[4:5], vcc
	s_cbranch_execz .LBB145_17
; %bb.16:
	s_mov_b32 s43, 0
	v_mov_b32_e32 v37, 0
	v_lshl_add_u64 v[38:39], s[42:43], 0, v[36:37]
	v_mov_b32_e32 v36, s7
	v_mad_u64_u32 v[38:39], s[12:13], s2, v36, v[38:39]
	v_mov_b32_e32 v36, s28
	s_load_dwordx4 s[8:11], s[0:1], 0x58
	s_mul_i32 s3, s3, s7
	v_mad_u64_u32 v[36:37], s[12:13], v38, s6, v[36:37]
	v_add_u32_e32 v39, s3, v39
	v_mov_b32_e32 v38, v37
	v_mad_u64_u32 v[38:39], s[12:13], v39, s6, v[38:39]
	v_mov_b32_e32 v37, v38
	v_lshlrev_b64 v[36:37], 2, v[36:37]
	s_waitcnt lgkmcnt(0)
	v_lshl_add_u64 v[38:39], s[10:11], 0, v[36:37]
	v_lshl_add_u64 v[36:37], s[8:9], 0, v[36:37]
	global_store_dword v[38:39], v55, off
	global_store_dword v[36:37], v56, off
.LBB145_17:
	s_or_b64 exec, exec, s[4:5]
	v_lshl_or_b32 v48, v54, 9, v40
	s_waitcnt lgkmcnt(0)
	s_barrier
	ds_read_b128 v[36:39], v48
	ds_read_b128 v[40:43], v48 offset:16
	s_waitcnt vmcnt(7) lgkmcnt(1)
	v_mfma_f32_16x16x16_f16 v[44:47], v[6:7], v[36:37], 0
	v_cmp_gt_u32_e32 vcc, 64, v0
	s_mov_b32 s3, 0
	s_and_b64 s[4:5], vcc, s[30:31]
	v_mfma_f32_16x16x16_f16 v[6:9], v[8:9], v[38:39], v[44:47]
	s_waitcnt vmcnt(6) lgkmcnt(0)
	v_mfma_f32_16x16x16_f16 v[6:9], v[2:3], v[40:41], v[6:9]
	v_mfma_f32_16x16x16_f16 v[2:5], v[4:5], v[42:43], v[6:9]
	s_nop 5
	ds_read_b128 v[6:9], v48 offset:2048
	ds_read_b128 v[36:39], v48 offset:2064
	s_waitcnt vmcnt(5) lgkmcnt(1)
	v_mfma_f32_16x16x16_f16 v[2:5], v[30:31], v[6:7], v[2:5]
	v_mfma_f32_16x16x16_f16 v[2:5], v[32:33], v[8:9], v[2:5]
	s_waitcnt vmcnt(4) lgkmcnt(0)
	v_mfma_f32_16x16x16_f16 v[2:5], v[26:27], v[36:37], v[2:5]
	v_mfma_f32_16x16x16_f16 v[2:5], v[28:29], v[38:39], v[2:5]
	ds_read_b128 v[6:9], v48 offset:4096
	ds_read_b128 v[26:29], v48 offset:4112
	s_waitcnt vmcnt(3) lgkmcnt(1)
	v_mfma_f32_16x16x16_f16 v[2:5], v[22:23], v[6:7], v[2:5]
	v_mfma_f32_16x16x16_f16 v[2:5], v[24:25], v[8:9], v[2:5]
	s_waitcnt vmcnt(2) lgkmcnt(0)
	v_mfma_f32_16x16x16_f16 v[2:5], v[18:19], v[26:27], v[2:5]
	v_mfma_f32_16x16x16_f16 v[2:5], v[20:21], v[28:29], v[2:5]
	ds_read_b128 v[6:9], v48 offset:6144
	ds_read_b128 v[18:21], v48 offset:6160
	s_waitcnt lgkmcnt(0)
	s_barrier
	s_waitcnt vmcnt(1)
	v_mfma_f32_16x16x16_f16 v[2:5], v[14:15], v[6:7], v[2:5]
	v_mfma_f32_16x16x16_f16 v[2:5], v[16:17], v[8:9], v[2:5]
	s_waitcnt vmcnt(0)
	v_mfma_f32_16x16x16_f16 v[2:5], v[10:11], v[18:19], v[2:5]
	v_mfma_f32_16x16x16_f16 v[2:5], v[12:13], v[20:21], v[2:5]
	s_nop 6
	v_cvt_f16_f32_e32 v2, v2
	v_cvt_f16_f32_e32 v3, v3
	;; [unrolled: 1-line block ×4, first 2 shown]
	v_pack_b32_f16 v2, v2, v3
	v_pack_b32_f16 v3, v4, v5
	ds_write_b64 v1, v[2:3]
	s_waitcnt lgkmcnt(0)
	s_barrier
	s_and_saveexec_b64 s[8:9], s[4:5]
	s_cbranch_execz .LBB145_20
; %bb.18:
	s_load_dwordx2 s[4:5], s[0:1], 0x68
	s_lshl_b32 s0, s6, 6
	s_mul_i32 s1, s7, s2
	s_mul_hi_u32 s7, s1, s0
	s_mul_i32 s6, s1, s0
	v_lshlrev_b32_e32 v1, 10, v0
	v_lshlrev_b32_e32 v0, 4, v0
	s_lshl_b64 s[6:7], s[6:7], 1
	v_and_b32_e32 v1, 0x1800, v1
	v_lshlrev_b32_e32 v2, 5, v54
	v_and_b32_e32 v0, 16, v0
	s_waitcnt lgkmcnt(0)
	s_add_u32 s1, s4, s6
	v_or3_b32 v2, v1, v2, v0
	s_addc_u32 s4, s5, s7
	s_lshl_b32 s2, s28, 6
	ds_read_b128 v[4:7], v2 offset:256
	s_lshl_b64 s[2:3], s[2:3], 1
	ds_read_b128 v[8:11], v2 offset:128
	ds_read_b128 v[12:15], v2
	s_add_u32 s2, s1, s2
	s_addc_u32 s3, s4, s3
	v_add_u32_e32 v18, s42, v54
	v_lshl_add_u64 v[0:1], v[34:35], 1, s[2:3]
	v_mad_u64_u32 v[16:17], s[2:3], v18, s0, 0
	v_lshl_add_u64 v[16:17], v[16:17], 1, v[0:1]
	s_waitcnt lgkmcnt(0)
	global_store_dwordx4 v[16:17], v[12:15], off
	v_or_b32_e32 v3, 12, v54
	v_cmp_gt_u32_e32 vcc, 14, v3
	v_add_u32_e32 v12, 4, v18
	v_mad_u64_u32 v[12:13], s[2:3], v12, s0, 0
	v_lshl_add_u64 v[12:13], v[12:13], 1, v[0:1]
	global_store_dwordx4 v[12:13], v[8:11], off
	s_nop 1
	v_add_u32_e32 v8, 8, v18
	v_mad_u64_u32 v[8:9], s[2:3], v8, s0, 0
	v_lshl_add_u64 v[8:9], v[8:9], 1, v[0:1]
	global_store_dwordx4 v[8:9], v[4:7], off
	s_and_b64 exec, exec, vcc
	s_cbranch_execz .LBB145_20
; %bb.19:
	ds_read_b128 v[4:7], v2 offset:384
	v_add_u32_e32 v2, s42, v3
	v_mad_u64_u32 v[2:3], s[0:1], v2, s0, 0
	v_lshl_add_u64 v[0:1], v[2:3], 1, v[0:1]
	s_waitcnt lgkmcnt(0)
	global_store_dwordx4 v[0:1], v[4:7], off
.LBB145_20:
	s_endpgm
	.section	.rodata,"a",@progbits
	.p2align	6, 0x0
	.amdhsa_kernel _Z39paged_attention_ll4mi_QKV_mfma16_kernelIDF16_DF16_LN4vllm18Fp8KVCacheDataTypeE0EhLi32ELi64ELi256ELb0ELi14EEvPKT_PKT0_S7_ifPKiS9_S9_iPKfiiiPfSC_PS2_PT2_iSB_SB_
		.amdhsa_group_segment_fixed_size 8192
		.amdhsa_private_segment_fixed_size 0
		.amdhsa_kernarg_size 400
		.amdhsa_user_sgpr_count 2
		.amdhsa_user_sgpr_dispatch_ptr 0
		.amdhsa_user_sgpr_queue_ptr 0
		.amdhsa_user_sgpr_kernarg_segment_ptr 1
		.amdhsa_user_sgpr_dispatch_id 0
		.amdhsa_user_sgpr_kernarg_preload_length 0
		.amdhsa_user_sgpr_kernarg_preload_offset 0
		.amdhsa_user_sgpr_private_segment_size 0
		.amdhsa_uses_dynamic_stack 0
		.amdhsa_enable_private_segment 0
		.amdhsa_system_sgpr_workgroup_id_x 1
		.amdhsa_system_sgpr_workgroup_id_y 1
		.amdhsa_system_sgpr_workgroup_id_z 1
		.amdhsa_system_sgpr_workgroup_info 0
		.amdhsa_system_vgpr_workitem_id 0
		.amdhsa_next_free_vgpr 67
		.amdhsa_next_free_sgpr 48
		.amdhsa_accum_offset 68
		.amdhsa_reserve_vcc 1
		.amdhsa_float_round_mode_32 0
		.amdhsa_float_round_mode_16_64 0
		.amdhsa_float_denorm_mode_32 3
		.amdhsa_float_denorm_mode_16_64 3
		.amdhsa_dx10_clamp 1
		.amdhsa_ieee_mode 1
		.amdhsa_fp16_overflow 0
		.amdhsa_tg_split 0
		.amdhsa_exception_fp_ieee_invalid_op 0
		.amdhsa_exception_fp_denorm_src 0
		.amdhsa_exception_fp_ieee_div_zero 0
		.amdhsa_exception_fp_ieee_overflow 0
		.amdhsa_exception_fp_ieee_underflow 0
		.amdhsa_exception_fp_ieee_inexact 0
		.amdhsa_exception_int_div_zero 0
	.end_amdhsa_kernel
	.section	.text._Z39paged_attention_ll4mi_QKV_mfma16_kernelIDF16_DF16_LN4vllm18Fp8KVCacheDataTypeE0EhLi32ELi64ELi256ELb0ELi14EEvPKT_PKT0_S7_ifPKiS9_S9_iPKfiiiPfSC_PS2_PT2_iSB_SB_,"axG",@progbits,_Z39paged_attention_ll4mi_QKV_mfma16_kernelIDF16_DF16_LN4vllm18Fp8KVCacheDataTypeE0EhLi32ELi64ELi256ELb0ELi14EEvPKT_PKT0_S7_ifPKiS9_S9_iPKfiiiPfSC_PS2_PT2_iSB_SB_,comdat
.Lfunc_end145:
	.size	_Z39paged_attention_ll4mi_QKV_mfma16_kernelIDF16_DF16_LN4vllm18Fp8KVCacheDataTypeE0EhLi32ELi64ELi256ELb0ELi14EEvPKT_PKT0_S7_ifPKiS9_S9_iPKfiiiPfSC_PS2_PT2_iSB_SB_, .Lfunc_end145-_Z39paged_attention_ll4mi_QKV_mfma16_kernelIDF16_DF16_LN4vllm18Fp8KVCacheDataTypeE0EhLi32ELi64ELi256ELb0ELi14EEvPKT_PKT0_S7_ifPKiS9_S9_iPKfiiiPfSC_PS2_PT2_iSB_SB_
                                        ; -- End function
	.section	.AMDGPU.csdata,"",@progbits
; Kernel info:
; codeLenInByte = 3956
; NumSgprs: 54
; NumVgprs: 67
; NumAgprs: 0
; TotalNumVgprs: 67
; ScratchSize: 0
; MemoryBound: 0
; FloatMode: 240
; IeeeMode: 1
; LDSByteSize: 8192 bytes/workgroup (compile time only)
; SGPRBlocks: 6
; VGPRBlocks: 8
; NumSGPRsForWavesPerEU: 54
; NumVGPRsForWavesPerEU: 67
; AccumOffset: 68
; Occupancy: 7
; WaveLimiterHint : 1
; COMPUTE_PGM_RSRC2:SCRATCH_EN: 0
; COMPUTE_PGM_RSRC2:USER_SGPR: 2
; COMPUTE_PGM_RSRC2:TRAP_HANDLER: 0
; COMPUTE_PGM_RSRC2:TGID_X_EN: 1
; COMPUTE_PGM_RSRC2:TGID_Y_EN: 1
; COMPUTE_PGM_RSRC2:TGID_Z_EN: 1
; COMPUTE_PGM_RSRC2:TIDIG_COMP_CNT: 0
; COMPUTE_PGM_RSRC3_GFX90A:ACCUM_OFFSET: 16
; COMPUTE_PGM_RSRC3_GFX90A:TG_SPLIT: 0
	.section	.text._Z39paged_attention_ll4mi_QKV_mfma16_kernelIDF16_DF16_LN4vllm18Fp8KVCacheDataTypeE0EhLi32ELi64ELi256ELb0ELi15EEvPKT_PKT0_S7_ifPKiS9_S9_iPKfiiiPfSC_PS2_PT2_iSB_SB_,"axG",@progbits,_Z39paged_attention_ll4mi_QKV_mfma16_kernelIDF16_DF16_LN4vllm18Fp8KVCacheDataTypeE0EhLi32ELi64ELi256ELb0ELi15EEvPKT_PKT0_S7_ifPKiS9_S9_iPKfiiiPfSC_PS2_PT2_iSB_SB_,comdat
	.protected	_Z39paged_attention_ll4mi_QKV_mfma16_kernelIDF16_DF16_LN4vllm18Fp8KVCacheDataTypeE0EhLi32ELi64ELi256ELb0ELi15EEvPKT_PKT0_S7_ifPKiS9_S9_iPKfiiiPfSC_PS2_PT2_iSB_SB_ ; -- Begin function _Z39paged_attention_ll4mi_QKV_mfma16_kernelIDF16_DF16_LN4vllm18Fp8KVCacheDataTypeE0EhLi32ELi64ELi256ELb0ELi15EEvPKT_PKT0_S7_ifPKiS9_S9_iPKfiiiPfSC_PS2_PT2_iSB_SB_
	.globl	_Z39paged_attention_ll4mi_QKV_mfma16_kernelIDF16_DF16_LN4vllm18Fp8KVCacheDataTypeE0EhLi32ELi64ELi256ELb0ELi15EEvPKT_PKT0_S7_ifPKiS9_S9_iPKfiiiPfSC_PS2_PT2_iSB_SB_
	.p2align	8
	.type	_Z39paged_attention_ll4mi_QKV_mfma16_kernelIDF16_DF16_LN4vllm18Fp8KVCacheDataTypeE0EhLi32ELi64ELi256ELb0ELi15EEvPKT_PKT0_S7_ifPKiS9_S9_iPKfiiiPfSC_PS2_PT2_iSB_SB_,@function
_Z39paged_attention_ll4mi_QKV_mfma16_kernelIDF16_DF16_LN4vllm18Fp8KVCacheDataTypeE0EhLi32ELi64ELi256ELb0ELi15EEvPKT_PKT0_S7_ifPKiS9_S9_iPKfiiiPfSC_PS2_PT2_iSB_SB_: ; @_Z39paged_attention_ll4mi_QKV_mfma16_kernelIDF16_DF16_LN4vllm18Fp8KVCacheDataTypeE0EhLi32ELi64ELi256ELb0ELi15EEvPKT_PKT0_S7_ifPKiS9_S9_iPKfiiiPfSC_PS2_PT2_iSB_SB_
; %bb.0:
	s_load_dwordx2 s[6:7], s[0:1], 0x30
	s_mov_b32 s28, s3
	s_mov_b64 s[10:11], 0
	s_waitcnt lgkmcnt(0)
	s_cmp_lg_u64 s[6:7], 0
	s_cselect_b64 s[8:9], -1, 0
	s_and_b64 vcc, exec, s[8:9]
	s_cbranch_vccz .LBB146_7
; %bb.1:
	s_add_i32 s12, s2, 1
	s_mov_b32 s13, 0
	s_lshl_b64 s[14:15], s[12:13], 2
	s_add_u32 s14, s6, s14
	s_mov_b32 s3, s13
	s_addc_u32 s15, s7, s15
	s_lshl_b64 s[12:13], s[2:3], 2
	s_add_u32 s12, s6, s12
	s_addc_u32 s13, s7, s13
	s_load_dword s5, s[14:15], 0x0
	s_load_dword s16, s[12:13], 0x0
	s_waitcnt lgkmcnt(0)
	s_sub_i32 s5, s5, s16
	s_cmp_eq_u32 s5, 1
	s_cselect_b64 s[12:13], -1, 0
	s_andn2_b64 vcc, exec, s[10:11]
	s_cbranch_vccnz .LBB146_3
.LBB146_2:
	s_mov_b32 s3, 0
	s_mov_b64 s[12:13], -1
.LBB146_3:
	s_andn2_b64 vcc, exec, s[12:13]
	s_cbranch_vccnz .LBB146_20
; %bb.4:
	s_load_dwordx2 s[12:13], s[0:1], 0x28
	s_lshl_b64 s[10:11], s[2:3], 2
	s_waitcnt lgkmcnt(0)
	s_add_u32 s12, s12, s10
	s_addc_u32 s13, s13, s11
	s_load_dword s33, s[12:13], 0x0
	s_lshl_b32 s14, s28, 8
	s_waitcnt lgkmcnt(0)
	s_cmp_ge_i32 s14, s33
	s_cbranch_scc1 .LBB146_20
; %bb.5:
	s_load_dwordx2 s[12:13], s[0:1], 0x20
	s_load_dword s5, s[0:1], 0x38
	s_add_i32 s15, s33, 31
	s_ashr_i32 s16, s15, 31
	v_and_b32_e32 v1, 0xcf, v0
	s_lshr_b32 s16, s16, 27
	v_add_u32_e32 v1, s14, v1
	s_add_i32 s15, s15, s16
	v_ashrrev_i32_e32 v2, 31, v1
	s_ashr_i32 s15, s15, 5
	v_lshrrev_b32_e32 v6, 27, v2
	s_add_i32 s15, s15, -1
	s_waitcnt lgkmcnt(0)
	s_mul_i32 s16, s2, s5
	s_mov_b32 s17, 0
	v_add_u32_e32 v2, v1, v6
	s_lshl_b64 s[16:17], s[16:17], 2
	v_ashrrev_i32_e32 v2, 5, v2
	v_mov_b32_e32 v7, s15
	v_cmp_gt_i32_e32 vcc, s33, v1
	s_add_u32 s12, s12, s16
	s_addc_u32 s13, s13, s17
	v_cndmask_b32_e32 v2, v7, v2, vcc
	v_ashrrev_i32_e32 v3, 31, v2
	v_lshl_add_u64 v[4:5], v[2:3], 2, s[12:13]
	v_or_b32_e32 v2, 16, v1
	v_add_u32_e32 v3, v2, v6
	v_ashrrev_i32_e32 v3, 5, v3
	v_cmp_gt_i32_e32 vcc, s33, v2
	s_nop 1
	v_cndmask_b32_e32 v2, v7, v3, vcc
	v_ashrrev_i32_e32 v3, 31, v2
	v_lshl_add_u64 v[8:9], v[2:3], 2, s[12:13]
	v_or_b32_e32 v2, 32, v1
	v_add_u32_e32 v3, v2, v6
	v_ashrrev_i32_e32 v3, 5, v3
	v_cmp_gt_i32_e32 vcc, s33, v2
	v_or_b32_e32 v1, 48, v1
	s_nop 0
	v_cndmask_b32_e32 v2, v7, v3, vcc
	v_ashrrev_i32_e32 v3, 31, v2
	v_lshl_add_u64 v[12:13], v[2:3], 2, s[12:13]
	v_add_u32_e32 v2, v1, v6
	v_ashrrev_i32_e32 v2, 5, v2
	v_cmp_gt_i32_e32 vcc, s33, v1
	s_nop 1
	v_cndmask_b32_e32 v2, v7, v2, vcc
	v_ashrrev_i32_e32 v3, 31, v2
	v_lshl_add_u64 v[14:15], v[2:3], 2, s[12:13]
	global_load_dword v2, v[4:5], off
	global_load_dword v6, v[8:9], off
	;; [unrolled: 1-line block ×4, first 2 shown]
	s_andn2_b64 vcc, exec, s[8:9]
	s_cbranch_vccnz .LBB146_8
; %bb.6:
	s_add_u32 s6, s6, s10
	s_addc_u32 s7, s7, s11
	s_load_dword s5, s[6:7], 0x0
	s_branch .LBB146_9
.LBB146_7:
	s_mov_b64 s[12:13], 0
	s_branch .LBB146_2
.LBB146_8:
	s_mov_b32 s5, s2
.LBB146_9:
	s_load_dwordx4 s[8:11], s[0:1], 0x8
	s_load_dwordx4 s[44:47], s[0:1], 0x48
	v_lshrrev_b32_e32 v1, 6, v0
	v_bfe_u32 v54, v0, 4, 2
	v_lshl_or_b32 v3, v1, 2, v54
	v_and_b32_e32 v36, 15, v0
	v_cmp_lt_u32_e32 vcc, 14, v3
	v_cmp_lt_u32_e64 s[6:7], 7, v36
	v_lshlrev_b32_e32 v34, 3, v36
	v_cmp_gt_u32_e64 s[30:31], 8, v36
	s_or_b64 s[6:7], s[6:7], vcc
	s_and_saveexec_b64 s[16:17], s[6:7]
	s_xor_b64 s[6:7], exec, s[16:17]
; %bb.10:
	v_mov_b32_e32 v35, 0
                                        ; implicit-def: $vgpr3
; %bb.11:
	s_or_saveexec_b64 s[6:7], s[6:7]
	v_and_b32_e32 v37, 63, v0
	s_mul_i32 s42, s4, 15
	s_xor_b64 exec, exec, s[6:7]
	s_cbranch_execz .LBB146_13
; %bb.12:
	s_load_dwordx2 s[16:17], s[0:1], 0x0
	s_waitcnt lgkmcnt(0)
	s_ashr_i32 s18, s44, 31
	s_mul_hi_u32 s19, s5, s44
	s_mul_i32 s18, s5, s18
	s_add_i32 s19, s19, s18
	s_mul_i32 s18, s5, s44
	s_lshl_b64 s[18:19], s[18:19], 1
	s_add_u32 s16, s16, s18
	v_add_lshl_u32 v4, v3, s42, 6
	s_addc_u32 s17, s17, s19
	v_ashrrev_i32_e32 v5, 31, v4
	v_mov_b32_e32 v35, 0
	v_lshl_add_u64 v[4:5], v[4:5], 1, s[16:17]
	v_lshlrev_b32_e32 v8, 1, v34
	v_mov_b32_e32 v9, v35
	v_lshl_add_u64 v[4:5], v[4:5], 0, v[8:9]
	global_load_dwordx4 v[12:15], v[4:5], off
	v_and_b32_e32 v4, 3, v0
	v_lshlrev_b32_e32 v5, 9, v36
	v_lshlrev_b32_e32 v3, 5, v3
	;; [unrolled: 1-line block ×3, first 2 shown]
	v_and_b32_e32 v5, 0x1800, v5
	v_or3_b32 v3, v5, v4, v3
	s_waitcnt vmcnt(0)
	ds_write_b128 v3, v[12:15]
.LBB146_13:
	s_or_b64 exec, exec, s[6:7]
	s_waitcnt lgkmcnt(0)
	s_mov_b32 s5, 0
	s_mul_i32 s4, s4, s46
	s_lshl_b64 s[4:5], s[4:5], 1
	s_add_u32 s8, s8, s4
	s_addc_u32 s9, s9, s5
	s_waitcnt vmcnt(3)
	v_mad_i64_i32 v[2:3], s[16:17], v2, s45, 0
	v_lshl_add_u64 v[2:3], v[2:3], 1, s[8:9]
	v_lshlrev_b64 v[12:13], 1, v[34:35]
	v_mov_b32_e32 v39, 0
	v_lshlrev_b32_e32 v38, 9, v54
	v_lshl_add_u64 v[2:3], v[2:3], 0, v[12:13]
	v_lshl_add_u64 v[20:21], v[2:3], 0, v[38:39]
	s_load_dword s29, s[0:1], 0x98
	s_load_dword s6, s[0:1], 0x1c
	s_waitcnt lgkmcnt(0)
	s_barrier
	global_load_dwordx4 v[2:5], v[20:21], off
	s_waitcnt vmcnt(3)
	v_mad_i64_i32 v[6:7], s[16:17], v6, s45, 0
	v_mov_b32_e32 v8, 0x100
	v_lshl_add_u64 v[6:7], v[6:7], 1, s[8:9]
	v_lshl_or_b32 v40, v36, 4, v8
	v_mov_b32_e32 v41, v39
	v_lshl_add_u64 v[6:7], v[6:7], 0, v[40:41]
	v_lshl_add_u64 v[22:23], v[6:7], 0, v[38:39]
	global_load_dwordx4 v[6:9], v[22:23], off
	global_load_dwordx4 v[26:29], v[22:23], off offset:2048
	s_waitcnt vmcnt(4)
	v_mad_i64_i32 v[10:11], s[16:17], v10, s45, 0
	v_lshl_add_u64 v[10:11], v[10:11], 1, s[8:9]
	v_lshl_add_u64 v[10:11], v[10:11], 0, v[12:13]
	;; [unrolled: 1-line block ×3, first 2 shown]
	global_load_dwordx4 v[10:13], v[20:21], off offset:2048
	global_load_dwordx4 v[14:17], v[24:25], off
	global_load_dwordx4 v[30:33], v[24:25], off offset:2048
	s_waitcnt vmcnt(6)
	v_mad_i64_i32 v[42:43], s[16:17], v18, s45, 0
	v_cmp_ne_u32_e32 vcc, 15, v36
	v_lshl_add_u64 v[42:43], v[42:43], 1, s[8:9]
	v_lshl_add_u64 v[40:41], v[42:43], 0, v[40:41]
	v_cndmask_b32_e32 v19, 0, v36, vcc
	v_lshl_or_b32 v18, v19, 5, v38
	v_lshl_add_u64 v[40:41], v[40:41], 0, v[38:39]
	ds_read_b128 v[22:25], v18
	ds_read_b128 v[18:21], v18 offset:2048
	global_load_dwordx4 v[46:49], v[40:41], off
	global_load_dwordx4 v[60:63], v[40:41], off offset:2048
	s_ashr_i32 s7, s14, 31
	v_and_or_b32 v55, v0, 48, s14
	s_lshr_b32 s7, s7, 27
	v_add_u32_e32 v42, s7, v55
	v_mov_b32_e32 v64, s15
	v_or_b32_e32 v50, 64, v55
	v_ashrrev_i32_e32 v38, 5, v42
	v_cmp_gt_i32_e32 vcc, s33, v55
	v_add_u32_e32 v43, s7, v50
	v_ashrrev_i32_e32 v51, 5, v43
	v_cndmask_b32_e32 v42, v64, v38, vcc
	v_ashrrev_i32_e32 v43, 31, v42
	v_lshl_add_u64 v[42:43], v[42:43], 2, s[12:13]
	v_cmp_gt_i32_e32 vcc, s33, v50
	global_load_dword v65, v[42:43], off
	v_or_b32_e32 v41, 0x80, v55
	v_and_b32_e32 v38, 16, v0
	s_add_u32 s4, s10, s4
	v_lshlrev_b32_e32 v40, 6, v36
	s_addc_u32 s5, s11, s5
	v_lshlrev_b32_e32 v38, 1, v38
	s_mov_b32 s43, 0xff7fffff
	s_waitcnt vmcnt(8) lgkmcnt(1)
	v_mfma_f32_16x16x16_f16 v[42:45], v[2:3], v[22:23], 0
	v_cndmask_b32_e32 v2, v64, v51, vcc
	v_ashrrev_i32_e32 v3, 31, v2
	v_lshl_add_u64 v[2:3], v[2:3], 2, s[12:13]
	global_load_dword v66, v[2:3], off
	s_waitcnt vmcnt(8)
	v_mfma_f32_16x16x16_f16 v[50:53], v[6:7], v[22:23], 0
	v_cmp_gt_i32_e32 vcc, s33, v41
	v_mfma_f32_16x16x16_f16 v[2:5], v[4:5], v[24:25], v[42:45]
	v_mfma_f32_16x16x16_f16 v[6:9], v[8:9], v[24:25], v[50:53]
	s_nop 1
	v_or_b32_e32 v42, 0xc0, v55
	v_add_u32_e32 v43, s7, v41
	v_add_u32_e32 v44, s7, v42
	s_waitcnt vmcnt(6) lgkmcnt(0)
	v_mfma_f32_16x16x16_f16 v[2:5], v[10:11], v[18:19], v[2:5]
	v_ashrrev_i32_e32 v43, 5, v43
	v_ashrrev_i32_e32 v45, 5, v44
	v_cndmask_b32_e32 v44, v64, v43, vcc
	s_waitcnt vmcnt(5)
	v_mfma_f32_16x16x16_f16 v[56:59], v[14:15], v[22:23], 0
	v_cmp_gt_i32_e32 vcc, s33, v42
	v_lshl_add_u64 v[10:11], s[4:5], 0, v[38:39]
	v_lshl_or_b32 v38, v1, 10, v40
	v_mfma_f32_16x16x16_f16 v[6:9], v[26:27], v[18:19], v[6:9]
	v_cndmask_b32_e32 v26, v64, v45, vcc
	v_ashrrev_i32_e32 v45, 31, v44
	v_ashrrev_i32_e32 v27, 31, v26
	v_mfma_f32_16x16x16_f16 v[40:43], v[12:13], v[20:21], v[2:5]
	v_lshl_add_u64 v[10:11], v[10:11], 0, v[38:39]
	s_waitcnt vmcnt(0)
	v_mad_i64_i32 v[12:13], s[4:5], v66, s45, 0
	v_lshl_add_u64 v[2:3], v[44:45], 2, s[12:13]
	v_mfma_f32_16x16x16_f16 v[14:17], v[16:17], v[24:25], v[56:59]
	v_lshl_add_u64 v[4:5], v[26:27], 2, s[12:13]
	global_load_dword v55, v[2:3], off
	s_nop 0
	global_load_dword v58, v[4:5], off
	v_mad_i64_i32 v[2:3], s[4:5], v65, s45, 0
	v_mfma_f32_16x16x16_f16 v[14:17], v[30:31], v[18:19], v[14:17]
	v_lshl_add_u64 v[56:57], v[12:13], 1, v[10:11]
	v_pk_mul_f32 v[12:13], s[6:7], v[40:41] op_sel_hi:[0,1]
	v_pk_mul_f32 v[50:51], s[6:7], v[42:43] op_sel_hi:[0,1]
	v_mfma_f32_16x16x16_f16 v[14:17], v[32:33], v[20:21], v[14:17]
	v_lshl_add_u64 v[2:3], v[2:3], 1, v[10:11]
	v_mfma_f32_16x16x16_f16 v[30:33], v[46:47], v[22:23], 0
	v_mfma_f32_16x16x16_f16 v[22:25], v[48:49], v[24:25], v[30:33]
	s_nop 3
	v_pk_mul_f32 v[46:47], s[6:7], v[16:17] op_sel_hi:[0,1]
	v_pk_mul_f32 v[48:49], s[6:7], v[14:15] op_sel_hi:[0,1]
	v_mfma_f32_16x16x16_f16 v[22:25], v[60:61], v[18:19], v[22:25]
	v_mfma_f32_16x16x16_f16 v[14:17], v[62:63], v[20:21], v[22:25]
	;; [unrolled: 1-line block ×3, first 2 shown]
	s_nop 2
	global_load_dwordx4 v[6:9], v[2:3], off
	s_nop 0
	global_load_dwordx4 v[2:5], v[2:3], off offset:16
	v_pk_mul_f32 v[44:45], s[6:7], v[14:15] op_sel_hi:[0,1]
	v_and_b32_e32 v14, 0xc0, v0
	v_add_u32_e32 v14, s14, v14
	v_lshl_or_b32 v14, v54, 2, v14
	v_pk_mul_f32 v[38:39], s[6:7], v[16:17] op_sel_hi:[0,1]
	v_or_b32_e32 v17, 1, v14
	v_mov_b32_e32 v15, 0xff7fffff
	v_cmp_gt_i32_e64 s[4:5], s33, v14
	v_cmp_gt_i32_e64 s[34:35], s33, v17
	v_or_b32_e32 v18, 3, v14
	v_cndmask_b32_e64 v16, v15, v12, s[4:5]
	v_cndmask_b32_e64 v17, v15, v13, s[34:35]
	v_max3_f32 v16, v16, s43, v17
	v_or_b32_e32 v17, 2, v14
	v_cmp_gt_i32_e64 s[36:37], s33, v17
	v_cmp_gt_i32_e64 s[38:39], s33, v18
	v_pk_mul_f32 v[42:43], s[6:7], v[26:27] op_sel_hi:[0,1]
	v_cndmask_b32_e64 v17, v15, v50, s[36:37]
	v_cndmask_b32_e64 v18, v15, v51, s[38:39]
	v_max3_f32 v16, v16, v17, v18
	v_or_b32_e32 v17, 16, v14
	v_or_b32_e32 v18, 17, v14
	v_cmp_gt_i32_e64 s[24:25], s33, v17
	v_cmp_gt_i32_e64 s[26:27], s33, v18
	v_pk_mul_f32 v[52:53], s[6:7], v[28:29] op_sel_hi:[0,1]
	v_cndmask_b32_e64 v17, v15, v42, s[24:25]
	v_cndmask_b32_e64 v18, v15, v43, s[26:27]
	v_max3_f32 v16, v16, v17, v18
	v_or_b32_e32 v17, 18, v14
	v_or_b32_e32 v18, 19, v14
	v_cmp_gt_i32_e64 s[20:21], s33, v17
	v_cmp_gt_i32_e64 s[22:23], s33, v18
	global_load_dwordx4 v[30:33], v[56:57], off
	global_load_dwordx4 v[26:29], v[56:57], off offset:16
	v_cndmask_b32_e64 v17, v15, v52, s[20:21]
	v_cndmask_b32_e64 v18, v15, v53, s[22:23]
	v_max3_f32 v16, v16, v17, v18
	v_or_b32_e32 v17, 32, v14
	v_or_b32_e32 v18, 33, v14
	v_cmp_gt_i32_e64 s[16:17], s33, v17
	v_cmp_gt_i32_e64 s[18:19], s33, v18
	s_nop 0
	v_cndmask_b32_e64 v17, v15, v48, s[16:17]
	v_cndmask_b32_e64 v18, v15, v49, s[18:19]
	v_max3_f32 v16, v16, v17, v18
	v_or_b32_e32 v17, 34, v14
	v_or_b32_e32 v18, 35, v14
	v_cmp_gt_i32_e64 s[12:13], s33, v17
	v_cmp_gt_i32_e64 s[14:15], s33, v18
	s_nop 0
	;; [unrolled: 8-line block ×3, first 2 shown]
	v_cndmask_b32_e64 v17, v15, v44, s[8:9]
	v_cndmask_b32_e64 v18, v15, v45, s[10:11]
	v_max3_f32 v16, v16, v17, v18
	v_or_b32_e32 v17, 50, v14
	v_or_b32_e32 v14, 51, v14
	v_cmp_gt_i32_e32 vcc, s33, v17
	v_cmp_gt_i32_e64 s[6:7], s33, v14
	s_nop 0
	v_cndmask_b32_e32 v17, v15, v38, vcc
	v_cndmask_b32_e64 v14, v15, v39, s[6:7]
	v_max3_f32 v16, v16, v17, v14
	v_mbcnt_lo_u32_b32 v14, -1, 0
	v_mbcnt_hi_u32_b32 v17, -1, v14
	v_and_b32_e32 v14, 64, v17
	v_add_u32_e32 v18, 64, v14
	v_xor_b32_e32 v14, 32, v17
	v_cmp_lt_i32_e64 s[40:41], v14, v18
	s_nop 1
	v_cndmask_b32_e64 v14, v17, v14, s[40:41]
	v_lshlrev_b32_e32 v59, 2, v14
	ds_bpermute_b32 v19, v59, v16
	s_waitcnt vmcnt(5)
	v_mad_i64_i32 v[14:15], s[40:41], v55, s45, 0
	v_lshl_add_u64 v[14:15], v[14:15], 1, v[10:11]
	s_waitcnt lgkmcnt(0)
	v_max_f32_e32 v19, v19, v19
	v_max_f32_e32 v16, v16, v19
	v_xor_b32_e32 v19, 16, v17
	v_cmp_lt_i32_e64 s[40:41], v19, v18
	s_nop 1
	v_cndmask_b32_e64 v17, v17, v19, s[40:41]
	v_lshlrev_b32_e32 v57, 2, v17
	ds_bpermute_b32 v17, v57, v16
	global_load_dwordx4 v[22:25], v[14:15], off
	global_load_dwordx4 v[18:21], v[14:15], off offset:16
	s_waitcnt vmcnt(6)
	v_mad_i64_i32 v[14:15], s[40:41], v58, s45, 0
	v_lshl_add_u64 v[10:11], v[14:15], 1, v[10:11]
	s_waitcnt lgkmcnt(0)
	v_max_f32_e32 v14, v17, v17
	v_max_f32_e32 v55, v16, v14
	v_sub_f32_e32 v12, v12, v55
	v_mul_f32_e32 v12, 0x3fb8aa3b, v12
	v_exp_f32_e32 v40, v12
	v_sub_f32_e32 v12, v13, v55
	v_mul_f32_e32 v12, 0x3fb8aa3b, v12
	v_exp_f32_e32 v41, v12
	global_load_dwordx4 v[14:17], v[10:11], off
	s_nop 0
	global_load_dwordx4 v[10:13], v[10:11], off offset:16
	v_sub_f32_e32 v50, v50, v55
	v_mul_f32_e32 v50, 0x3fb8aa3b, v50
	v_sub_f32_e32 v51, v51, v55
	v_exp_f32_e32 v50, v50
	v_mul_f32_e32 v51, 0x3fb8aa3b, v51
	v_sub_f32_e32 v42, v42, v55
	v_exp_f32_e32 v51, v51
	v_mul_f32_e32 v42, 0x3fb8aa3b, v42
	v_sub_f32_e32 v43, v43, v55
	v_cndmask_b32_e64 v40, 0, v40, s[4:5]
	v_exp_f32_e32 v42, v42
	v_mul_f32_e32 v43, 0x3fb8aa3b, v43
	v_sub_f32_e32 v52, v52, v55
	v_add_f32_e32 v56, 0, v40
	v_cndmask_b32_e64 v41, 0, v41, s[34:35]
	v_exp_f32_e32 v43, v43
	v_mul_f32_e32 v52, 0x3fb8aa3b, v52
	v_sub_f32_e32 v53, v53, v55
	v_add_f32_e32 v56, v56, v41
	;; [unrolled: 5-line block ×10, first 2 shown]
	v_cndmask_b32_e64 v46, 0, v46, s[12:13]
	v_exp_f32_e32 v38, v38
	v_mul_f32_e32 v39, 0x3fb8aa3b, v39
	v_add_f32_e32 v56, v56, v46
	v_cndmask_b32_e64 v47, 0, v47, s[14:15]
	v_exp_f32_e32 v39, v39
	v_add_f32_e32 v56, v56, v47
	v_cndmask_b32_e64 v44, 0, v44, s[8:9]
	v_add_f32_e32 v56, v56, v44
	v_cndmask_b32_e64 v45, 0, v45, s[10:11]
	v_add_f32_e32 v56, v56, v45
	v_cndmask_b32_e32 v38, 0, v38, vcc
	v_add_f32_e32 v56, v56, v38
	v_cndmask_b32_e64 v39, 0, v39, s[6:7]
	v_add_f32_e32 v56, v56, v39
	ds_bpermute_b32 v58, v59, v56
	v_cmp_gt_u32_e32 vcc, 16, v37
	v_lshlrev_b32_e32 v37, 2, v36
	s_waitcnt lgkmcnt(0)
	s_barrier
	v_add_f32_e32 v56, v56, v58
	ds_bpermute_b32 v57, v57, v56
	s_waitcnt lgkmcnt(0)
	s_and_saveexec_b64 s[4:5], vcc
	s_cbranch_execz .LBB146_15
; %bb.14:
	v_add_f32_e32 v56, v56, v57
	v_lshl_or_b32 v57, v1, 6, v37
	ds_write2st64_b32 v57, v55, v56 offset1:1
.LBB146_15:
	s_or_b64 exec, exec, s[4:5]
	s_load_dword s6, s[0:1], 0x94
	s_waitcnt lgkmcnt(0)
	s_barrier
	ds_read2_b32 v[56:57], v37 offset1:16
	ds_read2_b32 v[58:59], v37 offset0:32 offset1:48
	ds_read2_b32 v[60:61], v37 offset0:64 offset1:80
	;; [unrolled: 1-line block ×3, first 2 shown]
	s_waitcnt lgkmcnt(0)
	v_max3_f32 v55, v56, s43, v57
	v_max3_f32 v55, v55, v58, v59
	v_sub_f32_e32 v56, v56, v55
	v_mul_f32_e32 v56, 0x3fb8aa3b, v56
	v_exp_f32_e32 v64, v56
	v_sub_f32_e32 v56, v57, v55
	v_mul_f32_e32 v56, 0x3fb8aa3b, v56
	v_exp_f32_e32 v57, v56
	v_sub_f32_e32 v56, v58, v55
	v_mul_f32_e32 v56, 0x3fb8aa3b, v56
	v_sub_f32_e32 v37, v59, v55
	v_exp_f32_e32 v58, v56
	v_mul_f32_e32 v37, 0x3fb8aa3b, v37
	v_exp_f32_e32 v37, v37
	v_fma_f32 v56, v64, v60, 0
	v_fmac_f32_e32 v56, v57, v61
	v_fmac_f32_e32 v56, v58, v62
	;; [unrolled: 1-line block ×3, first 2 shown]
	v_add_f32_e32 v59, 0x358637bd, v56
	v_div_scale_f32 v60, s[4:5], v59, v59, 1.0
	v_rcp_f32_e32 v61, v60
	s_barrier
	s_mul_i32 s7, s29, 15
	v_fma_f32 v62, -v60, v61, 1.0
	v_fmac_f32_e32 v61, v62, v61
	v_div_scale_f32 v62, vcc, 1.0, v59, 1.0
	v_mul_f32_e32 v63, v62, v61
	v_fma_f32 v65, -v60, v63, v62
	v_fmac_f32_e32 v63, v65, v61
	v_fma_f32 v60, -v60, v63, v62
	v_div_fmas_f32 v60, v60, v61, v63
	v_cmp_eq_u32_e32 vcc, 1, v1
	v_div_fixup_f32 v59, v60, v59, 1.0
	s_nop 0
	v_cndmask_b32_e32 v57, v64, v57, vcc
	v_cmp_eq_u32_e32 vcc, 2, v1
	s_nop 1
	v_cndmask_b32_e32 v57, v57, v58, vcc
	v_cmp_eq_u32_e32 vcc, 3, v1
	v_lshlrev_b32_e32 v1, 11, v1
	s_nop 0
	v_cndmask_b32_e32 v37, v57, v37, vcc
	v_mul_f32_e32 v58, v37, v59
	v_pk_mul_f32 v[50:51], v[58:59], v[50:51] op_sel_hi:[0,1]
	v_pk_mul_f32 v[40:41], v[58:59], v[40:41] op_sel_hi:[0,1]
	v_cvt_f16_f32_e32 v37, v40
	v_cvt_f16_f32_e32 v40, v41
	;; [unrolled: 1-line block ×4, first 2 shown]
	v_pk_mul_f32 v[52:53], v[58:59], v[52:53] op_sel_hi:[0,1]
	v_pk_mul_f32 v[42:43], v[58:59], v[42:43] op_sel_hi:[0,1]
	v_pack_b32_f16 v50, v37, v40
	v_pack_b32_f16 v51, v41, v51
	v_cvt_f16_f32_e32 v41, v42
	v_cvt_f16_f32_e32 v42, v43
	;; [unrolled: 1-line block ×4, first 2 shown]
	v_lshlrev_b32_e32 v37, 3, v54
	v_lshlrev_b32_e32 v40, 5, v36
	v_or3_b32 v1, v1, v40, v37
	v_pack_b32_f16 v42, v41, v42
	v_pack_b32_f16 v43, v43, v52
	ds_write2st64_b64 v1, v[50:51], v[42:43] offset1:1
	v_pk_mul_f32 v[42:43], v[58:59], v[46:47] op_sel_hi:[0,1]
	v_pk_mul_f32 v[46:47], v[58:59], v[48:49] op_sel_hi:[0,1]
	v_cvt_f16_f32_e32 v37, v46
	v_cvt_f16_f32_e32 v41, v47
	;; [unrolled: 1-line block ×4, first 2 shown]
	v_pk_mul_f32 v[38:39], v[58:59], v[38:39] op_sel_hi:[0,1]
	v_pk_mul_f32 v[42:43], v[58:59], v[44:45] op_sel_hi:[0,1]
	v_cvt_f16_f32_e32 v42, v42
	v_cvt_f16_f32_e32 v43, v43
	;; [unrolled: 1-line block ×4, first 2 shown]
	v_pack_b32_f16 v38, v37, v41
	v_pack_b32_f16 v39, v46, v47
	;; [unrolled: 1-line block ×4, first 2 shown]
	v_cmp_gt_u32_e32 vcc, 15, v0
	ds_write2st64_b64 v1, v[38:39], v[42:43] offset0:2 offset1:3
	s_and_saveexec_b64 s[4:5], vcc
	s_cbranch_execz .LBB146_17
; %bb.16:
	s_mov_b32 s43, 0
	v_mov_b32_e32 v37, 0
	v_lshl_add_u64 v[38:39], s[42:43], 0, v[36:37]
	v_mov_b32_e32 v36, s7
	v_mad_u64_u32 v[38:39], s[12:13], s2, v36, v[38:39]
	v_mov_b32_e32 v36, s28
	s_load_dwordx4 s[8:11], s[0:1], 0x58
	s_mul_i32 s3, s3, s7
	v_mad_u64_u32 v[36:37], s[12:13], v38, s6, v[36:37]
	v_add_u32_e32 v39, s3, v39
	v_mov_b32_e32 v38, v37
	v_mad_u64_u32 v[38:39], s[12:13], v39, s6, v[38:39]
	v_mov_b32_e32 v37, v38
	v_lshlrev_b64 v[36:37], 2, v[36:37]
	s_waitcnt lgkmcnt(0)
	v_lshl_add_u64 v[38:39], s[10:11], 0, v[36:37]
	v_lshl_add_u64 v[36:37], s[8:9], 0, v[36:37]
	global_store_dword v[38:39], v55, off
	global_store_dword v[36:37], v56, off
.LBB146_17:
	s_or_b64 exec, exec, s[4:5]
	v_lshl_or_b32 v48, v54, 9, v40
	s_waitcnt lgkmcnt(0)
	s_barrier
	ds_read_b128 v[36:39], v48
	ds_read_b128 v[40:43], v48 offset:16
	s_waitcnt vmcnt(7) lgkmcnt(1)
	v_mfma_f32_16x16x16_f16 v[44:47], v[6:7], v[36:37], 0
	v_cmp_gt_u32_e32 vcc, 64, v0
	s_mov_b32 s3, 0
	s_and_b64 s[4:5], vcc, s[30:31]
	v_mfma_f32_16x16x16_f16 v[6:9], v[8:9], v[38:39], v[44:47]
	s_waitcnt vmcnt(6) lgkmcnt(0)
	v_mfma_f32_16x16x16_f16 v[6:9], v[2:3], v[40:41], v[6:9]
	v_mfma_f32_16x16x16_f16 v[2:5], v[4:5], v[42:43], v[6:9]
	s_nop 5
	ds_read_b128 v[6:9], v48 offset:2048
	ds_read_b128 v[36:39], v48 offset:2064
	s_waitcnt vmcnt(5) lgkmcnt(1)
	v_mfma_f32_16x16x16_f16 v[2:5], v[30:31], v[6:7], v[2:5]
	v_mfma_f32_16x16x16_f16 v[2:5], v[32:33], v[8:9], v[2:5]
	s_waitcnt vmcnt(4) lgkmcnt(0)
	v_mfma_f32_16x16x16_f16 v[2:5], v[26:27], v[36:37], v[2:5]
	v_mfma_f32_16x16x16_f16 v[2:5], v[28:29], v[38:39], v[2:5]
	ds_read_b128 v[6:9], v48 offset:4096
	ds_read_b128 v[26:29], v48 offset:4112
	s_waitcnt vmcnt(3) lgkmcnt(1)
	v_mfma_f32_16x16x16_f16 v[2:5], v[22:23], v[6:7], v[2:5]
	v_mfma_f32_16x16x16_f16 v[2:5], v[24:25], v[8:9], v[2:5]
	s_waitcnt vmcnt(2) lgkmcnt(0)
	v_mfma_f32_16x16x16_f16 v[2:5], v[18:19], v[26:27], v[2:5]
	v_mfma_f32_16x16x16_f16 v[2:5], v[20:21], v[28:29], v[2:5]
	ds_read_b128 v[6:9], v48 offset:6144
	ds_read_b128 v[18:21], v48 offset:6160
	s_waitcnt lgkmcnt(0)
	s_barrier
	s_waitcnt vmcnt(1)
	v_mfma_f32_16x16x16_f16 v[2:5], v[14:15], v[6:7], v[2:5]
	v_mfma_f32_16x16x16_f16 v[2:5], v[16:17], v[8:9], v[2:5]
	s_waitcnt vmcnt(0)
	v_mfma_f32_16x16x16_f16 v[2:5], v[10:11], v[18:19], v[2:5]
	v_mfma_f32_16x16x16_f16 v[2:5], v[12:13], v[20:21], v[2:5]
	s_nop 6
	v_cvt_f16_f32_e32 v2, v2
	v_cvt_f16_f32_e32 v3, v3
	;; [unrolled: 1-line block ×4, first 2 shown]
	v_pack_b32_f16 v2, v2, v3
	v_pack_b32_f16 v3, v4, v5
	ds_write_b64 v1, v[2:3]
	s_waitcnt lgkmcnt(0)
	s_barrier
	s_and_saveexec_b64 s[8:9], s[4:5]
	s_cbranch_execz .LBB146_20
; %bb.18:
	s_load_dwordx2 s[4:5], s[0:1], 0x68
	s_lshl_b32 s0, s6, 6
	s_mul_i32 s1, s7, s2
	s_mul_hi_u32 s7, s1, s0
	s_mul_i32 s6, s1, s0
	v_lshlrev_b32_e32 v1, 10, v0
	v_lshlrev_b32_e32 v0, 4, v0
	s_lshl_b64 s[6:7], s[6:7], 1
	v_and_b32_e32 v1, 0x1800, v1
	v_lshlrev_b32_e32 v2, 5, v54
	v_and_b32_e32 v0, 16, v0
	s_waitcnt lgkmcnt(0)
	s_add_u32 s1, s4, s6
	v_or3_b32 v2, v1, v2, v0
	s_addc_u32 s4, s5, s7
	s_lshl_b32 s2, s28, 6
	ds_read_b128 v[4:7], v2 offset:256
	s_lshl_b64 s[2:3], s[2:3], 1
	ds_read_b128 v[8:11], v2 offset:128
	ds_read_b128 v[12:15], v2
	s_add_u32 s2, s1, s2
	s_addc_u32 s3, s4, s3
	v_add_u32_e32 v3, s42, v54
	v_lshl_add_u64 v[0:1], v[34:35], 1, s[2:3]
	v_mad_u64_u32 v[16:17], s[2:3], v3, s0, 0
	v_lshl_add_u64 v[16:17], v[16:17], 1, v[0:1]
	s_waitcnt lgkmcnt(0)
	global_store_dwordx4 v[16:17], v[12:15], off
	v_cmp_ne_u32_e32 vcc, 3, v54
	s_nop 0
	v_add_u32_e32 v12, 4, v3
	v_mad_u64_u32 v[12:13], s[2:3], v12, s0, 0
	v_lshl_add_u64 v[12:13], v[12:13], 1, v[0:1]
	v_add_u32_e32 v3, 8, v3
	global_store_dwordx4 v[12:13], v[8:11], off
	s_nop 1
	v_mad_u64_u32 v[8:9], s[2:3], v3, s0, 0
	v_lshl_add_u64 v[8:9], v[8:9], 1, v[0:1]
	global_store_dwordx4 v[8:9], v[4:7], off
	s_and_b64 exec, exec, vcc
	s_cbranch_execz .LBB146_20
; %bb.19:
	ds_read_b128 v[2:5], v2 offset:384
	v_add3_u32 v6, s42, v54, 12
	v_mad_u64_u32 v[6:7], s[0:1], v6, s0, 0
	v_lshl_add_u64 v[0:1], v[6:7], 1, v[0:1]
	s_waitcnt lgkmcnt(0)
	global_store_dwordx4 v[0:1], v[2:5], off
.LBB146_20:
	s_endpgm
	.section	.rodata,"a",@progbits
	.p2align	6, 0x0
	.amdhsa_kernel _Z39paged_attention_ll4mi_QKV_mfma16_kernelIDF16_DF16_LN4vllm18Fp8KVCacheDataTypeE0EhLi32ELi64ELi256ELb0ELi15EEvPKT_PKT0_S7_ifPKiS9_S9_iPKfiiiPfSC_PS2_PT2_iSB_SB_
		.amdhsa_group_segment_fixed_size 8192
		.amdhsa_private_segment_fixed_size 0
		.amdhsa_kernarg_size 400
		.amdhsa_user_sgpr_count 2
		.amdhsa_user_sgpr_dispatch_ptr 0
		.amdhsa_user_sgpr_queue_ptr 0
		.amdhsa_user_sgpr_kernarg_segment_ptr 1
		.amdhsa_user_sgpr_dispatch_id 0
		.amdhsa_user_sgpr_kernarg_preload_length 0
		.amdhsa_user_sgpr_kernarg_preload_offset 0
		.amdhsa_user_sgpr_private_segment_size 0
		.amdhsa_uses_dynamic_stack 0
		.amdhsa_enable_private_segment 0
		.amdhsa_system_sgpr_workgroup_id_x 1
		.amdhsa_system_sgpr_workgroup_id_y 1
		.amdhsa_system_sgpr_workgroup_id_z 1
		.amdhsa_system_sgpr_workgroup_info 0
		.amdhsa_system_vgpr_workitem_id 0
		.amdhsa_next_free_vgpr 67
		.amdhsa_next_free_sgpr 48
		.amdhsa_accum_offset 68
		.amdhsa_reserve_vcc 1
		.amdhsa_float_round_mode_32 0
		.amdhsa_float_round_mode_16_64 0
		.amdhsa_float_denorm_mode_32 3
		.amdhsa_float_denorm_mode_16_64 3
		.amdhsa_dx10_clamp 1
		.amdhsa_ieee_mode 1
		.amdhsa_fp16_overflow 0
		.amdhsa_tg_split 0
		.amdhsa_exception_fp_ieee_invalid_op 0
		.amdhsa_exception_fp_denorm_src 0
		.amdhsa_exception_fp_ieee_div_zero 0
		.amdhsa_exception_fp_ieee_overflow 0
		.amdhsa_exception_fp_ieee_underflow 0
		.amdhsa_exception_fp_ieee_inexact 0
		.amdhsa_exception_int_div_zero 0
	.end_amdhsa_kernel
	.section	.text._Z39paged_attention_ll4mi_QKV_mfma16_kernelIDF16_DF16_LN4vllm18Fp8KVCacheDataTypeE0EhLi32ELi64ELi256ELb0ELi15EEvPKT_PKT0_S7_ifPKiS9_S9_iPKfiiiPfSC_PS2_PT2_iSB_SB_,"axG",@progbits,_Z39paged_attention_ll4mi_QKV_mfma16_kernelIDF16_DF16_LN4vllm18Fp8KVCacheDataTypeE0EhLi32ELi64ELi256ELb0ELi15EEvPKT_PKT0_S7_ifPKiS9_S9_iPKfiiiPfSC_PS2_PT2_iSB_SB_,comdat
.Lfunc_end146:
	.size	_Z39paged_attention_ll4mi_QKV_mfma16_kernelIDF16_DF16_LN4vllm18Fp8KVCacheDataTypeE0EhLi32ELi64ELi256ELb0ELi15EEvPKT_PKT0_S7_ifPKiS9_S9_iPKfiiiPfSC_PS2_PT2_iSB_SB_, .Lfunc_end146-_Z39paged_attention_ll4mi_QKV_mfma16_kernelIDF16_DF16_LN4vllm18Fp8KVCacheDataTypeE0EhLi32ELi64ELi256ELb0ELi15EEvPKT_PKT0_S7_ifPKiS9_S9_iPKfiiiPfSC_PS2_PT2_iSB_SB_
                                        ; -- End function
	.section	.AMDGPU.csdata,"",@progbits
; Kernel info:
; codeLenInByte = 3936
; NumSgprs: 54
; NumVgprs: 67
; NumAgprs: 0
; TotalNumVgprs: 67
; ScratchSize: 0
; MemoryBound: 0
; FloatMode: 240
; IeeeMode: 1
; LDSByteSize: 8192 bytes/workgroup (compile time only)
; SGPRBlocks: 6
; VGPRBlocks: 8
; NumSGPRsForWavesPerEU: 54
; NumVGPRsForWavesPerEU: 67
; AccumOffset: 68
; Occupancy: 7
; WaveLimiterHint : 1
; COMPUTE_PGM_RSRC2:SCRATCH_EN: 0
; COMPUTE_PGM_RSRC2:USER_SGPR: 2
; COMPUTE_PGM_RSRC2:TRAP_HANDLER: 0
; COMPUTE_PGM_RSRC2:TGID_X_EN: 1
; COMPUTE_PGM_RSRC2:TGID_Y_EN: 1
; COMPUTE_PGM_RSRC2:TGID_Z_EN: 1
; COMPUTE_PGM_RSRC2:TIDIG_COMP_CNT: 0
; COMPUTE_PGM_RSRC3_GFX90A:ACCUM_OFFSET: 16
; COMPUTE_PGM_RSRC3_GFX90A:TG_SPLIT: 0
	.section	.text._Z39paged_attention_ll4mi_QKV_mfma16_kernelIDF16_DF16_LN4vllm18Fp8KVCacheDataTypeE0EhLi32ELi64ELi256ELb0ELi16EEvPKT_PKT0_S7_ifPKiS9_S9_iPKfiiiPfSC_PS2_PT2_iSB_SB_,"axG",@progbits,_Z39paged_attention_ll4mi_QKV_mfma16_kernelIDF16_DF16_LN4vllm18Fp8KVCacheDataTypeE0EhLi32ELi64ELi256ELb0ELi16EEvPKT_PKT0_S7_ifPKiS9_S9_iPKfiiiPfSC_PS2_PT2_iSB_SB_,comdat
	.protected	_Z39paged_attention_ll4mi_QKV_mfma16_kernelIDF16_DF16_LN4vllm18Fp8KVCacheDataTypeE0EhLi32ELi64ELi256ELb0ELi16EEvPKT_PKT0_S7_ifPKiS9_S9_iPKfiiiPfSC_PS2_PT2_iSB_SB_ ; -- Begin function _Z39paged_attention_ll4mi_QKV_mfma16_kernelIDF16_DF16_LN4vllm18Fp8KVCacheDataTypeE0EhLi32ELi64ELi256ELb0ELi16EEvPKT_PKT0_S7_ifPKiS9_S9_iPKfiiiPfSC_PS2_PT2_iSB_SB_
	.globl	_Z39paged_attention_ll4mi_QKV_mfma16_kernelIDF16_DF16_LN4vllm18Fp8KVCacheDataTypeE0EhLi32ELi64ELi256ELb0ELi16EEvPKT_PKT0_S7_ifPKiS9_S9_iPKfiiiPfSC_PS2_PT2_iSB_SB_
	.p2align	8
	.type	_Z39paged_attention_ll4mi_QKV_mfma16_kernelIDF16_DF16_LN4vllm18Fp8KVCacheDataTypeE0EhLi32ELi64ELi256ELb0ELi16EEvPKT_PKT0_S7_ifPKiS9_S9_iPKfiiiPfSC_PS2_PT2_iSB_SB_,@function
_Z39paged_attention_ll4mi_QKV_mfma16_kernelIDF16_DF16_LN4vllm18Fp8KVCacheDataTypeE0EhLi32ELi64ELi256ELb0ELi16EEvPKT_PKT0_S7_ifPKiS9_S9_iPKfiiiPfSC_PS2_PT2_iSB_SB_: ; @_Z39paged_attention_ll4mi_QKV_mfma16_kernelIDF16_DF16_LN4vllm18Fp8KVCacheDataTypeE0EhLi32ELi64ELi256ELb0ELi16EEvPKT_PKT0_S7_ifPKiS9_S9_iPKfiiiPfSC_PS2_PT2_iSB_SB_
; %bb.0:
	s_load_dwordx2 s[6:7], s[0:1], 0x30
	s_mov_b32 s28, s3
	s_mov_b64 s[10:11], 0
	s_waitcnt lgkmcnt(0)
	s_cmp_lg_u64 s[6:7], 0
	s_cselect_b64 s[8:9], -1, 0
	s_and_b64 vcc, exec, s[8:9]
	s_cbranch_vccz .LBB147_7
; %bb.1:
	s_add_i32 s12, s2, 1
	s_mov_b32 s13, 0
	s_lshl_b64 s[14:15], s[12:13], 2
	s_add_u32 s14, s6, s14
	s_mov_b32 s3, s13
	s_addc_u32 s15, s7, s15
	s_lshl_b64 s[12:13], s[2:3], 2
	s_add_u32 s12, s6, s12
	s_addc_u32 s13, s7, s13
	s_load_dword s5, s[14:15], 0x0
	s_load_dword s16, s[12:13], 0x0
	s_waitcnt lgkmcnt(0)
	s_sub_i32 s5, s5, s16
	s_cmp_eq_u32 s5, 1
	s_cselect_b64 s[12:13], -1, 0
	s_andn2_b64 vcc, exec, s[10:11]
	s_cbranch_vccnz .LBB147_3
.LBB147_2:
	s_mov_b32 s3, 0
	s_mov_b64 s[12:13], -1
.LBB147_3:
	s_andn2_b64 vcc, exec, s[12:13]
	s_cbranch_vccnz .LBB147_19
; %bb.4:
	s_load_dwordx2 s[12:13], s[0:1], 0x28
	s_lshl_b64 s[10:11], s[2:3], 2
	s_waitcnt lgkmcnt(0)
	s_add_u32 s12, s12, s10
	s_addc_u32 s13, s13, s11
	s_load_dword s40, s[12:13], 0x0
	s_lshl_b32 s14, s28, 8
	s_waitcnt lgkmcnt(0)
	s_cmp_ge_i32 s14, s40
	s_cbranch_scc1 .LBB147_19
; %bb.5:
	s_load_dwordx2 s[12:13], s[0:1], 0x20
	s_load_dword s5, s[0:1], 0x38
	s_add_i32 s15, s40, 31
	s_ashr_i32 s16, s15, 31
	v_and_b32_e32 v1, 0xcf, v0
	s_lshr_b32 s16, s16, 27
	v_add_u32_e32 v1, s14, v1
	s_add_i32 s15, s15, s16
	v_ashrrev_i32_e32 v2, 31, v1
	s_ashr_i32 s15, s15, 5
	v_lshrrev_b32_e32 v10, 27, v2
	s_add_i32 s15, s15, -1
	s_waitcnt lgkmcnt(0)
	s_mul_i32 s16, s2, s5
	s_mov_b32 s17, 0
	v_add_u32_e32 v2, v1, v10
	s_lshl_b64 s[16:17], s[16:17], 2
	v_ashrrev_i32_e32 v2, 5, v2
	v_mov_b32_e32 v11, s15
	v_cmp_gt_i32_e32 vcc, s40, v1
	s_add_u32 s12, s12, s16
	s_addc_u32 s13, s13, s17
	v_cndmask_b32_e32 v2, v11, v2, vcc
	v_ashrrev_i32_e32 v3, 31, v2
	v_lshl_add_u64 v[4:5], v[2:3], 2, s[12:13]
	v_or_b32_e32 v2, 16, v1
	v_add_u32_e32 v3, v2, v10
	v_ashrrev_i32_e32 v3, 5, v3
	v_cmp_gt_i32_e32 vcc, s40, v2
	s_nop 1
	v_cndmask_b32_e32 v2, v11, v3, vcc
	v_ashrrev_i32_e32 v3, 31, v2
	v_lshl_add_u64 v[6:7], v[2:3], 2, s[12:13]
	v_or_b32_e32 v2, 32, v1
	v_add_u32_e32 v3, v2, v10
	v_ashrrev_i32_e32 v3, 5, v3
	v_cmp_gt_i32_e32 vcc, s40, v2
	v_or_b32_e32 v1, 48, v1
	s_nop 0
	v_cndmask_b32_e32 v2, v11, v3, vcc
	v_ashrrev_i32_e32 v3, 31, v2
	v_lshl_add_u64 v[8:9], v[2:3], 2, s[12:13]
	v_add_u32_e32 v2, v1, v10
	v_ashrrev_i32_e32 v2, 5, v2
	v_cmp_gt_i32_e32 vcc, s40, v1
	s_nop 1
	v_cndmask_b32_e32 v2, v11, v2, vcc
	v_ashrrev_i32_e32 v3, 31, v2
	v_lshl_add_u64 v[12:13], v[2:3], 2, s[12:13]
	global_load_dword v3, v[4:5], off
	global_load_dword v2, v[6:7], off
	;; [unrolled: 1-line block ×4, first 2 shown]
	s_andn2_b64 vcc, exec, s[8:9]
	s_cbranch_vccnz .LBB147_8
; %bb.6:
	s_add_u32 s6, s6, s10
	s_addc_u32 s7, s7, s11
	s_load_dword s5, s[6:7], 0x0
	s_branch .LBB147_9
.LBB147_7:
	s_mov_b64 s[12:13], 0
	s_branch .LBB147_2
.LBB147_8:
	s_mov_b32 s5, s2
.LBB147_9:
	s_load_dwordx4 s[8:11], s[0:1], 0x8
	s_load_dwordx4 s[44:47], s[0:1], 0x48
	v_and_b32_e32 v53, 15, v0
	s_movk_i32 s6, 0xff
	v_cmp_lt_u32_e32 vcc, s6, v0
	v_cmp_lt_u32_e64 s[6:7], 7, v53
	v_lshlrev_b32_e32 v34, 3, v53
	v_cmp_gt_u32_e64 s[30:31], 8, v53
	s_or_b64 s[6:7], vcc, s[6:7]
	s_and_saveexec_b64 s[16:17], s[6:7]
	s_xor_b64 s[6:7], exec, s[16:17]
; %bb.10:
	v_mov_b32_e32 v35, 0
; %bb.11:
	s_or_saveexec_b64 s[6:7], s[6:7]
	v_lshrrev_b32_e32 v54, 6, v0
	v_and_b32_e32 v55, 63, v0
	s_lshl_b32 s29, s4, 4
	v_bfe_u32 v1, v0, 4, 2
	s_xor_b64 exec, exec, s[6:7]
	s_cbranch_execz .LBB147_13
; %bb.12:
	s_load_dwordx2 s[16:17], s[0:1], 0x0
	s_waitcnt lgkmcnt(0)
	s_ashr_i32 s18, s44, 31
	s_mul_hi_u32 s19, s5, s44
	s_mul_i32 s18, s5, s18
	s_add_i32 s19, s19, s18
	s_mul_i32 s18, s5, s44
	v_lshl_or_b32 v8, v54, 2, v1
	s_lshl_b64 s[18:19], s[18:19], 1
	s_add_u32 s16, s16, s18
	v_add_lshl_u32 v4, v8, s29, 6
	s_addc_u32 s17, s17, s19
	v_ashrrev_i32_e32 v5, 31, v4
	v_mov_b32_e32 v35, 0
	v_lshl_add_u64 v[4:5], v[4:5], 1, s[16:17]
	v_lshlrev_b32_e32 v6, 1, v34
	v_mov_b32_e32 v7, v35
	v_lshl_add_u64 v[4:5], v[4:5], 0, v[6:7]
	global_load_dwordx4 v[4:7], v[4:5], off
	v_and_b32_e32 v9, 3, v0
	v_lshlrev_b32_e32 v11, 9, v53
	v_lshlrev_b32_e32 v8, 5, v8
	;; [unrolled: 1-line block ×3, first 2 shown]
	v_and_b32_e32 v11, 0x1800, v11
	v_or3_b32 v8, v11, v9, v8
	s_waitcnt vmcnt(0)
	ds_write_b128 v8, v[4:7]
.LBB147_13:
	s_or_b64 exec, exec, s[6:7]
	s_waitcnt lgkmcnt(0)
	s_mul_i32 s4, s4, s46
	s_mov_b32 s5, 0
	s_lshl_b64 s[4:5], s[4:5], 1
	s_add_u32 s8, s8, s4
	s_addc_u32 s9, s9, s5
	s_waitcnt vmcnt(3)
	v_mad_i64_i32 v[4:5], s[16:17], v3, s45, 0
	v_lshl_add_u64 v[4:5], v[4:5], 1, s[8:9]
	v_lshlrev_b64 v[12:13], 1, v[34:35]
	v_lshlrev_b32_e32 v36, 9, v1
	v_lshl_add_u64 v[4:5], v[4:5], 0, v[12:13]
	v_mov_b32_e32 v37, 0
	v_lshl_add_u64 v[20:21], v[4:5], 0, v[36:37]
	s_waitcnt vmcnt(2)
	v_mad_i64_i32 v[2:3], s[16:17], v2, s45, 0
	v_mov_b32_e32 v4, 0x100
	v_lshl_add_u64 v[2:3], v[2:3], 1, s[8:9]
	v_lshl_or_b32 v38, v53, 4, v4
	v_mov_b32_e32 v39, v37
	s_load_dword s33, s[0:1], 0x98
	s_load_dword s6, s[0:1], 0x1c
	s_waitcnt lgkmcnt(0)
	s_barrier
	v_lshl_add_u64 v[2:3], v[2:3], 0, v[38:39]
	global_load_dwordx4 v[6:9], v[20:21], off
	v_lshl_add_u64 v[22:23], v[2:3], 0, v[36:37]
	global_load_dwordx4 v[2:5], v[22:23], off
	s_waitcnt vmcnt(3)
	v_mad_i64_i32 v[10:11], s[16:17], v10, s45, 0
	v_lshl_add_u64 v[10:11], v[10:11], 1, s[8:9]
	v_lshl_add_u64 v[10:11], v[10:11], 0, v[12:13]
	;; [unrolled: 1-line block ×3, first 2 shown]
	global_load_dwordx4 v[14:17], v[24:25], off
	global_load_dwordx4 v[10:13], v[20:21], off offset:2048
	global_load_dwordx4 v[26:29], v[22:23], off offset:2048
	;; [unrolled: 1-line block ×3, first 2 shown]
	s_waitcnt vmcnt(6)
	v_mad_i64_i32 v[40:41], s[16:17], v18, s45, 0
	v_lshl_add_u64 v[40:41], v[40:41], 1, s[8:9]
	v_lshl_add_u64 v[38:39], v[40:41], 0, v[38:39]
	v_lshl_or_b32 v52, v53, 5, v36
	v_lshl_add_u64 v[38:39], v[38:39], 0, v[36:37]
	ds_read_b128 v[22:25], v52
	ds_read_b128 v[18:21], v52 offset:2048
	global_load_dwordx4 v[44:47], v[38:39], off
	global_load_dwordx4 v[60:63], v[38:39], off offset:2048
	s_ashr_i32 s7, s14, 31
	v_and_or_b32 v64, v0, 48, s14
	s_lshr_b32 s7, s7, 27
	v_add_u32_e32 v40, s7, v64
	v_mov_b32_e32 v65, s15
	v_or_b32_e32 v48, 64, v64
	v_ashrrev_i32_e32 v36, 5, v40
	v_cmp_gt_i32_e32 vcc, s40, v64
	v_add_u32_e32 v41, s7, v48
	v_ashrrev_i32_e32 v49, 5, v41
	v_cndmask_b32_e32 v40, v65, v36, vcc
	v_ashrrev_i32_e32 v41, 31, v40
	v_lshl_add_u64 v[40:41], v[40:41], 2, s[12:13]
	v_cmp_gt_i32_e32 vcc, s40, v48
	global_load_dword v66, v[40:41], off
	v_or_b32_e32 v39, 0x80, v64
	v_and_b32_e32 v36, 16, v0
	s_add_u32 s4, s10, s4
	v_lshlrev_b32_e32 v38, 6, v53
	s_addc_u32 s5, s11, s5
	v_lshlrev_b32_e32 v36, 1, v36
	s_mov_b32 s42, 0xff7fffff
	s_waitcnt vmcnt(6) lgkmcnt(1)
	v_mfma_f32_16x16x16_f16 v[56:59], v[14:15], v[22:23], 0
	v_mfma_f32_16x16x16_f16 v[40:43], v[6:7], v[22:23], 0
	v_cndmask_b32_e32 v6, v65, v49, vcc
	v_ashrrev_i32_e32 v7, 31, v6
	v_cmp_gt_i32_e32 vcc, s40, v39
	v_mfma_f32_16x16x16_f16 v[48:51], v[2:3], v[22:23], 0
	v_lshl_add_u64 v[2:3], v[6:7], 2, s[12:13]
	global_load_dword v67, v[2:3], off
	v_mfma_f32_16x16x16_f16 v[6:9], v[8:9], v[24:25], v[40:43]
	v_mfma_f32_16x16x16_f16 v[2:5], v[4:5], v[24:25], v[48:51]
	s_nop 1
	v_or_b32_e32 v40, 0xc0, v64
	v_add_u32_e32 v41, s7, v39
	v_add_u32_e32 v42, s7, v40
	s_waitcnt vmcnt(6) lgkmcnt(0)
	v_mfma_f32_16x16x16_f16 v[6:9], v[10:11], v[18:19], v[6:9]
	v_ashrrev_i32_e32 v41, 5, v41
	v_ashrrev_i32_e32 v43, 5, v42
	v_cndmask_b32_e32 v42, v65, v41, vcc
	v_cmp_gt_i32_e32 vcc, s40, v40
	s_waitcnt vmcnt(5)
	v_mfma_f32_16x16x16_f16 v[2:5], v[26:27], v[18:19], v[2:5]
	v_lshl_add_u64 v[10:11], s[4:5], 0, v[36:37]
	v_cndmask_b32_e32 v26, v65, v43, vcc
	v_ashrrev_i32_e32 v43, 31, v42
	v_lshl_or_b32 v36, v54, 10, v38
	v_ashrrev_i32_e32 v27, 31, v26
	v_mfma_f32_16x16x16_f16 v[38:41], v[12:13], v[20:21], v[6:9]
	v_lshl_add_u64 v[10:11], v[10:11], 0, v[36:37]
	s_waitcnt vmcnt(0)
	v_mad_i64_i32 v[12:13], s[4:5], v67, s45, 0
	v_lshl_add_u64 v[6:7], v[42:43], 2, s[12:13]
	v_mfma_f32_16x16x16_f16 v[14:17], v[16:17], v[24:25], v[56:59]
	v_lshl_add_u64 v[8:9], v[26:27], 2, s[12:13]
	s_nop 1
	global_load_dword v58, v[6:7], off
	global_load_dword v59, v[8:9], off
	v_lshl_add_u64 v[56:57], v[12:13], 1, v[10:11]
	v_mfma_f32_16x16x16_f16 v[14:17], v[30:31], v[18:19], v[14:17]
	v_pk_mul_f32 v[12:13], s[6:7], v[38:39] op_sel_hi:[0,1]
	v_pk_mul_f32 v[48:49], s[6:7], v[40:41] op_sel_hi:[0,1]
	v_mfma_f32_16x16x16_f16 v[14:17], v[32:33], v[20:21], v[14:17]
	v_mfma_f32_16x16x16_f16 v[30:33], v[44:45], v[22:23], 0
	;; [unrolled: 1-line block ×3, first 2 shown]
	s_nop 4
	v_pk_mul_f32 v[44:45], s[6:7], v[16:17] op_sel_hi:[0,1]
	v_pk_mul_f32 v[46:47], s[6:7], v[14:15] op_sel_hi:[0,1]
	v_mfma_f32_16x16x16_f16 v[22:25], v[60:61], v[18:19], v[22:25]
	v_mfma_f32_16x16x16_f16 v[14:17], v[62:63], v[20:21], v[22:25]
	;; [unrolled: 1-line block ×3, first 2 shown]
	s_nop 5
	v_pk_mul_f32 v[42:43], s[6:7], v[14:15] op_sel_hi:[0,1]
	v_and_b32_e32 v14, 0xc0, v0
	v_add_u32_e32 v14, s14, v14
	v_lshl_or_b32 v14, v1, 2, v14
	v_mad_i64_i32 v[2:3], s[4:5], v66, s45, 0
	v_pk_mul_f32 v[36:37], s[6:7], v[16:17] op_sel_hi:[0,1]
	v_or_b32_e32 v17, 1, v14
	v_mov_b32_e32 v15, 0xff7fffff
	v_cmp_gt_i32_e64 s[4:5], s40, v14
	v_cmp_gt_i32_e64 s[34:35], s40, v17
	v_or_b32_e32 v18, 3, v14
	v_cndmask_b32_e64 v16, v15, v12, s[4:5]
	v_cndmask_b32_e64 v17, v15, v13, s[34:35]
	v_max3_f32 v16, v16, s42, v17
	v_or_b32_e32 v17, 2, v14
	v_cmp_gt_i32_e64 s[36:37], s40, v17
	v_cmp_gt_i32_e64 s[38:39], s40, v18
	v_pk_mul_f32 v[40:41], s[6:7], v[26:27] op_sel_hi:[0,1]
	v_cndmask_b32_e64 v17, v15, v48, s[36:37]
	v_cndmask_b32_e64 v18, v15, v49, s[38:39]
	v_max3_f32 v16, v16, v17, v18
	v_or_b32_e32 v17, 16, v14
	v_or_b32_e32 v18, 17, v14
	v_cmp_gt_i32_e64 s[24:25], s40, v17
	v_cmp_gt_i32_e64 s[26:27], s40, v18
	v_pk_mul_f32 v[50:51], s[6:7], v[28:29] op_sel_hi:[0,1]
	v_cndmask_b32_e64 v17, v15, v40, s[24:25]
	v_cndmask_b32_e64 v18, v15, v41, s[26:27]
	v_max3_f32 v16, v16, v17, v18
	v_or_b32_e32 v17, 18, v14
	v_or_b32_e32 v18, 19, v14
	v_cmp_gt_i32_e64 s[20:21], s40, v17
	v_cmp_gt_i32_e64 s[22:23], s40, v18
	v_lshl_add_u64 v[2:3], v[2:3], 1, v[10:11]
	v_cndmask_b32_e64 v17, v15, v50, s[20:21]
	v_cndmask_b32_e64 v18, v15, v51, s[22:23]
	v_max3_f32 v16, v16, v17, v18
	v_or_b32_e32 v17, 32, v14
	v_or_b32_e32 v18, 33, v14
	v_cmp_gt_i32_e64 s[16:17], s40, v17
	v_cmp_gt_i32_e64 s[18:19], s40, v18
	global_load_dwordx4 v[6:9], v[2:3], off
	s_nop 0
	global_load_dwordx4 v[2:5], v[2:3], off offset:16
	v_cndmask_b32_e64 v17, v15, v46, s[16:17]
	v_cndmask_b32_e64 v18, v15, v47, s[18:19]
	v_max3_f32 v16, v16, v17, v18
	v_or_b32_e32 v17, 34, v14
	v_or_b32_e32 v18, 35, v14
	v_cmp_gt_i32_e64 s[12:13], s40, v17
	v_cmp_gt_i32_e64 s[14:15], s40, v18
	global_load_dwordx4 v[30:33], v[56:57], off
	global_load_dwordx4 v[26:29], v[56:57], off offset:16
	v_cndmask_b32_e64 v17, v15, v44, s[12:13]
	v_cndmask_b32_e64 v18, v15, v45, s[14:15]
	v_max3_f32 v16, v16, v17, v18
	v_or_b32_e32 v17, 48, v14
	v_or_b32_e32 v18, 49, v14
	v_cmp_gt_i32_e64 s[8:9], s40, v17
	v_cmp_gt_i32_e64 s[10:11], s40, v18
	s_nop 0
	v_cndmask_b32_e64 v17, v15, v42, s[8:9]
	v_cndmask_b32_e64 v18, v15, v43, s[10:11]
	v_max3_f32 v16, v16, v17, v18
	v_or_b32_e32 v17, 50, v14
	v_or_b32_e32 v14, 51, v14
	v_cmp_gt_i32_e32 vcc, s40, v17
	v_cmp_gt_i32_e64 s[6:7], s40, v14
	s_nop 0
	v_cndmask_b32_e32 v17, v15, v36, vcc
	v_cndmask_b32_e64 v14, v15, v37, s[6:7]
	v_max3_f32 v16, v16, v17, v14
	v_mbcnt_lo_u32_b32 v14, -1, 0
	v_mbcnt_hi_u32_b32 v17, -1, v14
	v_and_b32_e32 v14, 64, v17
	v_add_u32_e32 v18, 64, v14
	v_xor_b32_e32 v14, 32, v17
	v_cmp_lt_i32_e64 s[40:41], v14, v18
	s_nop 1
	v_cndmask_b32_e64 v14, v17, v14, s[40:41]
	v_lshlrev_b32_e32 v60, 2, v14
	ds_bpermute_b32 v19, v60, v16
	s_waitcnt vmcnt(5)
	v_mad_i64_i32 v[14:15], s[40:41], v58, s45, 0
	v_lshl_add_u64 v[14:15], v[14:15], 1, v[10:11]
	s_waitcnt lgkmcnt(0)
	v_max_f32_e32 v19, v19, v19
	v_max_f32_e32 v16, v16, v19
	v_xor_b32_e32 v19, 16, v17
	v_cmp_lt_i32_e64 s[40:41], v19, v18
	s_nop 1
	v_cndmask_b32_e64 v17, v17, v19, s[40:41]
	v_lshlrev_b32_e32 v57, 2, v17
	ds_bpermute_b32 v17, v57, v16
	global_load_dwordx4 v[22:25], v[14:15], off
	global_load_dwordx4 v[18:21], v[14:15], off offset:16
	s_waitcnt vmcnt(6)
	v_mad_i64_i32 v[14:15], s[40:41], v59, s45, 0
	v_lshl_add_u64 v[10:11], v[14:15], 1, v[10:11]
	s_waitcnt lgkmcnt(0)
	v_max_f32_e32 v14, v17, v17
	v_max_f32_e32 v56, v16, v14
	v_sub_f32_e32 v12, v12, v56
	v_mul_f32_e32 v12, 0x3fb8aa3b, v12
	v_exp_f32_e32 v38, v12
	v_sub_f32_e32 v12, v13, v56
	v_mul_f32_e32 v12, 0x3fb8aa3b, v12
	v_exp_f32_e32 v39, v12
	global_load_dwordx4 v[14:17], v[10:11], off
	s_nop 0
	global_load_dwordx4 v[10:13], v[10:11], off offset:16
	v_sub_f32_e32 v48, v48, v56
	v_mul_f32_e32 v48, 0x3fb8aa3b, v48
	v_sub_f32_e32 v49, v49, v56
	v_exp_f32_e32 v48, v48
	v_mul_f32_e32 v49, 0x3fb8aa3b, v49
	v_sub_f32_e32 v40, v40, v56
	v_exp_f32_e32 v49, v49
	v_mul_f32_e32 v40, 0x3fb8aa3b, v40
	v_sub_f32_e32 v41, v41, v56
	v_cndmask_b32_e64 v38, 0, v38, s[4:5]
	v_exp_f32_e32 v40, v40
	v_mul_f32_e32 v41, 0x3fb8aa3b, v41
	v_sub_f32_e32 v50, v50, v56
	v_add_f32_e32 v58, 0, v38
	v_cndmask_b32_e64 v39, 0, v39, s[34:35]
	v_exp_f32_e32 v41, v41
	v_mul_f32_e32 v50, 0x3fb8aa3b, v50
	v_sub_f32_e32 v51, v51, v56
	v_add_f32_e32 v58, v58, v39
	;; [unrolled: 5-line block ×10, first 2 shown]
	v_cndmask_b32_e64 v44, 0, v44, s[12:13]
	v_exp_f32_e32 v36, v36
	v_mul_f32_e32 v37, 0x3fb8aa3b, v37
	v_add_f32_e32 v58, v58, v44
	v_cndmask_b32_e64 v45, 0, v45, s[14:15]
	v_exp_f32_e32 v37, v37
	v_add_f32_e32 v58, v58, v45
	v_cndmask_b32_e64 v42, 0, v42, s[8:9]
	v_add_f32_e32 v58, v58, v42
	v_cndmask_b32_e64 v43, 0, v43, s[10:11]
	v_add_f32_e32 v58, v58, v43
	v_cndmask_b32_e32 v36, 0, v36, vcc
	v_add_f32_e32 v58, v58, v36
	v_cndmask_b32_e64 v37, 0, v37, s[6:7]
	v_add_f32_e32 v58, v58, v37
	ds_bpermute_b32 v59, v60, v58
	v_cmp_gt_u32_e32 vcc, 16, v55
	s_waitcnt lgkmcnt(0)
	s_barrier
	v_add_f32_e32 v58, v58, v59
	ds_bpermute_b32 v59, v57, v58
	v_lshlrev_b32_e32 v57, 2, v53
	s_and_saveexec_b64 s[4:5], vcc
	s_cbranch_execz .LBB147_15
; %bb.14:
	s_waitcnt lgkmcnt(0)
	v_add_f32_e32 v55, v58, v59
	v_lshl_or_b32 v58, v54, 6, v57
	ds_write2st64_b32 v58, v56, v55 offset1:1
.LBB147_15:
	s_or_b64 exec, exec, s[4:5]
	s_load_dword s6, s[0:1], 0x94
	s_waitcnt lgkmcnt(0)
	s_barrier
	ds_read2_b32 v[58:59], v57 offset1:16
	ds_read2_b32 v[60:61], v57 offset0:32 offset1:48
	ds_read2_b32 v[62:63], v57 offset0:64 offset1:80
	v_lshlrev_b32_e32 v53, 5, v53
	s_lshl_b32 s7, s33, 4
	s_waitcnt lgkmcnt(2)
	v_max3_f32 v55, v58, s42, v59
	s_waitcnt lgkmcnt(1)
	v_max3_f32 v55, v55, v60, v61
	v_sub_f32_e32 v56, v58, v55
	v_mul_f32_e32 v56, 0x3fb8aa3b, v56
	v_exp_f32_e32 v64, v56
	v_sub_f32_e32 v56, v59, v55
	v_mul_f32_e32 v56, 0x3fb8aa3b, v56
	v_exp_f32_e32 v65, v56
	;; [unrolled: 3-line block ×3, first 2 shown]
	ds_read2_b32 v[58:59], v57 offset0:96 offset1:112
	v_sub_f32_e32 v56, v61, v55
	v_mul_f32_e32 v56, 0x3fb8aa3b, v56
	v_exp_f32_e32 v57, v56
	s_waitcnt lgkmcnt(1)
	v_fma_f32 v56, v64, v62, 0
	v_fmac_f32_e32 v56, v65, v63
	s_waitcnt lgkmcnt(0)
	v_fmac_f32_e32 v56, v60, v58
	v_fmac_f32_e32 v56, v57, v59
	v_add_f32_e32 v58, 0x358637bd, v56
	v_div_scale_f32 v59, s[4:5], v58, v58, 1.0
	v_rcp_f32_e32 v61, v59
	s_barrier
	v_fma_f32 v62, -v59, v61, 1.0
	v_fmac_f32_e32 v61, v62, v61
	v_div_scale_f32 v62, vcc, 1.0, v58, 1.0
	v_mul_f32_e32 v63, v62, v61
	v_fma_f32 v66, -v59, v63, v62
	v_fmac_f32_e32 v63, v66, v61
	v_fma_f32 v59, -v59, v63, v62
	v_div_fmas_f32 v59, v59, v61, v63
	v_cmp_eq_u32_e32 vcc, 1, v54
	v_div_fixup_f32 v58, v59, v58, 1.0
	s_nop 0
	v_cndmask_b32_e32 v59, v64, v65, vcc
	v_cmp_eq_u32_e32 vcc, 2, v54
	s_nop 1
	v_cndmask_b32_e32 v59, v59, v60, vcc
	v_cmp_eq_u32_e32 vcc, 3, v54
	s_nop 1
	v_cndmask_b32_e32 v57, v59, v57, vcc
	v_mul_f32_e32 v58, v57, v58
	v_pk_mul_f32 v[38:39], v[58:59], v[38:39] op_sel_hi:[0,1]
	v_cvt_f16_f32_e32 v38, v38
	v_cvt_f16_f32_e32 v39, v39
	v_pk_mul_f32 v[48:49], v[58:59], v[48:49] op_sel_hi:[0,1]
	v_cvt_f16_f32_e32 v57, v48
	v_cvt_f16_f32_e32 v49, v49
	v_pack_b32_f16 v48, v38, v39
	v_pk_mul_f32 v[38:39], v[58:59], v[50:51] op_sel_hi:[0,1]
	v_pk_mul_f32 v[40:41], v[58:59], v[40:41] op_sel_hi:[0,1]
	v_cvt_f16_f32_e32 v40, v40
	v_cvt_f16_f32_e32 v41, v41
	;; [unrolled: 1-line block ×4, first 2 shown]
	v_pack_b32_f16 v49, v57, v49
	v_lshlrev_b32_e32 v57, 3, v1
	v_lshlrev_b32_e32 v38, 11, v54
	v_or3_b32 v38, v38, v53, v57
	v_pack_b32_f16 v40, v40, v41
	v_pack_b32_f16 v41, v50, v39
	ds_write2st64_b64 v38, v[48:49], v[40:41] offset1:1
	v_pk_mul_f32 v[40:41], v[58:59], v[44:45] op_sel_hi:[0,1]
	v_pk_mul_f32 v[44:45], v[58:59], v[46:47] op_sel_hi:[0,1]
	v_cvt_f16_f32_e32 v39, v44
	v_cvt_f16_f32_e32 v44, v45
	;; [unrolled: 1-line block ×4, first 2 shown]
	v_pk_mul_f32 v[36:37], v[58:59], v[36:37] op_sel_hi:[0,1]
	v_pk_mul_f32 v[40:41], v[58:59], v[42:43] op_sel_hi:[0,1]
	v_cvt_f16_f32_e32 v40, v40
	v_cvt_f16_f32_e32 v41, v41
	;; [unrolled: 1-line block ×4, first 2 shown]
	v_pack_b32_f16 v36, v39, v44
	v_pack_b32_f16 v37, v45, v46
	;; [unrolled: 1-line block ×4, first 2 shown]
	v_cmp_gt_u32_e32 vcc, 16, v0
	ds_write2st64_b64 v38, v[36:37], v[40:41] offset0:2 offset1:3
	s_and_saveexec_b64 s[4:5], vcc
	s_cbranch_execz .LBB147_17
; %bb.16:
	v_or_b32_e32 v36, s29, v0
	v_mov_b32_e32 v37, 0
	v_mov_b32_e32 v39, s7
	v_mad_u64_u32 v[40:41], s[12:13], s2, v39, v[36:37]
	v_mov_b32_e32 v36, s28
	s_load_dwordx4 s[8:11], s[0:1], 0x58
	s_mul_i32 s3, s3, s7
	v_mad_u64_u32 v[36:37], s[12:13], v40, s6, v[36:37]
	v_add_u32_e32 v39, s3, v41
	v_mov_b32_e32 v40, v37
	v_mad_u64_u32 v[40:41], s[12:13], v39, s6, v[40:41]
	v_mov_b32_e32 v37, v40
	v_lshlrev_b64 v[36:37], 2, v[36:37]
	s_waitcnt lgkmcnt(0)
	v_lshl_add_u64 v[40:41], s[10:11], 0, v[36:37]
	v_lshl_add_u64 v[36:37], s[8:9], 0, v[36:37]
	global_store_dword v[40:41], v55, off
	global_store_dword v[36:37], v56, off
.LBB147_17:
	s_or_b64 exec, exec, s[4:5]
	s_waitcnt lgkmcnt(0)
	s_barrier
	ds_read_b128 v[40:43], v52
	ds_read_b128 v[44:47], v52 offset:16
	s_waitcnt vmcnt(7) lgkmcnt(1)
	v_mfma_f32_16x16x16_f16 v[48:51], v[6:7], v[40:41], 0
	v_cmp_gt_u32_e32 vcc, 64, v0
	s_mov_b32 s3, 0
	s_and_b64 s[4:5], vcc, s[30:31]
	v_mfma_f32_16x16x16_f16 v[6:9], v[8:9], v[42:43], v[48:51]
	s_waitcnt vmcnt(6) lgkmcnt(0)
	v_mfma_f32_16x16x16_f16 v[6:9], v[2:3], v[44:45], v[6:9]
	v_mfma_f32_16x16x16_f16 v[2:5], v[4:5], v[46:47], v[6:9]
	s_nop 5
	ds_read_b128 v[6:9], v52 offset:2048
	ds_read_b128 v[40:43], v52 offset:2064
	s_waitcnt vmcnt(5) lgkmcnt(1)
	v_mfma_f32_16x16x16_f16 v[2:5], v[30:31], v[6:7], v[2:5]
	v_mfma_f32_16x16x16_f16 v[2:5], v[32:33], v[8:9], v[2:5]
	s_waitcnt vmcnt(4) lgkmcnt(0)
	v_mfma_f32_16x16x16_f16 v[2:5], v[26:27], v[40:41], v[2:5]
	v_mfma_f32_16x16x16_f16 v[2:5], v[28:29], v[42:43], v[2:5]
	ds_read_b128 v[6:9], v52 offset:4096
	ds_read_b128 v[26:29], v52 offset:4112
	s_waitcnt vmcnt(3) lgkmcnt(1)
	v_mfma_f32_16x16x16_f16 v[2:5], v[22:23], v[6:7], v[2:5]
	v_mfma_f32_16x16x16_f16 v[2:5], v[24:25], v[8:9], v[2:5]
	s_waitcnt vmcnt(2) lgkmcnt(0)
	v_mfma_f32_16x16x16_f16 v[2:5], v[18:19], v[26:27], v[2:5]
	v_mfma_f32_16x16x16_f16 v[2:5], v[20:21], v[28:29], v[2:5]
	ds_read_b128 v[6:9], v52 offset:6144
	ds_read_b128 v[18:21], v52 offset:6160
	s_waitcnt lgkmcnt(0)
	s_barrier
	s_waitcnt vmcnt(1)
	v_mfma_f32_16x16x16_f16 v[2:5], v[14:15], v[6:7], v[2:5]
	v_mfma_f32_16x16x16_f16 v[2:5], v[16:17], v[8:9], v[2:5]
	s_waitcnt vmcnt(0)
	v_mfma_f32_16x16x16_f16 v[2:5], v[10:11], v[18:19], v[2:5]
	v_mfma_f32_16x16x16_f16 v[2:5], v[12:13], v[20:21], v[2:5]
	s_nop 6
	v_cvt_f16_f32_e32 v2, v2
	v_cvt_f16_f32_e32 v3, v3
	;; [unrolled: 1-line block ×4, first 2 shown]
	v_pack_b32_f16 v2, v2, v3
	v_pack_b32_f16 v3, v4, v5
	ds_write_b64 v38, v[2:3]
	s_waitcnt lgkmcnt(0)
	s_barrier
	s_and_saveexec_b64 s[8:9], s[4:5]
	s_cbranch_execz .LBB147_19
; %bb.18:
	s_load_dwordx2 s[0:1], s[0:1], 0x68
	s_lshl_b32 s6, s6, 6
	s_mul_i32 s2, s7, s2
	s_mul_hi_u32 s5, s2, s6
	s_mul_i32 s4, s2, s6
	s_lshl_b64 s[4:5], s[4:5], 1
	s_waitcnt lgkmcnt(0)
	s_add_u32 s4, s0, s4
	s_addc_u32 s5, s1, s5
	s_lshl_b32 s2, s28, 6
	v_lshlrev_b32_e32 v2, 10, v0
	v_lshlrev_b32_e32 v0, 4, v0
	s_lshl_b64 s[0:1], s[2:3], 1
	v_and_b32_e32 v2, 0x1800, v2
	v_lshlrev_b32_e32 v3, 5, v1
	v_and_b32_e32 v0, 16, v0
	s_add_u32 s0, s4, s0
	v_or3_b32 v0, v2, v3, v0
	s_addc_u32 s1, s5, s1
	v_or_b32_e32 v20, s29, v1
	ds_read_b128 v[2:5], v0
	ds_read_b128 v[6:9], v0 offset:128
	ds_read_b128 v[10:13], v0 offset:256
	;; [unrolled: 1-line block ×3, first 2 shown]
	v_lshl_add_u64 v[18:19], v[34:35], 1, s[0:1]
	v_mad_u64_u32 v[0:1], s[0:1], v20, s6, 0
	v_lshl_add_u64 v[0:1], v[0:1], 1, v[18:19]
	s_waitcnt lgkmcnt(3)
	global_store_dwordx4 v[0:1], v[2:5], off
	v_or_b32_e32 v0, 4, v20
	v_mad_u64_u32 v[0:1], s[0:1], v0, s6, 0
	v_lshl_add_u64 v[0:1], v[0:1], 1, v[18:19]
	s_waitcnt lgkmcnt(2)
	global_store_dwordx4 v[0:1], v[6:9], off
	v_or_b32_e32 v0, 8, v20
	;; [unrolled: 5-line block ×3, first 2 shown]
	v_mad_u64_u32 v[0:1], s[0:1], v0, s6, 0
	v_lshl_add_u64 v[0:1], v[0:1], 1, v[18:19]
	s_waitcnt lgkmcnt(0)
	global_store_dwordx4 v[0:1], v[14:17], off
.LBB147_19:
	s_endpgm
	.section	.rodata,"a",@progbits
	.p2align	6, 0x0
	.amdhsa_kernel _Z39paged_attention_ll4mi_QKV_mfma16_kernelIDF16_DF16_LN4vllm18Fp8KVCacheDataTypeE0EhLi32ELi64ELi256ELb0ELi16EEvPKT_PKT0_S7_ifPKiS9_S9_iPKfiiiPfSC_PS2_PT2_iSB_SB_
		.amdhsa_group_segment_fixed_size 8192
		.amdhsa_private_segment_fixed_size 0
		.amdhsa_kernarg_size 400
		.amdhsa_user_sgpr_count 2
		.amdhsa_user_sgpr_dispatch_ptr 0
		.amdhsa_user_sgpr_queue_ptr 0
		.amdhsa_user_sgpr_kernarg_segment_ptr 1
		.amdhsa_user_sgpr_dispatch_id 0
		.amdhsa_user_sgpr_kernarg_preload_length 0
		.amdhsa_user_sgpr_kernarg_preload_offset 0
		.amdhsa_user_sgpr_private_segment_size 0
		.amdhsa_uses_dynamic_stack 0
		.amdhsa_enable_private_segment 0
		.amdhsa_system_sgpr_workgroup_id_x 1
		.amdhsa_system_sgpr_workgroup_id_y 1
		.amdhsa_system_sgpr_workgroup_id_z 1
		.amdhsa_system_sgpr_workgroup_info 0
		.amdhsa_system_vgpr_workitem_id 0
		.amdhsa_next_free_vgpr 68
		.amdhsa_next_free_sgpr 48
		.amdhsa_accum_offset 68
		.amdhsa_reserve_vcc 1
		.amdhsa_float_round_mode_32 0
		.amdhsa_float_round_mode_16_64 0
		.amdhsa_float_denorm_mode_32 3
		.amdhsa_float_denorm_mode_16_64 3
		.amdhsa_dx10_clamp 1
		.amdhsa_ieee_mode 1
		.amdhsa_fp16_overflow 0
		.amdhsa_tg_split 0
		.amdhsa_exception_fp_ieee_invalid_op 0
		.amdhsa_exception_fp_denorm_src 0
		.amdhsa_exception_fp_ieee_div_zero 0
		.amdhsa_exception_fp_ieee_overflow 0
		.amdhsa_exception_fp_ieee_underflow 0
		.amdhsa_exception_fp_ieee_inexact 0
		.amdhsa_exception_int_div_zero 0
	.end_amdhsa_kernel
	.section	.text._Z39paged_attention_ll4mi_QKV_mfma16_kernelIDF16_DF16_LN4vllm18Fp8KVCacheDataTypeE0EhLi32ELi64ELi256ELb0ELi16EEvPKT_PKT0_S7_ifPKiS9_S9_iPKfiiiPfSC_PS2_PT2_iSB_SB_,"axG",@progbits,_Z39paged_attention_ll4mi_QKV_mfma16_kernelIDF16_DF16_LN4vllm18Fp8KVCacheDataTypeE0EhLi32ELi64ELi256ELb0ELi16EEvPKT_PKT0_S7_ifPKiS9_S9_iPKfiiiPfSC_PS2_PT2_iSB_SB_,comdat
.Lfunc_end147:
	.size	_Z39paged_attention_ll4mi_QKV_mfma16_kernelIDF16_DF16_LN4vllm18Fp8KVCacheDataTypeE0EhLi32ELi64ELi256ELb0ELi16EEvPKT_PKT0_S7_ifPKiS9_S9_iPKfiiiPfSC_PS2_PT2_iSB_SB_, .Lfunc_end147-_Z39paged_attention_ll4mi_QKV_mfma16_kernelIDF16_DF16_LN4vllm18Fp8KVCacheDataTypeE0EhLi32ELi64ELi256ELb0ELi16EEvPKT_PKT0_S7_ifPKiS9_S9_iPKfiiiPfSC_PS2_PT2_iSB_SB_
                                        ; -- End function
	.section	.AMDGPU.csdata,"",@progbits
; Kernel info:
; codeLenInByte = 3900
; NumSgprs: 54
; NumVgprs: 68
; NumAgprs: 0
; TotalNumVgprs: 68
; ScratchSize: 0
; MemoryBound: 0
; FloatMode: 240
; IeeeMode: 1
; LDSByteSize: 8192 bytes/workgroup (compile time only)
; SGPRBlocks: 6
; VGPRBlocks: 8
; NumSGPRsForWavesPerEU: 54
; NumVGPRsForWavesPerEU: 68
; AccumOffset: 68
; Occupancy: 7
; WaveLimiterHint : 1
; COMPUTE_PGM_RSRC2:SCRATCH_EN: 0
; COMPUTE_PGM_RSRC2:USER_SGPR: 2
; COMPUTE_PGM_RSRC2:TRAP_HANDLER: 0
; COMPUTE_PGM_RSRC2:TGID_X_EN: 1
; COMPUTE_PGM_RSRC2:TGID_Y_EN: 1
; COMPUTE_PGM_RSRC2:TGID_Z_EN: 1
; COMPUTE_PGM_RSRC2:TIDIG_COMP_CNT: 0
; COMPUTE_PGM_RSRC3_GFX90A:ACCUM_OFFSET: 16
; COMPUTE_PGM_RSRC3_GFX90A:TG_SPLIT: 0
	.section	.text._Z39paged_attention_ll4mi_QKV_mfma16_kernelIDF16_DF16_LN4vllm18Fp8KVCacheDataTypeE0EhLi32ELi64ELi256ELb0ELi1EEvPKT_PKT0_S7_ifPKiS9_S9_iPKfiiiPfSC_PS2_PT2_iSB_SB_,"axG",@progbits,_Z39paged_attention_ll4mi_QKV_mfma16_kernelIDF16_DF16_LN4vllm18Fp8KVCacheDataTypeE0EhLi32ELi64ELi256ELb0ELi1EEvPKT_PKT0_S7_ifPKiS9_S9_iPKfiiiPfSC_PS2_PT2_iSB_SB_,comdat
	.protected	_Z39paged_attention_ll4mi_QKV_mfma16_kernelIDF16_DF16_LN4vllm18Fp8KVCacheDataTypeE0EhLi32ELi64ELi256ELb0ELi1EEvPKT_PKT0_S7_ifPKiS9_S9_iPKfiiiPfSC_PS2_PT2_iSB_SB_ ; -- Begin function _Z39paged_attention_ll4mi_QKV_mfma16_kernelIDF16_DF16_LN4vllm18Fp8KVCacheDataTypeE0EhLi32ELi64ELi256ELb0ELi1EEvPKT_PKT0_S7_ifPKiS9_S9_iPKfiiiPfSC_PS2_PT2_iSB_SB_
	.globl	_Z39paged_attention_ll4mi_QKV_mfma16_kernelIDF16_DF16_LN4vllm18Fp8KVCacheDataTypeE0EhLi32ELi64ELi256ELb0ELi1EEvPKT_PKT0_S7_ifPKiS9_S9_iPKfiiiPfSC_PS2_PT2_iSB_SB_
	.p2align	8
	.type	_Z39paged_attention_ll4mi_QKV_mfma16_kernelIDF16_DF16_LN4vllm18Fp8KVCacheDataTypeE0EhLi32ELi64ELi256ELb0ELi1EEvPKT_PKT0_S7_ifPKiS9_S9_iPKfiiiPfSC_PS2_PT2_iSB_SB_,@function
_Z39paged_attention_ll4mi_QKV_mfma16_kernelIDF16_DF16_LN4vllm18Fp8KVCacheDataTypeE0EhLi32ELi64ELi256ELb0ELi1EEvPKT_PKT0_S7_ifPKiS9_S9_iPKfiiiPfSC_PS2_PT2_iSB_SB_: ; @_Z39paged_attention_ll4mi_QKV_mfma16_kernelIDF16_DF16_LN4vllm18Fp8KVCacheDataTypeE0EhLi32ELi64ELi256ELb0ELi1EEvPKT_PKT0_S7_ifPKiS9_S9_iPKfiiiPfSC_PS2_PT2_iSB_SB_
; %bb.0:
	s_load_dwordx2 s[6:7], s[0:1], 0x30
	s_mov_b32 s5, s3
	s_mov_b64 s[10:11], 0
	s_waitcnt lgkmcnt(0)
	s_cmp_lg_u64 s[6:7], 0
	s_cselect_b64 s[8:9], -1, 0
	s_and_b64 vcc, exec, s[8:9]
	s_cbranch_vccz .LBB148_7
; %bb.1:
	s_add_i32 s12, s2, 1
	s_mov_b32 s13, 0
	s_lshl_b64 s[14:15], s[12:13], 2
	s_add_u32 s14, s6, s14
	s_mov_b32 s3, s13
	s_addc_u32 s15, s7, s15
	s_lshl_b64 s[12:13], s[2:3], 2
	s_add_u32 s12, s6, s12
	s_addc_u32 s13, s7, s13
	s_load_dword s16, s[14:15], 0x0
	s_load_dword s17, s[12:13], 0x0
	s_waitcnt lgkmcnt(0)
	s_sub_i32 s12, s16, s17
	s_cmp_eq_u32 s12, 1
	s_cselect_b64 s[12:13], -1, 0
	s_andn2_b64 vcc, exec, s[10:11]
	s_cbranch_vccnz .LBB148_3
.LBB148_2:
	s_mov_b32 s3, 0
	s_mov_b64 s[12:13], -1
.LBB148_3:
	s_andn2_b64 vcc, exec, s[12:13]
	s_cbranch_vccnz .LBB148_19
; %bb.4:
	s_load_dwordx2 s[12:13], s[0:1], 0x28
	s_lshl_b64 s[10:11], s[2:3], 2
	s_waitcnt lgkmcnt(0)
	s_add_u32 s12, s12, s10
	s_addc_u32 s13, s13, s11
	s_load_dword s33, s[12:13], 0x0
	s_lshl_b32 s14, s5, 8
	s_waitcnt lgkmcnt(0)
	s_cmp_ge_i32 s14, s33
	s_cbranch_scc1 .LBB148_19
; %bb.5:
	s_load_dwordx2 s[12:13], s[0:1], 0x20
	s_load_dword s16, s[0:1], 0x38
	s_add_i32 s15, s33, 31
	s_ashr_i32 s17, s15, 31
	v_and_b32_e32 v1, 0xcf, v0
	s_lshr_b32 s17, s17, 27
	v_add_u32_e32 v1, s14, v1
	s_add_i32 s15, s15, s17
	v_ashrrev_i32_e32 v2, 31, v1
	s_ashr_i32 s15, s15, 5
	v_lshrrev_b32_e32 v10, 27, v2
	s_add_i32 s15, s15, -1
	s_waitcnt lgkmcnt(0)
	s_mul_i32 s16, s2, s16
	s_mov_b32 s17, 0
	v_add_u32_e32 v2, v1, v10
	s_lshl_b64 s[16:17], s[16:17], 2
	v_ashrrev_i32_e32 v2, 5, v2
	v_mov_b32_e32 v11, s15
	v_cmp_gt_i32_e32 vcc, s33, v1
	s_add_u32 s12, s12, s16
	s_addc_u32 s13, s13, s17
	v_cndmask_b32_e32 v2, v11, v2, vcc
	v_ashrrev_i32_e32 v3, 31, v2
	v_lshl_add_u64 v[4:5], v[2:3], 2, s[12:13]
	v_or_b32_e32 v2, 16, v1
	v_add_u32_e32 v3, v2, v10
	v_ashrrev_i32_e32 v3, 5, v3
	v_cmp_gt_i32_e32 vcc, s33, v2
	s_nop 1
	v_cndmask_b32_e32 v2, v11, v3, vcc
	v_ashrrev_i32_e32 v3, 31, v2
	v_lshl_add_u64 v[6:7], v[2:3], 2, s[12:13]
	v_or_b32_e32 v2, 32, v1
	v_add_u32_e32 v3, v2, v10
	v_ashrrev_i32_e32 v3, 5, v3
	v_cmp_gt_i32_e32 vcc, s33, v2
	v_or_b32_e32 v1, 48, v1
	s_nop 0
	v_cndmask_b32_e32 v2, v11, v3, vcc
	v_ashrrev_i32_e32 v3, 31, v2
	v_lshl_add_u64 v[8:9], v[2:3], 2, s[12:13]
	v_add_u32_e32 v2, v1, v10
	v_ashrrev_i32_e32 v2, 5, v2
	v_cmp_gt_i32_e32 vcc, s33, v1
	s_nop 1
	v_cndmask_b32_e32 v2, v11, v2, vcc
	v_ashrrev_i32_e32 v3, 31, v2
	v_lshl_add_u64 v[12:13], v[2:3], 2, s[12:13]
	global_load_dword v3, v[4:5], off
	global_load_dword v2, v[6:7], off
	;; [unrolled: 1-line block ×4, first 2 shown]
	s_andn2_b64 vcc, exec, s[8:9]
	s_cbranch_vccnz .LBB148_8
; %bb.6:
	s_add_u32 s6, s6, s10
	s_addc_u32 s7, s7, s11
	s_load_dword s16, s[6:7], 0x0
	s_branch .LBB148_9
.LBB148_7:
	s_mov_b64 s[12:13], 0
	s_branch .LBB148_2
.LBB148_8:
	s_mov_b32 s16, s2
.LBB148_9:
	s_load_dwordx4 s[8:11], s[0:1], 0x8
	s_load_dwordx4 s[44:47], s[0:1], 0x48
	v_lshrrev_b32_e32 v54, 6, v0
	v_bfe_u32 v1, v0, 4, 2
	v_lshl_or_b32 v4, v54, 2, v1
	v_and_b32_e32 v55, 15, v0
	v_cmp_ne_u32_e32 vcc, 0, v4
	v_cmp_lt_u32_e64 s[6:7], 7, v55
	v_lshlrev_b32_e32 v34, 3, v55
	v_cmp_gt_u32_e64 s[28:29], 8, v55
	s_or_b64 s[6:7], s[6:7], vcc
	s_and_saveexec_b64 s[18:19], s[6:7]
	s_xor_b64 s[6:7], exec, s[18:19]
; %bb.10:
	v_mov_b32_e32 v35, 0
; %bb.11:
	s_or_saveexec_b64 s[6:7], s[6:7]
	v_and_b32_e32 v56, 63, v0
	s_xor_b64 exec, exec, s[6:7]
	s_cbranch_execz .LBB148_13
; %bb.12:
	s_load_dwordx2 s[18:19], s[0:1], 0x0
	s_waitcnt lgkmcnt(0)
	s_ashr_i32 s17, s44, 31
	s_mul_hi_u32 s20, s16, s44
	s_mul_i32 s17, s16, s17
	s_add_i32 s17, s20, s17
	s_mul_i32 s16, s16, s44
	s_lshl_b64 s[16:17], s[16:17], 1
	s_add_u32 s18, s18, s16
	s_addc_u32 s19, s19, s17
	s_lshl_b32 s16, s4, 6
	s_ashr_i32 s17, s16, 31
	s_lshl_b64 s[16:17], s[16:17], 1
	s_add_u32 s16, s18, s16
	s_addc_u32 s17, s19, s17
	v_lshlrev_b32_e32 v4, 1, v34
	global_load_dwordx4 v[4:7], v4, s[16:17]
	v_and_b32_e32 v8, 3, v0
	v_lshlrev_b32_e32 v9, 9, v55
	v_lshlrev_b32_e32 v8, 9, v8
	s_movk_i32 s16, 0x1800
	v_mov_b32_e32 v35, 0
	v_and_or_b32 v8, v9, s16, v8
	s_waitcnt vmcnt(0)
	ds_write_b128 v8, v[4:7]
.LBB148_13:
	s_or_b64 exec, exec, s[6:7]
	s_waitcnt lgkmcnt(0)
	s_mul_i32 s6, s4, s46
	s_mov_b32 s7, 0
	s_lshl_b64 s[6:7], s[6:7], 1
	s_add_u32 s8, s8, s6
	s_addc_u32 s9, s9, s7
	s_waitcnt vmcnt(3)
	v_mad_i64_i32 v[4:5], s[16:17], v3, s45, 0
	v_lshl_add_u64 v[4:5], v[4:5], 1, s[8:9]
	v_lshlrev_b64 v[12:13], 1, v[34:35]
	v_lshlrev_b32_e32 v36, 9, v1
	v_lshl_add_u64 v[4:5], v[4:5], 0, v[12:13]
	v_mov_b32_e32 v37, 0
	v_lshl_add_u64 v[20:21], v[4:5], 0, v[36:37]
	s_waitcnt vmcnt(2)
	v_mad_i64_i32 v[2:3], s[16:17], v2, s45, 0
	v_mov_b32_e32 v4, 0x100
	v_lshl_add_u64 v[2:3], v[2:3], 1, s[8:9]
	v_lshl_or_b32 v38, v55, 4, v4
	v_mov_b32_e32 v39, v37
	s_barrier
	v_lshl_add_u64 v[2:3], v[2:3], 0, v[38:39]
	global_load_dwordx4 v[6:9], v[20:21], off
	v_lshl_add_u64 v[22:23], v[2:3], 0, v[36:37]
	global_load_dwordx4 v[2:5], v[22:23], off
	s_waitcnt vmcnt(3)
	v_mad_i64_i32 v[10:11], s[16:17], v10, s45, 0
	v_lshl_add_u64 v[10:11], v[10:11], 1, s[8:9]
	v_lshl_add_u64 v[10:11], v[10:11], 0, v[12:13]
	;; [unrolled: 1-line block ×3, first 2 shown]
	global_load_dwordx4 v[14:17], v[30:31], off
	global_load_dwordx4 v[10:13], v[20:21], off offset:2048
	global_load_dwordx4 v[26:29], v[22:23], off offset:2048
	s_waitcnt vmcnt(5)
	v_mad_i64_i32 v[40:41], s[16:17], v18, s45, 0
	ds_read_b128 v[22:25], v36
	ds_read_b128 v[18:21], v36 offset:2048
	global_load_dwordx4 v[30:33], v[30:31], off offset:2048
	v_lshl_add_u64 v[40:41], v[40:41], 1, s[8:9]
	v_lshl_add_u64 v[38:39], v[40:41], 0, v[38:39]
	;; [unrolled: 1-line block ×3, first 2 shown]
	global_load_dwordx4 v[44:47], v[38:39], off
	global_load_dwordx4 v[62:65], v[38:39], off offset:2048
	v_mov_b32_e32 v53, s15
	s_ashr_i32 s15, s14, 31
	v_and_or_b32 v52, v0, 48, s14
	s_lshr_b32 s9, s15, 27
	v_add_u32_e32 v40, s9, v52
	v_or_b32_e32 v48, 64, v52
	v_ashrrev_i32_e32 v36, 5, v40
	v_cmp_gt_i32_e32 vcc, s33, v52
	v_add_u32_e32 v41, s9, v48
	v_ashrrev_i32_e32 v49, 5, v41
	v_cndmask_b32_e32 v40, v53, v36, vcc
	v_ashrrev_i32_e32 v41, 31, v40
	v_lshl_add_u64 v[40:41], v[40:41], 2, s[12:13]
	v_cmp_gt_i32_e32 vcc, s33, v48
	global_load_dword v57, v[40:41], off
	v_or_b32_e32 v39, 0x80, v52
	v_and_b32_e32 v36, 16, v0
	s_add_u32 s6, s10, s6
	v_lshlrev_b32_e32 v38, 6, v55
	s_addc_u32 s7, s11, s7
	v_lshlrev_b32_e32 v36, 1, v36
	s_load_dword s8, s[0:1], 0x1c
	s_mov_b32 s42, 0xff7fffff
	s_waitcnt vmcnt(6) lgkmcnt(0)
	v_mfma_f32_16x16x16_f16 v[58:61], v[14:15], v[22:23], 0
	v_mfma_f32_16x16x16_f16 v[40:43], v[6:7], v[22:23], 0
	v_cndmask_b32_e32 v6, v53, v49, vcc
	v_ashrrev_i32_e32 v7, 31, v6
	v_cmp_gt_i32_e32 vcc, s33, v39
	v_mfma_f32_16x16x16_f16 v[48:51], v[2:3], v[22:23], 0
	v_lshl_add_u64 v[2:3], v[6:7], 2, s[12:13]
	global_load_dword v66, v[2:3], off
	v_mfma_f32_16x16x16_f16 v[6:9], v[8:9], v[24:25], v[40:43]
	v_mfma_f32_16x16x16_f16 v[2:5], v[4:5], v[24:25], v[48:51]
	s_nop 1
	v_or_b32_e32 v40, 0xc0, v52
	v_add_u32_e32 v41, s9, v39
	v_add_u32_e32 v42, s9, v40
	s_waitcnt vmcnt(6)
	v_mfma_f32_16x16x16_f16 v[6:9], v[10:11], v[18:19], v[6:9]
	v_ashrrev_i32_e32 v41, 5, v41
	v_ashrrev_i32_e32 v43, 5, v42
	v_cndmask_b32_e32 v42, v53, v41, vcc
	v_cmp_gt_i32_e32 vcc, s33, v40
	s_waitcnt vmcnt(5)
	v_mfma_f32_16x16x16_f16 v[2:5], v[26:27], v[18:19], v[2:5]
	v_lshl_add_u64 v[10:11], s[6:7], 0, v[36:37]
	v_cndmask_b32_e32 v26, v53, v43, vcc
	v_ashrrev_i32_e32 v43, 31, v42
	v_lshl_or_b32 v36, v54, 10, v38
	v_ashrrev_i32_e32 v27, 31, v26
	v_mfma_f32_16x16x16_f16 v[38:41], v[12:13], v[20:21], v[6:9]
	v_lshl_add_u64 v[10:11], v[10:11], 0, v[36:37]
	s_waitcnt vmcnt(0)
	v_mad_i64_i32 v[12:13], s[6:7], v66, s45, 0
	v_lshl_add_u64 v[6:7], v[42:43], 2, s[12:13]
	v_mfma_f32_16x16x16_f16 v[14:17], v[16:17], v[24:25], v[58:61]
	v_lshl_add_u64 v[8:9], v[26:27], 2, s[12:13]
	global_load_dword v36, v[6:7], off
	s_nop 0
	global_load_dword v60, v[8:9], off
	v_lshl_add_u64 v[58:59], v[12:13], 1, v[10:11]
	v_mfma_f32_16x16x16_f16 v[14:17], v[30:31], v[18:19], v[14:17]
	v_pk_mul_f32 v[12:13], s[8:9], v[38:39] op_sel_hi:[0,1]
	v_pk_mul_f32 v[50:51], s[8:9], v[40:41] op_sel_hi:[0,1]
	v_mfma_f32_16x16x16_f16 v[14:17], v[32:33], v[20:21], v[14:17]
	v_mfma_f32_16x16x16_f16 v[30:33], v[44:45], v[22:23], 0
	;; [unrolled: 1-line block ×3, first 2 shown]
	s_nop 4
	v_pk_mul_f32 v[46:47], s[8:9], v[16:17] op_sel_hi:[0,1]
	v_pk_mul_f32 v[48:49], s[8:9], v[14:15] op_sel_hi:[0,1]
	v_mfma_f32_16x16x16_f16 v[22:25], v[62:63], v[18:19], v[22:25]
	v_mfma_f32_16x16x16_f16 v[14:17], v[64:65], v[20:21], v[22:25]
	v_mfma_f32_16x16x16_f16 v[26:29], v[28:29], v[20:21], v[2:5]
	s_nop 5
	v_pk_mul_f32 v[44:45], s[8:9], v[14:15] op_sel_hi:[0,1]
	v_and_b32_e32 v14, 0xc0, v0
	v_add_u32_e32 v14, s14, v14
	v_lshl_or_b32 v14, v1, 2, v14
	v_pk_mul_f32 v[38:39], s[8:9], v[16:17] op_sel_hi:[0,1]
	v_or_b32_e32 v17, 1, v14
	v_mov_b32_e32 v15, 0xff7fffff
	v_cmp_gt_i32_e64 s[30:31], s33, v14
	v_cmp_gt_i32_e64 s[34:35], s33, v17
	v_or_b32_e32 v18, 3, v14
	v_cndmask_b32_e64 v16, v15, v12, s[30:31]
	v_cndmask_b32_e64 v17, v15, v13, s[34:35]
	v_max3_f32 v16, v16, s42, v17
	v_or_b32_e32 v17, 2, v14
	v_cmp_gt_i32_e64 s[36:37], s33, v17
	v_cmp_gt_i32_e64 s[38:39], s33, v18
	v_pk_mul_f32 v[42:43], s[8:9], v[26:27] op_sel_hi:[0,1]
	v_cndmask_b32_e64 v17, v15, v50, s[36:37]
	v_cndmask_b32_e64 v18, v15, v51, s[38:39]
	v_max3_f32 v16, v16, v17, v18
	v_or_b32_e32 v17, 16, v14
	v_or_b32_e32 v18, 17, v14
	v_cmp_gt_i32_e64 s[24:25], s33, v17
	v_cmp_gt_i32_e64 s[26:27], s33, v18
	v_pk_mul_f32 v[52:53], s[8:9], v[28:29] op_sel_hi:[0,1]
	v_cndmask_b32_e64 v17, v15, v42, s[24:25]
	v_cndmask_b32_e64 v18, v15, v43, s[26:27]
	v_max3_f32 v16, v16, v17, v18
	v_or_b32_e32 v17, 18, v14
	v_or_b32_e32 v18, 19, v14
	v_cmp_gt_i32_e64 s[20:21], s33, v17
	v_cmp_gt_i32_e64 s[22:23], s33, v18
	v_mad_i64_i32 v[2:3], s[6:7], v57, s45, 0
	v_cndmask_b32_e64 v17, v15, v52, s[20:21]
	v_cndmask_b32_e64 v18, v15, v53, s[22:23]
	v_max3_f32 v16, v16, v17, v18
	v_or_b32_e32 v17, 32, v14
	v_or_b32_e32 v18, 33, v14
	v_cmp_gt_i32_e64 s[16:17], s33, v17
	v_cmp_gt_i32_e64 s[18:19], s33, v18
	v_lshl_add_u64 v[2:3], v[2:3], 1, v[10:11]
	v_cndmask_b32_e64 v17, v15, v48, s[16:17]
	v_cndmask_b32_e64 v18, v15, v49, s[18:19]
	v_max3_f32 v16, v16, v17, v18
	v_or_b32_e32 v17, 34, v14
	v_or_b32_e32 v18, 35, v14
	v_cmp_gt_i32_e64 s[12:13], s33, v17
	v_cmp_gt_i32_e64 s[14:15], s33, v18
	global_load_dwordx4 v[6:9], v[2:3], off
	s_nop 0
	global_load_dwordx4 v[2:5], v[2:3], off offset:16
	v_cndmask_b32_e64 v17, v15, v46, s[12:13]
	v_cndmask_b32_e64 v18, v15, v47, s[14:15]
	v_max3_f32 v16, v16, v17, v18
	v_or_b32_e32 v17, 48, v14
	v_or_b32_e32 v18, 49, v14
	v_cmp_gt_i32_e64 s[8:9], s33, v17
	v_cmp_gt_i32_e64 s[10:11], s33, v18
	global_load_dwordx4 v[30:33], v[58:59], off
	global_load_dwordx4 v[26:29], v[58:59], off offset:16
	v_cndmask_b32_e64 v17, v15, v44, s[8:9]
	v_cndmask_b32_e64 v18, v15, v45, s[10:11]
	v_max3_f32 v16, v16, v17, v18
	v_or_b32_e32 v17, 50, v14
	v_or_b32_e32 v14, 51, v14
	v_cmp_gt_i32_e32 vcc, s33, v17
	v_cmp_gt_i32_e64 s[6:7], s33, v14
	s_nop 0
	v_cndmask_b32_e32 v17, v15, v38, vcc
	v_cndmask_b32_e64 v14, v15, v39, s[6:7]
	v_max3_f32 v16, v16, v17, v14
	v_mbcnt_lo_u32_b32 v14, -1, 0
	v_mbcnt_hi_u32_b32 v17, -1, v14
	v_and_b32_e32 v14, 64, v17
	v_add_u32_e32 v18, 64, v14
	v_xor_b32_e32 v14, 32, v17
	v_cmp_lt_i32_e64 s[40:41], v14, v18
	s_nop 1
	v_cndmask_b32_e64 v14, v17, v14, s[40:41]
	v_lshlrev_b32_e32 v57, 2, v14
	ds_bpermute_b32 v19, v57, v16
	s_waitcnt vmcnt(5)
	v_mad_i64_i32 v[14:15], s[40:41], v36, s45, 0
	v_lshl_add_u64 v[14:15], v[14:15], 1, v[10:11]
	s_waitcnt lgkmcnt(0)
	v_max_f32_e32 v19, v19, v19
	v_max_f32_e32 v16, v16, v19
	v_xor_b32_e32 v19, 16, v17
	v_cmp_lt_i32_e64 s[40:41], v19, v18
	s_nop 1
	v_cndmask_b32_e64 v17, v17, v19, s[40:41]
	v_lshlrev_b32_e32 v59, 2, v17
	ds_bpermute_b32 v17, v59, v16
	global_load_dwordx4 v[22:25], v[14:15], off
	global_load_dwordx4 v[18:21], v[14:15], off offset:16
	s_waitcnt vmcnt(6)
	v_mad_i64_i32 v[14:15], s[40:41], v60, s45, 0
	v_lshl_add_u64 v[10:11], v[14:15], 1, v[10:11]
	s_waitcnt lgkmcnt(0)
	v_max_f32_e32 v14, v17, v17
	v_max_f32_e32 v36, v16, v14
	v_sub_f32_e32 v12, v12, v36
	v_mul_f32_e32 v12, 0x3fb8aa3b, v12
	v_exp_f32_e32 v40, v12
	v_sub_f32_e32 v12, v13, v36
	v_mul_f32_e32 v12, 0x3fb8aa3b, v12
	v_exp_f32_e32 v41, v12
	global_load_dwordx4 v[14:17], v[10:11], off
	s_nop 0
	global_load_dwordx4 v[10:13], v[10:11], off offset:16
	v_sub_f32_e32 v50, v50, v36
	v_mul_f32_e32 v50, 0x3fb8aa3b, v50
	v_sub_f32_e32 v51, v51, v36
	v_exp_f32_e32 v50, v50
	v_mul_f32_e32 v51, 0x3fb8aa3b, v51
	v_sub_f32_e32 v42, v42, v36
	v_exp_f32_e32 v51, v51
	v_mul_f32_e32 v42, 0x3fb8aa3b, v42
	v_sub_f32_e32 v43, v43, v36
	v_cndmask_b32_e64 v40, 0, v40, s[30:31]
	v_exp_f32_e32 v42, v42
	v_mul_f32_e32 v43, 0x3fb8aa3b, v43
	v_sub_f32_e32 v52, v52, v36
	v_add_f32_e32 v58, 0, v40
	v_cndmask_b32_e64 v41, 0, v41, s[34:35]
	v_exp_f32_e32 v43, v43
	v_mul_f32_e32 v52, 0x3fb8aa3b, v52
	v_sub_f32_e32 v53, v53, v36
	v_add_f32_e32 v58, v58, v41
	;; [unrolled: 5-line block ×10, first 2 shown]
	v_cndmask_b32_e64 v46, 0, v46, s[12:13]
	v_exp_f32_e32 v38, v38
	v_mul_f32_e32 v39, 0x3fb8aa3b, v39
	v_add_f32_e32 v58, v58, v46
	v_cndmask_b32_e64 v47, 0, v47, s[14:15]
	v_exp_f32_e32 v39, v39
	v_add_f32_e32 v58, v58, v47
	v_cndmask_b32_e64 v44, 0, v44, s[8:9]
	v_add_f32_e32 v58, v58, v44
	v_cndmask_b32_e64 v45, 0, v45, s[10:11]
	v_add_f32_e32 v58, v58, v45
	v_cndmask_b32_e32 v38, 0, v38, vcc
	v_add_f32_e32 v58, v58, v38
	v_cndmask_b32_e64 v39, 0, v39, s[6:7]
	v_add_f32_e32 v58, v58, v39
	ds_bpermute_b32 v57, v57, v58
	v_cmp_gt_u32_e64 s[6:7], 16, v56
	s_waitcnt lgkmcnt(0)
	s_barrier
	v_add_f32_e32 v58, v58, v57
	ds_bpermute_b32 v59, v59, v58
	v_lshlrev_b32_e32 v57, 2, v55
	s_and_saveexec_b64 s[8:9], s[6:7]
	s_cbranch_execz .LBB148_15
; %bb.14:
	s_waitcnt lgkmcnt(0)
	v_add_f32_e32 v56, v58, v59
	v_lshl_or_b32 v58, v54, 6, v57
	ds_write2st64_b32 v58, v36, v56 offset1:1
.LBB148_15:
	s_or_b64 exec, exec, s[8:9]
	s_load_dwordx2 s[8:9], s[0:1], 0x94
	s_waitcnt lgkmcnt(0)
	s_barrier
	ds_read2_b32 v[58:59], v57 offset1:16
	ds_read2_b32 v[60:61], v57 offset0:32 offset1:48
	ds_read2_b32 v[62:63], v57 offset0:64 offset1:80
	s_waitcnt lgkmcnt(2)
	v_max3_f32 v36, v58, s42, v59
	s_waitcnt lgkmcnt(1)
	v_max3_f32 v56, v36, v60, v61
	v_sub_f32_e32 v36, v58, v56
	v_sub_f32_e32 v58, v59, v56
	v_mul_f32_e32 v58, 0x3fb8aa3b, v58
	v_mul_f32_e32 v36, 0x3fb8aa3b, v36
	v_exp_f32_e32 v64, v58
	v_sub_f32_e32 v58, v60, v56
	v_exp_f32_e32 v36, v36
	v_mul_f32_e32 v58, 0x3fb8aa3b, v58
	v_exp_f32_e32 v60, v58
	ds_read2_b32 v[58:59], v57 offset0:96 offset1:112
	v_sub_f32_e32 v57, v61, v56
	v_mul_f32_e32 v57, 0x3fb8aa3b, v57
	v_exp_f32_e32 v61, v57
	s_waitcnt lgkmcnt(1)
	v_fma_f32 v57, v36, v62, 0
	v_fmac_f32_e32 v57, v64, v63
	s_waitcnt lgkmcnt(0)
	v_fmac_f32_e32 v57, v60, v58
	v_fmac_f32_e32 v57, v61, v59
	v_add_f32_e32 v58, 0x358637bd, v57
	v_div_scale_f32 v59, s[10:11], v58, v58, 1.0
	v_rcp_f32_e32 v62, v59
	s_barrier
	v_fma_f32 v63, -v59, v62, 1.0
	v_fmac_f32_e32 v62, v63, v62
	v_div_scale_f32 v63, vcc, 1.0, v58, 1.0
	v_mul_f32_e32 v65, v63, v62
	v_fma_f32 v66, -v59, v65, v63
	v_fmac_f32_e32 v65, v66, v62
	v_fma_f32 v59, -v59, v65, v63
	v_div_fmas_f32 v59, v59, v62, v65
	v_cmp_eq_u32_e32 vcc, 1, v54
	v_div_fixup_f32 v58, v59, v58, 1.0
	s_nop 0
	v_cndmask_b32_e32 v36, v36, v64, vcc
	v_cmp_eq_u32_e32 vcc, 2, v54
	s_nop 1
	v_cndmask_b32_e32 v36, v36, v60, vcc
	v_cmp_eq_u32_e32 vcc, 3, v54
	s_nop 1
	v_cndmask_b32_e32 v36, v36, v61, vcc
	v_mul_f32_e32 v58, v36, v58
	v_pk_mul_f32 v[50:51], v[58:59], v[50:51] op_sel_hi:[0,1]
	v_pk_mul_f32 v[40:41], v[58:59], v[40:41] op_sel_hi:[0,1]
	v_cvt_f16_f32_e32 v36, v40
	v_cvt_f16_f32_e32 v40, v41
	;; [unrolled: 1-line block ×4, first 2 shown]
	v_pk_mul_f32 v[52:53], v[58:59], v[52:53] op_sel_hi:[0,1]
	v_pk_mul_f32 v[42:43], v[58:59], v[42:43] op_sel_hi:[0,1]
	v_pack_b32_f16 v50, v36, v40
	v_pack_b32_f16 v51, v41, v51
	v_cvt_f16_f32_e32 v41, v42
	v_cvt_f16_f32_e32 v42, v43
	v_cvt_f16_f32_e32 v43, v52
	v_cvt_f16_f32_e32 v52, v53
	v_lshlrev_b32_e32 v36, 3, v1
	v_lshlrev_b32_e32 v40, 5, v55
	v_lshlrev_b32_e32 v53, 11, v54
	v_or3_b32 v36, v53, v40, v36
	v_pack_b32_f16 v42, v41, v42
	v_pack_b32_f16 v43, v43, v52
	ds_write2st64_b64 v36, v[50:51], v[42:43] offset1:1
	v_pk_mul_f32 v[42:43], v[58:59], v[46:47] op_sel_hi:[0,1]
	v_pk_mul_f32 v[46:47], v[58:59], v[48:49] op_sel_hi:[0,1]
	v_cvt_f16_f32_e32 v41, v46
	v_cvt_f16_f32_e32 v46, v47
	;; [unrolled: 1-line block ×4, first 2 shown]
	v_pk_mul_f32 v[38:39], v[58:59], v[38:39] op_sel_hi:[0,1]
	v_pk_mul_f32 v[42:43], v[58:59], v[44:45] op_sel_hi:[0,1]
	v_cvt_f16_f32_e32 v42, v42
	v_cvt_f16_f32_e32 v43, v43
	;; [unrolled: 1-line block ×4, first 2 shown]
	v_pack_b32_f16 v38, v41, v46
	v_pack_b32_f16 v39, v47, v48
	;; [unrolled: 1-line block ×4, first 2 shown]
	v_cmp_eq_u32_e32 vcc, 0, v0
	ds_write2st64_b64 v36, v[38:39], v[42:43] offset0:2 offset1:3
	s_and_saveexec_b64 s[10:11], vcc
	s_cbranch_execz .LBB148_17
; %bb.16:
	s_mul_i32 s3, s3, s9
	s_mul_hi_u32 s16, s2, s9
	s_add_i32 s16, s16, s3
	s_mul_i32 s3, s2, s9
	s_add_u32 s3, s3, s4
	s_addc_u32 s16, s16, 0
	s_load_dwordx4 s[12:15], s[0:1], 0x58
	s_mul_i32 s16, s16, s8
	s_mul_hi_u32 s17, s3, s8
	s_add_i32 s17, s17, s16
	s_mul_i32 s3, s3, s8
	s_add_u32 s16, s3, s5
	s_addc_u32 s17, s17, 0
	s_lshl_b64 s[16:17], s[16:17], 2
	s_waitcnt lgkmcnt(0)
	s_add_u32 s14, s14, s16
	s_addc_u32 s15, s15, s17
	s_add_u32 s12, s12, s16
	s_addc_u32 s13, s13, s17
	global_store_dword v37, v56, s[14:15]
	global_store_dword v37, v57, s[12:13]
.LBB148_17:
	s_or_b64 exec, exec, s[10:11]
	v_lshl_or_b32 v37, v1, 9, v40
	s_waitcnt lgkmcnt(0)
	s_barrier
	ds_read_b128 v[38:41], v37
	ds_read_b128 v[42:45], v37 offset:16
	s_waitcnt vmcnt(7) lgkmcnt(1)
	v_mfma_f32_16x16x16_f16 v[46:49], v[6:7], v[38:39], 0
	v_cmp_gt_u32_e32 vcc, 64, v0
	s_and_b64 s[10:11], s[28:29], vcc
	s_mov_b32 s3, 0
	v_mfma_f32_16x16x16_f16 v[6:9], v[8:9], v[40:41], v[46:49]
	s_and_b64 s[6:7], s[10:11], s[6:7]
	s_waitcnt vmcnt(6) lgkmcnt(0)
	v_mfma_f32_16x16x16_f16 v[6:9], v[2:3], v[42:43], v[6:9]
	v_mfma_f32_16x16x16_f16 v[2:5], v[4:5], v[44:45], v[6:9]
	s_nop 5
	ds_read_b128 v[6:9], v37 offset:2048
	ds_read_b128 v[38:41], v37 offset:2064
	s_waitcnt vmcnt(5) lgkmcnt(1)
	v_mfma_f32_16x16x16_f16 v[2:5], v[30:31], v[6:7], v[2:5]
	v_mfma_f32_16x16x16_f16 v[2:5], v[32:33], v[8:9], v[2:5]
	s_waitcnt vmcnt(4) lgkmcnt(0)
	v_mfma_f32_16x16x16_f16 v[2:5], v[26:27], v[38:39], v[2:5]
	v_mfma_f32_16x16x16_f16 v[2:5], v[28:29], v[40:41], v[2:5]
	ds_read_b128 v[6:9], v37 offset:4096
	ds_read_b128 v[26:29], v37 offset:4112
	s_waitcnt vmcnt(3) lgkmcnt(1)
	v_mfma_f32_16x16x16_f16 v[2:5], v[22:23], v[6:7], v[2:5]
	v_mfma_f32_16x16x16_f16 v[2:5], v[24:25], v[8:9], v[2:5]
	s_waitcnt vmcnt(2) lgkmcnt(0)
	v_mfma_f32_16x16x16_f16 v[2:5], v[18:19], v[26:27], v[2:5]
	v_mfma_f32_16x16x16_f16 v[2:5], v[20:21], v[28:29], v[2:5]
	ds_read_b128 v[6:9], v37 offset:6144
	ds_read_b128 v[18:21], v37 offset:6160
	s_waitcnt lgkmcnt(0)
	s_barrier
	s_waitcnt vmcnt(1)
	v_mfma_f32_16x16x16_f16 v[2:5], v[14:15], v[6:7], v[2:5]
	v_mfma_f32_16x16x16_f16 v[2:5], v[16:17], v[8:9], v[2:5]
	s_waitcnt vmcnt(0)
	v_mfma_f32_16x16x16_f16 v[2:5], v[10:11], v[18:19], v[2:5]
	v_mfma_f32_16x16x16_f16 v[2:5], v[12:13], v[20:21], v[2:5]
	s_nop 6
	v_cvt_f16_f32_e32 v2, v2
	v_cvt_f16_f32_e32 v3, v3
	;; [unrolled: 1-line block ×4, first 2 shown]
	v_pack_b32_f16 v2, v2, v3
	v_pack_b32_f16 v3, v4, v5
	ds_write_b64 v36, v[2:3]
	s_waitcnt lgkmcnt(0)
	s_barrier
	s_and_saveexec_b64 s[10:11], s[6:7]
	s_cbranch_execz .LBB148_19
; %bb.18:
	s_load_dwordx2 s[0:1], s[0:1], 0x68
	s_mul_i32 s2, s9, s2
	s_lshl_b32 s8, s8, 6
	s_mul_hi_u32 s7, s2, s8
	s_mul_i32 s6, s2, s8
	s_lshl_b64 s[6:7], s[6:7], 1
	s_waitcnt lgkmcnt(0)
	s_add_u32 s6, s0, s6
	v_lshlrev_b32_e32 v2, 10, v0
	v_lshlrev_b32_e32 v0, 4, v0
	s_addc_u32 s7, s1, s7
	s_lshl_b32 s2, s5, 6
	v_and_b32_e32 v2, 0x1800, v2
	v_lshlrev_b32_e32 v1, 5, v1
	v_and_b32_e32 v0, 16, v0
	s_lshl_b64 s[0:1], s[2:3], 1
	v_or3_b32 v0, v2, v1, v0
	s_add_u32 s2, s6, s0
	ds_read_b128 v[0:3], v0
	s_addc_u32 s3, s7, s1
	s_mul_hi_u32 s1, s8, s4
	s_mul_i32 s0, s8, s4
	s_lshl_b64 s[0:1], s[0:1], 1
	s_add_u32 s0, s2, s0
	s_addc_u32 s1, s3, s1
	v_lshl_add_u64 v[4:5], v[34:35], 1, s[0:1]
	s_waitcnt lgkmcnt(0)
	global_store_dwordx4 v[4:5], v[0:3], off
.LBB148_19:
	s_endpgm
	.section	.rodata,"a",@progbits
	.p2align	6, 0x0
	.amdhsa_kernel _Z39paged_attention_ll4mi_QKV_mfma16_kernelIDF16_DF16_LN4vllm18Fp8KVCacheDataTypeE0EhLi32ELi64ELi256ELb0ELi1EEvPKT_PKT0_S7_ifPKiS9_S9_iPKfiiiPfSC_PS2_PT2_iSB_SB_
		.amdhsa_group_segment_fixed_size 8192
		.amdhsa_private_segment_fixed_size 0
		.amdhsa_kernarg_size 400
		.amdhsa_user_sgpr_count 2
		.amdhsa_user_sgpr_dispatch_ptr 0
		.amdhsa_user_sgpr_queue_ptr 0
		.amdhsa_user_sgpr_kernarg_segment_ptr 1
		.amdhsa_user_sgpr_dispatch_id 0
		.amdhsa_user_sgpr_kernarg_preload_length 0
		.amdhsa_user_sgpr_kernarg_preload_offset 0
		.amdhsa_user_sgpr_private_segment_size 0
		.amdhsa_uses_dynamic_stack 0
		.amdhsa_enable_private_segment 0
		.amdhsa_system_sgpr_workgroup_id_x 1
		.amdhsa_system_sgpr_workgroup_id_y 1
		.amdhsa_system_sgpr_workgroup_id_z 1
		.amdhsa_system_sgpr_workgroup_info 0
		.amdhsa_system_vgpr_workitem_id 0
		.amdhsa_next_free_vgpr 67
		.amdhsa_next_free_sgpr 48
		.amdhsa_accum_offset 68
		.amdhsa_reserve_vcc 1
		.amdhsa_float_round_mode_32 0
		.amdhsa_float_round_mode_16_64 0
		.amdhsa_float_denorm_mode_32 3
		.amdhsa_float_denorm_mode_16_64 3
		.amdhsa_dx10_clamp 1
		.amdhsa_ieee_mode 1
		.amdhsa_fp16_overflow 0
		.amdhsa_tg_split 0
		.amdhsa_exception_fp_ieee_invalid_op 0
		.amdhsa_exception_fp_denorm_src 0
		.amdhsa_exception_fp_ieee_div_zero 0
		.amdhsa_exception_fp_ieee_overflow 0
		.amdhsa_exception_fp_ieee_underflow 0
		.amdhsa_exception_fp_ieee_inexact 0
		.amdhsa_exception_int_div_zero 0
	.end_amdhsa_kernel
	.section	.text._Z39paged_attention_ll4mi_QKV_mfma16_kernelIDF16_DF16_LN4vllm18Fp8KVCacheDataTypeE0EhLi32ELi64ELi256ELb0ELi1EEvPKT_PKT0_S7_ifPKiS9_S9_iPKfiiiPfSC_PS2_PT2_iSB_SB_,"axG",@progbits,_Z39paged_attention_ll4mi_QKV_mfma16_kernelIDF16_DF16_LN4vllm18Fp8KVCacheDataTypeE0EhLi32ELi64ELi256ELb0ELi1EEvPKT_PKT0_S7_ifPKiS9_S9_iPKfiiiPfSC_PS2_PT2_iSB_SB_,comdat
.Lfunc_end148:
	.size	_Z39paged_attention_ll4mi_QKV_mfma16_kernelIDF16_DF16_LN4vllm18Fp8KVCacheDataTypeE0EhLi32ELi64ELi256ELb0ELi1EEvPKT_PKT0_S7_ifPKiS9_S9_iPKfiiiPfSC_PS2_PT2_iSB_SB_, .Lfunc_end148-_Z39paged_attention_ll4mi_QKV_mfma16_kernelIDF16_DF16_LN4vllm18Fp8KVCacheDataTypeE0EhLi32ELi64ELi256ELb0ELi1EEvPKT_PKT0_S7_ifPKiS9_S9_iPKfiiiPfSC_PS2_PT2_iSB_SB_
                                        ; -- End function
	.section	.AMDGPU.csdata,"",@progbits
; Kernel info:
; codeLenInByte = 3728
; NumSgprs: 54
; NumVgprs: 67
; NumAgprs: 0
; TotalNumVgprs: 67
; ScratchSize: 0
; MemoryBound: 0
; FloatMode: 240
; IeeeMode: 1
; LDSByteSize: 8192 bytes/workgroup (compile time only)
; SGPRBlocks: 6
; VGPRBlocks: 8
; NumSGPRsForWavesPerEU: 54
; NumVGPRsForWavesPerEU: 67
; AccumOffset: 68
; Occupancy: 7
; WaveLimiterHint : 1
; COMPUTE_PGM_RSRC2:SCRATCH_EN: 0
; COMPUTE_PGM_RSRC2:USER_SGPR: 2
; COMPUTE_PGM_RSRC2:TRAP_HANDLER: 0
; COMPUTE_PGM_RSRC2:TGID_X_EN: 1
; COMPUTE_PGM_RSRC2:TGID_Y_EN: 1
; COMPUTE_PGM_RSRC2:TGID_Z_EN: 1
; COMPUTE_PGM_RSRC2:TIDIG_COMP_CNT: 0
; COMPUTE_PGM_RSRC3_GFX90A:ACCUM_OFFSET: 16
; COMPUTE_PGM_RSRC3_GFX90A:TG_SPLIT: 0
	.section	.text._Z39paged_attention_ll4mi_QKV_mfma16_kernelIDF16_DF16_LN4vllm18Fp8KVCacheDataTypeE0EhLi32ELi64ELi256ELb0ELi2EEvPKT_PKT0_S7_ifPKiS9_S9_iPKfiiiPfSC_PS2_PT2_iSB_SB_,"axG",@progbits,_Z39paged_attention_ll4mi_QKV_mfma16_kernelIDF16_DF16_LN4vllm18Fp8KVCacheDataTypeE0EhLi32ELi64ELi256ELb0ELi2EEvPKT_PKT0_S7_ifPKiS9_S9_iPKfiiiPfSC_PS2_PT2_iSB_SB_,comdat
	.protected	_Z39paged_attention_ll4mi_QKV_mfma16_kernelIDF16_DF16_LN4vllm18Fp8KVCacheDataTypeE0EhLi32ELi64ELi256ELb0ELi2EEvPKT_PKT0_S7_ifPKiS9_S9_iPKfiiiPfSC_PS2_PT2_iSB_SB_ ; -- Begin function _Z39paged_attention_ll4mi_QKV_mfma16_kernelIDF16_DF16_LN4vllm18Fp8KVCacheDataTypeE0EhLi32ELi64ELi256ELb0ELi2EEvPKT_PKT0_S7_ifPKiS9_S9_iPKfiiiPfSC_PS2_PT2_iSB_SB_
	.globl	_Z39paged_attention_ll4mi_QKV_mfma16_kernelIDF16_DF16_LN4vllm18Fp8KVCacheDataTypeE0EhLi32ELi64ELi256ELb0ELi2EEvPKT_PKT0_S7_ifPKiS9_S9_iPKfiiiPfSC_PS2_PT2_iSB_SB_
	.p2align	8
	.type	_Z39paged_attention_ll4mi_QKV_mfma16_kernelIDF16_DF16_LN4vllm18Fp8KVCacheDataTypeE0EhLi32ELi64ELi256ELb0ELi2EEvPKT_PKT0_S7_ifPKiS9_S9_iPKfiiiPfSC_PS2_PT2_iSB_SB_,@function
_Z39paged_attention_ll4mi_QKV_mfma16_kernelIDF16_DF16_LN4vllm18Fp8KVCacheDataTypeE0EhLi32ELi64ELi256ELb0ELi2EEvPKT_PKT0_S7_ifPKiS9_S9_iPKfiiiPfSC_PS2_PT2_iSB_SB_: ; @_Z39paged_attention_ll4mi_QKV_mfma16_kernelIDF16_DF16_LN4vllm18Fp8KVCacheDataTypeE0EhLi32ELi64ELi256ELb0ELi2EEvPKT_PKT0_S7_ifPKiS9_S9_iPKfiiiPfSC_PS2_PT2_iSB_SB_
; %bb.0:
	s_load_dwordx2 s[6:7], s[0:1], 0x30
	s_mov_b32 s28, s3
	s_mov_b64 s[10:11], 0
	s_waitcnt lgkmcnt(0)
	s_cmp_lg_u64 s[6:7], 0
	s_cselect_b64 s[8:9], -1, 0
	s_and_b64 vcc, exec, s[8:9]
	s_cbranch_vccz .LBB149_7
; %bb.1:
	s_add_i32 s12, s2, 1
	s_mov_b32 s13, 0
	s_lshl_b64 s[14:15], s[12:13], 2
	s_add_u32 s14, s6, s14
	s_mov_b32 s3, s13
	s_addc_u32 s15, s7, s15
	s_lshl_b64 s[12:13], s[2:3], 2
	s_add_u32 s12, s6, s12
	s_addc_u32 s13, s7, s13
	s_load_dword s5, s[14:15], 0x0
	s_load_dword s16, s[12:13], 0x0
	s_waitcnt lgkmcnt(0)
	s_sub_i32 s5, s5, s16
	s_cmp_eq_u32 s5, 1
	s_cselect_b64 s[12:13], -1, 0
	s_andn2_b64 vcc, exec, s[10:11]
	s_cbranch_vccnz .LBB149_3
.LBB149_2:
	s_mov_b32 s3, 0
	s_mov_b64 s[12:13], -1
.LBB149_3:
	s_andn2_b64 vcc, exec, s[12:13]
	s_cbranch_vccnz .LBB149_19
; %bb.4:
	s_load_dwordx2 s[12:13], s[0:1], 0x28
	s_lshl_b64 s[10:11], s[2:3], 2
	s_waitcnt lgkmcnt(0)
	s_add_u32 s12, s12, s10
	s_addc_u32 s13, s13, s11
	s_load_dword s40, s[12:13], 0x0
	s_lshl_b32 s14, s28, 8
	s_waitcnt lgkmcnt(0)
	s_cmp_ge_i32 s14, s40
	s_cbranch_scc1 .LBB149_19
; %bb.5:
	s_load_dwordx2 s[12:13], s[0:1], 0x20
	s_load_dword s5, s[0:1], 0x38
	s_add_i32 s15, s40, 31
	s_ashr_i32 s16, s15, 31
	v_and_b32_e32 v1, 0xcf, v0
	s_lshr_b32 s16, s16, 27
	v_add_u32_e32 v1, s14, v1
	s_add_i32 s15, s15, s16
	v_ashrrev_i32_e32 v2, 31, v1
	s_ashr_i32 s15, s15, 5
	v_lshrrev_b32_e32 v10, 27, v2
	s_add_i32 s15, s15, -1
	s_waitcnt lgkmcnt(0)
	s_mul_i32 s16, s2, s5
	s_mov_b32 s17, 0
	v_add_u32_e32 v2, v1, v10
	s_lshl_b64 s[16:17], s[16:17], 2
	v_ashrrev_i32_e32 v2, 5, v2
	v_mov_b32_e32 v11, s15
	v_cmp_gt_i32_e32 vcc, s40, v1
	s_add_u32 s12, s12, s16
	s_addc_u32 s13, s13, s17
	v_cndmask_b32_e32 v2, v11, v2, vcc
	v_ashrrev_i32_e32 v3, 31, v2
	v_lshl_add_u64 v[4:5], v[2:3], 2, s[12:13]
	v_or_b32_e32 v2, 16, v1
	v_add_u32_e32 v3, v2, v10
	v_ashrrev_i32_e32 v3, 5, v3
	v_cmp_gt_i32_e32 vcc, s40, v2
	s_nop 1
	v_cndmask_b32_e32 v2, v11, v3, vcc
	v_ashrrev_i32_e32 v3, 31, v2
	v_lshl_add_u64 v[6:7], v[2:3], 2, s[12:13]
	v_or_b32_e32 v2, 32, v1
	v_add_u32_e32 v3, v2, v10
	v_ashrrev_i32_e32 v3, 5, v3
	v_cmp_gt_i32_e32 vcc, s40, v2
	v_or_b32_e32 v1, 48, v1
	s_nop 0
	v_cndmask_b32_e32 v2, v11, v3, vcc
	v_ashrrev_i32_e32 v3, 31, v2
	v_lshl_add_u64 v[8:9], v[2:3], 2, s[12:13]
	v_add_u32_e32 v2, v1, v10
	v_ashrrev_i32_e32 v2, 5, v2
	v_cmp_gt_i32_e32 vcc, s40, v1
	s_nop 1
	v_cndmask_b32_e32 v2, v11, v2, vcc
	v_ashrrev_i32_e32 v3, 31, v2
	v_lshl_add_u64 v[12:13], v[2:3], 2, s[12:13]
	global_load_dword v3, v[4:5], off
	global_load_dword v2, v[6:7], off
	;; [unrolled: 1-line block ×4, first 2 shown]
	s_andn2_b64 vcc, exec, s[8:9]
	s_cbranch_vccnz .LBB149_8
; %bb.6:
	s_add_u32 s6, s6, s10
	s_addc_u32 s7, s7, s11
	s_load_dword s5, s[6:7], 0x0
	s_branch .LBB149_9
.LBB149_7:
	s_mov_b64 s[12:13], 0
	s_branch .LBB149_2
.LBB149_8:
	s_mov_b32 s5, s2
.LBB149_9:
	s_load_dwordx4 s[8:11], s[0:1], 0x8
	s_load_dwordx4 s[44:47], s[0:1], 0x48
	v_lshrrev_b32_e32 v53, 6, v0
	v_bfe_u32 v1, v0, 4, 2
	v_lshl_or_b32 v4, v53, 2, v1
	v_and_b32_e32 v54, 15, v0
	v_cmp_lt_u32_e32 vcc, 1, v4
	v_cmp_lt_u32_e64 s[6:7], 7, v54
	v_lshlrev_b32_e32 v34, 3, v54
	v_cmp_gt_u32_e64 s[30:31], 8, v54
	s_or_b64 s[6:7], s[6:7], vcc
	s_and_saveexec_b64 s[16:17], s[6:7]
	s_xor_b64 s[6:7], exec, s[16:17]
; %bb.10:
	v_mov_b32_e32 v35, 0
                                        ; implicit-def: $vgpr4
; %bb.11:
	s_or_saveexec_b64 s[6:7], s[6:7]
	s_lshl_b32 s29, s4, 1
	v_and_b32_e32 v52, 63, v0
	s_xor_b64 exec, exec, s[6:7]
	s_cbranch_execz .LBB149_13
; %bb.12:
	s_load_dwordx2 s[16:17], s[0:1], 0x0
	s_waitcnt lgkmcnt(0)
	s_ashr_i32 s18, s44, 31
	s_mul_hi_u32 s19, s5, s44
	s_mul_i32 s18, s5, s18
	s_add_i32 s19, s19, s18
	s_mul_i32 s18, s5, s44
	s_lshl_b64 s[18:19], s[18:19], 1
	s_add_u32 s16, s16, s18
	v_add_lshl_u32 v6, v1, s29, 6
	s_addc_u32 s17, s17, s19
	v_ashrrev_i32_e32 v7, 31, v6
	v_mov_b32_e32 v35, 0
	v_lshl_add_u64 v[6:7], v[6:7], 1, s[16:17]
	v_lshlrev_b32_e32 v8, 1, v34
	v_mov_b32_e32 v9, v35
	v_lshl_add_u64 v[6:7], v[6:7], 0, v[8:9]
	global_load_dwordx4 v[6:9], v[6:7], off
	v_and_b32_e32 v5, 3, v0
	v_lshlrev_b32_e32 v11, 9, v54
	v_lshlrev_b32_e32 v4, 5, v4
	;; [unrolled: 1-line block ×3, first 2 shown]
	v_and_b32_e32 v11, 0x1800, v11
	v_or3_b32 v4, v11, v5, v4
	s_waitcnt vmcnt(0)
	ds_write_b128 v4, v[6:9]
.LBB149_13:
	s_or_b64 exec, exec, s[6:7]
	s_waitcnt lgkmcnt(0)
	s_mul_i32 s4, s4, s46
	s_mov_b32 s5, 0
	s_lshl_b64 s[4:5], s[4:5], 1
	s_add_u32 s8, s8, s4
	s_addc_u32 s9, s9, s5
	s_waitcnt vmcnt(3)
	v_mad_i64_i32 v[4:5], s[16:17], v3, s45, 0
	v_lshl_add_u64 v[4:5], v[4:5], 1, s[8:9]
	v_lshlrev_b64 v[12:13], 1, v[34:35]
	v_lshlrev_b32_e32 v36, 9, v1
	v_lshl_add_u64 v[4:5], v[4:5], 0, v[12:13]
	v_mov_b32_e32 v37, 0
	v_lshl_add_u64 v[20:21], v[4:5], 0, v[36:37]
	s_waitcnt vmcnt(2)
	v_mad_i64_i32 v[2:3], s[16:17], v2, s45, 0
	v_mov_b32_e32 v4, 0x100
	v_lshl_add_u64 v[2:3], v[2:3], 1, s[8:9]
	v_lshl_or_b32 v38, v54, 4, v4
	v_mov_b32_e32 v39, v37
	s_load_dword s33, s[0:1], 0x98
	s_load_dword s6, s[0:1], 0x1c
	s_waitcnt lgkmcnt(0)
	s_barrier
	v_lshl_add_u64 v[2:3], v[2:3], 0, v[38:39]
	global_load_dwordx4 v[6:9], v[20:21], off
	v_lshl_add_u64 v[22:23], v[2:3], 0, v[36:37]
	global_load_dwordx4 v[2:5], v[22:23], off
	global_load_dwordx4 v[26:29], v[22:23], off offset:2048
	s_waitcnt vmcnt(4)
	v_mad_i64_i32 v[10:11], s[16:17], v10, s45, 0
	v_lshl_add_u64 v[10:11], v[10:11], 1, s[8:9]
	v_lshl_add_u64 v[10:11], v[10:11], 0, v[12:13]
	;; [unrolled: 1-line block ×3, first 2 shown]
	global_load_dwordx4 v[10:13], v[20:21], off offset:2048
	global_load_dwordx4 v[14:17], v[24:25], off
	global_load_dwordx4 v[30:33], v[24:25], off offset:2048
	s_waitcnt vmcnt(6)
	v_mad_i64_i32 v[40:41], s[16:17], v18, s45, 0
	v_lshl_add_u64 v[40:41], v[40:41], 1, s[8:9]
	v_and_b32_e32 v19, 1, v0
	v_lshl_add_u64 v[38:39], v[40:41], 0, v[38:39]
	v_lshl_or_b32 v18, v19, 5, v36
	v_lshl_add_u64 v[38:39], v[38:39], 0, v[36:37]
	ds_read_b128 v[22:25], v18
	ds_read_b128 v[18:21], v18 offset:2048
	global_load_dwordx4 v[44:47], v[38:39], off
	global_load_dwordx4 v[60:63], v[38:39], off offset:2048
	s_ashr_i32 s7, s14, 31
	v_and_or_b32 v55, v0, 48, s14
	s_lshr_b32 s7, s7, 27
	v_add_u32_e32 v40, s7, v55
	v_mov_b32_e32 v64, s15
	v_or_b32_e32 v48, 64, v55
	v_ashrrev_i32_e32 v36, 5, v40
	v_cmp_gt_i32_e32 vcc, s40, v55
	v_add_u32_e32 v41, s7, v48
	v_ashrrev_i32_e32 v49, 5, v41
	v_cndmask_b32_e32 v40, v64, v36, vcc
	v_ashrrev_i32_e32 v41, 31, v40
	v_lshl_add_u64 v[40:41], v[40:41], 2, s[12:13]
	v_cmp_gt_i32_e32 vcc, s40, v48
	global_load_dword v65, v[40:41], off
	v_or_b32_e32 v39, 0x80, v55
	v_and_b32_e32 v36, 16, v0
	s_add_u32 s4, s10, s4
	v_lshlrev_b32_e32 v38, 6, v54
	s_addc_u32 s5, s11, s5
	v_lshlrev_b32_e32 v36, 1, v36
	s_mov_b32 s42, 0xff7fffff
	s_waitcnt vmcnt(8) lgkmcnt(1)
	v_mfma_f32_16x16x16_f16 v[40:43], v[6:7], v[22:23], 0
	v_cndmask_b32_e32 v6, v64, v49, vcc
	v_ashrrev_i32_e32 v7, 31, v6
	v_cmp_gt_i32_e32 vcc, s40, v39
	s_waitcnt vmcnt(7)
	v_mfma_f32_16x16x16_f16 v[48:51], v[2:3], v[22:23], 0
	v_lshl_add_u64 v[2:3], v[6:7], 2, s[12:13]
	global_load_dword v66, v[2:3], off
	v_mfma_f32_16x16x16_f16 v[6:9], v[8:9], v[24:25], v[40:43]
	v_mfma_f32_16x16x16_f16 v[2:5], v[4:5], v[24:25], v[48:51]
	s_nop 1
	v_or_b32_e32 v40, 0xc0, v55
	v_add_u32_e32 v41, s7, v39
	v_add_u32_e32 v42, s7, v40
	s_waitcnt vmcnt(6) lgkmcnt(0)
	v_mfma_f32_16x16x16_f16 v[6:9], v[10:11], v[18:19], v[6:9]
	v_ashrrev_i32_e32 v41, 5, v41
	v_ashrrev_i32_e32 v43, 5, v42
	v_cndmask_b32_e32 v42, v64, v41, vcc
	s_waitcnt vmcnt(5)
	v_mfma_f32_16x16x16_f16 v[56:59], v[14:15], v[22:23], 0
	v_cmp_gt_i32_e32 vcc, s40, v40
	v_lshl_add_u64 v[10:11], s[4:5], 0, v[36:37]
	v_lshl_or_b32 v36, v53, 10, v38
	v_mfma_f32_16x16x16_f16 v[2:5], v[26:27], v[18:19], v[2:5]
	v_cndmask_b32_e32 v26, v64, v43, vcc
	v_ashrrev_i32_e32 v43, 31, v42
	v_ashrrev_i32_e32 v27, 31, v26
	v_mfma_f32_16x16x16_f16 v[38:41], v[12:13], v[20:21], v[6:9]
	v_lshl_add_u64 v[10:11], v[10:11], 0, v[36:37]
	s_waitcnt vmcnt(0)
	v_mad_i64_i32 v[12:13], s[4:5], v66, s45, 0
	v_lshl_add_u64 v[6:7], v[42:43], 2, s[12:13]
	v_mfma_f32_16x16x16_f16 v[14:17], v[16:17], v[24:25], v[56:59]
	v_lshl_add_u64 v[8:9], v[26:27], 2, s[12:13]
	global_load_dword v55, v[6:7], off
	s_nop 0
	global_load_dword v58, v[8:9], off
	v_lshl_add_u64 v[56:57], v[12:13], 1, v[10:11]
	v_mfma_f32_16x16x16_f16 v[14:17], v[30:31], v[18:19], v[14:17]
	v_pk_mul_f32 v[12:13], s[6:7], v[38:39] op_sel_hi:[0,1]
	v_pk_mul_f32 v[48:49], s[6:7], v[40:41] op_sel_hi:[0,1]
	v_mfma_f32_16x16x16_f16 v[14:17], v[32:33], v[20:21], v[14:17]
	v_mfma_f32_16x16x16_f16 v[30:33], v[44:45], v[22:23], 0
	;; [unrolled: 1-line block ×3, first 2 shown]
	s_nop 4
	v_pk_mul_f32 v[44:45], s[6:7], v[16:17] op_sel_hi:[0,1]
	v_pk_mul_f32 v[46:47], s[6:7], v[14:15] op_sel_hi:[0,1]
	v_mfma_f32_16x16x16_f16 v[22:25], v[60:61], v[18:19], v[22:25]
	v_mfma_f32_16x16x16_f16 v[14:17], v[62:63], v[20:21], v[22:25]
	;; [unrolled: 1-line block ×3, first 2 shown]
	s_nop 5
	v_pk_mul_f32 v[42:43], s[6:7], v[14:15] op_sel_hi:[0,1]
	v_and_b32_e32 v14, 0xc0, v0
	v_add_u32_e32 v14, s14, v14
	v_lshl_or_b32 v14, v1, 2, v14
	v_mad_i64_i32 v[2:3], s[4:5], v65, s45, 0
	v_pk_mul_f32 v[36:37], s[6:7], v[16:17] op_sel_hi:[0,1]
	v_or_b32_e32 v17, 1, v14
	v_mov_b32_e32 v15, 0xff7fffff
	v_cmp_gt_i32_e64 s[4:5], s40, v14
	v_cmp_gt_i32_e64 s[34:35], s40, v17
	v_or_b32_e32 v18, 3, v14
	v_cndmask_b32_e64 v16, v15, v12, s[4:5]
	v_cndmask_b32_e64 v17, v15, v13, s[34:35]
	v_max3_f32 v16, v16, s42, v17
	v_or_b32_e32 v17, 2, v14
	v_cmp_gt_i32_e64 s[36:37], s40, v17
	v_cmp_gt_i32_e64 s[38:39], s40, v18
	v_pk_mul_f32 v[40:41], s[6:7], v[26:27] op_sel_hi:[0,1]
	v_cndmask_b32_e64 v17, v15, v48, s[36:37]
	v_cndmask_b32_e64 v18, v15, v49, s[38:39]
	v_max3_f32 v16, v16, v17, v18
	v_or_b32_e32 v17, 16, v14
	v_or_b32_e32 v18, 17, v14
	v_cmp_gt_i32_e64 s[24:25], s40, v17
	v_cmp_gt_i32_e64 s[26:27], s40, v18
	v_pk_mul_f32 v[50:51], s[6:7], v[28:29] op_sel_hi:[0,1]
	v_cndmask_b32_e64 v17, v15, v40, s[24:25]
	v_cndmask_b32_e64 v18, v15, v41, s[26:27]
	v_max3_f32 v16, v16, v17, v18
	v_or_b32_e32 v17, 18, v14
	v_or_b32_e32 v18, 19, v14
	v_cmp_gt_i32_e64 s[20:21], s40, v17
	v_cmp_gt_i32_e64 s[22:23], s40, v18
	v_lshl_add_u64 v[2:3], v[2:3], 1, v[10:11]
	v_cndmask_b32_e64 v17, v15, v50, s[20:21]
	v_cndmask_b32_e64 v18, v15, v51, s[22:23]
	v_max3_f32 v16, v16, v17, v18
	v_or_b32_e32 v17, 32, v14
	v_or_b32_e32 v18, 33, v14
	v_cmp_gt_i32_e64 s[16:17], s40, v17
	v_cmp_gt_i32_e64 s[18:19], s40, v18
	global_load_dwordx4 v[6:9], v[2:3], off
	s_nop 0
	global_load_dwordx4 v[2:5], v[2:3], off offset:16
	v_cndmask_b32_e64 v17, v15, v46, s[16:17]
	v_cndmask_b32_e64 v18, v15, v47, s[18:19]
	v_max3_f32 v16, v16, v17, v18
	v_or_b32_e32 v17, 34, v14
	v_or_b32_e32 v18, 35, v14
	v_cmp_gt_i32_e64 s[12:13], s40, v17
	v_cmp_gt_i32_e64 s[14:15], s40, v18
	global_load_dwordx4 v[30:33], v[56:57], off
	global_load_dwordx4 v[26:29], v[56:57], off offset:16
	v_cndmask_b32_e64 v17, v15, v44, s[12:13]
	v_cndmask_b32_e64 v18, v15, v45, s[14:15]
	v_max3_f32 v16, v16, v17, v18
	v_or_b32_e32 v17, 48, v14
	v_or_b32_e32 v18, 49, v14
	v_cmp_gt_i32_e64 s[8:9], s40, v17
	v_cmp_gt_i32_e64 s[10:11], s40, v18
	s_nop 0
	v_cndmask_b32_e64 v17, v15, v42, s[8:9]
	v_cndmask_b32_e64 v18, v15, v43, s[10:11]
	v_max3_f32 v16, v16, v17, v18
	v_or_b32_e32 v17, 50, v14
	v_or_b32_e32 v14, 51, v14
	v_cmp_gt_i32_e32 vcc, s40, v17
	v_cmp_gt_i32_e64 s[6:7], s40, v14
	s_nop 0
	v_cndmask_b32_e32 v17, v15, v36, vcc
	v_cndmask_b32_e64 v14, v15, v37, s[6:7]
	v_max3_f32 v16, v16, v17, v14
	v_mbcnt_lo_u32_b32 v14, -1, 0
	v_mbcnt_hi_u32_b32 v17, -1, v14
	v_and_b32_e32 v14, 64, v17
	v_add_u32_e32 v18, 64, v14
	v_xor_b32_e32 v14, 32, v17
	v_cmp_lt_i32_e64 s[40:41], v14, v18
	s_nop 1
	v_cndmask_b32_e64 v14, v17, v14, s[40:41]
	v_lshlrev_b32_e32 v59, 2, v14
	ds_bpermute_b32 v19, v59, v16
	s_waitcnt vmcnt(5)
	v_mad_i64_i32 v[14:15], s[40:41], v55, s45, 0
	v_lshl_add_u64 v[14:15], v[14:15], 1, v[10:11]
	s_waitcnt lgkmcnt(0)
	v_max_f32_e32 v19, v19, v19
	v_max_f32_e32 v16, v16, v19
	v_xor_b32_e32 v19, 16, v17
	v_cmp_lt_i32_e64 s[40:41], v19, v18
	s_nop 1
	v_cndmask_b32_e64 v17, v17, v19, s[40:41]
	v_lshlrev_b32_e32 v56, 2, v17
	ds_bpermute_b32 v17, v56, v16
	global_load_dwordx4 v[22:25], v[14:15], off
	global_load_dwordx4 v[18:21], v[14:15], off offset:16
	s_waitcnt vmcnt(6)
	v_mad_i64_i32 v[14:15], s[40:41], v58, s45, 0
	v_lshl_add_u64 v[10:11], v[14:15], 1, v[10:11]
	s_waitcnt lgkmcnt(0)
	v_max_f32_e32 v14, v17, v17
	v_max_f32_e32 v55, v16, v14
	v_sub_f32_e32 v12, v12, v55
	v_mul_f32_e32 v12, 0x3fb8aa3b, v12
	v_exp_f32_e32 v38, v12
	v_sub_f32_e32 v12, v13, v55
	v_mul_f32_e32 v12, 0x3fb8aa3b, v12
	v_exp_f32_e32 v39, v12
	global_load_dwordx4 v[14:17], v[10:11], off
	s_nop 0
	global_load_dwordx4 v[10:13], v[10:11], off offset:16
	v_sub_f32_e32 v48, v48, v55
	v_mul_f32_e32 v48, 0x3fb8aa3b, v48
	v_sub_f32_e32 v49, v49, v55
	v_exp_f32_e32 v48, v48
	v_mul_f32_e32 v49, 0x3fb8aa3b, v49
	v_sub_f32_e32 v40, v40, v55
	v_exp_f32_e32 v49, v49
	v_mul_f32_e32 v40, 0x3fb8aa3b, v40
	v_sub_f32_e32 v41, v41, v55
	v_cndmask_b32_e64 v38, 0, v38, s[4:5]
	v_exp_f32_e32 v40, v40
	v_mul_f32_e32 v41, 0x3fb8aa3b, v41
	v_sub_f32_e32 v50, v50, v55
	v_add_f32_e32 v57, 0, v38
	v_cndmask_b32_e64 v39, 0, v39, s[34:35]
	v_exp_f32_e32 v41, v41
	v_mul_f32_e32 v50, 0x3fb8aa3b, v50
	v_sub_f32_e32 v51, v51, v55
	v_add_f32_e32 v57, v57, v39
	;; [unrolled: 5-line block ×10, first 2 shown]
	v_cndmask_b32_e64 v44, 0, v44, s[12:13]
	v_exp_f32_e32 v36, v36
	v_mul_f32_e32 v37, 0x3fb8aa3b, v37
	v_add_f32_e32 v57, v57, v44
	v_cndmask_b32_e64 v45, 0, v45, s[14:15]
	v_exp_f32_e32 v37, v37
	v_add_f32_e32 v57, v57, v45
	v_cndmask_b32_e64 v42, 0, v42, s[8:9]
	v_add_f32_e32 v57, v57, v42
	v_cndmask_b32_e64 v43, 0, v43, s[10:11]
	v_add_f32_e32 v57, v57, v43
	v_cndmask_b32_e32 v36, 0, v36, vcc
	v_add_f32_e32 v57, v57, v36
	v_cndmask_b32_e64 v37, 0, v37, s[6:7]
	v_add_f32_e32 v57, v57, v37
	ds_bpermute_b32 v58, v59, v57
	v_cmp_gt_u32_e32 vcc, 16, v52
	s_waitcnt lgkmcnt(0)
	s_barrier
	v_add_f32_e32 v57, v57, v58
	ds_bpermute_b32 v58, v56, v57
	v_lshlrev_b32_e32 v56, 2, v54
	s_and_saveexec_b64 s[4:5], vcc
	s_cbranch_execz .LBB149_15
; %bb.14:
	s_waitcnt lgkmcnt(0)
	v_add_f32_e32 v57, v57, v58
	v_lshl_or_b32 v58, v53, 6, v56
	ds_write2st64_b32 v58, v55, v57 offset1:1
.LBB149_15:
	s_or_b64 exec, exec, s[4:5]
	s_load_dword s6, s[0:1], 0x94
	s_waitcnt lgkmcnt(0)
	s_barrier
	ds_read2_b32 v[58:59], v56 offset1:16
	ds_read2_b32 v[60:61], v56 offset0:32 offset1:48
	ds_read2_b32 v[62:63], v56 offset0:64 offset1:80
	s_lshl_b32 s7, s33, 1
	s_waitcnt lgkmcnt(2)
	v_max3_f32 v55, v58, s42, v59
	s_waitcnt lgkmcnt(1)
	v_max3_f32 v55, v55, v60, v61
	v_sub_f32_e32 v57, v58, v55
	v_sub_f32_e32 v58, v59, v55
	v_mul_f32_e32 v58, 0x3fb8aa3b, v58
	v_mul_f32_e32 v57, 0x3fb8aa3b, v57
	v_exp_f32_e32 v64, v58
	v_sub_f32_e32 v58, v60, v55
	v_exp_f32_e32 v57, v57
	v_mul_f32_e32 v58, 0x3fb8aa3b, v58
	v_exp_f32_e32 v60, v58
	ds_read2_b32 v[58:59], v56 offset0:96 offset1:112
	v_sub_f32_e32 v56, v61, v55
	v_mul_f32_e32 v56, 0x3fb8aa3b, v56
	v_exp_f32_e32 v61, v56
	s_waitcnt lgkmcnt(1)
	v_fma_f32 v56, v57, v62, 0
	v_fmac_f32_e32 v56, v64, v63
	s_waitcnt lgkmcnt(0)
	v_fmac_f32_e32 v56, v60, v58
	v_fmac_f32_e32 v56, v61, v59
	v_add_f32_e32 v58, 0x358637bd, v56
	v_div_scale_f32 v59, s[4:5], v58, v58, 1.0
	v_rcp_f32_e32 v62, v59
	s_barrier
	v_fma_f32 v63, -v59, v62, 1.0
	v_fmac_f32_e32 v62, v63, v62
	v_div_scale_f32 v63, vcc, 1.0, v58, 1.0
	v_mul_f32_e32 v65, v63, v62
	v_fma_f32 v66, -v59, v65, v63
	v_fmac_f32_e32 v65, v66, v62
	v_fma_f32 v59, -v59, v65, v63
	v_div_fmas_f32 v59, v59, v62, v65
	v_cmp_eq_u32_e32 vcc, 1, v53
	v_div_fixup_f32 v58, v59, v58, 1.0
	s_nop 0
	v_cndmask_b32_e32 v57, v57, v64, vcc
	v_cmp_eq_u32_e32 vcc, 2, v53
	s_nop 1
	v_cndmask_b32_e32 v57, v57, v60, vcc
	v_cmp_eq_u32_e32 vcc, 3, v53
	v_lshlrev_b32_e32 v53, 11, v53
	s_nop 0
	v_cndmask_b32_e32 v57, v57, v61, vcc
	v_mul_f32_e32 v58, v57, v58
	v_pk_mul_f32 v[38:39], v[58:59], v[38:39] op_sel_hi:[0,1]
	v_pk_mul_f32 v[48:49], v[58:59], v[48:49] op_sel_hi:[0,1]
	v_cvt_f16_f32_e32 v38, v38
	v_cvt_f16_f32_e32 v39, v39
	v_pk_mul_f32 v[50:51], v[58:59], v[50:51] op_sel_hi:[0,1]
	v_pk_mul_f32 v[40:41], v[58:59], v[40:41] op_sel_hi:[0,1]
	v_cvt_f16_f32_e32 v57, v48
	v_cvt_f16_f32_e32 v49, v49
	;; [unrolled: 1-line block ×6, first 2 shown]
	v_pack_b32_f16 v48, v38, v39
	v_lshlrev_b32_e32 v38, 3, v1
	v_lshlrev_b32_e32 v39, 5, v54
	v_pack_b32_f16 v49, v57, v49
	v_or3_b32 v38, v53, v39, v38
	v_pack_b32_f16 v40, v40, v41
	v_pack_b32_f16 v41, v50, v51
	ds_write2st64_b64 v38, v[48:49], v[40:41] offset1:1
	v_pk_mul_f32 v[40:41], v[58:59], v[44:45] op_sel_hi:[0,1]
	v_pk_mul_f32 v[44:45], v[58:59], v[46:47] op_sel_hi:[0,1]
	v_cvt_f16_f32_e32 v46, v40
	v_cvt_f16_f32_e32 v47, v41
	v_pk_mul_f32 v[36:37], v[58:59], v[36:37] op_sel_hi:[0,1]
	v_pk_mul_f32 v[40:41], v[58:59], v[42:43] op_sel_hi:[0,1]
	v_cvt_f16_f32_e32 v44, v44
	v_cvt_f16_f32_e32 v45, v45
	;; [unrolled: 1-line block ×6, first 2 shown]
	v_pack_b32_f16 v36, v44, v45
	v_pack_b32_f16 v37, v46, v47
	;; [unrolled: 1-line block ×4, first 2 shown]
	v_cmp_gt_u32_e32 vcc, 2, v0
	ds_write2st64_b64 v38, v[36:37], v[40:41] offset0:2 offset1:3
	s_and_saveexec_b64 s[4:5], vcc
	s_cbranch_execz .LBB149_17
; %bb.16:
	v_or_b32_e32 v36, s29, v0
	v_mov_b32_e32 v37, 0
	v_mov_b32_e32 v40, s7
	v_mad_u64_u32 v[40:41], s[12:13], s2, v40, v[36:37]
	v_mov_b32_e32 v36, s28
	s_load_dwordx4 s[8:11], s[0:1], 0x58
	s_mul_i32 s3, s3, s7
	v_mad_u64_u32 v[36:37], s[12:13], v40, s6, v[36:37]
	v_add_u32_e32 v41, s3, v41
	v_mov_b32_e32 v40, v37
	v_mad_u64_u32 v[40:41], s[12:13], v41, s6, v[40:41]
	v_mov_b32_e32 v37, v40
	v_lshlrev_b64 v[36:37], 2, v[36:37]
	s_waitcnt lgkmcnt(0)
	v_lshl_add_u64 v[40:41], s[10:11], 0, v[36:37]
	v_lshl_add_u64 v[36:37], s[8:9], 0, v[36:37]
	global_store_dword v[40:41], v55, off
	global_store_dword v[36:37], v56, off
.LBB149_17:
	s_or_b64 exec, exec, s[4:5]
	v_lshl_or_b32 v36, v1, 9, v39
	s_waitcnt lgkmcnt(0)
	s_barrier
	ds_read_b128 v[40:43], v36
	ds_read_b128 v[44:47], v36 offset:16
	s_waitcnt vmcnt(7) lgkmcnt(1)
	v_mfma_f32_16x16x16_f16 v[48:51], v[6:7], v[40:41], 0
	v_cmp_gt_u32_e32 vcc, 64, v0
	v_cmp_gt_u32_e64 s[4:5], 32, v52
	s_and_b64 s[4:5], s[4:5], vcc
	v_mfma_f32_16x16x16_f16 v[6:9], v[8:9], v[42:43], v[48:51]
	s_mov_b32 s3, 0
	s_and_b64 s[4:5], s[4:5], s[30:31]
	s_waitcnt vmcnt(6) lgkmcnt(0)
	v_mfma_f32_16x16x16_f16 v[6:9], v[2:3], v[44:45], v[6:9]
	v_mfma_f32_16x16x16_f16 v[2:5], v[4:5], v[46:47], v[6:9]
	s_nop 5
	ds_read_b128 v[6:9], v36 offset:2048
	ds_read_b128 v[40:43], v36 offset:2064
	s_waitcnt vmcnt(5) lgkmcnt(1)
	v_mfma_f32_16x16x16_f16 v[2:5], v[30:31], v[6:7], v[2:5]
	v_mfma_f32_16x16x16_f16 v[2:5], v[32:33], v[8:9], v[2:5]
	s_waitcnt vmcnt(4) lgkmcnt(0)
	v_mfma_f32_16x16x16_f16 v[2:5], v[26:27], v[40:41], v[2:5]
	v_mfma_f32_16x16x16_f16 v[2:5], v[28:29], v[42:43], v[2:5]
	ds_read_b128 v[6:9], v36 offset:4096
	ds_read_b128 v[26:29], v36 offset:4112
	s_waitcnt vmcnt(3) lgkmcnt(1)
	v_mfma_f32_16x16x16_f16 v[2:5], v[22:23], v[6:7], v[2:5]
	v_mfma_f32_16x16x16_f16 v[2:5], v[24:25], v[8:9], v[2:5]
	s_waitcnt vmcnt(2) lgkmcnt(0)
	v_mfma_f32_16x16x16_f16 v[2:5], v[18:19], v[26:27], v[2:5]
	v_mfma_f32_16x16x16_f16 v[2:5], v[20:21], v[28:29], v[2:5]
	ds_read_b128 v[6:9], v36 offset:6144
	ds_read_b128 v[18:21], v36 offset:6160
	s_waitcnt lgkmcnt(0)
	s_barrier
	s_waitcnt vmcnt(1)
	v_mfma_f32_16x16x16_f16 v[2:5], v[14:15], v[6:7], v[2:5]
	v_mfma_f32_16x16x16_f16 v[2:5], v[16:17], v[8:9], v[2:5]
	s_waitcnt vmcnt(0)
	v_mfma_f32_16x16x16_f16 v[2:5], v[10:11], v[18:19], v[2:5]
	v_mfma_f32_16x16x16_f16 v[2:5], v[12:13], v[20:21], v[2:5]
	s_nop 6
	v_cvt_f16_f32_e32 v2, v2
	v_cvt_f16_f32_e32 v3, v3
	;; [unrolled: 1-line block ×4, first 2 shown]
	v_pack_b32_f16 v2, v2, v3
	v_pack_b32_f16 v3, v4, v5
	ds_write_b64 v38, v[2:3]
	s_waitcnt lgkmcnt(0)
	s_barrier
	s_and_saveexec_b64 s[8:9], s[4:5]
	s_cbranch_execz .LBB149_19
; %bb.18:
	s_load_dwordx2 s[0:1], s[0:1], 0x68
	s_mul_i32 s2, s7, s2
	s_lshl_b32 s6, s6, 6
	s_mul_hi_u32 s5, s2, s6
	s_mul_i32 s4, s2, s6
	v_lshlrev_b32_e32 v2, 10, v0
	v_lshlrev_b32_e32 v0, 4, v0
	s_lshl_b64 s[4:5], s[4:5], 1
	v_and_b32_e32 v2, 0x1800, v2
	v_lshlrev_b32_e32 v3, 5, v1
	v_and_b32_e32 v0, 16, v0
	s_waitcnt lgkmcnt(0)
	s_add_u32 s4, s0, s4
	v_or3_b32 v0, v2, v3, v0
	s_addc_u32 s5, s1, s5
	s_lshl_b32 s2, s28, 6
	ds_read_b128 v[2:5], v0
	s_lshl_b64 s[0:1], s[2:3], 1
	s_add_u32 s0, s4, s0
	v_or_b32_e32 v0, s29, v1
	s_addc_u32 s1, s5, s1
	v_mad_u64_u32 v[0:1], s[2:3], s6, v0, 0
	v_lshl_add_u64 v[0:1], v[0:1], 1, s[0:1]
	v_lshl_add_u64 v[0:1], v[34:35], 1, v[0:1]
	s_waitcnt lgkmcnt(0)
	global_store_dwordx4 v[0:1], v[2:5], off
.LBB149_19:
	s_endpgm
	.section	.rodata,"a",@progbits
	.p2align	6, 0x0
	.amdhsa_kernel _Z39paged_attention_ll4mi_QKV_mfma16_kernelIDF16_DF16_LN4vllm18Fp8KVCacheDataTypeE0EhLi32ELi64ELi256ELb0ELi2EEvPKT_PKT0_S7_ifPKiS9_S9_iPKfiiiPfSC_PS2_PT2_iSB_SB_
		.amdhsa_group_segment_fixed_size 8192
		.amdhsa_private_segment_fixed_size 0
		.amdhsa_kernarg_size 400
		.amdhsa_user_sgpr_count 2
		.amdhsa_user_sgpr_dispatch_ptr 0
		.amdhsa_user_sgpr_queue_ptr 0
		.amdhsa_user_sgpr_kernarg_segment_ptr 1
		.amdhsa_user_sgpr_dispatch_id 0
		.amdhsa_user_sgpr_kernarg_preload_length 0
		.amdhsa_user_sgpr_kernarg_preload_offset 0
		.amdhsa_user_sgpr_private_segment_size 0
		.amdhsa_uses_dynamic_stack 0
		.amdhsa_enable_private_segment 0
		.amdhsa_system_sgpr_workgroup_id_x 1
		.amdhsa_system_sgpr_workgroup_id_y 1
		.amdhsa_system_sgpr_workgroup_id_z 1
		.amdhsa_system_sgpr_workgroup_info 0
		.amdhsa_system_vgpr_workitem_id 0
		.amdhsa_next_free_vgpr 67
		.amdhsa_next_free_sgpr 48
		.amdhsa_accum_offset 68
		.amdhsa_reserve_vcc 1
		.amdhsa_float_round_mode_32 0
		.amdhsa_float_round_mode_16_64 0
		.amdhsa_float_denorm_mode_32 3
		.amdhsa_float_denorm_mode_16_64 3
		.amdhsa_dx10_clamp 1
		.amdhsa_ieee_mode 1
		.amdhsa_fp16_overflow 0
		.amdhsa_tg_split 0
		.amdhsa_exception_fp_ieee_invalid_op 0
		.amdhsa_exception_fp_denorm_src 0
		.amdhsa_exception_fp_ieee_div_zero 0
		.amdhsa_exception_fp_ieee_overflow 0
		.amdhsa_exception_fp_ieee_underflow 0
		.amdhsa_exception_fp_ieee_inexact 0
		.amdhsa_exception_int_div_zero 0
	.end_amdhsa_kernel
	.section	.text._Z39paged_attention_ll4mi_QKV_mfma16_kernelIDF16_DF16_LN4vllm18Fp8KVCacheDataTypeE0EhLi32ELi64ELi256ELb0ELi2EEvPKT_PKT0_S7_ifPKiS9_S9_iPKfiiiPfSC_PS2_PT2_iSB_SB_,"axG",@progbits,_Z39paged_attention_ll4mi_QKV_mfma16_kernelIDF16_DF16_LN4vllm18Fp8KVCacheDataTypeE0EhLi32ELi64ELi256ELb0ELi2EEvPKT_PKT0_S7_ifPKiS9_S9_iPKfiiiPfSC_PS2_PT2_iSB_SB_,comdat
.Lfunc_end149:
	.size	_Z39paged_attention_ll4mi_QKV_mfma16_kernelIDF16_DF16_LN4vllm18Fp8KVCacheDataTypeE0EhLi32ELi64ELi256ELb0ELi2EEvPKT_PKT0_S7_ifPKiS9_S9_iPKfiiiPfSC_PS2_PT2_iSB_SB_, .Lfunc_end149-_Z39paged_attention_ll4mi_QKV_mfma16_kernelIDF16_DF16_LN4vllm18Fp8KVCacheDataTypeE0EhLi32ELi64ELi256ELb0ELi2EEvPKT_PKT0_S7_ifPKiS9_S9_iPKfiiiPfSC_PS2_PT2_iSB_SB_
                                        ; -- End function
	.section	.AMDGPU.csdata,"",@progbits
; Kernel info:
; codeLenInByte = 3804
; NumSgprs: 54
; NumVgprs: 67
; NumAgprs: 0
; TotalNumVgprs: 67
; ScratchSize: 0
; MemoryBound: 0
; FloatMode: 240
; IeeeMode: 1
; LDSByteSize: 8192 bytes/workgroup (compile time only)
; SGPRBlocks: 6
; VGPRBlocks: 8
; NumSGPRsForWavesPerEU: 54
; NumVGPRsForWavesPerEU: 67
; AccumOffset: 68
; Occupancy: 7
; WaveLimiterHint : 1
; COMPUTE_PGM_RSRC2:SCRATCH_EN: 0
; COMPUTE_PGM_RSRC2:USER_SGPR: 2
; COMPUTE_PGM_RSRC2:TRAP_HANDLER: 0
; COMPUTE_PGM_RSRC2:TGID_X_EN: 1
; COMPUTE_PGM_RSRC2:TGID_Y_EN: 1
; COMPUTE_PGM_RSRC2:TGID_Z_EN: 1
; COMPUTE_PGM_RSRC2:TIDIG_COMP_CNT: 0
; COMPUTE_PGM_RSRC3_GFX90A:ACCUM_OFFSET: 16
; COMPUTE_PGM_RSRC3_GFX90A:TG_SPLIT: 0
	.section	.text._Z39paged_attention_ll4mi_QKV_mfma16_kernelIDF16_DF16_LN4vllm18Fp8KVCacheDataTypeE0EhLi32ELi64ELi256ELb0ELi3EEvPKT_PKT0_S7_ifPKiS9_S9_iPKfiiiPfSC_PS2_PT2_iSB_SB_,"axG",@progbits,_Z39paged_attention_ll4mi_QKV_mfma16_kernelIDF16_DF16_LN4vllm18Fp8KVCacheDataTypeE0EhLi32ELi64ELi256ELb0ELi3EEvPKT_PKT0_S7_ifPKiS9_S9_iPKfiiiPfSC_PS2_PT2_iSB_SB_,comdat
	.protected	_Z39paged_attention_ll4mi_QKV_mfma16_kernelIDF16_DF16_LN4vllm18Fp8KVCacheDataTypeE0EhLi32ELi64ELi256ELb0ELi3EEvPKT_PKT0_S7_ifPKiS9_S9_iPKfiiiPfSC_PS2_PT2_iSB_SB_ ; -- Begin function _Z39paged_attention_ll4mi_QKV_mfma16_kernelIDF16_DF16_LN4vllm18Fp8KVCacheDataTypeE0EhLi32ELi64ELi256ELb0ELi3EEvPKT_PKT0_S7_ifPKiS9_S9_iPKfiiiPfSC_PS2_PT2_iSB_SB_
	.globl	_Z39paged_attention_ll4mi_QKV_mfma16_kernelIDF16_DF16_LN4vllm18Fp8KVCacheDataTypeE0EhLi32ELi64ELi256ELb0ELi3EEvPKT_PKT0_S7_ifPKiS9_S9_iPKfiiiPfSC_PS2_PT2_iSB_SB_
	.p2align	8
	.type	_Z39paged_attention_ll4mi_QKV_mfma16_kernelIDF16_DF16_LN4vllm18Fp8KVCacheDataTypeE0EhLi32ELi64ELi256ELb0ELi3EEvPKT_PKT0_S7_ifPKiS9_S9_iPKfiiiPfSC_PS2_PT2_iSB_SB_,@function
_Z39paged_attention_ll4mi_QKV_mfma16_kernelIDF16_DF16_LN4vllm18Fp8KVCacheDataTypeE0EhLi32ELi64ELi256ELb0ELi3EEvPKT_PKT0_S7_ifPKiS9_S9_iPKfiiiPfSC_PS2_PT2_iSB_SB_: ; @_Z39paged_attention_ll4mi_QKV_mfma16_kernelIDF16_DF16_LN4vllm18Fp8KVCacheDataTypeE0EhLi32ELi64ELi256ELb0ELi3EEvPKT_PKT0_S7_ifPKiS9_S9_iPKfiiiPfSC_PS2_PT2_iSB_SB_
; %bb.0:
	s_load_dwordx2 s[6:7], s[0:1], 0x30
	s_mov_b32 s28, s3
	s_mov_b64 s[10:11], 0
	s_waitcnt lgkmcnt(0)
	s_cmp_lg_u64 s[6:7], 0
	s_cselect_b64 s[8:9], -1, 0
	s_and_b64 vcc, exec, s[8:9]
	s_cbranch_vccz .LBB150_7
; %bb.1:
	s_add_i32 s12, s2, 1
	s_mov_b32 s13, 0
	s_lshl_b64 s[14:15], s[12:13], 2
	s_add_u32 s14, s6, s14
	s_mov_b32 s3, s13
	s_addc_u32 s15, s7, s15
	s_lshl_b64 s[12:13], s[2:3], 2
	s_add_u32 s12, s6, s12
	s_addc_u32 s13, s7, s13
	s_load_dword s5, s[14:15], 0x0
	s_load_dword s16, s[12:13], 0x0
	s_waitcnt lgkmcnt(0)
	s_sub_i32 s5, s5, s16
	s_cmp_eq_u32 s5, 1
	s_cselect_b64 s[12:13], -1, 0
	s_andn2_b64 vcc, exec, s[10:11]
	s_cbranch_vccnz .LBB150_3
.LBB150_2:
	s_mov_b32 s3, 0
	s_mov_b64 s[12:13], -1
.LBB150_3:
	s_andn2_b64 vcc, exec, s[12:13]
	s_cbranch_vccnz .LBB150_19
; %bb.4:
	s_load_dwordx2 s[12:13], s[0:1], 0x28
	s_lshl_b64 s[10:11], s[2:3], 2
	s_waitcnt lgkmcnt(0)
	s_add_u32 s12, s12, s10
	s_addc_u32 s13, s13, s11
	s_load_dword s33, s[12:13], 0x0
	s_lshl_b32 s14, s28, 8
	s_waitcnt lgkmcnt(0)
	s_cmp_ge_i32 s14, s33
	s_cbranch_scc1 .LBB150_19
; %bb.5:
	s_load_dwordx2 s[12:13], s[0:1], 0x20
	s_load_dword s5, s[0:1], 0x38
	s_add_i32 s15, s33, 31
	s_ashr_i32 s16, s15, 31
	v_and_b32_e32 v1, 0xcf, v0
	s_lshr_b32 s16, s16, 27
	v_add_u32_e32 v1, s14, v1
	s_add_i32 s15, s15, s16
	v_ashrrev_i32_e32 v2, 31, v1
	s_ashr_i32 s15, s15, 5
	v_lshrrev_b32_e32 v10, 27, v2
	s_add_i32 s15, s15, -1
	s_waitcnt lgkmcnt(0)
	s_mul_i32 s16, s2, s5
	s_mov_b32 s17, 0
	v_add_u32_e32 v2, v1, v10
	s_lshl_b64 s[16:17], s[16:17], 2
	v_ashrrev_i32_e32 v2, 5, v2
	v_mov_b32_e32 v11, s15
	v_cmp_gt_i32_e32 vcc, s33, v1
	s_add_u32 s12, s12, s16
	s_addc_u32 s13, s13, s17
	v_cndmask_b32_e32 v2, v11, v2, vcc
	v_ashrrev_i32_e32 v3, 31, v2
	v_lshl_add_u64 v[4:5], v[2:3], 2, s[12:13]
	v_or_b32_e32 v2, 16, v1
	v_add_u32_e32 v3, v2, v10
	v_ashrrev_i32_e32 v3, 5, v3
	v_cmp_gt_i32_e32 vcc, s33, v2
	s_nop 1
	v_cndmask_b32_e32 v2, v11, v3, vcc
	v_ashrrev_i32_e32 v3, 31, v2
	v_lshl_add_u64 v[6:7], v[2:3], 2, s[12:13]
	v_or_b32_e32 v2, 32, v1
	v_add_u32_e32 v3, v2, v10
	v_ashrrev_i32_e32 v3, 5, v3
	v_cmp_gt_i32_e32 vcc, s33, v2
	v_or_b32_e32 v1, 48, v1
	s_nop 0
	v_cndmask_b32_e32 v2, v11, v3, vcc
	v_ashrrev_i32_e32 v3, 31, v2
	v_lshl_add_u64 v[8:9], v[2:3], 2, s[12:13]
	v_add_u32_e32 v2, v1, v10
	v_ashrrev_i32_e32 v2, 5, v2
	v_cmp_gt_i32_e32 vcc, s33, v1
	s_nop 1
	v_cndmask_b32_e32 v2, v11, v2, vcc
	v_ashrrev_i32_e32 v3, 31, v2
	v_lshl_add_u64 v[12:13], v[2:3], 2, s[12:13]
	global_load_dword v3, v[4:5], off
	global_load_dword v2, v[6:7], off
	global_load_dword v10, v[8:9], off
	global_load_dword v16, v[12:13], off
	s_andn2_b64 vcc, exec, s[8:9]
	s_cbranch_vccnz .LBB150_8
; %bb.6:
	s_add_u32 s6, s6, s10
	s_addc_u32 s7, s7, s11
	s_load_dword s5, s[6:7], 0x0
	s_branch .LBB150_9
.LBB150_7:
	s_mov_b64 s[12:13], 0
	s_branch .LBB150_2
.LBB150_8:
	s_mov_b32 s5, s2
.LBB150_9:
	s_load_dwordx4 s[8:11], s[0:1], 0x8
	s_load_dwordx4 s[44:47], s[0:1], 0x48
	v_lshrrev_b32_e32 v37, 6, v0
	v_bfe_u32 v1, v0, 4, 2
	v_lshl_or_b32 v4, v37, 2, v1
	v_and_b32_e32 v36, 15, v0
	v_cmp_lt_u32_e32 vcc, 2, v4
	v_cmp_lt_u32_e64 s[6:7], 7, v36
	s_mul_i32 s42, s4, 3
	v_lshlrev_b32_e32 v34, 3, v36
	v_cmp_gt_u32_e64 s[30:31], 8, v36
	s_or_b64 s[6:7], s[6:7], vcc
	s_and_saveexec_b64 s[16:17], s[6:7]
	s_xor_b64 s[6:7], exec, s[16:17]
; %bb.10:
	v_mov_b32_e32 v35, 0
                                        ; implicit-def: $vgpr4
; %bb.11:
	s_or_saveexec_b64 s[6:7], s[6:7]
	v_and_b32_e32 v55, 63, v0
	v_add_u32_e32 v54, s42, v1
	s_xor_b64 exec, exec, s[6:7]
	s_cbranch_execz .LBB150_13
; %bb.12:
	s_load_dwordx2 s[16:17], s[0:1], 0x0
	s_waitcnt lgkmcnt(0)
	s_ashr_i32 s18, s44, 31
	s_mul_hi_u32 s19, s5, s44
	s_mul_i32 s18, s5, s18
	s_add_i32 s19, s19, s18
	s_mul_i32 s18, s5, s44
	s_lshl_b64 s[18:19], s[18:19], 1
	s_add_u32 s16, s16, s18
	v_lshlrev_b32_e32 v6, 6, v54
	s_addc_u32 s17, s17, s19
	v_ashrrev_i32_e32 v7, 31, v6
	v_mov_b32_e32 v35, 0
	v_lshl_add_u64 v[6:7], v[6:7], 1, s[16:17]
	v_lshlrev_b32_e32 v8, 1, v34
	v_mov_b32_e32 v9, v35
	v_lshl_add_u64 v[6:7], v[6:7], 0, v[8:9]
	global_load_dwordx4 v[6:9], v[6:7], off
	v_and_b32_e32 v5, 3, v0
	v_lshlrev_b32_e32 v11, 9, v36
	v_lshlrev_b32_e32 v4, 5, v4
	;; [unrolled: 1-line block ×3, first 2 shown]
	v_and_b32_e32 v11, 0x1800, v11
	v_or3_b32 v4, v11, v5, v4
	s_waitcnt vmcnt(0)
	ds_write_b128 v4, v[6:9]
.LBB150_13:
	s_or_b64 exec, exec, s[6:7]
	s_waitcnt lgkmcnt(0)
	s_mul_i32 s4, s4, s46
	s_mov_b32 s5, 0
	s_lshl_b64 s[4:5], s[4:5], 1
	s_add_u32 s8, s8, s4
	s_addc_u32 s9, s9, s5
	s_waitcnt vmcnt(3)
	v_mad_i64_i32 v[4:5], s[16:17], v3, s45, 0
	v_lshl_add_u64 v[4:5], v[4:5], 1, s[8:9]
	v_lshlrev_b64 v[12:13], 1, v[34:35]
	v_lshlrev_b32_e32 v38, 9, v1
	v_lshl_add_u64 v[4:5], v[4:5], 0, v[12:13]
	v_mov_b32_e32 v39, 0
	v_lshl_add_u64 v[14:15], v[4:5], 0, v[38:39]
	s_waitcnt vmcnt(2)
	v_mad_i64_i32 v[2:3], s[16:17], v2, s45, 0
	v_mov_b32_e32 v4, 0x100
	v_lshl_add_u64 v[2:3], v[2:3], 1, s[8:9]
	v_lshl_or_b32 v30, v36, 4, v4
	v_mov_b32_e32 v31, v39
	s_load_dword s29, s[0:1], 0x98
	s_load_dword s6, s[0:1], 0x1c
	s_waitcnt lgkmcnt(0)
	s_barrier
	v_lshl_add_u64 v[2:3], v[2:3], 0, v[30:31]
	global_load_dwordx4 v[6:9], v[14:15], off
	global_load_dwordx4 v[22:25], v[14:15], off offset:2048
	v_lshl_add_u64 v[18:19], v[2:3], 0, v[38:39]
	global_load_dwordx4 v[2:5], v[18:19], off
	global_load_dwordx4 v[26:29], v[18:19], off offset:2048
	s_waitcnt vmcnt(5)
	v_mad_i64_i32 v[10:11], s[16:17], v10, s45, 0
	v_lshl_add_u64 v[10:11], v[10:11], 1, s[8:9]
	v_lshl_add_u64 v[10:11], v[10:11], 0, v[12:13]
	;; [unrolled: 1-line block ×3, first 2 shown]
	global_load_dwordx4 v[10:13], v[32:33], off
	v_mul_lo_u16_e32 v20, 0x56, v36
	v_mov_b32_e32 v21, 3
	s_waitcnt vmcnt(5)
	v_mad_i64_i32 v[16:17], s[16:17], v16, s45, 0
	v_mul_lo_u16_sdwa v14, v20, v21 dst_sel:DWORD dst_unused:UNUSED_PAD src0_sel:BYTE_1 src1_sel:DWORD
	v_sub_u16_e32 v14, v36, v14
	v_lshl_add_u64 v[40:41], v[16:17], 1, s[8:9]
	v_and_b32_e32 v14, 0xff, v14
	v_lshl_add_u64 v[30:31], v[40:41], 0, v[30:31]
	v_lshl_add_u32 v14, v14, 5, v38
	v_lshl_add_u64 v[40:41], v[30:31], 0, v[38:39]
	ds_read_b128 v[18:21], v14
	ds_read_b128 v[14:17], v14 offset:2048
	global_load_dwordx4 v[30:33], v[32:33], off offset:2048
	s_ashr_i32 s7, s14, 31
	global_load_dwordx4 v[46:49], v[40:41], off
	global_load_dwordx4 v[60:63], v[40:41], off offset:2048
	v_and_or_b32 v64, v0, 48, s14
	s_lshr_b32 s7, s7, 27
	v_add_u32_e32 v42, s7, v64
	v_mov_b32_e32 v65, s15
	v_or_b32_e32 v50, 64, v64
	v_ashrrev_i32_e32 v38, 5, v42
	v_cmp_gt_i32_e32 vcc, s33, v64
	v_add_u32_e32 v43, s7, v50
	v_ashrrev_i32_e32 v51, 5, v43
	v_cndmask_b32_e32 v42, v65, v38, vcc
	v_ashrrev_i32_e32 v43, 31, v42
	v_lshl_add_u64 v[42:43], v[42:43], 2, s[12:13]
	v_cmp_gt_i32_e32 vcc, s33, v50
	global_load_dword v66, v[42:43], off
	v_or_b32_e32 v40, 0x80, v64
	v_and_b32_e32 v38, 16, v0
	s_add_u32 s4, s10, s4
	v_lshlrev_b32_e32 v41, 6, v36
	s_addc_u32 s5, s11, s5
	v_lshlrev_b32_e32 v38, 1, v38
	s_mov_b32 s43, 0xff7fffff
	s_waitcnt vmcnt(8) lgkmcnt(1)
	v_mfma_f32_16x16x16_f16 v[42:45], v[6:7], v[18:19], 0
	v_cndmask_b32_e32 v6, v65, v51, vcc
	v_ashrrev_i32_e32 v7, 31, v6
	v_cmp_gt_i32_e32 vcc, s33, v40
	s_waitcnt vmcnt(6)
	v_mfma_f32_16x16x16_f16 v[50:53], v[2:3], v[18:19], 0
	v_lshl_add_u64 v[2:3], v[6:7], 2, s[12:13]
	global_load_dword v67, v[2:3], off
	v_mfma_f32_16x16x16_f16 v[6:9], v[8:9], v[20:21], v[42:45]
	v_mfma_f32_16x16x16_f16 v[2:5], v[4:5], v[20:21], v[50:53]
	s_nop 1
	v_or_b32_e32 v42, 0xc0, v64
	v_add_u32_e32 v43, s7, v40
	v_add_u32_e32 v44, s7, v42
	s_waitcnt lgkmcnt(0)
	v_mfma_f32_16x16x16_f16 v[6:9], v[22:23], v[14:15], v[6:9]
	v_ashrrev_i32_e32 v43, 5, v43
	v_ashrrev_i32_e32 v44, 5, v44
	v_cndmask_b32_e32 v40, v65, v43, vcc
	s_waitcnt vmcnt(5)
	v_mfma_f32_16x16x16_f16 v[56:59], v[10:11], v[18:19], 0
	v_cmp_gt_i32_e32 vcc, s33, v42
	v_mfma_f32_16x16x16_f16 v[2:5], v[26:27], v[14:15], v[2:5]
	s_nop 0
	v_cndmask_b32_e32 v42, v65, v44, vcc
	v_lshl_add_u64 v[44:45], s[4:5], 0, v[38:39]
	v_lshl_or_b32 v38, v37, 10, v41
	v_ashrrev_i32_e32 v41, 31, v40
	v_mfma_f32_16x16x16_f16 v[22:25], v[24:25], v[16:17], v[6:9]
	v_ashrrev_i32_e32 v43, 31, v42
	s_nop 1
	v_lshl_add_u64 v[6:7], v[40:41], 2, s[12:13]
	v_mfma_f32_16x16x16_f16 v[10:13], v[12:13], v[20:21], v[56:59]
	s_nop 1
	v_pk_mul_f32 v[50:51], s[6:7], v[24:25] op_sel_hi:[0,1]
	v_mfma_f32_16x16x16_f16 v[26:29], v[28:29], v[16:17], v[2:5]
	s_nop 2
	v_lshl_add_u64 v[2:3], v[42:43], 2, s[12:13]
	global_load_dword v58, v[6:7], off
	global_load_dword v59, v[2:3], off
	s_waitcnt vmcnt(6)
	v_mfma_f32_16x16x16_f16 v[2:5], v[30:31], v[14:15], v[10:13]
	s_waitcnt vmcnt(3)
	v_mad_i64_i32 v[6:7], s[4:5], v66, s45, 0
	v_pk_mul_f32 v[42:43], s[6:7], v[26:27] op_sel_hi:[0,1]
	v_lshl_add_u64 v[10:11], v[44:45], 0, v[38:39]
	v_mfma_f32_16x16x16_f16 v[38:41], v[46:47], v[18:19], 0
	v_pk_mul_f32 v[52:53], s[6:7], v[28:29] op_sel_hi:[0,1]
	s_waitcnt vmcnt(2)
	v_mad_i64_i32 v[12:13], s[4:5], v67, s45, 0
	v_mfma_f32_16x16x16_f16 v[18:21], v[48:49], v[20:21], v[38:41]
	v_lshl_add_u64 v[56:57], v[12:13], 1, v[10:11]
	v_pk_mul_f32 v[12:13], s[6:7], v[22:23] op_sel_hi:[0,1]
	v_mfma_f32_16x16x16_f16 v[18:21], v[60:61], v[14:15], v[18:21]
	v_mfma_f32_16x16x16_f16 v[30:33], v[32:33], v[16:17], v[2:5]
	;; [unrolled: 1-line block ×3, first 2 shown]
	s_nop 1
	v_lshl_add_u64 v[2:3], v[6:7], 1, v[10:11]
	s_nop 2
	v_pk_mul_f32 v[48:49], s[6:7], v[30:31] op_sel_hi:[0,1]
	v_pk_mul_f32 v[46:47], s[6:7], v[32:33] op_sel_hi:[0,1]
	global_load_dwordx4 v[6:9], v[2:3], off
	s_nop 0
	global_load_dwordx4 v[2:5], v[2:3], off offset:16
	v_pk_mul_f32 v[44:45], s[6:7], v[14:15] op_sel_hi:[0,1]
	v_and_b32_e32 v14, 0xc0, v0
	v_add_u32_e32 v14, s14, v14
	v_lshl_or_b32 v14, v1, 2, v14
	v_pk_mul_f32 v[38:39], s[6:7], v[16:17] op_sel_hi:[0,1]
	v_or_b32_e32 v17, 1, v14
	v_mov_b32_e32 v15, 0xff7fffff
	v_cmp_gt_i32_e64 s[4:5], s33, v14
	v_cmp_gt_i32_e64 s[34:35], s33, v17
	v_or_b32_e32 v18, 3, v14
	v_cndmask_b32_e64 v16, v15, v12, s[4:5]
	v_cndmask_b32_e64 v17, v15, v13, s[34:35]
	v_max3_f32 v16, v16, s43, v17
	v_or_b32_e32 v17, 2, v14
	v_cmp_gt_i32_e64 s[36:37], s33, v17
	v_cmp_gt_i32_e64 s[38:39], s33, v18
	global_load_dwordx4 v[30:33], v[56:57], off
	global_load_dwordx4 v[26:29], v[56:57], off offset:16
	v_cndmask_b32_e64 v17, v15, v50, s[36:37]
	v_cndmask_b32_e64 v18, v15, v51, s[38:39]
	v_max3_f32 v16, v16, v17, v18
	v_or_b32_e32 v17, 16, v14
	v_or_b32_e32 v18, 17, v14
	v_cmp_gt_i32_e64 s[24:25], s33, v17
	v_cmp_gt_i32_e64 s[26:27], s33, v18
	s_nop 0
	v_cndmask_b32_e64 v17, v15, v42, s[24:25]
	v_cndmask_b32_e64 v18, v15, v43, s[26:27]
	v_max3_f32 v16, v16, v17, v18
	v_or_b32_e32 v17, 18, v14
	v_or_b32_e32 v18, 19, v14
	v_cmp_gt_i32_e64 s[20:21], s33, v17
	v_cmp_gt_i32_e64 s[22:23], s33, v18
	s_nop 0
	;; [unrolled: 8-line block ×5, first 2 shown]
	v_cndmask_b32_e64 v17, v15, v44, s[8:9]
	v_cndmask_b32_e64 v18, v15, v45, s[10:11]
	v_max3_f32 v16, v16, v17, v18
	v_or_b32_e32 v17, 50, v14
	v_or_b32_e32 v14, 51, v14
	v_cmp_gt_i32_e32 vcc, s33, v17
	v_cmp_gt_i32_e64 s[6:7], s33, v14
	s_nop 0
	v_cndmask_b32_e32 v17, v15, v38, vcc
	v_cndmask_b32_e64 v14, v15, v39, s[6:7]
	v_max3_f32 v16, v16, v17, v14
	v_mbcnt_lo_u32_b32 v14, -1, 0
	v_mbcnt_hi_u32_b32 v17, -1, v14
	v_and_b32_e32 v14, 64, v17
	v_add_u32_e32 v18, 64, v14
	v_xor_b32_e32 v14, 32, v17
	v_cmp_lt_i32_e64 s[40:41], v14, v18
	s_nop 1
	v_cndmask_b32_e64 v14, v17, v14, s[40:41]
	v_lshlrev_b32_e32 v60, 2, v14
	ds_bpermute_b32 v19, v60, v16
	s_waitcnt vmcnt(5)
	v_mad_i64_i32 v[14:15], s[40:41], v58, s45, 0
	v_lshl_add_u64 v[14:15], v[14:15], 1, v[10:11]
	s_waitcnt lgkmcnt(0)
	v_max_f32_e32 v19, v19, v19
	v_max_f32_e32 v16, v16, v19
	v_xor_b32_e32 v19, 16, v17
	v_cmp_lt_i32_e64 s[40:41], v19, v18
	s_nop 1
	v_cndmask_b32_e64 v17, v17, v19, s[40:41]
	v_lshlrev_b32_e32 v57, 2, v17
	ds_bpermute_b32 v17, v57, v16
	global_load_dwordx4 v[22:25], v[14:15], off
	global_load_dwordx4 v[18:21], v[14:15], off offset:16
	s_waitcnt vmcnt(6)
	v_mad_i64_i32 v[14:15], s[40:41], v59, s45, 0
	v_lshl_add_u64 v[10:11], v[14:15], 1, v[10:11]
	s_waitcnt lgkmcnt(0)
	v_max_f32_e32 v14, v17, v17
	v_max_f32_e32 v56, v16, v14
	v_sub_f32_e32 v12, v12, v56
	v_mul_f32_e32 v12, 0x3fb8aa3b, v12
	v_exp_f32_e32 v40, v12
	v_sub_f32_e32 v12, v13, v56
	v_mul_f32_e32 v12, 0x3fb8aa3b, v12
	v_exp_f32_e32 v41, v12
	global_load_dwordx4 v[14:17], v[10:11], off
	s_nop 0
	global_load_dwordx4 v[10:13], v[10:11], off offset:16
	v_sub_f32_e32 v50, v50, v56
	v_mul_f32_e32 v50, 0x3fb8aa3b, v50
	v_sub_f32_e32 v51, v51, v56
	v_exp_f32_e32 v50, v50
	v_mul_f32_e32 v51, 0x3fb8aa3b, v51
	v_sub_f32_e32 v42, v42, v56
	v_exp_f32_e32 v51, v51
	v_mul_f32_e32 v42, 0x3fb8aa3b, v42
	v_sub_f32_e32 v43, v43, v56
	v_cndmask_b32_e64 v40, 0, v40, s[4:5]
	v_exp_f32_e32 v42, v42
	v_mul_f32_e32 v43, 0x3fb8aa3b, v43
	v_sub_f32_e32 v52, v52, v56
	v_add_f32_e32 v58, 0, v40
	v_cndmask_b32_e64 v41, 0, v41, s[34:35]
	v_exp_f32_e32 v43, v43
	v_mul_f32_e32 v52, 0x3fb8aa3b, v52
	v_sub_f32_e32 v53, v53, v56
	v_add_f32_e32 v58, v58, v41
	;; [unrolled: 5-line block ×10, first 2 shown]
	v_cndmask_b32_e64 v46, 0, v46, s[12:13]
	v_exp_f32_e32 v38, v38
	v_mul_f32_e32 v39, 0x3fb8aa3b, v39
	v_add_f32_e32 v58, v58, v46
	v_cndmask_b32_e64 v47, 0, v47, s[14:15]
	v_exp_f32_e32 v39, v39
	v_add_f32_e32 v58, v58, v47
	v_cndmask_b32_e64 v44, 0, v44, s[8:9]
	v_add_f32_e32 v58, v58, v44
	v_cndmask_b32_e64 v45, 0, v45, s[10:11]
	v_add_f32_e32 v58, v58, v45
	v_cndmask_b32_e32 v38, 0, v38, vcc
	v_add_f32_e32 v58, v58, v38
	v_cndmask_b32_e64 v39, 0, v39, s[6:7]
	v_add_f32_e32 v58, v58, v39
	ds_bpermute_b32 v59, v60, v58
	v_cmp_gt_u32_e32 vcc, 16, v55
	s_waitcnt lgkmcnt(0)
	s_barrier
	v_add_f32_e32 v58, v58, v59
	ds_bpermute_b32 v59, v57, v58
	v_lshlrev_b32_e32 v57, 2, v36
	s_and_saveexec_b64 s[4:5], vcc
	s_cbranch_execz .LBB150_15
; %bb.14:
	s_waitcnt lgkmcnt(0)
	v_add_f32_e32 v55, v58, v59
	v_lshl_or_b32 v58, v37, 6, v57
	ds_write2st64_b32 v58, v56, v55 offset1:1
.LBB150_15:
	s_or_b64 exec, exec, s[4:5]
	s_load_dword s6, s[0:1], 0x94
	s_waitcnt lgkmcnt(0)
	s_barrier
	ds_read2_b32 v[58:59], v57 offset1:16
	ds_read2_b32 v[60:61], v57 offset0:32 offset1:48
	ds_read2_b32 v[62:63], v57 offset0:64 offset1:80
	s_mul_i32 s7, s29, 3
	s_waitcnt lgkmcnt(2)
	v_max3_f32 v55, v58, s43, v59
	s_waitcnt lgkmcnt(1)
	v_max3_f32 v55, v55, v60, v61
	v_sub_f32_e32 v56, v58, v55
	v_mul_f32_e32 v56, 0x3fb8aa3b, v56
	v_exp_f32_e32 v64, v56
	v_sub_f32_e32 v56, v59, v55
	v_mul_f32_e32 v56, 0x3fb8aa3b, v56
	v_exp_f32_e32 v65, v56
	;; [unrolled: 3-line block ×3, first 2 shown]
	ds_read2_b32 v[58:59], v57 offset0:96 offset1:112
	v_sub_f32_e32 v56, v61, v55
	v_mul_f32_e32 v56, 0x3fb8aa3b, v56
	v_exp_f32_e32 v57, v56
	s_waitcnt lgkmcnt(1)
	v_fma_f32 v56, v64, v62, 0
	v_fmac_f32_e32 v56, v65, v63
	s_waitcnt lgkmcnt(0)
	v_fmac_f32_e32 v56, v60, v58
	v_fmac_f32_e32 v56, v57, v59
	v_add_f32_e32 v58, 0x358637bd, v56
	v_div_scale_f32 v59, s[4:5], v58, v58, 1.0
	v_rcp_f32_e32 v61, v59
	s_barrier
	v_fma_f32 v62, -v59, v61, 1.0
	v_fmac_f32_e32 v61, v62, v61
	v_div_scale_f32 v62, vcc, 1.0, v58, 1.0
	v_mul_f32_e32 v63, v62, v61
	v_fma_f32 v66, -v59, v63, v62
	v_fmac_f32_e32 v63, v66, v61
	v_fma_f32 v59, -v59, v63, v62
	v_div_fmas_f32 v59, v59, v61, v63
	v_cmp_eq_u32_e32 vcc, 1, v37
	v_div_fixup_f32 v58, v59, v58, 1.0
	s_nop 0
	v_cndmask_b32_e32 v59, v64, v65, vcc
	v_cmp_eq_u32_e32 vcc, 2, v37
	s_nop 1
	v_cndmask_b32_e32 v59, v59, v60, vcc
	v_cmp_eq_u32_e32 vcc, 3, v37
	v_lshlrev_b32_e32 v37, 11, v37
	s_nop 0
	v_cndmask_b32_e32 v57, v59, v57, vcc
	v_mul_f32_e32 v58, v57, v58
	v_pk_mul_f32 v[40:41], v[58:59], v[40:41] op_sel_hi:[0,1]
	v_pk_mul_f32 v[50:51], v[58:59], v[50:51] op_sel_hi:[0,1]
	v_cvt_f16_f32_e32 v40, v40
	v_cvt_f16_f32_e32 v41, v41
	v_pk_mul_f32 v[52:53], v[58:59], v[52:53] op_sel_hi:[0,1]
	v_pk_mul_f32 v[42:43], v[58:59], v[42:43] op_sel_hi:[0,1]
	v_cvt_f16_f32_e32 v57, v50
	v_cvt_f16_f32_e32 v51, v51
	;; [unrolled: 1-line block ×6, first 2 shown]
	v_pack_b32_f16 v50, v40, v41
	v_lshlrev_b32_e32 v40, 3, v1
	v_lshlrev_b32_e32 v41, 5, v36
	v_pack_b32_f16 v51, v57, v51
	v_or3_b32 v40, v37, v41, v40
	v_pack_b32_f16 v42, v42, v43
	v_pack_b32_f16 v43, v52, v53
	ds_write2st64_b64 v40, v[50:51], v[42:43] offset1:1
	v_pk_mul_f32 v[42:43], v[58:59], v[46:47] op_sel_hi:[0,1]
	v_pk_mul_f32 v[46:47], v[58:59], v[48:49] op_sel_hi:[0,1]
	v_cvt_f16_f32_e32 v37, v46
	v_cvt_f16_f32_e32 v46, v47
	;; [unrolled: 1-line block ×4, first 2 shown]
	v_pk_mul_f32 v[38:39], v[58:59], v[38:39] op_sel_hi:[0,1]
	v_pk_mul_f32 v[42:43], v[58:59], v[44:45] op_sel_hi:[0,1]
	v_cvt_f16_f32_e32 v42, v42
	v_cvt_f16_f32_e32 v43, v43
	v_cvt_f16_f32_e32 v44, v38
	v_cvt_f16_f32_e32 v45, v39
	v_pack_b32_f16 v38, v37, v46
	v_pack_b32_f16 v39, v47, v48
	;; [unrolled: 1-line block ×4, first 2 shown]
	v_cmp_gt_u32_e32 vcc, 3, v0
	ds_write2st64_b64 v40, v[38:39], v[42:43] offset0:2 offset1:3
	s_and_saveexec_b64 s[4:5], vcc
	s_cbranch_execz .LBB150_17
; %bb.16:
	s_mov_b32 s43, 0
	v_mov_b32_e32 v37, 0
	v_lshl_add_u64 v[38:39], s[42:43], 0, v[36:37]
	v_mov_b32_e32 v36, s7
	v_mad_u64_u32 v[38:39], s[12:13], s2, v36, v[38:39]
	v_mov_b32_e32 v36, s28
	s_load_dwordx4 s[8:11], s[0:1], 0x58
	s_mul_i32 s3, s3, s7
	v_mad_u64_u32 v[36:37], s[12:13], v38, s6, v[36:37]
	v_add_u32_e32 v39, s3, v39
	v_mov_b32_e32 v38, v37
	v_mad_u64_u32 v[38:39], s[12:13], v39, s6, v[38:39]
	v_mov_b32_e32 v37, v38
	v_lshlrev_b64 v[36:37], 2, v[36:37]
	s_waitcnt lgkmcnt(0)
	v_lshl_add_u64 v[38:39], s[10:11], 0, v[36:37]
	v_lshl_add_u64 v[36:37], s[8:9], 0, v[36:37]
	global_store_dword v[38:39], v55, off
	global_store_dword v[36:37], v56, off
.LBB150_17:
	s_or_b64 exec, exec, s[4:5]
	v_lshl_or_b32 v41, v1, 9, v41
	s_waitcnt lgkmcnt(0)
	s_barrier
	ds_read_b128 v[36:39], v41
	ds_read_b128 v[42:45], v41 offset:16
	s_waitcnt vmcnt(7) lgkmcnt(1)
	v_mfma_f32_16x16x16_f16 v[46:49], v[6:7], v[36:37], 0
	v_cmp_gt_u32_e32 vcc, 64, v0
	v_cmp_ne_u32_e64 s[4:5], 3, v1
	s_and_b64 s[4:5], s[4:5], vcc
	v_mfma_f32_16x16x16_f16 v[6:9], v[8:9], v[38:39], v[46:49]
	s_mov_b32 s3, 0
	s_and_b64 s[4:5], s[4:5], s[30:31]
	s_waitcnt vmcnt(6) lgkmcnt(0)
	v_mfma_f32_16x16x16_f16 v[6:9], v[2:3], v[42:43], v[6:9]
	v_mfma_f32_16x16x16_f16 v[2:5], v[4:5], v[44:45], v[6:9]
	s_nop 5
	ds_read_b128 v[6:9], v41 offset:2048
	ds_read_b128 v[36:39], v41 offset:2064
	s_waitcnt vmcnt(5) lgkmcnt(1)
	v_mfma_f32_16x16x16_f16 v[2:5], v[30:31], v[6:7], v[2:5]
	v_mfma_f32_16x16x16_f16 v[2:5], v[32:33], v[8:9], v[2:5]
	s_waitcnt vmcnt(4) lgkmcnt(0)
	v_mfma_f32_16x16x16_f16 v[2:5], v[26:27], v[36:37], v[2:5]
	v_mfma_f32_16x16x16_f16 v[2:5], v[28:29], v[38:39], v[2:5]
	ds_read_b128 v[6:9], v41 offset:4096
	ds_read_b128 v[26:29], v41 offset:4112
	s_waitcnt vmcnt(3) lgkmcnt(1)
	v_mfma_f32_16x16x16_f16 v[2:5], v[22:23], v[6:7], v[2:5]
	v_mfma_f32_16x16x16_f16 v[2:5], v[24:25], v[8:9], v[2:5]
	s_waitcnt vmcnt(2) lgkmcnt(0)
	v_mfma_f32_16x16x16_f16 v[2:5], v[18:19], v[26:27], v[2:5]
	v_mfma_f32_16x16x16_f16 v[2:5], v[20:21], v[28:29], v[2:5]
	ds_read_b128 v[6:9], v41 offset:6144
	ds_read_b128 v[18:21], v41 offset:6160
	s_waitcnt lgkmcnt(0)
	s_barrier
	s_waitcnt vmcnt(1)
	v_mfma_f32_16x16x16_f16 v[2:5], v[14:15], v[6:7], v[2:5]
	v_mfma_f32_16x16x16_f16 v[2:5], v[16:17], v[8:9], v[2:5]
	s_waitcnt vmcnt(0)
	v_mfma_f32_16x16x16_f16 v[2:5], v[10:11], v[18:19], v[2:5]
	v_mfma_f32_16x16x16_f16 v[2:5], v[12:13], v[20:21], v[2:5]
	s_nop 6
	v_cvt_f16_f32_e32 v2, v2
	v_cvt_f16_f32_e32 v3, v3
	;; [unrolled: 1-line block ×4, first 2 shown]
	v_pack_b32_f16 v2, v2, v3
	v_pack_b32_f16 v3, v4, v5
	ds_write_b64 v40, v[2:3]
	s_waitcnt lgkmcnt(0)
	s_barrier
	s_and_saveexec_b64 s[8:9], s[4:5]
	s_cbranch_execz .LBB150_19
; %bb.18:
	s_load_dwordx2 s[0:1], s[0:1], 0x68
	s_mul_i32 s2, s7, s2
	s_lshl_b32 s6, s6, 6
	s_mul_hi_u32 s5, s2, s6
	s_mul_i32 s4, s2, s6
	v_lshlrev_b32_e32 v2, 10, v0
	v_lshlrev_b32_e32 v0, 4, v0
	s_lshl_b64 s[4:5], s[4:5], 1
	v_and_b32_e32 v2, 0x1800, v2
	v_lshlrev_b32_e32 v1, 5, v1
	v_and_b32_e32 v0, 16, v0
	s_waitcnt lgkmcnt(0)
	s_add_u32 s4, s0, s4
	v_or3_b32 v0, v2, v1, v0
	s_addc_u32 s5, s1, s5
	s_lshl_b32 s2, s28, 6
	ds_read_b128 v[0:3], v0
	s_lshl_b64 s[0:1], s[2:3], 1
	s_add_u32 s0, s4, s0
	s_addc_u32 s1, s5, s1
	v_mad_u64_u32 v[4:5], s[2:3], s6, v54, 0
	v_lshl_add_u64 v[4:5], v[4:5], 1, s[0:1]
	v_lshl_add_u64 v[4:5], v[34:35], 1, v[4:5]
	s_waitcnt lgkmcnt(0)
	global_store_dwordx4 v[4:5], v[0:3], off
.LBB150_19:
	s_endpgm
	.section	.rodata,"a",@progbits
	.p2align	6, 0x0
	.amdhsa_kernel _Z39paged_attention_ll4mi_QKV_mfma16_kernelIDF16_DF16_LN4vllm18Fp8KVCacheDataTypeE0EhLi32ELi64ELi256ELb0ELi3EEvPKT_PKT0_S7_ifPKiS9_S9_iPKfiiiPfSC_PS2_PT2_iSB_SB_
		.amdhsa_group_segment_fixed_size 8192
		.amdhsa_private_segment_fixed_size 0
		.amdhsa_kernarg_size 400
		.amdhsa_user_sgpr_count 2
		.amdhsa_user_sgpr_dispatch_ptr 0
		.amdhsa_user_sgpr_queue_ptr 0
		.amdhsa_user_sgpr_kernarg_segment_ptr 1
		.amdhsa_user_sgpr_dispatch_id 0
		.amdhsa_user_sgpr_kernarg_preload_length 0
		.amdhsa_user_sgpr_kernarg_preload_offset 0
		.amdhsa_user_sgpr_private_segment_size 0
		.amdhsa_uses_dynamic_stack 0
		.amdhsa_enable_private_segment 0
		.amdhsa_system_sgpr_workgroup_id_x 1
		.amdhsa_system_sgpr_workgroup_id_y 1
		.amdhsa_system_sgpr_workgroup_id_z 1
		.amdhsa_system_sgpr_workgroup_info 0
		.amdhsa_system_vgpr_workitem_id 0
		.amdhsa_next_free_vgpr 68
		.amdhsa_next_free_sgpr 48
		.amdhsa_accum_offset 68
		.amdhsa_reserve_vcc 1
		.amdhsa_float_round_mode_32 0
		.amdhsa_float_round_mode_16_64 0
		.amdhsa_float_denorm_mode_32 3
		.amdhsa_float_denorm_mode_16_64 3
		.amdhsa_dx10_clamp 1
		.amdhsa_ieee_mode 1
		.amdhsa_fp16_overflow 0
		.amdhsa_tg_split 0
		.amdhsa_exception_fp_ieee_invalid_op 0
		.amdhsa_exception_fp_denorm_src 0
		.amdhsa_exception_fp_ieee_div_zero 0
		.amdhsa_exception_fp_ieee_overflow 0
		.amdhsa_exception_fp_ieee_underflow 0
		.amdhsa_exception_fp_ieee_inexact 0
		.amdhsa_exception_int_div_zero 0
	.end_amdhsa_kernel
	.section	.text._Z39paged_attention_ll4mi_QKV_mfma16_kernelIDF16_DF16_LN4vllm18Fp8KVCacheDataTypeE0EhLi32ELi64ELi256ELb0ELi3EEvPKT_PKT0_S7_ifPKiS9_S9_iPKfiiiPfSC_PS2_PT2_iSB_SB_,"axG",@progbits,_Z39paged_attention_ll4mi_QKV_mfma16_kernelIDF16_DF16_LN4vllm18Fp8KVCacheDataTypeE0EhLi32ELi64ELi256ELb0ELi3EEvPKT_PKT0_S7_ifPKiS9_S9_iPKfiiiPfSC_PS2_PT2_iSB_SB_,comdat
.Lfunc_end150:
	.size	_Z39paged_attention_ll4mi_QKV_mfma16_kernelIDF16_DF16_LN4vllm18Fp8KVCacheDataTypeE0EhLi32ELi64ELi256ELb0ELi3EEvPKT_PKT0_S7_ifPKiS9_S9_iPKfiiiPfSC_PS2_PT2_iSB_SB_, .Lfunc_end150-_Z39paged_attention_ll4mi_QKV_mfma16_kernelIDF16_DF16_LN4vllm18Fp8KVCacheDataTypeE0EhLi32ELi64ELi256ELb0ELi3EEvPKT_PKT0_S7_ifPKiS9_S9_iPKfiiiPfSC_PS2_PT2_iSB_SB_
                                        ; -- End function
	.section	.AMDGPU.csdata,"",@progbits
; Kernel info:
; codeLenInByte = 3872
; NumSgprs: 54
; NumVgprs: 68
; NumAgprs: 0
; TotalNumVgprs: 68
; ScratchSize: 0
; MemoryBound: 0
; FloatMode: 240
; IeeeMode: 1
; LDSByteSize: 8192 bytes/workgroup (compile time only)
; SGPRBlocks: 6
; VGPRBlocks: 8
; NumSGPRsForWavesPerEU: 54
; NumVGPRsForWavesPerEU: 68
; AccumOffset: 68
; Occupancy: 7
; WaveLimiterHint : 1
; COMPUTE_PGM_RSRC2:SCRATCH_EN: 0
; COMPUTE_PGM_RSRC2:USER_SGPR: 2
; COMPUTE_PGM_RSRC2:TRAP_HANDLER: 0
; COMPUTE_PGM_RSRC2:TGID_X_EN: 1
; COMPUTE_PGM_RSRC2:TGID_Y_EN: 1
; COMPUTE_PGM_RSRC2:TGID_Z_EN: 1
; COMPUTE_PGM_RSRC2:TIDIG_COMP_CNT: 0
; COMPUTE_PGM_RSRC3_GFX90A:ACCUM_OFFSET: 16
; COMPUTE_PGM_RSRC3_GFX90A:TG_SPLIT: 0
	.section	.text._Z39paged_attention_ll4mi_QKV_mfma16_kernelIDF16_DF16_LN4vllm18Fp8KVCacheDataTypeE0EhLi32ELi64ELi256ELb0ELi4EEvPKT_PKT0_S7_ifPKiS9_S9_iPKfiiiPfSC_PS2_PT2_iSB_SB_,"axG",@progbits,_Z39paged_attention_ll4mi_QKV_mfma16_kernelIDF16_DF16_LN4vllm18Fp8KVCacheDataTypeE0EhLi32ELi64ELi256ELb0ELi4EEvPKT_PKT0_S7_ifPKiS9_S9_iPKfiiiPfSC_PS2_PT2_iSB_SB_,comdat
	.protected	_Z39paged_attention_ll4mi_QKV_mfma16_kernelIDF16_DF16_LN4vllm18Fp8KVCacheDataTypeE0EhLi32ELi64ELi256ELb0ELi4EEvPKT_PKT0_S7_ifPKiS9_S9_iPKfiiiPfSC_PS2_PT2_iSB_SB_ ; -- Begin function _Z39paged_attention_ll4mi_QKV_mfma16_kernelIDF16_DF16_LN4vllm18Fp8KVCacheDataTypeE0EhLi32ELi64ELi256ELb0ELi4EEvPKT_PKT0_S7_ifPKiS9_S9_iPKfiiiPfSC_PS2_PT2_iSB_SB_
	.globl	_Z39paged_attention_ll4mi_QKV_mfma16_kernelIDF16_DF16_LN4vllm18Fp8KVCacheDataTypeE0EhLi32ELi64ELi256ELb0ELi4EEvPKT_PKT0_S7_ifPKiS9_S9_iPKfiiiPfSC_PS2_PT2_iSB_SB_
	.p2align	8
	.type	_Z39paged_attention_ll4mi_QKV_mfma16_kernelIDF16_DF16_LN4vllm18Fp8KVCacheDataTypeE0EhLi32ELi64ELi256ELb0ELi4EEvPKT_PKT0_S7_ifPKiS9_S9_iPKfiiiPfSC_PS2_PT2_iSB_SB_,@function
_Z39paged_attention_ll4mi_QKV_mfma16_kernelIDF16_DF16_LN4vllm18Fp8KVCacheDataTypeE0EhLi32ELi64ELi256ELb0ELi4EEvPKT_PKT0_S7_ifPKiS9_S9_iPKfiiiPfSC_PS2_PT2_iSB_SB_: ; @_Z39paged_attention_ll4mi_QKV_mfma16_kernelIDF16_DF16_LN4vllm18Fp8KVCacheDataTypeE0EhLi32ELi64ELi256ELb0ELi4EEvPKT_PKT0_S7_ifPKiS9_S9_iPKfiiiPfSC_PS2_PT2_iSB_SB_
; %bb.0:
	s_load_dwordx2 s[6:7], s[0:1], 0x30
	s_mov_b32 s26, s3
	s_mov_b64 s[10:11], 0
	s_waitcnt lgkmcnt(0)
	s_cmp_lg_u64 s[6:7], 0
	s_cselect_b64 s[8:9], -1, 0
	s_and_b64 vcc, exec, s[8:9]
	s_cbranch_vccz .LBB151_7
; %bb.1:
	s_add_i32 s12, s2, 1
	s_mov_b32 s13, 0
	s_lshl_b64 s[14:15], s[12:13], 2
	s_add_u32 s14, s6, s14
	s_mov_b32 s3, s13
	s_addc_u32 s15, s7, s15
	s_lshl_b64 s[12:13], s[2:3], 2
	s_add_u32 s12, s6, s12
	s_addc_u32 s13, s7, s13
	s_load_dword s5, s[14:15], 0x0
	s_load_dword s16, s[12:13], 0x0
	s_waitcnt lgkmcnt(0)
	s_sub_i32 s5, s5, s16
	s_cmp_eq_u32 s5, 1
	s_cselect_b64 s[12:13], -1, 0
	s_andn2_b64 vcc, exec, s[10:11]
	s_cbranch_vccnz .LBB151_3
.LBB151_2:
	s_mov_b32 s3, 0
	s_mov_b64 s[12:13], -1
.LBB151_3:
	s_andn2_b64 vcc, exec, s[12:13]
	s_cbranch_vccnz .LBB151_19
; %bb.4:
	s_load_dwordx2 s[12:13], s[0:1], 0x28
	s_lshl_b64 s[10:11], s[2:3], 2
	s_waitcnt lgkmcnt(0)
	s_add_u32 s12, s12, s10
	s_addc_u32 s13, s13, s11
	s_load_dword s38, s[12:13], 0x0
	s_lshl_b32 s14, s26, 8
	s_waitcnt lgkmcnt(0)
	s_cmp_ge_i32 s14, s38
	s_cbranch_scc1 .LBB151_19
; %bb.5:
	s_load_dwordx2 s[12:13], s[0:1], 0x20
	s_load_dword s5, s[0:1], 0x38
	s_add_i32 s15, s38, 31
	s_ashr_i32 s16, s15, 31
	v_and_b32_e32 v1, 0xcf, v0
	s_lshr_b32 s16, s16, 27
	v_add_u32_e32 v1, s14, v1
	s_add_i32 s15, s15, s16
	v_ashrrev_i32_e32 v2, 31, v1
	s_ashr_i32 s15, s15, 5
	v_lshrrev_b32_e32 v10, 27, v2
	s_add_i32 s15, s15, -1
	s_waitcnt lgkmcnt(0)
	s_mul_i32 s16, s2, s5
	s_mov_b32 s17, 0
	v_add_u32_e32 v2, v1, v10
	s_lshl_b64 s[16:17], s[16:17], 2
	v_ashrrev_i32_e32 v2, 5, v2
	v_mov_b32_e32 v11, s15
	v_cmp_gt_i32_e32 vcc, s38, v1
	s_add_u32 s12, s12, s16
	s_addc_u32 s13, s13, s17
	v_cndmask_b32_e32 v2, v11, v2, vcc
	v_ashrrev_i32_e32 v3, 31, v2
	v_lshl_add_u64 v[4:5], v[2:3], 2, s[12:13]
	v_or_b32_e32 v2, 16, v1
	v_add_u32_e32 v3, v2, v10
	v_ashrrev_i32_e32 v3, 5, v3
	v_cmp_gt_i32_e32 vcc, s38, v2
	s_nop 1
	v_cndmask_b32_e32 v2, v11, v3, vcc
	v_ashrrev_i32_e32 v3, 31, v2
	v_lshl_add_u64 v[6:7], v[2:3], 2, s[12:13]
	v_or_b32_e32 v2, 32, v1
	v_add_u32_e32 v3, v2, v10
	v_ashrrev_i32_e32 v3, 5, v3
	v_cmp_gt_i32_e32 vcc, s38, v2
	v_or_b32_e32 v1, 48, v1
	s_nop 0
	v_cndmask_b32_e32 v2, v11, v3, vcc
	v_ashrrev_i32_e32 v3, 31, v2
	v_lshl_add_u64 v[8:9], v[2:3], 2, s[12:13]
	v_add_u32_e32 v2, v1, v10
	v_ashrrev_i32_e32 v2, 5, v2
	v_cmp_gt_i32_e32 vcc, s38, v1
	s_nop 1
	v_cndmask_b32_e32 v2, v11, v2, vcc
	v_ashrrev_i32_e32 v3, 31, v2
	v_lshl_add_u64 v[12:13], v[2:3], 2, s[12:13]
	global_load_dword v3, v[4:5], off
	global_load_dword v2, v[6:7], off
	;; [unrolled: 1-line block ×4, first 2 shown]
	s_andn2_b64 vcc, exec, s[8:9]
	s_cbranch_vccnz .LBB151_8
; %bb.6:
	s_add_u32 s6, s6, s10
	s_addc_u32 s7, s7, s11
	s_load_dword s5, s[6:7], 0x0
	s_branch .LBB151_9
.LBB151_7:
	s_mov_b64 s[12:13], 0
	s_branch .LBB151_2
.LBB151_8:
	s_mov_b32 s5, s2
.LBB151_9:
	s_load_dwordx4 s[8:11], s[0:1], 0x8
	s_load_dwordx4 s[40:43], s[0:1], 0x48
	v_and_b32_e32 v54, 15, v0
	v_cmp_gt_u32_e32 vcc, 64, v0
	v_cmp_gt_u32_e64 s[6:7], 8, v54
	s_and_b64 s[44:45], vcc, s[6:7]
	v_bfe_u32 v53, v0, 4, 2
	s_lshl_b32 s27, s4, 2
	v_lshlrev_b32_e32 v34, 3, v54
	s_xor_b64 s[6:7], s[44:45], -1
	s_and_saveexec_b64 s[16:17], s[6:7]
	s_xor_b64 s[6:7], exec, s[16:17]
; %bb.10:
	v_mov_b32_e32 v35, 0
; %bb.11:
	s_or_saveexec_b64 s[6:7], s[6:7]
	v_lshrrev_b32_e32 v55, 6, v0
	v_and_b32_e32 v56, 63, v0
	v_or_b32_e32 v1, s27, v53
	v_and_b32_e32 v19, 3, v0
	v_lshlrev_b32_e32 v52, 5, v53
	s_xor_b64 exec, exec, s[6:7]
	s_cbranch_execz .LBB151_13
; %bb.12:
	s_load_dwordx2 s[16:17], s[0:1], 0x0
	s_waitcnt lgkmcnt(0)
	s_ashr_i32 s18, s40, 31
	s_mul_hi_u32 s19, s5, s40
	s_mul_i32 s18, s5, s18
	s_add_i32 s19, s19, s18
	s_mul_i32 s18, s5, s40
	s_lshl_b64 s[18:19], s[18:19], 1
	s_add_u32 s16, s16, s18
	v_lshlrev_b32_e32 v4, 6, v1
	s_addc_u32 s17, s17, s19
	v_ashrrev_i32_e32 v5, 31, v4
	v_mov_b32_e32 v35, 0
	v_lshl_add_u64 v[4:5], v[4:5], 1, s[16:17]
	v_lshlrev_b32_e32 v6, 1, v34
	v_mov_b32_e32 v7, v35
	v_lshl_add_u64 v[4:5], v[4:5], 0, v[6:7]
	global_load_dwordx4 v[4:7], v[4:5], off
	v_lshlrev_b32_e32 v11, 9, v54
	v_lshl_or_b32 v8, v55, 7, v52
	v_lshlrev_b32_e32 v9, 9, v19
	v_and_b32_e32 v11, 0x1800, v11
	v_or3_b32 v8, v11, v9, v8
	s_waitcnt vmcnt(0)
	ds_write_b128 v8, v[4:7]
.LBB151_13:
	s_or_b64 exec, exec, s[6:7]
	s_waitcnt lgkmcnt(0)
	s_mul_i32 s4, s4, s42
	s_mov_b32 s5, 0
	s_lshl_b64 s[4:5], s[4:5], 1
	s_add_u32 s8, s8, s4
	s_addc_u32 s9, s9, s5
	s_waitcnt vmcnt(3)
	v_mad_i64_i32 v[4:5], s[16:17], v3, s41, 0
	v_lshl_add_u64 v[4:5], v[4:5], 1, s[8:9]
	v_lshlrev_b64 v[12:13], 1, v[34:35]
	v_lshlrev_b32_e32 v36, 9, v53
	v_lshl_add_u64 v[4:5], v[4:5], 0, v[12:13]
	v_mov_b32_e32 v37, 0
	v_lshl_add_u64 v[20:21], v[4:5], 0, v[36:37]
	s_waitcnt vmcnt(2)
	v_mad_i64_i32 v[2:3], s[16:17], v2, s41, 0
	v_mov_b32_e32 v4, 0x100
	v_lshl_add_u64 v[2:3], v[2:3], 1, s[8:9]
	v_lshl_or_b32 v38, v54, 4, v4
	v_mov_b32_e32 v39, v37
	s_load_dword s33, s[0:1], 0x98
	s_load_dword s6, s[0:1], 0x1c
	s_waitcnt lgkmcnt(0)
	s_barrier
	v_lshl_add_u64 v[2:3], v[2:3], 0, v[38:39]
	global_load_dwordx4 v[6:9], v[20:21], off
	v_lshl_add_u64 v[22:23], v[2:3], 0, v[36:37]
	global_load_dwordx4 v[2:5], v[22:23], off
	s_waitcnt vmcnt(3)
	v_mad_i64_i32 v[10:11], s[16:17], v10, s41, 0
	v_lshl_add_u64 v[10:11], v[10:11], 1, s[8:9]
	v_lshl_add_u64 v[10:11], v[10:11], 0, v[12:13]
	;; [unrolled: 1-line block ×3, first 2 shown]
	global_load_dwordx4 v[14:17], v[24:25], off
	global_load_dwordx4 v[10:13], v[20:21], off offset:2048
	global_load_dwordx4 v[26:29], v[22:23], off offset:2048
	;; [unrolled: 1-line block ×3, first 2 shown]
	s_waitcnt vmcnt(6)
	v_mad_i64_i32 v[40:41], s[16:17], v18, s41, 0
	v_lshl_add_u64 v[40:41], v[40:41], 1, s[8:9]
	v_lshl_add_u64 v[38:39], v[40:41], 0, v[38:39]
	v_lshl_or_b32 v18, v19, 5, v36
	v_lshl_add_u64 v[38:39], v[38:39], 0, v[36:37]
	ds_read_b128 v[22:25], v18
	ds_read_b128 v[18:21], v18 offset:2048
	global_load_dwordx4 v[44:47], v[38:39], off
	global_load_dwordx4 v[62:65], v[38:39], off offset:2048
	s_ashr_i32 s7, s14, 31
	v_and_or_b32 v57, v0, 48, s14
	s_lshr_b32 s7, s7, 27
	v_add_u32_e32 v40, s7, v57
	v_mov_b32_e32 v66, s15
	v_or_b32_e32 v48, 64, v57
	v_ashrrev_i32_e32 v36, 5, v40
	v_cmp_gt_i32_e32 vcc, s38, v57
	v_add_u32_e32 v41, s7, v48
	v_ashrrev_i32_e32 v49, 5, v41
	v_cndmask_b32_e32 v40, v66, v36, vcc
	v_ashrrev_i32_e32 v41, 31, v40
	v_lshl_add_u64 v[40:41], v[40:41], 2, s[12:13]
	v_cmp_gt_i32_e32 vcc, s38, v48
	global_load_dword v67, v[40:41], off
	v_or_b32_e32 v39, 0x80, v57
	v_and_b32_e32 v36, 16, v0
	s_add_u32 s4, s10, s4
	v_lshlrev_b32_e32 v38, 6, v54
	s_addc_u32 s5, s11, s5
	v_lshlrev_b32_e32 v36, 1, v36
	s_mov_b32 s40, 0xff7fffff
	s_waitcnt vmcnt(6) lgkmcnt(1)
	v_mfma_f32_16x16x16_f16 v[58:61], v[14:15], v[22:23], 0
	v_mfma_f32_16x16x16_f16 v[40:43], v[6:7], v[22:23], 0
	v_cndmask_b32_e32 v6, v66, v49, vcc
	v_ashrrev_i32_e32 v7, 31, v6
	v_cmp_gt_i32_e32 vcc, s38, v39
	v_mfma_f32_16x16x16_f16 v[48:51], v[2:3], v[22:23], 0
	v_lshl_add_u64 v[2:3], v[6:7], 2, s[12:13]
	global_load_dword v68, v[2:3], off
	v_mfma_f32_16x16x16_f16 v[6:9], v[8:9], v[24:25], v[40:43]
	v_mfma_f32_16x16x16_f16 v[2:5], v[4:5], v[24:25], v[48:51]
	s_nop 1
	v_or_b32_e32 v40, 0xc0, v57
	v_add_u32_e32 v41, s7, v39
	v_add_u32_e32 v42, s7, v40
	s_waitcnt vmcnt(6) lgkmcnt(0)
	v_mfma_f32_16x16x16_f16 v[6:9], v[10:11], v[18:19], v[6:9]
	v_ashrrev_i32_e32 v41, 5, v41
	v_ashrrev_i32_e32 v43, 5, v42
	v_cndmask_b32_e32 v42, v66, v41, vcc
	v_cmp_gt_i32_e32 vcc, s38, v40
	s_waitcnt vmcnt(5)
	v_mfma_f32_16x16x16_f16 v[2:5], v[26:27], v[18:19], v[2:5]
	v_lshl_add_u64 v[10:11], s[4:5], 0, v[36:37]
	v_cndmask_b32_e32 v26, v66, v43, vcc
	v_ashrrev_i32_e32 v43, 31, v42
	v_lshl_or_b32 v36, v55, 10, v38
	v_ashrrev_i32_e32 v27, 31, v26
	v_mfma_f32_16x16x16_f16 v[38:41], v[12:13], v[20:21], v[6:9]
	v_lshl_add_u64 v[10:11], v[10:11], 0, v[36:37]
	s_waitcnt vmcnt(0)
	v_mad_i64_i32 v[12:13], s[4:5], v68, s41, 0
	v_lshl_add_u64 v[6:7], v[42:43], 2, s[12:13]
	v_mfma_f32_16x16x16_f16 v[14:17], v[16:17], v[24:25], v[58:61]
	v_lshl_add_u64 v[8:9], v[26:27], 2, s[12:13]
	global_load_dword v57, v[6:7], off
	s_nop 0
	global_load_dword v60, v[8:9], off
	v_lshl_add_u64 v[58:59], v[12:13], 1, v[10:11]
	v_mfma_f32_16x16x16_f16 v[14:17], v[30:31], v[18:19], v[14:17]
	v_pk_mul_f32 v[12:13], s[6:7], v[38:39] op_sel_hi:[0,1]
	v_pk_mul_f32 v[48:49], s[6:7], v[40:41] op_sel_hi:[0,1]
	v_mfma_f32_16x16x16_f16 v[14:17], v[32:33], v[20:21], v[14:17]
	v_mfma_f32_16x16x16_f16 v[30:33], v[44:45], v[22:23], 0
	;; [unrolled: 1-line block ×3, first 2 shown]
	s_nop 4
	v_pk_mul_f32 v[44:45], s[6:7], v[16:17] op_sel_hi:[0,1]
	v_pk_mul_f32 v[46:47], s[6:7], v[14:15] op_sel_hi:[0,1]
	v_mfma_f32_16x16x16_f16 v[22:25], v[62:63], v[18:19], v[22:25]
	v_mfma_f32_16x16x16_f16 v[14:17], v[64:65], v[20:21], v[22:25]
	;; [unrolled: 1-line block ×3, first 2 shown]
	s_nop 5
	v_pk_mul_f32 v[42:43], s[6:7], v[14:15] op_sel_hi:[0,1]
	v_and_b32_e32 v14, 0xc0, v0
	v_add_u32_e32 v14, s14, v14
	v_lshl_or_b32 v14, v53, 2, v14
	v_pk_mul_f32 v[36:37], s[6:7], v[16:17] op_sel_hi:[0,1]
	v_or_b32_e32 v17, 1, v14
	v_mov_b32_e32 v15, 0xff7fffff
	v_cmp_gt_i32_e64 s[28:29], s38, v14
	v_cmp_gt_i32_e64 s[30:31], s38, v17
	v_or_b32_e32 v18, 3, v14
	v_cndmask_b32_e64 v16, v15, v12, s[28:29]
	v_cndmask_b32_e64 v17, v15, v13, s[30:31]
	v_max3_f32 v16, v16, s40, v17
	v_or_b32_e32 v17, 2, v14
	v_cmp_gt_i32_e64 s[34:35], s38, v17
	v_cmp_gt_i32_e64 s[36:37], s38, v18
	v_pk_mul_f32 v[40:41], s[6:7], v[26:27] op_sel_hi:[0,1]
	v_cndmask_b32_e64 v17, v15, v48, s[34:35]
	v_cndmask_b32_e64 v18, v15, v49, s[36:37]
	v_max3_f32 v16, v16, v17, v18
	v_or_b32_e32 v17, 16, v14
	v_or_b32_e32 v18, 17, v14
	v_cmp_gt_i32_e64 s[22:23], s38, v17
	v_cmp_gt_i32_e64 s[24:25], s38, v18
	v_pk_mul_f32 v[50:51], s[6:7], v[28:29] op_sel_hi:[0,1]
	v_cndmask_b32_e64 v17, v15, v40, s[22:23]
	v_cndmask_b32_e64 v18, v15, v41, s[24:25]
	v_max3_f32 v16, v16, v17, v18
	v_or_b32_e32 v17, 18, v14
	v_or_b32_e32 v18, 19, v14
	v_cmp_gt_i32_e64 s[18:19], s38, v17
	v_cmp_gt_i32_e64 s[20:21], s38, v18
	v_mad_i64_i32 v[2:3], s[4:5], v67, s41, 0
	v_cndmask_b32_e64 v17, v15, v50, s[18:19]
	v_cndmask_b32_e64 v18, v15, v51, s[20:21]
	v_max3_f32 v16, v16, v17, v18
	v_or_b32_e32 v17, 32, v14
	v_or_b32_e32 v18, 33, v14
	v_cmp_gt_i32_e64 s[14:15], s38, v17
	v_cmp_gt_i32_e64 s[16:17], s38, v18
	v_lshl_add_u64 v[2:3], v[2:3], 1, v[10:11]
	v_cndmask_b32_e64 v17, v15, v46, s[14:15]
	v_cndmask_b32_e64 v18, v15, v47, s[16:17]
	v_max3_f32 v16, v16, v17, v18
	v_or_b32_e32 v17, 34, v14
	v_or_b32_e32 v18, 35, v14
	v_cmp_gt_i32_e64 s[10:11], s38, v17
	v_cmp_gt_i32_e64 s[12:13], s38, v18
	global_load_dwordx4 v[6:9], v[2:3], off
	s_nop 0
	global_load_dwordx4 v[2:5], v[2:3], off offset:16
	v_cndmask_b32_e64 v17, v15, v44, s[10:11]
	v_cndmask_b32_e64 v18, v15, v45, s[12:13]
	v_max3_f32 v16, v16, v17, v18
	v_or_b32_e32 v17, 48, v14
	v_or_b32_e32 v18, 49, v14
	v_cmp_gt_i32_e64 s[6:7], s38, v17
	v_cmp_gt_i32_e64 s[8:9], s38, v18
	global_load_dwordx4 v[30:33], v[58:59], off
	global_load_dwordx4 v[26:29], v[58:59], off offset:16
	v_cndmask_b32_e64 v17, v15, v42, s[6:7]
	v_cndmask_b32_e64 v18, v15, v43, s[8:9]
	v_max3_f32 v16, v16, v17, v18
	v_or_b32_e32 v17, 50, v14
	v_or_b32_e32 v14, 51, v14
	v_cmp_gt_i32_e32 vcc, s38, v17
	v_cmp_gt_i32_e64 s[4:5], s38, v14
	s_nop 0
	v_cndmask_b32_e32 v17, v15, v36, vcc
	v_cndmask_b32_e64 v14, v15, v37, s[4:5]
	v_max3_f32 v16, v16, v17, v14
	v_mbcnt_lo_u32_b32 v14, -1, 0
	v_mbcnt_hi_u32_b32 v17, -1, v14
	v_and_b32_e32 v14, 64, v17
	v_add_u32_e32 v18, 64, v14
	v_xor_b32_e32 v14, 32, v17
	v_cmp_lt_i32_e64 s[38:39], v14, v18
	s_nop 1
	v_cndmask_b32_e64 v14, v17, v14, s[38:39]
	v_lshlrev_b32_e32 v61, 2, v14
	ds_bpermute_b32 v19, v61, v16
	s_waitcnt vmcnt(5)
	v_mad_i64_i32 v[14:15], s[38:39], v57, s41, 0
	v_lshl_add_u64 v[14:15], v[14:15], 1, v[10:11]
	s_waitcnt lgkmcnt(0)
	v_max_f32_e32 v19, v19, v19
	v_max_f32_e32 v16, v16, v19
	v_xor_b32_e32 v19, 16, v17
	v_cmp_lt_i32_e64 s[38:39], v19, v18
	s_nop 1
	v_cndmask_b32_e64 v17, v17, v19, s[38:39]
	v_lshlrev_b32_e32 v58, 2, v17
	ds_bpermute_b32 v17, v58, v16
	global_load_dwordx4 v[22:25], v[14:15], off
	global_load_dwordx4 v[18:21], v[14:15], off offset:16
	s_waitcnt vmcnt(6)
	v_mad_i64_i32 v[14:15], s[38:39], v60, s41, 0
	v_lshl_add_u64 v[10:11], v[14:15], 1, v[10:11]
	s_waitcnt lgkmcnt(0)
	v_max_f32_e32 v14, v17, v17
	v_max_f32_e32 v57, v16, v14
	v_sub_f32_e32 v12, v12, v57
	v_mul_f32_e32 v12, 0x3fb8aa3b, v12
	v_exp_f32_e32 v38, v12
	v_sub_f32_e32 v12, v13, v57
	v_mul_f32_e32 v12, 0x3fb8aa3b, v12
	v_exp_f32_e32 v39, v12
	global_load_dwordx4 v[14:17], v[10:11], off
	s_nop 0
	global_load_dwordx4 v[10:13], v[10:11], off offset:16
	v_sub_f32_e32 v48, v48, v57
	v_mul_f32_e32 v48, 0x3fb8aa3b, v48
	v_sub_f32_e32 v49, v49, v57
	v_exp_f32_e32 v48, v48
	v_mul_f32_e32 v49, 0x3fb8aa3b, v49
	v_sub_f32_e32 v40, v40, v57
	v_exp_f32_e32 v49, v49
	v_mul_f32_e32 v40, 0x3fb8aa3b, v40
	v_sub_f32_e32 v41, v41, v57
	v_cndmask_b32_e64 v38, 0, v38, s[28:29]
	v_exp_f32_e32 v40, v40
	v_mul_f32_e32 v41, 0x3fb8aa3b, v41
	v_sub_f32_e32 v50, v50, v57
	v_add_f32_e32 v59, 0, v38
	v_cndmask_b32_e64 v39, 0, v39, s[30:31]
	v_exp_f32_e32 v41, v41
	v_mul_f32_e32 v50, 0x3fb8aa3b, v50
	v_sub_f32_e32 v51, v51, v57
	v_add_f32_e32 v59, v59, v39
	;; [unrolled: 5-line block ×10, first 2 shown]
	v_cndmask_b32_e64 v44, 0, v44, s[10:11]
	v_exp_f32_e32 v36, v36
	v_mul_f32_e32 v37, 0x3fb8aa3b, v37
	v_add_f32_e32 v59, v59, v44
	v_cndmask_b32_e64 v45, 0, v45, s[12:13]
	v_exp_f32_e32 v37, v37
	v_add_f32_e32 v59, v59, v45
	v_cndmask_b32_e64 v42, 0, v42, s[6:7]
	v_add_f32_e32 v59, v59, v42
	v_cndmask_b32_e64 v43, 0, v43, s[8:9]
	v_add_f32_e32 v59, v59, v43
	v_cndmask_b32_e32 v36, 0, v36, vcc
	v_add_f32_e32 v59, v59, v36
	v_cndmask_b32_e64 v37, 0, v37, s[4:5]
	v_add_f32_e32 v59, v59, v37
	ds_bpermute_b32 v60, v61, v59
	v_cmp_gt_u32_e32 vcc, 16, v56
	s_waitcnt lgkmcnt(0)
	s_barrier
	v_add_f32_e32 v59, v59, v60
	ds_bpermute_b32 v60, v58, v59
	v_lshlrev_b32_e32 v58, 2, v54
	s_and_saveexec_b64 s[4:5], vcc
	s_cbranch_execz .LBB151_15
; %bb.14:
	s_waitcnt lgkmcnt(0)
	v_add_f32_e32 v56, v59, v60
	v_lshl_or_b32 v59, v55, 6, v58
	ds_write2st64_b32 v59, v57, v56 offset1:1
.LBB151_15:
	s_or_b64 exec, exec, s[4:5]
	s_load_dword s6, s[0:1], 0x94
	s_waitcnt lgkmcnt(0)
	s_barrier
	ds_read2_b32 v[60:61], v58 offset1:16
	ds_read2_b32 v[62:63], v58 offset0:32 offset1:48
	ds_read2_b32 v[64:65], v58 offset0:64 offset1:80
	;; [unrolled: 1-line block ×3, first 2 shown]
	s_waitcnt lgkmcnt(0)
	v_max3_f32 v56, v60, s40, v61
	v_max3_f32 v56, v56, v62, v63
	v_sub_f32_e32 v57, v60, v56
	v_mul_f32_e32 v57, 0x3fb8aa3b, v57
	v_exp_f32_e32 v60, v57
	v_sub_f32_e32 v57, v61, v56
	v_mul_f32_e32 v57, 0x3fb8aa3b, v57
	v_exp_f32_e32 v61, v57
	;; [unrolled: 3-line block ×4, first 2 shown]
	v_fma_f32 v57, v60, v64, 0
	v_fmac_f32_e32 v57, v61, v65
	v_fmac_f32_e32 v57, v62, v58
	;; [unrolled: 1-line block ×3, first 2 shown]
	v_add_f32_e32 v58, 0x358637bd, v57
	v_div_scale_f32 v59, s[4:5], v58, v58, 1.0
	v_rcp_f32_e32 v64, v59
	s_barrier
	s_lshl_b32 s7, s33, 2
	v_fma_f32 v65, -v59, v64, 1.0
	v_fmac_f32_e32 v64, v65, v64
	v_div_scale_f32 v65, vcc, 1.0, v58, 1.0
	v_mul_f32_e32 v66, v65, v64
	v_fma_f32 v67, -v59, v66, v65
	v_fmac_f32_e32 v66, v67, v64
	v_fma_f32 v59, -v59, v66, v65
	v_div_fmas_f32 v59, v59, v64, v66
	v_cmp_eq_u32_e32 vcc, 1, v55
	v_div_fixup_f32 v58, v59, v58, 1.0
	s_nop 0
	v_cndmask_b32_e32 v59, v60, v61, vcc
	v_cmp_eq_u32_e32 vcc, 2, v55
	s_nop 1
	v_cndmask_b32_e32 v59, v59, v62, vcc
	v_cmp_eq_u32_e32 vcc, 3, v55
	s_nop 1
	v_cndmask_b32_e32 v59, v59, v63, vcc
	v_mul_f32_e32 v58, v59, v58
	v_pk_mul_f32 v[48:49], v[58:59], v[48:49] op_sel_hi:[0,1]
	v_pk_mul_f32 v[38:39], v[58:59], v[38:39] op_sel_hi:[0,1]
	v_cvt_f16_f32_e32 v59, v48
	v_cvt_f16_f32_e32 v38, v38
	;; [unrolled: 1-line block ×4, first 2 shown]
	v_pk_mul_f32 v[50:51], v[58:59], v[50:51] op_sel_hi:[0,1]
	v_pk_mul_f32 v[40:41], v[58:59], v[40:41] op_sel_hi:[0,1]
	v_cvt_f16_f32_e32 v40, v40
	v_cvt_f16_f32_e32 v41, v41
	;; [unrolled: 1-line block ×4, first 2 shown]
	v_pack_b32_f16 v48, v38, v39
	v_lshlrev_b32_e32 v38, 3, v53
	v_lshlrev_b32_e32 v39, 5, v54
	;; [unrolled: 1-line block ×3, first 2 shown]
	v_pack_b32_f16 v49, v59, v49
	v_or3_b32 v38, v54, v39, v38
	v_pack_b32_f16 v40, v40, v41
	v_pack_b32_f16 v41, v50, v51
	ds_write2st64_b64 v38, v[48:49], v[40:41] offset1:1
	v_pk_mul_f32 v[40:41], v[58:59], v[44:45] op_sel_hi:[0,1]
	v_pk_mul_f32 v[44:45], v[58:59], v[46:47] op_sel_hi:[0,1]
	v_cvt_f16_f32_e32 v46, v40
	v_cvt_f16_f32_e32 v47, v41
	v_pk_mul_f32 v[36:37], v[58:59], v[36:37] op_sel_hi:[0,1]
	v_pk_mul_f32 v[40:41], v[58:59], v[42:43] op_sel_hi:[0,1]
	v_cvt_f16_f32_e32 v44, v44
	v_cvt_f16_f32_e32 v45, v45
	;; [unrolled: 1-line block ×6, first 2 shown]
	v_pack_b32_f16 v36, v44, v45
	v_pack_b32_f16 v37, v46, v47
	;; [unrolled: 1-line block ×4, first 2 shown]
	v_cmp_gt_u32_e32 vcc, 4, v0
	ds_write2st64_b64 v38, v[36:37], v[40:41] offset0:2 offset1:3
	s_and_saveexec_b64 s[4:5], vcc
	s_cbranch_execz .LBB151_17
; %bb.16:
	v_or_b32_e32 v36, s27, v0
	v_mov_b32_e32 v37, 0
	v_mov_b32_e32 v40, s7
	v_mad_u64_u32 v[40:41], s[12:13], s2, v40, v[36:37]
	v_mov_b32_e32 v36, s26
	s_load_dwordx4 s[8:11], s[0:1], 0x58
	s_mul_i32 s3, s3, s7
	v_mad_u64_u32 v[36:37], s[12:13], v40, s6, v[36:37]
	v_add_u32_e32 v41, s3, v41
	v_mov_b32_e32 v40, v37
	v_mad_u64_u32 v[40:41], s[12:13], v41, s6, v[40:41]
	v_mov_b32_e32 v37, v40
	v_lshlrev_b64 v[36:37], 2, v[36:37]
	s_waitcnt lgkmcnt(0)
	v_lshl_add_u64 v[40:41], s[10:11], 0, v[36:37]
	v_lshl_add_u64 v[36:37], s[8:9], 0, v[36:37]
	global_store_dword v[40:41], v56, off
	global_store_dword v[36:37], v57, off
.LBB151_17:
	s_or_b64 exec, exec, s[4:5]
	v_lshl_or_b32 v36, v53, 9, v39
	s_waitcnt lgkmcnt(0)
	s_barrier
	ds_read_b128 v[40:43], v36
	ds_read_b128 v[44:47], v36 offset:16
	s_waitcnt vmcnt(7) lgkmcnt(1)
	v_mfma_f32_16x16x16_f16 v[48:51], v[6:7], v[40:41], 0
	s_mov_b32 s3, 0
	v_mfma_f32_16x16x16_f16 v[6:9], v[8:9], v[42:43], v[48:51]
	s_waitcnt vmcnt(6) lgkmcnt(0)
	v_mfma_f32_16x16x16_f16 v[6:9], v[2:3], v[44:45], v[6:9]
	v_mfma_f32_16x16x16_f16 v[2:5], v[4:5], v[46:47], v[6:9]
	s_nop 5
	ds_read_b128 v[6:9], v36 offset:2048
	ds_read_b128 v[40:43], v36 offset:2064
	s_waitcnt vmcnt(5) lgkmcnt(1)
	v_mfma_f32_16x16x16_f16 v[2:5], v[30:31], v[6:7], v[2:5]
	v_mfma_f32_16x16x16_f16 v[2:5], v[32:33], v[8:9], v[2:5]
	s_waitcnt vmcnt(4) lgkmcnt(0)
	v_mfma_f32_16x16x16_f16 v[2:5], v[26:27], v[40:41], v[2:5]
	v_mfma_f32_16x16x16_f16 v[2:5], v[28:29], v[42:43], v[2:5]
	ds_read_b128 v[6:9], v36 offset:4096
	ds_read_b128 v[26:29], v36 offset:4112
	s_waitcnt vmcnt(3) lgkmcnt(1)
	v_mfma_f32_16x16x16_f16 v[2:5], v[22:23], v[6:7], v[2:5]
	v_mfma_f32_16x16x16_f16 v[2:5], v[24:25], v[8:9], v[2:5]
	s_waitcnt vmcnt(2) lgkmcnt(0)
	v_mfma_f32_16x16x16_f16 v[2:5], v[18:19], v[26:27], v[2:5]
	v_mfma_f32_16x16x16_f16 v[2:5], v[20:21], v[28:29], v[2:5]
	ds_read_b128 v[6:9], v36 offset:6144
	ds_read_b128 v[18:21], v36 offset:6160
	s_waitcnt lgkmcnt(0)
	s_barrier
	s_waitcnt vmcnt(1)
	v_mfma_f32_16x16x16_f16 v[2:5], v[14:15], v[6:7], v[2:5]
	v_mfma_f32_16x16x16_f16 v[2:5], v[16:17], v[8:9], v[2:5]
	s_waitcnt vmcnt(0)
	v_mfma_f32_16x16x16_f16 v[2:5], v[10:11], v[18:19], v[2:5]
	v_mfma_f32_16x16x16_f16 v[2:5], v[12:13], v[20:21], v[2:5]
	s_nop 6
	v_cvt_f16_f32_e32 v2, v2
	v_cvt_f16_f32_e32 v3, v3
	;; [unrolled: 1-line block ×4, first 2 shown]
	v_pack_b32_f16 v2, v2, v3
	v_pack_b32_f16 v3, v4, v5
	ds_write_b64 v38, v[2:3]
	s_waitcnt lgkmcnt(0)
	s_barrier
	s_and_saveexec_b64 s[4:5], s[44:45]
	s_cbranch_execz .LBB151_19
; %bb.18:
	s_load_dwordx2 s[0:1], s[0:1], 0x68
	s_lshl_b32 s6, s6, 6
	s_mul_i32 s2, s7, s2
	s_mul_hi_u32 s5, s2, s6
	s_mul_i32 s4, s2, s6
	v_lshlrev_b32_e32 v2, 10, v0
	v_lshlrev_b32_e32 v0, 4, v0
	s_lshl_b64 s[4:5], s[4:5], 1
	v_and_b32_e32 v2, 0x1800, v2
	v_and_b32_e32 v0, 16, v0
	s_waitcnt lgkmcnt(0)
	s_add_u32 s4, s0, s4
	v_or3_b32 v0, v2, v52, v0
	s_addc_u32 s5, s1, s5
	s_lshl_b32 s2, s26, 6
	ds_read_b128 v[2:5], v0
	s_lshl_b64 s[0:1], s[2:3], 1
	s_add_u32 s0, s4, s0
	s_addc_u32 s1, s5, s1
	v_mad_u64_u32 v[0:1], s[2:3], s6, v1, 0
	v_lshl_add_u64 v[0:1], v[0:1], 1, s[0:1]
	v_lshl_add_u64 v[0:1], v[34:35], 1, v[0:1]
	s_waitcnt lgkmcnt(0)
	global_store_dwordx4 v[0:1], v[2:5], off
.LBB151_19:
	s_endpgm
	.section	.rodata,"a",@progbits
	.p2align	6, 0x0
	.amdhsa_kernel _Z39paged_attention_ll4mi_QKV_mfma16_kernelIDF16_DF16_LN4vllm18Fp8KVCacheDataTypeE0EhLi32ELi64ELi256ELb0ELi4EEvPKT_PKT0_S7_ifPKiS9_S9_iPKfiiiPfSC_PS2_PT2_iSB_SB_
		.amdhsa_group_segment_fixed_size 8192
		.amdhsa_private_segment_fixed_size 0
		.amdhsa_kernarg_size 400
		.amdhsa_user_sgpr_count 2
		.amdhsa_user_sgpr_dispatch_ptr 0
		.amdhsa_user_sgpr_queue_ptr 0
		.amdhsa_user_sgpr_kernarg_segment_ptr 1
		.amdhsa_user_sgpr_dispatch_id 0
		.amdhsa_user_sgpr_kernarg_preload_length 0
		.amdhsa_user_sgpr_kernarg_preload_offset 0
		.amdhsa_user_sgpr_private_segment_size 0
		.amdhsa_uses_dynamic_stack 0
		.amdhsa_enable_private_segment 0
		.amdhsa_system_sgpr_workgroup_id_x 1
		.amdhsa_system_sgpr_workgroup_id_y 1
		.amdhsa_system_sgpr_workgroup_id_z 1
		.amdhsa_system_sgpr_workgroup_info 0
		.amdhsa_system_vgpr_workitem_id 0
		.amdhsa_next_free_vgpr 69
		.amdhsa_next_free_sgpr 46
		.amdhsa_accum_offset 72
		.amdhsa_reserve_vcc 1
		.amdhsa_float_round_mode_32 0
		.amdhsa_float_round_mode_16_64 0
		.amdhsa_float_denorm_mode_32 3
		.amdhsa_float_denorm_mode_16_64 3
		.amdhsa_dx10_clamp 1
		.amdhsa_ieee_mode 1
		.amdhsa_fp16_overflow 0
		.amdhsa_tg_split 0
		.amdhsa_exception_fp_ieee_invalid_op 0
		.amdhsa_exception_fp_denorm_src 0
		.amdhsa_exception_fp_ieee_div_zero 0
		.amdhsa_exception_fp_ieee_overflow 0
		.amdhsa_exception_fp_ieee_underflow 0
		.amdhsa_exception_fp_ieee_inexact 0
		.amdhsa_exception_int_div_zero 0
	.end_amdhsa_kernel
	.section	.text._Z39paged_attention_ll4mi_QKV_mfma16_kernelIDF16_DF16_LN4vllm18Fp8KVCacheDataTypeE0EhLi32ELi64ELi256ELb0ELi4EEvPKT_PKT0_S7_ifPKiS9_S9_iPKfiiiPfSC_PS2_PT2_iSB_SB_,"axG",@progbits,_Z39paged_attention_ll4mi_QKV_mfma16_kernelIDF16_DF16_LN4vllm18Fp8KVCacheDataTypeE0EhLi32ELi64ELi256ELb0ELi4EEvPKT_PKT0_S7_ifPKiS9_S9_iPKfiiiPfSC_PS2_PT2_iSB_SB_,comdat
.Lfunc_end151:
	.size	_Z39paged_attention_ll4mi_QKV_mfma16_kernelIDF16_DF16_LN4vllm18Fp8KVCacheDataTypeE0EhLi32ELi64ELi256ELb0ELi4EEvPKT_PKT0_S7_ifPKiS9_S9_iPKfiiiPfSC_PS2_PT2_iSB_SB_, .Lfunc_end151-_Z39paged_attention_ll4mi_QKV_mfma16_kernelIDF16_DF16_LN4vllm18Fp8KVCacheDataTypeE0EhLi32ELi64ELi256ELb0ELi4EEvPKT_PKT0_S7_ifPKiS9_S9_iPKfiiiPfSC_PS2_PT2_iSB_SB_
                                        ; -- End function
	.section	.AMDGPU.csdata,"",@progbits
; Kernel info:
; codeLenInByte = 3748
; NumSgprs: 52
; NumVgprs: 69
; NumAgprs: 0
; TotalNumVgprs: 69
; ScratchSize: 0
; MemoryBound: 0
; FloatMode: 240
; IeeeMode: 1
; LDSByteSize: 8192 bytes/workgroup (compile time only)
; SGPRBlocks: 6
; VGPRBlocks: 8
; NumSGPRsForWavesPerEU: 52
; NumVGPRsForWavesPerEU: 69
; AccumOffset: 72
; Occupancy: 7
; WaveLimiterHint : 1
; COMPUTE_PGM_RSRC2:SCRATCH_EN: 0
; COMPUTE_PGM_RSRC2:USER_SGPR: 2
; COMPUTE_PGM_RSRC2:TRAP_HANDLER: 0
; COMPUTE_PGM_RSRC2:TGID_X_EN: 1
; COMPUTE_PGM_RSRC2:TGID_Y_EN: 1
; COMPUTE_PGM_RSRC2:TGID_Z_EN: 1
; COMPUTE_PGM_RSRC2:TIDIG_COMP_CNT: 0
; COMPUTE_PGM_RSRC3_GFX90A:ACCUM_OFFSET: 17
; COMPUTE_PGM_RSRC3_GFX90A:TG_SPLIT: 0
	.section	.text._Z38paged_attention_ll4mi_QKV_mfma4_kernelIDF16_DF16_LN4vllm18Fp8KVCacheDataTypeE0EDF16_Li32ELi64ELi256ELb1ELi1EEvPKT_PKT0_S7_ifPKiS9_S9_iPKfiiiPfSC_PS2_PT2_iSB_SB_,"axG",@progbits,_Z38paged_attention_ll4mi_QKV_mfma4_kernelIDF16_DF16_LN4vllm18Fp8KVCacheDataTypeE0EDF16_Li32ELi64ELi256ELb1ELi1EEvPKT_PKT0_S7_ifPKiS9_S9_iPKfiiiPfSC_PS2_PT2_iSB_SB_,comdat
	.protected	_Z38paged_attention_ll4mi_QKV_mfma4_kernelIDF16_DF16_LN4vllm18Fp8KVCacheDataTypeE0EDF16_Li32ELi64ELi256ELb1ELi1EEvPKT_PKT0_S7_ifPKiS9_S9_iPKfiiiPfSC_PS2_PT2_iSB_SB_ ; -- Begin function _Z38paged_attention_ll4mi_QKV_mfma4_kernelIDF16_DF16_LN4vllm18Fp8KVCacheDataTypeE0EDF16_Li32ELi64ELi256ELb1ELi1EEvPKT_PKT0_S7_ifPKiS9_S9_iPKfiiiPfSC_PS2_PT2_iSB_SB_
	.globl	_Z38paged_attention_ll4mi_QKV_mfma4_kernelIDF16_DF16_LN4vllm18Fp8KVCacheDataTypeE0EDF16_Li32ELi64ELi256ELb1ELi1EEvPKT_PKT0_S7_ifPKiS9_S9_iPKfiiiPfSC_PS2_PT2_iSB_SB_
	.p2align	8
	.type	_Z38paged_attention_ll4mi_QKV_mfma4_kernelIDF16_DF16_LN4vllm18Fp8KVCacheDataTypeE0EDF16_Li32ELi64ELi256ELb1ELi1EEvPKT_PKT0_S7_ifPKiS9_S9_iPKfiiiPfSC_PS2_PT2_iSB_SB_,@function
_Z38paged_attention_ll4mi_QKV_mfma4_kernelIDF16_DF16_LN4vllm18Fp8KVCacheDataTypeE0EDF16_Li32ELi64ELi256ELb1ELi1EEvPKT_PKT0_S7_ifPKiS9_S9_iPKfiiiPfSC_PS2_PT2_iSB_SB_: ; @_Z38paged_attention_ll4mi_QKV_mfma4_kernelIDF16_DF16_LN4vllm18Fp8KVCacheDataTypeE0EDF16_Li32ELi64ELi256ELb1ELi1EEvPKT_PKT0_S7_ifPKiS9_S9_iPKfiiiPfSC_PS2_PT2_iSB_SB_
; %bb.0:
	s_load_dwordx2 s[8:9], s[0:1], 0x30
	s_mov_b32 s16, s3
	s_mov_b64 s[6:7], 0
	s_waitcnt lgkmcnt(0)
	s_cmp_lg_u64 s[8:9], 0
	s_cselect_b64 s[10:11], -1, 0
	s_and_b64 vcc, exec, s[10:11]
	s_cbranch_vccz .LBB152_10
; %bb.1:
	s_add_i32 s12, s2, 1
	s_mov_b32 s13, 0
	s_lshl_b64 s[14:15], s[12:13], 2
	s_add_u32 s14, s8, s14
	s_mov_b32 s3, s13
	s_addc_u32 s15, s9, s15
	s_lshl_b64 s[12:13], s[2:3], 2
	s_add_u32 s12, s8, s12
	s_addc_u32 s13, s9, s13
	s_load_dword s5, s[14:15], 0x0
	s_load_dword s17, s[12:13], 0x0
	s_waitcnt lgkmcnt(0)
	s_sub_i32 s5, s5, s17
	s_cmp_eq_u32 s5, 1
	s_cselect_b64 s[12:13], -1, 0
	s_andn2_b64 vcc, exec, s[6:7]
	s_cbranch_vccnz .LBB152_3
.LBB152_2:
	s_mov_b32 s3, 0
	s_mov_b64 s[12:13], -1
.LBB152_3:
	s_andn2_b64 vcc, exec, s[12:13]
	s_cbranch_vccnz .LBB152_25
; %bb.4:
	s_load_dword s5, s[0:1], 0x9c
	s_load_dwordx2 s[6:7], s[0:1], 0x28
	s_add_u32 s20, s0, 0x90
	s_addc_u32 s21, s1, 0
	s_lshl_b64 s[24:25], s[2:3], 2
	s_waitcnt lgkmcnt(0)
	s_and_b32 s5, s5, 0xffff
	s_add_u32 s6, s6, s24
	s_addc_u32 s7, s7, s25
	s_load_dword s3, s[6:7], 0x0
	s_mul_i32 s5, s16, s5
	s_waitcnt lgkmcnt(0)
	s_cmp_ge_i32 s5, s3
	s_cbranch_scc1 .LBB152_25
; %bb.5:
	v_and_b32_e32 v2, 0xc0, v0
	v_add_u32_e32 v2, s5, v2
	v_lshrrev_b32_e32 v1, 6, v0
	v_cmp_gt_i32_e64 s[6:7], s3, v2
	v_cmp_le_i32_e32 vcc, s3, v2
                                        ; implicit-def: $sgpr26
                                        ; implicit-def: $sgpr17
	s_and_saveexec_b64 s[12:13], vcc
	s_xor_b64 s[12:13], exec, s[12:13]
	s_cbranch_execz .LBB152_7
; %bb.6:
	v_mul_u32_u24_e32 v2, 20, v1
	v_or_b32_e32 v2, 0xa00, v2
	v_mov_b32_e32 v3, 0xa50
	v_mov_b32_e32 v4, 0xff7fffff
	v_mad_u32_u24 v3, v1, 20, v3
	ds_write2_b32 v2, v4, v4 offset1:1
	v_mov_b32_e32 v2, 0
	ds_write2_b32 v3, v2, v2 offset1:1
	v_mov_b32_e32 v3, 0xa08
	s_mov_b32 s17, 0xff7fffff
	s_mov_b32 s26, 0
	v_mad_u32_u24 v3, v1, 20, v3
	v_mov_b32_e32 v5, 0xa58
	v_mad_u32_u24 v5, v1, 20, v5
	ds_write2_b32 v3, v4, v4 offset1:1
	ds_write2_b32 v5, v2, v2 offset1:1
                                        ; implicit-def: $vgpr2
.LBB152_7:
	s_or_saveexec_b64 s[22:23], s[12:13]
	s_load_dwordx2 s[18:19], s[0:1], 0x68
	s_load_dwordx4 s[12:15], s[0:1], 0x58
	s_load_dword s33, s[20:21], 0x4
	v_and_b32_e32 v46, 63, v0
	v_and_b32_e32 v47, 3, v0
	v_mov_b32_e32 v37, s26
	v_mov_b32_e32 v40, s17
	;; [unrolled: 1-line block ×5, first 2 shown]
                                        ; implicit-def: $vgpr3
                                        ; implicit-def: $vgpr7
                                        ; implicit-def: $vgpr11
                                        ; implicit-def: $vgpr15
                                        ; implicit-def: $vgpr19
                                        ; implicit-def: $vgpr23
                                        ; implicit-def: $vgpr27
                                        ; implicit-def: $vgpr31
	s_xor_b64 exec, exec, s[22:23]
	s_cbranch_execz .LBB152_19
; %bb.8:
	s_add_i32 s28, s3, 31
	s_ashr_i32 s29, s28, 31
	s_lshr_b32 s29, s29, 27
	v_add_u32_e32 v48, s5, v0
	s_add_i32 s28, s28, s29
	v_ashrrev_i32_e32 v3, 31, v48
	s_load_dwordx2 s[26:27], s[0:1], 0x20
	s_load_dword s17, s[0:1], 0x38
	s_ashr_i32 s28, s28, 5
	v_lshrrev_b32_e32 v3, 27, v3
	s_add_i32 s30, s28, -1
	v_add_u32_e32 v3, v48, v3
	v_ashrrev_i32_e32 v3, 5, v3
	v_mov_b32_e32 v4, s30
	v_cmp_gt_i32_e32 vcc, s3, v48
	s_waitcnt lgkmcnt(0)
	s_mul_i32 s28, s2, s17
	s_mov_b32 s29, 0
	v_cndmask_b32_e32 v4, v4, v3, vcc
	v_ashrrev_i32_e32 v3, 31, v2
	v_lshrrev_b32_e32 v3, 27, v3
	v_add_u32_e32 v2, v2, v3
	s_lshl_b64 s[28:29], s[28:29], 2
	v_ashrrev_i32_e32 v8, 5, v2
	s_add_u32 s26, s26, s28
	v_min_i32_e32 v2, s30, v8
	s_addc_u32 s27, s27, s29
	v_ashrrev_i32_e32 v3, 31, v2
	v_lshl_add_u64 v[6:7], v[2:3], 2, s[26:27]
	v_add_u32_e32 v2, 1, v8
	v_ashrrev_i32_e32 v5, 31, v4
	v_min_i32_e32 v2, s30, v2
	v_lshl_add_u64 v[4:5], v[4:5], 2, s[26:27]
	v_ashrrev_i32_e32 v3, 31, v2
	v_lshl_add_u64 v[8:9], v[2:3], 2, s[26:27]
	global_load_dword v2, v[4:5], off
	global_load_dword v14, v[6:7], off
	;; [unrolled: 1-line block ×3, first 2 shown]
	s_load_dwordx2 s[28:29], s[0:1], 0x8
	s_andn2_b64 vcc, exec, s[10:11]
	s_cbranch_vccnz .LBB152_11
; %bb.9:
	s_add_u32 s8, s8, s24
	s_addc_u32 s9, s9, s25
	s_load_dword s5, s[8:9], 0x0
	s_branch .LBB152_12
.LBB152_10:
	s_mov_b64 s[12:13], 0
	s_branch .LBB152_2
.LBB152_11:
	s_mov_b32 s5, s2
.LBB152_12:
	s_load_dwordx2 s[24:25], s[0:1], 0x10
	s_load_dwordx4 s[8:11], s[0:1], 0x48
	v_cmp_eq_u32_e32 vcc, 0, v47
	s_mov_b32 s27, 0
	v_mov_b32_e32 v45, 0
	v_mov_b32_e32 v24, 0
	v_mov_b32_e32 v25, 0
	v_mov_b32_e32 v26, 0
	v_mov_b32_e32 v27, 0
	s_and_saveexec_b64 s[30:31], vcc
	s_cbranch_execz .LBB152_14
; %bb.13:
	s_load_dwordx2 s[34:35], s[0:1], 0x0
	s_waitcnt lgkmcnt(0)
	s_ashr_i32 s11, s8, 31
	s_mul_hi_u32 s17, s5, s8
	s_mul_i32 s11, s5, s11
	s_add_i32 s37, s17, s11
	s_mul_i32 s36, s5, s8
	s_lshl_b64 s[36:37], s[36:37], 1
	s_add_u32 s5, s34, s36
	s_addc_u32 s8, s35, s37
	s_lshl_b32 s26, s4, 6
	s_lshl_b64 s[34:35], s[26:27], 1
	s_add_u32 s34, s5, s34
	s_addc_u32 s35, s8, s35
	v_lshlrev_b32_e32 v3, 2, v46
	global_load_dwordx4 v[24:27], v3, s[34:35]
.LBB152_14:
	s_or_b64 exec, exec, s[30:31]
	s_waitcnt lgkmcnt(0)
	s_mul_i32 s26, s4, s10
	s_lshl_b64 s[10:11], s[26:27], 1
	s_add_u32 s28, s10, s28
	s_waitcnt vmcnt(2)
	v_mad_i64_i32 v[2:3], s[30:31], v2, s9, 0
	s_addc_u32 s29, s11, s29
	v_and_b32_e32 v4, 31, v0
	v_lshl_add_u64 v[2:3], v[2:3], 1, s[28:29]
	v_lshlrev_b32_e32 v44, 4, v4
	v_lshl_add_u64 v[16:17], v[2:3], 0, v[44:45]
	global_load_dwordx4 v[10:13], v[16:17], off
	global_load_dwordx4 v[6:9], v[16:17], off offset:512
	global_load_dwordx4 v[2:5], v[16:17], off offset:1024
	;; [unrolled: 1-line block ×7, first 2 shown]
	v_mov_b32_e32 v44, 0
	s_and_saveexec_b64 s[28:29], vcc
	s_cbranch_execz .LBB152_16
; %bb.15:
	s_load_dwordx2 s[30:31], s[0:1], 0x40
	s_mov_b32 s5, s27
	s_lshl_b64 s[26:27], s[4:5], 2
	v_mov_b32_e32 v45, 1.0
	s_waitcnt lgkmcnt(0)
	s_add_u32 s26, s30, s26
	s_addc_u32 s27, s31, s27
	s_load_dword s5, s[26:27], 0x0
	s_waitcnt lgkmcnt(0)
	v_mov_b32_e32 v44, s5
.LBB152_16:
	s_or_b64 exec, exec, s[28:29]
	s_waitcnt vmcnt(7)
	v_mfma_f32_4x4x4_16b_f16 a[0:3], v[24:25], v[10:11], 0 cbsz:4
	s_add_u32 s10, s24, s10
	v_mul_hi_i32 v15, v14, s9
	v_mfma_f32_4x4x4_16b_f16 a[0:3], v[26:27], v[12:13], a[0:3] cbsz:4
	s_addc_u32 s11, s25, s11
	v_lshlrev_b32_e32 v50, 6, v46
	s_waitcnt vmcnt(6)
	v_mfma_f32_4x4x4_16b_f16 a[0:3], v[24:25], v[6:7], a[0:3] cbsz:4 abid:1
	v_mov_b32_e32 v51, 0
	v_ashrrev_i32_e32 v15, 31, v15
	v_mfma_f32_4x4x4_16b_f16 a[0:3], v[26:27], v[8:9], a[0:3] cbsz:4 abid:1
	v_mul_hi_i32 v23, v22, s9
	v_lshl_add_u64 v[52:53], s[10:11], 0, v[50:51]
	s_waitcnt vmcnt(5)
	v_mfma_f32_4x4x4_16b_f16 a[0:3], v[24:25], v[2:3], a[0:3] cbsz:4 abid:2
	v_lshrrev_b32_e32 v50, 29, v15
	v_ashrrev_i32_e32 v23, 31, v23
	v_mfma_f32_4x4x4_16b_f16 a[0:3], v[26:27], v[4:5], a[0:3] cbsz:4 abid:2
	s_load_dword s0, s[0:1], 0x1c
	v_mad_i64_i32 v[10:11], s[10:11], v14, s9, v[50:51]
	s_waitcnt vmcnt(4)
	v_mfma_f32_4x4x4_16b_f16 a[0:3], v[24:25], v[40:41], a[0:3] cbsz:4 abid:3
	v_lshrrev_b32_e32 v50, 29, v23
	v_mad_i64_i32 v[22:23], s[8:9], v22, s9, v[50:51]
	v_mfma_f32_4x4x4_16b_f16 a[0:3], v[26:27], v[42:43], a[0:3] cbsz:4 abid:3
	v_lshlrev_b64 v[6:7], 1, v[10:11]
	v_lshlrev_b64 v[22:23], 1, v[22:23]
	s_waitcnt vmcnt(3)
	v_mfma_f32_4x4x4_16b_f16 a[0:3], v[24:25], v[36:37], a[0:3] cbsz:4 abid:4
	v_and_b32_e32 v6, -16, v6
	v_and_b32_e32 v22, -16, v22
	v_mfma_f32_4x4x4_16b_f16 a[0:3], v[26:27], v[38:39], a[0:3] cbsz:4 abid:4
	v_lshl_add_u64 v[54:55], v[52:53], 0, v[6:7]
	global_load_dwordx4 v[2:5], v[54:55], off
	global_load_dwordx4 v[6:9], v[54:55], off offset:16
	s_waitcnt vmcnt(4)
	v_mfma_f32_4x4x4_16b_f16 a[0:3], v[24:25], v[32:33], a[0:3] cbsz:4 abid:5
	global_load_dwordx4 v[10:13], v[54:55], off offset:32
	global_load_dwordx4 v[14:17], v[54:55], off offset:48
	v_mfma_f32_4x4x4_16b_f16 a[0:3], v[26:27], v[34:35], a[0:3] cbsz:4 abid:5
	v_lshl_add_u64 v[34:35], v[52:53], 0, v[22:23]
	v_cmp_eq_u32_e32 vcc, 1, v47
	s_waitcnt vmcnt(5)
	v_mfma_f32_4x4x4_16b_f16 a[0:3], v[24:25], v[18:19], a[0:3] cbsz:4 abid:6
	v_mov_b32_e32 v41, 0xff7fffff
	s_nop 0
	v_mfma_f32_4x4x4_16b_f16 a[0:3], v[26:27], v[20:21], a[0:3] cbsz:4 abid:6
	s_waitcnt vmcnt(4)
	s_nop 0
	v_mfma_f32_4x4x4_16b_f16 a[0:3], v[24:25], v[28:29], a[0:3] cbsz:4 abid:7
	global_load_dwordx4 v[18:21], v[34:35], off
	global_load_dwordx4 v[22:25], v[34:35], off offset:16
	v_mfma_f32_4x4x4_16b_f16 a[0:3], v[26:27], v[30:31], a[0:3] cbsz:4 abid:7
	s_nop 4
	v_accvgpr_read_b32 v27, a1
	v_accvgpr_read_b32 v26, a0
	s_waitcnt lgkmcnt(0)
	v_pk_mul_f32 v[36:37], s[0:1], v[26:27] op_sel_hi:[0,1]
	global_load_dwordx4 v[26:29], v[34:35], off offset:32
	global_load_dwordx4 v[30:33], v[34:35], off offset:48
	v_accvgpr_read_b32 v35, a3
	v_accvgpr_read_b32 v34, a2
	v_pk_mul_f32 v[34:35], s[0:1], v[34:35] op_sel_hi:[0,1]
	v_mfma_f32_4x4x1_16b_f32 a[0:3], v36, v45, 0
	v_cndmask_b32_e64 v36, 0, 1.0, vcc
	v_cmp_eq_u32_e32 vcc, 2, v47
	s_nop 0
	v_mfma_f32_4x4x1_16b_f32 a[0:3], v37, v36, a[0:3]
	v_cndmask_b32_e64 v36, 0, 1.0, vcc
	v_cmp_eq_u32_e32 vcc, 3, v47
	s_nop 0
	v_mfma_f32_4x4x1_16b_f32 a[0:3], v34, v36, a[0:3]
	v_cndmask_b32_e64 v34, 0, 1.0, vcc
	s_nop 1
	v_mfma_f32_4x4x1_16b_f32 a[0:3], v35, v34, a[0:3]
	v_and_b32_e32 v34, -4, v48
	v_subrev_u32_e32 v35, s3, v34
	v_add_u32_e32 v36, 1, v35
	v_cvt_f32_i32_e32 v36, v36
	v_add_u32_e32 v37, 2, v35
	v_cvt_f32_i32_e32 v37, v37
	v_accvgpr_read_b32 v38, a0
	v_fma_f32 v36, v44, v36, v38
	v_accvgpr_read_b32 v38, a1
	v_fma_f32 v37, v44, v37, v38
	v_add_u32_e32 v38, 3, v35
	v_cvt_f32_i32_e32 v38, v38
	v_add_u32_e32 v35, 4, v35
	v_max_f32_e32 v40, 0xff7fffff, v36
	v_cmp_gt_i32_e32 vcc, s3, v34
	v_cvt_f32_i32_e32 v35, v35
	v_accvgpr_read_b32 v39, a2
	v_cndmask_b32_e32 v40, v41, v40, vcc
	v_or_b32_e32 v41, 1, v34
	v_max_f32_e32 v42, v40, v37
	v_cmp_gt_i32_e64 s[0:1], s3, v41
	v_fma_f32 v38, v44, v38, v39
	v_or_b32_e32 v34, 2, v34
	v_cndmask_b32_e64 v40, v40, v42, s[0:1]
	v_accvgpr_read_b32 v39, a3
	v_max_f32_e32 v41, v40, v38
	v_cmp_gt_i32_e64 s[8:9], s3, v34
	v_fmac_f32_e32 v39, v44, v35
	v_lshlrev_b32_e32 v35, 2, v0
	v_cndmask_b32_e64 v34, v40, v41, s[8:9]
	v_or_b32_e32 v40, 3, v48
	v_max_f32_e32 v41, v34, v39
	v_cmp_gt_i32_e64 s[10:11], s3, v40
	v_and_or_b32 v35, v35, 48, v47
	s_nop 0
	v_cndmask_b32_e64 v34, v34, v41, s[10:11]
	;;#ASMSTART
	v_nop
 v_nop
 v_max_f32_dpp v34, v34, v34 row_ror:4
	;;#ASMEND
	v_lshlrev_b32_e32 v41, 2, v35
	;;#ASMSTART
	v_nop
 v_nop
 v_max_f32_dpp v34, v34, v34 row_ror:8
	;;#ASMEND
	ds_bpermute_b32 v34, v41, v34
	s_waitcnt lgkmcnt(0)
	;;#ASMSTART
	v_nop
 v_nop
 v_max_f32_dpp v34, v34, v34 row_ror:4
	;;#ASMEND
	s_nop 0
	;;#ASMSTART
	v_nop
 v_nop
 v_max_f32_dpp v40, v34, v34 row_ror:8
	;;#ASMEND
	s_nop 0
	v_sub_f32_e32 v34, v36, v40
	v_mul_f32_e32 v34, 0x3fb8aa3b, v34
	v_sub_f32_e32 v35, v37, v40
	v_exp_f32_e32 v34, v34
	v_mul_f32_e32 v35, 0x3fb8aa3b, v35
	v_sub_f32_e32 v37, v38, v40
	v_exp_f32_e32 v35, v35
	;; [unrolled: 3-line block ×3, first 2 shown]
	v_mul_f32_e32 v38, 0x3fb8aa3b, v38
	v_exp_f32_e32 v38, v38
	v_cndmask_b32_e32 v34, 0, v34, vcc
	v_add_f32_e32 v36, 0, v34
	v_cndmask_b32_e64 v35, 0, v35, s[0:1]
	v_add_f32_e32 v39, v36, v35
	v_cndmask_b32_e64 v36, 0, v37, s[8:9]
	;; [unrolled: 2-line block ×3, first 2 shown]
	v_add_f32_e32 v38, v39, v37
	;;#ASMSTART
	v_nop
 v_nop
 v_add_f32_dpp v38, v38, v38 row_ror:4
	;;#ASMEND
	v_cmp_gt_u32_e32 vcc, 4, v46
	;;#ASMSTART
	v_nop
 v_nop
 v_add_f32_dpp v38, v38, v38 row_ror:8
	;;#ASMEND
	ds_bpermute_b32 v38, v41, v38
	s_waitcnt lgkmcnt(0)
	;;#ASMSTART
	v_nop
 v_nop
 v_add_f32_dpp v38, v38, v38 row_ror:4
	;;#ASMEND
	s_nop 0
	;;#ASMSTART
	v_nop
 v_nop
 v_add_f32_dpp v38, v38, v38 row_ror:8
	;;#ASMEND
	s_and_saveexec_b64 s[0:1], vcc
	s_cbranch_execz .LBB152_18
; %bb.17:
	v_mul_u32_u24_e32 v39, 20, v1
	v_lshl_add_u32 v39, v47, 2, v39
	v_add_u32_e32 v39, 0x800, v39
	ds_write2_b32 v39, v40, v38 offset0:128 offset1:148
.LBB152_18:
	s_or_b64 exec, exec, s[0:1]
.LBB152_19:
	s_or_b64 exec, exec, s[22:23]
	s_waitcnt lgkmcnt(0)
	s_barrier
	s_load_dword s0, s[20:21], 0x8
	v_lshlrev_b32_e32 v38, 2, v47
	v_add_u32_e32 v48, 0x800, v38
	ds_read2_b32 v[38:39], v48 offset0:128 offset1:133
	ds_read2_b32 v[42:43], v48 offset0:138 offset1:143
	s_mul_i32 s1, s33, s2
	s_waitcnt lgkmcnt(0)
	s_mul_i32 s0, s1, s0
	s_mov_b32 s1, 0xff7fffff
	v_max3_f32 v41, v38, s1, v39
	v_max3_f32 v41, v41, v42, v43
	v_sub_f32_e32 v38, v38, v41
	ds_read2_b32 v[44:45], v48 offset0:148 offset1:153
	v_mul_f32_e32 v38, 0x3fb8aa3b, v38
	v_sub_f32_e32 v39, v39, v41
	v_sub_f32_e32 v42, v42, v41
	v_exp_f32_e32 v50, v38
	v_mul_f32_e32 v39, 0x3fb8aa3b, v39
	v_mul_f32_e32 v42, 0x3fb8aa3b, v42
	v_exp_f32_e32 v39, v39
	ds_read2_b32 v[48:49], v48 offset0:158 offset1:163
	v_exp_f32_e32 v51, v42
	v_sub_f32_e32 v42, v43, v41
	v_mul_f32_e32 v42, 0x3fb8aa3b, v42
	v_exp_f32_e32 v43, v42
	s_waitcnt lgkmcnt(1)
	v_fma_f32 v42, v50, v44, 0
	v_fmac_f32_e32 v42, v39, v45
	s_waitcnt lgkmcnt(0)
	v_fmac_f32_e32 v42, v51, v48
	v_mov_b32_e32 v38, 0
	v_fmac_f32_e32 v42, v43, v49
	s_mov_b32 s1, 0
	v_cmp_eq_u32_e32 vcc, 0, v47
	s_and_saveexec_b64 s[2:3], vcc
	s_cbranch_execz .LBB152_21
; %bb.20:
	s_lshl_b64 s[8:9], s[0:1], 2
	s_add_u32 s5, s12, s8
	s_mov_b32 s17, s1
	s_addc_u32 s12, s13, s9
	s_lshl_b64 s[10:11], s[16:17], 2
	s_add_u32 s5, s5, s10
	s_addc_u32 s12, s12, s11
	s_add_u32 s8, s14, s8
	s_addc_u32 s9, s15, s9
	s_add_u32 s13, s8, s10
	s_addc_u32 s14, s9, s11
	s_mul_i32 s8, s33, s4
	s_mov_b32 s9, s1
	s_lshl_b64 s[8:9], s[8:9], 2
	s_add_u32 s10, s5, s8
	s_addc_u32 s11, s12, s9
	s_add_u32 s8, s13, s8
	s_addc_u32 s9, s14, s9
	global_store_dword v38, v41, s[8:9]
	global_store_dword v38, v42, s[10:11]
.LBB152_21:
	s_or_b64 exec, exec, s[2:3]
	v_mov_b32_e32 v39, 0
	s_and_saveexec_b64 s[2:3], s[6:7]
	s_cbranch_execz .LBB152_23
; %bb.22:
	v_add_f32_e32 v38, 0x358637bd, v42
	v_div_scale_f32 v39, s[6:7], v38, v38, 1.0
	v_rcp_f32_e32 v42, v39
	v_div_scale_f32 v43, vcc, 1.0, v38, 1.0
	v_sub_f32_e32 v40, v40, v41
	v_fma_f32 v44, -v39, v42, 1.0
	v_fmac_f32_e32 v42, v44, v42
	v_mul_f32_e32 v44, v43, v42
	v_fma_f32 v45, -v39, v44, v43
	v_mul_f32_e32 v40, 0x3fb8aa3b, v40
	v_fmac_f32_e32 v44, v45, v42
	v_exp_f32_e32 v40, v40
	v_fma_f32 v39, -v39, v44, v43
	v_div_fmas_f32 v39, v39, v42, v44
	v_div_fixup_f32 v38, v39, v38, 1.0
	v_mul_f32_e32 v38, v40, v38
	v_pk_mul_f32 v[36:37], v[36:37], v[38:39] op_sel_hi:[1,0]
	v_pk_mul_f32 v[34:35], v[34:35], v[38:39] op_sel_hi:[1,0]
	v_cvt_f16_f32_e32 v36, v36
	v_cvt_f16_f32_e32 v34, v34
	;; [unrolled: 1-line block ×4, first 2 shown]
	s_mov_b32 s1, 0x5040100
	v_pack_b32_f16 v34, v34, v35
	v_pack_b32_f16 v35, v36, v37
	s_waitcnt vmcnt(7)
	s_nop 0
	v_mfma_f32_4x4x4_16b_f16 a[0:3], v[34:35], v[2:3], 0 cbsz:4
	s_nop 1
	v_mfma_f32_4x4x4_16b_f16 a[0:3], v[34:35], v[4:5], a[0:3] cbsz:4 abid:1
	s_waitcnt vmcnt(6)
	s_nop 0
	v_mfma_f32_4x4x4_16b_f16 a[0:3], v[34:35], v[6:7], a[0:3] cbsz:4 abid:2
	s_nop 1
	v_mfma_f32_4x4x4_16b_f16 a[0:3], v[34:35], v[8:9], a[0:3] cbsz:4 abid:3
	s_waitcnt vmcnt(5)
	s_nop 0
	v_mfma_f32_4x4x4_16b_f16 a[0:3], v[34:35], v[10:11], a[0:3] cbsz:4 abid:4
	;; [unrolled: 5-line block ×7, first 2 shown]
	s_nop 1
	v_mfma_f32_4x4x4_16b_f16 a[0:3], v[34:35], v[32:33], a[0:3] cbsz:4 abid:15
	s_nop 4
	v_accvgpr_read_b32 v2, a0
	v_accvgpr_read_b32 v3, a1
	;; [unrolled: 1-line block ×4, first 2 shown]
	v_cvt_f16_f32_e32 v2, v2
	v_cvt_f16_f32_e32 v3, v3
	;; [unrolled: 1-line block ×4, first 2 shown]
	v_perm_b32 v38, v3, v2, s1
	v_perm_b32 v39, v5, v4, s1
.LBB152_23:
	s_or_b64 exec, exec, s[2:3]
	v_lshlrev_b32_e32 v1, 3, v1
	v_mad_u32_u24 v1, v46, 40, v1
	v_cmp_gt_u32_e32 vcc, 64, v0
	ds_write_b64 v1, v[38:39]
	s_waitcnt lgkmcnt(0)
	s_barrier
	s_and_saveexec_b64 s[2:3], vcc
	s_cbranch_execz .LBB152_25
; %bb.24:
	v_mul_u32_u24_e32 v1, 40, v46
	s_waitcnt vmcnt(7)
	ds_read2_b64 v[2:5], v1 offset1:1
	s_waitcnt vmcnt(6)
	ds_read2_b64 v[6:9], v1 offset0:2 offset1:3
	s_lshl_b32 s0, s0, 6
	s_mov_b32 s1, 0
	s_lshl_b64 s[2:3], s[0:1], 1
	s_add_u32 s2, s18, s2
	s_addc_u32 s3, s19, s3
	s_lshl_b32 s0, s16, 6
	s_lshl_b64 s[0:1], s[0:1], 1
	s_waitcnt lgkmcnt(1)
	v_pk_add_f16 v2, v2, 0
	s_add_u32 s0, s2, s0
	s_mul_i32 s2, s4, s33
	v_pk_add_f16 v2, v2, v4
	s_addc_u32 s1, s3, s1
	v_lshl_or_b32 v0, s2, 6, v0
	v_mov_b32_e32 v1, 0
	s_waitcnt lgkmcnt(0)
	v_pk_add_f16 v2, v2, v6
	v_lshl_add_u64 v[0:1], v[0:1], 1, s[0:1]
	v_pk_add_f16 v2, v2, v8
	global_store_short v[0:1], v2, off
.LBB152_25:
	s_endpgm
	.section	.rodata,"a",@progbits
	.p2align	6, 0x0
	.amdhsa_kernel _Z38paged_attention_ll4mi_QKV_mfma4_kernelIDF16_DF16_LN4vllm18Fp8KVCacheDataTypeE0EDF16_Li32ELi64ELi256ELb1ELi1EEvPKT_PKT0_S7_ifPKiS9_S9_iPKfiiiPfSC_PS2_PT2_iSB_SB_
		.amdhsa_group_segment_fixed_size 2720
		.amdhsa_private_segment_fixed_size 0
		.amdhsa_kernarg_size 400
		.amdhsa_user_sgpr_count 2
		.amdhsa_user_sgpr_dispatch_ptr 0
		.amdhsa_user_sgpr_queue_ptr 0
		.amdhsa_user_sgpr_kernarg_segment_ptr 1
		.amdhsa_user_sgpr_dispatch_id 0
		.amdhsa_user_sgpr_kernarg_preload_length 0
		.amdhsa_user_sgpr_kernarg_preload_offset 0
		.amdhsa_user_sgpr_private_segment_size 0
		.amdhsa_uses_dynamic_stack 0
		.amdhsa_enable_private_segment 0
		.amdhsa_system_sgpr_workgroup_id_x 1
		.amdhsa_system_sgpr_workgroup_id_y 1
		.amdhsa_system_sgpr_workgroup_id_z 1
		.amdhsa_system_sgpr_workgroup_info 0
		.amdhsa_system_vgpr_workitem_id 0
		.amdhsa_next_free_vgpr 60
		.amdhsa_next_free_sgpr 38
		.amdhsa_accum_offset 56
		.amdhsa_reserve_vcc 1
		.amdhsa_float_round_mode_32 0
		.amdhsa_float_round_mode_16_64 0
		.amdhsa_float_denorm_mode_32 3
		.amdhsa_float_denorm_mode_16_64 3
		.amdhsa_dx10_clamp 1
		.amdhsa_ieee_mode 1
		.amdhsa_fp16_overflow 0
		.amdhsa_tg_split 0
		.amdhsa_exception_fp_ieee_invalid_op 0
		.amdhsa_exception_fp_denorm_src 0
		.amdhsa_exception_fp_ieee_div_zero 0
		.amdhsa_exception_fp_ieee_overflow 0
		.amdhsa_exception_fp_ieee_underflow 0
		.amdhsa_exception_fp_ieee_inexact 0
		.amdhsa_exception_int_div_zero 0
	.end_amdhsa_kernel
	.section	.text._Z38paged_attention_ll4mi_QKV_mfma4_kernelIDF16_DF16_LN4vllm18Fp8KVCacheDataTypeE0EDF16_Li32ELi64ELi256ELb1ELi1EEvPKT_PKT0_S7_ifPKiS9_S9_iPKfiiiPfSC_PS2_PT2_iSB_SB_,"axG",@progbits,_Z38paged_attention_ll4mi_QKV_mfma4_kernelIDF16_DF16_LN4vllm18Fp8KVCacheDataTypeE0EDF16_Li32ELi64ELi256ELb1ELi1EEvPKT_PKT0_S7_ifPKiS9_S9_iPKfiiiPfSC_PS2_PT2_iSB_SB_,comdat
.Lfunc_end152:
	.size	_Z38paged_attention_ll4mi_QKV_mfma4_kernelIDF16_DF16_LN4vllm18Fp8KVCacheDataTypeE0EDF16_Li32ELi64ELi256ELb1ELi1EEvPKT_PKT0_S7_ifPKiS9_S9_iPKfiiiPfSC_PS2_PT2_iSB_SB_, .Lfunc_end152-_Z38paged_attention_ll4mi_QKV_mfma4_kernelIDF16_DF16_LN4vllm18Fp8KVCacheDataTypeE0EDF16_Li32ELi64ELi256ELb1ELi1EEvPKT_PKT0_S7_ifPKiS9_S9_iPKfiiiPfSC_PS2_PT2_iSB_SB_
                                        ; -- End function
	.section	.AMDGPU.csdata,"",@progbits
; Kernel info:
; codeLenInByte = 3000
; NumSgprs: 44
; NumVgprs: 56
; NumAgprs: 4
; TotalNumVgprs: 60
; ScratchSize: 0
; MemoryBound: 0
; FloatMode: 240
; IeeeMode: 1
; LDSByteSize: 2720 bytes/workgroup (compile time only)
; SGPRBlocks: 5
; VGPRBlocks: 7
; NumSGPRsForWavesPerEU: 44
; NumVGPRsForWavesPerEU: 60
; AccumOffset: 56
; Occupancy: 8
; WaveLimiterHint : 1
; COMPUTE_PGM_RSRC2:SCRATCH_EN: 0
; COMPUTE_PGM_RSRC2:USER_SGPR: 2
; COMPUTE_PGM_RSRC2:TRAP_HANDLER: 0
; COMPUTE_PGM_RSRC2:TGID_X_EN: 1
; COMPUTE_PGM_RSRC2:TGID_Y_EN: 1
; COMPUTE_PGM_RSRC2:TGID_Z_EN: 1
; COMPUTE_PGM_RSRC2:TIDIG_COMP_CNT: 0
; COMPUTE_PGM_RSRC3_GFX90A:ACCUM_OFFSET: 13
; COMPUTE_PGM_RSRC3_GFX90A:TG_SPLIT: 0
	.section	.text._Z38paged_attention_ll4mi_QKV_mfma4_kernelIDF16_DF16_LN4vllm18Fp8KVCacheDataTypeE0EDF16_Li32ELi64ELi256ELb1ELi2EEvPKT_PKT0_S7_ifPKiS9_S9_iPKfiiiPfSC_PS2_PT2_iSB_SB_,"axG",@progbits,_Z38paged_attention_ll4mi_QKV_mfma4_kernelIDF16_DF16_LN4vllm18Fp8KVCacheDataTypeE0EDF16_Li32ELi64ELi256ELb1ELi2EEvPKT_PKT0_S7_ifPKiS9_S9_iPKfiiiPfSC_PS2_PT2_iSB_SB_,comdat
	.protected	_Z38paged_attention_ll4mi_QKV_mfma4_kernelIDF16_DF16_LN4vllm18Fp8KVCacheDataTypeE0EDF16_Li32ELi64ELi256ELb1ELi2EEvPKT_PKT0_S7_ifPKiS9_S9_iPKfiiiPfSC_PS2_PT2_iSB_SB_ ; -- Begin function _Z38paged_attention_ll4mi_QKV_mfma4_kernelIDF16_DF16_LN4vllm18Fp8KVCacheDataTypeE0EDF16_Li32ELi64ELi256ELb1ELi2EEvPKT_PKT0_S7_ifPKiS9_S9_iPKfiiiPfSC_PS2_PT2_iSB_SB_
	.globl	_Z38paged_attention_ll4mi_QKV_mfma4_kernelIDF16_DF16_LN4vllm18Fp8KVCacheDataTypeE0EDF16_Li32ELi64ELi256ELb1ELi2EEvPKT_PKT0_S7_ifPKiS9_S9_iPKfiiiPfSC_PS2_PT2_iSB_SB_
	.p2align	8
	.type	_Z38paged_attention_ll4mi_QKV_mfma4_kernelIDF16_DF16_LN4vllm18Fp8KVCacheDataTypeE0EDF16_Li32ELi64ELi256ELb1ELi2EEvPKT_PKT0_S7_ifPKiS9_S9_iPKfiiiPfSC_PS2_PT2_iSB_SB_,@function
_Z38paged_attention_ll4mi_QKV_mfma4_kernelIDF16_DF16_LN4vllm18Fp8KVCacheDataTypeE0EDF16_Li32ELi64ELi256ELb1ELi2EEvPKT_PKT0_S7_ifPKiS9_S9_iPKfiiiPfSC_PS2_PT2_iSB_SB_: ; @_Z38paged_attention_ll4mi_QKV_mfma4_kernelIDF16_DF16_LN4vllm18Fp8KVCacheDataTypeE0EDF16_Li32ELi64ELi256ELb1ELi2EEvPKT_PKT0_S7_ifPKiS9_S9_iPKfiiiPfSC_PS2_PT2_iSB_SB_
; %bb.0:
	s_load_dwordx2 s[8:9], s[0:1], 0x30
	s_mov_b32 s16, s3
	s_mov_b64 s[6:7], 0
	s_waitcnt lgkmcnt(0)
	s_cmp_lg_u64 s[8:9], 0
	s_cselect_b64 s[10:11], -1, 0
	s_and_b64 vcc, exec, s[10:11]
	s_cbranch_vccz .LBB153_10
; %bb.1:
	s_add_i32 s12, s2, 1
	s_mov_b32 s13, 0
	s_lshl_b64 s[14:15], s[12:13], 2
	s_add_u32 s14, s8, s14
	s_mov_b32 s3, s13
	s_addc_u32 s15, s9, s15
	s_lshl_b64 s[12:13], s[2:3], 2
	s_add_u32 s12, s8, s12
	s_addc_u32 s13, s9, s13
	s_load_dword s5, s[14:15], 0x0
	s_load_dword s17, s[12:13], 0x0
	s_waitcnt lgkmcnt(0)
	s_sub_i32 s5, s5, s17
	s_cmp_eq_u32 s5, 1
	s_cselect_b64 s[12:13], -1, 0
	s_andn2_b64 vcc, exec, s[6:7]
	s_cbranch_vccnz .LBB153_3
.LBB153_2:
	s_mov_b32 s3, 0
	s_mov_b64 s[12:13], -1
.LBB153_3:
	s_andn2_b64 vcc, exec, s[12:13]
	s_cbranch_vccnz .LBB153_25
; %bb.4:
	s_load_dword s5, s[0:1], 0x9c
	s_load_dwordx2 s[6:7], s[0:1], 0x28
	s_add_u32 s20, s0, 0x90
	s_addc_u32 s21, s1, 0
	s_lshl_b64 s[24:25], s[2:3], 2
	s_waitcnt lgkmcnt(0)
	s_and_b32 s5, s5, 0xffff
	s_add_u32 s6, s6, s24
	s_addc_u32 s7, s7, s25
	s_load_dword s3, s[6:7], 0x0
	s_mul_i32 s5, s16, s5
	s_waitcnt lgkmcnt(0)
	s_cmp_ge_i32 s5, s3
	s_cbranch_scc1 .LBB153_25
; %bb.5:
	v_and_b32_e32 v2, 0xc0, v0
	v_add_u32_e32 v2, s5, v2
	v_lshrrev_b32_e32 v1, 6, v0
	v_cmp_gt_i32_e64 s[6:7], s3, v2
	v_cmp_le_i32_e32 vcc, s3, v2
                                        ; implicit-def: $sgpr26
                                        ; implicit-def: $sgpr17
	s_and_saveexec_b64 s[12:13], vcc
	s_xor_b64 s[12:13], exec, s[12:13]
	s_cbranch_execz .LBB153_7
; %bb.6:
	v_mul_u32_u24_e32 v2, 20, v1
	v_or_b32_e32 v2, 0xa00, v2
	v_mov_b32_e32 v3, 0xa50
	v_mov_b32_e32 v4, 0xff7fffff
	v_mad_u32_u24 v3, v1, 20, v3
	ds_write2_b32 v2, v4, v4 offset1:1
	v_mov_b32_e32 v2, 0
	ds_write2_b32 v3, v2, v2 offset1:1
	v_mov_b32_e32 v3, 0xa08
	s_mov_b32 s17, 0xff7fffff
	s_mov_b32 s26, 0
	v_mad_u32_u24 v3, v1, 20, v3
	v_mov_b32_e32 v5, 0xa58
	v_mad_u32_u24 v5, v1, 20, v5
	ds_write2_b32 v3, v4, v4 offset1:1
	ds_write2_b32 v5, v2, v2 offset1:1
                                        ; implicit-def: $vgpr2
.LBB153_7:
	s_or_saveexec_b64 s[22:23], s[12:13]
	s_load_dwordx2 s[18:19], s[0:1], 0x68
	s_load_dwordx4 s[12:15], s[0:1], 0x58
	s_load_dword s33, s[20:21], 0x4
	v_and_b32_e32 v44, 63, v0
	v_and_b32_e32 v45, 3, v0
	s_lshl_b32 s34, s4, 1
	v_mov_b32_e32 v37, s26
	v_mov_b32_e32 v40, s17
	;; [unrolled: 1-line block ×5, first 2 shown]
                                        ; implicit-def: $vgpr3
                                        ; implicit-def: $vgpr7
                                        ; implicit-def: $vgpr11
                                        ; implicit-def: $vgpr15
                                        ; implicit-def: $vgpr19
                                        ; implicit-def: $vgpr23
                                        ; implicit-def: $vgpr27
                                        ; implicit-def: $vgpr31
	s_xor_b64 exec, exec, s[22:23]
	s_cbranch_execz .LBB153_19
; %bb.8:
	s_add_i32 s28, s3, 31
	s_ashr_i32 s29, s28, 31
	s_lshr_b32 s29, s29, 27
	v_add_u32_e32 v46, s5, v0
	s_add_i32 s28, s28, s29
	v_ashrrev_i32_e32 v3, 31, v46
	s_load_dwordx2 s[26:27], s[0:1], 0x20
	s_load_dword s17, s[0:1], 0x38
	s_ashr_i32 s28, s28, 5
	v_lshrrev_b32_e32 v3, 27, v3
	s_add_i32 s30, s28, -1
	v_add_u32_e32 v3, v46, v3
	v_ashrrev_i32_e32 v3, 5, v3
	v_mov_b32_e32 v4, s30
	v_cmp_gt_i32_e32 vcc, s3, v46
	s_waitcnt lgkmcnt(0)
	s_mul_i32 s28, s2, s17
	s_mov_b32 s29, 0
	v_cndmask_b32_e32 v4, v4, v3, vcc
	v_ashrrev_i32_e32 v3, 31, v2
	v_lshrrev_b32_e32 v3, 27, v3
	v_add_u32_e32 v2, v2, v3
	s_lshl_b64 s[28:29], s[28:29], 2
	v_ashrrev_i32_e32 v8, 5, v2
	s_add_u32 s26, s26, s28
	v_min_i32_e32 v2, s30, v8
	s_addc_u32 s27, s27, s29
	v_ashrrev_i32_e32 v3, 31, v2
	v_lshl_add_u64 v[6:7], v[2:3], 2, s[26:27]
	v_add_u32_e32 v2, 1, v8
	v_ashrrev_i32_e32 v5, 31, v4
	v_min_i32_e32 v2, s30, v2
	v_lshl_add_u64 v[4:5], v[4:5], 2, s[26:27]
	v_ashrrev_i32_e32 v3, 31, v2
	v_lshl_add_u64 v[8:9], v[2:3], 2, s[26:27]
	global_load_dword v2, v[4:5], off
	global_load_dword v16, v[6:7], off
	;; [unrolled: 1-line block ×3, first 2 shown]
	s_load_dwordx2 s[26:27], s[0:1], 0x8
	s_andn2_b64 vcc, exec, s[10:11]
	s_cbranch_vccnz .LBB153_11
; %bb.9:
	s_add_u32 s8, s8, s24
	s_addc_u32 s9, s9, s25
	s_load_dword s5, s[8:9], 0x0
	s_branch .LBB153_12
.LBB153_10:
	s_mov_b64 s[12:13], 0
	s_branch .LBB153_2
.LBB153_11:
	s_mov_b32 s5, s2
.LBB153_12:
	s_load_dwordx2 s[24:25], s[0:1], 0x10
	s_load_dwordx4 s[8:11], s[0:1], 0x48
	v_cmp_gt_u32_e32 vcc, 2, v45
	s_mov_b32 s29, 0
	v_mov_b32_e32 v7, 0
	v_mov_b32_e32 v32, 0
	;; [unrolled: 1-line block ×5, first 2 shown]
	s_and_saveexec_b64 s[30:31], vcc
	s_cbranch_execz .LBB153_14
; %bb.13:
	s_load_dwordx2 s[36:37], s[0:1], 0x0
	s_waitcnt lgkmcnt(0)
	s_ashr_i32 s11, s8, 31
	s_mul_hi_u32 s17, s5, s8
	s_mul_i32 s11, s5, s11
	s_add_i32 s39, s17, s11
	s_mul_i32 s38, s5, s8
	s_lshl_b64 s[38:39], s[38:39], 1
	s_add_u32 s5, s36, s38
	s_addc_u32 s8, s37, s39
	s_lshl_b32 s28, s4, 7
	s_lshl_b64 s[36:37], s[28:29], 1
	s_add_u32 s36, s5, s36
	v_lshlrev_b32_e32 v3, 3, v45
	v_lshrrev_b32_e32 v4, 2, v44
	s_addc_u32 s37, s8, s37
	v_add_lshl_u32 v3, v3, v4, 4
	global_load_dwordx4 v[32:35], v3, s[36:37]
.LBB153_14:
	s_or_b64 exec, exec, s[30:31]
	s_waitcnt lgkmcnt(0)
	s_mul_i32 s28, s4, s10
	s_lshl_b64 s[4:5], s[28:29], 1
	s_add_u32 s10, s4, s26
	s_waitcnt vmcnt(2)
	v_mad_i64_i32 v[2:3], s[30:31], v2, s9, 0
	s_addc_u32 s11, s5, s27
	v_and_b32_e32 v4, 31, v0
	v_lshl_add_u64 v[2:3], v[2:3], 1, s[10:11]
	v_lshlrev_b32_e32 v6, 4, v4
	v_lshl_add_u64 v[48:49], v[2:3], 0, v[6:7]
	global_load_dwordx4 v[12:15], v[48:49], off
	global_load_dwordx4 v[2:5], v[48:49], off offset:512
	global_load_dwordx4 v[8:11], v[48:49], off offset:1024
	;; [unrolled: 1-line block ×7, first 2 shown]
	v_mov_b32_e32 v47, 0
	s_and_saveexec_b64 s[10:11], vcc
	s_cbranch_execz .LBB153_16
; %bb.15:
	s_load_dwordx2 s[26:27], s[0:1], 0x40
	v_or_b32_e32 v48, s34, v45
	v_mov_b32_e32 v49, 0
	s_waitcnt lgkmcnt(0)
	v_lshl_add_u64 v[48:49], v[48:49], 2, s[26:27]
	global_load_dword v47, v[48:49], off
.LBB153_16:
	s_or_b64 exec, exec, s[10:11]
	s_waitcnt vmcnt(7)
	v_mfma_f32_4x4x4_16b_f16 a[0:3], v[32:33], v[12:13], 0 cbsz:4
	s_add_u32 s4, s24, s4
	s_addc_u32 s5, s25, s5
	v_mfma_f32_4x4x4_16b_f16 a[0:3], v[34:35], v[14:15], a[0:3] cbsz:4
	v_lshlrev_b32_e32 v6, 6, v44
	v_lshl_add_u64 v[48:49], s[4:5], 0, v[6:7]
	s_waitcnt vmcnt(6)
	v_mfma_f32_4x4x4_16b_f16 a[0:3], v[32:33], v[2:3], a[0:3] cbsz:4 abid:1
	v_mul_hi_i32 v6, v16, s9
	v_ashrrev_i32_e32 v6, 31, v6
	v_mfma_f32_4x4x4_16b_f16 a[0:3], v[34:35], v[4:5], a[0:3] cbsz:4 abid:1
	v_mul_hi_i32 v31, v30, s9
	v_lshrrev_b32_e32 v50, 29, v6
	s_waitcnt vmcnt(5)
	v_mfma_f32_4x4x4_16b_f16 a[0:3], v[32:33], v[8:9], a[0:3] cbsz:4 abid:2
	v_mov_b32_e32 v51, 0
	v_ashrrev_i32_e32 v31, 31, v31
	v_mfma_f32_4x4x4_16b_f16 a[0:3], v[34:35], v[10:11], a[0:3] cbsz:4 abid:2
	v_mad_i64_i32 v[6:7], s[4:5], v16, s9, v[50:51]
	s_waitcnt vmcnt(4)
	v_mfma_f32_4x4x4_16b_f16 a[0:3], v[32:33], v[40:41], a[0:3] cbsz:4 abid:3
	v_lshrrev_b32_e32 v50, 29, v31
	v_lshlrev_b64 v[6:7], 1, v[6:7]
	v_mfma_f32_4x4x4_16b_f16 a[0:3], v[34:35], v[42:43], a[0:3] cbsz:4 abid:3
	v_and_b32_e32 v6, -16, v6
	v_lshl_add_u64 v[52:53], v[48:49], 0, v[6:7]
	s_waitcnt vmcnt(3)
	v_mfma_f32_4x4x4_16b_f16 a[0:3], v[32:33], v[26:27], a[0:3] cbsz:4 abid:4
	v_mad_i64_i32 v[26:27], s[4:5], v30, s9, v[50:51]
	s_nop 0
	v_mfma_f32_4x4x4_16b_f16 a[0:3], v[34:35], v[28:29], a[0:3] cbsz:4 abid:4
	global_load_dwordx4 v[2:5], v[52:53], off
	global_load_dwordx4 v[6:9], v[52:53], off offset:16
	s_waitcnt vmcnt(4)
	v_mfma_f32_4x4x4_16b_f16 a[0:3], v[32:33], v[22:23], a[0:3] cbsz:4 abid:5
	v_lshlrev_b64 v[22:23], 1, v[26:27]
	v_and_b32_e32 v22, -16, v22
	v_mfma_f32_4x4x4_16b_f16 a[0:3], v[34:35], v[24:25], a[0:3] cbsz:4 abid:5
	v_lshl_add_u64 v[40:41], v[48:49], 0, v[22:23]
	global_load_dwordx4 v[10:13], v[52:53], off offset:32
	global_load_dwordx4 v[14:17], v[52:53], off offset:48
	s_waitcnt vmcnt(5)
	v_mfma_f32_4x4x4_16b_f16 a[0:3], v[32:33], v[18:19], a[0:3] cbsz:4 abid:6
	s_load_dword s0, s[0:1], 0x1c
	v_cmp_eq_u32_e32 vcc, 0, v45
	v_mfma_f32_4x4x4_16b_f16 a[0:3], v[34:35], v[20:21], a[0:3] cbsz:4 abid:6
	global_load_dwordx4 v[18:21], v[40:41], off
	global_load_dwordx4 v[22:25], v[40:41], off offset:16
	s_waitcnt vmcnt(6)
	v_mfma_f32_4x4x4_16b_f16 a[0:3], v[32:33], v[36:37], a[0:3] cbsz:4 abid:7
	global_load_dwordx4 v[26:29], v[40:41], off offset:32
	global_load_dwordx4 v[30:33], v[40:41], off offset:48
	v_mfma_f32_4x4x4_16b_f16 a[0:3], v[34:35], v[38:39], a[0:3] cbsz:4 abid:7
	v_cndmask_b32_e64 v38, 0, 1.0, vcc
	v_cmp_eq_u32_e32 vcc, 1, v45
	v_mov_b32_e32 v41, 0xff7fffff
	s_nop 1
	v_accvgpr_read_b32 v37, a1
	v_accvgpr_read_b32 v36, a0
	s_waitcnt lgkmcnt(0)
	v_pk_mul_f32 v[36:37], s[0:1], v[36:37] op_sel_hi:[0,1]
	v_accvgpr_read_b32 v35, a3
	v_accvgpr_read_b32 v34, a2
	v_pk_mul_f32 v[34:35], s[0:1], v[34:35] op_sel_hi:[0,1]
	v_mfma_f32_4x4x1_16b_f32 a[0:3], v36, v38, 0
	v_cndmask_b32_e64 v36, 0, 1.0, vcc
	v_cmp_eq_u32_e32 vcc, 2, v45
	s_nop 0
	v_mfma_f32_4x4x1_16b_f32 a[0:3], v37, v36, a[0:3]
	v_cndmask_b32_e64 v36, 0, 1.0, vcc
	v_cmp_eq_u32_e32 vcc, 3, v45
	s_nop 0
	v_mfma_f32_4x4x1_16b_f32 a[0:3], v34, v36, a[0:3]
	v_cndmask_b32_e64 v34, 0, 1.0, vcc
	s_nop 1
	v_mfma_f32_4x4x1_16b_f32 a[0:3], v35, v34, a[0:3]
	v_and_b32_e32 v34, -4, v46
	v_subrev_u32_e32 v35, s3, v34
	v_add_u32_e32 v36, 1, v35
	v_cvt_f32_i32_e32 v36, v36
	v_add_u32_e32 v37, 2, v35
	v_cvt_f32_i32_e32 v37, v37
	v_accvgpr_read_b32 v38, a0
	v_fma_f32 v36, v47, v36, v38
	v_accvgpr_read_b32 v38, a1
	v_fma_f32 v37, v47, v37, v38
	v_add_u32_e32 v38, 3, v35
	v_cvt_f32_i32_e32 v38, v38
	v_add_u32_e32 v35, 4, v35
	v_max_f32_e32 v40, 0xff7fffff, v36
	v_cmp_gt_i32_e32 vcc, s3, v34
	v_cvt_f32_i32_e32 v35, v35
	v_accvgpr_read_b32 v39, a2
	v_cndmask_b32_e32 v40, v41, v40, vcc
	v_or_b32_e32 v41, 1, v34
	v_max_f32_e32 v42, v40, v37
	v_cmp_gt_i32_e64 s[0:1], s3, v41
	v_fma_f32 v38, v47, v38, v39
	v_or_b32_e32 v34, 2, v34
	v_cndmask_b32_e64 v40, v40, v42, s[0:1]
	v_accvgpr_read_b32 v39, a3
	v_max_f32_e32 v41, v40, v38
	v_cmp_gt_i32_e64 s[4:5], s3, v34
	v_fmac_f32_e32 v39, v47, v35
	v_lshlrev_b32_e32 v35, 2, v0
	v_cndmask_b32_e64 v34, v40, v41, s[4:5]
	v_or_b32_e32 v40, 3, v46
	v_max_f32_e32 v41, v34, v39
	v_cmp_gt_i32_e64 s[8:9], s3, v40
	v_and_or_b32 v35, v35, 48, v45
	s_nop 0
	v_cndmask_b32_e64 v34, v34, v41, s[8:9]
	;;#ASMSTART
	v_nop
 v_nop
 v_max_f32_dpp v34, v34, v34 row_ror:4
	;;#ASMEND
	v_lshlrev_b32_e32 v41, 2, v35
	;;#ASMSTART
	v_nop
 v_nop
 v_max_f32_dpp v34, v34, v34 row_ror:8
	;;#ASMEND
	ds_bpermute_b32 v34, v41, v34
	s_waitcnt lgkmcnt(0)
	;;#ASMSTART
	v_nop
 v_nop
 v_max_f32_dpp v34, v34, v34 row_ror:4
	;;#ASMEND
	s_nop 0
	;;#ASMSTART
	v_nop
 v_nop
 v_max_f32_dpp v40, v34, v34 row_ror:8
	;;#ASMEND
	s_nop 0
	v_sub_f32_e32 v34, v36, v40
	v_mul_f32_e32 v34, 0x3fb8aa3b, v34
	v_sub_f32_e32 v35, v37, v40
	v_exp_f32_e32 v34, v34
	v_mul_f32_e32 v35, 0x3fb8aa3b, v35
	v_sub_f32_e32 v37, v38, v40
	v_exp_f32_e32 v35, v35
	;; [unrolled: 3-line block ×3, first 2 shown]
	v_mul_f32_e32 v38, 0x3fb8aa3b, v38
	v_exp_f32_e32 v38, v38
	v_cndmask_b32_e32 v34, 0, v34, vcc
	v_add_f32_e32 v36, 0, v34
	v_cndmask_b32_e64 v35, 0, v35, s[0:1]
	v_add_f32_e32 v39, v36, v35
	v_cndmask_b32_e64 v36, 0, v37, s[4:5]
	;; [unrolled: 2-line block ×3, first 2 shown]
	v_add_f32_e32 v38, v39, v37
	;;#ASMSTART
	v_nop
 v_nop
 v_add_f32_dpp v38, v38, v38 row_ror:4
	;;#ASMEND
	v_cmp_gt_u32_e32 vcc, 4, v44
	;;#ASMSTART
	v_nop
 v_nop
 v_add_f32_dpp v38, v38, v38 row_ror:8
	;;#ASMEND
	ds_bpermute_b32 v38, v41, v38
	s_waitcnt lgkmcnt(0)
	;;#ASMSTART
	v_nop
 v_nop
 v_add_f32_dpp v38, v38, v38 row_ror:4
	;;#ASMEND
	s_nop 0
	;;#ASMSTART
	v_nop
 v_nop
 v_add_f32_dpp v38, v38, v38 row_ror:8
	;;#ASMEND
	s_and_saveexec_b64 s[0:1], vcc
	s_cbranch_execz .LBB153_18
; %bb.17:
	v_mul_u32_u24_e32 v39, 20, v1
	v_lshl_add_u32 v39, v45, 2, v39
	v_add_u32_e32 v39, 0x800, v39
	ds_write2_b32 v39, v40, v38 offset0:128 offset1:148
.LBB153_18:
	s_or_b64 exec, exec, s[0:1]
.LBB153_19:
	s_or_b64 exec, exec, s[22:23]
	s_waitcnt lgkmcnt(0)
	s_barrier
	s_load_dword s0, s[20:21], 0x8
	v_lshlrev_b32_e32 v38, 2, v45
	v_add_u32_e32 v48, 0x800, v38
	ds_read2_b32 v[38:39], v48 offset0:128 offset1:133
	ds_read2_b32 v[42:43], v48 offset0:138 offset1:143
	s_mul_i32 s1, s2, s33
	s_waitcnt lgkmcnt(0)
	s_mul_i32 s1, s1, s0
	s_lshl_b32 s0, s1, 1
	s_mov_b32 s1, 0xff7fffff
	v_max3_f32 v41, v38, s1, v39
	v_max3_f32 v41, v41, v42, v43
	v_sub_f32_e32 v38, v38, v41
	v_mul_f32_e32 v38, 0x3fb8aa3b, v38
	ds_read2_b32 v[46:47], v48 offset0:148 offset1:153
	v_exp_f32_e32 v49, v38
	v_sub_f32_e32 v38, v39, v41
	v_sub_f32_e32 v42, v42, v41
	v_mul_f32_e32 v38, 0x3fb8aa3b, v38
	v_mul_f32_e32 v42, 0x3fb8aa3b, v42
	v_exp_f32_e32 v50, v38
	ds_read2_b32 v[38:39], v48 offset0:158 offset1:163
	v_exp_f32_e32 v48, v42
	v_sub_f32_e32 v42, v43, v41
	v_mul_f32_e32 v42, 0x3fb8aa3b, v42
	v_exp_f32_e32 v43, v42
	s_waitcnt lgkmcnt(1)
	v_fma_f32 v42, v49, v46, 0
	v_fmac_f32_e32 v42, v50, v47
	s_waitcnt lgkmcnt(0)
	v_fmac_f32_e32 v42, v48, v38
	v_fmac_f32_e32 v42, v43, v39
	v_cmp_gt_u32_e32 vcc, 2, v45
	s_and_saveexec_b64 s[2:3], vcc
	s_cbranch_execz .LBB153_21
; %bb.20:
	s_mov_b32 s1, 0
	s_lshl_b64 s[4:5], s[0:1], 2
	s_add_u32 s10, s12, s4
	s_mov_b32 s17, s1
	s_addc_u32 s11, s13, s5
	s_lshl_b64 s[8:9], s[16:17], 2
	s_add_u32 s10, s10, s8
	s_addc_u32 s11, s11, s9
	s_add_u32 s1, s14, s4
	s_addc_u32 s5, s15, s5
	v_or_b32_e32 v38, s34, v45
	s_add_u32 s4, s1, s8
	v_mul_lo_u32 v38, s33, v38
	v_mov_b32_e32 v39, 0
	s_addc_u32 s5, s5, s9
	v_lshlrev_b64 v[38:39], 2, v[38:39]
	v_lshl_add_u64 v[46:47], s[10:11], 0, v[38:39]
	v_lshl_add_u64 v[38:39], s[4:5], 0, v[38:39]
	global_store_dword v[38:39], v41, off
	global_store_dword v[46:47], v42, off
.LBB153_21:
	s_or_b64 exec, exec, s[2:3]
	v_mov_b32_e32 v38, 0
	v_mov_b32_e32 v39, 0
	s_and_saveexec_b64 s[2:3], s[6:7]
	s_cbranch_execz .LBB153_23
; %bb.22:
	v_add_f32_e32 v38, 0x358637bd, v42
	v_div_scale_f32 v39, s[4:5], v38, v38, 1.0
	v_rcp_f32_e32 v42, v39
	v_div_scale_f32 v43, vcc, 1.0, v38, 1.0
	v_sub_f32_e32 v40, v40, v41
	v_fma_f32 v45, -v39, v42, 1.0
	v_fmac_f32_e32 v42, v45, v42
	v_mul_f32_e32 v45, v43, v42
	v_fma_f32 v46, -v39, v45, v43
	v_mul_f32_e32 v40, 0x3fb8aa3b, v40
	v_fmac_f32_e32 v45, v46, v42
	v_exp_f32_e32 v40, v40
	v_fma_f32 v39, -v39, v45, v43
	v_div_fmas_f32 v39, v39, v42, v45
	v_div_fixup_f32 v38, v39, v38, 1.0
	v_mul_f32_e32 v38, v40, v38
	v_pk_mul_f32 v[36:37], v[36:37], v[38:39] op_sel_hi:[1,0]
	v_pk_mul_f32 v[34:35], v[34:35], v[38:39] op_sel_hi:[1,0]
	v_cvt_f16_f32_e32 v36, v36
	v_cvt_f16_f32_e32 v34, v34
	;; [unrolled: 1-line block ×4, first 2 shown]
	s_mov_b32 s1, 0x5040100
	v_pack_b32_f16 v34, v34, v35
	v_pack_b32_f16 v35, v36, v37
	s_waitcnt vmcnt(7)
	s_nop 0
	v_mfma_f32_4x4x4_16b_f16 a[0:3], v[34:35], v[2:3], 0 cbsz:4
	s_nop 1
	v_mfma_f32_4x4x4_16b_f16 a[0:3], v[34:35], v[4:5], a[0:3] cbsz:4 abid:1
	s_waitcnt vmcnt(6)
	s_nop 0
	v_mfma_f32_4x4x4_16b_f16 a[0:3], v[34:35], v[6:7], a[0:3] cbsz:4 abid:2
	s_nop 1
	v_mfma_f32_4x4x4_16b_f16 a[0:3], v[34:35], v[8:9], a[0:3] cbsz:4 abid:3
	s_waitcnt vmcnt(5)
	s_nop 0
	v_mfma_f32_4x4x4_16b_f16 a[0:3], v[34:35], v[10:11], a[0:3] cbsz:4 abid:4
	;; [unrolled: 5-line block ×7, first 2 shown]
	s_nop 1
	v_mfma_f32_4x4x4_16b_f16 a[0:3], v[34:35], v[32:33], a[0:3] cbsz:4 abid:15
	s_nop 4
	v_accvgpr_read_b32 v2, a0
	v_accvgpr_read_b32 v3, a1
	v_accvgpr_read_b32 v4, a2
	v_accvgpr_read_b32 v5, a3
	v_cvt_f16_f32_e32 v2, v2
	v_cvt_f16_f32_e32 v3, v3
	;; [unrolled: 1-line block ×4, first 2 shown]
	v_perm_b32 v38, v3, v2, s1
	v_perm_b32 v39, v5, v4, s1
.LBB153_23:
	s_or_b64 exec, exec, s[2:3]
	v_lshlrev_b32_e32 v1, 3, v1
	v_mad_u32_u24 v1, v44, 40, v1
	v_cmp_gt_u32_e32 vcc, 64, v0
	ds_write_b64 v1, v[38:39]
	s_waitcnt lgkmcnt(0)
	s_barrier
	s_and_saveexec_b64 s[2:3], vcc
	s_cbranch_execz .LBB153_25
; %bb.24:
	s_mov_b32 s1, 0
	s_lshl_b32 s0, s0, 6
	v_mul_u32_u24_e32 v1, 40, v44
	s_lshl_b64 s[2:3], s[0:1], 1
	s_waitcnt vmcnt(7)
	ds_read2_b64 v[2:5], v1 offset1:1
	s_waitcnt vmcnt(6)
	ds_read2_b64 v[6:9], v1 offset0:2 offset1:3
	s_add_u32 s2, s18, s2
	s_addc_u32 s3, s19, s3
	s_lshl_b32 s0, s16, 6
	s_lshl_b64 s[0:1], s[0:1], 1
	s_add_u32 s0, s2, s0
	s_addc_u32 s1, s3, s1
	s_lshl_b32 s2, s33, 6
	s_waitcnt lgkmcnt(1)
	v_pk_add_f16 v1, v2, 0
	s_mul_i32 s3, s2, s34
	v_pk_add_f16 v1, v1, v4
	v_or_b32_e32 v2, s3, v0
	v_mov_b32_e32 v3, 0
	s_add_i32 s3, s3, s2
	s_waitcnt lgkmcnt(0)
	v_pk_add_f16 v1, v1, v6
	v_lshl_add_u64 v[4:5], v[2:3], 1, s[0:1]
	v_or_b32_e32 v2, s3, v0
	v_pk_add_f16 v6, v1, v8
	v_lshl_add_u64 v[0:1], v[2:3], 1, s[0:1]
	global_store_short v[4:5], v6, off
	global_store_short_d16_hi v[0:1], v6, off
.LBB153_25:
	s_endpgm
	.section	.rodata,"a",@progbits
	.p2align	6, 0x0
	.amdhsa_kernel _Z38paged_attention_ll4mi_QKV_mfma4_kernelIDF16_DF16_LN4vllm18Fp8KVCacheDataTypeE0EDF16_Li32ELi64ELi256ELb1ELi2EEvPKT_PKT0_S7_ifPKiS9_S9_iPKfiiiPfSC_PS2_PT2_iSB_SB_
		.amdhsa_group_segment_fixed_size 2720
		.amdhsa_private_segment_fixed_size 0
		.amdhsa_kernarg_size 400
		.amdhsa_user_sgpr_count 2
		.amdhsa_user_sgpr_dispatch_ptr 0
		.amdhsa_user_sgpr_queue_ptr 0
		.amdhsa_user_sgpr_kernarg_segment_ptr 1
		.amdhsa_user_sgpr_dispatch_id 0
		.amdhsa_user_sgpr_kernarg_preload_length 0
		.amdhsa_user_sgpr_kernarg_preload_offset 0
		.amdhsa_user_sgpr_private_segment_size 0
		.amdhsa_uses_dynamic_stack 0
		.amdhsa_enable_private_segment 0
		.amdhsa_system_sgpr_workgroup_id_x 1
		.amdhsa_system_sgpr_workgroup_id_y 1
		.amdhsa_system_sgpr_workgroup_id_z 1
		.amdhsa_system_sgpr_workgroup_info 0
		.amdhsa_system_vgpr_workitem_id 0
		.amdhsa_next_free_vgpr 60
		.amdhsa_next_free_sgpr 40
		.amdhsa_accum_offset 56
		.amdhsa_reserve_vcc 1
		.amdhsa_float_round_mode_32 0
		.amdhsa_float_round_mode_16_64 0
		.amdhsa_float_denorm_mode_32 3
		.amdhsa_float_denorm_mode_16_64 3
		.amdhsa_dx10_clamp 1
		.amdhsa_ieee_mode 1
		.amdhsa_fp16_overflow 0
		.amdhsa_tg_split 0
		.amdhsa_exception_fp_ieee_invalid_op 0
		.amdhsa_exception_fp_denorm_src 0
		.amdhsa_exception_fp_ieee_div_zero 0
		.amdhsa_exception_fp_ieee_overflow 0
		.amdhsa_exception_fp_ieee_underflow 0
		.amdhsa_exception_fp_ieee_inexact 0
		.amdhsa_exception_int_div_zero 0
	.end_amdhsa_kernel
	.section	.text._Z38paged_attention_ll4mi_QKV_mfma4_kernelIDF16_DF16_LN4vllm18Fp8KVCacheDataTypeE0EDF16_Li32ELi64ELi256ELb1ELi2EEvPKT_PKT0_S7_ifPKiS9_S9_iPKfiiiPfSC_PS2_PT2_iSB_SB_,"axG",@progbits,_Z38paged_attention_ll4mi_QKV_mfma4_kernelIDF16_DF16_LN4vllm18Fp8KVCacheDataTypeE0EDF16_Li32ELi64ELi256ELb1ELi2EEvPKT_PKT0_S7_ifPKiS9_S9_iPKfiiiPfSC_PS2_PT2_iSB_SB_,comdat
.Lfunc_end153:
	.size	_Z38paged_attention_ll4mi_QKV_mfma4_kernelIDF16_DF16_LN4vllm18Fp8KVCacheDataTypeE0EDF16_Li32ELi64ELi256ELb1ELi2EEvPKT_PKT0_S7_ifPKiS9_S9_iPKfiiiPfSC_PS2_PT2_iSB_SB_, .Lfunc_end153-_Z38paged_attention_ll4mi_QKV_mfma4_kernelIDF16_DF16_LN4vllm18Fp8KVCacheDataTypeE0EDF16_Li32ELi64ELi256ELb1ELi2EEvPKT_PKT0_S7_ifPKiS9_S9_iPKfiiiPfSC_PS2_PT2_iSB_SB_
                                        ; -- End function
	.section	.AMDGPU.csdata,"",@progbits
; Kernel info:
; codeLenInByte = 3052
; NumSgprs: 46
; NumVgprs: 54
; NumAgprs: 4
; TotalNumVgprs: 60
; ScratchSize: 0
; MemoryBound: 0
; FloatMode: 240
; IeeeMode: 1
; LDSByteSize: 2720 bytes/workgroup (compile time only)
; SGPRBlocks: 5
; VGPRBlocks: 7
; NumSGPRsForWavesPerEU: 46
; NumVGPRsForWavesPerEU: 60
; AccumOffset: 56
; Occupancy: 8
; WaveLimiterHint : 1
; COMPUTE_PGM_RSRC2:SCRATCH_EN: 0
; COMPUTE_PGM_RSRC2:USER_SGPR: 2
; COMPUTE_PGM_RSRC2:TRAP_HANDLER: 0
; COMPUTE_PGM_RSRC2:TGID_X_EN: 1
; COMPUTE_PGM_RSRC2:TGID_Y_EN: 1
; COMPUTE_PGM_RSRC2:TGID_Z_EN: 1
; COMPUTE_PGM_RSRC2:TIDIG_COMP_CNT: 0
; COMPUTE_PGM_RSRC3_GFX90A:ACCUM_OFFSET: 13
; COMPUTE_PGM_RSRC3_GFX90A:TG_SPLIT: 0
	.section	.text._Z38paged_attention_ll4mi_QKV_mfma4_kernelIDF16_DF16_LN4vllm18Fp8KVCacheDataTypeE0EDF16_Li32ELi64ELi256ELb1ELi3EEvPKT_PKT0_S7_ifPKiS9_S9_iPKfiiiPfSC_PS2_PT2_iSB_SB_,"axG",@progbits,_Z38paged_attention_ll4mi_QKV_mfma4_kernelIDF16_DF16_LN4vllm18Fp8KVCacheDataTypeE0EDF16_Li32ELi64ELi256ELb1ELi3EEvPKT_PKT0_S7_ifPKiS9_S9_iPKfiiiPfSC_PS2_PT2_iSB_SB_,comdat
	.protected	_Z38paged_attention_ll4mi_QKV_mfma4_kernelIDF16_DF16_LN4vllm18Fp8KVCacheDataTypeE0EDF16_Li32ELi64ELi256ELb1ELi3EEvPKT_PKT0_S7_ifPKiS9_S9_iPKfiiiPfSC_PS2_PT2_iSB_SB_ ; -- Begin function _Z38paged_attention_ll4mi_QKV_mfma4_kernelIDF16_DF16_LN4vllm18Fp8KVCacheDataTypeE0EDF16_Li32ELi64ELi256ELb1ELi3EEvPKT_PKT0_S7_ifPKiS9_S9_iPKfiiiPfSC_PS2_PT2_iSB_SB_
	.globl	_Z38paged_attention_ll4mi_QKV_mfma4_kernelIDF16_DF16_LN4vllm18Fp8KVCacheDataTypeE0EDF16_Li32ELi64ELi256ELb1ELi3EEvPKT_PKT0_S7_ifPKiS9_S9_iPKfiiiPfSC_PS2_PT2_iSB_SB_
	.p2align	8
	.type	_Z38paged_attention_ll4mi_QKV_mfma4_kernelIDF16_DF16_LN4vllm18Fp8KVCacheDataTypeE0EDF16_Li32ELi64ELi256ELb1ELi3EEvPKT_PKT0_S7_ifPKiS9_S9_iPKfiiiPfSC_PS2_PT2_iSB_SB_,@function
_Z38paged_attention_ll4mi_QKV_mfma4_kernelIDF16_DF16_LN4vllm18Fp8KVCacheDataTypeE0EDF16_Li32ELi64ELi256ELb1ELi3EEvPKT_PKT0_S7_ifPKiS9_S9_iPKfiiiPfSC_PS2_PT2_iSB_SB_: ; @_Z38paged_attention_ll4mi_QKV_mfma4_kernelIDF16_DF16_LN4vllm18Fp8KVCacheDataTypeE0EDF16_Li32ELi64ELi256ELb1ELi3EEvPKT_PKT0_S7_ifPKiS9_S9_iPKfiiiPfSC_PS2_PT2_iSB_SB_
; %bb.0:
	s_load_dwordx2 s[8:9], s[0:1], 0x30
	s_mov_b32 s16, s3
	s_mov_b64 s[6:7], 0
	s_waitcnt lgkmcnt(0)
	s_cmp_lg_u64 s[8:9], 0
	s_cselect_b64 s[10:11], -1, 0
	s_and_b64 vcc, exec, s[10:11]
	s_cbranch_vccz .LBB154_10
; %bb.1:
	s_add_i32 s12, s2, 1
	s_mov_b32 s13, 0
	s_lshl_b64 s[14:15], s[12:13], 2
	s_add_u32 s14, s8, s14
	s_mov_b32 s3, s13
	s_addc_u32 s15, s9, s15
	s_lshl_b64 s[12:13], s[2:3], 2
	s_add_u32 s12, s8, s12
	s_addc_u32 s13, s9, s13
	s_load_dword s5, s[14:15], 0x0
	s_load_dword s17, s[12:13], 0x0
	s_waitcnt lgkmcnt(0)
	s_sub_i32 s5, s5, s17
	s_cmp_eq_u32 s5, 1
	s_cselect_b64 s[12:13], -1, 0
	s_andn2_b64 vcc, exec, s[6:7]
	s_cbranch_vccnz .LBB154_3
.LBB154_2:
	s_mov_b32 s3, 0
	s_mov_b64 s[12:13], -1
.LBB154_3:
	s_andn2_b64 vcc, exec, s[12:13]
	s_cbranch_vccnz .LBB154_25
; %bb.4:
	s_load_dword s5, s[0:1], 0x9c
	s_load_dwordx2 s[6:7], s[0:1], 0x28
	s_add_u32 s20, s0, 0x90
	s_addc_u32 s21, s1, 0
	s_lshl_b64 s[24:25], s[2:3], 2
	s_waitcnt lgkmcnt(0)
	s_and_b32 s5, s5, 0xffff
	s_add_u32 s6, s6, s24
	s_addc_u32 s7, s7, s25
	s_load_dword s3, s[6:7], 0x0
	s_mul_i32 s5, s16, s5
	s_waitcnt lgkmcnt(0)
	s_cmp_ge_i32 s5, s3
	s_cbranch_scc1 .LBB154_25
; %bb.5:
	v_and_b32_e32 v2, 0xc0, v0
	v_add_u32_e32 v2, s5, v2
	v_lshrrev_b32_e32 v1, 6, v0
	v_cmp_gt_i32_e64 s[6:7], s3, v2
	v_cmp_le_i32_e32 vcc, s3, v2
                                        ; implicit-def: $sgpr26
                                        ; implicit-def: $sgpr17
	s_and_saveexec_b64 s[12:13], vcc
	s_xor_b64 s[12:13], exec, s[12:13]
	s_cbranch_execz .LBB154_7
; %bb.6:
	v_mul_u32_u24_e32 v2, 20, v1
	v_or_b32_e32 v2, 0xa00, v2
	v_mov_b32_e32 v3, 0xa50
	v_mov_b32_e32 v4, 0xff7fffff
	v_mad_u32_u24 v3, v1, 20, v3
	ds_write2_b32 v2, v4, v4 offset1:1
	v_mov_b32_e32 v2, 0
	ds_write2_b32 v3, v2, v2 offset1:1
	v_mov_b32_e32 v3, 0xa08
	s_mov_b32 s17, 0xff7fffff
	s_mov_b32 s26, 0
	v_mad_u32_u24 v3, v1, 20, v3
	v_mov_b32_e32 v5, 0xa58
	v_mad_u32_u24 v5, v1, 20, v5
	ds_write2_b32 v3, v4, v4 offset1:1
	ds_write2_b32 v5, v2, v2 offset1:1
                                        ; implicit-def: $vgpr2
.LBB154_7:
	s_or_saveexec_b64 s[22:23], s[12:13]
	s_load_dwordx2 s[18:19], s[0:1], 0x68
	s_load_dwordx4 s[12:15], s[0:1], 0x58
	s_load_dword s33, s[20:21], 0x4
	v_and_b32_e32 v46, 63, v0
	v_and_b32_e32 v47, 3, v0
	s_mul_i32 s34, s4, 3
	v_mov_b32_e32 v37, s26
	v_mov_b32_e32 v40, s17
	;; [unrolled: 1-line block ×5, first 2 shown]
                                        ; implicit-def: $vgpr3
                                        ; implicit-def: $vgpr7
                                        ; implicit-def: $vgpr11
                                        ; implicit-def: $vgpr15
                                        ; implicit-def: $vgpr19
                                        ; implicit-def: $vgpr23
                                        ; implicit-def: $vgpr27
                                        ; implicit-def: $vgpr31
	s_xor_b64 exec, exec, s[22:23]
	s_cbranch_execz .LBB154_19
; %bb.8:
	s_add_i32 s28, s3, 31
	s_ashr_i32 s29, s28, 31
	s_lshr_b32 s29, s29, 27
	v_add_u32_e32 v48, s5, v0
	s_add_i32 s28, s28, s29
	v_ashrrev_i32_e32 v3, 31, v48
	s_load_dwordx2 s[26:27], s[0:1], 0x20
	s_load_dword s17, s[0:1], 0x38
	s_ashr_i32 s28, s28, 5
	v_lshrrev_b32_e32 v3, 27, v3
	s_add_i32 s30, s28, -1
	v_add_u32_e32 v3, v48, v3
	v_ashrrev_i32_e32 v3, 5, v3
	v_mov_b32_e32 v4, s30
	v_cmp_gt_i32_e32 vcc, s3, v48
	s_waitcnt lgkmcnt(0)
	s_mul_i32 s28, s2, s17
	s_mov_b32 s29, 0
	v_cndmask_b32_e32 v4, v4, v3, vcc
	v_ashrrev_i32_e32 v3, 31, v2
	v_lshrrev_b32_e32 v3, 27, v3
	v_add_u32_e32 v2, v2, v3
	s_lshl_b64 s[28:29], s[28:29], 2
	v_ashrrev_i32_e32 v8, 5, v2
	s_add_u32 s26, s26, s28
	v_min_i32_e32 v2, s30, v8
	s_addc_u32 s27, s27, s29
	v_ashrrev_i32_e32 v3, 31, v2
	v_lshl_add_u64 v[6:7], v[2:3], 2, s[26:27]
	v_add_u32_e32 v2, 1, v8
	v_ashrrev_i32_e32 v5, 31, v4
	v_min_i32_e32 v2, s30, v2
	v_lshl_add_u64 v[4:5], v[4:5], 2, s[26:27]
	v_ashrrev_i32_e32 v3, 31, v2
	v_lshl_add_u64 v[8:9], v[2:3], 2, s[26:27]
	global_load_dword v2, v[4:5], off
	global_load_dword v16, v[6:7], off
	;; [unrolled: 1-line block ×3, first 2 shown]
	s_load_dwordx2 s[26:27], s[0:1], 0x8
	s_andn2_b64 vcc, exec, s[10:11]
	s_cbranch_vccnz .LBB154_11
; %bb.9:
	s_add_u32 s8, s8, s24
	s_addc_u32 s9, s9, s25
	s_load_dword s5, s[8:9], 0x0
	s_branch .LBB154_12
.LBB154_10:
	s_mov_b64 s[12:13], 0
	s_branch .LBB154_2
.LBB154_11:
	s_mov_b32 s5, s2
.LBB154_12:
	s_load_dwordx2 s[24:25], s[0:1], 0x10
	s_load_dwordx4 s[8:11], s[0:1], 0x48
	v_cmp_ne_u32_e32 vcc, 3, v47
	s_mov_b32 s29, 0
	v_mov_b32_e32 v15, 0
	v_mov_b32_e32 v24, 0
	;; [unrolled: 1-line block ×5, first 2 shown]
	s_and_saveexec_b64 s[30:31], vcc
	s_cbranch_execz .LBB154_14
; %bb.13:
	s_load_dwordx2 s[36:37], s[0:1], 0x0
	s_waitcnt lgkmcnt(0)
	s_ashr_i32 s11, s8, 31
	s_mul_hi_u32 s17, s5, s8
	s_mul_i32 s11, s5, s11
	s_add_i32 s39, s17, s11
	s_mul_i32 s38, s5, s8
	s_lshl_b64 s[38:39], s[38:39], 1
	s_add_u32 s5, s36, s38
	s_mul_i32 s28, s4, 0xc0
	s_addc_u32 s8, s37, s39
	s_lshl_b64 s[36:37], s[28:29], 1
	s_add_u32 s36, s5, s36
	v_lshlrev_b32_e32 v3, 3, v47
	v_lshrrev_b32_e32 v4, 2, v46
	s_addc_u32 s37, s8, s37
	v_add_lshl_u32 v3, v3, v4, 4
	global_load_dwordx4 v[24:27], v3, s[36:37]
.LBB154_14:
	s_or_b64 exec, exec, s[30:31]
	s_waitcnt lgkmcnt(0)
	s_mul_i32 s28, s4, s10
	s_lshl_b64 s[4:5], s[28:29], 1
	s_add_u32 s10, s4, s26
	s_waitcnt vmcnt(2)
	v_mad_i64_i32 v[2:3], s[30:31], v2, s9, 0
	s_addc_u32 s11, s5, s27
	v_and_b32_e32 v4, 31, v0
	v_lshl_add_u64 v[2:3], v[2:3], 1, s[10:11]
	v_lshlrev_b32_e32 v14, 4, v4
	v_lshl_add_u64 v[44:45], v[2:3], 0, v[14:15]
	global_load_dwordx4 v[10:13], v[44:45], off
	global_load_dwordx4 v[6:9], v[44:45], off offset:512
	global_load_dwordx4 v[2:5], v[44:45], off offset:1024
	;; [unrolled: 1-line block ×7, first 2 shown]
	v_mov_b32_e32 v45, 1.0
	v_mov_b32_e32 v44, 0
	s_and_saveexec_b64 s[10:11], vcc
	s_cbranch_execz .LBB154_16
; %bb.15:
	s_load_dwordx2 s[26:27], s[0:1], 0x40
	v_add_u32_e32 v44, s34, v47
	v_mov_b32_e32 v45, 0
	s_waitcnt lgkmcnt(0)
	v_lshl_add_u64 v[50:51], v[44:45], 2, s[26:27]
	global_load_dword v44, v[50:51], off
.LBB154_16:
	s_or_b64 exec, exec, s[10:11]
	s_waitcnt vmcnt(7)
	v_mfma_f32_4x4x4_16b_f16 a[0:3], v[24:25], v[10:11], 0 cbsz:4
	s_load_dword s0, s[0:1], 0x1c
	s_add_u32 s4, s24, s4
	v_mfma_f32_4x4x4_16b_f16 a[0:3], v[26:27], v[12:13], a[0:3] cbsz:4
	s_addc_u32 s5, s25, s5
	v_lshlrev_b32_e32 v14, 6, v46
	s_waitcnt vmcnt(6)
	v_mfma_f32_4x4x4_16b_f16 a[0:3], v[24:25], v[6:7], a[0:3] cbsz:4 abid:1
	v_lshl_add_u64 v[50:51], s[4:5], 0, v[14:15]
	v_mul_hi_i32 v14, v16, s9
	v_mfma_f32_4x4x4_16b_f16 a[0:3], v[26:27], v[8:9], a[0:3] cbsz:4 abid:1
	v_ashrrev_i32_e32 v14, 31, v14
	v_mul_hi_i32 v23, v22, s9
	s_waitcnt vmcnt(5)
	v_mfma_f32_4x4x4_16b_f16 a[0:3], v[24:25], v[2:3], a[0:3] cbsz:4 abid:2
	v_lshrrev_b32_e32 v52, 29, v14
	v_mov_b32_e32 v53, 0
	v_mfma_f32_4x4x4_16b_f16 a[0:3], v[26:27], v[4:5], a[0:3] cbsz:4 abid:2
	v_ashrrev_i32_e32 v23, 31, v23
	v_cmp_eq_u32_e32 vcc, 0, v47
	s_waitcnt vmcnt(4)
	v_mfma_f32_4x4x4_16b_f16 a[0:3], v[24:25], v[40:41], a[0:3] cbsz:4 abid:3
	v_mad_i64_i32 v[10:11], s[4:5], v16, s9, v[52:53]
	s_nop 0
	v_mfma_f32_4x4x4_16b_f16 a[0:3], v[26:27], v[42:43], a[0:3] cbsz:4 abid:3
	v_lshrrev_b32_e32 v52, 29, v23
	v_mad_i64_i32 v[22:23], s[4:5], v22, s9, v[52:53]
	s_waitcnt vmcnt(3)
	v_mfma_f32_4x4x4_16b_f16 a[0:3], v[24:25], v[36:37], a[0:3] cbsz:4 abid:4
	v_lshlrev_b64 v[6:7], 1, v[10:11]
	v_lshlrev_b64 v[22:23], 1, v[22:23]
	v_mfma_f32_4x4x4_16b_f16 a[0:3], v[26:27], v[38:39], a[0:3] cbsz:4 abid:4
	v_and_b32_e32 v6, -16, v6
	v_and_b32_e32 v22, -16, v22
	s_waitcnt vmcnt(2)
	v_mfma_f32_4x4x4_16b_f16 a[0:3], v[24:25], v[32:33], a[0:3] cbsz:4 abid:5
	v_lshl_add_u64 v[54:55], v[50:51], 0, v[6:7]
	global_load_dwordx4 v[2:5], v[54:55], off
	global_load_dwordx4 v[6:9], v[54:55], off offset:16
	v_mfma_f32_4x4x4_16b_f16 a[0:3], v[26:27], v[34:35], a[0:3] cbsz:4 abid:5
	v_lshl_add_u64 v[34:35], v[50:51], 0, v[22:23]
	global_load_dwordx4 v[10:13], v[54:55], off offset:32
	global_load_dwordx4 v[14:17], v[54:55], off offset:48
	s_waitcnt vmcnt(5)
	v_mfma_f32_4x4x4_16b_f16 a[0:3], v[24:25], v[18:19], a[0:3] cbsz:4 abid:6
	v_mov_b32_e32 v41, 0xff7fffff
	s_nop 0
	v_mfma_f32_4x4x4_16b_f16 a[0:3], v[26:27], v[20:21], a[0:3] cbsz:4 abid:6
	s_waitcnt vmcnt(4)
	s_nop 0
	v_mfma_f32_4x4x4_16b_f16 a[0:3], v[24:25], v[28:29], a[0:3] cbsz:4 abid:7
	global_load_dwordx4 v[18:21], v[34:35], off
	global_load_dwordx4 v[22:25], v[34:35], off offset:16
	v_mfma_f32_4x4x4_16b_f16 a[0:3], v[26:27], v[30:31], a[0:3] cbsz:4 abid:7
	s_nop 4
	v_accvgpr_read_b32 v29, a1
	v_accvgpr_read_b32 v28, a0
	s_waitcnt lgkmcnt(0)
	v_pk_mul_f32 v[28:29], s[0:1], v[28:29] op_sel_hi:[0,1]
	v_accvgpr_read_b32 v27, a3
	v_accvgpr_read_b32 v26, a2
	v_pk_mul_f32 v[36:37], s[0:1], v[26:27] op_sel_hi:[0,1]
	v_cndmask_b32_e64 v26, 0, 1.0, vcc
	v_cmp_eq_u32_e32 vcc, 1, v47
	s_nop 0
	v_mfma_f32_4x4x1_16b_f32 a[0:3], v28, v26, 0
	v_cndmask_b32_e64 v26, 0, 1.0, vcc
	v_cmp_eq_u32_e32 vcc, 2, v47
	s_nop 0
	v_mfma_f32_4x4x1_16b_f32 a[0:3], v29, v26, a[0:3]
	v_cndmask_b32_e64 v26, 0, 1.0, vcc
	s_nop 1
	v_mfma_f32_4x4x1_16b_f32 a[0:3], v36, v26, a[0:3]
	global_load_dwordx4 v[26:29], v[34:35], off offset:32
	global_load_dwordx4 v[30:33], v[34:35], off offset:48
	v_and_b32_e32 v34, -4, v48
	v_subrev_u32_e32 v35, s3, v34
	v_add_u32_e32 v36, 1, v35
	v_mfma_f32_4x4x1_16b_f32 a[0:3], v37, v45, a[0:3]
	v_cvt_f32_i32_e32 v36, v36
	v_add_u32_e32 v37, 2, v35
	v_cvt_f32_i32_e32 v37, v37
	v_cmp_gt_i32_e32 vcc, s3, v34
	v_accvgpr_read_b32 v38, a0
	v_fma_f32 v36, v44, v36, v38
	v_accvgpr_read_b32 v38, a1
	v_fma_f32 v37, v44, v37, v38
	v_add_u32_e32 v38, 3, v35
	v_cvt_f32_i32_e32 v38, v38
	v_add_u32_e32 v35, 4, v35
	v_max_f32_e32 v40, 0xff7fffff, v36
	v_cvt_f32_i32_e32 v35, v35
	v_cndmask_b32_e32 v40, v41, v40, vcc
	v_or_b32_e32 v41, 1, v34
	v_accvgpr_read_b32 v39, a2
	v_max_f32_e32 v42, v40, v37
	v_cmp_gt_i32_e64 s[0:1], s3, v41
	v_fma_f32 v38, v44, v38, v39
	v_or_b32_e32 v34, 2, v34
	v_cndmask_b32_e64 v40, v40, v42, s[0:1]
	v_accvgpr_read_b32 v39, a3
	v_max_f32_e32 v41, v40, v38
	v_cmp_gt_i32_e64 s[4:5], s3, v34
	v_fmac_f32_e32 v39, v44, v35
	v_lshlrev_b32_e32 v35, 2, v0
	v_cndmask_b32_e64 v34, v40, v41, s[4:5]
	v_or_b32_e32 v40, 3, v48
	v_max_f32_e32 v41, v34, v39
	v_cmp_gt_i32_e64 s[8:9], s3, v40
	v_and_or_b32 v35, v35, 48, v47
	s_nop 0
	v_cndmask_b32_e64 v34, v34, v41, s[8:9]
	;;#ASMSTART
	v_nop
 v_nop
 v_max_f32_dpp v34, v34, v34 row_ror:4
	;;#ASMEND
	v_lshlrev_b32_e32 v41, 2, v35
	;;#ASMSTART
	v_nop
 v_nop
 v_max_f32_dpp v34, v34, v34 row_ror:8
	;;#ASMEND
	ds_bpermute_b32 v34, v41, v34
	s_waitcnt lgkmcnt(0)
	;;#ASMSTART
	v_nop
 v_nop
 v_max_f32_dpp v34, v34, v34 row_ror:4
	;;#ASMEND
	s_nop 0
	;;#ASMSTART
	v_nop
 v_nop
 v_max_f32_dpp v40, v34, v34 row_ror:8
	;;#ASMEND
	s_nop 0
	v_sub_f32_e32 v34, v36, v40
	v_mul_f32_e32 v34, 0x3fb8aa3b, v34
	v_sub_f32_e32 v35, v37, v40
	v_exp_f32_e32 v34, v34
	v_mul_f32_e32 v35, 0x3fb8aa3b, v35
	v_sub_f32_e32 v37, v38, v40
	v_exp_f32_e32 v35, v35
	;; [unrolled: 3-line block ×3, first 2 shown]
	v_mul_f32_e32 v38, 0x3fb8aa3b, v38
	v_exp_f32_e32 v38, v38
	v_cndmask_b32_e32 v34, 0, v34, vcc
	v_add_f32_e32 v36, 0, v34
	v_cndmask_b32_e64 v35, 0, v35, s[0:1]
	v_add_f32_e32 v39, v36, v35
	v_cndmask_b32_e64 v36, 0, v37, s[4:5]
	;; [unrolled: 2-line block ×3, first 2 shown]
	v_add_f32_e32 v38, v39, v37
	;;#ASMSTART
	v_nop
 v_nop
 v_add_f32_dpp v38, v38, v38 row_ror:4
	;;#ASMEND
	v_cmp_gt_u32_e32 vcc, 4, v46
	;;#ASMSTART
	v_nop
 v_nop
 v_add_f32_dpp v38, v38, v38 row_ror:8
	;;#ASMEND
	ds_bpermute_b32 v38, v41, v38
	s_waitcnt lgkmcnt(0)
	;;#ASMSTART
	v_nop
 v_nop
 v_add_f32_dpp v38, v38, v38 row_ror:4
	;;#ASMEND
	s_nop 0
	;;#ASMSTART
	v_nop
 v_nop
 v_add_f32_dpp v38, v38, v38 row_ror:8
	;;#ASMEND
	s_and_saveexec_b64 s[0:1], vcc
	s_cbranch_execz .LBB154_18
; %bb.17:
	v_mul_u32_u24_e32 v39, 20, v1
	v_lshl_add_u32 v39, v47, 2, v39
	v_add_u32_e32 v39, 0x800, v39
	ds_write2_b32 v39, v40, v38 offset0:128 offset1:148
.LBB154_18:
	s_or_b64 exec, exec, s[0:1]
.LBB154_19:
	s_or_b64 exec, exec, s[22:23]
	s_waitcnt lgkmcnt(0)
	s_barrier
	s_load_dword s0, s[20:21], 0x8
	v_lshlrev_b32_e32 v38, 2, v47
	v_add_u32_e32 v48, 0x800, v38
	ds_read2_b32 v[38:39], v48 offset0:128 offset1:133
	ds_read2_b32 v[42:43], v48 offset0:138 offset1:143
	s_mul_i32 s1, s2, s33
	s_waitcnt lgkmcnt(0)
	s_mul_i32 s0, s1, s0
	s_mov_b32 s1, 0xff7fffff
	v_max3_f32 v41, v38, s1, v39
	v_max3_f32 v41, v41, v42, v43
	v_sub_f32_e32 v38, v38, v41
	v_mul_f32_e32 v38, 0x3fb8aa3b, v38
	ds_read2_b32 v[44:45], v48 offset0:148 offset1:153
	v_exp_f32_e32 v49, v38
	v_sub_f32_e32 v38, v39, v41
	v_sub_f32_e32 v42, v42, v41
	v_mul_f32_e32 v38, 0x3fb8aa3b, v38
	v_mul_f32_e32 v42, 0x3fb8aa3b, v42
	v_exp_f32_e32 v50, v38
	ds_read2_b32 v[38:39], v48 offset0:158 offset1:163
	v_exp_f32_e32 v48, v42
	v_sub_f32_e32 v42, v43, v41
	v_mul_f32_e32 v42, 0x3fb8aa3b, v42
	v_exp_f32_e32 v43, v42
	s_waitcnt lgkmcnt(1)
	v_fma_f32 v42, v49, v44, 0
	v_fmac_f32_e32 v42, v50, v45
	s_waitcnt lgkmcnt(0)
	v_fmac_f32_e32 v42, v48, v38
	s_mul_i32 s0, s0, 3
	v_fmac_f32_e32 v42, v43, v39
	v_cmp_ne_u32_e32 vcc, 3, v47
	s_and_saveexec_b64 s[2:3], vcc
	s_cbranch_execz .LBB154_21
; %bb.20:
	s_mov_b32 s1, 0
	s_lshl_b64 s[4:5], s[0:1], 2
	s_add_u32 s10, s12, s4
	s_mov_b32 s17, s1
	s_addc_u32 s11, s13, s5
	s_lshl_b64 s[8:9], s[16:17], 2
	s_add_u32 s10, s10, s8
	s_addc_u32 s11, s11, s9
	s_add_u32 s1, s14, s4
	s_addc_u32 s5, s15, s5
	v_add_u32_e32 v38, s34, v47
	s_add_u32 s4, s1, s8
	v_mul_lo_u32 v38, s33, v38
	v_mov_b32_e32 v39, 0
	s_addc_u32 s5, s5, s9
	v_lshlrev_b64 v[38:39], 2, v[38:39]
	v_lshl_add_u64 v[44:45], s[10:11], 0, v[38:39]
	v_lshl_add_u64 v[38:39], s[4:5], 0, v[38:39]
	global_store_dword v[38:39], v41, off
	global_store_dword v[44:45], v42, off
.LBB154_21:
	s_or_b64 exec, exec, s[2:3]
	v_mov_b32_e32 v38, 0
	v_mov_b32_e32 v39, 0
	s_and_saveexec_b64 s[2:3], s[6:7]
	s_cbranch_execz .LBB154_23
; %bb.22:
	v_add_f32_e32 v38, 0x358637bd, v42
	v_div_scale_f32 v39, s[4:5], v38, v38, 1.0
	v_rcp_f32_e32 v42, v39
	v_div_scale_f32 v43, vcc, 1.0, v38, 1.0
	v_sub_f32_e32 v40, v40, v41
	v_fma_f32 v44, -v39, v42, 1.0
	v_fmac_f32_e32 v42, v44, v42
	v_mul_f32_e32 v44, v43, v42
	v_fma_f32 v45, -v39, v44, v43
	v_mul_f32_e32 v40, 0x3fb8aa3b, v40
	v_fmac_f32_e32 v44, v45, v42
	v_exp_f32_e32 v40, v40
	v_fma_f32 v39, -v39, v44, v43
	v_div_fmas_f32 v39, v39, v42, v44
	v_div_fixup_f32 v38, v39, v38, 1.0
	v_mul_f32_e32 v38, v40, v38
	v_pk_mul_f32 v[36:37], v[36:37], v[38:39] op_sel_hi:[1,0]
	v_pk_mul_f32 v[34:35], v[34:35], v[38:39] op_sel_hi:[1,0]
	v_cvt_f16_f32_e32 v36, v36
	v_cvt_f16_f32_e32 v34, v34
	;; [unrolled: 1-line block ×4, first 2 shown]
	s_mov_b32 s1, 0x5040100
	v_pack_b32_f16 v34, v34, v35
	v_pack_b32_f16 v35, v36, v37
	s_waitcnt vmcnt(7)
	s_nop 0
	v_mfma_f32_4x4x4_16b_f16 a[0:3], v[34:35], v[2:3], 0 cbsz:4
	s_nop 1
	v_mfma_f32_4x4x4_16b_f16 a[0:3], v[34:35], v[4:5], a[0:3] cbsz:4 abid:1
	s_waitcnt vmcnt(6)
	s_nop 0
	v_mfma_f32_4x4x4_16b_f16 a[0:3], v[34:35], v[6:7], a[0:3] cbsz:4 abid:2
	s_nop 1
	v_mfma_f32_4x4x4_16b_f16 a[0:3], v[34:35], v[8:9], a[0:3] cbsz:4 abid:3
	s_waitcnt vmcnt(5)
	s_nop 0
	v_mfma_f32_4x4x4_16b_f16 a[0:3], v[34:35], v[10:11], a[0:3] cbsz:4 abid:4
	s_nop 1
	v_mfma_f32_4x4x4_16b_f16 a[0:3], v[34:35], v[12:13], a[0:3] cbsz:4 abid:5
	s_waitcnt vmcnt(4)
	s_nop 0
	v_mfma_f32_4x4x4_16b_f16 a[0:3], v[34:35], v[14:15], a[0:3] cbsz:4 abid:6
	s_nop 1
	v_mfma_f32_4x4x4_16b_f16 a[0:3], v[34:35], v[16:17], a[0:3] cbsz:4 abid:7
	s_waitcnt vmcnt(3)
	s_nop 0
	v_mfma_f32_4x4x4_16b_f16 a[0:3], v[34:35], v[18:19], a[0:3] cbsz:4 abid:8
	s_nop 1
	v_mfma_f32_4x4x4_16b_f16 a[0:3], v[34:35], v[20:21], a[0:3] cbsz:4 abid:9
	s_waitcnt vmcnt(2)
	s_nop 0
	v_mfma_f32_4x4x4_16b_f16 a[0:3], v[34:35], v[22:23], a[0:3] cbsz:4 abid:10
	s_nop 1
	v_mfma_f32_4x4x4_16b_f16 a[0:3], v[34:35], v[24:25], a[0:3] cbsz:4 abid:11
	s_waitcnt vmcnt(1)
	s_nop 0
	v_mfma_f32_4x4x4_16b_f16 a[0:3], v[34:35], v[26:27], a[0:3] cbsz:4 abid:12
	s_nop 1
	v_mfma_f32_4x4x4_16b_f16 a[0:3], v[34:35], v[28:29], a[0:3] cbsz:4 abid:13
	s_waitcnt vmcnt(0)
	s_nop 0
	v_mfma_f32_4x4x4_16b_f16 a[0:3], v[34:35], v[30:31], a[0:3] cbsz:4 abid:14
	s_nop 1
	v_mfma_f32_4x4x4_16b_f16 a[0:3], v[34:35], v[32:33], a[0:3] cbsz:4 abid:15
	s_nop 4
	v_accvgpr_read_b32 v2, a0
	v_accvgpr_read_b32 v3, a1
	;; [unrolled: 1-line block ×4, first 2 shown]
	v_cvt_f16_f32_e32 v2, v2
	v_cvt_f16_f32_e32 v3, v3
	;; [unrolled: 1-line block ×4, first 2 shown]
	v_perm_b32 v38, v3, v2, s1
	v_perm_b32 v39, v5, v4, s1
.LBB154_23:
	s_or_b64 exec, exec, s[2:3]
	v_lshlrev_b32_e32 v1, 3, v1
	v_mad_u32_u24 v1, v46, 40, v1
	v_cmp_gt_u32_e32 vcc, 64, v0
	ds_write_b64 v1, v[38:39]
	s_waitcnt lgkmcnt(0)
	s_barrier
	s_and_saveexec_b64 s[2:3], vcc
	s_cbranch_execz .LBB154_25
; %bb.24:
	v_mul_u32_u24_e32 v1, 40, v46
	s_waitcnt vmcnt(7)
	ds_read2_b64 v[2:5], v1 offset1:1
	s_waitcnt vmcnt(6)
	ds_read2_b64 v[6:9], v1 offset0:2 offset1:3
	s_mov_b32 s1, 0
	s_lshl_b32 s0, s0, 6
	s_lshl_b64 s[2:3], s[0:1], 1
	s_add_u32 s2, s18, s2
	s_addc_u32 s3, s19, s3
	s_lshl_b32 s0, s16, 6
	s_lshl_b64 s[0:1], s[0:1], 1
	s_waitcnt lgkmcnt(1)
	v_pk_add_f16 v1, v2, 0
	v_pk_add_f16 v2, v3, 0
	s_add_u32 s0, s2, s0
	v_pk_add_f16 v2, v2, v5
	s_addc_u32 s1, s3, s1
	s_lshl_b32 s2, s33, 6
	v_pk_add_f16 v1, v1, v4
	s_waitcnt lgkmcnt(0)
	v_pk_add_f16 v2, v2, v7
	s_mul_i32 s3, s2, s34
	v_pk_add_f16 v1, v1, v6
	v_pk_add_f16 v6, v2, v9
	v_or_b32_e32 v2, s3, v0
	v_mov_b32_e32 v3, 0
	s_add_i32 s3, s3, s2
	v_pk_add_f16 v1, v1, v8
	v_lshl_add_u64 v[4:5], v[2:3], 1, s[0:1]
	v_or_b32_e32 v2, s3, v0
	s_add_i32 s3, s3, s2
	global_store_short v[4:5], v1, off
	v_lshl_add_u64 v[4:5], v[2:3], 1, s[0:1]
	v_or_b32_e32 v2, s3, v0
	global_store_short_d16_hi v[4:5], v1, off
	v_lshl_add_u64 v[0:1], v[2:3], 1, s[0:1]
	global_store_short v[0:1], v6, off
.LBB154_25:
	s_endpgm
	.section	.rodata,"a",@progbits
	.p2align	6, 0x0
	.amdhsa_kernel _Z38paged_attention_ll4mi_QKV_mfma4_kernelIDF16_DF16_LN4vllm18Fp8KVCacheDataTypeE0EDF16_Li32ELi64ELi256ELb1ELi3EEvPKT_PKT0_S7_ifPKiS9_S9_iPKfiiiPfSC_PS2_PT2_iSB_SB_
		.amdhsa_group_segment_fixed_size 2720
		.amdhsa_private_segment_fixed_size 0
		.amdhsa_kernarg_size 400
		.amdhsa_user_sgpr_count 2
		.amdhsa_user_sgpr_dispatch_ptr 0
		.amdhsa_user_sgpr_queue_ptr 0
		.amdhsa_user_sgpr_kernarg_segment_ptr 1
		.amdhsa_user_sgpr_dispatch_id 0
		.amdhsa_user_sgpr_kernarg_preload_length 0
		.amdhsa_user_sgpr_kernarg_preload_offset 0
		.amdhsa_user_sgpr_private_segment_size 0
		.amdhsa_uses_dynamic_stack 0
		.amdhsa_enable_private_segment 0
		.amdhsa_system_sgpr_workgroup_id_x 1
		.amdhsa_system_sgpr_workgroup_id_y 1
		.amdhsa_system_sgpr_workgroup_id_z 1
		.amdhsa_system_sgpr_workgroup_info 0
		.amdhsa_system_vgpr_workitem_id 0
		.amdhsa_next_free_vgpr 60
		.amdhsa_next_free_sgpr 40
		.amdhsa_accum_offset 56
		.amdhsa_reserve_vcc 1
		.amdhsa_float_round_mode_32 0
		.amdhsa_float_round_mode_16_64 0
		.amdhsa_float_denorm_mode_32 3
		.amdhsa_float_denorm_mode_16_64 3
		.amdhsa_dx10_clamp 1
		.amdhsa_ieee_mode 1
		.amdhsa_fp16_overflow 0
		.amdhsa_tg_split 0
		.amdhsa_exception_fp_ieee_invalid_op 0
		.amdhsa_exception_fp_denorm_src 0
		.amdhsa_exception_fp_ieee_div_zero 0
		.amdhsa_exception_fp_ieee_overflow 0
		.amdhsa_exception_fp_ieee_underflow 0
		.amdhsa_exception_fp_ieee_inexact 0
		.amdhsa_exception_int_div_zero 0
	.end_amdhsa_kernel
	.section	.text._Z38paged_attention_ll4mi_QKV_mfma4_kernelIDF16_DF16_LN4vllm18Fp8KVCacheDataTypeE0EDF16_Li32ELi64ELi256ELb1ELi3EEvPKT_PKT0_S7_ifPKiS9_S9_iPKfiiiPfSC_PS2_PT2_iSB_SB_,"axG",@progbits,_Z38paged_attention_ll4mi_QKV_mfma4_kernelIDF16_DF16_LN4vllm18Fp8KVCacheDataTypeE0EDF16_Li32ELi64ELi256ELb1ELi3EEvPKT_PKT0_S7_ifPKiS9_S9_iPKfiiiPfSC_PS2_PT2_iSB_SB_,comdat
.Lfunc_end154:
	.size	_Z38paged_attention_ll4mi_QKV_mfma4_kernelIDF16_DF16_LN4vllm18Fp8KVCacheDataTypeE0EDF16_Li32ELi64ELi256ELb1ELi3EEvPKT_PKT0_S7_ifPKiS9_S9_iPKfiiiPfSC_PS2_PT2_iSB_SB_, .Lfunc_end154-_Z38paged_attention_ll4mi_QKV_mfma4_kernelIDF16_DF16_LN4vllm18Fp8KVCacheDataTypeE0EDF16_Li32ELi64ELi256ELb1ELi3EEvPKT_PKT0_S7_ifPKiS9_S9_iPKfiiiPfSC_PS2_PT2_iSB_SB_
                                        ; -- End function
	.section	.AMDGPU.csdata,"",@progbits
; Kernel info:
; codeLenInByte = 3112
; NumSgprs: 46
; NumVgprs: 56
; NumAgprs: 4
; TotalNumVgprs: 60
; ScratchSize: 0
; MemoryBound: 0
; FloatMode: 240
; IeeeMode: 1
; LDSByteSize: 2720 bytes/workgroup (compile time only)
; SGPRBlocks: 5
; VGPRBlocks: 7
; NumSGPRsForWavesPerEU: 46
; NumVGPRsForWavesPerEU: 60
; AccumOffset: 56
; Occupancy: 8
; WaveLimiterHint : 1
; COMPUTE_PGM_RSRC2:SCRATCH_EN: 0
; COMPUTE_PGM_RSRC2:USER_SGPR: 2
; COMPUTE_PGM_RSRC2:TRAP_HANDLER: 0
; COMPUTE_PGM_RSRC2:TGID_X_EN: 1
; COMPUTE_PGM_RSRC2:TGID_Y_EN: 1
; COMPUTE_PGM_RSRC2:TGID_Z_EN: 1
; COMPUTE_PGM_RSRC2:TIDIG_COMP_CNT: 0
; COMPUTE_PGM_RSRC3_GFX90A:ACCUM_OFFSET: 13
; COMPUTE_PGM_RSRC3_GFX90A:TG_SPLIT: 0
	.section	.text._Z38paged_attention_ll4mi_QKV_mfma4_kernelIDF16_DF16_LN4vllm18Fp8KVCacheDataTypeE0EDF16_Li32ELi64ELi256ELb1ELi4EEvPKT_PKT0_S7_ifPKiS9_S9_iPKfiiiPfSC_PS2_PT2_iSB_SB_,"axG",@progbits,_Z38paged_attention_ll4mi_QKV_mfma4_kernelIDF16_DF16_LN4vllm18Fp8KVCacheDataTypeE0EDF16_Li32ELi64ELi256ELb1ELi4EEvPKT_PKT0_S7_ifPKiS9_S9_iPKfiiiPfSC_PS2_PT2_iSB_SB_,comdat
	.protected	_Z38paged_attention_ll4mi_QKV_mfma4_kernelIDF16_DF16_LN4vllm18Fp8KVCacheDataTypeE0EDF16_Li32ELi64ELi256ELb1ELi4EEvPKT_PKT0_S7_ifPKiS9_S9_iPKfiiiPfSC_PS2_PT2_iSB_SB_ ; -- Begin function _Z38paged_attention_ll4mi_QKV_mfma4_kernelIDF16_DF16_LN4vllm18Fp8KVCacheDataTypeE0EDF16_Li32ELi64ELi256ELb1ELi4EEvPKT_PKT0_S7_ifPKiS9_S9_iPKfiiiPfSC_PS2_PT2_iSB_SB_
	.globl	_Z38paged_attention_ll4mi_QKV_mfma4_kernelIDF16_DF16_LN4vllm18Fp8KVCacheDataTypeE0EDF16_Li32ELi64ELi256ELb1ELi4EEvPKT_PKT0_S7_ifPKiS9_S9_iPKfiiiPfSC_PS2_PT2_iSB_SB_
	.p2align	8
	.type	_Z38paged_attention_ll4mi_QKV_mfma4_kernelIDF16_DF16_LN4vllm18Fp8KVCacheDataTypeE0EDF16_Li32ELi64ELi256ELb1ELi4EEvPKT_PKT0_S7_ifPKiS9_S9_iPKfiiiPfSC_PS2_PT2_iSB_SB_,@function
_Z38paged_attention_ll4mi_QKV_mfma4_kernelIDF16_DF16_LN4vllm18Fp8KVCacheDataTypeE0EDF16_Li32ELi64ELi256ELb1ELi4EEvPKT_PKT0_S7_ifPKiS9_S9_iPKfiiiPfSC_PS2_PT2_iSB_SB_: ; @_Z38paged_attention_ll4mi_QKV_mfma4_kernelIDF16_DF16_LN4vllm18Fp8KVCacheDataTypeE0EDF16_Li32ELi64ELi256ELb1ELi4EEvPKT_PKT0_S7_ifPKiS9_S9_iPKfiiiPfSC_PS2_PT2_iSB_SB_
; %bb.0:
	s_load_dwordx2 s[8:9], s[0:1], 0x30
	s_mov_b32 s20, s3
	s_mov_b64 s[6:7], 0
	s_waitcnt lgkmcnt(0)
	s_cmp_lg_u64 s[8:9], 0
	s_cselect_b64 s[10:11], -1, 0
	s_and_b64 vcc, exec, s[10:11]
	s_cbranch_vccz .LBB155_18
; %bb.1:
	s_add_i32 s12, s2, 1
	s_mov_b32 s13, 0
	s_lshl_b64 s[14:15], s[12:13], 2
	s_add_u32 s14, s8, s14
	s_mov_b32 s3, s13
	s_addc_u32 s15, s9, s15
	s_lshl_b64 s[12:13], s[2:3], 2
	s_add_u32 s12, s8, s12
	s_addc_u32 s13, s9, s13
	s_load_dword s5, s[14:15], 0x0
	s_load_dword s16, s[12:13], 0x0
	s_mov_b64 s[30:31], s[2:3]
	s_waitcnt lgkmcnt(0)
	s_sub_i32 s5, s5, s16
	s_cmp_eq_u32 s5, 1
	s_cselect_b64 s[12:13], -1, 0
	s_andn2_b64 vcc, exec, s[6:7]
	s_cbranch_vccnz .LBB155_3
.LBB155_2:
	s_mov_b32 s3, 0
	s_mov_b64 s[12:13], -1
	s_mov_b64 s[30:31], s[2:3]
.LBB155_3:
	s_andn2_b64 vcc, exec, s[12:13]
	s_cbranch_vccnz .LBB155_17
; %bb.4:
	s_load_dword s3, s[0:1], 0x9c
	s_load_dwordx2 s[6:7], s[0:1], 0x28
	s_add_u32 s24, s0, 0x90
	s_addc_u32 s25, s1, 0
	s_lshl_b64 s[36:37], s[30:31], 2
	s_waitcnt lgkmcnt(0)
	s_and_b32 s5, s3, 0xffff
	s_add_u32 s6, s6, s36
	s_addc_u32 s7, s7, s37
	s_load_dword s3, s[6:7], 0x0
	s_mul_i32 s5, s20, s5
	s_waitcnt lgkmcnt(0)
	s_cmp_ge_i32 s5, s3
	s_cbranch_scc1 .LBB155_17
; %bb.5:
	v_and_b32_e32 v2, 0xc0, v0
	v_and_b32_e32 v41, 3, v0
	s_lshl_b32 s33, s4, 2
	v_add_u32_e32 v4, s5, v2
	v_lshrrev_b32_e32 v1, 6, v0
	v_cmp_gt_i32_e64 s[6:7], s3, v4
	v_cmp_le_i32_e32 vcc, s3, v4
	v_or_b32_e32 v34, s33, v41
                                        ; implicit-def: $sgpr17
                                        ; implicit-def: $sgpr16
	s_and_saveexec_b64 s[12:13], vcc
	s_xor_b64 s[12:13], exec, s[12:13]
	s_cbranch_execz .LBB155_7
; %bb.6:
	v_mul_u32_u24_e32 v2, 20, v1
	v_or_b32_e32 v2, 0xa00, v2
	v_mov_b32_e32 v3, 0xa50
	v_mov_b32_e32 v4, 0xff7fffff
	v_mad_u32_u24 v3, v1, 20, v3
	ds_write2_b32 v2, v4, v4 offset1:1
	v_mov_b32_e32 v2, 0
	ds_write2_b32 v3, v2, v2 offset1:1
	v_mov_b32_e32 v3, 0xa08
	s_mov_b32 s16, 0xff7fffff
	s_mov_b32 s17, 0
	v_mad_u32_u24 v3, v1, 20, v3
	v_mov_b32_e32 v5, 0xa58
	v_or_b32_e32 v34, s33, v41
	v_mad_u32_u24 v5, v1, 20, v5
	ds_write2_b32 v3, v4, v4 offset1:1
	ds_write2_b32 v5, v2, v2 offset1:1
                                        ; implicit-def: $vgpr4
.LBB155_7:
	s_or_saveexec_b64 s[26:27], s[12:13]
	s_load_dwordx2 s[22:23], s[0:1], 0x68
	s_load_dwordx4 s[12:15], s[0:1], 0x58
	s_load_dword s40, s[24:25], 0x4
	v_and_b32_e32 v40, 63, v0
	v_mov_b32_e32 v39, s17
	v_mov_b32_e32 v42, s16
	;; [unrolled: 1-line block ×5, first 2 shown]
                                        ; implicit-def: $vgpr3
                                        ; implicit-def: $vgpr7
                                        ; implicit-def: $vgpr11
                                        ; implicit-def: $vgpr15
                                        ; implicit-def: $vgpr19
                                        ; implicit-def: $vgpr23
                                        ; implicit-def: $vgpr27
                                        ; implicit-def: $vgpr31
	s_xor_b64 exec, exec, s[26:27]
	s_cbranch_execz .LBB155_13
; %bb.8:
	s_add_i32 s19, s3, 31
	s_ashr_i32 s21, s19, 31
	s_lshr_b32 s21, s21, 27
	v_add_u32_e32 v2, s5, v0
	s_add_i32 s19, s19, s21
	v_ashrrev_i32_e32 v3, 31, v2
	s_load_dwordx2 s[16:17], s[0:1], 0x20
	s_load_dword s18, s[0:1], 0x38
	s_ashr_i32 s19, s19, 5
	v_lshrrev_b32_e32 v3, 27, v3
	s_add_i32 s21, s19, -1
	v_add_u32_e32 v3, v2, v3
	v_ashrrev_i32_e32 v3, 5, v3
	v_mov_b32_e32 v5, s21
	v_cmp_gt_i32_e32 vcc, s3, v2
	s_waitcnt lgkmcnt(0)
	s_mul_i32 s38, s2, s18
	s_mov_b32 s39, 0
	v_cndmask_b32_e32 v6, v5, v3, vcc
	v_ashrrev_i32_e32 v3, 31, v4
	v_lshrrev_b32_e32 v3, 27, v3
	v_add_u32_e32 v3, v4, v3
	s_lshl_b64 s[18:19], s[38:39], 2
	v_ashrrev_i32_e32 v3, 5, v3
	s_add_u32 s16, s16, s18
	v_min_i32_e32 v4, s21, v3
	s_addc_u32 s17, s17, s19
	v_ashrrev_i32_e32 v5, 31, v4
	v_add_u32_e32 v3, 1, v3
	v_ashrrev_i32_e32 v7, 31, v6
	v_lshl_add_u64 v[8:9], v[4:5], 2, s[16:17]
	v_min_i32_e32 v4, s21, v3
	v_lshl_add_u64 v[6:7], v[6:7], 2, s[16:17]
	v_ashrrev_i32_e32 v5, 31, v4
	v_lshl_add_u64 v[10:11], v[4:5], 2, s[16:17]
	global_load_dword v5, v[6:7], off
	global_load_dword v4, v[8:9], off
	;; [unrolled: 1-line block ×3, first 2 shown]
	s_load_dwordx2 s[34:35], s[0:1], 0x40
	s_load_dwordx4 s[16:19], s[0:1], 0x0
	s_load_dwordx2 s[28:29], s[0:1], 0x10
	s_andn2_b64 vcc, exec, s[10:11]
	s_cbranch_vccnz .LBB155_10
; %bb.9:
	s_add_u32 s8, s8, s36
	s_addc_u32 s9, s9, s37
	s_load_dword s38, s[8:9], 0x0
	s_waitcnt lgkmcnt(0)
	s_mov_b64 s[30:31], s[38:39]
.LBB155_10:
	s_load_dwordx4 s[8:11], s[0:1], 0x48
	v_lshrrev_b32_e32 v6, 2, v40
	v_lshlrev_b32_e32 v7, 3, v41
	v_add_lshl_u32 v6, v7, v6, 4
	v_mov_b32_e32 v31, 0
	s_waitcnt lgkmcnt(0)
	s_ashr_i32 s5, s8, 31
	s_mul_hi_u32 s11, s30, s8
	s_mul_i32 s5, s30, s5
	s_mul_i32 s21, s31, s8
	s_add_i32 s5, s11, s5
	s_mul_i32 s36, s30, s8
	s_add_i32 s37, s5, s21
	s_lshl_b64 s[30:31], s[36:37], 1
	s_add_u32 s5, s16, s30
	s_addc_u32 s8, s17, s31
	s_lshl_b32 s38, s4, 8
	s_lshl_b64 s[16:17], s[38:39], 1
	s_add_u32 s16, s5, s16
	s_addc_u32 s17, s8, s17
	global_load_dwordx4 v[36:39], v6, s[16:17]
	s_mul_i32 s38, s4, s10
	s_lshl_b64 s[4:5], s[38:39], 1
	s_add_u32 s10, s4, s18
	s_waitcnt vmcnt(3)
	v_mad_i64_i32 v[6:7], s[16:17], v5, s9, 0
	s_addc_u32 s11, s5, s19
	v_and_b32_e32 v5, 31, v0
	v_lshl_add_u64 v[6:7], v[6:7], 1, s[10:11]
	v_lshlrev_b32_e32 v30, 4, v5
	v_lshl_add_u64 v[32:33], v[6:7], 0, v[30:31]
	global_load_dwordx4 v[6:9], v[32:33], off
	global_load_dwordx4 v[10:13], v[32:33], off offset:512
	global_load_dwordx4 v[14:17], v[32:33], off offset:1024
	;; [unrolled: 1-line block ×7, first 2 shown]
	v_mov_b32_e32 v35, v31
	v_lshl_add_u64 v[32:33], v[34:35], 2, s[34:35]
	global_load_dword v35, v[32:33], off
	v_and_b32_e32 v56, -4, v2
	v_lshlrev_b32_e32 v5, 2, v0
	v_or_b32_e32 v58, 3, v2
	s_waitcnt vmcnt(11)
	v_mul_hi_i32 v2, v4, s9
	s_add_u32 s4, s28, s4
	v_and_or_b32 v60, v5, 48, v41
	s_waitcnt vmcnt(10)
	v_mul_hi_i32 v5, v3, s9
	v_ashrrev_i32_e32 v2, 31, v2
	s_addc_u32 s5, s29, s5
	v_lshlrev_b32_e32 v30, 6, v40
	v_ashrrev_i32_e32 v50, 31, v5
	v_lshl_add_u64 v[32:33], s[4:5], 0, v[30:31]
	v_lshrrev_b32_e32 v30, 29, v2
	v_mad_i64_i32 v[4:5], s[4:5], v4, s9, v[30:31]
	v_lshrrev_b32_e32 v30, 29, v50
	v_mad_i64_i32 v[2:3], s[4:5], v3, s9, v[30:31]
	v_lshlrev_b64 v[4:5], 1, v[4:5]
	v_lshlrev_b64 v[30:31], 1, v[2:3]
	v_and_b32_e32 v4, -16, v4
	v_and_b32_e32 v30, -16, v30
	v_lshl_add_u64 v[50:51], v[32:33], 0, v[30:31]
	s_load_dword s0, s[0:1], 0x1c
	v_cmp_eq_u32_e32 vcc, 0, v41
	v_subrev_u32_e32 v59, s3, v56
	v_add_u32_e32 v63, 1, v59
	v_cndmask_b32_e64 v52, 0, 1.0, vcc
	v_cmp_eq_u32_e32 vcc, 1, v41
	v_add_u32_e32 v64, 2, v59
	v_add_u32_e32 v65, 3, v59
	v_cndmask_b32_e64 v53, 0, 1.0, vcc
	v_cmp_eq_u32_e32 vcc, 2, v41
	v_mov_b32_e32 v57, 0xff7fffff
	v_or_b32_e32 v61, 1, v56
	v_cndmask_b32_e64 v54, 0, 1.0, vcc
	v_cmp_eq_u32_e32 vcc, 3, v41
	v_or_b32_e32 v62, 2, v56
	v_cmp_gt_i32_e64 s[4:5], s3, v62
	v_cndmask_b32_e64 v55, 0, 1.0, vcc
	v_cmp_gt_i32_e32 vcc, s3, v56
	v_cmp_gt_i32_e64 s[8:9], s3, v58
	s_waitcnt vmcnt(8)
	v_mfma_f32_4x4x4_16b_f16 a[0:3], v[36:37], v[6:7], 0 cbsz:4
	s_nop 1
	v_mfma_f32_4x4x4_16b_f16 a[0:3], v[38:39], v[8:9], a[0:3] cbsz:4
	s_waitcnt vmcnt(7)
	s_nop 0
	v_mfma_f32_4x4x4_16b_f16 a[0:3], v[36:37], v[10:11], a[0:3] cbsz:4 abid:1
	s_nop 1
	v_mfma_f32_4x4x4_16b_f16 a[0:3], v[38:39], v[12:13], a[0:3] cbsz:4 abid:1
	s_waitcnt vmcnt(6)
	s_nop 0
	v_mfma_f32_4x4x4_16b_f16 a[0:3], v[36:37], v[14:15], a[0:3] cbsz:4 abid:2
	s_nop 1
	v_mfma_f32_4x4x4_16b_f16 a[0:3], v[38:39], v[16:17], a[0:3] cbsz:4 abid:2
	s_waitcnt vmcnt(5)
	s_nop 0
	v_mfma_f32_4x4x4_16b_f16 a[0:3], v[36:37], v[18:19], a[0:3] cbsz:4 abid:3
	v_lshl_add_u64 v[18:19], v[32:33], 0, v[4:5]
	global_load_dwordx4 v[2:5], v[18:19], off
	global_load_dwordx4 v[6:9], v[18:19], off offset:16
	v_mfma_f32_4x4x4_16b_f16 a[0:3], v[38:39], v[20:21], a[0:3] cbsz:4 abid:3
	global_load_dwordx4 v[10:13], v[18:19], off offset:32
	global_load_dwordx4 v[14:17], v[18:19], off offset:48
	s_waitcnt vmcnt(8)
	v_mfma_f32_4x4x4_16b_f16 a[0:3], v[36:37], v[22:23], a[0:3] cbsz:4 abid:4
	s_nop 1
	v_mfma_f32_4x4x4_16b_f16 a[0:3], v[38:39], v[24:25], a[0:3] cbsz:4 abid:4
	global_load_dwordx4 v[18:21], v[50:51], off
	global_load_dwordx4 v[22:25], v[50:51], off offset:16
	s_waitcnt vmcnt(9)
	v_mfma_f32_4x4x4_16b_f16 a[0:3], v[36:37], v[26:27], a[0:3] cbsz:4 abid:5
	s_nop 1
	v_mfma_f32_4x4x4_16b_f16 a[0:3], v[38:39], v[28:29], a[0:3] cbsz:4 abid:5
	global_load_dwordx4 v[26:29], v[50:51], off offset:32
	global_load_dwordx4 v[30:33], v[50:51], off offset:48
	s_waitcnt vmcnt(10)
	v_mfma_f32_4x4x4_16b_f16 a[0:3], v[36:37], v[42:43], a[0:3] cbsz:4 abid:6
	v_add_u32_e32 v42, 4, v59
	v_lshlrev_b32_e32 v43, 2, v60
	v_mfma_f32_4x4x4_16b_f16 a[0:3], v[38:39], v[44:45], a[0:3] cbsz:4 abid:6
	v_cvt_f32_i32_e32 v44, v63
	s_waitcnt vmcnt(9)
	v_mfma_f32_4x4x4_16b_f16 a[0:3], v[36:37], v[46:47], a[0:3] cbsz:4 abid:7
	s_nop 1
	v_mfma_f32_4x4x4_16b_f16 a[0:3], v[38:39], v[48:49], a[0:3] cbsz:4 abid:7
	s_nop 4
	v_accvgpr_read_b32 v37, a1
	v_accvgpr_read_b32 v36, a0
	s_waitcnt lgkmcnt(0)
	v_pk_mul_f32 v[36:37], s[0:1], v[36:37] op_sel_hi:[0,1]
	v_accvgpr_read_b32 v39, a3
	v_accvgpr_read_b32 v38, a2
	v_pk_mul_f32 v[38:39], s[0:1], v[38:39] op_sel_hi:[0,1]
	v_mfma_f32_4x4x1_16b_f32 a[0:3], v36, v52, 0
	v_cvt_f32_i32_e32 v36, v64
	s_nop 0
	v_mfma_f32_4x4x1_16b_f32 a[0:3], v37, v53, a[0:3]
	v_cvt_f32_i32_e32 v37, v65
	v_cmp_gt_i32_e64 s[0:1], s3, v61
	v_mfma_f32_4x4x1_16b_f32 a[0:3], v38, v54, a[0:3]
	v_cvt_f32_i32_e32 v38, v42
	s_nop 0
	v_mfma_f32_4x4x1_16b_f32 a[0:3], v39, v55, a[0:3]
	s_nop 3
	v_accvgpr_read_b32 v39, a0
	v_accvgpr_read_b32 v42, a1
	;; [unrolled: 1-line block ×4, first 2 shown]
	s_waitcnt vmcnt(8)
	v_fma_f32 v39, v35, v44, v39
	v_fma_f32 v36, v35, v36, v42
	;; [unrolled: 1-line block ×3, first 2 shown]
	v_fmac_f32_e32 v46, v35, v38
	v_max_f32_e32 v35, 0xff7fffff, v39
	v_cndmask_b32_e32 v35, v57, v35, vcc
	v_max_f32_e32 v38, v35, v36
	v_cndmask_b32_e64 v35, v35, v38, s[0:1]
	v_max_f32_e32 v38, v35, v37
	v_cndmask_b32_e64 v35, v35, v38, s[4:5]
	;; [unrolled: 2-line block ×3, first 2 shown]
	;;#ASMSTART
	v_nop
 v_nop
 v_max_f32_dpp v35, v35, v35 row_ror:4
	;;#ASMEND
	s_nop 0
	;;#ASMSTART
	v_nop
 v_nop
 v_max_f32_dpp v35, v35, v35 row_ror:8
	;;#ASMEND
	ds_bpermute_b32 v35, v43, v35
	s_waitcnt lgkmcnt(0)
	;;#ASMSTART
	v_nop
 v_nop
 v_max_f32_dpp v35, v35, v35 row_ror:4
	;;#ASMEND
	s_nop 0
	;;#ASMSTART
	v_nop
 v_nop
 v_max_f32_dpp v42, v35, v35 row_ror:8
	;;#ASMEND
	s_nop 0
	v_sub_f32_e32 v35, v39, v42
	v_sub_f32_e32 v36, v36, v42
	v_mul_f32_e32 v35, 0x3fb8aa3b, v35
	v_sub_f32_e32 v37, v37, v42
	v_mul_f32_e32 v36, 0x3fb8aa3b, v36
	v_exp_f32_e32 v35, v35
	v_sub_f32_e32 v38, v46, v42
	v_mul_f32_e32 v37, 0x3fb8aa3b, v37
	v_exp_f32_e32 v39, v36
	v_mul_f32_e32 v38, 0x3fb8aa3b, v38
	v_exp_f32_e32 v44, v37
	v_exp_f32_e32 v45, v38
	v_cndmask_b32_e32 v36, 0, v35, vcc
	v_cndmask_b32_e64 v37, 0, v39, s[0:1]
	v_add_f32_e32 v35, 0, v36
	v_cndmask_b32_e64 v38, 0, v44, s[4:5]
	v_add_f32_e32 v35, v35, v37
	;; [unrolled: 2-line block ×3, first 2 shown]
	v_add_f32_e32 v35, v35, v39
	;;#ASMSTART
	v_nop
 v_nop
 v_add_f32_dpp v35, v35, v35 row_ror:4
	;;#ASMEND
	v_cmp_gt_u32_e32 vcc, 4, v40
	;;#ASMSTART
	v_nop
 v_nop
 v_add_f32_dpp v35, v35, v35 row_ror:8
	;;#ASMEND
	ds_bpermute_b32 v35, v43, v35
	s_waitcnt lgkmcnt(0)
	;;#ASMSTART
	v_nop
 v_nop
 v_add_f32_dpp v35, v35, v35 row_ror:4
	;;#ASMEND
	s_nop 0
	;;#ASMSTART
	v_nop
 v_nop
 v_add_f32_dpp v35, v35, v35 row_ror:8
	;;#ASMEND
	s_and_saveexec_b64 s[0:1], vcc
	s_cbranch_execz .LBB155_12
; %bb.11:
	v_mul_u32_u24_e32 v43, 20, v1
	v_lshl_add_u32 v43, v41, 2, v43
	v_add_u32_e32 v43, 0x800, v43
	ds_write2_b32 v43, v42, v35 offset0:128 offset1:148
.LBB155_12:
	s_or_b64 exec, exec, s[0:1]
.LBB155_13:
	s_or_b64 exec, exec, s[26:27]
	v_lshlrev_b32_e32 v35, 2, v41
	v_add_u32_e32 v35, 0x800, v35
	s_waitcnt lgkmcnt(0)
	s_barrier
	s_load_dword s0, s[24:25], 0x8
	ds_read2_b32 v[44:45], v35 offset0:128 offset1:133
	ds_read2_b32 v[46:47], v35 offset0:138 offset1:143
	s_mov_b32 s4, 0xff7fffff
	s_mul_i32 s1, s2, s40
	ds_read2_b32 v[48:49], v35 offset0:148 offset1:153
	s_waitcnt lgkmcnt(0)
	v_max3_f32 v41, v44, s4, v45
	s_mul_i32 s1, s1, s0
	v_max3_f32 v41, v41, v46, v47
	s_lshl_b32 s0, s1, 2
	s_mov_b32 s1, 0
	v_sub_f32_e32 v43, v44, v41
	v_sub_f32_e32 v44, v45, v41
	s_lshl_b64 s[2:3], s[0:1], 2
	v_mul_f32_e32 v43, 0x3fb8aa3b, v43
	v_mul_f32_e32 v44, 0x3fb8aa3b, v44
	s_mov_b32 s21, s1
	s_add_u32 s1, s12, s2
	v_exp_f32_e32 v43, v43
	v_exp_f32_e32 v50, v44
	ds_read2_b32 v[44:45], v35 offset0:158 offset1:163
	v_sub_f32_e32 v35, v46, v41
	s_addc_u32 s8, s13, s3
	v_mul_f32_e32 v35, 0x3fb8aa3b, v35
	v_sub_f32_e32 v46, v47, v41
	s_add_u32 s4, s14, s2
	v_exp_f32_e32 v35, v35
	v_mul_f32_e32 v46, 0x3fb8aa3b, v46
	s_addc_u32 s5, s15, s3
	s_lshl_b64 s[2:3], s[20:21], 2
	v_exp_f32_e32 v46, v46
	s_add_u32 s4, s4, s2
	v_fma_f32 v43, v43, v48, 0
	s_addc_u32 s5, s5, s3
	v_fmac_f32_e32 v43, v50, v49
	s_waitcnt lgkmcnt(0)
	v_fmac_f32_e32 v43, v35, v44
	s_add_u32 s2, s1, s2
	v_mul_lo_u32 v34, s40, v34
	v_mov_b32_e32 v35, 0
	v_fmac_f32_e32 v43, v46, v45
	s_addc_u32 s3, s8, s3
	v_lshlrev_b64 v[44:45], 2, v[34:35]
	v_lshl_add_u64 v[46:47], s[4:5], 0, v[44:45]
	v_lshl_add_u64 v[44:45], s[2:3], 0, v[44:45]
	v_mov_b32_e32 v34, v35
	global_store_dword v[46:47], v41, off
	global_store_dword v[44:45], v43, off
	s_and_saveexec_b64 s[2:3], s[6:7]
	s_cbranch_execz .LBB155_15
; %bb.14:
	v_add_f32_e32 v34, 0x358637bd, v43
	v_div_scale_f32 v35, s[4:5], v34, v34, 1.0
	v_rcp_f32_e32 v43, v35
	v_div_scale_f32 v44, vcc, 1.0, v34, 1.0
	v_sub_f32_e32 v41, v42, v41
	v_fma_f32 v45, -v35, v43, 1.0
	v_fmac_f32_e32 v43, v45, v43
	v_mul_f32_e32 v45, v44, v43
	v_fma_f32 v46, -v35, v45, v44
	v_mul_f32_e32 v41, 0x3fb8aa3b, v41
	v_fmac_f32_e32 v45, v46, v43
	v_exp_f32_e32 v41, v41
	v_fma_f32 v35, -v35, v45, v44
	v_div_fmas_f32 v35, v35, v43, v45
	v_div_fixup_f32 v34, v35, v34, 1.0
	v_mul_f32_e32 v34, v41, v34
	v_pk_mul_f32 v[38:39], v[38:39], v[34:35] op_sel_hi:[1,0]
	v_pk_mul_f32 v[34:35], v[36:37], v[34:35] op_sel_hi:[1,0]
	v_cvt_f16_f32_e32 v36, v38
	v_cvt_f16_f32_e32 v34, v34
	;; [unrolled: 1-line block ×4, first 2 shown]
	s_mov_b32 s1, 0x5040100
	v_pack_b32_f16 v34, v34, v35
	v_pack_b32_f16 v35, v36, v37
	s_waitcnt vmcnt(9)
	s_nop 0
	v_mfma_f32_4x4x4_16b_f16 a[0:3], v[34:35], v[2:3], 0 cbsz:4
	s_nop 1
	v_mfma_f32_4x4x4_16b_f16 a[0:3], v[34:35], v[4:5], a[0:3] cbsz:4 abid:1
	s_waitcnt vmcnt(8)
	s_nop 0
	v_mfma_f32_4x4x4_16b_f16 a[0:3], v[34:35], v[6:7], a[0:3] cbsz:4 abid:2
	s_nop 1
	v_mfma_f32_4x4x4_16b_f16 a[0:3], v[34:35], v[8:9], a[0:3] cbsz:4 abid:3
	s_waitcnt vmcnt(7)
	s_nop 0
	v_mfma_f32_4x4x4_16b_f16 a[0:3], v[34:35], v[10:11], a[0:3] cbsz:4 abid:4
	s_nop 1
	v_mfma_f32_4x4x4_16b_f16 a[0:3], v[34:35], v[12:13], a[0:3] cbsz:4 abid:5
	s_waitcnt vmcnt(6)
	s_nop 0
	v_mfma_f32_4x4x4_16b_f16 a[0:3], v[34:35], v[14:15], a[0:3] cbsz:4 abid:6
	s_nop 1
	v_mfma_f32_4x4x4_16b_f16 a[0:3], v[34:35], v[16:17], a[0:3] cbsz:4 abid:7
	s_waitcnt vmcnt(5)
	s_nop 0
	v_mfma_f32_4x4x4_16b_f16 a[0:3], v[34:35], v[18:19], a[0:3] cbsz:4 abid:8
	s_nop 1
	v_mfma_f32_4x4x4_16b_f16 a[0:3], v[34:35], v[20:21], a[0:3] cbsz:4 abid:9
	s_waitcnt vmcnt(4)
	s_nop 0
	v_mfma_f32_4x4x4_16b_f16 a[0:3], v[34:35], v[22:23], a[0:3] cbsz:4 abid:10
	s_nop 1
	v_mfma_f32_4x4x4_16b_f16 a[0:3], v[34:35], v[24:25], a[0:3] cbsz:4 abid:11
	s_waitcnt vmcnt(3)
	s_nop 0
	v_mfma_f32_4x4x4_16b_f16 a[0:3], v[34:35], v[26:27], a[0:3] cbsz:4 abid:12
	s_nop 1
	v_mfma_f32_4x4x4_16b_f16 a[0:3], v[34:35], v[28:29], a[0:3] cbsz:4 abid:13
	s_waitcnt vmcnt(2)
	s_nop 0
	v_mfma_f32_4x4x4_16b_f16 a[0:3], v[34:35], v[30:31], a[0:3] cbsz:4 abid:14
	s_nop 1
	v_mfma_f32_4x4x4_16b_f16 a[0:3], v[34:35], v[32:33], a[0:3] cbsz:4 abid:15
	s_nop 4
	v_accvgpr_read_b32 v2, a0
	v_accvgpr_read_b32 v3, a1
	;; [unrolled: 1-line block ×4, first 2 shown]
	v_cvt_f16_f32_e32 v2, v2
	v_cvt_f16_f32_e32 v3, v3
	;; [unrolled: 1-line block ×4, first 2 shown]
	v_perm_b32 v34, v3, v2, s1
	v_perm_b32 v35, v5, v4, s1
.LBB155_15:
	s_or_b64 exec, exec, s[2:3]
	v_lshlrev_b32_e32 v1, 3, v1
	v_mad_u32_u24 v1, v40, 40, v1
	v_cmp_gt_u32_e32 vcc, 64, v0
	ds_write_b64 v1, v[34:35]
	s_waitcnt lgkmcnt(0)
	s_barrier
	s_and_saveexec_b64 s[2:3], vcc
	s_cbranch_execz .LBB155_17
; %bb.16:
	v_mul_u32_u24_e32 v1, 40, v40
	s_waitcnt vmcnt(9)
	ds_read2_b64 v[2:5], v1 offset1:1
	s_waitcnt vmcnt(8)
	ds_read2_b64 v[6:9], v1 offset0:2 offset1:3
	s_mov_b32 s1, 0
	s_lshl_b32 s0, s0, 6
	s_lshl_b64 s[2:3], s[0:1], 1
	s_add_u32 s2, s22, s2
	s_addc_u32 s3, s23, s3
	s_lshl_b32 s0, s20, 6
	s_lshl_b64 s[0:1], s[0:1], 1
	s_waitcnt lgkmcnt(1)
	v_pk_add_f16 v1, v2, 0
	v_pk_add_f16 v2, v3, 0
	s_add_u32 s0, s2, s0
	v_pk_add_f16 v2, v2, v5
	s_addc_u32 s1, s3, s1
	s_lshl_b32 s2, s40, 6
	v_pk_add_f16 v1, v1, v4
	s_waitcnt lgkmcnt(0)
	v_pk_add_f16 v2, v2, v7
	s_mul_i32 s3, s2, s33
	v_pk_add_f16 v1, v1, v6
	v_pk_add_f16 v6, v2, v9
	v_or_b32_e32 v2, s3, v0
	v_mov_b32_e32 v3, 0
	s_add_i32 s3, s3, s2
	v_pk_add_f16 v1, v1, v8
	v_lshl_add_u64 v[4:5], v[2:3], 1, s[0:1]
	v_or_b32_e32 v2, s3, v0
	s_add_i32 s3, s3, s2
	global_store_short v[4:5], v1, off
	v_lshl_add_u64 v[4:5], v[2:3], 1, s[0:1]
	v_or_b32_e32 v2, s3, v0
	s_add_i32 s3, s3, s2
	global_store_short_d16_hi v[4:5], v1, off
	v_lshl_add_u64 v[4:5], v[2:3], 1, s[0:1]
	v_or_b32_e32 v2, s3, v0
	v_lshl_add_u64 v[0:1], v[2:3], 1, s[0:1]
	global_store_short v[4:5], v6, off
	global_store_short_d16_hi v[0:1], v6, off
.LBB155_17:
	s_endpgm
.LBB155_18:
	s_mov_b64 s[12:13], 0
                                        ; implicit-def: $sgpr30_sgpr31
	s_branch .LBB155_2
	.section	.rodata,"a",@progbits
	.p2align	6, 0x0
	.amdhsa_kernel _Z38paged_attention_ll4mi_QKV_mfma4_kernelIDF16_DF16_LN4vllm18Fp8KVCacheDataTypeE0EDF16_Li32ELi64ELi256ELb1ELi4EEvPKT_PKT0_S7_ifPKiS9_S9_iPKfiiiPfSC_PS2_PT2_iSB_SB_
		.amdhsa_group_segment_fixed_size 2720
		.amdhsa_private_segment_fixed_size 0
		.amdhsa_kernarg_size 400
		.amdhsa_user_sgpr_count 2
		.amdhsa_user_sgpr_dispatch_ptr 0
		.amdhsa_user_sgpr_queue_ptr 0
		.amdhsa_user_sgpr_kernarg_segment_ptr 1
		.amdhsa_user_sgpr_dispatch_id 0
		.amdhsa_user_sgpr_kernarg_preload_length 0
		.amdhsa_user_sgpr_kernarg_preload_offset 0
		.amdhsa_user_sgpr_private_segment_size 0
		.amdhsa_uses_dynamic_stack 0
		.amdhsa_enable_private_segment 0
		.amdhsa_system_sgpr_workgroup_id_x 1
		.amdhsa_system_sgpr_workgroup_id_y 1
		.amdhsa_system_sgpr_workgroup_id_z 1
		.amdhsa_system_sgpr_workgroup_info 0
		.amdhsa_system_vgpr_workitem_id 0
		.amdhsa_next_free_vgpr 72
		.amdhsa_next_free_sgpr 41
		.amdhsa_accum_offset 68
		.amdhsa_reserve_vcc 1
		.amdhsa_float_round_mode_32 0
		.amdhsa_float_round_mode_16_64 0
		.amdhsa_float_denorm_mode_32 3
		.amdhsa_float_denorm_mode_16_64 3
		.amdhsa_dx10_clamp 1
		.amdhsa_ieee_mode 1
		.amdhsa_fp16_overflow 0
		.amdhsa_tg_split 0
		.amdhsa_exception_fp_ieee_invalid_op 0
		.amdhsa_exception_fp_denorm_src 0
		.amdhsa_exception_fp_ieee_div_zero 0
		.amdhsa_exception_fp_ieee_overflow 0
		.amdhsa_exception_fp_ieee_underflow 0
		.amdhsa_exception_fp_ieee_inexact 0
		.amdhsa_exception_int_div_zero 0
	.end_amdhsa_kernel
	.section	.text._Z38paged_attention_ll4mi_QKV_mfma4_kernelIDF16_DF16_LN4vllm18Fp8KVCacheDataTypeE0EDF16_Li32ELi64ELi256ELb1ELi4EEvPKT_PKT0_S7_ifPKiS9_S9_iPKfiiiPfSC_PS2_PT2_iSB_SB_,"axG",@progbits,_Z38paged_attention_ll4mi_QKV_mfma4_kernelIDF16_DF16_LN4vllm18Fp8KVCacheDataTypeE0EDF16_Li32ELi64ELi256ELb1ELi4EEvPKT_PKT0_S7_ifPKiS9_S9_iPKfiiiPfSC_PS2_PT2_iSB_SB_,comdat
.Lfunc_end155:
	.size	_Z38paged_attention_ll4mi_QKV_mfma4_kernelIDF16_DF16_LN4vllm18Fp8KVCacheDataTypeE0EDF16_Li32ELi64ELi256ELb1ELi4EEvPKT_PKT0_S7_ifPKiS9_S9_iPKfiiiPfSC_PS2_PT2_iSB_SB_, .Lfunc_end155-_Z38paged_attention_ll4mi_QKV_mfma4_kernelIDF16_DF16_LN4vllm18Fp8KVCacheDataTypeE0EDF16_Li32ELi64ELi256ELb1ELi4EEvPKT_PKT0_S7_ifPKiS9_S9_iPKfiiiPfSC_PS2_PT2_iSB_SB_
                                        ; -- End function
	.section	.AMDGPU.csdata,"",@progbits
; Kernel info:
; codeLenInByte = 3096
; NumSgprs: 47
; NumVgprs: 66
; NumAgprs: 4
; TotalNumVgprs: 72
; ScratchSize: 0
; MemoryBound: 0
; FloatMode: 240
; IeeeMode: 1
; LDSByteSize: 2720 bytes/workgroup (compile time only)
; SGPRBlocks: 5
; VGPRBlocks: 8
; NumSGPRsForWavesPerEU: 47
; NumVGPRsForWavesPerEU: 72
; AccumOffset: 68
; Occupancy: 7
; WaveLimiterHint : 1
; COMPUTE_PGM_RSRC2:SCRATCH_EN: 0
; COMPUTE_PGM_RSRC2:USER_SGPR: 2
; COMPUTE_PGM_RSRC2:TRAP_HANDLER: 0
; COMPUTE_PGM_RSRC2:TGID_X_EN: 1
; COMPUTE_PGM_RSRC2:TGID_Y_EN: 1
; COMPUTE_PGM_RSRC2:TGID_Z_EN: 1
; COMPUTE_PGM_RSRC2:TIDIG_COMP_CNT: 0
; COMPUTE_PGM_RSRC3_GFX90A:ACCUM_OFFSET: 16
; COMPUTE_PGM_RSRC3_GFX90A:TG_SPLIT: 0
	.section	.text._Z39paged_attention_ll4mi_QKV_mfma16_kernelIDF16_DF16_LN4vllm18Fp8KVCacheDataTypeE0EDF16_Li32ELi64ELi256ELb1ELi5EEvPKT_PKT0_S7_ifPKiS9_S9_iPKfiiiPfSC_PS2_PT2_iSB_SB_,"axG",@progbits,_Z39paged_attention_ll4mi_QKV_mfma16_kernelIDF16_DF16_LN4vllm18Fp8KVCacheDataTypeE0EDF16_Li32ELi64ELi256ELb1ELi5EEvPKT_PKT0_S7_ifPKiS9_S9_iPKfiiiPfSC_PS2_PT2_iSB_SB_,comdat
	.protected	_Z39paged_attention_ll4mi_QKV_mfma16_kernelIDF16_DF16_LN4vllm18Fp8KVCacheDataTypeE0EDF16_Li32ELi64ELi256ELb1ELi5EEvPKT_PKT0_S7_ifPKiS9_S9_iPKfiiiPfSC_PS2_PT2_iSB_SB_ ; -- Begin function _Z39paged_attention_ll4mi_QKV_mfma16_kernelIDF16_DF16_LN4vllm18Fp8KVCacheDataTypeE0EDF16_Li32ELi64ELi256ELb1ELi5EEvPKT_PKT0_S7_ifPKiS9_S9_iPKfiiiPfSC_PS2_PT2_iSB_SB_
	.globl	_Z39paged_attention_ll4mi_QKV_mfma16_kernelIDF16_DF16_LN4vllm18Fp8KVCacheDataTypeE0EDF16_Li32ELi64ELi256ELb1ELi5EEvPKT_PKT0_S7_ifPKiS9_S9_iPKfiiiPfSC_PS2_PT2_iSB_SB_
	.p2align	8
	.type	_Z39paged_attention_ll4mi_QKV_mfma16_kernelIDF16_DF16_LN4vllm18Fp8KVCacheDataTypeE0EDF16_Li32ELi64ELi256ELb1ELi5EEvPKT_PKT0_S7_ifPKiS9_S9_iPKfiiiPfSC_PS2_PT2_iSB_SB_,@function
_Z39paged_attention_ll4mi_QKV_mfma16_kernelIDF16_DF16_LN4vllm18Fp8KVCacheDataTypeE0EDF16_Li32ELi64ELi256ELb1ELi5EEvPKT_PKT0_S7_ifPKiS9_S9_iPKfiiiPfSC_PS2_PT2_iSB_SB_: ; @_Z39paged_attention_ll4mi_QKV_mfma16_kernelIDF16_DF16_LN4vllm18Fp8KVCacheDataTypeE0EDF16_Li32ELi64ELi256ELb1ELi5EEvPKT_PKT0_S7_ifPKiS9_S9_iPKfiiiPfSC_PS2_PT2_iSB_SB_
; %bb.0:
	s_load_dwordx2 s[6:7], s[0:1], 0x30
	s_mov_b32 s28, s3
	s_mov_b64 s[8:9], 0
	s_waitcnt lgkmcnt(0)
	s_cmp_lg_u64 s[6:7], 0
	s_cselect_b64 s[10:11], -1, 0
	s_and_b64 vcc, exec, s[10:11]
	s_cbranch_vccz .LBB156_7
; %bb.1:
	s_add_i32 s12, s2, 1
	s_mov_b32 s13, 0
	s_lshl_b64 s[14:15], s[12:13], 2
	s_add_u32 s14, s6, s14
	s_mov_b32 s3, s13
	s_addc_u32 s15, s7, s15
	s_lshl_b64 s[12:13], s[2:3], 2
	s_add_u32 s12, s6, s12
	s_addc_u32 s13, s7, s13
	s_load_dword s5, s[14:15], 0x0
	s_load_dword s16, s[12:13], 0x0
	s_waitcnt lgkmcnt(0)
	s_sub_i32 s5, s5, s16
	s_cmp_eq_u32 s5, 1
	s_cselect_b64 s[12:13], -1, 0
	s_andn2_b64 vcc, exec, s[8:9]
	s_cbranch_vccnz .LBB156_3
.LBB156_2:
	s_mov_b32 s3, 0
	s_mov_b64 s[12:13], -1
.LBB156_3:
	s_andn2_b64 vcc, exec, s[12:13]
	s_cbranch_vccnz .LBB156_22
; %bb.4:
	s_load_dwordx2 s[8:9], s[0:1], 0x28
	s_lshl_b64 s[12:13], s[2:3], 2
	s_waitcnt lgkmcnt(0)
	s_add_u32 s8, s8, s12
	s_addc_u32 s9, s9, s13
	s_load_dword s29, s[8:9], 0x0
	s_lshl_b32 s14, s28, 8
	s_waitcnt lgkmcnt(0)
	s_cmp_ge_i32 s14, s29
	s_cbranch_scc1 .LBB156_22
; %bb.5:
	s_load_dwordx2 s[8:9], s[0:1], 0x20
	s_load_dword s5, s[0:1], 0x38
	s_add_i32 s15, s29, 31
	s_ashr_i32 s16, s15, 31
	v_and_b32_e32 v1, 0xcf, v0
	s_lshr_b32 s16, s16, 27
	v_add_u32_e32 v1, s14, v1
	s_add_i32 s15, s15, s16
	v_ashrrev_i32_e32 v2, 31, v1
	s_ashr_i32 s15, s15, 5
	v_lshrrev_b32_e32 v6, 27, v2
	s_add_i32 s15, s15, -1
	s_waitcnt lgkmcnt(0)
	s_mul_i32 s16, s2, s5
	s_mov_b32 s17, 0
	v_add_u32_e32 v2, v1, v6
	s_lshl_b64 s[16:17], s[16:17], 2
	v_ashrrev_i32_e32 v2, 5, v2
	v_mov_b32_e32 v7, s15
	v_cmp_gt_i32_e32 vcc, s29, v1
	s_add_u32 s8, s8, s16
	s_addc_u32 s9, s9, s17
	v_cndmask_b32_e32 v2, v7, v2, vcc
	v_ashrrev_i32_e32 v3, 31, v2
	v_lshl_add_u64 v[4:5], v[2:3], 2, s[8:9]
	v_or_b32_e32 v2, 16, v1
	v_add_u32_e32 v3, v2, v6
	v_ashrrev_i32_e32 v3, 5, v3
	v_cmp_gt_i32_e32 vcc, s29, v2
	s_nop 1
	v_cndmask_b32_e32 v2, v7, v3, vcc
	v_ashrrev_i32_e32 v3, 31, v2
	v_lshl_add_u64 v[8:9], v[2:3], 2, s[8:9]
	v_or_b32_e32 v2, 32, v1
	v_add_u32_e32 v3, v2, v6
	v_ashrrev_i32_e32 v3, 5, v3
	v_cmp_gt_i32_e32 vcc, s29, v2
	v_or_b32_e32 v1, 48, v1
	s_nop 0
	v_cndmask_b32_e32 v2, v7, v3, vcc
	v_ashrrev_i32_e32 v3, 31, v2
	v_lshl_add_u64 v[12:13], v[2:3], 2, s[8:9]
	v_add_u32_e32 v2, v1, v6
	v_ashrrev_i32_e32 v2, 5, v2
	v_cmp_gt_i32_e32 vcc, s29, v1
	s_nop 1
	v_cndmask_b32_e32 v2, v7, v2, vcc
	v_ashrrev_i32_e32 v3, 31, v2
	v_lshl_add_u64 v[16:17], v[2:3], 2, s[8:9]
	global_load_dword v2, v[4:5], off
	global_load_dword v6, v[8:9], off
	;; [unrolled: 1-line block ×4, first 2 shown]
	s_andn2_b64 vcc, exec, s[10:11]
	s_cbranch_vccnz .LBB156_8
; %bb.6:
	s_add_u32 s6, s6, s12
	s_addc_u32 s7, s7, s13
	s_load_dword s5, s[6:7], 0x0
	s_branch .LBB156_9
.LBB156_7:
	s_mov_b64 s[12:13], 0
	s_branch .LBB156_2
.LBB156_8:
	s_mov_b32 s5, s2
.LBB156_9:
	s_load_dwordx2 s[10:11], s[0:1], 0x8
	s_load_dwordx4 s[44:47], s[0:1], 0x48
	v_lshrrev_b32_e32 v1, 6, v0
	v_bfe_u32 v54, v0, 4, 2
	v_lshl_or_b32 v3, v1, 2, v54
	v_and_b32_e32 v44, 15, v0
	v_cmp_lt_u32_e32 vcc, 4, v3
	v_cmp_lt_u32_e64 s[6:7], 7, v44
	v_lshlrev_b32_e32 v42, 3, v44
	v_cmp_gt_u32_e64 s[30:31], 8, v44
	s_or_b64 s[6:7], s[6:7], vcc
	s_and_saveexec_b64 s[12:13], s[6:7]
	s_xor_b64 s[6:7], exec, s[12:13]
; %bb.10:
	v_mov_b32_e32 v43, 0
                                        ; implicit-def: $vgpr3
; %bb.11:
	s_or_saveexec_b64 s[12:13], s[6:7]
	s_load_dwordx2 s[6:7], s[0:1], 0x10
	s_mul_i32 s42, s4, 5
	s_xor_b64 exec, exec, s[12:13]
	s_cbranch_execz .LBB156_13
; %bb.12:
	s_load_dwordx2 s[16:17], s[0:1], 0x0
	s_waitcnt lgkmcnt(0)
	s_ashr_i32 s18, s44, 31
	s_mul_hi_u32 s19, s5, s44
	s_mul_i32 s18, s5, s18
	s_add_i32 s19, s19, s18
	s_mul_i32 s18, s5, s44
	s_lshl_b64 s[18:19], s[18:19], 1
	s_add_u32 s16, s16, s18
	v_add_lshl_u32 v4, v3, s42, 6
	s_addc_u32 s17, s17, s19
	v_ashrrev_i32_e32 v5, 31, v4
	v_mov_b32_e32 v43, 0
	v_lshl_add_u64 v[4:5], v[4:5], 1, s[16:17]
	v_lshlrev_b32_e32 v8, 1, v42
	v_mov_b32_e32 v9, v43
	v_lshl_add_u64 v[4:5], v[4:5], 0, v[8:9]
	global_load_dwordx4 v[16:19], v[4:5], off
	v_and_b32_e32 v4, 3, v0
	v_lshlrev_b32_e32 v5, 9, v44
	v_lshlrev_b32_e32 v3, 5, v3
	;; [unrolled: 1-line block ×3, first 2 shown]
	v_and_b32_e32 v5, 0x1800, v5
	v_or3_b32 v3, v5, v4, v3
	s_waitcnt vmcnt(0)
	ds_write_b128 v3, v[16:19]
.LBB156_13:
	s_or_b64 exec, exec, s[12:13]
	s_waitcnt lgkmcnt(0)
	s_mul_i32 s4, s4, s46
	s_mov_b32 s5, 0
	s_lshl_b64 s[4:5], s[4:5], 1
	s_add_u32 s10, s10, s4
	s_addc_u32 s11, s11, s5
	s_waitcnt vmcnt(3)
	v_mad_i64_i32 v[2:3], s[12:13], v2, s45, 0
	v_lshl_add_u64 v[2:3], v[2:3], 1, s[10:11]
	v_lshlrev_b64 v[12:13], 1, v[42:43]
	v_lshlrev_b32_e32 v46, 9, v54
	v_lshl_add_u64 v[2:3], v[2:3], 0, v[12:13]
	v_mov_b32_e32 v47, 0
	v_lshl_add_u64 v[8:9], v[2:3], 0, v[46:47]
	s_barrier
	global_load_dwordx4 v[22:25], v[8:9], off
	global_load_dwordx4 v[2:5], v[8:9], off offset:2048
	s_waitcnt vmcnt(4)
	v_mad_i64_i32 v[6:7], s[12:13], v6, s45, 0
	v_mov_b32_e32 v8, 0x100
	v_lshl_add_u64 v[6:7], v[6:7], 1, s[10:11]
	v_lshl_or_b32 v16, v44, 4, v8
	v_mov_b32_e32 v17, v47
	s_waitcnt vmcnt(3)
	v_mad_i64_i32 v[10:11], s[12:13], v10, s45, 0
	v_lshl_add_u64 v[6:7], v[6:7], 0, v[16:17]
	v_lshl_add_u64 v[10:11], v[10:11], 1, s[10:11]
	s_waitcnt vmcnt(2)
	v_mad_i64_i32 v[14:15], s[12:13], v14, s45, 0
	v_lshl_add_u64 v[18:19], v[6:7], 0, v[46:47]
	v_lshl_add_u64 v[10:11], v[10:11], 0, v[12:13]
	;; [unrolled: 1-line block ×3, first 2 shown]
	global_load_dwordx4 v[26:29], v[18:19], off
	global_load_dwordx4 v[6:9], v[18:19], off offset:2048
	v_lshl_add_u64 v[18:19], v[10:11], 0, v[46:47]
	v_lshl_add_u64 v[14:15], v[14:15], 0, v[16:17]
	global_load_dwordx4 v[30:33], v[18:19], off
	global_load_dwordx4 v[10:13], v[18:19], off offset:2048
	v_lshl_add_u64 v[18:19], v[14:15], 0, v[46:47]
	global_load_dwordx4 v[34:37], v[18:19], off
	global_load_dwordx4 v[14:17], v[18:19], off offset:2048
	v_mul_lo_u16_e32 v18, 52, v44
	v_mov_b32_e32 v19, 5
	v_mul_lo_u16_sdwa v18, v18, v19 dst_sel:DWORD dst_unused:UNUSED_PAD src0_sel:BYTE_1 src1_sel:DWORD
	v_sub_u16_e32 v18, v44, v18
	v_and_b32_e32 v18, 0xff, v18
	v_lshl_add_u32 v18, v18, 5, v46
	ds_read_b128 v[38:41], v18
	ds_read_b128 v[18:21], v18 offset:2048
	v_and_b32_e32 v45, 63, v0
	v_cmp_gt_u32_e32 vcc, 5, v44
	v_mov_b32_e32 v50, 0
	s_and_saveexec_b64 s[10:11], vcc
	s_cbranch_execz .LBB156_15
; %bb.14:
	s_load_dwordx2 s[12:13], s[0:1], 0x40
	v_add_u32_e32 v48, s42, v44
	v_ashrrev_i32_e32 v49, 31, v48
	s_waitcnt lgkmcnt(0)
	v_lshl_add_u64 v[48:49], v[48:49], 2, s[12:13]
	global_load_dword v50, v[48:49], off
.LBB156_15:
	s_or_b64 exec, exec, s[10:11]
	s_ashr_i32 s10, s14, 31
	v_and_or_b32 v46, v0, 48, s14
	s_lshr_b32 s11, s10, 27
	v_add_u32_e32 v48, s11, v46
	v_or_b32_e32 v52, 64, v46
	v_ashrrev_i32_e32 v48, 5, v48
	v_mov_b32_e32 v51, s15
	v_cmp_gt_i32_e32 vcc, s29, v46
	v_add_u32_e32 v53, s11, v52
	s_waitcnt vmcnt(7) lgkmcnt(1)
	v_mfma_f32_16x16x16_f16 v[56:59], v[22:23], v[38:39], 0
	v_cndmask_b32_e32 v48, v51, v48, vcc
	v_ashrrev_i32_e32 v22, 5, v53
	v_cmp_gt_i32_e32 vcc, s29, v52
	v_ashrrev_i32_e32 v49, 31, v48
	v_lshl_add_u64 v[48:49], v[48:49], 2, s[8:9]
	v_cndmask_b32_e32 v22, v51, v22, vcc
	v_ashrrev_i32_e32 v23, 31, v22
	v_lshl_add_u64 v[22:23], v[22:23], 2, s[8:9]
	global_load_dword v55, v[48:49], off
	global_load_dword v72, v[22:23], off
	s_waitcnt vmcnt(3)
	v_mfma_f32_16x16x16_f16 v[68:71], v[34:35], v[38:39], 0
	v_or_b32_e32 v48, 0xc0, v46
	v_add_u32_e32 v52, s11, v48
	s_add_u32 s4, s6, s4
	v_mfma_f32_16x16x16_f16 v[60:63], v[26:27], v[38:39], 0
	s_addc_u32 s5, s7, s5
	s_load_dword s10, s[0:1], 0x1c
	s_mov_b32 s33, 0xff7fffff
	v_mfma_f32_16x16x16_f16 v[64:67], v[30:31], v[38:39], 0
	v_and_b32_e32 v31, 0xc0, v0
	v_or_b32_e32 v38, 0x80, v46
	v_add_u32_e32 v34, s14, v31
	v_mfma_f32_16x16x16_f16 v[22:25], v[24:25], v[40:41], v[56:59]
	v_and_b32_e32 v30, 16, v0
	v_add_u32_e32 v49, s11, v38
	v_lshlrev_b32_e32 v46, 1, v30
	v_lshl_or_b32 v56, v54, 2, v34
	v_mfma_f32_16x16x16_f16 v[34:37], v[36:37], v[40:41], v[68:71]
	v_cmp_gt_i32_e32 vcc, s29, v38
	v_lshlrev_b32_e32 v39, 6, v44
	v_or_b32_e32 v57, 1, v56
	v_mfma_f32_16x16x16_f16 v[26:29], v[28:29], v[40:41], v[60:63]
	v_cmp_gt_i32_e64 s[34:35], s29, v57
	v_mfma_f32_16x16x16_f16 v[30:33], v[32:33], v[40:41], v[64:67]
	v_ashrrev_i32_e32 v40, 5, v49
	v_ashrrev_i32_e32 v41, 5, v52
	v_cndmask_b32_e32 v38, v51, v40, vcc
	v_cmp_gt_i32_e32 vcc, s29, v48
	s_waitcnt lgkmcnt(0)
	v_mfma_f32_16x16x16_f16 v[22:25], v[2:3], v[18:19], v[22:25]
	v_lshl_add_u64 v[2:3], s[4:5], 0, v[46:47]
	v_cndmask_b32_e32 v40, v51, v41, vcc
	v_lshl_or_b32 v46, v1, 10, v39
	v_ashrrev_i32_e32 v39, 31, v38
	v_ashrrev_i32_e32 v41, 31, v40
	s_waitcnt vmcnt(2)
	v_mfma_f32_16x16x16_f16 v[34:37], v[14:15], v[18:19], v[34:37]
	v_lshl_add_u64 v[14:15], v[38:39], 2, s[8:9]
	v_subrev_u32_e32 v51, s29, v57
	v_cvt_f32_i32_e32 v58, v51
	v_mfma_f32_16x16x16_f16 v[26:29], v[6:7], v[18:19], v[26:29]
	v_mfma_f32_16x16x16_f16 v[30:33], v[10:11], v[18:19], v[30:33]
	v_lshl_add_u64 v[18:19], v[40:41], 2, s[8:9]
	global_load_dword v59, v[14:15], off
	global_load_dword v60, v[18:19], off
	v_lshl_add_u64 v[10:11], v[2:3], 0, v[46:47]
	v_mfma_f32_16x16x16_f16 v[2:5], v[4:5], v[20:21], v[22:25]
	v_add_u32_e32 v46, 1, v51
	v_add_u32_e32 v47, 3, v51
	;; [unrolled: 1-line block ×3, first 2 shown]
	v_mfma_f32_16x16x16_f16 v[14:17], v[16:17], v[20:21], v[34:37]
	v_add_u32_e32 v22, 2, v51
	s_nop 1
	v_pk_mul_f32 v[52:53], s[10:11], v[4:5] op_sel_hi:[0,1]
	v_cvt_f32_i32_e32 v18, v18
	v_mfma_f32_16x16x16_f16 v[6:9], v[8:9], v[20:21], v[26:29]
	v_add_u32_e32 v19, 19, v51
	v_pk_mul_f32 v[34:35], s[10:11], v[16:17] op_sel_hi:[0,1]
	v_pk_mul_f32 v[36:37], s[10:11], v[14:15] op_sel_hi:[0,1]
	v_cvt_f32_i32_e32 v27, v22
	v_mfma_f32_16x16x16_f16 v[22:25], v[12:13], v[20:21], v[30:33]
	v_pk_mul_f32 v[12:13], s[10:11], v[2:3] op_sel_hi:[0,1]
	v_cvt_f32_i32_e32 v26, v46
	v_cvt_f32_i32_e32 v28, v47
	v_pk_mul_f32 v[46:47], s[10:11], v[8:9] op_sel_hi:[0,1]
	v_pk_mul_f32 v[48:49], s[10:11], v[6:7] op_sel_hi:[0,1]
	v_cvt_f32_i32_e32 v19, v19
	v_fma_f32 v46, v50, v18, v46
	v_add_u32_e32 v18, 34, v51
	v_cvt_f32_i32_e32 v18, v18
	v_fmac_f32_e32 v47, v50, v19
	v_add_u32_e32 v19, 35, v51
	v_cvt_f32_i32_e32 v19, v19
	v_pk_mul_f32 v[40:41], s[10:11], v[22:23] op_sel_hi:[0,1]
	v_pk_mul_f32 v[38:39], s[10:11], v[24:25] op_sel_hi:[0,1]
	v_fma_f32 v38, v50, v18, v38
	v_add_u32_e32 v18, 50, v51
	s_waitcnt vmcnt(3)
	v_mad_i64_i32 v[2:3], s[4:5], v55, s45, 0
	s_waitcnt vmcnt(2)
	v_mad_i64_i32 v[4:5], s[4:5], v72, s45, 0
	v_lshl_add_u64 v[16:17], v[2:3], 1, v[10:11]
	v_lshl_add_u64 v[14:15], v[4:5], 1, v[10:11]
	global_load_dwordx4 v[6:9], v[16:17], off
	global_load_dwordx4 v[2:5], v[16:17], off offset:16
	v_add_u32_e32 v16, 16, v51
	v_cvt_f32_i32_e32 v16, v16
	v_add_u32_e32 v17, 17, v51
	v_cvt_f32_i32_e32 v17, v17
	v_fmac_f32_e32 v39, v50, v19
	v_fma_f32 v48, v50, v16, v48
	v_add_u32_e32 v16, 32, v51
	v_fmac_f32_e32 v49, v50, v17
	v_cvt_f32_i32_e32 v16, v16
	v_add_u32_e32 v17, 33, v51
	v_cvt_f32_i32_e32 v17, v17
	v_cvt_f32_i32_e32 v18, v18
	v_fma_f32 v40, v50, v16, v40
	v_add_u32_e32 v16, 48, v51
	v_fmac_f32_e32 v41, v50, v17
	v_cvt_f32_i32_e32 v16, v16
	v_add_u32_e32 v17, 49, v51
	v_cvt_f32_i32_e32 v17, v17
	v_add_u32_e32 v19, 51, v51
	v_cvt_f32_i32_e32 v19, v19
	v_fma_f32 v12, v50, v58, v12
	v_fmac_f32_e32 v13, v50, v26
	v_fma_f32 v36, v50, v16, v36
	v_mov_b32_e32 v16, 0xff7fffff
	v_cmp_gt_i32_e64 s[4:5], s29, v56
	v_fmac_f32_e32 v37, v50, v17
	v_fma_f32 v34, v50, v18, v34
	v_cndmask_b32_e64 v17, v16, v12, s[4:5]
	v_cndmask_b32_e64 v18, v16, v13, s[34:35]
	v_fmac_f32_e32 v35, v50, v19
	v_max3_f32 v17, v17, s33, v18
	v_or_b32_e32 v18, 2, v56
	v_or_b32_e32 v19, 3, v56
	v_fma_f32 v52, v50, v27, v52
	v_fmac_f32_e32 v53, v50, v28
	v_cmp_gt_i32_e64 s[36:37], s29, v18
	v_cmp_gt_i32_e64 s[38:39], s29, v19
	global_load_dwordx4 v[30:33], v[14:15], off
	global_load_dwordx4 v[26:29], v[14:15], off offset:16
	v_cndmask_b32_e64 v18, v16, v52, s[36:37]
	v_cndmask_b32_e64 v19, v16, v53, s[38:39]
	v_max3_f32 v17, v17, v18, v19
	v_or_b32_e32 v18, 16, v56
	v_or_b32_e32 v19, 17, v56
	v_cmp_gt_i32_e64 s[24:25], s29, v18
	v_cmp_gt_i32_e64 s[26:27], s29, v19
	s_nop 0
	v_cndmask_b32_e64 v18, v16, v48, s[24:25]
	v_cndmask_b32_e64 v19, v16, v49, s[26:27]
	v_max3_f32 v17, v17, v18, v19
	v_or_b32_e32 v18, 18, v56
	v_or_b32_e32 v19, 19, v56
	v_cmp_gt_i32_e64 s[20:21], s29, v18
	v_cmp_gt_i32_e64 s[22:23], s29, v19
	s_nop 0
	;; [unrolled: 8-line block ×5, first 2 shown]
	v_cndmask_b32_e64 v18, v16, v36, s[8:9]
	v_cndmask_b32_e64 v19, v16, v37, s[10:11]
	v_max3_f32 v17, v17, v18, v19
	v_or_b32_e32 v18, 50, v56
	v_or_b32_e32 v19, 51, v56
	v_cmp_gt_i32_e32 vcc, s29, v18
	v_cmp_gt_i32_e64 s[6:7], s29, v19
	s_nop 0
	v_cndmask_b32_e32 v18, v16, v34, vcc
	v_cndmask_b32_e64 v16, v16, v35, s[6:7]
	v_max3_f32 v16, v17, v18, v16
	v_mbcnt_lo_u32_b32 v17, -1, 0
	v_mbcnt_hi_u32_b32 v17, -1, v17
	v_and_b32_e32 v18, 64, v17
	v_add_u32_e32 v18, 64, v18
	v_xor_b32_e32 v19, 32, v17
	v_cmp_lt_i32_e64 s[40:41], v19, v18
	s_nop 1
	v_cndmask_b32_e64 v19, v17, v19, s[40:41]
	v_lshlrev_b32_e32 v56, 2, v19
	ds_bpermute_b32 v19, v56, v16
	s_waitcnt vmcnt(5)
	v_mad_i64_i32 v[14:15], s[40:41], v59, s45, 0
	v_lshl_add_u64 v[14:15], v[14:15], 1, v[10:11]
	s_waitcnt lgkmcnt(0)
	v_max_f32_e32 v19, v19, v19
	v_max_f32_e32 v16, v16, v19
	v_xor_b32_e32 v19, 16, v17
	v_cmp_lt_i32_e64 s[40:41], v19, v18
	s_nop 1
	v_cndmask_b32_e64 v17, v17, v19, s[40:41]
	v_lshlrev_b32_e32 v57, 2, v17
	ds_bpermute_b32 v17, v57, v16
	global_load_dwordx4 v[22:25], v[14:15], off
	global_load_dwordx4 v[18:21], v[14:15], off offset:16
	s_waitcnt vmcnt(6)
	v_mad_i64_i32 v[14:15], s[40:41], v60, s45, 0
	v_lshl_add_u64 v[10:11], v[14:15], 1, v[10:11]
	s_waitcnt lgkmcnt(0)
	v_max_f32_e32 v14, v17, v17
	v_max_f32_e32 v55, v16, v14
	v_sub_f32_e32 v12, v12, v55
	v_mul_f32_e32 v12, 0x3fb8aa3b, v12
	v_exp_f32_e32 v50, v12
	v_sub_f32_e32 v12, v13, v55
	v_mul_f32_e32 v12, 0x3fb8aa3b, v12
	v_exp_f32_e32 v51, v12
	global_load_dwordx4 v[14:17], v[10:11], off
	s_nop 0
	global_load_dwordx4 v[10:13], v[10:11], off offset:16
	v_sub_f32_e32 v52, v52, v55
	v_mul_f32_e32 v52, 0x3fb8aa3b, v52
	v_sub_f32_e32 v53, v53, v55
	v_exp_f32_e32 v52, v52
	v_mul_f32_e32 v53, 0x3fb8aa3b, v53
	v_sub_f32_e32 v48, v48, v55
	v_exp_f32_e32 v53, v53
	v_mul_f32_e32 v48, 0x3fb8aa3b, v48
	v_sub_f32_e32 v49, v49, v55
	v_cndmask_b32_e64 v50, 0, v50, s[4:5]
	v_exp_f32_e32 v48, v48
	v_mul_f32_e32 v49, 0x3fb8aa3b, v49
	v_sub_f32_e32 v46, v46, v55
	v_add_f32_e32 v58, 0, v50
	v_cndmask_b32_e64 v51, 0, v51, s[34:35]
	v_exp_f32_e32 v49, v49
	v_mul_f32_e32 v46, 0x3fb8aa3b, v46
	v_sub_f32_e32 v47, v47, v55
	v_add_f32_e32 v58, v58, v51
	;; [unrolled: 5-line block ×10, first 2 shown]
	v_cndmask_b32_e64 v38, 0, v38, s[12:13]
	v_exp_f32_e32 v34, v34
	v_mul_f32_e32 v35, 0x3fb8aa3b, v35
	v_add_f32_e32 v58, v58, v38
	v_cndmask_b32_e64 v39, 0, v39, s[14:15]
	v_exp_f32_e32 v35, v35
	v_add_f32_e32 v58, v58, v39
	v_cndmask_b32_e64 v36, 0, v36, s[8:9]
	v_add_f32_e32 v58, v58, v36
	v_cndmask_b32_e64 v37, 0, v37, s[10:11]
	v_add_f32_e32 v58, v58, v37
	v_cndmask_b32_e32 v34, 0, v34, vcc
	v_add_f32_e32 v58, v58, v34
	v_cndmask_b32_e64 v35, 0, v35, s[6:7]
	v_add_f32_e32 v58, v58, v35
	ds_bpermute_b32 v56, v56, v58
	s_load_dword s9, s[0:1], 0x98
	v_cmp_gt_u32_e64 s[6:7], 16, v45
	v_lshlrev_b32_e32 v45, 2, v44
	s_waitcnt lgkmcnt(0)
	v_add_f32_e32 v56, v58, v56
	ds_bpermute_b32 v57, v57, v56
	s_barrier
	s_waitcnt lgkmcnt(0)
	s_and_saveexec_b64 s[4:5], s[6:7]
	s_cbranch_execz .LBB156_17
; %bb.16:
	v_add_f32_e32 v56, v56, v57
	v_lshl_or_b32 v57, v1, 6, v45
	ds_write2st64_b32 v57, v55, v56 offset1:1
.LBB156_17:
	s_or_b64 exec, exec, s[4:5]
	s_load_dword s8, s[0:1], 0x94
	s_waitcnt lgkmcnt(0)
	s_barrier
	ds_read2_b32 v[56:57], v45 offset1:16
	ds_read2_b32 v[58:59], v45 offset0:32 offset1:48
	ds_read2_b32 v[60:61], v45 offset0:64 offset1:80
	;; [unrolled: 1-line block ×3, first 2 shown]
	s_waitcnt lgkmcnt(0)
	v_max3_f32 v55, v56, s33, v57
	v_max3_f32 v55, v55, v58, v59
	v_sub_f32_e32 v56, v56, v55
	v_mul_f32_e32 v56, 0x3fb8aa3b, v56
	v_exp_f32_e32 v64, v56
	v_sub_f32_e32 v56, v57, v55
	v_mul_f32_e32 v56, 0x3fb8aa3b, v56
	v_exp_f32_e32 v57, v56
	v_sub_f32_e32 v56, v58, v55
	v_mul_f32_e32 v56, 0x3fb8aa3b, v56
	v_sub_f32_e32 v45, v59, v55
	v_exp_f32_e32 v58, v56
	v_mul_f32_e32 v45, 0x3fb8aa3b, v45
	v_exp_f32_e32 v45, v45
	v_fma_f32 v56, v64, v60, 0
	v_fmac_f32_e32 v56, v57, v61
	v_fmac_f32_e32 v56, v58, v62
	;; [unrolled: 1-line block ×3, first 2 shown]
	v_add_f32_e32 v59, 0x358637bd, v56
	v_div_scale_f32 v60, s[4:5], v59, v59, 1.0
	v_rcp_f32_e32 v61, v60
	s_barrier
	s_mul_i32 s9, s9, 5
	v_fma_f32 v62, -v60, v61, 1.0
	v_fmac_f32_e32 v61, v62, v61
	v_div_scale_f32 v62, vcc, 1.0, v59, 1.0
	v_mul_f32_e32 v63, v62, v61
	v_fma_f32 v65, -v60, v63, v62
	v_fmac_f32_e32 v63, v65, v61
	v_fma_f32 v60, -v60, v63, v62
	v_div_fmas_f32 v60, v60, v61, v63
	v_cmp_eq_u32_e32 vcc, 1, v1
	v_div_fixup_f32 v59, v60, v59, 1.0
	s_nop 0
	v_cndmask_b32_e32 v57, v64, v57, vcc
	v_cmp_eq_u32_e32 vcc, 2, v1
	s_nop 1
	v_cndmask_b32_e32 v57, v57, v58, vcc
	v_cmp_eq_u32_e32 vcc, 3, v1
	v_lshlrev_b32_e32 v1, 11, v1
	s_nop 0
	v_cndmask_b32_e32 v45, v57, v45, vcc
	v_mul_f32_e32 v58, v45, v59
	v_pk_mul_f32 v[52:53], v[58:59], v[52:53] op_sel_hi:[0,1]
	v_pk_mul_f32 v[50:51], v[58:59], v[50:51] op_sel_hi:[0,1]
	v_cvt_f16_f32_e32 v45, v50
	v_cvt_f16_f32_e32 v50, v51
	;; [unrolled: 1-line block ×4, first 2 shown]
	v_pk_mul_f32 v[46:47], v[58:59], v[46:47] op_sel_hi:[0,1]
	v_pk_mul_f32 v[48:49], v[58:59], v[48:49] op_sel_hi:[0,1]
	v_cvt_f16_f32_e32 v48, v48
	v_pack_b32_f16 v53, v51, v53
	v_cvt_f16_f32_e32 v49, v49
	v_cvt_f16_f32_e32 v51, v46
	;; [unrolled: 1-line block ×3, first 2 shown]
	v_pack_b32_f16 v52, v45, v50
	v_lshlrev_b32_e32 v45, 3, v54
	v_lshlrev_b32_e32 v50, 5, v44
	v_or3_b32 v1, v1, v50, v45
	v_pack_b32_f16 v46, v48, v49
	v_pack_b32_f16 v47, v51, v47
	v_pk_mul_f32 v[38:39], v[58:59], v[38:39] op_sel_hi:[0,1]
	v_pk_mul_f32 v[40:41], v[58:59], v[40:41] op_sel_hi:[0,1]
	;; [unrolled: 1-line block ×4, first 2 shown]
	ds_write2st64_b64 v1, v[52:53], v[46:47] offset1:1
	v_cvt_f16_f32_e32 v40, v40
	v_cvt_f16_f32_e32 v41, v41
	;; [unrolled: 1-line block ×8, first 2 shown]
	v_pack_b32_f16 v34, v40, v41
	v_pack_b32_f16 v35, v38, v39
	;; [unrolled: 1-line block ×4, first 2 shown]
	v_cmp_gt_u32_e32 vcc, 5, v0
	ds_write2st64_b64 v1, v[34:35], v[36:37] offset0:2 offset1:3
	s_and_saveexec_b64 s[4:5], vcc
	s_cbranch_execz .LBB156_19
; %bb.18:
	s_mov_b32 s43, 0
	v_mov_b32_e32 v45, 0
	v_lshl_add_u64 v[34:35], s[42:43], 0, v[44:45]
	v_mov_b32_e32 v36, s9
	v_mad_u64_u32 v[34:35], s[10:11], s2, v36, v[34:35]
	s_mul_i32 s3, s3, s9
	v_mov_b32_e32 v44, s28
	s_load_dwordx4 s[12:15], s[0:1], 0x58
	v_add_u32_e32 v37, s3, v35
	v_mad_u64_u32 v[34:35], s[10:11], v34, s8, v[44:45]
	v_mov_b32_e32 v36, v35
	v_mad_u64_u32 v[36:37], s[10:11], v37, s8, v[36:37]
	v_mov_b32_e32 v35, v36
	v_lshlrev_b64 v[34:35], 2, v[34:35]
	s_waitcnt lgkmcnt(0)
	v_lshl_add_u64 v[36:37], s[14:15], 0, v[34:35]
	v_lshl_add_u64 v[34:35], s[12:13], 0, v[34:35]
	global_store_dword v[36:37], v55, off
	global_store_dword v[34:35], v56, off
.LBB156_19:
	s_or_b64 exec, exec, s[4:5]
	v_lshl_or_b32 v48, v54, 9, v50
	s_waitcnt lgkmcnt(0)
	s_barrier
	ds_read_b128 v[34:37], v48
	ds_read_b128 v[38:41], v48 offset:16
	s_waitcnt vmcnt(7) lgkmcnt(1)
	v_mfma_f32_16x16x16_f16 v[44:47], v[6:7], v[34:35], 0
	v_cmp_gt_u32_e32 vcc, 64, v0
	s_mov_b32 s3, 0
	s_and_b64 s[4:5], vcc, s[30:31]
	v_mfma_f32_16x16x16_f16 v[6:9], v[8:9], v[36:37], v[44:47]
	s_waitcnt vmcnt(6) lgkmcnt(0)
	v_mfma_f32_16x16x16_f16 v[6:9], v[2:3], v[38:39], v[6:9]
	v_mfma_f32_16x16x16_f16 v[2:5], v[4:5], v[40:41], v[6:9]
	s_nop 5
	ds_read_b128 v[6:9], v48 offset:2048
	ds_read_b128 v[34:37], v48 offset:2064
	s_waitcnt vmcnt(5) lgkmcnt(1)
	v_mfma_f32_16x16x16_f16 v[2:5], v[30:31], v[6:7], v[2:5]
	v_mfma_f32_16x16x16_f16 v[2:5], v[32:33], v[8:9], v[2:5]
	s_waitcnt vmcnt(4) lgkmcnt(0)
	v_mfma_f32_16x16x16_f16 v[2:5], v[26:27], v[34:35], v[2:5]
	v_mfma_f32_16x16x16_f16 v[2:5], v[28:29], v[36:37], v[2:5]
	ds_read_b128 v[6:9], v48 offset:4096
	ds_read_b128 v[26:29], v48 offset:4112
	s_waitcnt vmcnt(3) lgkmcnt(1)
	v_mfma_f32_16x16x16_f16 v[2:5], v[22:23], v[6:7], v[2:5]
	v_mfma_f32_16x16x16_f16 v[2:5], v[24:25], v[8:9], v[2:5]
	s_waitcnt vmcnt(2) lgkmcnt(0)
	v_mfma_f32_16x16x16_f16 v[2:5], v[18:19], v[26:27], v[2:5]
	v_mfma_f32_16x16x16_f16 v[2:5], v[20:21], v[28:29], v[2:5]
	ds_read_b128 v[6:9], v48 offset:6144
	ds_read_b128 v[18:21], v48 offset:6160
	s_waitcnt lgkmcnt(0)
	s_barrier
	s_waitcnt vmcnt(1)
	v_mfma_f32_16x16x16_f16 v[2:5], v[14:15], v[6:7], v[2:5]
	v_mfma_f32_16x16x16_f16 v[2:5], v[16:17], v[8:9], v[2:5]
	s_waitcnt vmcnt(0)
	v_mfma_f32_16x16x16_f16 v[2:5], v[10:11], v[18:19], v[2:5]
	v_mfma_f32_16x16x16_f16 v[2:5], v[12:13], v[20:21], v[2:5]
	s_nop 6
	v_cvt_f16_f32_e32 v2, v2
	v_cvt_f16_f32_e32 v3, v3
	;; [unrolled: 1-line block ×4, first 2 shown]
	v_pack_b32_f16 v2, v2, v3
	v_pack_b32_f16 v3, v4, v5
	ds_write_b64 v1, v[2:3]
	s_waitcnt lgkmcnt(0)
	s_barrier
	s_and_saveexec_b64 s[10:11], s[4:5]
	s_cbranch_execz .LBB156_22
; %bb.20:
	s_load_dwordx2 s[4:5], s[0:1], 0x68
	s_lshl_b32 s0, s8, 6
	s_mul_i32 s1, s9, s2
	s_mul_hi_u32 s9, s1, s0
	s_mul_i32 s8, s1, s0
	v_lshlrev_b32_e32 v1, 10, v0
	v_lshlrev_b32_e32 v0, 4, v0
	s_lshl_b64 s[8:9], s[8:9], 1
	v_and_b32_e32 v1, 0x1800, v1
	v_lshlrev_b32_e32 v2, 5, v54
	v_and_b32_e32 v0, 16, v0
	s_waitcnt lgkmcnt(0)
	s_add_u32 s1, s4, s8
	v_or3_b32 v2, v1, v2, v0
	s_addc_u32 s4, s5, s9
	s_lshl_b32 s2, s28, 6
	s_lshl_b64 s[2:3], s[2:3], 1
	ds_read_b128 v[4:7], v2
	s_add_u32 s2, s1, s2
	s_addc_u32 s3, s4, s3
	v_add_u32_e32 v3, s42, v54
	v_lshl_add_u64 v[0:1], v[42:43], 1, s[2:3]
	v_mad_u64_u32 v[8:9], s[2:3], v3, s0, 0
	v_lshl_add_u64 v[8:9], v[8:9], 1, v[0:1]
	s_waitcnt lgkmcnt(0)
	global_store_dwordx4 v[8:9], v[4:7], off
	s_and_b64 exec, exec, s[6:7]
	s_cbranch_execz .LBB156_22
; %bb.21:
	ds_read_b128 v[2:5], v2 offset:128
	v_add3_u32 v6, s42, v54, 4
	v_mad_u64_u32 v[6:7], s[0:1], v6, s0, 0
	v_lshl_add_u64 v[0:1], v[6:7], 1, v[0:1]
	s_waitcnt lgkmcnt(0)
	global_store_dwordx4 v[0:1], v[2:5], off
.LBB156_22:
	s_endpgm
	.section	.rodata,"a",@progbits
	.p2align	6, 0x0
	.amdhsa_kernel _Z39paged_attention_ll4mi_QKV_mfma16_kernelIDF16_DF16_LN4vllm18Fp8KVCacheDataTypeE0EDF16_Li32ELi64ELi256ELb1ELi5EEvPKT_PKT0_S7_ifPKiS9_S9_iPKfiiiPfSC_PS2_PT2_iSB_SB_
		.amdhsa_group_segment_fixed_size 8192
		.amdhsa_private_segment_fixed_size 0
		.amdhsa_kernarg_size 400
		.amdhsa_user_sgpr_count 2
		.amdhsa_user_sgpr_dispatch_ptr 0
		.amdhsa_user_sgpr_queue_ptr 0
		.amdhsa_user_sgpr_kernarg_segment_ptr 1
		.amdhsa_user_sgpr_dispatch_id 0
		.amdhsa_user_sgpr_kernarg_preload_length 0
		.amdhsa_user_sgpr_kernarg_preload_offset 0
		.amdhsa_user_sgpr_private_segment_size 0
		.amdhsa_uses_dynamic_stack 0
		.amdhsa_enable_private_segment 0
		.amdhsa_system_sgpr_workgroup_id_x 1
		.amdhsa_system_sgpr_workgroup_id_y 1
		.amdhsa_system_sgpr_workgroup_id_z 1
		.amdhsa_system_sgpr_workgroup_info 0
		.amdhsa_system_vgpr_workitem_id 0
		.amdhsa_next_free_vgpr 73
		.amdhsa_next_free_sgpr 48
		.amdhsa_accum_offset 76
		.amdhsa_reserve_vcc 1
		.amdhsa_float_round_mode_32 0
		.amdhsa_float_round_mode_16_64 0
		.amdhsa_float_denorm_mode_32 3
		.amdhsa_float_denorm_mode_16_64 3
		.amdhsa_dx10_clamp 1
		.amdhsa_ieee_mode 1
		.amdhsa_fp16_overflow 0
		.amdhsa_tg_split 0
		.amdhsa_exception_fp_ieee_invalid_op 0
		.amdhsa_exception_fp_denorm_src 0
		.amdhsa_exception_fp_ieee_div_zero 0
		.amdhsa_exception_fp_ieee_overflow 0
		.amdhsa_exception_fp_ieee_underflow 0
		.amdhsa_exception_fp_ieee_inexact 0
		.amdhsa_exception_int_div_zero 0
	.end_amdhsa_kernel
	.section	.text._Z39paged_attention_ll4mi_QKV_mfma16_kernelIDF16_DF16_LN4vllm18Fp8KVCacheDataTypeE0EDF16_Li32ELi64ELi256ELb1ELi5EEvPKT_PKT0_S7_ifPKiS9_S9_iPKfiiiPfSC_PS2_PT2_iSB_SB_,"axG",@progbits,_Z39paged_attention_ll4mi_QKV_mfma16_kernelIDF16_DF16_LN4vllm18Fp8KVCacheDataTypeE0EDF16_Li32ELi64ELi256ELb1ELi5EEvPKT_PKT0_S7_ifPKiS9_S9_iPKfiiiPfSC_PS2_PT2_iSB_SB_,comdat
.Lfunc_end156:
	.size	_Z39paged_attention_ll4mi_QKV_mfma16_kernelIDF16_DF16_LN4vllm18Fp8KVCacheDataTypeE0EDF16_Li32ELi64ELi256ELb1ELi5EEvPKT_PKT0_S7_ifPKiS9_S9_iPKfiiiPfSC_PS2_PT2_iSB_SB_, .Lfunc_end156-_Z39paged_attention_ll4mi_QKV_mfma16_kernelIDF16_DF16_LN4vllm18Fp8KVCacheDataTypeE0EDF16_Li32ELi64ELi256ELb1ELi5EEvPKT_PKT0_S7_ifPKiS9_S9_iPKfiiiPfSC_PS2_PT2_iSB_SB_
                                        ; -- End function
	.section	.AMDGPU.csdata,"",@progbits
; Kernel info:
; codeLenInByte = 4156
; NumSgprs: 54
; NumVgprs: 73
; NumAgprs: 0
; TotalNumVgprs: 73
; ScratchSize: 0
; MemoryBound: 0
; FloatMode: 240
; IeeeMode: 1
; LDSByteSize: 8192 bytes/workgroup (compile time only)
; SGPRBlocks: 6
; VGPRBlocks: 9
; NumSGPRsForWavesPerEU: 54
; NumVGPRsForWavesPerEU: 73
; AccumOffset: 76
; Occupancy: 6
; WaveLimiterHint : 1
; COMPUTE_PGM_RSRC2:SCRATCH_EN: 0
; COMPUTE_PGM_RSRC2:USER_SGPR: 2
; COMPUTE_PGM_RSRC2:TRAP_HANDLER: 0
; COMPUTE_PGM_RSRC2:TGID_X_EN: 1
; COMPUTE_PGM_RSRC2:TGID_Y_EN: 1
; COMPUTE_PGM_RSRC2:TGID_Z_EN: 1
; COMPUTE_PGM_RSRC2:TIDIG_COMP_CNT: 0
; COMPUTE_PGM_RSRC3_GFX90A:ACCUM_OFFSET: 18
; COMPUTE_PGM_RSRC3_GFX90A:TG_SPLIT: 0
	.section	.text._Z39paged_attention_ll4mi_QKV_mfma16_kernelIDF16_DF16_LN4vllm18Fp8KVCacheDataTypeE0EDF16_Li32ELi64ELi256ELb1ELi6EEvPKT_PKT0_S7_ifPKiS9_S9_iPKfiiiPfSC_PS2_PT2_iSB_SB_,"axG",@progbits,_Z39paged_attention_ll4mi_QKV_mfma16_kernelIDF16_DF16_LN4vllm18Fp8KVCacheDataTypeE0EDF16_Li32ELi64ELi256ELb1ELi6EEvPKT_PKT0_S7_ifPKiS9_S9_iPKfiiiPfSC_PS2_PT2_iSB_SB_,comdat
	.protected	_Z39paged_attention_ll4mi_QKV_mfma16_kernelIDF16_DF16_LN4vllm18Fp8KVCacheDataTypeE0EDF16_Li32ELi64ELi256ELb1ELi6EEvPKT_PKT0_S7_ifPKiS9_S9_iPKfiiiPfSC_PS2_PT2_iSB_SB_ ; -- Begin function _Z39paged_attention_ll4mi_QKV_mfma16_kernelIDF16_DF16_LN4vllm18Fp8KVCacheDataTypeE0EDF16_Li32ELi64ELi256ELb1ELi6EEvPKT_PKT0_S7_ifPKiS9_S9_iPKfiiiPfSC_PS2_PT2_iSB_SB_
	.globl	_Z39paged_attention_ll4mi_QKV_mfma16_kernelIDF16_DF16_LN4vllm18Fp8KVCacheDataTypeE0EDF16_Li32ELi64ELi256ELb1ELi6EEvPKT_PKT0_S7_ifPKiS9_S9_iPKfiiiPfSC_PS2_PT2_iSB_SB_
	.p2align	8
	.type	_Z39paged_attention_ll4mi_QKV_mfma16_kernelIDF16_DF16_LN4vllm18Fp8KVCacheDataTypeE0EDF16_Li32ELi64ELi256ELb1ELi6EEvPKT_PKT0_S7_ifPKiS9_S9_iPKfiiiPfSC_PS2_PT2_iSB_SB_,@function
_Z39paged_attention_ll4mi_QKV_mfma16_kernelIDF16_DF16_LN4vllm18Fp8KVCacheDataTypeE0EDF16_Li32ELi64ELi256ELb1ELi6EEvPKT_PKT0_S7_ifPKiS9_S9_iPKfiiiPfSC_PS2_PT2_iSB_SB_: ; @_Z39paged_attention_ll4mi_QKV_mfma16_kernelIDF16_DF16_LN4vllm18Fp8KVCacheDataTypeE0EDF16_Li32ELi64ELi256ELb1ELi6EEvPKT_PKT0_S7_ifPKiS9_S9_iPKfiiiPfSC_PS2_PT2_iSB_SB_
; %bb.0:
	s_load_dwordx2 s[6:7], s[0:1], 0x30
	s_mov_b32 s28, s3
	s_mov_b64 s[8:9], 0
	s_waitcnt lgkmcnt(0)
	s_cmp_lg_u64 s[6:7], 0
	s_cselect_b64 s[10:11], -1, 0
	s_and_b64 vcc, exec, s[10:11]
	s_cbranch_vccz .LBB157_7
; %bb.1:
	s_add_i32 s12, s2, 1
	s_mov_b32 s13, 0
	s_lshl_b64 s[14:15], s[12:13], 2
	s_add_u32 s14, s6, s14
	s_mov_b32 s3, s13
	s_addc_u32 s15, s7, s15
	s_lshl_b64 s[12:13], s[2:3], 2
	s_add_u32 s12, s6, s12
	s_addc_u32 s13, s7, s13
	s_load_dword s5, s[14:15], 0x0
	s_load_dword s16, s[12:13], 0x0
	s_waitcnt lgkmcnt(0)
	s_sub_i32 s5, s5, s16
	s_cmp_eq_u32 s5, 1
	s_cselect_b64 s[12:13], -1, 0
	s_andn2_b64 vcc, exec, s[8:9]
	s_cbranch_vccnz .LBB157_3
.LBB157_2:
	s_mov_b32 s3, 0
	s_mov_b64 s[12:13], -1
.LBB157_3:
	s_andn2_b64 vcc, exec, s[12:13]
	s_cbranch_vccnz .LBB157_22
; %bb.4:
	s_load_dwordx2 s[8:9], s[0:1], 0x28
	s_lshl_b64 s[12:13], s[2:3], 2
	s_waitcnt lgkmcnt(0)
	s_add_u32 s8, s8, s12
	s_addc_u32 s9, s9, s13
	s_load_dword s29, s[8:9], 0x0
	s_lshl_b32 s14, s28, 8
	s_waitcnt lgkmcnt(0)
	s_cmp_ge_i32 s14, s29
	s_cbranch_scc1 .LBB157_22
; %bb.5:
	s_load_dwordx2 s[8:9], s[0:1], 0x20
	s_load_dword s5, s[0:1], 0x38
	s_add_i32 s15, s29, 31
	s_ashr_i32 s16, s15, 31
	v_and_b32_e32 v1, 0xcf, v0
	s_lshr_b32 s16, s16, 27
	v_add_u32_e32 v1, s14, v1
	s_add_i32 s15, s15, s16
	v_ashrrev_i32_e32 v2, 31, v1
	s_ashr_i32 s15, s15, 5
	v_lshrrev_b32_e32 v6, 27, v2
	s_add_i32 s15, s15, -1
	s_waitcnt lgkmcnt(0)
	s_mul_i32 s16, s2, s5
	s_mov_b32 s17, 0
	v_add_u32_e32 v2, v1, v6
	s_lshl_b64 s[16:17], s[16:17], 2
	v_ashrrev_i32_e32 v2, 5, v2
	v_mov_b32_e32 v7, s15
	v_cmp_gt_i32_e32 vcc, s29, v1
	s_add_u32 s8, s8, s16
	s_addc_u32 s9, s9, s17
	v_cndmask_b32_e32 v2, v7, v2, vcc
	v_ashrrev_i32_e32 v3, 31, v2
	v_lshl_add_u64 v[4:5], v[2:3], 2, s[8:9]
	v_or_b32_e32 v2, 16, v1
	v_add_u32_e32 v3, v2, v6
	v_ashrrev_i32_e32 v3, 5, v3
	v_cmp_gt_i32_e32 vcc, s29, v2
	s_nop 1
	v_cndmask_b32_e32 v2, v7, v3, vcc
	v_ashrrev_i32_e32 v3, 31, v2
	v_lshl_add_u64 v[8:9], v[2:3], 2, s[8:9]
	v_or_b32_e32 v2, 32, v1
	v_add_u32_e32 v3, v2, v6
	v_ashrrev_i32_e32 v3, 5, v3
	v_cmp_gt_i32_e32 vcc, s29, v2
	v_or_b32_e32 v1, 48, v1
	s_nop 0
	v_cndmask_b32_e32 v2, v7, v3, vcc
	v_ashrrev_i32_e32 v3, 31, v2
	v_lshl_add_u64 v[12:13], v[2:3], 2, s[8:9]
	v_add_u32_e32 v2, v1, v6
	v_ashrrev_i32_e32 v2, 5, v2
	v_cmp_gt_i32_e32 vcc, s29, v1
	s_nop 1
	v_cndmask_b32_e32 v2, v7, v2, vcc
	v_ashrrev_i32_e32 v3, 31, v2
	v_lshl_add_u64 v[16:17], v[2:3], 2, s[8:9]
	global_load_dword v2, v[4:5], off
	global_load_dword v6, v[8:9], off
	;; [unrolled: 1-line block ×4, first 2 shown]
	s_andn2_b64 vcc, exec, s[10:11]
	s_cbranch_vccnz .LBB157_8
; %bb.6:
	s_add_u32 s6, s6, s12
	s_addc_u32 s7, s7, s13
	s_load_dword s5, s[6:7], 0x0
	s_branch .LBB157_9
.LBB157_7:
	s_mov_b64 s[12:13], 0
	s_branch .LBB157_2
.LBB157_8:
	s_mov_b32 s5, s2
.LBB157_9:
	s_load_dwordx2 s[10:11], s[0:1], 0x8
	s_load_dwordx4 s[44:47], s[0:1], 0x48
	v_lshrrev_b32_e32 v1, 6, v0
	v_bfe_u32 v54, v0, 4, 2
	v_lshl_or_b32 v3, v1, 2, v54
	v_and_b32_e32 v44, 15, v0
	v_cmp_lt_u32_e32 vcc, 5, v3
	v_cmp_lt_u32_e64 s[6:7], 7, v44
	v_lshlrev_b32_e32 v42, 3, v44
	v_cmp_gt_u32_e64 s[30:31], 8, v44
	s_or_b64 s[6:7], s[6:7], vcc
	s_and_saveexec_b64 s[12:13], s[6:7]
	s_xor_b64 s[6:7], exec, s[12:13]
; %bb.10:
	v_mov_b32_e32 v43, 0
                                        ; implicit-def: $vgpr3
; %bb.11:
	s_or_saveexec_b64 s[12:13], s[6:7]
	s_load_dwordx2 s[6:7], s[0:1], 0x10
	s_mul_i32 s42, s4, 6
	s_xor_b64 exec, exec, s[12:13]
	s_cbranch_execz .LBB157_13
; %bb.12:
	s_load_dwordx2 s[16:17], s[0:1], 0x0
	s_waitcnt lgkmcnt(0)
	s_ashr_i32 s18, s44, 31
	s_mul_hi_u32 s19, s5, s44
	s_mul_i32 s18, s5, s18
	s_add_i32 s19, s19, s18
	s_mul_i32 s18, s5, s44
	s_lshl_b64 s[18:19], s[18:19], 1
	s_add_u32 s16, s16, s18
	v_add_lshl_u32 v4, v3, s42, 6
	s_addc_u32 s17, s17, s19
	v_ashrrev_i32_e32 v5, 31, v4
	v_mov_b32_e32 v43, 0
	v_lshl_add_u64 v[4:5], v[4:5], 1, s[16:17]
	v_lshlrev_b32_e32 v8, 1, v42
	v_mov_b32_e32 v9, v43
	v_lshl_add_u64 v[4:5], v[4:5], 0, v[8:9]
	global_load_dwordx4 v[16:19], v[4:5], off
	v_and_b32_e32 v4, 3, v0
	v_lshlrev_b32_e32 v5, 9, v44
	v_lshlrev_b32_e32 v3, 5, v3
	;; [unrolled: 1-line block ×3, first 2 shown]
	v_and_b32_e32 v5, 0x1800, v5
	v_or3_b32 v3, v5, v4, v3
	s_waitcnt vmcnt(0)
	ds_write_b128 v3, v[16:19]
.LBB157_13:
	s_or_b64 exec, exec, s[12:13]
	s_waitcnt lgkmcnt(0)
	s_mul_i32 s4, s4, s46
	s_mov_b32 s5, 0
	s_lshl_b64 s[4:5], s[4:5], 1
	s_add_u32 s10, s10, s4
	s_addc_u32 s11, s11, s5
	s_waitcnt vmcnt(3)
	v_mad_i64_i32 v[2:3], s[12:13], v2, s45, 0
	v_lshl_add_u64 v[2:3], v[2:3], 1, s[10:11]
	v_lshlrev_b64 v[12:13], 1, v[42:43]
	v_lshlrev_b32_e32 v46, 9, v54
	v_lshl_add_u64 v[2:3], v[2:3], 0, v[12:13]
	v_mov_b32_e32 v47, 0
	v_lshl_add_u64 v[8:9], v[2:3], 0, v[46:47]
	s_barrier
	global_load_dwordx4 v[22:25], v[8:9], off
	global_load_dwordx4 v[2:5], v[8:9], off offset:2048
	s_waitcnt vmcnt(4)
	v_mad_i64_i32 v[6:7], s[12:13], v6, s45, 0
	v_mov_b32_e32 v8, 0x100
	v_lshl_add_u64 v[6:7], v[6:7], 1, s[10:11]
	v_lshl_or_b32 v16, v44, 4, v8
	v_mov_b32_e32 v17, v47
	s_waitcnt vmcnt(3)
	v_mad_i64_i32 v[10:11], s[12:13], v10, s45, 0
	v_lshl_add_u64 v[6:7], v[6:7], 0, v[16:17]
	v_lshl_add_u64 v[10:11], v[10:11], 1, s[10:11]
	s_waitcnt vmcnt(2)
	v_mad_i64_i32 v[14:15], s[12:13], v14, s45, 0
	v_lshl_add_u64 v[18:19], v[6:7], 0, v[46:47]
	v_lshl_add_u64 v[10:11], v[10:11], 0, v[12:13]
	v_lshl_add_u64 v[14:15], v[14:15], 1, s[10:11]
	global_load_dwordx4 v[26:29], v[18:19], off
	global_load_dwordx4 v[6:9], v[18:19], off offset:2048
	v_lshl_add_u64 v[18:19], v[10:11], 0, v[46:47]
	v_lshl_add_u64 v[14:15], v[14:15], 0, v[16:17]
	global_load_dwordx4 v[30:33], v[18:19], off
	global_load_dwordx4 v[10:13], v[18:19], off offset:2048
	v_lshl_add_u64 v[18:19], v[14:15], 0, v[46:47]
	global_load_dwordx4 v[34:37], v[18:19], off
	global_load_dwordx4 v[14:17], v[18:19], off offset:2048
	v_mul_lo_u16_e32 v18, 43, v44
	v_mov_b32_e32 v19, 6
	v_mul_lo_u16_sdwa v18, v18, v19 dst_sel:DWORD dst_unused:UNUSED_PAD src0_sel:BYTE_1 src1_sel:DWORD
	v_sub_u16_e32 v18, v44, v18
	v_and_b32_e32 v18, 0xff, v18
	v_lshl_add_u32 v18, v18, 5, v46
	ds_read_b128 v[38:41], v18
	ds_read_b128 v[18:21], v18 offset:2048
	v_and_b32_e32 v45, 63, v0
	v_cmp_gt_u32_e32 vcc, 6, v44
	v_mov_b32_e32 v50, 0
	s_and_saveexec_b64 s[10:11], vcc
	s_cbranch_execz .LBB157_15
; %bb.14:
	s_load_dwordx2 s[12:13], s[0:1], 0x40
	v_add_u32_e32 v48, s42, v44
	v_ashrrev_i32_e32 v49, 31, v48
	s_waitcnt lgkmcnt(0)
	v_lshl_add_u64 v[48:49], v[48:49], 2, s[12:13]
	global_load_dword v50, v[48:49], off
.LBB157_15:
	s_or_b64 exec, exec, s[10:11]
	s_ashr_i32 s10, s14, 31
	v_and_or_b32 v46, v0, 48, s14
	s_lshr_b32 s11, s10, 27
	v_add_u32_e32 v48, s11, v46
	v_or_b32_e32 v52, 64, v46
	v_ashrrev_i32_e32 v48, 5, v48
	v_mov_b32_e32 v51, s15
	v_cmp_gt_i32_e32 vcc, s29, v46
	v_add_u32_e32 v53, s11, v52
	s_waitcnt vmcnt(7) lgkmcnt(1)
	v_mfma_f32_16x16x16_f16 v[56:59], v[22:23], v[38:39], 0
	v_cndmask_b32_e32 v48, v51, v48, vcc
	v_ashrrev_i32_e32 v22, 5, v53
	v_cmp_gt_i32_e32 vcc, s29, v52
	v_ashrrev_i32_e32 v49, 31, v48
	v_lshl_add_u64 v[48:49], v[48:49], 2, s[8:9]
	v_cndmask_b32_e32 v22, v51, v22, vcc
	v_ashrrev_i32_e32 v23, 31, v22
	v_lshl_add_u64 v[22:23], v[22:23], 2, s[8:9]
	global_load_dword v55, v[48:49], off
	global_load_dword v72, v[22:23], off
	s_waitcnt vmcnt(3)
	v_mfma_f32_16x16x16_f16 v[68:71], v[34:35], v[38:39], 0
	v_or_b32_e32 v48, 0xc0, v46
	v_add_u32_e32 v52, s11, v48
	s_add_u32 s4, s6, s4
	v_mfma_f32_16x16x16_f16 v[60:63], v[26:27], v[38:39], 0
	s_addc_u32 s5, s7, s5
	s_load_dword s10, s[0:1], 0x1c
	s_mov_b32 s33, 0xff7fffff
	v_mfma_f32_16x16x16_f16 v[64:67], v[30:31], v[38:39], 0
	v_and_b32_e32 v31, 0xc0, v0
	v_or_b32_e32 v38, 0x80, v46
	v_add_u32_e32 v34, s14, v31
	v_mfma_f32_16x16x16_f16 v[22:25], v[24:25], v[40:41], v[56:59]
	v_and_b32_e32 v30, 16, v0
	v_add_u32_e32 v49, s11, v38
	v_lshlrev_b32_e32 v46, 1, v30
	v_lshl_or_b32 v56, v54, 2, v34
	v_mfma_f32_16x16x16_f16 v[34:37], v[36:37], v[40:41], v[68:71]
	v_cmp_gt_i32_e32 vcc, s29, v38
	v_lshlrev_b32_e32 v39, 6, v44
	v_or_b32_e32 v57, 1, v56
	v_mfma_f32_16x16x16_f16 v[26:29], v[28:29], v[40:41], v[60:63]
	v_cmp_gt_i32_e64 s[34:35], s29, v57
	v_mfma_f32_16x16x16_f16 v[30:33], v[32:33], v[40:41], v[64:67]
	v_ashrrev_i32_e32 v40, 5, v49
	v_ashrrev_i32_e32 v41, 5, v52
	v_cndmask_b32_e32 v38, v51, v40, vcc
	v_cmp_gt_i32_e32 vcc, s29, v48
	s_waitcnt lgkmcnt(0)
	v_mfma_f32_16x16x16_f16 v[22:25], v[2:3], v[18:19], v[22:25]
	v_lshl_add_u64 v[2:3], s[4:5], 0, v[46:47]
	v_cndmask_b32_e32 v40, v51, v41, vcc
	v_lshl_or_b32 v46, v1, 10, v39
	v_ashrrev_i32_e32 v39, 31, v38
	v_ashrrev_i32_e32 v41, 31, v40
	s_waitcnt vmcnt(2)
	v_mfma_f32_16x16x16_f16 v[34:37], v[14:15], v[18:19], v[34:37]
	v_lshl_add_u64 v[14:15], v[38:39], 2, s[8:9]
	v_subrev_u32_e32 v51, s29, v57
	v_cvt_f32_i32_e32 v58, v51
	v_mfma_f32_16x16x16_f16 v[26:29], v[6:7], v[18:19], v[26:29]
	v_mfma_f32_16x16x16_f16 v[30:33], v[10:11], v[18:19], v[30:33]
	v_lshl_add_u64 v[18:19], v[40:41], 2, s[8:9]
	global_load_dword v59, v[14:15], off
	global_load_dword v60, v[18:19], off
	v_lshl_add_u64 v[10:11], v[2:3], 0, v[46:47]
	v_mfma_f32_16x16x16_f16 v[2:5], v[4:5], v[20:21], v[22:25]
	v_add_u32_e32 v46, 1, v51
	v_add_u32_e32 v47, 3, v51
	;; [unrolled: 1-line block ×3, first 2 shown]
	v_mfma_f32_16x16x16_f16 v[14:17], v[16:17], v[20:21], v[34:37]
	v_add_u32_e32 v22, 2, v51
	s_nop 1
	v_pk_mul_f32 v[52:53], s[10:11], v[4:5] op_sel_hi:[0,1]
	v_cvt_f32_i32_e32 v18, v18
	v_mfma_f32_16x16x16_f16 v[6:9], v[8:9], v[20:21], v[26:29]
	v_add_u32_e32 v19, 19, v51
	v_pk_mul_f32 v[34:35], s[10:11], v[16:17] op_sel_hi:[0,1]
	v_pk_mul_f32 v[36:37], s[10:11], v[14:15] op_sel_hi:[0,1]
	v_cvt_f32_i32_e32 v27, v22
	v_mfma_f32_16x16x16_f16 v[22:25], v[12:13], v[20:21], v[30:33]
	v_pk_mul_f32 v[12:13], s[10:11], v[2:3] op_sel_hi:[0,1]
	v_cvt_f32_i32_e32 v26, v46
	v_cvt_f32_i32_e32 v28, v47
	v_pk_mul_f32 v[46:47], s[10:11], v[8:9] op_sel_hi:[0,1]
	v_pk_mul_f32 v[48:49], s[10:11], v[6:7] op_sel_hi:[0,1]
	v_cvt_f32_i32_e32 v19, v19
	v_fma_f32 v46, v50, v18, v46
	v_add_u32_e32 v18, 34, v51
	v_cvt_f32_i32_e32 v18, v18
	v_fmac_f32_e32 v47, v50, v19
	v_add_u32_e32 v19, 35, v51
	v_cvt_f32_i32_e32 v19, v19
	v_pk_mul_f32 v[40:41], s[10:11], v[22:23] op_sel_hi:[0,1]
	v_pk_mul_f32 v[38:39], s[10:11], v[24:25] op_sel_hi:[0,1]
	v_fma_f32 v38, v50, v18, v38
	v_add_u32_e32 v18, 50, v51
	s_waitcnt vmcnt(3)
	v_mad_i64_i32 v[2:3], s[4:5], v55, s45, 0
	s_waitcnt vmcnt(2)
	v_mad_i64_i32 v[4:5], s[4:5], v72, s45, 0
	v_lshl_add_u64 v[16:17], v[2:3], 1, v[10:11]
	v_lshl_add_u64 v[14:15], v[4:5], 1, v[10:11]
	global_load_dwordx4 v[6:9], v[16:17], off
	global_load_dwordx4 v[2:5], v[16:17], off offset:16
	v_add_u32_e32 v16, 16, v51
	v_cvt_f32_i32_e32 v16, v16
	v_add_u32_e32 v17, 17, v51
	v_cvt_f32_i32_e32 v17, v17
	v_fmac_f32_e32 v39, v50, v19
	v_fma_f32 v48, v50, v16, v48
	v_add_u32_e32 v16, 32, v51
	v_fmac_f32_e32 v49, v50, v17
	v_cvt_f32_i32_e32 v16, v16
	v_add_u32_e32 v17, 33, v51
	v_cvt_f32_i32_e32 v17, v17
	v_cvt_f32_i32_e32 v18, v18
	v_fma_f32 v40, v50, v16, v40
	v_add_u32_e32 v16, 48, v51
	v_fmac_f32_e32 v41, v50, v17
	v_cvt_f32_i32_e32 v16, v16
	v_add_u32_e32 v17, 49, v51
	v_cvt_f32_i32_e32 v17, v17
	v_add_u32_e32 v19, 51, v51
	v_cvt_f32_i32_e32 v19, v19
	v_fma_f32 v12, v50, v58, v12
	v_fmac_f32_e32 v13, v50, v26
	v_fma_f32 v36, v50, v16, v36
	v_mov_b32_e32 v16, 0xff7fffff
	v_cmp_gt_i32_e64 s[4:5], s29, v56
	v_fmac_f32_e32 v37, v50, v17
	v_fma_f32 v34, v50, v18, v34
	v_cndmask_b32_e64 v17, v16, v12, s[4:5]
	v_cndmask_b32_e64 v18, v16, v13, s[34:35]
	v_fmac_f32_e32 v35, v50, v19
	v_max3_f32 v17, v17, s33, v18
	v_or_b32_e32 v18, 2, v56
	v_or_b32_e32 v19, 3, v56
	v_fma_f32 v52, v50, v27, v52
	v_fmac_f32_e32 v53, v50, v28
	v_cmp_gt_i32_e64 s[36:37], s29, v18
	v_cmp_gt_i32_e64 s[38:39], s29, v19
	global_load_dwordx4 v[30:33], v[14:15], off
	global_load_dwordx4 v[26:29], v[14:15], off offset:16
	v_cndmask_b32_e64 v18, v16, v52, s[36:37]
	v_cndmask_b32_e64 v19, v16, v53, s[38:39]
	v_max3_f32 v17, v17, v18, v19
	v_or_b32_e32 v18, 16, v56
	v_or_b32_e32 v19, 17, v56
	v_cmp_gt_i32_e64 s[24:25], s29, v18
	v_cmp_gt_i32_e64 s[26:27], s29, v19
	s_nop 0
	v_cndmask_b32_e64 v18, v16, v48, s[24:25]
	v_cndmask_b32_e64 v19, v16, v49, s[26:27]
	v_max3_f32 v17, v17, v18, v19
	v_or_b32_e32 v18, 18, v56
	v_or_b32_e32 v19, 19, v56
	v_cmp_gt_i32_e64 s[20:21], s29, v18
	v_cmp_gt_i32_e64 s[22:23], s29, v19
	s_nop 0
	;; [unrolled: 8-line block ×5, first 2 shown]
	v_cndmask_b32_e64 v18, v16, v36, s[8:9]
	v_cndmask_b32_e64 v19, v16, v37, s[10:11]
	v_max3_f32 v17, v17, v18, v19
	v_or_b32_e32 v18, 50, v56
	v_or_b32_e32 v19, 51, v56
	v_cmp_gt_i32_e32 vcc, s29, v18
	v_cmp_gt_i32_e64 s[6:7], s29, v19
	s_nop 0
	v_cndmask_b32_e32 v18, v16, v34, vcc
	v_cndmask_b32_e64 v16, v16, v35, s[6:7]
	v_max3_f32 v16, v17, v18, v16
	v_mbcnt_lo_u32_b32 v17, -1, 0
	v_mbcnt_hi_u32_b32 v17, -1, v17
	v_and_b32_e32 v18, 64, v17
	v_add_u32_e32 v18, 64, v18
	v_xor_b32_e32 v19, 32, v17
	v_cmp_lt_i32_e64 s[40:41], v19, v18
	s_nop 1
	v_cndmask_b32_e64 v19, v17, v19, s[40:41]
	v_lshlrev_b32_e32 v56, 2, v19
	ds_bpermute_b32 v19, v56, v16
	s_waitcnt vmcnt(5)
	v_mad_i64_i32 v[14:15], s[40:41], v59, s45, 0
	v_lshl_add_u64 v[14:15], v[14:15], 1, v[10:11]
	s_waitcnt lgkmcnt(0)
	v_max_f32_e32 v19, v19, v19
	v_max_f32_e32 v16, v16, v19
	v_xor_b32_e32 v19, 16, v17
	v_cmp_lt_i32_e64 s[40:41], v19, v18
	s_nop 1
	v_cndmask_b32_e64 v17, v17, v19, s[40:41]
	v_lshlrev_b32_e32 v57, 2, v17
	ds_bpermute_b32 v17, v57, v16
	global_load_dwordx4 v[22:25], v[14:15], off
	global_load_dwordx4 v[18:21], v[14:15], off offset:16
	s_waitcnt vmcnt(6)
	v_mad_i64_i32 v[14:15], s[40:41], v60, s45, 0
	v_lshl_add_u64 v[10:11], v[14:15], 1, v[10:11]
	s_waitcnt lgkmcnt(0)
	v_max_f32_e32 v14, v17, v17
	v_max_f32_e32 v55, v16, v14
	v_sub_f32_e32 v12, v12, v55
	v_mul_f32_e32 v12, 0x3fb8aa3b, v12
	v_exp_f32_e32 v50, v12
	v_sub_f32_e32 v12, v13, v55
	v_mul_f32_e32 v12, 0x3fb8aa3b, v12
	v_exp_f32_e32 v51, v12
	global_load_dwordx4 v[14:17], v[10:11], off
	s_nop 0
	global_load_dwordx4 v[10:13], v[10:11], off offset:16
	v_sub_f32_e32 v52, v52, v55
	v_mul_f32_e32 v52, 0x3fb8aa3b, v52
	v_sub_f32_e32 v53, v53, v55
	v_exp_f32_e32 v52, v52
	v_mul_f32_e32 v53, 0x3fb8aa3b, v53
	v_sub_f32_e32 v48, v48, v55
	v_exp_f32_e32 v53, v53
	v_mul_f32_e32 v48, 0x3fb8aa3b, v48
	v_sub_f32_e32 v49, v49, v55
	v_cndmask_b32_e64 v50, 0, v50, s[4:5]
	v_exp_f32_e32 v48, v48
	v_mul_f32_e32 v49, 0x3fb8aa3b, v49
	v_sub_f32_e32 v46, v46, v55
	v_add_f32_e32 v58, 0, v50
	v_cndmask_b32_e64 v51, 0, v51, s[34:35]
	v_exp_f32_e32 v49, v49
	v_mul_f32_e32 v46, 0x3fb8aa3b, v46
	v_sub_f32_e32 v47, v47, v55
	v_add_f32_e32 v58, v58, v51
	;; [unrolled: 5-line block ×10, first 2 shown]
	v_cndmask_b32_e64 v38, 0, v38, s[12:13]
	v_exp_f32_e32 v34, v34
	v_mul_f32_e32 v35, 0x3fb8aa3b, v35
	v_add_f32_e32 v58, v58, v38
	v_cndmask_b32_e64 v39, 0, v39, s[14:15]
	v_exp_f32_e32 v35, v35
	v_add_f32_e32 v58, v58, v39
	v_cndmask_b32_e64 v36, 0, v36, s[8:9]
	v_add_f32_e32 v58, v58, v36
	v_cndmask_b32_e64 v37, 0, v37, s[10:11]
	v_add_f32_e32 v58, v58, v37
	v_cndmask_b32_e32 v34, 0, v34, vcc
	v_add_f32_e32 v58, v58, v34
	v_cndmask_b32_e64 v35, 0, v35, s[6:7]
	v_add_f32_e32 v58, v58, v35
	ds_bpermute_b32 v56, v56, v58
	s_load_dword s7, s[0:1], 0x98
	v_cmp_gt_u32_e32 vcc, 16, v45
	v_lshlrev_b32_e32 v45, 2, v44
	s_waitcnt lgkmcnt(0)
	v_add_f32_e32 v56, v58, v56
	ds_bpermute_b32 v57, v57, v56
	s_barrier
	s_waitcnt lgkmcnt(0)
	s_and_saveexec_b64 s[4:5], vcc
	s_cbranch_execz .LBB157_17
; %bb.16:
	v_add_f32_e32 v56, v56, v57
	v_lshl_or_b32 v57, v1, 6, v45
	ds_write2st64_b32 v57, v55, v56 offset1:1
.LBB157_17:
	s_or_b64 exec, exec, s[4:5]
	s_load_dword s6, s[0:1], 0x94
	s_waitcnt lgkmcnt(0)
	s_barrier
	ds_read2_b32 v[56:57], v45 offset1:16
	ds_read2_b32 v[58:59], v45 offset0:32 offset1:48
	ds_read2_b32 v[60:61], v45 offset0:64 offset1:80
	;; [unrolled: 1-line block ×3, first 2 shown]
	s_waitcnt lgkmcnt(0)
	v_max3_f32 v55, v56, s33, v57
	v_max3_f32 v55, v55, v58, v59
	v_sub_f32_e32 v56, v56, v55
	v_mul_f32_e32 v56, 0x3fb8aa3b, v56
	v_exp_f32_e32 v64, v56
	v_sub_f32_e32 v56, v57, v55
	v_mul_f32_e32 v56, 0x3fb8aa3b, v56
	v_exp_f32_e32 v57, v56
	v_sub_f32_e32 v56, v58, v55
	v_mul_f32_e32 v56, 0x3fb8aa3b, v56
	v_sub_f32_e32 v45, v59, v55
	v_exp_f32_e32 v58, v56
	v_mul_f32_e32 v45, 0x3fb8aa3b, v45
	v_exp_f32_e32 v45, v45
	v_fma_f32 v56, v64, v60, 0
	v_fmac_f32_e32 v56, v57, v61
	v_fmac_f32_e32 v56, v58, v62
	v_fmac_f32_e32 v56, v45, v63
	v_add_f32_e32 v59, 0x358637bd, v56
	v_div_scale_f32 v60, s[4:5], v59, v59, 1.0
	v_rcp_f32_e32 v61, v60
	s_barrier
	s_mul_i32 s7, s7, 6
	v_fma_f32 v62, -v60, v61, 1.0
	v_fmac_f32_e32 v61, v62, v61
	v_div_scale_f32 v62, vcc, 1.0, v59, 1.0
	v_mul_f32_e32 v63, v62, v61
	v_fma_f32 v65, -v60, v63, v62
	v_fmac_f32_e32 v63, v65, v61
	v_fma_f32 v60, -v60, v63, v62
	v_div_fmas_f32 v60, v60, v61, v63
	v_cmp_eq_u32_e32 vcc, 1, v1
	v_div_fixup_f32 v59, v60, v59, 1.0
	s_nop 0
	v_cndmask_b32_e32 v57, v64, v57, vcc
	v_cmp_eq_u32_e32 vcc, 2, v1
	s_nop 1
	v_cndmask_b32_e32 v57, v57, v58, vcc
	v_cmp_eq_u32_e32 vcc, 3, v1
	v_lshlrev_b32_e32 v1, 11, v1
	s_nop 0
	v_cndmask_b32_e32 v45, v57, v45, vcc
	v_mul_f32_e32 v58, v45, v59
	v_pk_mul_f32 v[52:53], v[58:59], v[52:53] op_sel_hi:[0,1]
	v_pk_mul_f32 v[50:51], v[58:59], v[50:51] op_sel_hi:[0,1]
	v_cvt_f16_f32_e32 v45, v50
	v_cvt_f16_f32_e32 v50, v51
	;; [unrolled: 1-line block ×4, first 2 shown]
	v_pk_mul_f32 v[46:47], v[58:59], v[46:47] op_sel_hi:[0,1]
	v_pk_mul_f32 v[48:49], v[58:59], v[48:49] op_sel_hi:[0,1]
	v_cvt_f16_f32_e32 v48, v48
	v_pack_b32_f16 v53, v51, v53
	v_cvt_f16_f32_e32 v49, v49
	v_cvt_f16_f32_e32 v51, v46
	;; [unrolled: 1-line block ×3, first 2 shown]
	v_pack_b32_f16 v52, v45, v50
	v_lshlrev_b32_e32 v45, 3, v54
	v_lshlrev_b32_e32 v50, 5, v44
	v_or3_b32 v1, v1, v50, v45
	v_pack_b32_f16 v46, v48, v49
	v_pack_b32_f16 v47, v51, v47
	v_pk_mul_f32 v[38:39], v[58:59], v[38:39] op_sel_hi:[0,1]
	v_pk_mul_f32 v[40:41], v[58:59], v[40:41] op_sel_hi:[0,1]
	;; [unrolled: 1-line block ×4, first 2 shown]
	ds_write2st64_b64 v1, v[52:53], v[46:47] offset1:1
	v_cvt_f16_f32_e32 v40, v40
	v_cvt_f16_f32_e32 v41, v41
	;; [unrolled: 1-line block ×8, first 2 shown]
	v_pack_b32_f16 v34, v40, v41
	v_pack_b32_f16 v35, v38, v39
	;; [unrolled: 1-line block ×4, first 2 shown]
	v_cmp_gt_u32_e32 vcc, 6, v0
	ds_write2st64_b64 v1, v[34:35], v[36:37] offset0:2 offset1:3
	s_and_saveexec_b64 s[4:5], vcc
	s_cbranch_execz .LBB157_19
; %bb.18:
	s_mov_b32 s43, 0
	v_mov_b32_e32 v45, 0
	v_lshl_add_u64 v[34:35], s[42:43], 0, v[44:45]
	v_mov_b32_e32 v36, s7
	v_mad_u64_u32 v[34:35], s[12:13], s2, v36, v[34:35]
	s_mul_i32 s3, s3, s7
	v_mov_b32_e32 v44, s28
	s_load_dwordx4 s[8:11], s[0:1], 0x58
	v_add_u32_e32 v37, s3, v35
	v_mad_u64_u32 v[34:35], s[12:13], v34, s6, v[44:45]
	v_mov_b32_e32 v36, v35
	v_mad_u64_u32 v[36:37], s[12:13], v37, s6, v[36:37]
	v_mov_b32_e32 v35, v36
	v_lshlrev_b64 v[34:35], 2, v[34:35]
	s_waitcnt lgkmcnt(0)
	v_lshl_add_u64 v[36:37], s[10:11], 0, v[34:35]
	v_lshl_add_u64 v[34:35], s[8:9], 0, v[34:35]
	global_store_dword v[36:37], v55, off
	global_store_dword v[34:35], v56, off
.LBB157_19:
	s_or_b64 exec, exec, s[4:5]
	v_lshl_or_b32 v48, v54, 9, v50
	s_waitcnt lgkmcnt(0)
	s_barrier
	ds_read_b128 v[34:37], v48
	ds_read_b128 v[38:41], v48 offset:16
	s_waitcnt vmcnt(7) lgkmcnt(1)
	v_mfma_f32_16x16x16_f16 v[44:47], v[6:7], v[34:35], 0
	v_cmp_gt_u32_e32 vcc, 64, v0
	s_mov_b32 s3, 0
	s_and_b64 s[4:5], vcc, s[30:31]
	v_mfma_f32_16x16x16_f16 v[6:9], v[8:9], v[36:37], v[44:47]
	s_waitcnt vmcnt(6) lgkmcnt(0)
	v_mfma_f32_16x16x16_f16 v[6:9], v[2:3], v[38:39], v[6:9]
	v_mfma_f32_16x16x16_f16 v[2:5], v[4:5], v[40:41], v[6:9]
	s_nop 5
	ds_read_b128 v[6:9], v48 offset:2048
	ds_read_b128 v[34:37], v48 offset:2064
	s_waitcnt vmcnt(5) lgkmcnt(1)
	v_mfma_f32_16x16x16_f16 v[2:5], v[30:31], v[6:7], v[2:5]
	v_mfma_f32_16x16x16_f16 v[2:5], v[32:33], v[8:9], v[2:5]
	s_waitcnt vmcnt(4) lgkmcnt(0)
	v_mfma_f32_16x16x16_f16 v[2:5], v[26:27], v[34:35], v[2:5]
	v_mfma_f32_16x16x16_f16 v[2:5], v[28:29], v[36:37], v[2:5]
	ds_read_b128 v[6:9], v48 offset:4096
	ds_read_b128 v[26:29], v48 offset:4112
	s_waitcnt vmcnt(3) lgkmcnt(1)
	v_mfma_f32_16x16x16_f16 v[2:5], v[22:23], v[6:7], v[2:5]
	v_mfma_f32_16x16x16_f16 v[2:5], v[24:25], v[8:9], v[2:5]
	s_waitcnt vmcnt(2) lgkmcnt(0)
	v_mfma_f32_16x16x16_f16 v[2:5], v[18:19], v[26:27], v[2:5]
	v_mfma_f32_16x16x16_f16 v[2:5], v[20:21], v[28:29], v[2:5]
	ds_read_b128 v[6:9], v48 offset:6144
	ds_read_b128 v[18:21], v48 offset:6160
	s_waitcnt lgkmcnt(0)
	s_barrier
	s_waitcnt vmcnt(1)
	v_mfma_f32_16x16x16_f16 v[2:5], v[14:15], v[6:7], v[2:5]
	v_mfma_f32_16x16x16_f16 v[2:5], v[16:17], v[8:9], v[2:5]
	s_waitcnt vmcnt(0)
	v_mfma_f32_16x16x16_f16 v[2:5], v[10:11], v[18:19], v[2:5]
	v_mfma_f32_16x16x16_f16 v[2:5], v[12:13], v[20:21], v[2:5]
	s_nop 6
	v_cvt_f16_f32_e32 v2, v2
	v_cvt_f16_f32_e32 v3, v3
	v_cvt_f16_f32_e32 v4, v4
	v_cvt_f16_f32_e32 v5, v5
	v_pack_b32_f16 v2, v2, v3
	v_pack_b32_f16 v3, v4, v5
	ds_write_b64 v1, v[2:3]
	s_waitcnt lgkmcnt(0)
	s_barrier
	s_and_saveexec_b64 s[8:9], s[4:5]
	s_cbranch_execz .LBB157_22
; %bb.20:
	s_load_dwordx2 s[4:5], s[0:1], 0x68
	s_lshl_b32 s0, s6, 6
	s_mul_i32 s1, s7, s2
	s_mul_hi_u32 s7, s1, s0
	s_mul_i32 s6, s1, s0
	v_lshlrev_b32_e32 v1, 10, v0
	v_lshlrev_b32_e32 v0, 4, v0
	s_lshl_b64 s[6:7], s[6:7], 1
	v_and_b32_e32 v1, 0x1800, v1
	v_lshlrev_b32_e32 v3, 5, v54
	v_and_b32_e32 v0, 16, v0
	s_waitcnt lgkmcnt(0)
	s_add_u32 s1, s4, s6
	v_or3_b32 v3, v1, v3, v0
	s_addc_u32 s4, s5, s7
	s_lshl_b32 s2, s28, 6
	s_lshl_b64 s[2:3], s[2:3], 1
	ds_read_b128 v[4:7], v3
	s_add_u32 s2, s1, s2
	s_addc_u32 s3, s4, s3
	v_add_u32_e32 v8, s42, v54
	v_or_b32_e32 v2, 4, v54
	v_lshl_add_u64 v[0:1], v[42:43], 1, s[2:3]
	v_mad_u64_u32 v[8:9], s[2:3], v8, s0, 0
	v_lshl_add_u64 v[8:9], v[8:9], 1, v[0:1]
	v_cmp_gt_u32_e32 vcc, 6, v2
	s_waitcnt lgkmcnt(0)
	global_store_dwordx4 v[8:9], v[4:7], off
	s_and_b64 exec, exec, vcc
	s_cbranch_execz .LBB157_22
; %bb.21:
	ds_read_b128 v[4:7], v3 offset:128
	v_add_u32_e32 v2, s42, v2
	v_mad_u64_u32 v[2:3], s[0:1], v2, s0, 0
	v_lshl_add_u64 v[0:1], v[2:3], 1, v[0:1]
	s_waitcnt lgkmcnt(0)
	global_store_dwordx4 v[0:1], v[4:7], off
.LBB157_22:
	s_endpgm
	.section	.rodata,"a",@progbits
	.p2align	6, 0x0
	.amdhsa_kernel _Z39paged_attention_ll4mi_QKV_mfma16_kernelIDF16_DF16_LN4vllm18Fp8KVCacheDataTypeE0EDF16_Li32ELi64ELi256ELb1ELi6EEvPKT_PKT0_S7_ifPKiS9_S9_iPKfiiiPfSC_PS2_PT2_iSB_SB_
		.amdhsa_group_segment_fixed_size 8192
		.amdhsa_private_segment_fixed_size 0
		.amdhsa_kernarg_size 400
		.amdhsa_user_sgpr_count 2
		.amdhsa_user_sgpr_dispatch_ptr 0
		.amdhsa_user_sgpr_queue_ptr 0
		.amdhsa_user_sgpr_kernarg_segment_ptr 1
		.amdhsa_user_sgpr_dispatch_id 0
		.amdhsa_user_sgpr_kernarg_preload_length 0
		.amdhsa_user_sgpr_kernarg_preload_offset 0
		.amdhsa_user_sgpr_private_segment_size 0
		.amdhsa_uses_dynamic_stack 0
		.amdhsa_enable_private_segment 0
		.amdhsa_system_sgpr_workgroup_id_x 1
		.amdhsa_system_sgpr_workgroup_id_y 1
		.amdhsa_system_sgpr_workgroup_id_z 1
		.amdhsa_system_sgpr_workgroup_info 0
		.amdhsa_system_vgpr_workitem_id 0
		.amdhsa_next_free_vgpr 73
		.amdhsa_next_free_sgpr 48
		.amdhsa_accum_offset 76
		.amdhsa_reserve_vcc 1
		.amdhsa_float_round_mode_32 0
		.amdhsa_float_round_mode_16_64 0
		.amdhsa_float_denorm_mode_32 3
		.amdhsa_float_denorm_mode_16_64 3
		.amdhsa_dx10_clamp 1
		.amdhsa_ieee_mode 1
		.amdhsa_fp16_overflow 0
		.amdhsa_tg_split 0
		.amdhsa_exception_fp_ieee_invalid_op 0
		.amdhsa_exception_fp_denorm_src 0
		.amdhsa_exception_fp_ieee_div_zero 0
		.amdhsa_exception_fp_ieee_overflow 0
		.amdhsa_exception_fp_ieee_underflow 0
		.amdhsa_exception_fp_ieee_inexact 0
		.amdhsa_exception_int_div_zero 0
	.end_amdhsa_kernel
	.section	.text._Z39paged_attention_ll4mi_QKV_mfma16_kernelIDF16_DF16_LN4vllm18Fp8KVCacheDataTypeE0EDF16_Li32ELi64ELi256ELb1ELi6EEvPKT_PKT0_S7_ifPKiS9_S9_iPKfiiiPfSC_PS2_PT2_iSB_SB_,"axG",@progbits,_Z39paged_attention_ll4mi_QKV_mfma16_kernelIDF16_DF16_LN4vllm18Fp8KVCacheDataTypeE0EDF16_Li32ELi64ELi256ELb1ELi6EEvPKT_PKT0_S7_ifPKiS9_S9_iPKfiiiPfSC_PS2_PT2_iSB_SB_,comdat
.Lfunc_end157:
	.size	_Z39paged_attention_ll4mi_QKV_mfma16_kernelIDF16_DF16_LN4vllm18Fp8KVCacheDataTypeE0EDF16_Li32ELi64ELi256ELb1ELi6EEvPKT_PKT0_S7_ifPKiS9_S9_iPKfiiiPfSC_PS2_PT2_iSB_SB_, .Lfunc_end157-_Z39paged_attention_ll4mi_QKV_mfma16_kernelIDF16_DF16_LN4vllm18Fp8KVCacheDataTypeE0EDF16_Li32ELi64ELi256ELb1ELi6EEvPKT_PKT0_S7_ifPKiS9_S9_iPKfiiiPfSC_PS2_PT2_iSB_SB_
                                        ; -- End function
	.section	.AMDGPU.csdata,"",@progbits
; Kernel info:
; codeLenInByte = 4156
; NumSgprs: 54
; NumVgprs: 73
; NumAgprs: 0
; TotalNumVgprs: 73
; ScratchSize: 0
; MemoryBound: 0
; FloatMode: 240
; IeeeMode: 1
; LDSByteSize: 8192 bytes/workgroup (compile time only)
; SGPRBlocks: 6
; VGPRBlocks: 9
; NumSGPRsForWavesPerEU: 54
; NumVGPRsForWavesPerEU: 73
; AccumOffset: 76
; Occupancy: 6
; WaveLimiterHint : 1
; COMPUTE_PGM_RSRC2:SCRATCH_EN: 0
; COMPUTE_PGM_RSRC2:USER_SGPR: 2
; COMPUTE_PGM_RSRC2:TRAP_HANDLER: 0
; COMPUTE_PGM_RSRC2:TGID_X_EN: 1
; COMPUTE_PGM_RSRC2:TGID_Y_EN: 1
; COMPUTE_PGM_RSRC2:TGID_Z_EN: 1
; COMPUTE_PGM_RSRC2:TIDIG_COMP_CNT: 0
; COMPUTE_PGM_RSRC3_GFX90A:ACCUM_OFFSET: 18
; COMPUTE_PGM_RSRC3_GFX90A:TG_SPLIT: 0
	.section	.text._Z39paged_attention_ll4mi_QKV_mfma16_kernelIDF16_DF16_LN4vllm18Fp8KVCacheDataTypeE0EDF16_Li32ELi64ELi256ELb1ELi7EEvPKT_PKT0_S7_ifPKiS9_S9_iPKfiiiPfSC_PS2_PT2_iSB_SB_,"axG",@progbits,_Z39paged_attention_ll4mi_QKV_mfma16_kernelIDF16_DF16_LN4vllm18Fp8KVCacheDataTypeE0EDF16_Li32ELi64ELi256ELb1ELi7EEvPKT_PKT0_S7_ifPKiS9_S9_iPKfiiiPfSC_PS2_PT2_iSB_SB_,comdat
	.protected	_Z39paged_attention_ll4mi_QKV_mfma16_kernelIDF16_DF16_LN4vllm18Fp8KVCacheDataTypeE0EDF16_Li32ELi64ELi256ELb1ELi7EEvPKT_PKT0_S7_ifPKiS9_S9_iPKfiiiPfSC_PS2_PT2_iSB_SB_ ; -- Begin function _Z39paged_attention_ll4mi_QKV_mfma16_kernelIDF16_DF16_LN4vllm18Fp8KVCacheDataTypeE0EDF16_Li32ELi64ELi256ELb1ELi7EEvPKT_PKT0_S7_ifPKiS9_S9_iPKfiiiPfSC_PS2_PT2_iSB_SB_
	.globl	_Z39paged_attention_ll4mi_QKV_mfma16_kernelIDF16_DF16_LN4vllm18Fp8KVCacheDataTypeE0EDF16_Li32ELi64ELi256ELb1ELi7EEvPKT_PKT0_S7_ifPKiS9_S9_iPKfiiiPfSC_PS2_PT2_iSB_SB_
	.p2align	8
	.type	_Z39paged_attention_ll4mi_QKV_mfma16_kernelIDF16_DF16_LN4vllm18Fp8KVCacheDataTypeE0EDF16_Li32ELi64ELi256ELb1ELi7EEvPKT_PKT0_S7_ifPKiS9_S9_iPKfiiiPfSC_PS2_PT2_iSB_SB_,@function
_Z39paged_attention_ll4mi_QKV_mfma16_kernelIDF16_DF16_LN4vllm18Fp8KVCacheDataTypeE0EDF16_Li32ELi64ELi256ELb1ELi7EEvPKT_PKT0_S7_ifPKiS9_S9_iPKfiiiPfSC_PS2_PT2_iSB_SB_: ; @_Z39paged_attention_ll4mi_QKV_mfma16_kernelIDF16_DF16_LN4vllm18Fp8KVCacheDataTypeE0EDF16_Li32ELi64ELi256ELb1ELi7EEvPKT_PKT0_S7_ifPKiS9_S9_iPKfiiiPfSC_PS2_PT2_iSB_SB_
; %bb.0:
	s_load_dwordx2 s[6:7], s[0:1], 0x30
	s_mov_b32 s28, s3
	s_mov_b64 s[8:9], 0
	s_waitcnt lgkmcnt(0)
	s_cmp_lg_u64 s[6:7], 0
	s_cselect_b64 s[10:11], -1, 0
	s_and_b64 vcc, exec, s[10:11]
	s_cbranch_vccz .LBB158_7
; %bb.1:
	s_add_i32 s12, s2, 1
	s_mov_b32 s13, 0
	s_lshl_b64 s[14:15], s[12:13], 2
	s_add_u32 s14, s6, s14
	s_mov_b32 s3, s13
	s_addc_u32 s15, s7, s15
	s_lshl_b64 s[12:13], s[2:3], 2
	s_add_u32 s12, s6, s12
	s_addc_u32 s13, s7, s13
	s_load_dword s5, s[14:15], 0x0
	s_load_dword s16, s[12:13], 0x0
	s_waitcnt lgkmcnt(0)
	s_sub_i32 s5, s5, s16
	s_cmp_eq_u32 s5, 1
	s_cselect_b64 s[12:13], -1, 0
	s_andn2_b64 vcc, exec, s[8:9]
	s_cbranch_vccnz .LBB158_3
.LBB158_2:
	s_mov_b32 s3, 0
	s_mov_b64 s[12:13], -1
.LBB158_3:
	s_andn2_b64 vcc, exec, s[12:13]
	s_cbranch_vccnz .LBB158_22
; %bb.4:
	s_load_dwordx2 s[8:9], s[0:1], 0x28
	s_lshl_b64 s[12:13], s[2:3], 2
	s_waitcnt lgkmcnt(0)
	s_add_u32 s8, s8, s12
	s_addc_u32 s9, s9, s13
	s_load_dword s29, s[8:9], 0x0
	s_lshl_b32 s14, s28, 8
	s_waitcnt lgkmcnt(0)
	s_cmp_ge_i32 s14, s29
	s_cbranch_scc1 .LBB158_22
; %bb.5:
	s_load_dwordx2 s[8:9], s[0:1], 0x20
	s_load_dword s5, s[0:1], 0x38
	s_add_i32 s15, s29, 31
	s_ashr_i32 s16, s15, 31
	v_and_b32_e32 v1, 0xcf, v0
	s_lshr_b32 s16, s16, 27
	v_add_u32_e32 v1, s14, v1
	s_add_i32 s15, s15, s16
	v_ashrrev_i32_e32 v2, 31, v1
	s_ashr_i32 s15, s15, 5
	v_lshrrev_b32_e32 v6, 27, v2
	s_add_i32 s15, s15, -1
	s_waitcnt lgkmcnt(0)
	s_mul_i32 s16, s2, s5
	s_mov_b32 s17, 0
	v_add_u32_e32 v2, v1, v6
	s_lshl_b64 s[16:17], s[16:17], 2
	v_ashrrev_i32_e32 v2, 5, v2
	v_mov_b32_e32 v7, s15
	v_cmp_gt_i32_e32 vcc, s29, v1
	s_add_u32 s8, s8, s16
	s_addc_u32 s9, s9, s17
	v_cndmask_b32_e32 v2, v7, v2, vcc
	v_ashrrev_i32_e32 v3, 31, v2
	v_lshl_add_u64 v[4:5], v[2:3], 2, s[8:9]
	v_or_b32_e32 v2, 16, v1
	v_add_u32_e32 v3, v2, v6
	v_ashrrev_i32_e32 v3, 5, v3
	v_cmp_gt_i32_e32 vcc, s29, v2
	s_nop 1
	v_cndmask_b32_e32 v2, v7, v3, vcc
	v_ashrrev_i32_e32 v3, 31, v2
	v_lshl_add_u64 v[8:9], v[2:3], 2, s[8:9]
	v_or_b32_e32 v2, 32, v1
	v_add_u32_e32 v3, v2, v6
	v_ashrrev_i32_e32 v3, 5, v3
	v_cmp_gt_i32_e32 vcc, s29, v2
	v_or_b32_e32 v1, 48, v1
	s_nop 0
	v_cndmask_b32_e32 v2, v7, v3, vcc
	v_ashrrev_i32_e32 v3, 31, v2
	v_lshl_add_u64 v[12:13], v[2:3], 2, s[8:9]
	v_add_u32_e32 v2, v1, v6
	v_ashrrev_i32_e32 v2, 5, v2
	v_cmp_gt_i32_e32 vcc, s29, v1
	s_nop 1
	v_cndmask_b32_e32 v2, v7, v2, vcc
	v_ashrrev_i32_e32 v3, 31, v2
	v_lshl_add_u64 v[16:17], v[2:3], 2, s[8:9]
	global_load_dword v2, v[4:5], off
	global_load_dword v6, v[8:9], off
	;; [unrolled: 1-line block ×4, first 2 shown]
	s_andn2_b64 vcc, exec, s[10:11]
	s_cbranch_vccnz .LBB158_8
; %bb.6:
	s_add_u32 s6, s6, s12
	s_addc_u32 s7, s7, s13
	s_load_dword s5, s[6:7], 0x0
	s_branch .LBB158_9
.LBB158_7:
	s_mov_b64 s[12:13], 0
	s_branch .LBB158_2
.LBB158_8:
	s_mov_b32 s5, s2
.LBB158_9:
	s_load_dwordx2 s[10:11], s[0:1], 0x8
	s_load_dwordx4 s[44:47], s[0:1], 0x48
	v_lshrrev_b32_e32 v1, 6, v0
	v_bfe_u32 v54, v0, 4, 2
	v_lshl_or_b32 v3, v1, 2, v54
	v_and_b32_e32 v44, 15, v0
	v_cmp_lt_u32_e32 vcc, 6, v3
	v_cmp_lt_u32_e64 s[6:7], 7, v44
	v_lshlrev_b32_e32 v42, 3, v44
	v_cmp_gt_u32_e64 s[30:31], 8, v44
	s_or_b64 s[6:7], s[6:7], vcc
	s_and_saveexec_b64 s[12:13], s[6:7]
	s_xor_b64 s[6:7], exec, s[12:13]
; %bb.10:
	v_mov_b32_e32 v43, 0
                                        ; implicit-def: $vgpr3
; %bb.11:
	s_or_saveexec_b64 s[12:13], s[6:7]
	s_load_dwordx2 s[6:7], s[0:1], 0x10
	s_mul_i32 s42, s4, 7
	s_xor_b64 exec, exec, s[12:13]
	s_cbranch_execz .LBB158_13
; %bb.12:
	s_load_dwordx2 s[16:17], s[0:1], 0x0
	s_waitcnt lgkmcnt(0)
	s_ashr_i32 s18, s44, 31
	s_mul_hi_u32 s19, s5, s44
	s_mul_i32 s18, s5, s18
	s_add_i32 s19, s19, s18
	s_mul_i32 s18, s5, s44
	s_lshl_b64 s[18:19], s[18:19], 1
	s_add_u32 s16, s16, s18
	v_add_lshl_u32 v4, v3, s42, 6
	s_addc_u32 s17, s17, s19
	v_ashrrev_i32_e32 v5, 31, v4
	v_mov_b32_e32 v43, 0
	v_lshl_add_u64 v[4:5], v[4:5], 1, s[16:17]
	v_lshlrev_b32_e32 v8, 1, v42
	v_mov_b32_e32 v9, v43
	v_lshl_add_u64 v[4:5], v[4:5], 0, v[8:9]
	global_load_dwordx4 v[16:19], v[4:5], off
	v_and_b32_e32 v4, 3, v0
	v_lshlrev_b32_e32 v5, 9, v44
	v_lshlrev_b32_e32 v3, 5, v3
	;; [unrolled: 1-line block ×3, first 2 shown]
	v_and_b32_e32 v5, 0x1800, v5
	v_or3_b32 v3, v5, v4, v3
	s_waitcnt vmcnt(0)
	ds_write_b128 v3, v[16:19]
.LBB158_13:
	s_or_b64 exec, exec, s[12:13]
	s_waitcnt lgkmcnt(0)
	s_mul_i32 s4, s4, s46
	s_mov_b32 s5, 0
	s_lshl_b64 s[4:5], s[4:5], 1
	s_add_u32 s10, s10, s4
	s_addc_u32 s11, s11, s5
	s_waitcnt vmcnt(3)
	v_mad_i64_i32 v[2:3], s[12:13], v2, s45, 0
	v_lshl_add_u64 v[2:3], v[2:3], 1, s[10:11]
	v_lshlrev_b64 v[12:13], 1, v[42:43]
	v_lshlrev_b32_e32 v46, 9, v54
	v_lshl_add_u64 v[2:3], v[2:3], 0, v[12:13]
	v_mov_b32_e32 v47, 0
	v_lshl_add_u64 v[8:9], v[2:3], 0, v[46:47]
	s_barrier
	global_load_dwordx4 v[22:25], v[8:9], off
	global_load_dwordx4 v[2:5], v[8:9], off offset:2048
	s_waitcnt vmcnt(4)
	v_mad_i64_i32 v[6:7], s[12:13], v6, s45, 0
	v_mov_b32_e32 v8, 0x100
	v_lshl_add_u64 v[6:7], v[6:7], 1, s[10:11]
	v_lshl_or_b32 v16, v44, 4, v8
	v_mov_b32_e32 v17, v47
	s_waitcnt vmcnt(3)
	v_mad_i64_i32 v[10:11], s[12:13], v10, s45, 0
	v_lshl_add_u64 v[6:7], v[6:7], 0, v[16:17]
	v_lshl_add_u64 v[10:11], v[10:11], 1, s[10:11]
	s_waitcnt vmcnt(2)
	v_mad_i64_i32 v[14:15], s[12:13], v14, s45, 0
	v_lshl_add_u64 v[18:19], v[6:7], 0, v[46:47]
	v_lshl_add_u64 v[10:11], v[10:11], 0, v[12:13]
	;; [unrolled: 1-line block ×3, first 2 shown]
	global_load_dwordx4 v[26:29], v[18:19], off
	global_load_dwordx4 v[6:9], v[18:19], off offset:2048
	v_lshl_add_u64 v[18:19], v[10:11], 0, v[46:47]
	v_lshl_add_u64 v[14:15], v[14:15], 0, v[16:17]
	global_load_dwordx4 v[30:33], v[18:19], off
	global_load_dwordx4 v[10:13], v[18:19], off offset:2048
	v_lshl_add_u64 v[18:19], v[14:15], 0, v[46:47]
	global_load_dwordx4 v[34:37], v[18:19], off
	global_load_dwordx4 v[14:17], v[18:19], off offset:2048
	v_mul_lo_u16_e32 v18, 37, v44
	v_mov_b32_e32 v19, 7
	v_mul_lo_u16_sdwa v18, v18, v19 dst_sel:DWORD dst_unused:UNUSED_PAD src0_sel:BYTE_1 src1_sel:DWORD
	v_sub_u16_e32 v18, v44, v18
	v_and_b32_e32 v18, 0xff, v18
	v_lshl_add_u32 v18, v18, 5, v46
	ds_read_b128 v[38:41], v18
	ds_read_b128 v[18:21], v18 offset:2048
	v_and_b32_e32 v45, 63, v0
	v_cmp_gt_u32_e32 vcc, 7, v44
	v_mov_b32_e32 v50, 0
	s_and_saveexec_b64 s[10:11], vcc
	s_cbranch_execz .LBB158_15
; %bb.14:
	s_load_dwordx2 s[12:13], s[0:1], 0x40
	v_add_u32_e32 v48, s42, v44
	v_ashrrev_i32_e32 v49, 31, v48
	s_waitcnt lgkmcnt(0)
	v_lshl_add_u64 v[48:49], v[48:49], 2, s[12:13]
	global_load_dword v50, v[48:49], off
.LBB158_15:
	s_or_b64 exec, exec, s[10:11]
	s_ashr_i32 s10, s14, 31
	v_and_or_b32 v46, v0, 48, s14
	s_lshr_b32 s11, s10, 27
	v_add_u32_e32 v48, s11, v46
	v_or_b32_e32 v52, 64, v46
	v_ashrrev_i32_e32 v48, 5, v48
	v_mov_b32_e32 v51, s15
	v_cmp_gt_i32_e32 vcc, s29, v46
	v_add_u32_e32 v53, s11, v52
	s_waitcnt vmcnt(7) lgkmcnt(1)
	v_mfma_f32_16x16x16_f16 v[56:59], v[22:23], v[38:39], 0
	v_cndmask_b32_e32 v48, v51, v48, vcc
	v_ashrrev_i32_e32 v22, 5, v53
	v_cmp_gt_i32_e32 vcc, s29, v52
	v_ashrrev_i32_e32 v49, 31, v48
	v_lshl_add_u64 v[48:49], v[48:49], 2, s[8:9]
	v_cndmask_b32_e32 v22, v51, v22, vcc
	v_ashrrev_i32_e32 v23, 31, v22
	v_lshl_add_u64 v[22:23], v[22:23], 2, s[8:9]
	global_load_dword v55, v[48:49], off
	global_load_dword v72, v[22:23], off
	s_waitcnt vmcnt(3)
	v_mfma_f32_16x16x16_f16 v[68:71], v[34:35], v[38:39], 0
	v_or_b32_e32 v48, 0xc0, v46
	v_add_u32_e32 v52, s11, v48
	s_add_u32 s4, s6, s4
	v_mfma_f32_16x16x16_f16 v[60:63], v[26:27], v[38:39], 0
	s_addc_u32 s5, s7, s5
	s_load_dword s10, s[0:1], 0x1c
	s_mov_b32 s33, 0xff7fffff
	v_mfma_f32_16x16x16_f16 v[64:67], v[30:31], v[38:39], 0
	v_and_b32_e32 v31, 0xc0, v0
	v_or_b32_e32 v38, 0x80, v46
	v_add_u32_e32 v34, s14, v31
	v_mfma_f32_16x16x16_f16 v[22:25], v[24:25], v[40:41], v[56:59]
	v_and_b32_e32 v30, 16, v0
	v_add_u32_e32 v49, s11, v38
	v_lshlrev_b32_e32 v46, 1, v30
	v_lshl_or_b32 v56, v54, 2, v34
	v_mfma_f32_16x16x16_f16 v[34:37], v[36:37], v[40:41], v[68:71]
	v_cmp_gt_i32_e32 vcc, s29, v38
	v_lshlrev_b32_e32 v39, 6, v44
	v_or_b32_e32 v57, 1, v56
	v_mfma_f32_16x16x16_f16 v[26:29], v[28:29], v[40:41], v[60:63]
	v_cmp_gt_i32_e64 s[34:35], s29, v57
	v_mfma_f32_16x16x16_f16 v[30:33], v[32:33], v[40:41], v[64:67]
	v_ashrrev_i32_e32 v40, 5, v49
	v_ashrrev_i32_e32 v41, 5, v52
	v_cndmask_b32_e32 v38, v51, v40, vcc
	v_cmp_gt_i32_e32 vcc, s29, v48
	s_waitcnt lgkmcnt(0)
	v_mfma_f32_16x16x16_f16 v[22:25], v[2:3], v[18:19], v[22:25]
	v_lshl_add_u64 v[2:3], s[4:5], 0, v[46:47]
	v_cndmask_b32_e32 v40, v51, v41, vcc
	v_lshl_or_b32 v46, v1, 10, v39
	v_ashrrev_i32_e32 v39, 31, v38
	v_ashrrev_i32_e32 v41, 31, v40
	s_waitcnt vmcnt(2)
	v_mfma_f32_16x16x16_f16 v[34:37], v[14:15], v[18:19], v[34:37]
	v_lshl_add_u64 v[14:15], v[38:39], 2, s[8:9]
	v_subrev_u32_e32 v51, s29, v57
	v_cvt_f32_i32_e32 v58, v51
	v_mfma_f32_16x16x16_f16 v[26:29], v[6:7], v[18:19], v[26:29]
	v_mfma_f32_16x16x16_f16 v[30:33], v[10:11], v[18:19], v[30:33]
	v_lshl_add_u64 v[18:19], v[40:41], 2, s[8:9]
	global_load_dword v59, v[14:15], off
	global_load_dword v60, v[18:19], off
	v_lshl_add_u64 v[10:11], v[2:3], 0, v[46:47]
	v_mfma_f32_16x16x16_f16 v[2:5], v[4:5], v[20:21], v[22:25]
	v_add_u32_e32 v46, 1, v51
	v_add_u32_e32 v47, 3, v51
	;; [unrolled: 1-line block ×3, first 2 shown]
	v_mfma_f32_16x16x16_f16 v[14:17], v[16:17], v[20:21], v[34:37]
	v_add_u32_e32 v22, 2, v51
	s_nop 1
	v_pk_mul_f32 v[52:53], s[10:11], v[4:5] op_sel_hi:[0,1]
	v_cvt_f32_i32_e32 v18, v18
	v_mfma_f32_16x16x16_f16 v[6:9], v[8:9], v[20:21], v[26:29]
	v_add_u32_e32 v19, 19, v51
	v_pk_mul_f32 v[34:35], s[10:11], v[16:17] op_sel_hi:[0,1]
	v_pk_mul_f32 v[36:37], s[10:11], v[14:15] op_sel_hi:[0,1]
	v_cvt_f32_i32_e32 v27, v22
	v_mfma_f32_16x16x16_f16 v[22:25], v[12:13], v[20:21], v[30:33]
	v_pk_mul_f32 v[12:13], s[10:11], v[2:3] op_sel_hi:[0,1]
	v_cvt_f32_i32_e32 v26, v46
	v_cvt_f32_i32_e32 v28, v47
	v_pk_mul_f32 v[46:47], s[10:11], v[8:9] op_sel_hi:[0,1]
	v_pk_mul_f32 v[48:49], s[10:11], v[6:7] op_sel_hi:[0,1]
	v_cvt_f32_i32_e32 v19, v19
	v_fma_f32 v46, v50, v18, v46
	v_add_u32_e32 v18, 34, v51
	v_cvt_f32_i32_e32 v18, v18
	v_fmac_f32_e32 v47, v50, v19
	v_add_u32_e32 v19, 35, v51
	v_cvt_f32_i32_e32 v19, v19
	v_pk_mul_f32 v[40:41], s[10:11], v[22:23] op_sel_hi:[0,1]
	v_pk_mul_f32 v[38:39], s[10:11], v[24:25] op_sel_hi:[0,1]
	v_fma_f32 v38, v50, v18, v38
	v_add_u32_e32 v18, 50, v51
	s_waitcnt vmcnt(3)
	v_mad_i64_i32 v[2:3], s[4:5], v55, s45, 0
	s_waitcnt vmcnt(2)
	v_mad_i64_i32 v[4:5], s[4:5], v72, s45, 0
	v_lshl_add_u64 v[16:17], v[2:3], 1, v[10:11]
	v_lshl_add_u64 v[14:15], v[4:5], 1, v[10:11]
	global_load_dwordx4 v[6:9], v[16:17], off
	global_load_dwordx4 v[2:5], v[16:17], off offset:16
	v_add_u32_e32 v16, 16, v51
	v_cvt_f32_i32_e32 v16, v16
	v_add_u32_e32 v17, 17, v51
	v_cvt_f32_i32_e32 v17, v17
	v_fmac_f32_e32 v39, v50, v19
	v_fma_f32 v48, v50, v16, v48
	v_add_u32_e32 v16, 32, v51
	v_fmac_f32_e32 v49, v50, v17
	v_cvt_f32_i32_e32 v16, v16
	v_add_u32_e32 v17, 33, v51
	v_cvt_f32_i32_e32 v17, v17
	v_cvt_f32_i32_e32 v18, v18
	v_fma_f32 v40, v50, v16, v40
	v_add_u32_e32 v16, 48, v51
	v_fmac_f32_e32 v41, v50, v17
	v_cvt_f32_i32_e32 v16, v16
	v_add_u32_e32 v17, 49, v51
	v_cvt_f32_i32_e32 v17, v17
	v_add_u32_e32 v19, 51, v51
	v_cvt_f32_i32_e32 v19, v19
	v_fma_f32 v12, v50, v58, v12
	v_fmac_f32_e32 v13, v50, v26
	v_fma_f32 v36, v50, v16, v36
	v_mov_b32_e32 v16, 0xff7fffff
	v_cmp_gt_i32_e64 s[4:5], s29, v56
	v_fmac_f32_e32 v37, v50, v17
	v_fma_f32 v34, v50, v18, v34
	v_cndmask_b32_e64 v17, v16, v12, s[4:5]
	v_cndmask_b32_e64 v18, v16, v13, s[34:35]
	v_fmac_f32_e32 v35, v50, v19
	v_max3_f32 v17, v17, s33, v18
	v_or_b32_e32 v18, 2, v56
	v_or_b32_e32 v19, 3, v56
	v_fma_f32 v52, v50, v27, v52
	v_fmac_f32_e32 v53, v50, v28
	v_cmp_gt_i32_e64 s[36:37], s29, v18
	v_cmp_gt_i32_e64 s[38:39], s29, v19
	global_load_dwordx4 v[30:33], v[14:15], off
	global_load_dwordx4 v[26:29], v[14:15], off offset:16
	v_cndmask_b32_e64 v18, v16, v52, s[36:37]
	v_cndmask_b32_e64 v19, v16, v53, s[38:39]
	v_max3_f32 v17, v17, v18, v19
	v_or_b32_e32 v18, 16, v56
	v_or_b32_e32 v19, 17, v56
	v_cmp_gt_i32_e64 s[24:25], s29, v18
	v_cmp_gt_i32_e64 s[26:27], s29, v19
	s_nop 0
	v_cndmask_b32_e64 v18, v16, v48, s[24:25]
	v_cndmask_b32_e64 v19, v16, v49, s[26:27]
	v_max3_f32 v17, v17, v18, v19
	v_or_b32_e32 v18, 18, v56
	v_or_b32_e32 v19, 19, v56
	v_cmp_gt_i32_e64 s[20:21], s29, v18
	v_cmp_gt_i32_e64 s[22:23], s29, v19
	s_nop 0
	;; [unrolled: 8-line block ×5, first 2 shown]
	v_cndmask_b32_e64 v18, v16, v36, s[8:9]
	v_cndmask_b32_e64 v19, v16, v37, s[10:11]
	v_max3_f32 v17, v17, v18, v19
	v_or_b32_e32 v18, 50, v56
	v_or_b32_e32 v19, 51, v56
	v_cmp_gt_i32_e32 vcc, s29, v18
	v_cmp_gt_i32_e64 s[6:7], s29, v19
	s_nop 0
	v_cndmask_b32_e32 v18, v16, v34, vcc
	v_cndmask_b32_e64 v16, v16, v35, s[6:7]
	v_max3_f32 v16, v17, v18, v16
	v_mbcnt_lo_u32_b32 v17, -1, 0
	v_mbcnt_hi_u32_b32 v17, -1, v17
	v_and_b32_e32 v18, 64, v17
	v_add_u32_e32 v18, 64, v18
	v_xor_b32_e32 v19, 32, v17
	v_cmp_lt_i32_e64 s[40:41], v19, v18
	s_nop 1
	v_cndmask_b32_e64 v19, v17, v19, s[40:41]
	v_lshlrev_b32_e32 v56, 2, v19
	ds_bpermute_b32 v19, v56, v16
	s_waitcnt vmcnt(5)
	v_mad_i64_i32 v[14:15], s[40:41], v59, s45, 0
	v_lshl_add_u64 v[14:15], v[14:15], 1, v[10:11]
	s_waitcnt lgkmcnt(0)
	v_max_f32_e32 v19, v19, v19
	v_max_f32_e32 v16, v16, v19
	v_xor_b32_e32 v19, 16, v17
	v_cmp_lt_i32_e64 s[40:41], v19, v18
	s_nop 1
	v_cndmask_b32_e64 v17, v17, v19, s[40:41]
	v_lshlrev_b32_e32 v57, 2, v17
	ds_bpermute_b32 v17, v57, v16
	global_load_dwordx4 v[22:25], v[14:15], off
	global_load_dwordx4 v[18:21], v[14:15], off offset:16
	s_waitcnt vmcnt(6)
	v_mad_i64_i32 v[14:15], s[40:41], v60, s45, 0
	v_lshl_add_u64 v[10:11], v[14:15], 1, v[10:11]
	s_waitcnt lgkmcnt(0)
	v_max_f32_e32 v14, v17, v17
	v_max_f32_e32 v55, v16, v14
	v_sub_f32_e32 v12, v12, v55
	v_mul_f32_e32 v12, 0x3fb8aa3b, v12
	v_exp_f32_e32 v50, v12
	v_sub_f32_e32 v12, v13, v55
	v_mul_f32_e32 v12, 0x3fb8aa3b, v12
	v_exp_f32_e32 v51, v12
	global_load_dwordx4 v[14:17], v[10:11], off
	s_nop 0
	global_load_dwordx4 v[10:13], v[10:11], off offset:16
	v_sub_f32_e32 v52, v52, v55
	v_mul_f32_e32 v52, 0x3fb8aa3b, v52
	v_sub_f32_e32 v53, v53, v55
	v_exp_f32_e32 v52, v52
	v_mul_f32_e32 v53, 0x3fb8aa3b, v53
	v_sub_f32_e32 v48, v48, v55
	v_exp_f32_e32 v53, v53
	v_mul_f32_e32 v48, 0x3fb8aa3b, v48
	v_sub_f32_e32 v49, v49, v55
	v_cndmask_b32_e64 v50, 0, v50, s[4:5]
	v_exp_f32_e32 v48, v48
	v_mul_f32_e32 v49, 0x3fb8aa3b, v49
	v_sub_f32_e32 v46, v46, v55
	v_add_f32_e32 v58, 0, v50
	v_cndmask_b32_e64 v51, 0, v51, s[34:35]
	v_exp_f32_e32 v49, v49
	v_mul_f32_e32 v46, 0x3fb8aa3b, v46
	v_sub_f32_e32 v47, v47, v55
	v_add_f32_e32 v58, v58, v51
	;; [unrolled: 5-line block ×10, first 2 shown]
	v_cndmask_b32_e64 v38, 0, v38, s[12:13]
	v_exp_f32_e32 v34, v34
	v_mul_f32_e32 v35, 0x3fb8aa3b, v35
	v_add_f32_e32 v58, v58, v38
	v_cndmask_b32_e64 v39, 0, v39, s[14:15]
	v_exp_f32_e32 v35, v35
	v_add_f32_e32 v58, v58, v39
	v_cndmask_b32_e64 v36, 0, v36, s[8:9]
	v_add_f32_e32 v58, v58, v36
	v_cndmask_b32_e64 v37, 0, v37, s[10:11]
	v_add_f32_e32 v58, v58, v37
	v_cndmask_b32_e32 v34, 0, v34, vcc
	v_add_f32_e32 v58, v58, v34
	v_cndmask_b32_e64 v35, 0, v35, s[6:7]
	v_add_f32_e32 v58, v58, v35
	ds_bpermute_b32 v56, v56, v58
	s_load_dword s7, s[0:1], 0x98
	v_cmp_gt_u32_e32 vcc, 16, v45
	v_lshlrev_b32_e32 v45, 2, v44
	s_waitcnt lgkmcnt(0)
	v_add_f32_e32 v56, v58, v56
	ds_bpermute_b32 v57, v57, v56
	s_barrier
	s_waitcnt lgkmcnt(0)
	s_and_saveexec_b64 s[4:5], vcc
	s_cbranch_execz .LBB158_17
; %bb.16:
	v_add_f32_e32 v56, v56, v57
	v_lshl_or_b32 v57, v1, 6, v45
	ds_write2st64_b32 v57, v55, v56 offset1:1
.LBB158_17:
	s_or_b64 exec, exec, s[4:5]
	s_load_dword s6, s[0:1], 0x94
	s_waitcnt lgkmcnt(0)
	s_barrier
	ds_read2_b32 v[56:57], v45 offset1:16
	ds_read2_b32 v[58:59], v45 offset0:32 offset1:48
	ds_read2_b32 v[60:61], v45 offset0:64 offset1:80
	;; [unrolled: 1-line block ×3, first 2 shown]
	s_waitcnt lgkmcnt(0)
	v_max3_f32 v55, v56, s33, v57
	v_max3_f32 v55, v55, v58, v59
	v_sub_f32_e32 v56, v56, v55
	v_mul_f32_e32 v56, 0x3fb8aa3b, v56
	v_exp_f32_e32 v64, v56
	v_sub_f32_e32 v56, v57, v55
	v_mul_f32_e32 v56, 0x3fb8aa3b, v56
	v_exp_f32_e32 v57, v56
	v_sub_f32_e32 v56, v58, v55
	v_mul_f32_e32 v56, 0x3fb8aa3b, v56
	v_sub_f32_e32 v45, v59, v55
	v_exp_f32_e32 v58, v56
	v_mul_f32_e32 v45, 0x3fb8aa3b, v45
	v_exp_f32_e32 v45, v45
	v_fma_f32 v56, v64, v60, 0
	v_fmac_f32_e32 v56, v57, v61
	v_fmac_f32_e32 v56, v58, v62
	;; [unrolled: 1-line block ×3, first 2 shown]
	v_add_f32_e32 v59, 0x358637bd, v56
	v_div_scale_f32 v60, s[4:5], v59, v59, 1.0
	v_rcp_f32_e32 v61, v60
	s_barrier
	s_mul_i32 s7, s7, 7
	v_fma_f32 v62, -v60, v61, 1.0
	v_fmac_f32_e32 v61, v62, v61
	v_div_scale_f32 v62, vcc, 1.0, v59, 1.0
	v_mul_f32_e32 v63, v62, v61
	v_fma_f32 v65, -v60, v63, v62
	v_fmac_f32_e32 v63, v65, v61
	v_fma_f32 v60, -v60, v63, v62
	v_div_fmas_f32 v60, v60, v61, v63
	v_cmp_eq_u32_e32 vcc, 1, v1
	v_div_fixup_f32 v59, v60, v59, 1.0
	s_nop 0
	v_cndmask_b32_e32 v57, v64, v57, vcc
	v_cmp_eq_u32_e32 vcc, 2, v1
	s_nop 1
	v_cndmask_b32_e32 v57, v57, v58, vcc
	v_cmp_eq_u32_e32 vcc, 3, v1
	v_lshlrev_b32_e32 v1, 11, v1
	s_nop 0
	v_cndmask_b32_e32 v45, v57, v45, vcc
	v_mul_f32_e32 v58, v45, v59
	v_pk_mul_f32 v[52:53], v[58:59], v[52:53] op_sel_hi:[0,1]
	v_pk_mul_f32 v[50:51], v[58:59], v[50:51] op_sel_hi:[0,1]
	v_cvt_f16_f32_e32 v45, v50
	v_cvt_f16_f32_e32 v50, v51
	;; [unrolled: 1-line block ×4, first 2 shown]
	v_pk_mul_f32 v[46:47], v[58:59], v[46:47] op_sel_hi:[0,1]
	v_pk_mul_f32 v[48:49], v[58:59], v[48:49] op_sel_hi:[0,1]
	v_cvt_f16_f32_e32 v48, v48
	v_pack_b32_f16 v53, v51, v53
	v_cvt_f16_f32_e32 v49, v49
	v_cvt_f16_f32_e32 v51, v46
	v_cvt_f16_f32_e32 v47, v47
	v_pack_b32_f16 v52, v45, v50
	v_lshlrev_b32_e32 v45, 3, v54
	v_lshlrev_b32_e32 v50, 5, v44
	v_or3_b32 v1, v1, v50, v45
	v_pack_b32_f16 v46, v48, v49
	v_pack_b32_f16 v47, v51, v47
	v_pk_mul_f32 v[38:39], v[58:59], v[38:39] op_sel_hi:[0,1]
	v_pk_mul_f32 v[40:41], v[58:59], v[40:41] op_sel_hi:[0,1]
	;; [unrolled: 1-line block ×4, first 2 shown]
	ds_write2st64_b64 v1, v[52:53], v[46:47] offset1:1
	v_cvt_f16_f32_e32 v40, v40
	v_cvt_f16_f32_e32 v41, v41
	v_cvt_f16_f32_e32 v38, v38
	v_cvt_f16_f32_e32 v39, v39
	v_cvt_f16_f32_e32 v36, v36
	v_cvt_f16_f32_e32 v37, v37
	v_cvt_f16_f32_e32 v45, v34
	v_cvt_f16_f32_e32 v46, v35
	v_pack_b32_f16 v34, v40, v41
	v_pack_b32_f16 v35, v38, v39
	;; [unrolled: 1-line block ×4, first 2 shown]
	v_cmp_gt_u32_e32 vcc, 7, v0
	ds_write2st64_b64 v1, v[34:35], v[36:37] offset0:2 offset1:3
	s_and_saveexec_b64 s[4:5], vcc
	s_cbranch_execz .LBB158_19
; %bb.18:
	s_mov_b32 s43, 0
	v_mov_b32_e32 v45, 0
	v_lshl_add_u64 v[34:35], s[42:43], 0, v[44:45]
	v_mov_b32_e32 v36, s7
	v_mad_u64_u32 v[34:35], s[12:13], s2, v36, v[34:35]
	s_mul_i32 s3, s3, s7
	v_mov_b32_e32 v44, s28
	s_load_dwordx4 s[8:11], s[0:1], 0x58
	v_add_u32_e32 v37, s3, v35
	v_mad_u64_u32 v[34:35], s[12:13], v34, s6, v[44:45]
	v_mov_b32_e32 v36, v35
	v_mad_u64_u32 v[36:37], s[12:13], v37, s6, v[36:37]
	v_mov_b32_e32 v35, v36
	v_lshlrev_b64 v[34:35], 2, v[34:35]
	s_waitcnt lgkmcnt(0)
	v_lshl_add_u64 v[36:37], s[10:11], 0, v[34:35]
	v_lshl_add_u64 v[34:35], s[8:9], 0, v[34:35]
	global_store_dword v[36:37], v55, off
	global_store_dword v[34:35], v56, off
.LBB158_19:
	s_or_b64 exec, exec, s[4:5]
	v_lshl_or_b32 v48, v54, 9, v50
	s_waitcnt lgkmcnt(0)
	s_barrier
	ds_read_b128 v[34:37], v48
	ds_read_b128 v[38:41], v48 offset:16
	s_waitcnt vmcnt(7) lgkmcnt(1)
	v_mfma_f32_16x16x16_f16 v[44:47], v[6:7], v[34:35], 0
	v_cmp_gt_u32_e32 vcc, 64, v0
	s_mov_b32 s3, 0
	s_and_b64 s[4:5], vcc, s[30:31]
	v_mfma_f32_16x16x16_f16 v[6:9], v[8:9], v[36:37], v[44:47]
	s_waitcnt vmcnt(6) lgkmcnt(0)
	v_mfma_f32_16x16x16_f16 v[6:9], v[2:3], v[38:39], v[6:9]
	v_mfma_f32_16x16x16_f16 v[2:5], v[4:5], v[40:41], v[6:9]
	s_nop 5
	ds_read_b128 v[6:9], v48 offset:2048
	ds_read_b128 v[34:37], v48 offset:2064
	s_waitcnt vmcnt(5) lgkmcnt(1)
	v_mfma_f32_16x16x16_f16 v[2:5], v[30:31], v[6:7], v[2:5]
	v_mfma_f32_16x16x16_f16 v[2:5], v[32:33], v[8:9], v[2:5]
	s_waitcnt vmcnt(4) lgkmcnt(0)
	v_mfma_f32_16x16x16_f16 v[2:5], v[26:27], v[34:35], v[2:5]
	v_mfma_f32_16x16x16_f16 v[2:5], v[28:29], v[36:37], v[2:5]
	ds_read_b128 v[6:9], v48 offset:4096
	ds_read_b128 v[26:29], v48 offset:4112
	s_waitcnt vmcnt(3) lgkmcnt(1)
	v_mfma_f32_16x16x16_f16 v[2:5], v[22:23], v[6:7], v[2:5]
	v_mfma_f32_16x16x16_f16 v[2:5], v[24:25], v[8:9], v[2:5]
	s_waitcnt vmcnt(2) lgkmcnt(0)
	v_mfma_f32_16x16x16_f16 v[2:5], v[18:19], v[26:27], v[2:5]
	v_mfma_f32_16x16x16_f16 v[2:5], v[20:21], v[28:29], v[2:5]
	ds_read_b128 v[6:9], v48 offset:6144
	ds_read_b128 v[18:21], v48 offset:6160
	s_waitcnt lgkmcnt(0)
	s_barrier
	s_waitcnt vmcnt(1)
	v_mfma_f32_16x16x16_f16 v[2:5], v[14:15], v[6:7], v[2:5]
	v_mfma_f32_16x16x16_f16 v[2:5], v[16:17], v[8:9], v[2:5]
	s_waitcnt vmcnt(0)
	v_mfma_f32_16x16x16_f16 v[2:5], v[10:11], v[18:19], v[2:5]
	v_mfma_f32_16x16x16_f16 v[2:5], v[12:13], v[20:21], v[2:5]
	s_nop 6
	v_cvt_f16_f32_e32 v2, v2
	v_cvt_f16_f32_e32 v3, v3
	;; [unrolled: 1-line block ×4, first 2 shown]
	v_pack_b32_f16 v2, v2, v3
	v_pack_b32_f16 v3, v4, v5
	ds_write_b64 v1, v[2:3]
	s_waitcnt lgkmcnt(0)
	s_barrier
	s_and_saveexec_b64 s[8:9], s[4:5]
	s_cbranch_execz .LBB158_22
; %bb.20:
	s_load_dwordx2 s[4:5], s[0:1], 0x68
	s_lshl_b32 s0, s6, 6
	s_mul_i32 s1, s7, s2
	s_mul_hi_u32 s7, s1, s0
	s_mul_i32 s6, s1, s0
	v_lshlrev_b32_e32 v1, 10, v0
	v_lshlrev_b32_e32 v0, 4, v0
	s_lshl_b64 s[6:7], s[6:7], 1
	v_and_b32_e32 v1, 0x1800, v1
	v_lshlrev_b32_e32 v2, 5, v54
	v_and_b32_e32 v0, 16, v0
	s_waitcnt lgkmcnt(0)
	s_add_u32 s1, s4, s6
	v_or3_b32 v2, v1, v2, v0
	s_addc_u32 s4, s5, s7
	s_lshl_b32 s2, s28, 6
	s_lshl_b64 s[2:3], s[2:3], 1
	ds_read_b128 v[4:7], v2
	s_add_u32 s2, s1, s2
	s_addc_u32 s3, s4, s3
	v_add_u32_e32 v3, s42, v54
	v_lshl_add_u64 v[0:1], v[42:43], 1, s[2:3]
	v_mad_u64_u32 v[8:9], s[2:3], v3, s0, 0
	v_lshl_add_u64 v[8:9], v[8:9], 1, v[0:1]
	v_cmp_ne_u32_e32 vcc, 3, v54
	s_waitcnt lgkmcnt(0)
	global_store_dwordx4 v[8:9], v[4:7], off
	s_and_b64 exec, exec, vcc
	s_cbranch_execz .LBB158_22
; %bb.21:
	ds_read_b128 v[2:5], v2 offset:128
	v_add3_u32 v6, s42, v54, 4
	v_mad_u64_u32 v[6:7], s[0:1], v6, s0, 0
	v_lshl_add_u64 v[0:1], v[6:7], 1, v[0:1]
	s_waitcnt lgkmcnt(0)
	global_store_dwordx4 v[0:1], v[2:5], off
.LBB158_22:
	s_endpgm
	.section	.rodata,"a",@progbits
	.p2align	6, 0x0
	.amdhsa_kernel _Z39paged_attention_ll4mi_QKV_mfma16_kernelIDF16_DF16_LN4vllm18Fp8KVCacheDataTypeE0EDF16_Li32ELi64ELi256ELb1ELi7EEvPKT_PKT0_S7_ifPKiS9_S9_iPKfiiiPfSC_PS2_PT2_iSB_SB_
		.amdhsa_group_segment_fixed_size 8192
		.amdhsa_private_segment_fixed_size 0
		.amdhsa_kernarg_size 400
		.amdhsa_user_sgpr_count 2
		.amdhsa_user_sgpr_dispatch_ptr 0
		.amdhsa_user_sgpr_queue_ptr 0
		.amdhsa_user_sgpr_kernarg_segment_ptr 1
		.amdhsa_user_sgpr_dispatch_id 0
		.amdhsa_user_sgpr_kernarg_preload_length 0
		.amdhsa_user_sgpr_kernarg_preload_offset 0
		.amdhsa_user_sgpr_private_segment_size 0
		.amdhsa_uses_dynamic_stack 0
		.amdhsa_enable_private_segment 0
		.amdhsa_system_sgpr_workgroup_id_x 1
		.amdhsa_system_sgpr_workgroup_id_y 1
		.amdhsa_system_sgpr_workgroup_id_z 1
		.amdhsa_system_sgpr_workgroup_info 0
		.amdhsa_system_vgpr_workitem_id 0
		.amdhsa_next_free_vgpr 73
		.amdhsa_next_free_sgpr 48
		.amdhsa_accum_offset 76
		.amdhsa_reserve_vcc 1
		.amdhsa_float_round_mode_32 0
		.amdhsa_float_round_mode_16_64 0
		.amdhsa_float_denorm_mode_32 3
		.amdhsa_float_denorm_mode_16_64 3
		.amdhsa_dx10_clamp 1
		.amdhsa_ieee_mode 1
		.amdhsa_fp16_overflow 0
		.amdhsa_tg_split 0
		.amdhsa_exception_fp_ieee_invalid_op 0
		.amdhsa_exception_fp_denorm_src 0
		.amdhsa_exception_fp_ieee_div_zero 0
		.amdhsa_exception_fp_ieee_overflow 0
		.amdhsa_exception_fp_ieee_underflow 0
		.amdhsa_exception_fp_ieee_inexact 0
		.amdhsa_exception_int_div_zero 0
	.end_amdhsa_kernel
	.section	.text._Z39paged_attention_ll4mi_QKV_mfma16_kernelIDF16_DF16_LN4vllm18Fp8KVCacheDataTypeE0EDF16_Li32ELi64ELi256ELb1ELi7EEvPKT_PKT0_S7_ifPKiS9_S9_iPKfiiiPfSC_PS2_PT2_iSB_SB_,"axG",@progbits,_Z39paged_attention_ll4mi_QKV_mfma16_kernelIDF16_DF16_LN4vllm18Fp8KVCacheDataTypeE0EDF16_Li32ELi64ELi256ELb1ELi7EEvPKT_PKT0_S7_ifPKiS9_S9_iPKfiiiPfSC_PS2_PT2_iSB_SB_,comdat
.Lfunc_end158:
	.size	_Z39paged_attention_ll4mi_QKV_mfma16_kernelIDF16_DF16_LN4vllm18Fp8KVCacheDataTypeE0EDF16_Li32ELi64ELi256ELb1ELi7EEvPKT_PKT0_S7_ifPKiS9_S9_iPKfiiiPfSC_PS2_PT2_iSB_SB_, .Lfunc_end158-_Z39paged_attention_ll4mi_QKV_mfma16_kernelIDF16_DF16_LN4vllm18Fp8KVCacheDataTypeE0EDF16_Li32ELi64ELi256ELb1ELi7EEvPKT_PKT0_S7_ifPKiS9_S9_iPKfiiiPfSC_PS2_PT2_iSB_SB_
                                        ; -- End function
	.section	.AMDGPU.csdata,"",@progbits
; Kernel info:
; codeLenInByte = 4156
; NumSgprs: 54
; NumVgprs: 73
; NumAgprs: 0
; TotalNumVgprs: 73
; ScratchSize: 0
; MemoryBound: 0
; FloatMode: 240
; IeeeMode: 1
; LDSByteSize: 8192 bytes/workgroup (compile time only)
; SGPRBlocks: 6
; VGPRBlocks: 9
; NumSGPRsForWavesPerEU: 54
; NumVGPRsForWavesPerEU: 73
; AccumOffset: 76
; Occupancy: 6
; WaveLimiterHint : 1
; COMPUTE_PGM_RSRC2:SCRATCH_EN: 0
; COMPUTE_PGM_RSRC2:USER_SGPR: 2
; COMPUTE_PGM_RSRC2:TRAP_HANDLER: 0
; COMPUTE_PGM_RSRC2:TGID_X_EN: 1
; COMPUTE_PGM_RSRC2:TGID_Y_EN: 1
; COMPUTE_PGM_RSRC2:TGID_Z_EN: 1
; COMPUTE_PGM_RSRC2:TIDIG_COMP_CNT: 0
; COMPUTE_PGM_RSRC3_GFX90A:ACCUM_OFFSET: 18
; COMPUTE_PGM_RSRC3_GFX90A:TG_SPLIT: 0
	.section	.text._Z39paged_attention_ll4mi_QKV_mfma16_kernelIDF16_DF16_LN4vllm18Fp8KVCacheDataTypeE0EDF16_Li32ELi64ELi256ELb1ELi8EEvPKT_PKT0_S7_ifPKiS9_S9_iPKfiiiPfSC_PS2_PT2_iSB_SB_,"axG",@progbits,_Z39paged_attention_ll4mi_QKV_mfma16_kernelIDF16_DF16_LN4vllm18Fp8KVCacheDataTypeE0EDF16_Li32ELi64ELi256ELb1ELi8EEvPKT_PKT0_S7_ifPKiS9_S9_iPKfiiiPfSC_PS2_PT2_iSB_SB_,comdat
	.protected	_Z39paged_attention_ll4mi_QKV_mfma16_kernelIDF16_DF16_LN4vllm18Fp8KVCacheDataTypeE0EDF16_Li32ELi64ELi256ELb1ELi8EEvPKT_PKT0_S7_ifPKiS9_S9_iPKfiiiPfSC_PS2_PT2_iSB_SB_ ; -- Begin function _Z39paged_attention_ll4mi_QKV_mfma16_kernelIDF16_DF16_LN4vllm18Fp8KVCacheDataTypeE0EDF16_Li32ELi64ELi256ELb1ELi8EEvPKT_PKT0_S7_ifPKiS9_S9_iPKfiiiPfSC_PS2_PT2_iSB_SB_
	.globl	_Z39paged_attention_ll4mi_QKV_mfma16_kernelIDF16_DF16_LN4vllm18Fp8KVCacheDataTypeE0EDF16_Li32ELi64ELi256ELb1ELi8EEvPKT_PKT0_S7_ifPKiS9_S9_iPKfiiiPfSC_PS2_PT2_iSB_SB_
	.p2align	8
	.type	_Z39paged_attention_ll4mi_QKV_mfma16_kernelIDF16_DF16_LN4vllm18Fp8KVCacheDataTypeE0EDF16_Li32ELi64ELi256ELb1ELi8EEvPKT_PKT0_S7_ifPKiS9_S9_iPKfiiiPfSC_PS2_PT2_iSB_SB_,@function
_Z39paged_attention_ll4mi_QKV_mfma16_kernelIDF16_DF16_LN4vllm18Fp8KVCacheDataTypeE0EDF16_Li32ELi64ELi256ELb1ELi8EEvPKT_PKT0_S7_ifPKiS9_S9_iPKfiiiPfSC_PS2_PT2_iSB_SB_: ; @_Z39paged_attention_ll4mi_QKV_mfma16_kernelIDF16_DF16_LN4vllm18Fp8KVCacheDataTypeE0EDF16_Li32ELi64ELi256ELb1ELi8EEvPKT_PKT0_S7_ifPKiS9_S9_iPKfiiiPfSC_PS2_PT2_iSB_SB_
; %bb.0:
	s_load_dwordx2 s[6:7], s[0:1], 0x30
	s_mov_b32 s28, s3
	s_mov_b64 s[8:9], 0
	s_waitcnt lgkmcnt(0)
	s_cmp_lg_u64 s[6:7], 0
	s_cselect_b64 s[10:11], -1, 0
	s_and_b64 vcc, exec, s[10:11]
	s_cbranch_vccz .LBB159_7
; %bb.1:
	s_add_i32 s12, s2, 1
	s_mov_b32 s13, 0
	s_lshl_b64 s[14:15], s[12:13], 2
	s_add_u32 s14, s6, s14
	s_mov_b32 s3, s13
	s_addc_u32 s15, s7, s15
	s_lshl_b64 s[12:13], s[2:3], 2
	s_add_u32 s12, s6, s12
	s_addc_u32 s13, s7, s13
	s_load_dword s5, s[14:15], 0x0
	s_load_dword s16, s[12:13], 0x0
	s_waitcnt lgkmcnt(0)
	s_sub_i32 s5, s5, s16
	s_cmp_eq_u32 s5, 1
	s_cselect_b64 s[12:13], -1, 0
	s_andn2_b64 vcc, exec, s[8:9]
	s_cbranch_vccnz .LBB159_3
.LBB159_2:
	s_mov_b32 s3, 0
	s_mov_b64 s[12:13], -1
.LBB159_3:
	s_andn2_b64 vcc, exec, s[12:13]
	s_cbranch_vccnz .LBB159_21
; %bb.4:
	s_load_dwordx2 s[8:9], s[0:1], 0x28
	s_lshl_b64 s[12:13], s[2:3], 2
	s_waitcnt lgkmcnt(0)
	s_add_u32 s8, s8, s12
	s_addc_u32 s9, s9, s13
	s_load_dword s33, s[8:9], 0x0
	s_lshl_b32 s14, s28, 8
	s_waitcnt lgkmcnt(0)
	s_cmp_ge_i32 s14, s33
	s_cbranch_scc1 .LBB159_21
; %bb.5:
	s_load_dwordx2 s[8:9], s[0:1], 0x20
	s_load_dword s5, s[0:1], 0x38
	s_add_i32 s15, s33, 31
	s_ashr_i32 s16, s15, 31
	v_and_b32_e32 v1, 0xcf, v0
	s_lshr_b32 s16, s16, 27
	v_add_u32_e32 v1, s14, v1
	s_add_i32 s15, s15, s16
	v_ashrrev_i32_e32 v2, 31, v1
	s_ashr_i32 s15, s15, 5
	v_lshrrev_b32_e32 v6, 27, v2
	s_add_i32 s15, s15, -1
	s_waitcnt lgkmcnt(0)
	s_mul_i32 s16, s2, s5
	s_mov_b32 s17, 0
	v_add_u32_e32 v2, v1, v6
	s_lshl_b64 s[16:17], s[16:17], 2
	v_ashrrev_i32_e32 v2, 5, v2
	v_mov_b32_e32 v7, s15
	v_cmp_gt_i32_e32 vcc, s33, v1
	s_add_u32 s8, s8, s16
	s_addc_u32 s9, s9, s17
	v_cndmask_b32_e32 v2, v7, v2, vcc
	v_ashrrev_i32_e32 v3, 31, v2
	v_lshl_add_u64 v[4:5], v[2:3], 2, s[8:9]
	v_or_b32_e32 v2, 16, v1
	v_add_u32_e32 v3, v2, v6
	v_ashrrev_i32_e32 v3, 5, v3
	v_cmp_gt_i32_e32 vcc, s33, v2
	s_nop 1
	v_cndmask_b32_e32 v2, v7, v3, vcc
	v_ashrrev_i32_e32 v3, 31, v2
	v_lshl_add_u64 v[8:9], v[2:3], 2, s[8:9]
	v_or_b32_e32 v2, 32, v1
	v_add_u32_e32 v3, v2, v6
	v_ashrrev_i32_e32 v3, 5, v3
	v_cmp_gt_i32_e32 vcc, s33, v2
	v_or_b32_e32 v1, 48, v1
	s_nop 0
	v_cndmask_b32_e32 v2, v7, v3, vcc
	v_ashrrev_i32_e32 v3, 31, v2
	v_lshl_add_u64 v[12:13], v[2:3], 2, s[8:9]
	v_add_u32_e32 v2, v1, v6
	v_ashrrev_i32_e32 v2, 5, v2
	v_cmp_gt_i32_e32 vcc, s33, v1
	s_nop 1
	v_cndmask_b32_e32 v2, v7, v2, vcc
	v_ashrrev_i32_e32 v3, 31, v2
	v_lshl_add_u64 v[16:17], v[2:3], 2, s[8:9]
	global_load_dword v2, v[4:5], off
	global_load_dword v6, v[8:9], off
	;; [unrolled: 1-line block ×4, first 2 shown]
	s_andn2_b64 vcc, exec, s[10:11]
	s_cbranch_vccnz .LBB159_8
; %bb.6:
	s_add_u32 s6, s6, s12
	s_addc_u32 s7, s7, s13
	s_load_dword s5, s[6:7], 0x0
	s_branch .LBB159_9
.LBB159_7:
	s_mov_b64 s[12:13], 0
	s_branch .LBB159_2
.LBB159_8:
	s_mov_b32 s5, s2
.LBB159_9:
	s_load_dwordx2 s[10:11], s[0:1], 0x8
	s_load_dwordx4 s[44:47], s[0:1], 0x48
	v_and_b32_e32 v52, 15, v0
	s_movk_i32 s6, 0x7f
	v_cmp_lt_u32_e32 vcc, s6, v0
	v_cmp_lt_u32_e64 s[6:7], 7, v52
	v_lshlrev_b32_e32 v42, 3, v52
	v_cmp_gt_u32_e64 s[30:31], 8, v52
	s_or_b64 s[6:7], vcc, s[6:7]
	s_and_saveexec_b64 s[12:13], s[6:7]
	s_xor_b64 s[6:7], exec, s[12:13]
; %bb.10:
	v_mov_b32_e32 v43, 0
; %bb.11:
	s_or_saveexec_b64 s[12:13], s[6:7]
	s_load_dwordx2 s[6:7], s[0:1], 0x10
	v_lshrrev_b32_e32 v53, 6, v0
	s_lshl_b32 s29, s4, 3
	v_bfe_u32 v1, v0, 4, 2
	s_xor_b64 exec, exec, s[12:13]
	s_cbranch_execz .LBB159_13
; %bb.12:
	s_load_dwordx2 s[16:17], s[0:1], 0x0
	s_waitcnt lgkmcnt(0)
	s_ashr_i32 s18, s44, 31
	s_mul_hi_u32 s19, s5, s44
	s_mul_i32 s18, s5, s18
	s_add_i32 s19, s19, s18
	s_mul_i32 s18, s5, s44
	v_lshl_or_b32 v3, v53, 2, v1
	s_lshl_b64 s[18:19], s[18:19], 1
	s_add_u32 s16, s16, s18
	v_add_lshl_u32 v4, v3, s29, 6
	s_addc_u32 s17, s17, s19
	v_ashrrev_i32_e32 v5, 31, v4
	v_mov_b32_e32 v43, 0
	v_lshl_add_u64 v[4:5], v[4:5], 1, s[16:17]
	v_lshlrev_b32_e32 v8, 1, v42
	v_mov_b32_e32 v9, v43
	v_lshl_add_u64 v[4:5], v[4:5], 0, v[8:9]
	global_load_dwordx4 v[16:19], v[4:5], off
	v_and_b32_e32 v4, 3, v0
	v_lshlrev_b32_e32 v5, 9, v52
	v_lshlrev_b32_e32 v3, 5, v3
	;; [unrolled: 1-line block ×3, first 2 shown]
	v_and_b32_e32 v5, 0x1800, v5
	v_or3_b32 v3, v5, v4, v3
	s_waitcnt vmcnt(0)
	ds_write_b128 v3, v[16:19]
.LBB159_13:
	s_or_b64 exec, exec, s[12:13]
	s_waitcnt lgkmcnt(0)
	s_mul_i32 s4, s4, s46
	s_mov_b32 s5, 0
	s_lshl_b64 s[4:5], s[4:5], 1
	s_add_u32 s10, s10, s4
	s_addc_u32 s11, s11, s5
	s_waitcnt vmcnt(3)
	v_mad_i64_i32 v[2:3], s[12:13], v2, s45, 0
	v_lshl_add_u64 v[2:3], v[2:3], 1, s[10:11]
	v_lshlrev_b64 v[12:13], 1, v[42:43]
	v_lshlrev_b32_e32 v44, 9, v1
	v_lshl_add_u64 v[2:3], v[2:3], 0, v[12:13]
	v_mov_b32_e32 v45, 0
	v_lshl_add_u64 v[8:9], v[2:3], 0, v[44:45]
	s_barrier
	global_load_dwordx4 v[22:25], v[8:9], off
	global_load_dwordx4 v[2:5], v[8:9], off offset:2048
	s_waitcnt vmcnt(4)
	v_mad_i64_i32 v[6:7], s[12:13], v6, s45, 0
	v_mov_b32_e32 v8, 0x100
	v_lshl_add_u64 v[6:7], v[6:7], 1, s[10:11]
	v_lshl_or_b32 v16, v52, 4, v8
	v_mov_b32_e32 v17, v45
	s_waitcnt vmcnt(3)
	v_mad_i64_i32 v[10:11], s[12:13], v10, s45, 0
	v_lshl_add_u64 v[6:7], v[6:7], 0, v[16:17]
	v_lshl_add_u64 v[10:11], v[10:11], 1, s[10:11]
	s_waitcnt vmcnt(2)
	v_mad_i64_i32 v[14:15], s[12:13], v14, s45, 0
	v_lshl_add_u64 v[18:19], v[6:7], 0, v[44:45]
	v_lshl_add_u64 v[10:11], v[10:11], 0, v[12:13]
	;; [unrolled: 1-line block ×3, first 2 shown]
	global_load_dwordx4 v[26:29], v[18:19], off
	global_load_dwordx4 v[6:9], v[18:19], off offset:2048
	v_lshl_add_u64 v[18:19], v[10:11], 0, v[44:45]
	v_lshl_add_u64 v[14:15], v[14:15], 0, v[16:17]
	global_load_dwordx4 v[30:33], v[18:19], off
	global_load_dwordx4 v[10:13], v[18:19], off offset:2048
	v_lshl_add_u64 v[18:19], v[14:15], 0, v[44:45]
	global_load_dwordx4 v[34:37], v[18:19], off
	global_load_dwordx4 v[14:17], v[18:19], off offset:2048
	v_and_b32_e32 v18, 7, v0
	v_lshl_or_b32 v18, v18, 5, v44
	ds_read_b128 v[38:41], v18
	ds_read_b128 v[18:21], v18 offset:2048
	v_and_b32_e32 v54, 63, v0
	v_mov_b32_e32 v48, 0
	s_and_saveexec_b64 s[10:11], s[30:31]
	s_cbranch_execz .LBB159_15
; %bb.14:
	s_load_dwordx2 s[12:13], s[0:1], 0x40
	v_or_b32_e32 v46, s29, v52
	v_ashrrev_i32_e32 v47, 31, v46
	s_waitcnt lgkmcnt(0)
	v_lshl_add_u64 v[46:47], v[46:47], 2, s[12:13]
	global_load_dword v48, v[46:47], off
.LBB159_15:
	s_or_b64 exec, exec, s[10:11]
	s_ashr_i32 s10, s14, 31
	v_and_or_b32 v44, v0, 48, s14
	s_lshr_b32 s11, s10, 27
	v_add_u32_e32 v46, s11, v44
	v_or_b32_e32 v50, 64, v44
	v_ashrrev_i32_e32 v46, 5, v46
	v_mov_b32_e32 v49, s15
	v_cmp_gt_i32_e32 vcc, s33, v44
	v_add_u32_e32 v51, s11, v50
	s_waitcnt vmcnt(7) lgkmcnt(1)
	v_mfma_f32_16x16x16_f16 v[56:59], v[22:23], v[38:39], 0
	v_cndmask_b32_e32 v46, v49, v46, vcc
	v_ashrrev_i32_e32 v22, 5, v51
	v_cmp_gt_i32_e32 vcc, s33, v50
	v_ashrrev_i32_e32 v47, 31, v46
	v_lshl_add_u64 v[46:47], v[46:47], 2, s[8:9]
	v_cndmask_b32_e32 v22, v49, v22, vcc
	v_ashrrev_i32_e32 v23, 31, v22
	v_lshl_add_u64 v[22:23], v[22:23], 2, s[8:9]
	global_load_dword v55, v[46:47], off
	global_load_dword v72, v[22:23], off
	s_waitcnt vmcnt(3)
	v_mfma_f32_16x16x16_f16 v[68:71], v[34:35], v[38:39], 0
	v_or_b32_e32 v46, 0xc0, v44
	v_add_u32_e32 v50, s11, v46
	s_add_u32 s4, s6, s4
	v_mfma_f32_16x16x16_f16 v[60:63], v[26:27], v[38:39], 0
	s_addc_u32 s5, s7, s5
	s_load_dword s10, s[0:1], 0x1c
	s_mov_b32 s42, 0xff7fffff
	v_mfma_f32_16x16x16_f16 v[64:67], v[30:31], v[38:39], 0
	v_and_b32_e32 v31, 0xc0, v0
	v_or_b32_e32 v38, 0x80, v44
	v_add_u32_e32 v34, s14, v31
	v_mfma_f32_16x16x16_f16 v[22:25], v[24:25], v[40:41], v[56:59]
	v_and_b32_e32 v30, 16, v0
	v_add_u32_e32 v47, s11, v38
	v_lshlrev_b32_e32 v44, 1, v30
	v_lshl_or_b32 v56, v1, 2, v34
	v_mfma_f32_16x16x16_f16 v[34:37], v[36:37], v[40:41], v[68:71]
	v_cmp_gt_i32_e32 vcc, s33, v38
	v_lshlrev_b32_e32 v39, 6, v52
	v_or_b32_e32 v57, 1, v56
	v_mfma_f32_16x16x16_f16 v[26:29], v[28:29], v[40:41], v[60:63]
	v_cmp_gt_i32_e64 s[34:35], s33, v57
	v_mfma_f32_16x16x16_f16 v[30:33], v[32:33], v[40:41], v[64:67]
	v_ashrrev_i32_e32 v40, 5, v47
	v_ashrrev_i32_e32 v41, 5, v50
	v_cndmask_b32_e32 v38, v49, v40, vcc
	v_cmp_gt_i32_e32 vcc, s33, v46
	s_waitcnt lgkmcnt(0)
	v_mfma_f32_16x16x16_f16 v[22:25], v[2:3], v[18:19], v[22:25]
	v_lshl_add_u64 v[2:3], s[4:5], 0, v[44:45]
	v_cndmask_b32_e32 v40, v49, v41, vcc
	v_lshl_or_b32 v44, v53, 10, v39
	v_ashrrev_i32_e32 v39, 31, v38
	v_ashrrev_i32_e32 v41, 31, v40
	s_waitcnt vmcnt(2)
	v_mfma_f32_16x16x16_f16 v[34:37], v[14:15], v[18:19], v[34:37]
	v_lshl_add_u64 v[14:15], v[38:39], 2, s[8:9]
	v_subrev_u32_e32 v49, s33, v57
	v_cvt_f32_i32_e32 v58, v49
	v_mfma_f32_16x16x16_f16 v[26:29], v[6:7], v[18:19], v[26:29]
	v_mfma_f32_16x16x16_f16 v[30:33], v[10:11], v[18:19], v[30:33]
	v_lshl_add_u64 v[18:19], v[40:41], 2, s[8:9]
	global_load_dword v59, v[14:15], off
	global_load_dword v60, v[18:19], off
	v_lshl_add_u64 v[10:11], v[2:3], 0, v[44:45]
	v_mfma_f32_16x16x16_f16 v[2:5], v[4:5], v[20:21], v[22:25]
	v_add_u32_e32 v44, 1, v49
	v_add_u32_e32 v45, 3, v49
	;; [unrolled: 1-line block ×3, first 2 shown]
	v_mfma_f32_16x16x16_f16 v[14:17], v[16:17], v[20:21], v[34:37]
	v_add_u32_e32 v22, 2, v49
	s_nop 1
	v_pk_mul_f32 v[50:51], s[10:11], v[4:5] op_sel_hi:[0,1]
	v_cvt_f32_i32_e32 v18, v18
	v_mfma_f32_16x16x16_f16 v[6:9], v[8:9], v[20:21], v[26:29]
	v_add_u32_e32 v19, 19, v49
	v_pk_mul_f32 v[34:35], s[10:11], v[16:17] op_sel_hi:[0,1]
	v_pk_mul_f32 v[36:37], s[10:11], v[14:15] op_sel_hi:[0,1]
	v_cvt_f32_i32_e32 v27, v22
	v_mfma_f32_16x16x16_f16 v[22:25], v[12:13], v[20:21], v[30:33]
	v_pk_mul_f32 v[12:13], s[10:11], v[2:3] op_sel_hi:[0,1]
	v_cvt_f32_i32_e32 v26, v44
	v_cvt_f32_i32_e32 v28, v45
	v_pk_mul_f32 v[44:45], s[10:11], v[8:9] op_sel_hi:[0,1]
	v_pk_mul_f32 v[46:47], s[10:11], v[6:7] op_sel_hi:[0,1]
	v_cvt_f32_i32_e32 v19, v19
	v_fma_f32 v44, v48, v18, v44
	v_add_u32_e32 v18, 34, v49
	v_cvt_f32_i32_e32 v18, v18
	v_fmac_f32_e32 v45, v48, v19
	v_add_u32_e32 v19, 35, v49
	v_cvt_f32_i32_e32 v19, v19
	v_pk_mul_f32 v[40:41], s[10:11], v[22:23] op_sel_hi:[0,1]
	v_pk_mul_f32 v[38:39], s[10:11], v[24:25] op_sel_hi:[0,1]
	v_fma_f32 v38, v48, v18, v38
	v_add_u32_e32 v18, 50, v49
	s_waitcnt vmcnt(3)
	v_mad_i64_i32 v[2:3], s[4:5], v55, s45, 0
	s_waitcnt vmcnt(2)
	v_mad_i64_i32 v[4:5], s[4:5], v72, s45, 0
	v_lshl_add_u64 v[16:17], v[2:3], 1, v[10:11]
	v_lshl_add_u64 v[14:15], v[4:5], 1, v[10:11]
	global_load_dwordx4 v[6:9], v[16:17], off
	global_load_dwordx4 v[2:5], v[16:17], off offset:16
	v_add_u32_e32 v16, 16, v49
	v_cvt_f32_i32_e32 v16, v16
	v_add_u32_e32 v17, 17, v49
	v_cvt_f32_i32_e32 v17, v17
	v_fmac_f32_e32 v39, v48, v19
	v_fma_f32 v46, v48, v16, v46
	v_add_u32_e32 v16, 32, v49
	v_fmac_f32_e32 v47, v48, v17
	v_cvt_f32_i32_e32 v16, v16
	v_add_u32_e32 v17, 33, v49
	v_cvt_f32_i32_e32 v17, v17
	v_cvt_f32_i32_e32 v18, v18
	v_fma_f32 v40, v48, v16, v40
	v_add_u32_e32 v16, 48, v49
	v_fmac_f32_e32 v41, v48, v17
	v_cvt_f32_i32_e32 v16, v16
	v_add_u32_e32 v17, 49, v49
	v_cvt_f32_i32_e32 v17, v17
	v_add_u32_e32 v19, 51, v49
	v_cvt_f32_i32_e32 v19, v19
	v_fma_f32 v12, v48, v58, v12
	v_fmac_f32_e32 v13, v48, v26
	v_fma_f32 v36, v48, v16, v36
	v_mov_b32_e32 v16, 0xff7fffff
	v_cmp_gt_i32_e64 s[4:5], s33, v56
	v_fmac_f32_e32 v37, v48, v17
	v_fma_f32 v34, v48, v18, v34
	v_cndmask_b32_e64 v17, v16, v12, s[4:5]
	v_cndmask_b32_e64 v18, v16, v13, s[34:35]
	v_fmac_f32_e32 v35, v48, v19
	v_max3_f32 v17, v17, s42, v18
	v_or_b32_e32 v18, 2, v56
	v_or_b32_e32 v19, 3, v56
	v_fma_f32 v50, v48, v27, v50
	v_fmac_f32_e32 v51, v48, v28
	v_cmp_gt_i32_e64 s[36:37], s33, v18
	v_cmp_gt_i32_e64 s[38:39], s33, v19
	global_load_dwordx4 v[30:33], v[14:15], off
	global_load_dwordx4 v[26:29], v[14:15], off offset:16
	v_cndmask_b32_e64 v18, v16, v50, s[36:37]
	v_cndmask_b32_e64 v19, v16, v51, s[38:39]
	v_max3_f32 v17, v17, v18, v19
	v_or_b32_e32 v18, 16, v56
	v_or_b32_e32 v19, 17, v56
	v_cmp_gt_i32_e64 s[24:25], s33, v18
	v_cmp_gt_i32_e64 s[26:27], s33, v19
	s_nop 0
	v_cndmask_b32_e64 v18, v16, v46, s[24:25]
	v_cndmask_b32_e64 v19, v16, v47, s[26:27]
	v_max3_f32 v17, v17, v18, v19
	v_or_b32_e32 v18, 18, v56
	v_or_b32_e32 v19, 19, v56
	v_cmp_gt_i32_e64 s[20:21], s33, v18
	v_cmp_gt_i32_e64 s[22:23], s33, v19
	s_nop 0
	;; [unrolled: 8-line block ×5, first 2 shown]
	v_cndmask_b32_e64 v18, v16, v36, s[8:9]
	v_cndmask_b32_e64 v19, v16, v37, s[10:11]
	v_max3_f32 v17, v17, v18, v19
	v_or_b32_e32 v18, 50, v56
	v_or_b32_e32 v19, 51, v56
	v_cmp_gt_i32_e32 vcc, s33, v18
	v_cmp_gt_i32_e64 s[6:7], s33, v19
	s_nop 0
	v_cndmask_b32_e32 v18, v16, v34, vcc
	v_cndmask_b32_e64 v16, v16, v35, s[6:7]
	v_max3_f32 v16, v17, v18, v16
	v_mbcnt_lo_u32_b32 v17, -1, 0
	v_mbcnt_hi_u32_b32 v17, -1, v17
	v_and_b32_e32 v18, 64, v17
	v_add_u32_e32 v18, 64, v18
	v_xor_b32_e32 v19, 32, v17
	v_cmp_lt_i32_e64 s[40:41], v19, v18
	s_nop 1
	v_cndmask_b32_e64 v19, v17, v19, s[40:41]
	v_lshlrev_b32_e32 v56, 2, v19
	ds_bpermute_b32 v19, v56, v16
	s_waitcnt vmcnt(5)
	v_mad_i64_i32 v[14:15], s[40:41], v59, s45, 0
	v_lshl_add_u64 v[14:15], v[14:15], 1, v[10:11]
	s_waitcnt lgkmcnt(0)
	v_max_f32_e32 v19, v19, v19
	v_max_f32_e32 v16, v16, v19
	v_xor_b32_e32 v19, 16, v17
	v_cmp_lt_i32_e64 s[40:41], v19, v18
	s_nop 1
	v_cndmask_b32_e64 v17, v17, v19, s[40:41]
	v_lshlrev_b32_e32 v58, 2, v17
	ds_bpermute_b32 v17, v58, v16
	global_load_dwordx4 v[22:25], v[14:15], off
	global_load_dwordx4 v[18:21], v[14:15], off offset:16
	s_waitcnt vmcnt(6)
	v_mad_i64_i32 v[14:15], s[40:41], v60, s45, 0
	v_lshl_add_u64 v[10:11], v[14:15], 1, v[10:11]
	s_waitcnt lgkmcnt(0)
	v_max_f32_e32 v14, v17, v17
	v_max_f32_e32 v55, v16, v14
	v_sub_f32_e32 v12, v12, v55
	v_mul_f32_e32 v12, 0x3fb8aa3b, v12
	v_exp_f32_e32 v48, v12
	v_sub_f32_e32 v12, v13, v55
	v_mul_f32_e32 v12, 0x3fb8aa3b, v12
	v_exp_f32_e32 v49, v12
	global_load_dwordx4 v[14:17], v[10:11], off
	s_nop 0
	global_load_dwordx4 v[10:13], v[10:11], off offset:16
	v_sub_f32_e32 v50, v50, v55
	v_mul_f32_e32 v50, 0x3fb8aa3b, v50
	v_sub_f32_e32 v51, v51, v55
	v_exp_f32_e32 v50, v50
	v_mul_f32_e32 v51, 0x3fb8aa3b, v51
	v_sub_f32_e32 v46, v46, v55
	v_exp_f32_e32 v51, v51
	v_mul_f32_e32 v46, 0x3fb8aa3b, v46
	v_sub_f32_e32 v47, v47, v55
	v_cndmask_b32_e64 v48, 0, v48, s[4:5]
	v_exp_f32_e32 v46, v46
	v_mul_f32_e32 v47, 0x3fb8aa3b, v47
	v_sub_f32_e32 v44, v44, v55
	v_add_f32_e32 v57, 0, v48
	v_cndmask_b32_e64 v49, 0, v49, s[34:35]
	v_exp_f32_e32 v47, v47
	v_mul_f32_e32 v44, 0x3fb8aa3b, v44
	v_sub_f32_e32 v45, v45, v55
	v_add_f32_e32 v57, v57, v49
	;; [unrolled: 5-line block ×10, first 2 shown]
	v_cndmask_b32_e64 v38, 0, v38, s[12:13]
	v_exp_f32_e32 v34, v34
	v_mul_f32_e32 v35, 0x3fb8aa3b, v35
	v_add_f32_e32 v57, v57, v38
	v_cndmask_b32_e64 v39, 0, v39, s[14:15]
	v_exp_f32_e32 v35, v35
	v_add_f32_e32 v57, v57, v39
	v_cndmask_b32_e64 v36, 0, v36, s[8:9]
	v_add_f32_e32 v57, v57, v36
	v_cndmask_b32_e64 v37, 0, v37, s[10:11]
	v_add_f32_e32 v57, v57, v37
	v_cndmask_b32_e32 v34, 0, v34, vcc
	v_add_f32_e32 v57, v57, v34
	v_cndmask_b32_e64 v35, 0, v35, s[6:7]
	v_add_f32_e32 v57, v57, v35
	ds_bpermute_b32 v56, v56, v57
	s_load_dword s7, s[0:1], 0x98
	v_cmp_gt_u32_e32 vcc, 16, v54
	s_waitcnt lgkmcnt(0)
	s_barrier
	v_add_f32_e32 v57, v57, v56
	ds_bpermute_b32 v58, v58, v57
	v_lshlrev_b32_e32 v56, 2, v52
	s_waitcnt lgkmcnt(0)
	s_and_saveexec_b64 s[4:5], vcc
	s_cbranch_execz .LBB159_17
; %bb.16:
	v_add_f32_e32 v54, v57, v58
	v_lshl_or_b32 v57, v53, 6, v56
	ds_write2st64_b32 v57, v55, v54 offset1:1
.LBB159_17:
	s_or_b64 exec, exec, s[4:5]
	s_load_dword s6, s[0:1], 0x94
	s_waitcnt lgkmcnt(0)
	s_barrier
	ds_read2_b32 v[58:59], v56 offset1:16
	ds_read2_b32 v[60:61], v56 offset0:32 offset1:48
	ds_read2_b32 v[62:63], v56 offset0:64 offset1:80
	;; [unrolled: 1-line block ×3, first 2 shown]
	s_waitcnt lgkmcnt(0)
	v_max3_f32 v54, v58, s42, v59
	v_max3_f32 v54, v54, v60, v61
	v_sub_f32_e32 v55, v58, v54
	v_mul_f32_e32 v55, 0x3fb8aa3b, v55
	v_exp_f32_e32 v58, v55
	v_sub_f32_e32 v55, v59, v54
	v_mul_f32_e32 v55, 0x3fb8aa3b, v55
	v_exp_f32_e32 v59, v55
	;; [unrolled: 3-line block ×4, first 2 shown]
	v_fma_f32 v55, v58, v62, 0
	v_fmac_f32_e32 v55, v59, v63
	v_fmac_f32_e32 v55, v60, v56
	;; [unrolled: 1-line block ×3, first 2 shown]
	v_add_f32_e32 v56, 0x358637bd, v55
	v_div_scale_f32 v57, s[4:5], v56, v56, 1.0
	v_rcp_f32_e32 v62, v57
	s_barrier
	s_lshl_b32 s7, s7, 3
	v_fma_f32 v63, -v57, v62, 1.0
	v_fmac_f32_e32 v62, v63, v62
	v_div_scale_f32 v63, vcc, 1.0, v56, 1.0
	v_mul_f32_e32 v64, v63, v62
	v_fma_f32 v65, -v57, v64, v63
	v_fmac_f32_e32 v64, v65, v62
	v_fma_f32 v57, -v57, v64, v63
	v_div_fmas_f32 v57, v57, v62, v64
	v_cmp_eq_u32_e32 vcc, 1, v53
	v_div_fixup_f32 v56, v57, v56, 1.0
	s_nop 0
	v_cndmask_b32_e32 v57, v58, v59, vcc
	v_cmp_eq_u32_e32 vcc, 2, v53
	s_nop 1
	v_cndmask_b32_e32 v57, v57, v60, vcc
	v_cmp_eq_u32_e32 vcc, 3, v53
	s_nop 1
	v_cndmask_b32_e32 v57, v57, v61, vcc
	v_mul_f32_e32 v56, v57, v56
	v_pk_mul_f32 v[50:51], v[56:57], v[50:51] op_sel_hi:[0,1]
	v_pk_mul_f32 v[48:49], v[56:57], v[48:49] op_sel_hi:[0,1]
	v_cvt_f16_f32_e32 v57, v50
	v_cvt_f16_f32_e32 v48, v48
	;; [unrolled: 1-line block ×4, first 2 shown]
	v_pk_mul_f32 v[44:45], v[56:57], v[44:45] op_sel_hi:[0,1]
	v_pk_mul_f32 v[46:47], v[56:57], v[46:47] op_sel_hi:[0,1]
	v_pack_b32_f16 v50, v48, v49
	v_lshlrev_b32_e32 v48, 5, v52
	v_cvt_f16_f32_e32 v46, v46
	v_cvt_f16_f32_e32 v47, v47
	;; [unrolled: 1-line block ×4, first 2 shown]
	v_lshlrev_b32_e32 v49, 3, v1
	v_lshlrev_b32_e32 v44, 11, v53
	v_pack_b32_f16 v51, v57, v51
	v_or3_b32 v44, v44, v48, v49
	v_pack_b32_f16 v46, v46, v47
	v_pack_b32_f16 v47, v52, v45
	v_pk_mul_f32 v[38:39], v[56:57], v[38:39] op_sel_hi:[0,1]
	v_pk_mul_f32 v[40:41], v[56:57], v[40:41] op_sel_hi:[0,1]
	;; [unrolled: 1-line block ×4, first 2 shown]
	ds_write2st64_b64 v44, v[50:51], v[46:47] offset1:1
	v_cvt_f16_f32_e32 v40, v40
	v_cvt_f16_f32_e32 v41, v41
	;; [unrolled: 1-line block ×8, first 2 shown]
	v_pack_b32_f16 v34, v40, v41
	v_pack_b32_f16 v35, v38, v39
	;; [unrolled: 1-line block ×4, first 2 shown]
	v_cmp_gt_u32_e32 vcc, 8, v0
	ds_write2st64_b64 v44, v[34:35], v[36:37] offset0:2 offset1:3
	s_and_saveexec_b64 s[4:5], vcc
	s_cbranch_execz .LBB159_19
; %bb.18:
	v_or_b32_e32 v34, s29, v0
	v_mov_b32_e32 v35, 0
	v_mov_b32_e32 v36, s7
	v_mad_u64_u32 v[36:37], s[12:13], s2, v36, v[34:35]
	v_mov_b32_e32 v34, s28
	s_load_dwordx4 s[8:11], s[0:1], 0x58
	s_mul_i32 s3, s3, s7
	v_mad_u64_u32 v[34:35], s[12:13], v36, s6, v[34:35]
	v_add_u32_e32 v37, s3, v37
	v_mov_b32_e32 v36, v35
	v_mad_u64_u32 v[36:37], s[12:13], v37, s6, v[36:37]
	v_mov_b32_e32 v35, v36
	v_lshlrev_b64 v[34:35], 2, v[34:35]
	s_waitcnt lgkmcnt(0)
	v_lshl_add_u64 v[36:37], s[10:11], 0, v[34:35]
	v_lshl_add_u64 v[34:35], s[8:9], 0, v[34:35]
	global_store_dword v[36:37], v54, off
	global_store_dword v[34:35], v55, off
.LBB159_19:
	s_or_b64 exec, exec, s[4:5]
	v_lshl_or_b32 v45, v1, 9, v48
	s_waitcnt lgkmcnt(0)
	s_barrier
	ds_read_b128 v[34:37], v45
	ds_read_b128 v[38:41], v45 offset:16
	s_waitcnt vmcnt(7) lgkmcnt(1)
	v_mfma_f32_16x16x16_f16 v[46:49], v[6:7], v[34:35], 0
	v_cmp_gt_u32_e32 vcc, 64, v0
	s_mov_b32 s3, 0
	s_and_b64 s[4:5], vcc, s[30:31]
	v_mfma_f32_16x16x16_f16 v[6:9], v[8:9], v[36:37], v[46:49]
	s_waitcnt vmcnt(6) lgkmcnt(0)
	v_mfma_f32_16x16x16_f16 v[6:9], v[2:3], v[38:39], v[6:9]
	v_mfma_f32_16x16x16_f16 v[2:5], v[4:5], v[40:41], v[6:9]
	s_nop 5
	ds_read_b128 v[6:9], v45 offset:2048
	ds_read_b128 v[34:37], v45 offset:2064
	s_waitcnt vmcnt(5) lgkmcnt(1)
	v_mfma_f32_16x16x16_f16 v[2:5], v[30:31], v[6:7], v[2:5]
	v_mfma_f32_16x16x16_f16 v[2:5], v[32:33], v[8:9], v[2:5]
	s_waitcnt vmcnt(4) lgkmcnt(0)
	v_mfma_f32_16x16x16_f16 v[2:5], v[26:27], v[34:35], v[2:5]
	v_mfma_f32_16x16x16_f16 v[2:5], v[28:29], v[36:37], v[2:5]
	ds_read_b128 v[6:9], v45 offset:4096
	ds_read_b128 v[26:29], v45 offset:4112
	s_waitcnt vmcnt(3) lgkmcnt(1)
	v_mfma_f32_16x16x16_f16 v[2:5], v[22:23], v[6:7], v[2:5]
	v_mfma_f32_16x16x16_f16 v[2:5], v[24:25], v[8:9], v[2:5]
	s_waitcnt vmcnt(2) lgkmcnt(0)
	v_mfma_f32_16x16x16_f16 v[2:5], v[18:19], v[26:27], v[2:5]
	v_mfma_f32_16x16x16_f16 v[2:5], v[20:21], v[28:29], v[2:5]
	ds_read_b128 v[6:9], v45 offset:6144
	ds_read_b128 v[18:21], v45 offset:6160
	s_waitcnt lgkmcnt(0)
	s_barrier
	s_waitcnt vmcnt(1)
	v_mfma_f32_16x16x16_f16 v[2:5], v[14:15], v[6:7], v[2:5]
	v_mfma_f32_16x16x16_f16 v[2:5], v[16:17], v[8:9], v[2:5]
	s_waitcnt vmcnt(0)
	v_mfma_f32_16x16x16_f16 v[2:5], v[10:11], v[18:19], v[2:5]
	v_mfma_f32_16x16x16_f16 v[2:5], v[12:13], v[20:21], v[2:5]
	s_nop 6
	v_cvt_f16_f32_e32 v2, v2
	v_cvt_f16_f32_e32 v3, v3
	;; [unrolled: 1-line block ×4, first 2 shown]
	v_pack_b32_f16 v2, v2, v3
	v_pack_b32_f16 v3, v4, v5
	ds_write_b64 v44, v[2:3]
	s_waitcnt lgkmcnt(0)
	s_barrier
	s_and_saveexec_b64 s[8:9], s[4:5]
	s_cbranch_execz .LBB159_21
; %bb.20:
	s_load_dwordx2 s[0:1], s[0:1], 0x68
	s_lshl_b32 s6, s6, 6
	s_mul_i32 s2, s7, s2
	s_mul_hi_u32 s5, s2, s6
	s_mul_i32 s4, s2, s6
	s_lshl_b64 s[4:5], s[4:5], 1
	v_lshlrev_b32_e32 v2, 10, v0
	v_lshlrev_b32_e32 v0, 4, v0
	s_waitcnt lgkmcnt(0)
	s_add_u32 s4, s0, s4
	v_and_b32_e32 v2, 0x1800, v2
	v_lshlrev_b32_e32 v3, 5, v1
	v_and_b32_e32 v0, 16, v0
	s_addc_u32 s5, s1, s5
	s_lshl_b32 s2, s28, 6
	v_or3_b32 v0, v2, v3, v0
	s_lshl_b64 s[0:1], s[2:3], 1
	ds_read_b128 v[2:5], v0
	ds_read_b128 v[6:9], v0 offset:128
	s_add_u32 s0, s4, s0
	s_addc_u32 s1, s5, s1
	v_or_b32_e32 v12, s29, v1
	v_lshl_add_u64 v[10:11], v[42:43], 1, s[0:1]
	v_mad_u64_u32 v[0:1], s[0:1], v12, s6, 0
	v_lshl_add_u64 v[0:1], v[0:1], 1, v[10:11]
	s_waitcnt lgkmcnt(1)
	global_store_dwordx4 v[0:1], v[2:5], off
	v_or_b32_e32 v0, 4, v12
	v_mad_u64_u32 v[0:1], s[0:1], v0, s6, 0
	v_lshl_add_u64 v[0:1], v[0:1], 1, v[10:11]
	s_waitcnt lgkmcnt(0)
	global_store_dwordx4 v[0:1], v[6:9], off
.LBB159_21:
	s_endpgm
	.section	.rodata,"a",@progbits
	.p2align	6, 0x0
	.amdhsa_kernel _Z39paged_attention_ll4mi_QKV_mfma16_kernelIDF16_DF16_LN4vllm18Fp8KVCacheDataTypeE0EDF16_Li32ELi64ELi256ELb1ELi8EEvPKT_PKT0_S7_ifPKiS9_S9_iPKfiiiPfSC_PS2_PT2_iSB_SB_
		.amdhsa_group_segment_fixed_size 8192
		.amdhsa_private_segment_fixed_size 0
		.amdhsa_kernarg_size 400
		.amdhsa_user_sgpr_count 2
		.amdhsa_user_sgpr_dispatch_ptr 0
		.amdhsa_user_sgpr_queue_ptr 0
		.amdhsa_user_sgpr_kernarg_segment_ptr 1
		.amdhsa_user_sgpr_dispatch_id 0
		.amdhsa_user_sgpr_kernarg_preload_length 0
		.amdhsa_user_sgpr_kernarg_preload_offset 0
		.amdhsa_user_sgpr_private_segment_size 0
		.amdhsa_uses_dynamic_stack 0
		.amdhsa_enable_private_segment 0
		.amdhsa_system_sgpr_workgroup_id_x 1
		.amdhsa_system_sgpr_workgroup_id_y 1
		.amdhsa_system_sgpr_workgroup_id_z 1
		.amdhsa_system_sgpr_workgroup_info 0
		.amdhsa_system_vgpr_workitem_id 0
		.amdhsa_next_free_vgpr 73
		.amdhsa_next_free_sgpr 48
		.amdhsa_accum_offset 76
		.amdhsa_reserve_vcc 1
		.amdhsa_float_round_mode_32 0
		.amdhsa_float_round_mode_16_64 0
		.amdhsa_float_denorm_mode_32 3
		.amdhsa_float_denorm_mode_16_64 3
		.amdhsa_dx10_clamp 1
		.amdhsa_ieee_mode 1
		.amdhsa_fp16_overflow 0
		.amdhsa_tg_split 0
		.amdhsa_exception_fp_ieee_invalid_op 0
		.amdhsa_exception_fp_denorm_src 0
		.amdhsa_exception_fp_ieee_div_zero 0
		.amdhsa_exception_fp_ieee_overflow 0
		.amdhsa_exception_fp_ieee_underflow 0
		.amdhsa_exception_fp_ieee_inexact 0
		.amdhsa_exception_int_div_zero 0
	.end_amdhsa_kernel
	.section	.text._Z39paged_attention_ll4mi_QKV_mfma16_kernelIDF16_DF16_LN4vllm18Fp8KVCacheDataTypeE0EDF16_Li32ELi64ELi256ELb1ELi8EEvPKT_PKT0_S7_ifPKiS9_S9_iPKfiiiPfSC_PS2_PT2_iSB_SB_,"axG",@progbits,_Z39paged_attention_ll4mi_QKV_mfma16_kernelIDF16_DF16_LN4vllm18Fp8KVCacheDataTypeE0EDF16_Li32ELi64ELi256ELb1ELi8EEvPKT_PKT0_S7_ifPKiS9_S9_iPKfiiiPfSC_PS2_PT2_iSB_SB_,comdat
.Lfunc_end159:
	.size	_Z39paged_attention_ll4mi_QKV_mfma16_kernelIDF16_DF16_LN4vllm18Fp8KVCacheDataTypeE0EDF16_Li32ELi64ELi256ELb1ELi8EEvPKT_PKT0_S7_ifPKiS9_S9_iPKfiiiPfSC_PS2_PT2_iSB_SB_, .Lfunc_end159-_Z39paged_attention_ll4mi_QKV_mfma16_kernelIDF16_DF16_LN4vllm18Fp8KVCacheDataTypeE0EDF16_Li32ELi64ELi256ELb1ELi8EEvPKT_PKT0_S7_ifPKiS9_S9_iPKfiiiPfSC_PS2_PT2_iSB_SB_
                                        ; -- End function
	.section	.AMDGPU.csdata,"",@progbits
; Kernel info:
; codeLenInByte = 4108
; NumSgprs: 54
; NumVgprs: 73
; NumAgprs: 0
; TotalNumVgprs: 73
; ScratchSize: 0
; MemoryBound: 0
; FloatMode: 240
; IeeeMode: 1
; LDSByteSize: 8192 bytes/workgroup (compile time only)
; SGPRBlocks: 6
; VGPRBlocks: 9
; NumSGPRsForWavesPerEU: 54
; NumVGPRsForWavesPerEU: 73
; AccumOffset: 76
; Occupancy: 6
; WaveLimiterHint : 1
; COMPUTE_PGM_RSRC2:SCRATCH_EN: 0
; COMPUTE_PGM_RSRC2:USER_SGPR: 2
; COMPUTE_PGM_RSRC2:TRAP_HANDLER: 0
; COMPUTE_PGM_RSRC2:TGID_X_EN: 1
; COMPUTE_PGM_RSRC2:TGID_Y_EN: 1
; COMPUTE_PGM_RSRC2:TGID_Z_EN: 1
; COMPUTE_PGM_RSRC2:TIDIG_COMP_CNT: 0
; COMPUTE_PGM_RSRC3_GFX90A:ACCUM_OFFSET: 18
; COMPUTE_PGM_RSRC3_GFX90A:TG_SPLIT: 0
	.section	.text._Z39paged_attention_ll4mi_QKV_mfma16_kernelIDF16_DF16_LN4vllm18Fp8KVCacheDataTypeE0EDF16_Li32ELi64ELi256ELb1ELi9EEvPKT_PKT0_S7_ifPKiS9_S9_iPKfiiiPfSC_PS2_PT2_iSB_SB_,"axG",@progbits,_Z39paged_attention_ll4mi_QKV_mfma16_kernelIDF16_DF16_LN4vllm18Fp8KVCacheDataTypeE0EDF16_Li32ELi64ELi256ELb1ELi9EEvPKT_PKT0_S7_ifPKiS9_S9_iPKfiiiPfSC_PS2_PT2_iSB_SB_,comdat
	.protected	_Z39paged_attention_ll4mi_QKV_mfma16_kernelIDF16_DF16_LN4vllm18Fp8KVCacheDataTypeE0EDF16_Li32ELi64ELi256ELb1ELi9EEvPKT_PKT0_S7_ifPKiS9_S9_iPKfiiiPfSC_PS2_PT2_iSB_SB_ ; -- Begin function _Z39paged_attention_ll4mi_QKV_mfma16_kernelIDF16_DF16_LN4vllm18Fp8KVCacheDataTypeE0EDF16_Li32ELi64ELi256ELb1ELi9EEvPKT_PKT0_S7_ifPKiS9_S9_iPKfiiiPfSC_PS2_PT2_iSB_SB_
	.globl	_Z39paged_attention_ll4mi_QKV_mfma16_kernelIDF16_DF16_LN4vllm18Fp8KVCacheDataTypeE0EDF16_Li32ELi64ELi256ELb1ELi9EEvPKT_PKT0_S7_ifPKiS9_S9_iPKfiiiPfSC_PS2_PT2_iSB_SB_
	.p2align	8
	.type	_Z39paged_attention_ll4mi_QKV_mfma16_kernelIDF16_DF16_LN4vllm18Fp8KVCacheDataTypeE0EDF16_Li32ELi64ELi256ELb1ELi9EEvPKT_PKT0_S7_ifPKiS9_S9_iPKfiiiPfSC_PS2_PT2_iSB_SB_,@function
_Z39paged_attention_ll4mi_QKV_mfma16_kernelIDF16_DF16_LN4vllm18Fp8KVCacheDataTypeE0EDF16_Li32ELi64ELi256ELb1ELi9EEvPKT_PKT0_S7_ifPKiS9_S9_iPKfiiiPfSC_PS2_PT2_iSB_SB_: ; @_Z39paged_attention_ll4mi_QKV_mfma16_kernelIDF16_DF16_LN4vllm18Fp8KVCacheDataTypeE0EDF16_Li32ELi64ELi256ELb1ELi9EEvPKT_PKT0_S7_ifPKiS9_S9_iPKfiiiPfSC_PS2_PT2_iSB_SB_
; %bb.0:
	s_load_dwordx2 s[6:7], s[0:1], 0x30
	s_mov_b32 s28, s3
	s_mov_b64 s[8:9], 0
	s_waitcnt lgkmcnt(0)
	s_cmp_lg_u64 s[6:7], 0
	s_cselect_b64 s[10:11], -1, 0
	s_and_b64 vcc, exec, s[10:11]
	s_cbranch_vccz .LBB160_7
; %bb.1:
	s_add_i32 s12, s2, 1
	s_mov_b32 s13, 0
	s_lshl_b64 s[14:15], s[12:13], 2
	s_add_u32 s14, s6, s14
	s_mov_b32 s3, s13
	s_addc_u32 s15, s7, s15
	s_lshl_b64 s[12:13], s[2:3], 2
	s_add_u32 s12, s6, s12
	s_addc_u32 s13, s7, s13
	s_load_dword s5, s[14:15], 0x0
	s_load_dword s16, s[12:13], 0x0
	s_waitcnt lgkmcnt(0)
	s_sub_i32 s5, s5, s16
	s_cmp_eq_u32 s5, 1
	s_cselect_b64 s[12:13], -1, 0
	s_andn2_b64 vcc, exec, s[8:9]
	s_cbranch_vccnz .LBB160_3
.LBB160_2:
	s_mov_b32 s3, 0
	s_mov_b64 s[12:13], -1
.LBB160_3:
	s_andn2_b64 vcc, exec, s[12:13]
	s_cbranch_vccnz .LBB160_22
; %bb.4:
	s_load_dwordx2 s[8:9], s[0:1], 0x28
	s_lshl_b64 s[12:13], s[2:3], 2
	s_waitcnt lgkmcnt(0)
	s_add_u32 s8, s8, s12
	s_addc_u32 s9, s9, s13
	s_load_dword s29, s[8:9], 0x0
	s_lshl_b32 s14, s28, 8
	s_waitcnt lgkmcnt(0)
	s_cmp_ge_i32 s14, s29
	s_cbranch_scc1 .LBB160_22
; %bb.5:
	s_load_dwordx2 s[8:9], s[0:1], 0x20
	s_load_dword s5, s[0:1], 0x38
	s_add_i32 s15, s29, 31
	s_ashr_i32 s16, s15, 31
	v_and_b32_e32 v1, 0xcf, v0
	s_lshr_b32 s16, s16, 27
	v_add_u32_e32 v1, s14, v1
	s_add_i32 s15, s15, s16
	v_ashrrev_i32_e32 v2, 31, v1
	s_ashr_i32 s15, s15, 5
	v_lshrrev_b32_e32 v6, 27, v2
	s_add_i32 s15, s15, -1
	s_waitcnt lgkmcnt(0)
	s_mul_i32 s16, s2, s5
	s_mov_b32 s17, 0
	v_add_u32_e32 v2, v1, v6
	s_lshl_b64 s[16:17], s[16:17], 2
	v_ashrrev_i32_e32 v2, 5, v2
	v_mov_b32_e32 v7, s15
	v_cmp_gt_i32_e32 vcc, s29, v1
	s_add_u32 s8, s8, s16
	s_addc_u32 s9, s9, s17
	v_cndmask_b32_e32 v2, v7, v2, vcc
	v_ashrrev_i32_e32 v3, 31, v2
	v_lshl_add_u64 v[4:5], v[2:3], 2, s[8:9]
	v_or_b32_e32 v2, 16, v1
	v_add_u32_e32 v3, v2, v6
	v_ashrrev_i32_e32 v3, 5, v3
	v_cmp_gt_i32_e32 vcc, s29, v2
	s_nop 1
	v_cndmask_b32_e32 v2, v7, v3, vcc
	v_ashrrev_i32_e32 v3, 31, v2
	v_lshl_add_u64 v[8:9], v[2:3], 2, s[8:9]
	v_or_b32_e32 v2, 32, v1
	v_add_u32_e32 v3, v2, v6
	v_ashrrev_i32_e32 v3, 5, v3
	v_cmp_gt_i32_e32 vcc, s29, v2
	v_or_b32_e32 v1, 48, v1
	s_nop 0
	v_cndmask_b32_e32 v2, v7, v3, vcc
	v_ashrrev_i32_e32 v3, 31, v2
	v_lshl_add_u64 v[12:13], v[2:3], 2, s[8:9]
	v_add_u32_e32 v2, v1, v6
	v_ashrrev_i32_e32 v2, 5, v2
	v_cmp_gt_i32_e32 vcc, s29, v1
	s_nop 1
	v_cndmask_b32_e32 v2, v7, v2, vcc
	v_ashrrev_i32_e32 v3, 31, v2
	v_lshl_add_u64 v[16:17], v[2:3], 2, s[8:9]
	global_load_dword v2, v[4:5], off
	global_load_dword v6, v[8:9], off
	;; [unrolled: 1-line block ×4, first 2 shown]
	s_andn2_b64 vcc, exec, s[10:11]
	s_cbranch_vccnz .LBB160_8
; %bb.6:
	s_add_u32 s6, s6, s12
	s_addc_u32 s7, s7, s13
	s_load_dword s5, s[6:7], 0x0
	s_branch .LBB160_9
.LBB160_7:
	s_mov_b64 s[12:13], 0
	s_branch .LBB160_2
.LBB160_8:
	s_mov_b32 s5, s2
.LBB160_9:
	s_load_dwordx2 s[10:11], s[0:1], 0x8
	s_load_dwordx4 s[44:47], s[0:1], 0x48
	v_lshrrev_b32_e32 v1, 6, v0
	v_bfe_u32 v54, v0, 4, 2
	v_lshl_or_b32 v3, v1, 2, v54
	v_and_b32_e32 v44, 15, v0
	v_cmp_lt_u32_e32 vcc, 8, v3
	v_cmp_lt_u32_e64 s[6:7], 7, v44
	v_lshlrev_b32_e32 v42, 3, v44
	v_cmp_gt_u32_e64 s[30:31], 8, v44
	s_or_b64 s[6:7], s[6:7], vcc
	s_and_saveexec_b64 s[12:13], s[6:7]
	s_xor_b64 s[6:7], exec, s[12:13]
; %bb.10:
	v_mov_b32_e32 v43, 0
                                        ; implicit-def: $vgpr3
; %bb.11:
	s_or_saveexec_b64 s[12:13], s[6:7]
	s_load_dwordx2 s[6:7], s[0:1], 0x10
	s_mul_i32 s42, s4, 9
	s_xor_b64 exec, exec, s[12:13]
	s_cbranch_execz .LBB160_13
; %bb.12:
	s_load_dwordx2 s[16:17], s[0:1], 0x0
	s_waitcnt lgkmcnt(0)
	s_ashr_i32 s18, s44, 31
	s_mul_hi_u32 s19, s5, s44
	s_mul_i32 s18, s5, s18
	s_add_i32 s19, s19, s18
	s_mul_i32 s18, s5, s44
	s_lshl_b64 s[18:19], s[18:19], 1
	s_add_u32 s16, s16, s18
	v_add_lshl_u32 v4, v3, s42, 6
	s_addc_u32 s17, s17, s19
	v_ashrrev_i32_e32 v5, 31, v4
	v_mov_b32_e32 v43, 0
	v_lshl_add_u64 v[4:5], v[4:5], 1, s[16:17]
	v_lshlrev_b32_e32 v8, 1, v42
	v_mov_b32_e32 v9, v43
	v_lshl_add_u64 v[4:5], v[4:5], 0, v[8:9]
	global_load_dwordx4 v[16:19], v[4:5], off
	v_and_b32_e32 v4, 3, v0
	v_lshlrev_b32_e32 v5, 9, v44
	v_lshlrev_b32_e32 v3, 5, v3
	;; [unrolled: 1-line block ×3, first 2 shown]
	v_and_b32_e32 v5, 0x1800, v5
	v_or3_b32 v3, v5, v4, v3
	s_waitcnt vmcnt(0)
	ds_write_b128 v3, v[16:19]
.LBB160_13:
	s_or_b64 exec, exec, s[12:13]
	s_waitcnt lgkmcnt(0)
	s_mul_i32 s4, s4, s46
	s_mov_b32 s5, 0
	s_lshl_b64 s[4:5], s[4:5], 1
	s_add_u32 s10, s10, s4
	s_addc_u32 s11, s11, s5
	s_waitcnt vmcnt(3)
	v_mad_i64_i32 v[2:3], s[12:13], v2, s45, 0
	v_lshl_add_u64 v[2:3], v[2:3], 1, s[10:11]
	v_lshlrev_b64 v[12:13], 1, v[42:43]
	v_lshlrev_b32_e32 v46, 9, v54
	v_lshl_add_u64 v[2:3], v[2:3], 0, v[12:13]
	v_mov_b32_e32 v47, 0
	v_lshl_add_u64 v[8:9], v[2:3], 0, v[46:47]
	s_barrier
	global_load_dwordx4 v[22:25], v[8:9], off
	global_load_dwordx4 v[2:5], v[8:9], off offset:2048
	s_waitcnt vmcnt(4)
	v_mad_i64_i32 v[6:7], s[12:13], v6, s45, 0
	v_mov_b32_e32 v8, 0x100
	v_lshl_add_u64 v[6:7], v[6:7], 1, s[10:11]
	v_lshl_or_b32 v16, v44, 4, v8
	v_mov_b32_e32 v17, v47
	s_waitcnt vmcnt(3)
	v_mad_i64_i32 v[10:11], s[12:13], v10, s45, 0
	v_lshl_add_u64 v[6:7], v[6:7], 0, v[16:17]
	v_lshl_add_u64 v[10:11], v[10:11], 1, s[10:11]
	s_waitcnt vmcnt(2)
	v_mad_i64_i32 v[14:15], s[12:13], v14, s45, 0
	v_lshl_add_u64 v[18:19], v[6:7], 0, v[46:47]
	v_lshl_add_u64 v[10:11], v[10:11], 0, v[12:13]
	;; [unrolled: 1-line block ×3, first 2 shown]
	global_load_dwordx4 v[26:29], v[18:19], off
	global_load_dwordx4 v[6:9], v[18:19], off offset:2048
	v_lshl_add_u64 v[18:19], v[10:11], 0, v[46:47]
	v_lshl_add_u64 v[14:15], v[14:15], 0, v[16:17]
	global_load_dwordx4 v[30:33], v[18:19], off
	global_load_dwordx4 v[10:13], v[18:19], off offset:2048
	v_lshl_add_u64 v[18:19], v[14:15], 0, v[46:47]
	global_load_dwordx4 v[34:37], v[18:19], off
	global_load_dwordx4 v[14:17], v[18:19], off offset:2048
	v_add_u32_e32 v18, -9, v44
	v_cmp_gt_u32_e32 vcc, 9, v44
	v_and_b32_e32 v45, 63, v0
	v_mov_b32_e32 v50, 0
	v_cndmask_b32_e32 v18, v18, v44, vcc
	v_lshl_add_u32 v18, v18, 5, v46
	ds_read_b128 v[38:41], v18
	ds_read_b128 v[18:21], v18 offset:2048
	s_and_saveexec_b64 s[10:11], vcc
	s_cbranch_execz .LBB160_15
; %bb.14:
	s_load_dwordx2 s[12:13], s[0:1], 0x40
	v_add_u32_e32 v48, s42, v44
	v_ashrrev_i32_e32 v49, 31, v48
	s_waitcnt lgkmcnt(0)
	v_lshl_add_u64 v[48:49], v[48:49], 2, s[12:13]
	global_load_dword v50, v[48:49], off
.LBB160_15:
	s_or_b64 exec, exec, s[10:11]
	s_ashr_i32 s10, s14, 31
	v_and_or_b32 v46, v0, 48, s14
	s_lshr_b32 s11, s10, 27
	v_add_u32_e32 v48, s11, v46
	v_or_b32_e32 v52, 64, v46
	v_ashrrev_i32_e32 v48, 5, v48
	v_mov_b32_e32 v51, s15
	v_cmp_gt_i32_e32 vcc, s29, v46
	v_add_u32_e32 v53, s11, v52
	s_waitcnt vmcnt(7) lgkmcnt(1)
	v_mfma_f32_16x16x16_f16 v[56:59], v[22:23], v[38:39], 0
	v_cndmask_b32_e32 v48, v51, v48, vcc
	v_ashrrev_i32_e32 v22, 5, v53
	v_cmp_gt_i32_e32 vcc, s29, v52
	v_ashrrev_i32_e32 v49, 31, v48
	v_lshl_add_u64 v[48:49], v[48:49], 2, s[8:9]
	v_cndmask_b32_e32 v22, v51, v22, vcc
	v_ashrrev_i32_e32 v23, 31, v22
	v_lshl_add_u64 v[22:23], v[22:23], 2, s[8:9]
	global_load_dword v55, v[48:49], off
	global_load_dword v72, v[22:23], off
	s_waitcnt vmcnt(3)
	v_mfma_f32_16x16x16_f16 v[68:71], v[34:35], v[38:39], 0
	v_or_b32_e32 v48, 0xc0, v46
	v_add_u32_e32 v52, s11, v48
	s_add_u32 s4, s6, s4
	v_mfma_f32_16x16x16_f16 v[60:63], v[26:27], v[38:39], 0
	s_addc_u32 s5, s7, s5
	s_load_dword s10, s[0:1], 0x1c
	s_mov_b32 s33, 0xff7fffff
	v_mfma_f32_16x16x16_f16 v[64:67], v[30:31], v[38:39], 0
	v_and_b32_e32 v31, 0xc0, v0
	v_or_b32_e32 v38, 0x80, v46
	v_add_u32_e32 v34, s14, v31
	v_mfma_f32_16x16x16_f16 v[22:25], v[24:25], v[40:41], v[56:59]
	v_and_b32_e32 v30, 16, v0
	v_add_u32_e32 v49, s11, v38
	v_lshlrev_b32_e32 v46, 1, v30
	v_lshl_or_b32 v56, v54, 2, v34
	v_mfma_f32_16x16x16_f16 v[34:37], v[36:37], v[40:41], v[68:71]
	v_cmp_gt_i32_e32 vcc, s29, v38
	v_lshlrev_b32_e32 v39, 6, v44
	v_or_b32_e32 v57, 1, v56
	v_mfma_f32_16x16x16_f16 v[26:29], v[28:29], v[40:41], v[60:63]
	v_cmp_gt_i32_e64 s[34:35], s29, v57
	v_mfma_f32_16x16x16_f16 v[30:33], v[32:33], v[40:41], v[64:67]
	v_ashrrev_i32_e32 v40, 5, v49
	v_ashrrev_i32_e32 v41, 5, v52
	v_cndmask_b32_e32 v38, v51, v40, vcc
	v_cmp_gt_i32_e32 vcc, s29, v48
	s_waitcnt lgkmcnt(0)
	v_mfma_f32_16x16x16_f16 v[22:25], v[2:3], v[18:19], v[22:25]
	v_lshl_add_u64 v[2:3], s[4:5], 0, v[46:47]
	v_cndmask_b32_e32 v40, v51, v41, vcc
	v_lshl_or_b32 v46, v1, 10, v39
	v_ashrrev_i32_e32 v39, 31, v38
	v_ashrrev_i32_e32 v41, 31, v40
	s_waitcnt vmcnt(2)
	v_mfma_f32_16x16x16_f16 v[34:37], v[14:15], v[18:19], v[34:37]
	v_lshl_add_u64 v[14:15], v[38:39], 2, s[8:9]
	v_subrev_u32_e32 v51, s29, v57
	v_cvt_f32_i32_e32 v58, v51
	v_mfma_f32_16x16x16_f16 v[26:29], v[6:7], v[18:19], v[26:29]
	v_mfma_f32_16x16x16_f16 v[30:33], v[10:11], v[18:19], v[30:33]
	v_lshl_add_u64 v[18:19], v[40:41], 2, s[8:9]
	global_load_dword v59, v[14:15], off
	global_load_dword v60, v[18:19], off
	v_lshl_add_u64 v[10:11], v[2:3], 0, v[46:47]
	v_mfma_f32_16x16x16_f16 v[2:5], v[4:5], v[20:21], v[22:25]
	v_add_u32_e32 v46, 1, v51
	v_add_u32_e32 v47, 3, v51
	;; [unrolled: 1-line block ×3, first 2 shown]
	v_mfma_f32_16x16x16_f16 v[14:17], v[16:17], v[20:21], v[34:37]
	v_add_u32_e32 v22, 2, v51
	s_nop 1
	v_pk_mul_f32 v[52:53], s[10:11], v[4:5] op_sel_hi:[0,1]
	v_cvt_f32_i32_e32 v18, v18
	v_mfma_f32_16x16x16_f16 v[6:9], v[8:9], v[20:21], v[26:29]
	v_add_u32_e32 v19, 19, v51
	v_pk_mul_f32 v[34:35], s[10:11], v[16:17] op_sel_hi:[0,1]
	v_pk_mul_f32 v[36:37], s[10:11], v[14:15] op_sel_hi:[0,1]
	v_cvt_f32_i32_e32 v27, v22
	v_mfma_f32_16x16x16_f16 v[22:25], v[12:13], v[20:21], v[30:33]
	v_pk_mul_f32 v[12:13], s[10:11], v[2:3] op_sel_hi:[0,1]
	v_cvt_f32_i32_e32 v26, v46
	v_cvt_f32_i32_e32 v28, v47
	v_pk_mul_f32 v[46:47], s[10:11], v[8:9] op_sel_hi:[0,1]
	v_pk_mul_f32 v[48:49], s[10:11], v[6:7] op_sel_hi:[0,1]
	v_cvt_f32_i32_e32 v19, v19
	v_fma_f32 v46, v50, v18, v46
	v_add_u32_e32 v18, 34, v51
	v_cvt_f32_i32_e32 v18, v18
	v_fmac_f32_e32 v47, v50, v19
	v_add_u32_e32 v19, 35, v51
	v_cvt_f32_i32_e32 v19, v19
	v_pk_mul_f32 v[40:41], s[10:11], v[22:23] op_sel_hi:[0,1]
	v_pk_mul_f32 v[38:39], s[10:11], v[24:25] op_sel_hi:[0,1]
	v_fma_f32 v38, v50, v18, v38
	v_add_u32_e32 v18, 50, v51
	s_waitcnt vmcnt(3)
	v_mad_i64_i32 v[2:3], s[4:5], v55, s45, 0
	s_waitcnt vmcnt(2)
	v_mad_i64_i32 v[4:5], s[4:5], v72, s45, 0
	v_lshl_add_u64 v[16:17], v[2:3], 1, v[10:11]
	v_lshl_add_u64 v[14:15], v[4:5], 1, v[10:11]
	global_load_dwordx4 v[6:9], v[16:17], off
	global_load_dwordx4 v[2:5], v[16:17], off offset:16
	v_add_u32_e32 v16, 16, v51
	v_cvt_f32_i32_e32 v16, v16
	v_add_u32_e32 v17, 17, v51
	v_cvt_f32_i32_e32 v17, v17
	v_fmac_f32_e32 v39, v50, v19
	v_fma_f32 v48, v50, v16, v48
	v_add_u32_e32 v16, 32, v51
	v_fmac_f32_e32 v49, v50, v17
	v_cvt_f32_i32_e32 v16, v16
	v_add_u32_e32 v17, 33, v51
	v_cvt_f32_i32_e32 v17, v17
	v_cvt_f32_i32_e32 v18, v18
	v_fma_f32 v40, v50, v16, v40
	v_add_u32_e32 v16, 48, v51
	v_fmac_f32_e32 v41, v50, v17
	v_cvt_f32_i32_e32 v16, v16
	v_add_u32_e32 v17, 49, v51
	v_cvt_f32_i32_e32 v17, v17
	v_add_u32_e32 v19, 51, v51
	v_cvt_f32_i32_e32 v19, v19
	v_fma_f32 v12, v50, v58, v12
	v_fmac_f32_e32 v13, v50, v26
	v_fma_f32 v36, v50, v16, v36
	v_mov_b32_e32 v16, 0xff7fffff
	v_cmp_gt_i32_e64 s[4:5], s29, v56
	v_fmac_f32_e32 v37, v50, v17
	v_fma_f32 v34, v50, v18, v34
	v_cndmask_b32_e64 v17, v16, v12, s[4:5]
	v_cndmask_b32_e64 v18, v16, v13, s[34:35]
	v_fmac_f32_e32 v35, v50, v19
	v_max3_f32 v17, v17, s33, v18
	v_or_b32_e32 v18, 2, v56
	v_or_b32_e32 v19, 3, v56
	v_fma_f32 v52, v50, v27, v52
	v_fmac_f32_e32 v53, v50, v28
	v_cmp_gt_i32_e64 s[36:37], s29, v18
	v_cmp_gt_i32_e64 s[38:39], s29, v19
	global_load_dwordx4 v[30:33], v[14:15], off
	global_load_dwordx4 v[26:29], v[14:15], off offset:16
	v_cndmask_b32_e64 v18, v16, v52, s[36:37]
	v_cndmask_b32_e64 v19, v16, v53, s[38:39]
	v_max3_f32 v17, v17, v18, v19
	v_or_b32_e32 v18, 16, v56
	v_or_b32_e32 v19, 17, v56
	v_cmp_gt_i32_e64 s[24:25], s29, v18
	v_cmp_gt_i32_e64 s[26:27], s29, v19
	s_nop 0
	v_cndmask_b32_e64 v18, v16, v48, s[24:25]
	v_cndmask_b32_e64 v19, v16, v49, s[26:27]
	v_max3_f32 v17, v17, v18, v19
	v_or_b32_e32 v18, 18, v56
	v_or_b32_e32 v19, 19, v56
	v_cmp_gt_i32_e64 s[20:21], s29, v18
	v_cmp_gt_i32_e64 s[22:23], s29, v19
	s_nop 0
	;; [unrolled: 8-line block ×5, first 2 shown]
	v_cndmask_b32_e64 v18, v16, v36, s[8:9]
	v_cndmask_b32_e64 v19, v16, v37, s[10:11]
	v_max3_f32 v17, v17, v18, v19
	v_or_b32_e32 v18, 50, v56
	v_or_b32_e32 v19, 51, v56
	v_cmp_gt_i32_e32 vcc, s29, v18
	v_cmp_gt_i32_e64 s[6:7], s29, v19
	s_nop 0
	v_cndmask_b32_e32 v18, v16, v34, vcc
	v_cndmask_b32_e64 v16, v16, v35, s[6:7]
	v_max3_f32 v16, v17, v18, v16
	v_mbcnt_lo_u32_b32 v17, -1, 0
	v_mbcnt_hi_u32_b32 v17, -1, v17
	v_and_b32_e32 v18, 64, v17
	v_add_u32_e32 v18, 64, v18
	v_xor_b32_e32 v19, 32, v17
	v_cmp_lt_i32_e64 s[40:41], v19, v18
	s_nop 1
	v_cndmask_b32_e64 v19, v17, v19, s[40:41]
	v_lshlrev_b32_e32 v56, 2, v19
	ds_bpermute_b32 v19, v56, v16
	s_waitcnt vmcnt(5)
	v_mad_i64_i32 v[14:15], s[40:41], v59, s45, 0
	v_lshl_add_u64 v[14:15], v[14:15], 1, v[10:11]
	s_waitcnt lgkmcnt(0)
	v_max_f32_e32 v19, v19, v19
	v_max_f32_e32 v16, v16, v19
	v_xor_b32_e32 v19, 16, v17
	v_cmp_lt_i32_e64 s[40:41], v19, v18
	s_nop 1
	v_cndmask_b32_e64 v17, v17, v19, s[40:41]
	v_lshlrev_b32_e32 v57, 2, v17
	ds_bpermute_b32 v17, v57, v16
	global_load_dwordx4 v[22:25], v[14:15], off
	global_load_dwordx4 v[18:21], v[14:15], off offset:16
	s_waitcnt vmcnt(6)
	v_mad_i64_i32 v[14:15], s[40:41], v60, s45, 0
	v_lshl_add_u64 v[10:11], v[14:15], 1, v[10:11]
	s_waitcnt lgkmcnt(0)
	v_max_f32_e32 v14, v17, v17
	v_max_f32_e32 v55, v16, v14
	v_sub_f32_e32 v12, v12, v55
	v_mul_f32_e32 v12, 0x3fb8aa3b, v12
	v_exp_f32_e32 v50, v12
	v_sub_f32_e32 v12, v13, v55
	v_mul_f32_e32 v12, 0x3fb8aa3b, v12
	v_exp_f32_e32 v51, v12
	global_load_dwordx4 v[14:17], v[10:11], off
	s_nop 0
	global_load_dwordx4 v[10:13], v[10:11], off offset:16
	v_sub_f32_e32 v52, v52, v55
	v_mul_f32_e32 v52, 0x3fb8aa3b, v52
	v_sub_f32_e32 v53, v53, v55
	v_exp_f32_e32 v52, v52
	v_mul_f32_e32 v53, 0x3fb8aa3b, v53
	v_sub_f32_e32 v48, v48, v55
	v_exp_f32_e32 v53, v53
	v_mul_f32_e32 v48, 0x3fb8aa3b, v48
	v_sub_f32_e32 v49, v49, v55
	v_cndmask_b32_e64 v50, 0, v50, s[4:5]
	v_exp_f32_e32 v48, v48
	v_mul_f32_e32 v49, 0x3fb8aa3b, v49
	v_sub_f32_e32 v46, v46, v55
	v_add_f32_e32 v58, 0, v50
	v_cndmask_b32_e64 v51, 0, v51, s[34:35]
	v_exp_f32_e32 v49, v49
	v_mul_f32_e32 v46, 0x3fb8aa3b, v46
	v_sub_f32_e32 v47, v47, v55
	v_add_f32_e32 v58, v58, v51
	;; [unrolled: 5-line block ×10, first 2 shown]
	v_cndmask_b32_e64 v38, 0, v38, s[12:13]
	v_exp_f32_e32 v34, v34
	v_mul_f32_e32 v35, 0x3fb8aa3b, v35
	v_add_f32_e32 v58, v58, v38
	v_cndmask_b32_e64 v39, 0, v39, s[14:15]
	v_exp_f32_e32 v35, v35
	v_add_f32_e32 v58, v58, v39
	v_cndmask_b32_e64 v36, 0, v36, s[8:9]
	v_add_f32_e32 v58, v58, v36
	v_cndmask_b32_e64 v37, 0, v37, s[10:11]
	v_add_f32_e32 v58, v58, v37
	v_cndmask_b32_e32 v34, 0, v34, vcc
	v_add_f32_e32 v58, v58, v34
	v_cndmask_b32_e64 v35, 0, v35, s[6:7]
	v_add_f32_e32 v58, v58, v35
	ds_bpermute_b32 v56, v56, v58
	s_load_dword s9, s[0:1], 0x98
	v_cmp_gt_u32_e64 s[6:7], 16, v45
	v_lshlrev_b32_e32 v45, 2, v44
	s_waitcnt lgkmcnt(0)
	v_add_f32_e32 v56, v58, v56
	ds_bpermute_b32 v57, v57, v56
	s_barrier
	s_waitcnt lgkmcnt(0)
	s_and_saveexec_b64 s[4:5], s[6:7]
	s_cbranch_execz .LBB160_17
; %bb.16:
	v_add_f32_e32 v56, v56, v57
	v_lshl_or_b32 v57, v1, 6, v45
	ds_write2st64_b32 v57, v55, v56 offset1:1
.LBB160_17:
	s_or_b64 exec, exec, s[4:5]
	s_load_dword s8, s[0:1], 0x94
	s_waitcnt lgkmcnt(0)
	s_barrier
	ds_read2_b32 v[56:57], v45 offset1:16
	ds_read2_b32 v[58:59], v45 offset0:32 offset1:48
	ds_read2_b32 v[60:61], v45 offset0:64 offset1:80
	;; [unrolled: 1-line block ×3, first 2 shown]
	s_waitcnt lgkmcnt(0)
	v_max3_f32 v55, v56, s33, v57
	v_max3_f32 v55, v55, v58, v59
	v_sub_f32_e32 v56, v56, v55
	v_mul_f32_e32 v56, 0x3fb8aa3b, v56
	v_exp_f32_e32 v64, v56
	v_sub_f32_e32 v56, v57, v55
	v_mul_f32_e32 v56, 0x3fb8aa3b, v56
	v_exp_f32_e32 v57, v56
	v_sub_f32_e32 v56, v58, v55
	v_mul_f32_e32 v56, 0x3fb8aa3b, v56
	v_sub_f32_e32 v45, v59, v55
	v_exp_f32_e32 v58, v56
	v_mul_f32_e32 v45, 0x3fb8aa3b, v45
	v_exp_f32_e32 v45, v45
	v_fma_f32 v56, v64, v60, 0
	v_fmac_f32_e32 v56, v57, v61
	v_fmac_f32_e32 v56, v58, v62
	;; [unrolled: 1-line block ×3, first 2 shown]
	v_add_f32_e32 v59, 0x358637bd, v56
	v_div_scale_f32 v60, s[4:5], v59, v59, 1.0
	v_rcp_f32_e32 v61, v60
	s_barrier
	s_mul_i32 s9, s9, 9
	v_fma_f32 v62, -v60, v61, 1.0
	v_fmac_f32_e32 v61, v62, v61
	v_div_scale_f32 v62, vcc, 1.0, v59, 1.0
	v_mul_f32_e32 v63, v62, v61
	v_fma_f32 v65, -v60, v63, v62
	v_fmac_f32_e32 v63, v65, v61
	v_fma_f32 v60, -v60, v63, v62
	v_div_fmas_f32 v60, v60, v61, v63
	v_cmp_eq_u32_e32 vcc, 1, v1
	v_div_fixup_f32 v59, v60, v59, 1.0
	s_nop 0
	v_cndmask_b32_e32 v57, v64, v57, vcc
	v_cmp_eq_u32_e32 vcc, 2, v1
	s_nop 1
	v_cndmask_b32_e32 v57, v57, v58, vcc
	v_cmp_eq_u32_e32 vcc, 3, v1
	v_lshlrev_b32_e32 v1, 11, v1
	s_nop 0
	v_cndmask_b32_e32 v45, v57, v45, vcc
	v_mul_f32_e32 v58, v45, v59
	v_pk_mul_f32 v[52:53], v[58:59], v[52:53] op_sel_hi:[0,1]
	v_pk_mul_f32 v[50:51], v[58:59], v[50:51] op_sel_hi:[0,1]
	v_cvt_f16_f32_e32 v45, v50
	v_cvt_f16_f32_e32 v50, v51
	;; [unrolled: 1-line block ×4, first 2 shown]
	v_pk_mul_f32 v[46:47], v[58:59], v[46:47] op_sel_hi:[0,1]
	v_pk_mul_f32 v[48:49], v[58:59], v[48:49] op_sel_hi:[0,1]
	v_cvt_f16_f32_e32 v48, v48
	v_pack_b32_f16 v53, v51, v53
	v_cvt_f16_f32_e32 v49, v49
	v_cvt_f16_f32_e32 v51, v46
	;; [unrolled: 1-line block ×3, first 2 shown]
	v_pack_b32_f16 v52, v45, v50
	v_lshlrev_b32_e32 v45, 3, v54
	v_lshlrev_b32_e32 v50, 5, v44
	v_or3_b32 v1, v1, v50, v45
	v_pack_b32_f16 v46, v48, v49
	v_pack_b32_f16 v47, v51, v47
	v_pk_mul_f32 v[38:39], v[58:59], v[38:39] op_sel_hi:[0,1]
	v_pk_mul_f32 v[40:41], v[58:59], v[40:41] op_sel_hi:[0,1]
	;; [unrolled: 1-line block ×4, first 2 shown]
	ds_write2st64_b64 v1, v[52:53], v[46:47] offset1:1
	v_cvt_f16_f32_e32 v40, v40
	v_cvt_f16_f32_e32 v41, v41
	;; [unrolled: 1-line block ×8, first 2 shown]
	v_pack_b32_f16 v34, v40, v41
	v_pack_b32_f16 v35, v38, v39
	;; [unrolled: 1-line block ×4, first 2 shown]
	v_cmp_gt_u32_e32 vcc, 9, v0
	ds_write2st64_b64 v1, v[34:35], v[36:37] offset0:2 offset1:3
	s_and_saveexec_b64 s[4:5], vcc
	s_cbranch_execz .LBB160_19
; %bb.18:
	s_mov_b32 s43, 0
	v_mov_b32_e32 v45, 0
	v_lshl_add_u64 v[34:35], s[42:43], 0, v[44:45]
	v_mov_b32_e32 v36, s9
	v_mad_u64_u32 v[34:35], s[10:11], s2, v36, v[34:35]
	s_mul_i32 s3, s3, s9
	v_mov_b32_e32 v44, s28
	s_load_dwordx4 s[12:15], s[0:1], 0x58
	v_add_u32_e32 v37, s3, v35
	v_mad_u64_u32 v[34:35], s[10:11], v34, s8, v[44:45]
	v_mov_b32_e32 v36, v35
	v_mad_u64_u32 v[36:37], s[10:11], v37, s8, v[36:37]
	v_mov_b32_e32 v35, v36
	v_lshlrev_b64 v[34:35], 2, v[34:35]
	s_waitcnt lgkmcnt(0)
	v_lshl_add_u64 v[36:37], s[14:15], 0, v[34:35]
	v_lshl_add_u64 v[34:35], s[12:13], 0, v[34:35]
	global_store_dword v[36:37], v55, off
	global_store_dword v[34:35], v56, off
.LBB160_19:
	s_or_b64 exec, exec, s[4:5]
	v_lshl_or_b32 v48, v54, 9, v50
	s_waitcnt lgkmcnt(0)
	s_barrier
	ds_read_b128 v[34:37], v48
	ds_read_b128 v[38:41], v48 offset:16
	s_waitcnt vmcnt(7) lgkmcnt(1)
	v_mfma_f32_16x16x16_f16 v[44:47], v[6:7], v[34:35], 0
	v_cmp_gt_u32_e32 vcc, 64, v0
	s_mov_b32 s3, 0
	s_and_b64 s[4:5], vcc, s[30:31]
	v_mfma_f32_16x16x16_f16 v[6:9], v[8:9], v[36:37], v[44:47]
	s_waitcnt vmcnt(6) lgkmcnt(0)
	v_mfma_f32_16x16x16_f16 v[6:9], v[2:3], v[38:39], v[6:9]
	v_mfma_f32_16x16x16_f16 v[2:5], v[4:5], v[40:41], v[6:9]
	s_nop 5
	ds_read_b128 v[6:9], v48 offset:2048
	ds_read_b128 v[34:37], v48 offset:2064
	s_waitcnt vmcnt(5) lgkmcnt(1)
	v_mfma_f32_16x16x16_f16 v[2:5], v[30:31], v[6:7], v[2:5]
	v_mfma_f32_16x16x16_f16 v[2:5], v[32:33], v[8:9], v[2:5]
	s_waitcnt vmcnt(4) lgkmcnt(0)
	v_mfma_f32_16x16x16_f16 v[2:5], v[26:27], v[34:35], v[2:5]
	v_mfma_f32_16x16x16_f16 v[2:5], v[28:29], v[36:37], v[2:5]
	ds_read_b128 v[6:9], v48 offset:4096
	ds_read_b128 v[26:29], v48 offset:4112
	s_waitcnt vmcnt(3) lgkmcnt(1)
	v_mfma_f32_16x16x16_f16 v[2:5], v[22:23], v[6:7], v[2:5]
	v_mfma_f32_16x16x16_f16 v[2:5], v[24:25], v[8:9], v[2:5]
	s_waitcnt vmcnt(2) lgkmcnt(0)
	v_mfma_f32_16x16x16_f16 v[2:5], v[18:19], v[26:27], v[2:5]
	v_mfma_f32_16x16x16_f16 v[2:5], v[20:21], v[28:29], v[2:5]
	ds_read_b128 v[6:9], v48 offset:6144
	ds_read_b128 v[18:21], v48 offset:6160
	s_waitcnt lgkmcnt(0)
	s_barrier
	s_waitcnt vmcnt(1)
	v_mfma_f32_16x16x16_f16 v[2:5], v[14:15], v[6:7], v[2:5]
	v_mfma_f32_16x16x16_f16 v[2:5], v[16:17], v[8:9], v[2:5]
	s_waitcnt vmcnt(0)
	v_mfma_f32_16x16x16_f16 v[2:5], v[10:11], v[18:19], v[2:5]
	v_mfma_f32_16x16x16_f16 v[2:5], v[12:13], v[20:21], v[2:5]
	s_nop 6
	v_cvt_f16_f32_e32 v2, v2
	v_cvt_f16_f32_e32 v3, v3
	;; [unrolled: 1-line block ×4, first 2 shown]
	v_pack_b32_f16 v2, v2, v3
	v_pack_b32_f16 v3, v4, v5
	ds_write_b64 v1, v[2:3]
	s_waitcnt lgkmcnt(0)
	s_barrier
	s_and_saveexec_b64 s[10:11], s[4:5]
	s_cbranch_execz .LBB160_22
; %bb.20:
	s_load_dwordx2 s[4:5], s[0:1], 0x68
	s_lshl_b32 s0, s8, 6
	s_mul_i32 s1, s9, s2
	s_mul_hi_u32 s9, s1, s0
	s_mul_i32 s8, s1, s0
	v_lshlrev_b32_e32 v1, 10, v0
	v_lshlrev_b32_e32 v0, 4, v0
	s_lshl_b64 s[8:9], s[8:9], 1
	v_and_b32_e32 v1, 0x1800, v1
	v_lshlrev_b32_e32 v2, 5, v54
	v_and_b32_e32 v0, 16, v0
	s_waitcnt lgkmcnt(0)
	s_add_u32 s1, s4, s8
	v_or3_b32 v2, v1, v2, v0
	s_addc_u32 s4, s5, s9
	s_lshl_b32 s2, s28, 6
	s_lshl_b64 s[2:3], s[2:3], 1
	ds_read_b128 v[4:7], v2 offset:128
	ds_read_b128 v[8:11], v2
	s_add_u32 s2, s1, s2
	s_addc_u32 s3, s4, s3
	v_add_u32_e32 v3, s42, v54
	v_lshl_add_u64 v[0:1], v[42:43], 1, s[2:3]
	v_mad_u64_u32 v[12:13], s[2:3], v3, s0, 0
	v_lshl_add_u64 v[12:13], v[12:13], 1, v[0:1]
	v_add_u32_e32 v3, 4, v3
	s_waitcnt lgkmcnt(0)
	global_store_dwordx4 v[12:13], v[8:11], off
	s_nop 1
	v_mad_u64_u32 v[8:9], s[2:3], v3, s0, 0
	v_lshl_add_u64 v[8:9], v[8:9], 1, v[0:1]
	global_store_dwordx4 v[8:9], v[4:7], off
	s_and_b64 exec, exec, s[6:7]
	s_cbranch_execz .LBB160_22
; %bb.21:
	ds_read_b128 v[2:5], v2 offset:256
	v_add3_u32 v6, s42, v54, 8
	v_mad_u64_u32 v[6:7], s[0:1], v6, s0, 0
	v_lshl_add_u64 v[0:1], v[6:7], 1, v[0:1]
	s_waitcnt lgkmcnt(0)
	global_store_dwordx4 v[0:1], v[2:5], off
.LBB160_22:
	s_endpgm
	.section	.rodata,"a",@progbits
	.p2align	6, 0x0
	.amdhsa_kernel _Z39paged_attention_ll4mi_QKV_mfma16_kernelIDF16_DF16_LN4vllm18Fp8KVCacheDataTypeE0EDF16_Li32ELi64ELi256ELb1ELi9EEvPKT_PKT0_S7_ifPKiS9_S9_iPKfiiiPfSC_PS2_PT2_iSB_SB_
		.amdhsa_group_segment_fixed_size 8192
		.amdhsa_private_segment_fixed_size 0
		.amdhsa_kernarg_size 400
		.amdhsa_user_sgpr_count 2
		.amdhsa_user_sgpr_dispatch_ptr 0
		.amdhsa_user_sgpr_queue_ptr 0
		.amdhsa_user_sgpr_kernarg_segment_ptr 1
		.amdhsa_user_sgpr_dispatch_id 0
		.amdhsa_user_sgpr_kernarg_preload_length 0
		.amdhsa_user_sgpr_kernarg_preload_offset 0
		.amdhsa_user_sgpr_private_segment_size 0
		.amdhsa_uses_dynamic_stack 0
		.amdhsa_enable_private_segment 0
		.amdhsa_system_sgpr_workgroup_id_x 1
		.amdhsa_system_sgpr_workgroup_id_y 1
		.amdhsa_system_sgpr_workgroup_id_z 1
		.amdhsa_system_sgpr_workgroup_info 0
		.amdhsa_system_vgpr_workitem_id 0
		.amdhsa_next_free_vgpr 73
		.amdhsa_next_free_sgpr 48
		.amdhsa_accum_offset 76
		.amdhsa_reserve_vcc 1
		.amdhsa_float_round_mode_32 0
		.amdhsa_float_round_mode_16_64 0
		.amdhsa_float_denorm_mode_32 3
		.amdhsa_float_denorm_mode_16_64 3
		.amdhsa_dx10_clamp 1
		.amdhsa_ieee_mode 1
		.amdhsa_fp16_overflow 0
		.amdhsa_tg_split 0
		.amdhsa_exception_fp_ieee_invalid_op 0
		.amdhsa_exception_fp_denorm_src 0
		.amdhsa_exception_fp_ieee_div_zero 0
		.amdhsa_exception_fp_ieee_overflow 0
		.amdhsa_exception_fp_ieee_underflow 0
		.amdhsa_exception_fp_ieee_inexact 0
		.amdhsa_exception_int_div_zero 0
	.end_amdhsa_kernel
	.section	.text._Z39paged_attention_ll4mi_QKV_mfma16_kernelIDF16_DF16_LN4vllm18Fp8KVCacheDataTypeE0EDF16_Li32ELi64ELi256ELb1ELi9EEvPKT_PKT0_S7_ifPKiS9_S9_iPKfiiiPfSC_PS2_PT2_iSB_SB_,"axG",@progbits,_Z39paged_attention_ll4mi_QKV_mfma16_kernelIDF16_DF16_LN4vllm18Fp8KVCacheDataTypeE0EDF16_Li32ELi64ELi256ELb1ELi9EEvPKT_PKT0_S7_ifPKiS9_S9_iPKfiiiPfSC_PS2_PT2_iSB_SB_,comdat
.Lfunc_end160:
	.size	_Z39paged_attention_ll4mi_QKV_mfma16_kernelIDF16_DF16_LN4vllm18Fp8KVCacheDataTypeE0EDF16_Li32ELi64ELi256ELb1ELi9EEvPKT_PKT0_S7_ifPKiS9_S9_iPKfiiiPfSC_PS2_PT2_iSB_SB_, .Lfunc_end160-_Z39paged_attention_ll4mi_QKV_mfma16_kernelIDF16_DF16_LN4vllm18Fp8KVCacheDataTypeE0EDF16_Li32ELi64ELi256ELb1ELi9EEvPKT_PKT0_S7_ifPKiS9_S9_iPKfiiiPfSC_PS2_PT2_iSB_SB_
                                        ; -- End function
	.section	.AMDGPU.csdata,"",@progbits
; Kernel info:
; codeLenInByte = 4176
; NumSgprs: 54
; NumVgprs: 73
; NumAgprs: 0
; TotalNumVgprs: 73
; ScratchSize: 0
; MemoryBound: 0
; FloatMode: 240
; IeeeMode: 1
; LDSByteSize: 8192 bytes/workgroup (compile time only)
; SGPRBlocks: 6
; VGPRBlocks: 9
; NumSGPRsForWavesPerEU: 54
; NumVGPRsForWavesPerEU: 73
; AccumOffset: 76
; Occupancy: 6
; WaveLimiterHint : 1
; COMPUTE_PGM_RSRC2:SCRATCH_EN: 0
; COMPUTE_PGM_RSRC2:USER_SGPR: 2
; COMPUTE_PGM_RSRC2:TRAP_HANDLER: 0
; COMPUTE_PGM_RSRC2:TGID_X_EN: 1
; COMPUTE_PGM_RSRC2:TGID_Y_EN: 1
; COMPUTE_PGM_RSRC2:TGID_Z_EN: 1
; COMPUTE_PGM_RSRC2:TIDIG_COMP_CNT: 0
; COMPUTE_PGM_RSRC3_GFX90A:ACCUM_OFFSET: 18
; COMPUTE_PGM_RSRC3_GFX90A:TG_SPLIT: 0
	.section	.text._Z39paged_attention_ll4mi_QKV_mfma16_kernelIDF16_DF16_LN4vllm18Fp8KVCacheDataTypeE0EDF16_Li32ELi64ELi256ELb1ELi10EEvPKT_PKT0_S7_ifPKiS9_S9_iPKfiiiPfSC_PS2_PT2_iSB_SB_,"axG",@progbits,_Z39paged_attention_ll4mi_QKV_mfma16_kernelIDF16_DF16_LN4vllm18Fp8KVCacheDataTypeE0EDF16_Li32ELi64ELi256ELb1ELi10EEvPKT_PKT0_S7_ifPKiS9_S9_iPKfiiiPfSC_PS2_PT2_iSB_SB_,comdat
	.protected	_Z39paged_attention_ll4mi_QKV_mfma16_kernelIDF16_DF16_LN4vllm18Fp8KVCacheDataTypeE0EDF16_Li32ELi64ELi256ELb1ELi10EEvPKT_PKT0_S7_ifPKiS9_S9_iPKfiiiPfSC_PS2_PT2_iSB_SB_ ; -- Begin function _Z39paged_attention_ll4mi_QKV_mfma16_kernelIDF16_DF16_LN4vllm18Fp8KVCacheDataTypeE0EDF16_Li32ELi64ELi256ELb1ELi10EEvPKT_PKT0_S7_ifPKiS9_S9_iPKfiiiPfSC_PS2_PT2_iSB_SB_
	.globl	_Z39paged_attention_ll4mi_QKV_mfma16_kernelIDF16_DF16_LN4vllm18Fp8KVCacheDataTypeE0EDF16_Li32ELi64ELi256ELb1ELi10EEvPKT_PKT0_S7_ifPKiS9_S9_iPKfiiiPfSC_PS2_PT2_iSB_SB_
	.p2align	8
	.type	_Z39paged_attention_ll4mi_QKV_mfma16_kernelIDF16_DF16_LN4vllm18Fp8KVCacheDataTypeE0EDF16_Li32ELi64ELi256ELb1ELi10EEvPKT_PKT0_S7_ifPKiS9_S9_iPKfiiiPfSC_PS2_PT2_iSB_SB_,@function
_Z39paged_attention_ll4mi_QKV_mfma16_kernelIDF16_DF16_LN4vllm18Fp8KVCacheDataTypeE0EDF16_Li32ELi64ELi256ELb1ELi10EEvPKT_PKT0_S7_ifPKiS9_S9_iPKfiiiPfSC_PS2_PT2_iSB_SB_: ; @_Z39paged_attention_ll4mi_QKV_mfma16_kernelIDF16_DF16_LN4vllm18Fp8KVCacheDataTypeE0EDF16_Li32ELi64ELi256ELb1ELi10EEvPKT_PKT0_S7_ifPKiS9_S9_iPKfiiiPfSC_PS2_PT2_iSB_SB_
; %bb.0:
	s_load_dwordx2 s[6:7], s[0:1], 0x30
	s_mov_b32 s28, s3
	s_mov_b64 s[8:9], 0
	s_waitcnt lgkmcnt(0)
	s_cmp_lg_u64 s[6:7], 0
	s_cselect_b64 s[10:11], -1, 0
	s_and_b64 vcc, exec, s[10:11]
	s_cbranch_vccz .LBB161_7
; %bb.1:
	s_add_i32 s12, s2, 1
	s_mov_b32 s13, 0
	s_lshl_b64 s[14:15], s[12:13], 2
	s_add_u32 s14, s6, s14
	s_mov_b32 s3, s13
	s_addc_u32 s15, s7, s15
	s_lshl_b64 s[12:13], s[2:3], 2
	s_add_u32 s12, s6, s12
	s_addc_u32 s13, s7, s13
	s_load_dword s5, s[14:15], 0x0
	s_load_dword s16, s[12:13], 0x0
	s_waitcnt lgkmcnt(0)
	s_sub_i32 s5, s5, s16
	s_cmp_eq_u32 s5, 1
	s_cselect_b64 s[12:13], -1, 0
	s_andn2_b64 vcc, exec, s[8:9]
	s_cbranch_vccnz .LBB161_3
.LBB161_2:
	s_mov_b32 s3, 0
	s_mov_b64 s[12:13], -1
.LBB161_3:
	s_andn2_b64 vcc, exec, s[12:13]
	s_cbranch_vccnz .LBB161_22
; %bb.4:
	s_load_dwordx2 s[8:9], s[0:1], 0x28
	s_lshl_b64 s[12:13], s[2:3], 2
	s_waitcnt lgkmcnt(0)
	s_add_u32 s8, s8, s12
	s_addc_u32 s9, s9, s13
	s_load_dword s29, s[8:9], 0x0
	s_lshl_b32 s14, s28, 8
	s_waitcnt lgkmcnt(0)
	s_cmp_ge_i32 s14, s29
	s_cbranch_scc1 .LBB161_22
; %bb.5:
	s_load_dwordx2 s[8:9], s[0:1], 0x20
	s_load_dword s5, s[0:1], 0x38
	s_add_i32 s15, s29, 31
	s_ashr_i32 s16, s15, 31
	v_and_b32_e32 v1, 0xcf, v0
	s_lshr_b32 s16, s16, 27
	v_add_u32_e32 v1, s14, v1
	s_add_i32 s15, s15, s16
	v_ashrrev_i32_e32 v2, 31, v1
	s_ashr_i32 s15, s15, 5
	v_lshrrev_b32_e32 v6, 27, v2
	s_add_i32 s15, s15, -1
	s_waitcnt lgkmcnt(0)
	s_mul_i32 s16, s2, s5
	s_mov_b32 s17, 0
	v_add_u32_e32 v2, v1, v6
	s_lshl_b64 s[16:17], s[16:17], 2
	v_ashrrev_i32_e32 v2, 5, v2
	v_mov_b32_e32 v7, s15
	v_cmp_gt_i32_e32 vcc, s29, v1
	s_add_u32 s8, s8, s16
	s_addc_u32 s9, s9, s17
	v_cndmask_b32_e32 v2, v7, v2, vcc
	v_ashrrev_i32_e32 v3, 31, v2
	v_lshl_add_u64 v[4:5], v[2:3], 2, s[8:9]
	v_or_b32_e32 v2, 16, v1
	v_add_u32_e32 v3, v2, v6
	v_ashrrev_i32_e32 v3, 5, v3
	v_cmp_gt_i32_e32 vcc, s29, v2
	s_nop 1
	v_cndmask_b32_e32 v2, v7, v3, vcc
	v_ashrrev_i32_e32 v3, 31, v2
	v_lshl_add_u64 v[8:9], v[2:3], 2, s[8:9]
	v_or_b32_e32 v2, 32, v1
	v_add_u32_e32 v3, v2, v6
	v_ashrrev_i32_e32 v3, 5, v3
	v_cmp_gt_i32_e32 vcc, s29, v2
	v_or_b32_e32 v1, 48, v1
	s_nop 0
	v_cndmask_b32_e32 v2, v7, v3, vcc
	v_ashrrev_i32_e32 v3, 31, v2
	v_lshl_add_u64 v[12:13], v[2:3], 2, s[8:9]
	v_add_u32_e32 v2, v1, v6
	v_ashrrev_i32_e32 v2, 5, v2
	v_cmp_gt_i32_e32 vcc, s29, v1
	s_nop 1
	v_cndmask_b32_e32 v2, v7, v2, vcc
	v_ashrrev_i32_e32 v3, 31, v2
	v_lshl_add_u64 v[16:17], v[2:3], 2, s[8:9]
	global_load_dword v2, v[4:5], off
	global_load_dword v6, v[8:9], off
	;; [unrolled: 1-line block ×4, first 2 shown]
	s_andn2_b64 vcc, exec, s[10:11]
	s_cbranch_vccnz .LBB161_8
; %bb.6:
	s_add_u32 s6, s6, s12
	s_addc_u32 s7, s7, s13
	s_load_dword s5, s[6:7], 0x0
	s_branch .LBB161_9
.LBB161_7:
	s_mov_b64 s[12:13], 0
	s_branch .LBB161_2
.LBB161_8:
	s_mov_b32 s5, s2
.LBB161_9:
	s_load_dwordx2 s[10:11], s[0:1], 0x8
	s_load_dwordx4 s[44:47], s[0:1], 0x48
	v_lshrrev_b32_e32 v1, 6, v0
	v_bfe_u32 v54, v0, 4, 2
	v_lshl_or_b32 v3, v1, 2, v54
	v_and_b32_e32 v44, 15, v0
	v_cmp_lt_u32_e32 vcc, 9, v3
	v_cmp_lt_u32_e64 s[6:7], 7, v44
	v_lshlrev_b32_e32 v42, 3, v44
	v_cmp_gt_u32_e64 s[30:31], 8, v44
	s_or_b64 s[6:7], s[6:7], vcc
	s_and_saveexec_b64 s[12:13], s[6:7]
	s_xor_b64 s[6:7], exec, s[12:13]
; %bb.10:
	v_mov_b32_e32 v43, 0
                                        ; implicit-def: $vgpr3
; %bb.11:
	s_or_saveexec_b64 s[12:13], s[6:7]
	s_load_dwordx2 s[6:7], s[0:1], 0x10
	s_mul_i32 s42, s4, 10
	s_xor_b64 exec, exec, s[12:13]
	s_cbranch_execz .LBB161_13
; %bb.12:
	s_load_dwordx2 s[16:17], s[0:1], 0x0
	s_waitcnt lgkmcnt(0)
	s_ashr_i32 s18, s44, 31
	s_mul_hi_u32 s19, s5, s44
	s_mul_i32 s18, s5, s18
	s_add_i32 s19, s19, s18
	s_mul_i32 s18, s5, s44
	s_lshl_b64 s[18:19], s[18:19], 1
	s_add_u32 s16, s16, s18
	v_add_lshl_u32 v4, v3, s42, 6
	s_addc_u32 s17, s17, s19
	v_ashrrev_i32_e32 v5, 31, v4
	v_mov_b32_e32 v43, 0
	v_lshl_add_u64 v[4:5], v[4:5], 1, s[16:17]
	v_lshlrev_b32_e32 v8, 1, v42
	v_mov_b32_e32 v9, v43
	v_lshl_add_u64 v[4:5], v[4:5], 0, v[8:9]
	global_load_dwordx4 v[16:19], v[4:5], off
	v_and_b32_e32 v4, 3, v0
	v_lshlrev_b32_e32 v5, 9, v44
	v_lshlrev_b32_e32 v3, 5, v3
	;; [unrolled: 1-line block ×3, first 2 shown]
	v_and_b32_e32 v5, 0x1800, v5
	v_or3_b32 v3, v5, v4, v3
	s_waitcnt vmcnt(0)
	ds_write_b128 v3, v[16:19]
.LBB161_13:
	s_or_b64 exec, exec, s[12:13]
	s_waitcnt lgkmcnt(0)
	s_mul_i32 s4, s4, s46
	s_mov_b32 s5, 0
	s_lshl_b64 s[4:5], s[4:5], 1
	s_add_u32 s10, s10, s4
	s_addc_u32 s11, s11, s5
	s_waitcnt vmcnt(3)
	v_mad_i64_i32 v[2:3], s[12:13], v2, s45, 0
	v_lshl_add_u64 v[2:3], v[2:3], 1, s[10:11]
	v_lshlrev_b64 v[12:13], 1, v[42:43]
	v_lshlrev_b32_e32 v46, 9, v54
	v_lshl_add_u64 v[2:3], v[2:3], 0, v[12:13]
	v_mov_b32_e32 v47, 0
	v_lshl_add_u64 v[8:9], v[2:3], 0, v[46:47]
	s_barrier
	global_load_dwordx4 v[22:25], v[8:9], off
	global_load_dwordx4 v[2:5], v[8:9], off offset:2048
	s_waitcnt vmcnt(4)
	v_mad_i64_i32 v[6:7], s[12:13], v6, s45, 0
	v_mov_b32_e32 v8, 0x100
	v_lshl_add_u64 v[6:7], v[6:7], 1, s[10:11]
	v_lshl_or_b32 v16, v44, 4, v8
	v_mov_b32_e32 v17, v47
	s_waitcnt vmcnt(3)
	v_mad_i64_i32 v[10:11], s[12:13], v10, s45, 0
	v_lshl_add_u64 v[6:7], v[6:7], 0, v[16:17]
	v_lshl_add_u64 v[10:11], v[10:11], 1, s[10:11]
	s_waitcnt vmcnt(2)
	v_mad_i64_i32 v[14:15], s[12:13], v14, s45, 0
	v_lshl_add_u64 v[18:19], v[6:7], 0, v[46:47]
	v_lshl_add_u64 v[10:11], v[10:11], 0, v[12:13]
	;; [unrolled: 1-line block ×3, first 2 shown]
	global_load_dwordx4 v[26:29], v[18:19], off
	global_load_dwordx4 v[6:9], v[18:19], off offset:2048
	v_lshl_add_u64 v[18:19], v[10:11], 0, v[46:47]
	v_lshl_add_u64 v[14:15], v[14:15], 0, v[16:17]
	global_load_dwordx4 v[30:33], v[18:19], off
	global_load_dwordx4 v[10:13], v[18:19], off offset:2048
	v_lshl_add_u64 v[18:19], v[14:15], 0, v[46:47]
	global_load_dwordx4 v[34:37], v[18:19], off
	global_load_dwordx4 v[14:17], v[18:19], off offset:2048
	v_add_u32_e32 v18, -10, v44
	v_cmp_gt_u32_e32 vcc, 10, v44
	v_and_b32_e32 v45, 63, v0
	v_mov_b32_e32 v50, 0
	v_cndmask_b32_e32 v18, v18, v44, vcc
	v_lshl_add_u32 v18, v18, 5, v46
	ds_read_b128 v[38:41], v18
	ds_read_b128 v[18:21], v18 offset:2048
	s_and_saveexec_b64 s[10:11], vcc
	s_cbranch_execz .LBB161_15
; %bb.14:
	s_load_dwordx2 s[12:13], s[0:1], 0x40
	v_add_u32_e32 v48, s42, v44
	v_ashrrev_i32_e32 v49, 31, v48
	s_waitcnt lgkmcnt(0)
	v_lshl_add_u64 v[48:49], v[48:49], 2, s[12:13]
	global_load_dword v50, v[48:49], off
.LBB161_15:
	s_or_b64 exec, exec, s[10:11]
	s_ashr_i32 s10, s14, 31
	v_and_or_b32 v46, v0, 48, s14
	s_lshr_b32 s11, s10, 27
	v_add_u32_e32 v48, s11, v46
	v_or_b32_e32 v52, 64, v46
	v_ashrrev_i32_e32 v48, 5, v48
	v_mov_b32_e32 v51, s15
	v_cmp_gt_i32_e32 vcc, s29, v46
	v_add_u32_e32 v53, s11, v52
	s_waitcnt vmcnt(7) lgkmcnt(1)
	v_mfma_f32_16x16x16_f16 v[56:59], v[22:23], v[38:39], 0
	v_cndmask_b32_e32 v48, v51, v48, vcc
	v_ashrrev_i32_e32 v22, 5, v53
	v_cmp_gt_i32_e32 vcc, s29, v52
	v_ashrrev_i32_e32 v49, 31, v48
	v_lshl_add_u64 v[48:49], v[48:49], 2, s[8:9]
	v_cndmask_b32_e32 v22, v51, v22, vcc
	v_ashrrev_i32_e32 v23, 31, v22
	v_lshl_add_u64 v[22:23], v[22:23], 2, s[8:9]
	global_load_dword v55, v[48:49], off
	global_load_dword v72, v[22:23], off
	s_waitcnt vmcnt(3)
	v_mfma_f32_16x16x16_f16 v[68:71], v[34:35], v[38:39], 0
	v_or_b32_e32 v48, 0xc0, v46
	v_add_u32_e32 v52, s11, v48
	s_add_u32 s4, s6, s4
	v_mfma_f32_16x16x16_f16 v[60:63], v[26:27], v[38:39], 0
	s_addc_u32 s5, s7, s5
	s_load_dword s10, s[0:1], 0x1c
	s_mov_b32 s33, 0xff7fffff
	v_mfma_f32_16x16x16_f16 v[64:67], v[30:31], v[38:39], 0
	v_and_b32_e32 v31, 0xc0, v0
	v_or_b32_e32 v38, 0x80, v46
	v_add_u32_e32 v34, s14, v31
	v_mfma_f32_16x16x16_f16 v[22:25], v[24:25], v[40:41], v[56:59]
	v_and_b32_e32 v30, 16, v0
	v_add_u32_e32 v49, s11, v38
	v_lshlrev_b32_e32 v46, 1, v30
	v_lshl_or_b32 v56, v54, 2, v34
	v_mfma_f32_16x16x16_f16 v[34:37], v[36:37], v[40:41], v[68:71]
	v_cmp_gt_i32_e32 vcc, s29, v38
	v_lshlrev_b32_e32 v39, 6, v44
	v_or_b32_e32 v57, 1, v56
	v_mfma_f32_16x16x16_f16 v[26:29], v[28:29], v[40:41], v[60:63]
	v_cmp_gt_i32_e64 s[34:35], s29, v57
	v_mfma_f32_16x16x16_f16 v[30:33], v[32:33], v[40:41], v[64:67]
	v_ashrrev_i32_e32 v40, 5, v49
	v_ashrrev_i32_e32 v41, 5, v52
	v_cndmask_b32_e32 v38, v51, v40, vcc
	v_cmp_gt_i32_e32 vcc, s29, v48
	s_waitcnt lgkmcnt(0)
	v_mfma_f32_16x16x16_f16 v[22:25], v[2:3], v[18:19], v[22:25]
	v_lshl_add_u64 v[2:3], s[4:5], 0, v[46:47]
	v_cndmask_b32_e32 v40, v51, v41, vcc
	v_lshl_or_b32 v46, v1, 10, v39
	v_ashrrev_i32_e32 v39, 31, v38
	v_ashrrev_i32_e32 v41, 31, v40
	s_waitcnt vmcnt(2)
	v_mfma_f32_16x16x16_f16 v[34:37], v[14:15], v[18:19], v[34:37]
	v_lshl_add_u64 v[14:15], v[38:39], 2, s[8:9]
	v_subrev_u32_e32 v51, s29, v57
	v_cvt_f32_i32_e32 v58, v51
	v_mfma_f32_16x16x16_f16 v[26:29], v[6:7], v[18:19], v[26:29]
	v_mfma_f32_16x16x16_f16 v[30:33], v[10:11], v[18:19], v[30:33]
	v_lshl_add_u64 v[18:19], v[40:41], 2, s[8:9]
	global_load_dword v59, v[14:15], off
	global_load_dword v60, v[18:19], off
	v_lshl_add_u64 v[10:11], v[2:3], 0, v[46:47]
	v_mfma_f32_16x16x16_f16 v[2:5], v[4:5], v[20:21], v[22:25]
	v_add_u32_e32 v46, 1, v51
	v_add_u32_e32 v47, 3, v51
	;; [unrolled: 1-line block ×3, first 2 shown]
	v_mfma_f32_16x16x16_f16 v[14:17], v[16:17], v[20:21], v[34:37]
	v_add_u32_e32 v22, 2, v51
	s_nop 1
	v_pk_mul_f32 v[52:53], s[10:11], v[4:5] op_sel_hi:[0,1]
	v_cvt_f32_i32_e32 v18, v18
	v_mfma_f32_16x16x16_f16 v[6:9], v[8:9], v[20:21], v[26:29]
	v_add_u32_e32 v19, 19, v51
	v_pk_mul_f32 v[34:35], s[10:11], v[16:17] op_sel_hi:[0,1]
	v_pk_mul_f32 v[36:37], s[10:11], v[14:15] op_sel_hi:[0,1]
	v_cvt_f32_i32_e32 v27, v22
	v_mfma_f32_16x16x16_f16 v[22:25], v[12:13], v[20:21], v[30:33]
	v_pk_mul_f32 v[12:13], s[10:11], v[2:3] op_sel_hi:[0,1]
	v_cvt_f32_i32_e32 v26, v46
	v_cvt_f32_i32_e32 v28, v47
	v_pk_mul_f32 v[46:47], s[10:11], v[8:9] op_sel_hi:[0,1]
	v_pk_mul_f32 v[48:49], s[10:11], v[6:7] op_sel_hi:[0,1]
	v_cvt_f32_i32_e32 v19, v19
	v_fma_f32 v46, v50, v18, v46
	v_add_u32_e32 v18, 34, v51
	v_cvt_f32_i32_e32 v18, v18
	v_fmac_f32_e32 v47, v50, v19
	v_add_u32_e32 v19, 35, v51
	v_cvt_f32_i32_e32 v19, v19
	v_pk_mul_f32 v[40:41], s[10:11], v[22:23] op_sel_hi:[0,1]
	v_pk_mul_f32 v[38:39], s[10:11], v[24:25] op_sel_hi:[0,1]
	v_fma_f32 v38, v50, v18, v38
	v_add_u32_e32 v18, 50, v51
	s_waitcnt vmcnt(3)
	v_mad_i64_i32 v[2:3], s[4:5], v55, s45, 0
	s_waitcnt vmcnt(2)
	v_mad_i64_i32 v[4:5], s[4:5], v72, s45, 0
	v_lshl_add_u64 v[16:17], v[2:3], 1, v[10:11]
	v_lshl_add_u64 v[14:15], v[4:5], 1, v[10:11]
	global_load_dwordx4 v[6:9], v[16:17], off
	global_load_dwordx4 v[2:5], v[16:17], off offset:16
	v_add_u32_e32 v16, 16, v51
	v_cvt_f32_i32_e32 v16, v16
	v_add_u32_e32 v17, 17, v51
	v_cvt_f32_i32_e32 v17, v17
	v_fmac_f32_e32 v39, v50, v19
	v_fma_f32 v48, v50, v16, v48
	v_add_u32_e32 v16, 32, v51
	v_fmac_f32_e32 v49, v50, v17
	v_cvt_f32_i32_e32 v16, v16
	v_add_u32_e32 v17, 33, v51
	v_cvt_f32_i32_e32 v17, v17
	v_cvt_f32_i32_e32 v18, v18
	v_fma_f32 v40, v50, v16, v40
	v_add_u32_e32 v16, 48, v51
	v_fmac_f32_e32 v41, v50, v17
	v_cvt_f32_i32_e32 v16, v16
	v_add_u32_e32 v17, 49, v51
	v_cvt_f32_i32_e32 v17, v17
	v_add_u32_e32 v19, 51, v51
	v_cvt_f32_i32_e32 v19, v19
	v_fma_f32 v12, v50, v58, v12
	v_fmac_f32_e32 v13, v50, v26
	v_fma_f32 v36, v50, v16, v36
	v_mov_b32_e32 v16, 0xff7fffff
	v_cmp_gt_i32_e64 s[4:5], s29, v56
	v_fmac_f32_e32 v37, v50, v17
	v_fma_f32 v34, v50, v18, v34
	v_cndmask_b32_e64 v17, v16, v12, s[4:5]
	v_cndmask_b32_e64 v18, v16, v13, s[34:35]
	v_fmac_f32_e32 v35, v50, v19
	v_max3_f32 v17, v17, s33, v18
	v_or_b32_e32 v18, 2, v56
	v_or_b32_e32 v19, 3, v56
	v_fma_f32 v52, v50, v27, v52
	v_fmac_f32_e32 v53, v50, v28
	v_cmp_gt_i32_e64 s[36:37], s29, v18
	v_cmp_gt_i32_e64 s[38:39], s29, v19
	global_load_dwordx4 v[30:33], v[14:15], off
	global_load_dwordx4 v[26:29], v[14:15], off offset:16
	v_cndmask_b32_e64 v18, v16, v52, s[36:37]
	v_cndmask_b32_e64 v19, v16, v53, s[38:39]
	v_max3_f32 v17, v17, v18, v19
	v_or_b32_e32 v18, 16, v56
	v_or_b32_e32 v19, 17, v56
	v_cmp_gt_i32_e64 s[24:25], s29, v18
	v_cmp_gt_i32_e64 s[26:27], s29, v19
	s_nop 0
	v_cndmask_b32_e64 v18, v16, v48, s[24:25]
	v_cndmask_b32_e64 v19, v16, v49, s[26:27]
	v_max3_f32 v17, v17, v18, v19
	v_or_b32_e32 v18, 18, v56
	v_or_b32_e32 v19, 19, v56
	v_cmp_gt_i32_e64 s[20:21], s29, v18
	v_cmp_gt_i32_e64 s[22:23], s29, v19
	s_nop 0
	;; [unrolled: 8-line block ×5, first 2 shown]
	v_cndmask_b32_e64 v18, v16, v36, s[8:9]
	v_cndmask_b32_e64 v19, v16, v37, s[10:11]
	v_max3_f32 v17, v17, v18, v19
	v_or_b32_e32 v18, 50, v56
	v_or_b32_e32 v19, 51, v56
	v_cmp_gt_i32_e32 vcc, s29, v18
	v_cmp_gt_i32_e64 s[6:7], s29, v19
	s_nop 0
	v_cndmask_b32_e32 v18, v16, v34, vcc
	v_cndmask_b32_e64 v16, v16, v35, s[6:7]
	v_max3_f32 v16, v17, v18, v16
	v_mbcnt_lo_u32_b32 v17, -1, 0
	v_mbcnt_hi_u32_b32 v17, -1, v17
	v_and_b32_e32 v18, 64, v17
	v_add_u32_e32 v18, 64, v18
	v_xor_b32_e32 v19, 32, v17
	v_cmp_lt_i32_e64 s[40:41], v19, v18
	s_nop 1
	v_cndmask_b32_e64 v19, v17, v19, s[40:41]
	v_lshlrev_b32_e32 v56, 2, v19
	ds_bpermute_b32 v19, v56, v16
	s_waitcnt vmcnt(5)
	v_mad_i64_i32 v[14:15], s[40:41], v59, s45, 0
	v_lshl_add_u64 v[14:15], v[14:15], 1, v[10:11]
	s_waitcnt lgkmcnt(0)
	v_max_f32_e32 v19, v19, v19
	v_max_f32_e32 v16, v16, v19
	v_xor_b32_e32 v19, 16, v17
	v_cmp_lt_i32_e64 s[40:41], v19, v18
	s_nop 1
	v_cndmask_b32_e64 v17, v17, v19, s[40:41]
	v_lshlrev_b32_e32 v57, 2, v17
	ds_bpermute_b32 v17, v57, v16
	global_load_dwordx4 v[22:25], v[14:15], off
	global_load_dwordx4 v[18:21], v[14:15], off offset:16
	s_waitcnt vmcnt(6)
	v_mad_i64_i32 v[14:15], s[40:41], v60, s45, 0
	v_lshl_add_u64 v[10:11], v[14:15], 1, v[10:11]
	s_waitcnt lgkmcnt(0)
	v_max_f32_e32 v14, v17, v17
	v_max_f32_e32 v55, v16, v14
	v_sub_f32_e32 v12, v12, v55
	v_mul_f32_e32 v12, 0x3fb8aa3b, v12
	v_exp_f32_e32 v50, v12
	v_sub_f32_e32 v12, v13, v55
	v_mul_f32_e32 v12, 0x3fb8aa3b, v12
	v_exp_f32_e32 v51, v12
	global_load_dwordx4 v[14:17], v[10:11], off
	s_nop 0
	global_load_dwordx4 v[10:13], v[10:11], off offset:16
	v_sub_f32_e32 v52, v52, v55
	v_mul_f32_e32 v52, 0x3fb8aa3b, v52
	v_sub_f32_e32 v53, v53, v55
	v_exp_f32_e32 v52, v52
	v_mul_f32_e32 v53, 0x3fb8aa3b, v53
	v_sub_f32_e32 v48, v48, v55
	v_exp_f32_e32 v53, v53
	v_mul_f32_e32 v48, 0x3fb8aa3b, v48
	v_sub_f32_e32 v49, v49, v55
	v_cndmask_b32_e64 v50, 0, v50, s[4:5]
	v_exp_f32_e32 v48, v48
	v_mul_f32_e32 v49, 0x3fb8aa3b, v49
	v_sub_f32_e32 v46, v46, v55
	v_add_f32_e32 v58, 0, v50
	v_cndmask_b32_e64 v51, 0, v51, s[34:35]
	v_exp_f32_e32 v49, v49
	v_mul_f32_e32 v46, 0x3fb8aa3b, v46
	v_sub_f32_e32 v47, v47, v55
	v_add_f32_e32 v58, v58, v51
	;; [unrolled: 5-line block ×10, first 2 shown]
	v_cndmask_b32_e64 v38, 0, v38, s[12:13]
	v_exp_f32_e32 v34, v34
	v_mul_f32_e32 v35, 0x3fb8aa3b, v35
	v_add_f32_e32 v58, v58, v38
	v_cndmask_b32_e64 v39, 0, v39, s[14:15]
	v_exp_f32_e32 v35, v35
	v_add_f32_e32 v58, v58, v39
	v_cndmask_b32_e64 v36, 0, v36, s[8:9]
	v_add_f32_e32 v58, v58, v36
	v_cndmask_b32_e64 v37, 0, v37, s[10:11]
	v_add_f32_e32 v58, v58, v37
	v_cndmask_b32_e32 v34, 0, v34, vcc
	v_add_f32_e32 v58, v58, v34
	v_cndmask_b32_e64 v35, 0, v35, s[6:7]
	v_add_f32_e32 v58, v58, v35
	ds_bpermute_b32 v56, v56, v58
	s_load_dword s7, s[0:1], 0x98
	v_cmp_gt_u32_e32 vcc, 16, v45
	v_lshlrev_b32_e32 v45, 2, v44
	s_waitcnt lgkmcnt(0)
	v_add_f32_e32 v56, v58, v56
	ds_bpermute_b32 v57, v57, v56
	s_barrier
	s_waitcnt lgkmcnt(0)
	s_and_saveexec_b64 s[4:5], vcc
	s_cbranch_execz .LBB161_17
; %bb.16:
	v_add_f32_e32 v56, v56, v57
	v_lshl_or_b32 v57, v1, 6, v45
	ds_write2st64_b32 v57, v55, v56 offset1:1
.LBB161_17:
	s_or_b64 exec, exec, s[4:5]
	s_load_dword s6, s[0:1], 0x94
	s_waitcnt lgkmcnt(0)
	s_barrier
	ds_read2_b32 v[56:57], v45 offset1:16
	ds_read2_b32 v[58:59], v45 offset0:32 offset1:48
	ds_read2_b32 v[60:61], v45 offset0:64 offset1:80
	;; [unrolled: 1-line block ×3, first 2 shown]
	s_waitcnt lgkmcnt(0)
	v_max3_f32 v55, v56, s33, v57
	v_max3_f32 v55, v55, v58, v59
	v_sub_f32_e32 v56, v56, v55
	v_mul_f32_e32 v56, 0x3fb8aa3b, v56
	v_exp_f32_e32 v64, v56
	v_sub_f32_e32 v56, v57, v55
	v_mul_f32_e32 v56, 0x3fb8aa3b, v56
	v_exp_f32_e32 v57, v56
	v_sub_f32_e32 v56, v58, v55
	v_mul_f32_e32 v56, 0x3fb8aa3b, v56
	v_sub_f32_e32 v45, v59, v55
	v_exp_f32_e32 v58, v56
	v_mul_f32_e32 v45, 0x3fb8aa3b, v45
	v_exp_f32_e32 v45, v45
	v_fma_f32 v56, v64, v60, 0
	v_fmac_f32_e32 v56, v57, v61
	v_fmac_f32_e32 v56, v58, v62
	v_fmac_f32_e32 v56, v45, v63
	v_add_f32_e32 v59, 0x358637bd, v56
	v_div_scale_f32 v60, s[4:5], v59, v59, 1.0
	v_rcp_f32_e32 v61, v60
	s_barrier
	s_mul_i32 s7, s7, 10
	v_fma_f32 v62, -v60, v61, 1.0
	v_fmac_f32_e32 v61, v62, v61
	v_div_scale_f32 v62, vcc, 1.0, v59, 1.0
	v_mul_f32_e32 v63, v62, v61
	v_fma_f32 v65, -v60, v63, v62
	v_fmac_f32_e32 v63, v65, v61
	v_fma_f32 v60, -v60, v63, v62
	v_div_fmas_f32 v60, v60, v61, v63
	v_cmp_eq_u32_e32 vcc, 1, v1
	v_div_fixup_f32 v59, v60, v59, 1.0
	s_nop 0
	v_cndmask_b32_e32 v57, v64, v57, vcc
	v_cmp_eq_u32_e32 vcc, 2, v1
	s_nop 1
	v_cndmask_b32_e32 v57, v57, v58, vcc
	v_cmp_eq_u32_e32 vcc, 3, v1
	v_lshlrev_b32_e32 v1, 11, v1
	s_nop 0
	v_cndmask_b32_e32 v45, v57, v45, vcc
	v_mul_f32_e32 v58, v45, v59
	v_pk_mul_f32 v[52:53], v[58:59], v[52:53] op_sel_hi:[0,1]
	v_pk_mul_f32 v[50:51], v[58:59], v[50:51] op_sel_hi:[0,1]
	v_cvt_f16_f32_e32 v45, v50
	v_cvt_f16_f32_e32 v50, v51
	;; [unrolled: 1-line block ×4, first 2 shown]
	v_pk_mul_f32 v[46:47], v[58:59], v[46:47] op_sel_hi:[0,1]
	v_pk_mul_f32 v[48:49], v[58:59], v[48:49] op_sel_hi:[0,1]
	v_cvt_f16_f32_e32 v48, v48
	v_pack_b32_f16 v53, v51, v53
	v_cvt_f16_f32_e32 v49, v49
	v_cvt_f16_f32_e32 v51, v46
	;; [unrolled: 1-line block ×3, first 2 shown]
	v_pack_b32_f16 v52, v45, v50
	v_lshlrev_b32_e32 v45, 3, v54
	v_lshlrev_b32_e32 v50, 5, v44
	v_or3_b32 v1, v1, v50, v45
	v_pack_b32_f16 v46, v48, v49
	v_pack_b32_f16 v47, v51, v47
	v_pk_mul_f32 v[38:39], v[58:59], v[38:39] op_sel_hi:[0,1]
	v_pk_mul_f32 v[40:41], v[58:59], v[40:41] op_sel_hi:[0,1]
	;; [unrolled: 1-line block ×4, first 2 shown]
	ds_write2st64_b64 v1, v[52:53], v[46:47] offset1:1
	v_cvt_f16_f32_e32 v40, v40
	v_cvt_f16_f32_e32 v41, v41
	;; [unrolled: 1-line block ×8, first 2 shown]
	v_pack_b32_f16 v34, v40, v41
	v_pack_b32_f16 v35, v38, v39
	;; [unrolled: 1-line block ×4, first 2 shown]
	v_cmp_gt_u32_e32 vcc, 10, v0
	ds_write2st64_b64 v1, v[34:35], v[36:37] offset0:2 offset1:3
	s_and_saveexec_b64 s[4:5], vcc
	s_cbranch_execz .LBB161_19
; %bb.18:
	s_mov_b32 s43, 0
	v_mov_b32_e32 v45, 0
	v_lshl_add_u64 v[34:35], s[42:43], 0, v[44:45]
	v_mov_b32_e32 v36, s7
	v_mad_u64_u32 v[34:35], s[12:13], s2, v36, v[34:35]
	s_mul_i32 s3, s3, s7
	v_mov_b32_e32 v44, s28
	s_load_dwordx4 s[8:11], s[0:1], 0x58
	v_add_u32_e32 v37, s3, v35
	v_mad_u64_u32 v[34:35], s[12:13], v34, s6, v[44:45]
	v_mov_b32_e32 v36, v35
	v_mad_u64_u32 v[36:37], s[12:13], v37, s6, v[36:37]
	v_mov_b32_e32 v35, v36
	v_lshlrev_b64 v[34:35], 2, v[34:35]
	s_waitcnt lgkmcnt(0)
	v_lshl_add_u64 v[36:37], s[10:11], 0, v[34:35]
	v_lshl_add_u64 v[34:35], s[8:9], 0, v[34:35]
	global_store_dword v[36:37], v55, off
	global_store_dword v[34:35], v56, off
.LBB161_19:
	s_or_b64 exec, exec, s[4:5]
	v_lshl_or_b32 v48, v54, 9, v50
	s_waitcnt lgkmcnt(0)
	s_barrier
	ds_read_b128 v[34:37], v48
	ds_read_b128 v[38:41], v48 offset:16
	s_waitcnt vmcnt(7) lgkmcnt(1)
	v_mfma_f32_16x16x16_f16 v[44:47], v[6:7], v[34:35], 0
	v_cmp_gt_u32_e32 vcc, 64, v0
	s_mov_b32 s3, 0
	s_and_b64 s[4:5], vcc, s[30:31]
	v_mfma_f32_16x16x16_f16 v[6:9], v[8:9], v[36:37], v[44:47]
	s_waitcnt vmcnt(6) lgkmcnt(0)
	v_mfma_f32_16x16x16_f16 v[6:9], v[2:3], v[38:39], v[6:9]
	v_mfma_f32_16x16x16_f16 v[2:5], v[4:5], v[40:41], v[6:9]
	s_nop 5
	ds_read_b128 v[6:9], v48 offset:2048
	ds_read_b128 v[34:37], v48 offset:2064
	s_waitcnt vmcnt(5) lgkmcnt(1)
	v_mfma_f32_16x16x16_f16 v[2:5], v[30:31], v[6:7], v[2:5]
	v_mfma_f32_16x16x16_f16 v[2:5], v[32:33], v[8:9], v[2:5]
	s_waitcnt vmcnt(4) lgkmcnt(0)
	v_mfma_f32_16x16x16_f16 v[2:5], v[26:27], v[34:35], v[2:5]
	v_mfma_f32_16x16x16_f16 v[2:5], v[28:29], v[36:37], v[2:5]
	ds_read_b128 v[6:9], v48 offset:4096
	ds_read_b128 v[26:29], v48 offset:4112
	s_waitcnt vmcnt(3) lgkmcnt(1)
	v_mfma_f32_16x16x16_f16 v[2:5], v[22:23], v[6:7], v[2:5]
	v_mfma_f32_16x16x16_f16 v[2:5], v[24:25], v[8:9], v[2:5]
	s_waitcnt vmcnt(2) lgkmcnt(0)
	v_mfma_f32_16x16x16_f16 v[2:5], v[18:19], v[26:27], v[2:5]
	v_mfma_f32_16x16x16_f16 v[2:5], v[20:21], v[28:29], v[2:5]
	ds_read_b128 v[6:9], v48 offset:6144
	ds_read_b128 v[18:21], v48 offset:6160
	s_waitcnt lgkmcnt(0)
	s_barrier
	s_waitcnt vmcnt(1)
	v_mfma_f32_16x16x16_f16 v[2:5], v[14:15], v[6:7], v[2:5]
	v_mfma_f32_16x16x16_f16 v[2:5], v[16:17], v[8:9], v[2:5]
	s_waitcnt vmcnt(0)
	v_mfma_f32_16x16x16_f16 v[2:5], v[10:11], v[18:19], v[2:5]
	v_mfma_f32_16x16x16_f16 v[2:5], v[12:13], v[20:21], v[2:5]
	s_nop 6
	v_cvt_f16_f32_e32 v2, v2
	v_cvt_f16_f32_e32 v3, v3
	v_cvt_f16_f32_e32 v4, v4
	v_cvt_f16_f32_e32 v5, v5
	v_pack_b32_f16 v2, v2, v3
	v_pack_b32_f16 v3, v4, v5
	ds_write_b64 v1, v[2:3]
	s_waitcnt lgkmcnt(0)
	s_barrier
	s_and_saveexec_b64 s[8:9], s[4:5]
	s_cbranch_execz .LBB161_22
; %bb.20:
	s_load_dwordx2 s[4:5], s[0:1], 0x68
	s_lshl_b32 s0, s6, 6
	s_mul_i32 s1, s7, s2
	s_mul_hi_u32 s7, s1, s0
	s_mul_i32 s6, s1, s0
	v_lshlrev_b32_e32 v1, 10, v0
	v_lshlrev_b32_e32 v0, 4, v0
	s_lshl_b64 s[6:7], s[6:7], 1
	v_and_b32_e32 v1, 0x1800, v1
	v_lshlrev_b32_e32 v2, 5, v54
	v_and_b32_e32 v0, 16, v0
	s_waitcnt lgkmcnt(0)
	s_add_u32 s1, s4, s6
	v_or3_b32 v2, v1, v2, v0
	s_addc_u32 s4, s5, s7
	s_lshl_b32 s2, s28, 6
	s_lshl_b64 s[2:3], s[2:3], 1
	ds_read_b128 v[4:7], v2 offset:128
	ds_read_b128 v[8:11], v2
	s_add_u32 s2, s1, s2
	s_addc_u32 s3, s4, s3
	v_add_u32_e32 v14, s42, v54
	v_lshl_add_u64 v[0:1], v[42:43], 1, s[2:3]
	v_mad_u64_u32 v[12:13], s[2:3], v14, s0, 0
	v_lshl_add_u64 v[12:13], v[12:13], 1, v[0:1]
	s_waitcnt lgkmcnt(0)
	global_store_dwordx4 v[12:13], v[8:11], off
	v_or_b32_e32 v3, 8, v54
	v_cmp_gt_u32_e32 vcc, 10, v3
	v_add_u32_e32 v8, 4, v14
	v_mad_u64_u32 v[8:9], s[2:3], v8, s0, 0
	v_lshl_add_u64 v[8:9], v[8:9], 1, v[0:1]
	global_store_dwordx4 v[8:9], v[4:7], off
	s_and_b64 exec, exec, vcc
	s_cbranch_execz .LBB161_22
; %bb.21:
	ds_read_b128 v[4:7], v2 offset:256
	v_add_u32_e32 v2, s42, v3
	v_mad_u64_u32 v[2:3], s[0:1], v2, s0, 0
	v_lshl_add_u64 v[0:1], v[2:3], 1, v[0:1]
	s_waitcnt lgkmcnt(0)
	global_store_dwordx4 v[0:1], v[4:7], off
.LBB161_22:
	s_endpgm
	.section	.rodata,"a",@progbits
	.p2align	6, 0x0
	.amdhsa_kernel _Z39paged_attention_ll4mi_QKV_mfma16_kernelIDF16_DF16_LN4vllm18Fp8KVCacheDataTypeE0EDF16_Li32ELi64ELi256ELb1ELi10EEvPKT_PKT0_S7_ifPKiS9_S9_iPKfiiiPfSC_PS2_PT2_iSB_SB_
		.amdhsa_group_segment_fixed_size 8192
		.amdhsa_private_segment_fixed_size 0
		.amdhsa_kernarg_size 400
		.amdhsa_user_sgpr_count 2
		.amdhsa_user_sgpr_dispatch_ptr 0
		.amdhsa_user_sgpr_queue_ptr 0
		.amdhsa_user_sgpr_kernarg_segment_ptr 1
		.amdhsa_user_sgpr_dispatch_id 0
		.amdhsa_user_sgpr_kernarg_preload_length 0
		.amdhsa_user_sgpr_kernarg_preload_offset 0
		.amdhsa_user_sgpr_private_segment_size 0
		.amdhsa_uses_dynamic_stack 0
		.amdhsa_enable_private_segment 0
		.amdhsa_system_sgpr_workgroup_id_x 1
		.amdhsa_system_sgpr_workgroup_id_y 1
		.amdhsa_system_sgpr_workgroup_id_z 1
		.amdhsa_system_sgpr_workgroup_info 0
		.amdhsa_system_vgpr_workitem_id 0
		.amdhsa_next_free_vgpr 73
		.amdhsa_next_free_sgpr 48
		.amdhsa_accum_offset 76
		.amdhsa_reserve_vcc 1
		.amdhsa_float_round_mode_32 0
		.amdhsa_float_round_mode_16_64 0
		.amdhsa_float_denorm_mode_32 3
		.amdhsa_float_denorm_mode_16_64 3
		.amdhsa_dx10_clamp 1
		.amdhsa_ieee_mode 1
		.amdhsa_fp16_overflow 0
		.amdhsa_tg_split 0
		.amdhsa_exception_fp_ieee_invalid_op 0
		.amdhsa_exception_fp_denorm_src 0
		.amdhsa_exception_fp_ieee_div_zero 0
		.amdhsa_exception_fp_ieee_overflow 0
		.amdhsa_exception_fp_ieee_underflow 0
		.amdhsa_exception_fp_ieee_inexact 0
		.amdhsa_exception_int_div_zero 0
	.end_amdhsa_kernel
	.section	.text._Z39paged_attention_ll4mi_QKV_mfma16_kernelIDF16_DF16_LN4vllm18Fp8KVCacheDataTypeE0EDF16_Li32ELi64ELi256ELb1ELi10EEvPKT_PKT0_S7_ifPKiS9_S9_iPKfiiiPfSC_PS2_PT2_iSB_SB_,"axG",@progbits,_Z39paged_attention_ll4mi_QKV_mfma16_kernelIDF16_DF16_LN4vllm18Fp8KVCacheDataTypeE0EDF16_Li32ELi64ELi256ELb1ELi10EEvPKT_PKT0_S7_ifPKiS9_S9_iPKfiiiPfSC_PS2_PT2_iSB_SB_,comdat
.Lfunc_end161:
	.size	_Z39paged_attention_ll4mi_QKV_mfma16_kernelIDF16_DF16_LN4vllm18Fp8KVCacheDataTypeE0EDF16_Li32ELi64ELi256ELb1ELi10EEvPKT_PKT0_S7_ifPKiS9_S9_iPKfiiiPfSC_PS2_PT2_iSB_SB_, .Lfunc_end161-_Z39paged_attention_ll4mi_QKV_mfma16_kernelIDF16_DF16_LN4vllm18Fp8KVCacheDataTypeE0EDF16_Li32ELi64ELi256ELb1ELi10EEvPKT_PKT0_S7_ifPKiS9_S9_iPKfiiiPfSC_PS2_PT2_iSB_SB_
                                        ; -- End function
	.section	.AMDGPU.csdata,"",@progbits
; Kernel info:
; codeLenInByte = 4172
; NumSgprs: 54
; NumVgprs: 73
; NumAgprs: 0
; TotalNumVgprs: 73
; ScratchSize: 0
; MemoryBound: 0
; FloatMode: 240
; IeeeMode: 1
; LDSByteSize: 8192 bytes/workgroup (compile time only)
; SGPRBlocks: 6
; VGPRBlocks: 9
; NumSGPRsForWavesPerEU: 54
; NumVGPRsForWavesPerEU: 73
; AccumOffset: 76
; Occupancy: 6
; WaveLimiterHint : 1
; COMPUTE_PGM_RSRC2:SCRATCH_EN: 0
; COMPUTE_PGM_RSRC2:USER_SGPR: 2
; COMPUTE_PGM_RSRC2:TRAP_HANDLER: 0
; COMPUTE_PGM_RSRC2:TGID_X_EN: 1
; COMPUTE_PGM_RSRC2:TGID_Y_EN: 1
; COMPUTE_PGM_RSRC2:TGID_Z_EN: 1
; COMPUTE_PGM_RSRC2:TIDIG_COMP_CNT: 0
; COMPUTE_PGM_RSRC3_GFX90A:ACCUM_OFFSET: 18
; COMPUTE_PGM_RSRC3_GFX90A:TG_SPLIT: 0
	.section	.text._Z39paged_attention_ll4mi_QKV_mfma16_kernelIDF16_DF16_LN4vllm18Fp8KVCacheDataTypeE0EDF16_Li32ELi64ELi256ELb1ELi11EEvPKT_PKT0_S7_ifPKiS9_S9_iPKfiiiPfSC_PS2_PT2_iSB_SB_,"axG",@progbits,_Z39paged_attention_ll4mi_QKV_mfma16_kernelIDF16_DF16_LN4vllm18Fp8KVCacheDataTypeE0EDF16_Li32ELi64ELi256ELb1ELi11EEvPKT_PKT0_S7_ifPKiS9_S9_iPKfiiiPfSC_PS2_PT2_iSB_SB_,comdat
	.protected	_Z39paged_attention_ll4mi_QKV_mfma16_kernelIDF16_DF16_LN4vllm18Fp8KVCacheDataTypeE0EDF16_Li32ELi64ELi256ELb1ELi11EEvPKT_PKT0_S7_ifPKiS9_S9_iPKfiiiPfSC_PS2_PT2_iSB_SB_ ; -- Begin function _Z39paged_attention_ll4mi_QKV_mfma16_kernelIDF16_DF16_LN4vllm18Fp8KVCacheDataTypeE0EDF16_Li32ELi64ELi256ELb1ELi11EEvPKT_PKT0_S7_ifPKiS9_S9_iPKfiiiPfSC_PS2_PT2_iSB_SB_
	.globl	_Z39paged_attention_ll4mi_QKV_mfma16_kernelIDF16_DF16_LN4vllm18Fp8KVCacheDataTypeE0EDF16_Li32ELi64ELi256ELb1ELi11EEvPKT_PKT0_S7_ifPKiS9_S9_iPKfiiiPfSC_PS2_PT2_iSB_SB_
	.p2align	8
	.type	_Z39paged_attention_ll4mi_QKV_mfma16_kernelIDF16_DF16_LN4vllm18Fp8KVCacheDataTypeE0EDF16_Li32ELi64ELi256ELb1ELi11EEvPKT_PKT0_S7_ifPKiS9_S9_iPKfiiiPfSC_PS2_PT2_iSB_SB_,@function
_Z39paged_attention_ll4mi_QKV_mfma16_kernelIDF16_DF16_LN4vllm18Fp8KVCacheDataTypeE0EDF16_Li32ELi64ELi256ELb1ELi11EEvPKT_PKT0_S7_ifPKiS9_S9_iPKfiiiPfSC_PS2_PT2_iSB_SB_: ; @_Z39paged_attention_ll4mi_QKV_mfma16_kernelIDF16_DF16_LN4vllm18Fp8KVCacheDataTypeE0EDF16_Li32ELi64ELi256ELb1ELi11EEvPKT_PKT0_S7_ifPKiS9_S9_iPKfiiiPfSC_PS2_PT2_iSB_SB_
; %bb.0:
	s_load_dwordx2 s[6:7], s[0:1], 0x30
	s_mov_b32 s28, s3
	s_mov_b64 s[8:9], 0
	s_waitcnt lgkmcnt(0)
	s_cmp_lg_u64 s[6:7], 0
	s_cselect_b64 s[10:11], -1, 0
	s_and_b64 vcc, exec, s[10:11]
	s_cbranch_vccz .LBB162_7
; %bb.1:
	s_add_i32 s12, s2, 1
	s_mov_b32 s13, 0
	s_lshl_b64 s[14:15], s[12:13], 2
	s_add_u32 s14, s6, s14
	s_mov_b32 s3, s13
	s_addc_u32 s15, s7, s15
	s_lshl_b64 s[12:13], s[2:3], 2
	s_add_u32 s12, s6, s12
	s_addc_u32 s13, s7, s13
	s_load_dword s5, s[14:15], 0x0
	s_load_dword s16, s[12:13], 0x0
	s_waitcnt lgkmcnt(0)
	s_sub_i32 s5, s5, s16
	s_cmp_eq_u32 s5, 1
	s_cselect_b64 s[12:13], -1, 0
	s_andn2_b64 vcc, exec, s[8:9]
	s_cbranch_vccnz .LBB162_3
.LBB162_2:
	s_mov_b32 s3, 0
	s_mov_b64 s[12:13], -1
.LBB162_3:
	s_andn2_b64 vcc, exec, s[12:13]
	s_cbranch_vccnz .LBB162_22
; %bb.4:
	s_load_dwordx2 s[8:9], s[0:1], 0x28
	s_lshl_b64 s[12:13], s[2:3], 2
	s_waitcnt lgkmcnt(0)
	s_add_u32 s8, s8, s12
	s_addc_u32 s9, s9, s13
	s_load_dword s29, s[8:9], 0x0
	s_lshl_b32 s14, s28, 8
	s_waitcnt lgkmcnt(0)
	s_cmp_ge_i32 s14, s29
	s_cbranch_scc1 .LBB162_22
; %bb.5:
	s_load_dwordx2 s[8:9], s[0:1], 0x20
	s_load_dword s5, s[0:1], 0x38
	s_add_i32 s15, s29, 31
	s_ashr_i32 s16, s15, 31
	v_and_b32_e32 v1, 0xcf, v0
	s_lshr_b32 s16, s16, 27
	v_add_u32_e32 v1, s14, v1
	s_add_i32 s15, s15, s16
	v_ashrrev_i32_e32 v2, 31, v1
	s_ashr_i32 s15, s15, 5
	v_lshrrev_b32_e32 v6, 27, v2
	s_add_i32 s15, s15, -1
	s_waitcnt lgkmcnt(0)
	s_mul_i32 s16, s2, s5
	s_mov_b32 s17, 0
	v_add_u32_e32 v2, v1, v6
	s_lshl_b64 s[16:17], s[16:17], 2
	v_ashrrev_i32_e32 v2, 5, v2
	v_mov_b32_e32 v7, s15
	v_cmp_gt_i32_e32 vcc, s29, v1
	s_add_u32 s8, s8, s16
	s_addc_u32 s9, s9, s17
	v_cndmask_b32_e32 v2, v7, v2, vcc
	v_ashrrev_i32_e32 v3, 31, v2
	v_lshl_add_u64 v[4:5], v[2:3], 2, s[8:9]
	v_or_b32_e32 v2, 16, v1
	v_add_u32_e32 v3, v2, v6
	v_ashrrev_i32_e32 v3, 5, v3
	v_cmp_gt_i32_e32 vcc, s29, v2
	s_nop 1
	v_cndmask_b32_e32 v2, v7, v3, vcc
	v_ashrrev_i32_e32 v3, 31, v2
	v_lshl_add_u64 v[8:9], v[2:3], 2, s[8:9]
	v_or_b32_e32 v2, 32, v1
	v_add_u32_e32 v3, v2, v6
	v_ashrrev_i32_e32 v3, 5, v3
	v_cmp_gt_i32_e32 vcc, s29, v2
	v_or_b32_e32 v1, 48, v1
	s_nop 0
	v_cndmask_b32_e32 v2, v7, v3, vcc
	v_ashrrev_i32_e32 v3, 31, v2
	v_lshl_add_u64 v[12:13], v[2:3], 2, s[8:9]
	v_add_u32_e32 v2, v1, v6
	v_ashrrev_i32_e32 v2, 5, v2
	v_cmp_gt_i32_e32 vcc, s29, v1
	s_nop 1
	v_cndmask_b32_e32 v2, v7, v2, vcc
	v_ashrrev_i32_e32 v3, 31, v2
	v_lshl_add_u64 v[16:17], v[2:3], 2, s[8:9]
	global_load_dword v2, v[4:5], off
	global_load_dword v6, v[8:9], off
	;; [unrolled: 1-line block ×4, first 2 shown]
	s_andn2_b64 vcc, exec, s[10:11]
	s_cbranch_vccnz .LBB162_8
; %bb.6:
	s_add_u32 s6, s6, s12
	s_addc_u32 s7, s7, s13
	s_load_dword s5, s[6:7], 0x0
	s_branch .LBB162_9
.LBB162_7:
	s_mov_b64 s[12:13], 0
	s_branch .LBB162_2
.LBB162_8:
	s_mov_b32 s5, s2
.LBB162_9:
	s_load_dwordx2 s[10:11], s[0:1], 0x8
	s_load_dwordx4 s[44:47], s[0:1], 0x48
	v_lshrrev_b32_e32 v1, 6, v0
	v_bfe_u32 v54, v0, 4, 2
	v_lshl_or_b32 v3, v1, 2, v54
	v_and_b32_e32 v44, 15, v0
	v_cmp_lt_u32_e32 vcc, 10, v3
	v_cmp_lt_u32_e64 s[6:7], 7, v44
	v_lshlrev_b32_e32 v42, 3, v44
	v_cmp_gt_u32_e64 s[30:31], 8, v44
	s_or_b64 s[6:7], s[6:7], vcc
	s_and_saveexec_b64 s[12:13], s[6:7]
	s_xor_b64 s[6:7], exec, s[12:13]
; %bb.10:
	v_mov_b32_e32 v43, 0
                                        ; implicit-def: $vgpr3
; %bb.11:
	s_or_saveexec_b64 s[12:13], s[6:7]
	s_load_dwordx2 s[6:7], s[0:1], 0x10
	s_mul_i32 s42, s4, 11
	s_xor_b64 exec, exec, s[12:13]
	s_cbranch_execz .LBB162_13
; %bb.12:
	s_load_dwordx2 s[16:17], s[0:1], 0x0
	s_waitcnt lgkmcnt(0)
	s_ashr_i32 s18, s44, 31
	s_mul_hi_u32 s19, s5, s44
	s_mul_i32 s18, s5, s18
	s_add_i32 s19, s19, s18
	s_mul_i32 s18, s5, s44
	s_lshl_b64 s[18:19], s[18:19], 1
	s_add_u32 s16, s16, s18
	v_add_lshl_u32 v4, v3, s42, 6
	s_addc_u32 s17, s17, s19
	v_ashrrev_i32_e32 v5, 31, v4
	v_mov_b32_e32 v43, 0
	v_lshl_add_u64 v[4:5], v[4:5], 1, s[16:17]
	v_lshlrev_b32_e32 v8, 1, v42
	v_mov_b32_e32 v9, v43
	v_lshl_add_u64 v[4:5], v[4:5], 0, v[8:9]
	global_load_dwordx4 v[16:19], v[4:5], off
	v_and_b32_e32 v4, 3, v0
	v_lshlrev_b32_e32 v5, 9, v44
	v_lshlrev_b32_e32 v3, 5, v3
	;; [unrolled: 1-line block ×3, first 2 shown]
	v_and_b32_e32 v5, 0x1800, v5
	v_or3_b32 v3, v5, v4, v3
	s_waitcnt vmcnt(0)
	ds_write_b128 v3, v[16:19]
.LBB162_13:
	s_or_b64 exec, exec, s[12:13]
	s_waitcnt lgkmcnt(0)
	s_mul_i32 s4, s4, s46
	s_mov_b32 s5, 0
	s_lshl_b64 s[4:5], s[4:5], 1
	s_add_u32 s10, s10, s4
	s_addc_u32 s11, s11, s5
	s_waitcnt vmcnt(3)
	v_mad_i64_i32 v[2:3], s[12:13], v2, s45, 0
	v_lshl_add_u64 v[2:3], v[2:3], 1, s[10:11]
	v_lshlrev_b64 v[12:13], 1, v[42:43]
	v_lshlrev_b32_e32 v46, 9, v54
	v_lshl_add_u64 v[2:3], v[2:3], 0, v[12:13]
	v_mov_b32_e32 v47, 0
	v_lshl_add_u64 v[8:9], v[2:3], 0, v[46:47]
	s_barrier
	global_load_dwordx4 v[22:25], v[8:9], off
	global_load_dwordx4 v[2:5], v[8:9], off offset:2048
	s_waitcnt vmcnt(4)
	v_mad_i64_i32 v[6:7], s[12:13], v6, s45, 0
	v_mov_b32_e32 v8, 0x100
	v_lshl_add_u64 v[6:7], v[6:7], 1, s[10:11]
	v_lshl_or_b32 v16, v44, 4, v8
	v_mov_b32_e32 v17, v47
	s_waitcnt vmcnt(3)
	v_mad_i64_i32 v[10:11], s[12:13], v10, s45, 0
	v_lshl_add_u64 v[6:7], v[6:7], 0, v[16:17]
	v_lshl_add_u64 v[10:11], v[10:11], 1, s[10:11]
	s_waitcnt vmcnt(2)
	v_mad_i64_i32 v[14:15], s[12:13], v14, s45, 0
	v_lshl_add_u64 v[18:19], v[6:7], 0, v[46:47]
	v_lshl_add_u64 v[10:11], v[10:11], 0, v[12:13]
	;; [unrolled: 1-line block ×3, first 2 shown]
	global_load_dwordx4 v[26:29], v[18:19], off
	global_load_dwordx4 v[6:9], v[18:19], off offset:2048
	v_lshl_add_u64 v[18:19], v[10:11], 0, v[46:47]
	v_lshl_add_u64 v[14:15], v[14:15], 0, v[16:17]
	global_load_dwordx4 v[30:33], v[18:19], off
	global_load_dwordx4 v[10:13], v[18:19], off offset:2048
	v_lshl_add_u64 v[18:19], v[14:15], 0, v[46:47]
	global_load_dwordx4 v[34:37], v[18:19], off
	global_load_dwordx4 v[14:17], v[18:19], off offset:2048
	v_add_u32_e32 v18, -11, v44
	v_cmp_gt_u32_e32 vcc, 11, v44
	v_and_b32_e32 v45, 63, v0
	v_mov_b32_e32 v50, 0
	v_cndmask_b32_e32 v18, v18, v44, vcc
	v_lshl_add_u32 v18, v18, 5, v46
	ds_read_b128 v[38:41], v18
	ds_read_b128 v[18:21], v18 offset:2048
	s_and_saveexec_b64 s[10:11], vcc
	s_cbranch_execz .LBB162_15
; %bb.14:
	s_load_dwordx2 s[12:13], s[0:1], 0x40
	v_add_u32_e32 v48, s42, v44
	v_ashrrev_i32_e32 v49, 31, v48
	s_waitcnt lgkmcnt(0)
	v_lshl_add_u64 v[48:49], v[48:49], 2, s[12:13]
	global_load_dword v50, v[48:49], off
.LBB162_15:
	s_or_b64 exec, exec, s[10:11]
	s_ashr_i32 s10, s14, 31
	v_and_or_b32 v46, v0, 48, s14
	s_lshr_b32 s11, s10, 27
	v_add_u32_e32 v48, s11, v46
	v_or_b32_e32 v52, 64, v46
	v_ashrrev_i32_e32 v48, 5, v48
	v_mov_b32_e32 v51, s15
	v_cmp_gt_i32_e32 vcc, s29, v46
	v_add_u32_e32 v53, s11, v52
	s_waitcnt vmcnt(7) lgkmcnt(1)
	v_mfma_f32_16x16x16_f16 v[56:59], v[22:23], v[38:39], 0
	v_cndmask_b32_e32 v48, v51, v48, vcc
	v_ashrrev_i32_e32 v22, 5, v53
	v_cmp_gt_i32_e32 vcc, s29, v52
	v_ashrrev_i32_e32 v49, 31, v48
	v_lshl_add_u64 v[48:49], v[48:49], 2, s[8:9]
	v_cndmask_b32_e32 v22, v51, v22, vcc
	v_ashrrev_i32_e32 v23, 31, v22
	v_lshl_add_u64 v[22:23], v[22:23], 2, s[8:9]
	global_load_dword v55, v[48:49], off
	global_load_dword v72, v[22:23], off
	s_waitcnt vmcnt(3)
	v_mfma_f32_16x16x16_f16 v[68:71], v[34:35], v[38:39], 0
	v_or_b32_e32 v48, 0xc0, v46
	v_add_u32_e32 v52, s11, v48
	s_add_u32 s4, s6, s4
	v_mfma_f32_16x16x16_f16 v[60:63], v[26:27], v[38:39], 0
	s_addc_u32 s5, s7, s5
	s_load_dword s10, s[0:1], 0x1c
	s_mov_b32 s33, 0xff7fffff
	v_mfma_f32_16x16x16_f16 v[64:67], v[30:31], v[38:39], 0
	v_and_b32_e32 v31, 0xc0, v0
	v_or_b32_e32 v38, 0x80, v46
	v_add_u32_e32 v34, s14, v31
	v_mfma_f32_16x16x16_f16 v[22:25], v[24:25], v[40:41], v[56:59]
	v_and_b32_e32 v30, 16, v0
	v_add_u32_e32 v49, s11, v38
	v_lshlrev_b32_e32 v46, 1, v30
	v_lshl_or_b32 v56, v54, 2, v34
	v_mfma_f32_16x16x16_f16 v[34:37], v[36:37], v[40:41], v[68:71]
	v_cmp_gt_i32_e32 vcc, s29, v38
	v_lshlrev_b32_e32 v39, 6, v44
	v_or_b32_e32 v57, 1, v56
	v_mfma_f32_16x16x16_f16 v[26:29], v[28:29], v[40:41], v[60:63]
	v_cmp_gt_i32_e64 s[34:35], s29, v57
	v_mfma_f32_16x16x16_f16 v[30:33], v[32:33], v[40:41], v[64:67]
	v_ashrrev_i32_e32 v40, 5, v49
	v_ashrrev_i32_e32 v41, 5, v52
	v_cndmask_b32_e32 v38, v51, v40, vcc
	v_cmp_gt_i32_e32 vcc, s29, v48
	s_waitcnt lgkmcnt(0)
	v_mfma_f32_16x16x16_f16 v[22:25], v[2:3], v[18:19], v[22:25]
	v_lshl_add_u64 v[2:3], s[4:5], 0, v[46:47]
	v_cndmask_b32_e32 v40, v51, v41, vcc
	v_lshl_or_b32 v46, v1, 10, v39
	v_ashrrev_i32_e32 v39, 31, v38
	v_ashrrev_i32_e32 v41, 31, v40
	s_waitcnt vmcnt(2)
	v_mfma_f32_16x16x16_f16 v[34:37], v[14:15], v[18:19], v[34:37]
	v_lshl_add_u64 v[14:15], v[38:39], 2, s[8:9]
	v_subrev_u32_e32 v51, s29, v57
	v_cvt_f32_i32_e32 v58, v51
	v_mfma_f32_16x16x16_f16 v[26:29], v[6:7], v[18:19], v[26:29]
	v_mfma_f32_16x16x16_f16 v[30:33], v[10:11], v[18:19], v[30:33]
	v_lshl_add_u64 v[18:19], v[40:41], 2, s[8:9]
	global_load_dword v59, v[14:15], off
	global_load_dword v60, v[18:19], off
	v_lshl_add_u64 v[10:11], v[2:3], 0, v[46:47]
	v_mfma_f32_16x16x16_f16 v[2:5], v[4:5], v[20:21], v[22:25]
	v_add_u32_e32 v46, 1, v51
	v_add_u32_e32 v47, 3, v51
	;; [unrolled: 1-line block ×3, first 2 shown]
	v_mfma_f32_16x16x16_f16 v[14:17], v[16:17], v[20:21], v[34:37]
	v_add_u32_e32 v22, 2, v51
	s_nop 1
	v_pk_mul_f32 v[52:53], s[10:11], v[4:5] op_sel_hi:[0,1]
	v_cvt_f32_i32_e32 v18, v18
	v_mfma_f32_16x16x16_f16 v[6:9], v[8:9], v[20:21], v[26:29]
	v_add_u32_e32 v19, 19, v51
	v_pk_mul_f32 v[34:35], s[10:11], v[16:17] op_sel_hi:[0,1]
	v_pk_mul_f32 v[36:37], s[10:11], v[14:15] op_sel_hi:[0,1]
	v_cvt_f32_i32_e32 v27, v22
	v_mfma_f32_16x16x16_f16 v[22:25], v[12:13], v[20:21], v[30:33]
	v_pk_mul_f32 v[12:13], s[10:11], v[2:3] op_sel_hi:[0,1]
	v_cvt_f32_i32_e32 v26, v46
	v_cvt_f32_i32_e32 v28, v47
	v_pk_mul_f32 v[46:47], s[10:11], v[8:9] op_sel_hi:[0,1]
	v_pk_mul_f32 v[48:49], s[10:11], v[6:7] op_sel_hi:[0,1]
	v_cvt_f32_i32_e32 v19, v19
	v_fma_f32 v46, v50, v18, v46
	v_add_u32_e32 v18, 34, v51
	v_cvt_f32_i32_e32 v18, v18
	v_fmac_f32_e32 v47, v50, v19
	v_add_u32_e32 v19, 35, v51
	v_cvt_f32_i32_e32 v19, v19
	v_pk_mul_f32 v[40:41], s[10:11], v[22:23] op_sel_hi:[0,1]
	v_pk_mul_f32 v[38:39], s[10:11], v[24:25] op_sel_hi:[0,1]
	v_fma_f32 v38, v50, v18, v38
	v_add_u32_e32 v18, 50, v51
	s_waitcnt vmcnt(3)
	v_mad_i64_i32 v[2:3], s[4:5], v55, s45, 0
	s_waitcnt vmcnt(2)
	v_mad_i64_i32 v[4:5], s[4:5], v72, s45, 0
	v_lshl_add_u64 v[16:17], v[2:3], 1, v[10:11]
	v_lshl_add_u64 v[14:15], v[4:5], 1, v[10:11]
	global_load_dwordx4 v[6:9], v[16:17], off
	global_load_dwordx4 v[2:5], v[16:17], off offset:16
	v_add_u32_e32 v16, 16, v51
	v_cvt_f32_i32_e32 v16, v16
	v_add_u32_e32 v17, 17, v51
	v_cvt_f32_i32_e32 v17, v17
	v_fmac_f32_e32 v39, v50, v19
	v_fma_f32 v48, v50, v16, v48
	v_add_u32_e32 v16, 32, v51
	v_fmac_f32_e32 v49, v50, v17
	v_cvt_f32_i32_e32 v16, v16
	v_add_u32_e32 v17, 33, v51
	v_cvt_f32_i32_e32 v17, v17
	v_cvt_f32_i32_e32 v18, v18
	v_fma_f32 v40, v50, v16, v40
	v_add_u32_e32 v16, 48, v51
	v_fmac_f32_e32 v41, v50, v17
	v_cvt_f32_i32_e32 v16, v16
	v_add_u32_e32 v17, 49, v51
	v_cvt_f32_i32_e32 v17, v17
	v_add_u32_e32 v19, 51, v51
	v_cvt_f32_i32_e32 v19, v19
	v_fma_f32 v12, v50, v58, v12
	v_fmac_f32_e32 v13, v50, v26
	v_fma_f32 v36, v50, v16, v36
	v_mov_b32_e32 v16, 0xff7fffff
	v_cmp_gt_i32_e64 s[4:5], s29, v56
	v_fmac_f32_e32 v37, v50, v17
	v_fma_f32 v34, v50, v18, v34
	v_cndmask_b32_e64 v17, v16, v12, s[4:5]
	v_cndmask_b32_e64 v18, v16, v13, s[34:35]
	v_fmac_f32_e32 v35, v50, v19
	v_max3_f32 v17, v17, s33, v18
	v_or_b32_e32 v18, 2, v56
	v_or_b32_e32 v19, 3, v56
	v_fma_f32 v52, v50, v27, v52
	v_fmac_f32_e32 v53, v50, v28
	v_cmp_gt_i32_e64 s[36:37], s29, v18
	v_cmp_gt_i32_e64 s[38:39], s29, v19
	global_load_dwordx4 v[30:33], v[14:15], off
	global_load_dwordx4 v[26:29], v[14:15], off offset:16
	v_cndmask_b32_e64 v18, v16, v52, s[36:37]
	v_cndmask_b32_e64 v19, v16, v53, s[38:39]
	v_max3_f32 v17, v17, v18, v19
	v_or_b32_e32 v18, 16, v56
	v_or_b32_e32 v19, 17, v56
	v_cmp_gt_i32_e64 s[24:25], s29, v18
	v_cmp_gt_i32_e64 s[26:27], s29, v19
	s_nop 0
	v_cndmask_b32_e64 v18, v16, v48, s[24:25]
	v_cndmask_b32_e64 v19, v16, v49, s[26:27]
	v_max3_f32 v17, v17, v18, v19
	v_or_b32_e32 v18, 18, v56
	v_or_b32_e32 v19, 19, v56
	v_cmp_gt_i32_e64 s[20:21], s29, v18
	v_cmp_gt_i32_e64 s[22:23], s29, v19
	s_nop 0
	;; [unrolled: 8-line block ×5, first 2 shown]
	v_cndmask_b32_e64 v18, v16, v36, s[8:9]
	v_cndmask_b32_e64 v19, v16, v37, s[10:11]
	v_max3_f32 v17, v17, v18, v19
	v_or_b32_e32 v18, 50, v56
	v_or_b32_e32 v19, 51, v56
	v_cmp_gt_i32_e32 vcc, s29, v18
	v_cmp_gt_i32_e64 s[6:7], s29, v19
	s_nop 0
	v_cndmask_b32_e32 v18, v16, v34, vcc
	v_cndmask_b32_e64 v16, v16, v35, s[6:7]
	v_max3_f32 v16, v17, v18, v16
	v_mbcnt_lo_u32_b32 v17, -1, 0
	v_mbcnt_hi_u32_b32 v17, -1, v17
	v_and_b32_e32 v18, 64, v17
	v_add_u32_e32 v18, 64, v18
	v_xor_b32_e32 v19, 32, v17
	v_cmp_lt_i32_e64 s[40:41], v19, v18
	s_nop 1
	v_cndmask_b32_e64 v19, v17, v19, s[40:41]
	v_lshlrev_b32_e32 v56, 2, v19
	ds_bpermute_b32 v19, v56, v16
	s_waitcnt vmcnt(5)
	v_mad_i64_i32 v[14:15], s[40:41], v59, s45, 0
	v_lshl_add_u64 v[14:15], v[14:15], 1, v[10:11]
	s_waitcnt lgkmcnt(0)
	v_max_f32_e32 v19, v19, v19
	v_max_f32_e32 v16, v16, v19
	v_xor_b32_e32 v19, 16, v17
	v_cmp_lt_i32_e64 s[40:41], v19, v18
	s_nop 1
	v_cndmask_b32_e64 v17, v17, v19, s[40:41]
	v_lshlrev_b32_e32 v57, 2, v17
	ds_bpermute_b32 v17, v57, v16
	global_load_dwordx4 v[22:25], v[14:15], off
	global_load_dwordx4 v[18:21], v[14:15], off offset:16
	s_waitcnt vmcnt(6)
	v_mad_i64_i32 v[14:15], s[40:41], v60, s45, 0
	v_lshl_add_u64 v[10:11], v[14:15], 1, v[10:11]
	s_waitcnt lgkmcnt(0)
	v_max_f32_e32 v14, v17, v17
	v_max_f32_e32 v55, v16, v14
	v_sub_f32_e32 v12, v12, v55
	v_mul_f32_e32 v12, 0x3fb8aa3b, v12
	v_exp_f32_e32 v50, v12
	v_sub_f32_e32 v12, v13, v55
	v_mul_f32_e32 v12, 0x3fb8aa3b, v12
	v_exp_f32_e32 v51, v12
	global_load_dwordx4 v[14:17], v[10:11], off
	s_nop 0
	global_load_dwordx4 v[10:13], v[10:11], off offset:16
	v_sub_f32_e32 v52, v52, v55
	v_mul_f32_e32 v52, 0x3fb8aa3b, v52
	v_sub_f32_e32 v53, v53, v55
	v_exp_f32_e32 v52, v52
	v_mul_f32_e32 v53, 0x3fb8aa3b, v53
	v_sub_f32_e32 v48, v48, v55
	v_exp_f32_e32 v53, v53
	v_mul_f32_e32 v48, 0x3fb8aa3b, v48
	v_sub_f32_e32 v49, v49, v55
	v_cndmask_b32_e64 v50, 0, v50, s[4:5]
	v_exp_f32_e32 v48, v48
	v_mul_f32_e32 v49, 0x3fb8aa3b, v49
	v_sub_f32_e32 v46, v46, v55
	v_add_f32_e32 v58, 0, v50
	v_cndmask_b32_e64 v51, 0, v51, s[34:35]
	v_exp_f32_e32 v49, v49
	v_mul_f32_e32 v46, 0x3fb8aa3b, v46
	v_sub_f32_e32 v47, v47, v55
	v_add_f32_e32 v58, v58, v51
	;; [unrolled: 5-line block ×10, first 2 shown]
	v_cndmask_b32_e64 v38, 0, v38, s[12:13]
	v_exp_f32_e32 v34, v34
	v_mul_f32_e32 v35, 0x3fb8aa3b, v35
	v_add_f32_e32 v58, v58, v38
	v_cndmask_b32_e64 v39, 0, v39, s[14:15]
	v_exp_f32_e32 v35, v35
	v_add_f32_e32 v58, v58, v39
	v_cndmask_b32_e64 v36, 0, v36, s[8:9]
	v_add_f32_e32 v58, v58, v36
	v_cndmask_b32_e64 v37, 0, v37, s[10:11]
	v_add_f32_e32 v58, v58, v37
	v_cndmask_b32_e32 v34, 0, v34, vcc
	v_add_f32_e32 v58, v58, v34
	v_cndmask_b32_e64 v35, 0, v35, s[6:7]
	v_add_f32_e32 v58, v58, v35
	ds_bpermute_b32 v56, v56, v58
	s_load_dword s7, s[0:1], 0x98
	v_cmp_gt_u32_e32 vcc, 16, v45
	v_lshlrev_b32_e32 v45, 2, v44
	s_waitcnt lgkmcnt(0)
	v_add_f32_e32 v56, v58, v56
	ds_bpermute_b32 v57, v57, v56
	s_barrier
	s_waitcnt lgkmcnt(0)
	s_and_saveexec_b64 s[4:5], vcc
	s_cbranch_execz .LBB162_17
; %bb.16:
	v_add_f32_e32 v56, v56, v57
	v_lshl_or_b32 v57, v1, 6, v45
	ds_write2st64_b32 v57, v55, v56 offset1:1
.LBB162_17:
	s_or_b64 exec, exec, s[4:5]
	s_load_dword s6, s[0:1], 0x94
	s_waitcnt lgkmcnt(0)
	s_barrier
	ds_read2_b32 v[56:57], v45 offset1:16
	ds_read2_b32 v[58:59], v45 offset0:32 offset1:48
	ds_read2_b32 v[60:61], v45 offset0:64 offset1:80
	ds_read2_b32 v[62:63], v45 offset0:96 offset1:112
	s_waitcnt lgkmcnt(0)
	v_max3_f32 v55, v56, s33, v57
	v_max3_f32 v55, v55, v58, v59
	v_sub_f32_e32 v56, v56, v55
	v_mul_f32_e32 v56, 0x3fb8aa3b, v56
	v_exp_f32_e32 v64, v56
	v_sub_f32_e32 v56, v57, v55
	v_mul_f32_e32 v56, 0x3fb8aa3b, v56
	v_exp_f32_e32 v57, v56
	v_sub_f32_e32 v56, v58, v55
	v_mul_f32_e32 v56, 0x3fb8aa3b, v56
	v_sub_f32_e32 v45, v59, v55
	v_exp_f32_e32 v58, v56
	v_mul_f32_e32 v45, 0x3fb8aa3b, v45
	v_exp_f32_e32 v45, v45
	v_fma_f32 v56, v64, v60, 0
	v_fmac_f32_e32 v56, v57, v61
	v_fmac_f32_e32 v56, v58, v62
	;; [unrolled: 1-line block ×3, first 2 shown]
	v_add_f32_e32 v59, 0x358637bd, v56
	v_div_scale_f32 v60, s[4:5], v59, v59, 1.0
	v_rcp_f32_e32 v61, v60
	s_barrier
	s_mul_i32 s7, s7, 11
	v_fma_f32 v62, -v60, v61, 1.0
	v_fmac_f32_e32 v61, v62, v61
	v_div_scale_f32 v62, vcc, 1.0, v59, 1.0
	v_mul_f32_e32 v63, v62, v61
	v_fma_f32 v65, -v60, v63, v62
	v_fmac_f32_e32 v63, v65, v61
	v_fma_f32 v60, -v60, v63, v62
	v_div_fmas_f32 v60, v60, v61, v63
	v_cmp_eq_u32_e32 vcc, 1, v1
	v_div_fixup_f32 v59, v60, v59, 1.0
	s_nop 0
	v_cndmask_b32_e32 v57, v64, v57, vcc
	v_cmp_eq_u32_e32 vcc, 2, v1
	s_nop 1
	v_cndmask_b32_e32 v57, v57, v58, vcc
	v_cmp_eq_u32_e32 vcc, 3, v1
	v_lshlrev_b32_e32 v1, 11, v1
	s_nop 0
	v_cndmask_b32_e32 v45, v57, v45, vcc
	v_mul_f32_e32 v58, v45, v59
	v_pk_mul_f32 v[52:53], v[58:59], v[52:53] op_sel_hi:[0,1]
	v_pk_mul_f32 v[50:51], v[58:59], v[50:51] op_sel_hi:[0,1]
	v_cvt_f16_f32_e32 v45, v50
	v_cvt_f16_f32_e32 v50, v51
	;; [unrolled: 1-line block ×4, first 2 shown]
	v_pk_mul_f32 v[46:47], v[58:59], v[46:47] op_sel_hi:[0,1]
	v_pk_mul_f32 v[48:49], v[58:59], v[48:49] op_sel_hi:[0,1]
	v_cvt_f16_f32_e32 v48, v48
	v_pack_b32_f16 v53, v51, v53
	v_cvt_f16_f32_e32 v49, v49
	v_cvt_f16_f32_e32 v51, v46
	;; [unrolled: 1-line block ×3, first 2 shown]
	v_pack_b32_f16 v52, v45, v50
	v_lshlrev_b32_e32 v45, 3, v54
	v_lshlrev_b32_e32 v50, 5, v44
	v_or3_b32 v1, v1, v50, v45
	v_pack_b32_f16 v46, v48, v49
	v_pack_b32_f16 v47, v51, v47
	v_pk_mul_f32 v[38:39], v[58:59], v[38:39] op_sel_hi:[0,1]
	v_pk_mul_f32 v[40:41], v[58:59], v[40:41] op_sel_hi:[0,1]
	;; [unrolled: 1-line block ×4, first 2 shown]
	ds_write2st64_b64 v1, v[52:53], v[46:47] offset1:1
	v_cvt_f16_f32_e32 v40, v40
	v_cvt_f16_f32_e32 v41, v41
	;; [unrolled: 1-line block ×8, first 2 shown]
	v_pack_b32_f16 v34, v40, v41
	v_pack_b32_f16 v35, v38, v39
	;; [unrolled: 1-line block ×4, first 2 shown]
	v_cmp_gt_u32_e32 vcc, 11, v0
	ds_write2st64_b64 v1, v[34:35], v[36:37] offset0:2 offset1:3
	s_and_saveexec_b64 s[4:5], vcc
	s_cbranch_execz .LBB162_19
; %bb.18:
	s_mov_b32 s43, 0
	v_mov_b32_e32 v45, 0
	v_lshl_add_u64 v[34:35], s[42:43], 0, v[44:45]
	v_mov_b32_e32 v36, s7
	v_mad_u64_u32 v[34:35], s[12:13], s2, v36, v[34:35]
	s_mul_i32 s3, s3, s7
	v_mov_b32_e32 v44, s28
	s_load_dwordx4 s[8:11], s[0:1], 0x58
	v_add_u32_e32 v37, s3, v35
	v_mad_u64_u32 v[34:35], s[12:13], v34, s6, v[44:45]
	v_mov_b32_e32 v36, v35
	v_mad_u64_u32 v[36:37], s[12:13], v37, s6, v[36:37]
	v_mov_b32_e32 v35, v36
	v_lshlrev_b64 v[34:35], 2, v[34:35]
	s_waitcnt lgkmcnt(0)
	v_lshl_add_u64 v[36:37], s[10:11], 0, v[34:35]
	v_lshl_add_u64 v[34:35], s[8:9], 0, v[34:35]
	global_store_dword v[36:37], v55, off
	global_store_dword v[34:35], v56, off
.LBB162_19:
	s_or_b64 exec, exec, s[4:5]
	v_lshl_or_b32 v48, v54, 9, v50
	s_waitcnt lgkmcnt(0)
	s_barrier
	ds_read_b128 v[34:37], v48
	ds_read_b128 v[38:41], v48 offset:16
	s_waitcnt vmcnt(7) lgkmcnt(1)
	v_mfma_f32_16x16x16_f16 v[44:47], v[6:7], v[34:35], 0
	v_cmp_gt_u32_e32 vcc, 64, v0
	s_mov_b32 s3, 0
	s_and_b64 s[4:5], vcc, s[30:31]
	v_mfma_f32_16x16x16_f16 v[6:9], v[8:9], v[36:37], v[44:47]
	s_waitcnt vmcnt(6) lgkmcnt(0)
	v_mfma_f32_16x16x16_f16 v[6:9], v[2:3], v[38:39], v[6:9]
	v_mfma_f32_16x16x16_f16 v[2:5], v[4:5], v[40:41], v[6:9]
	s_nop 5
	ds_read_b128 v[6:9], v48 offset:2048
	ds_read_b128 v[34:37], v48 offset:2064
	s_waitcnt vmcnt(5) lgkmcnt(1)
	v_mfma_f32_16x16x16_f16 v[2:5], v[30:31], v[6:7], v[2:5]
	v_mfma_f32_16x16x16_f16 v[2:5], v[32:33], v[8:9], v[2:5]
	s_waitcnt vmcnt(4) lgkmcnt(0)
	v_mfma_f32_16x16x16_f16 v[2:5], v[26:27], v[34:35], v[2:5]
	v_mfma_f32_16x16x16_f16 v[2:5], v[28:29], v[36:37], v[2:5]
	ds_read_b128 v[6:9], v48 offset:4096
	ds_read_b128 v[26:29], v48 offset:4112
	s_waitcnt vmcnt(3) lgkmcnt(1)
	v_mfma_f32_16x16x16_f16 v[2:5], v[22:23], v[6:7], v[2:5]
	v_mfma_f32_16x16x16_f16 v[2:5], v[24:25], v[8:9], v[2:5]
	s_waitcnt vmcnt(2) lgkmcnt(0)
	v_mfma_f32_16x16x16_f16 v[2:5], v[18:19], v[26:27], v[2:5]
	v_mfma_f32_16x16x16_f16 v[2:5], v[20:21], v[28:29], v[2:5]
	ds_read_b128 v[6:9], v48 offset:6144
	ds_read_b128 v[18:21], v48 offset:6160
	s_waitcnt lgkmcnt(0)
	s_barrier
	s_waitcnt vmcnt(1)
	v_mfma_f32_16x16x16_f16 v[2:5], v[14:15], v[6:7], v[2:5]
	v_mfma_f32_16x16x16_f16 v[2:5], v[16:17], v[8:9], v[2:5]
	s_waitcnt vmcnt(0)
	v_mfma_f32_16x16x16_f16 v[2:5], v[10:11], v[18:19], v[2:5]
	v_mfma_f32_16x16x16_f16 v[2:5], v[12:13], v[20:21], v[2:5]
	s_nop 6
	v_cvt_f16_f32_e32 v2, v2
	v_cvt_f16_f32_e32 v3, v3
	;; [unrolled: 1-line block ×4, first 2 shown]
	v_pack_b32_f16 v2, v2, v3
	v_pack_b32_f16 v3, v4, v5
	ds_write_b64 v1, v[2:3]
	s_waitcnt lgkmcnt(0)
	s_barrier
	s_and_saveexec_b64 s[8:9], s[4:5]
	s_cbranch_execz .LBB162_22
; %bb.20:
	s_load_dwordx2 s[4:5], s[0:1], 0x68
	s_lshl_b32 s0, s6, 6
	s_mul_i32 s1, s7, s2
	s_mul_hi_u32 s7, s1, s0
	s_mul_i32 s6, s1, s0
	v_lshlrev_b32_e32 v1, 10, v0
	v_lshlrev_b32_e32 v0, 4, v0
	s_lshl_b64 s[6:7], s[6:7], 1
	v_and_b32_e32 v1, 0x1800, v1
	v_lshlrev_b32_e32 v2, 5, v54
	v_and_b32_e32 v0, 16, v0
	s_waitcnt lgkmcnt(0)
	s_add_u32 s1, s4, s6
	v_or3_b32 v2, v1, v2, v0
	s_addc_u32 s4, s5, s7
	s_lshl_b32 s2, s28, 6
	s_lshl_b64 s[2:3], s[2:3], 1
	ds_read_b128 v[4:7], v2 offset:128
	ds_read_b128 v[8:11], v2
	s_add_u32 s2, s1, s2
	s_addc_u32 s3, s4, s3
	v_add_u32_e32 v3, s42, v54
	v_lshl_add_u64 v[0:1], v[42:43], 1, s[2:3]
	v_mad_u64_u32 v[12:13], s[2:3], v3, s0, 0
	v_lshl_add_u64 v[12:13], v[12:13], 1, v[0:1]
	v_add_u32_e32 v3, 4, v3
	s_waitcnt lgkmcnt(0)
	global_store_dwordx4 v[12:13], v[8:11], off
	v_cmp_ne_u32_e32 vcc, 3, v54
	s_nop 0
	v_mad_u64_u32 v[8:9], s[2:3], v3, s0, 0
	v_lshl_add_u64 v[8:9], v[8:9], 1, v[0:1]
	global_store_dwordx4 v[8:9], v[4:7], off
	s_and_b64 exec, exec, vcc
	s_cbranch_execz .LBB162_22
; %bb.21:
	ds_read_b128 v[2:5], v2 offset:256
	v_add3_u32 v6, s42, v54, 8
	v_mad_u64_u32 v[6:7], s[0:1], v6, s0, 0
	v_lshl_add_u64 v[0:1], v[6:7], 1, v[0:1]
	s_waitcnt lgkmcnt(0)
	global_store_dwordx4 v[0:1], v[2:5], off
.LBB162_22:
	s_endpgm
	.section	.rodata,"a",@progbits
	.p2align	6, 0x0
	.amdhsa_kernel _Z39paged_attention_ll4mi_QKV_mfma16_kernelIDF16_DF16_LN4vllm18Fp8KVCacheDataTypeE0EDF16_Li32ELi64ELi256ELb1ELi11EEvPKT_PKT0_S7_ifPKiS9_S9_iPKfiiiPfSC_PS2_PT2_iSB_SB_
		.amdhsa_group_segment_fixed_size 8192
		.amdhsa_private_segment_fixed_size 0
		.amdhsa_kernarg_size 400
		.amdhsa_user_sgpr_count 2
		.amdhsa_user_sgpr_dispatch_ptr 0
		.amdhsa_user_sgpr_queue_ptr 0
		.amdhsa_user_sgpr_kernarg_segment_ptr 1
		.amdhsa_user_sgpr_dispatch_id 0
		.amdhsa_user_sgpr_kernarg_preload_length 0
		.amdhsa_user_sgpr_kernarg_preload_offset 0
		.amdhsa_user_sgpr_private_segment_size 0
		.amdhsa_uses_dynamic_stack 0
		.amdhsa_enable_private_segment 0
		.amdhsa_system_sgpr_workgroup_id_x 1
		.amdhsa_system_sgpr_workgroup_id_y 1
		.amdhsa_system_sgpr_workgroup_id_z 1
		.amdhsa_system_sgpr_workgroup_info 0
		.amdhsa_system_vgpr_workitem_id 0
		.amdhsa_next_free_vgpr 73
		.amdhsa_next_free_sgpr 48
		.amdhsa_accum_offset 76
		.amdhsa_reserve_vcc 1
		.amdhsa_float_round_mode_32 0
		.amdhsa_float_round_mode_16_64 0
		.amdhsa_float_denorm_mode_32 3
		.amdhsa_float_denorm_mode_16_64 3
		.amdhsa_dx10_clamp 1
		.amdhsa_ieee_mode 1
		.amdhsa_fp16_overflow 0
		.amdhsa_tg_split 0
		.amdhsa_exception_fp_ieee_invalid_op 0
		.amdhsa_exception_fp_denorm_src 0
		.amdhsa_exception_fp_ieee_div_zero 0
		.amdhsa_exception_fp_ieee_overflow 0
		.amdhsa_exception_fp_ieee_underflow 0
		.amdhsa_exception_fp_ieee_inexact 0
		.amdhsa_exception_int_div_zero 0
	.end_amdhsa_kernel
	.section	.text._Z39paged_attention_ll4mi_QKV_mfma16_kernelIDF16_DF16_LN4vllm18Fp8KVCacheDataTypeE0EDF16_Li32ELi64ELi256ELb1ELi11EEvPKT_PKT0_S7_ifPKiS9_S9_iPKfiiiPfSC_PS2_PT2_iSB_SB_,"axG",@progbits,_Z39paged_attention_ll4mi_QKV_mfma16_kernelIDF16_DF16_LN4vllm18Fp8KVCacheDataTypeE0EDF16_Li32ELi64ELi256ELb1ELi11EEvPKT_PKT0_S7_ifPKiS9_S9_iPKfiiiPfSC_PS2_PT2_iSB_SB_,comdat
.Lfunc_end162:
	.size	_Z39paged_attention_ll4mi_QKV_mfma16_kernelIDF16_DF16_LN4vllm18Fp8KVCacheDataTypeE0EDF16_Li32ELi64ELi256ELb1ELi11EEvPKT_PKT0_S7_ifPKiS9_S9_iPKfiiiPfSC_PS2_PT2_iSB_SB_, .Lfunc_end162-_Z39paged_attention_ll4mi_QKV_mfma16_kernelIDF16_DF16_LN4vllm18Fp8KVCacheDataTypeE0EDF16_Li32ELi64ELi256ELb1ELi11EEvPKT_PKT0_S7_ifPKiS9_S9_iPKfiiiPfSC_PS2_PT2_iSB_SB_
                                        ; -- End function
	.section	.AMDGPU.csdata,"",@progbits
; Kernel info:
; codeLenInByte = 4176
; NumSgprs: 54
; NumVgprs: 73
; NumAgprs: 0
; TotalNumVgprs: 73
; ScratchSize: 0
; MemoryBound: 0
; FloatMode: 240
; IeeeMode: 1
; LDSByteSize: 8192 bytes/workgroup (compile time only)
; SGPRBlocks: 6
; VGPRBlocks: 9
; NumSGPRsForWavesPerEU: 54
; NumVGPRsForWavesPerEU: 73
; AccumOffset: 76
; Occupancy: 6
; WaveLimiterHint : 1
; COMPUTE_PGM_RSRC2:SCRATCH_EN: 0
; COMPUTE_PGM_RSRC2:USER_SGPR: 2
; COMPUTE_PGM_RSRC2:TRAP_HANDLER: 0
; COMPUTE_PGM_RSRC2:TGID_X_EN: 1
; COMPUTE_PGM_RSRC2:TGID_Y_EN: 1
; COMPUTE_PGM_RSRC2:TGID_Z_EN: 1
; COMPUTE_PGM_RSRC2:TIDIG_COMP_CNT: 0
; COMPUTE_PGM_RSRC3_GFX90A:ACCUM_OFFSET: 18
; COMPUTE_PGM_RSRC3_GFX90A:TG_SPLIT: 0
	.section	.text._Z39paged_attention_ll4mi_QKV_mfma16_kernelIDF16_DF16_LN4vllm18Fp8KVCacheDataTypeE0EDF16_Li32ELi64ELi256ELb1ELi12EEvPKT_PKT0_S7_ifPKiS9_S9_iPKfiiiPfSC_PS2_PT2_iSB_SB_,"axG",@progbits,_Z39paged_attention_ll4mi_QKV_mfma16_kernelIDF16_DF16_LN4vllm18Fp8KVCacheDataTypeE0EDF16_Li32ELi64ELi256ELb1ELi12EEvPKT_PKT0_S7_ifPKiS9_S9_iPKfiiiPfSC_PS2_PT2_iSB_SB_,comdat
	.protected	_Z39paged_attention_ll4mi_QKV_mfma16_kernelIDF16_DF16_LN4vllm18Fp8KVCacheDataTypeE0EDF16_Li32ELi64ELi256ELb1ELi12EEvPKT_PKT0_S7_ifPKiS9_S9_iPKfiiiPfSC_PS2_PT2_iSB_SB_ ; -- Begin function _Z39paged_attention_ll4mi_QKV_mfma16_kernelIDF16_DF16_LN4vllm18Fp8KVCacheDataTypeE0EDF16_Li32ELi64ELi256ELb1ELi12EEvPKT_PKT0_S7_ifPKiS9_S9_iPKfiiiPfSC_PS2_PT2_iSB_SB_
	.globl	_Z39paged_attention_ll4mi_QKV_mfma16_kernelIDF16_DF16_LN4vllm18Fp8KVCacheDataTypeE0EDF16_Li32ELi64ELi256ELb1ELi12EEvPKT_PKT0_S7_ifPKiS9_S9_iPKfiiiPfSC_PS2_PT2_iSB_SB_
	.p2align	8
	.type	_Z39paged_attention_ll4mi_QKV_mfma16_kernelIDF16_DF16_LN4vllm18Fp8KVCacheDataTypeE0EDF16_Li32ELi64ELi256ELb1ELi12EEvPKT_PKT0_S7_ifPKiS9_S9_iPKfiiiPfSC_PS2_PT2_iSB_SB_,@function
_Z39paged_attention_ll4mi_QKV_mfma16_kernelIDF16_DF16_LN4vllm18Fp8KVCacheDataTypeE0EDF16_Li32ELi64ELi256ELb1ELi12EEvPKT_PKT0_S7_ifPKiS9_S9_iPKfiiiPfSC_PS2_PT2_iSB_SB_: ; @_Z39paged_attention_ll4mi_QKV_mfma16_kernelIDF16_DF16_LN4vllm18Fp8KVCacheDataTypeE0EDF16_Li32ELi64ELi256ELb1ELi12EEvPKT_PKT0_S7_ifPKiS9_S9_iPKfiiiPfSC_PS2_PT2_iSB_SB_
; %bb.0:
	s_load_dwordx2 s[6:7], s[0:1], 0x30
	s_mov_b32 s28, s3
	s_mov_b64 s[8:9], 0
	s_waitcnt lgkmcnt(0)
	s_cmp_lg_u64 s[6:7], 0
	s_cselect_b64 s[10:11], -1, 0
	s_and_b64 vcc, exec, s[10:11]
	s_cbranch_vccz .LBB163_7
; %bb.1:
	s_add_i32 s12, s2, 1
	s_mov_b32 s13, 0
	s_lshl_b64 s[14:15], s[12:13], 2
	s_add_u32 s14, s6, s14
	s_mov_b32 s3, s13
	s_addc_u32 s15, s7, s15
	s_lshl_b64 s[12:13], s[2:3], 2
	s_add_u32 s12, s6, s12
	s_addc_u32 s13, s7, s13
	s_load_dword s5, s[14:15], 0x0
	s_load_dword s16, s[12:13], 0x0
	s_waitcnt lgkmcnt(0)
	s_sub_i32 s5, s5, s16
	s_cmp_eq_u32 s5, 1
	s_cselect_b64 s[12:13], -1, 0
	s_andn2_b64 vcc, exec, s[8:9]
	s_cbranch_vccnz .LBB163_3
.LBB163_2:
	s_mov_b32 s3, 0
	s_mov_b64 s[12:13], -1
.LBB163_3:
	s_andn2_b64 vcc, exec, s[12:13]
	s_cbranch_vccnz .LBB163_21
; %bb.4:
	s_load_dwordx2 s[8:9], s[0:1], 0x28
	s_lshl_b64 s[12:13], s[2:3], 2
	s_waitcnt lgkmcnt(0)
	s_add_u32 s8, s8, s12
	s_addc_u32 s9, s9, s13
	s_load_dword s29, s[8:9], 0x0
	s_lshl_b32 s14, s28, 8
	s_waitcnt lgkmcnt(0)
	s_cmp_ge_i32 s14, s29
	s_cbranch_scc1 .LBB163_21
; %bb.5:
	s_load_dwordx2 s[8:9], s[0:1], 0x20
	s_load_dword s5, s[0:1], 0x38
	s_add_i32 s15, s29, 31
	s_ashr_i32 s16, s15, 31
	v_and_b32_e32 v1, 0xcf, v0
	s_lshr_b32 s16, s16, 27
	v_add_u32_e32 v1, s14, v1
	s_add_i32 s15, s15, s16
	v_ashrrev_i32_e32 v2, 31, v1
	s_ashr_i32 s15, s15, 5
	v_lshrrev_b32_e32 v6, 27, v2
	s_add_i32 s15, s15, -1
	s_waitcnt lgkmcnt(0)
	s_mul_i32 s16, s2, s5
	s_mov_b32 s17, 0
	v_add_u32_e32 v2, v1, v6
	s_lshl_b64 s[16:17], s[16:17], 2
	v_ashrrev_i32_e32 v2, 5, v2
	v_mov_b32_e32 v7, s15
	v_cmp_gt_i32_e32 vcc, s29, v1
	s_add_u32 s8, s8, s16
	s_addc_u32 s9, s9, s17
	v_cndmask_b32_e32 v2, v7, v2, vcc
	v_ashrrev_i32_e32 v3, 31, v2
	v_lshl_add_u64 v[4:5], v[2:3], 2, s[8:9]
	v_or_b32_e32 v2, 16, v1
	v_add_u32_e32 v3, v2, v6
	v_ashrrev_i32_e32 v3, 5, v3
	v_cmp_gt_i32_e32 vcc, s29, v2
	s_nop 1
	v_cndmask_b32_e32 v2, v7, v3, vcc
	v_ashrrev_i32_e32 v3, 31, v2
	v_lshl_add_u64 v[8:9], v[2:3], 2, s[8:9]
	v_or_b32_e32 v2, 32, v1
	v_add_u32_e32 v3, v2, v6
	v_ashrrev_i32_e32 v3, 5, v3
	v_cmp_gt_i32_e32 vcc, s29, v2
	v_or_b32_e32 v1, 48, v1
	s_nop 0
	v_cndmask_b32_e32 v2, v7, v3, vcc
	v_ashrrev_i32_e32 v3, 31, v2
	v_lshl_add_u64 v[12:13], v[2:3], 2, s[8:9]
	v_add_u32_e32 v2, v1, v6
	v_ashrrev_i32_e32 v2, 5, v2
	v_cmp_gt_i32_e32 vcc, s29, v1
	s_nop 1
	v_cndmask_b32_e32 v2, v7, v2, vcc
	v_ashrrev_i32_e32 v3, 31, v2
	v_lshl_add_u64 v[16:17], v[2:3], 2, s[8:9]
	global_load_dword v2, v[4:5], off
	global_load_dword v6, v[8:9], off
	;; [unrolled: 1-line block ×4, first 2 shown]
	s_andn2_b64 vcc, exec, s[10:11]
	s_cbranch_vccnz .LBB163_8
; %bb.6:
	s_add_u32 s6, s6, s12
	s_addc_u32 s7, s7, s13
	s_load_dword s5, s[6:7], 0x0
	s_branch .LBB163_9
.LBB163_7:
	s_mov_b64 s[12:13], 0
	s_branch .LBB163_2
.LBB163_8:
	s_mov_b32 s5, s2
.LBB163_9:
	s_load_dwordx2 s[10:11], s[0:1], 0x8
	s_load_dwordx4 s[44:47], s[0:1], 0x48
	v_and_b32_e32 v44, 15, v0
	s_movk_i32 s6, 0xbf
	v_cmp_lt_u32_e32 vcc, s6, v0
	v_cmp_lt_u32_e64 s[6:7], 7, v44
	v_lshlrev_b32_e32 v42, 3, v44
	v_cmp_gt_u32_e64 s[30:31], 8, v44
	s_or_b64 s[6:7], vcc, s[6:7]
	s_and_saveexec_b64 s[12:13], s[6:7]
	s_xor_b64 s[6:7], exec, s[12:13]
; %bb.10:
	v_mov_b32_e32 v43, 0
; %bb.11:
	s_or_saveexec_b64 s[12:13], s[6:7]
	s_load_dwordx2 s[6:7], s[0:1], 0x10
	v_lshrrev_b32_e32 v45, 6, v0
	v_bfe_u32 v1, v0, 4, 2
	s_mul_i32 s42, s4, 12
	s_xor_b64 exec, exec, s[12:13]
	s_cbranch_execz .LBB163_13
; %bb.12:
	s_load_dwordx2 s[16:17], s[0:1], 0x0
	s_waitcnt lgkmcnt(0)
	s_ashr_i32 s18, s44, 31
	s_mul_hi_u32 s19, s5, s44
	s_mul_i32 s18, s5, s18
	s_add_i32 s19, s19, s18
	s_mul_i32 s18, s5, s44
	v_lshl_or_b32 v3, v45, 2, v1
	s_lshl_b64 s[18:19], s[18:19], 1
	s_add_u32 s16, s16, s18
	v_add_lshl_u32 v4, v3, s42, 6
	s_addc_u32 s17, s17, s19
	v_ashrrev_i32_e32 v5, 31, v4
	v_mov_b32_e32 v43, 0
	v_lshl_add_u64 v[4:5], v[4:5], 1, s[16:17]
	v_lshlrev_b32_e32 v8, 1, v42
	v_mov_b32_e32 v9, v43
	v_lshl_add_u64 v[4:5], v[4:5], 0, v[8:9]
	global_load_dwordx4 v[16:19], v[4:5], off
	v_and_b32_e32 v4, 3, v0
	v_lshlrev_b32_e32 v5, 9, v44
	v_lshlrev_b32_e32 v3, 5, v3
	v_lshlrev_b32_e32 v4, 9, v4
	v_and_b32_e32 v5, 0x1800, v5
	v_or3_b32 v3, v5, v4, v3
	s_waitcnt vmcnt(0)
	ds_write_b128 v3, v[16:19]
.LBB163_13:
	s_or_b64 exec, exec, s[12:13]
	s_waitcnt lgkmcnt(0)
	s_mul_i32 s4, s4, s46
	s_mov_b32 s5, 0
	s_lshl_b64 s[4:5], s[4:5], 1
	s_add_u32 s10, s10, s4
	s_addc_u32 s11, s11, s5
	s_waitcnt vmcnt(3)
	v_mad_i64_i32 v[2:3], s[12:13], v2, s45, 0
	v_lshl_add_u64 v[2:3], v[2:3], 1, s[10:11]
	v_lshlrev_b64 v[12:13], 1, v[42:43]
	v_lshlrev_b32_e32 v46, 9, v1
	v_lshl_add_u64 v[2:3], v[2:3], 0, v[12:13]
	v_mov_b32_e32 v47, 0
	v_lshl_add_u64 v[8:9], v[2:3], 0, v[46:47]
	s_barrier
	global_load_dwordx4 v[22:25], v[8:9], off
	global_load_dwordx4 v[2:5], v[8:9], off offset:2048
	s_waitcnt vmcnt(4)
	v_mad_i64_i32 v[6:7], s[12:13], v6, s45, 0
	v_mov_b32_e32 v8, 0x100
	v_lshl_add_u64 v[6:7], v[6:7], 1, s[10:11]
	v_lshl_or_b32 v16, v44, 4, v8
	v_mov_b32_e32 v17, v47
	s_waitcnt vmcnt(3)
	v_mad_i64_i32 v[10:11], s[12:13], v10, s45, 0
	v_lshl_add_u64 v[6:7], v[6:7], 0, v[16:17]
	v_lshl_add_u64 v[10:11], v[10:11], 1, s[10:11]
	s_waitcnt vmcnt(2)
	v_mad_i64_i32 v[14:15], s[12:13], v14, s45, 0
	v_lshl_add_u64 v[18:19], v[6:7], 0, v[46:47]
	v_lshl_add_u64 v[10:11], v[10:11], 0, v[12:13]
	;; [unrolled: 1-line block ×3, first 2 shown]
	global_load_dwordx4 v[26:29], v[18:19], off
	global_load_dwordx4 v[6:9], v[18:19], off offset:2048
	v_lshl_add_u64 v[18:19], v[10:11], 0, v[46:47]
	v_lshl_add_u64 v[14:15], v[14:15], 0, v[16:17]
	global_load_dwordx4 v[30:33], v[18:19], off
	global_load_dwordx4 v[10:13], v[18:19], off offset:2048
	v_lshl_add_u64 v[18:19], v[14:15], 0, v[46:47]
	global_load_dwordx4 v[34:37], v[18:19], off
	global_load_dwordx4 v[14:17], v[18:19], off offset:2048
	v_add_u32_e32 v18, -12, v44
	v_cmp_gt_u32_e32 vcc, 12, v44
	v_and_b32_e32 v54, 63, v0
	v_mov_b32_e32 v50, 0
	v_cndmask_b32_e32 v18, v18, v44, vcc
	v_lshl_add_u32 v18, v18, 5, v46
	ds_read_b128 v[38:41], v18
	ds_read_b128 v[18:21], v18 offset:2048
	s_and_saveexec_b64 s[10:11], vcc
	s_cbranch_execz .LBB163_15
; %bb.14:
	s_load_dwordx2 s[12:13], s[0:1], 0x40
	v_add_u32_e32 v48, s42, v44
	v_ashrrev_i32_e32 v49, 31, v48
	s_waitcnt lgkmcnt(0)
	v_lshl_add_u64 v[48:49], v[48:49], 2, s[12:13]
	global_load_dword v50, v[48:49], off
.LBB163_15:
	s_or_b64 exec, exec, s[10:11]
	s_ashr_i32 s10, s14, 31
	v_and_or_b32 v46, v0, 48, s14
	s_lshr_b32 s11, s10, 27
	v_add_u32_e32 v48, s11, v46
	v_or_b32_e32 v52, 64, v46
	v_ashrrev_i32_e32 v48, 5, v48
	v_mov_b32_e32 v51, s15
	v_cmp_gt_i32_e32 vcc, s29, v46
	v_add_u32_e32 v53, s11, v52
	s_waitcnt vmcnt(7) lgkmcnt(1)
	v_mfma_f32_16x16x16_f16 v[56:59], v[22:23], v[38:39], 0
	v_cndmask_b32_e32 v48, v51, v48, vcc
	v_ashrrev_i32_e32 v22, 5, v53
	v_cmp_gt_i32_e32 vcc, s29, v52
	v_ashrrev_i32_e32 v49, 31, v48
	v_lshl_add_u64 v[48:49], v[48:49], 2, s[8:9]
	v_cndmask_b32_e32 v22, v51, v22, vcc
	v_ashrrev_i32_e32 v23, 31, v22
	v_lshl_add_u64 v[22:23], v[22:23], 2, s[8:9]
	global_load_dword v55, v[48:49], off
	global_load_dword v72, v[22:23], off
	s_waitcnt vmcnt(3)
	v_mfma_f32_16x16x16_f16 v[68:71], v[34:35], v[38:39], 0
	v_or_b32_e32 v48, 0xc0, v46
	v_add_u32_e32 v52, s11, v48
	s_add_u32 s4, s6, s4
	v_mfma_f32_16x16x16_f16 v[60:63], v[26:27], v[38:39], 0
	s_addc_u32 s5, s7, s5
	s_load_dword s10, s[0:1], 0x1c
	s_mov_b32 s33, 0xff7fffff
	v_mfma_f32_16x16x16_f16 v[64:67], v[30:31], v[38:39], 0
	v_and_b32_e32 v31, 0xc0, v0
	v_or_b32_e32 v38, 0x80, v46
	v_add_u32_e32 v34, s14, v31
	v_mfma_f32_16x16x16_f16 v[22:25], v[24:25], v[40:41], v[56:59]
	v_and_b32_e32 v30, 16, v0
	v_add_u32_e32 v49, s11, v38
	v_lshlrev_b32_e32 v46, 1, v30
	v_lshl_or_b32 v56, v1, 2, v34
	v_mfma_f32_16x16x16_f16 v[34:37], v[36:37], v[40:41], v[68:71]
	v_cmp_gt_i32_e32 vcc, s29, v38
	v_lshlrev_b32_e32 v39, 6, v44
	v_or_b32_e32 v57, 1, v56
	v_mfma_f32_16x16x16_f16 v[26:29], v[28:29], v[40:41], v[60:63]
	v_cmp_gt_i32_e64 s[34:35], s29, v57
	v_mfma_f32_16x16x16_f16 v[30:33], v[32:33], v[40:41], v[64:67]
	v_ashrrev_i32_e32 v40, 5, v49
	v_ashrrev_i32_e32 v41, 5, v52
	v_cndmask_b32_e32 v38, v51, v40, vcc
	v_cmp_gt_i32_e32 vcc, s29, v48
	s_waitcnt lgkmcnt(0)
	v_mfma_f32_16x16x16_f16 v[22:25], v[2:3], v[18:19], v[22:25]
	v_lshl_add_u64 v[2:3], s[4:5], 0, v[46:47]
	v_cndmask_b32_e32 v40, v51, v41, vcc
	v_lshl_or_b32 v46, v45, 10, v39
	v_ashrrev_i32_e32 v39, 31, v38
	v_ashrrev_i32_e32 v41, 31, v40
	s_waitcnt vmcnt(2)
	v_mfma_f32_16x16x16_f16 v[34:37], v[14:15], v[18:19], v[34:37]
	v_lshl_add_u64 v[14:15], v[38:39], 2, s[8:9]
	v_subrev_u32_e32 v51, s29, v57
	v_cvt_f32_i32_e32 v58, v51
	v_mfma_f32_16x16x16_f16 v[26:29], v[6:7], v[18:19], v[26:29]
	v_mfma_f32_16x16x16_f16 v[30:33], v[10:11], v[18:19], v[30:33]
	v_lshl_add_u64 v[18:19], v[40:41], 2, s[8:9]
	global_load_dword v59, v[14:15], off
	global_load_dword v60, v[18:19], off
	v_lshl_add_u64 v[10:11], v[2:3], 0, v[46:47]
	v_mfma_f32_16x16x16_f16 v[2:5], v[4:5], v[20:21], v[22:25]
	v_add_u32_e32 v46, 1, v51
	v_add_u32_e32 v47, 3, v51
	;; [unrolled: 1-line block ×3, first 2 shown]
	v_mfma_f32_16x16x16_f16 v[14:17], v[16:17], v[20:21], v[34:37]
	v_add_u32_e32 v22, 2, v51
	s_nop 1
	v_pk_mul_f32 v[52:53], s[10:11], v[4:5] op_sel_hi:[0,1]
	v_cvt_f32_i32_e32 v18, v18
	v_mfma_f32_16x16x16_f16 v[6:9], v[8:9], v[20:21], v[26:29]
	v_add_u32_e32 v19, 19, v51
	v_pk_mul_f32 v[34:35], s[10:11], v[16:17] op_sel_hi:[0,1]
	v_pk_mul_f32 v[36:37], s[10:11], v[14:15] op_sel_hi:[0,1]
	v_cvt_f32_i32_e32 v27, v22
	v_mfma_f32_16x16x16_f16 v[22:25], v[12:13], v[20:21], v[30:33]
	v_pk_mul_f32 v[12:13], s[10:11], v[2:3] op_sel_hi:[0,1]
	v_cvt_f32_i32_e32 v26, v46
	v_cvt_f32_i32_e32 v28, v47
	v_pk_mul_f32 v[46:47], s[10:11], v[8:9] op_sel_hi:[0,1]
	v_pk_mul_f32 v[48:49], s[10:11], v[6:7] op_sel_hi:[0,1]
	v_cvt_f32_i32_e32 v19, v19
	v_fma_f32 v46, v50, v18, v46
	v_add_u32_e32 v18, 34, v51
	v_cvt_f32_i32_e32 v18, v18
	v_fmac_f32_e32 v47, v50, v19
	v_add_u32_e32 v19, 35, v51
	v_cvt_f32_i32_e32 v19, v19
	v_pk_mul_f32 v[40:41], s[10:11], v[22:23] op_sel_hi:[0,1]
	v_pk_mul_f32 v[38:39], s[10:11], v[24:25] op_sel_hi:[0,1]
	v_fma_f32 v38, v50, v18, v38
	v_add_u32_e32 v18, 50, v51
	s_waitcnt vmcnt(3)
	v_mad_i64_i32 v[2:3], s[4:5], v55, s45, 0
	s_waitcnt vmcnt(2)
	v_mad_i64_i32 v[4:5], s[4:5], v72, s45, 0
	v_lshl_add_u64 v[16:17], v[2:3], 1, v[10:11]
	v_lshl_add_u64 v[14:15], v[4:5], 1, v[10:11]
	global_load_dwordx4 v[6:9], v[16:17], off
	global_load_dwordx4 v[2:5], v[16:17], off offset:16
	v_add_u32_e32 v16, 16, v51
	v_cvt_f32_i32_e32 v16, v16
	v_add_u32_e32 v17, 17, v51
	v_cvt_f32_i32_e32 v17, v17
	v_fmac_f32_e32 v39, v50, v19
	v_fma_f32 v48, v50, v16, v48
	v_add_u32_e32 v16, 32, v51
	v_fmac_f32_e32 v49, v50, v17
	v_cvt_f32_i32_e32 v16, v16
	v_add_u32_e32 v17, 33, v51
	v_cvt_f32_i32_e32 v17, v17
	v_cvt_f32_i32_e32 v18, v18
	v_fma_f32 v40, v50, v16, v40
	v_add_u32_e32 v16, 48, v51
	v_fmac_f32_e32 v41, v50, v17
	v_cvt_f32_i32_e32 v16, v16
	v_add_u32_e32 v17, 49, v51
	v_cvt_f32_i32_e32 v17, v17
	v_add_u32_e32 v19, 51, v51
	v_cvt_f32_i32_e32 v19, v19
	v_fma_f32 v12, v50, v58, v12
	v_fmac_f32_e32 v13, v50, v26
	v_fma_f32 v36, v50, v16, v36
	v_mov_b32_e32 v16, 0xff7fffff
	v_cmp_gt_i32_e64 s[4:5], s29, v56
	v_fmac_f32_e32 v37, v50, v17
	v_fma_f32 v34, v50, v18, v34
	v_cndmask_b32_e64 v17, v16, v12, s[4:5]
	v_cndmask_b32_e64 v18, v16, v13, s[34:35]
	v_fmac_f32_e32 v35, v50, v19
	v_max3_f32 v17, v17, s33, v18
	v_or_b32_e32 v18, 2, v56
	v_or_b32_e32 v19, 3, v56
	v_fma_f32 v52, v50, v27, v52
	v_fmac_f32_e32 v53, v50, v28
	v_cmp_gt_i32_e64 s[36:37], s29, v18
	v_cmp_gt_i32_e64 s[38:39], s29, v19
	global_load_dwordx4 v[30:33], v[14:15], off
	global_load_dwordx4 v[26:29], v[14:15], off offset:16
	v_cndmask_b32_e64 v18, v16, v52, s[36:37]
	v_cndmask_b32_e64 v19, v16, v53, s[38:39]
	v_max3_f32 v17, v17, v18, v19
	v_or_b32_e32 v18, 16, v56
	v_or_b32_e32 v19, 17, v56
	v_cmp_gt_i32_e64 s[24:25], s29, v18
	v_cmp_gt_i32_e64 s[26:27], s29, v19
	s_nop 0
	v_cndmask_b32_e64 v18, v16, v48, s[24:25]
	v_cndmask_b32_e64 v19, v16, v49, s[26:27]
	v_max3_f32 v17, v17, v18, v19
	v_or_b32_e32 v18, 18, v56
	v_or_b32_e32 v19, 19, v56
	v_cmp_gt_i32_e64 s[20:21], s29, v18
	v_cmp_gt_i32_e64 s[22:23], s29, v19
	s_nop 0
	;; [unrolled: 8-line block ×5, first 2 shown]
	v_cndmask_b32_e64 v18, v16, v36, s[8:9]
	v_cndmask_b32_e64 v19, v16, v37, s[10:11]
	v_max3_f32 v17, v17, v18, v19
	v_or_b32_e32 v18, 50, v56
	v_or_b32_e32 v19, 51, v56
	v_cmp_gt_i32_e32 vcc, s29, v18
	v_cmp_gt_i32_e64 s[6:7], s29, v19
	s_nop 0
	v_cndmask_b32_e32 v18, v16, v34, vcc
	v_cndmask_b32_e64 v16, v16, v35, s[6:7]
	v_max3_f32 v16, v17, v18, v16
	v_mbcnt_lo_u32_b32 v17, -1, 0
	v_mbcnt_hi_u32_b32 v17, -1, v17
	v_and_b32_e32 v18, 64, v17
	v_add_u32_e32 v18, 64, v18
	v_xor_b32_e32 v19, 32, v17
	v_cmp_lt_i32_e64 s[40:41], v19, v18
	s_nop 1
	v_cndmask_b32_e64 v19, v17, v19, s[40:41]
	v_lshlrev_b32_e32 v56, 2, v19
	ds_bpermute_b32 v19, v56, v16
	s_waitcnt vmcnt(5)
	v_mad_i64_i32 v[14:15], s[40:41], v59, s45, 0
	v_lshl_add_u64 v[14:15], v[14:15], 1, v[10:11]
	s_waitcnt lgkmcnt(0)
	v_max_f32_e32 v19, v19, v19
	v_max_f32_e32 v16, v16, v19
	v_xor_b32_e32 v19, 16, v17
	v_cmp_lt_i32_e64 s[40:41], v19, v18
	s_nop 1
	v_cndmask_b32_e64 v17, v17, v19, s[40:41]
	v_lshlrev_b32_e32 v58, 2, v17
	ds_bpermute_b32 v17, v58, v16
	global_load_dwordx4 v[22:25], v[14:15], off
	global_load_dwordx4 v[18:21], v[14:15], off offset:16
	s_waitcnt vmcnt(6)
	v_mad_i64_i32 v[14:15], s[40:41], v60, s45, 0
	v_lshl_add_u64 v[10:11], v[14:15], 1, v[10:11]
	s_waitcnt lgkmcnt(0)
	v_max_f32_e32 v14, v17, v17
	v_max_f32_e32 v55, v16, v14
	v_sub_f32_e32 v12, v12, v55
	v_mul_f32_e32 v12, 0x3fb8aa3b, v12
	v_exp_f32_e32 v50, v12
	v_sub_f32_e32 v12, v13, v55
	v_mul_f32_e32 v12, 0x3fb8aa3b, v12
	v_exp_f32_e32 v51, v12
	global_load_dwordx4 v[14:17], v[10:11], off
	s_nop 0
	global_load_dwordx4 v[10:13], v[10:11], off offset:16
	v_sub_f32_e32 v52, v52, v55
	v_mul_f32_e32 v52, 0x3fb8aa3b, v52
	v_sub_f32_e32 v53, v53, v55
	v_exp_f32_e32 v52, v52
	v_mul_f32_e32 v53, 0x3fb8aa3b, v53
	v_sub_f32_e32 v48, v48, v55
	v_exp_f32_e32 v53, v53
	v_mul_f32_e32 v48, 0x3fb8aa3b, v48
	v_sub_f32_e32 v49, v49, v55
	v_cndmask_b32_e64 v50, 0, v50, s[4:5]
	v_exp_f32_e32 v48, v48
	v_mul_f32_e32 v49, 0x3fb8aa3b, v49
	v_sub_f32_e32 v46, v46, v55
	v_add_f32_e32 v57, 0, v50
	v_cndmask_b32_e64 v51, 0, v51, s[34:35]
	v_exp_f32_e32 v49, v49
	v_mul_f32_e32 v46, 0x3fb8aa3b, v46
	v_sub_f32_e32 v47, v47, v55
	v_add_f32_e32 v57, v57, v51
	;; [unrolled: 5-line block ×10, first 2 shown]
	v_cndmask_b32_e64 v38, 0, v38, s[12:13]
	v_exp_f32_e32 v34, v34
	v_mul_f32_e32 v35, 0x3fb8aa3b, v35
	v_add_f32_e32 v57, v57, v38
	v_cndmask_b32_e64 v39, 0, v39, s[14:15]
	v_exp_f32_e32 v35, v35
	v_add_f32_e32 v57, v57, v39
	v_cndmask_b32_e64 v36, 0, v36, s[8:9]
	v_add_f32_e32 v57, v57, v36
	v_cndmask_b32_e64 v37, 0, v37, s[10:11]
	v_add_f32_e32 v57, v57, v37
	v_cndmask_b32_e32 v34, 0, v34, vcc
	v_add_f32_e32 v57, v57, v34
	v_cndmask_b32_e64 v35, 0, v35, s[6:7]
	v_add_f32_e32 v57, v57, v35
	ds_bpermute_b32 v56, v56, v57
	s_load_dword s7, s[0:1], 0x98
	v_cmp_gt_u32_e32 vcc, 16, v54
	s_waitcnt lgkmcnt(0)
	s_barrier
	v_add_f32_e32 v57, v57, v56
	ds_bpermute_b32 v58, v58, v57
	v_lshlrev_b32_e32 v56, 2, v44
	s_waitcnt lgkmcnt(0)
	s_and_saveexec_b64 s[4:5], vcc
	s_cbranch_execz .LBB163_17
; %bb.16:
	v_add_f32_e32 v54, v57, v58
	v_lshl_or_b32 v57, v45, 6, v56
	ds_write2st64_b32 v57, v55, v54 offset1:1
.LBB163_17:
	s_or_b64 exec, exec, s[4:5]
	s_load_dword s6, s[0:1], 0x94
	s_waitcnt lgkmcnt(0)
	s_barrier
	ds_read2_b32 v[58:59], v56 offset1:16
	ds_read2_b32 v[60:61], v56 offset0:32 offset1:48
	ds_read2_b32 v[62:63], v56 offset0:64 offset1:80
	;; [unrolled: 1-line block ×3, first 2 shown]
	s_mul_i32 s7, s7, 12
	s_waitcnt lgkmcnt(3)
	v_max3_f32 v54, v58, s33, v59
	s_waitcnt lgkmcnt(2)
	v_max3_f32 v54, v54, v60, v61
	v_sub_f32_e32 v55, v58, v54
	v_mul_f32_e32 v55, 0x3fb8aa3b, v55
	v_exp_f32_e32 v58, v55
	v_sub_f32_e32 v55, v59, v54
	v_mul_f32_e32 v55, 0x3fb8aa3b, v55
	v_exp_f32_e32 v59, v55
	;; [unrolled: 3-line block ×4, first 2 shown]
	s_waitcnt lgkmcnt(1)
	v_fma_f32 v55, v58, v62, 0
	v_fmac_f32_e32 v55, v59, v63
	s_waitcnt lgkmcnt(0)
	v_fmac_f32_e32 v55, v60, v56
	v_fmac_f32_e32 v55, v61, v57
	v_add_f32_e32 v56, 0x358637bd, v55
	v_div_scale_f32 v57, s[4:5], v56, v56, 1.0
	v_rcp_f32_e32 v62, v57
	s_barrier
	v_fma_f32 v63, -v57, v62, 1.0
	v_fmac_f32_e32 v62, v63, v62
	v_div_scale_f32 v63, vcc, 1.0, v56, 1.0
	v_mul_f32_e32 v64, v63, v62
	v_fma_f32 v65, -v57, v64, v63
	v_fmac_f32_e32 v64, v65, v62
	v_fma_f32 v57, -v57, v64, v63
	v_div_fmas_f32 v57, v57, v62, v64
	v_cmp_eq_u32_e32 vcc, 1, v45
	v_div_fixup_f32 v56, v57, v56, 1.0
	s_nop 0
	v_cndmask_b32_e32 v57, v58, v59, vcc
	v_cmp_eq_u32_e32 vcc, 2, v45
	s_nop 1
	v_cndmask_b32_e32 v57, v57, v60, vcc
	v_cmp_eq_u32_e32 vcc, 3, v45
	v_lshlrev_b32_e32 v45, 11, v45
	s_nop 0
	v_cndmask_b32_e32 v57, v57, v61, vcc
	v_mul_f32_e32 v56, v57, v56
	v_pk_mul_f32 v[52:53], v[56:57], v[52:53] op_sel_hi:[0,1]
	v_pk_mul_f32 v[50:51], v[56:57], v[50:51] op_sel_hi:[0,1]
	v_cvt_f16_f32_e32 v57, v52
	v_cvt_f16_f32_e32 v53, v53
	;; [unrolled: 1-line block ×4, first 2 shown]
	v_pk_mul_f32 v[46:47], v[56:57], v[46:47] op_sel_hi:[0,1]
	v_pack_b32_f16 v53, v57, v53
	v_pk_mul_f32 v[48:49], v[56:57], v[48:49] op_sel_hi:[0,1]
	v_cvt_f16_f32_e32 v57, v46
	v_cvt_f16_f32_e32 v48, v48
	;; [unrolled: 1-line block ×4, first 2 shown]
	v_pack_b32_f16 v52, v50, v51
	v_lshlrev_b32_e32 v51, 3, v1
	v_lshlrev_b32_e32 v50, 5, v44
	v_pk_mul_f32 v[38:39], v[56:57], v[38:39] op_sel_hi:[0,1]
	v_pk_mul_f32 v[40:41], v[56:57], v[40:41] op_sel_hi:[0,1]
	;; [unrolled: 1-line block ×4, first 2 shown]
	v_or3_b32 v46, v45, v50, v51
	v_pack_b32_f16 v48, v48, v49
	v_pack_b32_f16 v49, v57, v47
	v_cvt_f16_f32_e32 v40, v40
	v_cvt_f16_f32_e32 v41, v41
	;; [unrolled: 1-line block ×8, first 2 shown]
	v_pack_b32_f16 v34, v40, v41
	v_pack_b32_f16 v35, v38, v39
	;; [unrolled: 1-line block ×4, first 2 shown]
	v_cmp_gt_u32_e32 vcc, 12, v0
	ds_write2st64_b64 v46, v[52:53], v[48:49] offset1:1
	ds_write2st64_b64 v46, v[34:35], v[36:37] offset0:2 offset1:3
	s_and_saveexec_b64 s[4:5], vcc
	s_cbranch_execz .LBB163_19
; %bb.18:
	s_mov_b32 s43, 0
	v_mov_b32_e32 v45, 0
	v_lshl_add_u64 v[34:35], s[42:43], 0, v[44:45]
	v_mov_b32_e32 v36, s7
	v_mad_u64_u32 v[34:35], s[12:13], s2, v36, v[34:35]
	s_mul_i32 s3, s3, s7
	v_mov_b32_e32 v44, s28
	s_load_dwordx4 s[8:11], s[0:1], 0x58
	v_add_u32_e32 v37, s3, v35
	v_mad_u64_u32 v[34:35], s[12:13], v34, s6, v[44:45]
	v_mov_b32_e32 v36, v35
	v_mad_u64_u32 v[36:37], s[12:13], v37, s6, v[36:37]
	v_mov_b32_e32 v35, v36
	v_lshlrev_b64 v[34:35], 2, v[34:35]
	s_waitcnt lgkmcnt(0)
	v_lshl_add_u64 v[36:37], s[10:11], 0, v[34:35]
	v_lshl_add_u64 v[34:35], s[8:9], 0, v[34:35]
	global_store_dword v[36:37], v54, off
	global_store_dword v[34:35], v55, off
.LBB163_19:
	s_or_b64 exec, exec, s[4:5]
	v_lshl_or_b32 v44, v1, 9, v50
	s_waitcnt lgkmcnt(0)
	s_barrier
	ds_read_b128 v[34:37], v44
	ds_read_b128 v[38:41], v44 offset:16
	s_waitcnt vmcnt(7) lgkmcnt(1)
	v_mfma_f32_16x16x16_f16 v[48:51], v[6:7], v[34:35], 0
	v_cmp_gt_u32_e32 vcc, 64, v0
	s_mov_b32 s3, 0
	s_and_b64 s[4:5], vcc, s[30:31]
	v_mfma_f32_16x16x16_f16 v[6:9], v[8:9], v[36:37], v[48:51]
	s_waitcnt vmcnt(6) lgkmcnt(0)
	v_mfma_f32_16x16x16_f16 v[6:9], v[2:3], v[38:39], v[6:9]
	v_mfma_f32_16x16x16_f16 v[2:5], v[4:5], v[40:41], v[6:9]
	s_nop 5
	ds_read_b128 v[6:9], v44 offset:2048
	ds_read_b128 v[34:37], v44 offset:2064
	s_waitcnt vmcnt(5) lgkmcnt(1)
	v_mfma_f32_16x16x16_f16 v[2:5], v[30:31], v[6:7], v[2:5]
	v_mfma_f32_16x16x16_f16 v[2:5], v[32:33], v[8:9], v[2:5]
	s_waitcnt vmcnt(4) lgkmcnt(0)
	v_mfma_f32_16x16x16_f16 v[2:5], v[26:27], v[34:35], v[2:5]
	v_mfma_f32_16x16x16_f16 v[2:5], v[28:29], v[36:37], v[2:5]
	ds_read_b128 v[6:9], v44 offset:4096
	ds_read_b128 v[26:29], v44 offset:4112
	s_waitcnt vmcnt(3) lgkmcnt(1)
	v_mfma_f32_16x16x16_f16 v[2:5], v[22:23], v[6:7], v[2:5]
	v_mfma_f32_16x16x16_f16 v[2:5], v[24:25], v[8:9], v[2:5]
	s_waitcnt vmcnt(2) lgkmcnt(0)
	v_mfma_f32_16x16x16_f16 v[2:5], v[18:19], v[26:27], v[2:5]
	v_mfma_f32_16x16x16_f16 v[2:5], v[20:21], v[28:29], v[2:5]
	ds_read_b128 v[6:9], v44 offset:6144
	ds_read_b128 v[18:21], v44 offset:6160
	s_waitcnt lgkmcnt(0)
	s_barrier
	s_waitcnt vmcnt(1)
	v_mfma_f32_16x16x16_f16 v[2:5], v[14:15], v[6:7], v[2:5]
	v_mfma_f32_16x16x16_f16 v[2:5], v[16:17], v[8:9], v[2:5]
	s_waitcnt vmcnt(0)
	v_mfma_f32_16x16x16_f16 v[2:5], v[10:11], v[18:19], v[2:5]
	v_mfma_f32_16x16x16_f16 v[2:5], v[12:13], v[20:21], v[2:5]
	s_nop 6
	v_cvt_f16_f32_e32 v2, v2
	v_cvt_f16_f32_e32 v3, v3
	;; [unrolled: 1-line block ×4, first 2 shown]
	v_pack_b32_f16 v2, v2, v3
	v_pack_b32_f16 v3, v4, v5
	ds_write_b64 v46, v[2:3]
	s_waitcnt lgkmcnt(0)
	s_barrier
	s_and_saveexec_b64 s[8:9], s[4:5]
	s_cbranch_execz .LBB163_21
; %bb.20:
	s_load_dwordx2 s[0:1], s[0:1], 0x68
	s_lshl_b32 s6, s6, 6
	s_mul_i32 s2, s7, s2
	s_mul_hi_u32 s5, s2, s6
	s_mul_i32 s4, s2, s6
	s_lshl_b64 s[4:5], s[4:5], 1
	s_waitcnt lgkmcnt(0)
	s_add_u32 s4, s0, s4
	v_lshlrev_b32_e32 v2, 10, v0
	v_lshlrev_b32_e32 v0, 4, v0
	s_addc_u32 s5, s1, s5
	s_lshl_b32 s2, s28, 6
	v_and_b32_e32 v2, 0x1800, v2
	v_lshlrev_b32_e32 v3, 5, v1
	v_and_b32_e32 v0, 16, v0
	s_lshl_b64 s[0:1], s[2:3], 1
	v_or3_b32 v0, v2, v3, v0
	s_add_u32 s0, s4, s0
	ds_read_b128 v[2:5], v0
	ds_read_b128 v[6:9], v0 offset:128
	ds_read_b128 v[10:13], v0 offset:256
	s_addc_u32 s1, s5, s1
	v_or_b32_e32 v16, s42, v1
	v_lshl_add_u64 v[0:1], v[42:43], 1, s[0:1]
	v_mad_u64_u32 v[14:15], s[0:1], v16, s6, 0
	v_lshl_add_u64 v[14:15], v[14:15], 1, v[0:1]
	s_waitcnt lgkmcnt(2)
	global_store_dwordx4 v[14:15], v[2:5], off
	s_nop 1
	v_add_u32_e32 v2, 4, v16
	v_mad_u64_u32 v[2:3], s[0:1], v2, s6, 0
	v_lshl_add_u64 v[2:3], v[2:3], 1, v[0:1]
	s_waitcnt lgkmcnt(1)
	global_store_dwordx4 v[2:3], v[6:9], off
	v_add_u32_e32 v2, 8, v16
	v_mad_u64_u32 v[2:3], s[0:1], v2, s6, 0
	v_lshl_add_u64 v[0:1], v[2:3], 1, v[0:1]
	s_waitcnt lgkmcnt(0)
	global_store_dwordx4 v[0:1], v[10:13], off
.LBB163_21:
	s_endpgm
	.section	.rodata,"a",@progbits
	.p2align	6, 0x0
	.amdhsa_kernel _Z39paged_attention_ll4mi_QKV_mfma16_kernelIDF16_DF16_LN4vllm18Fp8KVCacheDataTypeE0EDF16_Li32ELi64ELi256ELb1ELi12EEvPKT_PKT0_S7_ifPKiS9_S9_iPKfiiiPfSC_PS2_PT2_iSB_SB_
		.amdhsa_group_segment_fixed_size 8192
		.amdhsa_private_segment_fixed_size 0
		.amdhsa_kernarg_size 400
		.amdhsa_user_sgpr_count 2
		.amdhsa_user_sgpr_dispatch_ptr 0
		.amdhsa_user_sgpr_queue_ptr 0
		.amdhsa_user_sgpr_kernarg_segment_ptr 1
		.amdhsa_user_sgpr_dispatch_id 0
		.amdhsa_user_sgpr_kernarg_preload_length 0
		.amdhsa_user_sgpr_kernarg_preload_offset 0
		.amdhsa_user_sgpr_private_segment_size 0
		.amdhsa_uses_dynamic_stack 0
		.amdhsa_enable_private_segment 0
		.amdhsa_system_sgpr_workgroup_id_x 1
		.amdhsa_system_sgpr_workgroup_id_y 1
		.amdhsa_system_sgpr_workgroup_id_z 1
		.amdhsa_system_sgpr_workgroup_info 0
		.amdhsa_system_vgpr_workitem_id 0
		.amdhsa_next_free_vgpr 73
		.amdhsa_next_free_sgpr 48
		.amdhsa_accum_offset 76
		.amdhsa_reserve_vcc 1
		.amdhsa_float_round_mode_32 0
		.amdhsa_float_round_mode_16_64 0
		.amdhsa_float_denorm_mode_32 3
		.amdhsa_float_denorm_mode_16_64 3
		.amdhsa_dx10_clamp 1
		.amdhsa_ieee_mode 1
		.amdhsa_fp16_overflow 0
		.amdhsa_tg_split 0
		.amdhsa_exception_fp_ieee_invalid_op 0
		.amdhsa_exception_fp_denorm_src 0
		.amdhsa_exception_fp_ieee_div_zero 0
		.amdhsa_exception_fp_ieee_overflow 0
		.amdhsa_exception_fp_ieee_underflow 0
		.amdhsa_exception_fp_ieee_inexact 0
		.amdhsa_exception_int_div_zero 0
	.end_amdhsa_kernel
	.section	.text._Z39paged_attention_ll4mi_QKV_mfma16_kernelIDF16_DF16_LN4vllm18Fp8KVCacheDataTypeE0EDF16_Li32ELi64ELi256ELb1ELi12EEvPKT_PKT0_S7_ifPKiS9_S9_iPKfiiiPfSC_PS2_PT2_iSB_SB_,"axG",@progbits,_Z39paged_attention_ll4mi_QKV_mfma16_kernelIDF16_DF16_LN4vllm18Fp8KVCacheDataTypeE0EDF16_Li32ELi64ELi256ELb1ELi12EEvPKT_PKT0_S7_ifPKiS9_S9_iPKfiiiPfSC_PS2_PT2_iSB_SB_,comdat
.Lfunc_end163:
	.size	_Z39paged_attention_ll4mi_QKV_mfma16_kernelIDF16_DF16_LN4vllm18Fp8KVCacheDataTypeE0EDF16_Li32ELi64ELi256ELb1ELi12EEvPKT_PKT0_S7_ifPKiS9_S9_iPKfiiiPfSC_PS2_PT2_iSB_SB_, .Lfunc_end163-_Z39paged_attention_ll4mi_QKV_mfma16_kernelIDF16_DF16_LN4vllm18Fp8KVCacheDataTypeE0EDF16_Li32ELi64ELi256ELb1ELi12EEvPKT_PKT0_S7_ifPKiS9_S9_iPKfiiiPfSC_PS2_PT2_iSB_SB_
                                        ; -- End function
	.section	.AMDGPU.csdata,"",@progbits
; Kernel info:
; codeLenInByte = 4180
; NumSgprs: 54
; NumVgprs: 73
; NumAgprs: 0
; TotalNumVgprs: 73
; ScratchSize: 0
; MemoryBound: 0
; FloatMode: 240
; IeeeMode: 1
; LDSByteSize: 8192 bytes/workgroup (compile time only)
; SGPRBlocks: 6
; VGPRBlocks: 9
; NumSGPRsForWavesPerEU: 54
; NumVGPRsForWavesPerEU: 73
; AccumOffset: 76
; Occupancy: 6
; WaveLimiterHint : 1
; COMPUTE_PGM_RSRC2:SCRATCH_EN: 0
; COMPUTE_PGM_RSRC2:USER_SGPR: 2
; COMPUTE_PGM_RSRC2:TRAP_HANDLER: 0
; COMPUTE_PGM_RSRC2:TGID_X_EN: 1
; COMPUTE_PGM_RSRC2:TGID_Y_EN: 1
; COMPUTE_PGM_RSRC2:TGID_Z_EN: 1
; COMPUTE_PGM_RSRC2:TIDIG_COMP_CNT: 0
; COMPUTE_PGM_RSRC3_GFX90A:ACCUM_OFFSET: 18
; COMPUTE_PGM_RSRC3_GFX90A:TG_SPLIT: 0
	.section	.text._Z39paged_attention_ll4mi_QKV_mfma16_kernelIDF16_DF16_LN4vllm18Fp8KVCacheDataTypeE0EDF16_Li32ELi64ELi256ELb1ELi13EEvPKT_PKT0_S7_ifPKiS9_S9_iPKfiiiPfSC_PS2_PT2_iSB_SB_,"axG",@progbits,_Z39paged_attention_ll4mi_QKV_mfma16_kernelIDF16_DF16_LN4vllm18Fp8KVCacheDataTypeE0EDF16_Li32ELi64ELi256ELb1ELi13EEvPKT_PKT0_S7_ifPKiS9_S9_iPKfiiiPfSC_PS2_PT2_iSB_SB_,comdat
	.protected	_Z39paged_attention_ll4mi_QKV_mfma16_kernelIDF16_DF16_LN4vllm18Fp8KVCacheDataTypeE0EDF16_Li32ELi64ELi256ELb1ELi13EEvPKT_PKT0_S7_ifPKiS9_S9_iPKfiiiPfSC_PS2_PT2_iSB_SB_ ; -- Begin function _Z39paged_attention_ll4mi_QKV_mfma16_kernelIDF16_DF16_LN4vllm18Fp8KVCacheDataTypeE0EDF16_Li32ELi64ELi256ELb1ELi13EEvPKT_PKT0_S7_ifPKiS9_S9_iPKfiiiPfSC_PS2_PT2_iSB_SB_
	.globl	_Z39paged_attention_ll4mi_QKV_mfma16_kernelIDF16_DF16_LN4vllm18Fp8KVCacheDataTypeE0EDF16_Li32ELi64ELi256ELb1ELi13EEvPKT_PKT0_S7_ifPKiS9_S9_iPKfiiiPfSC_PS2_PT2_iSB_SB_
	.p2align	8
	.type	_Z39paged_attention_ll4mi_QKV_mfma16_kernelIDF16_DF16_LN4vllm18Fp8KVCacheDataTypeE0EDF16_Li32ELi64ELi256ELb1ELi13EEvPKT_PKT0_S7_ifPKiS9_S9_iPKfiiiPfSC_PS2_PT2_iSB_SB_,@function
_Z39paged_attention_ll4mi_QKV_mfma16_kernelIDF16_DF16_LN4vllm18Fp8KVCacheDataTypeE0EDF16_Li32ELi64ELi256ELb1ELi13EEvPKT_PKT0_S7_ifPKiS9_S9_iPKfiiiPfSC_PS2_PT2_iSB_SB_: ; @_Z39paged_attention_ll4mi_QKV_mfma16_kernelIDF16_DF16_LN4vllm18Fp8KVCacheDataTypeE0EDF16_Li32ELi64ELi256ELb1ELi13EEvPKT_PKT0_S7_ifPKiS9_S9_iPKfiiiPfSC_PS2_PT2_iSB_SB_
; %bb.0:
	s_load_dwordx2 s[6:7], s[0:1], 0x30
	s_mov_b32 s28, s3
	s_mov_b64 s[8:9], 0
	s_waitcnt lgkmcnt(0)
	s_cmp_lg_u64 s[6:7], 0
	s_cselect_b64 s[10:11], -1, 0
	s_and_b64 vcc, exec, s[10:11]
	s_cbranch_vccz .LBB164_7
; %bb.1:
	s_add_i32 s12, s2, 1
	s_mov_b32 s13, 0
	s_lshl_b64 s[14:15], s[12:13], 2
	s_add_u32 s14, s6, s14
	s_mov_b32 s3, s13
	s_addc_u32 s15, s7, s15
	s_lshl_b64 s[12:13], s[2:3], 2
	s_add_u32 s12, s6, s12
	s_addc_u32 s13, s7, s13
	s_load_dword s5, s[14:15], 0x0
	s_load_dword s16, s[12:13], 0x0
	s_waitcnt lgkmcnt(0)
	s_sub_i32 s5, s5, s16
	s_cmp_eq_u32 s5, 1
	s_cselect_b64 s[12:13], -1, 0
	s_andn2_b64 vcc, exec, s[8:9]
	s_cbranch_vccnz .LBB164_3
.LBB164_2:
	s_mov_b32 s3, 0
	s_mov_b64 s[12:13], -1
.LBB164_3:
	s_andn2_b64 vcc, exec, s[12:13]
	s_cbranch_vccnz .LBB164_22
; %bb.4:
	s_load_dwordx2 s[8:9], s[0:1], 0x28
	s_lshl_b64 s[12:13], s[2:3], 2
	s_waitcnt lgkmcnt(0)
	s_add_u32 s8, s8, s12
	s_addc_u32 s9, s9, s13
	s_load_dword s29, s[8:9], 0x0
	s_lshl_b32 s14, s28, 8
	s_waitcnt lgkmcnt(0)
	s_cmp_ge_i32 s14, s29
	s_cbranch_scc1 .LBB164_22
; %bb.5:
	s_load_dwordx2 s[8:9], s[0:1], 0x20
	s_load_dword s5, s[0:1], 0x38
	s_add_i32 s15, s29, 31
	s_ashr_i32 s16, s15, 31
	v_and_b32_e32 v1, 0xcf, v0
	s_lshr_b32 s16, s16, 27
	v_add_u32_e32 v1, s14, v1
	s_add_i32 s15, s15, s16
	v_ashrrev_i32_e32 v2, 31, v1
	s_ashr_i32 s15, s15, 5
	v_lshrrev_b32_e32 v6, 27, v2
	s_add_i32 s15, s15, -1
	s_waitcnt lgkmcnt(0)
	s_mul_i32 s16, s2, s5
	s_mov_b32 s17, 0
	v_add_u32_e32 v2, v1, v6
	s_lshl_b64 s[16:17], s[16:17], 2
	v_ashrrev_i32_e32 v2, 5, v2
	v_mov_b32_e32 v7, s15
	v_cmp_gt_i32_e32 vcc, s29, v1
	s_add_u32 s8, s8, s16
	s_addc_u32 s9, s9, s17
	v_cndmask_b32_e32 v2, v7, v2, vcc
	v_ashrrev_i32_e32 v3, 31, v2
	v_lshl_add_u64 v[4:5], v[2:3], 2, s[8:9]
	v_or_b32_e32 v2, 16, v1
	v_add_u32_e32 v3, v2, v6
	v_ashrrev_i32_e32 v3, 5, v3
	v_cmp_gt_i32_e32 vcc, s29, v2
	s_nop 1
	v_cndmask_b32_e32 v2, v7, v3, vcc
	v_ashrrev_i32_e32 v3, 31, v2
	v_lshl_add_u64 v[8:9], v[2:3], 2, s[8:9]
	v_or_b32_e32 v2, 32, v1
	v_add_u32_e32 v3, v2, v6
	v_ashrrev_i32_e32 v3, 5, v3
	v_cmp_gt_i32_e32 vcc, s29, v2
	v_or_b32_e32 v1, 48, v1
	s_nop 0
	v_cndmask_b32_e32 v2, v7, v3, vcc
	v_ashrrev_i32_e32 v3, 31, v2
	v_lshl_add_u64 v[12:13], v[2:3], 2, s[8:9]
	v_add_u32_e32 v2, v1, v6
	v_ashrrev_i32_e32 v2, 5, v2
	v_cmp_gt_i32_e32 vcc, s29, v1
	s_nop 1
	v_cndmask_b32_e32 v2, v7, v2, vcc
	v_ashrrev_i32_e32 v3, 31, v2
	v_lshl_add_u64 v[16:17], v[2:3], 2, s[8:9]
	global_load_dword v2, v[4:5], off
	global_load_dword v6, v[8:9], off
	;; [unrolled: 1-line block ×4, first 2 shown]
	s_andn2_b64 vcc, exec, s[10:11]
	s_cbranch_vccnz .LBB164_8
; %bb.6:
	s_add_u32 s6, s6, s12
	s_addc_u32 s7, s7, s13
	s_load_dword s5, s[6:7], 0x0
	s_branch .LBB164_9
.LBB164_7:
	s_mov_b64 s[12:13], 0
	s_branch .LBB164_2
.LBB164_8:
	s_mov_b32 s5, s2
.LBB164_9:
	s_load_dwordx2 s[10:11], s[0:1], 0x8
	s_load_dwordx4 s[44:47], s[0:1], 0x48
	v_lshrrev_b32_e32 v1, 6, v0
	v_bfe_u32 v54, v0, 4, 2
	v_lshl_or_b32 v3, v1, 2, v54
	v_and_b32_e32 v44, 15, v0
	v_cmp_lt_u32_e32 vcc, 12, v3
	v_cmp_lt_u32_e64 s[6:7], 7, v44
	v_lshlrev_b32_e32 v42, 3, v44
	v_cmp_gt_u32_e64 s[30:31], 8, v44
	s_or_b64 s[6:7], s[6:7], vcc
	s_and_saveexec_b64 s[12:13], s[6:7]
	s_xor_b64 s[6:7], exec, s[12:13]
; %bb.10:
	v_mov_b32_e32 v43, 0
                                        ; implicit-def: $vgpr3
; %bb.11:
	s_or_saveexec_b64 s[12:13], s[6:7]
	s_load_dwordx2 s[6:7], s[0:1], 0x10
	s_mul_i32 s42, s4, 13
	s_xor_b64 exec, exec, s[12:13]
	s_cbranch_execz .LBB164_13
; %bb.12:
	s_load_dwordx2 s[16:17], s[0:1], 0x0
	s_waitcnt lgkmcnt(0)
	s_ashr_i32 s18, s44, 31
	s_mul_hi_u32 s19, s5, s44
	s_mul_i32 s18, s5, s18
	s_add_i32 s19, s19, s18
	s_mul_i32 s18, s5, s44
	s_lshl_b64 s[18:19], s[18:19], 1
	s_add_u32 s16, s16, s18
	v_add_lshl_u32 v4, v3, s42, 6
	s_addc_u32 s17, s17, s19
	v_ashrrev_i32_e32 v5, 31, v4
	v_mov_b32_e32 v43, 0
	v_lshl_add_u64 v[4:5], v[4:5], 1, s[16:17]
	v_lshlrev_b32_e32 v8, 1, v42
	v_mov_b32_e32 v9, v43
	v_lshl_add_u64 v[4:5], v[4:5], 0, v[8:9]
	global_load_dwordx4 v[16:19], v[4:5], off
	v_and_b32_e32 v4, 3, v0
	v_lshlrev_b32_e32 v5, 9, v44
	v_lshlrev_b32_e32 v3, 5, v3
	;; [unrolled: 1-line block ×3, first 2 shown]
	v_and_b32_e32 v5, 0x1800, v5
	v_or3_b32 v3, v5, v4, v3
	s_waitcnt vmcnt(0)
	ds_write_b128 v3, v[16:19]
.LBB164_13:
	s_or_b64 exec, exec, s[12:13]
	s_waitcnt lgkmcnt(0)
	s_mul_i32 s4, s4, s46
	s_mov_b32 s5, 0
	s_lshl_b64 s[4:5], s[4:5], 1
	s_add_u32 s10, s10, s4
	s_addc_u32 s11, s11, s5
	s_waitcnt vmcnt(3)
	v_mad_i64_i32 v[2:3], s[12:13], v2, s45, 0
	v_lshl_add_u64 v[2:3], v[2:3], 1, s[10:11]
	v_lshlrev_b64 v[12:13], 1, v[42:43]
	v_lshlrev_b32_e32 v46, 9, v54
	v_lshl_add_u64 v[2:3], v[2:3], 0, v[12:13]
	v_mov_b32_e32 v47, 0
	v_lshl_add_u64 v[8:9], v[2:3], 0, v[46:47]
	s_barrier
	global_load_dwordx4 v[22:25], v[8:9], off
	global_load_dwordx4 v[2:5], v[8:9], off offset:2048
	s_waitcnt vmcnt(4)
	v_mad_i64_i32 v[6:7], s[12:13], v6, s45, 0
	v_mov_b32_e32 v8, 0x100
	v_lshl_add_u64 v[6:7], v[6:7], 1, s[10:11]
	v_lshl_or_b32 v16, v44, 4, v8
	v_mov_b32_e32 v17, v47
	s_waitcnt vmcnt(3)
	v_mad_i64_i32 v[10:11], s[12:13], v10, s45, 0
	v_lshl_add_u64 v[6:7], v[6:7], 0, v[16:17]
	v_lshl_add_u64 v[10:11], v[10:11], 1, s[10:11]
	s_waitcnt vmcnt(2)
	v_mad_i64_i32 v[14:15], s[12:13], v14, s45, 0
	v_lshl_add_u64 v[18:19], v[6:7], 0, v[46:47]
	v_lshl_add_u64 v[10:11], v[10:11], 0, v[12:13]
	;; [unrolled: 1-line block ×3, first 2 shown]
	global_load_dwordx4 v[26:29], v[18:19], off
	global_load_dwordx4 v[6:9], v[18:19], off offset:2048
	v_lshl_add_u64 v[18:19], v[10:11], 0, v[46:47]
	v_lshl_add_u64 v[14:15], v[14:15], 0, v[16:17]
	global_load_dwordx4 v[30:33], v[18:19], off
	global_load_dwordx4 v[10:13], v[18:19], off offset:2048
	v_lshl_add_u64 v[18:19], v[14:15], 0, v[46:47]
	global_load_dwordx4 v[34:37], v[18:19], off
	global_load_dwordx4 v[14:17], v[18:19], off offset:2048
	v_add_u32_e32 v18, -13, v44
	v_cmp_gt_u32_e32 vcc, 13, v44
	v_and_b32_e32 v45, 63, v0
	v_mov_b32_e32 v50, 0
	v_cndmask_b32_e32 v18, v18, v44, vcc
	v_lshl_add_u32 v18, v18, 5, v46
	ds_read_b128 v[38:41], v18
	ds_read_b128 v[18:21], v18 offset:2048
	s_and_saveexec_b64 s[10:11], vcc
	s_cbranch_execz .LBB164_15
; %bb.14:
	s_load_dwordx2 s[12:13], s[0:1], 0x40
	v_add_u32_e32 v48, s42, v44
	v_ashrrev_i32_e32 v49, 31, v48
	s_waitcnt lgkmcnt(0)
	v_lshl_add_u64 v[48:49], v[48:49], 2, s[12:13]
	global_load_dword v50, v[48:49], off
.LBB164_15:
	s_or_b64 exec, exec, s[10:11]
	s_ashr_i32 s10, s14, 31
	v_and_or_b32 v46, v0, 48, s14
	s_lshr_b32 s11, s10, 27
	v_add_u32_e32 v48, s11, v46
	v_or_b32_e32 v52, 64, v46
	v_ashrrev_i32_e32 v48, 5, v48
	v_mov_b32_e32 v51, s15
	v_cmp_gt_i32_e32 vcc, s29, v46
	v_add_u32_e32 v53, s11, v52
	s_waitcnt vmcnt(7) lgkmcnt(1)
	v_mfma_f32_16x16x16_f16 v[56:59], v[22:23], v[38:39], 0
	v_cndmask_b32_e32 v48, v51, v48, vcc
	v_ashrrev_i32_e32 v22, 5, v53
	v_cmp_gt_i32_e32 vcc, s29, v52
	v_ashrrev_i32_e32 v49, 31, v48
	v_lshl_add_u64 v[48:49], v[48:49], 2, s[8:9]
	v_cndmask_b32_e32 v22, v51, v22, vcc
	v_ashrrev_i32_e32 v23, 31, v22
	v_lshl_add_u64 v[22:23], v[22:23], 2, s[8:9]
	global_load_dword v55, v[48:49], off
	global_load_dword v72, v[22:23], off
	s_waitcnt vmcnt(3)
	v_mfma_f32_16x16x16_f16 v[68:71], v[34:35], v[38:39], 0
	v_or_b32_e32 v48, 0xc0, v46
	v_add_u32_e32 v52, s11, v48
	s_add_u32 s4, s6, s4
	v_mfma_f32_16x16x16_f16 v[60:63], v[26:27], v[38:39], 0
	s_addc_u32 s5, s7, s5
	s_load_dword s10, s[0:1], 0x1c
	s_mov_b32 s33, 0xff7fffff
	v_mfma_f32_16x16x16_f16 v[64:67], v[30:31], v[38:39], 0
	v_and_b32_e32 v31, 0xc0, v0
	v_or_b32_e32 v38, 0x80, v46
	v_add_u32_e32 v34, s14, v31
	v_mfma_f32_16x16x16_f16 v[22:25], v[24:25], v[40:41], v[56:59]
	v_and_b32_e32 v30, 16, v0
	v_add_u32_e32 v49, s11, v38
	v_lshlrev_b32_e32 v46, 1, v30
	v_lshl_or_b32 v56, v54, 2, v34
	v_mfma_f32_16x16x16_f16 v[34:37], v[36:37], v[40:41], v[68:71]
	v_cmp_gt_i32_e32 vcc, s29, v38
	v_lshlrev_b32_e32 v39, 6, v44
	v_or_b32_e32 v57, 1, v56
	v_mfma_f32_16x16x16_f16 v[26:29], v[28:29], v[40:41], v[60:63]
	v_cmp_gt_i32_e64 s[34:35], s29, v57
	v_mfma_f32_16x16x16_f16 v[30:33], v[32:33], v[40:41], v[64:67]
	v_ashrrev_i32_e32 v40, 5, v49
	v_ashrrev_i32_e32 v41, 5, v52
	v_cndmask_b32_e32 v38, v51, v40, vcc
	v_cmp_gt_i32_e32 vcc, s29, v48
	s_waitcnt lgkmcnt(0)
	v_mfma_f32_16x16x16_f16 v[22:25], v[2:3], v[18:19], v[22:25]
	v_lshl_add_u64 v[2:3], s[4:5], 0, v[46:47]
	v_cndmask_b32_e32 v40, v51, v41, vcc
	v_lshl_or_b32 v46, v1, 10, v39
	v_ashrrev_i32_e32 v39, 31, v38
	v_ashrrev_i32_e32 v41, 31, v40
	s_waitcnt vmcnt(2)
	v_mfma_f32_16x16x16_f16 v[34:37], v[14:15], v[18:19], v[34:37]
	v_lshl_add_u64 v[14:15], v[38:39], 2, s[8:9]
	v_subrev_u32_e32 v51, s29, v57
	v_cvt_f32_i32_e32 v58, v51
	v_mfma_f32_16x16x16_f16 v[26:29], v[6:7], v[18:19], v[26:29]
	v_mfma_f32_16x16x16_f16 v[30:33], v[10:11], v[18:19], v[30:33]
	v_lshl_add_u64 v[18:19], v[40:41], 2, s[8:9]
	global_load_dword v59, v[14:15], off
	global_load_dword v60, v[18:19], off
	v_lshl_add_u64 v[10:11], v[2:3], 0, v[46:47]
	v_mfma_f32_16x16x16_f16 v[2:5], v[4:5], v[20:21], v[22:25]
	v_add_u32_e32 v46, 1, v51
	v_add_u32_e32 v47, 3, v51
	;; [unrolled: 1-line block ×3, first 2 shown]
	v_mfma_f32_16x16x16_f16 v[14:17], v[16:17], v[20:21], v[34:37]
	v_add_u32_e32 v22, 2, v51
	s_nop 1
	v_pk_mul_f32 v[52:53], s[10:11], v[4:5] op_sel_hi:[0,1]
	v_cvt_f32_i32_e32 v18, v18
	v_mfma_f32_16x16x16_f16 v[6:9], v[8:9], v[20:21], v[26:29]
	v_add_u32_e32 v19, 19, v51
	v_pk_mul_f32 v[34:35], s[10:11], v[16:17] op_sel_hi:[0,1]
	v_pk_mul_f32 v[36:37], s[10:11], v[14:15] op_sel_hi:[0,1]
	v_cvt_f32_i32_e32 v27, v22
	v_mfma_f32_16x16x16_f16 v[22:25], v[12:13], v[20:21], v[30:33]
	v_pk_mul_f32 v[12:13], s[10:11], v[2:3] op_sel_hi:[0,1]
	v_cvt_f32_i32_e32 v26, v46
	v_cvt_f32_i32_e32 v28, v47
	v_pk_mul_f32 v[46:47], s[10:11], v[8:9] op_sel_hi:[0,1]
	v_pk_mul_f32 v[48:49], s[10:11], v[6:7] op_sel_hi:[0,1]
	v_cvt_f32_i32_e32 v19, v19
	v_fma_f32 v46, v50, v18, v46
	v_add_u32_e32 v18, 34, v51
	v_cvt_f32_i32_e32 v18, v18
	v_fmac_f32_e32 v47, v50, v19
	v_add_u32_e32 v19, 35, v51
	v_cvt_f32_i32_e32 v19, v19
	v_pk_mul_f32 v[40:41], s[10:11], v[22:23] op_sel_hi:[0,1]
	v_pk_mul_f32 v[38:39], s[10:11], v[24:25] op_sel_hi:[0,1]
	v_fma_f32 v38, v50, v18, v38
	v_add_u32_e32 v18, 50, v51
	s_waitcnt vmcnt(3)
	v_mad_i64_i32 v[2:3], s[4:5], v55, s45, 0
	s_waitcnt vmcnt(2)
	v_mad_i64_i32 v[4:5], s[4:5], v72, s45, 0
	v_lshl_add_u64 v[16:17], v[2:3], 1, v[10:11]
	v_lshl_add_u64 v[14:15], v[4:5], 1, v[10:11]
	global_load_dwordx4 v[6:9], v[16:17], off
	global_load_dwordx4 v[2:5], v[16:17], off offset:16
	v_add_u32_e32 v16, 16, v51
	v_cvt_f32_i32_e32 v16, v16
	v_add_u32_e32 v17, 17, v51
	v_cvt_f32_i32_e32 v17, v17
	v_fmac_f32_e32 v39, v50, v19
	v_fma_f32 v48, v50, v16, v48
	v_add_u32_e32 v16, 32, v51
	v_fmac_f32_e32 v49, v50, v17
	v_cvt_f32_i32_e32 v16, v16
	v_add_u32_e32 v17, 33, v51
	v_cvt_f32_i32_e32 v17, v17
	v_cvt_f32_i32_e32 v18, v18
	v_fma_f32 v40, v50, v16, v40
	v_add_u32_e32 v16, 48, v51
	v_fmac_f32_e32 v41, v50, v17
	v_cvt_f32_i32_e32 v16, v16
	v_add_u32_e32 v17, 49, v51
	v_cvt_f32_i32_e32 v17, v17
	v_add_u32_e32 v19, 51, v51
	v_cvt_f32_i32_e32 v19, v19
	v_fma_f32 v12, v50, v58, v12
	v_fmac_f32_e32 v13, v50, v26
	v_fma_f32 v36, v50, v16, v36
	v_mov_b32_e32 v16, 0xff7fffff
	v_cmp_gt_i32_e64 s[4:5], s29, v56
	v_fmac_f32_e32 v37, v50, v17
	v_fma_f32 v34, v50, v18, v34
	v_cndmask_b32_e64 v17, v16, v12, s[4:5]
	v_cndmask_b32_e64 v18, v16, v13, s[34:35]
	v_fmac_f32_e32 v35, v50, v19
	v_max3_f32 v17, v17, s33, v18
	v_or_b32_e32 v18, 2, v56
	v_or_b32_e32 v19, 3, v56
	v_fma_f32 v52, v50, v27, v52
	v_fmac_f32_e32 v53, v50, v28
	v_cmp_gt_i32_e64 s[36:37], s29, v18
	v_cmp_gt_i32_e64 s[38:39], s29, v19
	global_load_dwordx4 v[30:33], v[14:15], off
	global_load_dwordx4 v[26:29], v[14:15], off offset:16
	v_cndmask_b32_e64 v18, v16, v52, s[36:37]
	v_cndmask_b32_e64 v19, v16, v53, s[38:39]
	v_max3_f32 v17, v17, v18, v19
	v_or_b32_e32 v18, 16, v56
	v_or_b32_e32 v19, 17, v56
	v_cmp_gt_i32_e64 s[24:25], s29, v18
	v_cmp_gt_i32_e64 s[26:27], s29, v19
	s_nop 0
	v_cndmask_b32_e64 v18, v16, v48, s[24:25]
	v_cndmask_b32_e64 v19, v16, v49, s[26:27]
	v_max3_f32 v17, v17, v18, v19
	v_or_b32_e32 v18, 18, v56
	v_or_b32_e32 v19, 19, v56
	v_cmp_gt_i32_e64 s[20:21], s29, v18
	v_cmp_gt_i32_e64 s[22:23], s29, v19
	s_nop 0
	;; [unrolled: 8-line block ×5, first 2 shown]
	v_cndmask_b32_e64 v18, v16, v36, s[8:9]
	v_cndmask_b32_e64 v19, v16, v37, s[10:11]
	v_max3_f32 v17, v17, v18, v19
	v_or_b32_e32 v18, 50, v56
	v_or_b32_e32 v19, 51, v56
	v_cmp_gt_i32_e32 vcc, s29, v18
	v_cmp_gt_i32_e64 s[6:7], s29, v19
	s_nop 0
	v_cndmask_b32_e32 v18, v16, v34, vcc
	v_cndmask_b32_e64 v16, v16, v35, s[6:7]
	v_max3_f32 v16, v17, v18, v16
	v_mbcnt_lo_u32_b32 v17, -1, 0
	v_mbcnt_hi_u32_b32 v17, -1, v17
	v_and_b32_e32 v18, 64, v17
	v_add_u32_e32 v18, 64, v18
	v_xor_b32_e32 v19, 32, v17
	v_cmp_lt_i32_e64 s[40:41], v19, v18
	s_nop 1
	v_cndmask_b32_e64 v19, v17, v19, s[40:41]
	v_lshlrev_b32_e32 v56, 2, v19
	ds_bpermute_b32 v19, v56, v16
	s_waitcnt vmcnt(5)
	v_mad_i64_i32 v[14:15], s[40:41], v59, s45, 0
	v_lshl_add_u64 v[14:15], v[14:15], 1, v[10:11]
	s_waitcnt lgkmcnt(0)
	v_max_f32_e32 v19, v19, v19
	v_max_f32_e32 v16, v16, v19
	v_xor_b32_e32 v19, 16, v17
	v_cmp_lt_i32_e64 s[40:41], v19, v18
	s_nop 1
	v_cndmask_b32_e64 v17, v17, v19, s[40:41]
	v_lshlrev_b32_e32 v57, 2, v17
	ds_bpermute_b32 v17, v57, v16
	global_load_dwordx4 v[22:25], v[14:15], off
	global_load_dwordx4 v[18:21], v[14:15], off offset:16
	s_waitcnt vmcnt(6)
	v_mad_i64_i32 v[14:15], s[40:41], v60, s45, 0
	v_lshl_add_u64 v[10:11], v[14:15], 1, v[10:11]
	s_waitcnt lgkmcnt(0)
	v_max_f32_e32 v14, v17, v17
	v_max_f32_e32 v55, v16, v14
	v_sub_f32_e32 v12, v12, v55
	v_mul_f32_e32 v12, 0x3fb8aa3b, v12
	v_exp_f32_e32 v50, v12
	v_sub_f32_e32 v12, v13, v55
	v_mul_f32_e32 v12, 0x3fb8aa3b, v12
	v_exp_f32_e32 v51, v12
	global_load_dwordx4 v[14:17], v[10:11], off
	s_nop 0
	global_load_dwordx4 v[10:13], v[10:11], off offset:16
	v_sub_f32_e32 v52, v52, v55
	v_mul_f32_e32 v52, 0x3fb8aa3b, v52
	v_sub_f32_e32 v53, v53, v55
	v_exp_f32_e32 v52, v52
	v_mul_f32_e32 v53, 0x3fb8aa3b, v53
	v_sub_f32_e32 v48, v48, v55
	v_exp_f32_e32 v53, v53
	v_mul_f32_e32 v48, 0x3fb8aa3b, v48
	v_sub_f32_e32 v49, v49, v55
	v_cndmask_b32_e64 v50, 0, v50, s[4:5]
	v_exp_f32_e32 v48, v48
	v_mul_f32_e32 v49, 0x3fb8aa3b, v49
	v_sub_f32_e32 v46, v46, v55
	v_add_f32_e32 v58, 0, v50
	v_cndmask_b32_e64 v51, 0, v51, s[34:35]
	v_exp_f32_e32 v49, v49
	v_mul_f32_e32 v46, 0x3fb8aa3b, v46
	v_sub_f32_e32 v47, v47, v55
	v_add_f32_e32 v58, v58, v51
	;; [unrolled: 5-line block ×10, first 2 shown]
	v_cndmask_b32_e64 v38, 0, v38, s[12:13]
	v_exp_f32_e32 v34, v34
	v_mul_f32_e32 v35, 0x3fb8aa3b, v35
	v_add_f32_e32 v58, v58, v38
	v_cndmask_b32_e64 v39, 0, v39, s[14:15]
	v_exp_f32_e32 v35, v35
	v_add_f32_e32 v58, v58, v39
	v_cndmask_b32_e64 v36, 0, v36, s[8:9]
	v_add_f32_e32 v58, v58, v36
	v_cndmask_b32_e64 v37, 0, v37, s[10:11]
	v_add_f32_e32 v58, v58, v37
	v_cndmask_b32_e32 v34, 0, v34, vcc
	v_add_f32_e32 v58, v58, v34
	v_cndmask_b32_e64 v35, 0, v35, s[6:7]
	v_add_f32_e32 v58, v58, v35
	ds_bpermute_b32 v56, v56, v58
	s_load_dword s9, s[0:1], 0x98
	v_cmp_gt_u32_e64 s[6:7], 16, v45
	v_lshlrev_b32_e32 v45, 2, v44
	s_waitcnt lgkmcnt(0)
	v_add_f32_e32 v56, v58, v56
	ds_bpermute_b32 v57, v57, v56
	s_barrier
	s_waitcnt lgkmcnt(0)
	s_and_saveexec_b64 s[4:5], s[6:7]
	s_cbranch_execz .LBB164_17
; %bb.16:
	v_add_f32_e32 v56, v56, v57
	v_lshl_or_b32 v57, v1, 6, v45
	ds_write2st64_b32 v57, v55, v56 offset1:1
.LBB164_17:
	s_or_b64 exec, exec, s[4:5]
	s_load_dword s8, s[0:1], 0x94
	s_waitcnt lgkmcnt(0)
	s_barrier
	ds_read2_b32 v[56:57], v45 offset1:16
	ds_read2_b32 v[58:59], v45 offset0:32 offset1:48
	ds_read2_b32 v[60:61], v45 offset0:64 offset1:80
	;; [unrolled: 1-line block ×3, first 2 shown]
	s_waitcnt lgkmcnt(0)
	v_max3_f32 v55, v56, s33, v57
	v_max3_f32 v55, v55, v58, v59
	v_sub_f32_e32 v56, v56, v55
	v_mul_f32_e32 v56, 0x3fb8aa3b, v56
	v_exp_f32_e32 v64, v56
	v_sub_f32_e32 v56, v57, v55
	v_mul_f32_e32 v56, 0x3fb8aa3b, v56
	v_exp_f32_e32 v57, v56
	v_sub_f32_e32 v56, v58, v55
	v_mul_f32_e32 v56, 0x3fb8aa3b, v56
	v_sub_f32_e32 v45, v59, v55
	v_exp_f32_e32 v58, v56
	v_mul_f32_e32 v45, 0x3fb8aa3b, v45
	v_exp_f32_e32 v45, v45
	v_fma_f32 v56, v64, v60, 0
	v_fmac_f32_e32 v56, v57, v61
	v_fmac_f32_e32 v56, v58, v62
	;; [unrolled: 1-line block ×3, first 2 shown]
	v_add_f32_e32 v59, 0x358637bd, v56
	v_div_scale_f32 v60, s[4:5], v59, v59, 1.0
	v_rcp_f32_e32 v61, v60
	s_barrier
	s_mul_i32 s9, s9, 13
	v_fma_f32 v62, -v60, v61, 1.0
	v_fmac_f32_e32 v61, v62, v61
	v_div_scale_f32 v62, vcc, 1.0, v59, 1.0
	v_mul_f32_e32 v63, v62, v61
	v_fma_f32 v65, -v60, v63, v62
	v_fmac_f32_e32 v63, v65, v61
	v_fma_f32 v60, -v60, v63, v62
	v_div_fmas_f32 v60, v60, v61, v63
	v_cmp_eq_u32_e32 vcc, 1, v1
	v_div_fixup_f32 v59, v60, v59, 1.0
	s_nop 0
	v_cndmask_b32_e32 v57, v64, v57, vcc
	v_cmp_eq_u32_e32 vcc, 2, v1
	s_nop 1
	v_cndmask_b32_e32 v57, v57, v58, vcc
	v_cmp_eq_u32_e32 vcc, 3, v1
	v_lshlrev_b32_e32 v1, 11, v1
	s_nop 0
	v_cndmask_b32_e32 v45, v57, v45, vcc
	v_mul_f32_e32 v58, v45, v59
	v_pk_mul_f32 v[52:53], v[58:59], v[52:53] op_sel_hi:[0,1]
	v_pk_mul_f32 v[50:51], v[58:59], v[50:51] op_sel_hi:[0,1]
	v_cvt_f16_f32_e32 v45, v50
	v_cvt_f16_f32_e32 v50, v51
	;; [unrolled: 1-line block ×4, first 2 shown]
	v_pk_mul_f32 v[46:47], v[58:59], v[46:47] op_sel_hi:[0,1]
	v_pk_mul_f32 v[48:49], v[58:59], v[48:49] op_sel_hi:[0,1]
	v_cvt_f16_f32_e32 v48, v48
	v_pack_b32_f16 v53, v51, v53
	v_cvt_f16_f32_e32 v49, v49
	v_cvt_f16_f32_e32 v51, v46
	;; [unrolled: 1-line block ×3, first 2 shown]
	v_pack_b32_f16 v52, v45, v50
	v_lshlrev_b32_e32 v45, 3, v54
	v_lshlrev_b32_e32 v50, 5, v44
	v_or3_b32 v1, v1, v50, v45
	v_pack_b32_f16 v46, v48, v49
	v_pack_b32_f16 v47, v51, v47
	v_pk_mul_f32 v[38:39], v[58:59], v[38:39] op_sel_hi:[0,1]
	v_pk_mul_f32 v[40:41], v[58:59], v[40:41] op_sel_hi:[0,1]
	;; [unrolled: 1-line block ×4, first 2 shown]
	ds_write2st64_b64 v1, v[52:53], v[46:47] offset1:1
	v_cvt_f16_f32_e32 v40, v40
	v_cvt_f16_f32_e32 v41, v41
	;; [unrolled: 1-line block ×8, first 2 shown]
	v_pack_b32_f16 v34, v40, v41
	v_pack_b32_f16 v35, v38, v39
	;; [unrolled: 1-line block ×4, first 2 shown]
	v_cmp_gt_u32_e32 vcc, 13, v0
	ds_write2st64_b64 v1, v[34:35], v[36:37] offset0:2 offset1:3
	s_and_saveexec_b64 s[4:5], vcc
	s_cbranch_execz .LBB164_19
; %bb.18:
	s_mov_b32 s43, 0
	v_mov_b32_e32 v45, 0
	v_lshl_add_u64 v[34:35], s[42:43], 0, v[44:45]
	v_mov_b32_e32 v36, s9
	v_mad_u64_u32 v[34:35], s[10:11], s2, v36, v[34:35]
	s_mul_i32 s3, s3, s9
	v_mov_b32_e32 v44, s28
	s_load_dwordx4 s[12:15], s[0:1], 0x58
	v_add_u32_e32 v37, s3, v35
	v_mad_u64_u32 v[34:35], s[10:11], v34, s8, v[44:45]
	v_mov_b32_e32 v36, v35
	v_mad_u64_u32 v[36:37], s[10:11], v37, s8, v[36:37]
	v_mov_b32_e32 v35, v36
	v_lshlrev_b64 v[34:35], 2, v[34:35]
	s_waitcnt lgkmcnt(0)
	v_lshl_add_u64 v[36:37], s[14:15], 0, v[34:35]
	v_lshl_add_u64 v[34:35], s[12:13], 0, v[34:35]
	global_store_dword v[36:37], v55, off
	global_store_dword v[34:35], v56, off
.LBB164_19:
	s_or_b64 exec, exec, s[4:5]
	v_lshl_or_b32 v48, v54, 9, v50
	s_waitcnt lgkmcnt(0)
	s_barrier
	ds_read_b128 v[34:37], v48
	ds_read_b128 v[38:41], v48 offset:16
	s_waitcnt vmcnt(7) lgkmcnt(1)
	v_mfma_f32_16x16x16_f16 v[44:47], v[6:7], v[34:35], 0
	v_cmp_gt_u32_e32 vcc, 64, v0
	s_mov_b32 s3, 0
	s_and_b64 s[4:5], vcc, s[30:31]
	v_mfma_f32_16x16x16_f16 v[6:9], v[8:9], v[36:37], v[44:47]
	s_waitcnt vmcnt(6) lgkmcnt(0)
	v_mfma_f32_16x16x16_f16 v[6:9], v[2:3], v[38:39], v[6:9]
	v_mfma_f32_16x16x16_f16 v[2:5], v[4:5], v[40:41], v[6:9]
	s_nop 5
	ds_read_b128 v[6:9], v48 offset:2048
	ds_read_b128 v[34:37], v48 offset:2064
	s_waitcnt vmcnt(5) lgkmcnt(1)
	v_mfma_f32_16x16x16_f16 v[2:5], v[30:31], v[6:7], v[2:5]
	v_mfma_f32_16x16x16_f16 v[2:5], v[32:33], v[8:9], v[2:5]
	s_waitcnt vmcnt(4) lgkmcnt(0)
	v_mfma_f32_16x16x16_f16 v[2:5], v[26:27], v[34:35], v[2:5]
	v_mfma_f32_16x16x16_f16 v[2:5], v[28:29], v[36:37], v[2:5]
	ds_read_b128 v[6:9], v48 offset:4096
	ds_read_b128 v[26:29], v48 offset:4112
	s_waitcnt vmcnt(3) lgkmcnt(1)
	v_mfma_f32_16x16x16_f16 v[2:5], v[22:23], v[6:7], v[2:5]
	v_mfma_f32_16x16x16_f16 v[2:5], v[24:25], v[8:9], v[2:5]
	s_waitcnt vmcnt(2) lgkmcnt(0)
	v_mfma_f32_16x16x16_f16 v[2:5], v[18:19], v[26:27], v[2:5]
	v_mfma_f32_16x16x16_f16 v[2:5], v[20:21], v[28:29], v[2:5]
	ds_read_b128 v[6:9], v48 offset:6144
	ds_read_b128 v[18:21], v48 offset:6160
	s_waitcnt lgkmcnt(0)
	s_barrier
	s_waitcnt vmcnt(1)
	v_mfma_f32_16x16x16_f16 v[2:5], v[14:15], v[6:7], v[2:5]
	v_mfma_f32_16x16x16_f16 v[2:5], v[16:17], v[8:9], v[2:5]
	s_waitcnt vmcnt(0)
	v_mfma_f32_16x16x16_f16 v[2:5], v[10:11], v[18:19], v[2:5]
	v_mfma_f32_16x16x16_f16 v[2:5], v[12:13], v[20:21], v[2:5]
	s_nop 6
	v_cvt_f16_f32_e32 v2, v2
	v_cvt_f16_f32_e32 v3, v3
	;; [unrolled: 1-line block ×4, first 2 shown]
	v_pack_b32_f16 v2, v2, v3
	v_pack_b32_f16 v3, v4, v5
	ds_write_b64 v1, v[2:3]
	s_waitcnt lgkmcnt(0)
	s_barrier
	s_and_saveexec_b64 s[10:11], s[4:5]
	s_cbranch_execz .LBB164_22
; %bb.20:
	s_load_dwordx2 s[4:5], s[0:1], 0x68
	s_lshl_b32 s0, s8, 6
	s_mul_i32 s1, s9, s2
	s_mul_hi_u32 s9, s1, s0
	s_mul_i32 s8, s1, s0
	v_lshlrev_b32_e32 v1, 10, v0
	v_lshlrev_b32_e32 v0, 4, v0
	s_lshl_b64 s[8:9], s[8:9], 1
	v_and_b32_e32 v1, 0x1800, v1
	v_lshlrev_b32_e32 v2, 5, v54
	v_and_b32_e32 v0, 16, v0
	s_waitcnt lgkmcnt(0)
	s_add_u32 s1, s4, s8
	v_or3_b32 v2, v1, v2, v0
	s_addc_u32 s4, s5, s9
	s_lshl_b32 s2, s28, 6
	ds_read_b128 v[4:7], v2 offset:256
	s_lshl_b64 s[2:3], s[2:3], 1
	ds_read_b128 v[8:11], v2 offset:128
	ds_read_b128 v[12:15], v2
	s_add_u32 s2, s1, s2
	s_addc_u32 s3, s4, s3
	v_add_u32_e32 v3, s42, v54
	v_lshl_add_u64 v[0:1], v[42:43], 1, s[2:3]
	v_mad_u64_u32 v[16:17], s[2:3], v3, s0, 0
	v_lshl_add_u64 v[16:17], v[16:17], 1, v[0:1]
	s_waitcnt lgkmcnt(0)
	global_store_dwordx4 v[16:17], v[12:15], off
	s_nop 1
	v_add_u32_e32 v12, 4, v3
	v_mad_u64_u32 v[12:13], s[2:3], v12, s0, 0
	v_lshl_add_u64 v[12:13], v[12:13], 1, v[0:1]
	v_add_u32_e32 v3, 8, v3
	global_store_dwordx4 v[12:13], v[8:11], off
	s_nop 1
	v_mad_u64_u32 v[8:9], s[2:3], v3, s0, 0
	v_lshl_add_u64 v[8:9], v[8:9], 1, v[0:1]
	global_store_dwordx4 v[8:9], v[4:7], off
	s_and_b64 exec, exec, s[6:7]
	s_cbranch_execz .LBB164_22
; %bb.21:
	ds_read_b128 v[2:5], v2 offset:384
	v_add3_u32 v6, s42, v54, 12
	v_mad_u64_u32 v[6:7], s[0:1], v6, s0, 0
	v_lshl_add_u64 v[0:1], v[6:7], 1, v[0:1]
	s_waitcnt lgkmcnt(0)
	global_store_dwordx4 v[0:1], v[2:5], off
.LBB164_22:
	s_endpgm
	.section	.rodata,"a",@progbits
	.p2align	6, 0x0
	.amdhsa_kernel _Z39paged_attention_ll4mi_QKV_mfma16_kernelIDF16_DF16_LN4vllm18Fp8KVCacheDataTypeE0EDF16_Li32ELi64ELi256ELb1ELi13EEvPKT_PKT0_S7_ifPKiS9_S9_iPKfiiiPfSC_PS2_PT2_iSB_SB_
		.amdhsa_group_segment_fixed_size 8192
		.amdhsa_private_segment_fixed_size 0
		.amdhsa_kernarg_size 400
		.amdhsa_user_sgpr_count 2
		.amdhsa_user_sgpr_dispatch_ptr 0
		.amdhsa_user_sgpr_queue_ptr 0
		.amdhsa_user_sgpr_kernarg_segment_ptr 1
		.amdhsa_user_sgpr_dispatch_id 0
		.amdhsa_user_sgpr_kernarg_preload_length 0
		.amdhsa_user_sgpr_kernarg_preload_offset 0
		.amdhsa_user_sgpr_private_segment_size 0
		.amdhsa_uses_dynamic_stack 0
		.amdhsa_enable_private_segment 0
		.amdhsa_system_sgpr_workgroup_id_x 1
		.amdhsa_system_sgpr_workgroup_id_y 1
		.amdhsa_system_sgpr_workgroup_id_z 1
		.amdhsa_system_sgpr_workgroup_info 0
		.amdhsa_system_vgpr_workitem_id 0
		.amdhsa_next_free_vgpr 73
		.amdhsa_next_free_sgpr 48
		.amdhsa_accum_offset 76
		.amdhsa_reserve_vcc 1
		.amdhsa_float_round_mode_32 0
		.amdhsa_float_round_mode_16_64 0
		.amdhsa_float_denorm_mode_32 3
		.amdhsa_float_denorm_mode_16_64 3
		.amdhsa_dx10_clamp 1
		.amdhsa_ieee_mode 1
		.amdhsa_fp16_overflow 0
		.amdhsa_tg_split 0
		.amdhsa_exception_fp_ieee_invalid_op 0
		.amdhsa_exception_fp_denorm_src 0
		.amdhsa_exception_fp_ieee_div_zero 0
		.amdhsa_exception_fp_ieee_overflow 0
		.amdhsa_exception_fp_ieee_underflow 0
		.amdhsa_exception_fp_ieee_inexact 0
		.amdhsa_exception_int_div_zero 0
	.end_amdhsa_kernel
	.section	.text._Z39paged_attention_ll4mi_QKV_mfma16_kernelIDF16_DF16_LN4vllm18Fp8KVCacheDataTypeE0EDF16_Li32ELi64ELi256ELb1ELi13EEvPKT_PKT0_S7_ifPKiS9_S9_iPKfiiiPfSC_PS2_PT2_iSB_SB_,"axG",@progbits,_Z39paged_attention_ll4mi_QKV_mfma16_kernelIDF16_DF16_LN4vllm18Fp8KVCacheDataTypeE0EDF16_Li32ELi64ELi256ELb1ELi13EEvPKT_PKT0_S7_ifPKiS9_S9_iPKfiiiPfSC_PS2_PT2_iSB_SB_,comdat
.Lfunc_end164:
	.size	_Z39paged_attention_ll4mi_QKV_mfma16_kernelIDF16_DF16_LN4vllm18Fp8KVCacheDataTypeE0EDF16_Li32ELi64ELi256ELb1ELi13EEvPKT_PKT0_S7_ifPKiS9_S9_iPKfiiiPfSC_PS2_PT2_iSB_SB_, .Lfunc_end164-_Z39paged_attention_ll4mi_QKV_mfma16_kernelIDF16_DF16_LN4vllm18Fp8KVCacheDataTypeE0EDF16_Li32ELi64ELi256ELb1ELi13EEvPKT_PKT0_S7_ifPKiS9_S9_iPKfiiiPfSC_PS2_PT2_iSB_SB_
                                        ; -- End function
	.section	.AMDGPU.csdata,"",@progbits
; Kernel info:
; codeLenInByte = 4216
; NumSgprs: 54
; NumVgprs: 73
; NumAgprs: 0
; TotalNumVgprs: 73
; ScratchSize: 0
; MemoryBound: 0
; FloatMode: 240
; IeeeMode: 1
; LDSByteSize: 8192 bytes/workgroup (compile time only)
; SGPRBlocks: 6
; VGPRBlocks: 9
; NumSGPRsForWavesPerEU: 54
; NumVGPRsForWavesPerEU: 73
; AccumOffset: 76
; Occupancy: 6
; WaveLimiterHint : 1
; COMPUTE_PGM_RSRC2:SCRATCH_EN: 0
; COMPUTE_PGM_RSRC2:USER_SGPR: 2
; COMPUTE_PGM_RSRC2:TRAP_HANDLER: 0
; COMPUTE_PGM_RSRC2:TGID_X_EN: 1
; COMPUTE_PGM_RSRC2:TGID_Y_EN: 1
; COMPUTE_PGM_RSRC2:TGID_Z_EN: 1
; COMPUTE_PGM_RSRC2:TIDIG_COMP_CNT: 0
; COMPUTE_PGM_RSRC3_GFX90A:ACCUM_OFFSET: 18
; COMPUTE_PGM_RSRC3_GFX90A:TG_SPLIT: 0
	.section	.text._Z39paged_attention_ll4mi_QKV_mfma16_kernelIDF16_DF16_LN4vllm18Fp8KVCacheDataTypeE0EDF16_Li32ELi64ELi256ELb1ELi14EEvPKT_PKT0_S7_ifPKiS9_S9_iPKfiiiPfSC_PS2_PT2_iSB_SB_,"axG",@progbits,_Z39paged_attention_ll4mi_QKV_mfma16_kernelIDF16_DF16_LN4vllm18Fp8KVCacheDataTypeE0EDF16_Li32ELi64ELi256ELb1ELi14EEvPKT_PKT0_S7_ifPKiS9_S9_iPKfiiiPfSC_PS2_PT2_iSB_SB_,comdat
	.protected	_Z39paged_attention_ll4mi_QKV_mfma16_kernelIDF16_DF16_LN4vllm18Fp8KVCacheDataTypeE0EDF16_Li32ELi64ELi256ELb1ELi14EEvPKT_PKT0_S7_ifPKiS9_S9_iPKfiiiPfSC_PS2_PT2_iSB_SB_ ; -- Begin function _Z39paged_attention_ll4mi_QKV_mfma16_kernelIDF16_DF16_LN4vllm18Fp8KVCacheDataTypeE0EDF16_Li32ELi64ELi256ELb1ELi14EEvPKT_PKT0_S7_ifPKiS9_S9_iPKfiiiPfSC_PS2_PT2_iSB_SB_
	.globl	_Z39paged_attention_ll4mi_QKV_mfma16_kernelIDF16_DF16_LN4vllm18Fp8KVCacheDataTypeE0EDF16_Li32ELi64ELi256ELb1ELi14EEvPKT_PKT0_S7_ifPKiS9_S9_iPKfiiiPfSC_PS2_PT2_iSB_SB_
	.p2align	8
	.type	_Z39paged_attention_ll4mi_QKV_mfma16_kernelIDF16_DF16_LN4vllm18Fp8KVCacheDataTypeE0EDF16_Li32ELi64ELi256ELb1ELi14EEvPKT_PKT0_S7_ifPKiS9_S9_iPKfiiiPfSC_PS2_PT2_iSB_SB_,@function
_Z39paged_attention_ll4mi_QKV_mfma16_kernelIDF16_DF16_LN4vllm18Fp8KVCacheDataTypeE0EDF16_Li32ELi64ELi256ELb1ELi14EEvPKT_PKT0_S7_ifPKiS9_S9_iPKfiiiPfSC_PS2_PT2_iSB_SB_: ; @_Z39paged_attention_ll4mi_QKV_mfma16_kernelIDF16_DF16_LN4vllm18Fp8KVCacheDataTypeE0EDF16_Li32ELi64ELi256ELb1ELi14EEvPKT_PKT0_S7_ifPKiS9_S9_iPKfiiiPfSC_PS2_PT2_iSB_SB_
; %bb.0:
	s_load_dwordx2 s[6:7], s[0:1], 0x30
	s_mov_b32 s28, s3
	s_mov_b64 s[8:9], 0
	s_waitcnt lgkmcnt(0)
	s_cmp_lg_u64 s[6:7], 0
	s_cselect_b64 s[10:11], -1, 0
	s_and_b64 vcc, exec, s[10:11]
	s_cbranch_vccz .LBB165_7
; %bb.1:
	s_add_i32 s12, s2, 1
	s_mov_b32 s13, 0
	s_lshl_b64 s[14:15], s[12:13], 2
	s_add_u32 s14, s6, s14
	s_mov_b32 s3, s13
	s_addc_u32 s15, s7, s15
	s_lshl_b64 s[12:13], s[2:3], 2
	s_add_u32 s12, s6, s12
	s_addc_u32 s13, s7, s13
	s_load_dword s5, s[14:15], 0x0
	s_load_dword s16, s[12:13], 0x0
	s_waitcnt lgkmcnt(0)
	s_sub_i32 s5, s5, s16
	s_cmp_eq_u32 s5, 1
	s_cselect_b64 s[12:13], -1, 0
	s_andn2_b64 vcc, exec, s[8:9]
	s_cbranch_vccnz .LBB165_3
.LBB165_2:
	s_mov_b32 s3, 0
	s_mov_b64 s[12:13], -1
.LBB165_3:
	s_andn2_b64 vcc, exec, s[12:13]
	s_cbranch_vccnz .LBB165_22
; %bb.4:
	s_load_dwordx2 s[8:9], s[0:1], 0x28
	s_lshl_b64 s[12:13], s[2:3], 2
	s_waitcnt lgkmcnt(0)
	s_add_u32 s8, s8, s12
	s_addc_u32 s9, s9, s13
	s_load_dword s29, s[8:9], 0x0
	s_lshl_b32 s14, s28, 8
	s_waitcnt lgkmcnt(0)
	s_cmp_ge_i32 s14, s29
	s_cbranch_scc1 .LBB165_22
; %bb.5:
	s_load_dwordx2 s[8:9], s[0:1], 0x20
	s_load_dword s5, s[0:1], 0x38
	s_add_i32 s15, s29, 31
	s_ashr_i32 s16, s15, 31
	v_and_b32_e32 v1, 0xcf, v0
	s_lshr_b32 s16, s16, 27
	v_add_u32_e32 v1, s14, v1
	s_add_i32 s15, s15, s16
	v_ashrrev_i32_e32 v2, 31, v1
	s_ashr_i32 s15, s15, 5
	v_lshrrev_b32_e32 v6, 27, v2
	s_add_i32 s15, s15, -1
	s_waitcnt lgkmcnt(0)
	s_mul_i32 s16, s2, s5
	s_mov_b32 s17, 0
	v_add_u32_e32 v2, v1, v6
	s_lshl_b64 s[16:17], s[16:17], 2
	v_ashrrev_i32_e32 v2, 5, v2
	v_mov_b32_e32 v7, s15
	v_cmp_gt_i32_e32 vcc, s29, v1
	s_add_u32 s8, s8, s16
	s_addc_u32 s9, s9, s17
	v_cndmask_b32_e32 v2, v7, v2, vcc
	v_ashrrev_i32_e32 v3, 31, v2
	v_lshl_add_u64 v[4:5], v[2:3], 2, s[8:9]
	v_or_b32_e32 v2, 16, v1
	v_add_u32_e32 v3, v2, v6
	v_ashrrev_i32_e32 v3, 5, v3
	v_cmp_gt_i32_e32 vcc, s29, v2
	s_nop 1
	v_cndmask_b32_e32 v2, v7, v3, vcc
	v_ashrrev_i32_e32 v3, 31, v2
	v_lshl_add_u64 v[8:9], v[2:3], 2, s[8:9]
	v_or_b32_e32 v2, 32, v1
	v_add_u32_e32 v3, v2, v6
	v_ashrrev_i32_e32 v3, 5, v3
	v_cmp_gt_i32_e32 vcc, s29, v2
	v_or_b32_e32 v1, 48, v1
	s_nop 0
	v_cndmask_b32_e32 v2, v7, v3, vcc
	v_ashrrev_i32_e32 v3, 31, v2
	v_lshl_add_u64 v[12:13], v[2:3], 2, s[8:9]
	v_add_u32_e32 v2, v1, v6
	v_ashrrev_i32_e32 v2, 5, v2
	v_cmp_gt_i32_e32 vcc, s29, v1
	s_nop 1
	v_cndmask_b32_e32 v2, v7, v2, vcc
	v_ashrrev_i32_e32 v3, 31, v2
	v_lshl_add_u64 v[16:17], v[2:3], 2, s[8:9]
	global_load_dword v2, v[4:5], off
	global_load_dword v6, v[8:9], off
	;; [unrolled: 1-line block ×4, first 2 shown]
	s_andn2_b64 vcc, exec, s[10:11]
	s_cbranch_vccnz .LBB165_8
; %bb.6:
	s_add_u32 s6, s6, s12
	s_addc_u32 s7, s7, s13
	s_load_dword s5, s[6:7], 0x0
	s_branch .LBB165_9
.LBB165_7:
	s_mov_b64 s[12:13], 0
	s_branch .LBB165_2
.LBB165_8:
	s_mov_b32 s5, s2
.LBB165_9:
	s_load_dwordx2 s[10:11], s[0:1], 0x8
	s_load_dwordx4 s[44:47], s[0:1], 0x48
	v_lshrrev_b32_e32 v1, 6, v0
	v_bfe_u32 v54, v0, 4, 2
	v_lshl_or_b32 v3, v1, 2, v54
	v_and_b32_e32 v44, 15, v0
	v_cmp_lt_u32_e32 vcc, 13, v3
	v_cmp_lt_u32_e64 s[6:7], 7, v44
	v_lshlrev_b32_e32 v42, 3, v44
	v_cmp_gt_u32_e64 s[30:31], 8, v44
	s_or_b64 s[6:7], s[6:7], vcc
	s_and_saveexec_b64 s[12:13], s[6:7]
	s_xor_b64 s[6:7], exec, s[12:13]
; %bb.10:
	v_mov_b32_e32 v43, 0
                                        ; implicit-def: $vgpr3
; %bb.11:
	s_or_saveexec_b64 s[12:13], s[6:7]
	s_load_dwordx2 s[6:7], s[0:1], 0x10
	s_mul_i32 s42, s4, 14
	s_xor_b64 exec, exec, s[12:13]
	s_cbranch_execz .LBB165_13
; %bb.12:
	s_load_dwordx2 s[16:17], s[0:1], 0x0
	s_waitcnt lgkmcnt(0)
	s_ashr_i32 s18, s44, 31
	s_mul_hi_u32 s19, s5, s44
	s_mul_i32 s18, s5, s18
	s_add_i32 s19, s19, s18
	s_mul_i32 s18, s5, s44
	s_lshl_b64 s[18:19], s[18:19], 1
	s_add_u32 s16, s16, s18
	v_add_lshl_u32 v4, v3, s42, 6
	s_addc_u32 s17, s17, s19
	v_ashrrev_i32_e32 v5, 31, v4
	v_mov_b32_e32 v43, 0
	v_lshl_add_u64 v[4:5], v[4:5], 1, s[16:17]
	v_lshlrev_b32_e32 v8, 1, v42
	v_mov_b32_e32 v9, v43
	v_lshl_add_u64 v[4:5], v[4:5], 0, v[8:9]
	global_load_dwordx4 v[16:19], v[4:5], off
	v_and_b32_e32 v4, 3, v0
	v_lshlrev_b32_e32 v5, 9, v44
	v_lshlrev_b32_e32 v3, 5, v3
	;; [unrolled: 1-line block ×3, first 2 shown]
	v_and_b32_e32 v5, 0x1800, v5
	v_or3_b32 v3, v5, v4, v3
	s_waitcnt vmcnt(0)
	ds_write_b128 v3, v[16:19]
.LBB165_13:
	s_or_b64 exec, exec, s[12:13]
	s_waitcnt lgkmcnt(0)
	s_mul_i32 s4, s4, s46
	s_mov_b32 s5, 0
	s_lshl_b64 s[4:5], s[4:5], 1
	s_add_u32 s10, s10, s4
	s_addc_u32 s11, s11, s5
	s_waitcnt vmcnt(3)
	v_mad_i64_i32 v[2:3], s[12:13], v2, s45, 0
	v_lshl_add_u64 v[2:3], v[2:3], 1, s[10:11]
	v_lshlrev_b64 v[12:13], 1, v[42:43]
	v_lshlrev_b32_e32 v46, 9, v54
	v_lshl_add_u64 v[2:3], v[2:3], 0, v[12:13]
	v_mov_b32_e32 v47, 0
	v_lshl_add_u64 v[8:9], v[2:3], 0, v[46:47]
	s_barrier
	global_load_dwordx4 v[22:25], v[8:9], off
	global_load_dwordx4 v[2:5], v[8:9], off offset:2048
	s_waitcnt vmcnt(4)
	v_mad_i64_i32 v[6:7], s[12:13], v6, s45, 0
	v_mov_b32_e32 v8, 0x100
	v_lshl_add_u64 v[6:7], v[6:7], 1, s[10:11]
	v_lshl_or_b32 v16, v44, 4, v8
	v_mov_b32_e32 v17, v47
	s_waitcnt vmcnt(3)
	v_mad_i64_i32 v[10:11], s[12:13], v10, s45, 0
	v_lshl_add_u64 v[6:7], v[6:7], 0, v[16:17]
	v_lshl_add_u64 v[10:11], v[10:11], 1, s[10:11]
	s_waitcnt vmcnt(2)
	v_mad_i64_i32 v[14:15], s[12:13], v14, s45, 0
	v_lshl_add_u64 v[18:19], v[6:7], 0, v[46:47]
	v_lshl_add_u64 v[10:11], v[10:11], 0, v[12:13]
	;; [unrolled: 1-line block ×3, first 2 shown]
	global_load_dwordx4 v[26:29], v[18:19], off
	global_load_dwordx4 v[6:9], v[18:19], off offset:2048
	v_lshl_add_u64 v[18:19], v[10:11], 0, v[46:47]
	v_lshl_add_u64 v[14:15], v[14:15], 0, v[16:17]
	global_load_dwordx4 v[30:33], v[18:19], off
	global_load_dwordx4 v[10:13], v[18:19], off offset:2048
	v_lshl_add_u64 v[18:19], v[14:15], 0, v[46:47]
	global_load_dwordx4 v[34:37], v[18:19], off
	global_load_dwordx4 v[14:17], v[18:19], off offset:2048
	v_add_u32_e32 v18, -14, v44
	v_cmp_gt_u32_e32 vcc, 14, v44
	v_and_b32_e32 v45, 63, v0
	v_mov_b32_e32 v50, 0
	v_cndmask_b32_e32 v18, v18, v44, vcc
	v_lshl_add_u32 v18, v18, 5, v46
	ds_read_b128 v[38:41], v18
	ds_read_b128 v[18:21], v18 offset:2048
	s_and_saveexec_b64 s[10:11], vcc
	s_cbranch_execz .LBB165_15
; %bb.14:
	s_load_dwordx2 s[12:13], s[0:1], 0x40
	v_add_u32_e32 v48, s42, v44
	v_ashrrev_i32_e32 v49, 31, v48
	s_waitcnt lgkmcnt(0)
	v_lshl_add_u64 v[48:49], v[48:49], 2, s[12:13]
	global_load_dword v50, v[48:49], off
.LBB165_15:
	s_or_b64 exec, exec, s[10:11]
	s_ashr_i32 s10, s14, 31
	v_and_or_b32 v46, v0, 48, s14
	s_lshr_b32 s11, s10, 27
	v_add_u32_e32 v48, s11, v46
	v_or_b32_e32 v52, 64, v46
	v_ashrrev_i32_e32 v48, 5, v48
	v_mov_b32_e32 v51, s15
	v_cmp_gt_i32_e32 vcc, s29, v46
	v_add_u32_e32 v53, s11, v52
	s_waitcnt vmcnt(7) lgkmcnt(1)
	v_mfma_f32_16x16x16_f16 v[56:59], v[22:23], v[38:39], 0
	v_cndmask_b32_e32 v48, v51, v48, vcc
	v_ashrrev_i32_e32 v22, 5, v53
	v_cmp_gt_i32_e32 vcc, s29, v52
	v_ashrrev_i32_e32 v49, 31, v48
	v_lshl_add_u64 v[48:49], v[48:49], 2, s[8:9]
	v_cndmask_b32_e32 v22, v51, v22, vcc
	v_ashrrev_i32_e32 v23, 31, v22
	v_lshl_add_u64 v[22:23], v[22:23], 2, s[8:9]
	global_load_dword v55, v[48:49], off
	global_load_dword v72, v[22:23], off
	s_waitcnt vmcnt(3)
	v_mfma_f32_16x16x16_f16 v[68:71], v[34:35], v[38:39], 0
	v_or_b32_e32 v48, 0xc0, v46
	v_add_u32_e32 v52, s11, v48
	s_add_u32 s4, s6, s4
	v_mfma_f32_16x16x16_f16 v[60:63], v[26:27], v[38:39], 0
	s_addc_u32 s5, s7, s5
	s_load_dword s10, s[0:1], 0x1c
	s_mov_b32 s33, 0xff7fffff
	v_mfma_f32_16x16x16_f16 v[64:67], v[30:31], v[38:39], 0
	v_and_b32_e32 v31, 0xc0, v0
	v_or_b32_e32 v38, 0x80, v46
	v_add_u32_e32 v34, s14, v31
	v_mfma_f32_16x16x16_f16 v[22:25], v[24:25], v[40:41], v[56:59]
	v_and_b32_e32 v30, 16, v0
	v_add_u32_e32 v49, s11, v38
	v_lshlrev_b32_e32 v46, 1, v30
	v_lshl_or_b32 v56, v54, 2, v34
	v_mfma_f32_16x16x16_f16 v[34:37], v[36:37], v[40:41], v[68:71]
	v_cmp_gt_i32_e32 vcc, s29, v38
	v_lshlrev_b32_e32 v39, 6, v44
	v_or_b32_e32 v57, 1, v56
	v_mfma_f32_16x16x16_f16 v[26:29], v[28:29], v[40:41], v[60:63]
	v_cmp_gt_i32_e64 s[34:35], s29, v57
	v_mfma_f32_16x16x16_f16 v[30:33], v[32:33], v[40:41], v[64:67]
	v_ashrrev_i32_e32 v40, 5, v49
	v_ashrrev_i32_e32 v41, 5, v52
	v_cndmask_b32_e32 v38, v51, v40, vcc
	v_cmp_gt_i32_e32 vcc, s29, v48
	s_waitcnt lgkmcnt(0)
	v_mfma_f32_16x16x16_f16 v[22:25], v[2:3], v[18:19], v[22:25]
	v_lshl_add_u64 v[2:3], s[4:5], 0, v[46:47]
	v_cndmask_b32_e32 v40, v51, v41, vcc
	v_lshl_or_b32 v46, v1, 10, v39
	v_ashrrev_i32_e32 v39, 31, v38
	v_ashrrev_i32_e32 v41, 31, v40
	s_waitcnt vmcnt(2)
	v_mfma_f32_16x16x16_f16 v[34:37], v[14:15], v[18:19], v[34:37]
	v_lshl_add_u64 v[14:15], v[38:39], 2, s[8:9]
	v_subrev_u32_e32 v51, s29, v57
	v_cvt_f32_i32_e32 v58, v51
	v_mfma_f32_16x16x16_f16 v[26:29], v[6:7], v[18:19], v[26:29]
	v_mfma_f32_16x16x16_f16 v[30:33], v[10:11], v[18:19], v[30:33]
	v_lshl_add_u64 v[18:19], v[40:41], 2, s[8:9]
	global_load_dword v59, v[14:15], off
	global_load_dword v60, v[18:19], off
	v_lshl_add_u64 v[10:11], v[2:3], 0, v[46:47]
	v_mfma_f32_16x16x16_f16 v[2:5], v[4:5], v[20:21], v[22:25]
	v_add_u32_e32 v46, 1, v51
	v_add_u32_e32 v47, 3, v51
	;; [unrolled: 1-line block ×3, first 2 shown]
	v_mfma_f32_16x16x16_f16 v[14:17], v[16:17], v[20:21], v[34:37]
	v_add_u32_e32 v22, 2, v51
	s_nop 1
	v_pk_mul_f32 v[52:53], s[10:11], v[4:5] op_sel_hi:[0,1]
	v_cvt_f32_i32_e32 v18, v18
	v_mfma_f32_16x16x16_f16 v[6:9], v[8:9], v[20:21], v[26:29]
	v_add_u32_e32 v19, 19, v51
	v_pk_mul_f32 v[34:35], s[10:11], v[16:17] op_sel_hi:[0,1]
	v_pk_mul_f32 v[36:37], s[10:11], v[14:15] op_sel_hi:[0,1]
	v_cvt_f32_i32_e32 v27, v22
	v_mfma_f32_16x16x16_f16 v[22:25], v[12:13], v[20:21], v[30:33]
	v_pk_mul_f32 v[12:13], s[10:11], v[2:3] op_sel_hi:[0,1]
	v_cvt_f32_i32_e32 v26, v46
	v_cvt_f32_i32_e32 v28, v47
	v_pk_mul_f32 v[46:47], s[10:11], v[8:9] op_sel_hi:[0,1]
	v_pk_mul_f32 v[48:49], s[10:11], v[6:7] op_sel_hi:[0,1]
	v_cvt_f32_i32_e32 v19, v19
	v_fma_f32 v46, v50, v18, v46
	v_add_u32_e32 v18, 34, v51
	v_cvt_f32_i32_e32 v18, v18
	v_fmac_f32_e32 v47, v50, v19
	v_add_u32_e32 v19, 35, v51
	v_cvt_f32_i32_e32 v19, v19
	v_pk_mul_f32 v[40:41], s[10:11], v[22:23] op_sel_hi:[0,1]
	v_pk_mul_f32 v[38:39], s[10:11], v[24:25] op_sel_hi:[0,1]
	v_fma_f32 v38, v50, v18, v38
	v_add_u32_e32 v18, 50, v51
	s_waitcnt vmcnt(3)
	v_mad_i64_i32 v[2:3], s[4:5], v55, s45, 0
	s_waitcnt vmcnt(2)
	v_mad_i64_i32 v[4:5], s[4:5], v72, s45, 0
	v_lshl_add_u64 v[16:17], v[2:3], 1, v[10:11]
	v_lshl_add_u64 v[14:15], v[4:5], 1, v[10:11]
	global_load_dwordx4 v[6:9], v[16:17], off
	global_load_dwordx4 v[2:5], v[16:17], off offset:16
	v_add_u32_e32 v16, 16, v51
	v_cvt_f32_i32_e32 v16, v16
	v_add_u32_e32 v17, 17, v51
	v_cvt_f32_i32_e32 v17, v17
	v_fmac_f32_e32 v39, v50, v19
	v_fma_f32 v48, v50, v16, v48
	v_add_u32_e32 v16, 32, v51
	v_fmac_f32_e32 v49, v50, v17
	v_cvt_f32_i32_e32 v16, v16
	v_add_u32_e32 v17, 33, v51
	v_cvt_f32_i32_e32 v17, v17
	v_cvt_f32_i32_e32 v18, v18
	v_fma_f32 v40, v50, v16, v40
	v_add_u32_e32 v16, 48, v51
	v_fmac_f32_e32 v41, v50, v17
	v_cvt_f32_i32_e32 v16, v16
	v_add_u32_e32 v17, 49, v51
	v_cvt_f32_i32_e32 v17, v17
	v_add_u32_e32 v19, 51, v51
	v_cvt_f32_i32_e32 v19, v19
	v_fma_f32 v12, v50, v58, v12
	v_fmac_f32_e32 v13, v50, v26
	v_fma_f32 v36, v50, v16, v36
	v_mov_b32_e32 v16, 0xff7fffff
	v_cmp_gt_i32_e64 s[4:5], s29, v56
	v_fmac_f32_e32 v37, v50, v17
	v_fma_f32 v34, v50, v18, v34
	v_cndmask_b32_e64 v17, v16, v12, s[4:5]
	v_cndmask_b32_e64 v18, v16, v13, s[34:35]
	v_fmac_f32_e32 v35, v50, v19
	v_max3_f32 v17, v17, s33, v18
	v_or_b32_e32 v18, 2, v56
	v_or_b32_e32 v19, 3, v56
	v_fma_f32 v52, v50, v27, v52
	v_fmac_f32_e32 v53, v50, v28
	v_cmp_gt_i32_e64 s[36:37], s29, v18
	v_cmp_gt_i32_e64 s[38:39], s29, v19
	global_load_dwordx4 v[30:33], v[14:15], off
	global_load_dwordx4 v[26:29], v[14:15], off offset:16
	v_cndmask_b32_e64 v18, v16, v52, s[36:37]
	v_cndmask_b32_e64 v19, v16, v53, s[38:39]
	v_max3_f32 v17, v17, v18, v19
	v_or_b32_e32 v18, 16, v56
	v_or_b32_e32 v19, 17, v56
	v_cmp_gt_i32_e64 s[24:25], s29, v18
	v_cmp_gt_i32_e64 s[26:27], s29, v19
	s_nop 0
	v_cndmask_b32_e64 v18, v16, v48, s[24:25]
	v_cndmask_b32_e64 v19, v16, v49, s[26:27]
	v_max3_f32 v17, v17, v18, v19
	v_or_b32_e32 v18, 18, v56
	v_or_b32_e32 v19, 19, v56
	v_cmp_gt_i32_e64 s[20:21], s29, v18
	v_cmp_gt_i32_e64 s[22:23], s29, v19
	s_nop 0
	;; [unrolled: 8-line block ×5, first 2 shown]
	v_cndmask_b32_e64 v18, v16, v36, s[8:9]
	v_cndmask_b32_e64 v19, v16, v37, s[10:11]
	v_max3_f32 v17, v17, v18, v19
	v_or_b32_e32 v18, 50, v56
	v_or_b32_e32 v19, 51, v56
	v_cmp_gt_i32_e32 vcc, s29, v18
	v_cmp_gt_i32_e64 s[6:7], s29, v19
	s_nop 0
	v_cndmask_b32_e32 v18, v16, v34, vcc
	v_cndmask_b32_e64 v16, v16, v35, s[6:7]
	v_max3_f32 v16, v17, v18, v16
	v_mbcnt_lo_u32_b32 v17, -1, 0
	v_mbcnt_hi_u32_b32 v17, -1, v17
	v_and_b32_e32 v18, 64, v17
	v_add_u32_e32 v18, 64, v18
	v_xor_b32_e32 v19, 32, v17
	v_cmp_lt_i32_e64 s[40:41], v19, v18
	s_nop 1
	v_cndmask_b32_e64 v19, v17, v19, s[40:41]
	v_lshlrev_b32_e32 v56, 2, v19
	ds_bpermute_b32 v19, v56, v16
	s_waitcnt vmcnt(5)
	v_mad_i64_i32 v[14:15], s[40:41], v59, s45, 0
	v_lshl_add_u64 v[14:15], v[14:15], 1, v[10:11]
	s_waitcnt lgkmcnt(0)
	v_max_f32_e32 v19, v19, v19
	v_max_f32_e32 v16, v16, v19
	v_xor_b32_e32 v19, 16, v17
	v_cmp_lt_i32_e64 s[40:41], v19, v18
	s_nop 1
	v_cndmask_b32_e64 v17, v17, v19, s[40:41]
	v_lshlrev_b32_e32 v57, 2, v17
	ds_bpermute_b32 v17, v57, v16
	global_load_dwordx4 v[22:25], v[14:15], off
	global_load_dwordx4 v[18:21], v[14:15], off offset:16
	s_waitcnt vmcnt(6)
	v_mad_i64_i32 v[14:15], s[40:41], v60, s45, 0
	v_lshl_add_u64 v[10:11], v[14:15], 1, v[10:11]
	s_waitcnt lgkmcnt(0)
	v_max_f32_e32 v14, v17, v17
	v_max_f32_e32 v55, v16, v14
	v_sub_f32_e32 v12, v12, v55
	v_mul_f32_e32 v12, 0x3fb8aa3b, v12
	v_exp_f32_e32 v50, v12
	v_sub_f32_e32 v12, v13, v55
	v_mul_f32_e32 v12, 0x3fb8aa3b, v12
	v_exp_f32_e32 v51, v12
	global_load_dwordx4 v[14:17], v[10:11], off
	s_nop 0
	global_load_dwordx4 v[10:13], v[10:11], off offset:16
	v_sub_f32_e32 v52, v52, v55
	v_mul_f32_e32 v52, 0x3fb8aa3b, v52
	v_sub_f32_e32 v53, v53, v55
	v_exp_f32_e32 v52, v52
	v_mul_f32_e32 v53, 0x3fb8aa3b, v53
	v_sub_f32_e32 v48, v48, v55
	v_exp_f32_e32 v53, v53
	v_mul_f32_e32 v48, 0x3fb8aa3b, v48
	v_sub_f32_e32 v49, v49, v55
	v_cndmask_b32_e64 v50, 0, v50, s[4:5]
	v_exp_f32_e32 v48, v48
	v_mul_f32_e32 v49, 0x3fb8aa3b, v49
	v_sub_f32_e32 v46, v46, v55
	v_add_f32_e32 v58, 0, v50
	v_cndmask_b32_e64 v51, 0, v51, s[34:35]
	v_exp_f32_e32 v49, v49
	v_mul_f32_e32 v46, 0x3fb8aa3b, v46
	v_sub_f32_e32 v47, v47, v55
	v_add_f32_e32 v58, v58, v51
	;; [unrolled: 5-line block ×10, first 2 shown]
	v_cndmask_b32_e64 v38, 0, v38, s[12:13]
	v_exp_f32_e32 v34, v34
	v_mul_f32_e32 v35, 0x3fb8aa3b, v35
	v_add_f32_e32 v58, v58, v38
	v_cndmask_b32_e64 v39, 0, v39, s[14:15]
	v_exp_f32_e32 v35, v35
	v_add_f32_e32 v58, v58, v39
	v_cndmask_b32_e64 v36, 0, v36, s[8:9]
	v_add_f32_e32 v58, v58, v36
	v_cndmask_b32_e64 v37, 0, v37, s[10:11]
	v_add_f32_e32 v58, v58, v37
	v_cndmask_b32_e32 v34, 0, v34, vcc
	v_add_f32_e32 v58, v58, v34
	v_cndmask_b32_e64 v35, 0, v35, s[6:7]
	v_add_f32_e32 v58, v58, v35
	ds_bpermute_b32 v56, v56, v58
	s_load_dword s7, s[0:1], 0x98
	v_cmp_gt_u32_e32 vcc, 16, v45
	v_lshlrev_b32_e32 v45, 2, v44
	s_waitcnt lgkmcnt(0)
	v_add_f32_e32 v56, v58, v56
	ds_bpermute_b32 v57, v57, v56
	s_barrier
	s_waitcnt lgkmcnt(0)
	s_and_saveexec_b64 s[4:5], vcc
	s_cbranch_execz .LBB165_17
; %bb.16:
	v_add_f32_e32 v56, v56, v57
	v_lshl_or_b32 v57, v1, 6, v45
	ds_write2st64_b32 v57, v55, v56 offset1:1
.LBB165_17:
	s_or_b64 exec, exec, s[4:5]
	s_load_dword s6, s[0:1], 0x94
	s_waitcnt lgkmcnt(0)
	s_barrier
	ds_read2_b32 v[56:57], v45 offset1:16
	ds_read2_b32 v[58:59], v45 offset0:32 offset1:48
	ds_read2_b32 v[60:61], v45 offset0:64 offset1:80
	;; [unrolled: 1-line block ×3, first 2 shown]
	s_waitcnt lgkmcnt(0)
	v_max3_f32 v55, v56, s33, v57
	v_max3_f32 v55, v55, v58, v59
	v_sub_f32_e32 v56, v56, v55
	v_mul_f32_e32 v56, 0x3fb8aa3b, v56
	v_exp_f32_e32 v64, v56
	v_sub_f32_e32 v56, v57, v55
	v_mul_f32_e32 v56, 0x3fb8aa3b, v56
	v_exp_f32_e32 v57, v56
	v_sub_f32_e32 v56, v58, v55
	v_mul_f32_e32 v56, 0x3fb8aa3b, v56
	v_sub_f32_e32 v45, v59, v55
	v_exp_f32_e32 v58, v56
	v_mul_f32_e32 v45, 0x3fb8aa3b, v45
	v_exp_f32_e32 v45, v45
	v_fma_f32 v56, v64, v60, 0
	v_fmac_f32_e32 v56, v57, v61
	v_fmac_f32_e32 v56, v58, v62
	;; [unrolled: 1-line block ×3, first 2 shown]
	v_add_f32_e32 v59, 0x358637bd, v56
	v_div_scale_f32 v60, s[4:5], v59, v59, 1.0
	v_rcp_f32_e32 v61, v60
	s_barrier
	s_mul_i32 s7, s7, 14
	v_fma_f32 v62, -v60, v61, 1.0
	v_fmac_f32_e32 v61, v62, v61
	v_div_scale_f32 v62, vcc, 1.0, v59, 1.0
	v_mul_f32_e32 v63, v62, v61
	v_fma_f32 v65, -v60, v63, v62
	v_fmac_f32_e32 v63, v65, v61
	v_fma_f32 v60, -v60, v63, v62
	v_div_fmas_f32 v60, v60, v61, v63
	v_cmp_eq_u32_e32 vcc, 1, v1
	v_div_fixup_f32 v59, v60, v59, 1.0
	s_nop 0
	v_cndmask_b32_e32 v57, v64, v57, vcc
	v_cmp_eq_u32_e32 vcc, 2, v1
	s_nop 1
	v_cndmask_b32_e32 v57, v57, v58, vcc
	v_cmp_eq_u32_e32 vcc, 3, v1
	v_lshlrev_b32_e32 v1, 11, v1
	s_nop 0
	v_cndmask_b32_e32 v45, v57, v45, vcc
	v_mul_f32_e32 v58, v45, v59
	v_pk_mul_f32 v[52:53], v[58:59], v[52:53] op_sel_hi:[0,1]
	v_pk_mul_f32 v[50:51], v[58:59], v[50:51] op_sel_hi:[0,1]
	v_cvt_f16_f32_e32 v45, v50
	v_cvt_f16_f32_e32 v50, v51
	;; [unrolled: 1-line block ×4, first 2 shown]
	v_pk_mul_f32 v[46:47], v[58:59], v[46:47] op_sel_hi:[0,1]
	v_pk_mul_f32 v[48:49], v[58:59], v[48:49] op_sel_hi:[0,1]
	v_cvt_f16_f32_e32 v48, v48
	v_pack_b32_f16 v53, v51, v53
	v_cvt_f16_f32_e32 v49, v49
	v_cvt_f16_f32_e32 v51, v46
	;; [unrolled: 1-line block ×3, first 2 shown]
	v_pack_b32_f16 v52, v45, v50
	v_lshlrev_b32_e32 v45, 3, v54
	v_lshlrev_b32_e32 v50, 5, v44
	v_or3_b32 v1, v1, v50, v45
	v_pack_b32_f16 v46, v48, v49
	v_pack_b32_f16 v47, v51, v47
	v_pk_mul_f32 v[38:39], v[58:59], v[38:39] op_sel_hi:[0,1]
	v_pk_mul_f32 v[40:41], v[58:59], v[40:41] op_sel_hi:[0,1]
	;; [unrolled: 1-line block ×4, first 2 shown]
	ds_write2st64_b64 v1, v[52:53], v[46:47] offset1:1
	v_cvt_f16_f32_e32 v40, v40
	v_cvt_f16_f32_e32 v41, v41
	;; [unrolled: 1-line block ×8, first 2 shown]
	v_pack_b32_f16 v34, v40, v41
	v_pack_b32_f16 v35, v38, v39
	;; [unrolled: 1-line block ×4, first 2 shown]
	v_cmp_gt_u32_e32 vcc, 14, v0
	ds_write2st64_b64 v1, v[34:35], v[36:37] offset0:2 offset1:3
	s_and_saveexec_b64 s[4:5], vcc
	s_cbranch_execz .LBB165_19
; %bb.18:
	s_mov_b32 s43, 0
	v_mov_b32_e32 v45, 0
	v_lshl_add_u64 v[34:35], s[42:43], 0, v[44:45]
	v_mov_b32_e32 v36, s7
	v_mad_u64_u32 v[34:35], s[12:13], s2, v36, v[34:35]
	s_mul_i32 s3, s3, s7
	v_mov_b32_e32 v44, s28
	s_load_dwordx4 s[8:11], s[0:1], 0x58
	v_add_u32_e32 v37, s3, v35
	v_mad_u64_u32 v[34:35], s[12:13], v34, s6, v[44:45]
	v_mov_b32_e32 v36, v35
	v_mad_u64_u32 v[36:37], s[12:13], v37, s6, v[36:37]
	v_mov_b32_e32 v35, v36
	v_lshlrev_b64 v[34:35], 2, v[34:35]
	s_waitcnt lgkmcnt(0)
	v_lshl_add_u64 v[36:37], s[10:11], 0, v[34:35]
	v_lshl_add_u64 v[34:35], s[8:9], 0, v[34:35]
	global_store_dword v[36:37], v55, off
	global_store_dword v[34:35], v56, off
.LBB165_19:
	s_or_b64 exec, exec, s[4:5]
	v_lshl_or_b32 v48, v54, 9, v50
	s_waitcnt lgkmcnt(0)
	s_barrier
	ds_read_b128 v[34:37], v48
	ds_read_b128 v[38:41], v48 offset:16
	s_waitcnt vmcnt(7) lgkmcnt(1)
	v_mfma_f32_16x16x16_f16 v[44:47], v[6:7], v[34:35], 0
	v_cmp_gt_u32_e32 vcc, 64, v0
	s_mov_b32 s3, 0
	s_and_b64 s[4:5], vcc, s[30:31]
	v_mfma_f32_16x16x16_f16 v[6:9], v[8:9], v[36:37], v[44:47]
	s_waitcnt vmcnt(6) lgkmcnt(0)
	v_mfma_f32_16x16x16_f16 v[6:9], v[2:3], v[38:39], v[6:9]
	v_mfma_f32_16x16x16_f16 v[2:5], v[4:5], v[40:41], v[6:9]
	s_nop 5
	ds_read_b128 v[6:9], v48 offset:2048
	ds_read_b128 v[34:37], v48 offset:2064
	s_waitcnt vmcnt(5) lgkmcnt(1)
	v_mfma_f32_16x16x16_f16 v[2:5], v[30:31], v[6:7], v[2:5]
	v_mfma_f32_16x16x16_f16 v[2:5], v[32:33], v[8:9], v[2:5]
	s_waitcnt vmcnt(4) lgkmcnt(0)
	v_mfma_f32_16x16x16_f16 v[2:5], v[26:27], v[34:35], v[2:5]
	v_mfma_f32_16x16x16_f16 v[2:5], v[28:29], v[36:37], v[2:5]
	ds_read_b128 v[6:9], v48 offset:4096
	ds_read_b128 v[26:29], v48 offset:4112
	s_waitcnt vmcnt(3) lgkmcnt(1)
	v_mfma_f32_16x16x16_f16 v[2:5], v[22:23], v[6:7], v[2:5]
	v_mfma_f32_16x16x16_f16 v[2:5], v[24:25], v[8:9], v[2:5]
	s_waitcnt vmcnt(2) lgkmcnt(0)
	v_mfma_f32_16x16x16_f16 v[2:5], v[18:19], v[26:27], v[2:5]
	v_mfma_f32_16x16x16_f16 v[2:5], v[20:21], v[28:29], v[2:5]
	ds_read_b128 v[6:9], v48 offset:6144
	ds_read_b128 v[18:21], v48 offset:6160
	s_waitcnt lgkmcnt(0)
	s_barrier
	s_waitcnt vmcnt(1)
	v_mfma_f32_16x16x16_f16 v[2:5], v[14:15], v[6:7], v[2:5]
	v_mfma_f32_16x16x16_f16 v[2:5], v[16:17], v[8:9], v[2:5]
	s_waitcnt vmcnt(0)
	v_mfma_f32_16x16x16_f16 v[2:5], v[10:11], v[18:19], v[2:5]
	v_mfma_f32_16x16x16_f16 v[2:5], v[12:13], v[20:21], v[2:5]
	s_nop 6
	v_cvt_f16_f32_e32 v2, v2
	v_cvt_f16_f32_e32 v3, v3
	v_cvt_f16_f32_e32 v4, v4
	v_cvt_f16_f32_e32 v5, v5
	v_pack_b32_f16 v2, v2, v3
	v_pack_b32_f16 v3, v4, v5
	ds_write_b64 v1, v[2:3]
	s_waitcnt lgkmcnt(0)
	s_barrier
	s_and_saveexec_b64 s[8:9], s[4:5]
	s_cbranch_execz .LBB165_22
; %bb.20:
	s_load_dwordx2 s[4:5], s[0:1], 0x68
	s_lshl_b32 s0, s6, 6
	s_mul_i32 s1, s7, s2
	s_mul_hi_u32 s7, s1, s0
	s_mul_i32 s6, s1, s0
	v_lshlrev_b32_e32 v1, 10, v0
	v_lshlrev_b32_e32 v0, 4, v0
	s_lshl_b64 s[6:7], s[6:7], 1
	v_and_b32_e32 v1, 0x1800, v1
	v_lshlrev_b32_e32 v2, 5, v54
	v_and_b32_e32 v0, 16, v0
	s_waitcnt lgkmcnt(0)
	s_add_u32 s1, s4, s6
	v_or3_b32 v2, v1, v2, v0
	s_addc_u32 s4, s5, s7
	s_lshl_b32 s2, s28, 6
	ds_read_b128 v[4:7], v2 offset:256
	s_lshl_b64 s[2:3], s[2:3], 1
	ds_read_b128 v[8:11], v2 offset:128
	ds_read_b128 v[12:15], v2
	s_add_u32 s2, s1, s2
	s_addc_u32 s3, s4, s3
	v_add_u32_e32 v18, s42, v54
	v_lshl_add_u64 v[0:1], v[42:43], 1, s[2:3]
	v_mad_u64_u32 v[16:17], s[2:3], v18, s0, 0
	v_lshl_add_u64 v[16:17], v[16:17], 1, v[0:1]
	s_waitcnt lgkmcnt(0)
	global_store_dwordx4 v[16:17], v[12:15], off
	v_or_b32_e32 v3, 12, v54
	v_cmp_gt_u32_e32 vcc, 14, v3
	v_add_u32_e32 v12, 4, v18
	v_mad_u64_u32 v[12:13], s[2:3], v12, s0, 0
	v_lshl_add_u64 v[12:13], v[12:13], 1, v[0:1]
	global_store_dwordx4 v[12:13], v[8:11], off
	s_nop 1
	v_add_u32_e32 v8, 8, v18
	v_mad_u64_u32 v[8:9], s[2:3], v8, s0, 0
	v_lshl_add_u64 v[8:9], v[8:9], 1, v[0:1]
	global_store_dwordx4 v[8:9], v[4:7], off
	s_and_b64 exec, exec, vcc
	s_cbranch_execz .LBB165_22
; %bb.21:
	ds_read_b128 v[4:7], v2 offset:384
	v_add_u32_e32 v2, s42, v3
	v_mad_u64_u32 v[2:3], s[0:1], v2, s0, 0
	v_lshl_add_u64 v[0:1], v[2:3], 1, v[0:1]
	s_waitcnt lgkmcnt(0)
	global_store_dwordx4 v[0:1], v[4:7], off
.LBB165_22:
	s_endpgm
	.section	.rodata,"a",@progbits
	.p2align	6, 0x0
	.amdhsa_kernel _Z39paged_attention_ll4mi_QKV_mfma16_kernelIDF16_DF16_LN4vllm18Fp8KVCacheDataTypeE0EDF16_Li32ELi64ELi256ELb1ELi14EEvPKT_PKT0_S7_ifPKiS9_S9_iPKfiiiPfSC_PS2_PT2_iSB_SB_
		.amdhsa_group_segment_fixed_size 8192
		.amdhsa_private_segment_fixed_size 0
		.amdhsa_kernarg_size 400
		.amdhsa_user_sgpr_count 2
		.amdhsa_user_sgpr_dispatch_ptr 0
		.amdhsa_user_sgpr_queue_ptr 0
		.amdhsa_user_sgpr_kernarg_segment_ptr 1
		.amdhsa_user_sgpr_dispatch_id 0
		.amdhsa_user_sgpr_kernarg_preload_length 0
		.amdhsa_user_sgpr_kernarg_preload_offset 0
		.amdhsa_user_sgpr_private_segment_size 0
		.amdhsa_uses_dynamic_stack 0
		.amdhsa_enable_private_segment 0
		.amdhsa_system_sgpr_workgroup_id_x 1
		.amdhsa_system_sgpr_workgroup_id_y 1
		.amdhsa_system_sgpr_workgroup_id_z 1
		.amdhsa_system_sgpr_workgroup_info 0
		.amdhsa_system_vgpr_workitem_id 0
		.amdhsa_next_free_vgpr 73
		.amdhsa_next_free_sgpr 48
		.amdhsa_accum_offset 76
		.amdhsa_reserve_vcc 1
		.amdhsa_float_round_mode_32 0
		.amdhsa_float_round_mode_16_64 0
		.amdhsa_float_denorm_mode_32 3
		.amdhsa_float_denorm_mode_16_64 3
		.amdhsa_dx10_clamp 1
		.amdhsa_ieee_mode 1
		.amdhsa_fp16_overflow 0
		.amdhsa_tg_split 0
		.amdhsa_exception_fp_ieee_invalid_op 0
		.amdhsa_exception_fp_denorm_src 0
		.amdhsa_exception_fp_ieee_div_zero 0
		.amdhsa_exception_fp_ieee_overflow 0
		.amdhsa_exception_fp_ieee_underflow 0
		.amdhsa_exception_fp_ieee_inexact 0
		.amdhsa_exception_int_div_zero 0
	.end_amdhsa_kernel
	.section	.text._Z39paged_attention_ll4mi_QKV_mfma16_kernelIDF16_DF16_LN4vllm18Fp8KVCacheDataTypeE0EDF16_Li32ELi64ELi256ELb1ELi14EEvPKT_PKT0_S7_ifPKiS9_S9_iPKfiiiPfSC_PS2_PT2_iSB_SB_,"axG",@progbits,_Z39paged_attention_ll4mi_QKV_mfma16_kernelIDF16_DF16_LN4vllm18Fp8KVCacheDataTypeE0EDF16_Li32ELi64ELi256ELb1ELi14EEvPKT_PKT0_S7_ifPKiS9_S9_iPKfiiiPfSC_PS2_PT2_iSB_SB_,comdat
.Lfunc_end165:
	.size	_Z39paged_attention_ll4mi_QKV_mfma16_kernelIDF16_DF16_LN4vllm18Fp8KVCacheDataTypeE0EDF16_Li32ELi64ELi256ELb1ELi14EEvPKT_PKT0_S7_ifPKiS9_S9_iPKfiiiPfSC_PS2_PT2_iSB_SB_, .Lfunc_end165-_Z39paged_attention_ll4mi_QKV_mfma16_kernelIDF16_DF16_LN4vllm18Fp8KVCacheDataTypeE0EDF16_Li32ELi64ELi256ELb1ELi14EEvPKT_PKT0_S7_ifPKiS9_S9_iPKfiiiPfSC_PS2_PT2_iSB_SB_
                                        ; -- End function
	.section	.AMDGPU.csdata,"",@progbits
; Kernel info:
; codeLenInByte = 4212
; NumSgprs: 54
; NumVgprs: 73
; NumAgprs: 0
; TotalNumVgprs: 73
; ScratchSize: 0
; MemoryBound: 0
; FloatMode: 240
; IeeeMode: 1
; LDSByteSize: 8192 bytes/workgroup (compile time only)
; SGPRBlocks: 6
; VGPRBlocks: 9
; NumSGPRsForWavesPerEU: 54
; NumVGPRsForWavesPerEU: 73
; AccumOffset: 76
; Occupancy: 6
; WaveLimiterHint : 1
; COMPUTE_PGM_RSRC2:SCRATCH_EN: 0
; COMPUTE_PGM_RSRC2:USER_SGPR: 2
; COMPUTE_PGM_RSRC2:TRAP_HANDLER: 0
; COMPUTE_PGM_RSRC2:TGID_X_EN: 1
; COMPUTE_PGM_RSRC2:TGID_Y_EN: 1
; COMPUTE_PGM_RSRC2:TGID_Z_EN: 1
; COMPUTE_PGM_RSRC2:TIDIG_COMP_CNT: 0
; COMPUTE_PGM_RSRC3_GFX90A:ACCUM_OFFSET: 18
; COMPUTE_PGM_RSRC3_GFX90A:TG_SPLIT: 0
	.section	.text._Z39paged_attention_ll4mi_QKV_mfma16_kernelIDF16_DF16_LN4vllm18Fp8KVCacheDataTypeE0EDF16_Li32ELi64ELi256ELb1ELi15EEvPKT_PKT0_S7_ifPKiS9_S9_iPKfiiiPfSC_PS2_PT2_iSB_SB_,"axG",@progbits,_Z39paged_attention_ll4mi_QKV_mfma16_kernelIDF16_DF16_LN4vllm18Fp8KVCacheDataTypeE0EDF16_Li32ELi64ELi256ELb1ELi15EEvPKT_PKT0_S7_ifPKiS9_S9_iPKfiiiPfSC_PS2_PT2_iSB_SB_,comdat
	.protected	_Z39paged_attention_ll4mi_QKV_mfma16_kernelIDF16_DF16_LN4vllm18Fp8KVCacheDataTypeE0EDF16_Li32ELi64ELi256ELb1ELi15EEvPKT_PKT0_S7_ifPKiS9_S9_iPKfiiiPfSC_PS2_PT2_iSB_SB_ ; -- Begin function _Z39paged_attention_ll4mi_QKV_mfma16_kernelIDF16_DF16_LN4vllm18Fp8KVCacheDataTypeE0EDF16_Li32ELi64ELi256ELb1ELi15EEvPKT_PKT0_S7_ifPKiS9_S9_iPKfiiiPfSC_PS2_PT2_iSB_SB_
	.globl	_Z39paged_attention_ll4mi_QKV_mfma16_kernelIDF16_DF16_LN4vllm18Fp8KVCacheDataTypeE0EDF16_Li32ELi64ELi256ELb1ELi15EEvPKT_PKT0_S7_ifPKiS9_S9_iPKfiiiPfSC_PS2_PT2_iSB_SB_
	.p2align	8
	.type	_Z39paged_attention_ll4mi_QKV_mfma16_kernelIDF16_DF16_LN4vllm18Fp8KVCacheDataTypeE0EDF16_Li32ELi64ELi256ELb1ELi15EEvPKT_PKT0_S7_ifPKiS9_S9_iPKfiiiPfSC_PS2_PT2_iSB_SB_,@function
_Z39paged_attention_ll4mi_QKV_mfma16_kernelIDF16_DF16_LN4vllm18Fp8KVCacheDataTypeE0EDF16_Li32ELi64ELi256ELb1ELi15EEvPKT_PKT0_S7_ifPKiS9_S9_iPKfiiiPfSC_PS2_PT2_iSB_SB_: ; @_Z39paged_attention_ll4mi_QKV_mfma16_kernelIDF16_DF16_LN4vllm18Fp8KVCacheDataTypeE0EDF16_Li32ELi64ELi256ELb1ELi15EEvPKT_PKT0_S7_ifPKiS9_S9_iPKfiiiPfSC_PS2_PT2_iSB_SB_
; %bb.0:
	s_load_dwordx2 s[6:7], s[0:1], 0x30
	s_mov_b32 s28, s3
	s_mov_b64 s[8:9], 0
	s_waitcnt lgkmcnt(0)
	s_cmp_lg_u64 s[6:7], 0
	s_cselect_b64 s[10:11], -1, 0
	s_and_b64 vcc, exec, s[10:11]
	s_cbranch_vccz .LBB166_7
; %bb.1:
	s_add_i32 s12, s2, 1
	s_mov_b32 s13, 0
	s_lshl_b64 s[14:15], s[12:13], 2
	s_add_u32 s14, s6, s14
	s_mov_b32 s3, s13
	s_addc_u32 s15, s7, s15
	s_lshl_b64 s[12:13], s[2:3], 2
	s_add_u32 s12, s6, s12
	s_addc_u32 s13, s7, s13
	s_load_dword s5, s[14:15], 0x0
	s_load_dword s16, s[12:13], 0x0
	s_waitcnt lgkmcnt(0)
	s_sub_i32 s5, s5, s16
	s_cmp_eq_u32 s5, 1
	s_cselect_b64 s[12:13], -1, 0
	s_andn2_b64 vcc, exec, s[8:9]
	s_cbranch_vccnz .LBB166_3
.LBB166_2:
	s_mov_b32 s3, 0
	s_mov_b64 s[12:13], -1
.LBB166_3:
	s_andn2_b64 vcc, exec, s[12:13]
	s_cbranch_vccnz .LBB166_22
; %bb.4:
	s_load_dwordx2 s[8:9], s[0:1], 0x28
	s_lshl_b64 s[12:13], s[2:3], 2
	s_waitcnt lgkmcnt(0)
	s_add_u32 s8, s8, s12
	s_addc_u32 s9, s9, s13
	s_load_dword s29, s[8:9], 0x0
	s_lshl_b32 s14, s28, 8
	s_waitcnt lgkmcnt(0)
	s_cmp_ge_i32 s14, s29
	s_cbranch_scc1 .LBB166_22
; %bb.5:
	s_load_dwordx2 s[8:9], s[0:1], 0x20
	s_load_dword s5, s[0:1], 0x38
	s_add_i32 s15, s29, 31
	s_ashr_i32 s16, s15, 31
	v_and_b32_e32 v1, 0xcf, v0
	s_lshr_b32 s16, s16, 27
	v_add_u32_e32 v1, s14, v1
	s_add_i32 s15, s15, s16
	v_ashrrev_i32_e32 v2, 31, v1
	s_ashr_i32 s15, s15, 5
	v_lshrrev_b32_e32 v6, 27, v2
	s_add_i32 s15, s15, -1
	s_waitcnt lgkmcnt(0)
	s_mul_i32 s16, s2, s5
	s_mov_b32 s17, 0
	v_add_u32_e32 v2, v1, v6
	s_lshl_b64 s[16:17], s[16:17], 2
	v_ashrrev_i32_e32 v2, 5, v2
	v_mov_b32_e32 v7, s15
	v_cmp_gt_i32_e32 vcc, s29, v1
	s_add_u32 s8, s8, s16
	s_addc_u32 s9, s9, s17
	v_cndmask_b32_e32 v2, v7, v2, vcc
	v_ashrrev_i32_e32 v3, 31, v2
	v_lshl_add_u64 v[4:5], v[2:3], 2, s[8:9]
	v_or_b32_e32 v2, 16, v1
	v_add_u32_e32 v3, v2, v6
	v_ashrrev_i32_e32 v3, 5, v3
	v_cmp_gt_i32_e32 vcc, s29, v2
	s_nop 1
	v_cndmask_b32_e32 v2, v7, v3, vcc
	v_ashrrev_i32_e32 v3, 31, v2
	v_lshl_add_u64 v[8:9], v[2:3], 2, s[8:9]
	v_or_b32_e32 v2, 32, v1
	v_add_u32_e32 v3, v2, v6
	v_ashrrev_i32_e32 v3, 5, v3
	v_cmp_gt_i32_e32 vcc, s29, v2
	v_or_b32_e32 v1, 48, v1
	s_nop 0
	v_cndmask_b32_e32 v2, v7, v3, vcc
	v_ashrrev_i32_e32 v3, 31, v2
	v_lshl_add_u64 v[12:13], v[2:3], 2, s[8:9]
	v_add_u32_e32 v2, v1, v6
	v_ashrrev_i32_e32 v2, 5, v2
	v_cmp_gt_i32_e32 vcc, s29, v1
	s_nop 1
	v_cndmask_b32_e32 v2, v7, v2, vcc
	v_ashrrev_i32_e32 v3, 31, v2
	v_lshl_add_u64 v[16:17], v[2:3], 2, s[8:9]
	global_load_dword v2, v[4:5], off
	global_load_dword v6, v[8:9], off
	;; [unrolled: 1-line block ×4, first 2 shown]
	s_andn2_b64 vcc, exec, s[10:11]
	s_cbranch_vccnz .LBB166_8
; %bb.6:
	s_add_u32 s6, s6, s12
	s_addc_u32 s7, s7, s13
	s_load_dword s5, s[6:7], 0x0
	s_branch .LBB166_9
.LBB166_7:
	s_mov_b64 s[12:13], 0
	s_branch .LBB166_2
.LBB166_8:
	s_mov_b32 s5, s2
.LBB166_9:
	s_load_dwordx2 s[10:11], s[0:1], 0x8
	s_load_dwordx4 s[44:47], s[0:1], 0x48
	v_lshrrev_b32_e32 v1, 6, v0
	v_bfe_u32 v54, v0, 4, 2
	v_lshl_or_b32 v3, v1, 2, v54
	v_and_b32_e32 v44, 15, v0
	v_cmp_lt_u32_e32 vcc, 14, v3
	v_cmp_lt_u32_e64 s[6:7], 7, v44
	v_lshlrev_b32_e32 v42, 3, v44
	v_cmp_gt_u32_e64 s[30:31], 8, v44
	s_or_b64 s[6:7], s[6:7], vcc
	s_and_saveexec_b64 s[12:13], s[6:7]
	s_xor_b64 s[6:7], exec, s[12:13]
; %bb.10:
	v_mov_b32_e32 v43, 0
                                        ; implicit-def: $vgpr3
; %bb.11:
	s_or_saveexec_b64 s[12:13], s[6:7]
	s_load_dwordx2 s[6:7], s[0:1], 0x10
	s_mul_i32 s42, s4, 15
	s_xor_b64 exec, exec, s[12:13]
	s_cbranch_execz .LBB166_13
; %bb.12:
	s_load_dwordx2 s[16:17], s[0:1], 0x0
	s_waitcnt lgkmcnt(0)
	s_ashr_i32 s18, s44, 31
	s_mul_hi_u32 s19, s5, s44
	s_mul_i32 s18, s5, s18
	s_add_i32 s19, s19, s18
	s_mul_i32 s18, s5, s44
	s_lshl_b64 s[18:19], s[18:19], 1
	s_add_u32 s16, s16, s18
	v_add_lshl_u32 v4, v3, s42, 6
	s_addc_u32 s17, s17, s19
	v_ashrrev_i32_e32 v5, 31, v4
	v_mov_b32_e32 v43, 0
	v_lshl_add_u64 v[4:5], v[4:5], 1, s[16:17]
	v_lshlrev_b32_e32 v8, 1, v42
	v_mov_b32_e32 v9, v43
	v_lshl_add_u64 v[4:5], v[4:5], 0, v[8:9]
	global_load_dwordx4 v[16:19], v[4:5], off
	v_and_b32_e32 v4, 3, v0
	v_lshlrev_b32_e32 v5, 9, v44
	v_lshlrev_b32_e32 v3, 5, v3
	;; [unrolled: 1-line block ×3, first 2 shown]
	v_and_b32_e32 v5, 0x1800, v5
	v_or3_b32 v3, v5, v4, v3
	s_waitcnt vmcnt(0)
	ds_write_b128 v3, v[16:19]
.LBB166_13:
	s_or_b64 exec, exec, s[12:13]
	s_waitcnt lgkmcnt(0)
	s_mov_b32 s5, 0
	s_mul_i32 s4, s4, s46
	s_lshl_b64 s[4:5], s[4:5], 1
	s_add_u32 s10, s10, s4
	s_addc_u32 s11, s11, s5
	s_waitcnt vmcnt(3)
	v_mad_i64_i32 v[2:3], s[12:13], v2, s45, 0
	v_lshl_add_u64 v[2:3], v[2:3], 1, s[10:11]
	v_lshlrev_b64 v[12:13], 1, v[42:43]
	v_mov_b32_e32 v47, 0
	v_lshlrev_b32_e32 v46, 9, v54
	v_lshl_add_u64 v[2:3], v[2:3], 0, v[12:13]
	v_lshl_add_u64 v[8:9], v[2:3], 0, v[46:47]
	s_barrier
	global_load_dwordx4 v[22:25], v[8:9], off
	global_load_dwordx4 v[2:5], v[8:9], off offset:2048
	s_waitcnt vmcnt(4)
	v_mad_i64_i32 v[6:7], s[12:13], v6, s45, 0
	v_mov_b32_e32 v8, 0x100
	v_lshl_add_u64 v[6:7], v[6:7], 1, s[10:11]
	v_lshl_or_b32 v16, v44, 4, v8
	v_mov_b32_e32 v17, v47
	s_waitcnt vmcnt(3)
	v_mad_i64_i32 v[10:11], s[12:13], v10, s45, 0
	v_lshl_add_u64 v[6:7], v[6:7], 0, v[16:17]
	v_lshl_add_u64 v[10:11], v[10:11], 1, s[10:11]
	s_waitcnt vmcnt(2)
	v_mad_i64_i32 v[14:15], s[12:13], v14, s45, 0
	v_lshl_add_u64 v[18:19], v[6:7], 0, v[46:47]
	v_lshl_add_u64 v[10:11], v[10:11], 0, v[12:13]
	;; [unrolled: 1-line block ×3, first 2 shown]
	global_load_dwordx4 v[26:29], v[18:19], off
	global_load_dwordx4 v[6:9], v[18:19], off offset:2048
	v_lshl_add_u64 v[18:19], v[10:11], 0, v[46:47]
	v_lshl_add_u64 v[14:15], v[14:15], 0, v[16:17]
	global_load_dwordx4 v[30:33], v[18:19], off
	global_load_dwordx4 v[10:13], v[18:19], off offset:2048
	v_lshl_add_u64 v[18:19], v[14:15], 0, v[46:47]
	global_load_dwordx4 v[34:37], v[18:19], off
	global_load_dwordx4 v[14:17], v[18:19], off offset:2048
	v_cmp_ne_u32_e32 vcc, 15, v44
	v_and_b32_e32 v45, 63, v0
	v_mov_b32_e32 v50, 0
	v_cndmask_b32_e32 v18, 0, v44, vcc
	v_lshl_or_b32 v18, v18, 5, v46
	ds_read_b128 v[38:41], v18
	ds_read_b128 v[18:21], v18 offset:2048
	s_and_saveexec_b64 s[10:11], vcc
	s_cbranch_execz .LBB166_15
; %bb.14:
	s_load_dwordx2 s[12:13], s[0:1], 0x40
	v_add_u32_e32 v48, s42, v44
	v_ashrrev_i32_e32 v49, 31, v48
	s_waitcnt lgkmcnt(0)
	v_lshl_add_u64 v[48:49], v[48:49], 2, s[12:13]
	global_load_dword v50, v[48:49], off
.LBB166_15:
	s_or_b64 exec, exec, s[10:11]
	s_ashr_i32 s10, s14, 31
	v_and_or_b32 v46, v0, 48, s14
	s_lshr_b32 s11, s10, 27
	v_add_u32_e32 v48, s11, v46
	v_or_b32_e32 v52, 64, v46
	v_ashrrev_i32_e32 v48, 5, v48
	v_mov_b32_e32 v51, s15
	v_cmp_gt_i32_e32 vcc, s29, v46
	v_add_u32_e32 v53, s11, v52
	s_waitcnt vmcnt(7) lgkmcnt(1)
	v_mfma_f32_16x16x16_f16 v[56:59], v[22:23], v[38:39], 0
	v_cndmask_b32_e32 v48, v51, v48, vcc
	v_ashrrev_i32_e32 v22, 5, v53
	v_cmp_gt_i32_e32 vcc, s29, v52
	v_ashrrev_i32_e32 v49, 31, v48
	v_lshl_add_u64 v[48:49], v[48:49], 2, s[8:9]
	v_cndmask_b32_e32 v22, v51, v22, vcc
	v_ashrrev_i32_e32 v23, 31, v22
	v_lshl_add_u64 v[22:23], v[22:23], 2, s[8:9]
	global_load_dword v55, v[48:49], off
	global_load_dword v72, v[22:23], off
	s_waitcnt vmcnt(3)
	v_mfma_f32_16x16x16_f16 v[68:71], v[34:35], v[38:39], 0
	v_or_b32_e32 v48, 0xc0, v46
	v_add_u32_e32 v52, s11, v48
	s_add_u32 s4, s6, s4
	v_mfma_f32_16x16x16_f16 v[60:63], v[26:27], v[38:39], 0
	s_addc_u32 s5, s7, s5
	s_load_dword s10, s[0:1], 0x1c
	s_mov_b32 s33, 0xff7fffff
	v_mfma_f32_16x16x16_f16 v[64:67], v[30:31], v[38:39], 0
	v_and_b32_e32 v31, 0xc0, v0
	v_or_b32_e32 v38, 0x80, v46
	v_add_u32_e32 v34, s14, v31
	v_mfma_f32_16x16x16_f16 v[22:25], v[24:25], v[40:41], v[56:59]
	v_and_b32_e32 v30, 16, v0
	v_add_u32_e32 v49, s11, v38
	v_lshlrev_b32_e32 v46, 1, v30
	v_lshl_or_b32 v56, v54, 2, v34
	v_mfma_f32_16x16x16_f16 v[34:37], v[36:37], v[40:41], v[68:71]
	v_cmp_gt_i32_e32 vcc, s29, v38
	v_lshlrev_b32_e32 v39, 6, v44
	v_or_b32_e32 v57, 1, v56
	v_mfma_f32_16x16x16_f16 v[26:29], v[28:29], v[40:41], v[60:63]
	v_cmp_gt_i32_e64 s[34:35], s29, v57
	v_mfma_f32_16x16x16_f16 v[30:33], v[32:33], v[40:41], v[64:67]
	v_ashrrev_i32_e32 v40, 5, v49
	v_ashrrev_i32_e32 v41, 5, v52
	v_cndmask_b32_e32 v38, v51, v40, vcc
	v_cmp_gt_i32_e32 vcc, s29, v48
	s_waitcnt lgkmcnt(0)
	v_mfma_f32_16x16x16_f16 v[22:25], v[2:3], v[18:19], v[22:25]
	v_lshl_add_u64 v[2:3], s[4:5], 0, v[46:47]
	v_cndmask_b32_e32 v40, v51, v41, vcc
	v_lshl_or_b32 v46, v1, 10, v39
	v_ashrrev_i32_e32 v39, 31, v38
	v_ashrrev_i32_e32 v41, 31, v40
	s_waitcnt vmcnt(2)
	v_mfma_f32_16x16x16_f16 v[34:37], v[14:15], v[18:19], v[34:37]
	v_lshl_add_u64 v[14:15], v[38:39], 2, s[8:9]
	v_subrev_u32_e32 v51, s29, v57
	v_cvt_f32_i32_e32 v58, v51
	v_mfma_f32_16x16x16_f16 v[26:29], v[6:7], v[18:19], v[26:29]
	v_mfma_f32_16x16x16_f16 v[30:33], v[10:11], v[18:19], v[30:33]
	v_lshl_add_u64 v[18:19], v[40:41], 2, s[8:9]
	global_load_dword v59, v[14:15], off
	global_load_dword v60, v[18:19], off
	v_lshl_add_u64 v[10:11], v[2:3], 0, v[46:47]
	v_mfma_f32_16x16x16_f16 v[2:5], v[4:5], v[20:21], v[22:25]
	v_add_u32_e32 v46, 1, v51
	v_add_u32_e32 v47, 3, v51
	;; [unrolled: 1-line block ×3, first 2 shown]
	v_mfma_f32_16x16x16_f16 v[14:17], v[16:17], v[20:21], v[34:37]
	v_add_u32_e32 v22, 2, v51
	s_nop 1
	v_pk_mul_f32 v[52:53], s[10:11], v[4:5] op_sel_hi:[0,1]
	v_cvt_f32_i32_e32 v18, v18
	v_mfma_f32_16x16x16_f16 v[6:9], v[8:9], v[20:21], v[26:29]
	v_add_u32_e32 v19, 19, v51
	v_pk_mul_f32 v[34:35], s[10:11], v[16:17] op_sel_hi:[0,1]
	v_pk_mul_f32 v[36:37], s[10:11], v[14:15] op_sel_hi:[0,1]
	v_cvt_f32_i32_e32 v27, v22
	v_mfma_f32_16x16x16_f16 v[22:25], v[12:13], v[20:21], v[30:33]
	v_pk_mul_f32 v[12:13], s[10:11], v[2:3] op_sel_hi:[0,1]
	v_cvt_f32_i32_e32 v26, v46
	v_cvt_f32_i32_e32 v28, v47
	v_pk_mul_f32 v[46:47], s[10:11], v[8:9] op_sel_hi:[0,1]
	v_pk_mul_f32 v[48:49], s[10:11], v[6:7] op_sel_hi:[0,1]
	v_cvt_f32_i32_e32 v19, v19
	v_fma_f32 v46, v50, v18, v46
	v_add_u32_e32 v18, 34, v51
	v_cvt_f32_i32_e32 v18, v18
	v_fmac_f32_e32 v47, v50, v19
	v_add_u32_e32 v19, 35, v51
	v_cvt_f32_i32_e32 v19, v19
	v_pk_mul_f32 v[40:41], s[10:11], v[22:23] op_sel_hi:[0,1]
	v_pk_mul_f32 v[38:39], s[10:11], v[24:25] op_sel_hi:[0,1]
	v_fma_f32 v38, v50, v18, v38
	v_add_u32_e32 v18, 50, v51
	s_waitcnt vmcnt(3)
	v_mad_i64_i32 v[2:3], s[4:5], v55, s45, 0
	s_waitcnt vmcnt(2)
	v_mad_i64_i32 v[4:5], s[4:5], v72, s45, 0
	v_lshl_add_u64 v[16:17], v[2:3], 1, v[10:11]
	v_lshl_add_u64 v[14:15], v[4:5], 1, v[10:11]
	global_load_dwordx4 v[6:9], v[16:17], off
	global_load_dwordx4 v[2:5], v[16:17], off offset:16
	v_add_u32_e32 v16, 16, v51
	v_cvt_f32_i32_e32 v16, v16
	v_add_u32_e32 v17, 17, v51
	v_cvt_f32_i32_e32 v17, v17
	v_fmac_f32_e32 v39, v50, v19
	v_fma_f32 v48, v50, v16, v48
	v_add_u32_e32 v16, 32, v51
	v_fmac_f32_e32 v49, v50, v17
	v_cvt_f32_i32_e32 v16, v16
	v_add_u32_e32 v17, 33, v51
	v_cvt_f32_i32_e32 v17, v17
	v_cvt_f32_i32_e32 v18, v18
	v_fma_f32 v40, v50, v16, v40
	v_add_u32_e32 v16, 48, v51
	v_fmac_f32_e32 v41, v50, v17
	v_cvt_f32_i32_e32 v16, v16
	v_add_u32_e32 v17, 49, v51
	v_cvt_f32_i32_e32 v17, v17
	v_add_u32_e32 v19, 51, v51
	v_cvt_f32_i32_e32 v19, v19
	v_fma_f32 v12, v50, v58, v12
	v_fmac_f32_e32 v13, v50, v26
	v_fma_f32 v36, v50, v16, v36
	v_mov_b32_e32 v16, 0xff7fffff
	v_cmp_gt_i32_e64 s[4:5], s29, v56
	v_fmac_f32_e32 v37, v50, v17
	v_fma_f32 v34, v50, v18, v34
	v_cndmask_b32_e64 v17, v16, v12, s[4:5]
	v_cndmask_b32_e64 v18, v16, v13, s[34:35]
	v_fmac_f32_e32 v35, v50, v19
	v_max3_f32 v17, v17, s33, v18
	v_or_b32_e32 v18, 2, v56
	v_or_b32_e32 v19, 3, v56
	v_fma_f32 v52, v50, v27, v52
	v_fmac_f32_e32 v53, v50, v28
	v_cmp_gt_i32_e64 s[36:37], s29, v18
	v_cmp_gt_i32_e64 s[38:39], s29, v19
	global_load_dwordx4 v[30:33], v[14:15], off
	global_load_dwordx4 v[26:29], v[14:15], off offset:16
	v_cndmask_b32_e64 v18, v16, v52, s[36:37]
	v_cndmask_b32_e64 v19, v16, v53, s[38:39]
	v_max3_f32 v17, v17, v18, v19
	v_or_b32_e32 v18, 16, v56
	v_or_b32_e32 v19, 17, v56
	v_cmp_gt_i32_e64 s[24:25], s29, v18
	v_cmp_gt_i32_e64 s[26:27], s29, v19
	s_nop 0
	v_cndmask_b32_e64 v18, v16, v48, s[24:25]
	v_cndmask_b32_e64 v19, v16, v49, s[26:27]
	v_max3_f32 v17, v17, v18, v19
	v_or_b32_e32 v18, 18, v56
	v_or_b32_e32 v19, 19, v56
	v_cmp_gt_i32_e64 s[20:21], s29, v18
	v_cmp_gt_i32_e64 s[22:23], s29, v19
	s_nop 0
	;; [unrolled: 8-line block ×5, first 2 shown]
	v_cndmask_b32_e64 v18, v16, v36, s[8:9]
	v_cndmask_b32_e64 v19, v16, v37, s[10:11]
	v_max3_f32 v17, v17, v18, v19
	v_or_b32_e32 v18, 50, v56
	v_or_b32_e32 v19, 51, v56
	v_cmp_gt_i32_e32 vcc, s29, v18
	v_cmp_gt_i32_e64 s[6:7], s29, v19
	s_nop 0
	v_cndmask_b32_e32 v18, v16, v34, vcc
	v_cndmask_b32_e64 v16, v16, v35, s[6:7]
	v_max3_f32 v16, v17, v18, v16
	v_mbcnt_lo_u32_b32 v17, -1, 0
	v_mbcnt_hi_u32_b32 v17, -1, v17
	v_and_b32_e32 v18, 64, v17
	v_add_u32_e32 v18, 64, v18
	v_xor_b32_e32 v19, 32, v17
	v_cmp_lt_i32_e64 s[40:41], v19, v18
	s_nop 1
	v_cndmask_b32_e64 v19, v17, v19, s[40:41]
	v_lshlrev_b32_e32 v56, 2, v19
	ds_bpermute_b32 v19, v56, v16
	s_waitcnt vmcnt(5)
	v_mad_i64_i32 v[14:15], s[40:41], v59, s45, 0
	v_lshl_add_u64 v[14:15], v[14:15], 1, v[10:11]
	s_waitcnt lgkmcnt(0)
	v_max_f32_e32 v19, v19, v19
	v_max_f32_e32 v16, v16, v19
	v_xor_b32_e32 v19, 16, v17
	v_cmp_lt_i32_e64 s[40:41], v19, v18
	s_nop 1
	v_cndmask_b32_e64 v17, v17, v19, s[40:41]
	v_lshlrev_b32_e32 v57, 2, v17
	ds_bpermute_b32 v17, v57, v16
	global_load_dwordx4 v[22:25], v[14:15], off
	global_load_dwordx4 v[18:21], v[14:15], off offset:16
	s_waitcnt vmcnt(6)
	v_mad_i64_i32 v[14:15], s[40:41], v60, s45, 0
	v_lshl_add_u64 v[10:11], v[14:15], 1, v[10:11]
	s_waitcnt lgkmcnt(0)
	v_max_f32_e32 v14, v17, v17
	v_max_f32_e32 v55, v16, v14
	v_sub_f32_e32 v12, v12, v55
	v_mul_f32_e32 v12, 0x3fb8aa3b, v12
	v_exp_f32_e32 v50, v12
	v_sub_f32_e32 v12, v13, v55
	v_mul_f32_e32 v12, 0x3fb8aa3b, v12
	v_exp_f32_e32 v51, v12
	global_load_dwordx4 v[14:17], v[10:11], off
	s_nop 0
	global_load_dwordx4 v[10:13], v[10:11], off offset:16
	v_sub_f32_e32 v52, v52, v55
	v_mul_f32_e32 v52, 0x3fb8aa3b, v52
	v_sub_f32_e32 v53, v53, v55
	v_exp_f32_e32 v52, v52
	v_mul_f32_e32 v53, 0x3fb8aa3b, v53
	v_sub_f32_e32 v48, v48, v55
	v_exp_f32_e32 v53, v53
	v_mul_f32_e32 v48, 0x3fb8aa3b, v48
	v_sub_f32_e32 v49, v49, v55
	v_cndmask_b32_e64 v50, 0, v50, s[4:5]
	v_exp_f32_e32 v48, v48
	v_mul_f32_e32 v49, 0x3fb8aa3b, v49
	v_sub_f32_e32 v46, v46, v55
	v_add_f32_e32 v58, 0, v50
	v_cndmask_b32_e64 v51, 0, v51, s[34:35]
	v_exp_f32_e32 v49, v49
	v_mul_f32_e32 v46, 0x3fb8aa3b, v46
	v_sub_f32_e32 v47, v47, v55
	v_add_f32_e32 v58, v58, v51
	;; [unrolled: 5-line block ×10, first 2 shown]
	v_cndmask_b32_e64 v38, 0, v38, s[12:13]
	v_exp_f32_e32 v34, v34
	v_mul_f32_e32 v35, 0x3fb8aa3b, v35
	v_add_f32_e32 v58, v58, v38
	v_cndmask_b32_e64 v39, 0, v39, s[14:15]
	v_exp_f32_e32 v35, v35
	v_add_f32_e32 v58, v58, v39
	v_cndmask_b32_e64 v36, 0, v36, s[8:9]
	v_add_f32_e32 v58, v58, v36
	v_cndmask_b32_e64 v37, 0, v37, s[10:11]
	v_add_f32_e32 v58, v58, v37
	v_cndmask_b32_e32 v34, 0, v34, vcc
	v_add_f32_e32 v58, v58, v34
	v_cndmask_b32_e64 v35, 0, v35, s[6:7]
	v_add_f32_e32 v58, v58, v35
	ds_bpermute_b32 v56, v56, v58
	s_load_dword s7, s[0:1], 0x98
	v_cmp_gt_u32_e32 vcc, 16, v45
	v_lshlrev_b32_e32 v45, 2, v44
	s_waitcnt lgkmcnt(0)
	v_add_f32_e32 v56, v58, v56
	ds_bpermute_b32 v57, v57, v56
	s_barrier
	s_waitcnt lgkmcnt(0)
	s_and_saveexec_b64 s[4:5], vcc
	s_cbranch_execz .LBB166_17
; %bb.16:
	v_add_f32_e32 v56, v56, v57
	v_lshl_or_b32 v57, v1, 6, v45
	ds_write2st64_b32 v57, v55, v56 offset1:1
.LBB166_17:
	s_or_b64 exec, exec, s[4:5]
	s_load_dword s6, s[0:1], 0x94
	s_waitcnt lgkmcnt(0)
	s_barrier
	ds_read2_b32 v[56:57], v45 offset1:16
	ds_read2_b32 v[58:59], v45 offset0:32 offset1:48
	ds_read2_b32 v[60:61], v45 offset0:64 offset1:80
	;; [unrolled: 1-line block ×3, first 2 shown]
	s_waitcnt lgkmcnt(0)
	v_max3_f32 v55, v56, s33, v57
	v_max3_f32 v55, v55, v58, v59
	v_sub_f32_e32 v56, v56, v55
	v_mul_f32_e32 v56, 0x3fb8aa3b, v56
	v_exp_f32_e32 v64, v56
	v_sub_f32_e32 v56, v57, v55
	v_mul_f32_e32 v56, 0x3fb8aa3b, v56
	v_exp_f32_e32 v57, v56
	v_sub_f32_e32 v56, v58, v55
	v_mul_f32_e32 v56, 0x3fb8aa3b, v56
	v_sub_f32_e32 v45, v59, v55
	v_exp_f32_e32 v58, v56
	v_mul_f32_e32 v45, 0x3fb8aa3b, v45
	v_exp_f32_e32 v45, v45
	v_fma_f32 v56, v64, v60, 0
	v_fmac_f32_e32 v56, v57, v61
	v_fmac_f32_e32 v56, v58, v62
	;; [unrolled: 1-line block ×3, first 2 shown]
	v_add_f32_e32 v59, 0x358637bd, v56
	v_div_scale_f32 v60, s[4:5], v59, v59, 1.0
	v_rcp_f32_e32 v61, v60
	s_barrier
	s_mul_i32 s7, s7, 15
	v_fma_f32 v62, -v60, v61, 1.0
	v_fmac_f32_e32 v61, v62, v61
	v_div_scale_f32 v62, vcc, 1.0, v59, 1.0
	v_mul_f32_e32 v63, v62, v61
	v_fma_f32 v65, -v60, v63, v62
	v_fmac_f32_e32 v63, v65, v61
	v_fma_f32 v60, -v60, v63, v62
	v_div_fmas_f32 v60, v60, v61, v63
	v_cmp_eq_u32_e32 vcc, 1, v1
	v_div_fixup_f32 v59, v60, v59, 1.0
	s_nop 0
	v_cndmask_b32_e32 v57, v64, v57, vcc
	v_cmp_eq_u32_e32 vcc, 2, v1
	s_nop 1
	v_cndmask_b32_e32 v57, v57, v58, vcc
	v_cmp_eq_u32_e32 vcc, 3, v1
	v_lshlrev_b32_e32 v1, 11, v1
	s_nop 0
	v_cndmask_b32_e32 v45, v57, v45, vcc
	v_mul_f32_e32 v58, v45, v59
	v_pk_mul_f32 v[52:53], v[58:59], v[52:53] op_sel_hi:[0,1]
	v_pk_mul_f32 v[50:51], v[58:59], v[50:51] op_sel_hi:[0,1]
	v_cvt_f16_f32_e32 v45, v50
	v_cvt_f16_f32_e32 v50, v51
	;; [unrolled: 1-line block ×4, first 2 shown]
	v_pk_mul_f32 v[46:47], v[58:59], v[46:47] op_sel_hi:[0,1]
	v_pk_mul_f32 v[48:49], v[58:59], v[48:49] op_sel_hi:[0,1]
	v_cvt_f16_f32_e32 v48, v48
	v_pack_b32_f16 v53, v51, v53
	v_cvt_f16_f32_e32 v49, v49
	v_cvt_f16_f32_e32 v51, v46
	;; [unrolled: 1-line block ×3, first 2 shown]
	v_pack_b32_f16 v52, v45, v50
	v_lshlrev_b32_e32 v45, 3, v54
	v_lshlrev_b32_e32 v50, 5, v44
	v_or3_b32 v1, v1, v50, v45
	v_pack_b32_f16 v46, v48, v49
	v_pack_b32_f16 v47, v51, v47
	v_pk_mul_f32 v[38:39], v[58:59], v[38:39] op_sel_hi:[0,1]
	v_pk_mul_f32 v[40:41], v[58:59], v[40:41] op_sel_hi:[0,1]
	;; [unrolled: 1-line block ×4, first 2 shown]
	ds_write2st64_b64 v1, v[52:53], v[46:47] offset1:1
	v_cvt_f16_f32_e32 v40, v40
	v_cvt_f16_f32_e32 v41, v41
	;; [unrolled: 1-line block ×8, first 2 shown]
	v_pack_b32_f16 v34, v40, v41
	v_pack_b32_f16 v35, v38, v39
	;; [unrolled: 1-line block ×4, first 2 shown]
	v_cmp_gt_u32_e32 vcc, 15, v0
	ds_write2st64_b64 v1, v[34:35], v[36:37] offset0:2 offset1:3
	s_and_saveexec_b64 s[4:5], vcc
	s_cbranch_execz .LBB166_19
; %bb.18:
	s_mov_b32 s43, 0
	v_mov_b32_e32 v45, 0
	v_lshl_add_u64 v[34:35], s[42:43], 0, v[44:45]
	v_mov_b32_e32 v36, s7
	v_mad_u64_u32 v[34:35], s[12:13], s2, v36, v[34:35]
	s_mul_i32 s3, s3, s7
	v_mov_b32_e32 v44, s28
	s_load_dwordx4 s[8:11], s[0:1], 0x58
	v_add_u32_e32 v37, s3, v35
	v_mad_u64_u32 v[34:35], s[12:13], v34, s6, v[44:45]
	v_mov_b32_e32 v36, v35
	v_mad_u64_u32 v[36:37], s[12:13], v37, s6, v[36:37]
	v_mov_b32_e32 v35, v36
	v_lshlrev_b64 v[34:35], 2, v[34:35]
	s_waitcnt lgkmcnt(0)
	v_lshl_add_u64 v[36:37], s[10:11], 0, v[34:35]
	v_lshl_add_u64 v[34:35], s[8:9], 0, v[34:35]
	global_store_dword v[36:37], v55, off
	global_store_dword v[34:35], v56, off
.LBB166_19:
	s_or_b64 exec, exec, s[4:5]
	v_lshl_or_b32 v48, v54, 9, v50
	s_waitcnt lgkmcnt(0)
	s_barrier
	ds_read_b128 v[34:37], v48
	ds_read_b128 v[38:41], v48 offset:16
	s_waitcnt vmcnt(7) lgkmcnt(1)
	v_mfma_f32_16x16x16_f16 v[44:47], v[6:7], v[34:35], 0
	v_cmp_gt_u32_e32 vcc, 64, v0
	s_mov_b32 s3, 0
	s_and_b64 s[4:5], vcc, s[30:31]
	v_mfma_f32_16x16x16_f16 v[6:9], v[8:9], v[36:37], v[44:47]
	s_waitcnt vmcnt(6) lgkmcnt(0)
	v_mfma_f32_16x16x16_f16 v[6:9], v[2:3], v[38:39], v[6:9]
	v_mfma_f32_16x16x16_f16 v[2:5], v[4:5], v[40:41], v[6:9]
	s_nop 5
	ds_read_b128 v[6:9], v48 offset:2048
	ds_read_b128 v[34:37], v48 offset:2064
	s_waitcnt vmcnt(5) lgkmcnt(1)
	v_mfma_f32_16x16x16_f16 v[2:5], v[30:31], v[6:7], v[2:5]
	v_mfma_f32_16x16x16_f16 v[2:5], v[32:33], v[8:9], v[2:5]
	s_waitcnt vmcnt(4) lgkmcnt(0)
	v_mfma_f32_16x16x16_f16 v[2:5], v[26:27], v[34:35], v[2:5]
	v_mfma_f32_16x16x16_f16 v[2:5], v[28:29], v[36:37], v[2:5]
	ds_read_b128 v[6:9], v48 offset:4096
	ds_read_b128 v[26:29], v48 offset:4112
	s_waitcnt vmcnt(3) lgkmcnt(1)
	v_mfma_f32_16x16x16_f16 v[2:5], v[22:23], v[6:7], v[2:5]
	v_mfma_f32_16x16x16_f16 v[2:5], v[24:25], v[8:9], v[2:5]
	s_waitcnt vmcnt(2) lgkmcnt(0)
	v_mfma_f32_16x16x16_f16 v[2:5], v[18:19], v[26:27], v[2:5]
	v_mfma_f32_16x16x16_f16 v[2:5], v[20:21], v[28:29], v[2:5]
	ds_read_b128 v[6:9], v48 offset:6144
	ds_read_b128 v[18:21], v48 offset:6160
	s_waitcnt lgkmcnt(0)
	s_barrier
	s_waitcnt vmcnt(1)
	v_mfma_f32_16x16x16_f16 v[2:5], v[14:15], v[6:7], v[2:5]
	v_mfma_f32_16x16x16_f16 v[2:5], v[16:17], v[8:9], v[2:5]
	s_waitcnt vmcnt(0)
	v_mfma_f32_16x16x16_f16 v[2:5], v[10:11], v[18:19], v[2:5]
	v_mfma_f32_16x16x16_f16 v[2:5], v[12:13], v[20:21], v[2:5]
	s_nop 6
	v_cvt_f16_f32_e32 v2, v2
	v_cvt_f16_f32_e32 v3, v3
	;; [unrolled: 1-line block ×4, first 2 shown]
	v_pack_b32_f16 v2, v2, v3
	v_pack_b32_f16 v3, v4, v5
	ds_write_b64 v1, v[2:3]
	s_waitcnt lgkmcnt(0)
	s_barrier
	s_and_saveexec_b64 s[8:9], s[4:5]
	s_cbranch_execz .LBB166_22
; %bb.20:
	s_load_dwordx2 s[4:5], s[0:1], 0x68
	s_lshl_b32 s0, s6, 6
	s_mul_i32 s1, s7, s2
	s_mul_hi_u32 s7, s1, s0
	s_mul_i32 s6, s1, s0
	v_lshlrev_b32_e32 v1, 10, v0
	v_lshlrev_b32_e32 v0, 4, v0
	s_lshl_b64 s[6:7], s[6:7], 1
	v_and_b32_e32 v1, 0x1800, v1
	v_lshlrev_b32_e32 v2, 5, v54
	v_and_b32_e32 v0, 16, v0
	s_waitcnt lgkmcnt(0)
	s_add_u32 s1, s4, s6
	v_or3_b32 v2, v1, v2, v0
	s_addc_u32 s4, s5, s7
	s_lshl_b32 s2, s28, 6
	ds_read_b128 v[4:7], v2 offset:256
	s_lshl_b64 s[2:3], s[2:3], 1
	ds_read_b128 v[8:11], v2 offset:128
	ds_read_b128 v[12:15], v2
	s_add_u32 s2, s1, s2
	s_addc_u32 s3, s4, s3
	v_add_u32_e32 v3, s42, v54
	v_lshl_add_u64 v[0:1], v[42:43], 1, s[2:3]
	v_mad_u64_u32 v[16:17], s[2:3], v3, s0, 0
	v_lshl_add_u64 v[16:17], v[16:17], 1, v[0:1]
	s_waitcnt lgkmcnt(0)
	global_store_dwordx4 v[16:17], v[12:15], off
	v_cmp_ne_u32_e32 vcc, 3, v54
	s_nop 0
	v_add_u32_e32 v12, 4, v3
	v_mad_u64_u32 v[12:13], s[2:3], v12, s0, 0
	v_lshl_add_u64 v[12:13], v[12:13], 1, v[0:1]
	v_add_u32_e32 v3, 8, v3
	global_store_dwordx4 v[12:13], v[8:11], off
	s_nop 1
	v_mad_u64_u32 v[8:9], s[2:3], v3, s0, 0
	v_lshl_add_u64 v[8:9], v[8:9], 1, v[0:1]
	global_store_dwordx4 v[8:9], v[4:7], off
	s_and_b64 exec, exec, vcc
	s_cbranch_execz .LBB166_22
; %bb.21:
	ds_read_b128 v[2:5], v2 offset:384
	v_add3_u32 v6, s42, v54, 12
	v_mad_u64_u32 v[6:7], s[0:1], v6, s0, 0
	v_lshl_add_u64 v[0:1], v[6:7], 1, v[0:1]
	s_waitcnt lgkmcnt(0)
	global_store_dwordx4 v[0:1], v[2:5], off
.LBB166_22:
	s_endpgm
	.section	.rodata,"a",@progbits
	.p2align	6, 0x0
	.amdhsa_kernel _Z39paged_attention_ll4mi_QKV_mfma16_kernelIDF16_DF16_LN4vllm18Fp8KVCacheDataTypeE0EDF16_Li32ELi64ELi256ELb1ELi15EEvPKT_PKT0_S7_ifPKiS9_S9_iPKfiiiPfSC_PS2_PT2_iSB_SB_
		.amdhsa_group_segment_fixed_size 8192
		.amdhsa_private_segment_fixed_size 0
		.amdhsa_kernarg_size 400
		.amdhsa_user_sgpr_count 2
		.amdhsa_user_sgpr_dispatch_ptr 0
		.amdhsa_user_sgpr_queue_ptr 0
		.amdhsa_user_sgpr_kernarg_segment_ptr 1
		.amdhsa_user_sgpr_dispatch_id 0
		.amdhsa_user_sgpr_kernarg_preload_length 0
		.amdhsa_user_sgpr_kernarg_preload_offset 0
		.amdhsa_user_sgpr_private_segment_size 0
		.amdhsa_uses_dynamic_stack 0
		.amdhsa_enable_private_segment 0
		.amdhsa_system_sgpr_workgroup_id_x 1
		.amdhsa_system_sgpr_workgroup_id_y 1
		.amdhsa_system_sgpr_workgroup_id_z 1
		.amdhsa_system_sgpr_workgroup_info 0
		.amdhsa_system_vgpr_workitem_id 0
		.amdhsa_next_free_vgpr 73
		.amdhsa_next_free_sgpr 48
		.amdhsa_accum_offset 76
		.amdhsa_reserve_vcc 1
		.amdhsa_float_round_mode_32 0
		.amdhsa_float_round_mode_16_64 0
		.amdhsa_float_denorm_mode_32 3
		.amdhsa_float_denorm_mode_16_64 3
		.amdhsa_dx10_clamp 1
		.amdhsa_ieee_mode 1
		.amdhsa_fp16_overflow 0
		.amdhsa_tg_split 0
		.amdhsa_exception_fp_ieee_invalid_op 0
		.amdhsa_exception_fp_denorm_src 0
		.amdhsa_exception_fp_ieee_div_zero 0
		.amdhsa_exception_fp_ieee_overflow 0
		.amdhsa_exception_fp_ieee_underflow 0
		.amdhsa_exception_fp_ieee_inexact 0
		.amdhsa_exception_int_div_zero 0
	.end_amdhsa_kernel
	.section	.text._Z39paged_attention_ll4mi_QKV_mfma16_kernelIDF16_DF16_LN4vllm18Fp8KVCacheDataTypeE0EDF16_Li32ELi64ELi256ELb1ELi15EEvPKT_PKT0_S7_ifPKiS9_S9_iPKfiiiPfSC_PS2_PT2_iSB_SB_,"axG",@progbits,_Z39paged_attention_ll4mi_QKV_mfma16_kernelIDF16_DF16_LN4vllm18Fp8KVCacheDataTypeE0EDF16_Li32ELi64ELi256ELb1ELi15EEvPKT_PKT0_S7_ifPKiS9_S9_iPKfiiiPfSC_PS2_PT2_iSB_SB_,comdat
.Lfunc_end166:
	.size	_Z39paged_attention_ll4mi_QKV_mfma16_kernelIDF16_DF16_LN4vllm18Fp8KVCacheDataTypeE0EDF16_Li32ELi64ELi256ELb1ELi15EEvPKT_PKT0_S7_ifPKiS9_S9_iPKfiiiPfSC_PS2_PT2_iSB_SB_, .Lfunc_end166-_Z39paged_attention_ll4mi_QKV_mfma16_kernelIDF16_DF16_LN4vllm18Fp8KVCacheDataTypeE0EDF16_Li32ELi64ELi256ELb1ELi15EEvPKT_PKT0_S7_ifPKiS9_S9_iPKfiiiPfSC_PS2_PT2_iSB_SB_
                                        ; -- End function
	.section	.AMDGPU.csdata,"",@progbits
; Kernel info:
; codeLenInByte = 4212
; NumSgprs: 54
; NumVgprs: 73
; NumAgprs: 0
; TotalNumVgprs: 73
; ScratchSize: 0
; MemoryBound: 0
; FloatMode: 240
; IeeeMode: 1
; LDSByteSize: 8192 bytes/workgroup (compile time only)
; SGPRBlocks: 6
; VGPRBlocks: 9
; NumSGPRsForWavesPerEU: 54
; NumVGPRsForWavesPerEU: 73
; AccumOffset: 76
; Occupancy: 6
; WaveLimiterHint : 1
; COMPUTE_PGM_RSRC2:SCRATCH_EN: 0
; COMPUTE_PGM_RSRC2:USER_SGPR: 2
; COMPUTE_PGM_RSRC2:TRAP_HANDLER: 0
; COMPUTE_PGM_RSRC2:TGID_X_EN: 1
; COMPUTE_PGM_RSRC2:TGID_Y_EN: 1
; COMPUTE_PGM_RSRC2:TGID_Z_EN: 1
; COMPUTE_PGM_RSRC2:TIDIG_COMP_CNT: 0
; COMPUTE_PGM_RSRC3_GFX90A:ACCUM_OFFSET: 18
; COMPUTE_PGM_RSRC3_GFX90A:TG_SPLIT: 0
	.section	.text._Z39paged_attention_ll4mi_QKV_mfma16_kernelIDF16_DF16_LN4vllm18Fp8KVCacheDataTypeE0EDF16_Li32ELi64ELi256ELb1ELi16EEvPKT_PKT0_S7_ifPKiS9_S9_iPKfiiiPfSC_PS2_PT2_iSB_SB_,"axG",@progbits,_Z39paged_attention_ll4mi_QKV_mfma16_kernelIDF16_DF16_LN4vllm18Fp8KVCacheDataTypeE0EDF16_Li32ELi64ELi256ELb1ELi16EEvPKT_PKT0_S7_ifPKiS9_S9_iPKfiiiPfSC_PS2_PT2_iSB_SB_,comdat
	.protected	_Z39paged_attention_ll4mi_QKV_mfma16_kernelIDF16_DF16_LN4vllm18Fp8KVCacheDataTypeE0EDF16_Li32ELi64ELi256ELb1ELi16EEvPKT_PKT0_S7_ifPKiS9_S9_iPKfiiiPfSC_PS2_PT2_iSB_SB_ ; -- Begin function _Z39paged_attention_ll4mi_QKV_mfma16_kernelIDF16_DF16_LN4vllm18Fp8KVCacheDataTypeE0EDF16_Li32ELi64ELi256ELb1ELi16EEvPKT_PKT0_S7_ifPKiS9_S9_iPKfiiiPfSC_PS2_PT2_iSB_SB_
	.globl	_Z39paged_attention_ll4mi_QKV_mfma16_kernelIDF16_DF16_LN4vllm18Fp8KVCacheDataTypeE0EDF16_Li32ELi64ELi256ELb1ELi16EEvPKT_PKT0_S7_ifPKiS9_S9_iPKfiiiPfSC_PS2_PT2_iSB_SB_
	.p2align	8
	.type	_Z39paged_attention_ll4mi_QKV_mfma16_kernelIDF16_DF16_LN4vllm18Fp8KVCacheDataTypeE0EDF16_Li32ELi64ELi256ELb1ELi16EEvPKT_PKT0_S7_ifPKiS9_S9_iPKfiiiPfSC_PS2_PT2_iSB_SB_,@function
_Z39paged_attention_ll4mi_QKV_mfma16_kernelIDF16_DF16_LN4vllm18Fp8KVCacheDataTypeE0EDF16_Li32ELi64ELi256ELb1ELi16EEvPKT_PKT0_S7_ifPKiS9_S9_iPKfiiiPfSC_PS2_PT2_iSB_SB_: ; @_Z39paged_attention_ll4mi_QKV_mfma16_kernelIDF16_DF16_LN4vllm18Fp8KVCacheDataTypeE0EDF16_Li32ELi64ELi256ELb1ELi16EEvPKT_PKT0_S7_ifPKiS9_S9_iPKfiiiPfSC_PS2_PT2_iSB_SB_
; %bb.0:
	s_load_dwordx2 s[6:7], s[0:1], 0x30
	s_mov_b32 s28, s3
	s_mov_b64 s[10:11], 0
	s_waitcnt lgkmcnt(0)
	s_cmp_lg_u64 s[6:7], 0
	s_cselect_b64 s[8:9], -1, 0
	s_and_b64 vcc, exec, s[8:9]
	s_cbranch_vccz .LBB167_7
; %bb.1:
	s_add_i32 s12, s2, 1
	s_mov_b32 s13, 0
	s_lshl_b64 s[14:15], s[12:13], 2
	s_add_u32 s14, s6, s14
	s_mov_b32 s3, s13
	s_addc_u32 s15, s7, s15
	s_lshl_b64 s[12:13], s[2:3], 2
	s_add_u32 s12, s6, s12
	s_addc_u32 s13, s7, s13
	s_load_dword s5, s[14:15], 0x0
	s_load_dword s16, s[12:13], 0x0
	s_waitcnt lgkmcnt(0)
	s_sub_i32 s5, s5, s16
	s_cmp_eq_u32 s5, 1
	s_cselect_b64 s[12:13], -1, 0
	s_andn2_b64 vcc, exec, s[10:11]
	s_cbranch_vccnz .LBB167_3
.LBB167_2:
	s_mov_b32 s3, 0
	s_mov_b64 s[12:13], -1
.LBB167_3:
	s_andn2_b64 vcc, exec, s[12:13]
	s_cbranch_vccnz .LBB167_19
; %bb.4:
	s_load_dwordx2 s[12:13], s[0:1], 0x28
	s_lshl_b64 s[10:11], s[2:3], 2
	s_waitcnt lgkmcnt(0)
	s_add_u32 s12, s12, s10
	s_addc_u32 s13, s13, s11
	s_load_dword s40, s[12:13], 0x0
	s_lshl_b32 s16, s28, 8
	s_waitcnt lgkmcnt(0)
	s_cmp_ge_i32 s16, s40
	s_cbranch_scc1 .LBB167_19
; %bb.5:
	s_load_dwordx2 s[12:13], s[0:1], 0x20
	s_load_dword s5, s[0:1], 0x38
	s_add_i32 s14, s40, 31
	s_ashr_i32 s15, s14, 31
	v_and_b32_e32 v1, 0xcf, v0
	s_lshr_b32 s15, s15, 27
	v_add_u32_e32 v1, s16, v1
	s_add_i32 s14, s14, s15
	v_ashrrev_i32_e32 v2, 31, v1
	s_ashr_i32 s17, s14, 5
	v_lshrrev_b32_e32 v6, 27, v2
	s_add_i32 s17, s17, -1
	s_waitcnt lgkmcnt(0)
	s_mul_i32 s14, s2, s5
	s_mov_b32 s15, 0
	v_add_u32_e32 v2, v1, v6
	s_lshl_b64 s[14:15], s[14:15], 2
	v_ashrrev_i32_e32 v2, 5, v2
	v_mov_b32_e32 v7, s17
	v_cmp_gt_i32_e32 vcc, s40, v1
	s_add_u32 s12, s12, s14
	s_addc_u32 s13, s13, s15
	v_cndmask_b32_e32 v2, v7, v2, vcc
	v_ashrrev_i32_e32 v3, 31, v2
	v_lshl_add_u64 v[4:5], v[2:3], 2, s[12:13]
	v_or_b32_e32 v2, 16, v1
	v_add_u32_e32 v3, v2, v6
	v_ashrrev_i32_e32 v3, 5, v3
	v_cmp_gt_i32_e32 vcc, s40, v2
	s_nop 1
	v_cndmask_b32_e32 v2, v7, v3, vcc
	v_ashrrev_i32_e32 v3, 31, v2
	v_lshl_add_u64 v[8:9], v[2:3], 2, s[12:13]
	v_or_b32_e32 v2, 32, v1
	v_add_u32_e32 v3, v2, v6
	v_ashrrev_i32_e32 v3, 5, v3
	v_cmp_gt_i32_e32 vcc, s40, v2
	v_or_b32_e32 v1, 48, v1
	s_nop 0
	v_cndmask_b32_e32 v2, v7, v3, vcc
	v_ashrrev_i32_e32 v3, 31, v2
	v_lshl_add_u64 v[10:11], v[2:3], 2, s[12:13]
	v_add_u32_e32 v2, v1, v6
	v_ashrrev_i32_e32 v2, 5, v2
	v_cmp_gt_i32_e32 vcc, s40, v1
	s_nop 1
	v_cndmask_b32_e32 v2, v7, v2, vcc
	v_ashrrev_i32_e32 v3, 31, v2
	v_lshl_add_u64 v[12:13], v[2:3], 2, s[12:13]
	global_load_dword v2, v[4:5], off
	global_load_dword v7, v[8:9], off
	;; [unrolled: 1-line block ×4, first 2 shown]
	s_andn2_b64 vcc, exec, s[8:9]
	s_cbranch_vccnz .LBB167_8
; %bb.6:
	s_add_u32 s6, s6, s10
	s_addc_u32 s7, s7, s11
	s_load_dword s5, s[6:7], 0x0
	s_branch .LBB167_9
.LBB167_7:
	s_mov_b64 s[12:13], 0
	s_branch .LBB167_2
.LBB167_8:
	s_mov_b32 s5, s2
.LBB167_9:
	s_load_dwordx2 s[14:15], s[0:1], 0x40
	s_load_dwordx4 s[8:11], s[0:1], 0x8
	s_load_dwordx4 s[44:47], s[0:1], 0x48
	v_and_b32_e32 v54, 15, v0
	s_movk_i32 s6, 0xff
	v_cmp_lt_u32_e32 vcc, s6, v0
	v_cmp_lt_u32_e64 s[6:7], 7, v54
	v_lshlrev_b32_e32 v38, 3, v54
	v_cmp_gt_u32_e64 s[30:31], 8, v54
	s_or_b64 s[6:7], vcc, s[6:7]
	s_and_saveexec_b64 s[18:19], s[6:7]
	s_xor_b64 s[6:7], exec, s[18:19]
; %bb.10:
	v_mov_b32_e32 v39, 0
; %bb.11:
	s_or_saveexec_b64 s[6:7], s[6:7]
	v_lshrrev_b32_e32 v56, 6, v0
	v_and_b32_e32 v57, 63, v0
	s_lshl_b32 s29, s4, 4
	v_bfe_u32 v1, v0, 4, 2
	s_xor_b64 exec, exec, s[6:7]
	s_cbranch_execz .LBB167_13
; %bb.12:
	s_load_dwordx2 s[18:19], s[0:1], 0x0
	s_waitcnt lgkmcnt(0)
	s_ashr_i32 s20, s44, 31
	s_mul_hi_u32 s21, s5, s44
	s_mul_i32 s20, s5, s20
	s_add_i32 s21, s21, s20
	s_mul_i32 s20, s5, s44
	v_lshl_or_b32 v3, v56, 2, v1
	s_lshl_b64 s[20:21], s[20:21], 1
	s_add_u32 s18, s18, s20
	v_add_lshl_u32 v4, v3, s29, 6
	s_addc_u32 s19, s19, s21
	v_ashrrev_i32_e32 v5, 31, v4
	v_mov_b32_e32 v39, 0
	v_lshl_add_u64 v[4:5], v[4:5], 1, s[18:19]
	v_lshlrev_b32_e32 v8, 1, v38
	v_mov_b32_e32 v9, v39
	v_lshl_add_u64 v[4:5], v[4:5], 0, v[8:9]
	global_load_dwordx4 v[8:11], v[4:5], off
	v_and_b32_e32 v4, 3, v0
	v_lshlrev_b32_e32 v5, 9, v54
	v_lshlrev_b32_e32 v3, 5, v3
	;; [unrolled: 1-line block ×3, first 2 shown]
	v_and_b32_e32 v5, 0x1800, v5
	v_or3_b32 v3, v5, v4, v3
	s_waitcnt vmcnt(0)
	ds_write_b128 v3, v[8:11]
.LBB167_13:
	s_or_b64 exec, exec, s[6:7]
	s_waitcnt lgkmcnt(0)
	s_mul_i32 s4, s4, s46
	s_mov_b32 s5, 0
	s_lshl_b64 s[4:5], s[4:5], 1
	s_add_u32 s8, s8, s4
	s_addc_u32 s9, s9, s5
	s_waitcnt vmcnt(3)
	v_mad_i64_i32 v[2:3], s[18:19], v2, s45, 0
	v_lshl_add_u64 v[2:3], v[2:3], 1, s[8:9]
	v_lshlrev_b64 v[8:9], 1, v[38:39]
	v_lshlrev_b32_e32 v42, 9, v1
	v_lshl_add_u64 v[2:3], v[2:3], 0, v[8:9]
	v_mov_b32_e32 v43, 0
	v_lshl_add_u64 v[16:17], v[2:3], 0, v[42:43]
	s_load_dword s33, s[0:1], 0x98
	s_load_dword s6, s[0:1], 0x1c
	s_waitcnt lgkmcnt(0)
	s_barrier
	global_load_dwordx4 v[2:5], v[16:17], off
	s_waitcnt vmcnt(3)
	v_mad_i64_i32 v[10:11], s[18:19], v7, s45, 0
	v_mov_b32_e32 v12, 0x100
	v_lshl_or_b32 v34, v54, 4, v12
	v_mov_b32_e32 v35, v43
	v_lshl_add_u64 v[10:11], v[10:11], 1, s[8:9]
	v_lshl_add_u64 v[10:11], v[10:11], 0, v[34:35]
	;; [unrolled: 1-line block ×3, first 2 shown]
	global_load_dwordx4 v[10:13], v[22:23], off
	s_waitcnt vmcnt(3)
	v_mad_i64_i32 v[6:7], s[18:19], v6, s45, 0
	v_lshl_add_u64 v[6:7], v[6:7], 1, s[8:9]
	v_lshl_add_u64 v[6:7], v[6:7], 0, v[8:9]
	;; [unrolled: 1-line block ×3, first 2 shown]
	global_load_dwordx4 v[18:21], v[24:25], off
	global_load_dwordx4 v[6:9], v[16:17], off offset:2048
	s_waitcnt vmcnt(4)
	v_mad_i64_i32 v[36:37], s[18:19], v14, s45, 0
	global_load_dwordx4 v[14:17], v[22:23], off offset:2048
	global_load_dwordx4 v[30:33], v[24:25], off offset:2048
	s_ashr_i32 s7, s16, 31
	v_and_or_b32 v52, v0, 48, s16
	v_lshl_add_u64 v[36:37], v[36:37], 1, s[8:9]
	s_lshr_b32 s7, s7, 27
	v_lshl_add_u64 v[34:35], v[36:37], 0, v[34:35]
	v_add_u32_e32 v36, s7, v52
	v_mov_b32_e32 v53, s17
	v_lshl_add_u64 v[40:41], v[34:35], 0, v[42:43]
	v_ashrrev_i32_e32 v34, 5, v36
	v_cmp_gt_i32_e32 vcc, s40, v52
	v_lshl_or_b32 v55, v54, 5, v42
	ds_read_b128 v[26:29], v55
	ds_read_b128 v[22:25], v55 offset:2048
	v_cndmask_b32_e32 v34, v53, v34, vcc
	v_ashrrev_i32_e32 v35, 31, v34
	v_lshl_add_u64 v[34:35], v[34:35], 2, s[12:13]
	global_load_dword v66, v[34:35], off
	s_nop 0
	global_load_dwordx4 v[34:37], v[40:41], off
	global_load_dwordx4 v[58:61], v[40:41], off offset:2048
	v_or_b32_e32 v44, 64, v52
	v_add_u32_e32 v45, s7, v44
	v_ashrrev_i32_e32 v42, 5, v45
	v_cmp_gt_i32_e32 vcc, s40, v44
	v_or_b32_e32 v40, s29, v54
	v_ashrrev_i32_e32 v41, 31, v40
	v_cndmask_b32_e32 v44, v53, v42, vcc
	v_ashrrev_i32_e32 v45, 31, v44
	v_lshl_add_u64 v[44:45], v[44:45], 2, s[12:13]
	global_load_dword v67, v[44:45], off
	v_and_b32_e32 v42, 16, v0
	s_add_u32 s4, s10, s4
	s_addc_u32 s5, s11, s5
	v_lshlrev_b32_e32 v42, 1, v42
	s_mov_b32 s42, 0xff7fffff
	s_waitcnt vmcnt(7) lgkmcnt(1)
	v_mfma_f32_16x16x16_f16 v[62:65], v[18:19], v[26:27], 0
	v_mfma_f32_16x16x16_f16 v[44:47], v[2:3], v[26:27], 0
	v_lshl_add_u64 v[2:3], v[40:41], 2, s[14:15]
	global_load_dword v41, v[2:3], off
	v_mfma_f32_16x16x16_f16 v[48:51], v[10:11], v[26:27], 0
	v_mfma_f32_16x16x16_f16 v[2:5], v[4:5], v[28:29], v[44:47]
	s_nop 2
	v_or_b32_e32 v45, 0x80, v52
	v_mfma_f32_16x16x16_f16 v[10:13], v[12:13], v[28:29], v[48:51]
	v_or_b32_e32 v46, 0xc0, v52
	v_add_u32_e32 v47, s7, v45
	v_ashrrev_i32_e32 v47, 5, v47
	v_mfma_f32_16x16x16_f16 v[18:21], v[20:21], v[28:29], v[62:65]
	v_add_u32_e32 v48, s7, v46
	v_cmp_gt_i32_e32 vcc, s40, v45
	v_ashrrev_i32_e32 v48, 5, v48
	s_waitcnt vmcnt(7) lgkmcnt(0)
	v_mfma_f32_16x16x16_f16 v[2:5], v[6:7], v[22:23], v[2:5]
	v_cndmask_b32_e32 v6, v53, v47, vcc
	v_cmp_gt_i32_e32 vcc, s40, v46
	v_ashrrev_i32_e32 v7, 31, v6
	s_waitcnt vmcnt(6)
	v_mfma_f32_16x16x16_f16 v[10:13], v[14:15], v[22:23], v[10:13]
	v_cndmask_b32_e32 v14, v53, v48, vcc
	v_lshlrev_b32_e32 v44, 6, v54
	v_ashrrev_i32_e32 v15, 31, v14
	s_waitcnt vmcnt(5)
	v_mfma_f32_16x16x16_f16 v[18:21], v[30:31], v[22:23], v[18:21]
	v_lshl_add_u64 v[6:7], v[6:7], 2, s[12:13]
	v_lshl_add_u64 v[48:49], s[4:5], 0, v[42:43]
	v_lshl_or_b32 v42, v56, 10, v44
	v_mfma_f32_16x16x16_f16 v[44:47], v[8:9], v[24:25], v[2:5]
	s_nop 2
	v_lshl_add_u64 v[2:3], v[14:15], 2, s[12:13]
	global_load_dword v52, v[6:7], off
	global_load_dword v53, v[2:3], off
	v_mfma_f32_16x16x16_f16 v[62:65], v[16:17], v[24:25], v[10:13]
	v_pk_mul_f32 v[50:51], s[6:7], v[46:47] op_sel_hi:[0,1]
	s_waitcnt vmcnt(6)
	v_mad_i64_i32 v[2:3], s[4:5], v66, s45, 0
	v_mfma_f32_16x16x16_f16 v[16:19], v[32:33], v[24:25], v[18:21]
	v_lshl_add_u64 v[10:11], v[48:49], 0, v[42:43]
	s_waitcnt vmcnt(3)
	v_mad_i64_i32 v[12:13], s[4:5], v67, s45, 0
	v_mfma_f32_16x16x16_f16 v[30:33], v[34:35], v[26:27], 0
	v_lshl_add_u64 v[14:15], v[12:13], 1, v[10:11]
	v_pk_mul_f32 v[12:13], s[6:7], v[44:45] op_sel_hi:[0,1]
	s_nop 0
	v_pk_mul_f32 v[42:43], s[6:7], v[18:19] op_sel_hi:[0,1]
	v_mfma_f32_16x16x16_f16 v[26:29], v[36:37], v[28:29], v[30:33]
	v_pk_mul_f32 v[44:45], s[6:7], v[16:17] op_sel_hi:[0,1]
	v_pk_mul_f32 v[46:47], s[6:7], v[64:65] op_sel_hi:[0,1]
	;; [unrolled: 1-line block ×3, first 2 shown]
	v_mfma_f32_16x16x16_f16 v[20:23], v[58:59], v[22:23], v[26:29]
	v_lshl_add_u64 v[2:3], v[2:3], 1, v[10:11]
	global_load_dwordx4 v[6:9], v[2:3], off
	s_nop 0
	global_load_dwordx4 v[2:5], v[2:3], off offset:16
	s_nop 0
	global_load_dwordx4 v[30:33], v[14:15], off
	global_load_dwordx4 v[26:29], v[14:15], off offset:16
	v_mfma_f32_16x16x16_f16 v[16:19], v[60:61], v[24:25], v[20:23]
	s_nop 6
	v_pk_mul_f32 v[36:37], s[6:7], v[16:17] op_sel_hi:[0,1]
	v_and_b32_e32 v16, 0xc0, v0
	v_add_u32_e32 v16, s16, v16
	v_lshl_or_b32 v16, v1, 2, v16
	v_or_b32_e32 v17, 1, v16
	v_pk_mul_f32 v[34:35], s[6:7], v[18:19] op_sel_hi:[0,1]
	v_subrev_u32_e32 v18, s40, v17
	v_add_u32_e32 v20, 1, v18
	v_add_u32_e32 v21, 2, v18
	v_cvt_f32_i32_e32 v19, v18
	v_cvt_f32_i32_e32 v20, v20
	;; [unrolled: 1-line block ×3, first 2 shown]
	v_add_u32_e32 v22, 3, v18
	v_cvt_f32_i32_e32 v22, v22
	v_cmp_gt_i32_e64 s[4:5], s40, v16
	s_waitcnt vmcnt(6)
	v_fma_f32 v12, v41, v19, v12
	v_fmac_f32_e32 v13, v41, v20
	v_fma_f32 v50, v41, v21, v50
	v_add_u32_e32 v19, 16, v18
	v_add_u32_e32 v20, 17, v18
	;; [unrolled: 1-line block ×3, first 2 shown]
	v_cvt_f32_i32_e32 v19, v19
	v_cvt_f32_i32_e32 v20, v20
	;; [unrolled: 1-line block ×3, first 2 shown]
	v_fmac_f32_e32 v51, v41, v22
	v_add_u32_e32 v22, 19, v18
	v_fma_f32 v48, v41, v19, v48
	v_fmac_f32_e32 v49, v41, v20
	v_fma_f32 v46, v41, v21, v46
	v_add_u32_e32 v19, 32, v18
	v_add_u32_e32 v20, 33, v18
	;; [unrolled: 1-line block ×3, first 2 shown]
	v_cvt_f32_i32_e32 v22, v22
	v_cvt_f32_i32_e32 v19, v19
	;; [unrolled: 1-line block ×4, first 2 shown]
	v_fmac_f32_e32 v47, v41, v22
	v_add_u32_e32 v22, 35, v18
	v_fma_f32 v44, v41, v19, v44
	v_fmac_f32_e32 v45, v41, v20
	v_fma_f32 v42, v41, v21, v42
	v_add_u32_e32 v19, 48, v18
	v_add_u32_e32 v20, 49, v18
	;; [unrolled: 1-line block ×4, first 2 shown]
	v_cvt_f32_i32_e32 v18, v18
	v_cvt_f32_i32_e32 v19, v19
	;; [unrolled: 1-line block ×3, first 2 shown]
	v_cmp_gt_i32_e64 s[34:35], s40, v17
	v_fmac_f32_e32 v35, v41, v18
	v_mov_b32_e32 v18, 0xff7fffff
	v_fma_f32 v36, v41, v19, v36
	v_cndmask_b32_e64 v19, v18, v12, s[4:5]
	v_cndmask_b32_e64 v17, v18, v13, s[34:35]
	v_fmac_f32_e32 v37, v41, v20
	v_max3_f32 v17, v19, s42, v17
	v_or_b32_e32 v19, 2, v16
	v_or_b32_e32 v20, 3, v16
	v_cmp_gt_i32_e64 s[36:37], s40, v19
	v_cmp_gt_i32_e64 s[38:39], s40, v20
	v_cvt_f32_i32_e32 v22, v22
	v_cndmask_b32_e64 v19, v18, v50, s[36:37]
	v_cndmask_b32_e64 v20, v18, v51, s[38:39]
	v_max3_f32 v17, v17, v19, v20
	v_or_b32_e32 v19, 16, v16
	v_or_b32_e32 v20, 17, v16
	v_cmp_gt_i32_e64 s[24:25], s40, v19
	v_cmp_gt_i32_e64 s[26:27], s40, v20
	v_fmac_f32_e32 v43, v41, v22
	v_cndmask_b32_e64 v19, v18, v48, s[24:25]
	v_cndmask_b32_e64 v20, v18, v49, s[26:27]
	v_max3_f32 v17, v17, v19, v20
	v_or_b32_e32 v19, 18, v16
	v_or_b32_e32 v20, 19, v16
	v_cmp_gt_i32_e64 s[20:21], s40, v19
	v_cmp_gt_i32_e64 s[22:23], s40, v20
	v_cvt_f32_i32_e32 v21, v21
	v_cndmask_b32_e64 v19, v18, v46, s[20:21]
	v_cndmask_b32_e64 v20, v18, v47, s[22:23]
	v_max3_f32 v17, v17, v19, v20
	v_or_b32_e32 v19, 32, v16
	v_or_b32_e32 v20, 33, v16
	v_cmp_gt_i32_e64 s[16:17], s40, v19
	v_cmp_gt_i32_e64 s[18:19], s40, v20
	v_fma_f32 v34, v41, v21, v34
	v_cndmask_b32_e64 v19, v18, v44, s[16:17]
	v_cndmask_b32_e64 v20, v18, v45, s[18:19]
	v_max3_f32 v17, v17, v19, v20
	v_or_b32_e32 v19, 34, v16
	v_or_b32_e32 v20, 35, v16
	v_cmp_gt_i32_e64 s[12:13], s40, v19
	v_cmp_gt_i32_e64 s[14:15], s40, v20
	s_nop 0
	v_cndmask_b32_e64 v19, v18, v42, s[12:13]
	v_cndmask_b32_e64 v20, v18, v43, s[14:15]
	v_max3_f32 v17, v17, v19, v20
	v_or_b32_e32 v19, 48, v16
	v_or_b32_e32 v20, 49, v16
	v_cmp_gt_i32_e64 s[8:9], s40, v19
	v_cmp_gt_i32_e64 s[10:11], s40, v20
	s_nop 0
	v_cndmask_b32_e64 v19, v18, v36, s[8:9]
	v_cndmask_b32_e64 v20, v18, v37, s[10:11]
	v_max3_f32 v17, v17, v19, v20
	v_or_b32_e32 v19, 50, v16
	v_or_b32_e32 v16, 51, v16
	v_cmp_gt_i32_e32 vcc, s40, v19
	v_cmp_gt_i32_e64 s[6:7], s40, v16
	s_nop 0
	v_cndmask_b32_e32 v19, v18, v34, vcc
	v_cndmask_b32_e64 v16, v18, v35, s[6:7]
	v_max3_f32 v16, v17, v19, v16
	v_mbcnt_lo_u32_b32 v17, -1, 0
	v_mbcnt_hi_u32_b32 v17, -1, v17
	v_and_b32_e32 v18, 64, v17
	v_add_u32_e32 v18, 64, v18
	v_xor_b32_e32 v19, 32, v17
	v_cmp_lt_i32_e64 s[40:41], v19, v18
	s_nop 1
	v_cndmask_b32_e64 v19, v17, v19, s[40:41]
	v_lshlrev_b32_e32 v58, 2, v19
	ds_bpermute_b32 v19, v58, v16
	s_waitcnt vmcnt(5)
	v_mad_i64_i32 v[14:15], s[40:41], v52, s45, 0
	v_lshl_add_u64 v[14:15], v[14:15], 1, v[10:11]
	s_waitcnt lgkmcnt(0)
	v_max_f32_e32 v19, v19, v19
	v_max_f32_e32 v16, v16, v19
	v_xor_b32_e32 v19, 16, v17
	v_cmp_lt_i32_e64 s[40:41], v19, v18
	s_nop 1
	v_cndmask_b32_e64 v17, v17, v19, s[40:41]
	v_lshlrev_b32_e32 v60, 2, v17
	ds_bpermute_b32 v17, v60, v16
	global_load_dwordx4 v[22:25], v[14:15], off
	global_load_dwordx4 v[18:21], v[14:15], off offset:16
	s_waitcnt vmcnt(6)
	v_mad_i64_i32 v[14:15], s[40:41], v53, s45, 0
	v_lshl_add_u64 v[10:11], v[14:15], 1, v[10:11]
	s_waitcnt lgkmcnt(0)
	v_max_f32_e32 v14, v17, v17
	v_max_f32_e32 v41, v16, v14
	v_sub_f32_e32 v12, v12, v41
	v_mul_f32_e32 v12, 0x3fb8aa3b, v12
	v_exp_f32_e32 v52, v12
	v_sub_f32_e32 v12, v13, v41
	v_mul_f32_e32 v12, 0x3fb8aa3b, v12
	v_exp_f32_e32 v53, v12
	global_load_dwordx4 v[14:17], v[10:11], off
	s_nop 0
	global_load_dwordx4 v[10:13], v[10:11], off offset:16
	v_sub_f32_e32 v50, v50, v41
	v_mul_f32_e32 v50, 0x3fb8aa3b, v50
	v_sub_f32_e32 v51, v51, v41
	v_exp_f32_e32 v50, v50
	v_mul_f32_e32 v51, 0x3fb8aa3b, v51
	v_sub_f32_e32 v48, v48, v41
	v_exp_f32_e32 v51, v51
	v_mul_f32_e32 v48, 0x3fb8aa3b, v48
	v_sub_f32_e32 v49, v49, v41
	v_cndmask_b32_e64 v52, 0, v52, s[4:5]
	v_exp_f32_e32 v48, v48
	v_mul_f32_e32 v49, 0x3fb8aa3b, v49
	v_sub_f32_e32 v46, v46, v41
	v_add_f32_e32 v59, 0, v52
	v_cndmask_b32_e64 v53, 0, v53, s[34:35]
	v_exp_f32_e32 v49, v49
	v_mul_f32_e32 v46, 0x3fb8aa3b, v46
	v_sub_f32_e32 v47, v47, v41
	v_add_f32_e32 v59, v59, v53
	;; [unrolled: 5-line block ×10, first 2 shown]
	v_cndmask_b32_e64 v42, 0, v42, s[12:13]
	v_exp_f32_e32 v34, v34
	v_mul_f32_e32 v35, 0x3fb8aa3b, v35
	v_add_f32_e32 v59, v59, v42
	v_cndmask_b32_e64 v43, 0, v43, s[14:15]
	v_exp_f32_e32 v35, v35
	v_add_f32_e32 v59, v59, v43
	v_cndmask_b32_e64 v36, 0, v36, s[8:9]
	v_add_f32_e32 v59, v59, v36
	v_cndmask_b32_e64 v37, 0, v37, s[10:11]
	v_add_f32_e32 v59, v59, v37
	v_cndmask_b32_e32 v34, 0, v34, vcc
	v_add_f32_e32 v59, v59, v34
	v_cndmask_b32_e64 v35, 0, v35, s[6:7]
	v_add_f32_e32 v59, v59, v35
	ds_bpermute_b32 v58, v58, v59
	v_cmp_gt_u32_e32 vcc, 16, v57
	s_waitcnt lgkmcnt(0)
	s_barrier
	v_add_f32_e32 v59, v59, v58
	ds_bpermute_b32 v60, v60, v59
	v_lshlrev_b32_e32 v58, 2, v54
	s_and_saveexec_b64 s[4:5], vcc
	s_cbranch_execz .LBB167_15
; %bb.14:
	s_waitcnt lgkmcnt(0)
	v_add_f32_e32 v57, v59, v60
	v_lshl_or_b32 v59, v56, 6, v58
	ds_write2st64_b32 v59, v41, v57 offset1:1
.LBB167_15:
	s_or_b64 exec, exec, s[4:5]
	s_load_dword s6, s[0:1], 0x94
	s_waitcnt lgkmcnt(0)
	s_barrier
	ds_read2_b32 v[60:61], v58 offset1:16
	ds_read2_b32 v[62:63], v58 offset0:32 offset1:48
	ds_read2_b32 v[64:65], v58 offset0:64 offset1:80
	s_lshl_b32 s7, s33, 4
	s_waitcnt lgkmcnt(2)
	v_max3_f32 v41, v60, s42, v61
	s_waitcnt lgkmcnt(1)
	v_max3_f32 v57, v41, v62, v63
	v_sub_f32_e32 v41, v60, v57
	v_mul_f32_e32 v41, 0x3fb8aa3b, v41
	v_sub_f32_e32 v59, v61, v57
	v_sub_f32_e32 v60, v62, v57
	v_exp_f32_e32 v41, v41
	v_mul_f32_e32 v59, 0x3fb8aa3b, v59
	v_mul_f32_e32 v60, 0x3fb8aa3b, v60
	v_exp_f32_e32 v59, v59
	v_exp_f32_e32 v62, v60
	ds_read2_b32 v[60:61], v58 offset0:96 offset1:112
	v_sub_f32_e32 v58, v63, v57
	v_mul_f32_e32 v58, 0x3fb8aa3b, v58
	v_exp_f32_e32 v63, v58
	s_waitcnt lgkmcnt(1)
	v_fma_f32 v58, v41, v64, 0
	v_fmac_f32_e32 v58, v59, v65
	s_waitcnt lgkmcnt(0)
	v_fmac_f32_e32 v58, v62, v60
	v_fmac_f32_e32 v58, v63, v61
	v_add_f32_e32 v60, 0x358637bd, v58
	v_div_scale_f32 v61, s[4:5], v60, v60, 1.0
	v_rcp_f32_e32 v64, v61
	s_barrier
	v_fma_f32 v65, -v61, v64, 1.0
	v_fmac_f32_e32 v64, v65, v64
	v_div_scale_f32 v65, vcc, 1.0, v60, 1.0
	v_mul_f32_e32 v66, v65, v64
	v_fma_f32 v67, -v61, v66, v65
	v_fmac_f32_e32 v66, v67, v64
	v_fma_f32 v61, -v61, v66, v65
	v_div_fmas_f32 v61, v61, v64, v66
	v_cmp_eq_u32_e32 vcc, 1, v56
	v_div_fixup_f32 v60, v61, v60, 1.0
	s_nop 0
	v_cndmask_b32_e32 v41, v41, v59, vcc
	v_cmp_eq_u32_e32 vcc, 2, v56
	s_nop 1
	v_cndmask_b32_e32 v41, v41, v62, vcc
	v_cmp_eq_u32_e32 vcc, 3, v56
	s_nop 1
	v_cndmask_b32_e32 v41, v41, v63, vcc
	v_mul_f32_e32 v60, v41, v60
	v_pk_mul_f32 v[50:51], v[60:61], v[50:51] op_sel_hi:[0,1]
	v_pk_mul_f32 v[52:53], v[60:61], v[52:53] op_sel_hi:[0,1]
	v_cvt_f16_f32_e32 v41, v52
	v_cvt_f16_f32_e32 v52, v53
	;; [unrolled: 1-line block ×4, first 2 shown]
	v_pk_mul_f32 v[46:47], v[60:61], v[46:47] op_sel_hi:[0,1]
	v_pk_mul_f32 v[48:49], v[60:61], v[48:49] op_sel_hi:[0,1]
	v_cvt_f16_f32_e32 v48, v48
	v_pack_b32_f16 v51, v53, v51
	v_cvt_f16_f32_e32 v49, v49
	v_cvt_f16_f32_e32 v53, v46
	;; [unrolled: 1-line block ×3, first 2 shown]
	v_pack_b32_f16 v50, v41, v52
	v_lshlrev_b32_e32 v41, 3, v1
	v_lshlrev_b32_e32 v52, 5, v54
	;; [unrolled: 1-line block ×3, first 2 shown]
	v_pk_mul_f32 v[42:43], v[60:61], v[42:43] op_sel_hi:[0,1]
	v_pk_mul_f32 v[44:45], v[60:61], v[44:45] op_sel_hi:[0,1]
	;; [unrolled: 1-line block ×4, first 2 shown]
	v_or3_b32 v46, v46, v52, v41
	v_pack_b32_f16 v48, v48, v49
	v_pack_b32_f16 v49, v53, v47
	v_cvt_f16_f32_e32 v41, v44
	v_cvt_f16_f32_e32 v44, v45
	v_cvt_f16_f32_e32 v42, v42
	v_cvt_f16_f32_e32 v43, v43
	v_cvt_f16_f32_e32 v36, v36
	v_cvt_f16_f32_e32 v37, v37
	v_cvt_f16_f32_e32 v45, v34
	v_cvt_f16_f32_e32 v47, v35
	v_pack_b32_f16 v34, v41, v44
	v_pack_b32_f16 v35, v42, v43
	;; [unrolled: 1-line block ×4, first 2 shown]
	v_cmp_gt_u32_e32 vcc, 16, v0
	ds_write2st64_b64 v46, v[50:51], v[48:49] offset1:1
	ds_write2st64_b64 v46, v[34:35], v[36:37] offset0:2 offset1:3
	s_and_saveexec_b64 s[4:5], vcc
	s_cbranch_execz .LBB167_17
; %bb.16:
	v_mov_b32_e32 v41, 0
	v_mov_b32_e32 v34, s7
	s_mul_i32 s3, s3, s7
	v_mad_u64_u32 v[34:35], s[12:13], s2, v34, v[40:41]
	v_mov_b32_e32 v40, s28
	s_load_dwordx4 s[8:11], s[0:1], 0x58
	v_add_u32_e32 v37, s3, v35
	v_mad_u64_u32 v[34:35], s[12:13], v34, s6, v[40:41]
	v_mov_b32_e32 v36, v35
	v_mad_u64_u32 v[36:37], s[12:13], v37, s6, v[36:37]
	v_mov_b32_e32 v35, v36
	v_lshlrev_b64 v[34:35], 2, v[34:35]
	s_waitcnt lgkmcnt(0)
	v_lshl_add_u64 v[36:37], s[10:11], 0, v[34:35]
	v_lshl_add_u64 v[34:35], s[8:9], 0, v[34:35]
	global_store_dword v[36:37], v57, off
	global_store_dword v[34:35], v58, off
.LBB167_17:
	s_or_b64 exec, exec, s[4:5]
	s_waitcnt lgkmcnt(0)
	s_barrier
	ds_read_b128 v[34:37], v55
	ds_read_b128 v[40:43], v55 offset:16
	s_waitcnt vmcnt(7) lgkmcnt(1)
	v_mfma_f32_16x16x16_f16 v[48:51], v[6:7], v[34:35], 0
	v_cmp_gt_u32_e32 vcc, 64, v0
	s_mov_b32 s3, 0
	s_and_b64 s[4:5], vcc, s[30:31]
	v_mfma_f32_16x16x16_f16 v[6:9], v[8:9], v[36:37], v[48:51]
	s_waitcnt vmcnt(6) lgkmcnt(0)
	v_mfma_f32_16x16x16_f16 v[6:9], v[2:3], v[40:41], v[6:9]
	v_mfma_f32_16x16x16_f16 v[2:5], v[4:5], v[42:43], v[6:9]
	s_nop 5
	ds_read_b128 v[6:9], v55 offset:2048
	ds_read_b128 v[34:37], v55 offset:2064
	s_waitcnt vmcnt(5) lgkmcnt(1)
	v_mfma_f32_16x16x16_f16 v[2:5], v[30:31], v[6:7], v[2:5]
	v_mfma_f32_16x16x16_f16 v[2:5], v[32:33], v[8:9], v[2:5]
	s_waitcnt vmcnt(4) lgkmcnt(0)
	v_mfma_f32_16x16x16_f16 v[2:5], v[26:27], v[34:35], v[2:5]
	v_mfma_f32_16x16x16_f16 v[2:5], v[28:29], v[36:37], v[2:5]
	ds_read_b128 v[6:9], v55 offset:4096
	ds_read_b128 v[26:29], v55 offset:4112
	s_waitcnt vmcnt(3) lgkmcnt(1)
	v_mfma_f32_16x16x16_f16 v[2:5], v[22:23], v[6:7], v[2:5]
	v_mfma_f32_16x16x16_f16 v[2:5], v[24:25], v[8:9], v[2:5]
	s_waitcnt vmcnt(2) lgkmcnt(0)
	v_mfma_f32_16x16x16_f16 v[2:5], v[18:19], v[26:27], v[2:5]
	v_mfma_f32_16x16x16_f16 v[2:5], v[20:21], v[28:29], v[2:5]
	ds_read_b128 v[6:9], v55 offset:6144
	ds_read_b128 v[18:21], v55 offset:6160
	s_waitcnt lgkmcnt(0)
	s_barrier
	s_waitcnt vmcnt(1)
	v_mfma_f32_16x16x16_f16 v[2:5], v[14:15], v[6:7], v[2:5]
	v_mfma_f32_16x16x16_f16 v[2:5], v[16:17], v[8:9], v[2:5]
	s_waitcnt vmcnt(0)
	v_mfma_f32_16x16x16_f16 v[2:5], v[10:11], v[18:19], v[2:5]
	v_mfma_f32_16x16x16_f16 v[2:5], v[12:13], v[20:21], v[2:5]
	s_nop 6
	v_cvt_f16_f32_e32 v2, v2
	v_cvt_f16_f32_e32 v3, v3
	;; [unrolled: 1-line block ×4, first 2 shown]
	v_pack_b32_f16 v2, v2, v3
	v_pack_b32_f16 v3, v4, v5
	ds_write_b64 v46, v[2:3]
	s_waitcnt lgkmcnt(0)
	s_barrier
	s_and_saveexec_b64 s[8:9], s[4:5]
	s_cbranch_execz .LBB167_19
; %bb.18:
	s_load_dwordx2 s[0:1], s[0:1], 0x68
	s_lshl_b32 s6, s6, 6
	s_mul_i32 s2, s7, s2
	s_mul_hi_u32 s5, s2, s6
	s_mul_i32 s4, s2, s6
	s_lshl_b64 s[4:5], s[4:5], 1
	s_waitcnt lgkmcnt(0)
	s_add_u32 s4, s0, s4
	s_addc_u32 s5, s1, s5
	s_lshl_b32 s2, s28, 6
	v_lshlrev_b32_e32 v2, 10, v0
	v_lshlrev_b32_e32 v0, 4, v0
	s_lshl_b64 s[0:1], s[2:3], 1
	v_and_b32_e32 v2, 0x1800, v2
	v_lshlrev_b32_e32 v3, 5, v1
	v_and_b32_e32 v0, 16, v0
	s_add_u32 s0, s4, s0
	v_or3_b32 v0, v2, v3, v0
	s_addc_u32 s1, s5, s1
	v_or_b32_e32 v20, s29, v1
	ds_read_b128 v[2:5], v0
	ds_read_b128 v[6:9], v0 offset:128
	ds_read_b128 v[10:13], v0 offset:256
	;; [unrolled: 1-line block ×3, first 2 shown]
	v_lshl_add_u64 v[18:19], v[38:39], 1, s[0:1]
	v_mad_u64_u32 v[0:1], s[0:1], v20, s6, 0
	v_lshl_add_u64 v[0:1], v[0:1], 1, v[18:19]
	s_waitcnt lgkmcnt(3)
	global_store_dwordx4 v[0:1], v[2:5], off
	v_or_b32_e32 v0, 4, v20
	v_mad_u64_u32 v[0:1], s[0:1], v0, s6, 0
	v_lshl_add_u64 v[0:1], v[0:1], 1, v[18:19]
	s_waitcnt lgkmcnt(2)
	global_store_dwordx4 v[0:1], v[6:9], off
	v_or_b32_e32 v0, 8, v20
	;; [unrolled: 5-line block ×3, first 2 shown]
	v_mad_u64_u32 v[0:1], s[0:1], v0, s6, 0
	v_lshl_add_u64 v[0:1], v[0:1], 1, v[18:19]
	s_waitcnt lgkmcnt(0)
	global_store_dwordx4 v[0:1], v[14:17], off
.LBB167_19:
	s_endpgm
	.section	.rodata,"a",@progbits
	.p2align	6, 0x0
	.amdhsa_kernel _Z39paged_attention_ll4mi_QKV_mfma16_kernelIDF16_DF16_LN4vllm18Fp8KVCacheDataTypeE0EDF16_Li32ELi64ELi256ELb1ELi16EEvPKT_PKT0_S7_ifPKiS9_S9_iPKfiiiPfSC_PS2_PT2_iSB_SB_
		.amdhsa_group_segment_fixed_size 8192
		.amdhsa_private_segment_fixed_size 0
		.amdhsa_kernarg_size 400
		.amdhsa_user_sgpr_count 2
		.amdhsa_user_sgpr_dispatch_ptr 0
		.amdhsa_user_sgpr_queue_ptr 0
		.amdhsa_user_sgpr_kernarg_segment_ptr 1
		.amdhsa_user_sgpr_dispatch_id 0
		.amdhsa_user_sgpr_kernarg_preload_length 0
		.amdhsa_user_sgpr_kernarg_preload_offset 0
		.amdhsa_user_sgpr_private_segment_size 0
		.amdhsa_uses_dynamic_stack 0
		.amdhsa_enable_private_segment 0
		.amdhsa_system_sgpr_workgroup_id_x 1
		.amdhsa_system_sgpr_workgroup_id_y 1
		.amdhsa_system_sgpr_workgroup_id_z 1
		.amdhsa_system_sgpr_workgroup_info 0
		.amdhsa_system_vgpr_workitem_id 0
		.amdhsa_next_free_vgpr 68
		.amdhsa_next_free_sgpr 48
		.amdhsa_accum_offset 68
		.amdhsa_reserve_vcc 1
		.amdhsa_float_round_mode_32 0
		.amdhsa_float_round_mode_16_64 0
		.amdhsa_float_denorm_mode_32 3
		.amdhsa_float_denorm_mode_16_64 3
		.amdhsa_dx10_clamp 1
		.amdhsa_ieee_mode 1
		.amdhsa_fp16_overflow 0
		.amdhsa_tg_split 0
		.amdhsa_exception_fp_ieee_invalid_op 0
		.amdhsa_exception_fp_denorm_src 0
		.amdhsa_exception_fp_ieee_div_zero 0
		.amdhsa_exception_fp_ieee_overflow 0
		.amdhsa_exception_fp_ieee_underflow 0
		.amdhsa_exception_fp_ieee_inexact 0
		.amdhsa_exception_int_div_zero 0
	.end_amdhsa_kernel
	.section	.text._Z39paged_attention_ll4mi_QKV_mfma16_kernelIDF16_DF16_LN4vllm18Fp8KVCacheDataTypeE0EDF16_Li32ELi64ELi256ELb1ELi16EEvPKT_PKT0_S7_ifPKiS9_S9_iPKfiiiPfSC_PS2_PT2_iSB_SB_,"axG",@progbits,_Z39paged_attention_ll4mi_QKV_mfma16_kernelIDF16_DF16_LN4vllm18Fp8KVCacheDataTypeE0EDF16_Li32ELi64ELi256ELb1ELi16EEvPKT_PKT0_S7_ifPKiS9_S9_iPKfiiiPfSC_PS2_PT2_iSB_SB_,comdat
.Lfunc_end167:
	.size	_Z39paged_attention_ll4mi_QKV_mfma16_kernelIDF16_DF16_LN4vllm18Fp8KVCacheDataTypeE0EDF16_Li32ELi64ELi256ELb1ELi16EEvPKT_PKT0_S7_ifPKiS9_S9_iPKfiiiPfSC_PS2_PT2_iSB_SB_, .Lfunc_end167-_Z39paged_attention_ll4mi_QKV_mfma16_kernelIDF16_DF16_LN4vllm18Fp8KVCacheDataTypeE0EDF16_Li32ELi64ELi256ELb1ELi16EEvPKT_PKT0_S7_ifPKiS9_S9_iPKfiiiPfSC_PS2_PT2_iSB_SB_
                                        ; -- End function
	.section	.AMDGPU.csdata,"",@progbits
; Kernel info:
; codeLenInByte = 4176
; NumSgprs: 54
; NumVgprs: 68
; NumAgprs: 0
; TotalNumVgprs: 68
; ScratchSize: 0
; MemoryBound: 0
; FloatMode: 240
; IeeeMode: 1
; LDSByteSize: 8192 bytes/workgroup (compile time only)
; SGPRBlocks: 6
; VGPRBlocks: 8
; NumSGPRsForWavesPerEU: 54
; NumVGPRsForWavesPerEU: 68
; AccumOffset: 68
; Occupancy: 7
; WaveLimiterHint : 1
; COMPUTE_PGM_RSRC2:SCRATCH_EN: 0
; COMPUTE_PGM_RSRC2:USER_SGPR: 2
; COMPUTE_PGM_RSRC2:TRAP_HANDLER: 0
; COMPUTE_PGM_RSRC2:TGID_X_EN: 1
; COMPUTE_PGM_RSRC2:TGID_Y_EN: 1
; COMPUTE_PGM_RSRC2:TGID_Z_EN: 1
; COMPUTE_PGM_RSRC2:TIDIG_COMP_CNT: 0
; COMPUTE_PGM_RSRC3_GFX90A:ACCUM_OFFSET: 16
; COMPUTE_PGM_RSRC3_GFX90A:TG_SPLIT: 0
	.section	.text._Z39paged_attention_ll4mi_QKV_mfma16_kernelIDF16_DF16_LN4vllm18Fp8KVCacheDataTypeE0EDF16_Li32ELi64ELi256ELb1ELi1EEvPKT_PKT0_S7_ifPKiS9_S9_iPKfiiiPfSC_PS2_PT2_iSB_SB_,"axG",@progbits,_Z39paged_attention_ll4mi_QKV_mfma16_kernelIDF16_DF16_LN4vllm18Fp8KVCacheDataTypeE0EDF16_Li32ELi64ELi256ELb1ELi1EEvPKT_PKT0_S7_ifPKiS9_S9_iPKfiiiPfSC_PS2_PT2_iSB_SB_,comdat
	.protected	_Z39paged_attention_ll4mi_QKV_mfma16_kernelIDF16_DF16_LN4vllm18Fp8KVCacheDataTypeE0EDF16_Li32ELi64ELi256ELb1ELi1EEvPKT_PKT0_S7_ifPKiS9_S9_iPKfiiiPfSC_PS2_PT2_iSB_SB_ ; -- Begin function _Z39paged_attention_ll4mi_QKV_mfma16_kernelIDF16_DF16_LN4vllm18Fp8KVCacheDataTypeE0EDF16_Li32ELi64ELi256ELb1ELi1EEvPKT_PKT0_S7_ifPKiS9_S9_iPKfiiiPfSC_PS2_PT2_iSB_SB_
	.globl	_Z39paged_attention_ll4mi_QKV_mfma16_kernelIDF16_DF16_LN4vllm18Fp8KVCacheDataTypeE0EDF16_Li32ELi64ELi256ELb1ELi1EEvPKT_PKT0_S7_ifPKiS9_S9_iPKfiiiPfSC_PS2_PT2_iSB_SB_
	.p2align	8
	.type	_Z39paged_attention_ll4mi_QKV_mfma16_kernelIDF16_DF16_LN4vllm18Fp8KVCacheDataTypeE0EDF16_Li32ELi64ELi256ELb1ELi1EEvPKT_PKT0_S7_ifPKiS9_S9_iPKfiiiPfSC_PS2_PT2_iSB_SB_,@function
_Z39paged_attention_ll4mi_QKV_mfma16_kernelIDF16_DF16_LN4vllm18Fp8KVCacheDataTypeE0EDF16_Li32ELi64ELi256ELb1ELi1EEvPKT_PKT0_S7_ifPKiS9_S9_iPKfiiiPfSC_PS2_PT2_iSB_SB_: ; @_Z39paged_attention_ll4mi_QKV_mfma16_kernelIDF16_DF16_LN4vllm18Fp8KVCacheDataTypeE0EDF16_Li32ELi64ELi256ELb1ELi1EEvPKT_PKT0_S7_ifPKiS9_S9_iPKfiiiPfSC_PS2_PT2_iSB_SB_
; %bb.0:
	s_load_dwordx2 s[6:7], s[0:1], 0x30
	s_mov_b32 s30, s3
	s_mov_b64 s[10:11], 0
	s_waitcnt lgkmcnt(0)
	s_cmp_lg_u64 s[6:7], 0
	s_cselect_b64 s[8:9], -1, 0
	s_and_b64 vcc, exec, s[8:9]
	s_cbranch_vccz .LBB168_7
; %bb.1:
	s_add_i32 s12, s2, 1
	s_mov_b32 s13, 0
	s_lshl_b64 s[14:15], s[12:13], 2
	s_add_u32 s14, s6, s14
	s_mov_b32 s3, s13
	s_addc_u32 s15, s7, s15
	s_lshl_b64 s[12:13], s[2:3], 2
	s_add_u32 s12, s6, s12
	s_addc_u32 s13, s7, s13
	s_load_dword s5, s[14:15], 0x0
	s_load_dword s16, s[12:13], 0x0
	s_waitcnt lgkmcnt(0)
	s_sub_i32 s5, s5, s16
	s_cmp_eq_u32 s5, 1
	s_cselect_b64 s[12:13], -1, 0
	s_andn2_b64 vcc, exec, s[10:11]
	s_cbranch_vccnz .LBB168_3
.LBB168_2:
	s_mov_b32 s3, 0
	s_mov_b64 s[12:13], -1
.LBB168_3:
	s_andn2_b64 vcc, exec, s[12:13]
	s_cbranch_vccnz .LBB168_21
; %bb.4:
	s_load_dwordx2 s[10:11], s[0:1], 0x28
	s_lshl_b64 s[12:13], s[2:3], 2
	s_waitcnt lgkmcnt(0)
	s_add_u32 s10, s10, s12
	s_addc_u32 s11, s11, s13
	s_load_dword s31, s[10:11], 0x0
	s_lshl_b32 s16, s30, 8
	s_waitcnt lgkmcnt(0)
	s_cmp_ge_i32 s16, s31
	s_cbranch_scc1 .LBB168_21
; %bb.5:
	s_load_dwordx2 s[10:11], s[0:1], 0x20
	s_load_dword s5, s[0:1], 0x38
	s_add_i32 s14, s31, 31
	s_ashr_i32 s15, s14, 31
	v_and_b32_e32 v1, 0xcf, v0
	s_lshr_b32 s15, s15, 27
	v_add_u32_e32 v1, s16, v1
	s_add_i32 s14, s14, s15
	v_ashrrev_i32_e32 v2, 31, v1
	s_ashr_i32 s17, s14, 5
	v_lshrrev_b32_e32 v6, 27, v2
	s_add_i32 s17, s17, -1
	s_waitcnt lgkmcnt(0)
	s_mul_i32 s14, s2, s5
	s_mov_b32 s15, 0
	v_add_u32_e32 v2, v1, v6
	s_lshl_b64 s[14:15], s[14:15], 2
	v_ashrrev_i32_e32 v2, 5, v2
	v_mov_b32_e32 v7, s17
	v_cmp_gt_i32_e32 vcc, s31, v1
	s_add_u32 s10, s10, s14
	s_addc_u32 s11, s11, s15
	v_cndmask_b32_e32 v2, v7, v2, vcc
	v_ashrrev_i32_e32 v3, 31, v2
	v_lshl_add_u64 v[4:5], v[2:3], 2, s[10:11]
	v_or_b32_e32 v2, 16, v1
	v_add_u32_e32 v3, v2, v6
	v_ashrrev_i32_e32 v3, 5, v3
	v_cmp_gt_i32_e32 vcc, s31, v2
	s_nop 1
	v_cndmask_b32_e32 v2, v7, v3, vcc
	v_ashrrev_i32_e32 v3, 31, v2
	v_lshl_add_u64 v[8:9], v[2:3], 2, s[10:11]
	v_or_b32_e32 v2, 32, v1
	v_add_u32_e32 v3, v2, v6
	v_ashrrev_i32_e32 v3, 5, v3
	v_cmp_gt_i32_e32 vcc, s31, v2
	v_or_b32_e32 v1, 48, v1
	s_nop 0
	v_cndmask_b32_e32 v2, v7, v3, vcc
	v_ashrrev_i32_e32 v3, 31, v2
	v_lshl_add_u64 v[12:13], v[2:3], 2, s[10:11]
	v_add_u32_e32 v2, v1, v6
	v_ashrrev_i32_e32 v2, 5, v2
	v_cmp_gt_i32_e32 vcc, s31, v1
	s_nop 1
	v_cndmask_b32_e32 v2, v7, v2, vcc
	v_ashrrev_i32_e32 v3, 31, v2
	v_lshl_add_u64 v[16:17], v[2:3], 2, s[10:11]
	global_load_dword v2, v[4:5], off
	global_load_dword v6, v[8:9], off
	;; [unrolled: 1-line block ×4, first 2 shown]
	s_andn2_b64 vcc, exec, s[8:9]
	s_cbranch_vccnz .LBB168_8
; %bb.6:
	s_add_u32 s6, s6, s12
	s_addc_u32 s7, s7, s13
	s_load_dword s5, s[6:7], 0x0
	s_branch .LBB168_9
.LBB168_7:
	s_mov_b64 s[12:13], 0
	s_branch .LBB168_2
.LBB168_8:
	s_mov_b32 s5, s2
.LBB168_9:
	s_load_dwordx2 s[14:15], s[0:1], 0x8
	s_load_dwordx4 s[44:47], s[0:1], 0x48
	v_lshrrev_b32_e32 v52, 6, v0
	v_bfe_u32 v1, v0, 4, 2
	v_lshl_or_b32 v3, v52, 2, v1
	v_and_b32_e32 v53, 15, v0
	v_cmp_ne_u32_e32 vcc, 0, v3
	v_cmp_lt_u32_e64 s[8:9], 7, v53
	v_lshlrev_b32_e32 v42, 3, v53
	v_cmp_gt_u32_e64 s[6:7], 8, v53
	s_or_b64 s[8:9], s[8:9], vcc
	s_and_saveexec_b64 s[12:13], s[8:9]
	s_xor_b64 s[8:9], exec, s[12:13]
; %bb.10:
	v_mov_b32_e32 v43, 0
; %bb.11:
	s_or_saveexec_b64 s[12:13], s[8:9]
	s_load_dwordx2 s[8:9], s[0:1], 0x10
	s_xor_b64 exec, exec, s[12:13]
	s_cbranch_execz .LBB168_13
; %bb.12:
	s_load_dwordx2 s[18:19], s[0:1], 0x0
	s_waitcnt lgkmcnt(0)
	s_ashr_i32 s20, s44, 31
	s_mul_hi_u32 s21, s5, s44
	s_mul_i32 s20, s5, s20
	s_add_i32 s21, s21, s20
	s_mul_i32 s20, s5, s44
	s_lshl_b64 s[20:21], s[20:21], 1
	s_add_u32 s5, s18, s20
	s_addc_u32 s20, s19, s21
	s_lshl_b32 s18, s4, 6
	s_ashr_i32 s19, s18, 31
	s_lshl_b64 s[18:19], s[18:19], 1
	s_add_u32 s18, s5, s18
	s_addc_u32 s19, s20, s19
	v_lshlrev_b32_e32 v3, 1, v42
	global_load_dwordx4 v[16:19], v3, s[18:19]
	v_and_b32_e32 v3, 3, v0
	v_lshlrev_b32_e32 v4, 9, v53
	v_lshlrev_b32_e32 v3, 9, v3
	s_movk_i32 s5, 0x1800
	v_mov_b32_e32 v43, 0
	v_and_or_b32 v3, v4, s5, v3
	s_waitcnt vmcnt(0)
	ds_write_b128 v3, v[16:19]
.LBB168_13:
	s_or_b64 exec, exec, s[12:13]
	s_waitcnt lgkmcnt(0)
	s_mul_i32 s12, s4, s46
	s_mov_b32 s13, 0
	s_lshl_b64 s[12:13], s[12:13], 1
	s_add_u32 s14, s14, s12
	s_addc_u32 s15, s15, s13
	s_waitcnt vmcnt(3)
	v_mad_i64_i32 v[2:3], s[18:19], v2, s45, 0
	v_lshl_add_u64 v[2:3], v[2:3], 1, s[14:15]
	v_lshlrev_b64 v[12:13], 1, v[42:43]
	v_lshlrev_b32_e32 v44, 9, v1
	v_lshl_add_u64 v[2:3], v[2:3], 0, v[12:13]
	v_mov_b32_e32 v45, 0
	v_lshl_add_u64 v[8:9], v[2:3], 0, v[44:45]
	s_barrier
	global_load_dwordx4 v[22:25], v[8:9], off
	global_load_dwordx4 v[2:5], v[8:9], off offset:2048
	s_waitcnt vmcnt(4)
	v_mad_i64_i32 v[6:7], s[18:19], v6, s45, 0
	v_mov_b32_e32 v8, 0x100
	v_lshl_add_u64 v[6:7], v[6:7], 1, s[14:15]
	v_lshl_or_b32 v16, v53, 4, v8
	v_mov_b32_e32 v17, v45
	s_waitcnt vmcnt(3)
	v_mad_i64_i32 v[10:11], s[18:19], v10, s45, 0
	v_lshl_add_u64 v[6:7], v[6:7], 0, v[16:17]
	v_lshl_add_u64 v[10:11], v[10:11], 1, s[14:15]
	s_waitcnt vmcnt(2)
	v_mad_i64_i32 v[14:15], s[18:19], v14, s45, 0
	v_lshl_add_u64 v[18:19], v[6:7], 0, v[44:45]
	v_lshl_add_u64 v[10:11], v[10:11], 0, v[12:13]
	;; [unrolled: 1-line block ×3, first 2 shown]
	global_load_dwordx4 v[26:29], v[18:19], off
	global_load_dwordx4 v[6:9], v[18:19], off offset:2048
	v_lshl_add_u64 v[18:19], v[10:11], 0, v[44:45]
	v_lshl_add_u64 v[14:15], v[14:15], 0, v[16:17]
	global_load_dwordx4 v[30:33], v[18:19], off
	global_load_dwordx4 v[10:13], v[18:19], off offset:2048
	v_lshl_add_u64 v[18:19], v[14:15], 0, v[44:45]
	global_load_dwordx4 v[34:37], v[18:19], off
	global_load_dwordx4 v[14:17], v[18:19], off offset:2048
	ds_read_b128 v[38:41], v44
	ds_read_b128 v[18:21], v44 offset:2048
	v_and_b32_e32 v54, 63, v0
	v_cmp_eq_u32_e32 vcc, 0, v53
	v_mov_b32_e32 v48, 0
	s_and_saveexec_b64 s[14:15], vcc
	s_cbranch_execz .LBB168_15
; %bb.14:
	s_load_dwordx2 s[18:19], s[0:1], 0x40
	s_ashr_i32 s5, s4, 31
	s_lshl_b64 s[20:21], s[4:5], 2
	s_waitcnt lgkmcnt(0)
	s_add_u32 s18, s18, s20
	s_addc_u32 s19, s19, s21
	s_load_dword s5, s[18:19], 0x0
	s_waitcnt lgkmcnt(0)
	v_mov_b32_e32 v48, s5
.LBB168_15:
	s_or_b64 exec, exec, s[14:15]
	s_ashr_i32 s5, s16, 31
	v_and_or_b32 v44, v0, 48, s16
	s_lshr_b32 s5, s5, 27
	v_add_u32_e32 v46, s5, v44
	v_or_b32_e32 v50, 64, v44
	v_ashrrev_i32_e32 v46, 5, v46
	v_mov_b32_e32 v49, s17
	v_cmp_gt_i32_e32 vcc, s31, v44
	v_add_u32_e32 v51, s5, v50
	s_waitcnt vmcnt(7) lgkmcnt(1)
	v_mfma_f32_16x16x16_f16 v[56:59], v[22:23], v[38:39], 0
	v_cndmask_b32_e32 v46, v49, v46, vcc
	v_ashrrev_i32_e32 v22, 5, v51
	v_cmp_gt_i32_e32 vcc, s31, v50
	v_ashrrev_i32_e32 v47, 31, v46
	v_lshl_add_u64 v[46:47], v[46:47], 2, s[10:11]
	v_cndmask_b32_e32 v22, v49, v22, vcc
	v_ashrrev_i32_e32 v23, 31, v22
	v_lshl_add_u64 v[22:23], v[22:23], 2, s[10:11]
	global_load_dword v55, v[46:47], off
	global_load_dword v72, v[22:23], off
	s_waitcnt vmcnt(3)
	v_mfma_f32_16x16x16_f16 v[68:71], v[34:35], v[38:39], 0
	v_or_b32_e32 v46, 0xc0, v44
	v_add_u32_e32 v50, s5, v46
	s_add_u32 s8, s8, s12
	v_mfma_f32_16x16x16_f16 v[60:63], v[26:27], v[38:39], 0
	s_addc_u32 s9, s9, s13
	s_load_dword s14, s[0:1], 0x1c
	v_mfma_f32_16x16x16_f16 v[64:67], v[30:31], v[38:39], 0
	v_and_b32_e32 v31, 0xc0, v0
	v_or_b32_e32 v38, 0x80, v44
	v_add_u32_e32 v34, s16, v31
	v_mfma_f32_16x16x16_f16 v[22:25], v[24:25], v[40:41], v[56:59]
	v_and_b32_e32 v30, 16, v0
	v_add_u32_e32 v47, s5, v38
	v_lshlrev_b32_e32 v44, 1, v30
	v_lshl_or_b32 v56, v1, 2, v34
	v_mfma_f32_16x16x16_f16 v[34:37], v[36:37], v[40:41], v[68:71]
	v_cmp_gt_i32_e32 vcc, s31, v38
	v_lshlrev_b32_e32 v39, 6, v53
	v_or_b32_e32 v57, 1, v56
	v_mfma_f32_16x16x16_f16 v[26:29], v[28:29], v[40:41], v[60:63]
	v_cmp_gt_i32_e64 s[34:35], s31, v56
	v_cmp_gt_i32_e64 s[36:37], s31, v57
	s_mov_b32 s5, 0xff7fffff
	v_mfma_f32_16x16x16_f16 v[30:33], v[32:33], v[40:41], v[64:67]
	v_ashrrev_i32_e32 v40, 5, v47
	v_ashrrev_i32_e32 v41, 5, v50
	v_cndmask_b32_e32 v38, v49, v40, vcc
	v_cmp_gt_i32_e32 vcc, s31, v46
	s_waitcnt lgkmcnt(0)
	v_mfma_f32_16x16x16_f16 v[22:25], v[2:3], v[18:19], v[22:25]
	v_lshl_add_u64 v[2:3], s[8:9], 0, v[44:45]
	v_cndmask_b32_e32 v40, v49, v41, vcc
	v_lshl_or_b32 v44, v52, 10, v39
	v_ashrrev_i32_e32 v39, 31, v38
	v_ashrrev_i32_e32 v41, 31, v40
	s_waitcnt vmcnt(2)
	v_mfma_f32_16x16x16_f16 v[34:37], v[14:15], v[18:19], v[34:37]
	v_lshl_add_u64 v[14:15], v[38:39], 2, s[10:11]
	v_subrev_u32_e32 v49, s31, v57
	v_cvt_f32_i32_e32 v58, v49
	v_mfma_f32_16x16x16_f16 v[26:29], v[6:7], v[18:19], v[26:29]
	v_mfma_f32_16x16x16_f16 v[30:33], v[10:11], v[18:19], v[30:33]
	v_lshl_add_u64 v[18:19], v[40:41], 2, s[10:11]
	global_load_dword v59, v[14:15], off
	global_load_dword v60, v[18:19], off
	v_lshl_add_u64 v[10:11], v[2:3], 0, v[44:45]
	v_mfma_f32_16x16x16_f16 v[2:5], v[4:5], v[20:21], v[22:25]
	v_add_u32_e32 v44, 1, v49
	v_add_u32_e32 v45, 3, v49
	;; [unrolled: 1-line block ×3, first 2 shown]
	v_mfma_f32_16x16x16_f16 v[14:17], v[16:17], v[20:21], v[34:37]
	v_add_u32_e32 v22, 2, v49
	s_nop 1
	v_pk_mul_f32 v[50:51], s[14:15], v[4:5] op_sel_hi:[0,1]
	v_cvt_f32_i32_e32 v18, v18
	v_mfma_f32_16x16x16_f16 v[6:9], v[8:9], v[20:21], v[26:29]
	v_add_u32_e32 v19, 19, v49
	v_pk_mul_f32 v[34:35], s[14:15], v[16:17] op_sel_hi:[0,1]
	v_pk_mul_f32 v[36:37], s[14:15], v[14:15] op_sel_hi:[0,1]
	v_cvt_f32_i32_e32 v27, v22
	v_mfma_f32_16x16x16_f16 v[22:25], v[12:13], v[20:21], v[30:33]
	v_pk_mul_f32 v[12:13], s[14:15], v[2:3] op_sel_hi:[0,1]
	v_cvt_f32_i32_e32 v26, v44
	v_cvt_f32_i32_e32 v28, v45
	v_pk_mul_f32 v[44:45], s[14:15], v[8:9] op_sel_hi:[0,1]
	v_pk_mul_f32 v[46:47], s[14:15], v[6:7] op_sel_hi:[0,1]
	v_cvt_f32_i32_e32 v19, v19
	v_fma_f32 v44, v48, v18, v44
	v_add_u32_e32 v18, 34, v49
	v_cvt_f32_i32_e32 v18, v18
	v_fmac_f32_e32 v45, v48, v19
	v_add_u32_e32 v19, 35, v49
	v_cvt_f32_i32_e32 v19, v19
	v_pk_mul_f32 v[40:41], s[14:15], v[22:23] op_sel_hi:[0,1]
	v_pk_mul_f32 v[38:39], s[14:15], v[24:25] op_sel_hi:[0,1]
	v_fma_f32 v38, v48, v18, v38
	v_add_u32_e32 v18, 50, v49
	s_waitcnt vmcnt(3)
	v_mad_i64_i32 v[2:3], s[8:9], v55, s45, 0
	s_waitcnt vmcnt(2)
	v_mad_i64_i32 v[4:5], s[8:9], v72, s45, 0
	v_lshl_add_u64 v[16:17], v[2:3], 1, v[10:11]
	v_lshl_add_u64 v[14:15], v[4:5], 1, v[10:11]
	global_load_dwordx4 v[6:9], v[16:17], off
	global_load_dwordx4 v[2:5], v[16:17], off offset:16
	v_add_u32_e32 v16, 16, v49
	v_cvt_f32_i32_e32 v16, v16
	v_add_u32_e32 v17, 17, v49
	v_cvt_f32_i32_e32 v17, v17
	v_fmac_f32_e32 v39, v48, v19
	v_fma_f32 v46, v48, v16, v46
	v_add_u32_e32 v16, 32, v49
	v_fmac_f32_e32 v47, v48, v17
	v_cvt_f32_i32_e32 v16, v16
	v_add_u32_e32 v17, 33, v49
	v_cvt_f32_i32_e32 v17, v17
	v_cvt_f32_i32_e32 v18, v18
	v_fma_f32 v40, v48, v16, v40
	v_add_u32_e32 v16, 48, v49
	v_fmac_f32_e32 v41, v48, v17
	v_cvt_f32_i32_e32 v16, v16
	v_add_u32_e32 v17, 49, v49
	v_cvt_f32_i32_e32 v17, v17
	v_add_u32_e32 v19, 51, v49
	v_cvt_f32_i32_e32 v19, v19
	v_fma_f32 v12, v48, v58, v12
	v_fmac_f32_e32 v13, v48, v26
	v_fma_f32 v36, v48, v16, v36
	v_mov_b32_e32 v16, 0xff7fffff
	v_fmac_f32_e32 v37, v48, v17
	v_fma_f32 v34, v48, v18, v34
	v_cndmask_b32_e64 v17, v16, v12, s[34:35]
	v_cndmask_b32_e64 v18, v16, v13, s[36:37]
	v_fmac_f32_e32 v35, v48, v19
	v_max3_f32 v17, v17, s5, v18
	v_or_b32_e32 v18, 2, v56
	v_or_b32_e32 v19, 3, v56
	v_fma_f32 v50, v48, v27, v50
	v_fmac_f32_e32 v51, v48, v28
	v_cmp_gt_i32_e64 s[38:39], s31, v18
	v_cmp_gt_i32_e64 s[40:41], s31, v19
	global_load_dwordx4 v[30:33], v[14:15], off
	global_load_dwordx4 v[26:29], v[14:15], off offset:16
	v_cndmask_b32_e64 v18, v16, v50, s[38:39]
	v_cndmask_b32_e64 v19, v16, v51, s[40:41]
	v_max3_f32 v17, v17, v18, v19
	v_or_b32_e32 v18, 16, v56
	v_or_b32_e32 v19, 17, v56
	v_cmp_gt_i32_e64 s[26:27], s31, v18
	v_cmp_gt_i32_e64 s[28:29], s31, v19
	s_nop 0
	v_cndmask_b32_e64 v18, v16, v46, s[26:27]
	v_cndmask_b32_e64 v19, v16, v47, s[28:29]
	v_max3_f32 v17, v17, v18, v19
	v_or_b32_e32 v18, 18, v56
	v_or_b32_e32 v19, 19, v56
	v_cmp_gt_i32_e64 s[22:23], s31, v18
	v_cmp_gt_i32_e64 s[24:25], s31, v19
	s_nop 0
	;; [unrolled: 8-line block ×5, first 2 shown]
	v_cndmask_b32_e64 v18, v16, v36, s[10:11]
	v_cndmask_b32_e64 v19, v16, v37, s[12:13]
	v_max3_f32 v17, v17, v18, v19
	v_or_b32_e32 v18, 50, v56
	v_or_b32_e32 v19, 51, v56
	v_cmp_gt_i32_e32 vcc, s31, v18
	v_cmp_gt_i32_e64 s[8:9], s31, v19
	s_nop 0
	v_cndmask_b32_e32 v18, v16, v34, vcc
	v_cndmask_b32_e64 v16, v16, v35, s[8:9]
	v_max3_f32 v16, v17, v18, v16
	v_mbcnt_lo_u32_b32 v17, -1, 0
	v_mbcnt_hi_u32_b32 v17, -1, v17
	v_and_b32_e32 v18, 64, v17
	v_add_u32_e32 v18, 64, v18
	v_xor_b32_e32 v19, 32, v17
	v_cmp_lt_i32_e64 s[42:43], v19, v18
	s_nop 1
	v_cndmask_b32_e64 v19, v17, v19, s[42:43]
	v_lshlrev_b32_e32 v56, 2, v19
	ds_bpermute_b32 v19, v56, v16
	s_waitcnt vmcnt(5)
	v_mad_i64_i32 v[14:15], s[42:43], v59, s45, 0
	v_lshl_add_u64 v[14:15], v[14:15], 1, v[10:11]
	s_waitcnt lgkmcnt(0)
	v_max_f32_e32 v19, v19, v19
	v_max_f32_e32 v16, v16, v19
	v_xor_b32_e32 v19, 16, v17
	v_cmp_lt_i32_e64 s[42:43], v19, v18
	s_nop 1
	v_cndmask_b32_e64 v17, v17, v19, s[42:43]
	v_lshlrev_b32_e32 v58, 2, v17
	ds_bpermute_b32 v17, v58, v16
	global_load_dwordx4 v[22:25], v[14:15], off
	global_load_dwordx4 v[18:21], v[14:15], off offset:16
	s_waitcnt vmcnt(6)
	v_mad_i64_i32 v[14:15], s[42:43], v60, s45, 0
	v_lshl_add_u64 v[10:11], v[14:15], 1, v[10:11]
	s_waitcnt lgkmcnt(0)
	v_max_f32_e32 v14, v17, v17
	v_max_f32_e32 v55, v16, v14
	v_sub_f32_e32 v12, v12, v55
	v_mul_f32_e32 v12, 0x3fb8aa3b, v12
	v_exp_f32_e32 v48, v12
	v_sub_f32_e32 v12, v13, v55
	v_mul_f32_e32 v12, 0x3fb8aa3b, v12
	v_exp_f32_e32 v49, v12
	global_load_dwordx4 v[14:17], v[10:11], off
	s_nop 0
	global_load_dwordx4 v[10:13], v[10:11], off offset:16
	v_sub_f32_e32 v50, v50, v55
	v_mul_f32_e32 v50, 0x3fb8aa3b, v50
	v_sub_f32_e32 v51, v51, v55
	v_exp_f32_e32 v50, v50
	v_mul_f32_e32 v51, 0x3fb8aa3b, v51
	v_sub_f32_e32 v46, v46, v55
	v_exp_f32_e32 v51, v51
	v_mul_f32_e32 v46, 0x3fb8aa3b, v46
	v_sub_f32_e32 v47, v47, v55
	v_cndmask_b32_e64 v48, 0, v48, s[34:35]
	v_exp_f32_e32 v46, v46
	v_mul_f32_e32 v47, 0x3fb8aa3b, v47
	v_sub_f32_e32 v44, v44, v55
	v_add_f32_e32 v57, 0, v48
	v_cndmask_b32_e64 v49, 0, v49, s[36:37]
	v_exp_f32_e32 v47, v47
	v_mul_f32_e32 v44, 0x3fb8aa3b, v44
	v_sub_f32_e32 v45, v45, v55
	v_add_f32_e32 v57, v57, v49
	;; [unrolled: 5-line block ×10, first 2 shown]
	v_cndmask_b32_e64 v38, 0, v38, s[14:15]
	v_exp_f32_e32 v34, v34
	v_mul_f32_e32 v35, 0x3fb8aa3b, v35
	v_add_f32_e32 v57, v57, v38
	v_cndmask_b32_e64 v39, 0, v39, s[16:17]
	v_exp_f32_e32 v35, v35
	v_add_f32_e32 v57, v57, v39
	v_cndmask_b32_e64 v36, 0, v36, s[10:11]
	v_add_f32_e32 v57, v57, v36
	v_cndmask_b32_e64 v37, 0, v37, s[12:13]
	v_add_f32_e32 v57, v57, v37
	v_cndmask_b32_e32 v34, 0, v34, vcc
	v_add_f32_e32 v57, v57, v34
	v_cndmask_b32_e64 v35, 0, v35, s[8:9]
	v_add_f32_e32 v57, v57, v35
	ds_bpermute_b32 v56, v56, v57
	v_cmp_gt_u32_e64 s[8:9], 16, v54
	s_waitcnt lgkmcnt(0)
	s_barrier
	v_add_f32_e32 v57, v57, v56
	ds_bpermute_b32 v58, v58, v57
	v_lshlrev_b32_e32 v56, 2, v53
	s_and_saveexec_b64 s[10:11], s[8:9]
	s_cbranch_execz .LBB168_17
; %bb.16:
	s_waitcnt lgkmcnt(0)
	v_add_f32_e32 v54, v57, v58
	v_lshl_or_b32 v57, v52, 6, v56
	ds_write2st64_b32 v57, v55, v54 offset1:1
.LBB168_17:
	s_or_b64 exec, exec, s[10:11]
	s_load_dwordx2 s[10:11], s[0:1], 0x94
	s_waitcnt lgkmcnt(0)
	s_barrier
	ds_read2_b32 v[58:59], v56 offset1:16
	ds_read2_b32 v[60:61], v56 offset0:32 offset1:48
	ds_read2_b32 v[62:63], v56 offset0:64 offset1:80
	;; [unrolled: 1-line block ×3, first 2 shown]
	s_waitcnt lgkmcnt(0)
	v_max3_f32 v54, v58, s5, v59
	v_max3_f32 v54, v54, v60, v61
	v_sub_f32_e32 v55, v58, v54
	v_mul_f32_e32 v55, 0x3fb8aa3b, v55
	v_exp_f32_e32 v58, v55
	v_sub_f32_e32 v55, v59, v54
	v_mul_f32_e32 v55, 0x3fb8aa3b, v55
	v_exp_f32_e32 v59, v55
	;; [unrolled: 3-line block ×4, first 2 shown]
	v_fma_f32 v55, v58, v62, 0
	v_fmac_f32_e32 v55, v59, v63
	v_fmac_f32_e32 v55, v60, v56
	v_fmac_f32_e32 v55, v61, v57
	v_add_f32_e32 v57, 0x358637bd, v55
	v_div_scale_f32 v62, s[12:13], v57, v57, 1.0
	v_rcp_f32_e32 v63, v62
	s_barrier
	v_mov_b32_e32 v56, 0
	v_fma_f32 v64, -v62, v63, 1.0
	v_fmac_f32_e32 v63, v64, v63
	v_div_scale_f32 v64, vcc, 1.0, v57, 1.0
	v_mul_f32_e32 v65, v64, v63
	v_fma_f32 v66, -v62, v65, v64
	v_fmac_f32_e32 v65, v66, v63
	v_fma_f32 v62, -v62, v65, v64
	v_div_fmas_f32 v62, v62, v63, v65
	v_cmp_eq_u32_e32 vcc, 1, v52
	v_div_fixup_f32 v57, v62, v57, 1.0
	s_nop 0
	v_cndmask_b32_e32 v58, v58, v59, vcc
	v_cmp_eq_u32_e32 vcc, 2, v52
	s_nop 1
	v_cndmask_b32_e32 v58, v58, v60, vcc
	v_cmp_eq_u32_e32 vcc, 3, v52
	s_nop 1
	v_cndmask_b32_e32 v58, v58, v61, vcc
	v_mul_f32_e32 v58, v58, v57
	v_pk_mul_f32 v[48:49], v[58:59], v[48:49] op_sel_hi:[0,1]
	v_cvt_f16_f32_e32 v48, v48
	v_cvt_f16_f32_e32 v49, v49
	v_pk_mul_f32 v[50:51], v[58:59], v[50:51] op_sel_hi:[0,1]
	v_pk_mul_f32 v[44:45], v[58:59], v[44:45] op_sel_hi:[0,1]
	;; [unrolled: 1-line block ×3, first 2 shown]
	v_cvt_f16_f32_e32 v57, v50
	v_cvt_f16_f32_e32 v51, v51
	v_pack_b32_f16 v50, v48, v49
	v_lshlrev_b32_e32 v48, 5, v53
	v_cvt_f16_f32_e32 v46, v46
	v_cvt_f16_f32_e32 v47, v47
	;; [unrolled: 1-line block ×4, first 2 shown]
	v_lshlrev_b32_e32 v49, 3, v1
	v_lshlrev_b32_e32 v44, 11, v52
	v_pack_b32_f16 v51, v57, v51
	v_or3_b32 v44, v44, v48, v49
	v_pack_b32_f16 v46, v46, v47
	v_pack_b32_f16 v47, v53, v45
	v_pk_mul_f32 v[38:39], v[58:59], v[38:39] op_sel_hi:[0,1]
	v_pk_mul_f32 v[40:41], v[58:59], v[40:41] op_sel_hi:[0,1]
	;; [unrolled: 1-line block ×4, first 2 shown]
	ds_write2st64_b64 v44, v[50:51], v[46:47] offset1:1
	v_cvt_f16_f32_e32 v40, v40
	v_cvt_f16_f32_e32 v41, v41
	;; [unrolled: 1-line block ×8, first 2 shown]
	v_pack_b32_f16 v34, v40, v41
	v_pack_b32_f16 v35, v38, v39
	;; [unrolled: 1-line block ×4, first 2 shown]
	v_cmp_eq_u32_e32 vcc, 0, v0
	ds_write2st64_b64 v44, v[34:35], v[36:37] offset0:2 offset1:3
	s_and_saveexec_b64 s[12:13], vcc
	s_cbranch_execz .LBB168_19
; %bb.18:
	s_mul_i32 s3, s3, s11
	s_mul_hi_u32 s5, s2, s11
	s_add_i32 s5, s5, s3
	s_mul_i32 s3, s2, s11
	s_add_u32 s3, s3, s4
	s_addc_u32 s5, s5, 0
	s_load_dwordx4 s[16:19], s[0:1], 0x58
	s_mul_i32 s5, s5, s10
	s_mul_hi_u32 s14, s3, s10
	s_add_i32 s5, s14, s5
	s_mul_i32 s3, s3, s10
	s_add_u32 s14, s3, s30
	s_addc_u32 s15, s5, 0
	s_lshl_b64 s[14:15], s[14:15], 2
	s_waitcnt lgkmcnt(0)
	s_add_u32 s18, s18, s14
	s_addc_u32 s19, s19, s15
	s_add_u32 s14, s16, s14
	s_addc_u32 s15, s17, s15
	global_store_dword v56, v54, s[18:19]
	global_store_dword v56, v55, s[14:15]
.LBB168_19:
	s_or_b64 exec, exec, s[12:13]
	v_lshl_or_b32 v45, v1, 9, v48
	s_waitcnt lgkmcnt(0)
	s_barrier
	ds_read_b128 v[34:37], v45
	ds_read_b128 v[38:41], v45 offset:16
	s_waitcnt vmcnt(7) lgkmcnt(1)
	v_mfma_f32_16x16x16_f16 v[46:49], v[6:7], v[34:35], 0
	v_cmp_gt_u32_e32 vcc, 64, v0
	s_and_b64 s[6:7], s[6:7], vcc
	s_mov_b32 s3, 0
	v_mfma_f32_16x16x16_f16 v[6:9], v[8:9], v[36:37], v[46:49]
	s_and_b64 s[6:7], s[6:7], s[8:9]
	s_waitcnt vmcnt(6) lgkmcnt(0)
	v_mfma_f32_16x16x16_f16 v[6:9], v[2:3], v[38:39], v[6:9]
	v_mfma_f32_16x16x16_f16 v[2:5], v[4:5], v[40:41], v[6:9]
	s_nop 5
	ds_read_b128 v[6:9], v45 offset:2048
	ds_read_b128 v[34:37], v45 offset:2064
	s_waitcnt vmcnt(5) lgkmcnt(1)
	v_mfma_f32_16x16x16_f16 v[2:5], v[30:31], v[6:7], v[2:5]
	v_mfma_f32_16x16x16_f16 v[2:5], v[32:33], v[8:9], v[2:5]
	s_waitcnt vmcnt(4) lgkmcnt(0)
	v_mfma_f32_16x16x16_f16 v[2:5], v[26:27], v[34:35], v[2:5]
	v_mfma_f32_16x16x16_f16 v[2:5], v[28:29], v[36:37], v[2:5]
	ds_read_b128 v[6:9], v45 offset:4096
	ds_read_b128 v[26:29], v45 offset:4112
	s_waitcnt vmcnt(3) lgkmcnt(1)
	v_mfma_f32_16x16x16_f16 v[2:5], v[22:23], v[6:7], v[2:5]
	v_mfma_f32_16x16x16_f16 v[2:5], v[24:25], v[8:9], v[2:5]
	s_waitcnt vmcnt(2) lgkmcnt(0)
	v_mfma_f32_16x16x16_f16 v[2:5], v[18:19], v[26:27], v[2:5]
	v_mfma_f32_16x16x16_f16 v[2:5], v[20:21], v[28:29], v[2:5]
	ds_read_b128 v[6:9], v45 offset:6144
	ds_read_b128 v[18:21], v45 offset:6160
	s_waitcnt lgkmcnt(0)
	s_barrier
	s_waitcnt vmcnt(1)
	v_mfma_f32_16x16x16_f16 v[2:5], v[14:15], v[6:7], v[2:5]
	v_mfma_f32_16x16x16_f16 v[2:5], v[16:17], v[8:9], v[2:5]
	s_waitcnt vmcnt(0)
	v_mfma_f32_16x16x16_f16 v[2:5], v[10:11], v[18:19], v[2:5]
	v_mfma_f32_16x16x16_f16 v[2:5], v[12:13], v[20:21], v[2:5]
	s_nop 6
	v_cvt_f16_f32_e32 v2, v2
	v_cvt_f16_f32_e32 v3, v3
	;; [unrolled: 1-line block ×4, first 2 shown]
	v_pack_b32_f16 v2, v2, v3
	v_pack_b32_f16 v3, v4, v5
	ds_write_b64 v44, v[2:3]
	s_waitcnt lgkmcnt(0)
	s_barrier
	s_and_saveexec_b64 s[8:9], s[6:7]
	s_cbranch_execz .LBB168_21
; %bb.20:
	s_load_dwordx2 s[0:1], s[0:1], 0x68
	s_mul_i32 s2, s11, s2
	s_lshl_b32 s5, s10, 6
	s_mul_hi_u32 s7, s2, s5
	s_mul_i32 s6, s2, s5
	s_lshl_b64 s[6:7], s[6:7], 1
	s_waitcnt lgkmcnt(0)
	s_add_u32 s6, s0, s6
	v_lshlrev_b32_e32 v2, 10, v0
	v_lshlrev_b32_e32 v0, 4, v0
	s_addc_u32 s7, s1, s7
	s_lshl_b32 s2, s30, 6
	v_and_b32_e32 v2, 0x1800, v2
	v_lshlrev_b32_e32 v1, 5, v1
	v_and_b32_e32 v0, 16, v0
	s_lshl_b64 s[0:1], s[2:3], 1
	v_or3_b32 v0, v2, v1, v0
	s_add_u32 s2, s6, s0
	ds_read_b128 v[0:3], v0
	s_addc_u32 s3, s7, s1
	s_mul_hi_u32 s1, s5, s4
	s_mul_i32 s0, s5, s4
	s_lshl_b64 s[0:1], s[0:1], 1
	s_add_u32 s0, s2, s0
	s_addc_u32 s1, s3, s1
	v_lshl_add_u64 v[4:5], v[42:43], 1, s[0:1]
	s_waitcnt lgkmcnt(0)
	global_store_dwordx4 v[4:5], v[0:3], off
.LBB168_21:
	s_endpgm
	.section	.rodata,"a",@progbits
	.p2align	6, 0x0
	.amdhsa_kernel _Z39paged_attention_ll4mi_QKV_mfma16_kernelIDF16_DF16_LN4vllm18Fp8KVCacheDataTypeE0EDF16_Li32ELi64ELi256ELb1ELi1EEvPKT_PKT0_S7_ifPKiS9_S9_iPKfiiiPfSC_PS2_PT2_iSB_SB_
		.amdhsa_group_segment_fixed_size 8192
		.amdhsa_private_segment_fixed_size 0
		.amdhsa_kernarg_size 400
		.amdhsa_user_sgpr_count 2
		.amdhsa_user_sgpr_dispatch_ptr 0
		.amdhsa_user_sgpr_queue_ptr 0
		.amdhsa_user_sgpr_kernarg_segment_ptr 1
		.amdhsa_user_sgpr_dispatch_id 0
		.amdhsa_user_sgpr_kernarg_preload_length 0
		.amdhsa_user_sgpr_kernarg_preload_offset 0
		.amdhsa_user_sgpr_private_segment_size 0
		.amdhsa_uses_dynamic_stack 0
		.amdhsa_enable_private_segment 0
		.amdhsa_system_sgpr_workgroup_id_x 1
		.amdhsa_system_sgpr_workgroup_id_y 1
		.amdhsa_system_sgpr_workgroup_id_z 1
		.amdhsa_system_sgpr_workgroup_info 0
		.amdhsa_system_vgpr_workitem_id 0
		.amdhsa_next_free_vgpr 73
		.amdhsa_next_free_sgpr 48
		.amdhsa_accum_offset 76
		.amdhsa_reserve_vcc 1
		.amdhsa_float_round_mode_32 0
		.amdhsa_float_round_mode_16_64 0
		.amdhsa_float_denorm_mode_32 3
		.amdhsa_float_denorm_mode_16_64 3
		.amdhsa_dx10_clamp 1
		.amdhsa_ieee_mode 1
		.amdhsa_fp16_overflow 0
		.amdhsa_tg_split 0
		.amdhsa_exception_fp_ieee_invalid_op 0
		.amdhsa_exception_fp_denorm_src 0
		.amdhsa_exception_fp_ieee_div_zero 0
		.amdhsa_exception_fp_ieee_overflow 0
		.amdhsa_exception_fp_ieee_underflow 0
		.amdhsa_exception_fp_ieee_inexact 0
		.amdhsa_exception_int_div_zero 0
	.end_amdhsa_kernel
	.section	.text._Z39paged_attention_ll4mi_QKV_mfma16_kernelIDF16_DF16_LN4vllm18Fp8KVCacheDataTypeE0EDF16_Li32ELi64ELi256ELb1ELi1EEvPKT_PKT0_S7_ifPKiS9_S9_iPKfiiiPfSC_PS2_PT2_iSB_SB_,"axG",@progbits,_Z39paged_attention_ll4mi_QKV_mfma16_kernelIDF16_DF16_LN4vllm18Fp8KVCacheDataTypeE0EDF16_Li32ELi64ELi256ELb1ELi1EEvPKT_PKT0_S7_ifPKiS9_S9_iPKfiiiPfSC_PS2_PT2_iSB_SB_,comdat
.Lfunc_end168:
	.size	_Z39paged_attention_ll4mi_QKV_mfma16_kernelIDF16_DF16_LN4vllm18Fp8KVCacheDataTypeE0EDF16_Li32ELi64ELi256ELb1ELi1EEvPKT_PKT0_S7_ifPKiS9_S9_iPKfiiiPfSC_PS2_PT2_iSB_SB_, .Lfunc_end168-_Z39paged_attention_ll4mi_QKV_mfma16_kernelIDF16_DF16_LN4vllm18Fp8KVCacheDataTypeE0EDF16_Li32ELi64ELi256ELb1ELi1EEvPKT_PKT0_S7_ifPKiS9_S9_iPKfiiiPfSC_PS2_PT2_iSB_SB_
                                        ; -- End function
	.section	.AMDGPU.csdata,"",@progbits
; Kernel info:
; codeLenInByte = 4028
; NumSgprs: 54
; NumVgprs: 73
; NumAgprs: 0
; TotalNumVgprs: 73
; ScratchSize: 0
; MemoryBound: 0
; FloatMode: 240
; IeeeMode: 1
; LDSByteSize: 8192 bytes/workgroup (compile time only)
; SGPRBlocks: 6
; VGPRBlocks: 9
; NumSGPRsForWavesPerEU: 54
; NumVGPRsForWavesPerEU: 73
; AccumOffset: 76
; Occupancy: 6
; WaveLimiterHint : 1
; COMPUTE_PGM_RSRC2:SCRATCH_EN: 0
; COMPUTE_PGM_RSRC2:USER_SGPR: 2
; COMPUTE_PGM_RSRC2:TRAP_HANDLER: 0
; COMPUTE_PGM_RSRC2:TGID_X_EN: 1
; COMPUTE_PGM_RSRC2:TGID_Y_EN: 1
; COMPUTE_PGM_RSRC2:TGID_Z_EN: 1
; COMPUTE_PGM_RSRC2:TIDIG_COMP_CNT: 0
; COMPUTE_PGM_RSRC3_GFX90A:ACCUM_OFFSET: 18
; COMPUTE_PGM_RSRC3_GFX90A:TG_SPLIT: 0
	.section	.text._Z39paged_attention_ll4mi_QKV_mfma16_kernelIDF16_DF16_LN4vllm18Fp8KVCacheDataTypeE0EDF16_Li32ELi64ELi256ELb1ELi2EEvPKT_PKT0_S7_ifPKiS9_S9_iPKfiiiPfSC_PS2_PT2_iSB_SB_,"axG",@progbits,_Z39paged_attention_ll4mi_QKV_mfma16_kernelIDF16_DF16_LN4vllm18Fp8KVCacheDataTypeE0EDF16_Li32ELi64ELi256ELb1ELi2EEvPKT_PKT0_S7_ifPKiS9_S9_iPKfiiiPfSC_PS2_PT2_iSB_SB_,comdat
	.protected	_Z39paged_attention_ll4mi_QKV_mfma16_kernelIDF16_DF16_LN4vllm18Fp8KVCacheDataTypeE0EDF16_Li32ELi64ELi256ELb1ELi2EEvPKT_PKT0_S7_ifPKiS9_S9_iPKfiiiPfSC_PS2_PT2_iSB_SB_ ; -- Begin function _Z39paged_attention_ll4mi_QKV_mfma16_kernelIDF16_DF16_LN4vllm18Fp8KVCacheDataTypeE0EDF16_Li32ELi64ELi256ELb1ELi2EEvPKT_PKT0_S7_ifPKiS9_S9_iPKfiiiPfSC_PS2_PT2_iSB_SB_
	.globl	_Z39paged_attention_ll4mi_QKV_mfma16_kernelIDF16_DF16_LN4vllm18Fp8KVCacheDataTypeE0EDF16_Li32ELi64ELi256ELb1ELi2EEvPKT_PKT0_S7_ifPKiS9_S9_iPKfiiiPfSC_PS2_PT2_iSB_SB_
	.p2align	8
	.type	_Z39paged_attention_ll4mi_QKV_mfma16_kernelIDF16_DF16_LN4vllm18Fp8KVCacheDataTypeE0EDF16_Li32ELi64ELi256ELb1ELi2EEvPKT_PKT0_S7_ifPKiS9_S9_iPKfiiiPfSC_PS2_PT2_iSB_SB_,@function
_Z39paged_attention_ll4mi_QKV_mfma16_kernelIDF16_DF16_LN4vllm18Fp8KVCacheDataTypeE0EDF16_Li32ELi64ELi256ELb1ELi2EEvPKT_PKT0_S7_ifPKiS9_S9_iPKfiiiPfSC_PS2_PT2_iSB_SB_: ; @_Z39paged_attention_ll4mi_QKV_mfma16_kernelIDF16_DF16_LN4vllm18Fp8KVCacheDataTypeE0EDF16_Li32ELi64ELi256ELb1ELi2EEvPKT_PKT0_S7_ifPKiS9_S9_iPKfiiiPfSC_PS2_PT2_iSB_SB_
; %bb.0:
	s_load_dwordx2 s[6:7], s[0:1], 0x30
	s_mov_b32 s28, s3
	s_mov_b64 s[8:9], 0
	s_waitcnt lgkmcnt(0)
	s_cmp_lg_u64 s[6:7], 0
	s_cselect_b64 s[10:11], -1, 0
	s_and_b64 vcc, exec, s[10:11]
	s_cbranch_vccz .LBB169_7
; %bb.1:
	s_add_i32 s12, s2, 1
	s_mov_b32 s13, 0
	s_lshl_b64 s[14:15], s[12:13], 2
	s_add_u32 s14, s6, s14
	s_mov_b32 s3, s13
	s_addc_u32 s15, s7, s15
	s_lshl_b64 s[12:13], s[2:3], 2
	s_add_u32 s12, s6, s12
	s_addc_u32 s13, s7, s13
	s_load_dword s5, s[14:15], 0x0
	s_load_dword s16, s[12:13], 0x0
	s_waitcnt lgkmcnt(0)
	s_sub_i32 s5, s5, s16
	s_cmp_eq_u32 s5, 1
	s_cselect_b64 s[12:13], -1, 0
	s_andn2_b64 vcc, exec, s[8:9]
	s_cbranch_vccnz .LBB169_3
.LBB169_2:
	s_mov_b32 s3, 0
	s_mov_b64 s[12:13], -1
.LBB169_3:
	s_andn2_b64 vcc, exec, s[12:13]
	s_cbranch_vccnz .LBB169_21
; %bb.4:
	s_load_dwordx2 s[8:9], s[0:1], 0x28
	s_lshl_b64 s[12:13], s[2:3], 2
	s_waitcnt lgkmcnt(0)
	s_add_u32 s8, s8, s12
	s_addc_u32 s9, s9, s13
	s_load_dword s33, s[8:9], 0x0
	s_lshl_b32 s14, s28, 8
	s_waitcnt lgkmcnt(0)
	s_cmp_ge_i32 s14, s33
	s_cbranch_scc1 .LBB169_21
; %bb.5:
	s_load_dwordx2 s[8:9], s[0:1], 0x20
	s_load_dword s5, s[0:1], 0x38
	s_add_i32 s15, s33, 31
	s_ashr_i32 s16, s15, 31
	v_and_b32_e32 v1, 0xcf, v0
	s_lshr_b32 s16, s16, 27
	v_add_u32_e32 v1, s14, v1
	s_add_i32 s15, s15, s16
	v_ashrrev_i32_e32 v2, 31, v1
	s_ashr_i32 s15, s15, 5
	v_lshrrev_b32_e32 v6, 27, v2
	s_add_i32 s15, s15, -1
	s_waitcnt lgkmcnt(0)
	s_mul_i32 s16, s2, s5
	s_mov_b32 s17, 0
	v_add_u32_e32 v2, v1, v6
	s_lshl_b64 s[16:17], s[16:17], 2
	v_ashrrev_i32_e32 v2, 5, v2
	v_mov_b32_e32 v7, s15
	v_cmp_gt_i32_e32 vcc, s33, v1
	s_add_u32 s8, s8, s16
	s_addc_u32 s9, s9, s17
	v_cndmask_b32_e32 v2, v7, v2, vcc
	v_ashrrev_i32_e32 v3, 31, v2
	v_lshl_add_u64 v[4:5], v[2:3], 2, s[8:9]
	v_or_b32_e32 v2, 16, v1
	v_add_u32_e32 v3, v2, v6
	v_ashrrev_i32_e32 v3, 5, v3
	v_cmp_gt_i32_e32 vcc, s33, v2
	s_nop 1
	v_cndmask_b32_e32 v2, v7, v3, vcc
	v_ashrrev_i32_e32 v3, 31, v2
	v_lshl_add_u64 v[8:9], v[2:3], 2, s[8:9]
	v_or_b32_e32 v2, 32, v1
	v_add_u32_e32 v3, v2, v6
	v_ashrrev_i32_e32 v3, 5, v3
	v_cmp_gt_i32_e32 vcc, s33, v2
	v_or_b32_e32 v1, 48, v1
	s_nop 0
	v_cndmask_b32_e32 v2, v7, v3, vcc
	v_ashrrev_i32_e32 v3, 31, v2
	v_lshl_add_u64 v[12:13], v[2:3], 2, s[8:9]
	v_add_u32_e32 v2, v1, v6
	v_ashrrev_i32_e32 v2, 5, v2
	v_cmp_gt_i32_e32 vcc, s33, v1
	s_nop 1
	v_cndmask_b32_e32 v2, v7, v2, vcc
	v_ashrrev_i32_e32 v3, 31, v2
	v_lshl_add_u64 v[16:17], v[2:3], 2, s[8:9]
	global_load_dword v2, v[4:5], off
	global_load_dword v6, v[8:9], off
	;; [unrolled: 1-line block ×4, first 2 shown]
	s_andn2_b64 vcc, exec, s[10:11]
	s_cbranch_vccnz .LBB169_8
; %bb.6:
	s_add_u32 s6, s6, s12
	s_addc_u32 s7, s7, s13
	s_load_dword s5, s[6:7], 0x0
	s_branch .LBB169_9
.LBB169_7:
	s_mov_b64 s[12:13], 0
	s_branch .LBB169_2
.LBB169_8:
	s_mov_b32 s5, s2
.LBB169_9:
	s_load_dwordx2 s[10:11], s[0:1], 0x8
	s_load_dwordx4 s[44:47], s[0:1], 0x48
	v_lshrrev_b32_e32 v53, 6, v0
	v_bfe_u32 v1, v0, 4, 2
	v_lshl_or_b32 v3, v53, 2, v1
	v_and_b32_e32 v54, 15, v0
	v_cmp_lt_u32_e32 vcc, 1, v3
	v_cmp_lt_u32_e64 s[6:7], 7, v54
	v_lshlrev_b32_e32 v42, 3, v54
	v_cmp_gt_u32_e64 s[30:31], 8, v54
	s_or_b64 s[6:7], s[6:7], vcc
	s_and_saveexec_b64 s[12:13], s[6:7]
	s_xor_b64 s[6:7], exec, s[12:13]
; %bb.10:
	v_mov_b32_e32 v43, 0
                                        ; implicit-def: $vgpr3
; %bb.11:
	s_or_saveexec_b64 s[12:13], s[6:7]
	s_load_dwordx2 s[6:7], s[0:1], 0x10
	s_lshl_b32 s29, s4, 1
	s_xor_b64 exec, exec, s[12:13]
	s_cbranch_execz .LBB169_13
; %bb.12:
	s_load_dwordx2 s[16:17], s[0:1], 0x0
	s_waitcnt lgkmcnt(0)
	s_ashr_i32 s18, s44, 31
	s_mul_hi_u32 s19, s5, s44
	s_mul_i32 s18, s5, s18
	s_add_i32 s19, s19, s18
	s_mul_i32 s18, s5, s44
	s_lshl_b64 s[18:19], s[18:19], 1
	s_add_u32 s16, s16, s18
	v_add_lshl_u32 v4, v1, s29, 6
	s_addc_u32 s17, s17, s19
	v_ashrrev_i32_e32 v5, 31, v4
	v_mov_b32_e32 v43, 0
	v_lshl_add_u64 v[4:5], v[4:5], 1, s[16:17]
	v_lshlrev_b32_e32 v8, 1, v42
	v_mov_b32_e32 v9, v43
	v_lshl_add_u64 v[4:5], v[4:5], 0, v[8:9]
	global_load_dwordx4 v[16:19], v[4:5], off
	v_and_b32_e32 v4, 3, v0
	v_lshlrev_b32_e32 v5, 9, v54
	v_lshlrev_b32_e32 v3, 5, v3
	;; [unrolled: 1-line block ×3, first 2 shown]
	v_and_b32_e32 v5, 0x1800, v5
	v_or3_b32 v3, v5, v4, v3
	s_waitcnt vmcnt(0)
	ds_write_b128 v3, v[16:19]
.LBB169_13:
	s_or_b64 exec, exec, s[12:13]
	s_waitcnt lgkmcnt(0)
	s_mul_i32 s4, s4, s46
	s_mov_b32 s5, 0
	s_lshl_b64 s[4:5], s[4:5], 1
	s_add_u32 s10, s10, s4
	s_addc_u32 s11, s11, s5
	s_waitcnt vmcnt(3)
	v_mad_i64_i32 v[2:3], s[12:13], v2, s45, 0
	v_lshl_add_u64 v[2:3], v[2:3], 1, s[10:11]
	v_lshlrev_b64 v[12:13], 1, v[42:43]
	v_lshlrev_b32_e32 v44, 9, v1
	v_lshl_add_u64 v[2:3], v[2:3], 0, v[12:13]
	v_mov_b32_e32 v45, 0
	v_lshl_add_u64 v[8:9], v[2:3], 0, v[44:45]
	s_barrier
	global_load_dwordx4 v[22:25], v[8:9], off
	global_load_dwordx4 v[2:5], v[8:9], off offset:2048
	s_waitcnt vmcnt(4)
	v_mad_i64_i32 v[6:7], s[12:13], v6, s45, 0
	v_mov_b32_e32 v8, 0x100
	v_lshl_add_u64 v[6:7], v[6:7], 1, s[10:11]
	v_lshl_or_b32 v16, v54, 4, v8
	v_mov_b32_e32 v17, v45
	s_waitcnt vmcnt(3)
	v_mad_i64_i32 v[10:11], s[12:13], v10, s45, 0
	v_lshl_add_u64 v[6:7], v[6:7], 0, v[16:17]
	v_lshl_add_u64 v[10:11], v[10:11], 1, s[10:11]
	s_waitcnt vmcnt(2)
	v_mad_i64_i32 v[14:15], s[12:13], v14, s45, 0
	v_lshl_add_u64 v[18:19], v[6:7], 0, v[44:45]
	v_lshl_add_u64 v[10:11], v[10:11], 0, v[12:13]
	;; [unrolled: 1-line block ×3, first 2 shown]
	global_load_dwordx4 v[26:29], v[18:19], off
	global_load_dwordx4 v[6:9], v[18:19], off offset:2048
	v_lshl_add_u64 v[18:19], v[10:11], 0, v[44:45]
	v_lshl_add_u64 v[14:15], v[14:15], 0, v[16:17]
	global_load_dwordx4 v[30:33], v[18:19], off
	global_load_dwordx4 v[10:13], v[18:19], off offset:2048
	v_lshl_add_u64 v[18:19], v[14:15], 0, v[44:45]
	global_load_dwordx4 v[34:37], v[18:19], off
	global_load_dwordx4 v[14:17], v[18:19], off offset:2048
	v_and_b32_e32 v18, 1, v0
	v_lshl_or_b32 v18, v18, 5, v44
	ds_read_b128 v[38:41], v18
	ds_read_b128 v[18:21], v18 offset:2048
	v_and_b32_e32 v52, 63, v0
	v_cmp_gt_u32_e32 vcc, 2, v54
	v_mov_b32_e32 v48, 0
	s_and_saveexec_b64 s[10:11], vcc
	s_cbranch_execz .LBB169_15
; %bb.14:
	s_load_dwordx2 s[12:13], s[0:1], 0x40
	v_or_b32_e32 v46, s29, v54
	v_ashrrev_i32_e32 v47, 31, v46
	s_waitcnt lgkmcnt(0)
	v_lshl_add_u64 v[46:47], v[46:47], 2, s[12:13]
	global_load_dword v48, v[46:47], off
.LBB169_15:
	s_or_b64 exec, exec, s[10:11]
	s_ashr_i32 s10, s14, 31
	v_and_or_b32 v44, v0, 48, s14
	s_lshr_b32 s11, s10, 27
	v_add_u32_e32 v46, s11, v44
	v_or_b32_e32 v50, 64, v44
	v_ashrrev_i32_e32 v46, 5, v46
	v_mov_b32_e32 v49, s15
	v_cmp_gt_i32_e32 vcc, s33, v44
	v_add_u32_e32 v51, s11, v50
	s_waitcnt vmcnt(7) lgkmcnt(1)
	v_mfma_f32_16x16x16_f16 v[56:59], v[22:23], v[38:39], 0
	v_cndmask_b32_e32 v46, v49, v46, vcc
	v_ashrrev_i32_e32 v22, 5, v51
	v_cmp_gt_i32_e32 vcc, s33, v50
	v_ashrrev_i32_e32 v47, 31, v46
	v_lshl_add_u64 v[46:47], v[46:47], 2, s[8:9]
	v_cndmask_b32_e32 v22, v49, v22, vcc
	v_ashrrev_i32_e32 v23, 31, v22
	v_lshl_add_u64 v[22:23], v[22:23], 2, s[8:9]
	global_load_dword v55, v[46:47], off
	global_load_dword v72, v[22:23], off
	s_waitcnt vmcnt(3)
	v_mfma_f32_16x16x16_f16 v[68:71], v[34:35], v[38:39], 0
	v_or_b32_e32 v46, 0xc0, v44
	v_add_u32_e32 v50, s11, v46
	s_add_u32 s4, s6, s4
	v_mfma_f32_16x16x16_f16 v[60:63], v[26:27], v[38:39], 0
	s_addc_u32 s5, s7, s5
	s_load_dword s10, s[0:1], 0x1c
	s_mov_b32 s42, 0xff7fffff
	v_mfma_f32_16x16x16_f16 v[64:67], v[30:31], v[38:39], 0
	v_and_b32_e32 v31, 0xc0, v0
	v_or_b32_e32 v38, 0x80, v44
	v_add_u32_e32 v34, s14, v31
	v_mfma_f32_16x16x16_f16 v[22:25], v[24:25], v[40:41], v[56:59]
	v_and_b32_e32 v30, 16, v0
	v_add_u32_e32 v47, s11, v38
	v_lshlrev_b32_e32 v44, 1, v30
	v_lshl_or_b32 v56, v1, 2, v34
	v_mfma_f32_16x16x16_f16 v[34:37], v[36:37], v[40:41], v[68:71]
	v_cmp_gt_i32_e32 vcc, s33, v38
	v_lshlrev_b32_e32 v39, 6, v54
	v_or_b32_e32 v57, 1, v56
	v_mfma_f32_16x16x16_f16 v[26:29], v[28:29], v[40:41], v[60:63]
	v_cmp_gt_i32_e64 s[34:35], s33, v57
	v_mfma_f32_16x16x16_f16 v[30:33], v[32:33], v[40:41], v[64:67]
	v_ashrrev_i32_e32 v40, 5, v47
	v_ashrrev_i32_e32 v41, 5, v50
	v_cndmask_b32_e32 v38, v49, v40, vcc
	v_cmp_gt_i32_e32 vcc, s33, v46
	s_waitcnt lgkmcnt(0)
	v_mfma_f32_16x16x16_f16 v[22:25], v[2:3], v[18:19], v[22:25]
	v_lshl_add_u64 v[2:3], s[4:5], 0, v[44:45]
	v_cndmask_b32_e32 v40, v49, v41, vcc
	v_lshl_or_b32 v44, v53, 10, v39
	v_ashrrev_i32_e32 v39, 31, v38
	v_ashrrev_i32_e32 v41, 31, v40
	s_waitcnt vmcnt(2)
	v_mfma_f32_16x16x16_f16 v[34:37], v[14:15], v[18:19], v[34:37]
	v_lshl_add_u64 v[14:15], v[38:39], 2, s[8:9]
	v_subrev_u32_e32 v49, s33, v57
	v_cvt_f32_i32_e32 v58, v49
	v_mfma_f32_16x16x16_f16 v[26:29], v[6:7], v[18:19], v[26:29]
	v_mfma_f32_16x16x16_f16 v[30:33], v[10:11], v[18:19], v[30:33]
	v_lshl_add_u64 v[18:19], v[40:41], 2, s[8:9]
	global_load_dword v59, v[14:15], off
	global_load_dword v60, v[18:19], off
	v_lshl_add_u64 v[10:11], v[2:3], 0, v[44:45]
	v_mfma_f32_16x16x16_f16 v[2:5], v[4:5], v[20:21], v[22:25]
	v_add_u32_e32 v44, 1, v49
	v_add_u32_e32 v45, 3, v49
	v_add_u32_e32 v18, 18, v49
	v_mfma_f32_16x16x16_f16 v[14:17], v[16:17], v[20:21], v[34:37]
	v_add_u32_e32 v22, 2, v49
	s_nop 1
	v_pk_mul_f32 v[50:51], s[10:11], v[4:5] op_sel_hi:[0,1]
	v_cvt_f32_i32_e32 v18, v18
	v_mfma_f32_16x16x16_f16 v[6:9], v[8:9], v[20:21], v[26:29]
	v_add_u32_e32 v19, 19, v49
	v_pk_mul_f32 v[34:35], s[10:11], v[16:17] op_sel_hi:[0,1]
	v_pk_mul_f32 v[36:37], s[10:11], v[14:15] op_sel_hi:[0,1]
	v_cvt_f32_i32_e32 v27, v22
	v_mfma_f32_16x16x16_f16 v[22:25], v[12:13], v[20:21], v[30:33]
	v_pk_mul_f32 v[12:13], s[10:11], v[2:3] op_sel_hi:[0,1]
	v_cvt_f32_i32_e32 v26, v44
	v_cvt_f32_i32_e32 v28, v45
	v_pk_mul_f32 v[44:45], s[10:11], v[8:9] op_sel_hi:[0,1]
	v_pk_mul_f32 v[46:47], s[10:11], v[6:7] op_sel_hi:[0,1]
	v_cvt_f32_i32_e32 v19, v19
	v_fma_f32 v44, v48, v18, v44
	v_add_u32_e32 v18, 34, v49
	v_cvt_f32_i32_e32 v18, v18
	v_fmac_f32_e32 v45, v48, v19
	v_add_u32_e32 v19, 35, v49
	v_cvt_f32_i32_e32 v19, v19
	v_pk_mul_f32 v[40:41], s[10:11], v[22:23] op_sel_hi:[0,1]
	v_pk_mul_f32 v[38:39], s[10:11], v[24:25] op_sel_hi:[0,1]
	v_fma_f32 v38, v48, v18, v38
	v_add_u32_e32 v18, 50, v49
	s_waitcnt vmcnt(3)
	v_mad_i64_i32 v[2:3], s[4:5], v55, s45, 0
	s_waitcnt vmcnt(2)
	v_mad_i64_i32 v[4:5], s[4:5], v72, s45, 0
	v_lshl_add_u64 v[16:17], v[2:3], 1, v[10:11]
	v_lshl_add_u64 v[14:15], v[4:5], 1, v[10:11]
	global_load_dwordx4 v[6:9], v[16:17], off
	global_load_dwordx4 v[2:5], v[16:17], off offset:16
	v_add_u32_e32 v16, 16, v49
	v_cvt_f32_i32_e32 v16, v16
	v_add_u32_e32 v17, 17, v49
	v_cvt_f32_i32_e32 v17, v17
	v_fmac_f32_e32 v39, v48, v19
	v_fma_f32 v46, v48, v16, v46
	v_add_u32_e32 v16, 32, v49
	v_fmac_f32_e32 v47, v48, v17
	v_cvt_f32_i32_e32 v16, v16
	v_add_u32_e32 v17, 33, v49
	v_cvt_f32_i32_e32 v17, v17
	v_cvt_f32_i32_e32 v18, v18
	v_fma_f32 v40, v48, v16, v40
	v_add_u32_e32 v16, 48, v49
	v_fmac_f32_e32 v41, v48, v17
	v_cvt_f32_i32_e32 v16, v16
	v_add_u32_e32 v17, 49, v49
	v_cvt_f32_i32_e32 v17, v17
	v_add_u32_e32 v19, 51, v49
	v_cvt_f32_i32_e32 v19, v19
	v_fma_f32 v12, v48, v58, v12
	v_fmac_f32_e32 v13, v48, v26
	v_fma_f32 v36, v48, v16, v36
	v_mov_b32_e32 v16, 0xff7fffff
	v_cmp_gt_i32_e64 s[4:5], s33, v56
	v_fmac_f32_e32 v37, v48, v17
	v_fma_f32 v34, v48, v18, v34
	v_cndmask_b32_e64 v17, v16, v12, s[4:5]
	v_cndmask_b32_e64 v18, v16, v13, s[34:35]
	v_fmac_f32_e32 v35, v48, v19
	v_max3_f32 v17, v17, s42, v18
	v_or_b32_e32 v18, 2, v56
	v_or_b32_e32 v19, 3, v56
	v_fma_f32 v50, v48, v27, v50
	v_fmac_f32_e32 v51, v48, v28
	v_cmp_gt_i32_e64 s[36:37], s33, v18
	v_cmp_gt_i32_e64 s[38:39], s33, v19
	global_load_dwordx4 v[30:33], v[14:15], off
	global_load_dwordx4 v[26:29], v[14:15], off offset:16
	v_cndmask_b32_e64 v18, v16, v50, s[36:37]
	v_cndmask_b32_e64 v19, v16, v51, s[38:39]
	v_max3_f32 v17, v17, v18, v19
	v_or_b32_e32 v18, 16, v56
	v_or_b32_e32 v19, 17, v56
	v_cmp_gt_i32_e64 s[24:25], s33, v18
	v_cmp_gt_i32_e64 s[26:27], s33, v19
	s_nop 0
	v_cndmask_b32_e64 v18, v16, v46, s[24:25]
	v_cndmask_b32_e64 v19, v16, v47, s[26:27]
	v_max3_f32 v17, v17, v18, v19
	v_or_b32_e32 v18, 18, v56
	v_or_b32_e32 v19, 19, v56
	v_cmp_gt_i32_e64 s[20:21], s33, v18
	v_cmp_gt_i32_e64 s[22:23], s33, v19
	s_nop 0
	v_cndmask_b32_e64 v18, v16, v44, s[20:21]
	v_cndmask_b32_e64 v19, v16, v45, s[22:23]
	v_max3_f32 v17, v17, v18, v19
	v_or_b32_e32 v18, 32, v56
	v_or_b32_e32 v19, 33, v56
	v_cmp_gt_i32_e64 s[16:17], s33, v18
	v_cmp_gt_i32_e64 s[18:19], s33, v19
	s_nop 0
	v_cndmask_b32_e64 v18, v16, v40, s[16:17]
	v_cndmask_b32_e64 v19, v16, v41, s[18:19]
	v_max3_f32 v17, v17, v18, v19
	v_or_b32_e32 v18, 34, v56
	v_or_b32_e32 v19, 35, v56
	v_cmp_gt_i32_e64 s[12:13], s33, v18
	v_cmp_gt_i32_e64 s[14:15], s33, v19
	s_nop 0
	v_cndmask_b32_e64 v18, v16, v38, s[12:13]
	v_cndmask_b32_e64 v19, v16, v39, s[14:15]
	v_max3_f32 v17, v17, v18, v19
	v_or_b32_e32 v18, 48, v56
	v_or_b32_e32 v19, 49, v56
	v_cmp_gt_i32_e64 s[8:9], s33, v18
	v_cmp_gt_i32_e64 s[10:11], s33, v19
	s_nop 0
	v_cndmask_b32_e64 v18, v16, v36, s[8:9]
	v_cndmask_b32_e64 v19, v16, v37, s[10:11]
	v_max3_f32 v17, v17, v18, v19
	v_or_b32_e32 v18, 50, v56
	v_or_b32_e32 v19, 51, v56
	v_cmp_gt_i32_e32 vcc, s33, v18
	v_cmp_gt_i32_e64 s[6:7], s33, v19
	s_nop 0
	v_cndmask_b32_e32 v18, v16, v34, vcc
	v_cndmask_b32_e64 v16, v16, v35, s[6:7]
	v_max3_f32 v16, v17, v18, v16
	v_mbcnt_lo_u32_b32 v17, -1, 0
	v_mbcnt_hi_u32_b32 v17, -1, v17
	v_and_b32_e32 v18, 64, v17
	v_add_u32_e32 v18, 64, v18
	v_xor_b32_e32 v19, 32, v17
	v_cmp_lt_i32_e64 s[40:41], v19, v18
	s_nop 1
	v_cndmask_b32_e64 v19, v17, v19, s[40:41]
	v_lshlrev_b32_e32 v56, 2, v19
	ds_bpermute_b32 v19, v56, v16
	s_waitcnt vmcnt(5)
	v_mad_i64_i32 v[14:15], s[40:41], v59, s45, 0
	v_lshl_add_u64 v[14:15], v[14:15], 1, v[10:11]
	s_waitcnt lgkmcnt(0)
	v_max_f32_e32 v19, v19, v19
	v_max_f32_e32 v16, v16, v19
	v_xor_b32_e32 v19, 16, v17
	v_cmp_lt_i32_e64 s[40:41], v19, v18
	s_nop 1
	v_cndmask_b32_e64 v17, v17, v19, s[40:41]
	v_lshlrev_b32_e32 v58, 2, v17
	ds_bpermute_b32 v17, v58, v16
	global_load_dwordx4 v[22:25], v[14:15], off
	global_load_dwordx4 v[18:21], v[14:15], off offset:16
	s_waitcnt vmcnt(6)
	v_mad_i64_i32 v[14:15], s[40:41], v60, s45, 0
	v_lshl_add_u64 v[10:11], v[14:15], 1, v[10:11]
	s_waitcnt lgkmcnt(0)
	v_max_f32_e32 v14, v17, v17
	v_max_f32_e32 v55, v16, v14
	v_sub_f32_e32 v12, v12, v55
	v_mul_f32_e32 v12, 0x3fb8aa3b, v12
	v_exp_f32_e32 v48, v12
	v_sub_f32_e32 v12, v13, v55
	v_mul_f32_e32 v12, 0x3fb8aa3b, v12
	v_exp_f32_e32 v49, v12
	global_load_dwordx4 v[14:17], v[10:11], off
	s_nop 0
	global_load_dwordx4 v[10:13], v[10:11], off offset:16
	v_sub_f32_e32 v50, v50, v55
	v_mul_f32_e32 v50, 0x3fb8aa3b, v50
	v_sub_f32_e32 v51, v51, v55
	v_exp_f32_e32 v50, v50
	v_mul_f32_e32 v51, 0x3fb8aa3b, v51
	v_sub_f32_e32 v46, v46, v55
	v_exp_f32_e32 v51, v51
	v_mul_f32_e32 v46, 0x3fb8aa3b, v46
	v_sub_f32_e32 v47, v47, v55
	v_cndmask_b32_e64 v48, 0, v48, s[4:5]
	v_exp_f32_e32 v46, v46
	v_mul_f32_e32 v47, 0x3fb8aa3b, v47
	v_sub_f32_e32 v44, v44, v55
	v_add_f32_e32 v57, 0, v48
	v_cndmask_b32_e64 v49, 0, v49, s[34:35]
	v_exp_f32_e32 v47, v47
	v_mul_f32_e32 v44, 0x3fb8aa3b, v44
	v_sub_f32_e32 v45, v45, v55
	v_add_f32_e32 v57, v57, v49
	;; [unrolled: 5-line block ×10, first 2 shown]
	v_cndmask_b32_e64 v38, 0, v38, s[12:13]
	v_exp_f32_e32 v34, v34
	v_mul_f32_e32 v35, 0x3fb8aa3b, v35
	v_add_f32_e32 v57, v57, v38
	v_cndmask_b32_e64 v39, 0, v39, s[14:15]
	v_exp_f32_e32 v35, v35
	v_add_f32_e32 v57, v57, v39
	v_cndmask_b32_e64 v36, 0, v36, s[8:9]
	v_add_f32_e32 v57, v57, v36
	v_cndmask_b32_e64 v37, 0, v37, s[10:11]
	v_add_f32_e32 v57, v57, v37
	v_cndmask_b32_e32 v34, 0, v34, vcc
	v_add_f32_e32 v57, v57, v34
	v_cndmask_b32_e64 v35, 0, v35, s[6:7]
	v_add_f32_e32 v57, v57, v35
	ds_bpermute_b32 v56, v56, v57
	s_load_dword s7, s[0:1], 0x98
	v_cmp_gt_u32_e32 vcc, 16, v52
	s_waitcnt lgkmcnt(0)
	s_barrier
	v_add_f32_e32 v57, v57, v56
	ds_bpermute_b32 v58, v58, v57
	v_lshlrev_b32_e32 v56, 2, v54
	s_waitcnt lgkmcnt(0)
	s_and_saveexec_b64 s[4:5], vcc
	s_cbranch_execz .LBB169_17
; %bb.16:
	v_add_f32_e32 v57, v57, v58
	v_lshl_or_b32 v58, v53, 6, v56
	ds_write2st64_b32 v58, v55, v57 offset1:1
.LBB169_17:
	s_or_b64 exec, exec, s[4:5]
	s_load_dword s6, s[0:1], 0x94
	s_waitcnt lgkmcnt(0)
	s_barrier
	ds_read2_b32 v[58:59], v56 offset1:16
	ds_read2_b32 v[60:61], v56 offset0:32 offset1:48
	ds_read2_b32 v[62:63], v56 offset0:64 offset1:80
	s_lshl_b32 s7, s7, 1
	s_waitcnt lgkmcnt(2)
	v_max3_f32 v55, v58, s42, v59
	s_waitcnt lgkmcnt(1)
	v_max3_f32 v55, v55, v60, v61
	v_sub_f32_e32 v57, v58, v55
	v_sub_f32_e32 v58, v59, v55
	v_mul_f32_e32 v58, 0x3fb8aa3b, v58
	v_mul_f32_e32 v57, 0x3fb8aa3b, v57
	v_exp_f32_e32 v64, v58
	v_sub_f32_e32 v58, v60, v55
	v_exp_f32_e32 v57, v57
	v_mul_f32_e32 v58, 0x3fb8aa3b, v58
	v_exp_f32_e32 v60, v58
	ds_read2_b32 v[58:59], v56 offset0:96 offset1:112
	v_sub_f32_e32 v56, v61, v55
	v_mul_f32_e32 v56, 0x3fb8aa3b, v56
	v_exp_f32_e32 v61, v56
	s_waitcnt lgkmcnt(1)
	v_fma_f32 v56, v57, v62, 0
	v_fmac_f32_e32 v56, v64, v63
	s_waitcnt lgkmcnt(0)
	v_fmac_f32_e32 v56, v60, v58
	v_fmac_f32_e32 v56, v61, v59
	v_add_f32_e32 v58, 0x358637bd, v56
	v_div_scale_f32 v59, s[4:5], v58, v58, 1.0
	v_rcp_f32_e32 v62, v59
	s_barrier
	v_fma_f32 v63, -v59, v62, 1.0
	v_fmac_f32_e32 v62, v63, v62
	v_div_scale_f32 v63, vcc, 1.0, v58, 1.0
	v_mul_f32_e32 v65, v63, v62
	v_fma_f32 v66, -v59, v65, v63
	v_fmac_f32_e32 v65, v66, v62
	v_fma_f32 v59, -v59, v65, v63
	v_div_fmas_f32 v59, v59, v62, v65
	v_cmp_eq_u32_e32 vcc, 1, v53
	v_div_fixup_f32 v58, v59, v58, 1.0
	s_nop 0
	v_cndmask_b32_e32 v57, v57, v64, vcc
	v_cmp_eq_u32_e32 vcc, 2, v53
	s_nop 1
	v_cndmask_b32_e32 v57, v57, v60, vcc
	v_cmp_eq_u32_e32 vcc, 3, v53
	s_nop 1
	v_cndmask_b32_e32 v57, v57, v61, vcc
	v_mul_f32_e32 v58, v57, v58
	v_pk_mul_f32 v[48:49], v[58:59], v[48:49] op_sel_hi:[0,1]
	v_cvt_f16_f32_e32 v48, v48
	v_cvt_f16_f32_e32 v49, v49
	v_pk_mul_f32 v[50:51], v[58:59], v[50:51] op_sel_hi:[0,1]
	v_pk_mul_f32 v[44:45], v[58:59], v[44:45] op_sel_hi:[0,1]
	;; [unrolled: 1-line block ×3, first 2 shown]
	v_cvt_f16_f32_e32 v57, v50
	v_cvt_f16_f32_e32 v51, v51
	v_pack_b32_f16 v50, v48, v49
	v_lshlrev_b32_e32 v48, 5, v54
	v_cvt_f16_f32_e32 v46, v46
	v_cvt_f16_f32_e32 v47, v47
	;; [unrolled: 1-line block ×4, first 2 shown]
	v_lshlrev_b32_e32 v49, 3, v1
	v_lshlrev_b32_e32 v44, 11, v53
	v_pack_b32_f16 v51, v57, v51
	v_or3_b32 v44, v44, v48, v49
	v_pack_b32_f16 v46, v46, v47
	v_pack_b32_f16 v47, v54, v45
	v_pk_mul_f32 v[38:39], v[58:59], v[38:39] op_sel_hi:[0,1]
	v_pk_mul_f32 v[40:41], v[58:59], v[40:41] op_sel_hi:[0,1]
	v_pk_mul_f32 v[34:35], v[58:59], v[34:35] op_sel_hi:[0,1]
	v_pk_mul_f32 v[36:37], v[58:59], v[36:37] op_sel_hi:[0,1]
	ds_write2st64_b64 v44, v[50:51], v[46:47] offset1:1
	v_cvt_f16_f32_e32 v40, v40
	v_cvt_f16_f32_e32 v41, v41
	;; [unrolled: 1-line block ×8, first 2 shown]
	v_pack_b32_f16 v34, v40, v41
	v_pack_b32_f16 v35, v38, v39
	;; [unrolled: 1-line block ×4, first 2 shown]
	v_cmp_gt_u32_e32 vcc, 2, v0
	ds_write2st64_b64 v44, v[34:35], v[36:37] offset0:2 offset1:3
	s_and_saveexec_b64 s[4:5], vcc
	s_cbranch_execz .LBB169_19
; %bb.18:
	v_or_b32_e32 v34, s29, v0
	v_mov_b32_e32 v35, 0
	v_mov_b32_e32 v36, s7
	v_mad_u64_u32 v[36:37], s[12:13], s2, v36, v[34:35]
	v_mov_b32_e32 v34, s28
	s_load_dwordx4 s[8:11], s[0:1], 0x58
	s_mul_i32 s3, s3, s7
	v_mad_u64_u32 v[34:35], s[12:13], v36, s6, v[34:35]
	v_add_u32_e32 v37, s3, v37
	v_mov_b32_e32 v36, v35
	v_mad_u64_u32 v[36:37], s[12:13], v37, s6, v[36:37]
	v_mov_b32_e32 v35, v36
	v_lshlrev_b64 v[34:35], 2, v[34:35]
	s_waitcnt lgkmcnt(0)
	v_lshl_add_u64 v[36:37], s[10:11], 0, v[34:35]
	v_lshl_add_u64 v[34:35], s[8:9], 0, v[34:35]
	global_store_dword v[36:37], v55, off
	global_store_dword v[34:35], v56, off
.LBB169_19:
	s_or_b64 exec, exec, s[4:5]
	v_lshl_or_b32 v45, v1, 9, v48
	s_waitcnt lgkmcnt(0)
	s_barrier
	ds_read_b128 v[34:37], v45
	ds_read_b128 v[38:41], v45 offset:16
	s_waitcnt vmcnt(7) lgkmcnt(1)
	v_mfma_f32_16x16x16_f16 v[46:49], v[6:7], v[34:35], 0
	v_cmp_gt_u32_e32 vcc, 64, v0
	v_cmp_gt_u32_e64 s[4:5], 32, v52
	s_and_b64 s[4:5], s[4:5], vcc
	v_mfma_f32_16x16x16_f16 v[6:9], v[8:9], v[36:37], v[46:49]
	s_mov_b32 s3, 0
	s_and_b64 s[4:5], s[4:5], s[30:31]
	s_waitcnt vmcnt(6) lgkmcnt(0)
	v_mfma_f32_16x16x16_f16 v[6:9], v[2:3], v[38:39], v[6:9]
	v_mfma_f32_16x16x16_f16 v[2:5], v[4:5], v[40:41], v[6:9]
	s_nop 5
	ds_read_b128 v[6:9], v45 offset:2048
	ds_read_b128 v[34:37], v45 offset:2064
	s_waitcnt vmcnt(5) lgkmcnt(1)
	v_mfma_f32_16x16x16_f16 v[2:5], v[30:31], v[6:7], v[2:5]
	v_mfma_f32_16x16x16_f16 v[2:5], v[32:33], v[8:9], v[2:5]
	s_waitcnt vmcnt(4) lgkmcnt(0)
	v_mfma_f32_16x16x16_f16 v[2:5], v[26:27], v[34:35], v[2:5]
	v_mfma_f32_16x16x16_f16 v[2:5], v[28:29], v[36:37], v[2:5]
	ds_read_b128 v[6:9], v45 offset:4096
	ds_read_b128 v[26:29], v45 offset:4112
	s_waitcnt vmcnt(3) lgkmcnt(1)
	v_mfma_f32_16x16x16_f16 v[2:5], v[22:23], v[6:7], v[2:5]
	v_mfma_f32_16x16x16_f16 v[2:5], v[24:25], v[8:9], v[2:5]
	s_waitcnt vmcnt(2) lgkmcnt(0)
	v_mfma_f32_16x16x16_f16 v[2:5], v[18:19], v[26:27], v[2:5]
	v_mfma_f32_16x16x16_f16 v[2:5], v[20:21], v[28:29], v[2:5]
	ds_read_b128 v[6:9], v45 offset:6144
	ds_read_b128 v[18:21], v45 offset:6160
	s_waitcnt lgkmcnt(0)
	s_barrier
	s_waitcnt vmcnt(1)
	v_mfma_f32_16x16x16_f16 v[2:5], v[14:15], v[6:7], v[2:5]
	v_mfma_f32_16x16x16_f16 v[2:5], v[16:17], v[8:9], v[2:5]
	s_waitcnt vmcnt(0)
	v_mfma_f32_16x16x16_f16 v[2:5], v[10:11], v[18:19], v[2:5]
	v_mfma_f32_16x16x16_f16 v[2:5], v[12:13], v[20:21], v[2:5]
	s_nop 6
	v_cvt_f16_f32_e32 v2, v2
	v_cvt_f16_f32_e32 v3, v3
	;; [unrolled: 1-line block ×4, first 2 shown]
	v_pack_b32_f16 v2, v2, v3
	v_pack_b32_f16 v3, v4, v5
	ds_write_b64 v44, v[2:3]
	s_waitcnt lgkmcnt(0)
	s_barrier
	s_and_saveexec_b64 s[8:9], s[4:5]
	s_cbranch_execz .LBB169_21
; %bb.20:
	s_load_dwordx2 s[0:1], s[0:1], 0x68
	s_mul_i32 s2, s7, s2
	s_lshl_b32 s6, s6, 6
	s_mul_hi_u32 s5, s2, s6
	s_mul_i32 s4, s2, s6
	v_lshlrev_b32_e32 v2, 10, v0
	v_lshlrev_b32_e32 v0, 4, v0
	s_lshl_b64 s[4:5], s[4:5], 1
	v_and_b32_e32 v2, 0x1800, v2
	v_lshlrev_b32_e32 v3, 5, v1
	v_and_b32_e32 v0, 16, v0
	s_waitcnt lgkmcnt(0)
	s_add_u32 s4, s0, s4
	v_or3_b32 v0, v2, v3, v0
	s_addc_u32 s5, s1, s5
	s_lshl_b32 s2, s28, 6
	ds_read_b128 v[2:5], v0
	s_lshl_b64 s[0:1], s[2:3], 1
	s_add_u32 s0, s4, s0
	v_or_b32_e32 v0, s29, v1
	s_addc_u32 s1, s5, s1
	v_mad_u64_u32 v[0:1], s[2:3], s6, v0, 0
	v_lshl_add_u64 v[0:1], v[0:1], 1, s[0:1]
	v_lshl_add_u64 v[0:1], v[42:43], 1, v[0:1]
	s_waitcnt lgkmcnt(0)
	global_store_dwordx4 v[0:1], v[2:5], off
.LBB169_21:
	s_endpgm
	.section	.rodata,"a",@progbits
	.p2align	6, 0x0
	.amdhsa_kernel _Z39paged_attention_ll4mi_QKV_mfma16_kernelIDF16_DF16_LN4vllm18Fp8KVCacheDataTypeE0EDF16_Li32ELi64ELi256ELb1ELi2EEvPKT_PKT0_S7_ifPKiS9_S9_iPKfiiiPfSC_PS2_PT2_iSB_SB_
		.amdhsa_group_segment_fixed_size 8192
		.amdhsa_private_segment_fixed_size 0
		.amdhsa_kernarg_size 400
		.amdhsa_user_sgpr_count 2
		.amdhsa_user_sgpr_dispatch_ptr 0
		.amdhsa_user_sgpr_queue_ptr 0
		.amdhsa_user_sgpr_kernarg_segment_ptr 1
		.amdhsa_user_sgpr_dispatch_id 0
		.amdhsa_user_sgpr_kernarg_preload_length 0
		.amdhsa_user_sgpr_kernarg_preload_offset 0
		.amdhsa_user_sgpr_private_segment_size 0
		.amdhsa_uses_dynamic_stack 0
		.amdhsa_enable_private_segment 0
		.amdhsa_system_sgpr_workgroup_id_x 1
		.amdhsa_system_sgpr_workgroup_id_y 1
		.amdhsa_system_sgpr_workgroup_id_z 1
		.amdhsa_system_sgpr_workgroup_info 0
		.amdhsa_system_vgpr_workitem_id 0
		.amdhsa_next_free_vgpr 73
		.amdhsa_next_free_sgpr 48
		.amdhsa_accum_offset 76
		.amdhsa_reserve_vcc 1
		.amdhsa_float_round_mode_32 0
		.amdhsa_float_round_mode_16_64 0
		.amdhsa_float_denorm_mode_32 3
		.amdhsa_float_denorm_mode_16_64 3
		.amdhsa_dx10_clamp 1
		.amdhsa_ieee_mode 1
		.amdhsa_fp16_overflow 0
		.amdhsa_tg_split 0
		.amdhsa_exception_fp_ieee_invalid_op 0
		.amdhsa_exception_fp_denorm_src 0
		.amdhsa_exception_fp_ieee_div_zero 0
		.amdhsa_exception_fp_ieee_overflow 0
		.amdhsa_exception_fp_ieee_underflow 0
		.amdhsa_exception_fp_ieee_inexact 0
		.amdhsa_exception_int_div_zero 0
	.end_amdhsa_kernel
	.section	.text._Z39paged_attention_ll4mi_QKV_mfma16_kernelIDF16_DF16_LN4vllm18Fp8KVCacheDataTypeE0EDF16_Li32ELi64ELi256ELb1ELi2EEvPKT_PKT0_S7_ifPKiS9_S9_iPKfiiiPfSC_PS2_PT2_iSB_SB_,"axG",@progbits,_Z39paged_attention_ll4mi_QKV_mfma16_kernelIDF16_DF16_LN4vllm18Fp8KVCacheDataTypeE0EDF16_Li32ELi64ELi256ELb1ELi2EEvPKT_PKT0_S7_ifPKiS9_S9_iPKfiiiPfSC_PS2_PT2_iSB_SB_,comdat
.Lfunc_end169:
	.size	_Z39paged_attention_ll4mi_QKV_mfma16_kernelIDF16_DF16_LN4vllm18Fp8KVCacheDataTypeE0EDF16_Li32ELi64ELi256ELb1ELi2EEvPKT_PKT0_S7_ifPKiS9_S9_iPKfiiiPfSC_PS2_PT2_iSB_SB_, .Lfunc_end169-_Z39paged_attention_ll4mi_QKV_mfma16_kernelIDF16_DF16_LN4vllm18Fp8KVCacheDataTypeE0EDF16_Li32ELi64ELi256ELb1ELi2EEvPKT_PKT0_S7_ifPKiS9_S9_iPKfiiiPfSC_PS2_PT2_iSB_SB_
                                        ; -- End function
	.section	.AMDGPU.csdata,"",@progbits
; Kernel info:
; codeLenInByte = 4092
; NumSgprs: 54
; NumVgprs: 73
; NumAgprs: 0
; TotalNumVgprs: 73
; ScratchSize: 0
; MemoryBound: 0
; FloatMode: 240
; IeeeMode: 1
; LDSByteSize: 8192 bytes/workgroup (compile time only)
; SGPRBlocks: 6
; VGPRBlocks: 9
; NumSGPRsForWavesPerEU: 54
; NumVGPRsForWavesPerEU: 73
; AccumOffset: 76
; Occupancy: 6
; WaveLimiterHint : 1
; COMPUTE_PGM_RSRC2:SCRATCH_EN: 0
; COMPUTE_PGM_RSRC2:USER_SGPR: 2
; COMPUTE_PGM_RSRC2:TRAP_HANDLER: 0
; COMPUTE_PGM_RSRC2:TGID_X_EN: 1
; COMPUTE_PGM_RSRC2:TGID_Y_EN: 1
; COMPUTE_PGM_RSRC2:TGID_Z_EN: 1
; COMPUTE_PGM_RSRC2:TIDIG_COMP_CNT: 0
; COMPUTE_PGM_RSRC3_GFX90A:ACCUM_OFFSET: 18
; COMPUTE_PGM_RSRC3_GFX90A:TG_SPLIT: 0
	.section	.text._Z39paged_attention_ll4mi_QKV_mfma16_kernelIDF16_DF16_LN4vllm18Fp8KVCacheDataTypeE0EDF16_Li32ELi64ELi256ELb1ELi3EEvPKT_PKT0_S7_ifPKiS9_S9_iPKfiiiPfSC_PS2_PT2_iSB_SB_,"axG",@progbits,_Z39paged_attention_ll4mi_QKV_mfma16_kernelIDF16_DF16_LN4vllm18Fp8KVCacheDataTypeE0EDF16_Li32ELi64ELi256ELb1ELi3EEvPKT_PKT0_S7_ifPKiS9_S9_iPKfiiiPfSC_PS2_PT2_iSB_SB_,comdat
	.protected	_Z39paged_attention_ll4mi_QKV_mfma16_kernelIDF16_DF16_LN4vllm18Fp8KVCacheDataTypeE0EDF16_Li32ELi64ELi256ELb1ELi3EEvPKT_PKT0_S7_ifPKiS9_S9_iPKfiiiPfSC_PS2_PT2_iSB_SB_ ; -- Begin function _Z39paged_attention_ll4mi_QKV_mfma16_kernelIDF16_DF16_LN4vllm18Fp8KVCacheDataTypeE0EDF16_Li32ELi64ELi256ELb1ELi3EEvPKT_PKT0_S7_ifPKiS9_S9_iPKfiiiPfSC_PS2_PT2_iSB_SB_
	.globl	_Z39paged_attention_ll4mi_QKV_mfma16_kernelIDF16_DF16_LN4vllm18Fp8KVCacheDataTypeE0EDF16_Li32ELi64ELi256ELb1ELi3EEvPKT_PKT0_S7_ifPKiS9_S9_iPKfiiiPfSC_PS2_PT2_iSB_SB_
	.p2align	8
	.type	_Z39paged_attention_ll4mi_QKV_mfma16_kernelIDF16_DF16_LN4vllm18Fp8KVCacheDataTypeE0EDF16_Li32ELi64ELi256ELb1ELi3EEvPKT_PKT0_S7_ifPKiS9_S9_iPKfiiiPfSC_PS2_PT2_iSB_SB_,@function
_Z39paged_attention_ll4mi_QKV_mfma16_kernelIDF16_DF16_LN4vllm18Fp8KVCacheDataTypeE0EDF16_Li32ELi64ELi256ELb1ELi3EEvPKT_PKT0_S7_ifPKiS9_S9_iPKfiiiPfSC_PS2_PT2_iSB_SB_: ; @_Z39paged_attention_ll4mi_QKV_mfma16_kernelIDF16_DF16_LN4vllm18Fp8KVCacheDataTypeE0EDF16_Li32ELi64ELi256ELb1ELi3EEvPKT_PKT0_S7_ifPKiS9_S9_iPKfiiiPfSC_PS2_PT2_iSB_SB_
; %bb.0:
	s_load_dwordx2 s[6:7], s[0:1], 0x30
	s_mov_b32 s28, s3
	s_mov_b64 s[8:9], 0
	s_waitcnt lgkmcnt(0)
	s_cmp_lg_u64 s[6:7], 0
	s_cselect_b64 s[10:11], -1, 0
	s_and_b64 vcc, exec, s[10:11]
	s_cbranch_vccz .LBB170_7
; %bb.1:
	s_add_i32 s12, s2, 1
	s_mov_b32 s13, 0
	s_lshl_b64 s[14:15], s[12:13], 2
	s_add_u32 s14, s6, s14
	s_mov_b32 s3, s13
	s_addc_u32 s15, s7, s15
	s_lshl_b64 s[12:13], s[2:3], 2
	s_add_u32 s12, s6, s12
	s_addc_u32 s13, s7, s13
	s_load_dword s5, s[14:15], 0x0
	s_load_dword s16, s[12:13], 0x0
	s_waitcnt lgkmcnt(0)
	s_sub_i32 s5, s5, s16
	s_cmp_eq_u32 s5, 1
	s_cselect_b64 s[12:13], -1, 0
	s_andn2_b64 vcc, exec, s[8:9]
	s_cbranch_vccnz .LBB170_3
.LBB170_2:
	s_mov_b32 s3, 0
	s_mov_b64 s[12:13], -1
.LBB170_3:
	s_andn2_b64 vcc, exec, s[12:13]
	s_cbranch_vccnz .LBB170_21
; %bb.4:
	s_load_dwordx2 s[8:9], s[0:1], 0x28
	s_lshl_b64 s[12:13], s[2:3], 2
	s_waitcnt lgkmcnt(0)
	s_add_u32 s8, s8, s12
	s_addc_u32 s9, s9, s13
	s_load_dword s29, s[8:9], 0x0
	s_lshl_b32 s14, s28, 8
	s_waitcnt lgkmcnt(0)
	s_cmp_ge_i32 s14, s29
	s_cbranch_scc1 .LBB170_21
; %bb.5:
	s_load_dwordx2 s[8:9], s[0:1], 0x20
	s_load_dword s5, s[0:1], 0x38
	s_add_i32 s15, s29, 31
	s_ashr_i32 s16, s15, 31
	v_and_b32_e32 v1, 0xcf, v0
	s_lshr_b32 s16, s16, 27
	v_add_u32_e32 v1, s14, v1
	s_add_i32 s15, s15, s16
	v_ashrrev_i32_e32 v2, 31, v1
	s_ashr_i32 s15, s15, 5
	v_lshrrev_b32_e32 v6, 27, v2
	s_add_i32 s15, s15, -1
	s_waitcnt lgkmcnt(0)
	s_mul_i32 s16, s2, s5
	s_mov_b32 s17, 0
	v_add_u32_e32 v2, v1, v6
	s_lshl_b64 s[16:17], s[16:17], 2
	v_ashrrev_i32_e32 v2, 5, v2
	v_mov_b32_e32 v7, s15
	v_cmp_gt_i32_e32 vcc, s29, v1
	s_add_u32 s8, s8, s16
	s_addc_u32 s9, s9, s17
	v_cndmask_b32_e32 v2, v7, v2, vcc
	v_ashrrev_i32_e32 v3, 31, v2
	v_lshl_add_u64 v[4:5], v[2:3], 2, s[8:9]
	v_or_b32_e32 v2, 16, v1
	v_add_u32_e32 v3, v2, v6
	v_ashrrev_i32_e32 v3, 5, v3
	v_cmp_gt_i32_e32 vcc, s29, v2
	s_nop 1
	v_cndmask_b32_e32 v2, v7, v3, vcc
	v_ashrrev_i32_e32 v3, 31, v2
	v_lshl_add_u64 v[8:9], v[2:3], 2, s[8:9]
	v_or_b32_e32 v2, 32, v1
	v_add_u32_e32 v3, v2, v6
	v_ashrrev_i32_e32 v3, 5, v3
	v_cmp_gt_i32_e32 vcc, s29, v2
	v_or_b32_e32 v1, 48, v1
	s_nop 0
	v_cndmask_b32_e32 v2, v7, v3, vcc
	v_ashrrev_i32_e32 v3, 31, v2
	v_lshl_add_u64 v[12:13], v[2:3], 2, s[8:9]
	v_add_u32_e32 v2, v1, v6
	v_ashrrev_i32_e32 v2, 5, v2
	v_cmp_gt_i32_e32 vcc, s29, v1
	s_nop 1
	v_cndmask_b32_e32 v2, v7, v2, vcc
	v_ashrrev_i32_e32 v3, 31, v2
	v_lshl_add_u64 v[16:17], v[2:3], 2, s[8:9]
	global_load_dword v2, v[4:5], off
	global_load_dword v6, v[8:9], off
	;; [unrolled: 1-line block ×4, first 2 shown]
	s_andn2_b64 vcc, exec, s[10:11]
	s_cbranch_vccnz .LBB170_8
; %bb.6:
	s_add_u32 s6, s6, s12
	s_addc_u32 s7, s7, s13
	s_load_dword s5, s[6:7], 0x0
	s_branch .LBB170_9
.LBB170_7:
	s_mov_b64 s[12:13], 0
	s_branch .LBB170_2
.LBB170_8:
	s_mov_b32 s5, s2
.LBB170_9:
	s_load_dwordx2 s[10:11], s[0:1], 0x8
	s_load_dwordx4 s[44:47], s[0:1], 0x48
	v_lshrrev_b32_e32 v45, 6, v0
	v_bfe_u32 v1, v0, 4, 2
	v_lshl_or_b32 v3, v45, 2, v1
	v_and_b32_e32 v44, 15, v0
	v_cmp_lt_u32_e32 vcc, 2, v3
	v_cmp_lt_u32_e64 s[6:7], 7, v44
	s_mul_i32 s42, s4, 3
	v_lshlrev_b32_e32 v42, 3, v44
	v_cmp_gt_u32_e64 s[30:31], 8, v44
	s_or_b64 s[6:7], s[6:7], vcc
	s_and_saveexec_b64 s[12:13], s[6:7]
	s_xor_b64 s[6:7], exec, s[12:13]
; %bb.10:
	v_mov_b32_e32 v43, 0
                                        ; implicit-def: $vgpr3
; %bb.11:
	s_or_saveexec_b64 s[12:13], s[6:7]
	s_load_dwordx2 s[6:7], s[0:1], 0x10
	v_add_u32_e32 v54, s42, v1
	s_xor_b64 exec, exec, s[12:13]
	s_cbranch_execz .LBB170_13
; %bb.12:
	s_load_dwordx2 s[16:17], s[0:1], 0x0
	s_waitcnt lgkmcnt(0)
	s_ashr_i32 s18, s44, 31
	s_mul_hi_u32 s19, s5, s44
	s_mul_i32 s18, s5, s18
	s_add_i32 s19, s19, s18
	s_mul_i32 s18, s5, s44
	s_lshl_b64 s[18:19], s[18:19], 1
	s_add_u32 s16, s16, s18
	v_lshlrev_b32_e32 v4, 6, v54
	s_addc_u32 s17, s17, s19
	v_ashrrev_i32_e32 v5, 31, v4
	v_mov_b32_e32 v43, 0
	v_lshl_add_u64 v[4:5], v[4:5], 1, s[16:17]
	v_lshlrev_b32_e32 v8, 1, v42
	v_mov_b32_e32 v9, v43
	v_lshl_add_u64 v[4:5], v[4:5], 0, v[8:9]
	global_load_dwordx4 v[16:19], v[4:5], off
	v_and_b32_e32 v4, 3, v0
	v_lshlrev_b32_e32 v5, 9, v44
	v_lshlrev_b32_e32 v3, 5, v3
	;; [unrolled: 1-line block ×3, first 2 shown]
	v_and_b32_e32 v5, 0x1800, v5
	v_or3_b32 v3, v5, v4, v3
	s_waitcnt vmcnt(0)
	ds_write_b128 v3, v[16:19]
.LBB170_13:
	s_or_b64 exec, exec, s[12:13]
	s_waitcnt lgkmcnt(0)
	s_mul_i32 s4, s4, s46
	s_mov_b32 s5, 0
	s_lshl_b64 s[4:5], s[4:5], 1
	s_add_u32 s10, s10, s4
	s_addc_u32 s11, s11, s5
	s_waitcnt vmcnt(3)
	v_mad_i64_i32 v[2:3], s[12:13], v2, s45, 0
	v_lshl_add_u64 v[2:3], v[2:3], 1, s[10:11]
	v_lshlrev_b64 v[12:13], 1, v[42:43]
	v_lshlrev_b32_e32 v46, 9, v1
	v_lshl_add_u64 v[2:3], v[2:3], 0, v[12:13]
	v_mov_b32_e32 v47, 0
	v_lshl_add_u64 v[8:9], v[2:3], 0, v[46:47]
	s_barrier
	global_load_dwordx4 v[22:25], v[8:9], off
	global_load_dwordx4 v[2:5], v[8:9], off offset:2048
	s_waitcnt vmcnt(4)
	v_mad_i64_i32 v[6:7], s[12:13], v6, s45, 0
	v_mov_b32_e32 v8, 0x100
	v_lshl_add_u64 v[6:7], v[6:7], 1, s[10:11]
	v_lshl_or_b32 v16, v44, 4, v8
	v_mov_b32_e32 v17, v47
	s_waitcnt vmcnt(3)
	v_mad_i64_i32 v[10:11], s[12:13], v10, s45, 0
	v_lshl_add_u64 v[6:7], v[6:7], 0, v[16:17]
	v_lshl_add_u64 v[10:11], v[10:11], 1, s[10:11]
	s_waitcnt vmcnt(2)
	v_mad_i64_i32 v[14:15], s[12:13], v14, s45, 0
	v_lshl_add_u64 v[18:19], v[6:7], 0, v[46:47]
	v_lshl_add_u64 v[10:11], v[10:11], 0, v[12:13]
	;; [unrolled: 1-line block ×3, first 2 shown]
	global_load_dwordx4 v[26:29], v[18:19], off
	global_load_dwordx4 v[6:9], v[18:19], off offset:2048
	v_lshl_add_u64 v[18:19], v[10:11], 0, v[46:47]
	v_lshl_add_u64 v[14:15], v[14:15], 0, v[16:17]
	global_load_dwordx4 v[30:33], v[18:19], off
	global_load_dwordx4 v[10:13], v[18:19], off offset:2048
	v_lshl_add_u64 v[18:19], v[14:15], 0, v[46:47]
	global_load_dwordx4 v[34:37], v[18:19], off
	global_load_dwordx4 v[14:17], v[18:19], off offset:2048
	v_mul_lo_u16_e32 v18, 0x56, v44
	v_mov_b32_e32 v19, 3
	v_mul_lo_u16_sdwa v18, v18, v19 dst_sel:DWORD dst_unused:UNUSED_PAD src0_sel:BYTE_1 src1_sel:DWORD
	v_sub_u16_e32 v18, v44, v18
	v_and_b32_e32 v18, 0xff, v18
	v_lshl_add_u32 v18, v18, 5, v46
	ds_read_b128 v[38:41], v18
	ds_read_b128 v[18:21], v18 offset:2048
	v_and_b32_e32 v55, 63, v0
	v_cmp_gt_u32_e32 vcc, 3, v44
	v_mov_b32_e32 v50, 0
	s_and_saveexec_b64 s[10:11], vcc
	s_cbranch_execz .LBB170_15
; %bb.14:
	s_load_dwordx2 s[12:13], s[0:1], 0x40
	v_add_u32_e32 v48, s42, v44
	v_ashrrev_i32_e32 v49, 31, v48
	s_waitcnt lgkmcnt(0)
	v_lshl_add_u64 v[48:49], v[48:49], 2, s[12:13]
	global_load_dword v50, v[48:49], off
.LBB170_15:
	s_or_b64 exec, exec, s[10:11]
	s_ashr_i32 s10, s14, 31
	v_and_or_b32 v46, v0, 48, s14
	s_lshr_b32 s11, s10, 27
	v_add_u32_e32 v48, s11, v46
	v_or_b32_e32 v52, 64, v46
	v_ashrrev_i32_e32 v48, 5, v48
	v_mov_b32_e32 v51, s15
	v_cmp_gt_i32_e32 vcc, s29, v46
	v_add_u32_e32 v53, s11, v52
	s_waitcnt vmcnt(7) lgkmcnt(1)
	v_mfma_f32_16x16x16_f16 v[56:59], v[22:23], v[38:39], 0
	v_cndmask_b32_e32 v48, v51, v48, vcc
	v_ashrrev_i32_e32 v22, 5, v53
	v_cmp_gt_i32_e32 vcc, s29, v52
	v_ashrrev_i32_e32 v49, 31, v48
	v_lshl_add_u64 v[48:49], v[48:49], 2, s[8:9]
	v_cndmask_b32_e32 v22, v51, v22, vcc
	v_ashrrev_i32_e32 v23, 31, v22
	v_lshl_add_u64 v[22:23], v[22:23], 2, s[8:9]
	global_load_dword v72, v[48:49], off
	global_load_dword v73, v[22:23], off
	s_waitcnt vmcnt(3)
	v_mfma_f32_16x16x16_f16 v[68:71], v[34:35], v[38:39], 0
	v_or_b32_e32 v48, 0xc0, v46
	v_add_u32_e32 v52, s11, v48
	s_add_u32 s4, s6, s4
	v_mfma_f32_16x16x16_f16 v[60:63], v[26:27], v[38:39], 0
	s_addc_u32 s5, s7, s5
	s_load_dword s10, s[0:1], 0x1c
	s_mov_b32 s33, 0xff7fffff
	v_mfma_f32_16x16x16_f16 v[64:67], v[30:31], v[38:39], 0
	v_and_b32_e32 v31, 0xc0, v0
	v_or_b32_e32 v38, 0x80, v46
	v_add_u32_e32 v34, s14, v31
	v_mfma_f32_16x16x16_f16 v[22:25], v[24:25], v[40:41], v[56:59]
	v_and_b32_e32 v30, 16, v0
	v_add_u32_e32 v49, s11, v38
	v_lshlrev_b32_e32 v46, 1, v30
	v_lshl_or_b32 v56, v1, 2, v34
	v_mfma_f32_16x16x16_f16 v[34:37], v[36:37], v[40:41], v[68:71]
	v_cmp_gt_i32_e32 vcc, s29, v38
	v_lshlrev_b32_e32 v39, 6, v44
	v_or_b32_e32 v57, 1, v56
	v_mfma_f32_16x16x16_f16 v[26:29], v[28:29], v[40:41], v[60:63]
	v_cmp_gt_i32_e64 s[34:35], s29, v57
	v_mfma_f32_16x16x16_f16 v[30:33], v[32:33], v[40:41], v[64:67]
	v_ashrrev_i32_e32 v40, 5, v49
	v_ashrrev_i32_e32 v41, 5, v52
	v_cndmask_b32_e32 v38, v51, v40, vcc
	v_cmp_gt_i32_e32 vcc, s29, v48
	s_waitcnt lgkmcnt(0)
	v_mfma_f32_16x16x16_f16 v[22:25], v[2:3], v[18:19], v[22:25]
	v_lshl_add_u64 v[2:3], s[4:5], 0, v[46:47]
	v_cndmask_b32_e32 v40, v51, v41, vcc
	v_lshl_or_b32 v46, v45, 10, v39
	v_ashrrev_i32_e32 v39, 31, v38
	v_ashrrev_i32_e32 v41, 31, v40
	s_waitcnt vmcnt(2)
	v_mfma_f32_16x16x16_f16 v[34:37], v[14:15], v[18:19], v[34:37]
	v_lshl_add_u64 v[14:15], v[38:39], 2, s[8:9]
	v_subrev_u32_e32 v51, s29, v57
	v_cvt_f32_i32_e32 v58, v51
	v_mfma_f32_16x16x16_f16 v[26:29], v[6:7], v[18:19], v[26:29]
	v_mfma_f32_16x16x16_f16 v[30:33], v[10:11], v[18:19], v[30:33]
	v_lshl_add_u64 v[18:19], v[40:41], 2, s[8:9]
	global_load_dword v59, v[14:15], off
	global_load_dword v60, v[18:19], off
	v_lshl_add_u64 v[10:11], v[2:3], 0, v[46:47]
	v_mfma_f32_16x16x16_f16 v[2:5], v[4:5], v[20:21], v[22:25]
	v_add_u32_e32 v46, 1, v51
	v_add_u32_e32 v47, 3, v51
	;; [unrolled: 1-line block ×3, first 2 shown]
	v_mfma_f32_16x16x16_f16 v[14:17], v[16:17], v[20:21], v[34:37]
	v_add_u32_e32 v22, 2, v51
	s_nop 1
	v_pk_mul_f32 v[52:53], s[10:11], v[4:5] op_sel_hi:[0,1]
	v_cvt_f32_i32_e32 v18, v18
	v_mfma_f32_16x16x16_f16 v[6:9], v[8:9], v[20:21], v[26:29]
	v_add_u32_e32 v19, 19, v51
	v_pk_mul_f32 v[34:35], s[10:11], v[16:17] op_sel_hi:[0,1]
	v_pk_mul_f32 v[36:37], s[10:11], v[14:15] op_sel_hi:[0,1]
	v_cvt_f32_i32_e32 v27, v22
	v_mfma_f32_16x16x16_f16 v[22:25], v[12:13], v[20:21], v[30:33]
	v_pk_mul_f32 v[12:13], s[10:11], v[2:3] op_sel_hi:[0,1]
	v_cvt_f32_i32_e32 v26, v46
	v_cvt_f32_i32_e32 v28, v47
	v_pk_mul_f32 v[46:47], s[10:11], v[8:9] op_sel_hi:[0,1]
	v_pk_mul_f32 v[48:49], s[10:11], v[6:7] op_sel_hi:[0,1]
	v_cvt_f32_i32_e32 v19, v19
	v_fma_f32 v46, v50, v18, v46
	v_add_u32_e32 v18, 34, v51
	v_cvt_f32_i32_e32 v18, v18
	v_fmac_f32_e32 v47, v50, v19
	v_add_u32_e32 v19, 35, v51
	v_cvt_f32_i32_e32 v19, v19
	v_pk_mul_f32 v[40:41], s[10:11], v[22:23] op_sel_hi:[0,1]
	v_pk_mul_f32 v[38:39], s[10:11], v[24:25] op_sel_hi:[0,1]
	v_fma_f32 v38, v50, v18, v38
	v_add_u32_e32 v18, 50, v51
	s_waitcnt vmcnt(3)
	v_mad_i64_i32 v[2:3], s[4:5], v72, s45, 0
	s_waitcnt vmcnt(2)
	v_mad_i64_i32 v[4:5], s[4:5], v73, s45, 0
	v_lshl_add_u64 v[16:17], v[2:3], 1, v[10:11]
	v_lshl_add_u64 v[14:15], v[4:5], 1, v[10:11]
	global_load_dwordx4 v[6:9], v[16:17], off
	global_load_dwordx4 v[2:5], v[16:17], off offset:16
	v_add_u32_e32 v16, 16, v51
	v_cvt_f32_i32_e32 v16, v16
	v_add_u32_e32 v17, 17, v51
	v_cvt_f32_i32_e32 v17, v17
	v_fmac_f32_e32 v39, v50, v19
	v_fma_f32 v48, v50, v16, v48
	v_add_u32_e32 v16, 32, v51
	v_fmac_f32_e32 v49, v50, v17
	v_cvt_f32_i32_e32 v16, v16
	v_add_u32_e32 v17, 33, v51
	v_cvt_f32_i32_e32 v17, v17
	v_cvt_f32_i32_e32 v18, v18
	v_fma_f32 v40, v50, v16, v40
	v_add_u32_e32 v16, 48, v51
	v_fmac_f32_e32 v41, v50, v17
	v_cvt_f32_i32_e32 v16, v16
	v_add_u32_e32 v17, 49, v51
	v_cvt_f32_i32_e32 v17, v17
	v_add_u32_e32 v19, 51, v51
	v_cvt_f32_i32_e32 v19, v19
	v_fma_f32 v12, v50, v58, v12
	v_fmac_f32_e32 v13, v50, v26
	v_fma_f32 v36, v50, v16, v36
	v_mov_b32_e32 v16, 0xff7fffff
	v_cmp_gt_i32_e64 s[4:5], s29, v56
	v_fmac_f32_e32 v37, v50, v17
	v_fma_f32 v34, v50, v18, v34
	v_cndmask_b32_e64 v17, v16, v12, s[4:5]
	v_cndmask_b32_e64 v18, v16, v13, s[34:35]
	v_fmac_f32_e32 v35, v50, v19
	v_max3_f32 v17, v17, s33, v18
	v_or_b32_e32 v18, 2, v56
	v_or_b32_e32 v19, 3, v56
	v_fma_f32 v52, v50, v27, v52
	v_fmac_f32_e32 v53, v50, v28
	v_cmp_gt_i32_e64 s[36:37], s29, v18
	v_cmp_gt_i32_e64 s[38:39], s29, v19
	global_load_dwordx4 v[30:33], v[14:15], off
	global_load_dwordx4 v[26:29], v[14:15], off offset:16
	v_cndmask_b32_e64 v18, v16, v52, s[36:37]
	v_cndmask_b32_e64 v19, v16, v53, s[38:39]
	v_max3_f32 v17, v17, v18, v19
	v_or_b32_e32 v18, 16, v56
	v_or_b32_e32 v19, 17, v56
	v_cmp_gt_i32_e64 s[24:25], s29, v18
	v_cmp_gt_i32_e64 s[26:27], s29, v19
	s_nop 0
	v_cndmask_b32_e64 v18, v16, v48, s[24:25]
	v_cndmask_b32_e64 v19, v16, v49, s[26:27]
	v_max3_f32 v17, v17, v18, v19
	v_or_b32_e32 v18, 18, v56
	v_or_b32_e32 v19, 19, v56
	v_cmp_gt_i32_e64 s[20:21], s29, v18
	v_cmp_gt_i32_e64 s[22:23], s29, v19
	s_nop 0
	;; [unrolled: 8-line block ×5, first 2 shown]
	v_cndmask_b32_e64 v18, v16, v36, s[8:9]
	v_cndmask_b32_e64 v19, v16, v37, s[10:11]
	v_max3_f32 v17, v17, v18, v19
	v_or_b32_e32 v18, 50, v56
	v_or_b32_e32 v19, 51, v56
	v_cmp_gt_i32_e32 vcc, s29, v18
	v_cmp_gt_i32_e64 s[6:7], s29, v19
	s_nop 0
	v_cndmask_b32_e32 v18, v16, v34, vcc
	v_cndmask_b32_e64 v16, v16, v35, s[6:7]
	v_max3_f32 v16, v17, v18, v16
	v_mbcnt_lo_u32_b32 v17, -1, 0
	v_mbcnt_hi_u32_b32 v17, -1, v17
	v_and_b32_e32 v18, 64, v17
	v_add_u32_e32 v18, 64, v18
	v_xor_b32_e32 v19, 32, v17
	v_cmp_lt_i32_e64 s[40:41], v19, v18
	s_nop 1
	v_cndmask_b32_e64 v19, v17, v19, s[40:41]
	v_lshlrev_b32_e32 v57, 2, v19
	ds_bpermute_b32 v19, v57, v16
	s_waitcnt vmcnt(5)
	v_mad_i64_i32 v[14:15], s[40:41], v59, s45, 0
	v_lshl_add_u64 v[14:15], v[14:15], 1, v[10:11]
	s_waitcnt lgkmcnt(0)
	v_max_f32_e32 v19, v19, v19
	v_max_f32_e32 v16, v16, v19
	v_xor_b32_e32 v19, 16, v17
	v_cmp_lt_i32_e64 s[40:41], v19, v18
	s_nop 1
	v_cndmask_b32_e64 v17, v17, v19, s[40:41]
	v_lshlrev_b32_e32 v59, 2, v17
	ds_bpermute_b32 v17, v59, v16
	global_load_dwordx4 v[22:25], v[14:15], off
	global_load_dwordx4 v[18:21], v[14:15], off offset:16
	s_waitcnt vmcnt(6)
	v_mad_i64_i32 v[14:15], s[40:41], v60, s45, 0
	v_lshl_add_u64 v[10:11], v[14:15], 1, v[10:11]
	s_waitcnt lgkmcnt(0)
	v_max_f32_e32 v14, v17, v17
	v_max_f32_e32 v56, v16, v14
	v_sub_f32_e32 v12, v12, v56
	v_mul_f32_e32 v12, 0x3fb8aa3b, v12
	v_exp_f32_e32 v50, v12
	v_sub_f32_e32 v12, v13, v56
	v_mul_f32_e32 v12, 0x3fb8aa3b, v12
	v_exp_f32_e32 v51, v12
	global_load_dwordx4 v[14:17], v[10:11], off
	s_nop 0
	global_load_dwordx4 v[10:13], v[10:11], off offset:16
	v_sub_f32_e32 v52, v52, v56
	v_mul_f32_e32 v52, 0x3fb8aa3b, v52
	v_sub_f32_e32 v53, v53, v56
	v_exp_f32_e32 v52, v52
	v_mul_f32_e32 v53, 0x3fb8aa3b, v53
	v_sub_f32_e32 v48, v48, v56
	v_exp_f32_e32 v53, v53
	v_mul_f32_e32 v48, 0x3fb8aa3b, v48
	v_sub_f32_e32 v49, v49, v56
	v_cndmask_b32_e64 v50, 0, v50, s[4:5]
	v_exp_f32_e32 v48, v48
	v_mul_f32_e32 v49, 0x3fb8aa3b, v49
	v_sub_f32_e32 v46, v46, v56
	v_add_f32_e32 v58, 0, v50
	v_cndmask_b32_e64 v51, 0, v51, s[34:35]
	v_exp_f32_e32 v49, v49
	v_mul_f32_e32 v46, 0x3fb8aa3b, v46
	v_sub_f32_e32 v47, v47, v56
	v_add_f32_e32 v58, v58, v51
	;; [unrolled: 5-line block ×10, first 2 shown]
	v_cndmask_b32_e64 v38, 0, v38, s[12:13]
	v_exp_f32_e32 v34, v34
	v_mul_f32_e32 v35, 0x3fb8aa3b, v35
	v_add_f32_e32 v58, v58, v38
	v_cndmask_b32_e64 v39, 0, v39, s[14:15]
	v_exp_f32_e32 v35, v35
	v_add_f32_e32 v58, v58, v39
	v_cndmask_b32_e64 v36, 0, v36, s[8:9]
	v_add_f32_e32 v58, v58, v36
	v_cndmask_b32_e64 v37, 0, v37, s[10:11]
	v_add_f32_e32 v58, v58, v37
	v_cndmask_b32_e32 v34, 0, v34, vcc
	v_add_f32_e32 v58, v58, v34
	v_cndmask_b32_e64 v35, 0, v35, s[6:7]
	v_add_f32_e32 v58, v58, v35
	ds_bpermute_b32 v57, v57, v58
	s_load_dword s7, s[0:1], 0x98
	v_cmp_gt_u32_e32 vcc, 16, v55
	s_waitcnt lgkmcnt(0)
	s_barrier
	v_add_f32_e32 v58, v58, v57
	ds_bpermute_b32 v59, v59, v58
	v_lshlrev_b32_e32 v57, 2, v44
	s_waitcnt lgkmcnt(0)
	s_and_saveexec_b64 s[4:5], vcc
	s_cbranch_execz .LBB170_17
; %bb.16:
	v_add_f32_e32 v55, v58, v59
	v_lshl_or_b32 v58, v45, 6, v57
	ds_write2st64_b32 v58, v56, v55 offset1:1
.LBB170_17:
	s_or_b64 exec, exec, s[4:5]
	s_load_dword s6, s[0:1], 0x94
	s_waitcnt lgkmcnt(0)
	s_barrier
	ds_read2_b32 v[58:59], v57 offset1:16
	ds_read2_b32 v[60:61], v57 offset0:32 offset1:48
	ds_read2_b32 v[62:63], v57 offset0:64 offset1:80
	s_mul_i32 s7, s7, 3
	s_waitcnt lgkmcnt(2)
	v_max3_f32 v55, v58, s33, v59
	s_waitcnt lgkmcnt(1)
	v_max3_f32 v55, v55, v60, v61
	v_sub_f32_e32 v56, v58, v55
	v_mul_f32_e32 v56, 0x3fb8aa3b, v56
	v_exp_f32_e32 v64, v56
	v_sub_f32_e32 v56, v59, v55
	v_mul_f32_e32 v56, 0x3fb8aa3b, v56
	v_exp_f32_e32 v65, v56
	;; [unrolled: 3-line block ×3, first 2 shown]
	ds_read2_b32 v[58:59], v57 offset0:96 offset1:112
	v_sub_f32_e32 v56, v61, v55
	v_mul_f32_e32 v56, 0x3fb8aa3b, v56
	v_exp_f32_e32 v57, v56
	s_waitcnt lgkmcnt(1)
	v_fma_f32 v56, v64, v62, 0
	v_fmac_f32_e32 v56, v65, v63
	s_waitcnt lgkmcnt(0)
	v_fmac_f32_e32 v56, v60, v58
	v_fmac_f32_e32 v56, v57, v59
	v_add_f32_e32 v58, 0x358637bd, v56
	v_div_scale_f32 v59, s[4:5], v58, v58, 1.0
	v_rcp_f32_e32 v61, v59
	s_barrier
	v_fma_f32 v62, -v59, v61, 1.0
	v_fmac_f32_e32 v61, v62, v61
	v_div_scale_f32 v62, vcc, 1.0, v58, 1.0
	v_mul_f32_e32 v63, v62, v61
	v_fma_f32 v66, -v59, v63, v62
	v_fmac_f32_e32 v63, v66, v61
	v_fma_f32 v59, -v59, v63, v62
	v_div_fmas_f32 v59, v59, v61, v63
	v_cmp_eq_u32_e32 vcc, 1, v45
	v_div_fixup_f32 v58, v59, v58, 1.0
	s_nop 0
	v_cndmask_b32_e32 v59, v64, v65, vcc
	v_cmp_eq_u32_e32 vcc, 2, v45
	s_nop 1
	v_cndmask_b32_e32 v59, v59, v60, vcc
	v_cmp_eq_u32_e32 vcc, 3, v45
	v_lshlrev_b32_e32 v45, 11, v45
	s_nop 0
	v_cndmask_b32_e32 v57, v59, v57, vcc
	v_mul_f32_e32 v58, v57, v58
	v_pk_mul_f32 v[52:53], v[58:59], v[52:53] op_sel_hi:[0,1]
	v_cvt_f16_f32_e32 v57, v52
	v_cvt_f16_f32_e32 v53, v53
	v_pk_mul_f32 v[50:51], v[58:59], v[50:51] op_sel_hi:[0,1]
	v_cvt_f16_f32_e32 v50, v50
	v_cvt_f16_f32_e32 v51, v51
	v_pk_mul_f32 v[46:47], v[58:59], v[46:47] op_sel_hi:[0,1]
	v_pk_mul_f32 v[48:49], v[58:59], v[48:49] op_sel_hi:[0,1]
	v_pack_b32_f16 v53, v57, v53
	v_cvt_f16_f32_e32 v48, v48
	v_cvt_f16_f32_e32 v49, v49
	;; [unrolled: 1-line block ×4, first 2 shown]
	v_pack_b32_f16 v52, v50, v51
	v_lshlrev_b32_e32 v51, 3, v1
	v_lshlrev_b32_e32 v50, 5, v44
	v_pk_mul_f32 v[38:39], v[58:59], v[38:39] op_sel_hi:[0,1]
	v_pk_mul_f32 v[40:41], v[58:59], v[40:41] op_sel_hi:[0,1]
	;; [unrolled: 1-line block ×4, first 2 shown]
	v_or3_b32 v46, v45, v50, v51
	v_pack_b32_f16 v48, v48, v49
	v_pack_b32_f16 v49, v57, v47
	v_cvt_f16_f32_e32 v40, v40
	v_cvt_f16_f32_e32 v41, v41
	v_cvt_f16_f32_e32 v38, v38
	v_cvt_f16_f32_e32 v39, v39
	v_cvt_f16_f32_e32 v36, v36
	v_cvt_f16_f32_e32 v37, v37
	v_cvt_f16_f32_e32 v45, v34
	v_cvt_f16_f32_e32 v47, v35
	v_pack_b32_f16 v34, v40, v41
	v_pack_b32_f16 v35, v38, v39
	;; [unrolled: 1-line block ×4, first 2 shown]
	v_cmp_gt_u32_e32 vcc, 3, v0
	ds_write2st64_b64 v46, v[52:53], v[48:49] offset1:1
	ds_write2st64_b64 v46, v[34:35], v[36:37] offset0:2 offset1:3
	s_and_saveexec_b64 s[4:5], vcc
	s_cbranch_execz .LBB170_19
; %bb.18:
	s_mov_b32 s43, 0
	v_mov_b32_e32 v45, 0
	v_lshl_add_u64 v[34:35], s[42:43], 0, v[44:45]
	v_mov_b32_e32 v36, s7
	v_mad_u64_u32 v[34:35], s[12:13], s2, v36, v[34:35]
	s_mul_i32 s3, s3, s7
	v_mov_b32_e32 v44, s28
	s_load_dwordx4 s[8:11], s[0:1], 0x58
	v_add_u32_e32 v37, s3, v35
	v_mad_u64_u32 v[34:35], s[12:13], v34, s6, v[44:45]
	v_mov_b32_e32 v36, v35
	v_mad_u64_u32 v[36:37], s[12:13], v37, s6, v[36:37]
	v_mov_b32_e32 v35, v36
	v_lshlrev_b64 v[34:35], 2, v[34:35]
	s_waitcnt lgkmcnt(0)
	v_lshl_add_u64 v[36:37], s[10:11], 0, v[34:35]
	v_lshl_add_u64 v[34:35], s[8:9], 0, v[34:35]
	global_store_dword v[36:37], v55, off
	global_store_dword v[34:35], v56, off
.LBB170_19:
	s_or_b64 exec, exec, s[4:5]
	v_lshl_or_b32 v44, v1, 9, v50
	s_waitcnt lgkmcnt(0)
	s_barrier
	ds_read_b128 v[34:37], v44
	ds_read_b128 v[38:41], v44 offset:16
	s_waitcnt vmcnt(7) lgkmcnt(1)
	v_mfma_f32_16x16x16_f16 v[48:51], v[6:7], v[34:35], 0
	v_cmp_gt_u32_e32 vcc, 64, v0
	v_cmp_ne_u32_e64 s[4:5], 3, v1
	s_and_b64 s[4:5], s[4:5], vcc
	v_mfma_f32_16x16x16_f16 v[6:9], v[8:9], v[36:37], v[48:51]
	s_mov_b32 s3, 0
	s_and_b64 s[4:5], s[4:5], s[30:31]
	s_waitcnt vmcnt(6) lgkmcnt(0)
	v_mfma_f32_16x16x16_f16 v[6:9], v[2:3], v[38:39], v[6:9]
	v_mfma_f32_16x16x16_f16 v[2:5], v[4:5], v[40:41], v[6:9]
	s_nop 5
	ds_read_b128 v[6:9], v44 offset:2048
	ds_read_b128 v[34:37], v44 offset:2064
	s_waitcnt vmcnt(5) lgkmcnt(1)
	v_mfma_f32_16x16x16_f16 v[2:5], v[30:31], v[6:7], v[2:5]
	v_mfma_f32_16x16x16_f16 v[2:5], v[32:33], v[8:9], v[2:5]
	s_waitcnt vmcnt(4) lgkmcnt(0)
	v_mfma_f32_16x16x16_f16 v[2:5], v[26:27], v[34:35], v[2:5]
	v_mfma_f32_16x16x16_f16 v[2:5], v[28:29], v[36:37], v[2:5]
	ds_read_b128 v[6:9], v44 offset:4096
	ds_read_b128 v[26:29], v44 offset:4112
	s_waitcnt vmcnt(3) lgkmcnt(1)
	v_mfma_f32_16x16x16_f16 v[2:5], v[22:23], v[6:7], v[2:5]
	v_mfma_f32_16x16x16_f16 v[2:5], v[24:25], v[8:9], v[2:5]
	s_waitcnt vmcnt(2) lgkmcnt(0)
	v_mfma_f32_16x16x16_f16 v[2:5], v[18:19], v[26:27], v[2:5]
	v_mfma_f32_16x16x16_f16 v[2:5], v[20:21], v[28:29], v[2:5]
	ds_read_b128 v[6:9], v44 offset:6144
	ds_read_b128 v[18:21], v44 offset:6160
	s_waitcnt lgkmcnt(0)
	s_barrier
	s_waitcnt vmcnt(1)
	v_mfma_f32_16x16x16_f16 v[2:5], v[14:15], v[6:7], v[2:5]
	v_mfma_f32_16x16x16_f16 v[2:5], v[16:17], v[8:9], v[2:5]
	s_waitcnt vmcnt(0)
	v_mfma_f32_16x16x16_f16 v[2:5], v[10:11], v[18:19], v[2:5]
	v_mfma_f32_16x16x16_f16 v[2:5], v[12:13], v[20:21], v[2:5]
	s_nop 6
	v_cvt_f16_f32_e32 v2, v2
	v_cvt_f16_f32_e32 v3, v3
	;; [unrolled: 1-line block ×4, first 2 shown]
	v_pack_b32_f16 v2, v2, v3
	v_pack_b32_f16 v3, v4, v5
	ds_write_b64 v46, v[2:3]
	s_waitcnt lgkmcnt(0)
	s_barrier
	s_and_saveexec_b64 s[8:9], s[4:5]
	s_cbranch_execz .LBB170_21
; %bb.20:
	s_load_dwordx2 s[0:1], s[0:1], 0x68
	s_mul_i32 s2, s7, s2
	s_lshl_b32 s6, s6, 6
	s_mul_hi_u32 s5, s2, s6
	s_mul_i32 s4, s2, s6
	v_lshlrev_b32_e32 v2, 10, v0
	v_lshlrev_b32_e32 v0, 4, v0
	s_lshl_b64 s[4:5], s[4:5], 1
	v_and_b32_e32 v2, 0x1800, v2
	v_lshlrev_b32_e32 v1, 5, v1
	v_and_b32_e32 v0, 16, v0
	s_waitcnt lgkmcnt(0)
	s_add_u32 s4, s0, s4
	v_or3_b32 v0, v2, v1, v0
	s_addc_u32 s5, s1, s5
	s_lshl_b32 s2, s28, 6
	ds_read_b128 v[0:3], v0
	s_lshl_b64 s[0:1], s[2:3], 1
	s_add_u32 s0, s4, s0
	s_addc_u32 s1, s5, s1
	v_mad_u64_u32 v[4:5], s[2:3], s6, v54, 0
	v_lshl_add_u64 v[4:5], v[4:5], 1, s[0:1]
	v_lshl_add_u64 v[4:5], v[42:43], 1, v[4:5]
	s_waitcnt lgkmcnt(0)
	global_store_dwordx4 v[4:5], v[0:3], off
.LBB170_21:
	s_endpgm
	.section	.rodata,"a",@progbits
	.p2align	6, 0x0
	.amdhsa_kernel _Z39paged_attention_ll4mi_QKV_mfma16_kernelIDF16_DF16_LN4vllm18Fp8KVCacheDataTypeE0EDF16_Li32ELi64ELi256ELb1ELi3EEvPKT_PKT0_S7_ifPKiS9_S9_iPKfiiiPfSC_PS2_PT2_iSB_SB_
		.amdhsa_group_segment_fixed_size 8192
		.amdhsa_private_segment_fixed_size 0
		.amdhsa_kernarg_size 400
		.amdhsa_user_sgpr_count 2
		.amdhsa_user_sgpr_dispatch_ptr 0
		.amdhsa_user_sgpr_queue_ptr 0
		.amdhsa_user_sgpr_kernarg_segment_ptr 1
		.amdhsa_user_sgpr_dispatch_id 0
		.amdhsa_user_sgpr_kernarg_preload_length 0
		.amdhsa_user_sgpr_kernarg_preload_offset 0
		.amdhsa_user_sgpr_private_segment_size 0
		.amdhsa_uses_dynamic_stack 0
		.amdhsa_enable_private_segment 0
		.amdhsa_system_sgpr_workgroup_id_x 1
		.amdhsa_system_sgpr_workgroup_id_y 1
		.amdhsa_system_sgpr_workgroup_id_z 1
		.amdhsa_system_sgpr_workgroup_info 0
		.amdhsa_system_vgpr_workitem_id 0
		.amdhsa_next_free_vgpr 74
		.amdhsa_next_free_sgpr 48
		.amdhsa_accum_offset 76
		.amdhsa_reserve_vcc 1
		.amdhsa_float_round_mode_32 0
		.amdhsa_float_round_mode_16_64 0
		.amdhsa_float_denorm_mode_32 3
		.amdhsa_float_denorm_mode_16_64 3
		.amdhsa_dx10_clamp 1
		.amdhsa_ieee_mode 1
		.amdhsa_fp16_overflow 0
		.amdhsa_tg_split 0
		.amdhsa_exception_fp_ieee_invalid_op 0
		.amdhsa_exception_fp_denorm_src 0
		.amdhsa_exception_fp_ieee_div_zero 0
		.amdhsa_exception_fp_ieee_overflow 0
		.amdhsa_exception_fp_ieee_underflow 0
		.amdhsa_exception_fp_ieee_inexact 0
		.amdhsa_exception_int_div_zero 0
	.end_amdhsa_kernel
	.section	.text._Z39paged_attention_ll4mi_QKV_mfma16_kernelIDF16_DF16_LN4vllm18Fp8KVCacheDataTypeE0EDF16_Li32ELi64ELi256ELb1ELi3EEvPKT_PKT0_S7_ifPKiS9_S9_iPKfiiiPfSC_PS2_PT2_iSB_SB_,"axG",@progbits,_Z39paged_attention_ll4mi_QKV_mfma16_kernelIDF16_DF16_LN4vllm18Fp8KVCacheDataTypeE0EDF16_Li32ELi64ELi256ELb1ELi3EEvPKT_PKT0_S7_ifPKiS9_S9_iPKfiiiPfSC_PS2_PT2_iSB_SB_,comdat
.Lfunc_end170:
	.size	_Z39paged_attention_ll4mi_QKV_mfma16_kernelIDF16_DF16_LN4vllm18Fp8KVCacheDataTypeE0EDF16_Li32ELi64ELi256ELb1ELi3EEvPKT_PKT0_S7_ifPKiS9_S9_iPKfiiiPfSC_PS2_PT2_iSB_SB_, .Lfunc_end170-_Z39paged_attention_ll4mi_QKV_mfma16_kernelIDF16_DF16_LN4vllm18Fp8KVCacheDataTypeE0EDF16_Li32ELi64ELi256ELb1ELi3EEvPKT_PKT0_S7_ifPKiS9_S9_iPKfiiiPfSC_PS2_PT2_iSB_SB_
                                        ; -- End function
	.section	.AMDGPU.csdata,"",@progbits
; Kernel info:
; codeLenInByte = 4124
; NumSgprs: 54
; NumVgprs: 74
; NumAgprs: 0
; TotalNumVgprs: 74
; ScratchSize: 0
; MemoryBound: 0
; FloatMode: 240
; IeeeMode: 1
; LDSByteSize: 8192 bytes/workgroup (compile time only)
; SGPRBlocks: 6
; VGPRBlocks: 9
; NumSGPRsForWavesPerEU: 54
; NumVGPRsForWavesPerEU: 74
; AccumOffset: 76
; Occupancy: 6
; WaveLimiterHint : 1
; COMPUTE_PGM_RSRC2:SCRATCH_EN: 0
; COMPUTE_PGM_RSRC2:USER_SGPR: 2
; COMPUTE_PGM_RSRC2:TRAP_HANDLER: 0
; COMPUTE_PGM_RSRC2:TGID_X_EN: 1
; COMPUTE_PGM_RSRC2:TGID_Y_EN: 1
; COMPUTE_PGM_RSRC2:TGID_Z_EN: 1
; COMPUTE_PGM_RSRC2:TIDIG_COMP_CNT: 0
; COMPUTE_PGM_RSRC3_GFX90A:ACCUM_OFFSET: 18
; COMPUTE_PGM_RSRC3_GFX90A:TG_SPLIT: 0
	.section	.text._Z39paged_attention_ll4mi_QKV_mfma16_kernelIDF16_DF16_LN4vllm18Fp8KVCacheDataTypeE0EDF16_Li32ELi64ELi256ELb1ELi4EEvPKT_PKT0_S7_ifPKiS9_S9_iPKfiiiPfSC_PS2_PT2_iSB_SB_,"axG",@progbits,_Z39paged_attention_ll4mi_QKV_mfma16_kernelIDF16_DF16_LN4vllm18Fp8KVCacheDataTypeE0EDF16_Li32ELi64ELi256ELb1ELi4EEvPKT_PKT0_S7_ifPKiS9_S9_iPKfiiiPfSC_PS2_PT2_iSB_SB_,comdat
	.protected	_Z39paged_attention_ll4mi_QKV_mfma16_kernelIDF16_DF16_LN4vllm18Fp8KVCacheDataTypeE0EDF16_Li32ELi64ELi256ELb1ELi4EEvPKT_PKT0_S7_ifPKiS9_S9_iPKfiiiPfSC_PS2_PT2_iSB_SB_ ; -- Begin function _Z39paged_attention_ll4mi_QKV_mfma16_kernelIDF16_DF16_LN4vllm18Fp8KVCacheDataTypeE0EDF16_Li32ELi64ELi256ELb1ELi4EEvPKT_PKT0_S7_ifPKiS9_S9_iPKfiiiPfSC_PS2_PT2_iSB_SB_
	.globl	_Z39paged_attention_ll4mi_QKV_mfma16_kernelIDF16_DF16_LN4vllm18Fp8KVCacheDataTypeE0EDF16_Li32ELi64ELi256ELb1ELi4EEvPKT_PKT0_S7_ifPKiS9_S9_iPKfiiiPfSC_PS2_PT2_iSB_SB_
	.p2align	8
	.type	_Z39paged_attention_ll4mi_QKV_mfma16_kernelIDF16_DF16_LN4vllm18Fp8KVCacheDataTypeE0EDF16_Li32ELi64ELi256ELb1ELi4EEvPKT_PKT0_S7_ifPKiS9_S9_iPKfiiiPfSC_PS2_PT2_iSB_SB_,@function
_Z39paged_attention_ll4mi_QKV_mfma16_kernelIDF16_DF16_LN4vllm18Fp8KVCacheDataTypeE0EDF16_Li32ELi64ELi256ELb1ELi4EEvPKT_PKT0_S7_ifPKiS9_S9_iPKfiiiPfSC_PS2_PT2_iSB_SB_: ; @_Z39paged_attention_ll4mi_QKV_mfma16_kernelIDF16_DF16_LN4vllm18Fp8KVCacheDataTypeE0EDF16_Li32ELi64ELi256ELb1ELi4EEvPKT_PKT0_S7_ifPKiS9_S9_iPKfiiiPfSC_PS2_PT2_iSB_SB_
; %bb.0:
	s_load_dwordx2 s[6:7], s[0:1], 0x30
	s_mov_b32 s26, s3
	s_mov_b64 s[8:9], 0
	s_waitcnt lgkmcnt(0)
	s_cmp_lg_u64 s[6:7], 0
	s_cselect_b64 s[10:11], -1, 0
	s_and_b64 vcc, exec, s[10:11]
	s_cbranch_vccz .LBB171_7
; %bb.1:
	s_add_i32 s12, s2, 1
	s_mov_b32 s13, 0
	s_lshl_b64 s[14:15], s[12:13], 2
	s_add_u32 s14, s6, s14
	s_mov_b32 s3, s13
	s_addc_u32 s15, s7, s15
	s_lshl_b64 s[12:13], s[2:3], 2
	s_add_u32 s12, s6, s12
	s_addc_u32 s13, s7, s13
	s_load_dword s5, s[14:15], 0x0
	s_load_dword s16, s[12:13], 0x0
	s_waitcnt lgkmcnt(0)
	s_sub_i32 s5, s5, s16
	s_cmp_eq_u32 s5, 1
	s_cselect_b64 s[12:13], -1, 0
	s_andn2_b64 vcc, exec, s[8:9]
	s_cbranch_vccnz .LBB171_3
.LBB171_2:
	s_mov_b32 s3, 0
	s_mov_b64 s[12:13], -1
.LBB171_3:
	s_andn2_b64 vcc, exec, s[12:13]
	s_cbranch_vccnz .LBB171_21
; %bb.4:
	s_load_dwordx2 s[8:9], s[0:1], 0x28
	s_lshl_b64 s[12:13], s[2:3], 2
	s_waitcnt lgkmcnt(0)
	s_add_u32 s8, s8, s12
	s_addc_u32 s9, s9, s13
	s_load_dword s33, s[8:9], 0x0
	s_lshl_b32 s14, s26, 8
	s_waitcnt lgkmcnt(0)
	s_cmp_ge_i32 s14, s33
	s_cbranch_scc1 .LBB171_21
; %bb.5:
	s_load_dwordx2 s[8:9], s[0:1], 0x20
	s_load_dword s5, s[0:1], 0x38
	s_add_i32 s15, s33, 31
	s_ashr_i32 s16, s15, 31
	v_and_b32_e32 v1, 0xcf, v0
	s_lshr_b32 s16, s16, 27
	v_add_u32_e32 v1, s14, v1
	s_add_i32 s15, s15, s16
	v_ashrrev_i32_e32 v2, 31, v1
	s_ashr_i32 s15, s15, 5
	v_lshrrev_b32_e32 v6, 27, v2
	s_add_i32 s15, s15, -1
	s_waitcnt lgkmcnt(0)
	s_mul_i32 s16, s2, s5
	s_mov_b32 s17, 0
	v_add_u32_e32 v2, v1, v6
	s_lshl_b64 s[16:17], s[16:17], 2
	v_ashrrev_i32_e32 v2, 5, v2
	v_mov_b32_e32 v7, s15
	v_cmp_gt_i32_e32 vcc, s33, v1
	s_add_u32 s8, s8, s16
	s_addc_u32 s9, s9, s17
	v_cndmask_b32_e32 v2, v7, v2, vcc
	v_ashrrev_i32_e32 v3, 31, v2
	v_lshl_add_u64 v[4:5], v[2:3], 2, s[8:9]
	v_or_b32_e32 v2, 16, v1
	v_add_u32_e32 v3, v2, v6
	v_ashrrev_i32_e32 v3, 5, v3
	v_cmp_gt_i32_e32 vcc, s33, v2
	s_nop 1
	v_cndmask_b32_e32 v2, v7, v3, vcc
	v_ashrrev_i32_e32 v3, 31, v2
	v_lshl_add_u64 v[8:9], v[2:3], 2, s[8:9]
	v_or_b32_e32 v2, 32, v1
	v_add_u32_e32 v3, v2, v6
	v_ashrrev_i32_e32 v3, 5, v3
	v_cmp_gt_i32_e32 vcc, s33, v2
	v_or_b32_e32 v1, 48, v1
	s_nop 0
	v_cndmask_b32_e32 v2, v7, v3, vcc
	v_ashrrev_i32_e32 v3, 31, v2
	v_lshl_add_u64 v[12:13], v[2:3], 2, s[8:9]
	v_add_u32_e32 v2, v1, v6
	v_ashrrev_i32_e32 v2, 5, v2
	v_cmp_gt_i32_e32 vcc, s33, v1
	s_nop 1
	v_cndmask_b32_e32 v2, v7, v2, vcc
	v_ashrrev_i32_e32 v3, 31, v2
	v_lshl_add_u64 v[16:17], v[2:3], 2, s[8:9]
	global_load_dword v2, v[4:5], off
	global_load_dword v6, v[8:9], off
	;; [unrolled: 1-line block ×4, first 2 shown]
	s_andn2_b64 vcc, exec, s[10:11]
	s_cbranch_vccnz .LBB171_8
; %bb.6:
	s_add_u32 s6, s6, s12
	s_addc_u32 s7, s7, s13
	s_load_dword s5, s[6:7], 0x0
	s_branch .LBB171_9
.LBB171_7:
	s_mov_b64 s[12:13], 0
	s_branch .LBB171_2
.LBB171_8:
	s_mov_b32 s5, s2
.LBB171_9:
	s_load_dwordx2 s[10:11], s[0:1], 0x8
	s_load_dwordx4 s[40:43], s[0:1], 0x48
	v_and_b32_e32 v54, 15, v0
	v_cmp_gt_u32_e32 vcc, 64, v0
	v_cmp_gt_u32_e64 s[6:7], 8, v54
	s_and_b64 s[44:45], vcc, s[6:7]
	v_bfe_u32 v53, v0, 4, 2
	s_lshl_b32 s27, s4, 2
	v_lshlrev_b32_e32 v42, 3, v54
	s_xor_b64 s[6:7], s[44:45], -1
	s_and_saveexec_b64 s[12:13], s[6:7]
	s_xor_b64 s[6:7], exec, s[12:13]
; %bb.10:
	v_mov_b32_e32 v43, 0
; %bb.11:
	s_or_saveexec_b64 s[12:13], s[6:7]
	s_load_dwordx2 s[6:7], s[0:1], 0x10
	v_lshrrev_b32_e32 v55, 6, v0
	v_or_b32_e32 v1, s27, v53
	v_and_b32_e32 v18, 3, v0
	v_lshlrev_b32_e32 v52, 5, v53
	s_xor_b64 exec, exec, s[12:13]
	s_cbranch_execz .LBB171_13
; %bb.12:
	s_load_dwordx2 s[16:17], s[0:1], 0x0
	s_waitcnt lgkmcnt(0)
	s_ashr_i32 s18, s40, 31
	s_mul_hi_u32 s19, s5, s40
	s_mul_i32 s18, s5, s18
	s_add_i32 s19, s19, s18
	s_mul_i32 s18, s5, s40
	s_lshl_b64 s[18:19], s[18:19], 1
	s_add_u32 s16, s16, s18
	v_lshlrev_b32_e32 v4, 6, v1
	s_addc_u32 s17, s17, s19
	v_ashrrev_i32_e32 v5, 31, v4
	v_mov_b32_e32 v43, 0
	v_lshl_add_u64 v[4:5], v[4:5], 1, s[16:17]
	v_lshlrev_b32_e32 v8, 1, v42
	v_mov_b32_e32 v9, v43
	v_lshl_add_u64 v[4:5], v[4:5], 0, v[8:9]
	global_load_dwordx4 v[20:23], v[4:5], off
	v_lshlrev_b32_e32 v5, 9, v54
	v_lshl_or_b32 v3, v55, 7, v52
	v_lshlrev_b32_e32 v4, 9, v18
	v_and_b32_e32 v5, 0x1800, v5
	v_or3_b32 v3, v5, v4, v3
	s_waitcnt vmcnt(0)
	ds_write_b128 v3, v[20:23]
.LBB171_13:
	s_or_b64 exec, exec, s[12:13]
	s_waitcnt lgkmcnt(0)
	s_mul_i32 s4, s4, s42
	s_mov_b32 s5, 0
	s_lshl_b64 s[4:5], s[4:5], 1
	s_add_u32 s10, s10, s4
	s_addc_u32 s11, s11, s5
	s_waitcnt vmcnt(3)
	v_mad_i64_i32 v[2:3], s[12:13], v2, s41, 0
	v_lshl_add_u64 v[2:3], v[2:3], 1, s[10:11]
	v_lshlrev_b64 v[12:13], 1, v[42:43]
	v_lshlrev_b32_e32 v44, 9, v53
	v_lshl_add_u64 v[2:3], v[2:3], 0, v[12:13]
	v_mov_b32_e32 v45, 0
	v_lshl_add_u64 v[8:9], v[2:3], 0, v[44:45]
	s_barrier
	global_load_dwordx4 v[22:25], v[8:9], off
	global_load_dwordx4 v[2:5], v[8:9], off offset:2048
	s_waitcnt vmcnt(4)
	v_mad_i64_i32 v[6:7], s[12:13], v6, s41, 0
	v_mov_b32_e32 v8, 0x100
	v_lshl_add_u64 v[6:7], v[6:7], 1, s[10:11]
	v_lshl_or_b32 v16, v54, 4, v8
	v_mov_b32_e32 v17, v45
	s_waitcnt vmcnt(3)
	v_mad_i64_i32 v[10:11], s[12:13], v10, s41, 0
	v_lshl_add_u64 v[6:7], v[6:7], 0, v[16:17]
	v_lshl_add_u64 v[10:11], v[10:11], 1, s[10:11]
	s_waitcnt vmcnt(2)
	v_mad_i64_i32 v[14:15], s[12:13], v14, s41, 0
	v_lshl_add_u64 v[20:21], v[6:7], 0, v[44:45]
	v_lshl_add_u64 v[10:11], v[10:11], 0, v[12:13]
	;; [unrolled: 1-line block ×3, first 2 shown]
	global_load_dwordx4 v[26:29], v[20:21], off
	global_load_dwordx4 v[6:9], v[20:21], off offset:2048
	v_lshl_add_u64 v[20:21], v[10:11], 0, v[44:45]
	v_lshl_add_u64 v[14:15], v[14:15], 0, v[16:17]
	global_load_dwordx4 v[30:33], v[20:21], off
	global_load_dwordx4 v[10:13], v[20:21], off offset:2048
	v_lshl_add_u64 v[20:21], v[14:15], 0, v[44:45]
	global_load_dwordx4 v[34:37], v[20:21], off
	global_load_dwordx4 v[14:17], v[20:21], off offset:2048
	v_lshl_or_b32 v18, v18, 5, v44
	ds_read_b128 v[38:41], v18
	ds_read_b128 v[18:21], v18 offset:2048
	v_and_b32_e32 v56, 63, v0
	v_cmp_gt_u32_e32 vcc, 4, v54
	v_mov_b32_e32 v48, 0
	s_and_saveexec_b64 s[10:11], vcc
	s_cbranch_execz .LBB171_15
; %bb.14:
	s_load_dwordx2 s[12:13], s[0:1], 0x40
	v_or_b32_e32 v46, s27, v54
	v_ashrrev_i32_e32 v47, 31, v46
	s_waitcnt lgkmcnt(0)
	v_lshl_add_u64 v[46:47], v[46:47], 2, s[12:13]
	global_load_dword v48, v[46:47], off
.LBB171_15:
	s_or_b64 exec, exec, s[10:11]
	s_ashr_i32 s10, s14, 31
	v_and_or_b32 v44, v0, 48, s14
	s_lshr_b32 s11, s10, 27
	v_add_u32_e32 v46, s11, v44
	v_or_b32_e32 v50, 64, v44
	v_ashrrev_i32_e32 v46, 5, v46
	v_mov_b32_e32 v49, s15
	v_cmp_gt_i32_e32 vcc, s33, v44
	v_add_u32_e32 v51, s11, v50
	s_waitcnt vmcnt(7) lgkmcnt(1)
	v_mfma_f32_16x16x16_f16 v[58:61], v[22:23], v[38:39], 0
	v_cndmask_b32_e32 v46, v49, v46, vcc
	v_ashrrev_i32_e32 v22, 5, v51
	v_cmp_gt_i32_e32 vcc, s33, v50
	v_ashrrev_i32_e32 v47, 31, v46
	v_lshl_add_u64 v[46:47], v[46:47], 2, s[8:9]
	v_cndmask_b32_e32 v22, v49, v22, vcc
	v_ashrrev_i32_e32 v23, 31, v22
	v_lshl_add_u64 v[22:23], v[22:23], 2, s[8:9]
	global_load_dword v57, v[46:47], off
	global_load_dword v74, v[22:23], off
	s_waitcnt vmcnt(3)
	v_mfma_f32_16x16x16_f16 v[70:73], v[34:35], v[38:39], 0
	v_or_b32_e32 v46, 0xc0, v44
	v_add_u32_e32 v50, s11, v46
	s_add_u32 s4, s6, s4
	v_mfma_f32_16x16x16_f16 v[62:65], v[26:27], v[38:39], 0
	s_addc_u32 s5, s7, s5
	s_load_dword s10, s[0:1], 0x1c
	s_mov_b32 s40, 0xff7fffff
	v_mfma_f32_16x16x16_f16 v[66:69], v[30:31], v[38:39], 0
	v_and_b32_e32 v31, 0xc0, v0
	v_or_b32_e32 v38, 0x80, v44
	v_add_u32_e32 v34, s14, v31
	v_mfma_f32_16x16x16_f16 v[22:25], v[24:25], v[40:41], v[58:61]
	v_and_b32_e32 v30, 16, v0
	v_add_u32_e32 v47, s11, v38
	v_lshlrev_b32_e32 v44, 1, v30
	v_lshl_or_b32 v58, v53, 2, v34
	v_mfma_f32_16x16x16_f16 v[34:37], v[36:37], v[40:41], v[70:73]
	v_cmp_gt_i32_e32 vcc, s33, v38
	v_lshlrev_b32_e32 v39, 6, v54
	v_or_b32_e32 v59, 1, v58
	v_mfma_f32_16x16x16_f16 v[26:29], v[28:29], v[40:41], v[62:65]
	v_cmp_gt_i32_e64 s[28:29], s33, v58
	v_cmp_gt_i32_e64 s[30:31], s33, v59
	v_mfma_f32_16x16x16_f16 v[30:33], v[32:33], v[40:41], v[66:69]
	v_ashrrev_i32_e32 v40, 5, v47
	v_ashrrev_i32_e32 v41, 5, v50
	v_cndmask_b32_e32 v38, v49, v40, vcc
	v_cmp_gt_i32_e32 vcc, s33, v46
	s_waitcnt lgkmcnt(0)
	v_mfma_f32_16x16x16_f16 v[22:25], v[2:3], v[18:19], v[22:25]
	v_lshl_add_u64 v[2:3], s[4:5], 0, v[44:45]
	v_cndmask_b32_e32 v40, v49, v41, vcc
	v_lshl_or_b32 v44, v55, 10, v39
	v_ashrrev_i32_e32 v39, 31, v38
	v_ashrrev_i32_e32 v41, 31, v40
	s_waitcnt vmcnt(2)
	v_mfma_f32_16x16x16_f16 v[34:37], v[14:15], v[18:19], v[34:37]
	v_lshl_add_u64 v[14:15], v[38:39], 2, s[8:9]
	v_subrev_u32_e32 v49, s33, v59
	v_cvt_f32_i32_e32 v60, v49
	v_mfma_f32_16x16x16_f16 v[26:29], v[6:7], v[18:19], v[26:29]
	v_mfma_f32_16x16x16_f16 v[30:33], v[10:11], v[18:19], v[30:33]
	v_lshl_add_u64 v[18:19], v[40:41], 2, s[8:9]
	global_load_dword v61, v[14:15], off
	global_load_dword v62, v[18:19], off
	v_lshl_add_u64 v[10:11], v[2:3], 0, v[44:45]
	v_mfma_f32_16x16x16_f16 v[2:5], v[4:5], v[20:21], v[22:25]
	v_add_u32_e32 v44, 1, v49
	v_add_u32_e32 v45, 3, v49
	v_add_u32_e32 v18, 18, v49
	v_mfma_f32_16x16x16_f16 v[14:17], v[16:17], v[20:21], v[34:37]
	v_add_u32_e32 v22, 2, v49
	s_nop 1
	v_pk_mul_f32 v[50:51], s[10:11], v[4:5] op_sel_hi:[0,1]
	v_cvt_f32_i32_e32 v18, v18
	v_mfma_f32_16x16x16_f16 v[6:9], v[8:9], v[20:21], v[26:29]
	v_add_u32_e32 v19, 19, v49
	v_pk_mul_f32 v[34:35], s[10:11], v[16:17] op_sel_hi:[0,1]
	v_pk_mul_f32 v[36:37], s[10:11], v[14:15] op_sel_hi:[0,1]
	v_cvt_f32_i32_e32 v27, v22
	v_mfma_f32_16x16x16_f16 v[22:25], v[12:13], v[20:21], v[30:33]
	v_pk_mul_f32 v[12:13], s[10:11], v[2:3] op_sel_hi:[0,1]
	v_cvt_f32_i32_e32 v26, v44
	v_cvt_f32_i32_e32 v28, v45
	v_pk_mul_f32 v[44:45], s[10:11], v[8:9] op_sel_hi:[0,1]
	v_pk_mul_f32 v[46:47], s[10:11], v[6:7] op_sel_hi:[0,1]
	v_cvt_f32_i32_e32 v19, v19
	v_fma_f32 v44, v48, v18, v44
	v_add_u32_e32 v18, 34, v49
	v_cvt_f32_i32_e32 v18, v18
	v_fmac_f32_e32 v45, v48, v19
	v_add_u32_e32 v19, 35, v49
	v_cvt_f32_i32_e32 v19, v19
	v_pk_mul_f32 v[40:41], s[10:11], v[22:23] op_sel_hi:[0,1]
	v_pk_mul_f32 v[38:39], s[10:11], v[24:25] op_sel_hi:[0,1]
	v_fma_f32 v38, v48, v18, v38
	v_add_u32_e32 v18, 50, v49
	s_waitcnt vmcnt(3)
	v_mad_i64_i32 v[2:3], s[4:5], v57, s41, 0
	s_waitcnt vmcnt(2)
	v_mad_i64_i32 v[4:5], s[4:5], v74, s41, 0
	v_lshl_add_u64 v[16:17], v[2:3], 1, v[10:11]
	v_lshl_add_u64 v[14:15], v[4:5], 1, v[10:11]
	global_load_dwordx4 v[6:9], v[16:17], off
	global_load_dwordx4 v[2:5], v[16:17], off offset:16
	v_add_u32_e32 v16, 16, v49
	v_cvt_f32_i32_e32 v16, v16
	v_add_u32_e32 v17, 17, v49
	v_cvt_f32_i32_e32 v17, v17
	v_fmac_f32_e32 v39, v48, v19
	v_fma_f32 v46, v48, v16, v46
	v_add_u32_e32 v16, 32, v49
	v_fmac_f32_e32 v47, v48, v17
	v_cvt_f32_i32_e32 v16, v16
	v_add_u32_e32 v17, 33, v49
	v_cvt_f32_i32_e32 v17, v17
	v_cvt_f32_i32_e32 v18, v18
	v_fma_f32 v40, v48, v16, v40
	v_add_u32_e32 v16, 48, v49
	v_fmac_f32_e32 v41, v48, v17
	v_cvt_f32_i32_e32 v16, v16
	v_add_u32_e32 v17, 49, v49
	v_cvt_f32_i32_e32 v17, v17
	v_add_u32_e32 v19, 51, v49
	v_cvt_f32_i32_e32 v19, v19
	v_fma_f32 v12, v48, v60, v12
	v_fmac_f32_e32 v13, v48, v26
	v_fma_f32 v36, v48, v16, v36
	v_mov_b32_e32 v16, 0xff7fffff
	v_fmac_f32_e32 v37, v48, v17
	v_fma_f32 v34, v48, v18, v34
	v_cndmask_b32_e64 v17, v16, v12, s[28:29]
	v_cndmask_b32_e64 v18, v16, v13, s[30:31]
	v_fmac_f32_e32 v35, v48, v19
	v_max3_f32 v17, v17, s40, v18
	v_or_b32_e32 v18, 2, v58
	v_or_b32_e32 v19, 3, v58
	v_fma_f32 v50, v48, v27, v50
	v_fmac_f32_e32 v51, v48, v28
	v_cmp_gt_i32_e64 s[34:35], s33, v18
	v_cmp_gt_i32_e64 s[36:37], s33, v19
	global_load_dwordx4 v[30:33], v[14:15], off
	global_load_dwordx4 v[26:29], v[14:15], off offset:16
	v_cndmask_b32_e64 v18, v16, v50, s[34:35]
	v_cndmask_b32_e64 v19, v16, v51, s[36:37]
	v_max3_f32 v17, v17, v18, v19
	v_or_b32_e32 v18, 16, v58
	v_or_b32_e32 v19, 17, v58
	v_cmp_gt_i32_e64 s[22:23], s33, v18
	v_cmp_gt_i32_e64 s[24:25], s33, v19
	s_nop 0
	v_cndmask_b32_e64 v18, v16, v46, s[22:23]
	v_cndmask_b32_e64 v19, v16, v47, s[24:25]
	v_max3_f32 v17, v17, v18, v19
	v_or_b32_e32 v18, 18, v58
	v_or_b32_e32 v19, 19, v58
	v_cmp_gt_i32_e64 s[18:19], s33, v18
	v_cmp_gt_i32_e64 s[20:21], s33, v19
	s_nop 0
	;; [unrolled: 8-line block ×5, first 2 shown]
	v_cndmask_b32_e64 v18, v16, v36, s[6:7]
	v_cndmask_b32_e64 v19, v16, v37, s[8:9]
	v_max3_f32 v17, v17, v18, v19
	v_or_b32_e32 v18, 50, v58
	v_or_b32_e32 v19, 51, v58
	v_cmp_gt_i32_e32 vcc, s33, v18
	v_cmp_gt_i32_e64 s[4:5], s33, v19
	s_nop 0
	v_cndmask_b32_e32 v18, v16, v34, vcc
	v_cndmask_b32_e64 v16, v16, v35, s[4:5]
	v_max3_f32 v16, v17, v18, v16
	v_mbcnt_lo_u32_b32 v17, -1, 0
	v_mbcnt_hi_u32_b32 v17, -1, v17
	v_and_b32_e32 v18, 64, v17
	v_add_u32_e32 v18, 64, v18
	v_xor_b32_e32 v19, 32, v17
	v_cmp_lt_i32_e64 s[38:39], v19, v18
	s_nop 1
	v_cndmask_b32_e64 v19, v17, v19, s[38:39]
	v_lshlrev_b32_e32 v58, 2, v19
	ds_bpermute_b32 v19, v58, v16
	s_waitcnt vmcnt(5)
	v_mad_i64_i32 v[14:15], s[38:39], v61, s41, 0
	v_lshl_add_u64 v[14:15], v[14:15], 1, v[10:11]
	s_waitcnt lgkmcnt(0)
	v_max_f32_e32 v19, v19, v19
	v_max_f32_e32 v16, v16, v19
	v_xor_b32_e32 v19, 16, v17
	v_cmp_lt_i32_e64 s[38:39], v19, v18
	s_nop 1
	v_cndmask_b32_e64 v17, v17, v19, s[38:39]
	v_lshlrev_b32_e32 v60, 2, v17
	ds_bpermute_b32 v17, v60, v16
	global_load_dwordx4 v[22:25], v[14:15], off
	global_load_dwordx4 v[18:21], v[14:15], off offset:16
	s_waitcnt vmcnt(6)
	v_mad_i64_i32 v[14:15], s[38:39], v62, s41, 0
	v_lshl_add_u64 v[10:11], v[14:15], 1, v[10:11]
	s_waitcnt lgkmcnt(0)
	v_max_f32_e32 v14, v17, v17
	v_max_f32_e32 v57, v16, v14
	v_sub_f32_e32 v12, v12, v57
	v_mul_f32_e32 v12, 0x3fb8aa3b, v12
	v_exp_f32_e32 v48, v12
	v_sub_f32_e32 v12, v13, v57
	v_mul_f32_e32 v12, 0x3fb8aa3b, v12
	v_exp_f32_e32 v49, v12
	global_load_dwordx4 v[14:17], v[10:11], off
	s_nop 0
	global_load_dwordx4 v[10:13], v[10:11], off offset:16
	v_sub_f32_e32 v50, v50, v57
	v_mul_f32_e32 v50, 0x3fb8aa3b, v50
	v_sub_f32_e32 v51, v51, v57
	v_exp_f32_e32 v50, v50
	v_mul_f32_e32 v51, 0x3fb8aa3b, v51
	v_sub_f32_e32 v46, v46, v57
	v_exp_f32_e32 v51, v51
	v_mul_f32_e32 v46, 0x3fb8aa3b, v46
	v_sub_f32_e32 v47, v47, v57
	v_cndmask_b32_e64 v48, 0, v48, s[28:29]
	v_exp_f32_e32 v46, v46
	v_mul_f32_e32 v47, 0x3fb8aa3b, v47
	v_sub_f32_e32 v44, v44, v57
	v_add_f32_e32 v59, 0, v48
	v_cndmask_b32_e64 v49, 0, v49, s[30:31]
	v_exp_f32_e32 v47, v47
	v_mul_f32_e32 v44, 0x3fb8aa3b, v44
	v_sub_f32_e32 v45, v45, v57
	v_add_f32_e32 v59, v59, v49
	v_cndmask_b32_e64 v50, 0, v50, s[34:35]
	v_exp_f32_e32 v44, v44
	v_mul_f32_e32 v45, 0x3fb8aa3b, v45
	v_sub_f32_e32 v40, v40, v57
	v_add_f32_e32 v59, v59, v50
	v_cndmask_b32_e64 v51, 0, v51, s[36:37]
	v_exp_f32_e32 v45, v45
	v_mul_f32_e32 v40, 0x3fb8aa3b, v40
	v_sub_f32_e32 v41, v41, v57
	v_add_f32_e32 v59, v59, v51
	v_cndmask_b32_e64 v46, 0, v46, s[22:23]
	v_exp_f32_e32 v40, v40
	v_mul_f32_e32 v41, 0x3fb8aa3b, v41
	v_sub_f32_e32 v38, v38, v57
	v_add_f32_e32 v59, v59, v46
	v_cndmask_b32_e64 v47, 0, v47, s[24:25]
	v_exp_f32_e32 v41, v41
	v_mul_f32_e32 v38, 0x3fb8aa3b, v38
	v_sub_f32_e32 v39, v39, v57
	v_add_f32_e32 v59, v59, v47
	v_cndmask_b32_e64 v44, 0, v44, s[18:19]
	v_exp_f32_e32 v38, v38
	v_mul_f32_e32 v39, 0x3fb8aa3b, v39
	v_sub_f32_e32 v36, v36, v57
	v_add_f32_e32 v59, v59, v44
	v_cndmask_b32_e64 v45, 0, v45, s[20:21]
	v_exp_f32_e32 v39, v39
	v_mul_f32_e32 v36, 0x3fb8aa3b, v36
	v_sub_f32_e32 v37, v37, v57
	v_add_f32_e32 v59, v59, v45
	v_cndmask_b32_e64 v40, 0, v40, s[14:15]
	v_exp_f32_e32 v36, v36
	v_mul_f32_e32 v37, 0x3fb8aa3b, v37
	v_sub_f32_e32 v34, v34, v57
	v_add_f32_e32 v59, v59, v40
	v_cndmask_b32_e64 v41, 0, v41, s[16:17]
	v_exp_f32_e32 v37, v37
	v_mul_f32_e32 v34, 0x3fb8aa3b, v34
	v_sub_f32_e32 v35, v35, v57
	v_add_f32_e32 v59, v59, v41
	v_cndmask_b32_e64 v38, 0, v38, s[10:11]
	v_exp_f32_e32 v34, v34
	v_mul_f32_e32 v35, 0x3fb8aa3b, v35
	v_add_f32_e32 v59, v59, v38
	v_cndmask_b32_e64 v39, 0, v39, s[12:13]
	v_exp_f32_e32 v35, v35
	v_add_f32_e32 v59, v59, v39
	v_cndmask_b32_e64 v36, 0, v36, s[6:7]
	v_add_f32_e32 v59, v59, v36
	v_cndmask_b32_e64 v37, 0, v37, s[8:9]
	v_add_f32_e32 v59, v59, v37
	v_cndmask_b32_e32 v34, 0, v34, vcc
	v_add_f32_e32 v59, v59, v34
	v_cndmask_b32_e64 v35, 0, v35, s[4:5]
	v_add_f32_e32 v59, v59, v35
	ds_bpermute_b32 v58, v58, v59
	s_load_dword s7, s[0:1], 0x98
	v_cmp_gt_u32_e32 vcc, 16, v56
	s_waitcnt lgkmcnt(0)
	s_barrier
	v_add_f32_e32 v59, v59, v58
	ds_bpermute_b32 v60, v60, v59
	v_lshlrev_b32_e32 v58, 2, v54
	s_waitcnt lgkmcnt(0)
	s_and_saveexec_b64 s[4:5], vcc
	s_cbranch_execz .LBB171_17
; %bb.16:
	v_add_f32_e32 v56, v59, v60
	v_lshl_or_b32 v59, v55, 6, v58
	ds_write2st64_b32 v59, v57, v56 offset1:1
.LBB171_17:
	s_or_b64 exec, exec, s[4:5]
	s_load_dword s6, s[0:1], 0x94
	s_waitcnt lgkmcnt(0)
	s_barrier
	ds_read2_b32 v[60:61], v58 offset1:16
	ds_read2_b32 v[62:63], v58 offset0:32 offset1:48
	ds_read2_b32 v[64:65], v58 offset0:64 offset1:80
	;; [unrolled: 1-line block ×3, first 2 shown]
	s_waitcnt lgkmcnt(0)
	v_max3_f32 v56, v60, s40, v61
	v_max3_f32 v56, v56, v62, v63
	v_sub_f32_e32 v57, v60, v56
	v_mul_f32_e32 v57, 0x3fb8aa3b, v57
	v_exp_f32_e32 v60, v57
	v_sub_f32_e32 v57, v61, v56
	v_mul_f32_e32 v57, 0x3fb8aa3b, v57
	v_exp_f32_e32 v61, v57
	;; [unrolled: 3-line block ×4, first 2 shown]
	v_fma_f32 v57, v60, v64, 0
	v_fmac_f32_e32 v57, v61, v65
	v_fmac_f32_e32 v57, v62, v58
	;; [unrolled: 1-line block ×3, first 2 shown]
	v_add_f32_e32 v58, 0x358637bd, v57
	v_div_scale_f32 v59, s[4:5], v58, v58, 1.0
	v_rcp_f32_e32 v64, v59
	s_barrier
	s_lshl_b32 s7, s7, 2
	v_fma_f32 v65, -v59, v64, 1.0
	v_fmac_f32_e32 v64, v65, v64
	v_div_scale_f32 v65, vcc, 1.0, v58, 1.0
	v_mul_f32_e32 v66, v65, v64
	v_fma_f32 v67, -v59, v66, v65
	v_fmac_f32_e32 v66, v67, v64
	v_fma_f32 v59, -v59, v66, v65
	v_div_fmas_f32 v59, v59, v64, v66
	v_cmp_eq_u32_e32 vcc, 1, v55
	v_div_fixup_f32 v58, v59, v58, 1.0
	s_nop 0
	v_cndmask_b32_e32 v59, v60, v61, vcc
	v_cmp_eq_u32_e32 vcc, 2, v55
	s_nop 1
	v_cndmask_b32_e32 v59, v59, v62, vcc
	v_cmp_eq_u32_e32 vcc, 3, v55
	s_nop 1
	v_cndmask_b32_e32 v59, v59, v63, vcc
	v_mul_f32_e32 v58, v59, v58
	v_pk_mul_f32 v[50:51], v[58:59], v[50:51] op_sel_hi:[0,1]
	v_pk_mul_f32 v[48:49], v[58:59], v[48:49] op_sel_hi:[0,1]
	v_cvt_f16_f32_e32 v59, v50
	v_cvt_f16_f32_e32 v48, v48
	;; [unrolled: 1-line block ×4, first 2 shown]
	v_pk_mul_f32 v[44:45], v[58:59], v[44:45] op_sel_hi:[0,1]
	v_pk_mul_f32 v[46:47], v[58:59], v[46:47] op_sel_hi:[0,1]
	v_pack_b32_f16 v50, v48, v49
	v_lshlrev_b32_e32 v48, 5, v54
	v_cvt_f16_f32_e32 v46, v46
	v_cvt_f16_f32_e32 v47, v47
	v_cvt_f16_f32_e32 v54, v44
	v_cvt_f16_f32_e32 v45, v45
	v_lshlrev_b32_e32 v49, 3, v53
	v_lshlrev_b32_e32 v44, 11, v55
	v_pack_b32_f16 v51, v59, v51
	v_or3_b32 v44, v44, v48, v49
	v_pack_b32_f16 v46, v46, v47
	v_pack_b32_f16 v47, v54, v45
	v_pk_mul_f32 v[38:39], v[58:59], v[38:39] op_sel_hi:[0,1]
	v_pk_mul_f32 v[40:41], v[58:59], v[40:41] op_sel_hi:[0,1]
	;; [unrolled: 1-line block ×4, first 2 shown]
	ds_write2st64_b64 v44, v[50:51], v[46:47] offset1:1
	v_cvt_f16_f32_e32 v40, v40
	v_cvt_f16_f32_e32 v41, v41
	;; [unrolled: 1-line block ×8, first 2 shown]
	v_pack_b32_f16 v34, v40, v41
	v_pack_b32_f16 v35, v38, v39
	;; [unrolled: 1-line block ×4, first 2 shown]
	v_cmp_gt_u32_e32 vcc, 4, v0
	ds_write2st64_b64 v44, v[34:35], v[36:37] offset0:2 offset1:3
	s_and_saveexec_b64 s[4:5], vcc
	s_cbranch_execz .LBB171_19
; %bb.18:
	v_or_b32_e32 v34, s27, v0
	v_mov_b32_e32 v35, 0
	v_mov_b32_e32 v36, s7
	v_mad_u64_u32 v[36:37], s[12:13], s2, v36, v[34:35]
	v_mov_b32_e32 v34, s26
	s_load_dwordx4 s[8:11], s[0:1], 0x58
	s_mul_i32 s3, s3, s7
	v_mad_u64_u32 v[34:35], s[12:13], v36, s6, v[34:35]
	v_add_u32_e32 v37, s3, v37
	v_mov_b32_e32 v36, v35
	v_mad_u64_u32 v[36:37], s[12:13], v37, s6, v[36:37]
	v_mov_b32_e32 v35, v36
	v_lshlrev_b64 v[34:35], 2, v[34:35]
	s_waitcnt lgkmcnt(0)
	v_lshl_add_u64 v[36:37], s[10:11], 0, v[34:35]
	v_lshl_add_u64 v[34:35], s[8:9], 0, v[34:35]
	global_store_dword v[36:37], v56, off
	global_store_dword v[34:35], v57, off
.LBB171_19:
	s_or_b64 exec, exec, s[4:5]
	v_lshl_or_b32 v45, v53, 9, v48
	s_waitcnt lgkmcnt(0)
	s_barrier
	ds_read_b128 v[34:37], v45
	ds_read_b128 v[38:41], v45 offset:16
	s_waitcnt vmcnt(7) lgkmcnt(1)
	v_mfma_f32_16x16x16_f16 v[46:49], v[6:7], v[34:35], 0
	s_mov_b32 s3, 0
	v_mfma_f32_16x16x16_f16 v[6:9], v[8:9], v[36:37], v[46:49]
	s_waitcnt vmcnt(6) lgkmcnt(0)
	v_mfma_f32_16x16x16_f16 v[6:9], v[2:3], v[38:39], v[6:9]
	v_mfma_f32_16x16x16_f16 v[2:5], v[4:5], v[40:41], v[6:9]
	s_nop 5
	ds_read_b128 v[6:9], v45 offset:2048
	ds_read_b128 v[34:37], v45 offset:2064
	s_waitcnt vmcnt(5) lgkmcnt(1)
	v_mfma_f32_16x16x16_f16 v[2:5], v[30:31], v[6:7], v[2:5]
	v_mfma_f32_16x16x16_f16 v[2:5], v[32:33], v[8:9], v[2:5]
	s_waitcnt vmcnt(4) lgkmcnt(0)
	v_mfma_f32_16x16x16_f16 v[2:5], v[26:27], v[34:35], v[2:5]
	v_mfma_f32_16x16x16_f16 v[2:5], v[28:29], v[36:37], v[2:5]
	ds_read_b128 v[6:9], v45 offset:4096
	ds_read_b128 v[26:29], v45 offset:4112
	s_waitcnt vmcnt(3) lgkmcnt(1)
	v_mfma_f32_16x16x16_f16 v[2:5], v[22:23], v[6:7], v[2:5]
	v_mfma_f32_16x16x16_f16 v[2:5], v[24:25], v[8:9], v[2:5]
	s_waitcnt vmcnt(2) lgkmcnt(0)
	v_mfma_f32_16x16x16_f16 v[2:5], v[18:19], v[26:27], v[2:5]
	v_mfma_f32_16x16x16_f16 v[2:5], v[20:21], v[28:29], v[2:5]
	ds_read_b128 v[6:9], v45 offset:6144
	ds_read_b128 v[18:21], v45 offset:6160
	s_waitcnt lgkmcnt(0)
	s_barrier
	s_waitcnt vmcnt(1)
	v_mfma_f32_16x16x16_f16 v[2:5], v[14:15], v[6:7], v[2:5]
	v_mfma_f32_16x16x16_f16 v[2:5], v[16:17], v[8:9], v[2:5]
	s_waitcnt vmcnt(0)
	v_mfma_f32_16x16x16_f16 v[2:5], v[10:11], v[18:19], v[2:5]
	v_mfma_f32_16x16x16_f16 v[2:5], v[12:13], v[20:21], v[2:5]
	s_nop 6
	v_cvt_f16_f32_e32 v2, v2
	v_cvt_f16_f32_e32 v3, v3
	;; [unrolled: 1-line block ×4, first 2 shown]
	v_pack_b32_f16 v2, v2, v3
	v_pack_b32_f16 v3, v4, v5
	ds_write_b64 v44, v[2:3]
	s_waitcnt lgkmcnt(0)
	s_barrier
	s_and_saveexec_b64 s[4:5], s[44:45]
	s_cbranch_execz .LBB171_21
; %bb.20:
	s_load_dwordx2 s[0:1], s[0:1], 0x68
	s_lshl_b32 s6, s6, 6
	s_mul_i32 s2, s7, s2
	s_mul_hi_u32 s5, s2, s6
	s_mul_i32 s4, s2, s6
	v_lshlrev_b32_e32 v2, 10, v0
	v_lshlrev_b32_e32 v0, 4, v0
	s_lshl_b64 s[4:5], s[4:5], 1
	v_and_b32_e32 v2, 0x1800, v2
	v_and_b32_e32 v0, 16, v0
	s_waitcnt lgkmcnt(0)
	s_add_u32 s4, s0, s4
	v_or3_b32 v0, v2, v52, v0
	s_addc_u32 s5, s1, s5
	s_lshl_b32 s2, s26, 6
	ds_read_b128 v[2:5], v0
	s_lshl_b64 s[0:1], s[2:3], 1
	s_add_u32 s0, s4, s0
	s_addc_u32 s1, s5, s1
	v_mad_u64_u32 v[0:1], s[2:3], s6, v1, 0
	v_lshl_add_u64 v[0:1], v[0:1], 1, s[0:1]
	v_lshl_add_u64 v[0:1], v[42:43], 1, v[0:1]
	s_waitcnt lgkmcnt(0)
	global_store_dwordx4 v[0:1], v[2:5], off
.LBB171_21:
	s_endpgm
	.section	.rodata,"a",@progbits
	.p2align	6, 0x0
	.amdhsa_kernel _Z39paged_attention_ll4mi_QKV_mfma16_kernelIDF16_DF16_LN4vllm18Fp8KVCacheDataTypeE0EDF16_Li32ELi64ELi256ELb1ELi4EEvPKT_PKT0_S7_ifPKiS9_S9_iPKfiiiPfSC_PS2_PT2_iSB_SB_
		.amdhsa_group_segment_fixed_size 8192
		.amdhsa_private_segment_fixed_size 0
		.amdhsa_kernarg_size 400
		.amdhsa_user_sgpr_count 2
		.amdhsa_user_sgpr_dispatch_ptr 0
		.amdhsa_user_sgpr_queue_ptr 0
		.amdhsa_user_sgpr_kernarg_segment_ptr 1
		.amdhsa_user_sgpr_dispatch_id 0
		.amdhsa_user_sgpr_kernarg_preload_length 0
		.amdhsa_user_sgpr_kernarg_preload_offset 0
		.amdhsa_user_sgpr_private_segment_size 0
		.amdhsa_uses_dynamic_stack 0
		.amdhsa_enable_private_segment 0
		.amdhsa_system_sgpr_workgroup_id_x 1
		.amdhsa_system_sgpr_workgroup_id_y 1
		.amdhsa_system_sgpr_workgroup_id_z 1
		.amdhsa_system_sgpr_workgroup_info 0
		.amdhsa_system_vgpr_workitem_id 0
		.amdhsa_next_free_vgpr 75
		.amdhsa_next_free_sgpr 46
		.amdhsa_accum_offset 76
		.amdhsa_reserve_vcc 1
		.amdhsa_float_round_mode_32 0
		.amdhsa_float_round_mode_16_64 0
		.amdhsa_float_denorm_mode_32 3
		.amdhsa_float_denorm_mode_16_64 3
		.amdhsa_dx10_clamp 1
		.amdhsa_ieee_mode 1
		.amdhsa_fp16_overflow 0
		.amdhsa_tg_split 0
		.amdhsa_exception_fp_ieee_invalid_op 0
		.amdhsa_exception_fp_denorm_src 0
		.amdhsa_exception_fp_ieee_div_zero 0
		.amdhsa_exception_fp_ieee_overflow 0
		.amdhsa_exception_fp_ieee_underflow 0
		.amdhsa_exception_fp_ieee_inexact 0
		.amdhsa_exception_int_div_zero 0
	.end_amdhsa_kernel
	.section	.text._Z39paged_attention_ll4mi_QKV_mfma16_kernelIDF16_DF16_LN4vllm18Fp8KVCacheDataTypeE0EDF16_Li32ELi64ELi256ELb1ELi4EEvPKT_PKT0_S7_ifPKiS9_S9_iPKfiiiPfSC_PS2_PT2_iSB_SB_,"axG",@progbits,_Z39paged_attention_ll4mi_QKV_mfma16_kernelIDF16_DF16_LN4vllm18Fp8KVCacheDataTypeE0EDF16_Li32ELi64ELi256ELb1ELi4EEvPKT_PKT0_S7_ifPKiS9_S9_iPKfiiiPfSC_PS2_PT2_iSB_SB_,comdat
.Lfunc_end171:
	.size	_Z39paged_attention_ll4mi_QKV_mfma16_kernelIDF16_DF16_LN4vllm18Fp8KVCacheDataTypeE0EDF16_Li32ELi64ELi256ELb1ELi4EEvPKT_PKT0_S7_ifPKiS9_S9_iPKfiiiPfSC_PS2_PT2_iSB_SB_, .Lfunc_end171-_Z39paged_attention_ll4mi_QKV_mfma16_kernelIDF16_DF16_LN4vllm18Fp8KVCacheDataTypeE0EDF16_Li32ELi64ELi256ELb1ELi4EEvPKT_PKT0_S7_ifPKiS9_S9_iPKfiiiPfSC_PS2_PT2_iSB_SB_
                                        ; -- End function
	.section	.AMDGPU.csdata,"",@progbits
; Kernel info:
; codeLenInByte = 4044
; NumSgprs: 52
; NumVgprs: 75
; NumAgprs: 0
; TotalNumVgprs: 75
; ScratchSize: 0
; MemoryBound: 0
; FloatMode: 240
; IeeeMode: 1
; LDSByteSize: 8192 bytes/workgroup (compile time only)
; SGPRBlocks: 6
; VGPRBlocks: 9
; NumSGPRsForWavesPerEU: 52
; NumVGPRsForWavesPerEU: 75
; AccumOffset: 76
; Occupancy: 6
; WaveLimiterHint : 1
; COMPUTE_PGM_RSRC2:SCRATCH_EN: 0
; COMPUTE_PGM_RSRC2:USER_SGPR: 2
; COMPUTE_PGM_RSRC2:TRAP_HANDLER: 0
; COMPUTE_PGM_RSRC2:TGID_X_EN: 1
; COMPUTE_PGM_RSRC2:TGID_Y_EN: 1
; COMPUTE_PGM_RSRC2:TGID_Z_EN: 1
; COMPUTE_PGM_RSRC2:TIDIG_COMP_CNT: 0
; COMPUTE_PGM_RSRC3_GFX90A:ACCUM_OFFSET: 18
; COMPUTE_PGM_RSRC3_GFX90A:TG_SPLIT: 0
	.section	.text._Z38paged_attention_ll4mi_QKV_mfma4_kernelIDF16_DF16_LN4vllm18Fp8KVCacheDataTypeE0EDF16_Li32ELi64ELi256ELb0ELi1EEvPKT_PKT0_S7_ifPKiS9_S9_iPKfiiiPfSC_PS2_PT2_iSB_SB_,"axG",@progbits,_Z38paged_attention_ll4mi_QKV_mfma4_kernelIDF16_DF16_LN4vllm18Fp8KVCacheDataTypeE0EDF16_Li32ELi64ELi256ELb0ELi1EEvPKT_PKT0_S7_ifPKiS9_S9_iPKfiiiPfSC_PS2_PT2_iSB_SB_,comdat
	.protected	_Z38paged_attention_ll4mi_QKV_mfma4_kernelIDF16_DF16_LN4vllm18Fp8KVCacheDataTypeE0EDF16_Li32ELi64ELi256ELb0ELi1EEvPKT_PKT0_S7_ifPKiS9_S9_iPKfiiiPfSC_PS2_PT2_iSB_SB_ ; -- Begin function _Z38paged_attention_ll4mi_QKV_mfma4_kernelIDF16_DF16_LN4vllm18Fp8KVCacheDataTypeE0EDF16_Li32ELi64ELi256ELb0ELi1EEvPKT_PKT0_S7_ifPKiS9_S9_iPKfiiiPfSC_PS2_PT2_iSB_SB_
	.globl	_Z38paged_attention_ll4mi_QKV_mfma4_kernelIDF16_DF16_LN4vllm18Fp8KVCacheDataTypeE0EDF16_Li32ELi64ELi256ELb0ELi1EEvPKT_PKT0_S7_ifPKiS9_S9_iPKfiiiPfSC_PS2_PT2_iSB_SB_
	.p2align	8
	.type	_Z38paged_attention_ll4mi_QKV_mfma4_kernelIDF16_DF16_LN4vllm18Fp8KVCacheDataTypeE0EDF16_Li32ELi64ELi256ELb0ELi1EEvPKT_PKT0_S7_ifPKiS9_S9_iPKfiiiPfSC_PS2_PT2_iSB_SB_,@function
_Z38paged_attention_ll4mi_QKV_mfma4_kernelIDF16_DF16_LN4vllm18Fp8KVCacheDataTypeE0EDF16_Li32ELi64ELi256ELb0ELi1EEvPKT_PKT0_S7_ifPKiS9_S9_iPKfiiiPfSC_PS2_PT2_iSB_SB_: ; @_Z38paged_attention_ll4mi_QKV_mfma4_kernelIDF16_DF16_LN4vllm18Fp8KVCacheDataTypeE0EDF16_Li32ELi64ELi256ELb0ELi1EEvPKT_PKT0_S7_ifPKiS9_S9_iPKfiiiPfSC_PS2_PT2_iSB_SB_
; %bb.0:
	s_load_dwordx2 s[16:17], s[0:1], 0x30
	s_mov_b32 s20, s3
	s_mov_b64 s[6:7], 0
	s_waitcnt lgkmcnt(0)
	s_cmp_lg_u64 s[16:17], 0
	s_cselect_b64 s[18:19], -1, 0
	s_and_b64 vcc, exec, s[18:19]
	s_cbranch_vccz .LBB172_10
; %bb.1:
	s_add_i32 s8, s2, 1
	s_mov_b32 s9, 0
	s_lshl_b64 s[10:11], s[8:9], 2
	s_add_u32 s10, s16, s10
	s_mov_b32 s3, s9
	s_addc_u32 s11, s17, s11
	s_lshl_b64 s[8:9], s[2:3], 2
	s_add_u32 s8, s16, s8
	s_addc_u32 s9, s17, s9
	s_load_dword s5, s[10:11], 0x0
	s_load_dword s12, s[8:9], 0x0
	s_waitcnt lgkmcnt(0)
	s_sub_i32 s5, s5, s12
	s_cmp_eq_u32 s5, 1
	s_cselect_b64 s[8:9], -1, 0
	s_andn2_b64 vcc, exec, s[6:7]
	s_cbranch_vccnz .LBB172_3
.LBB172_2:
	s_mov_b32 s3, 0
	s_mov_b64 s[8:9], -1
.LBB172_3:
	s_andn2_b64 vcc, exec, s[8:9]
	s_cbranch_vccnz .LBB172_23
; %bb.4:
	s_load_dword s5, s[0:1], 0x9c
	s_load_dwordx2 s[6:7], s[0:1], 0x28
	s_add_u32 s24, s0, 0x90
	s_addc_u32 s25, s1, 0
	s_lshl_b64 s[28:29], s[2:3], 2
	s_waitcnt lgkmcnt(0)
	s_and_b32 s5, s5, 0xffff
	s_add_u32 s6, s6, s28
	s_addc_u32 s7, s7, s29
	s_load_dword s3, s[6:7], 0x0
	s_mul_i32 s10, s20, s5
	s_waitcnt lgkmcnt(0)
	s_cmp_ge_i32 s10, s3
	s_cbranch_scc1 .LBB172_23
; %bb.5:
	v_and_b32_e32 v2, 0xc0, v0
	v_add_u32_e32 v2, s10, v2
	v_lshrrev_b32_e32 v1, 6, v0
	v_cmp_gt_i32_e64 s[6:7], s3, v2
	v_cmp_le_i32_e32 vcc, s3, v2
                                        ; implicit-def: $sgpr21
                                        ; implicit-def: $sgpr11
	s_and_saveexec_b64 s[8:9], vcc
	s_xor_b64 s[8:9], exec, s[8:9]
	s_cbranch_execz .LBB172_7
; %bb.6:
	v_mul_u32_u24_e32 v2, 20, v1
	v_or_b32_e32 v2, 0xa00, v2
	v_mov_b32_e32 v3, 0xa50
	v_mov_b32_e32 v4, 0xff7fffff
	v_mad_u32_u24 v3, v1, 20, v3
	ds_write2_b32 v2, v4, v4 offset1:1
	v_mov_b32_e32 v2, 0
	ds_write2_b32 v3, v2, v2 offset1:1
	v_mov_b32_e32 v3, 0xa08
	s_mov_b32 s11, 0xff7fffff
	s_mov_b32 s21, 0
	v_mad_u32_u24 v3, v1, 20, v3
	v_mov_b32_e32 v5, 0xa58
	v_mad_u32_u24 v5, v1, 20, v5
	ds_write2_b32 v3, v4, v4 offset1:1
	ds_write2_b32 v5, v2, v2 offset1:1
                                        ; implicit-def: $vgpr2
.LBB172_7:
	s_or_saveexec_b64 s[26:27], s[8:9]
	s_load_dwordx2 s[22:23], s[0:1], 0x68
	s_load_dwordx4 s[12:15], s[0:1], 0x58
	s_load_dword s5, s[24:25], 0x4
	v_and_b32_e32 v40, 63, v0
	v_and_b32_e32 v39, 3, v0
	v_mov_b32_e32 v37, s21
	v_mov_b32_e32 v41, s11
	v_mov_b32_e32 v36, s21
	v_mov_b32_e32 v35, s21
	v_mov_b32_e32 v34, s21
                                        ; implicit-def: $vgpr3
                                        ; implicit-def: $vgpr7
                                        ; implicit-def: $vgpr11
                                        ; implicit-def: $vgpr15
                                        ; implicit-def: $vgpr19
                                        ; implicit-def: $vgpr23
                                        ; implicit-def: $vgpr27
                                        ; implicit-def: $vgpr31
	s_xor_b64 exec, exec, s[26:27]
	s_cbranch_execz .LBB172_17
; %bb.8:
	s_add_i32 s21, s3, 31
	s_load_dwordx2 s[8:9], s[0:1], 0x20
	s_load_dword s11, s[0:1], 0x38
	s_ashr_i32 s30, s21, 31
	s_lshr_b32 s30, s30, 27
	v_add_u32_e32 v38, s10, v0
	s_add_i32 s21, s21, s30
	v_ashrrev_i32_e32 v3, 31, v38
	s_ashr_i32 s21, s21, 5
	v_lshrrev_b32_e32 v3, 27, v3
	s_add_i32 s21, s21, -1
	v_add_u32_e32 v3, v38, v3
	s_waitcnt lgkmcnt(0)
	s_mul_i32 s30, s2, s11
	s_mov_b32 s31, 0
	v_ashrrev_i32_e32 v3, 5, v3
	v_mov_b32_e32 v4, s21
	v_cmp_gt_i32_e32 vcc, s3, v38
	s_lshl_b64 s[30:31], s[30:31], 2
	s_add_u32 s8, s8, s30
	v_cndmask_b32_e32 v4, v4, v3, vcc
	v_ashrrev_i32_e32 v3, 31, v2
	v_lshrrev_b32_e32 v3, 27, v3
	s_addc_u32 s9, s9, s31
	v_ashrrev_i32_e32 v5, 31, v4
	v_add_u32_e32 v2, v2, v3
	v_lshl_add_u64 v[6:7], v[4:5], 2, s[8:9]
	v_ashrrev_i32_e32 v4, 5, v2
	v_min_i32_e32 v2, s21, v4
	v_ashrrev_i32_e32 v3, 31, v2
	v_lshl_add_u64 v[8:9], v[2:3], 2, s[8:9]
	v_add_u32_e32 v2, 1, v4
	v_min_i32_e32 v2, s21, v2
	v_ashrrev_i32_e32 v3, 31, v2
	v_lshl_add_u64 v[10:11], v[2:3], 2, s[8:9]
	global_load_dword v2, v[6:7], off
	global_load_dword v5, v[8:9], off
	;; [unrolled: 1-line block ×3, first 2 shown]
	s_load_dwordx4 s[8:11], s[0:1], 0x8
	s_andn2_b64 vcc, exec, s[18:19]
	s_cbranch_vccnz .LBB172_11
; %bb.9:
	s_add_u32 s16, s16, s28
	s_addc_u32 s17, s17, s29
	s_load_dword s21, s[16:17], 0x0
	s_branch .LBB172_12
.LBB172_10:
	s_mov_b64 s[8:9], 0
	s_branch .LBB172_2
.LBB172_11:
	s_mov_b32 s21, s2
.LBB172_12:
	s_load_dwordx4 s[16:19], s[0:1], 0x48
	v_cmp_eq_u32_e32 vcc, 0, v39
	s_mov_b32 s29, 0
	v_mov_b32_e32 v41, 0
	v_mov_b32_e32 v3, 0
	;; [unrolled: 1-line block ×6, first 2 shown]
	s_and_saveexec_b64 s[30:31], vcc
	s_cbranch_execz .LBB172_14
; %bb.13:
	s_load_dwordx2 s[34:35], s[0:1], 0x0
	s_waitcnt lgkmcnt(0)
	s_ashr_i32 s19, s16, 31
	s_mul_hi_u32 s28, s21, s16
	s_mul_i32 s19, s21, s19
	s_add_i32 s37, s28, s19
	s_mul_i32 s36, s21, s16
	s_lshl_b64 s[36:37], s[36:37], 1
	s_add_u32 s16, s34, s36
	s_addc_u32 s19, s35, s37
	s_lshl_b32 s28, s4, 6
	s_lshl_b64 s[34:35], s[28:29], 1
	s_add_u32 s34, s16, s34
	s_addc_u32 s35, s19, s35
	v_lshlrev_b32_e32 v6, 2, v40
	global_load_dwordx4 v[34:37], v6, s[34:35]
	v_mov_b32_e32 v41, 1.0
.LBB172_14:
	s_or_b64 exec, exec, s[30:31]
	s_waitcnt lgkmcnt(0)
	s_mul_i32 s28, s4, s18
	s_lshl_b64 s[18:19], s[28:29], 1
	s_add_u32 s8, s18, s8
	s_waitcnt vmcnt(2)
	v_mad_i64_i32 v[6:7], s[30:31], v2, s17, 0
	s_addc_u32 s9, s19, s9
	v_and_b32_e32 v2, 31, v0
	v_lshl_add_u64 v[6:7], v[6:7], 1, s[8:9]
	v_lshlrev_b32_e32 v2, 4, v2
	v_lshl_add_u64 v[30:31], v[6:7], 0, v[2:3]
	global_load_dwordx4 v[6:9], v[30:31], off
	global_load_dwordx4 v[10:13], v[30:31], off offset:512
	global_load_dwordx4 v[14:17], v[30:31], off offset:1024
	;; [unrolled: 1-line block ×7, first 2 shown]
	s_waitcnt vmcnt(9)
	v_mul_hi_i32 v2, v5, s17
	s_add_u32 s8, s10, s18
	s_waitcnt vmcnt(8)
	v_mul_hi_i32 v30, v4, s17
	v_ashrrev_i32_e32 v32, 31, v2
	s_addc_u32 s9, s11, s19
	v_lshlrev_b32_e32 v2, 6, v40
	v_ashrrev_i32_e32 v33, 31, v30
	v_lshl_add_u64 v[30:31], s[8:9], 0, v[2:3]
	v_lshrrev_b32_e32 v2, 29, v32
	s_load_dword s0, s[0:1], 0x1c
	v_cmp_eq_u32_e32 vcc, 1, v39
	v_and_b32_e32 v55, -4, v38
	v_or_b32_e32 v38, 3, v38
	v_cndmask_b32_e64 v52, 0, 1.0, vcc
	v_cmp_eq_u32_e32 vcc, 2, v39
	v_cmp_gt_i32_e64 s[10:11], s3, v38
	v_lshlrev_b32_e32 v56, 2, v0
	v_cndmask_b32_e64 v53, 0, 1.0, vcc
	v_cmp_eq_u32_e32 vcc, 3, v39
	s_waitcnt vmcnt(7)
	v_mfma_f32_4x4x4_16b_f16 a[0:3], v[34:35], v[6:7], 0 cbsz:4
	v_mad_i64_i32 v[6:7], s[8:9], v5, s17, v[2:3]
	s_nop 0
	v_mfma_f32_4x4x4_16b_f16 a[0:3], v[36:37], v[8:9], a[0:3] cbsz:4
	v_lshrrev_b32_e32 v2, 29, v33
	v_mad_i64_i32 v[2:3], s[8:9], v4, s17, v[2:3]
	s_waitcnt vmcnt(6)
	v_mfma_f32_4x4x4_16b_f16 a[0:3], v[34:35], v[10:11], a[0:3] cbsz:4 abid:1
	v_lshlrev_b64 v[6:7], 1, v[6:7]
	v_lshlrev_b64 v[32:33], 1, v[2:3]
	v_mfma_f32_4x4x4_16b_f16 a[0:3], v[36:37], v[12:13], a[0:3] cbsz:4 abid:1
	v_and_b32_e32 v6, -16, v6
	v_and_b32_e32 v32, -16, v32
	s_waitcnt vmcnt(5)
	v_mfma_f32_4x4x4_16b_f16 a[0:3], v[34:35], v[14:15], a[0:3] cbsz:4 abid:2
	v_lshl_add_u64 v[50:51], v[30:31], 0, v[32:33]
	v_cndmask_b32_e64 v54, 0, 1.0, vcc
	v_mfma_f32_4x4x4_16b_f16 a[0:3], v[36:37], v[16:17], a[0:3] cbsz:4 abid:2
	v_cmp_gt_i32_e32 vcc, s3, v55
	s_waitcnt vmcnt(4)
	v_mfma_f32_4x4x4_16b_f16 a[0:3], v[34:35], v[18:19], a[0:3] cbsz:4 abid:3
	v_lshl_add_u64 v[18:19], v[30:31], 0, v[6:7]
	global_load_dwordx4 v[2:5], v[18:19], off
	global_load_dwordx4 v[6:9], v[18:19], off offset:16
	v_mfma_f32_4x4x4_16b_f16 a[0:3], v[36:37], v[20:21], a[0:3] cbsz:4 abid:3
	global_load_dwordx4 v[10:13], v[18:19], off offset:32
	global_load_dwordx4 v[14:17], v[18:19], off offset:48
	s_waitcnt vmcnt(7)
	v_mfma_f32_4x4x4_16b_f16 a[0:3], v[34:35], v[22:23], a[0:3] cbsz:4 abid:4
	s_nop 1
	v_mfma_f32_4x4x4_16b_f16 a[0:3], v[36:37], v[24:25], a[0:3] cbsz:4 abid:4
	global_load_dwordx4 v[18:21], v[50:51], off
	global_load_dwordx4 v[22:25], v[50:51], off offset:16
	s_waitcnt vmcnt(8)
	v_mfma_f32_4x4x4_16b_f16 a[0:3], v[34:35], v[26:27], a[0:3] cbsz:4 abid:5
	s_nop 1
	v_mfma_f32_4x4x4_16b_f16 a[0:3], v[36:37], v[28:29], a[0:3] cbsz:4 abid:5
	global_load_dwordx4 v[26:29], v[50:51], off offset:32
	global_load_dwordx4 v[30:33], v[50:51], off offset:48
	s_waitcnt vmcnt(9)
	v_mfma_f32_4x4x4_16b_f16 a[0:3], v[34:35], v[42:43], a[0:3] cbsz:4 abid:6
	v_mov_b32_e32 v42, 0xff7fffff
	v_and_or_b32 v43, v56, 48, v39
	v_mfma_f32_4x4x4_16b_f16 a[0:3], v[36:37], v[44:45], a[0:3] cbsz:4 abid:6
	v_lshlrev_b32_e32 v43, 2, v43
	s_waitcnt vmcnt(8)
	v_mfma_f32_4x4x4_16b_f16 a[0:3], v[34:35], v[46:47], a[0:3] cbsz:4 abid:7
	s_nop 1
	v_mfma_f32_4x4x4_16b_f16 a[0:3], v[36:37], v[48:49], a[0:3] cbsz:4 abid:7
	s_nop 4
	v_accvgpr_read_b32 v35, a1
	v_accvgpr_read_b32 v34, a0
	s_waitcnt lgkmcnt(0)
	v_pk_mul_f32 v[34:35], s[0:1], v[34:35] op_sel_hi:[0,1]
	v_accvgpr_read_b32 v37, a3
	v_accvgpr_read_b32 v36, a2
	v_pk_mul_f32 v[36:37], s[0:1], v[36:37] op_sel_hi:[0,1]
	v_mfma_f32_4x4x1_16b_f32 a[0:3], v34, v41, 0
	v_or_b32_e32 v34, 1, v55
	s_nop 0
	v_mfma_f32_4x4x1_16b_f32 a[0:3], v35, v52, a[0:3]
	v_cmp_gt_i32_e64 s[0:1], s3, v34
	v_or_b32_e32 v35, 2, v55
	v_mfma_f32_4x4x1_16b_f32 a[0:3], v36, v53, a[0:3]
	v_cmp_gt_i32_e64 s[8:9], s3, v35
	s_nop 0
	v_mfma_f32_4x4x1_16b_f32 a[0:3], v37, v54, a[0:3]
	s_nop 3
	v_accvgpr_read_b32 v36, a0
	v_max_f32_e32 v41, v36, v36
	v_accvgpr_read_b32 v37, a1
	v_max_f32_e32 v41, 0xff7fffff, v41
	v_max_f32_e32 v46, v37, v37
	v_cndmask_b32_e32 v41, v42, v41, vcc
	v_accvgpr_read_b32 v44, a2
	v_max_f32_e32 v42, v41, v46
	v_max_f32_e32 v47, v44, v44
	v_cndmask_b32_e64 v34, v41, v42, s[0:1]
	v_accvgpr_read_b32 v45, a3
	v_max_f32_e32 v41, v34, v47
	v_max_f32_e32 v48, v45, v45
	v_cndmask_b32_e64 v34, v34, v41, s[8:9]
	v_max_f32_e32 v35, v34, v48
	v_cndmask_b32_e64 v34, v34, v35, s[10:11]
	;;#ASMSTART
	v_nop
 v_nop
 v_max_f32_dpp v34, v34, v34 row_ror:4
	;;#ASMEND
	s_nop 0
	;;#ASMSTART
	v_nop
 v_nop
 v_max_f32_dpp v34, v34, v34 row_ror:8
	;;#ASMEND
	ds_bpermute_b32 v34, v43, v34
	s_waitcnt lgkmcnt(0)
	;;#ASMSTART
	v_nop
 v_nop
 v_max_f32_dpp v34, v34, v34 row_ror:4
	;;#ASMEND
	s_nop 0
	;;#ASMSTART
	v_nop
 v_nop
 v_max_f32_dpp v41, v34, v34 row_ror:8
	;;#ASMEND
	s_nop 0
	v_sub_f32_e32 v34, v36, v41
	v_sub_f32_e32 v35, v37, v41
	v_mul_f32_e32 v34, 0x3fb8aa3b, v34
	v_sub_f32_e32 v36, v44, v41
	v_mul_f32_e32 v35, 0x3fb8aa3b, v35
	v_exp_f32_e32 v34, v34
	v_sub_f32_e32 v37, v45, v41
	v_mul_f32_e32 v36, 0x3fb8aa3b, v36
	v_exp_f32_e32 v35, v35
	v_mul_f32_e32 v37, 0x3fb8aa3b, v37
	v_exp_f32_e32 v36, v36
	v_exp_f32_e32 v37, v37
	v_cndmask_b32_e32 v34, 0, v34, vcc
	v_cndmask_b32_e64 v35, 0, v35, s[0:1]
	v_add_f32_e32 v38, 0, v34
	v_cndmask_b32_e64 v36, 0, v36, s[8:9]
	v_add_f32_e32 v38, v38, v35
	;; [unrolled: 2-line block ×3, first 2 shown]
	v_add_f32_e32 v38, v38, v37
	;;#ASMSTART
	v_nop
 v_nop
 v_add_f32_dpp v38, v38, v38 row_ror:4
	;;#ASMEND
	v_cmp_gt_u32_e32 vcc, 4, v40
	;;#ASMSTART
	v_nop
 v_nop
 v_add_f32_dpp v38, v38, v38 row_ror:8
	;;#ASMEND
	ds_bpermute_b32 v38, v43, v38
	s_waitcnt lgkmcnt(0)
	;;#ASMSTART
	v_nop
 v_nop
 v_add_f32_dpp v38, v38, v38 row_ror:4
	;;#ASMEND
	s_nop 0
	;;#ASMSTART
	v_nop
 v_nop
 v_add_f32_dpp v38, v38, v38 row_ror:8
	;;#ASMEND
	s_and_saveexec_b64 s[0:1], vcc
	s_cbranch_execz .LBB172_16
; %bb.15:
	v_mul_u32_u24_e32 v42, 20, v1
	v_lshl_add_u32 v42, v39, 2, v42
	v_add_u32_e32 v42, 0x800, v42
	ds_write2_b32 v42, v41, v38 offset0:128 offset1:148
.LBB172_16:
	s_or_b64 exec, exec, s[0:1]
.LBB172_17:
	s_or_b64 exec, exec, s[26:27]
	s_waitcnt lgkmcnt(0)
	s_barrier
	s_load_dword s0, s[24:25], 0x8
	v_lshlrev_b32_e32 v38, 2, v39
	v_add_u32_e32 v43, 0x800, v38
	ds_read2_b32 v[44:45], v43 offset0:128 offset1:133
	ds_read2_b32 v[46:47], v43 offset0:138 offset1:143
	s_mul_i32 s1, s5, s2
	s_waitcnt lgkmcnt(0)
	s_mul_i32 s0, s1, s0
	s_mov_b32 s1, 0xff7fffff
	v_max3_f32 v38, v44, s1, v45
	v_max3_f32 v42, v38, v46, v47
	v_sub_f32_e32 v38, v44, v42
	v_sub_f32_e32 v44, v45, v42
	v_mul_f32_e32 v44, 0x3fb8aa3b, v44
	ds_read2_b32 v[48:49], v43 offset0:148 offset1:153
	v_mul_f32_e32 v38, 0x3fb8aa3b, v38
	v_exp_f32_e32 v51, v44
	ds_read2_b32 v[44:45], v43 offset0:158 offset1:163
	v_sub_f32_e32 v43, v46, v42
	v_exp_f32_e32 v50, v38
	v_mul_f32_e32 v43, 0x3fb8aa3b, v43
	v_exp_f32_e32 v46, v43
	v_sub_f32_e32 v43, v47, v42
	v_mul_f32_e32 v43, 0x3fb8aa3b, v43
	v_exp_f32_e32 v47, v43
	s_waitcnt lgkmcnt(1)
	v_fma_f32 v43, v50, v48, 0
	v_fmac_f32_e32 v43, v51, v49
	s_waitcnt lgkmcnt(0)
	v_fmac_f32_e32 v43, v46, v44
	v_mov_b32_e32 v38, 0
	v_fmac_f32_e32 v43, v47, v45
	s_mov_b32 s1, 0
	v_cmp_eq_u32_e32 vcc, 0, v39
	s_and_saveexec_b64 s[2:3], vcc
	s_cbranch_execz .LBB172_19
; %bb.18:
	s_lshl_b64 s[8:9], s[0:1], 2
	s_add_u32 s12, s12, s8
	s_mov_b32 s21, s1
	s_addc_u32 s13, s13, s9
	s_lshl_b64 s[10:11], s[20:21], 2
	s_add_u32 s12, s12, s10
	s_addc_u32 s13, s13, s11
	s_add_u32 s8, s14, s8
	s_addc_u32 s9, s15, s9
	;; [unrolled: 2-line block ×3, first 2 shown]
	s_mul_i32 s8, s5, s4
	s_mov_b32 s9, s1
	s_lshl_b64 s[8:9], s[8:9], 2
	s_add_u32 s10, s12, s8
	s_addc_u32 s11, s13, s9
	s_add_u32 s8, s14, s8
	s_addc_u32 s9, s15, s9
	global_store_dword v38, v42, s[8:9]
	global_store_dword v38, v43, s[10:11]
.LBB172_19:
	s_or_b64 exec, exec, s[2:3]
	v_mov_b32_e32 v39, 0
	s_and_saveexec_b64 s[2:3], s[6:7]
	s_cbranch_execz .LBB172_21
; %bb.20:
	v_add_f32_e32 v38, 0x358637bd, v43
	v_div_scale_f32 v39, s[6:7], v38, v38, 1.0
	v_rcp_f32_e32 v43, v39
	v_div_scale_f32 v44, vcc, 1.0, v38, 1.0
	v_sub_f32_e32 v41, v41, v42
	v_fma_f32 v45, -v39, v43, 1.0
	v_fmac_f32_e32 v43, v45, v43
	v_mul_f32_e32 v45, v44, v43
	v_fma_f32 v46, -v39, v45, v44
	v_mul_f32_e32 v41, 0x3fb8aa3b, v41
	v_fmac_f32_e32 v45, v46, v43
	v_exp_f32_e32 v41, v41
	v_fma_f32 v39, -v39, v45, v44
	v_div_fmas_f32 v39, v39, v43, v45
	v_div_fixup_f32 v38, v39, v38, 1.0
	v_mul_f32_e32 v38, v41, v38
	v_pk_mul_f32 v[36:37], v[36:37], v[38:39] op_sel_hi:[1,0]
	v_pk_mul_f32 v[34:35], v[34:35], v[38:39] op_sel_hi:[1,0]
	v_cvt_f16_f32_e32 v36, v36
	v_cvt_f16_f32_e32 v34, v34
	;; [unrolled: 1-line block ×4, first 2 shown]
	s_mov_b32 s1, 0x5040100
	v_pack_b32_f16 v34, v34, v35
	v_pack_b32_f16 v35, v36, v37
	s_waitcnt vmcnt(7)
	s_nop 0
	v_mfma_f32_4x4x4_16b_f16 a[0:3], v[34:35], v[2:3], 0 cbsz:4
	s_nop 1
	v_mfma_f32_4x4x4_16b_f16 a[0:3], v[34:35], v[4:5], a[0:3] cbsz:4 abid:1
	s_waitcnt vmcnt(6)
	s_nop 0
	v_mfma_f32_4x4x4_16b_f16 a[0:3], v[34:35], v[6:7], a[0:3] cbsz:4 abid:2
	s_nop 1
	v_mfma_f32_4x4x4_16b_f16 a[0:3], v[34:35], v[8:9], a[0:3] cbsz:4 abid:3
	s_waitcnt vmcnt(5)
	s_nop 0
	v_mfma_f32_4x4x4_16b_f16 a[0:3], v[34:35], v[10:11], a[0:3] cbsz:4 abid:4
	s_nop 1
	v_mfma_f32_4x4x4_16b_f16 a[0:3], v[34:35], v[12:13], a[0:3] cbsz:4 abid:5
	s_waitcnt vmcnt(4)
	s_nop 0
	v_mfma_f32_4x4x4_16b_f16 a[0:3], v[34:35], v[14:15], a[0:3] cbsz:4 abid:6
	s_nop 1
	v_mfma_f32_4x4x4_16b_f16 a[0:3], v[34:35], v[16:17], a[0:3] cbsz:4 abid:7
	s_waitcnt vmcnt(3)
	s_nop 0
	v_mfma_f32_4x4x4_16b_f16 a[0:3], v[34:35], v[18:19], a[0:3] cbsz:4 abid:8
	s_nop 1
	v_mfma_f32_4x4x4_16b_f16 a[0:3], v[34:35], v[20:21], a[0:3] cbsz:4 abid:9
	s_waitcnt vmcnt(2)
	s_nop 0
	v_mfma_f32_4x4x4_16b_f16 a[0:3], v[34:35], v[22:23], a[0:3] cbsz:4 abid:10
	s_nop 1
	v_mfma_f32_4x4x4_16b_f16 a[0:3], v[34:35], v[24:25], a[0:3] cbsz:4 abid:11
	s_waitcnt vmcnt(1)
	s_nop 0
	v_mfma_f32_4x4x4_16b_f16 a[0:3], v[34:35], v[26:27], a[0:3] cbsz:4 abid:12
	s_nop 1
	v_mfma_f32_4x4x4_16b_f16 a[0:3], v[34:35], v[28:29], a[0:3] cbsz:4 abid:13
	s_waitcnt vmcnt(0)
	s_nop 0
	v_mfma_f32_4x4x4_16b_f16 a[0:3], v[34:35], v[30:31], a[0:3] cbsz:4 abid:14
	s_nop 1
	v_mfma_f32_4x4x4_16b_f16 a[0:3], v[34:35], v[32:33], a[0:3] cbsz:4 abid:15
	s_nop 4
	v_accvgpr_read_b32 v2, a0
	v_accvgpr_read_b32 v3, a1
	;; [unrolled: 1-line block ×4, first 2 shown]
	v_cvt_f16_f32_e32 v2, v2
	v_cvt_f16_f32_e32 v3, v3
	;; [unrolled: 1-line block ×4, first 2 shown]
	v_perm_b32 v38, v3, v2, s1
	v_perm_b32 v39, v5, v4, s1
.LBB172_21:
	s_or_b64 exec, exec, s[2:3]
	v_lshlrev_b32_e32 v1, 3, v1
	v_mad_u32_u24 v1, v40, 40, v1
	v_cmp_gt_u32_e32 vcc, 64, v0
	ds_write_b64 v1, v[38:39]
	s_waitcnt lgkmcnt(0)
	s_barrier
	s_and_saveexec_b64 s[2:3], vcc
	s_cbranch_execz .LBB172_23
; %bb.22:
	v_mul_u32_u24_e32 v1, 40, v40
	s_waitcnt vmcnt(7)
	ds_read2_b64 v[2:5], v1 offset1:1
	s_waitcnt vmcnt(6)
	ds_read2_b64 v[6:9], v1 offset0:2 offset1:3
	s_lshl_b32 s0, s0, 6
	s_mov_b32 s1, 0
	s_lshl_b64 s[2:3], s[0:1], 1
	s_add_u32 s2, s22, s2
	s_addc_u32 s3, s23, s3
	s_lshl_b32 s0, s20, 6
	s_lshl_b64 s[0:1], s[0:1], 1
	s_waitcnt lgkmcnt(1)
	v_pk_add_f16 v2, v2, 0
	s_add_u32 s0, s2, s0
	s_mul_i32 s4, s4, s5
	v_pk_add_f16 v2, v2, v4
	s_addc_u32 s1, s3, s1
	v_lshl_or_b32 v0, s4, 6, v0
	v_mov_b32_e32 v1, 0
	s_waitcnt lgkmcnt(0)
	v_pk_add_f16 v2, v2, v6
	v_lshl_add_u64 v[0:1], v[0:1], 1, s[0:1]
	v_pk_add_f16 v2, v2, v8
	global_store_short v[0:1], v2, off
.LBB172_23:
	s_endpgm
	.section	.rodata,"a",@progbits
	.p2align	6, 0x0
	.amdhsa_kernel _Z38paged_attention_ll4mi_QKV_mfma4_kernelIDF16_DF16_LN4vllm18Fp8KVCacheDataTypeE0EDF16_Li32ELi64ELi256ELb0ELi1EEvPKT_PKT0_S7_ifPKiS9_S9_iPKfiiiPfSC_PS2_PT2_iSB_SB_
		.amdhsa_group_segment_fixed_size 2720
		.amdhsa_private_segment_fixed_size 0
		.amdhsa_kernarg_size 400
		.amdhsa_user_sgpr_count 2
		.amdhsa_user_sgpr_dispatch_ptr 0
		.amdhsa_user_sgpr_queue_ptr 0
		.amdhsa_user_sgpr_kernarg_segment_ptr 1
		.amdhsa_user_sgpr_dispatch_id 0
		.amdhsa_user_sgpr_kernarg_preload_length 0
		.amdhsa_user_sgpr_kernarg_preload_offset 0
		.amdhsa_user_sgpr_private_segment_size 0
		.amdhsa_uses_dynamic_stack 0
		.amdhsa_enable_private_segment 0
		.amdhsa_system_sgpr_workgroup_id_x 1
		.amdhsa_system_sgpr_workgroup_id_y 1
		.amdhsa_system_sgpr_workgroup_id_z 1
		.amdhsa_system_sgpr_workgroup_info 0
		.amdhsa_system_vgpr_workitem_id 0
		.amdhsa_next_free_vgpr 64
		.amdhsa_next_free_sgpr 38
		.amdhsa_accum_offset 60
		.amdhsa_reserve_vcc 1
		.amdhsa_float_round_mode_32 0
		.amdhsa_float_round_mode_16_64 0
		.amdhsa_float_denorm_mode_32 3
		.amdhsa_float_denorm_mode_16_64 3
		.amdhsa_dx10_clamp 1
		.amdhsa_ieee_mode 1
		.amdhsa_fp16_overflow 0
		.amdhsa_tg_split 0
		.amdhsa_exception_fp_ieee_invalid_op 0
		.amdhsa_exception_fp_denorm_src 0
		.amdhsa_exception_fp_ieee_div_zero 0
		.amdhsa_exception_fp_ieee_overflow 0
		.amdhsa_exception_fp_ieee_underflow 0
		.amdhsa_exception_fp_ieee_inexact 0
		.amdhsa_exception_int_div_zero 0
	.end_amdhsa_kernel
	.section	.text._Z38paged_attention_ll4mi_QKV_mfma4_kernelIDF16_DF16_LN4vllm18Fp8KVCacheDataTypeE0EDF16_Li32ELi64ELi256ELb0ELi1EEvPKT_PKT0_S7_ifPKiS9_S9_iPKfiiiPfSC_PS2_PT2_iSB_SB_,"axG",@progbits,_Z38paged_attention_ll4mi_QKV_mfma4_kernelIDF16_DF16_LN4vllm18Fp8KVCacheDataTypeE0EDF16_Li32ELi64ELi256ELb0ELi1EEvPKT_PKT0_S7_ifPKiS9_S9_iPKfiiiPfSC_PS2_PT2_iSB_SB_,comdat
.Lfunc_end172:
	.size	_Z38paged_attention_ll4mi_QKV_mfma4_kernelIDF16_DF16_LN4vllm18Fp8KVCacheDataTypeE0EDF16_Li32ELi64ELi256ELb0ELi1EEvPKT_PKT0_S7_ifPKiS9_S9_iPKfiiiPfSC_PS2_PT2_iSB_SB_, .Lfunc_end172-_Z38paged_attention_ll4mi_QKV_mfma4_kernelIDF16_DF16_LN4vllm18Fp8KVCacheDataTypeE0EDF16_Li32ELi64ELi256ELb0ELi1EEvPKT_PKT0_S7_ifPKiS9_S9_iPKfiiiPfSC_PS2_PT2_iSB_SB_
                                        ; -- End function
	.section	.AMDGPU.csdata,"",@progbits
; Kernel info:
; codeLenInByte = 2900
; NumSgprs: 44
; NumVgprs: 57
; NumAgprs: 4
; TotalNumVgprs: 64
; ScratchSize: 0
; MemoryBound: 0
; FloatMode: 240
; IeeeMode: 1
; LDSByteSize: 2720 bytes/workgroup (compile time only)
; SGPRBlocks: 5
; VGPRBlocks: 7
; NumSGPRsForWavesPerEU: 44
; NumVGPRsForWavesPerEU: 64
; AccumOffset: 60
; Occupancy: 8
; WaveLimiterHint : 1
; COMPUTE_PGM_RSRC2:SCRATCH_EN: 0
; COMPUTE_PGM_RSRC2:USER_SGPR: 2
; COMPUTE_PGM_RSRC2:TRAP_HANDLER: 0
; COMPUTE_PGM_RSRC2:TGID_X_EN: 1
; COMPUTE_PGM_RSRC2:TGID_Y_EN: 1
; COMPUTE_PGM_RSRC2:TGID_Z_EN: 1
; COMPUTE_PGM_RSRC2:TIDIG_COMP_CNT: 0
; COMPUTE_PGM_RSRC3_GFX90A:ACCUM_OFFSET: 14
; COMPUTE_PGM_RSRC3_GFX90A:TG_SPLIT: 0
	.section	.text._Z38paged_attention_ll4mi_QKV_mfma4_kernelIDF16_DF16_LN4vllm18Fp8KVCacheDataTypeE0EDF16_Li32ELi64ELi256ELb0ELi2EEvPKT_PKT0_S7_ifPKiS9_S9_iPKfiiiPfSC_PS2_PT2_iSB_SB_,"axG",@progbits,_Z38paged_attention_ll4mi_QKV_mfma4_kernelIDF16_DF16_LN4vllm18Fp8KVCacheDataTypeE0EDF16_Li32ELi64ELi256ELb0ELi2EEvPKT_PKT0_S7_ifPKiS9_S9_iPKfiiiPfSC_PS2_PT2_iSB_SB_,comdat
	.protected	_Z38paged_attention_ll4mi_QKV_mfma4_kernelIDF16_DF16_LN4vllm18Fp8KVCacheDataTypeE0EDF16_Li32ELi64ELi256ELb0ELi2EEvPKT_PKT0_S7_ifPKiS9_S9_iPKfiiiPfSC_PS2_PT2_iSB_SB_ ; -- Begin function _Z38paged_attention_ll4mi_QKV_mfma4_kernelIDF16_DF16_LN4vllm18Fp8KVCacheDataTypeE0EDF16_Li32ELi64ELi256ELb0ELi2EEvPKT_PKT0_S7_ifPKiS9_S9_iPKfiiiPfSC_PS2_PT2_iSB_SB_
	.globl	_Z38paged_attention_ll4mi_QKV_mfma4_kernelIDF16_DF16_LN4vllm18Fp8KVCacheDataTypeE0EDF16_Li32ELi64ELi256ELb0ELi2EEvPKT_PKT0_S7_ifPKiS9_S9_iPKfiiiPfSC_PS2_PT2_iSB_SB_
	.p2align	8
	.type	_Z38paged_attention_ll4mi_QKV_mfma4_kernelIDF16_DF16_LN4vllm18Fp8KVCacheDataTypeE0EDF16_Li32ELi64ELi256ELb0ELi2EEvPKT_PKT0_S7_ifPKiS9_S9_iPKfiiiPfSC_PS2_PT2_iSB_SB_,@function
_Z38paged_attention_ll4mi_QKV_mfma4_kernelIDF16_DF16_LN4vllm18Fp8KVCacheDataTypeE0EDF16_Li32ELi64ELi256ELb0ELi2EEvPKT_PKT0_S7_ifPKiS9_S9_iPKfiiiPfSC_PS2_PT2_iSB_SB_: ; @_Z38paged_attention_ll4mi_QKV_mfma4_kernelIDF16_DF16_LN4vllm18Fp8KVCacheDataTypeE0EDF16_Li32ELi64ELi256ELb0ELi2EEvPKT_PKT0_S7_ifPKiS9_S9_iPKfiiiPfSC_PS2_PT2_iSB_SB_
; %bb.0:
	s_load_dwordx2 s[16:17], s[0:1], 0x30
	s_mov_b32 s20, s3
	s_mov_b64 s[6:7], 0
	s_waitcnt lgkmcnt(0)
	s_cmp_lg_u64 s[16:17], 0
	s_cselect_b64 s[18:19], -1, 0
	s_and_b64 vcc, exec, s[18:19]
	s_cbranch_vccz .LBB173_10
; %bb.1:
	s_add_i32 s8, s2, 1
	s_mov_b32 s9, 0
	s_lshl_b64 s[10:11], s[8:9], 2
	s_add_u32 s10, s16, s10
	s_mov_b32 s3, s9
	s_addc_u32 s11, s17, s11
	s_lshl_b64 s[8:9], s[2:3], 2
	s_add_u32 s8, s16, s8
	s_addc_u32 s9, s17, s9
	s_load_dword s5, s[10:11], 0x0
	s_load_dword s12, s[8:9], 0x0
	s_waitcnt lgkmcnt(0)
	s_sub_i32 s5, s5, s12
	s_cmp_eq_u32 s5, 1
	s_cselect_b64 s[8:9], -1, 0
	s_andn2_b64 vcc, exec, s[6:7]
	s_cbranch_vccnz .LBB173_3
.LBB173_2:
	s_mov_b32 s3, 0
	s_mov_b64 s[8:9], -1
.LBB173_3:
	s_andn2_b64 vcc, exec, s[8:9]
	s_cbranch_vccnz .LBB173_23
; %bb.4:
	s_load_dword s5, s[0:1], 0x9c
	s_load_dwordx2 s[6:7], s[0:1], 0x28
	s_add_u32 s24, s0, 0x90
	s_addc_u32 s25, s1, 0
	s_lshl_b64 s[28:29], s[2:3], 2
	s_waitcnt lgkmcnt(0)
	s_and_b32 s5, s5, 0xffff
	s_add_u32 s6, s6, s28
	s_addc_u32 s7, s7, s29
	s_load_dword s3, s[6:7], 0x0
	s_mul_i32 s10, s20, s5
	s_waitcnt lgkmcnt(0)
	s_cmp_ge_i32 s10, s3
	s_cbranch_scc1 .LBB173_23
; %bb.5:
	v_and_b32_e32 v2, 0xc0, v0
	v_add_u32_e32 v2, s10, v2
	v_lshrrev_b32_e32 v1, 6, v0
	v_cmp_gt_i32_e64 s[6:7], s3, v2
	v_cmp_le_i32_e32 vcc, s3, v2
                                        ; implicit-def: $sgpr21
                                        ; implicit-def: $sgpr11
	s_and_saveexec_b64 s[8:9], vcc
	s_xor_b64 s[8:9], exec, s[8:9]
	s_cbranch_execz .LBB173_7
; %bb.6:
	v_mul_u32_u24_e32 v2, 20, v1
	v_or_b32_e32 v2, 0xa00, v2
	v_mov_b32_e32 v3, 0xa50
	v_mov_b32_e32 v4, 0xff7fffff
	v_mad_u32_u24 v3, v1, 20, v3
	ds_write2_b32 v2, v4, v4 offset1:1
	v_mov_b32_e32 v2, 0
	ds_write2_b32 v3, v2, v2 offset1:1
	v_mov_b32_e32 v3, 0xa08
	s_mov_b32 s11, 0xff7fffff
	s_mov_b32 s21, 0
	v_mad_u32_u24 v3, v1, 20, v3
	v_mov_b32_e32 v5, 0xa58
	v_mad_u32_u24 v5, v1, 20, v5
	ds_write2_b32 v3, v4, v4 offset1:1
	ds_write2_b32 v5, v2, v2 offset1:1
                                        ; implicit-def: $vgpr2
.LBB173_7:
	s_or_saveexec_b64 s[26:27], s[8:9]
	s_load_dwordx2 s[22:23], s[0:1], 0x68
	s_load_dwordx4 s[12:15], s[0:1], 0x58
	s_load_dword s5, s[24:25], 0x4
	v_and_b32_e32 v40, 63, v0
	v_and_b32_e32 v38, 3, v0
	v_mov_b32_e32 v37, s21
	v_mov_b32_e32 v41, s11
	;; [unrolled: 1-line block ×5, first 2 shown]
                                        ; implicit-def: $vgpr3
                                        ; implicit-def: $vgpr7
                                        ; implicit-def: $vgpr11
                                        ; implicit-def: $vgpr15
                                        ; implicit-def: $vgpr19
                                        ; implicit-def: $vgpr23
                                        ; implicit-def: $vgpr27
                                        ; implicit-def: $vgpr31
	s_xor_b64 exec, exec, s[26:27]
	s_cbranch_execz .LBB173_17
; %bb.8:
	s_add_i32 s21, s3, 31
	s_load_dwordx2 s[8:9], s[0:1], 0x20
	s_load_dword s11, s[0:1], 0x38
	s_ashr_i32 s30, s21, 31
	s_lshr_b32 s30, s30, 27
	v_add_u32_e32 v39, s10, v0
	s_add_i32 s21, s21, s30
	v_ashrrev_i32_e32 v3, 31, v39
	s_ashr_i32 s21, s21, 5
	v_lshrrev_b32_e32 v3, 27, v3
	s_add_i32 s21, s21, -1
	v_add_u32_e32 v3, v39, v3
	s_waitcnt lgkmcnt(0)
	s_mul_i32 s30, s2, s11
	s_mov_b32 s31, 0
	v_ashrrev_i32_e32 v3, 5, v3
	v_mov_b32_e32 v4, s21
	v_cmp_gt_i32_e32 vcc, s3, v39
	s_lshl_b64 s[30:31], s[30:31], 2
	s_add_u32 s8, s8, s30
	v_cndmask_b32_e32 v4, v4, v3, vcc
	v_ashrrev_i32_e32 v3, 31, v2
	v_lshrrev_b32_e32 v3, 27, v3
	s_addc_u32 s9, s9, s31
	v_ashrrev_i32_e32 v5, 31, v4
	v_add_u32_e32 v2, v2, v3
	v_lshl_add_u64 v[6:7], v[4:5], 2, s[8:9]
	v_ashrrev_i32_e32 v4, 5, v2
	v_min_i32_e32 v2, s21, v4
	v_ashrrev_i32_e32 v3, 31, v2
	v_lshl_add_u64 v[8:9], v[2:3], 2, s[8:9]
	v_add_u32_e32 v2, 1, v4
	v_min_i32_e32 v2, s21, v2
	v_ashrrev_i32_e32 v3, 31, v2
	v_lshl_add_u64 v[10:11], v[2:3], 2, s[8:9]
	global_load_dword v2, v[6:7], off
	global_load_dword v5, v[8:9], off
	;; [unrolled: 1-line block ×3, first 2 shown]
	s_load_dwordx4 s[8:11], s[0:1], 0x8
	s_andn2_b64 vcc, exec, s[18:19]
	s_cbranch_vccnz .LBB173_11
; %bb.9:
	s_add_u32 s16, s16, s28
	s_addc_u32 s17, s17, s29
	s_load_dword s21, s[16:17], 0x0
	s_branch .LBB173_12
.LBB173_10:
	s_mov_b64 s[8:9], 0
	s_branch .LBB173_2
.LBB173_11:
	s_mov_b32 s21, s2
.LBB173_12:
	s_load_dwordx4 s[16:19], s[0:1], 0x48
	v_cmp_gt_u32_e32 vcc, 2, v38
	s_mov_b32 s29, 0
	v_mov_b32_e32 v3, 0
	v_mov_b32_e32 v34, 0
	v_mov_b32_e32 v35, 0
	v_mov_b32_e32 v36, 0
	v_mov_b32_e32 v37, 0
	s_and_saveexec_b64 s[30:31], vcc
	s_cbranch_execz .LBB173_14
; %bb.13:
	s_load_dwordx2 s[34:35], s[0:1], 0x0
	s_waitcnt lgkmcnt(0)
	s_ashr_i32 s19, s16, 31
	s_mul_hi_u32 s28, s21, s16
	s_mul_i32 s19, s21, s19
	s_add_i32 s37, s28, s19
	s_mul_i32 s36, s21, s16
	s_lshl_b64 s[36:37], s[36:37], 1
	s_add_u32 s16, s34, s36
	s_addc_u32 s19, s35, s37
	s_lshl_b32 s28, s4, 7
	s_lshl_b64 s[34:35], s[28:29], 1
	s_add_u32 s34, s16, s34
	v_lshlrev_b32_e32 v6, 3, v38
	v_lshrrev_b32_e32 v7, 2, v40
	s_addc_u32 s35, s19, s35
	v_add_lshl_u32 v6, v6, v7, 4
	global_load_dwordx4 v[34:37], v6, s[34:35]
.LBB173_14:
	s_or_b64 exec, exec, s[30:31]
	s_waitcnt lgkmcnt(0)
	s_mul_i32 s28, s4, s18
	s_lshl_b64 s[18:19], s[28:29], 1
	s_add_u32 s8, s18, s8
	s_waitcnt vmcnt(2)
	v_mad_i64_i32 v[6:7], s[30:31], v2, s17, 0
	s_addc_u32 s9, s19, s9
	v_and_b32_e32 v2, 31, v0
	v_lshl_add_u64 v[6:7], v[6:7], 1, s[8:9]
	v_lshlrev_b32_e32 v2, 4, v2
	v_lshl_add_u64 v[30:31], v[6:7], 0, v[2:3]
	global_load_dwordx4 v[6:9], v[30:31], off
	global_load_dwordx4 v[10:13], v[30:31], off offset:512
	global_load_dwordx4 v[14:17], v[30:31], off offset:1024
	global_load_dwordx4 v[18:21], v[30:31], off offset:1536
	global_load_dwordx4 v[22:25], v[30:31], off offset:2048
	global_load_dwordx4 v[26:29], v[30:31], off offset:2560
	global_load_dwordx4 v[42:45], v[30:31], off offset:3072
	global_load_dwordx4 v[46:49], v[30:31], off offset:3584
	s_waitcnt vmcnt(9)
	v_mul_hi_i32 v2, v5, s17
	s_add_u32 s8, s10, s18
	s_waitcnt vmcnt(8)
	v_mul_hi_i32 v30, v4, s17
	v_ashrrev_i32_e32 v32, 31, v2
	s_addc_u32 s9, s11, s19
	v_lshlrev_b32_e32 v2, 6, v40
	v_ashrrev_i32_e32 v33, 31, v30
	v_lshl_add_u64 v[30:31], s[8:9], 0, v[2:3]
	v_lshrrev_b32_e32 v2, 29, v32
	s_load_dword s0, s[0:1], 0x1c
	v_cmp_eq_u32_e32 vcc, 0, v38
	v_and_b32_e32 v55, -4, v39
	v_or_b32_e32 v39, 3, v39
	v_cndmask_b32_e64 v41, 0, 1.0, vcc
	v_cmp_eq_u32_e32 vcc, 1, v38
	v_cmp_gt_i32_e64 s[10:11], s3, v39
	v_lshlrev_b32_e32 v56, 2, v0
	v_cndmask_b32_e64 v52, 0, 1.0, vcc
	v_cmp_eq_u32_e32 vcc, 2, v38
	s_waitcnt vmcnt(7)
	v_mfma_f32_4x4x4_16b_f16 a[0:3], v[34:35], v[6:7], 0 cbsz:4
	v_mad_i64_i32 v[6:7], s[8:9], v5, s17, v[2:3]
	s_nop 0
	v_mfma_f32_4x4x4_16b_f16 a[0:3], v[36:37], v[8:9], a[0:3] cbsz:4
	v_lshrrev_b32_e32 v2, 29, v33
	v_mad_i64_i32 v[2:3], s[8:9], v4, s17, v[2:3]
	s_waitcnt vmcnt(6)
	v_mfma_f32_4x4x4_16b_f16 a[0:3], v[34:35], v[10:11], a[0:3] cbsz:4 abid:1
	v_lshlrev_b64 v[6:7], 1, v[6:7]
	v_lshlrev_b64 v[32:33], 1, v[2:3]
	v_mfma_f32_4x4x4_16b_f16 a[0:3], v[36:37], v[12:13], a[0:3] cbsz:4 abid:1
	v_and_b32_e32 v6, -16, v6
	v_and_b32_e32 v32, -16, v32
	s_waitcnt vmcnt(5)
	v_mfma_f32_4x4x4_16b_f16 a[0:3], v[34:35], v[14:15], a[0:3] cbsz:4 abid:2
	v_lshl_add_u64 v[50:51], v[30:31], 0, v[32:33]
	v_cndmask_b32_e64 v53, 0, 1.0, vcc
	v_mfma_f32_4x4x4_16b_f16 a[0:3], v[36:37], v[16:17], a[0:3] cbsz:4 abid:2
	v_cmp_eq_u32_e32 vcc, 3, v38
	s_waitcnt vmcnt(4)
	v_mfma_f32_4x4x4_16b_f16 a[0:3], v[34:35], v[18:19], a[0:3] cbsz:4 abid:3
	v_lshl_add_u64 v[18:19], v[30:31], 0, v[6:7]
	global_load_dwordx4 v[2:5], v[18:19], off
	global_load_dwordx4 v[6:9], v[18:19], off offset:16
	v_mfma_f32_4x4x4_16b_f16 a[0:3], v[36:37], v[20:21], a[0:3] cbsz:4 abid:3
	global_load_dwordx4 v[10:13], v[18:19], off offset:32
	global_load_dwordx4 v[14:17], v[18:19], off offset:48
	s_waitcnt vmcnt(7)
	v_mfma_f32_4x4x4_16b_f16 a[0:3], v[34:35], v[22:23], a[0:3] cbsz:4 abid:4
	v_cndmask_b32_e64 v54, 0, 1.0, vcc
	v_cmp_gt_i32_e32 vcc, s3, v55
	v_mfma_f32_4x4x4_16b_f16 a[0:3], v[36:37], v[24:25], a[0:3] cbsz:4 abid:4
	global_load_dwordx4 v[18:21], v[50:51], off
	global_load_dwordx4 v[22:25], v[50:51], off offset:16
	s_waitcnt vmcnt(8)
	v_mfma_f32_4x4x4_16b_f16 a[0:3], v[34:35], v[26:27], a[0:3] cbsz:4 abid:5
	s_nop 1
	v_mfma_f32_4x4x4_16b_f16 a[0:3], v[36:37], v[28:29], a[0:3] cbsz:4 abid:5
	global_load_dwordx4 v[26:29], v[50:51], off offset:32
	global_load_dwordx4 v[30:33], v[50:51], off offset:48
	s_waitcnt vmcnt(9)
	v_mfma_f32_4x4x4_16b_f16 a[0:3], v[34:35], v[42:43], a[0:3] cbsz:4 abid:6
	v_mov_b32_e32 v42, 0xff7fffff
	v_and_or_b32 v43, v56, 48, v38
	v_mfma_f32_4x4x4_16b_f16 a[0:3], v[36:37], v[44:45], a[0:3] cbsz:4 abid:6
	v_lshlrev_b32_e32 v43, 2, v43
	s_waitcnt vmcnt(8)
	v_mfma_f32_4x4x4_16b_f16 a[0:3], v[34:35], v[46:47], a[0:3] cbsz:4 abid:7
	s_nop 1
	v_mfma_f32_4x4x4_16b_f16 a[0:3], v[36:37], v[48:49], a[0:3] cbsz:4 abid:7
	s_nop 4
	v_accvgpr_read_b32 v35, a1
	v_accvgpr_read_b32 v34, a0
	s_waitcnt lgkmcnt(0)
	v_pk_mul_f32 v[34:35], s[0:1], v[34:35] op_sel_hi:[0,1]
	v_accvgpr_read_b32 v37, a3
	v_accvgpr_read_b32 v36, a2
	v_pk_mul_f32 v[36:37], s[0:1], v[36:37] op_sel_hi:[0,1]
	v_mfma_f32_4x4x1_16b_f32 a[0:3], v34, v41, 0
	v_or_b32_e32 v34, 1, v55
	s_nop 0
	v_mfma_f32_4x4x1_16b_f32 a[0:3], v35, v52, a[0:3]
	v_cmp_gt_i32_e64 s[0:1], s3, v34
	v_or_b32_e32 v35, 2, v55
	v_mfma_f32_4x4x1_16b_f32 a[0:3], v36, v53, a[0:3]
	v_cmp_gt_i32_e64 s[8:9], s3, v35
	s_nop 0
	v_mfma_f32_4x4x1_16b_f32 a[0:3], v37, v54, a[0:3]
	s_nop 3
	v_accvgpr_read_b32 v36, a0
	v_max_f32_e32 v41, v36, v36
	v_accvgpr_read_b32 v37, a1
	v_max_f32_e32 v41, 0xff7fffff, v41
	v_max_f32_e32 v46, v37, v37
	v_cndmask_b32_e32 v41, v42, v41, vcc
	v_accvgpr_read_b32 v44, a2
	v_max_f32_e32 v42, v41, v46
	v_max_f32_e32 v47, v44, v44
	v_cndmask_b32_e64 v34, v41, v42, s[0:1]
	v_accvgpr_read_b32 v45, a3
	v_max_f32_e32 v41, v34, v47
	v_max_f32_e32 v48, v45, v45
	v_cndmask_b32_e64 v34, v34, v41, s[8:9]
	v_max_f32_e32 v35, v34, v48
	v_cndmask_b32_e64 v34, v34, v35, s[10:11]
	;;#ASMSTART
	v_nop
 v_nop
 v_max_f32_dpp v34, v34, v34 row_ror:4
	;;#ASMEND
	s_nop 0
	;;#ASMSTART
	v_nop
 v_nop
 v_max_f32_dpp v34, v34, v34 row_ror:8
	;;#ASMEND
	ds_bpermute_b32 v34, v43, v34
	s_waitcnt lgkmcnt(0)
	;;#ASMSTART
	v_nop
 v_nop
 v_max_f32_dpp v34, v34, v34 row_ror:4
	;;#ASMEND
	s_nop 0
	;;#ASMSTART
	v_nop
 v_nop
 v_max_f32_dpp v41, v34, v34 row_ror:8
	;;#ASMEND
	s_nop 0
	v_sub_f32_e32 v34, v36, v41
	v_sub_f32_e32 v35, v37, v41
	v_mul_f32_e32 v34, 0x3fb8aa3b, v34
	v_sub_f32_e32 v36, v44, v41
	v_mul_f32_e32 v35, 0x3fb8aa3b, v35
	v_exp_f32_e32 v34, v34
	v_sub_f32_e32 v37, v45, v41
	v_mul_f32_e32 v36, 0x3fb8aa3b, v36
	v_exp_f32_e32 v35, v35
	v_mul_f32_e32 v37, 0x3fb8aa3b, v37
	v_exp_f32_e32 v36, v36
	v_exp_f32_e32 v37, v37
	v_cndmask_b32_e32 v34, 0, v34, vcc
	v_cndmask_b32_e64 v35, 0, v35, s[0:1]
	v_add_f32_e32 v39, 0, v34
	v_cndmask_b32_e64 v36, 0, v36, s[8:9]
	v_add_f32_e32 v39, v39, v35
	;; [unrolled: 2-line block ×3, first 2 shown]
	v_add_f32_e32 v39, v39, v37
	;;#ASMSTART
	v_nop
 v_nop
 v_add_f32_dpp v39, v39, v39 row_ror:4
	;;#ASMEND
	v_cmp_gt_u32_e32 vcc, 4, v40
	;;#ASMSTART
	v_nop
 v_nop
 v_add_f32_dpp v39, v39, v39 row_ror:8
	;;#ASMEND
	ds_bpermute_b32 v39, v43, v39
	s_waitcnt lgkmcnt(0)
	;;#ASMSTART
	v_nop
 v_nop
 v_add_f32_dpp v39, v39, v39 row_ror:4
	;;#ASMEND
	s_nop 0
	;;#ASMSTART
	v_nop
 v_nop
 v_add_f32_dpp v39, v39, v39 row_ror:8
	;;#ASMEND
	s_and_saveexec_b64 s[0:1], vcc
	s_cbranch_execz .LBB173_16
; %bb.15:
	v_mul_u32_u24_e32 v42, 20, v1
	v_lshl_add_u32 v42, v38, 2, v42
	v_add_u32_e32 v42, 0x800, v42
	ds_write2_b32 v42, v41, v39 offset0:128 offset1:148
.LBB173_16:
	s_or_b64 exec, exec, s[0:1]
.LBB173_17:
	s_or_b64 exec, exec, s[26:27]
	s_waitcnt lgkmcnt(0)
	s_barrier
	s_load_dword s0, s[24:25], 0x8
	v_lshlrev_b32_e32 v39, 2, v38
	v_add_u32_e32 v39, 0x800, v39
	ds_read2_b32 v[44:45], v39 offset0:128 offset1:133
	ds_read2_b32 v[46:47], v39 offset0:138 offset1:143
	s_mul_i32 s1, s2, s5
	s_waitcnt lgkmcnt(0)
	s_mul_i32 s1, s1, s0
	s_lshl_b32 s0, s1, 1
	s_mov_b32 s1, 0xff7fffff
	v_max3_f32 v42, v44, s1, v45
	v_max3_f32 v42, v42, v46, v47
	v_sub_f32_e32 v43, v44, v42
	v_sub_f32_e32 v44, v45, v42
	ds_read2_b32 v[48:49], v39 offset0:148 offset1:153
	v_mul_f32_e32 v43, 0x3fb8aa3b, v43
	v_mul_f32_e32 v44, 0x3fb8aa3b, v44
	v_exp_f32_e32 v43, v43
	v_exp_f32_e32 v50, v44
	ds_read2_b32 v[44:45], v39 offset0:158 offset1:163
	v_sub_f32_e32 v39, v46, v42
	v_mul_f32_e32 v39, 0x3fb8aa3b, v39
	v_sub_f32_e32 v46, v47, v42
	v_exp_f32_e32 v39, v39
	v_mul_f32_e32 v46, 0x3fb8aa3b, v46
	v_exp_f32_e32 v46, v46
	s_waitcnt lgkmcnt(1)
	v_fma_f32 v43, v43, v48, 0
	v_fmac_f32_e32 v43, v50, v49
	s_waitcnt lgkmcnt(0)
	v_fmac_f32_e32 v43, v39, v44
	s_lshl_b32 s4, s4, 1
	v_fmac_f32_e32 v43, v46, v45
	v_cmp_gt_u32_e32 vcc, 2, v38
	s_and_saveexec_b64 s[2:3], vcc
	s_cbranch_execz .LBB173_19
; %bb.18:
	s_mov_b32 s1, 0
	s_lshl_b64 s[8:9], s[0:1], 2
	s_add_u32 s12, s12, s8
	s_mov_b32 s21, s1
	s_addc_u32 s13, s13, s9
	s_lshl_b64 s[10:11], s[20:21], 2
	s_add_u32 s12, s12, s10
	s_addc_u32 s13, s13, s11
	s_add_u32 s1, s14, s8
	s_addc_u32 s9, s15, s9
	v_or_b32_e32 v38, s4, v38
	s_add_u32 s8, s1, s10
	v_mul_lo_u32 v38, s5, v38
	v_mov_b32_e32 v39, 0
	s_addc_u32 s9, s9, s11
	v_lshlrev_b64 v[38:39], 2, v[38:39]
	v_lshl_add_u64 v[44:45], s[12:13], 0, v[38:39]
	v_lshl_add_u64 v[38:39], s[8:9], 0, v[38:39]
	global_store_dword v[38:39], v42, off
	global_store_dword v[44:45], v43, off
.LBB173_19:
	s_or_b64 exec, exec, s[2:3]
	v_mov_b32_e32 v38, 0
	v_mov_b32_e32 v39, 0
	s_and_saveexec_b64 s[2:3], s[6:7]
	s_cbranch_execz .LBB173_21
; %bb.20:
	v_add_f32_e32 v38, 0x358637bd, v43
	v_div_scale_f32 v39, s[6:7], v38, v38, 1.0
	v_rcp_f32_e32 v43, v39
	v_div_scale_f32 v44, vcc, 1.0, v38, 1.0
	v_sub_f32_e32 v41, v41, v42
	v_fma_f32 v45, -v39, v43, 1.0
	v_fmac_f32_e32 v43, v45, v43
	v_mul_f32_e32 v45, v44, v43
	v_fma_f32 v46, -v39, v45, v44
	v_mul_f32_e32 v41, 0x3fb8aa3b, v41
	v_fmac_f32_e32 v45, v46, v43
	v_exp_f32_e32 v41, v41
	v_fma_f32 v39, -v39, v45, v44
	v_div_fmas_f32 v39, v39, v43, v45
	v_div_fixup_f32 v38, v39, v38, 1.0
	v_mul_f32_e32 v38, v41, v38
	v_pk_mul_f32 v[36:37], v[36:37], v[38:39] op_sel_hi:[1,0]
	v_pk_mul_f32 v[34:35], v[34:35], v[38:39] op_sel_hi:[1,0]
	v_cvt_f16_f32_e32 v36, v36
	v_cvt_f16_f32_e32 v34, v34
	;; [unrolled: 1-line block ×4, first 2 shown]
	s_mov_b32 s1, 0x5040100
	v_pack_b32_f16 v34, v34, v35
	v_pack_b32_f16 v35, v36, v37
	s_waitcnt vmcnt(7)
	s_nop 0
	v_mfma_f32_4x4x4_16b_f16 a[0:3], v[34:35], v[2:3], 0 cbsz:4
	s_nop 1
	v_mfma_f32_4x4x4_16b_f16 a[0:3], v[34:35], v[4:5], a[0:3] cbsz:4 abid:1
	s_waitcnt vmcnt(6)
	s_nop 0
	v_mfma_f32_4x4x4_16b_f16 a[0:3], v[34:35], v[6:7], a[0:3] cbsz:4 abid:2
	s_nop 1
	v_mfma_f32_4x4x4_16b_f16 a[0:3], v[34:35], v[8:9], a[0:3] cbsz:4 abid:3
	s_waitcnt vmcnt(5)
	s_nop 0
	v_mfma_f32_4x4x4_16b_f16 a[0:3], v[34:35], v[10:11], a[0:3] cbsz:4 abid:4
	;; [unrolled: 5-line block ×7, first 2 shown]
	s_nop 1
	v_mfma_f32_4x4x4_16b_f16 a[0:3], v[34:35], v[32:33], a[0:3] cbsz:4 abid:15
	s_nop 4
	v_accvgpr_read_b32 v2, a0
	v_accvgpr_read_b32 v3, a1
	;; [unrolled: 1-line block ×4, first 2 shown]
	v_cvt_f16_f32_e32 v2, v2
	v_cvt_f16_f32_e32 v3, v3
	v_cvt_f16_f32_e32 v4, v4
	v_cvt_f16_f32_e32 v5, v5
	v_perm_b32 v38, v3, v2, s1
	v_perm_b32 v39, v5, v4, s1
.LBB173_21:
	s_or_b64 exec, exec, s[2:3]
	v_lshlrev_b32_e32 v1, 3, v1
	v_mad_u32_u24 v1, v40, 40, v1
	v_cmp_gt_u32_e32 vcc, 64, v0
	ds_write_b64 v1, v[38:39]
	s_waitcnt lgkmcnt(0)
	s_barrier
	s_and_saveexec_b64 s[2:3], vcc
	s_cbranch_execz .LBB173_23
; %bb.22:
	s_mov_b32 s1, 0
	s_lshl_b32 s0, s0, 6
	v_mul_u32_u24_e32 v1, 40, v40
	s_lshl_b64 s[2:3], s[0:1], 1
	s_waitcnt vmcnt(7)
	ds_read2_b64 v[2:5], v1 offset1:1
	s_waitcnt vmcnt(6)
	ds_read2_b64 v[6:9], v1 offset0:2 offset1:3
	s_add_u32 s2, s22, s2
	s_addc_u32 s3, s23, s3
	s_lshl_b32 s0, s20, 6
	s_lshl_b64 s[0:1], s[0:1], 1
	s_add_u32 s0, s2, s0
	s_addc_u32 s1, s3, s1
	s_lshl_b32 s2, s5, 6
	s_waitcnt lgkmcnt(1)
	v_pk_add_f16 v1, v2, 0
	s_mul_i32 s3, s2, s4
	v_pk_add_f16 v1, v1, v4
	v_or_b32_e32 v2, s3, v0
	v_mov_b32_e32 v3, 0
	s_add_i32 s3, s3, s2
	s_waitcnt lgkmcnt(0)
	v_pk_add_f16 v1, v1, v6
	v_lshl_add_u64 v[4:5], v[2:3], 1, s[0:1]
	v_or_b32_e32 v2, s3, v0
	v_pk_add_f16 v6, v1, v8
	v_lshl_add_u64 v[0:1], v[2:3], 1, s[0:1]
	global_store_short v[4:5], v6, off
	global_store_short_d16_hi v[0:1], v6, off
.LBB173_23:
	s_endpgm
	.section	.rodata,"a",@progbits
	.p2align	6, 0x0
	.amdhsa_kernel _Z38paged_attention_ll4mi_QKV_mfma4_kernelIDF16_DF16_LN4vllm18Fp8KVCacheDataTypeE0EDF16_Li32ELi64ELi256ELb0ELi2EEvPKT_PKT0_S7_ifPKiS9_S9_iPKfiiiPfSC_PS2_PT2_iSB_SB_
		.amdhsa_group_segment_fixed_size 2720
		.amdhsa_private_segment_fixed_size 0
		.amdhsa_kernarg_size 400
		.amdhsa_user_sgpr_count 2
		.amdhsa_user_sgpr_dispatch_ptr 0
		.amdhsa_user_sgpr_queue_ptr 0
		.amdhsa_user_sgpr_kernarg_segment_ptr 1
		.amdhsa_user_sgpr_dispatch_id 0
		.amdhsa_user_sgpr_kernarg_preload_length 0
		.amdhsa_user_sgpr_kernarg_preload_offset 0
		.amdhsa_user_sgpr_private_segment_size 0
		.amdhsa_uses_dynamic_stack 0
		.amdhsa_enable_private_segment 0
		.amdhsa_system_sgpr_workgroup_id_x 1
		.amdhsa_system_sgpr_workgroup_id_y 1
		.amdhsa_system_sgpr_workgroup_id_z 1
		.amdhsa_system_sgpr_workgroup_info 0
		.amdhsa_system_vgpr_workitem_id 0
		.amdhsa_next_free_vgpr 64
		.amdhsa_next_free_sgpr 38
		.amdhsa_accum_offset 60
		.amdhsa_reserve_vcc 1
		.amdhsa_float_round_mode_32 0
		.amdhsa_float_round_mode_16_64 0
		.amdhsa_float_denorm_mode_32 3
		.amdhsa_float_denorm_mode_16_64 3
		.amdhsa_dx10_clamp 1
		.amdhsa_ieee_mode 1
		.amdhsa_fp16_overflow 0
		.amdhsa_tg_split 0
		.amdhsa_exception_fp_ieee_invalid_op 0
		.amdhsa_exception_fp_denorm_src 0
		.amdhsa_exception_fp_ieee_div_zero 0
		.amdhsa_exception_fp_ieee_overflow 0
		.amdhsa_exception_fp_ieee_underflow 0
		.amdhsa_exception_fp_ieee_inexact 0
		.amdhsa_exception_int_div_zero 0
	.end_amdhsa_kernel
	.section	.text._Z38paged_attention_ll4mi_QKV_mfma4_kernelIDF16_DF16_LN4vllm18Fp8KVCacheDataTypeE0EDF16_Li32ELi64ELi256ELb0ELi2EEvPKT_PKT0_S7_ifPKiS9_S9_iPKfiiiPfSC_PS2_PT2_iSB_SB_,"axG",@progbits,_Z38paged_attention_ll4mi_QKV_mfma4_kernelIDF16_DF16_LN4vllm18Fp8KVCacheDataTypeE0EDF16_Li32ELi64ELi256ELb0ELi2EEvPKT_PKT0_S7_ifPKiS9_S9_iPKfiiiPfSC_PS2_PT2_iSB_SB_,comdat
.Lfunc_end173:
	.size	_Z38paged_attention_ll4mi_QKV_mfma4_kernelIDF16_DF16_LN4vllm18Fp8KVCacheDataTypeE0EDF16_Li32ELi64ELi256ELb0ELi2EEvPKT_PKT0_S7_ifPKiS9_S9_iPKfiiiPfSC_PS2_PT2_iSB_SB_, .Lfunc_end173-_Z38paged_attention_ll4mi_QKV_mfma4_kernelIDF16_DF16_LN4vllm18Fp8KVCacheDataTypeE0EDF16_Li32ELi64ELi256ELb0ELi2EEvPKT_PKT0_S7_ifPKiS9_S9_iPKfiiiPfSC_PS2_PT2_iSB_SB_
                                        ; -- End function
	.section	.AMDGPU.csdata,"",@progbits
; Kernel info:
; codeLenInByte = 2956
; NumSgprs: 44
; NumVgprs: 57
; NumAgprs: 4
; TotalNumVgprs: 64
; ScratchSize: 0
; MemoryBound: 0
; FloatMode: 240
; IeeeMode: 1
; LDSByteSize: 2720 bytes/workgroup (compile time only)
; SGPRBlocks: 5
; VGPRBlocks: 7
; NumSGPRsForWavesPerEU: 44
; NumVGPRsForWavesPerEU: 64
; AccumOffset: 60
; Occupancy: 8
; WaveLimiterHint : 1
; COMPUTE_PGM_RSRC2:SCRATCH_EN: 0
; COMPUTE_PGM_RSRC2:USER_SGPR: 2
; COMPUTE_PGM_RSRC2:TRAP_HANDLER: 0
; COMPUTE_PGM_RSRC2:TGID_X_EN: 1
; COMPUTE_PGM_RSRC2:TGID_Y_EN: 1
; COMPUTE_PGM_RSRC2:TGID_Z_EN: 1
; COMPUTE_PGM_RSRC2:TIDIG_COMP_CNT: 0
; COMPUTE_PGM_RSRC3_GFX90A:ACCUM_OFFSET: 14
; COMPUTE_PGM_RSRC3_GFX90A:TG_SPLIT: 0
	.section	.text._Z38paged_attention_ll4mi_QKV_mfma4_kernelIDF16_DF16_LN4vllm18Fp8KVCacheDataTypeE0EDF16_Li32ELi64ELi256ELb0ELi3EEvPKT_PKT0_S7_ifPKiS9_S9_iPKfiiiPfSC_PS2_PT2_iSB_SB_,"axG",@progbits,_Z38paged_attention_ll4mi_QKV_mfma4_kernelIDF16_DF16_LN4vllm18Fp8KVCacheDataTypeE0EDF16_Li32ELi64ELi256ELb0ELi3EEvPKT_PKT0_S7_ifPKiS9_S9_iPKfiiiPfSC_PS2_PT2_iSB_SB_,comdat
	.protected	_Z38paged_attention_ll4mi_QKV_mfma4_kernelIDF16_DF16_LN4vllm18Fp8KVCacheDataTypeE0EDF16_Li32ELi64ELi256ELb0ELi3EEvPKT_PKT0_S7_ifPKiS9_S9_iPKfiiiPfSC_PS2_PT2_iSB_SB_ ; -- Begin function _Z38paged_attention_ll4mi_QKV_mfma4_kernelIDF16_DF16_LN4vllm18Fp8KVCacheDataTypeE0EDF16_Li32ELi64ELi256ELb0ELi3EEvPKT_PKT0_S7_ifPKiS9_S9_iPKfiiiPfSC_PS2_PT2_iSB_SB_
	.globl	_Z38paged_attention_ll4mi_QKV_mfma4_kernelIDF16_DF16_LN4vllm18Fp8KVCacheDataTypeE0EDF16_Li32ELi64ELi256ELb0ELi3EEvPKT_PKT0_S7_ifPKiS9_S9_iPKfiiiPfSC_PS2_PT2_iSB_SB_
	.p2align	8
	.type	_Z38paged_attention_ll4mi_QKV_mfma4_kernelIDF16_DF16_LN4vllm18Fp8KVCacheDataTypeE0EDF16_Li32ELi64ELi256ELb0ELi3EEvPKT_PKT0_S7_ifPKiS9_S9_iPKfiiiPfSC_PS2_PT2_iSB_SB_,@function
_Z38paged_attention_ll4mi_QKV_mfma4_kernelIDF16_DF16_LN4vllm18Fp8KVCacheDataTypeE0EDF16_Li32ELi64ELi256ELb0ELi3EEvPKT_PKT0_S7_ifPKiS9_S9_iPKfiiiPfSC_PS2_PT2_iSB_SB_: ; @_Z38paged_attention_ll4mi_QKV_mfma4_kernelIDF16_DF16_LN4vllm18Fp8KVCacheDataTypeE0EDF16_Li32ELi64ELi256ELb0ELi3EEvPKT_PKT0_S7_ifPKiS9_S9_iPKfiiiPfSC_PS2_PT2_iSB_SB_
; %bb.0:
	s_load_dwordx2 s[16:17], s[0:1], 0x30
	s_mov_b32 s20, s3
	s_mov_b64 s[6:7], 0
	s_waitcnt lgkmcnt(0)
	s_cmp_lg_u64 s[16:17], 0
	s_cselect_b64 s[18:19], -1, 0
	s_and_b64 vcc, exec, s[18:19]
	s_cbranch_vccz .LBB174_10
; %bb.1:
	s_add_i32 s8, s2, 1
	s_mov_b32 s9, 0
	s_lshl_b64 s[10:11], s[8:9], 2
	s_add_u32 s10, s16, s10
	s_mov_b32 s3, s9
	s_addc_u32 s11, s17, s11
	s_lshl_b64 s[8:9], s[2:3], 2
	s_add_u32 s8, s16, s8
	s_addc_u32 s9, s17, s9
	s_load_dword s5, s[10:11], 0x0
	s_load_dword s12, s[8:9], 0x0
	s_waitcnt lgkmcnt(0)
	s_sub_i32 s5, s5, s12
	s_cmp_eq_u32 s5, 1
	s_cselect_b64 s[8:9], -1, 0
	s_andn2_b64 vcc, exec, s[6:7]
	s_cbranch_vccnz .LBB174_3
.LBB174_2:
	s_mov_b32 s3, 0
	s_mov_b64 s[8:9], -1
.LBB174_3:
	s_andn2_b64 vcc, exec, s[8:9]
	s_cbranch_vccnz .LBB174_23
; %bb.4:
	s_load_dword s5, s[0:1], 0x9c
	s_load_dwordx2 s[6:7], s[0:1], 0x28
	s_add_u32 s24, s0, 0x90
	s_addc_u32 s25, s1, 0
	s_lshl_b64 s[28:29], s[2:3], 2
	s_waitcnt lgkmcnt(0)
	s_and_b32 s5, s5, 0xffff
	s_add_u32 s6, s6, s28
	s_addc_u32 s7, s7, s29
	s_load_dword s3, s[6:7], 0x0
	s_mul_i32 s10, s20, s5
	s_waitcnt lgkmcnt(0)
	s_cmp_ge_i32 s10, s3
	s_cbranch_scc1 .LBB174_23
; %bb.5:
	v_and_b32_e32 v2, 0xc0, v0
	v_add_u32_e32 v2, s10, v2
	v_lshrrev_b32_e32 v1, 6, v0
	v_cmp_gt_i32_e64 s[6:7], s3, v2
	v_cmp_le_i32_e32 vcc, s3, v2
                                        ; implicit-def: $sgpr21
                                        ; implicit-def: $sgpr11
	s_and_saveexec_b64 s[8:9], vcc
	s_xor_b64 s[8:9], exec, s[8:9]
	s_cbranch_execz .LBB174_7
; %bb.6:
	v_mul_u32_u24_e32 v2, 20, v1
	v_or_b32_e32 v2, 0xa00, v2
	v_mov_b32_e32 v3, 0xa50
	v_mov_b32_e32 v4, 0xff7fffff
	v_mad_u32_u24 v3, v1, 20, v3
	ds_write2_b32 v2, v4, v4 offset1:1
	v_mov_b32_e32 v2, 0
	ds_write2_b32 v3, v2, v2 offset1:1
	v_mov_b32_e32 v3, 0xa08
	s_mov_b32 s11, 0xff7fffff
	s_mov_b32 s21, 0
	v_mad_u32_u24 v3, v1, 20, v3
	v_mov_b32_e32 v5, 0xa58
	v_mad_u32_u24 v5, v1, 20, v5
	ds_write2_b32 v3, v4, v4 offset1:1
	ds_write2_b32 v5, v2, v2 offset1:1
                                        ; implicit-def: $vgpr2
.LBB174_7:
	s_or_saveexec_b64 s[26:27], s[8:9]
	s_load_dwordx2 s[22:23], s[0:1], 0x68
	s_load_dwordx4 s[12:15], s[0:1], 0x58
	s_load_dword s5, s[24:25], 0x4
	v_and_b32_e32 v40, 63, v0
	v_and_b32_e32 v38, 3, v0
	v_mov_b32_e32 v37, s21
	v_mov_b32_e32 v41, s11
	;; [unrolled: 1-line block ×5, first 2 shown]
                                        ; implicit-def: $vgpr3
                                        ; implicit-def: $vgpr7
                                        ; implicit-def: $vgpr11
                                        ; implicit-def: $vgpr15
                                        ; implicit-def: $vgpr19
                                        ; implicit-def: $vgpr23
                                        ; implicit-def: $vgpr27
                                        ; implicit-def: $vgpr31
	s_xor_b64 exec, exec, s[26:27]
	s_cbranch_execz .LBB174_17
; %bb.8:
	s_add_i32 s21, s3, 31
	s_load_dwordx2 s[8:9], s[0:1], 0x20
	s_load_dword s11, s[0:1], 0x38
	s_ashr_i32 s30, s21, 31
	s_lshr_b32 s30, s30, 27
	v_add_u32_e32 v39, s10, v0
	s_add_i32 s21, s21, s30
	v_ashrrev_i32_e32 v3, 31, v39
	s_ashr_i32 s21, s21, 5
	v_lshrrev_b32_e32 v3, 27, v3
	s_add_i32 s21, s21, -1
	v_add_u32_e32 v3, v39, v3
	s_waitcnt lgkmcnt(0)
	s_mul_i32 s30, s2, s11
	s_mov_b32 s31, 0
	v_ashrrev_i32_e32 v3, 5, v3
	v_mov_b32_e32 v4, s21
	v_cmp_gt_i32_e32 vcc, s3, v39
	s_lshl_b64 s[30:31], s[30:31], 2
	s_add_u32 s8, s8, s30
	v_cndmask_b32_e32 v4, v4, v3, vcc
	v_ashrrev_i32_e32 v3, 31, v2
	v_lshrrev_b32_e32 v3, 27, v3
	s_addc_u32 s9, s9, s31
	v_ashrrev_i32_e32 v5, 31, v4
	v_add_u32_e32 v2, v2, v3
	v_lshl_add_u64 v[6:7], v[4:5], 2, s[8:9]
	v_ashrrev_i32_e32 v4, 5, v2
	v_min_i32_e32 v2, s21, v4
	v_ashrrev_i32_e32 v3, 31, v2
	v_lshl_add_u64 v[8:9], v[2:3], 2, s[8:9]
	v_add_u32_e32 v2, 1, v4
	v_min_i32_e32 v2, s21, v2
	v_ashrrev_i32_e32 v3, 31, v2
	v_lshl_add_u64 v[10:11], v[2:3], 2, s[8:9]
	global_load_dword v2, v[6:7], off
	global_load_dword v5, v[8:9], off
	;; [unrolled: 1-line block ×3, first 2 shown]
	s_load_dwordx4 s[8:11], s[0:1], 0x8
	s_andn2_b64 vcc, exec, s[18:19]
	s_cbranch_vccnz .LBB174_11
; %bb.9:
	s_add_u32 s16, s16, s28
	s_addc_u32 s17, s17, s29
	s_load_dword s21, s[16:17], 0x0
	s_branch .LBB174_12
.LBB174_10:
	s_mov_b64 s[8:9], 0
	s_branch .LBB174_2
.LBB174_11:
	s_mov_b32 s21, s2
.LBB174_12:
	s_load_dwordx4 s[16:19], s[0:1], 0x48
	v_cmp_ne_u32_e32 vcc, 3, v38
	s_mov_b32 s29, 0
	v_mov_b32_e32 v41, 1.0
	v_mov_b32_e32 v3, 0
	v_mov_b32_e32 v34, 0
	v_mov_b32_e32 v35, 0
	v_mov_b32_e32 v36, 0
	v_mov_b32_e32 v37, 0
	s_and_saveexec_b64 s[30:31], vcc
	s_cbranch_execz .LBB174_14
; %bb.13:
	s_load_dwordx2 s[34:35], s[0:1], 0x0
	s_waitcnt lgkmcnt(0)
	s_ashr_i32 s19, s16, 31
	s_mul_hi_u32 s28, s21, s16
	s_mul_i32 s19, s21, s19
	s_add_i32 s37, s28, s19
	s_mul_i32 s36, s21, s16
	s_lshl_b64 s[36:37], s[36:37], 1
	s_add_u32 s16, s34, s36
	s_mul_i32 s28, s4, 0xc0
	s_addc_u32 s19, s35, s37
	s_lshl_b64 s[34:35], s[28:29], 1
	s_add_u32 s34, s16, s34
	v_lshlrev_b32_e32 v6, 3, v38
	v_lshrrev_b32_e32 v7, 2, v40
	s_addc_u32 s35, s19, s35
	v_add_lshl_u32 v6, v6, v7, 4
	global_load_dwordx4 v[34:37], v6, s[34:35]
	v_mov_b32_e32 v41, 0
.LBB174_14:
	s_or_b64 exec, exec, s[30:31]
	s_waitcnt lgkmcnt(0)
	s_mul_i32 s28, s4, s18
	s_lshl_b64 s[18:19], s[28:29], 1
	s_add_u32 s8, s18, s8
	s_waitcnt vmcnt(2)
	v_mad_i64_i32 v[6:7], s[30:31], v2, s17, 0
	s_addc_u32 s9, s19, s9
	v_and_b32_e32 v2, 31, v0
	v_lshl_add_u64 v[6:7], v[6:7], 1, s[8:9]
	v_lshlrev_b32_e32 v2, 4, v2
	v_lshl_add_u64 v[30:31], v[6:7], 0, v[2:3]
	global_load_dwordx4 v[6:9], v[30:31], off
	global_load_dwordx4 v[10:13], v[30:31], off offset:512
	global_load_dwordx4 v[14:17], v[30:31], off offset:1024
	;; [unrolled: 1-line block ×7, first 2 shown]
	s_waitcnt vmcnt(9)
	v_mul_hi_i32 v2, v5, s17
	s_add_u32 s8, s10, s18
	s_waitcnt vmcnt(8)
	v_mul_hi_i32 v30, v4, s17
	v_ashrrev_i32_e32 v32, 31, v2
	s_addc_u32 s9, s11, s19
	v_lshlrev_b32_e32 v2, 6, v40
	v_ashrrev_i32_e32 v33, 31, v30
	v_lshl_add_u64 v[30:31], s[8:9], 0, v[2:3]
	v_lshrrev_b32_e32 v2, 29, v32
	s_load_dword s0, s[0:1], 0x1c
	v_cmp_eq_u32_e32 vcc, 0, v38
	v_and_b32_e32 v55, -4, v39
	v_or_b32_e32 v39, 3, v39
	v_cndmask_b32_e64 v52, 0, 1.0, vcc
	v_cmp_eq_u32_e32 vcc, 1, v38
	v_cmp_gt_i32_e64 s[10:11], s3, v39
	v_lshlrev_b32_e32 v56, 2, v0
	v_cndmask_b32_e64 v53, 0, 1.0, vcc
	v_cmp_eq_u32_e32 vcc, 2, v38
	s_waitcnt vmcnt(7)
	v_mfma_f32_4x4x4_16b_f16 a[0:3], v[34:35], v[6:7], 0 cbsz:4
	v_mad_i64_i32 v[6:7], s[8:9], v5, s17, v[2:3]
	s_nop 0
	v_mfma_f32_4x4x4_16b_f16 a[0:3], v[36:37], v[8:9], a[0:3] cbsz:4
	v_lshrrev_b32_e32 v2, 29, v33
	v_mad_i64_i32 v[2:3], s[8:9], v4, s17, v[2:3]
	s_waitcnt vmcnt(6)
	v_mfma_f32_4x4x4_16b_f16 a[0:3], v[34:35], v[10:11], a[0:3] cbsz:4 abid:1
	v_lshlrev_b64 v[6:7], 1, v[6:7]
	v_lshlrev_b64 v[32:33], 1, v[2:3]
	v_mfma_f32_4x4x4_16b_f16 a[0:3], v[36:37], v[12:13], a[0:3] cbsz:4 abid:1
	v_and_b32_e32 v6, -16, v6
	v_and_b32_e32 v32, -16, v32
	s_waitcnt vmcnt(5)
	v_mfma_f32_4x4x4_16b_f16 a[0:3], v[34:35], v[14:15], a[0:3] cbsz:4 abid:2
	v_lshl_add_u64 v[50:51], v[30:31], 0, v[32:33]
	v_cndmask_b32_e64 v54, 0, 1.0, vcc
	v_mfma_f32_4x4x4_16b_f16 a[0:3], v[36:37], v[16:17], a[0:3] cbsz:4 abid:2
	v_cmp_gt_i32_e32 vcc, s3, v55
	s_waitcnt vmcnt(4)
	v_mfma_f32_4x4x4_16b_f16 a[0:3], v[34:35], v[18:19], a[0:3] cbsz:4 abid:3
	v_lshl_add_u64 v[18:19], v[30:31], 0, v[6:7]
	global_load_dwordx4 v[2:5], v[18:19], off
	global_load_dwordx4 v[6:9], v[18:19], off offset:16
	v_mfma_f32_4x4x4_16b_f16 a[0:3], v[36:37], v[20:21], a[0:3] cbsz:4 abid:3
	global_load_dwordx4 v[10:13], v[18:19], off offset:32
	global_load_dwordx4 v[14:17], v[18:19], off offset:48
	s_waitcnt vmcnt(7)
	v_mfma_f32_4x4x4_16b_f16 a[0:3], v[34:35], v[22:23], a[0:3] cbsz:4 abid:4
	s_nop 1
	v_mfma_f32_4x4x4_16b_f16 a[0:3], v[36:37], v[24:25], a[0:3] cbsz:4 abid:4
	global_load_dwordx4 v[18:21], v[50:51], off
	global_load_dwordx4 v[22:25], v[50:51], off offset:16
	s_waitcnt vmcnt(8)
	v_mfma_f32_4x4x4_16b_f16 a[0:3], v[34:35], v[26:27], a[0:3] cbsz:4 abid:5
	s_nop 1
	v_mfma_f32_4x4x4_16b_f16 a[0:3], v[36:37], v[28:29], a[0:3] cbsz:4 abid:5
	global_load_dwordx4 v[26:29], v[50:51], off offset:32
	global_load_dwordx4 v[30:33], v[50:51], off offset:48
	s_waitcnt vmcnt(9)
	v_mfma_f32_4x4x4_16b_f16 a[0:3], v[34:35], v[42:43], a[0:3] cbsz:4 abid:6
	v_mov_b32_e32 v42, 0xff7fffff
	v_and_or_b32 v43, v56, 48, v38
	v_mfma_f32_4x4x4_16b_f16 a[0:3], v[36:37], v[44:45], a[0:3] cbsz:4 abid:6
	v_lshlrev_b32_e32 v43, 2, v43
	s_waitcnt vmcnt(8)
	v_mfma_f32_4x4x4_16b_f16 a[0:3], v[34:35], v[46:47], a[0:3] cbsz:4 abid:7
	s_nop 1
	v_mfma_f32_4x4x4_16b_f16 a[0:3], v[36:37], v[48:49], a[0:3] cbsz:4 abid:7
	s_nop 4
	v_accvgpr_read_b32 v35, a1
	v_accvgpr_read_b32 v34, a0
	s_waitcnt lgkmcnt(0)
	v_pk_mul_f32 v[34:35], s[0:1], v[34:35] op_sel_hi:[0,1]
	v_accvgpr_read_b32 v37, a3
	v_accvgpr_read_b32 v36, a2
	v_pk_mul_f32 v[36:37], s[0:1], v[36:37] op_sel_hi:[0,1]
	v_mfma_f32_4x4x1_16b_f32 a[0:3], v34, v52, 0
	v_or_b32_e32 v34, 1, v55
	s_nop 0
	v_mfma_f32_4x4x1_16b_f32 a[0:3], v35, v53, a[0:3]
	v_cmp_gt_i32_e64 s[0:1], s3, v34
	v_or_b32_e32 v35, 2, v55
	v_mfma_f32_4x4x1_16b_f32 a[0:3], v36, v54, a[0:3]
	v_cmp_gt_i32_e64 s[8:9], s3, v35
	s_nop 0
	v_mfma_f32_4x4x1_16b_f32 a[0:3], v37, v41, a[0:3]
	s_nop 3
	v_accvgpr_read_b32 v36, a0
	v_max_f32_e32 v41, v36, v36
	v_accvgpr_read_b32 v37, a1
	v_max_f32_e32 v41, 0xff7fffff, v41
	v_max_f32_e32 v46, v37, v37
	v_cndmask_b32_e32 v41, v42, v41, vcc
	v_accvgpr_read_b32 v44, a2
	v_max_f32_e32 v42, v41, v46
	v_max_f32_e32 v47, v44, v44
	v_cndmask_b32_e64 v34, v41, v42, s[0:1]
	v_accvgpr_read_b32 v45, a3
	v_max_f32_e32 v41, v34, v47
	v_max_f32_e32 v48, v45, v45
	v_cndmask_b32_e64 v34, v34, v41, s[8:9]
	v_max_f32_e32 v35, v34, v48
	v_cndmask_b32_e64 v34, v34, v35, s[10:11]
	;;#ASMSTART
	v_nop
 v_nop
 v_max_f32_dpp v34, v34, v34 row_ror:4
	;;#ASMEND
	s_nop 0
	;;#ASMSTART
	v_nop
 v_nop
 v_max_f32_dpp v34, v34, v34 row_ror:8
	;;#ASMEND
	ds_bpermute_b32 v34, v43, v34
	s_waitcnt lgkmcnt(0)
	;;#ASMSTART
	v_nop
 v_nop
 v_max_f32_dpp v34, v34, v34 row_ror:4
	;;#ASMEND
	s_nop 0
	;;#ASMSTART
	v_nop
 v_nop
 v_max_f32_dpp v41, v34, v34 row_ror:8
	;;#ASMEND
	s_nop 0
	v_sub_f32_e32 v34, v36, v41
	v_sub_f32_e32 v35, v37, v41
	v_mul_f32_e32 v34, 0x3fb8aa3b, v34
	v_sub_f32_e32 v36, v44, v41
	v_mul_f32_e32 v35, 0x3fb8aa3b, v35
	v_exp_f32_e32 v34, v34
	v_sub_f32_e32 v37, v45, v41
	v_mul_f32_e32 v36, 0x3fb8aa3b, v36
	v_exp_f32_e32 v35, v35
	v_mul_f32_e32 v37, 0x3fb8aa3b, v37
	v_exp_f32_e32 v36, v36
	v_exp_f32_e32 v37, v37
	v_cndmask_b32_e32 v34, 0, v34, vcc
	v_cndmask_b32_e64 v35, 0, v35, s[0:1]
	v_add_f32_e32 v39, 0, v34
	v_cndmask_b32_e64 v36, 0, v36, s[8:9]
	v_add_f32_e32 v39, v39, v35
	;; [unrolled: 2-line block ×3, first 2 shown]
	v_add_f32_e32 v39, v39, v37
	;;#ASMSTART
	v_nop
 v_nop
 v_add_f32_dpp v39, v39, v39 row_ror:4
	;;#ASMEND
	v_cmp_gt_u32_e32 vcc, 4, v40
	;;#ASMSTART
	v_nop
 v_nop
 v_add_f32_dpp v39, v39, v39 row_ror:8
	;;#ASMEND
	ds_bpermute_b32 v39, v43, v39
	s_waitcnt lgkmcnt(0)
	;;#ASMSTART
	v_nop
 v_nop
 v_add_f32_dpp v39, v39, v39 row_ror:4
	;;#ASMEND
	s_nop 0
	;;#ASMSTART
	v_nop
 v_nop
 v_add_f32_dpp v39, v39, v39 row_ror:8
	;;#ASMEND
	s_and_saveexec_b64 s[0:1], vcc
	s_cbranch_execz .LBB174_16
; %bb.15:
	v_mul_u32_u24_e32 v42, 20, v1
	v_lshl_add_u32 v42, v38, 2, v42
	v_add_u32_e32 v42, 0x800, v42
	ds_write2_b32 v42, v41, v39 offset0:128 offset1:148
.LBB174_16:
	s_or_b64 exec, exec, s[0:1]
.LBB174_17:
	s_or_b64 exec, exec, s[26:27]
	s_waitcnt lgkmcnt(0)
	s_barrier
	s_load_dword s0, s[24:25], 0x8
	v_lshlrev_b32_e32 v39, 2, v38
	v_add_u32_e32 v39, 0x800, v39
	ds_read2_b32 v[44:45], v39 offset0:128 offset1:133
	ds_read2_b32 v[46:47], v39 offset0:138 offset1:143
	s_mul_i32 s1, s2, s5
	s_waitcnt lgkmcnt(0)
	s_mul_i32 s0, s1, s0
	s_mov_b32 s1, 0xff7fffff
	v_max3_f32 v42, v44, s1, v45
	v_max3_f32 v42, v42, v46, v47
	v_sub_f32_e32 v43, v44, v42
	v_sub_f32_e32 v44, v45, v42
	ds_read2_b32 v[48:49], v39 offset0:148 offset1:153
	v_mul_f32_e32 v43, 0x3fb8aa3b, v43
	v_mul_f32_e32 v44, 0x3fb8aa3b, v44
	v_exp_f32_e32 v43, v43
	v_exp_f32_e32 v50, v44
	ds_read2_b32 v[44:45], v39 offset0:158 offset1:163
	v_sub_f32_e32 v39, v46, v42
	v_mul_f32_e32 v39, 0x3fb8aa3b, v39
	v_sub_f32_e32 v46, v47, v42
	v_exp_f32_e32 v39, v39
	v_mul_f32_e32 v46, 0x3fb8aa3b, v46
	v_exp_f32_e32 v46, v46
	s_waitcnt lgkmcnt(1)
	v_fma_f32 v43, v43, v48, 0
	v_fmac_f32_e32 v43, v50, v49
	s_waitcnt lgkmcnt(0)
	v_fmac_f32_e32 v43, v39, v44
	s_mul_i32 s4, s4, 3
	s_mul_i32 s0, s0, 3
	v_fmac_f32_e32 v43, v46, v45
	v_cmp_ne_u32_e32 vcc, 3, v38
	s_and_saveexec_b64 s[2:3], vcc
	s_cbranch_execz .LBB174_19
; %bb.18:
	s_mov_b32 s1, 0
	s_lshl_b64 s[8:9], s[0:1], 2
	s_add_u32 s12, s12, s8
	s_mov_b32 s21, s1
	s_addc_u32 s13, s13, s9
	s_lshl_b64 s[10:11], s[20:21], 2
	s_add_u32 s12, s12, s10
	s_addc_u32 s13, s13, s11
	s_add_u32 s1, s14, s8
	s_addc_u32 s9, s15, s9
	v_add_u32_e32 v38, s4, v38
	s_add_u32 s8, s1, s10
	v_mul_lo_u32 v38, s5, v38
	v_mov_b32_e32 v39, 0
	s_addc_u32 s9, s9, s11
	v_lshlrev_b64 v[38:39], 2, v[38:39]
	v_lshl_add_u64 v[44:45], s[12:13], 0, v[38:39]
	v_lshl_add_u64 v[38:39], s[8:9], 0, v[38:39]
	global_store_dword v[38:39], v42, off
	global_store_dword v[44:45], v43, off
.LBB174_19:
	s_or_b64 exec, exec, s[2:3]
	v_mov_b32_e32 v38, 0
	v_mov_b32_e32 v39, 0
	s_and_saveexec_b64 s[2:3], s[6:7]
	s_cbranch_execz .LBB174_21
; %bb.20:
	v_add_f32_e32 v38, 0x358637bd, v43
	v_div_scale_f32 v39, s[6:7], v38, v38, 1.0
	v_rcp_f32_e32 v43, v39
	v_div_scale_f32 v44, vcc, 1.0, v38, 1.0
	v_sub_f32_e32 v41, v41, v42
	v_fma_f32 v45, -v39, v43, 1.0
	v_fmac_f32_e32 v43, v45, v43
	v_mul_f32_e32 v45, v44, v43
	v_fma_f32 v46, -v39, v45, v44
	v_mul_f32_e32 v41, 0x3fb8aa3b, v41
	v_fmac_f32_e32 v45, v46, v43
	v_exp_f32_e32 v41, v41
	v_fma_f32 v39, -v39, v45, v44
	v_div_fmas_f32 v39, v39, v43, v45
	v_div_fixup_f32 v38, v39, v38, 1.0
	v_mul_f32_e32 v38, v41, v38
	v_pk_mul_f32 v[36:37], v[36:37], v[38:39] op_sel_hi:[1,0]
	v_pk_mul_f32 v[34:35], v[34:35], v[38:39] op_sel_hi:[1,0]
	v_cvt_f16_f32_e32 v36, v36
	v_cvt_f16_f32_e32 v34, v34
	;; [unrolled: 1-line block ×4, first 2 shown]
	s_mov_b32 s1, 0x5040100
	v_pack_b32_f16 v34, v34, v35
	v_pack_b32_f16 v35, v36, v37
	s_waitcnt vmcnt(7)
	s_nop 0
	v_mfma_f32_4x4x4_16b_f16 a[0:3], v[34:35], v[2:3], 0 cbsz:4
	s_nop 1
	v_mfma_f32_4x4x4_16b_f16 a[0:3], v[34:35], v[4:5], a[0:3] cbsz:4 abid:1
	s_waitcnt vmcnt(6)
	s_nop 0
	v_mfma_f32_4x4x4_16b_f16 a[0:3], v[34:35], v[6:7], a[0:3] cbsz:4 abid:2
	s_nop 1
	v_mfma_f32_4x4x4_16b_f16 a[0:3], v[34:35], v[8:9], a[0:3] cbsz:4 abid:3
	s_waitcnt vmcnt(5)
	s_nop 0
	v_mfma_f32_4x4x4_16b_f16 a[0:3], v[34:35], v[10:11], a[0:3] cbsz:4 abid:4
	;; [unrolled: 5-line block ×7, first 2 shown]
	s_nop 1
	v_mfma_f32_4x4x4_16b_f16 a[0:3], v[34:35], v[32:33], a[0:3] cbsz:4 abid:15
	s_nop 4
	v_accvgpr_read_b32 v2, a0
	v_accvgpr_read_b32 v3, a1
	;; [unrolled: 1-line block ×4, first 2 shown]
	v_cvt_f16_f32_e32 v2, v2
	v_cvt_f16_f32_e32 v3, v3
	;; [unrolled: 1-line block ×4, first 2 shown]
	v_perm_b32 v38, v3, v2, s1
	v_perm_b32 v39, v5, v4, s1
.LBB174_21:
	s_or_b64 exec, exec, s[2:3]
	v_lshlrev_b32_e32 v1, 3, v1
	v_mad_u32_u24 v1, v40, 40, v1
	v_cmp_gt_u32_e32 vcc, 64, v0
	ds_write_b64 v1, v[38:39]
	s_waitcnt lgkmcnt(0)
	s_barrier
	s_and_saveexec_b64 s[2:3], vcc
	s_cbranch_execz .LBB174_23
; %bb.22:
	v_mul_u32_u24_e32 v1, 40, v40
	s_waitcnt vmcnt(7)
	ds_read2_b64 v[2:5], v1 offset1:1
	s_waitcnt vmcnt(6)
	ds_read2_b64 v[6:9], v1 offset0:2 offset1:3
	s_mov_b32 s1, 0
	s_lshl_b32 s0, s0, 6
	s_lshl_b64 s[2:3], s[0:1], 1
	s_add_u32 s2, s22, s2
	s_addc_u32 s3, s23, s3
	s_lshl_b32 s0, s20, 6
	s_lshl_b64 s[0:1], s[0:1], 1
	s_waitcnt lgkmcnt(1)
	v_pk_add_f16 v1, v2, 0
	v_pk_add_f16 v2, v3, 0
	s_add_u32 s0, s2, s0
	v_pk_add_f16 v2, v2, v5
	s_addc_u32 s1, s3, s1
	s_lshl_b32 s2, s5, 6
	v_pk_add_f16 v1, v1, v4
	s_waitcnt lgkmcnt(0)
	v_pk_add_f16 v2, v2, v7
	s_mul_i32 s3, s2, s4
	v_pk_add_f16 v1, v1, v6
	v_pk_add_f16 v6, v2, v9
	v_or_b32_e32 v2, s3, v0
	v_mov_b32_e32 v3, 0
	s_add_i32 s3, s3, s2
	v_pk_add_f16 v1, v1, v8
	v_lshl_add_u64 v[4:5], v[2:3], 1, s[0:1]
	v_or_b32_e32 v2, s3, v0
	s_add_i32 s3, s3, s2
	global_store_short v[4:5], v1, off
	v_lshl_add_u64 v[4:5], v[2:3], 1, s[0:1]
	v_or_b32_e32 v2, s3, v0
	global_store_short_d16_hi v[4:5], v1, off
	v_lshl_add_u64 v[0:1], v[2:3], 1, s[0:1]
	global_store_short v[0:1], v6, off
.LBB174_23:
	s_endpgm
	.section	.rodata,"a",@progbits
	.p2align	6, 0x0
	.amdhsa_kernel _Z38paged_attention_ll4mi_QKV_mfma4_kernelIDF16_DF16_LN4vllm18Fp8KVCacheDataTypeE0EDF16_Li32ELi64ELi256ELb0ELi3EEvPKT_PKT0_S7_ifPKiS9_S9_iPKfiiiPfSC_PS2_PT2_iSB_SB_
		.amdhsa_group_segment_fixed_size 2720
		.amdhsa_private_segment_fixed_size 0
		.amdhsa_kernarg_size 400
		.amdhsa_user_sgpr_count 2
		.amdhsa_user_sgpr_dispatch_ptr 0
		.amdhsa_user_sgpr_queue_ptr 0
		.amdhsa_user_sgpr_kernarg_segment_ptr 1
		.amdhsa_user_sgpr_dispatch_id 0
		.amdhsa_user_sgpr_kernarg_preload_length 0
		.amdhsa_user_sgpr_kernarg_preload_offset 0
		.amdhsa_user_sgpr_private_segment_size 0
		.amdhsa_uses_dynamic_stack 0
		.amdhsa_enable_private_segment 0
		.amdhsa_system_sgpr_workgroup_id_x 1
		.amdhsa_system_sgpr_workgroup_id_y 1
		.amdhsa_system_sgpr_workgroup_id_z 1
		.amdhsa_system_sgpr_workgroup_info 0
		.amdhsa_system_vgpr_workitem_id 0
		.amdhsa_next_free_vgpr 64
		.amdhsa_next_free_sgpr 38
		.amdhsa_accum_offset 60
		.amdhsa_reserve_vcc 1
		.amdhsa_float_round_mode_32 0
		.amdhsa_float_round_mode_16_64 0
		.amdhsa_float_denorm_mode_32 3
		.amdhsa_float_denorm_mode_16_64 3
		.amdhsa_dx10_clamp 1
		.amdhsa_ieee_mode 1
		.amdhsa_fp16_overflow 0
		.amdhsa_tg_split 0
		.amdhsa_exception_fp_ieee_invalid_op 0
		.amdhsa_exception_fp_denorm_src 0
		.amdhsa_exception_fp_ieee_div_zero 0
		.amdhsa_exception_fp_ieee_overflow 0
		.amdhsa_exception_fp_ieee_underflow 0
		.amdhsa_exception_fp_ieee_inexact 0
		.amdhsa_exception_int_div_zero 0
	.end_amdhsa_kernel
	.section	.text._Z38paged_attention_ll4mi_QKV_mfma4_kernelIDF16_DF16_LN4vllm18Fp8KVCacheDataTypeE0EDF16_Li32ELi64ELi256ELb0ELi3EEvPKT_PKT0_S7_ifPKiS9_S9_iPKfiiiPfSC_PS2_PT2_iSB_SB_,"axG",@progbits,_Z38paged_attention_ll4mi_QKV_mfma4_kernelIDF16_DF16_LN4vllm18Fp8KVCacheDataTypeE0EDF16_Li32ELi64ELi256ELb0ELi3EEvPKT_PKT0_S7_ifPKiS9_S9_iPKfiiiPfSC_PS2_PT2_iSB_SB_,comdat
.Lfunc_end174:
	.size	_Z38paged_attention_ll4mi_QKV_mfma4_kernelIDF16_DF16_LN4vllm18Fp8KVCacheDataTypeE0EDF16_Li32ELi64ELi256ELb0ELi3EEvPKT_PKT0_S7_ifPKiS9_S9_iPKfiiiPfSC_PS2_PT2_iSB_SB_, .Lfunc_end174-_Z38paged_attention_ll4mi_QKV_mfma4_kernelIDF16_DF16_LN4vllm18Fp8KVCacheDataTypeE0EDF16_Li32ELi64ELi256ELb0ELi3EEvPKT_PKT0_S7_ifPKiS9_S9_iPKfiiiPfSC_PS2_PT2_iSB_SB_
                                        ; -- End function
	.section	.AMDGPU.csdata,"",@progbits
; Kernel info:
; codeLenInByte = 3016
; NumSgprs: 44
; NumVgprs: 57
; NumAgprs: 4
; TotalNumVgprs: 64
; ScratchSize: 0
; MemoryBound: 0
; FloatMode: 240
; IeeeMode: 1
; LDSByteSize: 2720 bytes/workgroup (compile time only)
; SGPRBlocks: 5
; VGPRBlocks: 7
; NumSGPRsForWavesPerEU: 44
; NumVGPRsForWavesPerEU: 64
; AccumOffset: 60
; Occupancy: 8
; WaveLimiterHint : 1
; COMPUTE_PGM_RSRC2:SCRATCH_EN: 0
; COMPUTE_PGM_RSRC2:USER_SGPR: 2
; COMPUTE_PGM_RSRC2:TRAP_HANDLER: 0
; COMPUTE_PGM_RSRC2:TGID_X_EN: 1
; COMPUTE_PGM_RSRC2:TGID_Y_EN: 1
; COMPUTE_PGM_RSRC2:TGID_Z_EN: 1
; COMPUTE_PGM_RSRC2:TIDIG_COMP_CNT: 0
; COMPUTE_PGM_RSRC3_GFX90A:ACCUM_OFFSET: 14
; COMPUTE_PGM_RSRC3_GFX90A:TG_SPLIT: 0
	.section	.text._Z38paged_attention_ll4mi_QKV_mfma4_kernelIDF16_DF16_LN4vllm18Fp8KVCacheDataTypeE0EDF16_Li32ELi64ELi256ELb0ELi4EEvPKT_PKT0_S7_ifPKiS9_S9_iPKfiiiPfSC_PS2_PT2_iSB_SB_,"axG",@progbits,_Z38paged_attention_ll4mi_QKV_mfma4_kernelIDF16_DF16_LN4vllm18Fp8KVCacheDataTypeE0EDF16_Li32ELi64ELi256ELb0ELi4EEvPKT_PKT0_S7_ifPKiS9_S9_iPKfiiiPfSC_PS2_PT2_iSB_SB_,comdat
	.protected	_Z38paged_attention_ll4mi_QKV_mfma4_kernelIDF16_DF16_LN4vllm18Fp8KVCacheDataTypeE0EDF16_Li32ELi64ELi256ELb0ELi4EEvPKT_PKT0_S7_ifPKiS9_S9_iPKfiiiPfSC_PS2_PT2_iSB_SB_ ; -- Begin function _Z38paged_attention_ll4mi_QKV_mfma4_kernelIDF16_DF16_LN4vllm18Fp8KVCacheDataTypeE0EDF16_Li32ELi64ELi256ELb0ELi4EEvPKT_PKT0_S7_ifPKiS9_S9_iPKfiiiPfSC_PS2_PT2_iSB_SB_
	.globl	_Z38paged_attention_ll4mi_QKV_mfma4_kernelIDF16_DF16_LN4vllm18Fp8KVCacheDataTypeE0EDF16_Li32ELi64ELi256ELb0ELi4EEvPKT_PKT0_S7_ifPKiS9_S9_iPKfiiiPfSC_PS2_PT2_iSB_SB_
	.p2align	8
	.type	_Z38paged_attention_ll4mi_QKV_mfma4_kernelIDF16_DF16_LN4vllm18Fp8KVCacheDataTypeE0EDF16_Li32ELi64ELi256ELb0ELi4EEvPKT_PKT0_S7_ifPKiS9_S9_iPKfiiiPfSC_PS2_PT2_iSB_SB_,@function
_Z38paged_attention_ll4mi_QKV_mfma4_kernelIDF16_DF16_LN4vllm18Fp8KVCacheDataTypeE0EDF16_Li32ELi64ELi256ELb0ELi4EEvPKT_PKT0_S7_ifPKiS9_S9_iPKfiiiPfSC_PS2_PT2_iSB_SB_: ; @_Z38paged_attention_ll4mi_QKV_mfma4_kernelIDF16_DF16_LN4vllm18Fp8KVCacheDataTypeE0EDF16_Li32ELi64ELi256ELb0ELi4EEvPKT_PKT0_S7_ifPKiS9_S9_iPKfiiiPfSC_PS2_PT2_iSB_SB_
; %bb.0:
	s_load_dwordx2 s[8:9], s[0:1], 0x30
	s_mov_b32 s20, s3
	s_mov_b64 s[6:7], 0
	s_waitcnt lgkmcnt(0)
	s_cmp_lg_u64 s[8:9], 0
	s_cselect_b64 s[10:11], -1, 0
	s_and_b64 vcc, exec, s[10:11]
	s_cbranch_vccz .LBB175_18
; %bb.1:
	s_add_i32 s12, s2, 1
	s_mov_b32 s13, 0
	s_lshl_b64 s[14:15], s[12:13], 2
	s_add_u32 s14, s8, s14
	s_mov_b32 s3, s13
	s_addc_u32 s15, s9, s15
	s_lshl_b64 s[12:13], s[2:3], 2
	s_add_u32 s12, s8, s12
	s_addc_u32 s13, s9, s13
	s_load_dword s5, s[14:15], 0x0
	s_load_dword s16, s[12:13], 0x0
	s_mov_b64 s[30:31], s[2:3]
	s_waitcnt lgkmcnt(0)
	s_sub_i32 s5, s5, s16
	s_cmp_eq_u32 s5, 1
	s_cselect_b64 s[12:13], -1, 0
	s_andn2_b64 vcc, exec, s[6:7]
	s_cbranch_vccnz .LBB175_3
.LBB175_2:
	s_mov_b32 s3, 0
	s_mov_b64 s[12:13], -1
	s_mov_b64 s[30:31], s[2:3]
.LBB175_3:
	s_andn2_b64 vcc, exec, s[12:13]
	s_cbranch_vccnz .LBB175_17
; %bb.4:
	s_load_dword s3, s[0:1], 0x9c
	s_load_dwordx2 s[6:7], s[0:1], 0x28
	s_add_u32 s24, s0, 0x90
	s_addc_u32 s25, s1, 0
	s_lshl_b64 s[34:35], s[30:31], 2
	s_waitcnt lgkmcnt(0)
	s_and_b32 s5, s3, 0xffff
	s_add_u32 s6, s6, s34
	s_addc_u32 s7, s7, s35
	s_load_dword s3, s[6:7], 0x0
	s_mul_i32 s16, s20, s5
	s_waitcnt lgkmcnt(0)
	s_cmp_ge_i32 s16, s3
	s_cbranch_scc1 .LBB175_17
; %bb.5:
	v_and_b32_e32 v2, 0xc0, v0
	v_add_u32_e32 v2, s16, v2
	v_lshrrev_b32_e32 v1, 6, v0
	v_cmp_gt_i32_e64 s[6:7], s3, v2
	v_cmp_le_i32_e32 vcc, s3, v2
                                        ; implicit-def: $sgpr18
                                        ; implicit-def: $sgpr17
	s_and_saveexec_b64 s[12:13], vcc
	s_xor_b64 s[12:13], exec, s[12:13]
	s_cbranch_execz .LBB175_7
; %bb.6:
	v_mul_u32_u24_e32 v2, 20, v1
	v_or_b32_e32 v2, 0xa00, v2
	v_mov_b32_e32 v3, 0xa50
	v_mov_b32_e32 v4, 0xff7fffff
	v_mad_u32_u24 v3, v1, 20, v3
	ds_write2_b32 v2, v4, v4 offset1:1
	v_mov_b32_e32 v2, 0
	ds_write2_b32 v3, v2, v2 offset1:1
	v_mov_b32_e32 v3, 0xa08
	s_mov_b32 s17, 0xff7fffff
	s_mov_b32 s18, 0
	v_mad_u32_u24 v3, v1, 20, v3
	v_mov_b32_e32 v5, 0xa58
	v_mad_u32_u24 v5, v1, 20, v5
	ds_write2_b32 v3, v4, v4 offset1:1
	ds_write2_b32 v5, v2, v2 offset1:1
                                        ; implicit-def: $vgpr2
.LBB175_7:
	s_or_saveexec_b64 s[26:27], s[12:13]
	s_load_dwordx2 s[22:23], s[0:1], 0x68
	s_load_dwordx4 s[12:15], s[0:1], 0x58
	s_load_dword s5, s[24:25], 0x4
	v_and_b32_e32 v40, 63, v0
	v_and_b32_e32 v38, 3, v0
	v_mov_b32_e32 v37, s18
	v_mov_b32_e32 v41, s17
	;; [unrolled: 1-line block ×5, first 2 shown]
                                        ; implicit-def: $vgpr3
                                        ; implicit-def: $vgpr7
                                        ; implicit-def: $vgpr11
                                        ; implicit-def: $vgpr15
                                        ; implicit-def: $vgpr19
                                        ; implicit-def: $vgpr23
                                        ; implicit-def: $vgpr27
                                        ; implicit-def: $vgpr31
	s_xor_b64 exec, exec, s[26:27]
	s_cbranch_execz .LBB175_13
; %bb.8:
	s_add_i32 s21, s3, 31
	s_load_dwordx2 s[18:19], s[0:1], 0x20
	s_load_dword s17, s[0:1], 0x38
	s_ashr_i32 s28, s21, 31
	s_lshr_b32 s28, s28, 27
	v_add_u32_e32 v34, s16, v0
	s_add_i32 s21, s21, s28
	v_ashrrev_i32_e32 v3, 31, v34
	s_ashr_i32 s21, s21, 5
	v_lshrrev_b32_e32 v3, 27, v3
	s_add_i32 s21, s21, -1
	v_add_u32_e32 v3, v34, v3
	s_waitcnt lgkmcnt(0)
	s_mul_i32 s36, s2, s17
	s_mov_b32 s37, 0
	v_ashrrev_i32_e32 v3, 5, v3
	v_mov_b32_e32 v4, s21
	v_cmp_gt_i32_e32 vcc, s3, v34
	s_lshl_b64 s[28:29], s[36:37], 2
	s_add_u32 s18, s18, s28
	v_cndmask_b32_e32 v4, v4, v3, vcc
	v_ashrrev_i32_e32 v3, 31, v2
	v_lshrrev_b32_e32 v3, 27, v3
	s_addc_u32 s19, s19, s29
	v_ashrrev_i32_e32 v5, 31, v4
	v_add_u32_e32 v2, v2, v3
	v_lshl_add_u64 v[6:7], v[4:5], 2, s[18:19]
	v_ashrrev_i32_e32 v4, 5, v2
	v_min_i32_e32 v2, s21, v4
	v_ashrrev_i32_e32 v3, 31, v2
	v_lshl_add_u64 v[8:9], v[2:3], 2, s[18:19]
	v_add_u32_e32 v2, 1, v4
	v_min_i32_e32 v2, s21, v2
	v_ashrrev_i32_e32 v3, 31, v2
	v_lshl_add_u64 v[10:11], v[2:3], 2, s[18:19]
	global_load_dword v4, v[6:7], off
	global_load_dword v3, v[8:9], off
	;; [unrolled: 1-line block ×3, first 2 shown]
	s_load_dwordx4 s[16:19], s[0:1], 0x0
	s_load_dwordx2 s[28:29], s[0:1], 0x10
	s_andn2_b64 vcc, exec, s[10:11]
	s_cbranch_vccnz .LBB175_10
; %bb.9:
	s_add_u32 s8, s8, s34
	s_addc_u32 s9, s9, s35
	s_load_dword s36, s[8:9], 0x0
	s_waitcnt lgkmcnt(0)
	s_mov_b64 s[30:31], s[36:37]
.LBB175_10:
	s_load_dwordx4 s[8:11], s[0:1], 0x48
	v_lshrrev_b32_e32 v5, 2, v40
	v_lshlrev_b32_e32 v6, 3, v38
	v_add_lshl_u32 v5, v6, v5, 4
	v_and_b32_e32 v6, 31, v0
	s_waitcnt lgkmcnt(0)
	s_ashr_i32 s11, s8, 31
	s_mul_hi_u32 s21, s30, s8
	s_mul_i32 s31, s31, s8
	s_mul_i32 s34, s30, s8
	;; [unrolled: 1-line block ×3, first 2 shown]
	s_add_i32 s8, s21, s8
	s_add_i32 s35, s8, s31
	s_lshl_b64 s[30:31], s[34:35], 1
	s_add_u32 s8, s16, s30
	s_addc_u32 s11, s17, s31
	s_lshl_b32 s36, s4, 8
	s_lshl_b64 s[16:17], s[36:37], 1
	s_add_u32 s16, s8, s16
	s_addc_u32 s17, s11, s17
	global_load_dwordx4 v[42:45], v5, s[16:17]
	s_mul_i32 s36, s4, s10
	s_waitcnt vmcnt(3)
	v_mad_i64_i32 v[4:5], s[16:17], v4, s9, 0
	s_lshl_b64 s[10:11], s[36:37], 1
	s_add_u32 s16, s10, s18
	s_addc_u32 s17, s11, s19
	v_lshl_add_u64 v[4:5], v[4:5], 1, s[16:17]
	v_lshlrev_b32_e32 v28, 4, v6
	v_mov_b32_e32 v29, 0
	v_lshl_add_u64 v[30:31], v[4:5], 0, v[28:29]
	global_load_dwordx4 v[4:7], v[30:31], off
	global_load_dwordx4 v[8:11], v[30:31], off offset:512
	global_load_dwordx4 v[12:15], v[30:31], off offset:1024
	;; [unrolled: 1-line block ×7, first 2 shown]
	s_waitcnt vmcnt(10)
	v_mul_hi_i32 v28, v3, s9
	s_add_u32 s10, s28, s10
	s_waitcnt vmcnt(9)
	v_mul_hi_i32 v30, v2, s9
	v_ashrrev_i32_e32 v32, 31, v28
	s_addc_u32 s11, s29, s11
	v_lshlrev_b32_e32 v28, 6, v40
	v_ashrrev_i32_e32 v33, 31, v30
	v_lshl_add_u64 v[30:31], s[10:11], 0, v[28:29]
	v_lshrrev_b32_e32 v28, 29, v32
	s_load_dword s0, s[0:1], 0x1c
	v_and_b32_e32 v56, -4, v34
	v_cmp_eq_u32_e32 vcc, 0, v38
	v_lshlrev_b32_e32 v57, 2, v0
	s_waitcnt vmcnt(7)
	v_mfma_f32_4x4x4_16b_f16 a[0:3], v[42:43], v[4:5], 0 cbsz:4
	v_mad_i64_i32 v[4:5], s[10:11], v3, s9, v[28:29]
	s_nop 0
	v_mfma_f32_4x4x4_16b_f16 a[0:3], v[44:45], v[6:7], a[0:3] cbsz:4
	v_lshrrev_b32_e32 v28, 29, v33
	v_mad_i64_i32 v[2:3], s[8:9], v2, s9, v[28:29]
	s_waitcnt vmcnt(6)
	v_mfma_f32_4x4x4_16b_f16 a[0:3], v[42:43], v[8:9], a[0:3] cbsz:4 abid:1
	v_lshlrev_b64 v[4:5], 1, v[4:5]
	v_lshlrev_b64 v[28:29], 1, v[2:3]
	v_mfma_f32_4x4x4_16b_f16 a[0:3], v[44:45], v[10:11], a[0:3] cbsz:4 abid:1
	v_and_b32_e32 v4, -16, v4
	v_and_b32_e32 v28, -16, v28
	s_waitcnt vmcnt(5)
	v_mfma_f32_4x4x4_16b_f16 a[0:3], v[42:43], v[12:13], a[0:3] cbsz:4 abid:2
	v_lshl_add_u64 v[32:33], v[30:31], 0, v[4:5]
	v_lshl_add_u64 v[36:37], v[30:31], 0, v[28:29]
	v_mfma_f32_4x4x4_16b_f16 a[0:3], v[44:45], v[14:15], a[0:3] cbsz:4 abid:2
	global_load_dwordx4 v[2:5], v[32:33], off
	global_load_dwordx4 v[6:9], v[32:33], off offset:16
	s_waitcnt vmcnt(6)
	v_mfma_f32_4x4x4_16b_f16 a[0:3], v[42:43], v[16:17], a[0:3] cbsz:4 abid:3
	global_load_dwordx4 v[10:13], v[32:33], off offset:32
	global_load_dwordx4 v[14:17], v[32:33], off offset:48
	v_mfma_f32_4x4x4_16b_f16 a[0:3], v[44:45], v[18:19], a[0:3] cbsz:4 abid:3
	v_cndmask_b32_e64 v39, 0, 1.0, vcc
	v_cmp_eq_u32_e32 vcc, 1, v38
	s_waitcnt vmcnt(7)
	v_mfma_f32_4x4x4_16b_f16 a[0:3], v[42:43], v[20:21], a[0:3] cbsz:4 abid:4
	v_cndmask_b32_e64 v41, 0, 1.0, vcc
	s_nop 0
	v_mfma_f32_4x4x4_16b_f16 a[0:3], v[44:45], v[22:23], a[0:3] cbsz:4 abid:4
	v_cmp_eq_u32_e32 vcc, 2, v38
	s_waitcnt vmcnt(6)
	v_mfma_f32_4x4x4_16b_f16 a[0:3], v[42:43], v[24:25], a[0:3] cbsz:4 abid:5
	global_load_dwordx4 v[18:21], v[36:37], off
	global_load_dwordx4 v[22:25], v[36:37], off offset:16
	v_mfma_f32_4x4x4_16b_f16 a[0:3], v[44:45], v[26:27], a[0:3] cbsz:4 abid:5
	global_load_dwordx4 v[26:29], v[36:37], off offset:32
	global_load_dwordx4 v[30:33], v[36:37], off offset:48
	s_waitcnt vmcnt(9)
	v_mfma_f32_4x4x4_16b_f16 a[0:3], v[42:43], v[46:47], a[0:3] cbsz:4 abid:6
	v_cndmask_b32_e64 v54, 0, 1.0, vcc
	v_cmp_eq_u32_e32 vcc, 3, v38
	v_mfma_f32_4x4x4_16b_f16 a[0:3], v[44:45], v[48:49], a[0:3] cbsz:4 abid:6
	v_mov_b32_e32 v46, 0xff7fffff
	v_cndmask_b32_e64 v55, 0, 1.0, vcc
	s_waitcnt vmcnt(8)
	v_mfma_f32_4x4x4_16b_f16 a[0:3], v[42:43], v[50:51], a[0:3] cbsz:4 abid:7
	v_or_b32_e32 v42, 3, v34
	v_cmp_gt_i32_e32 vcc, s3, v56
	v_mfma_f32_4x4x4_16b_f16 a[0:3], v[44:45], v[52:53], a[0:3] cbsz:4 abid:7
	v_and_or_b32 v43, v57, 48, v38
	v_cmp_gt_i32_e64 s[10:11], s3, v42
	s_nop 2
	v_accvgpr_read_b32 v35, a1
	v_accvgpr_read_b32 v34, a0
	s_waitcnt lgkmcnt(0)
	v_pk_mul_f32 v[34:35], s[0:1], v[34:35] op_sel_hi:[0,1]
	v_accvgpr_read_b32 v37, a3
	v_accvgpr_read_b32 v36, a2
	v_pk_mul_f32 v[36:37], s[0:1], v[36:37] op_sel_hi:[0,1]
	v_mfma_f32_4x4x1_16b_f32 a[0:3], v34, v39, 0
	v_or_b32_e32 v34, 1, v56
	s_nop 0
	v_mfma_f32_4x4x1_16b_f32 a[0:3], v35, v41, a[0:3]
	v_lshlrev_b32_e32 v39, 2, v43
	v_cmp_gt_i32_e64 s[0:1], s3, v34
	v_mfma_f32_4x4x1_16b_f32 a[0:3], v36, v54, a[0:3]
	v_or_b32_e32 v35, 2, v56
	v_cmp_gt_i32_e64 s[8:9], s3, v35
	v_mfma_f32_4x4x1_16b_f32 a[0:3], v37, v55, a[0:3]
	s_nop 3
	v_accvgpr_read_b32 v36, a0
	v_max_f32_e32 v41, v36, v36
	v_accvgpr_read_b32 v37, a1
	v_max_f32_e32 v41, 0xff7fffff, v41
	v_max_f32_e32 v45, v37, v37
	v_cndmask_b32_e32 v41, v46, v41, vcc
	v_accvgpr_read_b32 v43, a2
	v_max_f32_e32 v45, v41, v45
	v_max_f32_e32 v47, v43, v43
	v_cndmask_b32_e64 v34, v41, v45, s[0:1]
	v_accvgpr_read_b32 v44, a3
	v_max_f32_e32 v41, v34, v47
	v_max_f32_e32 v48, v44, v44
	v_cndmask_b32_e64 v34, v34, v41, s[8:9]
	v_max_f32_e32 v35, v34, v48
	v_cndmask_b32_e64 v34, v34, v35, s[10:11]
	;;#ASMSTART
	v_nop
 v_nop
 v_max_f32_dpp v34, v34, v34 row_ror:4
	;;#ASMEND
	s_nop 0
	;;#ASMSTART
	v_nop
 v_nop
 v_max_f32_dpp v34, v34, v34 row_ror:8
	;;#ASMEND
	ds_bpermute_b32 v34, v39, v34
	s_waitcnt lgkmcnt(0)
	;;#ASMSTART
	v_nop
 v_nop
 v_max_f32_dpp v34, v34, v34 row_ror:4
	;;#ASMEND
	s_nop 0
	;;#ASMSTART
	v_nop
 v_nop
 v_max_f32_dpp v41, v34, v34 row_ror:8
	;;#ASMEND
	s_nop 0
	v_sub_f32_e32 v34, v36, v41
	v_sub_f32_e32 v35, v37, v41
	v_mul_f32_e32 v34, 0x3fb8aa3b, v34
	v_sub_f32_e32 v36, v43, v41
	v_mul_f32_e32 v35, 0x3fb8aa3b, v35
	v_exp_f32_e32 v34, v34
	v_sub_f32_e32 v37, v44, v41
	v_mul_f32_e32 v36, 0x3fb8aa3b, v36
	v_exp_f32_e32 v35, v35
	v_mul_f32_e32 v37, 0x3fb8aa3b, v37
	v_exp_f32_e32 v36, v36
	v_exp_f32_e32 v37, v37
	v_cndmask_b32_e32 v34, 0, v34, vcc
	v_cndmask_b32_e64 v35, 0, v35, s[0:1]
	v_add_f32_e32 v42, 0, v34
	v_cndmask_b32_e64 v36, 0, v36, s[8:9]
	v_add_f32_e32 v42, v42, v35
	;; [unrolled: 2-line block ×3, first 2 shown]
	v_add_f32_e32 v42, v42, v37
	;;#ASMSTART
	v_nop
 v_nop
 v_add_f32_dpp v42, v42, v42 row_ror:4
	;;#ASMEND
	v_cmp_gt_u32_e32 vcc, 4, v40
	;;#ASMSTART
	v_nop
 v_nop
 v_add_f32_dpp v42, v42, v42 row_ror:8
	;;#ASMEND
	ds_bpermute_b32 v39, v39, v42
	s_waitcnt lgkmcnt(0)
	;;#ASMSTART
	v_nop
 v_nop
 v_add_f32_dpp v39, v39, v39 row_ror:4
	;;#ASMEND
	s_nop 0
	;;#ASMSTART
	v_nop
 v_nop
 v_add_f32_dpp v39, v39, v39 row_ror:8
	;;#ASMEND
	s_and_saveexec_b64 s[0:1], vcc
	s_cbranch_execz .LBB175_12
; %bb.11:
	v_mul_u32_u24_e32 v42, 20, v1
	v_lshl_add_u32 v42, v38, 2, v42
	v_add_u32_e32 v42, 0x800, v42
	ds_write2_b32 v42, v41, v39 offset0:128 offset1:148
.LBB175_12:
	s_or_b64 exec, exec, s[0:1]
.LBB175_13:
	s_or_b64 exec, exec, s[26:27]
	v_lshlrev_b32_e32 v39, 2, v38
	v_add_u32_e32 v39, 0x800, v39
	s_waitcnt lgkmcnt(0)
	s_barrier
	s_load_dword s0, s[24:25], 0x8
	ds_read2_b32 v[44:45], v39 offset0:128 offset1:133
	ds_read2_b32 v[46:47], v39 offset0:138 offset1:143
	s_mov_b32 s8, 0xff7fffff
	s_mul_i32 s1, s2, s5
	s_lshl_b32 s4, s4, 2
	s_waitcnt lgkmcnt(0)
	v_max3_f32 v42, v44, s8, v45
	s_mul_i32 s1, s1, s0
	v_max3_f32 v42, v42, v46, v47
	s_lshl_b32 s0, s1, 2
	s_mov_b32 s1, 0
	v_sub_f32_e32 v43, v44, v42
	v_sub_f32_e32 v44, v45, v42
	s_lshl_b64 s[2:3], s[0:1], 2
	ds_read2_b32 v[48:49], v39 offset0:148 offset1:153
	v_mul_f32_e32 v43, 0x3fb8aa3b, v43
	v_mul_f32_e32 v44, 0x3fb8aa3b, v44
	s_mov_b32 s21, s1
	s_add_u32 s1, s12, s2
	v_exp_f32_e32 v43, v43
	v_exp_f32_e32 v50, v44
	ds_read2_b32 v[44:45], v39 offset0:158 offset1:163
	v_sub_f32_e32 v39, v46, v42
	s_addc_u32 s10, s13, s3
	v_mul_f32_e32 v39, 0x3fb8aa3b, v39
	v_sub_f32_e32 v46, v47, v42
	s_add_u32 s8, s14, s2
	v_exp_f32_e32 v39, v39
	v_mul_f32_e32 v46, 0x3fb8aa3b, v46
	s_addc_u32 s9, s15, s3
	s_lshl_b64 s[2:3], s[20:21], 2
	v_exp_f32_e32 v46, v46
	s_add_u32 s8, s8, s2
	s_waitcnt lgkmcnt(1)
	v_fma_f32 v43, v43, v48, 0
	s_addc_u32 s9, s9, s3
	v_fmac_f32_e32 v43, v50, v49
	v_or_b32_e32 v38, s4, v38
	s_waitcnt lgkmcnt(0)
	v_fmac_f32_e32 v43, v39, v44
	s_add_u32 s2, s1, s2
	v_mul_lo_u32 v38, s5, v38
	v_mov_b32_e32 v39, 0
	v_fmac_f32_e32 v43, v46, v45
	s_addc_u32 s3, s10, s3
	v_lshlrev_b64 v[44:45], 2, v[38:39]
	v_lshl_add_u64 v[46:47], s[8:9], 0, v[44:45]
	v_lshl_add_u64 v[44:45], s[2:3], 0, v[44:45]
	v_mov_b32_e32 v38, v39
	global_store_dword v[46:47], v42, off
	global_store_dword v[44:45], v43, off
	s_and_saveexec_b64 s[2:3], s[6:7]
	s_cbranch_execz .LBB175_15
; %bb.14:
	v_add_f32_e32 v38, 0x358637bd, v43
	v_div_scale_f32 v39, s[6:7], v38, v38, 1.0
	v_rcp_f32_e32 v43, v39
	v_div_scale_f32 v44, vcc, 1.0, v38, 1.0
	v_sub_f32_e32 v41, v41, v42
	v_fma_f32 v45, -v39, v43, 1.0
	v_fmac_f32_e32 v43, v45, v43
	v_mul_f32_e32 v45, v44, v43
	v_fma_f32 v46, -v39, v45, v44
	v_mul_f32_e32 v41, 0x3fb8aa3b, v41
	v_fmac_f32_e32 v45, v46, v43
	v_exp_f32_e32 v41, v41
	v_fma_f32 v39, -v39, v45, v44
	v_div_fmas_f32 v39, v39, v43, v45
	v_div_fixup_f32 v38, v39, v38, 1.0
	v_mul_f32_e32 v38, v41, v38
	v_pk_mul_f32 v[36:37], v[36:37], v[38:39] op_sel_hi:[1,0]
	v_pk_mul_f32 v[34:35], v[34:35], v[38:39] op_sel_hi:[1,0]
	v_cvt_f16_f32_e32 v36, v36
	v_cvt_f16_f32_e32 v34, v34
	;; [unrolled: 1-line block ×4, first 2 shown]
	s_mov_b32 s1, 0x5040100
	v_pack_b32_f16 v34, v34, v35
	v_pack_b32_f16 v35, v36, v37
	s_waitcnt vmcnt(9)
	s_nop 0
	v_mfma_f32_4x4x4_16b_f16 a[0:3], v[34:35], v[2:3], 0 cbsz:4
	s_nop 1
	v_mfma_f32_4x4x4_16b_f16 a[0:3], v[34:35], v[4:5], a[0:3] cbsz:4 abid:1
	s_waitcnt vmcnt(8)
	s_nop 0
	v_mfma_f32_4x4x4_16b_f16 a[0:3], v[34:35], v[6:7], a[0:3] cbsz:4 abid:2
	s_nop 1
	v_mfma_f32_4x4x4_16b_f16 a[0:3], v[34:35], v[8:9], a[0:3] cbsz:4 abid:3
	s_waitcnt vmcnt(7)
	s_nop 0
	v_mfma_f32_4x4x4_16b_f16 a[0:3], v[34:35], v[10:11], a[0:3] cbsz:4 abid:4
	;; [unrolled: 5-line block ×7, first 2 shown]
	s_nop 1
	v_mfma_f32_4x4x4_16b_f16 a[0:3], v[34:35], v[32:33], a[0:3] cbsz:4 abid:15
	s_nop 4
	v_accvgpr_read_b32 v2, a0
	v_accvgpr_read_b32 v3, a1
	;; [unrolled: 1-line block ×4, first 2 shown]
	v_cvt_f16_f32_e32 v2, v2
	v_cvt_f16_f32_e32 v3, v3
	;; [unrolled: 1-line block ×4, first 2 shown]
	v_perm_b32 v38, v3, v2, s1
	v_perm_b32 v39, v5, v4, s1
.LBB175_15:
	s_or_b64 exec, exec, s[2:3]
	v_lshlrev_b32_e32 v1, 3, v1
	v_mad_u32_u24 v1, v40, 40, v1
	v_cmp_gt_u32_e32 vcc, 64, v0
	ds_write_b64 v1, v[38:39]
	s_waitcnt lgkmcnt(0)
	s_barrier
	s_and_saveexec_b64 s[2:3], vcc
	s_cbranch_execz .LBB175_17
; %bb.16:
	v_mul_u32_u24_e32 v1, 40, v40
	s_waitcnt vmcnt(9)
	ds_read2_b64 v[2:5], v1 offset1:1
	s_waitcnt vmcnt(8)
	ds_read2_b64 v[6:9], v1 offset0:2 offset1:3
	s_mov_b32 s1, 0
	s_lshl_b32 s0, s0, 6
	s_lshl_b64 s[2:3], s[0:1], 1
	s_add_u32 s2, s22, s2
	s_addc_u32 s3, s23, s3
	s_lshl_b32 s0, s20, 6
	s_lshl_b64 s[0:1], s[0:1], 1
	s_waitcnt lgkmcnt(1)
	v_pk_add_f16 v1, v2, 0
	v_pk_add_f16 v2, v3, 0
	s_add_u32 s0, s2, s0
	v_pk_add_f16 v2, v2, v5
	s_addc_u32 s1, s3, s1
	s_lshl_b32 s2, s5, 6
	v_pk_add_f16 v1, v1, v4
	s_waitcnt lgkmcnt(0)
	v_pk_add_f16 v2, v2, v7
	s_mul_i32 s3, s2, s4
	v_pk_add_f16 v1, v1, v6
	v_pk_add_f16 v6, v2, v9
	v_or_b32_e32 v2, s3, v0
	v_mov_b32_e32 v3, 0
	s_add_i32 s3, s3, s2
	v_pk_add_f16 v1, v1, v8
	v_lshl_add_u64 v[4:5], v[2:3], 1, s[0:1]
	v_or_b32_e32 v2, s3, v0
	s_add_i32 s3, s3, s2
	global_store_short v[4:5], v1, off
	v_lshl_add_u64 v[4:5], v[2:3], 1, s[0:1]
	v_or_b32_e32 v2, s3, v0
	s_add_i32 s3, s3, s2
	global_store_short_d16_hi v[4:5], v1, off
	v_lshl_add_u64 v[4:5], v[2:3], 1, s[0:1]
	v_or_b32_e32 v2, s3, v0
	v_lshl_add_u64 v[0:1], v[2:3], 1, s[0:1]
	global_store_short v[4:5], v6, off
	global_store_short_d16_hi v[0:1], v6, off
.LBB175_17:
	s_endpgm
.LBB175_18:
	s_mov_b64 s[12:13], 0
                                        ; implicit-def: $sgpr30_sgpr31
	s_branch .LBB175_2
	.section	.rodata,"a",@progbits
	.p2align	6, 0x0
	.amdhsa_kernel _Z38paged_attention_ll4mi_QKV_mfma4_kernelIDF16_DF16_LN4vllm18Fp8KVCacheDataTypeE0EDF16_Li32ELi64ELi256ELb0ELi4EEvPKT_PKT0_S7_ifPKiS9_S9_iPKfiiiPfSC_PS2_PT2_iSB_SB_
		.amdhsa_group_segment_fixed_size 2720
		.amdhsa_private_segment_fixed_size 0
		.amdhsa_kernarg_size 400
		.amdhsa_user_sgpr_count 2
		.amdhsa_user_sgpr_dispatch_ptr 0
		.amdhsa_user_sgpr_queue_ptr 0
		.amdhsa_user_sgpr_kernarg_segment_ptr 1
		.amdhsa_user_sgpr_dispatch_id 0
		.amdhsa_user_sgpr_kernarg_preload_length 0
		.amdhsa_user_sgpr_kernarg_preload_offset 0
		.amdhsa_user_sgpr_private_segment_size 0
		.amdhsa_uses_dynamic_stack 0
		.amdhsa_enable_private_segment 0
		.amdhsa_system_sgpr_workgroup_id_x 1
		.amdhsa_system_sgpr_workgroup_id_y 1
		.amdhsa_system_sgpr_workgroup_id_z 1
		.amdhsa_system_sgpr_workgroup_info 0
		.amdhsa_system_vgpr_workitem_id 0
		.amdhsa_next_free_vgpr 64
		.amdhsa_next_free_sgpr 38
		.amdhsa_accum_offset 60
		.amdhsa_reserve_vcc 1
		.amdhsa_float_round_mode_32 0
		.amdhsa_float_round_mode_16_64 0
		.amdhsa_float_denorm_mode_32 3
		.amdhsa_float_denorm_mode_16_64 3
		.amdhsa_dx10_clamp 1
		.amdhsa_ieee_mode 1
		.amdhsa_fp16_overflow 0
		.amdhsa_tg_split 0
		.amdhsa_exception_fp_ieee_invalid_op 0
		.amdhsa_exception_fp_denorm_src 0
		.amdhsa_exception_fp_ieee_div_zero 0
		.amdhsa_exception_fp_ieee_overflow 0
		.amdhsa_exception_fp_ieee_underflow 0
		.amdhsa_exception_fp_ieee_inexact 0
		.amdhsa_exception_int_div_zero 0
	.end_amdhsa_kernel
	.section	.text._Z38paged_attention_ll4mi_QKV_mfma4_kernelIDF16_DF16_LN4vllm18Fp8KVCacheDataTypeE0EDF16_Li32ELi64ELi256ELb0ELi4EEvPKT_PKT0_S7_ifPKiS9_S9_iPKfiiiPfSC_PS2_PT2_iSB_SB_,"axG",@progbits,_Z38paged_attention_ll4mi_QKV_mfma4_kernelIDF16_DF16_LN4vllm18Fp8KVCacheDataTypeE0EDF16_Li32ELi64ELi256ELb0ELi4EEvPKT_PKT0_S7_ifPKiS9_S9_iPKfiiiPfSC_PS2_PT2_iSB_SB_,comdat
.Lfunc_end175:
	.size	_Z38paged_attention_ll4mi_QKV_mfma4_kernelIDF16_DF16_LN4vllm18Fp8KVCacheDataTypeE0EDF16_Li32ELi64ELi256ELb0ELi4EEvPKT_PKT0_S7_ifPKiS9_S9_iPKfiiiPfSC_PS2_PT2_iSB_SB_, .Lfunc_end175-_Z38paged_attention_ll4mi_QKV_mfma4_kernelIDF16_DF16_LN4vllm18Fp8KVCacheDataTypeE0EDF16_Li32ELi64ELi256ELb0ELi4EEvPKT_PKT0_S7_ifPKiS9_S9_iPKfiiiPfSC_PS2_PT2_iSB_SB_
                                        ; -- End function
	.section	.AMDGPU.csdata,"",@progbits
; Kernel info:
; codeLenInByte = 2984
; NumSgprs: 44
; NumVgprs: 58
; NumAgprs: 4
; TotalNumVgprs: 64
; ScratchSize: 0
; MemoryBound: 0
; FloatMode: 240
; IeeeMode: 1
; LDSByteSize: 2720 bytes/workgroup (compile time only)
; SGPRBlocks: 5
; VGPRBlocks: 7
; NumSGPRsForWavesPerEU: 44
; NumVGPRsForWavesPerEU: 64
; AccumOffset: 60
; Occupancy: 8
; WaveLimiterHint : 1
; COMPUTE_PGM_RSRC2:SCRATCH_EN: 0
; COMPUTE_PGM_RSRC2:USER_SGPR: 2
; COMPUTE_PGM_RSRC2:TRAP_HANDLER: 0
; COMPUTE_PGM_RSRC2:TGID_X_EN: 1
; COMPUTE_PGM_RSRC2:TGID_Y_EN: 1
; COMPUTE_PGM_RSRC2:TGID_Z_EN: 1
; COMPUTE_PGM_RSRC2:TIDIG_COMP_CNT: 0
; COMPUTE_PGM_RSRC3_GFX90A:ACCUM_OFFSET: 14
; COMPUTE_PGM_RSRC3_GFX90A:TG_SPLIT: 0
	.section	.text._Z39paged_attention_ll4mi_QKV_mfma16_kernelIDF16_DF16_LN4vllm18Fp8KVCacheDataTypeE0EDF16_Li32ELi64ELi256ELb0ELi5EEvPKT_PKT0_S7_ifPKiS9_S9_iPKfiiiPfSC_PS2_PT2_iSB_SB_,"axG",@progbits,_Z39paged_attention_ll4mi_QKV_mfma16_kernelIDF16_DF16_LN4vllm18Fp8KVCacheDataTypeE0EDF16_Li32ELi64ELi256ELb0ELi5EEvPKT_PKT0_S7_ifPKiS9_S9_iPKfiiiPfSC_PS2_PT2_iSB_SB_,comdat
	.protected	_Z39paged_attention_ll4mi_QKV_mfma16_kernelIDF16_DF16_LN4vllm18Fp8KVCacheDataTypeE0EDF16_Li32ELi64ELi256ELb0ELi5EEvPKT_PKT0_S7_ifPKiS9_S9_iPKfiiiPfSC_PS2_PT2_iSB_SB_ ; -- Begin function _Z39paged_attention_ll4mi_QKV_mfma16_kernelIDF16_DF16_LN4vllm18Fp8KVCacheDataTypeE0EDF16_Li32ELi64ELi256ELb0ELi5EEvPKT_PKT0_S7_ifPKiS9_S9_iPKfiiiPfSC_PS2_PT2_iSB_SB_
	.globl	_Z39paged_attention_ll4mi_QKV_mfma16_kernelIDF16_DF16_LN4vllm18Fp8KVCacheDataTypeE0EDF16_Li32ELi64ELi256ELb0ELi5EEvPKT_PKT0_S7_ifPKiS9_S9_iPKfiiiPfSC_PS2_PT2_iSB_SB_
	.p2align	8
	.type	_Z39paged_attention_ll4mi_QKV_mfma16_kernelIDF16_DF16_LN4vllm18Fp8KVCacheDataTypeE0EDF16_Li32ELi64ELi256ELb0ELi5EEvPKT_PKT0_S7_ifPKiS9_S9_iPKfiiiPfSC_PS2_PT2_iSB_SB_,@function
_Z39paged_attention_ll4mi_QKV_mfma16_kernelIDF16_DF16_LN4vllm18Fp8KVCacheDataTypeE0EDF16_Li32ELi64ELi256ELb0ELi5EEvPKT_PKT0_S7_ifPKiS9_S9_iPKfiiiPfSC_PS2_PT2_iSB_SB_: ; @_Z39paged_attention_ll4mi_QKV_mfma16_kernelIDF16_DF16_LN4vllm18Fp8KVCacheDataTypeE0EDF16_Li32ELi64ELi256ELb0ELi5EEvPKT_PKT0_S7_ifPKiS9_S9_iPKfiiiPfSC_PS2_PT2_iSB_SB_
; %bb.0:
	s_load_dwordx2 s[6:7], s[0:1], 0x30
	s_mov_b32 s28, s3
	s_mov_b64 s[10:11], 0
	s_waitcnt lgkmcnt(0)
	s_cmp_lg_u64 s[6:7], 0
	s_cselect_b64 s[8:9], -1, 0
	s_and_b64 vcc, exec, s[8:9]
	s_cbranch_vccz .LBB176_7
; %bb.1:
	s_add_i32 s12, s2, 1
	s_mov_b32 s13, 0
	s_lshl_b64 s[14:15], s[12:13], 2
	s_add_u32 s14, s6, s14
	s_mov_b32 s3, s13
	s_addc_u32 s15, s7, s15
	s_lshl_b64 s[12:13], s[2:3], 2
	s_add_u32 s12, s6, s12
	s_addc_u32 s13, s7, s13
	s_load_dword s5, s[14:15], 0x0
	s_load_dword s16, s[12:13], 0x0
	s_waitcnt lgkmcnt(0)
	s_sub_i32 s5, s5, s16
	s_cmp_eq_u32 s5, 1
	s_cselect_b64 s[12:13], -1, 0
	s_andn2_b64 vcc, exec, s[10:11]
	s_cbranch_vccnz .LBB176_3
.LBB176_2:
	s_mov_b32 s3, 0
	s_mov_b64 s[12:13], -1
.LBB176_3:
	s_andn2_b64 vcc, exec, s[12:13]
	s_cbranch_vccnz .LBB176_20
; %bb.4:
	s_load_dwordx2 s[12:13], s[0:1], 0x28
	s_lshl_b64 s[10:11], s[2:3], 2
	s_waitcnt lgkmcnt(0)
	s_add_u32 s12, s12, s10
	s_addc_u32 s13, s13, s11
	s_load_dword s33, s[12:13], 0x0
	s_lshl_b32 s14, s28, 8
	s_waitcnt lgkmcnt(0)
	s_cmp_ge_i32 s14, s33
	s_cbranch_scc1 .LBB176_20
; %bb.5:
	s_load_dwordx2 s[12:13], s[0:1], 0x20
	s_load_dword s5, s[0:1], 0x38
	s_add_i32 s15, s33, 31
	s_ashr_i32 s16, s15, 31
	v_and_b32_e32 v1, 0xcf, v0
	s_lshr_b32 s16, s16, 27
	v_add_u32_e32 v1, s14, v1
	s_add_i32 s15, s15, s16
	v_ashrrev_i32_e32 v2, 31, v1
	s_ashr_i32 s15, s15, 5
	v_lshrrev_b32_e32 v10, 27, v2
	s_add_i32 s15, s15, -1
	s_waitcnt lgkmcnt(0)
	s_mul_i32 s16, s2, s5
	s_mov_b32 s17, 0
	v_add_u32_e32 v2, v1, v10
	s_lshl_b64 s[16:17], s[16:17], 2
	v_ashrrev_i32_e32 v2, 5, v2
	v_mov_b32_e32 v11, s15
	v_cmp_gt_i32_e32 vcc, s33, v1
	s_add_u32 s12, s12, s16
	s_addc_u32 s13, s13, s17
	v_cndmask_b32_e32 v2, v11, v2, vcc
	v_ashrrev_i32_e32 v3, 31, v2
	v_lshl_add_u64 v[4:5], v[2:3], 2, s[12:13]
	v_or_b32_e32 v2, 16, v1
	v_add_u32_e32 v3, v2, v10
	v_ashrrev_i32_e32 v3, 5, v3
	v_cmp_gt_i32_e32 vcc, s33, v2
	s_nop 1
	v_cndmask_b32_e32 v2, v11, v3, vcc
	v_ashrrev_i32_e32 v3, 31, v2
	v_lshl_add_u64 v[6:7], v[2:3], 2, s[12:13]
	v_or_b32_e32 v2, 32, v1
	v_add_u32_e32 v3, v2, v10
	v_ashrrev_i32_e32 v3, 5, v3
	v_cmp_gt_i32_e32 vcc, s33, v2
	v_or_b32_e32 v1, 48, v1
	s_nop 0
	v_cndmask_b32_e32 v2, v11, v3, vcc
	v_ashrrev_i32_e32 v3, 31, v2
	v_lshl_add_u64 v[8:9], v[2:3], 2, s[12:13]
	v_add_u32_e32 v2, v1, v10
	v_ashrrev_i32_e32 v2, 5, v2
	v_cmp_gt_i32_e32 vcc, s33, v1
	s_nop 1
	v_cndmask_b32_e32 v2, v11, v2, vcc
	v_ashrrev_i32_e32 v3, 31, v2
	v_lshl_add_u64 v[12:13], v[2:3], 2, s[12:13]
	global_load_dword v3, v[4:5], off
	global_load_dword v2, v[6:7], off
	global_load_dword v10, v[8:9], off
	global_load_dword v16, v[12:13], off
	s_andn2_b64 vcc, exec, s[8:9]
	s_cbranch_vccnz .LBB176_8
; %bb.6:
	s_add_u32 s6, s6, s10
	s_addc_u32 s7, s7, s11
	s_load_dword s5, s[6:7], 0x0
	s_branch .LBB176_9
.LBB176_7:
	s_mov_b64 s[12:13], 0
	s_branch .LBB176_2
.LBB176_8:
	s_mov_b32 s5, s2
.LBB176_9:
	s_load_dwordx4 s[8:11], s[0:1], 0x8
	s_load_dwordx4 s[44:47], s[0:1], 0x48
	v_lshrrev_b32_e32 v1, 6, v0
	v_bfe_u32 v54, v0, 4, 2
	v_lshl_or_b32 v4, v1, 2, v54
	v_and_b32_e32 v36, 15, v0
	v_cmp_lt_u32_e32 vcc, 4, v4
	v_cmp_lt_u32_e64 s[6:7], 7, v36
	v_lshlrev_b32_e32 v34, 3, v36
	v_cmp_gt_u32_e64 s[30:31], 8, v36
	s_or_b64 s[6:7], s[6:7], vcc
	s_and_saveexec_b64 s[16:17], s[6:7]
	s_xor_b64 s[6:7], exec, s[16:17]
; %bb.10:
	v_mov_b32_e32 v35, 0
                                        ; implicit-def: $vgpr4
; %bb.11:
	s_or_saveexec_b64 s[6:7], s[6:7]
	v_and_b32_e32 v37, 63, v0
	s_mul_i32 s42, s4, 5
	s_xor_b64 exec, exec, s[6:7]
	s_cbranch_execz .LBB176_13
; %bb.12:
	s_load_dwordx2 s[16:17], s[0:1], 0x0
	s_waitcnt lgkmcnt(0)
	s_ashr_i32 s18, s44, 31
	s_mul_hi_u32 s19, s5, s44
	s_mul_i32 s18, s5, s18
	s_add_i32 s19, s19, s18
	s_mul_i32 s18, s5, s44
	s_lshl_b64 s[18:19], s[18:19], 1
	s_add_u32 s16, s16, s18
	v_add_lshl_u32 v6, v4, s42, 6
	s_addc_u32 s17, s17, s19
	v_ashrrev_i32_e32 v7, 31, v6
	v_mov_b32_e32 v35, 0
	v_lshl_add_u64 v[6:7], v[6:7], 1, s[16:17]
	v_lshlrev_b32_e32 v8, 1, v34
	v_mov_b32_e32 v9, v35
	v_lshl_add_u64 v[6:7], v[6:7], 0, v[8:9]
	global_load_dwordx4 v[6:9], v[6:7], off
	v_and_b32_e32 v5, 3, v0
	v_lshlrev_b32_e32 v11, 9, v36
	v_lshlrev_b32_e32 v4, 5, v4
	;; [unrolled: 1-line block ×3, first 2 shown]
	v_and_b32_e32 v11, 0x1800, v11
	v_or3_b32 v4, v11, v5, v4
	s_waitcnt vmcnt(0)
	ds_write_b128 v4, v[6:9]
.LBB176_13:
	s_or_b64 exec, exec, s[6:7]
	s_waitcnt lgkmcnt(0)
	s_mul_i32 s4, s4, s46
	s_mov_b32 s5, 0
	s_lshl_b64 s[4:5], s[4:5], 1
	s_add_u32 s8, s8, s4
	s_addc_u32 s9, s9, s5
	s_waitcnt vmcnt(3)
	v_mad_i64_i32 v[4:5], s[16:17], v3, s45, 0
	v_lshl_add_u64 v[4:5], v[4:5], 1, s[8:9]
	v_lshlrev_b64 v[12:13], 1, v[34:35]
	v_lshlrev_b32_e32 v38, 9, v54
	v_lshl_add_u64 v[4:5], v[4:5], 0, v[12:13]
	v_mov_b32_e32 v39, 0
	v_lshl_add_u64 v[14:15], v[4:5], 0, v[38:39]
	s_waitcnt vmcnt(2)
	v_mad_i64_i32 v[2:3], s[16:17], v2, s45, 0
	v_mov_b32_e32 v4, 0x100
	v_lshl_add_u64 v[2:3], v[2:3], 1, s[8:9]
	v_lshl_or_b32 v30, v36, 4, v4
	v_mov_b32_e32 v31, v39
	s_load_dword s29, s[0:1], 0x98
	s_load_dword s6, s[0:1], 0x1c
	s_waitcnt lgkmcnt(0)
	s_barrier
	v_lshl_add_u64 v[2:3], v[2:3], 0, v[30:31]
	global_load_dwordx4 v[6:9], v[14:15], off
	global_load_dwordx4 v[22:25], v[14:15], off offset:2048
	v_lshl_add_u64 v[18:19], v[2:3], 0, v[38:39]
	global_load_dwordx4 v[2:5], v[18:19], off
	global_load_dwordx4 v[26:29], v[18:19], off offset:2048
	s_waitcnt vmcnt(5)
	v_mad_i64_i32 v[10:11], s[16:17], v10, s45, 0
	v_lshl_add_u64 v[10:11], v[10:11], 1, s[8:9]
	v_lshl_add_u64 v[10:11], v[10:11], 0, v[12:13]
	;; [unrolled: 1-line block ×3, first 2 shown]
	global_load_dwordx4 v[10:13], v[32:33], off
	v_mul_lo_u16_e32 v20, 52, v36
	v_mov_b32_e32 v21, 5
	s_waitcnt vmcnt(5)
	v_mad_i64_i32 v[16:17], s[16:17], v16, s45, 0
	v_mul_lo_u16_sdwa v14, v20, v21 dst_sel:DWORD dst_unused:UNUSED_PAD src0_sel:BYTE_1 src1_sel:DWORD
	v_sub_u16_e32 v14, v36, v14
	v_lshl_add_u64 v[40:41], v[16:17], 1, s[8:9]
	v_and_b32_e32 v14, 0xff, v14
	v_lshl_add_u64 v[30:31], v[40:41], 0, v[30:31]
	v_lshl_add_u32 v14, v14, 5, v38
	v_lshl_add_u64 v[40:41], v[30:31], 0, v[38:39]
	ds_read_b128 v[18:21], v14
	ds_read_b128 v[14:17], v14 offset:2048
	global_load_dwordx4 v[30:33], v[32:33], off offset:2048
	s_ashr_i32 s7, s14, 31
	global_load_dwordx4 v[46:49], v[40:41], off
	global_load_dwordx4 v[60:63], v[40:41], off offset:2048
	v_and_or_b32 v55, v0, 48, s14
	s_lshr_b32 s7, s7, 27
	v_add_u32_e32 v42, s7, v55
	v_mov_b32_e32 v64, s15
	v_or_b32_e32 v50, 64, v55
	v_ashrrev_i32_e32 v38, 5, v42
	v_cmp_gt_i32_e32 vcc, s33, v55
	v_add_u32_e32 v43, s7, v50
	v_ashrrev_i32_e32 v51, 5, v43
	v_cndmask_b32_e32 v42, v64, v38, vcc
	v_ashrrev_i32_e32 v43, 31, v42
	v_lshl_add_u64 v[42:43], v[42:43], 2, s[12:13]
	v_cmp_gt_i32_e32 vcc, s33, v50
	global_load_dword v65, v[42:43], off
	v_or_b32_e32 v40, 0x80, v55
	v_and_b32_e32 v38, 16, v0
	s_add_u32 s4, s10, s4
	v_lshlrev_b32_e32 v41, 6, v36
	s_addc_u32 s5, s11, s5
	v_lshlrev_b32_e32 v38, 1, v38
	s_mov_b32 s43, 0xff7fffff
	s_waitcnt vmcnt(8) lgkmcnt(1)
	v_mfma_f32_16x16x16_f16 v[42:45], v[6:7], v[18:19], 0
	v_cndmask_b32_e32 v6, v64, v51, vcc
	v_ashrrev_i32_e32 v7, 31, v6
	v_cmp_gt_i32_e32 vcc, s33, v40
	s_waitcnt vmcnt(6)
	v_mfma_f32_16x16x16_f16 v[50:53], v[2:3], v[18:19], 0
	v_lshl_add_u64 v[2:3], v[6:7], 2, s[12:13]
	global_load_dword v66, v[2:3], off
	v_mfma_f32_16x16x16_f16 v[6:9], v[8:9], v[20:21], v[42:45]
	v_mfma_f32_16x16x16_f16 v[2:5], v[4:5], v[20:21], v[50:53]
	s_nop 1
	v_or_b32_e32 v42, 0xc0, v55
	v_add_u32_e32 v43, s7, v40
	v_add_u32_e32 v44, s7, v42
	s_waitcnt lgkmcnt(0)
	v_mfma_f32_16x16x16_f16 v[6:9], v[22:23], v[14:15], v[6:9]
	v_ashrrev_i32_e32 v43, 5, v43
	v_ashrrev_i32_e32 v44, 5, v44
	v_cndmask_b32_e32 v40, v64, v43, vcc
	s_waitcnt vmcnt(5)
	v_mfma_f32_16x16x16_f16 v[56:59], v[10:11], v[18:19], 0
	v_cmp_gt_i32_e32 vcc, s33, v42
	v_mfma_f32_16x16x16_f16 v[2:5], v[26:27], v[14:15], v[2:5]
	s_nop 0
	v_cndmask_b32_e32 v42, v64, v44, vcc
	v_lshl_add_u64 v[44:45], s[4:5], 0, v[38:39]
	v_lshl_or_b32 v38, v1, 10, v41
	v_ashrrev_i32_e32 v41, 31, v40
	v_mfma_f32_16x16x16_f16 v[22:25], v[24:25], v[16:17], v[6:9]
	v_ashrrev_i32_e32 v43, 31, v42
	s_nop 1
	v_lshl_add_u64 v[6:7], v[40:41], 2, s[12:13]
	v_mfma_f32_16x16x16_f16 v[10:13], v[12:13], v[20:21], v[56:59]
	s_nop 1
	v_pk_mul_f32 v[50:51], s[6:7], v[24:25] op_sel_hi:[0,1]
	v_mfma_f32_16x16x16_f16 v[26:29], v[28:29], v[16:17], v[2:5]
	s_nop 2
	v_lshl_add_u64 v[2:3], v[42:43], 2, s[12:13]
	global_load_dword v55, v[6:7], off
	global_load_dword v58, v[2:3], off
	s_waitcnt vmcnt(6)
	v_mfma_f32_16x16x16_f16 v[2:5], v[30:31], v[14:15], v[10:13]
	s_waitcnt vmcnt(3)
	v_mad_i64_i32 v[6:7], s[4:5], v65, s45, 0
	v_pk_mul_f32 v[42:43], s[6:7], v[26:27] op_sel_hi:[0,1]
	v_lshl_add_u64 v[10:11], v[44:45], 0, v[38:39]
	v_mfma_f32_16x16x16_f16 v[38:41], v[46:47], v[18:19], 0
	v_pk_mul_f32 v[52:53], s[6:7], v[28:29] op_sel_hi:[0,1]
	s_waitcnt vmcnt(2)
	v_mad_i64_i32 v[12:13], s[4:5], v66, s45, 0
	v_mfma_f32_16x16x16_f16 v[18:21], v[48:49], v[20:21], v[38:41]
	v_lshl_add_u64 v[56:57], v[12:13], 1, v[10:11]
	v_pk_mul_f32 v[12:13], s[6:7], v[22:23] op_sel_hi:[0,1]
	v_mfma_f32_16x16x16_f16 v[18:21], v[60:61], v[14:15], v[18:21]
	v_mfma_f32_16x16x16_f16 v[30:33], v[32:33], v[16:17], v[2:5]
	;; [unrolled: 1-line block ×3, first 2 shown]
	s_nop 1
	v_lshl_add_u64 v[2:3], v[6:7], 1, v[10:11]
	s_nop 2
	v_pk_mul_f32 v[48:49], s[6:7], v[30:31] op_sel_hi:[0,1]
	v_pk_mul_f32 v[46:47], s[6:7], v[32:33] op_sel_hi:[0,1]
	global_load_dwordx4 v[6:9], v[2:3], off
	s_nop 0
	global_load_dwordx4 v[2:5], v[2:3], off offset:16
	v_pk_mul_f32 v[44:45], s[6:7], v[14:15] op_sel_hi:[0,1]
	v_and_b32_e32 v14, 0xc0, v0
	v_add_u32_e32 v14, s14, v14
	v_lshl_or_b32 v14, v54, 2, v14
	v_pk_mul_f32 v[38:39], s[6:7], v[16:17] op_sel_hi:[0,1]
	v_or_b32_e32 v17, 1, v14
	v_mov_b32_e32 v15, 0xff7fffff
	v_cmp_gt_i32_e64 s[4:5], s33, v14
	v_cmp_gt_i32_e64 s[34:35], s33, v17
	v_or_b32_e32 v18, 3, v14
	v_cndmask_b32_e64 v16, v15, v12, s[4:5]
	v_cndmask_b32_e64 v17, v15, v13, s[34:35]
	v_max3_f32 v16, v16, s43, v17
	v_or_b32_e32 v17, 2, v14
	v_cmp_gt_i32_e64 s[36:37], s33, v17
	v_cmp_gt_i32_e64 s[38:39], s33, v18
	global_load_dwordx4 v[30:33], v[56:57], off
	global_load_dwordx4 v[26:29], v[56:57], off offset:16
	v_cndmask_b32_e64 v17, v15, v50, s[36:37]
	v_cndmask_b32_e64 v18, v15, v51, s[38:39]
	v_max3_f32 v16, v16, v17, v18
	v_or_b32_e32 v17, 16, v14
	v_or_b32_e32 v18, 17, v14
	v_cmp_gt_i32_e64 s[24:25], s33, v17
	v_cmp_gt_i32_e64 s[26:27], s33, v18
	s_nop 0
	v_cndmask_b32_e64 v17, v15, v42, s[24:25]
	v_cndmask_b32_e64 v18, v15, v43, s[26:27]
	v_max3_f32 v16, v16, v17, v18
	v_or_b32_e32 v17, 18, v14
	v_or_b32_e32 v18, 19, v14
	v_cmp_gt_i32_e64 s[20:21], s33, v17
	v_cmp_gt_i32_e64 s[22:23], s33, v18
	s_nop 0
	;; [unrolled: 8-line block ×5, first 2 shown]
	v_cndmask_b32_e64 v17, v15, v44, s[8:9]
	v_cndmask_b32_e64 v18, v15, v45, s[10:11]
	v_max3_f32 v16, v16, v17, v18
	v_or_b32_e32 v17, 50, v14
	v_or_b32_e32 v14, 51, v14
	v_cmp_gt_i32_e32 vcc, s33, v17
	v_cmp_gt_i32_e64 s[6:7], s33, v14
	s_nop 0
	v_cndmask_b32_e32 v17, v15, v38, vcc
	v_cndmask_b32_e64 v14, v15, v39, s[6:7]
	v_max3_f32 v16, v16, v17, v14
	v_mbcnt_lo_u32_b32 v14, -1, 0
	v_mbcnt_hi_u32_b32 v17, -1, v14
	v_and_b32_e32 v14, 64, v17
	v_add_u32_e32 v18, 64, v14
	v_xor_b32_e32 v14, 32, v17
	v_cmp_lt_i32_e64 s[40:41], v14, v18
	s_nop 1
	v_cndmask_b32_e64 v14, v17, v14, s[40:41]
	v_lshlrev_b32_e32 v59, 2, v14
	ds_bpermute_b32 v19, v59, v16
	s_waitcnt vmcnt(5)
	v_mad_i64_i32 v[14:15], s[40:41], v55, s45, 0
	v_lshl_add_u64 v[14:15], v[14:15], 1, v[10:11]
	s_waitcnt lgkmcnt(0)
	v_max_f32_e32 v19, v19, v19
	v_max_f32_e32 v16, v16, v19
	v_xor_b32_e32 v19, 16, v17
	v_cmp_lt_i32_e64 s[40:41], v19, v18
	s_nop 1
	v_cndmask_b32_e64 v17, v17, v19, s[40:41]
	v_lshlrev_b32_e32 v57, 2, v17
	ds_bpermute_b32 v17, v57, v16
	global_load_dwordx4 v[22:25], v[14:15], off
	global_load_dwordx4 v[18:21], v[14:15], off offset:16
	s_waitcnt vmcnt(6)
	v_mad_i64_i32 v[14:15], s[40:41], v58, s45, 0
	v_lshl_add_u64 v[10:11], v[14:15], 1, v[10:11]
	s_waitcnt lgkmcnt(0)
	v_max_f32_e32 v14, v17, v17
	v_max_f32_e32 v55, v16, v14
	v_sub_f32_e32 v12, v12, v55
	v_mul_f32_e32 v12, 0x3fb8aa3b, v12
	v_exp_f32_e32 v40, v12
	v_sub_f32_e32 v12, v13, v55
	v_mul_f32_e32 v12, 0x3fb8aa3b, v12
	v_exp_f32_e32 v41, v12
	global_load_dwordx4 v[14:17], v[10:11], off
	s_nop 0
	global_load_dwordx4 v[10:13], v[10:11], off offset:16
	v_sub_f32_e32 v50, v50, v55
	v_mul_f32_e32 v50, 0x3fb8aa3b, v50
	v_sub_f32_e32 v51, v51, v55
	v_exp_f32_e32 v50, v50
	v_mul_f32_e32 v51, 0x3fb8aa3b, v51
	v_sub_f32_e32 v42, v42, v55
	v_exp_f32_e32 v51, v51
	v_mul_f32_e32 v42, 0x3fb8aa3b, v42
	v_sub_f32_e32 v43, v43, v55
	v_cndmask_b32_e64 v40, 0, v40, s[4:5]
	v_exp_f32_e32 v42, v42
	v_mul_f32_e32 v43, 0x3fb8aa3b, v43
	v_sub_f32_e32 v52, v52, v55
	v_add_f32_e32 v56, 0, v40
	v_cndmask_b32_e64 v41, 0, v41, s[34:35]
	v_exp_f32_e32 v43, v43
	v_mul_f32_e32 v52, 0x3fb8aa3b, v52
	v_sub_f32_e32 v53, v53, v55
	v_add_f32_e32 v56, v56, v41
	;; [unrolled: 5-line block ×10, first 2 shown]
	v_cndmask_b32_e64 v46, 0, v46, s[12:13]
	v_exp_f32_e32 v38, v38
	v_mul_f32_e32 v39, 0x3fb8aa3b, v39
	v_add_f32_e32 v56, v56, v46
	v_cndmask_b32_e64 v47, 0, v47, s[14:15]
	v_exp_f32_e32 v39, v39
	v_add_f32_e32 v56, v56, v47
	v_cndmask_b32_e64 v44, 0, v44, s[8:9]
	v_add_f32_e32 v56, v56, v44
	v_cndmask_b32_e64 v45, 0, v45, s[10:11]
	v_add_f32_e32 v56, v56, v45
	v_cndmask_b32_e32 v38, 0, v38, vcc
	v_add_f32_e32 v56, v56, v38
	v_cndmask_b32_e64 v39, 0, v39, s[6:7]
	v_add_f32_e32 v56, v56, v39
	ds_bpermute_b32 v58, v59, v56
	v_cmp_gt_u32_e64 s[6:7], 16, v37
	v_lshlrev_b32_e32 v37, 2, v36
	s_waitcnt lgkmcnt(0)
	s_barrier
	v_add_f32_e32 v56, v56, v58
	ds_bpermute_b32 v57, v57, v56
	s_waitcnt lgkmcnt(0)
	s_and_saveexec_b64 s[4:5], s[6:7]
	s_cbranch_execz .LBB176_15
; %bb.14:
	v_add_f32_e32 v56, v56, v57
	v_lshl_or_b32 v57, v1, 6, v37
	ds_write2st64_b32 v57, v55, v56 offset1:1
.LBB176_15:
	s_or_b64 exec, exec, s[4:5]
	s_load_dword s8, s[0:1], 0x94
	s_waitcnt lgkmcnt(0)
	s_barrier
	ds_read2_b32 v[56:57], v37 offset1:16
	ds_read2_b32 v[58:59], v37 offset0:32 offset1:48
	ds_read2_b32 v[60:61], v37 offset0:64 offset1:80
	;; [unrolled: 1-line block ×3, first 2 shown]
	s_waitcnt lgkmcnt(0)
	v_max3_f32 v55, v56, s43, v57
	v_max3_f32 v55, v55, v58, v59
	v_sub_f32_e32 v56, v56, v55
	v_mul_f32_e32 v56, 0x3fb8aa3b, v56
	v_exp_f32_e32 v64, v56
	v_sub_f32_e32 v56, v57, v55
	v_mul_f32_e32 v56, 0x3fb8aa3b, v56
	v_exp_f32_e32 v57, v56
	v_sub_f32_e32 v56, v58, v55
	v_mul_f32_e32 v56, 0x3fb8aa3b, v56
	v_sub_f32_e32 v37, v59, v55
	v_exp_f32_e32 v58, v56
	v_mul_f32_e32 v37, 0x3fb8aa3b, v37
	v_exp_f32_e32 v37, v37
	v_fma_f32 v56, v64, v60, 0
	v_fmac_f32_e32 v56, v57, v61
	v_fmac_f32_e32 v56, v58, v62
	;; [unrolled: 1-line block ×3, first 2 shown]
	v_add_f32_e32 v59, 0x358637bd, v56
	v_div_scale_f32 v60, s[4:5], v59, v59, 1.0
	v_rcp_f32_e32 v61, v60
	s_barrier
	s_mul_i32 s9, s29, 5
	v_fma_f32 v62, -v60, v61, 1.0
	v_fmac_f32_e32 v61, v62, v61
	v_div_scale_f32 v62, vcc, 1.0, v59, 1.0
	v_mul_f32_e32 v63, v62, v61
	v_fma_f32 v65, -v60, v63, v62
	v_fmac_f32_e32 v63, v65, v61
	v_fma_f32 v60, -v60, v63, v62
	v_div_fmas_f32 v60, v60, v61, v63
	v_cmp_eq_u32_e32 vcc, 1, v1
	v_div_fixup_f32 v59, v60, v59, 1.0
	s_nop 0
	v_cndmask_b32_e32 v57, v64, v57, vcc
	v_cmp_eq_u32_e32 vcc, 2, v1
	s_nop 1
	v_cndmask_b32_e32 v57, v57, v58, vcc
	v_cmp_eq_u32_e32 vcc, 3, v1
	v_lshlrev_b32_e32 v1, 11, v1
	s_nop 0
	v_cndmask_b32_e32 v37, v57, v37, vcc
	v_mul_f32_e32 v58, v37, v59
	v_pk_mul_f32 v[50:51], v[58:59], v[50:51] op_sel_hi:[0,1]
	v_pk_mul_f32 v[40:41], v[58:59], v[40:41] op_sel_hi:[0,1]
	v_cvt_f16_f32_e32 v37, v40
	v_cvt_f16_f32_e32 v40, v41
	;; [unrolled: 1-line block ×4, first 2 shown]
	v_pk_mul_f32 v[52:53], v[58:59], v[52:53] op_sel_hi:[0,1]
	v_pk_mul_f32 v[42:43], v[58:59], v[42:43] op_sel_hi:[0,1]
	v_pack_b32_f16 v50, v37, v40
	v_pack_b32_f16 v51, v41, v51
	v_cvt_f16_f32_e32 v41, v42
	v_cvt_f16_f32_e32 v42, v43
	;; [unrolled: 1-line block ×4, first 2 shown]
	v_lshlrev_b32_e32 v37, 3, v54
	v_lshlrev_b32_e32 v40, 5, v36
	v_or3_b32 v1, v1, v40, v37
	v_pack_b32_f16 v42, v41, v42
	v_pack_b32_f16 v43, v43, v52
	ds_write2st64_b64 v1, v[50:51], v[42:43] offset1:1
	v_pk_mul_f32 v[42:43], v[58:59], v[46:47] op_sel_hi:[0,1]
	v_pk_mul_f32 v[46:47], v[58:59], v[48:49] op_sel_hi:[0,1]
	v_cvt_f16_f32_e32 v37, v46
	v_cvt_f16_f32_e32 v41, v47
	v_cvt_f16_f32_e32 v46, v42
	v_cvt_f16_f32_e32 v47, v43
	v_pk_mul_f32 v[38:39], v[58:59], v[38:39] op_sel_hi:[0,1]
	v_pk_mul_f32 v[42:43], v[58:59], v[44:45] op_sel_hi:[0,1]
	v_cvt_f16_f32_e32 v42, v42
	v_cvt_f16_f32_e32 v43, v43
	;; [unrolled: 1-line block ×4, first 2 shown]
	v_pack_b32_f16 v38, v37, v41
	v_pack_b32_f16 v39, v46, v47
	;; [unrolled: 1-line block ×4, first 2 shown]
	v_cmp_gt_u32_e32 vcc, 5, v0
	ds_write2st64_b64 v1, v[38:39], v[42:43] offset0:2 offset1:3
	s_and_saveexec_b64 s[4:5], vcc
	s_cbranch_execz .LBB176_17
; %bb.16:
	s_mov_b32 s43, 0
	v_mov_b32_e32 v37, 0
	v_lshl_add_u64 v[38:39], s[42:43], 0, v[36:37]
	v_mov_b32_e32 v36, s9
	v_mad_u64_u32 v[38:39], s[10:11], s2, v36, v[38:39]
	v_mov_b32_e32 v36, s28
	s_load_dwordx4 s[12:15], s[0:1], 0x58
	s_mul_i32 s3, s3, s9
	v_mad_u64_u32 v[36:37], s[10:11], v38, s8, v[36:37]
	v_add_u32_e32 v39, s3, v39
	v_mov_b32_e32 v38, v37
	v_mad_u64_u32 v[38:39], s[10:11], v39, s8, v[38:39]
	v_mov_b32_e32 v37, v38
	v_lshlrev_b64 v[36:37], 2, v[36:37]
	s_waitcnt lgkmcnt(0)
	v_lshl_add_u64 v[38:39], s[14:15], 0, v[36:37]
	v_lshl_add_u64 v[36:37], s[12:13], 0, v[36:37]
	global_store_dword v[38:39], v55, off
	global_store_dword v[36:37], v56, off
.LBB176_17:
	s_or_b64 exec, exec, s[4:5]
	v_lshl_or_b32 v48, v54, 9, v40
	s_waitcnt lgkmcnt(0)
	s_barrier
	ds_read_b128 v[36:39], v48
	ds_read_b128 v[40:43], v48 offset:16
	s_waitcnt vmcnt(7) lgkmcnt(1)
	v_mfma_f32_16x16x16_f16 v[44:47], v[6:7], v[36:37], 0
	v_cmp_gt_u32_e32 vcc, 64, v0
	s_mov_b32 s3, 0
	s_and_b64 s[4:5], vcc, s[30:31]
	v_mfma_f32_16x16x16_f16 v[6:9], v[8:9], v[38:39], v[44:47]
	s_waitcnt vmcnt(6) lgkmcnt(0)
	v_mfma_f32_16x16x16_f16 v[6:9], v[2:3], v[40:41], v[6:9]
	v_mfma_f32_16x16x16_f16 v[2:5], v[4:5], v[42:43], v[6:9]
	s_nop 5
	ds_read_b128 v[6:9], v48 offset:2048
	ds_read_b128 v[36:39], v48 offset:2064
	s_waitcnt vmcnt(5) lgkmcnt(1)
	v_mfma_f32_16x16x16_f16 v[2:5], v[30:31], v[6:7], v[2:5]
	v_mfma_f32_16x16x16_f16 v[2:5], v[32:33], v[8:9], v[2:5]
	s_waitcnt vmcnt(4) lgkmcnt(0)
	v_mfma_f32_16x16x16_f16 v[2:5], v[26:27], v[36:37], v[2:5]
	v_mfma_f32_16x16x16_f16 v[2:5], v[28:29], v[38:39], v[2:5]
	ds_read_b128 v[6:9], v48 offset:4096
	ds_read_b128 v[26:29], v48 offset:4112
	s_waitcnt vmcnt(3) lgkmcnt(1)
	v_mfma_f32_16x16x16_f16 v[2:5], v[22:23], v[6:7], v[2:5]
	v_mfma_f32_16x16x16_f16 v[2:5], v[24:25], v[8:9], v[2:5]
	s_waitcnt vmcnt(2) lgkmcnt(0)
	v_mfma_f32_16x16x16_f16 v[2:5], v[18:19], v[26:27], v[2:5]
	v_mfma_f32_16x16x16_f16 v[2:5], v[20:21], v[28:29], v[2:5]
	ds_read_b128 v[6:9], v48 offset:6144
	ds_read_b128 v[18:21], v48 offset:6160
	s_waitcnt lgkmcnt(0)
	s_barrier
	s_waitcnt vmcnt(1)
	v_mfma_f32_16x16x16_f16 v[2:5], v[14:15], v[6:7], v[2:5]
	v_mfma_f32_16x16x16_f16 v[2:5], v[16:17], v[8:9], v[2:5]
	s_waitcnt vmcnt(0)
	v_mfma_f32_16x16x16_f16 v[2:5], v[10:11], v[18:19], v[2:5]
	v_mfma_f32_16x16x16_f16 v[2:5], v[12:13], v[20:21], v[2:5]
	s_nop 6
	v_cvt_f16_f32_e32 v2, v2
	v_cvt_f16_f32_e32 v3, v3
	;; [unrolled: 1-line block ×4, first 2 shown]
	v_pack_b32_f16 v2, v2, v3
	v_pack_b32_f16 v3, v4, v5
	ds_write_b64 v1, v[2:3]
	s_waitcnt lgkmcnt(0)
	s_barrier
	s_and_saveexec_b64 s[10:11], s[4:5]
	s_cbranch_execz .LBB176_20
; %bb.18:
	s_load_dwordx2 s[4:5], s[0:1], 0x68
	s_lshl_b32 s0, s8, 6
	s_mul_i32 s1, s9, s2
	s_mul_hi_u32 s9, s1, s0
	s_mul_i32 s8, s1, s0
	v_lshlrev_b32_e32 v1, 10, v0
	v_lshlrev_b32_e32 v0, 4, v0
	s_lshl_b64 s[8:9], s[8:9], 1
	v_and_b32_e32 v1, 0x1800, v1
	v_lshlrev_b32_e32 v2, 5, v54
	v_and_b32_e32 v0, 16, v0
	s_waitcnt lgkmcnt(0)
	s_add_u32 s1, s4, s8
	v_or3_b32 v2, v1, v2, v0
	s_addc_u32 s4, s5, s9
	s_lshl_b32 s2, s28, 6
	s_lshl_b64 s[2:3], s[2:3], 1
	ds_read_b128 v[4:7], v2
	s_add_u32 s2, s1, s2
	s_addc_u32 s3, s4, s3
	v_add_u32_e32 v3, s42, v54
	v_lshl_add_u64 v[0:1], v[34:35], 1, s[2:3]
	v_mad_u64_u32 v[8:9], s[2:3], v3, s0, 0
	v_lshl_add_u64 v[8:9], v[8:9], 1, v[0:1]
	s_waitcnt lgkmcnt(0)
	global_store_dwordx4 v[8:9], v[4:7], off
	s_and_b64 exec, exec, s[6:7]
	s_cbranch_execz .LBB176_20
; %bb.19:
	ds_read_b128 v[2:5], v2 offset:128
	v_add3_u32 v6, s42, v54, 4
	v_mad_u64_u32 v[6:7], s[0:1], v6, s0, 0
	v_lshl_add_u64 v[0:1], v[6:7], 1, v[0:1]
	s_waitcnt lgkmcnt(0)
	global_store_dwordx4 v[0:1], v[2:5], off
.LBB176_20:
	s_endpgm
	.section	.rodata,"a",@progbits
	.p2align	6, 0x0
	.amdhsa_kernel _Z39paged_attention_ll4mi_QKV_mfma16_kernelIDF16_DF16_LN4vllm18Fp8KVCacheDataTypeE0EDF16_Li32ELi64ELi256ELb0ELi5EEvPKT_PKT0_S7_ifPKiS9_S9_iPKfiiiPfSC_PS2_PT2_iSB_SB_
		.amdhsa_group_segment_fixed_size 8192
		.amdhsa_private_segment_fixed_size 0
		.amdhsa_kernarg_size 400
		.amdhsa_user_sgpr_count 2
		.amdhsa_user_sgpr_dispatch_ptr 0
		.amdhsa_user_sgpr_queue_ptr 0
		.amdhsa_user_sgpr_kernarg_segment_ptr 1
		.amdhsa_user_sgpr_dispatch_id 0
		.amdhsa_user_sgpr_kernarg_preload_length 0
		.amdhsa_user_sgpr_kernarg_preload_offset 0
		.amdhsa_user_sgpr_private_segment_size 0
		.amdhsa_uses_dynamic_stack 0
		.amdhsa_enable_private_segment 0
		.amdhsa_system_sgpr_workgroup_id_x 1
		.amdhsa_system_sgpr_workgroup_id_y 1
		.amdhsa_system_sgpr_workgroup_id_z 1
		.amdhsa_system_sgpr_workgroup_info 0
		.amdhsa_system_vgpr_workitem_id 0
		.amdhsa_next_free_vgpr 67
		.amdhsa_next_free_sgpr 48
		.amdhsa_accum_offset 68
		.amdhsa_reserve_vcc 1
		.amdhsa_float_round_mode_32 0
		.amdhsa_float_round_mode_16_64 0
		.amdhsa_float_denorm_mode_32 3
		.amdhsa_float_denorm_mode_16_64 3
		.amdhsa_dx10_clamp 1
		.amdhsa_ieee_mode 1
		.amdhsa_fp16_overflow 0
		.amdhsa_tg_split 0
		.amdhsa_exception_fp_ieee_invalid_op 0
		.amdhsa_exception_fp_denorm_src 0
		.amdhsa_exception_fp_ieee_div_zero 0
		.amdhsa_exception_fp_ieee_overflow 0
		.amdhsa_exception_fp_ieee_underflow 0
		.amdhsa_exception_fp_ieee_inexact 0
		.amdhsa_exception_int_div_zero 0
	.end_amdhsa_kernel
	.section	.text._Z39paged_attention_ll4mi_QKV_mfma16_kernelIDF16_DF16_LN4vllm18Fp8KVCacheDataTypeE0EDF16_Li32ELi64ELi256ELb0ELi5EEvPKT_PKT0_S7_ifPKiS9_S9_iPKfiiiPfSC_PS2_PT2_iSB_SB_,"axG",@progbits,_Z39paged_attention_ll4mi_QKV_mfma16_kernelIDF16_DF16_LN4vllm18Fp8KVCacheDataTypeE0EDF16_Li32ELi64ELi256ELb0ELi5EEvPKT_PKT0_S7_ifPKiS9_S9_iPKfiiiPfSC_PS2_PT2_iSB_SB_,comdat
.Lfunc_end176:
	.size	_Z39paged_attention_ll4mi_QKV_mfma16_kernelIDF16_DF16_LN4vllm18Fp8KVCacheDataTypeE0EDF16_Li32ELi64ELi256ELb0ELi5EEvPKT_PKT0_S7_ifPKiS9_S9_iPKfiiiPfSC_PS2_PT2_iSB_SB_, .Lfunc_end176-_Z39paged_attention_ll4mi_QKV_mfma16_kernelIDF16_DF16_LN4vllm18Fp8KVCacheDataTypeE0EDF16_Li32ELi64ELi256ELb0ELi5EEvPKT_PKT0_S7_ifPKiS9_S9_iPKfiiiPfSC_PS2_PT2_iSB_SB_
                                        ; -- End function
	.section	.AMDGPU.csdata,"",@progbits
; Kernel info:
; codeLenInByte = 3904
; NumSgprs: 54
; NumVgprs: 67
; NumAgprs: 0
; TotalNumVgprs: 67
; ScratchSize: 0
; MemoryBound: 0
; FloatMode: 240
; IeeeMode: 1
; LDSByteSize: 8192 bytes/workgroup (compile time only)
; SGPRBlocks: 6
; VGPRBlocks: 8
; NumSGPRsForWavesPerEU: 54
; NumVGPRsForWavesPerEU: 67
; AccumOffset: 68
; Occupancy: 7
; WaveLimiterHint : 1
; COMPUTE_PGM_RSRC2:SCRATCH_EN: 0
; COMPUTE_PGM_RSRC2:USER_SGPR: 2
; COMPUTE_PGM_RSRC2:TRAP_HANDLER: 0
; COMPUTE_PGM_RSRC2:TGID_X_EN: 1
; COMPUTE_PGM_RSRC2:TGID_Y_EN: 1
; COMPUTE_PGM_RSRC2:TGID_Z_EN: 1
; COMPUTE_PGM_RSRC2:TIDIG_COMP_CNT: 0
; COMPUTE_PGM_RSRC3_GFX90A:ACCUM_OFFSET: 16
; COMPUTE_PGM_RSRC3_GFX90A:TG_SPLIT: 0
	.section	.text._Z39paged_attention_ll4mi_QKV_mfma16_kernelIDF16_DF16_LN4vllm18Fp8KVCacheDataTypeE0EDF16_Li32ELi64ELi256ELb0ELi6EEvPKT_PKT0_S7_ifPKiS9_S9_iPKfiiiPfSC_PS2_PT2_iSB_SB_,"axG",@progbits,_Z39paged_attention_ll4mi_QKV_mfma16_kernelIDF16_DF16_LN4vllm18Fp8KVCacheDataTypeE0EDF16_Li32ELi64ELi256ELb0ELi6EEvPKT_PKT0_S7_ifPKiS9_S9_iPKfiiiPfSC_PS2_PT2_iSB_SB_,comdat
	.protected	_Z39paged_attention_ll4mi_QKV_mfma16_kernelIDF16_DF16_LN4vllm18Fp8KVCacheDataTypeE0EDF16_Li32ELi64ELi256ELb0ELi6EEvPKT_PKT0_S7_ifPKiS9_S9_iPKfiiiPfSC_PS2_PT2_iSB_SB_ ; -- Begin function _Z39paged_attention_ll4mi_QKV_mfma16_kernelIDF16_DF16_LN4vllm18Fp8KVCacheDataTypeE0EDF16_Li32ELi64ELi256ELb0ELi6EEvPKT_PKT0_S7_ifPKiS9_S9_iPKfiiiPfSC_PS2_PT2_iSB_SB_
	.globl	_Z39paged_attention_ll4mi_QKV_mfma16_kernelIDF16_DF16_LN4vllm18Fp8KVCacheDataTypeE0EDF16_Li32ELi64ELi256ELb0ELi6EEvPKT_PKT0_S7_ifPKiS9_S9_iPKfiiiPfSC_PS2_PT2_iSB_SB_
	.p2align	8
	.type	_Z39paged_attention_ll4mi_QKV_mfma16_kernelIDF16_DF16_LN4vllm18Fp8KVCacheDataTypeE0EDF16_Li32ELi64ELi256ELb0ELi6EEvPKT_PKT0_S7_ifPKiS9_S9_iPKfiiiPfSC_PS2_PT2_iSB_SB_,@function
_Z39paged_attention_ll4mi_QKV_mfma16_kernelIDF16_DF16_LN4vllm18Fp8KVCacheDataTypeE0EDF16_Li32ELi64ELi256ELb0ELi6EEvPKT_PKT0_S7_ifPKiS9_S9_iPKfiiiPfSC_PS2_PT2_iSB_SB_: ; @_Z39paged_attention_ll4mi_QKV_mfma16_kernelIDF16_DF16_LN4vllm18Fp8KVCacheDataTypeE0EDF16_Li32ELi64ELi256ELb0ELi6EEvPKT_PKT0_S7_ifPKiS9_S9_iPKfiiiPfSC_PS2_PT2_iSB_SB_
; %bb.0:
	s_load_dwordx2 s[6:7], s[0:1], 0x30
	s_mov_b32 s28, s3
	s_mov_b64 s[10:11], 0
	s_waitcnt lgkmcnt(0)
	s_cmp_lg_u64 s[6:7], 0
	s_cselect_b64 s[8:9], -1, 0
	s_and_b64 vcc, exec, s[8:9]
	s_cbranch_vccz .LBB177_7
; %bb.1:
	s_add_i32 s12, s2, 1
	s_mov_b32 s13, 0
	s_lshl_b64 s[14:15], s[12:13], 2
	s_add_u32 s14, s6, s14
	s_mov_b32 s3, s13
	s_addc_u32 s15, s7, s15
	s_lshl_b64 s[12:13], s[2:3], 2
	s_add_u32 s12, s6, s12
	s_addc_u32 s13, s7, s13
	s_load_dword s5, s[14:15], 0x0
	s_load_dword s16, s[12:13], 0x0
	s_waitcnt lgkmcnt(0)
	s_sub_i32 s5, s5, s16
	s_cmp_eq_u32 s5, 1
	s_cselect_b64 s[12:13], -1, 0
	s_andn2_b64 vcc, exec, s[10:11]
	s_cbranch_vccnz .LBB177_3
.LBB177_2:
	s_mov_b32 s3, 0
	s_mov_b64 s[12:13], -1
.LBB177_3:
	s_andn2_b64 vcc, exec, s[12:13]
	s_cbranch_vccnz .LBB177_20
; %bb.4:
	s_load_dwordx2 s[12:13], s[0:1], 0x28
	s_lshl_b64 s[10:11], s[2:3], 2
	s_waitcnt lgkmcnt(0)
	s_add_u32 s12, s12, s10
	s_addc_u32 s13, s13, s11
	s_load_dword s33, s[12:13], 0x0
	s_lshl_b32 s14, s28, 8
	s_waitcnt lgkmcnt(0)
	s_cmp_ge_i32 s14, s33
	s_cbranch_scc1 .LBB177_20
; %bb.5:
	s_load_dwordx2 s[12:13], s[0:1], 0x20
	s_load_dword s5, s[0:1], 0x38
	s_add_i32 s15, s33, 31
	s_ashr_i32 s16, s15, 31
	v_and_b32_e32 v1, 0xcf, v0
	s_lshr_b32 s16, s16, 27
	v_add_u32_e32 v1, s14, v1
	s_add_i32 s15, s15, s16
	v_ashrrev_i32_e32 v2, 31, v1
	s_ashr_i32 s15, s15, 5
	v_lshrrev_b32_e32 v10, 27, v2
	s_add_i32 s15, s15, -1
	s_waitcnt lgkmcnt(0)
	s_mul_i32 s16, s2, s5
	s_mov_b32 s17, 0
	v_add_u32_e32 v2, v1, v10
	s_lshl_b64 s[16:17], s[16:17], 2
	v_ashrrev_i32_e32 v2, 5, v2
	v_mov_b32_e32 v11, s15
	v_cmp_gt_i32_e32 vcc, s33, v1
	s_add_u32 s12, s12, s16
	s_addc_u32 s13, s13, s17
	v_cndmask_b32_e32 v2, v11, v2, vcc
	v_ashrrev_i32_e32 v3, 31, v2
	v_lshl_add_u64 v[4:5], v[2:3], 2, s[12:13]
	v_or_b32_e32 v2, 16, v1
	v_add_u32_e32 v3, v2, v10
	v_ashrrev_i32_e32 v3, 5, v3
	v_cmp_gt_i32_e32 vcc, s33, v2
	s_nop 1
	v_cndmask_b32_e32 v2, v11, v3, vcc
	v_ashrrev_i32_e32 v3, 31, v2
	v_lshl_add_u64 v[6:7], v[2:3], 2, s[12:13]
	v_or_b32_e32 v2, 32, v1
	v_add_u32_e32 v3, v2, v10
	v_ashrrev_i32_e32 v3, 5, v3
	v_cmp_gt_i32_e32 vcc, s33, v2
	v_or_b32_e32 v1, 48, v1
	s_nop 0
	v_cndmask_b32_e32 v2, v11, v3, vcc
	v_ashrrev_i32_e32 v3, 31, v2
	v_lshl_add_u64 v[8:9], v[2:3], 2, s[12:13]
	v_add_u32_e32 v2, v1, v10
	v_ashrrev_i32_e32 v2, 5, v2
	v_cmp_gt_i32_e32 vcc, s33, v1
	s_nop 1
	v_cndmask_b32_e32 v2, v11, v2, vcc
	v_ashrrev_i32_e32 v3, 31, v2
	v_lshl_add_u64 v[12:13], v[2:3], 2, s[12:13]
	global_load_dword v3, v[4:5], off
	global_load_dword v2, v[6:7], off
	global_load_dword v10, v[8:9], off
	global_load_dword v16, v[12:13], off
	s_andn2_b64 vcc, exec, s[8:9]
	s_cbranch_vccnz .LBB177_8
; %bb.6:
	s_add_u32 s6, s6, s10
	s_addc_u32 s7, s7, s11
	s_load_dword s5, s[6:7], 0x0
	s_branch .LBB177_9
.LBB177_7:
	s_mov_b64 s[12:13], 0
	s_branch .LBB177_2
.LBB177_8:
	s_mov_b32 s5, s2
.LBB177_9:
	s_load_dwordx4 s[8:11], s[0:1], 0x8
	s_load_dwordx4 s[44:47], s[0:1], 0x48
	v_lshrrev_b32_e32 v1, 6, v0
	v_bfe_u32 v54, v0, 4, 2
	v_lshl_or_b32 v4, v1, 2, v54
	v_and_b32_e32 v36, 15, v0
	v_cmp_lt_u32_e32 vcc, 5, v4
	v_cmp_lt_u32_e64 s[6:7], 7, v36
	v_lshlrev_b32_e32 v34, 3, v36
	v_cmp_gt_u32_e64 s[30:31], 8, v36
	s_or_b64 s[6:7], s[6:7], vcc
	s_and_saveexec_b64 s[16:17], s[6:7]
	s_xor_b64 s[6:7], exec, s[16:17]
; %bb.10:
	v_mov_b32_e32 v35, 0
                                        ; implicit-def: $vgpr4
; %bb.11:
	s_or_saveexec_b64 s[6:7], s[6:7]
	v_and_b32_e32 v37, 63, v0
	s_mul_i32 s42, s4, 6
	s_xor_b64 exec, exec, s[6:7]
	s_cbranch_execz .LBB177_13
; %bb.12:
	s_load_dwordx2 s[16:17], s[0:1], 0x0
	s_waitcnt lgkmcnt(0)
	s_ashr_i32 s18, s44, 31
	s_mul_hi_u32 s19, s5, s44
	s_mul_i32 s18, s5, s18
	s_add_i32 s19, s19, s18
	s_mul_i32 s18, s5, s44
	s_lshl_b64 s[18:19], s[18:19], 1
	s_add_u32 s16, s16, s18
	v_add_lshl_u32 v6, v4, s42, 6
	s_addc_u32 s17, s17, s19
	v_ashrrev_i32_e32 v7, 31, v6
	v_mov_b32_e32 v35, 0
	v_lshl_add_u64 v[6:7], v[6:7], 1, s[16:17]
	v_lshlrev_b32_e32 v8, 1, v34
	v_mov_b32_e32 v9, v35
	v_lshl_add_u64 v[6:7], v[6:7], 0, v[8:9]
	global_load_dwordx4 v[6:9], v[6:7], off
	v_and_b32_e32 v5, 3, v0
	v_lshlrev_b32_e32 v11, 9, v36
	v_lshlrev_b32_e32 v4, 5, v4
	;; [unrolled: 1-line block ×3, first 2 shown]
	v_and_b32_e32 v11, 0x1800, v11
	v_or3_b32 v4, v11, v5, v4
	s_waitcnt vmcnt(0)
	ds_write_b128 v4, v[6:9]
.LBB177_13:
	s_or_b64 exec, exec, s[6:7]
	s_waitcnt lgkmcnt(0)
	s_mul_i32 s4, s4, s46
	s_mov_b32 s5, 0
	s_lshl_b64 s[4:5], s[4:5], 1
	s_add_u32 s8, s8, s4
	s_addc_u32 s9, s9, s5
	s_waitcnt vmcnt(3)
	v_mad_i64_i32 v[4:5], s[16:17], v3, s45, 0
	v_lshl_add_u64 v[4:5], v[4:5], 1, s[8:9]
	v_lshlrev_b64 v[12:13], 1, v[34:35]
	v_lshlrev_b32_e32 v38, 9, v54
	v_lshl_add_u64 v[4:5], v[4:5], 0, v[12:13]
	v_mov_b32_e32 v39, 0
	v_lshl_add_u64 v[14:15], v[4:5], 0, v[38:39]
	s_waitcnt vmcnt(2)
	v_mad_i64_i32 v[2:3], s[16:17], v2, s45, 0
	v_mov_b32_e32 v4, 0x100
	v_lshl_add_u64 v[2:3], v[2:3], 1, s[8:9]
	v_lshl_or_b32 v30, v36, 4, v4
	v_mov_b32_e32 v31, v39
	s_load_dword s29, s[0:1], 0x98
	s_load_dword s6, s[0:1], 0x1c
	s_waitcnt lgkmcnt(0)
	s_barrier
	v_lshl_add_u64 v[2:3], v[2:3], 0, v[30:31]
	global_load_dwordx4 v[6:9], v[14:15], off
	global_load_dwordx4 v[22:25], v[14:15], off offset:2048
	v_lshl_add_u64 v[18:19], v[2:3], 0, v[38:39]
	global_load_dwordx4 v[2:5], v[18:19], off
	global_load_dwordx4 v[26:29], v[18:19], off offset:2048
	s_waitcnt vmcnt(5)
	v_mad_i64_i32 v[10:11], s[16:17], v10, s45, 0
	v_lshl_add_u64 v[10:11], v[10:11], 1, s[8:9]
	v_lshl_add_u64 v[10:11], v[10:11], 0, v[12:13]
	v_lshl_add_u64 v[32:33], v[10:11], 0, v[38:39]
	global_load_dwordx4 v[10:13], v[32:33], off
	v_mul_lo_u16_e32 v20, 43, v36
	v_mov_b32_e32 v21, 6
	s_waitcnt vmcnt(5)
	v_mad_i64_i32 v[16:17], s[16:17], v16, s45, 0
	v_mul_lo_u16_sdwa v14, v20, v21 dst_sel:DWORD dst_unused:UNUSED_PAD src0_sel:BYTE_1 src1_sel:DWORD
	v_sub_u16_e32 v14, v36, v14
	v_lshl_add_u64 v[40:41], v[16:17], 1, s[8:9]
	v_and_b32_e32 v14, 0xff, v14
	v_lshl_add_u64 v[30:31], v[40:41], 0, v[30:31]
	v_lshl_add_u32 v14, v14, 5, v38
	v_lshl_add_u64 v[40:41], v[30:31], 0, v[38:39]
	ds_read_b128 v[18:21], v14
	ds_read_b128 v[14:17], v14 offset:2048
	global_load_dwordx4 v[30:33], v[32:33], off offset:2048
	s_ashr_i32 s7, s14, 31
	global_load_dwordx4 v[46:49], v[40:41], off
	global_load_dwordx4 v[60:63], v[40:41], off offset:2048
	v_and_or_b32 v55, v0, 48, s14
	s_lshr_b32 s7, s7, 27
	v_add_u32_e32 v42, s7, v55
	v_mov_b32_e32 v64, s15
	v_or_b32_e32 v50, 64, v55
	v_ashrrev_i32_e32 v38, 5, v42
	v_cmp_gt_i32_e32 vcc, s33, v55
	v_add_u32_e32 v43, s7, v50
	v_ashrrev_i32_e32 v51, 5, v43
	v_cndmask_b32_e32 v42, v64, v38, vcc
	v_ashrrev_i32_e32 v43, 31, v42
	v_lshl_add_u64 v[42:43], v[42:43], 2, s[12:13]
	v_cmp_gt_i32_e32 vcc, s33, v50
	global_load_dword v65, v[42:43], off
	v_or_b32_e32 v40, 0x80, v55
	v_and_b32_e32 v38, 16, v0
	s_add_u32 s4, s10, s4
	v_lshlrev_b32_e32 v41, 6, v36
	s_addc_u32 s5, s11, s5
	v_lshlrev_b32_e32 v38, 1, v38
	s_mov_b32 s43, 0xff7fffff
	s_waitcnt vmcnt(8) lgkmcnt(1)
	v_mfma_f32_16x16x16_f16 v[42:45], v[6:7], v[18:19], 0
	v_cndmask_b32_e32 v6, v64, v51, vcc
	v_ashrrev_i32_e32 v7, 31, v6
	v_cmp_gt_i32_e32 vcc, s33, v40
	s_waitcnt vmcnt(6)
	v_mfma_f32_16x16x16_f16 v[50:53], v[2:3], v[18:19], 0
	v_lshl_add_u64 v[2:3], v[6:7], 2, s[12:13]
	global_load_dword v66, v[2:3], off
	v_mfma_f32_16x16x16_f16 v[6:9], v[8:9], v[20:21], v[42:45]
	v_mfma_f32_16x16x16_f16 v[2:5], v[4:5], v[20:21], v[50:53]
	s_nop 1
	v_or_b32_e32 v42, 0xc0, v55
	v_add_u32_e32 v43, s7, v40
	v_add_u32_e32 v44, s7, v42
	s_waitcnt lgkmcnt(0)
	v_mfma_f32_16x16x16_f16 v[6:9], v[22:23], v[14:15], v[6:9]
	v_ashrrev_i32_e32 v43, 5, v43
	v_ashrrev_i32_e32 v44, 5, v44
	v_cndmask_b32_e32 v40, v64, v43, vcc
	s_waitcnt vmcnt(5)
	v_mfma_f32_16x16x16_f16 v[56:59], v[10:11], v[18:19], 0
	v_cmp_gt_i32_e32 vcc, s33, v42
	v_mfma_f32_16x16x16_f16 v[2:5], v[26:27], v[14:15], v[2:5]
	s_nop 0
	v_cndmask_b32_e32 v42, v64, v44, vcc
	v_lshl_add_u64 v[44:45], s[4:5], 0, v[38:39]
	v_lshl_or_b32 v38, v1, 10, v41
	v_ashrrev_i32_e32 v41, 31, v40
	v_mfma_f32_16x16x16_f16 v[22:25], v[24:25], v[16:17], v[6:9]
	v_ashrrev_i32_e32 v43, 31, v42
	s_nop 1
	v_lshl_add_u64 v[6:7], v[40:41], 2, s[12:13]
	v_mfma_f32_16x16x16_f16 v[10:13], v[12:13], v[20:21], v[56:59]
	s_nop 1
	v_pk_mul_f32 v[50:51], s[6:7], v[24:25] op_sel_hi:[0,1]
	v_mfma_f32_16x16x16_f16 v[26:29], v[28:29], v[16:17], v[2:5]
	s_nop 2
	v_lshl_add_u64 v[2:3], v[42:43], 2, s[12:13]
	global_load_dword v55, v[6:7], off
	global_load_dword v58, v[2:3], off
	s_waitcnt vmcnt(6)
	v_mfma_f32_16x16x16_f16 v[2:5], v[30:31], v[14:15], v[10:13]
	s_waitcnt vmcnt(3)
	v_mad_i64_i32 v[6:7], s[4:5], v65, s45, 0
	v_pk_mul_f32 v[42:43], s[6:7], v[26:27] op_sel_hi:[0,1]
	v_lshl_add_u64 v[10:11], v[44:45], 0, v[38:39]
	v_mfma_f32_16x16x16_f16 v[38:41], v[46:47], v[18:19], 0
	v_pk_mul_f32 v[52:53], s[6:7], v[28:29] op_sel_hi:[0,1]
	s_waitcnt vmcnt(2)
	v_mad_i64_i32 v[12:13], s[4:5], v66, s45, 0
	v_mfma_f32_16x16x16_f16 v[18:21], v[48:49], v[20:21], v[38:41]
	v_lshl_add_u64 v[56:57], v[12:13], 1, v[10:11]
	v_pk_mul_f32 v[12:13], s[6:7], v[22:23] op_sel_hi:[0,1]
	v_mfma_f32_16x16x16_f16 v[18:21], v[60:61], v[14:15], v[18:21]
	v_mfma_f32_16x16x16_f16 v[30:33], v[32:33], v[16:17], v[2:5]
	;; [unrolled: 1-line block ×3, first 2 shown]
	s_nop 1
	v_lshl_add_u64 v[2:3], v[6:7], 1, v[10:11]
	s_nop 2
	v_pk_mul_f32 v[48:49], s[6:7], v[30:31] op_sel_hi:[0,1]
	v_pk_mul_f32 v[46:47], s[6:7], v[32:33] op_sel_hi:[0,1]
	global_load_dwordx4 v[6:9], v[2:3], off
	s_nop 0
	global_load_dwordx4 v[2:5], v[2:3], off offset:16
	v_pk_mul_f32 v[44:45], s[6:7], v[14:15] op_sel_hi:[0,1]
	v_and_b32_e32 v14, 0xc0, v0
	v_add_u32_e32 v14, s14, v14
	v_lshl_or_b32 v14, v54, 2, v14
	v_pk_mul_f32 v[38:39], s[6:7], v[16:17] op_sel_hi:[0,1]
	v_or_b32_e32 v17, 1, v14
	v_mov_b32_e32 v15, 0xff7fffff
	v_cmp_gt_i32_e64 s[4:5], s33, v14
	v_cmp_gt_i32_e64 s[34:35], s33, v17
	v_or_b32_e32 v18, 3, v14
	v_cndmask_b32_e64 v16, v15, v12, s[4:5]
	v_cndmask_b32_e64 v17, v15, v13, s[34:35]
	v_max3_f32 v16, v16, s43, v17
	v_or_b32_e32 v17, 2, v14
	v_cmp_gt_i32_e64 s[36:37], s33, v17
	v_cmp_gt_i32_e64 s[38:39], s33, v18
	global_load_dwordx4 v[30:33], v[56:57], off
	global_load_dwordx4 v[26:29], v[56:57], off offset:16
	v_cndmask_b32_e64 v17, v15, v50, s[36:37]
	v_cndmask_b32_e64 v18, v15, v51, s[38:39]
	v_max3_f32 v16, v16, v17, v18
	v_or_b32_e32 v17, 16, v14
	v_or_b32_e32 v18, 17, v14
	v_cmp_gt_i32_e64 s[24:25], s33, v17
	v_cmp_gt_i32_e64 s[26:27], s33, v18
	s_nop 0
	v_cndmask_b32_e64 v17, v15, v42, s[24:25]
	v_cndmask_b32_e64 v18, v15, v43, s[26:27]
	v_max3_f32 v16, v16, v17, v18
	v_or_b32_e32 v17, 18, v14
	v_or_b32_e32 v18, 19, v14
	v_cmp_gt_i32_e64 s[20:21], s33, v17
	v_cmp_gt_i32_e64 s[22:23], s33, v18
	s_nop 0
	;; [unrolled: 8-line block ×5, first 2 shown]
	v_cndmask_b32_e64 v17, v15, v44, s[8:9]
	v_cndmask_b32_e64 v18, v15, v45, s[10:11]
	v_max3_f32 v16, v16, v17, v18
	v_or_b32_e32 v17, 50, v14
	v_or_b32_e32 v14, 51, v14
	v_cmp_gt_i32_e32 vcc, s33, v17
	v_cmp_gt_i32_e64 s[6:7], s33, v14
	s_nop 0
	v_cndmask_b32_e32 v17, v15, v38, vcc
	v_cndmask_b32_e64 v14, v15, v39, s[6:7]
	v_max3_f32 v16, v16, v17, v14
	v_mbcnt_lo_u32_b32 v14, -1, 0
	v_mbcnt_hi_u32_b32 v17, -1, v14
	v_and_b32_e32 v14, 64, v17
	v_add_u32_e32 v18, 64, v14
	v_xor_b32_e32 v14, 32, v17
	v_cmp_lt_i32_e64 s[40:41], v14, v18
	s_nop 1
	v_cndmask_b32_e64 v14, v17, v14, s[40:41]
	v_lshlrev_b32_e32 v59, 2, v14
	ds_bpermute_b32 v19, v59, v16
	s_waitcnt vmcnt(5)
	v_mad_i64_i32 v[14:15], s[40:41], v55, s45, 0
	v_lshl_add_u64 v[14:15], v[14:15], 1, v[10:11]
	s_waitcnt lgkmcnt(0)
	v_max_f32_e32 v19, v19, v19
	v_max_f32_e32 v16, v16, v19
	v_xor_b32_e32 v19, 16, v17
	v_cmp_lt_i32_e64 s[40:41], v19, v18
	s_nop 1
	v_cndmask_b32_e64 v17, v17, v19, s[40:41]
	v_lshlrev_b32_e32 v57, 2, v17
	ds_bpermute_b32 v17, v57, v16
	global_load_dwordx4 v[22:25], v[14:15], off
	global_load_dwordx4 v[18:21], v[14:15], off offset:16
	s_waitcnt vmcnt(6)
	v_mad_i64_i32 v[14:15], s[40:41], v58, s45, 0
	v_lshl_add_u64 v[10:11], v[14:15], 1, v[10:11]
	s_waitcnt lgkmcnt(0)
	v_max_f32_e32 v14, v17, v17
	v_max_f32_e32 v55, v16, v14
	v_sub_f32_e32 v12, v12, v55
	v_mul_f32_e32 v12, 0x3fb8aa3b, v12
	v_exp_f32_e32 v40, v12
	v_sub_f32_e32 v12, v13, v55
	v_mul_f32_e32 v12, 0x3fb8aa3b, v12
	v_exp_f32_e32 v41, v12
	global_load_dwordx4 v[14:17], v[10:11], off
	s_nop 0
	global_load_dwordx4 v[10:13], v[10:11], off offset:16
	v_sub_f32_e32 v50, v50, v55
	v_mul_f32_e32 v50, 0x3fb8aa3b, v50
	v_sub_f32_e32 v51, v51, v55
	v_exp_f32_e32 v50, v50
	v_mul_f32_e32 v51, 0x3fb8aa3b, v51
	v_sub_f32_e32 v42, v42, v55
	v_exp_f32_e32 v51, v51
	v_mul_f32_e32 v42, 0x3fb8aa3b, v42
	v_sub_f32_e32 v43, v43, v55
	v_cndmask_b32_e64 v40, 0, v40, s[4:5]
	v_exp_f32_e32 v42, v42
	v_mul_f32_e32 v43, 0x3fb8aa3b, v43
	v_sub_f32_e32 v52, v52, v55
	v_add_f32_e32 v56, 0, v40
	v_cndmask_b32_e64 v41, 0, v41, s[34:35]
	v_exp_f32_e32 v43, v43
	v_mul_f32_e32 v52, 0x3fb8aa3b, v52
	v_sub_f32_e32 v53, v53, v55
	v_add_f32_e32 v56, v56, v41
	v_cndmask_b32_e64 v50, 0, v50, s[36:37]
	v_exp_f32_e32 v52, v52
	v_mul_f32_e32 v53, 0x3fb8aa3b, v53
	v_sub_f32_e32 v48, v48, v55
	v_add_f32_e32 v56, v56, v50
	v_cndmask_b32_e64 v51, 0, v51, s[38:39]
	v_exp_f32_e32 v53, v53
	v_mul_f32_e32 v48, 0x3fb8aa3b, v48
	v_sub_f32_e32 v49, v49, v55
	v_add_f32_e32 v56, v56, v51
	v_cndmask_b32_e64 v42, 0, v42, s[24:25]
	v_exp_f32_e32 v48, v48
	v_mul_f32_e32 v49, 0x3fb8aa3b, v49
	v_sub_f32_e32 v46, v46, v55
	v_add_f32_e32 v56, v56, v42
	v_cndmask_b32_e64 v43, 0, v43, s[26:27]
	v_exp_f32_e32 v49, v49
	v_mul_f32_e32 v46, 0x3fb8aa3b, v46
	v_sub_f32_e32 v47, v47, v55
	v_add_f32_e32 v56, v56, v43
	v_cndmask_b32_e64 v52, 0, v52, s[20:21]
	v_exp_f32_e32 v46, v46
	v_mul_f32_e32 v47, 0x3fb8aa3b, v47
	v_sub_f32_e32 v44, v44, v55
	v_add_f32_e32 v56, v56, v52
	v_cndmask_b32_e64 v53, 0, v53, s[22:23]
	v_exp_f32_e32 v47, v47
	v_mul_f32_e32 v44, 0x3fb8aa3b, v44
	v_sub_f32_e32 v45, v45, v55
	v_add_f32_e32 v56, v56, v53
	v_cndmask_b32_e64 v48, 0, v48, s[16:17]
	v_exp_f32_e32 v44, v44
	v_mul_f32_e32 v45, 0x3fb8aa3b, v45
	v_sub_f32_e32 v38, v38, v55
	v_add_f32_e32 v56, v56, v48
	v_cndmask_b32_e64 v49, 0, v49, s[18:19]
	v_exp_f32_e32 v45, v45
	v_mul_f32_e32 v38, 0x3fb8aa3b, v38
	v_sub_f32_e32 v39, v39, v55
	v_add_f32_e32 v56, v56, v49
	v_cndmask_b32_e64 v46, 0, v46, s[12:13]
	v_exp_f32_e32 v38, v38
	v_mul_f32_e32 v39, 0x3fb8aa3b, v39
	v_add_f32_e32 v56, v56, v46
	v_cndmask_b32_e64 v47, 0, v47, s[14:15]
	v_exp_f32_e32 v39, v39
	v_add_f32_e32 v56, v56, v47
	v_cndmask_b32_e64 v44, 0, v44, s[8:9]
	v_add_f32_e32 v56, v56, v44
	v_cndmask_b32_e64 v45, 0, v45, s[10:11]
	v_add_f32_e32 v56, v56, v45
	v_cndmask_b32_e32 v38, 0, v38, vcc
	v_add_f32_e32 v56, v56, v38
	v_cndmask_b32_e64 v39, 0, v39, s[6:7]
	v_add_f32_e32 v56, v56, v39
	ds_bpermute_b32 v58, v59, v56
	v_cmp_gt_u32_e32 vcc, 16, v37
	v_lshlrev_b32_e32 v37, 2, v36
	s_waitcnt lgkmcnt(0)
	s_barrier
	v_add_f32_e32 v56, v56, v58
	ds_bpermute_b32 v57, v57, v56
	s_waitcnt lgkmcnt(0)
	s_and_saveexec_b64 s[4:5], vcc
	s_cbranch_execz .LBB177_15
; %bb.14:
	v_add_f32_e32 v56, v56, v57
	v_lshl_or_b32 v57, v1, 6, v37
	ds_write2st64_b32 v57, v55, v56 offset1:1
.LBB177_15:
	s_or_b64 exec, exec, s[4:5]
	s_load_dword s6, s[0:1], 0x94
	s_waitcnt lgkmcnt(0)
	s_barrier
	ds_read2_b32 v[56:57], v37 offset1:16
	ds_read2_b32 v[58:59], v37 offset0:32 offset1:48
	ds_read2_b32 v[60:61], v37 offset0:64 offset1:80
	;; [unrolled: 1-line block ×3, first 2 shown]
	s_waitcnt lgkmcnt(0)
	v_max3_f32 v55, v56, s43, v57
	v_max3_f32 v55, v55, v58, v59
	v_sub_f32_e32 v56, v56, v55
	v_mul_f32_e32 v56, 0x3fb8aa3b, v56
	v_exp_f32_e32 v64, v56
	v_sub_f32_e32 v56, v57, v55
	v_mul_f32_e32 v56, 0x3fb8aa3b, v56
	v_exp_f32_e32 v57, v56
	v_sub_f32_e32 v56, v58, v55
	v_mul_f32_e32 v56, 0x3fb8aa3b, v56
	v_sub_f32_e32 v37, v59, v55
	v_exp_f32_e32 v58, v56
	v_mul_f32_e32 v37, 0x3fb8aa3b, v37
	v_exp_f32_e32 v37, v37
	v_fma_f32 v56, v64, v60, 0
	v_fmac_f32_e32 v56, v57, v61
	v_fmac_f32_e32 v56, v58, v62
	;; [unrolled: 1-line block ×3, first 2 shown]
	v_add_f32_e32 v59, 0x358637bd, v56
	v_div_scale_f32 v60, s[4:5], v59, v59, 1.0
	v_rcp_f32_e32 v61, v60
	s_barrier
	s_mul_i32 s7, s29, 6
	v_fma_f32 v62, -v60, v61, 1.0
	v_fmac_f32_e32 v61, v62, v61
	v_div_scale_f32 v62, vcc, 1.0, v59, 1.0
	v_mul_f32_e32 v63, v62, v61
	v_fma_f32 v65, -v60, v63, v62
	v_fmac_f32_e32 v63, v65, v61
	v_fma_f32 v60, -v60, v63, v62
	v_div_fmas_f32 v60, v60, v61, v63
	v_cmp_eq_u32_e32 vcc, 1, v1
	v_div_fixup_f32 v59, v60, v59, 1.0
	s_nop 0
	v_cndmask_b32_e32 v57, v64, v57, vcc
	v_cmp_eq_u32_e32 vcc, 2, v1
	s_nop 1
	v_cndmask_b32_e32 v57, v57, v58, vcc
	v_cmp_eq_u32_e32 vcc, 3, v1
	v_lshlrev_b32_e32 v1, 11, v1
	s_nop 0
	v_cndmask_b32_e32 v37, v57, v37, vcc
	v_mul_f32_e32 v58, v37, v59
	v_pk_mul_f32 v[50:51], v[58:59], v[50:51] op_sel_hi:[0,1]
	v_pk_mul_f32 v[40:41], v[58:59], v[40:41] op_sel_hi:[0,1]
	v_cvt_f16_f32_e32 v37, v40
	v_cvt_f16_f32_e32 v40, v41
	;; [unrolled: 1-line block ×4, first 2 shown]
	v_pk_mul_f32 v[52:53], v[58:59], v[52:53] op_sel_hi:[0,1]
	v_pk_mul_f32 v[42:43], v[58:59], v[42:43] op_sel_hi:[0,1]
	v_pack_b32_f16 v50, v37, v40
	v_pack_b32_f16 v51, v41, v51
	v_cvt_f16_f32_e32 v41, v42
	v_cvt_f16_f32_e32 v42, v43
	;; [unrolled: 1-line block ×4, first 2 shown]
	v_lshlrev_b32_e32 v37, 3, v54
	v_lshlrev_b32_e32 v40, 5, v36
	v_or3_b32 v1, v1, v40, v37
	v_pack_b32_f16 v42, v41, v42
	v_pack_b32_f16 v43, v43, v52
	ds_write2st64_b64 v1, v[50:51], v[42:43] offset1:1
	v_pk_mul_f32 v[42:43], v[58:59], v[46:47] op_sel_hi:[0,1]
	v_pk_mul_f32 v[46:47], v[58:59], v[48:49] op_sel_hi:[0,1]
	v_cvt_f16_f32_e32 v37, v46
	v_cvt_f16_f32_e32 v41, v47
	;; [unrolled: 1-line block ×4, first 2 shown]
	v_pk_mul_f32 v[38:39], v[58:59], v[38:39] op_sel_hi:[0,1]
	v_pk_mul_f32 v[42:43], v[58:59], v[44:45] op_sel_hi:[0,1]
	v_cvt_f16_f32_e32 v42, v42
	v_cvt_f16_f32_e32 v43, v43
	;; [unrolled: 1-line block ×4, first 2 shown]
	v_pack_b32_f16 v38, v37, v41
	v_pack_b32_f16 v39, v46, v47
	;; [unrolled: 1-line block ×4, first 2 shown]
	v_cmp_gt_u32_e32 vcc, 6, v0
	ds_write2st64_b64 v1, v[38:39], v[42:43] offset0:2 offset1:3
	s_and_saveexec_b64 s[4:5], vcc
	s_cbranch_execz .LBB177_17
; %bb.16:
	s_mov_b32 s43, 0
	v_mov_b32_e32 v37, 0
	v_lshl_add_u64 v[38:39], s[42:43], 0, v[36:37]
	v_mov_b32_e32 v36, s7
	v_mad_u64_u32 v[38:39], s[12:13], s2, v36, v[38:39]
	v_mov_b32_e32 v36, s28
	s_load_dwordx4 s[8:11], s[0:1], 0x58
	s_mul_i32 s3, s3, s7
	v_mad_u64_u32 v[36:37], s[12:13], v38, s6, v[36:37]
	v_add_u32_e32 v39, s3, v39
	v_mov_b32_e32 v38, v37
	v_mad_u64_u32 v[38:39], s[12:13], v39, s6, v[38:39]
	v_mov_b32_e32 v37, v38
	v_lshlrev_b64 v[36:37], 2, v[36:37]
	s_waitcnt lgkmcnt(0)
	v_lshl_add_u64 v[38:39], s[10:11], 0, v[36:37]
	v_lshl_add_u64 v[36:37], s[8:9], 0, v[36:37]
	global_store_dword v[38:39], v55, off
	global_store_dword v[36:37], v56, off
.LBB177_17:
	s_or_b64 exec, exec, s[4:5]
	v_lshl_or_b32 v48, v54, 9, v40
	s_waitcnt lgkmcnt(0)
	s_barrier
	ds_read_b128 v[36:39], v48
	ds_read_b128 v[40:43], v48 offset:16
	s_waitcnt vmcnt(7) lgkmcnt(1)
	v_mfma_f32_16x16x16_f16 v[44:47], v[6:7], v[36:37], 0
	v_cmp_gt_u32_e32 vcc, 64, v0
	s_mov_b32 s3, 0
	s_and_b64 s[4:5], vcc, s[30:31]
	v_mfma_f32_16x16x16_f16 v[6:9], v[8:9], v[38:39], v[44:47]
	s_waitcnt vmcnt(6) lgkmcnt(0)
	v_mfma_f32_16x16x16_f16 v[6:9], v[2:3], v[40:41], v[6:9]
	v_mfma_f32_16x16x16_f16 v[2:5], v[4:5], v[42:43], v[6:9]
	s_nop 5
	ds_read_b128 v[6:9], v48 offset:2048
	ds_read_b128 v[36:39], v48 offset:2064
	s_waitcnt vmcnt(5) lgkmcnt(1)
	v_mfma_f32_16x16x16_f16 v[2:5], v[30:31], v[6:7], v[2:5]
	v_mfma_f32_16x16x16_f16 v[2:5], v[32:33], v[8:9], v[2:5]
	s_waitcnt vmcnt(4) lgkmcnt(0)
	v_mfma_f32_16x16x16_f16 v[2:5], v[26:27], v[36:37], v[2:5]
	v_mfma_f32_16x16x16_f16 v[2:5], v[28:29], v[38:39], v[2:5]
	ds_read_b128 v[6:9], v48 offset:4096
	ds_read_b128 v[26:29], v48 offset:4112
	s_waitcnt vmcnt(3) lgkmcnt(1)
	v_mfma_f32_16x16x16_f16 v[2:5], v[22:23], v[6:7], v[2:5]
	v_mfma_f32_16x16x16_f16 v[2:5], v[24:25], v[8:9], v[2:5]
	s_waitcnt vmcnt(2) lgkmcnt(0)
	v_mfma_f32_16x16x16_f16 v[2:5], v[18:19], v[26:27], v[2:5]
	v_mfma_f32_16x16x16_f16 v[2:5], v[20:21], v[28:29], v[2:5]
	ds_read_b128 v[6:9], v48 offset:6144
	ds_read_b128 v[18:21], v48 offset:6160
	s_waitcnt lgkmcnt(0)
	s_barrier
	s_waitcnt vmcnt(1)
	v_mfma_f32_16x16x16_f16 v[2:5], v[14:15], v[6:7], v[2:5]
	v_mfma_f32_16x16x16_f16 v[2:5], v[16:17], v[8:9], v[2:5]
	s_waitcnt vmcnt(0)
	v_mfma_f32_16x16x16_f16 v[2:5], v[10:11], v[18:19], v[2:5]
	v_mfma_f32_16x16x16_f16 v[2:5], v[12:13], v[20:21], v[2:5]
	s_nop 6
	v_cvt_f16_f32_e32 v2, v2
	v_cvt_f16_f32_e32 v3, v3
	;; [unrolled: 1-line block ×4, first 2 shown]
	v_pack_b32_f16 v2, v2, v3
	v_pack_b32_f16 v3, v4, v5
	ds_write_b64 v1, v[2:3]
	s_waitcnt lgkmcnt(0)
	s_barrier
	s_and_saveexec_b64 s[8:9], s[4:5]
	s_cbranch_execz .LBB177_20
; %bb.18:
	s_load_dwordx2 s[4:5], s[0:1], 0x68
	s_lshl_b32 s0, s6, 6
	s_mul_i32 s1, s7, s2
	s_mul_hi_u32 s7, s1, s0
	s_mul_i32 s6, s1, s0
	v_lshlrev_b32_e32 v1, 10, v0
	v_lshlrev_b32_e32 v0, 4, v0
	s_lshl_b64 s[6:7], s[6:7], 1
	v_and_b32_e32 v1, 0x1800, v1
	v_lshlrev_b32_e32 v3, 5, v54
	v_and_b32_e32 v0, 16, v0
	s_waitcnt lgkmcnt(0)
	s_add_u32 s1, s4, s6
	v_or3_b32 v3, v1, v3, v0
	s_addc_u32 s4, s5, s7
	s_lshl_b32 s2, s28, 6
	s_lshl_b64 s[2:3], s[2:3], 1
	ds_read_b128 v[4:7], v3
	s_add_u32 s2, s1, s2
	s_addc_u32 s3, s4, s3
	v_add_u32_e32 v8, s42, v54
	v_or_b32_e32 v2, 4, v54
	v_lshl_add_u64 v[0:1], v[34:35], 1, s[2:3]
	v_mad_u64_u32 v[8:9], s[2:3], v8, s0, 0
	v_lshl_add_u64 v[8:9], v[8:9], 1, v[0:1]
	v_cmp_gt_u32_e32 vcc, 6, v2
	s_waitcnt lgkmcnt(0)
	global_store_dwordx4 v[8:9], v[4:7], off
	s_and_b64 exec, exec, vcc
	s_cbranch_execz .LBB177_20
; %bb.19:
	ds_read_b128 v[4:7], v3 offset:128
	v_add_u32_e32 v2, s42, v2
	v_mad_u64_u32 v[2:3], s[0:1], v2, s0, 0
	v_lshl_add_u64 v[0:1], v[2:3], 1, v[0:1]
	s_waitcnt lgkmcnt(0)
	global_store_dwordx4 v[0:1], v[4:7], off
.LBB177_20:
	s_endpgm
	.section	.rodata,"a",@progbits
	.p2align	6, 0x0
	.amdhsa_kernel _Z39paged_attention_ll4mi_QKV_mfma16_kernelIDF16_DF16_LN4vllm18Fp8KVCacheDataTypeE0EDF16_Li32ELi64ELi256ELb0ELi6EEvPKT_PKT0_S7_ifPKiS9_S9_iPKfiiiPfSC_PS2_PT2_iSB_SB_
		.amdhsa_group_segment_fixed_size 8192
		.amdhsa_private_segment_fixed_size 0
		.amdhsa_kernarg_size 400
		.amdhsa_user_sgpr_count 2
		.amdhsa_user_sgpr_dispatch_ptr 0
		.amdhsa_user_sgpr_queue_ptr 0
		.amdhsa_user_sgpr_kernarg_segment_ptr 1
		.amdhsa_user_sgpr_dispatch_id 0
		.amdhsa_user_sgpr_kernarg_preload_length 0
		.amdhsa_user_sgpr_kernarg_preload_offset 0
		.amdhsa_user_sgpr_private_segment_size 0
		.amdhsa_uses_dynamic_stack 0
		.amdhsa_enable_private_segment 0
		.amdhsa_system_sgpr_workgroup_id_x 1
		.amdhsa_system_sgpr_workgroup_id_y 1
		.amdhsa_system_sgpr_workgroup_id_z 1
		.amdhsa_system_sgpr_workgroup_info 0
		.amdhsa_system_vgpr_workitem_id 0
		.amdhsa_next_free_vgpr 67
		.amdhsa_next_free_sgpr 48
		.amdhsa_accum_offset 68
		.amdhsa_reserve_vcc 1
		.amdhsa_float_round_mode_32 0
		.amdhsa_float_round_mode_16_64 0
		.amdhsa_float_denorm_mode_32 3
		.amdhsa_float_denorm_mode_16_64 3
		.amdhsa_dx10_clamp 1
		.amdhsa_ieee_mode 1
		.amdhsa_fp16_overflow 0
		.amdhsa_tg_split 0
		.amdhsa_exception_fp_ieee_invalid_op 0
		.amdhsa_exception_fp_denorm_src 0
		.amdhsa_exception_fp_ieee_div_zero 0
		.amdhsa_exception_fp_ieee_overflow 0
		.amdhsa_exception_fp_ieee_underflow 0
		.amdhsa_exception_fp_ieee_inexact 0
		.amdhsa_exception_int_div_zero 0
	.end_amdhsa_kernel
	.section	.text._Z39paged_attention_ll4mi_QKV_mfma16_kernelIDF16_DF16_LN4vllm18Fp8KVCacheDataTypeE0EDF16_Li32ELi64ELi256ELb0ELi6EEvPKT_PKT0_S7_ifPKiS9_S9_iPKfiiiPfSC_PS2_PT2_iSB_SB_,"axG",@progbits,_Z39paged_attention_ll4mi_QKV_mfma16_kernelIDF16_DF16_LN4vllm18Fp8KVCacheDataTypeE0EDF16_Li32ELi64ELi256ELb0ELi6EEvPKT_PKT0_S7_ifPKiS9_S9_iPKfiiiPfSC_PS2_PT2_iSB_SB_,comdat
.Lfunc_end177:
	.size	_Z39paged_attention_ll4mi_QKV_mfma16_kernelIDF16_DF16_LN4vllm18Fp8KVCacheDataTypeE0EDF16_Li32ELi64ELi256ELb0ELi6EEvPKT_PKT0_S7_ifPKiS9_S9_iPKfiiiPfSC_PS2_PT2_iSB_SB_, .Lfunc_end177-_Z39paged_attention_ll4mi_QKV_mfma16_kernelIDF16_DF16_LN4vllm18Fp8KVCacheDataTypeE0EDF16_Li32ELi64ELi256ELb0ELi6EEvPKT_PKT0_S7_ifPKiS9_S9_iPKfiiiPfSC_PS2_PT2_iSB_SB_
                                        ; -- End function
	.section	.AMDGPU.csdata,"",@progbits
; Kernel info:
; codeLenInByte = 3904
; NumSgprs: 54
; NumVgprs: 67
; NumAgprs: 0
; TotalNumVgprs: 67
; ScratchSize: 0
; MemoryBound: 0
; FloatMode: 240
; IeeeMode: 1
; LDSByteSize: 8192 bytes/workgroup (compile time only)
; SGPRBlocks: 6
; VGPRBlocks: 8
; NumSGPRsForWavesPerEU: 54
; NumVGPRsForWavesPerEU: 67
; AccumOffset: 68
; Occupancy: 7
; WaveLimiterHint : 1
; COMPUTE_PGM_RSRC2:SCRATCH_EN: 0
; COMPUTE_PGM_RSRC2:USER_SGPR: 2
; COMPUTE_PGM_RSRC2:TRAP_HANDLER: 0
; COMPUTE_PGM_RSRC2:TGID_X_EN: 1
; COMPUTE_PGM_RSRC2:TGID_Y_EN: 1
; COMPUTE_PGM_RSRC2:TGID_Z_EN: 1
; COMPUTE_PGM_RSRC2:TIDIG_COMP_CNT: 0
; COMPUTE_PGM_RSRC3_GFX90A:ACCUM_OFFSET: 16
; COMPUTE_PGM_RSRC3_GFX90A:TG_SPLIT: 0
	.section	.text._Z39paged_attention_ll4mi_QKV_mfma16_kernelIDF16_DF16_LN4vllm18Fp8KVCacheDataTypeE0EDF16_Li32ELi64ELi256ELb0ELi7EEvPKT_PKT0_S7_ifPKiS9_S9_iPKfiiiPfSC_PS2_PT2_iSB_SB_,"axG",@progbits,_Z39paged_attention_ll4mi_QKV_mfma16_kernelIDF16_DF16_LN4vllm18Fp8KVCacheDataTypeE0EDF16_Li32ELi64ELi256ELb0ELi7EEvPKT_PKT0_S7_ifPKiS9_S9_iPKfiiiPfSC_PS2_PT2_iSB_SB_,comdat
	.protected	_Z39paged_attention_ll4mi_QKV_mfma16_kernelIDF16_DF16_LN4vllm18Fp8KVCacheDataTypeE0EDF16_Li32ELi64ELi256ELb0ELi7EEvPKT_PKT0_S7_ifPKiS9_S9_iPKfiiiPfSC_PS2_PT2_iSB_SB_ ; -- Begin function _Z39paged_attention_ll4mi_QKV_mfma16_kernelIDF16_DF16_LN4vllm18Fp8KVCacheDataTypeE0EDF16_Li32ELi64ELi256ELb0ELi7EEvPKT_PKT0_S7_ifPKiS9_S9_iPKfiiiPfSC_PS2_PT2_iSB_SB_
	.globl	_Z39paged_attention_ll4mi_QKV_mfma16_kernelIDF16_DF16_LN4vllm18Fp8KVCacheDataTypeE0EDF16_Li32ELi64ELi256ELb0ELi7EEvPKT_PKT0_S7_ifPKiS9_S9_iPKfiiiPfSC_PS2_PT2_iSB_SB_
	.p2align	8
	.type	_Z39paged_attention_ll4mi_QKV_mfma16_kernelIDF16_DF16_LN4vllm18Fp8KVCacheDataTypeE0EDF16_Li32ELi64ELi256ELb0ELi7EEvPKT_PKT0_S7_ifPKiS9_S9_iPKfiiiPfSC_PS2_PT2_iSB_SB_,@function
_Z39paged_attention_ll4mi_QKV_mfma16_kernelIDF16_DF16_LN4vllm18Fp8KVCacheDataTypeE0EDF16_Li32ELi64ELi256ELb0ELi7EEvPKT_PKT0_S7_ifPKiS9_S9_iPKfiiiPfSC_PS2_PT2_iSB_SB_: ; @_Z39paged_attention_ll4mi_QKV_mfma16_kernelIDF16_DF16_LN4vllm18Fp8KVCacheDataTypeE0EDF16_Li32ELi64ELi256ELb0ELi7EEvPKT_PKT0_S7_ifPKiS9_S9_iPKfiiiPfSC_PS2_PT2_iSB_SB_
; %bb.0:
	s_load_dwordx2 s[6:7], s[0:1], 0x30
	s_mov_b32 s28, s3
	s_mov_b64 s[10:11], 0
	s_waitcnt lgkmcnt(0)
	s_cmp_lg_u64 s[6:7], 0
	s_cselect_b64 s[8:9], -1, 0
	s_and_b64 vcc, exec, s[8:9]
	s_cbranch_vccz .LBB178_7
; %bb.1:
	s_add_i32 s12, s2, 1
	s_mov_b32 s13, 0
	s_lshl_b64 s[14:15], s[12:13], 2
	s_add_u32 s14, s6, s14
	s_mov_b32 s3, s13
	s_addc_u32 s15, s7, s15
	s_lshl_b64 s[12:13], s[2:3], 2
	s_add_u32 s12, s6, s12
	s_addc_u32 s13, s7, s13
	s_load_dword s5, s[14:15], 0x0
	s_load_dword s16, s[12:13], 0x0
	s_waitcnt lgkmcnt(0)
	s_sub_i32 s5, s5, s16
	s_cmp_eq_u32 s5, 1
	s_cselect_b64 s[12:13], -1, 0
	s_andn2_b64 vcc, exec, s[10:11]
	s_cbranch_vccnz .LBB178_3
.LBB178_2:
	s_mov_b32 s3, 0
	s_mov_b64 s[12:13], -1
.LBB178_3:
	s_andn2_b64 vcc, exec, s[12:13]
	s_cbranch_vccnz .LBB178_20
; %bb.4:
	s_load_dwordx2 s[12:13], s[0:1], 0x28
	s_lshl_b64 s[10:11], s[2:3], 2
	s_waitcnt lgkmcnt(0)
	s_add_u32 s12, s12, s10
	s_addc_u32 s13, s13, s11
	s_load_dword s33, s[12:13], 0x0
	s_lshl_b32 s14, s28, 8
	s_waitcnt lgkmcnt(0)
	s_cmp_ge_i32 s14, s33
	s_cbranch_scc1 .LBB178_20
; %bb.5:
	s_load_dwordx2 s[12:13], s[0:1], 0x20
	s_load_dword s5, s[0:1], 0x38
	s_add_i32 s15, s33, 31
	s_ashr_i32 s16, s15, 31
	v_and_b32_e32 v1, 0xcf, v0
	s_lshr_b32 s16, s16, 27
	v_add_u32_e32 v1, s14, v1
	s_add_i32 s15, s15, s16
	v_ashrrev_i32_e32 v2, 31, v1
	s_ashr_i32 s15, s15, 5
	v_lshrrev_b32_e32 v10, 27, v2
	s_add_i32 s15, s15, -1
	s_waitcnt lgkmcnt(0)
	s_mul_i32 s16, s2, s5
	s_mov_b32 s17, 0
	v_add_u32_e32 v2, v1, v10
	s_lshl_b64 s[16:17], s[16:17], 2
	v_ashrrev_i32_e32 v2, 5, v2
	v_mov_b32_e32 v11, s15
	v_cmp_gt_i32_e32 vcc, s33, v1
	s_add_u32 s12, s12, s16
	s_addc_u32 s13, s13, s17
	v_cndmask_b32_e32 v2, v11, v2, vcc
	v_ashrrev_i32_e32 v3, 31, v2
	v_lshl_add_u64 v[4:5], v[2:3], 2, s[12:13]
	v_or_b32_e32 v2, 16, v1
	v_add_u32_e32 v3, v2, v10
	v_ashrrev_i32_e32 v3, 5, v3
	v_cmp_gt_i32_e32 vcc, s33, v2
	s_nop 1
	v_cndmask_b32_e32 v2, v11, v3, vcc
	v_ashrrev_i32_e32 v3, 31, v2
	v_lshl_add_u64 v[6:7], v[2:3], 2, s[12:13]
	v_or_b32_e32 v2, 32, v1
	v_add_u32_e32 v3, v2, v10
	v_ashrrev_i32_e32 v3, 5, v3
	v_cmp_gt_i32_e32 vcc, s33, v2
	v_or_b32_e32 v1, 48, v1
	s_nop 0
	v_cndmask_b32_e32 v2, v11, v3, vcc
	v_ashrrev_i32_e32 v3, 31, v2
	v_lshl_add_u64 v[8:9], v[2:3], 2, s[12:13]
	v_add_u32_e32 v2, v1, v10
	v_ashrrev_i32_e32 v2, 5, v2
	v_cmp_gt_i32_e32 vcc, s33, v1
	s_nop 1
	v_cndmask_b32_e32 v2, v11, v2, vcc
	v_ashrrev_i32_e32 v3, 31, v2
	v_lshl_add_u64 v[12:13], v[2:3], 2, s[12:13]
	global_load_dword v3, v[4:5], off
	global_load_dword v2, v[6:7], off
	;; [unrolled: 1-line block ×4, first 2 shown]
	s_andn2_b64 vcc, exec, s[8:9]
	s_cbranch_vccnz .LBB178_8
; %bb.6:
	s_add_u32 s6, s6, s10
	s_addc_u32 s7, s7, s11
	s_load_dword s5, s[6:7], 0x0
	s_branch .LBB178_9
.LBB178_7:
	s_mov_b64 s[12:13], 0
	s_branch .LBB178_2
.LBB178_8:
	s_mov_b32 s5, s2
.LBB178_9:
	s_load_dwordx4 s[8:11], s[0:1], 0x8
	s_load_dwordx4 s[44:47], s[0:1], 0x48
	v_lshrrev_b32_e32 v1, 6, v0
	v_bfe_u32 v54, v0, 4, 2
	v_lshl_or_b32 v4, v1, 2, v54
	v_and_b32_e32 v36, 15, v0
	v_cmp_lt_u32_e32 vcc, 6, v4
	v_cmp_lt_u32_e64 s[6:7], 7, v36
	v_lshlrev_b32_e32 v34, 3, v36
	v_cmp_gt_u32_e64 s[30:31], 8, v36
	s_or_b64 s[6:7], s[6:7], vcc
	s_and_saveexec_b64 s[16:17], s[6:7]
	s_xor_b64 s[6:7], exec, s[16:17]
; %bb.10:
	v_mov_b32_e32 v35, 0
                                        ; implicit-def: $vgpr4
; %bb.11:
	s_or_saveexec_b64 s[6:7], s[6:7]
	v_and_b32_e32 v37, 63, v0
	s_mul_i32 s42, s4, 7
	s_xor_b64 exec, exec, s[6:7]
	s_cbranch_execz .LBB178_13
; %bb.12:
	s_load_dwordx2 s[16:17], s[0:1], 0x0
	s_waitcnt lgkmcnt(0)
	s_ashr_i32 s18, s44, 31
	s_mul_hi_u32 s19, s5, s44
	s_mul_i32 s18, s5, s18
	s_add_i32 s19, s19, s18
	s_mul_i32 s18, s5, s44
	s_lshl_b64 s[18:19], s[18:19], 1
	s_add_u32 s16, s16, s18
	v_add_lshl_u32 v6, v4, s42, 6
	s_addc_u32 s17, s17, s19
	v_ashrrev_i32_e32 v7, 31, v6
	v_mov_b32_e32 v35, 0
	v_lshl_add_u64 v[6:7], v[6:7], 1, s[16:17]
	v_lshlrev_b32_e32 v8, 1, v34
	v_mov_b32_e32 v9, v35
	v_lshl_add_u64 v[6:7], v[6:7], 0, v[8:9]
	global_load_dwordx4 v[6:9], v[6:7], off
	v_and_b32_e32 v5, 3, v0
	v_lshlrev_b32_e32 v11, 9, v36
	v_lshlrev_b32_e32 v4, 5, v4
	;; [unrolled: 1-line block ×3, first 2 shown]
	v_and_b32_e32 v11, 0x1800, v11
	v_or3_b32 v4, v11, v5, v4
	s_waitcnt vmcnt(0)
	ds_write_b128 v4, v[6:9]
.LBB178_13:
	s_or_b64 exec, exec, s[6:7]
	s_waitcnt lgkmcnt(0)
	s_mul_i32 s4, s4, s46
	s_mov_b32 s5, 0
	s_lshl_b64 s[4:5], s[4:5], 1
	s_add_u32 s8, s8, s4
	s_addc_u32 s9, s9, s5
	s_waitcnt vmcnt(3)
	v_mad_i64_i32 v[4:5], s[16:17], v3, s45, 0
	v_lshl_add_u64 v[4:5], v[4:5], 1, s[8:9]
	v_lshlrev_b64 v[12:13], 1, v[34:35]
	v_lshlrev_b32_e32 v38, 9, v54
	v_lshl_add_u64 v[4:5], v[4:5], 0, v[12:13]
	v_mov_b32_e32 v39, 0
	v_lshl_add_u64 v[14:15], v[4:5], 0, v[38:39]
	s_waitcnt vmcnt(2)
	v_mad_i64_i32 v[2:3], s[16:17], v2, s45, 0
	v_mov_b32_e32 v4, 0x100
	v_lshl_add_u64 v[2:3], v[2:3], 1, s[8:9]
	v_lshl_or_b32 v30, v36, 4, v4
	v_mov_b32_e32 v31, v39
	s_load_dword s29, s[0:1], 0x98
	s_load_dword s6, s[0:1], 0x1c
	s_waitcnt lgkmcnt(0)
	s_barrier
	v_lshl_add_u64 v[2:3], v[2:3], 0, v[30:31]
	global_load_dwordx4 v[6:9], v[14:15], off
	global_load_dwordx4 v[22:25], v[14:15], off offset:2048
	v_lshl_add_u64 v[18:19], v[2:3], 0, v[38:39]
	global_load_dwordx4 v[2:5], v[18:19], off
	global_load_dwordx4 v[26:29], v[18:19], off offset:2048
	s_waitcnt vmcnt(5)
	v_mad_i64_i32 v[10:11], s[16:17], v10, s45, 0
	v_lshl_add_u64 v[10:11], v[10:11], 1, s[8:9]
	v_lshl_add_u64 v[10:11], v[10:11], 0, v[12:13]
	;; [unrolled: 1-line block ×3, first 2 shown]
	global_load_dwordx4 v[10:13], v[32:33], off
	v_mul_lo_u16_e32 v20, 37, v36
	v_mov_b32_e32 v21, 7
	s_waitcnt vmcnt(5)
	v_mad_i64_i32 v[16:17], s[16:17], v16, s45, 0
	v_mul_lo_u16_sdwa v14, v20, v21 dst_sel:DWORD dst_unused:UNUSED_PAD src0_sel:BYTE_1 src1_sel:DWORD
	v_sub_u16_e32 v14, v36, v14
	v_lshl_add_u64 v[40:41], v[16:17], 1, s[8:9]
	v_and_b32_e32 v14, 0xff, v14
	v_lshl_add_u64 v[30:31], v[40:41], 0, v[30:31]
	v_lshl_add_u32 v14, v14, 5, v38
	v_lshl_add_u64 v[40:41], v[30:31], 0, v[38:39]
	ds_read_b128 v[18:21], v14
	ds_read_b128 v[14:17], v14 offset:2048
	global_load_dwordx4 v[30:33], v[32:33], off offset:2048
	s_ashr_i32 s7, s14, 31
	global_load_dwordx4 v[46:49], v[40:41], off
	global_load_dwordx4 v[60:63], v[40:41], off offset:2048
	v_and_or_b32 v55, v0, 48, s14
	s_lshr_b32 s7, s7, 27
	v_add_u32_e32 v42, s7, v55
	v_mov_b32_e32 v64, s15
	v_or_b32_e32 v50, 64, v55
	v_ashrrev_i32_e32 v38, 5, v42
	v_cmp_gt_i32_e32 vcc, s33, v55
	v_add_u32_e32 v43, s7, v50
	v_ashrrev_i32_e32 v51, 5, v43
	v_cndmask_b32_e32 v42, v64, v38, vcc
	v_ashrrev_i32_e32 v43, 31, v42
	v_lshl_add_u64 v[42:43], v[42:43], 2, s[12:13]
	v_cmp_gt_i32_e32 vcc, s33, v50
	global_load_dword v65, v[42:43], off
	v_or_b32_e32 v40, 0x80, v55
	v_and_b32_e32 v38, 16, v0
	s_add_u32 s4, s10, s4
	v_lshlrev_b32_e32 v41, 6, v36
	s_addc_u32 s5, s11, s5
	v_lshlrev_b32_e32 v38, 1, v38
	s_mov_b32 s43, 0xff7fffff
	s_waitcnt vmcnt(8) lgkmcnt(1)
	v_mfma_f32_16x16x16_f16 v[42:45], v[6:7], v[18:19], 0
	v_cndmask_b32_e32 v6, v64, v51, vcc
	v_ashrrev_i32_e32 v7, 31, v6
	v_cmp_gt_i32_e32 vcc, s33, v40
	s_waitcnt vmcnt(6)
	v_mfma_f32_16x16x16_f16 v[50:53], v[2:3], v[18:19], 0
	v_lshl_add_u64 v[2:3], v[6:7], 2, s[12:13]
	global_load_dword v66, v[2:3], off
	v_mfma_f32_16x16x16_f16 v[6:9], v[8:9], v[20:21], v[42:45]
	v_mfma_f32_16x16x16_f16 v[2:5], v[4:5], v[20:21], v[50:53]
	s_nop 1
	v_or_b32_e32 v42, 0xc0, v55
	v_add_u32_e32 v43, s7, v40
	v_add_u32_e32 v44, s7, v42
	s_waitcnt lgkmcnt(0)
	v_mfma_f32_16x16x16_f16 v[6:9], v[22:23], v[14:15], v[6:9]
	v_ashrrev_i32_e32 v43, 5, v43
	v_ashrrev_i32_e32 v44, 5, v44
	v_cndmask_b32_e32 v40, v64, v43, vcc
	s_waitcnt vmcnt(5)
	v_mfma_f32_16x16x16_f16 v[56:59], v[10:11], v[18:19], 0
	v_cmp_gt_i32_e32 vcc, s33, v42
	v_mfma_f32_16x16x16_f16 v[2:5], v[26:27], v[14:15], v[2:5]
	s_nop 0
	v_cndmask_b32_e32 v42, v64, v44, vcc
	v_lshl_add_u64 v[44:45], s[4:5], 0, v[38:39]
	v_lshl_or_b32 v38, v1, 10, v41
	v_ashrrev_i32_e32 v41, 31, v40
	v_mfma_f32_16x16x16_f16 v[22:25], v[24:25], v[16:17], v[6:9]
	v_ashrrev_i32_e32 v43, 31, v42
	s_nop 1
	v_lshl_add_u64 v[6:7], v[40:41], 2, s[12:13]
	v_mfma_f32_16x16x16_f16 v[10:13], v[12:13], v[20:21], v[56:59]
	s_nop 1
	v_pk_mul_f32 v[50:51], s[6:7], v[24:25] op_sel_hi:[0,1]
	v_mfma_f32_16x16x16_f16 v[26:29], v[28:29], v[16:17], v[2:5]
	s_nop 2
	v_lshl_add_u64 v[2:3], v[42:43], 2, s[12:13]
	global_load_dword v55, v[6:7], off
	global_load_dword v58, v[2:3], off
	s_waitcnt vmcnt(6)
	v_mfma_f32_16x16x16_f16 v[2:5], v[30:31], v[14:15], v[10:13]
	s_waitcnt vmcnt(3)
	v_mad_i64_i32 v[6:7], s[4:5], v65, s45, 0
	v_pk_mul_f32 v[42:43], s[6:7], v[26:27] op_sel_hi:[0,1]
	v_lshl_add_u64 v[10:11], v[44:45], 0, v[38:39]
	v_mfma_f32_16x16x16_f16 v[38:41], v[46:47], v[18:19], 0
	v_pk_mul_f32 v[52:53], s[6:7], v[28:29] op_sel_hi:[0,1]
	s_waitcnt vmcnt(2)
	v_mad_i64_i32 v[12:13], s[4:5], v66, s45, 0
	v_mfma_f32_16x16x16_f16 v[18:21], v[48:49], v[20:21], v[38:41]
	v_lshl_add_u64 v[56:57], v[12:13], 1, v[10:11]
	v_pk_mul_f32 v[12:13], s[6:7], v[22:23] op_sel_hi:[0,1]
	v_mfma_f32_16x16x16_f16 v[18:21], v[60:61], v[14:15], v[18:21]
	v_mfma_f32_16x16x16_f16 v[30:33], v[32:33], v[16:17], v[2:5]
	;; [unrolled: 1-line block ×3, first 2 shown]
	s_nop 1
	v_lshl_add_u64 v[2:3], v[6:7], 1, v[10:11]
	s_nop 2
	v_pk_mul_f32 v[48:49], s[6:7], v[30:31] op_sel_hi:[0,1]
	v_pk_mul_f32 v[46:47], s[6:7], v[32:33] op_sel_hi:[0,1]
	global_load_dwordx4 v[6:9], v[2:3], off
	s_nop 0
	global_load_dwordx4 v[2:5], v[2:3], off offset:16
	v_pk_mul_f32 v[44:45], s[6:7], v[14:15] op_sel_hi:[0,1]
	v_and_b32_e32 v14, 0xc0, v0
	v_add_u32_e32 v14, s14, v14
	v_lshl_or_b32 v14, v54, 2, v14
	v_pk_mul_f32 v[38:39], s[6:7], v[16:17] op_sel_hi:[0,1]
	v_or_b32_e32 v17, 1, v14
	v_mov_b32_e32 v15, 0xff7fffff
	v_cmp_gt_i32_e64 s[4:5], s33, v14
	v_cmp_gt_i32_e64 s[34:35], s33, v17
	v_or_b32_e32 v18, 3, v14
	v_cndmask_b32_e64 v16, v15, v12, s[4:5]
	v_cndmask_b32_e64 v17, v15, v13, s[34:35]
	v_max3_f32 v16, v16, s43, v17
	v_or_b32_e32 v17, 2, v14
	v_cmp_gt_i32_e64 s[36:37], s33, v17
	v_cmp_gt_i32_e64 s[38:39], s33, v18
	global_load_dwordx4 v[30:33], v[56:57], off
	global_load_dwordx4 v[26:29], v[56:57], off offset:16
	v_cndmask_b32_e64 v17, v15, v50, s[36:37]
	v_cndmask_b32_e64 v18, v15, v51, s[38:39]
	v_max3_f32 v16, v16, v17, v18
	v_or_b32_e32 v17, 16, v14
	v_or_b32_e32 v18, 17, v14
	v_cmp_gt_i32_e64 s[24:25], s33, v17
	v_cmp_gt_i32_e64 s[26:27], s33, v18
	s_nop 0
	v_cndmask_b32_e64 v17, v15, v42, s[24:25]
	v_cndmask_b32_e64 v18, v15, v43, s[26:27]
	v_max3_f32 v16, v16, v17, v18
	v_or_b32_e32 v17, 18, v14
	v_or_b32_e32 v18, 19, v14
	v_cmp_gt_i32_e64 s[20:21], s33, v17
	v_cmp_gt_i32_e64 s[22:23], s33, v18
	s_nop 0
	;; [unrolled: 8-line block ×5, first 2 shown]
	v_cndmask_b32_e64 v17, v15, v44, s[8:9]
	v_cndmask_b32_e64 v18, v15, v45, s[10:11]
	v_max3_f32 v16, v16, v17, v18
	v_or_b32_e32 v17, 50, v14
	v_or_b32_e32 v14, 51, v14
	v_cmp_gt_i32_e32 vcc, s33, v17
	v_cmp_gt_i32_e64 s[6:7], s33, v14
	s_nop 0
	v_cndmask_b32_e32 v17, v15, v38, vcc
	v_cndmask_b32_e64 v14, v15, v39, s[6:7]
	v_max3_f32 v16, v16, v17, v14
	v_mbcnt_lo_u32_b32 v14, -1, 0
	v_mbcnt_hi_u32_b32 v17, -1, v14
	v_and_b32_e32 v14, 64, v17
	v_add_u32_e32 v18, 64, v14
	v_xor_b32_e32 v14, 32, v17
	v_cmp_lt_i32_e64 s[40:41], v14, v18
	s_nop 1
	v_cndmask_b32_e64 v14, v17, v14, s[40:41]
	v_lshlrev_b32_e32 v59, 2, v14
	ds_bpermute_b32 v19, v59, v16
	s_waitcnt vmcnt(5)
	v_mad_i64_i32 v[14:15], s[40:41], v55, s45, 0
	v_lshl_add_u64 v[14:15], v[14:15], 1, v[10:11]
	s_waitcnt lgkmcnt(0)
	v_max_f32_e32 v19, v19, v19
	v_max_f32_e32 v16, v16, v19
	v_xor_b32_e32 v19, 16, v17
	v_cmp_lt_i32_e64 s[40:41], v19, v18
	s_nop 1
	v_cndmask_b32_e64 v17, v17, v19, s[40:41]
	v_lshlrev_b32_e32 v57, 2, v17
	ds_bpermute_b32 v17, v57, v16
	global_load_dwordx4 v[22:25], v[14:15], off
	global_load_dwordx4 v[18:21], v[14:15], off offset:16
	s_waitcnt vmcnt(6)
	v_mad_i64_i32 v[14:15], s[40:41], v58, s45, 0
	v_lshl_add_u64 v[10:11], v[14:15], 1, v[10:11]
	s_waitcnt lgkmcnt(0)
	v_max_f32_e32 v14, v17, v17
	v_max_f32_e32 v55, v16, v14
	v_sub_f32_e32 v12, v12, v55
	v_mul_f32_e32 v12, 0x3fb8aa3b, v12
	v_exp_f32_e32 v40, v12
	v_sub_f32_e32 v12, v13, v55
	v_mul_f32_e32 v12, 0x3fb8aa3b, v12
	v_exp_f32_e32 v41, v12
	global_load_dwordx4 v[14:17], v[10:11], off
	s_nop 0
	global_load_dwordx4 v[10:13], v[10:11], off offset:16
	v_sub_f32_e32 v50, v50, v55
	v_mul_f32_e32 v50, 0x3fb8aa3b, v50
	v_sub_f32_e32 v51, v51, v55
	v_exp_f32_e32 v50, v50
	v_mul_f32_e32 v51, 0x3fb8aa3b, v51
	v_sub_f32_e32 v42, v42, v55
	v_exp_f32_e32 v51, v51
	v_mul_f32_e32 v42, 0x3fb8aa3b, v42
	v_sub_f32_e32 v43, v43, v55
	v_cndmask_b32_e64 v40, 0, v40, s[4:5]
	v_exp_f32_e32 v42, v42
	v_mul_f32_e32 v43, 0x3fb8aa3b, v43
	v_sub_f32_e32 v52, v52, v55
	v_add_f32_e32 v56, 0, v40
	v_cndmask_b32_e64 v41, 0, v41, s[34:35]
	v_exp_f32_e32 v43, v43
	v_mul_f32_e32 v52, 0x3fb8aa3b, v52
	v_sub_f32_e32 v53, v53, v55
	v_add_f32_e32 v56, v56, v41
	;; [unrolled: 5-line block ×10, first 2 shown]
	v_cndmask_b32_e64 v46, 0, v46, s[12:13]
	v_exp_f32_e32 v38, v38
	v_mul_f32_e32 v39, 0x3fb8aa3b, v39
	v_add_f32_e32 v56, v56, v46
	v_cndmask_b32_e64 v47, 0, v47, s[14:15]
	v_exp_f32_e32 v39, v39
	v_add_f32_e32 v56, v56, v47
	v_cndmask_b32_e64 v44, 0, v44, s[8:9]
	v_add_f32_e32 v56, v56, v44
	v_cndmask_b32_e64 v45, 0, v45, s[10:11]
	v_add_f32_e32 v56, v56, v45
	v_cndmask_b32_e32 v38, 0, v38, vcc
	v_add_f32_e32 v56, v56, v38
	v_cndmask_b32_e64 v39, 0, v39, s[6:7]
	v_add_f32_e32 v56, v56, v39
	ds_bpermute_b32 v58, v59, v56
	v_cmp_gt_u32_e32 vcc, 16, v37
	v_lshlrev_b32_e32 v37, 2, v36
	s_waitcnt lgkmcnt(0)
	s_barrier
	v_add_f32_e32 v56, v56, v58
	ds_bpermute_b32 v57, v57, v56
	s_waitcnt lgkmcnt(0)
	s_and_saveexec_b64 s[4:5], vcc
	s_cbranch_execz .LBB178_15
; %bb.14:
	v_add_f32_e32 v56, v56, v57
	v_lshl_or_b32 v57, v1, 6, v37
	ds_write2st64_b32 v57, v55, v56 offset1:1
.LBB178_15:
	s_or_b64 exec, exec, s[4:5]
	s_load_dword s6, s[0:1], 0x94
	s_waitcnt lgkmcnt(0)
	s_barrier
	ds_read2_b32 v[56:57], v37 offset1:16
	ds_read2_b32 v[58:59], v37 offset0:32 offset1:48
	ds_read2_b32 v[60:61], v37 offset0:64 offset1:80
	;; [unrolled: 1-line block ×3, first 2 shown]
	s_waitcnt lgkmcnt(0)
	v_max3_f32 v55, v56, s43, v57
	v_max3_f32 v55, v55, v58, v59
	v_sub_f32_e32 v56, v56, v55
	v_mul_f32_e32 v56, 0x3fb8aa3b, v56
	v_exp_f32_e32 v64, v56
	v_sub_f32_e32 v56, v57, v55
	v_mul_f32_e32 v56, 0x3fb8aa3b, v56
	v_exp_f32_e32 v57, v56
	v_sub_f32_e32 v56, v58, v55
	v_mul_f32_e32 v56, 0x3fb8aa3b, v56
	v_sub_f32_e32 v37, v59, v55
	v_exp_f32_e32 v58, v56
	v_mul_f32_e32 v37, 0x3fb8aa3b, v37
	v_exp_f32_e32 v37, v37
	v_fma_f32 v56, v64, v60, 0
	v_fmac_f32_e32 v56, v57, v61
	v_fmac_f32_e32 v56, v58, v62
	;; [unrolled: 1-line block ×3, first 2 shown]
	v_add_f32_e32 v59, 0x358637bd, v56
	v_div_scale_f32 v60, s[4:5], v59, v59, 1.0
	v_rcp_f32_e32 v61, v60
	s_barrier
	s_mul_i32 s7, s29, 7
	v_fma_f32 v62, -v60, v61, 1.0
	v_fmac_f32_e32 v61, v62, v61
	v_div_scale_f32 v62, vcc, 1.0, v59, 1.0
	v_mul_f32_e32 v63, v62, v61
	v_fma_f32 v65, -v60, v63, v62
	v_fmac_f32_e32 v63, v65, v61
	v_fma_f32 v60, -v60, v63, v62
	v_div_fmas_f32 v60, v60, v61, v63
	v_cmp_eq_u32_e32 vcc, 1, v1
	v_div_fixup_f32 v59, v60, v59, 1.0
	s_nop 0
	v_cndmask_b32_e32 v57, v64, v57, vcc
	v_cmp_eq_u32_e32 vcc, 2, v1
	s_nop 1
	v_cndmask_b32_e32 v57, v57, v58, vcc
	v_cmp_eq_u32_e32 vcc, 3, v1
	v_lshlrev_b32_e32 v1, 11, v1
	s_nop 0
	v_cndmask_b32_e32 v37, v57, v37, vcc
	v_mul_f32_e32 v58, v37, v59
	v_pk_mul_f32 v[50:51], v[58:59], v[50:51] op_sel_hi:[0,1]
	v_pk_mul_f32 v[40:41], v[58:59], v[40:41] op_sel_hi:[0,1]
	v_cvt_f16_f32_e32 v37, v40
	v_cvt_f16_f32_e32 v40, v41
	;; [unrolled: 1-line block ×4, first 2 shown]
	v_pk_mul_f32 v[52:53], v[58:59], v[52:53] op_sel_hi:[0,1]
	v_pk_mul_f32 v[42:43], v[58:59], v[42:43] op_sel_hi:[0,1]
	v_pack_b32_f16 v50, v37, v40
	v_pack_b32_f16 v51, v41, v51
	v_cvt_f16_f32_e32 v41, v42
	v_cvt_f16_f32_e32 v42, v43
	;; [unrolled: 1-line block ×4, first 2 shown]
	v_lshlrev_b32_e32 v37, 3, v54
	v_lshlrev_b32_e32 v40, 5, v36
	v_or3_b32 v1, v1, v40, v37
	v_pack_b32_f16 v42, v41, v42
	v_pack_b32_f16 v43, v43, v52
	ds_write2st64_b64 v1, v[50:51], v[42:43] offset1:1
	v_pk_mul_f32 v[42:43], v[58:59], v[46:47] op_sel_hi:[0,1]
	v_pk_mul_f32 v[46:47], v[58:59], v[48:49] op_sel_hi:[0,1]
	v_cvt_f16_f32_e32 v37, v46
	v_cvt_f16_f32_e32 v41, v47
	;; [unrolled: 1-line block ×4, first 2 shown]
	v_pk_mul_f32 v[38:39], v[58:59], v[38:39] op_sel_hi:[0,1]
	v_pk_mul_f32 v[42:43], v[58:59], v[44:45] op_sel_hi:[0,1]
	v_cvt_f16_f32_e32 v42, v42
	v_cvt_f16_f32_e32 v43, v43
	;; [unrolled: 1-line block ×4, first 2 shown]
	v_pack_b32_f16 v38, v37, v41
	v_pack_b32_f16 v39, v46, v47
	;; [unrolled: 1-line block ×4, first 2 shown]
	v_cmp_gt_u32_e32 vcc, 7, v0
	ds_write2st64_b64 v1, v[38:39], v[42:43] offset0:2 offset1:3
	s_and_saveexec_b64 s[4:5], vcc
	s_cbranch_execz .LBB178_17
; %bb.16:
	s_mov_b32 s43, 0
	v_mov_b32_e32 v37, 0
	v_lshl_add_u64 v[38:39], s[42:43], 0, v[36:37]
	v_mov_b32_e32 v36, s7
	v_mad_u64_u32 v[38:39], s[12:13], s2, v36, v[38:39]
	v_mov_b32_e32 v36, s28
	s_load_dwordx4 s[8:11], s[0:1], 0x58
	s_mul_i32 s3, s3, s7
	v_mad_u64_u32 v[36:37], s[12:13], v38, s6, v[36:37]
	v_add_u32_e32 v39, s3, v39
	v_mov_b32_e32 v38, v37
	v_mad_u64_u32 v[38:39], s[12:13], v39, s6, v[38:39]
	v_mov_b32_e32 v37, v38
	v_lshlrev_b64 v[36:37], 2, v[36:37]
	s_waitcnt lgkmcnt(0)
	v_lshl_add_u64 v[38:39], s[10:11], 0, v[36:37]
	v_lshl_add_u64 v[36:37], s[8:9], 0, v[36:37]
	global_store_dword v[38:39], v55, off
	global_store_dword v[36:37], v56, off
.LBB178_17:
	s_or_b64 exec, exec, s[4:5]
	v_lshl_or_b32 v48, v54, 9, v40
	s_waitcnt lgkmcnt(0)
	s_barrier
	ds_read_b128 v[36:39], v48
	ds_read_b128 v[40:43], v48 offset:16
	s_waitcnt vmcnt(7) lgkmcnt(1)
	v_mfma_f32_16x16x16_f16 v[44:47], v[6:7], v[36:37], 0
	v_cmp_gt_u32_e32 vcc, 64, v0
	s_mov_b32 s3, 0
	s_and_b64 s[4:5], vcc, s[30:31]
	v_mfma_f32_16x16x16_f16 v[6:9], v[8:9], v[38:39], v[44:47]
	s_waitcnt vmcnt(6) lgkmcnt(0)
	v_mfma_f32_16x16x16_f16 v[6:9], v[2:3], v[40:41], v[6:9]
	v_mfma_f32_16x16x16_f16 v[2:5], v[4:5], v[42:43], v[6:9]
	s_nop 5
	ds_read_b128 v[6:9], v48 offset:2048
	ds_read_b128 v[36:39], v48 offset:2064
	s_waitcnt vmcnt(5) lgkmcnt(1)
	v_mfma_f32_16x16x16_f16 v[2:5], v[30:31], v[6:7], v[2:5]
	v_mfma_f32_16x16x16_f16 v[2:5], v[32:33], v[8:9], v[2:5]
	s_waitcnt vmcnt(4) lgkmcnt(0)
	v_mfma_f32_16x16x16_f16 v[2:5], v[26:27], v[36:37], v[2:5]
	v_mfma_f32_16x16x16_f16 v[2:5], v[28:29], v[38:39], v[2:5]
	ds_read_b128 v[6:9], v48 offset:4096
	ds_read_b128 v[26:29], v48 offset:4112
	s_waitcnt vmcnt(3) lgkmcnt(1)
	v_mfma_f32_16x16x16_f16 v[2:5], v[22:23], v[6:7], v[2:5]
	v_mfma_f32_16x16x16_f16 v[2:5], v[24:25], v[8:9], v[2:5]
	s_waitcnt vmcnt(2) lgkmcnt(0)
	v_mfma_f32_16x16x16_f16 v[2:5], v[18:19], v[26:27], v[2:5]
	v_mfma_f32_16x16x16_f16 v[2:5], v[20:21], v[28:29], v[2:5]
	ds_read_b128 v[6:9], v48 offset:6144
	ds_read_b128 v[18:21], v48 offset:6160
	s_waitcnt lgkmcnt(0)
	s_barrier
	s_waitcnt vmcnt(1)
	v_mfma_f32_16x16x16_f16 v[2:5], v[14:15], v[6:7], v[2:5]
	v_mfma_f32_16x16x16_f16 v[2:5], v[16:17], v[8:9], v[2:5]
	s_waitcnt vmcnt(0)
	v_mfma_f32_16x16x16_f16 v[2:5], v[10:11], v[18:19], v[2:5]
	v_mfma_f32_16x16x16_f16 v[2:5], v[12:13], v[20:21], v[2:5]
	s_nop 6
	v_cvt_f16_f32_e32 v2, v2
	v_cvt_f16_f32_e32 v3, v3
	;; [unrolled: 1-line block ×4, first 2 shown]
	v_pack_b32_f16 v2, v2, v3
	v_pack_b32_f16 v3, v4, v5
	ds_write_b64 v1, v[2:3]
	s_waitcnt lgkmcnt(0)
	s_barrier
	s_and_saveexec_b64 s[8:9], s[4:5]
	s_cbranch_execz .LBB178_20
; %bb.18:
	s_load_dwordx2 s[4:5], s[0:1], 0x68
	s_lshl_b32 s0, s6, 6
	s_mul_i32 s1, s7, s2
	s_mul_hi_u32 s7, s1, s0
	s_mul_i32 s6, s1, s0
	v_lshlrev_b32_e32 v1, 10, v0
	v_lshlrev_b32_e32 v0, 4, v0
	s_lshl_b64 s[6:7], s[6:7], 1
	v_and_b32_e32 v1, 0x1800, v1
	v_lshlrev_b32_e32 v2, 5, v54
	v_and_b32_e32 v0, 16, v0
	s_waitcnt lgkmcnt(0)
	s_add_u32 s1, s4, s6
	v_or3_b32 v2, v1, v2, v0
	s_addc_u32 s4, s5, s7
	s_lshl_b32 s2, s28, 6
	s_lshl_b64 s[2:3], s[2:3], 1
	ds_read_b128 v[4:7], v2
	s_add_u32 s2, s1, s2
	s_addc_u32 s3, s4, s3
	v_add_u32_e32 v3, s42, v54
	v_lshl_add_u64 v[0:1], v[34:35], 1, s[2:3]
	v_mad_u64_u32 v[8:9], s[2:3], v3, s0, 0
	v_lshl_add_u64 v[8:9], v[8:9], 1, v[0:1]
	v_cmp_ne_u32_e32 vcc, 3, v54
	s_waitcnt lgkmcnt(0)
	global_store_dwordx4 v[8:9], v[4:7], off
	s_and_b64 exec, exec, vcc
	s_cbranch_execz .LBB178_20
; %bb.19:
	ds_read_b128 v[2:5], v2 offset:128
	v_add3_u32 v6, s42, v54, 4
	v_mad_u64_u32 v[6:7], s[0:1], v6, s0, 0
	v_lshl_add_u64 v[0:1], v[6:7], 1, v[0:1]
	s_waitcnt lgkmcnt(0)
	global_store_dwordx4 v[0:1], v[2:5], off
.LBB178_20:
	s_endpgm
	.section	.rodata,"a",@progbits
	.p2align	6, 0x0
	.amdhsa_kernel _Z39paged_attention_ll4mi_QKV_mfma16_kernelIDF16_DF16_LN4vllm18Fp8KVCacheDataTypeE0EDF16_Li32ELi64ELi256ELb0ELi7EEvPKT_PKT0_S7_ifPKiS9_S9_iPKfiiiPfSC_PS2_PT2_iSB_SB_
		.amdhsa_group_segment_fixed_size 8192
		.amdhsa_private_segment_fixed_size 0
		.amdhsa_kernarg_size 400
		.amdhsa_user_sgpr_count 2
		.amdhsa_user_sgpr_dispatch_ptr 0
		.amdhsa_user_sgpr_queue_ptr 0
		.amdhsa_user_sgpr_kernarg_segment_ptr 1
		.amdhsa_user_sgpr_dispatch_id 0
		.amdhsa_user_sgpr_kernarg_preload_length 0
		.amdhsa_user_sgpr_kernarg_preload_offset 0
		.amdhsa_user_sgpr_private_segment_size 0
		.amdhsa_uses_dynamic_stack 0
		.amdhsa_enable_private_segment 0
		.amdhsa_system_sgpr_workgroup_id_x 1
		.amdhsa_system_sgpr_workgroup_id_y 1
		.amdhsa_system_sgpr_workgroup_id_z 1
		.amdhsa_system_sgpr_workgroup_info 0
		.amdhsa_system_vgpr_workitem_id 0
		.amdhsa_next_free_vgpr 67
		.amdhsa_next_free_sgpr 48
		.amdhsa_accum_offset 68
		.amdhsa_reserve_vcc 1
		.amdhsa_float_round_mode_32 0
		.amdhsa_float_round_mode_16_64 0
		.amdhsa_float_denorm_mode_32 3
		.amdhsa_float_denorm_mode_16_64 3
		.amdhsa_dx10_clamp 1
		.amdhsa_ieee_mode 1
		.amdhsa_fp16_overflow 0
		.amdhsa_tg_split 0
		.amdhsa_exception_fp_ieee_invalid_op 0
		.amdhsa_exception_fp_denorm_src 0
		.amdhsa_exception_fp_ieee_div_zero 0
		.amdhsa_exception_fp_ieee_overflow 0
		.amdhsa_exception_fp_ieee_underflow 0
		.amdhsa_exception_fp_ieee_inexact 0
		.amdhsa_exception_int_div_zero 0
	.end_amdhsa_kernel
	.section	.text._Z39paged_attention_ll4mi_QKV_mfma16_kernelIDF16_DF16_LN4vllm18Fp8KVCacheDataTypeE0EDF16_Li32ELi64ELi256ELb0ELi7EEvPKT_PKT0_S7_ifPKiS9_S9_iPKfiiiPfSC_PS2_PT2_iSB_SB_,"axG",@progbits,_Z39paged_attention_ll4mi_QKV_mfma16_kernelIDF16_DF16_LN4vllm18Fp8KVCacheDataTypeE0EDF16_Li32ELi64ELi256ELb0ELi7EEvPKT_PKT0_S7_ifPKiS9_S9_iPKfiiiPfSC_PS2_PT2_iSB_SB_,comdat
.Lfunc_end178:
	.size	_Z39paged_attention_ll4mi_QKV_mfma16_kernelIDF16_DF16_LN4vllm18Fp8KVCacheDataTypeE0EDF16_Li32ELi64ELi256ELb0ELi7EEvPKT_PKT0_S7_ifPKiS9_S9_iPKfiiiPfSC_PS2_PT2_iSB_SB_, .Lfunc_end178-_Z39paged_attention_ll4mi_QKV_mfma16_kernelIDF16_DF16_LN4vllm18Fp8KVCacheDataTypeE0EDF16_Li32ELi64ELi256ELb0ELi7EEvPKT_PKT0_S7_ifPKiS9_S9_iPKfiiiPfSC_PS2_PT2_iSB_SB_
                                        ; -- End function
	.section	.AMDGPU.csdata,"",@progbits
; Kernel info:
; codeLenInByte = 3904
; NumSgprs: 54
; NumVgprs: 67
; NumAgprs: 0
; TotalNumVgprs: 67
; ScratchSize: 0
; MemoryBound: 0
; FloatMode: 240
; IeeeMode: 1
; LDSByteSize: 8192 bytes/workgroup (compile time only)
; SGPRBlocks: 6
; VGPRBlocks: 8
; NumSGPRsForWavesPerEU: 54
; NumVGPRsForWavesPerEU: 67
; AccumOffset: 68
; Occupancy: 7
; WaveLimiterHint : 1
; COMPUTE_PGM_RSRC2:SCRATCH_EN: 0
; COMPUTE_PGM_RSRC2:USER_SGPR: 2
; COMPUTE_PGM_RSRC2:TRAP_HANDLER: 0
; COMPUTE_PGM_RSRC2:TGID_X_EN: 1
; COMPUTE_PGM_RSRC2:TGID_Y_EN: 1
; COMPUTE_PGM_RSRC2:TGID_Z_EN: 1
; COMPUTE_PGM_RSRC2:TIDIG_COMP_CNT: 0
; COMPUTE_PGM_RSRC3_GFX90A:ACCUM_OFFSET: 16
; COMPUTE_PGM_RSRC3_GFX90A:TG_SPLIT: 0
	.section	.text._Z39paged_attention_ll4mi_QKV_mfma16_kernelIDF16_DF16_LN4vllm18Fp8KVCacheDataTypeE0EDF16_Li32ELi64ELi256ELb0ELi8EEvPKT_PKT0_S7_ifPKiS9_S9_iPKfiiiPfSC_PS2_PT2_iSB_SB_,"axG",@progbits,_Z39paged_attention_ll4mi_QKV_mfma16_kernelIDF16_DF16_LN4vllm18Fp8KVCacheDataTypeE0EDF16_Li32ELi64ELi256ELb0ELi8EEvPKT_PKT0_S7_ifPKiS9_S9_iPKfiiiPfSC_PS2_PT2_iSB_SB_,comdat
	.protected	_Z39paged_attention_ll4mi_QKV_mfma16_kernelIDF16_DF16_LN4vllm18Fp8KVCacheDataTypeE0EDF16_Li32ELi64ELi256ELb0ELi8EEvPKT_PKT0_S7_ifPKiS9_S9_iPKfiiiPfSC_PS2_PT2_iSB_SB_ ; -- Begin function _Z39paged_attention_ll4mi_QKV_mfma16_kernelIDF16_DF16_LN4vllm18Fp8KVCacheDataTypeE0EDF16_Li32ELi64ELi256ELb0ELi8EEvPKT_PKT0_S7_ifPKiS9_S9_iPKfiiiPfSC_PS2_PT2_iSB_SB_
	.globl	_Z39paged_attention_ll4mi_QKV_mfma16_kernelIDF16_DF16_LN4vllm18Fp8KVCacheDataTypeE0EDF16_Li32ELi64ELi256ELb0ELi8EEvPKT_PKT0_S7_ifPKiS9_S9_iPKfiiiPfSC_PS2_PT2_iSB_SB_
	.p2align	8
	.type	_Z39paged_attention_ll4mi_QKV_mfma16_kernelIDF16_DF16_LN4vllm18Fp8KVCacheDataTypeE0EDF16_Li32ELi64ELi256ELb0ELi8EEvPKT_PKT0_S7_ifPKiS9_S9_iPKfiiiPfSC_PS2_PT2_iSB_SB_,@function
_Z39paged_attention_ll4mi_QKV_mfma16_kernelIDF16_DF16_LN4vllm18Fp8KVCacheDataTypeE0EDF16_Li32ELi64ELi256ELb0ELi8EEvPKT_PKT0_S7_ifPKiS9_S9_iPKfiiiPfSC_PS2_PT2_iSB_SB_: ; @_Z39paged_attention_ll4mi_QKV_mfma16_kernelIDF16_DF16_LN4vllm18Fp8KVCacheDataTypeE0EDF16_Li32ELi64ELi256ELb0ELi8EEvPKT_PKT0_S7_ifPKiS9_S9_iPKfiiiPfSC_PS2_PT2_iSB_SB_
; %bb.0:
	s_load_dwordx2 s[6:7], s[0:1], 0x30
	s_mov_b32 s28, s3
	s_mov_b64 s[10:11], 0
	s_waitcnt lgkmcnt(0)
	s_cmp_lg_u64 s[6:7], 0
	s_cselect_b64 s[8:9], -1, 0
	s_and_b64 vcc, exec, s[8:9]
	s_cbranch_vccz .LBB179_7
; %bb.1:
	s_add_i32 s12, s2, 1
	s_mov_b32 s13, 0
	s_lshl_b64 s[14:15], s[12:13], 2
	s_add_u32 s14, s6, s14
	s_mov_b32 s3, s13
	s_addc_u32 s15, s7, s15
	s_lshl_b64 s[12:13], s[2:3], 2
	s_add_u32 s12, s6, s12
	s_addc_u32 s13, s7, s13
	s_load_dword s5, s[14:15], 0x0
	s_load_dword s16, s[12:13], 0x0
	s_waitcnt lgkmcnt(0)
	s_sub_i32 s5, s5, s16
	s_cmp_eq_u32 s5, 1
	s_cselect_b64 s[12:13], -1, 0
	s_andn2_b64 vcc, exec, s[10:11]
	s_cbranch_vccnz .LBB179_3
.LBB179_2:
	s_mov_b32 s3, 0
	s_mov_b64 s[12:13], -1
.LBB179_3:
	s_andn2_b64 vcc, exec, s[12:13]
	s_cbranch_vccnz .LBB179_19
; %bb.4:
	s_load_dwordx2 s[12:13], s[0:1], 0x28
	s_lshl_b64 s[10:11], s[2:3], 2
	s_waitcnt lgkmcnt(0)
	s_add_u32 s12, s12, s10
	s_addc_u32 s13, s13, s11
	s_load_dword s40, s[12:13], 0x0
	s_lshl_b32 s14, s28, 8
	s_waitcnt lgkmcnt(0)
	s_cmp_ge_i32 s14, s40
	s_cbranch_scc1 .LBB179_19
; %bb.5:
	s_load_dwordx2 s[12:13], s[0:1], 0x20
	s_load_dword s5, s[0:1], 0x38
	s_add_i32 s15, s40, 31
	s_ashr_i32 s16, s15, 31
	v_and_b32_e32 v1, 0xcf, v0
	s_lshr_b32 s16, s16, 27
	v_add_u32_e32 v1, s14, v1
	s_add_i32 s15, s15, s16
	v_ashrrev_i32_e32 v2, 31, v1
	s_ashr_i32 s15, s15, 5
	v_lshrrev_b32_e32 v10, 27, v2
	s_add_i32 s15, s15, -1
	s_waitcnt lgkmcnt(0)
	s_mul_i32 s16, s2, s5
	s_mov_b32 s17, 0
	v_add_u32_e32 v2, v1, v10
	s_lshl_b64 s[16:17], s[16:17], 2
	v_ashrrev_i32_e32 v2, 5, v2
	v_mov_b32_e32 v11, s15
	v_cmp_gt_i32_e32 vcc, s40, v1
	s_add_u32 s12, s12, s16
	s_addc_u32 s13, s13, s17
	v_cndmask_b32_e32 v2, v11, v2, vcc
	v_ashrrev_i32_e32 v3, 31, v2
	v_lshl_add_u64 v[4:5], v[2:3], 2, s[12:13]
	v_or_b32_e32 v2, 16, v1
	v_add_u32_e32 v3, v2, v10
	v_ashrrev_i32_e32 v3, 5, v3
	v_cmp_gt_i32_e32 vcc, s40, v2
	s_nop 1
	v_cndmask_b32_e32 v2, v11, v3, vcc
	v_ashrrev_i32_e32 v3, 31, v2
	v_lshl_add_u64 v[6:7], v[2:3], 2, s[12:13]
	v_or_b32_e32 v2, 32, v1
	v_add_u32_e32 v3, v2, v10
	v_ashrrev_i32_e32 v3, 5, v3
	v_cmp_gt_i32_e32 vcc, s40, v2
	v_or_b32_e32 v1, 48, v1
	s_nop 0
	v_cndmask_b32_e32 v2, v11, v3, vcc
	v_ashrrev_i32_e32 v3, 31, v2
	v_lshl_add_u64 v[8:9], v[2:3], 2, s[12:13]
	v_add_u32_e32 v2, v1, v10
	v_ashrrev_i32_e32 v2, 5, v2
	v_cmp_gt_i32_e32 vcc, s40, v1
	s_nop 1
	v_cndmask_b32_e32 v2, v11, v2, vcc
	v_ashrrev_i32_e32 v3, 31, v2
	v_lshl_add_u64 v[12:13], v[2:3], 2, s[12:13]
	global_load_dword v3, v[4:5], off
	global_load_dword v2, v[6:7], off
	;; [unrolled: 1-line block ×4, first 2 shown]
	s_andn2_b64 vcc, exec, s[8:9]
	s_cbranch_vccnz .LBB179_8
; %bb.6:
	s_add_u32 s6, s6, s10
	s_addc_u32 s7, s7, s11
	s_load_dword s5, s[6:7], 0x0
	s_branch .LBB179_9
.LBB179_7:
	s_mov_b64 s[12:13], 0
	s_branch .LBB179_2
.LBB179_8:
	s_mov_b32 s5, s2
.LBB179_9:
	s_load_dwordx4 s[8:11], s[0:1], 0x8
	s_load_dwordx4 s[44:47], s[0:1], 0x48
	v_and_b32_e32 v52, 15, v0
	s_movk_i32 s6, 0x7f
	v_cmp_lt_u32_e32 vcc, s6, v0
	v_cmp_lt_u32_e64 s[6:7], 7, v52
	v_lshlrev_b32_e32 v34, 3, v52
	v_cmp_gt_u32_e64 s[30:31], 8, v52
	s_or_b64 s[6:7], vcc, s[6:7]
	s_and_saveexec_b64 s[16:17], s[6:7]
	s_xor_b64 s[6:7], exec, s[16:17]
; %bb.10:
	v_mov_b32_e32 v35, 0
; %bb.11:
	s_or_saveexec_b64 s[6:7], s[6:7]
	v_lshrrev_b32_e32 v53, 6, v0
	v_and_b32_e32 v54, 63, v0
	s_lshl_b32 s29, s4, 3
	v_bfe_u32 v1, v0, 4, 2
	s_xor_b64 exec, exec, s[6:7]
	s_cbranch_execz .LBB179_13
; %bb.12:
	s_load_dwordx2 s[16:17], s[0:1], 0x0
	s_waitcnt lgkmcnt(0)
	s_ashr_i32 s18, s44, 31
	s_mul_hi_u32 s19, s5, s44
	s_mul_i32 s18, s5, s18
	s_add_i32 s19, s19, s18
	s_mul_i32 s18, s5, s44
	v_lshl_or_b32 v8, v53, 2, v1
	s_lshl_b64 s[18:19], s[18:19], 1
	s_add_u32 s16, s16, s18
	v_add_lshl_u32 v4, v8, s29, 6
	s_addc_u32 s17, s17, s19
	v_ashrrev_i32_e32 v5, 31, v4
	v_mov_b32_e32 v35, 0
	v_lshl_add_u64 v[4:5], v[4:5], 1, s[16:17]
	v_lshlrev_b32_e32 v6, 1, v34
	v_mov_b32_e32 v7, v35
	v_lshl_add_u64 v[4:5], v[4:5], 0, v[6:7]
	global_load_dwordx4 v[4:7], v[4:5], off
	v_and_b32_e32 v9, 3, v0
	v_lshlrev_b32_e32 v11, 9, v52
	v_lshlrev_b32_e32 v8, 5, v8
	;; [unrolled: 1-line block ×3, first 2 shown]
	v_and_b32_e32 v11, 0x1800, v11
	v_or3_b32 v8, v11, v9, v8
	s_waitcnt vmcnt(0)
	ds_write_b128 v8, v[4:7]
.LBB179_13:
	s_or_b64 exec, exec, s[6:7]
	s_waitcnt lgkmcnt(0)
	s_mul_i32 s4, s4, s46
	s_mov_b32 s5, 0
	s_lshl_b64 s[4:5], s[4:5], 1
	s_add_u32 s8, s8, s4
	s_addc_u32 s9, s9, s5
	s_waitcnt vmcnt(3)
	v_mad_i64_i32 v[4:5], s[16:17], v3, s45, 0
	v_lshl_add_u64 v[4:5], v[4:5], 1, s[8:9]
	v_lshlrev_b64 v[12:13], 1, v[34:35]
	v_lshlrev_b32_e32 v36, 9, v1
	v_lshl_add_u64 v[4:5], v[4:5], 0, v[12:13]
	v_mov_b32_e32 v37, 0
	v_lshl_add_u64 v[20:21], v[4:5], 0, v[36:37]
	s_waitcnt vmcnt(2)
	v_mad_i64_i32 v[2:3], s[16:17], v2, s45, 0
	v_mov_b32_e32 v4, 0x100
	v_lshl_add_u64 v[2:3], v[2:3], 1, s[8:9]
	v_lshl_or_b32 v38, v52, 4, v4
	v_mov_b32_e32 v39, v37
	s_load_dword s33, s[0:1], 0x98
	s_load_dword s6, s[0:1], 0x1c
	s_waitcnt lgkmcnt(0)
	s_barrier
	v_lshl_add_u64 v[2:3], v[2:3], 0, v[38:39]
	global_load_dwordx4 v[6:9], v[20:21], off
	v_lshl_add_u64 v[22:23], v[2:3], 0, v[36:37]
	global_load_dwordx4 v[2:5], v[22:23], off
	global_load_dwordx4 v[26:29], v[22:23], off offset:2048
	s_waitcnt vmcnt(4)
	v_mad_i64_i32 v[10:11], s[16:17], v10, s45, 0
	v_lshl_add_u64 v[10:11], v[10:11], 1, s[8:9]
	v_lshl_add_u64 v[10:11], v[10:11], 0, v[12:13]
	;; [unrolled: 1-line block ×3, first 2 shown]
	global_load_dwordx4 v[10:13], v[20:21], off offset:2048
	global_load_dwordx4 v[14:17], v[24:25], off
	global_load_dwordx4 v[30:33], v[24:25], off offset:2048
	s_waitcnt vmcnt(6)
	v_mad_i64_i32 v[40:41], s[16:17], v18, s45, 0
	v_lshl_add_u64 v[40:41], v[40:41], 1, s[8:9]
	v_and_b32_e32 v19, 7, v0
	v_lshl_add_u64 v[38:39], v[40:41], 0, v[38:39]
	v_lshl_or_b32 v18, v19, 5, v36
	v_lshl_add_u64 v[38:39], v[38:39], 0, v[36:37]
	ds_read_b128 v[22:25], v18
	ds_read_b128 v[18:21], v18 offset:2048
	global_load_dwordx4 v[44:47], v[38:39], off
	global_load_dwordx4 v[60:63], v[38:39], off offset:2048
	s_ashr_i32 s7, s14, 31
	v_and_or_b32 v55, v0, 48, s14
	s_lshr_b32 s7, s7, 27
	v_add_u32_e32 v40, s7, v55
	v_mov_b32_e32 v64, s15
	v_or_b32_e32 v48, 64, v55
	v_ashrrev_i32_e32 v36, 5, v40
	v_cmp_gt_i32_e32 vcc, s40, v55
	v_add_u32_e32 v41, s7, v48
	v_ashrrev_i32_e32 v49, 5, v41
	v_cndmask_b32_e32 v40, v64, v36, vcc
	v_ashrrev_i32_e32 v41, 31, v40
	v_lshl_add_u64 v[40:41], v[40:41], 2, s[12:13]
	v_cmp_gt_i32_e32 vcc, s40, v48
	global_load_dword v65, v[40:41], off
	v_or_b32_e32 v39, 0x80, v55
	v_and_b32_e32 v36, 16, v0
	s_add_u32 s4, s10, s4
	v_lshlrev_b32_e32 v38, 6, v52
	s_addc_u32 s5, s11, s5
	v_lshlrev_b32_e32 v36, 1, v36
	s_mov_b32 s42, 0xff7fffff
	s_waitcnt vmcnt(8) lgkmcnt(1)
	v_mfma_f32_16x16x16_f16 v[40:43], v[6:7], v[22:23], 0
	v_cndmask_b32_e32 v6, v64, v49, vcc
	v_ashrrev_i32_e32 v7, 31, v6
	v_cmp_gt_i32_e32 vcc, s40, v39
	s_waitcnt vmcnt(7)
	v_mfma_f32_16x16x16_f16 v[48:51], v[2:3], v[22:23], 0
	v_lshl_add_u64 v[2:3], v[6:7], 2, s[12:13]
	global_load_dword v66, v[2:3], off
	v_mfma_f32_16x16x16_f16 v[6:9], v[8:9], v[24:25], v[40:43]
	v_mfma_f32_16x16x16_f16 v[2:5], v[4:5], v[24:25], v[48:51]
	s_nop 1
	v_or_b32_e32 v40, 0xc0, v55
	v_add_u32_e32 v41, s7, v39
	v_add_u32_e32 v42, s7, v40
	s_waitcnt vmcnt(6) lgkmcnt(0)
	v_mfma_f32_16x16x16_f16 v[6:9], v[10:11], v[18:19], v[6:9]
	v_ashrrev_i32_e32 v41, 5, v41
	v_ashrrev_i32_e32 v43, 5, v42
	v_cndmask_b32_e32 v42, v64, v41, vcc
	s_waitcnt vmcnt(5)
	v_mfma_f32_16x16x16_f16 v[56:59], v[14:15], v[22:23], 0
	v_cmp_gt_i32_e32 vcc, s40, v40
	v_lshl_add_u64 v[10:11], s[4:5], 0, v[36:37]
	v_lshl_or_b32 v36, v53, 10, v38
	v_mfma_f32_16x16x16_f16 v[2:5], v[26:27], v[18:19], v[2:5]
	v_cndmask_b32_e32 v26, v64, v43, vcc
	v_ashrrev_i32_e32 v43, 31, v42
	v_ashrrev_i32_e32 v27, 31, v26
	v_mfma_f32_16x16x16_f16 v[38:41], v[12:13], v[20:21], v[6:9]
	v_lshl_add_u64 v[10:11], v[10:11], 0, v[36:37]
	s_waitcnt vmcnt(0)
	v_mad_i64_i32 v[12:13], s[4:5], v66, s45, 0
	v_lshl_add_u64 v[6:7], v[42:43], 2, s[12:13]
	v_mfma_f32_16x16x16_f16 v[14:17], v[16:17], v[24:25], v[56:59]
	v_lshl_add_u64 v[8:9], v[26:27], 2, s[12:13]
	global_load_dword v55, v[6:7], off
	s_nop 0
	global_load_dword v58, v[8:9], off
	v_lshl_add_u64 v[56:57], v[12:13], 1, v[10:11]
	v_mfma_f32_16x16x16_f16 v[14:17], v[30:31], v[18:19], v[14:17]
	v_pk_mul_f32 v[12:13], s[6:7], v[38:39] op_sel_hi:[0,1]
	v_pk_mul_f32 v[48:49], s[6:7], v[40:41] op_sel_hi:[0,1]
	v_mfma_f32_16x16x16_f16 v[14:17], v[32:33], v[20:21], v[14:17]
	v_mfma_f32_16x16x16_f16 v[30:33], v[44:45], v[22:23], 0
	v_mfma_f32_16x16x16_f16 v[22:25], v[46:47], v[24:25], v[30:33]
	s_nop 4
	v_pk_mul_f32 v[44:45], s[6:7], v[16:17] op_sel_hi:[0,1]
	v_pk_mul_f32 v[46:47], s[6:7], v[14:15] op_sel_hi:[0,1]
	v_mfma_f32_16x16x16_f16 v[22:25], v[60:61], v[18:19], v[22:25]
	v_mfma_f32_16x16x16_f16 v[14:17], v[62:63], v[20:21], v[22:25]
	v_mfma_f32_16x16x16_f16 v[26:29], v[28:29], v[20:21], v[2:5]
	s_nop 5
	v_pk_mul_f32 v[42:43], s[6:7], v[14:15] op_sel_hi:[0,1]
	v_and_b32_e32 v14, 0xc0, v0
	v_add_u32_e32 v14, s14, v14
	v_lshl_or_b32 v14, v1, 2, v14
	v_mad_i64_i32 v[2:3], s[4:5], v65, s45, 0
	v_pk_mul_f32 v[36:37], s[6:7], v[16:17] op_sel_hi:[0,1]
	v_or_b32_e32 v17, 1, v14
	v_mov_b32_e32 v15, 0xff7fffff
	v_cmp_gt_i32_e64 s[4:5], s40, v14
	v_cmp_gt_i32_e64 s[34:35], s40, v17
	v_or_b32_e32 v18, 3, v14
	v_cndmask_b32_e64 v16, v15, v12, s[4:5]
	v_cndmask_b32_e64 v17, v15, v13, s[34:35]
	v_max3_f32 v16, v16, s42, v17
	v_or_b32_e32 v17, 2, v14
	v_cmp_gt_i32_e64 s[36:37], s40, v17
	v_cmp_gt_i32_e64 s[38:39], s40, v18
	v_pk_mul_f32 v[40:41], s[6:7], v[26:27] op_sel_hi:[0,1]
	v_cndmask_b32_e64 v17, v15, v48, s[36:37]
	v_cndmask_b32_e64 v18, v15, v49, s[38:39]
	v_max3_f32 v16, v16, v17, v18
	v_or_b32_e32 v17, 16, v14
	v_or_b32_e32 v18, 17, v14
	v_cmp_gt_i32_e64 s[24:25], s40, v17
	v_cmp_gt_i32_e64 s[26:27], s40, v18
	v_pk_mul_f32 v[50:51], s[6:7], v[28:29] op_sel_hi:[0,1]
	v_cndmask_b32_e64 v17, v15, v40, s[24:25]
	v_cndmask_b32_e64 v18, v15, v41, s[26:27]
	v_max3_f32 v16, v16, v17, v18
	v_or_b32_e32 v17, 18, v14
	v_or_b32_e32 v18, 19, v14
	v_cmp_gt_i32_e64 s[20:21], s40, v17
	v_cmp_gt_i32_e64 s[22:23], s40, v18
	v_lshl_add_u64 v[2:3], v[2:3], 1, v[10:11]
	v_cndmask_b32_e64 v17, v15, v50, s[20:21]
	v_cndmask_b32_e64 v18, v15, v51, s[22:23]
	v_max3_f32 v16, v16, v17, v18
	v_or_b32_e32 v17, 32, v14
	v_or_b32_e32 v18, 33, v14
	v_cmp_gt_i32_e64 s[16:17], s40, v17
	v_cmp_gt_i32_e64 s[18:19], s40, v18
	global_load_dwordx4 v[6:9], v[2:3], off
	s_nop 0
	global_load_dwordx4 v[2:5], v[2:3], off offset:16
	v_cndmask_b32_e64 v17, v15, v46, s[16:17]
	v_cndmask_b32_e64 v18, v15, v47, s[18:19]
	v_max3_f32 v16, v16, v17, v18
	v_or_b32_e32 v17, 34, v14
	v_or_b32_e32 v18, 35, v14
	v_cmp_gt_i32_e64 s[12:13], s40, v17
	v_cmp_gt_i32_e64 s[14:15], s40, v18
	global_load_dwordx4 v[30:33], v[56:57], off
	global_load_dwordx4 v[26:29], v[56:57], off offset:16
	v_cndmask_b32_e64 v17, v15, v44, s[12:13]
	v_cndmask_b32_e64 v18, v15, v45, s[14:15]
	v_max3_f32 v16, v16, v17, v18
	v_or_b32_e32 v17, 48, v14
	v_or_b32_e32 v18, 49, v14
	v_cmp_gt_i32_e64 s[8:9], s40, v17
	v_cmp_gt_i32_e64 s[10:11], s40, v18
	s_nop 0
	v_cndmask_b32_e64 v17, v15, v42, s[8:9]
	v_cndmask_b32_e64 v18, v15, v43, s[10:11]
	v_max3_f32 v16, v16, v17, v18
	v_or_b32_e32 v17, 50, v14
	v_or_b32_e32 v14, 51, v14
	v_cmp_gt_i32_e32 vcc, s40, v17
	v_cmp_gt_i32_e64 s[6:7], s40, v14
	s_nop 0
	v_cndmask_b32_e32 v17, v15, v36, vcc
	v_cndmask_b32_e64 v14, v15, v37, s[6:7]
	v_max3_f32 v16, v16, v17, v14
	v_mbcnt_lo_u32_b32 v14, -1, 0
	v_mbcnt_hi_u32_b32 v17, -1, v14
	v_and_b32_e32 v14, 64, v17
	v_add_u32_e32 v18, 64, v14
	v_xor_b32_e32 v14, 32, v17
	v_cmp_lt_i32_e64 s[40:41], v14, v18
	s_nop 1
	v_cndmask_b32_e64 v14, v17, v14, s[40:41]
	v_lshlrev_b32_e32 v59, 2, v14
	ds_bpermute_b32 v19, v59, v16
	s_waitcnt vmcnt(5)
	v_mad_i64_i32 v[14:15], s[40:41], v55, s45, 0
	v_lshl_add_u64 v[14:15], v[14:15], 1, v[10:11]
	s_waitcnt lgkmcnt(0)
	v_max_f32_e32 v19, v19, v19
	v_max_f32_e32 v16, v16, v19
	v_xor_b32_e32 v19, 16, v17
	v_cmp_lt_i32_e64 s[40:41], v19, v18
	s_nop 1
	v_cndmask_b32_e64 v17, v17, v19, s[40:41]
	v_lshlrev_b32_e32 v56, 2, v17
	ds_bpermute_b32 v17, v56, v16
	global_load_dwordx4 v[22:25], v[14:15], off
	global_load_dwordx4 v[18:21], v[14:15], off offset:16
	s_waitcnt vmcnt(6)
	v_mad_i64_i32 v[14:15], s[40:41], v58, s45, 0
	v_lshl_add_u64 v[10:11], v[14:15], 1, v[10:11]
	s_waitcnt lgkmcnt(0)
	v_max_f32_e32 v14, v17, v17
	v_max_f32_e32 v55, v16, v14
	v_sub_f32_e32 v12, v12, v55
	v_mul_f32_e32 v12, 0x3fb8aa3b, v12
	v_exp_f32_e32 v38, v12
	v_sub_f32_e32 v12, v13, v55
	v_mul_f32_e32 v12, 0x3fb8aa3b, v12
	v_exp_f32_e32 v39, v12
	global_load_dwordx4 v[14:17], v[10:11], off
	s_nop 0
	global_load_dwordx4 v[10:13], v[10:11], off offset:16
	v_sub_f32_e32 v48, v48, v55
	v_mul_f32_e32 v48, 0x3fb8aa3b, v48
	v_sub_f32_e32 v49, v49, v55
	v_exp_f32_e32 v48, v48
	v_mul_f32_e32 v49, 0x3fb8aa3b, v49
	v_sub_f32_e32 v40, v40, v55
	v_exp_f32_e32 v49, v49
	v_mul_f32_e32 v40, 0x3fb8aa3b, v40
	v_sub_f32_e32 v41, v41, v55
	v_cndmask_b32_e64 v38, 0, v38, s[4:5]
	v_exp_f32_e32 v40, v40
	v_mul_f32_e32 v41, 0x3fb8aa3b, v41
	v_sub_f32_e32 v50, v50, v55
	v_add_f32_e32 v57, 0, v38
	v_cndmask_b32_e64 v39, 0, v39, s[34:35]
	v_exp_f32_e32 v41, v41
	v_mul_f32_e32 v50, 0x3fb8aa3b, v50
	v_sub_f32_e32 v51, v51, v55
	v_add_f32_e32 v57, v57, v39
	;; [unrolled: 5-line block ×10, first 2 shown]
	v_cndmask_b32_e64 v44, 0, v44, s[12:13]
	v_exp_f32_e32 v36, v36
	v_mul_f32_e32 v37, 0x3fb8aa3b, v37
	v_add_f32_e32 v57, v57, v44
	v_cndmask_b32_e64 v45, 0, v45, s[14:15]
	v_exp_f32_e32 v37, v37
	v_add_f32_e32 v57, v57, v45
	v_cndmask_b32_e64 v42, 0, v42, s[8:9]
	v_add_f32_e32 v57, v57, v42
	v_cndmask_b32_e64 v43, 0, v43, s[10:11]
	v_add_f32_e32 v57, v57, v43
	v_cndmask_b32_e32 v36, 0, v36, vcc
	v_add_f32_e32 v57, v57, v36
	v_cndmask_b32_e64 v37, 0, v37, s[6:7]
	v_add_f32_e32 v57, v57, v37
	ds_bpermute_b32 v58, v59, v57
	v_cmp_gt_u32_e32 vcc, 16, v54
	s_waitcnt lgkmcnt(0)
	s_barrier
	v_add_f32_e32 v57, v57, v58
	ds_bpermute_b32 v58, v56, v57
	v_lshlrev_b32_e32 v56, 2, v52
	s_and_saveexec_b64 s[4:5], vcc
	s_cbranch_execz .LBB179_15
; %bb.14:
	s_waitcnt lgkmcnt(0)
	v_add_f32_e32 v54, v57, v58
	v_lshl_or_b32 v57, v53, 6, v56
	ds_write2st64_b32 v57, v55, v54 offset1:1
.LBB179_15:
	s_or_b64 exec, exec, s[4:5]
	s_load_dword s6, s[0:1], 0x94
	s_waitcnt lgkmcnt(0)
	s_barrier
	ds_read2_b32 v[58:59], v56 offset1:16
	ds_read2_b32 v[60:61], v56 offset0:32 offset1:48
	ds_read2_b32 v[62:63], v56 offset0:64 offset1:80
	;; [unrolled: 1-line block ×3, first 2 shown]
	s_waitcnt lgkmcnt(0)
	v_max3_f32 v54, v58, s42, v59
	v_max3_f32 v54, v54, v60, v61
	v_sub_f32_e32 v55, v58, v54
	v_mul_f32_e32 v55, 0x3fb8aa3b, v55
	v_exp_f32_e32 v58, v55
	v_sub_f32_e32 v55, v59, v54
	v_mul_f32_e32 v55, 0x3fb8aa3b, v55
	v_exp_f32_e32 v59, v55
	;; [unrolled: 3-line block ×4, first 2 shown]
	v_fma_f32 v55, v58, v62, 0
	v_fmac_f32_e32 v55, v59, v63
	v_fmac_f32_e32 v55, v60, v56
	;; [unrolled: 1-line block ×3, first 2 shown]
	v_add_f32_e32 v56, 0x358637bd, v55
	v_div_scale_f32 v57, s[4:5], v56, v56, 1.0
	v_rcp_f32_e32 v62, v57
	s_barrier
	s_lshl_b32 s7, s33, 3
	v_fma_f32 v63, -v57, v62, 1.0
	v_fmac_f32_e32 v62, v63, v62
	v_div_scale_f32 v63, vcc, 1.0, v56, 1.0
	v_mul_f32_e32 v64, v63, v62
	v_fma_f32 v65, -v57, v64, v63
	v_fmac_f32_e32 v64, v65, v62
	v_fma_f32 v57, -v57, v64, v63
	v_div_fmas_f32 v57, v57, v62, v64
	v_cmp_eq_u32_e32 vcc, 1, v53
	v_div_fixup_f32 v56, v57, v56, 1.0
	s_nop 0
	v_cndmask_b32_e32 v57, v58, v59, vcc
	v_cmp_eq_u32_e32 vcc, 2, v53
	s_nop 1
	v_cndmask_b32_e32 v57, v57, v60, vcc
	v_cmp_eq_u32_e32 vcc, 3, v53
	s_nop 1
	v_cndmask_b32_e32 v57, v57, v61, vcc
	v_mul_f32_e32 v56, v57, v56
	v_pk_mul_f32 v[48:49], v[56:57], v[48:49] op_sel_hi:[0,1]
	v_pk_mul_f32 v[38:39], v[56:57], v[38:39] op_sel_hi:[0,1]
	v_cvt_f16_f32_e32 v57, v48
	v_cvt_f16_f32_e32 v38, v38
	;; [unrolled: 1-line block ×4, first 2 shown]
	v_pk_mul_f32 v[50:51], v[56:57], v[50:51] op_sel_hi:[0,1]
	v_pk_mul_f32 v[40:41], v[56:57], v[40:41] op_sel_hi:[0,1]
	v_cvt_f16_f32_e32 v40, v40
	v_cvt_f16_f32_e32 v41, v41
	;; [unrolled: 1-line block ×4, first 2 shown]
	v_pack_b32_f16 v48, v38, v39
	v_lshlrev_b32_e32 v38, 3, v1
	v_lshlrev_b32_e32 v39, 5, v52
	;; [unrolled: 1-line block ×3, first 2 shown]
	v_pack_b32_f16 v49, v57, v49
	v_or3_b32 v38, v52, v39, v38
	v_pack_b32_f16 v40, v40, v41
	v_pack_b32_f16 v41, v50, v51
	ds_write2st64_b64 v38, v[48:49], v[40:41] offset1:1
	v_pk_mul_f32 v[40:41], v[56:57], v[44:45] op_sel_hi:[0,1]
	v_pk_mul_f32 v[44:45], v[56:57], v[46:47] op_sel_hi:[0,1]
	v_cvt_f16_f32_e32 v46, v40
	v_cvt_f16_f32_e32 v47, v41
	v_pk_mul_f32 v[36:37], v[56:57], v[36:37] op_sel_hi:[0,1]
	v_pk_mul_f32 v[40:41], v[56:57], v[42:43] op_sel_hi:[0,1]
	v_cvt_f16_f32_e32 v44, v44
	v_cvt_f16_f32_e32 v45, v45
	;; [unrolled: 1-line block ×6, first 2 shown]
	v_pack_b32_f16 v36, v44, v45
	v_pack_b32_f16 v37, v46, v47
	;; [unrolled: 1-line block ×4, first 2 shown]
	v_cmp_gt_u32_e32 vcc, 8, v0
	ds_write2st64_b64 v38, v[36:37], v[40:41] offset0:2 offset1:3
	s_and_saveexec_b64 s[4:5], vcc
	s_cbranch_execz .LBB179_17
; %bb.16:
	v_or_b32_e32 v36, s29, v0
	v_mov_b32_e32 v37, 0
	v_mov_b32_e32 v40, s7
	v_mad_u64_u32 v[40:41], s[12:13], s2, v40, v[36:37]
	v_mov_b32_e32 v36, s28
	s_load_dwordx4 s[8:11], s[0:1], 0x58
	s_mul_i32 s3, s3, s7
	v_mad_u64_u32 v[36:37], s[12:13], v40, s6, v[36:37]
	v_add_u32_e32 v41, s3, v41
	v_mov_b32_e32 v40, v37
	v_mad_u64_u32 v[40:41], s[12:13], v41, s6, v[40:41]
	v_mov_b32_e32 v37, v40
	v_lshlrev_b64 v[36:37], 2, v[36:37]
	s_waitcnt lgkmcnt(0)
	v_lshl_add_u64 v[40:41], s[10:11], 0, v[36:37]
	v_lshl_add_u64 v[36:37], s[8:9], 0, v[36:37]
	global_store_dword v[40:41], v54, off
	global_store_dword v[36:37], v55, off
.LBB179_17:
	s_or_b64 exec, exec, s[4:5]
	v_lshl_or_b32 v36, v1, 9, v39
	s_waitcnt lgkmcnt(0)
	s_barrier
	ds_read_b128 v[40:43], v36
	ds_read_b128 v[44:47], v36 offset:16
	s_waitcnt vmcnt(7) lgkmcnt(1)
	v_mfma_f32_16x16x16_f16 v[48:51], v[6:7], v[40:41], 0
	v_cmp_gt_u32_e32 vcc, 64, v0
	s_mov_b32 s3, 0
	s_and_b64 s[4:5], vcc, s[30:31]
	v_mfma_f32_16x16x16_f16 v[6:9], v[8:9], v[42:43], v[48:51]
	s_waitcnt vmcnt(6) lgkmcnt(0)
	v_mfma_f32_16x16x16_f16 v[6:9], v[2:3], v[44:45], v[6:9]
	v_mfma_f32_16x16x16_f16 v[2:5], v[4:5], v[46:47], v[6:9]
	s_nop 5
	ds_read_b128 v[6:9], v36 offset:2048
	ds_read_b128 v[40:43], v36 offset:2064
	s_waitcnt vmcnt(5) lgkmcnt(1)
	v_mfma_f32_16x16x16_f16 v[2:5], v[30:31], v[6:7], v[2:5]
	v_mfma_f32_16x16x16_f16 v[2:5], v[32:33], v[8:9], v[2:5]
	s_waitcnt vmcnt(4) lgkmcnt(0)
	v_mfma_f32_16x16x16_f16 v[2:5], v[26:27], v[40:41], v[2:5]
	v_mfma_f32_16x16x16_f16 v[2:5], v[28:29], v[42:43], v[2:5]
	ds_read_b128 v[6:9], v36 offset:4096
	ds_read_b128 v[26:29], v36 offset:4112
	s_waitcnt vmcnt(3) lgkmcnt(1)
	v_mfma_f32_16x16x16_f16 v[2:5], v[22:23], v[6:7], v[2:5]
	v_mfma_f32_16x16x16_f16 v[2:5], v[24:25], v[8:9], v[2:5]
	s_waitcnt vmcnt(2) lgkmcnt(0)
	v_mfma_f32_16x16x16_f16 v[2:5], v[18:19], v[26:27], v[2:5]
	v_mfma_f32_16x16x16_f16 v[2:5], v[20:21], v[28:29], v[2:5]
	ds_read_b128 v[6:9], v36 offset:6144
	ds_read_b128 v[18:21], v36 offset:6160
	s_waitcnt lgkmcnt(0)
	s_barrier
	s_waitcnt vmcnt(1)
	v_mfma_f32_16x16x16_f16 v[2:5], v[14:15], v[6:7], v[2:5]
	v_mfma_f32_16x16x16_f16 v[2:5], v[16:17], v[8:9], v[2:5]
	s_waitcnt vmcnt(0)
	v_mfma_f32_16x16x16_f16 v[2:5], v[10:11], v[18:19], v[2:5]
	v_mfma_f32_16x16x16_f16 v[2:5], v[12:13], v[20:21], v[2:5]
	s_nop 6
	v_cvt_f16_f32_e32 v2, v2
	v_cvt_f16_f32_e32 v3, v3
	;; [unrolled: 1-line block ×4, first 2 shown]
	v_pack_b32_f16 v2, v2, v3
	v_pack_b32_f16 v3, v4, v5
	ds_write_b64 v38, v[2:3]
	s_waitcnt lgkmcnt(0)
	s_barrier
	s_and_saveexec_b64 s[8:9], s[4:5]
	s_cbranch_execz .LBB179_19
; %bb.18:
	s_load_dwordx2 s[0:1], s[0:1], 0x68
	s_lshl_b32 s6, s6, 6
	s_mul_i32 s2, s7, s2
	s_mul_hi_u32 s5, s2, s6
	s_mul_i32 s4, s2, s6
	s_lshl_b64 s[4:5], s[4:5], 1
	v_lshlrev_b32_e32 v2, 10, v0
	v_lshlrev_b32_e32 v0, 4, v0
	s_waitcnt lgkmcnt(0)
	s_add_u32 s4, s0, s4
	v_and_b32_e32 v2, 0x1800, v2
	v_lshlrev_b32_e32 v3, 5, v1
	v_and_b32_e32 v0, 16, v0
	s_addc_u32 s5, s1, s5
	s_lshl_b32 s2, s28, 6
	v_or3_b32 v0, v2, v3, v0
	s_lshl_b64 s[0:1], s[2:3], 1
	ds_read_b128 v[2:5], v0
	ds_read_b128 v[6:9], v0 offset:128
	s_add_u32 s0, s4, s0
	s_addc_u32 s1, s5, s1
	v_or_b32_e32 v12, s29, v1
	v_lshl_add_u64 v[10:11], v[34:35], 1, s[0:1]
	v_mad_u64_u32 v[0:1], s[0:1], v12, s6, 0
	v_lshl_add_u64 v[0:1], v[0:1], 1, v[10:11]
	s_waitcnt lgkmcnt(1)
	global_store_dwordx4 v[0:1], v[2:5], off
	v_or_b32_e32 v0, 4, v12
	v_mad_u64_u32 v[0:1], s[0:1], v0, s6, 0
	v_lshl_add_u64 v[0:1], v[0:1], 1, v[10:11]
	s_waitcnt lgkmcnt(0)
	global_store_dwordx4 v[0:1], v[6:9], off
.LBB179_19:
	s_endpgm
	.section	.rodata,"a",@progbits
	.p2align	6, 0x0
	.amdhsa_kernel _Z39paged_attention_ll4mi_QKV_mfma16_kernelIDF16_DF16_LN4vllm18Fp8KVCacheDataTypeE0EDF16_Li32ELi64ELi256ELb0ELi8EEvPKT_PKT0_S7_ifPKiS9_S9_iPKfiiiPfSC_PS2_PT2_iSB_SB_
		.amdhsa_group_segment_fixed_size 8192
		.amdhsa_private_segment_fixed_size 0
		.amdhsa_kernarg_size 400
		.amdhsa_user_sgpr_count 2
		.amdhsa_user_sgpr_dispatch_ptr 0
		.amdhsa_user_sgpr_queue_ptr 0
		.amdhsa_user_sgpr_kernarg_segment_ptr 1
		.amdhsa_user_sgpr_dispatch_id 0
		.amdhsa_user_sgpr_kernarg_preload_length 0
		.amdhsa_user_sgpr_kernarg_preload_offset 0
		.amdhsa_user_sgpr_private_segment_size 0
		.amdhsa_uses_dynamic_stack 0
		.amdhsa_enable_private_segment 0
		.amdhsa_system_sgpr_workgroup_id_x 1
		.amdhsa_system_sgpr_workgroup_id_y 1
		.amdhsa_system_sgpr_workgroup_id_z 1
		.amdhsa_system_sgpr_workgroup_info 0
		.amdhsa_system_vgpr_workitem_id 0
		.amdhsa_next_free_vgpr 67
		.amdhsa_next_free_sgpr 48
		.amdhsa_accum_offset 68
		.amdhsa_reserve_vcc 1
		.amdhsa_float_round_mode_32 0
		.amdhsa_float_round_mode_16_64 0
		.amdhsa_float_denorm_mode_32 3
		.amdhsa_float_denorm_mode_16_64 3
		.amdhsa_dx10_clamp 1
		.amdhsa_ieee_mode 1
		.amdhsa_fp16_overflow 0
		.amdhsa_tg_split 0
		.amdhsa_exception_fp_ieee_invalid_op 0
		.amdhsa_exception_fp_denorm_src 0
		.amdhsa_exception_fp_ieee_div_zero 0
		.amdhsa_exception_fp_ieee_overflow 0
		.amdhsa_exception_fp_ieee_underflow 0
		.amdhsa_exception_fp_ieee_inexact 0
		.amdhsa_exception_int_div_zero 0
	.end_amdhsa_kernel
	.section	.text._Z39paged_attention_ll4mi_QKV_mfma16_kernelIDF16_DF16_LN4vllm18Fp8KVCacheDataTypeE0EDF16_Li32ELi64ELi256ELb0ELi8EEvPKT_PKT0_S7_ifPKiS9_S9_iPKfiiiPfSC_PS2_PT2_iSB_SB_,"axG",@progbits,_Z39paged_attention_ll4mi_QKV_mfma16_kernelIDF16_DF16_LN4vllm18Fp8KVCacheDataTypeE0EDF16_Li32ELi64ELi256ELb0ELi8EEvPKT_PKT0_S7_ifPKiS9_S9_iPKfiiiPfSC_PS2_PT2_iSB_SB_,comdat
.Lfunc_end179:
	.size	_Z39paged_attention_ll4mi_QKV_mfma16_kernelIDF16_DF16_LN4vllm18Fp8KVCacheDataTypeE0EDF16_Li32ELi64ELi256ELb0ELi8EEvPKT_PKT0_S7_ifPKiS9_S9_iPKfiiiPfSC_PS2_PT2_iSB_SB_, .Lfunc_end179-_Z39paged_attention_ll4mi_QKV_mfma16_kernelIDF16_DF16_LN4vllm18Fp8KVCacheDataTypeE0EDF16_Li32ELi64ELi256ELb0ELi8EEvPKT_PKT0_S7_ifPKiS9_S9_iPKfiiiPfSC_PS2_PT2_iSB_SB_
                                        ; -- End function
	.section	.AMDGPU.csdata,"",@progbits
; Kernel info:
; codeLenInByte = 3824
; NumSgprs: 54
; NumVgprs: 67
; NumAgprs: 0
; TotalNumVgprs: 67
; ScratchSize: 0
; MemoryBound: 0
; FloatMode: 240
; IeeeMode: 1
; LDSByteSize: 8192 bytes/workgroup (compile time only)
; SGPRBlocks: 6
; VGPRBlocks: 8
; NumSGPRsForWavesPerEU: 54
; NumVGPRsForWavesPerEU: 67
; AccumOffset: 68
; Occupancy: 7
; WaveLimiterHint : 1
; COMPUTE_PGM_RSRC2:SCRATCH_EN: 0
; COMPUTE_PGM_RSRC2:USER_SGPR: 2
; COMPUTE_PGM_RSRC2:TRAP_HANDLER: 0
; COMPUTE_PGM_RSRC2:TGID_X_EN: 1
; COMPUTE_PGM_RSRC2:TGID_Y_EN: 1
; COMPUTE_PGM_RSRC2:TGID_Z_EN: 1
; COMPUTE_PGM_RSRC2:TIDIG_COMP_CNT: 0
; COMPUTE_PGM_RSRC3_GFX90A:ACCUM_OFFSET: 16
; COMPUTE_PGM_RSRC3_GFX90A:TG_SPLIT: 0
	.section	.text._Z39paged_attention_ll4mi_QKV_mfma16_kernelIDF16_DF16_LN4vllm18Fp8KVCacheDataTypeE0EDF16_Li32ELi64ELi256ELb0ELi9EEvPKT_PKT0_S7_ifPKiS9_S9_iPKfiiiPfSC_PS2_PT2_iSB_SB_,"axG",@progbits,_Z39paged_attention_ll4mi_QKV_mfma16_kernelIDF16_DF16_LN4vllm18Fp8KVCacheDataTypeE0EDF16_Li32ELi64ELi256ELb0ELi9EEvPKT_PKT0_S7_ifPKiS9_S9_iPKfiiiPfSC_PS2_PT2_iSB_SB_,comdat
	.protected	_Z39paged_attention_ll4mi_QKV_mfma16_kernelIDF16_DF16_LN4vllm18Fp8KVCacheDataTypeE0EDF16_Li32ELi64ELi256ELb0ELi9EEvPKT_PKT0_S7_ifPKiS9_S9_iPKfiiiPfSC_PS2_PT2_iSB_SB_ ; -- Begin function _Z39paged_attention_ll4mi_QKV_mfma16_kernelIDF16_DF16_LN4vllm18Fp8KVCacheDataTypeE0EDF16_Li32ELi64ELi256ELb0ELi9EEvPKT_PKT0_S7_ifPKiS9_S9_iPKfiiiPfSC_PS2_PT2_iSB_SB_
	.globl	_Z39paged_attention_ll4mi_QKV_mfma16_kernelIDF16_DF16_LN4vllm18Fp8KVCacheDataTypeE0EDF16_Li32ELi64ELi256ELb0ELi9EEvPKT_PKT0_S7_ifPKiS9_S9_iPKfiiiPfSC_PS2_PT2_iSB_SB_
	.p2align	8
	.type	_Z39paged_attention_ll4mi_QKV_mfma16_kernelIDF16_DF16_LN4vllm18Fp8KVCacheDataTypeE0EDF16_Li32ELi64ELi256ELb0ELi9EEvPKT_PKT0_S7_ifPKiS9_S9_iPKfiiiPfSC_PS2_PT2_iSB_SB_,@function
_Z39paged_attention_ll4mi_QKV_mfma16_kernelIDF16_DF16_LN4vllm18Fp8KVCacheDataTypeE0EDF16_Li32ELi64ELi256ELb0ELi9EEvPKT_PKT0_S7_ifPKiS9_S9_iPKfiiiPfSC_PS2_PT2_iSB_SB_: ; @_Z39paged_attention_ll4mi_QKV_mfma16_kernelIDF16_DF16_LN4vllm18Fp8KVCacheDataTypeE0EDF16_Li32ELi64ELi256ELb0ELi9EEvPKT_PKT0_S7_ifPKiS9_S9_iPKfiiiPfSC_PS2_PT2_iSB_SB_
; %bb.0:
	s_load_dwordx2 s[6:7], s[0:1], 0x30
	s_mov_b32 s28, s3
	s_mov_b64 s[10:11], 0
	s_waitcnt lgkmcnt(0)
	s_cmp_lg_u64 s[6:7], 0
	s_cselect_b64 s[8:9], -1, 0
	s_and_b64 vcc, exec, s[8:9]
	s_cbranch_vccz .LBB180_7
; %bb.1:
	s_add_i32 s12, s2, 1
	s_mov_b32 s13, 0
	s_lshl_b64 s[14:15], s[12:13], 2
	s_add_u32 s14, s6, s14
	s_mov_b32 s3, s13
	s_addc_u32 s15, s7, s15
	s_lshl_b64 s[12:13], s[2:3], 2
	s_add_u32 s12, s6, s12
	s_addc_u32 s13, s7, s13
	s_load_dword s5, s[14:15], 0x0
	s_load_dword s16, s[12:13], 0x0
	s_waitcnt lgkmcnt(0)
	s_sub_i32 s5, s5, s16
	s_cmp_eq_u32 s5, 1
	s_cselect_b64 s[12:13], -1, 0
	s_andn2_b64 vcc, exec, s[10:11]
	s_cbranch_vccnz .LBB180_3
.LBB180_2:
	s_mov_b32 s3, 0
	s_mov_b64 s[12:13], -1
.LBB180_3:
	s_andn2_b64 vcc, exec, s[12:13]
	s_cbranch_vccnz .LBB180_20
; %bb.4:
	s_load_dwordx2 s[12:13], s[0:1], 0x28
	s_lshl_b64 s[10:11], s[2:3], 2
	s_waitcnt lgkmcnt(0)
	s_add_u32 s12, s12, s10
	s_addc_u32 s13, s13, s11
	s_load_dword s33, s[12:13], 0x0
	s_lshl_b32 s14, s28, 8
	s_waitcnt lgkmcnt(0)
	s_cmp_ge_i32 s14, s33
	s_cbranch_scc1 .LBB180_20
; %bb.5:
	s_load_dwordx2 s[12:13], s[0:1], 0x20
	s_load_dword s5, s[0:1], 0x38
	s_add_i32 s15, s33, 31
	s_ashr_i32 s16, s15, 31
	v_and_b32_e32 v1, 0xcf, v0
	s_lshr_b32 s16, s16, 27
	v_add_u32_e32 v1, s14, v1
	s_add_i32 s15, s15, s16
	v_ashrrev_i32_e32 v2, 31, v1
	s_ashr_i32 s15, s15, 5
	v_lshrrev_b32_e32 v10, 27, v2
	s_add_i32 s15, s15, -1
	s_waitcnt lgkmcnt(0)
	s_mul_i32 s16, s2, s5
	s_mov_b32 s17, 0
	v_add_u32_e32 v2, v1, v10
	s_lshl_b64 s[16:17], s[16:17], 2
	v_ashrrev_i32_e32 v2, 5, v2
	v_mov_b32_e32 v11, s15
	v_cmp_gt_i32_e32 vcc, s33, v1
	s_add_u32 s12, s12, s16
	s_addc_u32 s13, s13, s17
	v_cndmask_b32_e32 v2, v11, v2, vcc
	v_ashrrev_i32_e32 v3, 31, v2
	v_lshl_add_u64 v[4:5], v[2:3], 2, s[12:13]
	v_or_b32_e32 v2, 16, v1
	v_add_u32_e32 v3, v2, v10
	v_ashrrev_i32_e32 v3, 5, v3
	v_cmp_gt_i32_e32 vcc, s33, v2
	s_nop 1
	v_cndmask_b32_e32 v2, v11, v3, vcc
	v_ashrrev_i32_e32 v3, 31, v2
	v_lshl_add_u64 v[6:7], v[2:3], 2, s[12:13]
	v_or_b32_e32 v2, 32, v1
	v_add_u32_e32 v3, v2, v10
	v_ashrrev_i32_e32 v3, 5, v3
	v_cmp_gt_i32_e32 vcc, s33, v2
	v_or_b32_e32 v1, 48, v1
	s_nop 0
	v_cndmask_b32_e32 v2, v11, v3, vcc
	v_ashrrev_i32_e32 v3, 31, v2
	v_lshl_add_u64 v[8:9], v[2:3], 2, s[12:13]
	v_add_u32_e32 v2, v1, v10
	v_ashrrev_i32_e32 v2, 5, v2
	v_cmp_gt_i32_e32 vcc, s33, v1
	s_nop 1
	v_cndmask_b32_e32 v2, v11, v2, vcc
	v_ashrrev_i32_e32 v3, 31, v2
	v_lshl_add_u64 v[12:13], v[2:3], 2, s[12:13]
	global_load_dword v3, v[4:5], off
	global_load_dword v2, v[6:7], off
	global_load_dword v10, v[8:9], off
	global_load_dword v16, v[12:13], off
	s_andn2_b64 vcc, exec, s[8:9]
	s_cbranch_vccnz .LBB180_8
; %bb.6:
	s_add_u32 s6, s6, s10
	s_addc_u32 s7, s7, s11
	s_load_dword s5, s[6:7], 0x0
	s_branch .LBB180_9
.LBB180_7:
	s_mov_b64 s[12:13], 0
	s_branch .LBB180_2
.LBB180_8:
	s_mov_b32 s5, s2
.LBB180_9:
	s_load_dwordx4 s[8:11], s[0:1], 0x8
	s_load_dwordx4 s[44:47], s[0:1], 0x48
	v_lshrrev_b32_e32 v1, 6, v0
	v_bfe_u32 v54, v0, 4, 2
	v_lshl_or_b32 v4, v1, 2, v54
	v_and_b32_e32 v36, 15, v0
	v_cmp_lt_u32_e32 vcc, 8, v4
	v_cmp_lt_u32_e64 s[6:7], 7, v36
	v_lshlrev_b32_e32 v34, 3, v36
	v_cmp_gt_u32_e64 s[30:31], 8, v36
	s_or_b64 s[6:7], s[6:7], vcc
	s_and_saveexec_b64 s[16:17], s[6:7]
	s_xor_b64 s[6:7], exec, s[16:17]
; %bb.10:
	v_mov_b32_e32 v35, 0
                                        ; implicit-def: $vgpr4
; %bb.11:
	s_or_saveexec_b64 s[6:7], s[6:7]
	v_and_b32_e32 v37, 63, v0
	s_mul_i32 s42, s4, 9
	s_xor_b64 exec, exec, s[6:7]
	s_cbranch_execz .LBB180_13
; %bb.12:
	s_load_dwordx2 s[16:17], s[0:1], 0x0
	s_waitcnt lgkmcnt(0)
	s_ashr_i32 s18, s44, 31
	s_mul_hi_u32 s19, s5, s44
	s_mul_i32 s18, s5, s18
	s_add_i32 s19, s19, s18
	s_mul_i32 s18, s5, s44
	s_lshl_b64 s[18:19], s[18:19], 1
	s_add_u32 s16, s16, s18
	v_add_lshl_u32 v6, v4, s42, 6
	s_addc_u32 s17, s17, s19
	v_ashrrev_i32_e32 v7, 31, v6
	v_mov_b32_e32 v35, 0
	v_lshl_add_u64 v[6:7], v[6:7], 1, s[16:17]
	v_lshlrev_b32_e32 v8, 1, v34
	v_mov_b32_e32 v9, v35
	v_lshl_add_u64 v[6:7], v[6:7], 0, v[8:9]
	global_load_dwordx4 v[6:9], v[6:7], off
	v_and_b32_e32 v5, 3, v0
	v_lshlrev_b32_e32 v11, 9, v36
	v_lshlrev_b32_e32 v4, 5, v4
	;; [unrolled: 1-line block ×3, first 2 shown]
	v_and_b32_e32 v11, 0x1800, v11
	v_or3_b32 v4, v11, v5, v4
	s_waitcnt vmcnt(0)
	ds_write_b128 v4, v[6:9]
.LBB180_13:
	s_or_b64 exec, exec, s[6:7]
	s_waitcnt lgkmcnt(0)
	s_mul_i32 s4, s4, s46
	s_mov_b32 s5, 0
	s_lshl_b64 s[4:5], s[4:5], 1
	s_add_u32 s8, s8, s4
	s_addc_u32 s9, s9, s5
	s_waitcnt vmcnt(3)
	v_mad_i64_i32 v[4:5], s[16:17], v3, s45, 0
	v_lshl_add_u64 v[4:5], v[4:5], 1, s[8:9]
	v_lshlrev_b64 v[12:13], 1, v[34:35]
	v_lshlrev_b32_e32 v38, 9, v54
	v_lshl_add_u64 v[4:5], v[4:5], 0, v[12:13]
	v_mov_b32_e32 v39, 0
	v_lshl_add_u64 v[14:15], v[4:5], 0, v[38:39]
	s_waitcnt vmcnt(2)
	v_mad_i64_i32 v[2:3], s[16:17], v2, s45, 0
	v_mov_b32_e32 v4, 0x100
	v_lshl_add_u64 v[2:3], v[2:3], 1, s[8:9]
	v_lshl_or_b32 v40, v36, 4, v4
	v_mov_b32_e32 v41, v39
	s_load_dword s29, s[0:1], 0x98
	s_load_dword s6, s[0:1], 0x1c
	s_waitcnt lgkmcnt(0)
	s_barrier
	v_lshl_add_u64 v[2:3], v[2:3], 0, v[40:41]
	global_load_dwordx4 v[6:9], v[14:15], off
	global_load_dwordx4 v[22:25], v[14:15], off offset:2048
	v_lshl_add_u64 v[18:19], v[2:3], 0, v[38:39]
	global_load_dwordx4 v[2:5], v[18:19], off
	global_load_dwordx4 v[26:29], v[18:19], off offset:2048
	s_waitcnt vmcnt(5)
	v_mad_i64_i32 v[10:11], s[16:17], v10, s45, 0
	v_lshl_add_u64 v[10:11], v[10:11], 1, s[8:9]
	v_lshl_add_u64 v[10:11], v[10:11], 0, v[12:13]
	;; [unrolled: 1-line block ×3, first 2 shown]
	global_load_dwordx4 v[10:13], v[20:21], off
	global_load_dwordx4 v[30:33], v[20:21], off offset:2048
	s_waitcnt vmcnt(6)
	v_mad_i64_i32 v[42:43], s[16:17], v16, s45, 0
	v_add_u32_e32 v17, -9, v36
	v_cmp_gt_u32_e32 vcc, 9, v36
	v_lshl_add_u64 v[42:43], v[42:43], 1, s[8:9]
	v_lshl_add_u64 v[40:41], v[42:43], 0, v[40:41]
	v_cndmask_b32_e32 v14, v17, v36, vcc
	v_lshl_add_u32 v14, v14, 5, v38
	v_lshl_add_u64 v[40:41], v[40:41], 0, v[38:39]
	ds_read_b128 v[18:21], v14
	ds_read_b128 v[14:17], v14 offset:2048
	global_load_dwordx4 v[46:49], v[40:41], off
	global_load_dwordx4 v[60:63], v[40:41], off offset:2048
	s_ashr_i32 s7, s14, 31
	v_and_or_b32 v55, v0, 48, s14
	s_lshr_b32 s7, s7, 27
	v_add_u32_e32 v42, s7, v55
	v_mov_b32_e32 v64, s15
	v_or_b32_e32 v50, 64, v55
	v_ashrrev_i32_e32 v38, 5, v42
	v_cmp_gt_i32_e32 vcc, s33, v55
	v_add_u32_e32 v43, s7, v50
	v_ashrrev_i32_e32 v51, 5, v43
	v_cndmask_b32_e32 v42, v64, v38, vcc
	v_ashrrev_i32_e32 v43, 31, v42
	v_lshl_add_u64 v[42:43], v[42:43], 2, s[12:13]
	v_cmp_gt_i32_e32 vcc, s33, v50
	global_load_dword v65, v[42:43], off
	v_or_b32_e32 v40, 0x80, v55
	v_or_b32_e32 v41, 0xc0, v55
	v_and_b32_e32 v38, 16, v0
	s_add_u32 s4, s10, s4
	s_addc_u32 s5, s11, s5
	v_lshlrev_b32_e32 v38, 1, v38
	s_mov_b32 s43, 0xff7fffff
	s_waitcnt vmcnt(8) lgkmcnt(1)
	v_mfma_f32_16x16x16_f16 v[42:45], v[6:7], v[18:19], 0
	v_cndmask_b32_e32 v6, v64, v51, vcc
	v_ashrrev_i32_e32 v7, 31, v6
	v_cmp_gt_i32_e32 vcc, s33, v40
	s_waitcnt vmcnt(6)
	v_mfma_f32_16x16x16_f16 v[50:53], v[2:3], v[18:19], 0
	v_lshl_add_u64 v[2:3], v[6:7], 2, s[12:13]
	global_load_dword v66, v[2:3], off
	v_mfma_f32_16x16x16_f16 v[6:9], v[8:9], v[20:21], v[42:45]
	v_mfma_f32_16x16x16_f16 v[2:5], v[4:5], v[20:21], v[50:53]
	s_nop 1
	v_add_u32_e32 v42, s7, v40
	v_add_u32_e32 v43, s7, v41
	v_ashrrev_i32_e32 v42, 5, v42
	s_waitcnt lgkmcnt(0)
	v_mfma_f32_16x16x16_f16 v[6:9], v[22:23], v[14:15], v[6:9]
	v_lshlrev_b32_e32 v45, 6, v36
	v_ashrrev_i32_e32 v43, 5, v43
	v_cndmask_b32_e32 v44, v64, v42, vcc
	s_waitcnt vmcnt(5)
	v_mfma_f32_16x16x16_f16 v[56:59], v[10:11], v[18:19], 0
	v_cmp_gt_i32_e32 vcc, s33, v41
	v_lshl_add_u64 v[50:51], s[4:5], 0, v[38:39]
	v_lshl_or_b32 v38, v1, 10, v45
	v_mfma_f32_16x16x16_f16 v[2:5], v[26:27], v[14:15], v[2:5]
	v_cndmask_b32_e32 v26, v64, v43, vcc
	v_ashrrev_i32_e32 v45, 31, v44
	v_ashrrev_i32_e32 v27, 31, v26
	v_mfma_f32_16x16x16_f16 v[22:25], v[24:25], v[16:17], v[6:9]
	s_nop 2
	v_lshl_add_u64 v[6:7], v[44:45], 2, s[12:13]
	v_mfma_f32_16x16x16_f16 v[10:13], v[12:13], v[20:21], v[56:59]
	v_lshl_add_u64 v[8:9], v[26:27], 2, s[12:13]
	global_load_dword v55, v[6:7], off
	s_nop 0
	global_load_dword v58, v[8:9], off
	s_waitcnt vmcnt(6)
	v_mfma_f32_16x16x16_f16 v[40:43], v[30:31], v[14:15], v[10:13]
	s_nop 2
	v_lshl_add_u64 v[10:11], v[50:51], 0, v[38:39]
	v_mfma_f32_16x16x16_f16 v[30:33], v[32:33], v[16:17], v[40:43]
	v_pk_mul_f32 v[50:51], s[6:7], v[24:25] op_sel_hi:[0,1]
	s_waitcnt vmcnt(2)
	v_mad_i64_i32 v[12:13], s[4:5], v66, s45, 0
	v_mfma_f32_16x16x16_f16 v[38:41], v[46:47], v[18:19], 0
	v_lshl_add_u64 v[56:57], v[12:13], 1, v[10:11]
	v_pk_mul_f32 v[12:13], s[6:7], v[22:23] op_sel_hi:[0,1]
	s_nop 0
	v_pk_mul_f32 v[46:47], s[6:7], v[32:33] op_sel_hi:[0,1]
	v_mfma_f32_16x16x16_f16 v[18:21], v[48:49], v[20:21], v[38:41]
	v_pk_mul_f32 v[48:49], s[6:7], v[30:31] op_sel_hi:[0,1]
	v_mfma_f32_16x16x16_f16 v[18:21], v[60:61], v[14:15], v[18:21]
	v_mfma_f32_16x16x16_f16 v[26:29], v[28:29], v[16:17], v[2:5]
	;; [unrolled: 1-line block ×3, first 2 shown]
	s_nop 1
	v_mad_i64_i32 v[2:3], s[4:5], v65, s45, 0
	s_nop 2
	v_pk_mul_f32 v[42:43], s[6:7], v[26:27] op_sel_hi:[0,1]
	v_pk_mul_f32 v[52:53], s[6:7], v[28:29] op_sel_hi:[0,1]
	v_lshl_add_u64 v[2:3], v[2:3], 1, v[10:11]
	v_pk_mul_f32 v[44:45], s[6:7], v[14:15] op_sel_hi:[0,1]
	v_and_b32_e32 v14, 0xc0, v0
	v_add_u32_e32 v14, s14, v14
	v_lshl_or_b32 v14, v54, 2, v14
	v_pk_mul_f32 v[38:39], s[6:7], v[16:17] op_sel_hi:[0,1]
	v_or_b32_e32 v17, 1, v14
	v_mov_b32_e32 v15, 0xff7fffff
	v_cmp_gt_i32_e64 s[4:5], s33, v14
	v_cmp_gt_i32_e64 s[34:35], s33, v17
	v_or_b32_e32 v18, 3, v14
	v_cndmask_b32_e64 v16, v15, v12, s[4:5]
	v_cndmask_b32_e64 v17, v15, v13, s[34:35]
	v_max3_f32 v16, v16, s43, v17
	v_or_b32_e32 v17, 2, v14
	v_cmp_gt_i32_e64 s[36:37], s33, v17
	v_cmp_gt_i32_e64 s[38:39], s33, v18
	global_load_dwordx4 v[6:9], v[2:3], off
	s_nop 0
	global_load_dwordx4 v[2:5], v[2:3], off offset:16
	v_cndmask_b32_e64 v17, v15, v50, s[36:37]
	v_cndmask_b32_e64 v18, v15, v51, s[38:39]
	v_max3_f32 v16, v16, v17, v18
	v_or_b32_e32 v17, 16, v14
	v_or_b32_e32 v18, 17, v14
	v_cmp_gt_i32_e64 s[24:25], s33, v17
	v_cmp_gt_i32_e64 s[26:27], s33, v18
	global_load_dwordx4 v[30:33], v[56:57], off
	global_load_dwordx4 v[26:29], v[56:57], off offset:16
	v_cndmask_b32_e64 v17, v15, v42, s[24:25]
	v_cndmask_b32_e64 v18, v15, v43, s[26:27]
	v_max3_f32 v16, v16, v17, v18
	v_or_b32_e32 v17, 18, v14
	v_or_b32_e32 v18, 19, v14
	v_cmp_gt_i32_e64 s[20:21], s33, v17
	v_cmp_gt_i32_e64 s[22:23], s33, v18
	s_nop 0
	v_cndmask_b32_e64 v17, v15, v52, s[20:21]
	v_cndmask_b32_e64 v18, v15, v53, s[22:23]
	v_max3_f32 v16, v16, v17, v18
	v_or_b32_e32 v17, 32, v14
	v_or_b32_e32 v18, 33, v14
	v_cmp_gt_i32_e64 s[16:17], s33, v17
	v_cmp_gt_i32_e64 s[18:19], s33, v18
	s_nop 0
	;; [unrolled: 8-line block ×4, first 2 shown]
	v_cndmask_b32_e64 v17, v15, v44, s[8:9]
	v_cndmask_b32_e64 v18, v15, v45, s[10:11]
	v_max3_f32 v16, v16, v17, v18
	v_or_b32_e32 v17, 50, v14
	v_or_b32_e32 v14, 51, v14
	v_cmp_gt_i32_e32 vcc, s33, v17
	v_cmp_gt_i32_e64 s[6:7], s33, v14
	s_nop 0
	v_cndmask_b32_e32 v17, v15, v38, vcc
	v_cndmask_b32_e64 v14, v15, v39, s[6:7]
	v_max3_f32 v16, v16, v17, v14
	v_mbcnt_lo_u32_b32 v14, -1, 0
	v_mbcnt_hi_u32_b32 v17, -1, v14
	v_and_b32_e32 v14, 64, v17
	v_add_u32_e32 v18, 64, v14
	v_xor_b32_e32 v14, 32, v17
	v_cmp_lt_i32_e64 s[40:41], v14, v18
	s_nop 1
	v_cndmask_b32_e64 v14, v17, v14, s[40:41]
	v_lshlrev_b32_e32 v59, 2, v14
	ds_bpermute_b32 v19, v59, v16
	s_waitcnt vmcnt(5)
	v_mad_i64_i32 v[14:15], s[40:41], v55, s45, 0
	v_lshl_add_u64 v[14:15], v[14:15], 1, v[10:11]
	s_waitcnt lgkmcnt(0)
	v_max_f32_e32 v19, v19, v19
	v_max_f32_e32 v16, v16, v19
	v_xor_b32_e32 v19, 16, v17
	v_cmp_lt_i32_e64 s[40:41], v19, v18
	s_nop 1
	v_cndmask_b32_e64 v17, v17, v19, s[40:41]
	v_lshlrev_b32_e32 v57, 2, v17
	ds_bpermute_b32 v17, v57, v16
	global_load_dwordx4 v[22:25], v[14:15], off
	global_load_dwordx4 v[18:21], v[14:15], off offset:16
	s_waitcnt vmcnt(6)
	v_mad_i64_i32 v[14:15], s[40:41], v58, s45, 0
	v_lshl_add_u64 v[10:11], v[14:15], 1, v[10:11]
	s_waitcnt lgkmcnt(0)
	v_max_f32_e32 v14, v17, v17
	v_max_f32_e32 v55, v16, v14
	v_sub_f32_e32 v12, v12, v55
	v_mul_f32_e32 v12, 0x3fb8aa3b, v12
	v_exp_f32_e32 v40, v12
	v_sub_f32_e32 v12, v13, v55
	v_mul_f32_e32 v12, 0x3fb8aa3b, v12
	v_exp_f32_e32 v41, v12
	global_load_dwordx4 v[14:17], v[10:11], off
	s_nop 0
	global_load_dwordx4 v[10:13], v[10:11], off offset:16
	v_sub_f32_e32 v50, v50, v55
	v_mul_f32_e32 v50, 0x3fb8aa3b, v50
	v_sub_f32_e32 v51, v51, v55
	v_exp_f32_e32 v50, v50
	v_mul_f32_e32 v51, 0x3fb8aa3b, v51
	v_sub_f32_e32 v42, v42, v55
	v_exp_f32_e32 v51, v51
	v_mul_f32_e32 v42, 0x3fb8aa3b, v42
	v_sub_f32_e32 v43, v43, v55
	v_cndmask_b32_e64 v40, 0, v40, s[4:5]
	v_exp_f32_e32 v42, v42
	v_mul_f32_e32 v43, 0x3fb8aa3b, v43
	v_sub_f32_e32 v52, v52, v55
	v_add_f32_e32 v56, 0, v40
	v_cndmask_b32_e64 v41, 0, v41, s[34:35]
	v_exp_f32_e32 v43, v43
	v_mul_f32_e32 v52, 0x3fb8aa3b, v52
	v_sub_f32_e32 v53, v53, v55
	v_add_f32_e32 v56, v56, v41
	;; [unrolled: 5-line block ×10, first 2 shown]
	v_cndmask_b32_e64 v46, 0, v46, s[12:13]
	v_exp_f32_e32 v38, v38
	v_mul_f32_e32 v39, 0x3fb8aa3b, v39
	v_add_f32_e32 v56, v56, v46
	v_cndmask_b32_e64 v47, 0, v47, s[14:15]
	v_exp_f32_e32 v39, v39
	v_add_f32_e32 v56, v56, v47
	v_cndmask_b32_e64 v44, 0, v44, s[8:9]
	v_add_f32_e32 v56, v56, v44
	v_cndmask_b32_e64 v45, 0, v45, s[10:11]
	v_add_f32_e32 v56, v56, v45
	v_cndmask_b32_e32 v38, 0, v38, vcc
	v_add_f32_e32 v56, v56, v38
	v_cndmask_b32_e64 v39, 0, v39, s[6:7]
	v_add_f32_e32 v56, v56, v39
	ds_bpermute_b32 v58, v59, v56
	v_cmp_gt_u32_e64 s[6:7], 16, v37
	v_lshlrev_b32_e32 v37, 2, v36
	s_waitcnt lgkmcnt(0)
	s_barrier
	v_add_f32_e32 v56, v56, v58
	ds_bpermute_b32 v57, v57, v56
	s_waitcnt lgkmcnt(0)
	s_and_saveexec_b64 s[4:5], s[6:7]
	s_cbranch_execz .LBB180_15
; %bb.14:
	v_add_f32_e32 v56, v56, v57
	v_lshl_or_b32 v57, v1, 6, v37
	ds_write2st64_b32 v57, v55, v56 offset1:1
.LBB180_15:
	s_or_b64 exec, exec, s[4:5]
	s_load_dword s8, s[0:1], 0x94
	s_waitcnt lgkmcnt(0)
	s_barrier
	ds_read2_b32 v[56:57], v37 offset1:16
	ds_read2_b32 v[58:59], v37 offset0:32 offset1:48
	ds_read2_b32 v[60:61], v37 offset0:64 offset1:80
	;; [unrolled: 1-line block ×3, first 2 shown]
	s_waitcnt lgkmcnt(0)
	v_max3_f32 v55, v56, s43, v57
	v_max3_f32 v55, v55, v58, v59
	v_sub_f32_e32 v56, v56, v55
	v_mul_f32_e32 v56, 0x3fb8aa3b, v56
	v_exp_f32_e32 v64, v56
	v_sub_f32_e32 v56, v57, v55
	v_mul_f32_e32 v56, 0x3fb8aa3b, v56
	v_exp_f32_e32 v57, v56
	v_sub_f32_e32 v56, v58, v55
	v_mul_f32_e32 v56, 0x3fb8aa3b, v56
	v_sub_f32_e32 v37, v59, v55
	v_exp_f32_e32 v58, v56
	v_mul_f32_e32 v37, 0x3fb8aa3b, v37
	v_exp_f32_e32 v37, v37
	v_fma_f32 v56, v64, v60, 0
	v_fmac_f32_e32 v56, v57, v61
	v_fmac_f32_e32 v56, v58, v62
	;; [unrolled: 1-line block ×3, first 2 shown]
	v_add_f32_e32 v59, 0x358637bd, v56
	v_div_scale_f32 v60, s[4:5], v59, v59, 1.0
	v_rcp_f32_e32 v61, v60
	s_barrier
	s_mul_i32 s9, s29, 9
	v_fma_f32 v62, -v60, v61, 1.0
	v_fmac_f32_e32 v61, v62, v61
	v_div_scale_f32 v62, vcc, 1.0, v59, 1.0
	v_mul_f32_e32 v63, v62, v61
	v_fma_f32 v65, -v60, v63, v62
	v_fmac_f32_e32 v63, v65, v61
	v_fma_f32 v60, -v60, v63, v62
	v_div_fmas_f32 v60, v60, v61, v63
	v_cmp_eq_u32_e32 vcc, 1, v1
	v_div_fixup_f32 v59, v60, v59, 1.0
	s_nop 0
	v_cndmask_b32_e32 v57, v64, v57, vcc
	v_cmp_eq_u32_e32 vcc, 2, v1
	s_nop 1
	v_cndmask_b32_e32 v57, v57, v58, vcc
	v_cmp_eq_u32_e32 vcc, 3, v1
	v_lshlrev_b32_e32 v1, 11, v1
	s_nop 0
	v_cndmask_b32_e32 v37, v57, v37, vcc
	v_mul_f32_e32 v58, v37, v59
	v_pk_mul_f32 v[50:51], v[58:59], v[50:51] op_sel_hi:[0,1]
	v_pk_mul_f32 v[40:41], v[58:59], v[40:41] op_sel_hi:[0,1]
	v_cvt_f16_f32_e32 v37, v40
	v_cvt_f16_f32_e32 v40, v41
	;; [unrolled: 1-line block ×4, first 2 shown]
	v_pk_mul_f32 v[52:53], v[58:59], v[52:53] op_sel_hi:[0,1]
	v_pk_mul_f32 v[42:43], v[58:59], v[42:43] op_sel_hi:[0,1]
	v_pack_b32_f16 v50, v37, v40
	v_pack_b32_f16 v51, v41, v51
	v_cvt_f16_f32_e32 v41, v42
	v_cvt_f16_f32_e32 v42, v43
	;; [unrolled: 1-line block ×4, first 2 shown]
	v_lshlrev_b32_e32 v37, 3, v54
	v_lshlrev_b32_e32 v40, 5, v36
	v_or3_b32 v1, v1, v40, v37
	v_pack_b32_f16 v42, v41, v42
	v_pack_b32_f16 v43, v43, v52
	ds_write2st64_b64 v1, v[50:51], v[42:43] offset1:1
	v_pk_mul_f32 v[42:43], v[58:59], v[46:47] op_sel_hi:[0,1]
	v_pk_mul_f32 v[46:47], v[58:59], v[48:49] op_sel_hi:[0,1]
	v_cvt_f16_f32_e32 v37, v46
	v_cvt_f16_f32_e32 v41, v47
	;; [unrolled: 1-line block ×4, first 2 shown]
	v_pk_mul_f32 v[38:39], v[58:59], v[38:39] op_sel_hi:[0,1]
	v_pk_mul_f32 v[42:43], v[58:59], v[44:45] op_sel_hi:[0,1]
	v_cvt_f16_f32_e32 v42, v42
	v_cvt_f16_f32_e32 v43, v43
	;; [unrolled: 1-line block ×4, first 2 shown]
	v_pack_b32_f16 v38, v37, v41
	v_pack_b32_f16 v39, v46, v47
	;; [unrolled: 1-line block ×4, first 2 shown]
	v_cmp_gt_u32_e32 vcc, 9, v0
	ds_write2st64_b64 v1, v[38:39], v[42:43] offset0:2 offset1:3
	s_and_saveexec_b64 s[4:5], vcc
	s_cbranch_execz .LBB180_17
; %bb.16:
	s_mov_b32 s43, 0
	v_mov_b32_e32 v37, 0
	v_lshl_add_u64 v[38:39], s[42:43], 0, v[36:37]
	v_mov_b32_e32 v36, s9
	v_mad_u64_u32 v[38:39], s[10:11], s2, v36, v[38:39]
	v_mov_b32_e32 v36, s28
	s_load_dwordx4 s[12:15], s[0:1], 0x58
	s_mul_i32 s3, s3, s9
	v_mad_u64_u32 v[36:37], s[10:11], v38, s8, v[36:37]
	v_add_u32_e32 v39, s3, v39
	v_mov_b32_e32 v38, v37
	v_mad_u64_u32 v[38:39], s[10:11], v39, s8, v[38:39]
	v_mov_b32_e32 v37, v38
	v_lshlrev_b64 v[36:37], 2, v[36:37]
	s_waitcnt lgkmcnt(0)
	v_lshl_add_u64 v[38:39], s[14:15], 0, v[36:37]
	v_lshl_add_u64 v[36:37], s[12:13], 0, v[36:37]
	global_store_dword v[38:39], v55, off
	global_store_dword v[36:37], v56, off
.LBB180_17:
	s_or_b64 exec, exec, s[4:5]
	v_lshl_or_b32 v48, v54, 9, v40
	s_waitcnt lgkmcnt(0)
	s_barrier
	ds_read_b128 v[36:39], v48
	ds_read_b128 v[40:43], v48 offset:16
	s_waitcnt vmcnt(7) lgkmcnt(1)
	v_mfma_f32_16x16x16_f16 v[44:47], v[6:7], v[36:37], 0
	v_cmp_gt_u32_e32 vcc, 64, v0
	s_mov_b32 s3, 0
	s_and_b64 s[4:5], vcc, s[30:31]
	v_mfma_f32_16x16x16_f16 v[6:9], v[8:9], v[38:39], v[44:47]
	s_waitcnt vmcnt(6) lgkmcnt(0)
	v_mfma_f32_16x16x16_f16 v[6:9], v[2:3], v[40:41], v[6:9]
	v_mfma_f32_16x16x16_f16 v[2:5], v[4:5], v[42:43], v[6:9]
	s_nop 5
	ds_read_b128 v[6:9], v48 offset:2048
	ds_read_b128 v[36:39], v48 offset:2064
	s_waitcnt vmcnt(5) lgkmcnt(1)
	v_mfma_f32_16x16x16_f16 v[2:5], v[30:31], v[6:7], v[2:5]
	v_mfma_f32_16x16x16_f16 v[2:5], v[32:33], v[8:9], v[2:5]
	s_waitcnt vmcnt(4) lgkmcnt(0)
	v_mfma_f32_16x16x16_f16 v[2:5], v[26:27], v[36:37], v[2:5]
	v_mfma_f32_16x16x16_f16 v[2:5], v[28:29], v[38:39], v[2:5]
	ds_read_b128 v[6:9], v48 offset:4096
	ds_read_b128 v[26:29], v48 offset:4112
	s_waitcnt vmcnt(3) lgkmcnt(1)
	v_mfma_f32_16x16x16_f16 v[2:5], v[22:23], v[6:7], v[2:5]
	v_mfma_f32_16x16x16_f16 v[2:5], v[24:25], v[8:9], v[2:5]
	s_waitcnt vmcnt(2) lgkmcnt(0)
	v_mfma_f32_16x16x16_f16 v[2:5], v[18:19], v[26:27], v[2:5]
	v_mfma_f32_16x16x16_f16 v[2:5], v[20:21], v[28:29], v[2:5]
	ds_read_b128 v[6:9], v48 offset:6144
	ds_read_b128 v[18:21], v48 offset:6160
	s_waitcnt lgkmcnt(0)
	s_barrier
	s_waitcnt vmcnt(1)
	v_mfma_f32_16x16x16_f16 v[2:5], v[14:15], v[6:7], v[2:5]
	v_mfma_f32_16x16x16_f16 v[2:5], v[16:17], v[8:9], v[2:5]
	s_waitcnt vmcnt(0)
	v_mfma_f32_16x16x16_f16 v[2:5], v[10:11], v[18:19], v[2:5]
	v_mfma_f32_16x16x16_f16 v[2:5], v[12:13], v[20:21], v[2:5]
	s_nop 6
	v_cvt_f16_f32_e32 v2, v2
	v_cvt_f16_f32_e32 v3, v3
	;; [unrolled: 1-line block ×4, first 2 shown]
	v_pack_b32_f16 v2, v2, v3
	v_pack_b32_f16 v3, v4, v5
	ds_write_b64 v1, v[2:3]
	s_waitcnt lgkmcnt(0)
	s_barrier
	s_and_saveexec_b64 s[10:11], s[4:5]
	s_cbranch_execz .LBB180_20
; %bb.18:
	s_load_dwordx2 s[4:5], s[0:1], 0x68
	s_lshl_b32 s0, s8, 6
	s_mul_i32 s1, s9, s2
	s_mul_hi_u32 s9, s1, s0
	s_mul_i32 s8, s1, s0
	v_lshlrev_b32_e32 v1, 10, v0
	v_lshlrev_b32_e32 v0, 4, v0
	s_lshl_b64 s[8:9], s[8:9], 1
	v_and_b32_e32 v1, 0x1800, v1
	v_lshlrev_b32_e32 v2, 5, v54
	v_and_b32_e32 v0, 16, v0
	s_waitcnt lgkmcnt(0)
	s_add_u32 s1, s4, s8
	v_or3_b32 v2, v1, v2, v0
	s_addc_u32 s4, s5, s9
	s_lshl_b32 s2, s28, 6
	s_lshl_b64 s[2:3], s[2:3], 1
	ds_read_b128 v[4:7], v2 offset:128
	ds_read_b128 v[8:11], v2
	s_add_u32 s2, s1, s2
	s_addc_u32 s3, s4, s3
	v_add_u32_e32 v3, s42, v54
	v_lshl_add_u64 v[0:1], v[34:35], 1, s[2:3]
	v_mad_u64_u32 v[12:13], s[2:3], v3, s0, 0
	v_lshl_add_u64 v[12:13], v[12:13], 1, v[0:1]
	v_add_u32_e32 v3, 4, v3
	s_waitcnt lgkmcnt(0)
	global_store_dwordx4 v[12:13], v[8:11], off
	s_nop 1
	v_mad_u64_u32 v[8:9], s[2:3], v3, s0, 0
	v_lshl_add_u64 v[8:9], v[8:9], 1, v[0:1]
	global_store_dwordx4 v[8:9], v[4:7], off
	s_and_b64 exec, exec, s[6:7]
	s_cbranch_execz .LBB180_20
; %bb.19:
	ds_read_b128 v[2:5], v2 offset:256
	v_add3_u32 v6, s42, v54, 8
	v_mad_u64_u32 v[6:7], s[0:1], v6, s0, 0
	v_lshl_add_u64 v[0:1], v[6:7], 1, v[0:1]
	s_waitcnt lgkmcnt(0)
	global_store_dwordx4 v[0:1], v[2:5], off
.LBB180_20:
	s_endpgm
	.section	.rodata,"a",@progbits
	.p2align	6, 0x0
	.amdhsa_kernel _Z39paged_attention_ll4mi_QKV_mfma16_kernelIDF16_DF16_LN4vllm18Fp8KVCacheDataTypeE0EDF16_Li32ELi64ELi256ELb0ELi9EEvPKT_PKT0_S7_ifPKiS9_S9_iPKfiiiPfSC_PS2_PT2_iSB_SB_
		.amdhsa_group_segment_fixed_size 8192
		.amdhsa_private_segment_fixed_size 0
		.amdhsa_kernarg_size 400
		.amdhsa_user_sgpr_count 2
		.amdhsa_user_sgpr_dispatch_ptr 0
		.amdhsa_user_sgpr_queue_ptr 0
		.amdhsa_user_sgpr_kernarg_segment_ptr 1
		.amdhsa_user_sgpr_dispatch_id 0
		.amdhsa_user_sgpr_kernarg_preload_length 0
		.amdhsa_user_sgpr_kernarg_preload_offset 0
		.amdhsa_user_sgpr_private_segment_size 0
		.amdhsa_uses_dynamic_stack 0
		.amdhsa_enable_private_segment 0
		.amdhsa_system_sgpr_workgroup_id_x 1
		.amdhsa_system_sgpr_workgroup_id_y 1
		.amdhsa_system_sgpr_workgroup_id_z 1
		.amdhsa_system_sgpr_workgroup_info 0
		.amdhsa_system_vgpr_workitem_id 0
		.amdhsa_next_free_vgpr 67
		.amdhsa_next_free_sgpr 48
		.amdhsa_accum_offset 68
		.amdhsa_reserve_vcc 1
		.amdhsa_float_round_mode_32 0
		.amdhsa_float_round_mode_16_64 0
		.amdhsa_float_denorm_mode_32 3
		.amdhsa_float_denorm_mode_16_64 3
		.amdhsa_dx10_clamp 1
		.amdhsa_ieee_mode 1
		.amdhsa_fp16_overflow 0
		.amdhsa_tg_split 0
		.amdhsa_exception_fp_ieee_invalid_op 0
		.amdhsa_exception_fp_denorm_src 0
		.amdhsa_exception_fp_ieee_div_zero 0
		.amdhsa_exception_fp_ieee_overflow 0
		.amdhsa_exception_fp_ieee_underflow 0
		.amdhsa_exception_fp_ieee_inexact 0
		.amdhsa_exception_int_div_zero 0
	.end_amdhsa_kernel
	.section	.text._Z39paged_attention_ll4mi_QKV_mfma16_kernelIDF16_DF16_LN4vllm18Fp8KVCacheDataTypeE0EDF16_Li32ELi64ELi256ELb0ELi9EEvPKT_PKT0_S7_ifPKiS9_S9_iPKfiiiPfSC_PS2_PT2_iSB_SB_,"axG",@progbits,_Z39paged_attention_ll4mi_QKV_mfma16_kernelIDF16_DF16_LN4vllm18Fp8KVCacheDataTypeE0EDF16_Li32ELi64ELi256ELb0ELi9EEvPKT_PKT0_S7_ifPKiS9_S9_iPKfiiiPfSC_PS2_PT2_iSB_SB_,comdat
.Lfunc_end180:
	.size	_Z39paged_attention_ll4mi_QKV_mfma16_kernelIDF16_DF16_LN4vllm18Fp8KVCacheDataTypeE0EDF16_Li32ELi64ELi256ELb0ELi9EEvPKT_PKT0_S7_ifPKiS9_S9_iPKfiiiPfSC_PS2_PT2_iSB_SB_, .Lfunc_end180-_Z39paged_attention_ll4mi_QKV_mfma16_kernelIDF16_DF16_LN4vllm18Fp8KVCacheDataTypeE0EDF16_Li32ELi64ELi256ELb0ELi9EEvPKT_PKT0_S7_ifPKiS9_S9_iPKfiiiPfSC_PS2_PT2_iSB_SB_
                                        ; -- End function
	.section	.AMDGPU.csdata,"",@progbits
; Kernel info:
; codeLenInByte = 3920
; NumSgprs: 54
; NumVgprs: 67
; NumAgprs: 0
; TotalNumVgprs: 67
; ScratchSize: 0
; MemoryBound: 0
; FloatMode: 240
; IeeeMode: 1
; LDSByteSize: 8192 bytes/workgroup (compile time only)
; SGPRBlocks: 6
; VGPRBlocks: 8
; NumSGPRsForWavesPerEU: 54
; NumVGPRsForWavesPerEU: 67
; AccumOffset: 68
; Occupancy: 7
; WaveLimiterHint : 1
; COMPUTE_PGM_RSRC2:SCRATCH_EN: 0
; COMPUTE_PGM_RSRC2:USER_SGPR: 2
; COMPUTE_PGM_RSRC2:TRAP_HANDLER: 0
; COMPUTE_PGM_RSRC2:TGID_X_EN: 1
; COMPUTE_PGM_RSRC2:TGID_Y_EN: 1
; COMPUTE_PGM_RSRC2:TGID_Z_EN: 1
; COMPUTE_PGM_RSRC2:TIDIG_COMP_CNT: 0
; COMPUTE_PGM_RSRC3_GFX90A:ACCUM_OFFSET: 16
; COMPUTE_PGM_RSRC3_GFX90A:TG_SPLIT: 0
	.section	.text._Z39paged_attention_ll4mi_QKV_mfma16_kernelIDF16_DF16_LN4vllm18Fp8KVCacheDataTypeE0EDF16_Li32ELi64ELi256ELb0ELi10EEvPKT_PKT0_S7_ifPKiS9_S9_iPKfiiiPfSC_PS2_PT2_iSB_SB_,"axG",@progbits,_Z39paged_attention_ll4mi_QKV_mfma16_kernelIDF16_DF16_LN4vllm18Fp8KVCacheDataTypeE0EDF16_Li32ELi64ELi256ELb0ELi10EEvPKT_PKT0_S7_ifPKiS9_S9_iPKfiiiPfSC_PS2_PT2_iSB_SB_,comdat
	.protected	_Z39paged_attention_ll4mi_QKV_mfma16_kernelIDF16_DF16_LN4vllm18Fp8KVCacheDataTypeE0EDF16_Li32ELi64ELi256ELb0ELi10EEvPKT_PKT0_S7_ifPKiS9_S9_iPKfiiiPfSC_PS2_PT2_iSB_SB_ ; -- Begin function _Z39paged_attention_ll4mi_QKV_mfma16_kernelIDF16_DF16_LN4vllm18Fp8KVCacheDataTypeE0EDF16_Li32ELi64ELi256ELb0ELi10EEvPKT_PKT0_S7_ifPKiS9_S9_iPKfiiiPfSC_PS2_PT2_iSB_SB_
	.globl	_Z39paged_attention_ll4mi_QKV_mfma16_kernelIDF16_DF16_LN4vllm18Fp8KVCacheDataTypeE0EDF16_Li32ELi64ELi256ELb0ELi10EEvPKT_PKT0_S7_ifPKiS9_S9_iPKfiiiPfSC_PS2_PT2_iSB_SB_
	.p2align	8
	.type	_Z39paged_attention_ll4mi_QKV_mfma16_kernelIDF16_DF16_LN4vllm18Fp8KVCacheDataTypeE0EDF16_Li32ELi64ELi256ELb0ELi10EEvPKT_PKT0_S7_ifPKiS9_S9_iPKfiiiPfSC_PS2_PT2_iSB_SB_,@function
_Z39paged_attention_ll4mi_QKV_mfma16_kernelIDF16_DF16_LN4vllm18Fp8KVCacheDataTypeE0EDF16_Li32ELi64ELi256ELb0ELi10EEvPKT_PKT0_S7_ifPKiS9_S9_iPKfiiiPfSC_PS2_PT2_iSB_SB_: ; @_Z39paged_attention_ll4mi_QKV_mfma16_kernelIDF16_DF16_LN4vllm18Fp8KVCacheDataTypeE0EDF16_Li32ELi64ELi256ELb0ELi10EEvPKT_PKT0_S7_ifPKiS9_S9_iPKfiiiPfSC_PS2_PT2_iSB_SB_
; %bb.0:
	s_load_dwordx2 s[6:7], s[0:1], 0x30
	s_mov_b32 s28, s3
	s_mov_b64 s[10:11], 0
	s_waitcnt lgkmcnt(0)
	s_cmp_lg_u64 s[6:7], 0
	s_cselect_b64 s[8:9], -1, 0
	s_and_b64 vcc, exec, s[8:9]
	s_cbranch_vccz .LBB181_7
; %bb.1:
	s_add_i32 s12, s2, 1
	s_mov_b32 s13, 0
	s_lshl_b64 s[14:15], s[12:13], 2
	s_add_u32 s14, s6, s14
	s_mov_b32 s3, s13
	s_addc_u32 s15, s7, s15
	s_lshl_b64 s[12:13], s[2:3], 2
	s_add_u32 s12, s6, s12
	s_addc_u32 s13, s7, s13
	s_load_dword s5, s[14:15], 0x0
	s_load_dword s16, s[12:13], 0x0
	s_waitcnt lgkmcnt(0)
	s_sub_i32 s5, s5, s16
	s_cmp_eq_u32 s5, 1
	s_cselect_b64 s[12:13], -1, 0
	s_andn2_b64 vcc, exec, s[10:11]
	s_cbranch_vccnz .LBB181_3
.LBB181_2:
	s_mov_b32 s3, 0
	s_mov_b64 s[12:13], -1
.LBB181_3:
	s_andn2_b64 vcc, exec, s[12:13]
	s_cbranch_vccnz .LBB181_20
; %bb.4:
	s_load_dwordx2 s[12:13], s[0:1], 0x28
	s_lshl_b64 s[10:11], s[2:3], 2
	s_waitcnt lgkmcnt(0)
	s_add_u32 s12, s12, s10
	s_addc_u32 s13, s13, s11
	s_load_dword s33, s[12:13], 0x0
	s_lshl_b32 s14, s28, 8
	s_waitcnt lgkmcnt(0)
	s_cmp_ge_i32 s14, s33
	s_cbranch_scc1 .LBB181_20
; %bb.5:
	s_load_dwordx2 s[12:13], s[0:1], 0x20
	s_load_dword s5, s[0:1], 0x38
	s_add_i32 s15, s33, 31
	s_ashr_i32 s16, s15, 31
	v_and_b32_e32 v1, 0xcf, v0
	s_lshr_b32 s16, s16, 27
	v_add_u32_e32 v1, s14, v1
	s_add_i32 s15, s15, s16
	v_ashrrev_i32_e32 v2, 31, v1
	s_ashr_i32 s15, s15, 5
	v_lshrrev_b32_e32 v10, 27, v2
	s_add_i32 s15, s15, -1
	s_waitcnt lgkmcnt(0)
	s_mul_i32 s16, s2, s5
	s_mov_b32 s17, 0
	v_add_u32_e32 v2, v1, v10
	s_lshl_b64 s[16:17], s[16:17], 2
	v_ashrrev_i32_e32 v2, 5, v2
	v_mov_b32_e32 v11, s15
	v_cmp_gt_i32_e32 vcc, s33, v1
	s_add_u32 s12, s12, s16
	s_addc_u32 s13, s13, s17
	v_cndmask_b32_e32 v2, v11, v2, vcc
	v_ashrrev_i32_e32 v3, 31, v2
	v_lshl_add_u64 v[4:5], v[2:3], 2, s[12:13]
	v_or_b32_e32 v2, 16, v1
	v_add_u32_e32 v3, v2, v10
	v_ashrrev_i32_e32 v3, 5, v3
	v_cmp_gt_i32_e32 vcc, s33, v2
	s_nop 1
	v_cndmask_b32_e32 v2, v11, v3, vcc
	v_ashrrev_i32_e32 v3, 31, v2
	v_lshl_add_u64 v[6:7], v[2:3], 2, s[12:13]
	v_or_b32_e32 v2, 32, v1
	v_add_u32_e32 v3, v2, v10
	v_ashrrev_i32_e32 v3, 5, v3
	v_cmp_gt_i32_e32 vcc, s33, v2
	v_or_b32_e32 v1, 48, v1
	s_nop 0
	v_cndmask_b32_e32 v2, v11, v3, vcc
	v_ashrrev_i32_e32 v3, 31, v2
	v_lshl_add_u64 v[8:9], v[2:3], 2, s[12:13]
	v_add_u32_e32 v2, v1, v10
	v_ashrrev_i32_e32 v2, 5, v2
	v_cmp_gt_i32_e32 vcc, s33, v1
	s_nop 1
	v_cndmask_b32_e32 v2, v11, v2, vcc
	v_ashrrev_i32_e32 v3, 31, v2
	v_lshl_add_u64 v[12:13], v[2:3], 2, s[12:13]
	global_load_dword v3, v[4:5], off
	global_load_dword v2, v[6:7], off
	;; [unrolled: 1-line block ×4, first 2 shown]
	s_andn2_b64 vcc, exec, s[8:9]
	s_cbranch_vccnz .LBB181_8
; %bb.6:
	s_add_u32 s6, s6, s10
	s_addc_u32 s7, s7, s11
	s_load_dword s5, s[6:7], 0x0
	s_branch .LBB181_9
.LBB181_7:
	s_mov_b64 s[12:13], 0
	s_branch .LBB181_2
.LBB181_8:
	s_mov_b32 s5, s2
.LBB181_9:
	s_load_dwordx4 s[8:11], s[0:1], 0x8
	s_load_dwordx4 s[44:47], s[0:1], 0x48
	v_lshrrev_b32_e32 v1, 6, v0
	v_bfe_u32 v54, v0, 4, 2
	v_lshl_or_b32 v4, v1, 2, v54
	v_and_b32_e32 v36, 15, v0
	v_cmp_lt_u32_e32 vcc, 9, v4
	v_cmp_lt_u32_e64 s[6:7], 7, v36
	v_lshlrev_b32_e32 v34, 3, v36
	v_cmp_gt_u32_e64 s[30:31], 8, v36
	s_or_b64 s[6:7], s[6:7], vcc
	s_and_saveexec_b64 s[16:17], s[6:7]
	s_xor_b64 s[6:7], exec, s[16:17]
; %bb.10:
	v_mov_b32_e32 v35, 0
                                        ; implicit-def: $vgpr4
; %bb.11:
	s_or_saveexec_b64 s[6:7], s[6:7]
	v_and_b32_e32 v37, 63, v0
	s_mul_i32 s42, s4, 10
	s_xor_b64 exec, exec, s[6:7]
	s_cbranch_execz .LBB181_13
; %bb.12:
	s_load_dwordx2 s[16:17], s[0:1], 0x0
	s_waitcnt lgkmcnt(0)
	s_ashr_i32 s18, s44, 31
	s_mul_hi_u32 s19, s5, s44
	s_mul_i32 s18, s5, s18
	s_add_i32 s19, s19, s18
	s_mul_i32 s18, s5, s44
	s_lshl_b64 s[18:19], s[18:19], 1
	s_add_u32 s16, s16, s18
	v_add_lshl_u32 v6, v4, s42, 6
	s_addc_u32 s17, s17, s19
	v_ashrrev_i32_e32 v7, 31, v6
	v_mov_b32_e32 v35, 0
	v_lshl_add_u64 v[6:7], v[6:7], 1, s[16:17]
	v_lshlrev_b32_e32 v8, 1, v34
	v_mov_b32_e32 v9, v35
	v_lshl_add_u64 v[6:7], v[6:7], 0, v[8:9]
	global_load_dwordx4 v[6:9], v[6:7], off
	v_and_b32_e32 v5, 3, v0
	v_lshlrev_b32_e32 v11, 9, v36
	v_lshlrev_b32_e32 v4, 5, v4
	;; [unrolled: 1-line block ×3, first 2 shown]
	v_and_b32_e32 v11, 0x1800, v11
	v_or3_b32 v4, v11, v5, v4
	s_waitcnt vmcnt(0)
	ds_write_b128 v4, v[6:9]
.LBB181_13:
	s_or_b64 exec, exec, s[6:7]
	s_waitcnt lgkmcnt(0)
	s_mul_i32 s4, s4, s46
	s_mov_b32 s5, 0
	s_lshl_b64 s[4:5], s[4:5], 1
	s_add_u32 s8, s8, s4
	s_addc_u32 s9, s9, s5
	s_waitcnt vmcnt(3)
	v_mad_i64_i32 v[4:5], s[16:17], v3, s45, 0
	v_lshl_add_u64 v[4:5], v[4:5], 1, s[8:9]
	v_lshlrev_b64 v[12:13], 1, v[34:35]
	v_lshlrev_b32_e32 v38, 9, v54
	v_lshl_add_u64 v[4:5], v[4:5], 0, v[12:13]
	v_mov_b32_e32 v39, 0
	v_lshl_add_u64 v[14:15], v[4:5], 0, v[38:39]
	s_waitcnt vmcnt(2)
	v_mad_i64_i32 v[2:3], s[16:17], v2, s45, 0
	v_mov_b32_e32 v4, 0x100
	v_lshl_add_u64 v[2:3], v[2:3], 1, s[8:9]
	v_lshl_or_b32 v40, v36, 4, v4
	v_mov_b32_e32 v41, v39
	s_load_dword s29, s[0:1], 0x98
	s_load_dword s6, s[0:1], 0x1c
	s_waitcnt lgkmcnt(0)
	s_barrier
	v_lshl_add_u64 v[2:3], v[2:3], 0, v[40:41]
	global_load_dwordx4 v[6:9], v[14:15], off
	global_load_dwordx4 v[22:25], v[14:15], off offset:2048
	v_lshl_add_u64 v[18:19], v[2:3], 0, v[38:39]
	global_load_dwordx4 v[2:5], v[18:19], off
	global_load_dwordx4 v[26:29], v[18:19], off offset:2048
	s_waitcnt vmcnt(5)
	v_mad_i64_i32 v[10:11], s[16:17], v10, s45, 0
	v_lshl_add_u64 v[10:11], v[10:11], 1, s[8:9]
	v_lshl_add_u64 v[10:11], v[10:11], 0, v[12:13]
	;; [unrolled: 1-line block ×3, first 2 shown]
	global_load_dwordx4 v[10:13], v[20:21], off
	global_load_dwordx4 v[30:33], v[20:21], off offset:2048
	s_waitcnt vmcnt(6)
	v_mad_i64_i32 v[42:43], s[16:17], v16, s45, 0
	v_add_u32_e32 v17, -10, v36
	v_cmp_gt_u32_e32 vcc, 10, v36
	v_lshl_add_u64 v[42:43], v[42:43], 1, s[8:9]
	v_lshl_add_u64 v[40:41], v[42:43], 0, v[40:41]
	v_cndmask_b32_e32 v14, v17, v36, vcc
	v_lshl_add_u32 v14, v14, 5, v38
	v_lshl_add_u64 v[40:41], v[40:41], 0, v[38:39]
	ds_read_b128 v[18:21], v14
	ds_read_b128 v[14:17], v14 offset:2048
	global_load_dwordx4 v[46:49], v[40:41], off
	global_load_dwordx4 v[60:63], v[40:41], off offset:2048
	s_ashr_i32 s7, s14, 31
	v_and_or_b32 v55, v0, 48, s14
	s_lshr_b32 s7, s7, 27
	v_add_u32_e32 v42, s7, v55
	v_mov_b32_e32 v64, s15
	v_or_b32_e32 v50, 64, v55
	v_ashrrev_i32_e32 v38, 5, v42
	v_cmp_gt_i32_e32 vcc, s33, v55
	v_add_u32_e32 v43, s7, v50
	v_ashrrev_i32_e32 v51, 5, v43
	v_cndmask_b32_e32 v42, v64, v38, vcc
	v_ashrrev_i32_e32 v43, 31, v42
	v_lshl_add_u64 v[42:43], v[42:43], 2, s[12:13]
	v_cmp_gt_i32_e32 vcc, s33, v50
	global_load_dword v65, v[42:43], off
	v_or_b32_e32 v40, 0x80, v55
	v_or_b32_e32 v41, 0xc0, v55
	v_and_b32_e32 v38, 16, v0
	s_add_u32 s4, s10, s4
	s_addc_u32 s5, s11, s5
	v_lshlrev_b32_e32 v38, 1, v38
	s_mov_b32 s43, 0xff7fffff
	s_waitcnt vmcnt(8) lgkmcnt(1)
	v_mfma_f32_16x16x16_f16 v[42:45], v[6:7], v[18:19], 0
	v_cndmask_b32_e32 v6, v64, v51, vcc
	v_ashrrev_i32_e32 v7, 31, v6
	v_cmp_gt_i32_e32 vcc, s33, v40
	s_waitcnt vmcnt(6)
	v_mfma_f32_16x16x16_f16 v[50:53], v[2:3], v[18:19], 0
	v_lshl_add_u64 v[2:3], v[6:7], 2, s[12:13]
	global_load_dword v66, v[2:3], off
	v_mfma_f32_16x16x16_f16 v[6:9], v[8:9], v[20:21], v[42:45]
	v_mfma_f32_16x16x16_f16 v[2:5], v[4:5], v[20:21], v[50:53]
	s_nop 1
	v_add_u32_e32 v42, s7, v40
	v_add_u32_e32 v43, s7, v41
	v_ashrrev_i32_e32 v42, 5, v42
	s_waitcnt lgkmcnt(0)
	v_mfma_f32_16x16x16_f16 v[6:9], v[22:23], v[14:15], v[6:9]
	v_lshlrev_b32_e32 v45, 6, v36
	v_ashrrev_i32_e32 v43, 5, v43
	v_cndmask_b32_e32 v44, v64, v42, vcc
	s_waitcnt vmcnt(5)
	v_mfma_f32_16x16x16_f16 v[56:59], v[10:11], v[18:19], 0
	v_cmp_gt_i32_e32 vcc, s33, v41
	v_lshl_add_u64 v[50:51], s[4:5], 0, v[38:39]
	v_lshl_or_b32 v38, v1, 10, v45
	v_mfma_f32_16x16x16_f16 v[2:5], v[26:27], v[14:15], v[2:5]
	v_cndmask_b32_e32 v26, v64, v43, vcc
	v_ashrrev_i32_e32 v45, 31, v44
	v_ashrrev_i32_e32 v27, 31, v26
	v_mfma_f32_16x16x16_f16 v[22:25], v[24:25], v[16:17], v[6:9]
	s_nop 2
	v_lshl_add_u64 v[6:7], v[44:45], 2, s[12:13]
	v_mfma_f32_16x16x16_f16 v[10:13], v[12:13], v[20:21], v[56:59]
	v_lshl_add_u64 v[8:9], v[26:27], 2, s[12:13]
	global_load_dword v55, v[6:7], off
	s_nop 0
	global_load_dword v58, v[8:9], off
	s_waitcnt vmcnt(6)
	v_mfma_f32_16x16x16_f16 v[40:43], v[30:31], v[14:15], v[10:13]
	s_nop 2
	v_lshl_add_u64 v[10:11], v[50:51], 0, v[38:39]
	v_mfma_f32_16x16x16_f16 v[30:33], v[32:33], v[16:17], v[40:43]
	v_pk_mul_f32 v[50:51], s[6:7], v[24:25] op_sel_hi:[0,1]
	s_waitcnt vmcnt(2)
	v_mad_i64_i32 v[12:13], s[4:5], v66, s45, 0
	v_mfma_f32_16x16x16_f16 v[38:41], v[46:47], v[18:19], 0
	v_lshl_add_u64 v[56:57], v[12:13], 1, v[10:11]
	v_pk_mul_f32 v[12:13], s[6:7], v[22:23] op_sel_hi:[0,1]
	s_nop 0
	v_pk_mul_f32 v[46:47], s[6:7], v[32:33] op_sel_hi:[0,1]
	v_mfma_f32_16x16x16_f16 v[18:21], v[48:49], v[20:21], v[38:41]
	v_pk_mul_f32 v[48:49], s[6:7], v[30:31] op_sel_hi:[0,1]
	v_mfma_f32_16x16x16_f16 v[18:21], v[60:61], v[14:15], v[18:21]
	v_mfma_f32_16x16x16_f16 v[26:29], v[28:29], v[16:17], v[2:5]
	;; [unrolled: 1-line block ×3, first 2 shown]
	s_nop 1
	v_mad_i64_i32 v[2:3], s[4:5], v65, s45, 0
	s_nop 2
	v_pk_mul_f32 v[42:43], s[6:7], v[26:27] op_sel_hi:[0,1]
	v_pk_mul_f32 v[52:53], s[6:7], v[28:29] op_sel_hi:[0,1]
	v_lshl_add_u64 v[2:3], v[2:3], 1, v[10:11]
	v_pk_mul_f32 v[44:45], s[6:7], v[14:15] op_sel_hi:[0,1]
	v_and_b32_e32 v14, 0xc0, v0
	v_add_u32_e32 v14, s14, v14
	v_lshl_or_b32 v14, v54, 2, v14
	v_pk_mul_f32 v[38:39], s[6:7], v[16:17] op_sel_hi:[0,1]
	v_or_b32_e32 v17, 1, v14
	v_mov_b32_e32 v15, 0xff7fffff
	v_cmp_gt_i32_e64 s[4:5], s33, v14
	v_cmp_gt_i32_e64 s[34:35], s33, v17
	v_or_b32_e32 v18, 3, v14
	v_cndmask_b32_e64 v16, v15, v12, s[4:5]
	v_cndmask_b32_e64 v17, v15, v13, s[34:35]
	v_max3_f32 v16, v16, s43, v17
	v_or_b32_e32 v17, 2, v14
	v_cmp_gt_i32_e64 s[36:37], s33, v17
	v_cmp_gt_i32_e64 s[38:39], s33, v18
	global_load_dwordx4 v[6:9], v[2:3], off
	s_nop 0
	global_load_dwordx4 v[2:5], v[2:3], off offset:16
	v_cndmask_b32_e64 v17, v15, v50, s[36:37]
	v_cndmask_b32_e64 v18, v15, v51, s[38:39]
	v_max3_f32 v16, v16, v17, v18
	v_or_b32_e32 v17, 16, v14
	v_or_b32_e32 v18, 17, v14
	v_cmp_gt_i32_e64 s[24:25], s33, v17
	v_cmp_gt_i32_e64 s[26:27], s33, v18
	global_load_dwordx4 v[30:33], v[56:57], off
	global_load_dwordx4 v[26:29], v[56:57], off offset:16
	v_cndmask_b32_e64 v17, v15, v42, s[24:25]
	v_cndmask_b32_e64 v18, v15, v43, s[26:27]
	v_max3_f32 v16, v16, v17, v18
	v_or_b32_e32 v17, 18, v14
	v_or_b32_e32 v18, 19, v14
	v_cmp_gt_i32_e64 s[20:21], s33, v17
	v_cmp_gt_i32_e64 s[22:23], s33, v18
	s_nop 0
	v_cndmask_b32_e64 v17, v15, v52, s[20:21]
	v_cndmask_b32_e64 v18, v15, v53, s[22:23]
	v_max3_f32 v16, v16, v17, v18
	v_or_b32_e32 v17, 32, v14
	v_or_b32_e32 v18, 33, v14
	v_cmp_gt_i32_e64 s[16:17], s33, v17
	v_cmp_gt_i32_e64 s[18:19], s33, v18
	s_nop 0
	;; [unrolled: 8-line block ×4, first 2 shown]
	v_cndmask_b32_e64 v17, v15, v44, s[8:9]
	v_cndmask_b32_e64 v18, v15, v45, s[10:11]
	v_max3_f32 v16, v16, v17, v18
	v_or_b32_e32 v17, 50, v14
	v_or_b32_e32 v14, 51, v14
	v_cmp_gt_i32_e32 vcc, s33, v17
	v_cmp_gt_i32_e64 s[6:7], s33, v14
	s_nop 0
	v_cndmask_b32_e32 v17, v15, v38, vcc
	v_cndmask_b32_e64 v14, v15, v39, s[6:7]
	v_max3_f32 v16, v16, v17, v14
	v_mbcnt_lo_u32_b32 v14, -1, 0
	v_mbcnt_hi_u32_b32 v17, -1, v14
	v_and_b32_e32 v14, 64, v17
	v_add_u32_e32 v18, 64, v14
	v_xor_b32_e32 v14, 32, v17
	v_cmp_lt_i32_e64 s[40:41], v14, v18
	s_nop 1
	v_cndmask_b32_e64 v14, v17, v14, s[40:41]
	v_lshlrev_b32_e32 v59, 2, v14
	ds_bpermute_b32 v19, v59, v16
	s_waitcnt vmcnt(5)
	v_mad_i64_i32 v[14:15], s[40:41], v55, s45, 0
	v_lshl_add_u64 v[14:15], v[14:15], 1, v[10:11]
	s_waitcnt lgkmcnt(0)
	v_max_f32_e32 v19, v19, v19
	v_max_f32_e32 v16, v16, v19
	v_xor_b32_e32 v19, 16, v17
	v_cmp_lt_i32_e64 s[40:41], v19, v18
	s_nop 1
	v_cndmask_b32_e64 v17, v17, v19, s[40:41]
	v_lshlrev_b32_e32 v57, 2, v17
	ds_bpermute_b32 v17, v57, v16
	global_load_dwordx4 v[22:25], v[14:15], off
	global_load_dwordx4 v[18:21], v[14:15], off offset:16
	s_waitcnt vmcnt(6)
	v_mad_i64_i32 v[14:15], s[40:41], v58, s45, 0
	v_lshl_add_u64 v[10:11], v[14:15], 1, v[10:11]
	s_waitcnt lgkmcnt(0)
	v_max_f32_e32 v14, v17, v17
	v_max_f32_e32 v55, v16, v14
	v_sub_f32_e32 v12, v12, v55
	v_mul_f32_e32 v12, 0x3fb8aa3b, v12
	v_exp_f32_e32 v40, v12
	v_sub_f32_e32 v12, v13, v55
	v_mul_f32_e32 v12, 0x3fb8aa3b, v12
	v_exp_f32_e32 v41, v12
	global_load_dwordx4 v[14:17], v[10:11], off
	s_nop 0
	global_load_dwordx4 v[10:13], v[10:11], off offset:16
	v_sub_f32_e32 v50, v50, v55
	v_mul_f32_e32 v50, 0x3fb8aa3b, v50
	v_sub_f32_e32 v51, v51, v55
	v_exp_f32_e32 v50, v50
	v_mul_f32_e32 v51, 0x3fb8aa3b, v51
	v_sub_f32_e32 v42, v42, v55
	v_exp_f32_e32 v51, v51
	v_mul_f32_e32 v42, 0x3fb8aa3b, v42
	v_sub_f32_e32 v43, v43, v55
	v_cndmask_b32_e64 v40, 0, v40, s[4:5]
	v_exp_f32_e32 v42, v42
	v_mul_f32_e32 v43, 0x3fb8aa3b, v43
	v_sub_f32_e32 v52, v52, v55
	v_add_f32_e32 v56, 0, v40
	v_cndmask_b32_e64 v41, 0, v41, s[34:35]
	v_exp_f32_e32 v43, v43
	v_mul_f32_e32 v52, 0x3fb8aa3b, v52
	v_sub_f32_e32 v53, v53, v55
	v_add_f32_e32 v56, v56, v41
	;; [unrolled: 5-line block ×10, first 2 shown]
	v_cndmask_b32_e64 v46, 0, v46, s[12:13]
	v_exp_f32_e32 v38, v38
	v_mul_f32_e32 v39, 0x3fb8aa3b, v39
	v_add_f32_e32 v56, v56, v46
	v_cndmask_b32_e64 v47, 0, v47, s[14:15]
	v_exp_f32_e32 v39, v39
	v_add_f32_e32 v56, v56, v47
	v_cndmask_b32_e64 v44, 0, v44, s[8:9]
	v_add_f32_e32 v56, v56, v44
	v_cndmask_b32_e64 v45, 0, v45, s[10:11]
	v_add_f32_e32 v56, v56, v45
	v_cndmask_b32_e32 v38, 0, v38, vcc
	v_add_f32_e32 v56, v56, v38
	v_cndmask_b32_e64 v39, 0, v39, s[6:7]
	v_add_f32_e32 v56, v56, v39
	ds_bpermute_b32 v58, v59, v56
	v_cmp_gt_u32_e32 vcc, 16, v37
	v_lshlrev_b32_e32 v37, 2, v36
	s_waitcnt lgkmcnt(0)
	s_barrier
	v_add_f32_e32 v56, v56, v58
	ds_bpermute_b32 v57, v57, v56
	s_waitcnt lgkmcnt(0)
	s_and_saveexec_b64 s[4:5], vcc
	s_cbranch_execz .LBB181_15
; %bb.14:
	v_add_f32_e32 v56, v56, v57
	v_lshl_or_b32 v57, v1, 6, v37
	ds_write2st64_b32 v57, v55, v56 offset1:1
.LBB181_15:
	s_or_b64 exec, exec, s[4:5]
	s_load_dword s6, s[0:1], 0x94
	s_waitcnt lgkmcnt(0)
	s_barrier
	ds_read2_b32 v[56:57], v37 offset1:16
	ds_read2_b32 v[58:59], v37 offset0:32 offset1:48
	ds_read2_b32 v[60:61], v37 offset0:64 offset1:80
	;; [unrolled: 1-line block ×3, first 2 shown]
	s_waitcnt lgkmcnt(0)
	v_max3_f32 v55, v56, s43, v57
	v_max3_f32 v55, v55, v58, v59
	v_sub_f32_e32 v56, v56, v55
	v_mul_f32_e32 v56, 0x3fb8aa3b, v56
	v_exp_f32_e32 v64, v56
	v_sub_f32_e32 v56, v57, v55
	v_mul_f32_e32 v56, 0x3fb8aa3b, v56
	v_exp_f32_e32 v57, v56
	v_sub_f32_e32 v56, v58, v55
	v_mul_f32_e32 v56, 0x3fb8aa3b, v56
	v_sub_f32_e32 v37, v59, v55
	v_exp_f32_e32 v58, v56
	v_mul_f32_e32 v37, 0x3fb8aa3b, v37
	v_exp_f32_e32 v37, v37
	v_fma_f32 v56, v64, v60, 0
	v_fmac_f32_e32 v56, v57, v61
	v_fmac_f32_e32 v56, v58, v62
	;; [unrolled: 1-line block ×3, first 2 shown]
	v_add_f32_e32 v59, 0x358637bd, v56
	v_div_scale_f32 v60, s[4:5], v59, v59, 1.0
	v_rcp_f32_e32 v61, v60
	s_barrier
	s_mul_i32 s7, s29, 10
	v_fma_f32 v62, -v60, v61, 1.0
	v_fmac_f32_e32 v61, v62, v61
	v_div_scale_f32 v62, vcc, 1.0, v59, 1.0
	v_mul_f32_e32 v63, v62, v61
	v_fma_f32 v65, -v60, v63, v62
	v_fmac_f32_e32 v63, v65, v61
	v_fma_f32 v60, -v60, v63, v62
	v_div_fmas_f32 v60, v60, v61, v63
	v_cmp_eq_u32_e32 vcc, 1, v1
	v_div_fixup_f32 v59, v60, v59, 1.0
	s_nop 0
	v_cndmask_b32_e32 v57, v64, v57, vcc
	v_cmp_eq_u32_e32 vcc, 2, v1
	s_nop 1
	v_cndmask_b32_e32 v57, v57, v58, vcc
	v_cmp_eq_u32_e32 vcc, 3, v1
	v_lshlrev_b32_e32 v1, 11, v1
	s_nop 0
	v_cndmask_b32_e32 v37, v57, v37, vcc
	v_mul_f32_e32 v58, v37, v59
	v_pk_mul_f32 v[50:51], v[58:59], v[50:51] op_sel_hi:[0,1]
	v_pk_mul_f32 v[40:41], v[58:59], v[40:41] op_sel_hi:[0,1]
	v_cvt_f16_f32_e32 v37, v40
	v_cvt_f16_f32_e32 v40, v41
	;; [unrolled: 1-line block ×4, first 2 shown]
	v_pk_mul_f32 v[52:53], v[58:59], v[52:53] op_sel_hi:[0,1]
	v_pk_mul_f32 v[42:43], v[58:59], v[42:43] op_sel_hi:[0,1]
	v_pack_b32_f16 v50, v37, v40
	v_pack_b32_f16 v51, v41, v51
	v_cvt_f16_f32_e32 v41, v42
	v_cvt_f16_f32_e32 v42, v43
	v_cvt_f16_f32_e32 v43, v52
	v_cvt_f16_f32_e32 v52, v53
	v_lshlrev_b32_e32 v37, 3, v54
	v_lshlrev_b32_e32 v40, 5, v36
	v_or3_b32 v1, v1, v40, v37
	v_pack_b32_f16 v42, v41, v42
	v_pack_b32_f16 v43, v43, v52
	ds_write2st64_b64 v1, v[50:51], v[42:43] offset1:1
	v_pk_mul_f32 v[42:43], v[58:59], v[46:47] op_sel_hi:[0,1]
	v_pk_mul_f32 v[46:47], v[58:59], v[48:49] op_sel_hi:[0,1]
	v_cvt_f16_f32_e32 v37, v46
	v_cvt_f16_f32_e32 v41, v47
	;; [unrolled: 1-line block ×4, first 2 shown]
	v_pk_mul_f32 v[38:39], v[58:59], v[38:39] op_sel_hi:[0,1]
	v_pk_mul_f32 v[42:43], v[58:59], v[44:45] op_sel_hi:[0,1]
	v_cvt_f16_f32_e32 v42, v42
	v_cvt_f16_f32_e32 v43, v43
	;; [unrolled: 1-line block ×4, first 2 shown]
	v_pack_b32_f16 v38, v37, v41
	v_pack_b32_f16 v39, v46, v47
	;; [unrolled: 1-line block ×4, first 2 shown]
	v_cmp_gt_u32_e32 vcc, 10, v0
	ds_write2st64_b64 v1, v[38:39], v[42:43] offset0:2 offset1:3
	s_and_saveexec_b64 s[4:5], vcc
	s_cbranch_execz .LBB181_17
; %bb.16:
	s_mov_b32 s43, 0
	v_mov_b32_e32 v37, 0
	v_lshl_add_u64 v[38:39], s[42:43], 0, v[36:37]
	v_mov_b32_e32 v36, s7
	v_mad_u64_u32 v[38:39], s[12:13], s2, v36, v[38:39]
	v_mov_b32_e32 v36, s28
	s_load_dwordx4 s[8:11], s[0:1], 0x58
	s_mul_i32 s3, s3, s7
	v_mad_u64_u32 v[36:37], s[12:13], v38, s6, v[36:37]
	v_add_u32_e32 v39, s3, v39
	v_mov_b32_e32 v38, v37
	v_mad_u64_u32 v[38:39], s[12:13], v39, s6, v[38:39]
	v_mov_b32_e32 v37, v38
	v_lshlrev_b64 v[36:37], 2, v[36:37]
	s_waitcnt lgkmcnt(0)
	v_lshl_add_u64 v[38:39], s[10:11], 0, v[36:37]
	v_lshl_add_u64 v[36:37], s[8:9], 0, v[36:37]
	global_store_dword v[38:39], v55, off
	global_store_dword v[36:37], v56, off
.LBB181_17:
	s_or_b64 exec, exec, s[4:5]
	v_lshl_or_b32 v48, v54, 9, v40
	s_waitcnt lgkmcnt(0)
	s_barrier
	ds_read_b128 v[36:39], v48
	ds_read_b128 v[40:43], v48 offset:16
	s_waitcnt vmcnt(7) lgkmcnt(1)
	v_mfma_f32_16x16x16_f16 v[44:47], v[6:7], v[36:37], 0
	v_cmp_gt_u32_e32 vcc, 64, v0
	s_mov_b32 s3, 0
	s_and_b64 s[4:5], vcc, s[30:31]
	v_mfma_f32_16x16x16_f16 v[6:9], v[8:9], v[38:39], v[44:47]
	s_waitcnt vmcnt(6) lgkmcnt(0)
	v_mfma_f32_16x16x16_f16 v[6:9], v[2:3], v[40:41], v[6:9]
	v_mfma_f32_16x16x16_f16 v[2:5], v[4:5], v[42:43], v[6:9]
	s_nop 5
	ds_read_b128 v[6:9], v48 offset:2048
	ds_read_b128 v[36:39], v48 offset:2064
	s_waitcnt vmcnt(5) lgkmcnt(1)
	v_mfma_f32_16x16x16_f16 v[2:5], v[30:31], v[6:7], v[2:5]
	v_mfma_f32_16x16x16_f16 v[2:5], v[32:33], v[8:9], v[2:5]
	s_waitcnt vmcnt(4) lgkmcnt(0)
	v_mfma_f32_16x16x16_f16 v[2:5], v[26:27], v[36:37], v[2:5]
	v_mfma_f32_16x16x16_f16 v[2:5], v[28:29], v[38:39], v[2:5]
	ds_read_b128 v[6:9], v48 offset:4096
	ds_read_b128 v[26:29], v48 offset:4112
	s_waitcnt vmcnt(3) lgkmcnt(1)
	v_mfma_f32_16x16x16_f16 v[2:5], v[22:23], v[6:7], v[2:5]
	v_mfma_f32_16x16x16_f16 v[2:5], v[24:25], v[8:9], v[2:5]
	s_waitcnt vmcnt(2) lgkmcnt(0)
	v_mfma_f32_16x16x16_f16 v[2:5], v[18:19], v[26:27], v[2:5]
	v_mfma_f32_16x16x16_f16 v[2:5], v[20:21], v[28:29], v[2:5]
	ds_read_b128 v[6:9], v48 offset:6144
	ds_read_b128 v[18:21], v48 offset:6160
	s_waitcnt lgkmcnt(0)
	s_barrier
	s_waitcnt vmcnt(1)
	v_mfma_f32_16x16x16_f16 v[2:5], v[14:15], v[6:7], v[2:5]
	v_mfma_f32_16x16x16_f16 v[2:5], v[16:17], v[8:9], v[2:5]
	s_waitcnt vmcnt(0)
	v_mfma_f32_16x16x16_f16 v[2:5], v[10:11], v[18:19], v[2:5]
	v_mfma_f32_16x16x16_f16 v[2:5], v[12:13], v[20:21], v[2:5]
	s_nop 6
	v_cvt_f16_f32_e32 v2, v2
	v_cvt_f16_f32_e32 v3, v3
	;; [unrolled: 1-line block ×4, first 2 shown]
	v_pack_b32_f16 v2, v2, v3
	v_pack_b32_f16 v3, v4, v5
	ds_write_b64 v1, v[2:3]
	s_waitcnt lgkmcnt(0)
	s_barrier
	s_and_saveexec_b64 s[8:9], s[4:5]
	s_cbranch_execz .LBB181_20
; %bb.18:
	s_load_dwordx2 s[4:5], s[0:1], 0x68
	s_lshl_b32 s0, s6, 6
	s_mul_i32 s1, s7, s2
	s_mul_hi_u32 s7, s1, s0
	s_mul_i32 s6, s1, s0
	v_lshlrev_b32_e32 v1, 10, v0
	v_lshlrev_b32_e32 v0, 4, v0
	s_lshl_b64 s[6:7], s[6:7], 1
	v_and_b32_e32 v1, 0x1800, v1
	v_lshlrev_b32_e32 v2, 5, v54
	v_and_b32_e32 v0, 16, v0
	s_waitcnt lgkmcnt(0)
	s_add_u32 s1, s4, s6
	v_or3_b32 v2, v1, v2, v0
	s_addc_u32 s4, s5, s7
	s_lshl_b32 s2, s28, 6
	s_lshl_b64 s[2:3], s[2:3], 1
	ds_read_b128 v[4:7], v2 offset:128
	ds_read_b128 v[8:11], v2
	s_add_u32 s2, s1, s2
	s_addc_u32 s3, s4, s3
	v_add_u32_e32 v14, s42, v54
	v_lshl_add_u64 v[0:1], v[34:35], 1, s[2:3]
	v_mad_u64_u32 v[12:13], s[2:3], v14, s0, 0
	v_lshl_add_u64 v[12:13], v[12:13], 1, v[0:1]
	s_waitcnt lgkmcnt(0)
	global_store_dwordx4 v[12:13], v[8:11], off
	v_or_b32_e32 v3, 8, v54
	v_cmp_gt_u32_e32 vcc, 10, v3
	v_add_u32_e32 v8, 4, v14
	v_mad_u64_u32 v[8:9], s[2:3], v8, s0, 0
	v_lshl_add_u64 v[8:9], v[8:9], 1, v[0:1]
	global_store_dwordx4 v[8:9], v[4:7], off
	s_and_b64 exec, exec, vcc
	s_cbranch_execz .LBB181_20
; %bb.19:
	ds_read_b128 v[4:7], v2 offset:256
	v_add_u32_e32 v2, s42, v3
	v_mad_u64_u32 v[2:3], s[0:1], v2, s0, 0
	v_lshl_add_u64 v[0:1], v[2:3], 1, v[0:1]
	s_waitcnt lgkmcnt(0)
	global_store_dwordx4 v[0:1], v[4:7], off
.LBB181_20:
	s_endpgm
	.section	.rodata,"a",@progbits
	.p2align	6, 0x0
	.amdhsa_kernel _Z39paged_attention_ll4mi_QKV_mfma16_kernelIDF16_DF16_LN4vllm18Fp8KVCacheDataTypeE0EDF16_Li32ELi64ELi256ELb0ELi10EEvPKT_PKT0_S7_ifPKiS9_S9_iPKfiiiPfSC_PS2_PT2_iSB_SB_
		.amdhsa_group_segment_fixed_size 8192
		.amdhsa_private_segment_fixed_size 0
		.amdhsa_kernarg_size 400
		.amdhsa_user_sgpr_count 2
		.amdhsa_user_sgpr_dispatch_ptr 0
		.amdhsa_user_sgpr_queue_ptr 0
		.amdhsa_user_sgpr_kernarg_segment_ptr 1
		.amdhsa_user_sgpr_dispatch_id 0
		.amdhsa_user_sgpr_kernarg_preload_length 0
		.amdhsa_user_sgpr_kernarg_preload_offset 0
		.amdhsa_user_sgpr_private_segment_size 0
		.amdhsa_uses_dynamic_stack 0
		.amdhsa_enable_private_segment 0
		.amdhsa_system_sgpr_workgroup_id_x 1
		.amdhsa_system_sgpr_workgroup_id_y 1
		.amdhsa_system_sgpr_workgroup_id_z 1
		.amdhsa_system_sgpr_workgroup_info 0
		.amdhsa_system_vgpr_workitem_id 0
		.amdhsa_next_free_vgpr 67
		.amdhsa_next_free_sgpr 48
		.amdhsa_accum_offset 68
		.amdhsa_reserve_vcc 1
		.amdhsa_float_round_mode_32 0
		.amdhsa_float_round_mode_16_64 0
		.amdhsa_float_denorm_mode_32 3
		.amdhsa_float_denorm_mode_16_64 3
		.amdhsa_dx10_clamp 1
		.amdhsa_ieee_mode 1
		.amdhsa_fp16_overflow 0
		.amdhsa_tg_split 0
		.amdhsa_exception_fp_ieee_invalid_op 0
		.amdhsa_exception_fp_denorm_src 0
		.amdhsa_exception_fp_ieee_div_zero 0
		.amdhsa_exception_fp_ieee_overflow 0
		.amdhsa_exception_fp_ieee_underflow 0
		.amdhsa_exception_fp_ieee_inexact 0
		.amdhsa_exception_int_div_zero 0
	.end_amdhsa_kernel
	.section	.text._Z39paged_attention_ll4mi_QKV_mfma16_kernelIDF16_DF16_LN4vllm18Fp8KVCacheDataTypeE0EDF16_Li32ELi64ELi256ELb0ELi10EEvPKT_PKT0_S7_ifPKiS9_S9_iPKfiiiPfSC_PS2_PT2_iSB_SB_,"axG",@progbits,_Z39paged_attention_ll4mi_QKV_mfma16_kernelIDF16_DF16_LN4vllm18Fp8KVCacheDataTypeE0EDF16_Li32ELi64ELi256ELb0ELi10EEvPKT_PKT0_S7_ifPKiS9_S9_iPKfiiiPfSC_PS2_PT2_iSB_SB_,comdat
.Lfunc_end181:
	.size	_Z39paged_attention_ll4mi_QKV_mfma16_kernelIDF16_DF16_LN4vllm18Fp8KVCacheDataTypeE0EDF16_Li32ELi64ELi256ELb0ELi10EEvPKT_PKT0_S7_ifPKiS9_S9_iPKfiiiPfSC_PS2_PT2_iSB_SB_, .Lfunc_end181-_Z39paged_attention_ll4mi_QKV_mfma16_kernelIDF16_DF16_LN4vllm18Fp8KVCacheDataTypeE0EDF16_Li32ELi64ELi256ELb0ELi10EEvPKT_PKT0_S7_ifPKiS9_S9_iPKfiiiPfSC_PS2_PT2_iSB_SB_
                                        ; -- End function
	.section	.AMDGPU.csdata,"",@progbits
; Kernel info:
; codeLenInByte = 3916
; NumSgprs: 54
; NumVgprs: 67
; NumAgprs: 0
; TotalNumVgprs: 67
; ScratchSize: 0
; MemoryBound: 0
; FloatMode: 240
; IeeeMode: 1
; LDSByteSize: 8192 bytes/workgroup (compile time only)
; SGPRBlocks: 6
; VGPRBlocks: 8
; NumSGPRsForWavesPerEU: 54
; NumVGPRsForWavesPerEU: 67
; AccumOffset: 68
; Occupancy: 7
; WaveLimiterHint : 1
; COMPUTE_PGM_RSRC2:SCRATCH_EN: 0
; COMPUTE_PGM_RSRC2:USER_SGPR: 2
; COMPUTE_PGM_RSRC2:TRAP_HANDLER: 0
; COMPUTE_PGM_RSRC2:TGID_X_EN: 1
; COMPUTE_PGM_RSRC2:TGID_Y_EN: 1
; COMPUTE_PGM_RSRC2:TGID_Z_EN: 1
; COMPUTE_PGM_RSRC2:TIDIG_COMP_CNT: 0
; COMPUTE_PGM_RSRC3_GFX90A:ACCUM_OFFSET: 16
; COMPUTE_PGM_RSRC3_GFX90A:TG_SPLIT: 0
	.section	.text._Z39paged_attention_ll4mi_QKV_mfma16_kernelIDF16_DF16_LN4vllm18Fp8KVCacheDataTypeE0EDF16_Li32ELi64ELi256ELb0ELi11EEvPKT_PKT0_S7_ifPKiS9_S9_iPKfiiiPfSC_PS2_PT2_iSB_SB_,"axG",@progbits,_Z39paged_attention_ll4mi_QKV_mfma16_kernelIDF16_DF16_LN4vllm18Fp8KVCacheDataTypeE0EDF16_Li32ELi64ELi256ELb0ELi11EEvPKT_PKT0_S7_ifPKiS9_S9_iPKfiiiPfSC_PS2_PT2_iSB_SB_,comdat
	.protected	_Z39paged_attention_ll4mi_QKV_mfma16_kernelIDF16_DF16_LN4vllm18Fp8KVCacheDataTypeE0EDF16_Li32ELi64ELi256ELb0ELi11EEvPKT_PKT0_S7_ifPKiS9_S9_iPKfiiiPfSC_PS2_PT2_iSB_SB_ ; -- Begin function _Z39paged_attention_ll4mi_QKV_mfma16_kernelIDF16_DF16_LN4vllm18Fp8KVCacheDataTypeE0EDF16_Li32ELi64ELi256ELb0ELi11EEvPKT_PKT0_S7_ifPKiS9_S9_iPKfiiiPfSC_PS2_PT2_iSB_SB_
	.globl	_Z39paged_attention_ll4mi_QKV_mfma16_kernelIDF16_DF16_LN4vllm18Fp8KVCacheDataTypeE0EDF16_Li32ELi64ELi256ELb0ELi11EEvPKT_PKT0_S7_ifPKiS9_S9_iPKfiiiPfSC_PS2_PT2_iSB_SB_
	.p2align	8
	.type	_Z39paged_attention_ll4mi_QKV_mfma16_kernelIDF16_DF16_LN4vllm18Fp8KVCacheDataTypeE0EDF16_Li32ELi64ELi256ELb0ELi11EEvPKT_PKT0_S7_ifPKiS9_S9_iPKfiiiPfSC_PS2_PT2_iSB_SB_,@function
_Z39paged_attention_ll4mi_QKV_mfma16_kernelIDF16_DF16_LN4vllm18Fp8KVCacheDataTypeE0EDF16_Li32ELi64ELi256ELb0ELi11EEvPKT_PKT0_S7_ifPKiS9_S9_iPKfiiiPfSC_PS2_PT2_iSB_SB_: ; @_Z39paged_attention_ll4mi_QKV_mfma16_kernelIDF16_DF16_LN4vllm18Fp8KVCacheDataTypeE0EDF16_Li32ELi64ELi256ELb0ELi11EEvPKT_PKT0_S7_ifPKiS9_S9_iPKfiiiPfSC_PS2_PT2_iSB_SB_
; %bb.0:
	s_load_dwordx2 s[6:7], s[0:1], 0x30
	s_mov_b32 s28, s3
	s_mov_b64 s[10:11], 0
	s_waitcnt lgkmcnt(0)
	s_cmp_lg_u64 s[6:7], 0
	s_cselect_b64 s[8:9], -1, 0
	s_and_b64 vcc, exec, s[8:9]
	s_cbranch_vccz .LBB182_7
; %bb.1:
	s_add_i32 s12, s2, 1
	s_mov_b32 s13, 0
	s_lshl_b64 s[14:15], s[12:13], 2
	s_add_u32 s14, s6, s14
	s_mov_b32 s3, s13
	s_addc_u32 s15, s7, s15
	s_lshl_b64 s[12:13], s[2:3], 2
	s_add_u32 s12, s6, s12
	s_addc_u32 s13, s7, s13
	s_load_dword s5, s[14:15], 0x0
	s_load_dword s16, s[12:13], 0x0
	s_waitcnt lgkmcnt(0)
	s_sub_i32 s5, s5, s16
	s_cmp_eq_u32 s5, 1
	s_cselect_b64 s[12:13], -1, 0
	s_andn2_b64 vcc, exec, s[10:11]
	s_cbranch_vccnz .LBB182_3
.LBB182_2:
	s_mov_b32 s3, 0
	s_mov_b64 s[12:13], -1
.LBB182_3:
	s_andn2_b64 vcc, exec, s[12:13]
	s_cbranch_vccnz .LBB182_20
; %bb.4:
	s_load_dwordx2 s[12:13], s[0:1], 0x28
	s_lshl_b64 s[10:11], s[2:3], 2
	s_waitcnt lgkmcnt(0)
	s_add_u32 s12, s12, s10
	s_addc_u32 s13, s13, s11
	s_load_dword s33, s[12:13], 0x0
	s_lshl_b32 s14, s28, 8
	s_waitcnt lgkmcnt(0)
	s_cmp_ge_i32 s14, s33
	s_cbranch_scc1 .LBB182_20
; %bb.5:
	s_load_dwordx2 s[12:13], s[0:1], 0x20
	s_load_dword s5, s[0:1], 0x38
	s_add_i32 s15, s33, 31
	s_ashr_i32 s16, s15, 31
	v_and_b32_e32 v1, 0xcf, v0
	s_lshr_b32 s16, s16, 27
	v_add_u32_e32 v1, s14, v1
	s_add_i32 s15, s15, s16
	v_ashrrev_i32_e32 v2, 31, v1
	s_ashr_i32 s15, s15, 5
	v_lshrrev_b32_e32 v10, 27, v2
	s_add_i32 s15, s15, -1
	s_waitcnt lgkmcnt(0)
	s_mul_i32 s16, s2, s5
	s_mov_b32 s17, 0
	v_add_u32_e32 v2, v1, v10
	s_lshl_b64 s[16:17], s[16:17], 2
	v_ashrrev_i32_e32 v2, 5, v2
	v_mov_b32_e32 v11, s15
	v_cmp_gt_i32_e32 vcc, s33, v1
	s_add_u32 s12, s12, s16
	s_addc_u32 s13, s13, s17
	v_cndmask_b32_e32 v2, v11, v2, vcc
	v_ashrrev_i32_e32 v3, 31, v2
	v_lshl_add_u64 v[4:5], v[2:3], 2, s[12:13]
	v_or_b32_e32 v2, 16, v1
	v_add_u32_e32 v3, v2, v10
	v_ashrrev_i32_e32 v3, 5, v3
	v_cmp_gt_i32_e32 vcc, s33, v2
	s_nop 1
	v_cndmask_b32_e32 v2, v11, v3, vcc
	v_ashrrev_i32_e32 v3, 31, v2
	v_lshl_add_u64 v[6:7], v[2:3], 2, s[12:13]
	v_or_b32_e32 v2, 32, v1
	v_add_u32_e32 v3, v2, v10
	v_ashrrev_i32_e32 v3, 5, v3
	v_cmp_gt_i32_e32 vcc, s33, v2
	v_or_b32_e32 v1, 48, v1
	s_nop 0
	v_cndmask_b32_e32 v2, v11, v3, vcc
	v_ashrrev_i32_e32 v3, 31, v2
	v_lshl_add_u64 v[8:9], v[2:3], 2, s[12:13]
	v_add_u32_e32 v2, v1, v10
	v_ashrrev_i32_e32 v2, 5, v2
	v_cmp_gt_i32_e32 vcc, s33, v1
	s_nop 1
	v_cndmask_b32_e32 v2, v11, v2, vcc
	v_ashrrev_i32_e32 v3, 31, v2
	v_lshl_add_u64 v[12:13], v[2:3], 2, s[12:13]
	global_load_dword v3, v[4:5], off
	global_load_dword v2, v[6:7], off
	;; [unrolled: 1-line block ×4, first 2 shown]
	s_andn2_b64 vcc, exec, s[8:9]
	s_cbranch_vccnz .LBB182_8
; %bb.6:
	s_add_u32 s6, s6, s10
	s_addc_u32 s7, s7, s11
	s_load_dword s5, s[6:7], 0x0
	s_branch .LBB182_9
.LBB182_7:
	s_mov_b64 s[12:13], 0
	s_branch .LBB182_2
.LBB182_8:
	s_mov_b32 s5, s2
.LBB182_9:
	s_load_dwordx4 s[8:11], s[0:1], 0x8
	s_load_dwordx4 s[44:47], s[0:1], 0x48
	v_lshrrev_b32_e32 v1, 6, v0
	v_bfe_u32 v54, v0, 4, 2
	v_lshl_or_b32 v4, v1, 2, v54
	v_and_b32_e32 v36, 15, v0
	v_cmp_lt_u32_e32 vcc, 10, v4
	v_cmp_lt_u32_e64 s[6:7], 7, v36
	v_lshlrev_b32_e32 v34, 3, v36
	v_cmp_gt_u32_e64 s[30:31], 8, v36
	s_or_b64 s[6:7], s[6:7], vcc
	s_and_saveexec_b64 s[16:17], s[6:7]
	s_xor_b64 s[6:7], exec, s[16:17]
; %bb.10:
	v_mov_b32_e32 v35, 0
                                        ; implicit-def: $vgpr4
; %bb.11:
	s_or_saveexec_b64 s[6:7], s[6:7]
	v_and_b32_e32 v37, 63, v0
	s_mul_i32 s42, s4, 11
	s_xor_b64 exec, exec, s[6:7]
	s_cbranch_execz .LBB182_13
; %bb.12:
	s_load_dwordx2 s[16:17], s[0:1], 0x0
	s_waitcnt lgkmcnt(0)
	s_ashr_i32 s18, s44, 31
	s_mul_hi_u32 s19, s5, s44
	s_mul_i32 s18, s5, s18
	s_add_i32 s19, s19, s18
	s_mul_i32 s18, s5, s44
	s_lshl_b64 s[18:19], s[18:19], 1
	s_add_u32 s16, s16, s18
	v_add_lshl_u32 v6, v4, s42, 6
	s_addc_u32 s17, s17, s19
	v_ashrrev_i32_e32 v7, 31, v6
	v_mov_b32_e32 v35, 0
	v_lshl_add_u64 v[6:7], v[6:7], 1, s[16:17]
	v_lshlrev_b32_e32 v8, 1, v34
	v_mov_b32_e32 v9, v35
	v_lshl_add_u64 v[6:7], v[6:7], 0, v[8:9]
	global_load_dwordx4 v[6:9], v[6:7], off
	v_and_b32_e32 v5, 3, v0
	v_lshlrev_b32_e32 v11, 9, v36
	v_lshlrev_b32_e32 v4, 5, v4
	;; [unrolled: 1-line block ×3, first 2 shown]
	v_and_b32_e32 v11, 0x1800, v11
	v_or3_b32 v4, v11, v5, v4
	s_waitcnt vmcnt(0)
	ds_write_b128 v4, v[6:9]
.LBB182_13:
	s_or_b64 exec, exec, s[6:7]
	s_waitcnt lgkmcnt(0)
	s_mul_i32 s4, s4, s46
	s_mov_b32 s5, 0
	s_lshl_b64 s[4:5], s[4:5], 1
	s_add_u32 s8, s8, s4
	s_addc_u32 s9, s9, s5
	s_waitcnt vmcnt(3)
	v_mad_i64_i32 v[4:5], s[16:17], v3, s45, 0
	v_lshl_add_u64 v[4:5], v[4:5], 1, s[8:9]
	v_lshlrev_b64 v[12:13], 1, v[34:35]
	v_lshlrev_b32_e32 v38, 9, v54
	v_lshl_add_u64 v[4:5], v[4:5], 0, v[12:13]
	v_mov_b32_e32 v39, 0
	v_lshl_add_u64 v[14:15], v[4:5], 0, v[38:39]
	s_waitcnt vmcnt(2)
	v_mad_i64_i32 v[2:3], s[16:17], v2, s45, 0
	v_mov_b32_e32 v4, 0x100
	v_lshl_add_u64 v[2:3], v[2:3], 1, s[8:9]
	v_lshl_or_b32 v40, v36, 4, v4
	v_mov_b32_e32 v41, v39
	s_load_dword s29, s[0:1], 0x98
	s_load_dword s6, s[0:1], 0x1c
	s_waitcnt lgkmcnt(0)
	s_barrier
	v_lshl_add_u64 v[2:3], v[2:3], 0, v[40:41]
	global_load_dwordx4 v[6:9], v[14:15], off
	global_load_dwordx4 v[22:25], v[14:15], off offset:2048
	v_lshl_add_u64 v[18:19], v[2:3], 0, v[38:39]
	global_load_dwordx4 v[2:5], v[18:19], off
	global_load_dwordx4 v[26:29], v[18:19], off offset:2048
	s_waitcnt vmcnt(5)
	v_mad_i64_i32 v[10:11], s[16:17], v10, s45, 0
	v_lshl_add_u64 v[10:11], v[10:11], 1, s[8:9]
	v_lshl_add_u64 v[10:11], v[10:11], 0, v[12:13]
	;; [unrolled: 1-line block ×3, first 2 shown]
	global_load_dwordx4 v[10:13], v[20:21], off
	global_load_dwordx4 v[30:33], v[20:21], off offset:2048
	s_waitcnt vmcnt(6)
	v_mad_i64_i32 v[42:43], s[16:17], v16, s45, 0
	v_add_u32_e32 v17, -11, v36
	v_cmp_gt_u32_e32 vcc, 11, v36
	v_lshl_add_u64 v[42:43], v[42:43], 1, s[8:9]
	v_lshl_add_u64 v[40:41], v[42:43], 0, v[40:41]
	v_cndmask_b32_e32 v14, v17, v36, vcc
	v_lshl_add_u32 v14, v14, 5, v38
	v_lshl_add_u64 v[40:41], v[40:41], 0, v[38:39]
	ds_read_b128 v[18:21], v14
	ds_read_b128 v[14:17], v14 offset:2048
	global_load_dwordx4 v[46:49], v[40:41], off
	global_load_dwordx4 v[60:63], v[40:41], off offset:2048
	s_ashr_i32 s7, s14, 31
	v_and_or_b32 v55, v0, 48, s14
	s_lshr_b32 s7, s7, 27
	v_add_u32_e32 v42, s7, v55
	v_mov_b32_e32 v64, s15
	v_or_b32_e32 v50, 64, v55
	v_ashrrev_i32_e32 v38, 5, v42
	v_cmp_gt_i32_e32 vcc, s33, v55
	v_add_u32_e32 v43, s7, v50
	v_ashrrev_i32_e32 v51, 5, v43
	v_cndmask_b32_e32 v42, v64, v38, vcc
	v_ashrrev_i32_e32 v43, 31, v42
	v_lshl_add_u64 v[42:43], v[42:43], 2, s[12:13]
	v_cmp_gt_i32_e32 vcc, s33, v50
	global_load_dword v65, v[42:43], off
	v_or_b32_e32 v40, 0x80, v55
	v_or_b32_e32 v41, 0xc0, v55
	v_and_b32_e32 v38, 16, v0
	s_add_u32 s4, s10, s4
	s_addc_u32 s5, s11, s5
	v_lshlrev_b32_e32 v38, 1, v38
	s_mov_b32 s43, 0xff7fffff
	s_waitcnt vmcnt(8) lgkmcnt(1)
	v_mfma_f32_16x16x16_f16 v[42:45], v[6:7], v[18:19], 0
	v_cndmask_b32_e32 v6, v64, v51, vcc
	v_ashrrev_i32_e32 v7, 31, v6
	v_cmp_gt_i32_e32 vcc, s33, v40
	s_waitcnt vmcnt(6)
	v_mfma_f32_16x16x16_f16 v[50:53], v[2:3], v[18:19], 0
	v_lshl_add_u64 v[2:3], v[6:7], 2, s[12:13]
	global_load_dword v66, v[2:3], off
	v_mfma_f32_16x16x16_f16 v[6:9], v[8:9], v[20:21], v[42:45]
	v_mfma_f32_16x16x16_f16 v[2:5], v[4:5], v[20:21], v[50:53]
	s_nop 1
	v_add_u32_e32 v42, s7, v40
	v_add_u32_e32 v43, s7, v41
	v_ashrrev_i32_e32 v42, 5, v42
	s_waitcnt lgkmcnt(0)
	v_mfma_f32_16x16x16_f16 v[6:9], v[22:23], v[14:15], v[6:9]
	v_lshlrev_b32_e32 v45, 6, v36
	v_ashrrev_i32_e32 v43, 5, v43
	v_cndmask_b32_e32 v44, v64, v42, vcc
	s_waitcnt vmcnt(5)
	v_mfma_f32_16x16x16_f16 v[56:59], v[10:11], v[18:19], 0
	v_cmp_gt_i32_e32 vcc, s33, v41
	v_lshl_add_u64 v[50:51], s[4:5], 0, v[38:39]
	v_lshl_or_b32 v38, v1, 10, v45
	v_mfma_f32_16x16x16_f16 v[2:5], v[26:27], v[14:15], v[2:5]
	v_cndmask_b32_e32 v26, v64, v43, vcc
	v_ashrrev_i32_e32 v45, 31, v44
	v_ashrrev_i32_e32 v27, 31, v26
	v_mfma_f32_16x16x16_f16 v[22:25], v[24:25], v[16:17], v[6:9]
	s_nop 2
	v_lshl_add_u64 v[6:7], v[44:45], 2, s[12:13]
	v_mfma_f32_16x16x16_f16 v[10:13], v[12:13], v[20:21], v[56:59]
	v_lshl_add_u64 v[8:9], v[26:27], 2, s[12:13]
	global_load_dword v55, v[6:7], off
	s_nop 0
	global_load_dword v58, v[8:9], off
	s_waitcnt vmcnt(6)
	v_mfma_f32_16x16x16_f16 v[40:43], v[30:31], v[14:15], v[10:13]
	s_nop 2
	v_lshl_add_u64 v[10:11], v[50:51], 0, v[38:39]
	v_mfma_f32_16x16x16_f16 v[30:33], v[32:33], v[16:17], v[40:43]
	v_pk_mul_f32 v[50:51], s[6:7], v[24:25] op_sel_hi:[0,1]
	s_waitcnt vmcnt(2)
	v_mad_i64_i32 v[12:13], s[4:5], v66, s45, 0
	v_mfma_f32_16x16x16_f16 v[38:41], v[46:47], v[18:19], 0
	v_lshl_add_u64 v[56:57], v[12:13], 1, v[10:11]
	v_pk_mul_f32 v[12:13], s[6:7], v[22:23] op_sel_hi:[0,1]
	s_nop 0
	v_pk_mul_f32 v[46:47], s[6:7], v[32:33] op_sel_hi:[0,1]
	v_mfma_f32_16x16x16_f16 v[18:21], v[48:49], v[20:21], v[38:41]
	v_pk_mul_f32 v[48:49], s[6:7], v[30:31] op_sel_hi:[0,1]
	v_mfma_f32_16x16x16_f16 v[18:21], v[60:61], v[14:15], v[18:21]
	v_mfma_f32_16x16x16_f16 v[26:29], v[28:29], v[16:17], v[2:5]
	;; [unrolled: 1-line block ×3, first 2 shown]
	s_nop 1
	v_mad_i64_i32 v[2:3], s[4:5], v65, s45, 0
	s_nop 2
	v_pk_mul_f32 v[42:43], s[6:7], v[26:27] op_sel_hi:[0,1]
	v_pk_mul_f32 v[52:53], s[6:7], v[28:29] op_sel_hi:[0,1]
	v_lshl_add_u64 v[2:3], v[2:3], 1, v[10:11]
	v_pk_mul_f32 v[44:45], s[6:7], v[14:15] op_sel_hi:[0,1]
	v_and_b32_e32 v14, 0xc0, v0
	v_add_u32_e32 v14, s14, v14
	v_lshl_or_b32 v14, v54, 2, v14
	v_pk_mul_f32 v[38:39], s[6:7], v[16:17] op_sel_hi:[0,1]
	v_or_b32_e32 v17, 1, v14
	v_mov_b32_e32 v15, 0xff7fffff
	v_cmp_gt_i32_e64 s[4:5], s33, v14
	v_cmp_gt_i32_e64 s[34:35], s33, v17
	v_or_b32_e32 v18, 3, v14
	v_cndmask_b32_e64 v16, v15, v12, s[4:5]
	v_cndmask_b32_e64 v17, v15, v13, s[34:35]
	v_max3_f32 v16, v16, s43, v17
	v_or_b32_e32 v17, 2, v14
	v_cmp_gt_i32_e64 s[36:37], s33, v17
	v_cmp_gt_i32_e64 s[38:39], s33, v18
	global_load_dwordx4 v[6:9], v[2:3], off
	s_nop 0
	global_load_dwordx4 v[2:5], v[2:3], off offset:16
	v_cndmask_b32_e64 v17, v15, v50, s[36:37]
	v_cndmask_b32_e64 v18, v15, v51, s[38:39]
	v_max3_f32 v16, v16, v17, v18
	v_or_b32_e32 v17, 16, v14
	v_or_b32_e32 v18, 17, v14
	v_cmp_gt_i32_e64 s[24:25], s33, v17
	v_cmp_gt_i32_e64 s[26:27], s33, v18
	global_load_dwordx4 v[30:33], v[56:57], off
	global_load_dwordx4 v[26:29], v[56:57], off offset:16
	v_cndmask_b32_e64 v17, v15, v42, s[24:25]
	v_cndmask_b32_e64 v18, v15, v43, s[26:27]
	v_max3_f32 v16, v16, v17, v18
	v_or_b32_e32 v17, 18, v14
	v_or_b32_e32 v18, 19, v14
	v_cmp_gt_i32_e64 s[20:21], s33, v17
	v_cmp_gt_i32_e64 s[22:23], s33, v18
	s_nop 0
	v_cndmask_b32_e64 v17, v15, v52, s[20:21]
	v_cndmask_b32_e64 v18, v15, v53, s[22:23]
	v_max3_f32 v16, v16, v17, v18
	v_or_b32_e32 v17, 32, v14
	v_or_b32_e32 v18, 33, v14
	v_cmp_gt_i32_e64 s[16:17], s33, v17
	v_cmp_gt_i32_e64 s[18:19], s33, v18
	s_nop 0
	;; [unrolled: 8-line block ×4, first 2 shown]
	v_cndmask_b32_e64 v17, v15, v44, s[8:9]
	v_cndmask_b32_e64 v18, v15, v45, s[10:11]
	v_max3_f32 v16, v16, v17, v18
	v_or_b32_e32 v17, 50, v14
	v_or_b32_e32 v14, 51, v14
	v_cmp_gt_i32_e32 vcc, s33, v17
	v_cmp_gt_i32_e64 s[6:7], s33, v14
	s_nop 0
	v_cndmask_b32_e32 v17, v15, v38, vcc
	v_cndmask_b32_e64 v14, v15, v39, s[6:7]
	v_max3_f32 v16, v16, v17, v14
	v_mbcnt_lo_u32_b32 v14, -1, 0
	v_mbcnt_hi_u32_b32 v17, -1, v14
	v_and_b32_e32 v14, 64, v17
	v_add_u32_e32 v18, 64, v14
	v_xor_b32_e32 v14, 32, v17
	v_cmp_lt_i32_e64 s[40:41], v14, v18
	s_nop 1
	v_cndmask_b32_e64 v14, v17, v14, s[40:41]
	v_lshlrev_b32_e32 v59, 2, v14
	ds_bpermute_b32 v19, v59, v16
	s_waitcnt vmcnt(5)
	v_mad_i64_i32 v[14:15], s[40:41], v55, s45, 0
	v_lshl_add_u64 v[14:15], v[14:15], 1, v[10:11]
	s_waitcnt lgkmcnt(0)
	v_max_f32_e32 v19, v19, v19
	v_max_f32_e32 v16, v16, v19
	v_xor_b32_e32 v19, 16, v17
	v_cmp_lt_i32_e64 s[40:41], v19, v18
	s_nop 1
	v_cndmask_b32_e64 v17, v17, v19, s[40:41]
	v_lshlrev_b32_e32 v57, 2, v17
	ds_bpermute_b32 v17, v57, v16
	global_load_dwordx4 v[22:25], v[14:15], off
	global_load_dwordx4 v[18:21], v[14:15], off offset:16
	s_waitcnt vmcnt(6)
	v_mad_i64_i32 v[14:15], s[40:41], v58, s45, 0
	v_lshl_add_u64 v[10:11], v[14:15], 1, v[10:11]
	s_waitcnt lgkmcnt(0)
	v_max_f32_e32 v14, v17, v17
	v_max_f32_e32 v55, v16, v14
	v_sub_f32_e32 v12, v12, v55
	v_mul_f32_e32 v12, 0x3fb8aa3b, v12
	v_exp_f32_e32 v40, v12
	v_sub_f32_e32 v12, v13, v55
	v_mul_f32_e32 v12, 0x3fb8aa3b, v12
	v_exp_f32_e32 v41, v12
	global_load_dwordx4 v[14:17], v[10:11], off
	s_nop 0
	global_load_dwordx4 v[10:13], v[10:11], off offset:16
	v_sub_f32_e32 v50, v50, v55
	v_mul_f32_e32 v50, 0x3fb8aa3b, v50
	v_sub_f32_e32 v51, v51, v55
	v_exp_f32_e32 v50, v50
	v_mul_f32_e32 v51, 0x3fb8aa3b, v51
	v_sub_f32_e32 v42, v42, v55
	v_exp_f32_e32 v51, v51
	v_mul_f32_e32 v42, 0x3fb8aa3b, v42
	v_sub_f32_e32 v43, v43, v55
	v_cndmask_b32_e64 v40, 0, v40, s[4:5]
	v_exp_f32_e32 v42, v42
	v_mul_f32_e32 v43, 0x3fb8aa3b, v43
	v_sub_f32_e32 v52, v52, v55
	v_add_f32_e32 v56, 0, v40
	v_cndmask_b32_e64 v41, 0, v41, s[34:35]
	v_exp_f32_e32 v43, v43
	v_mul_f32_e32 v52, 0x3fb8aa3b, v52
	v_sub_f32_e32 v53, v53, v55
	v_add_f32_e32 v56, v56, v41
	;; [unrolled: 5-line block ×10, first 2 shown]
	v_cndmask_b32_e64 v46, 0, v46, s[12:13]
	v_exp_f32_e32 v38, v38
	v_mul_f32_e32 v39, 0x3fb8aa3b, v39
	v_add_f32_e32 v56, v56, v46
	v_cndmask_b32_e64 v47, 0, v47, s[14:15]
	v_exp_f32_e32 v39, v39
	v_add_f32_e32 v56, v56, v47
	v_cndmask_b32_e64 v44, 0, v44, s[8:9]
	v_add_f32_e32 v56, v56, v44
	v_cndmask_b32_e64 v45, 0, v45, s[10:11]
	v_add_f32_e32 v56, v56, v45
	v_cndmask_b32_e32 v38, 0, v38, vcc
	v_add_f32_e32 v56, v56, v38
	v_cndmask_b32_e64 v39, 0, v39, s[6:7]
	v_add_f32_e32 v56, v56, v39
	ds_bpermute_b32 v58, v59, v56
	v_cmp_gt_u32_e32 vcc, 16, v37
	v_lshlrev_b32_e32 v37, 2, v36
	s_waitcnt lgkmcnt(0)
	s_barrier
	v_add_f32_e32 v56, v56, v58
	ds_bpermute_b32 v57, v57, v56
	s_waitcnt lgkmcnt(0)
	s_and_saveexec_b64 s[4:5], vcc
	s_cbranch_execz .LBB182_15
; %bb.14:
	v_add_f32_e32 v56, v56, v57
	v_lshl_or_b32 v57, v1, 6, v37
	ds_write2st64_b32 v57, v55, v56 offset1:1
.LBB182_15:
	s_or_b64 exec, exec, s[4:5]
	s_load_dword s6, s[0:1], 0x94
	s_waitcnt lgkmcnt(0)
	s_barrier
	ds_read2_b32 v[56:57], v37 offset1:16
	ds_read2_b32 v[58:59], v37 offset0:32 offset1:48
	ds_read2_b32 v[60:61], v37 offset0:64 offset1:80
	;; [unrolled: 1-line block ×3, first 2 shown]
	s_waitcnt lgkmcnt(0)
	v_max3_f32 v55, v56, s43, v57
	v_max3_f32 v55, v55, v58, v59
	v_sub_f32_e32 v56, v56, v55
	v_mul_f32_e32 v56, 0x3fb8aa3b, v56
	v_exp_f32_e32 v64, v56
	v_sub_f32_e32 v56, v57, v55
	v_mul_f32_e32 v56, 0x3fb8aa3b, v56
	v_exp_f32_e32 v57, v56
	v_sub_f32_e32 v56, v58, v55
	v_mul_f32_e32 v56, 0x3fb8aa3b, v56
	v_sub_f32_e32 v37, v59, v55
	v_exp_f32_e32 v58, v56
	v_mul_f32_e32 v37, 0x3fb8aa3b, v37
	v_exp_f32_e32 v37, v37
	v_fma_f32 v56, v64, v60, 0
	v_fmac_f32_e32 v56, v57, v61
	v_fmac_f32_e32 v56, v58, v62
	;; [unrolled: 1-line block ×3, first 2 shown]
	v_add_f32_e32 v59, 0x358637bd, v56
	v_div_scale_f32 v60, s[4:5], v59, v59, 1.0
	v_rcp_f32_e32 v61, v60
	s_barrier
	s_mul_i32 s7, s29, 11
	v_fma_f32 v62, -v60, v61, 1.0
	v_fmac_f32_e32 v61, v62, v61
	v_div_scale_f32 v62, vcc, 1.0, v59, 1.0
	v_mul_f32_e32 v63, v62, v61
	v_fma_f32 v65, -v60, v63, v62
	v_fmac_f32_e32 v63, v65, v61
	v_fma_f32 v60, -v60, v63, v62
	v_div_fmas_f32 v60, v60, v61, v63
	v_cmp_eq_u32_e32 vcc, 1, v1
	v_div_fixup_f32 v59, v60, v59, 1.0
	s_nop 0
	v_cndmask_b32_e32 v57, v64, v57, vcc
	v_cmp_eq_u32_e32 vcc, 2, v1
	s_nop 1
	v_cndmask_b32_e32 v57, v57, v58, vcc
	v_cmp_eq_u32_e32 vcc, 3, v1
	v_lshlrev_b32_e32 v1, 11, v1
	s_nop 0
	v_cndmask_b32_e32 v37, v57, v37, vcc
	v_mul_f32_e32 v58, v37, v59
	v_pk_mul_f32 v[50:51], v[58:59], v[50:51] op_sel_hi:[0,1]
	v_pk_mul_f32 v[40:41], v[58:59], v[40:41] op_sel_hi:[0,1]
	v_cvt_f16_f32_e32 v37, v40
	v_cvt_f16_f32_e32 v40, v41
	v_cvt_f16_f32_e32 v41, v50
	v_cvt_f16_f32_e32 v51, v51
	v_pk_mul_f32 v[52:53], v[58:59], v[52:53] op_sel_hi:[0,1]
	v_pk_mul_f32 v[42:43], v[58:59], v[42:43] op_sel_hi:[0,1]
	v_pack_b32_f16 v50, v37, v40
	v_pack_b32_f16 v51, v41, v51
	v_cvt_f16_f32_e32 v41, v42
	v_cvt_f16_f32_e32 v42, v43
	;; [unrolled: 1-line block ×4, first 2 shown]
	v_lshlrev_b32_e32 v37, 3, v54
	v_lshlrev_b32_e32 v40, 5, v36
	v_or3_b32 v1, v1, v40, v37
	v_pack_b32_f16 v42, v41, v42
	v_pack_b32_f16 v43, v43, v52
	ds_write2st64_b64 v1, v[50:51], v[42:43] offset1:1
	v_pk_mul_f32 v[42:43], v[58:59], v[46:47] op_sel_hi:[0,1]
	v_pk_mul_f32 v[46:47], v[58:59], v[48:49] op_sel_hi:[0,1]
	v_cvt_f16_f32_e32 v37, v46
	v_cvt_f16_f32_e32 v41, v47
	;; [unrolled: 1-line block ×4, first 2 shown]
	v_pk_mul_f32 v[38:39], v[58:59], v[38:39] op_sel_hi:[0,1]
	v_pk_mul_f32 v[42:43], v[58:59], v[44:45] op_sel_hi:[0,1]
	v_cvt_f16_f32_e32 v42, v42
	v_cvt_f16_f32_e32 v43, v43
	;; [unrolled: 1-line block ×4, first 2 shown]
	v_pack_b32_f16 v38, v37, v41
	v_pack_b32_f16 v39, v46, v47
	;; [unrolled: 1-line block ×4, first 2 shown]
	v_cmp_gt_u32_e32 vcc, 11, v0
	ds_write2st64_b64 v1, v[38:39], v[42:43] offset0:2 offset1:3
	s_and_saveexec_b64 s[4:5], vcc
	s_cbranch_execz .LBB182_17
; %bb.16:
	s_mov_b32 s43, 0
	v_mov_b32_e32 v37, 0
	v_lshl_add_u64 v[38:39], s[42:43], 0, v[36:37]
	v_mov_b32_e32 v36, s7
	v_mad_u64_u32 v[38:39], s[12:13], s2, v36, v[38:39]
	v_mov_b32_e32 v36, s28
	s_load_dwordx4 s[8:11], s[0:1], 0x58
	s_mul_i32 s3, s3, s7
	v_mad_u64_u32 v[36:37], s[12:13], v38, s6, v[36:37]
	v_add_u32_e32 v39, s3, v39
	v_mov_b32_e32 v38, v37
	v_mad_u64_u32 v[38:39], s[12:13], v39, s6, v[38:39]
	v_mov_b32_e32 v37, v38
	v_lshlrev_b64 v[36:37], 2, v[36:37]
	s_waitcnt lgkmcnt(0)
	v_lshl_add_u64 v[38:39], s[10:11], 0, v[36:37]
	v_lshl_add_u64 v[36:37], s[8:9], 0, v[36:37]
	global_store_dword v[38:39], v55, off
	global_store_dword v[36:37], v56, off
.LBB182_17:
	s_or_b64 exec, exec, s[4:5]
	v_lshl_or_b32 v48, v54, 9, v40
	s_waitcnt lgkmcnt(0)
	s_barrier
	ds_read_b128 v[36:39], v48
	ds_read_b128 v[40:43], v48 offset:16
	s_waitcnt vmcnt(7) lgkmcnt(1)
	v_mfma_f32_16x16x16_f16 v[44:47], v[6:7], v[36:37], 0
	v_cmp_gt_u32_e32 vcc, 64, v0
	s_mov_b32 s3, 0
	s_and_b64 s[4:5], vcc, s[30:31]
	v_mfma_f32_16x16x16_f16 v[6:9], v[8:9], v[38:39], v[44:47]
	s_waitcnt vmcnt(6) lgkmcnt(0)
	v_mfma_f32_16x16x16_f16 v[6:9], v[2:3], v[40:41], v[6:9]
	v_mfma_f32_16x16x16_f16 v[2:5], v[4:5], v[42:43], v[6:9]
	s_nop 5
	ds_read_b128 v[6:9], v48 offset:2048
	ds_read_b128 v[36:39], v48 offset:2064
	s_waitcnt vmcnt(5) lgkmcnt(1)
	v_mfma_f32_16x16x16_f16 v[2:5], v[30:31], v[6:7], v[2:5]
	v_mfma_f32_16x16x16_f16 v[2:5], v[32:33], v[8:9], v[2:5]
	s_waitcnt vmcnt(4) lgkmcnt(0)
	v_mfma_f32_16x16x16_f16 v[2:5], v[26:27], v[36:37], v[2:5]
	v_mfma_f32_16x16x16_f16 v[2:5], v[28:29], v[38:39], v[2:5]
	ds_read_b128 v[6:9], v48 offset:4096
	ds_read_b128 v[26:29], v48 offset:4112
	s_waitcnt vmcnt(3) lgkmcnt(1)
	v_mfma_f32_16x16x16_f16 v[2:5], v[22:23], v[6:7], v[2:5]
	v_mfma_f32_16x16x16_f16 v[2:5], v[24:25], v[8:9], v[2:5]
	s_waitcnt vmcnt(2) lgkmcnt(0)
	v_mfma_f32_16x16x16_f16 v[2:5], v[18:19], v[26:27], v[2:5]
	v_mfma_f32_16x16x16_f16 v[2:5], v[20:21], v[28:29], v[2:5]
	ds_read_b128 v[6:9], v48 offset:6144
	ds_read_b128 v[18:21], v48 offset:6160
	s_waitcnt lgkmcnt(0)
	s_barrier
	s_waitcnt vmcnt(1)
	v_mfma_f32_16x16x16_f16 v[2:5], v[14:15], v[6:7], v[2:5]
	v_mfma_f32_16x16x16_f16 v[2:5], v[16:17], v[8:9], v[2:5]
	s_waitcnt vmcnt(0)
	v_mfma_f32_16x16x16_f16 v[2:5], v[10:11], v[18:19], v[2:5]
	v_mfma_f32_16x16x16_f16 v[2:5], v[12:13], v[20:21], v[2:5]
	s_nop 6
	v_cvt_f16_f32_e32 v2, v2
	v_cvt_f16_f32_e32 v3, v3
	;; [unrolled: 1-line block ×4, first 2 shown]
	v_pack_b32_f16 v2, v2, v3
	v_pack_b32_f16 v3, v4, v5
	ds_write_b64 v1, v[2:3]
	s_waitcnt lgkmcnt(0)
	s_barrier
	s_and_saveexec_b64 s[8:9], s[4:5]
	s_cbranch_execz .LBB182_20
; %bb.18:
	s_load_dwordx2 s[4:5], s[0:1], 0x68
	s_lshl_b32 s0, s6, 6
	s_mul_i32 s1, s7, s2
	s_mul_hi_u32 s7, s1, s0
	s_mul_i32 s6, s1, s0
	v_lshlrev_b32_e32 v1, 10, v0
	v_lshlrev_b32_e32 v0, 4, v0
	s_lshl_b64 s[6:7], s[6:7], 1
	v_and_b32_e32 v1, 0x1800, v1
	v_lshlrev_b32_e32 v2, 5, v54
	v_and_b32_e32 v0, 16, v0
	s_waitcnt lgkmcnt(0)
	s_add_u32 s1, s4, s6
	v_or3_b32 v2, v1, v2, v0
	s_addc_u32 s4, s5, s7
	s_lshl_b32 s2, s28, 6
	s_lshl_b64 s[2:3], s[2:3], 1
	ds_read_b128 v[4:7], v2 offset:128
	ds_read_b128 v[8:11], v2
	s_add_u32 s2, s1, s2
	s_addc_u32 s3, s4, s3
	v_add_u32_e32 v3, s42, v54
	v_lshl_add_u64 v[0:1], v[34:35], 1, s[2:3]
	v_mad_u64_u32 v[12:13], s[2:3], v3, s0, 0
	v_lshl_add_u64 v[12:13], v[12:13], 1, v[0:1]
	v_add_u32_e32 v3, 4, v3
	s_waitcnt lgkmcnt(0)
	global_store_dwordx4 v[12:13], v[8:11], off
	v_cmp_ne_u32_e32 vcc, 3, v54
	s_nop 0
	v_mad_u64_u32 v[8:9], s[2:3], v3, s0, 0
	v_lshl_add_u64 v[8:9], v[8:9], 1, v[0:1]
	global_store_dwordx4 v[8:9], v[4:7], off
	s_and_b64 exec, exec, vcc
	s_cbranch_execz .LBB182_20
; %bb.19:
	ds_read_b128 v[2:5], v2 offset:256
	v_add3_u32 v6, s42, v54, 8
	v_mad_u64_u32 v[6:7], s[0:1], v6, s0, 0
	v_lshl_add_u64 v[0:1], v[6:7], 1, v[0:1]
	s_waitcnt lgkmcnt(0)
	global_store_dwordx4 v[0:1], v[2:5], off
.LBB182_20:
	s_endpgm
	.section	.rodata,"a",@progbits
	.p2align	6, 0x0
	.amdhsa_kernel _Z39paged_attention_ll4mi_QKV_mfma16_kernelIDF16_DF16_LN4vllm18Fp8KVCacheDataTypeE0EDF16_Li32ELi64ELi256ELb0ELi11EEvPKT_PKT0_S7_ifPKiS9_S9_iPKfiiiPfSC_PS2_PT2_iSB_SB_
		.amdhsa_group_segment_fixed_size 8192
		.amdhsa_private_segment_fixed_size 0
		.amdhsa_kernarg_size 400
		.amdhsa_user_sgpr_count 2
		.amdhsa_user_sgpr_dispatch_ptr 0
		.amdhsa_user_sgpr_queue_ptr 0
		.amdhsa_user_sgpr_kernarg_segment_ptr 1
		.amdhsa_user_sgpr_dispatch_id 0
		.amdhsa_user_sgpr_kernarg_preload_length 0
		.amdhsa_user_sgpr_kernarg_preload_offset 0
		.amdhsa_user_sgpr_private_segment_size 0
		.amdhsa_uses_dynamic_stack 0
		.amdhsa_enable_private_segment 0
		.amdhsa_system_sgpr_workgroup_id_x 1
		.amdhsa_system_sgpr_workgroup_id_y 1
		.amdhsa_system_sgpr_workgroup_id_z 1
		.amdhsa_system_sgpr_workgroup_info 0
		.amdhsa_system_vgpr_workitem_id 0
		.amdhsa_next_free_vgpr 67
		.amdhsa_next_free_sgpr 48
		.amdhsa_accum_offset 68
		.amdhsa_reserve_vcc 1
		.amdhsa_float_round_mode_32 0
		.amdhsa_float_round_mode_16_64 0
		.amdhsa_float_denorm_mode_32 3
		.amdhsa_float_denorm_mode_16_64 3
		.amdhsa_dx10_clamp 1
		.amdhsa_ieee_mode 1
		.amdhsa_fp16_overflow 0
		.amdhsa_tg_split 0
		.amdhsa_exception_fp_ieee_invalid_op 0
		.amdhsa_exception_fp_denorm_src 0
		.amdhsa_exception_fp_ieee_div_zero 0
		.amdhsa_exception_fp_ieee_overflow 0
		.amdhsa_exception_fp_ieee_underflow 0
		.amdhsa_exception_fp_ieee_inexact 0
		.amdhsa_exception_int_div_zero 0
	.end_amdhsa_kernel
	.section	.text._Z39paged_attention_ll4mi_QKV_mfma16_kernelIDF16_DF16_LN4vllm18Fp8KVCacheDataTypeE0EDF16_Li32ELi64ELi256ELb0ELi11EEvPKT_PKT0_S7_ifPKiS9_S9_iPKfiiiPfSC_PS2_PT2_iSB_SB_,"axG",@progbits,_Z39paged_attention_ll4mi_QKV_mfma16_kernelIDF16_DF16_LN4vllm18Fp8KVCacheDataTypeE0EDF16_Li32ELi64ELi256ELb0ELi11EEvPKT_PKT0_S7_ifPKiS9_S9_iPKfiiiPfSC_PS2_PT2_iSB_SB_,comdat
.Lfunc_end182:
	.size	_Z39paged_attention_ll4mi_QKV_mfma16_kernelIDF16_DF16_LN4vllm18Fp8KVCacheDataTypeE0EDF16_Li32ELi64ELi256ELb0ELi11EEvPKT_PKT0_S7_ifPKiS9_S9_iPKfiiiPfSC_PS2_PT2_iSB_SB_, .Lfunc_end182-_Z39paged_attention_ll4mi_QKV_mfma16_kernelIDF16_DF16_LN4vllm18Fp8KVCacheDataTypeE0EDF16_Li32ELi64ELi256ELb0ELi11EEvPKT_PKT0_S7_ifPKiS9_S9_iPKfiiiPfSC_PS2_PT2_iSB_SB_
                                        ; -- End function
	.section	.AMDGPU.csdata,"",@progbits
; Kernel info:
; codeLenInByte = 3920
; NumSgprs: 54
; NumVgprs: 67
; NumAgprs: 0
; TotalNumVgprs: 67
; ScratchSize: 0
; MemoryBound: 0
; FloatMode: 240
; IeeeMode: 1
; LDSByteSize: 8192 bytes/workgroup (compile time only)
; SGPRBlocks: 6
; VGPRBlocks: 8
; NumSGPRsForWavesPerEU: 54
; NumVGPRsForWavesPerEU: 67
; AccumOffset: 68
; Occupancy: 7
; WaveLimiterHint : 1
; COMPUTE_PGM_RSRC2:SCRATCH_EN: 0
; COMPUTE_PGM_RSRC2:USER_SGPR: 2
; COMPUTE_PGM_RSRC2:TRAP_HANDLER: 0
; COMPUTE_PGM_RSRC2:TGID_X_EN: 1
; COMPUTE_PGM_RSRC2:TGID_Y_EN: 1
; COMPUTE_PGM_RSRC2:TGID_Z_EN: 1
; COMPUTE_PGM_RSRC2:TIDIG_COMP_CNT: 0
; COMPUTE_PGM_RSRC3_GFX90A:ACCUM_OFFSET: 16
; COMPUTE_PGM_RSRC3_GFX90A:TG_SPLIT: 0
	.section	.text._Z39paged_attention_ll4mi_QKV_mfma16_kernelIDF16_DF16_LN4vllm18Fp8KVCacheDataTypeE0EDF16_Li32ELi64ELi256ELb0ELi12EEvPKT_PKT0_S7_ifPKiS9_S9_iPKfiiiPfSC_PS2_PT2_iSB_SB_,"axG",@progbits,_Z39paged_attention_ll4mi_QKV_mfma16_kernelIDF16_DF16_LN4vllm18Fp8KVCacheDataTypeE0EDF16_Li32ELi64ELi256ELb0ELi12EEvPKT_PKT0_S7_ifPKiS9_S9_iPKfiiiPfSC_PS2_PT2_iSB_SB_,comdat
	.protected	_Z39paged_attention_ll4mi_QKV_mfma16_kernelIDF16_DF16_LN4vllm18Fp8KVCacheDataTypeE0EDF16_Li32ELi64ELi256ELb0ELi12EEvPKT_PKT0_S7_ifPKiS9_S9_iPKfiiiPfSC_PS2_PT2_iSB_SB_ ; -- Begin function _Z39paged_attention_ll4mi_QKV_mfma16_kernelIDF16_DF16_LN4vllm18Fp8KVCacheDataTypeE0EDF16_Li32ELi64ELi256ELb0ELi12EEvPKT_PKT0_S7_ifPKiS9_S9_iPKfiiiPfSC_PS2_PT2_iSB_SB_
	.globl	_Z39paged_attention_ll4mi_QKV_mfma16_kernelIDF16_DF16_LN4vllm18Fp8KVCacheDataTypeE0EDF16_Li32ELi64ELi256ELb0ELi12EEvPKT_PKT0_S7_ifPKiS9_S9_iPKfiiiPfSC_PS2_PT2_iSB_SB_
	.p2align	8
	.type	_Z39paged_attention_ll4mi_QKV_mfma16_kernelIDF16_DF16_LN4vllm18Fp8KVCacheDataTypeE0EDF16_Li32ELi64ELi256ELb0ELi12EEvPKT_PKT0_S7_ifPKiS9_S9_iPKfiiiPfSC_PS2_PT2_iSB_SB_,@function
_Z39paged_attention_ll4mi_QKV_mfma16_kernelIDF16_DF16_LN4vllm18Fp8KVCacheDataTypeE0EDF16_Li32ELi64ELi256ELb0ELi12EEvPKT_PKT0_S7_ifPKiS9_S9_iPKfiiiPfSC_PS2_PT2_iSB_SB_: ; @_Z39paged_attention_ll4mi_QKV_mfma16_kernelIDF16_DF16_LN4vllm18Fp8KVCacheDataTypeE0EDF16_Li32ELi64ELi256ELb0ELi12EEvPKT_PKT0_S7_ifPKiS9_S9_iPKfiiiPfSC_PS2_PT2_iSB_SB_
; %bb.0:
	s_load_dwordx2 s[6:7], s[0:1], 0x30
	s_mov_b32 s28, s3
	s_mov_b64 s[10:11], 0
	s_waitcnt lgkmcnt(0)
	s_cmp_lg_u64 s[6:7], 0
	s_cselect_b64 s[8:9], -1, 0
	s_and_b64 vcc, exec, s[8:9]
	s_cbranch_vccz .LBB183_7
; %bb.1:
	s_add_i32 s12, s2, 1
	s_mov_b32 s13, 0
	s_lshl_b64 s[14:15], s[12:13], 2
	s_add_u32 s14, s6, s14
	s_mov_b32 s3, s13
	s_addc_u32 s15, s7, s15
	s_lshl_b64 s[12:13], s[2:3], 2
	s_add_u32 s12, s6, s12
	s_addc_u32 s13, s7, s13
	s_load_dword s5, s[14:15], 0x0
	s_load_dword s16, s[12:13], 0x0
	s_waitcnt lgkmcnt(0)
	s_sub_i32 s5, s5, s16
	s_cmp_eq_u32 s5, 1
	s_cselect_b64 s[12:13], -1, 0
	s_andn2_b64 vcc, exec, s[10:11]
	s_cbranch_vccnz .LBB183_3
.LBB183_2:
	s_mov_b32 s3, 0
	s_mov_b64 s[12:13], -1
.LBB183_3:
	s_andn2_b64 vcc, exec, s[12:13]
	s_cbranch_vccnz .LBB183_19
; %bb.4:
	s_load_dwordx2 s[12:13], s[0:1], 0x28
	s_lshl_b64 s[10:11], s[2:3], 2
	s_waitcnt lgkmcnt(0)
	s_add_u32 s12, s12, s10
	s_addc_u32 s13, s13, s11
	s_load_dword s33, s[12:13], 0x0
	s_lshl_b32 s14, s28, 8
	s_waitcnt lgkmcnt(0)
	s_cmp_ge_i32 s14, s33
	s_cbranch_scc1 .LBB183_19
; %bb.5:
	s_load_dwordx2 s[12:13], s[0:1], 0x20
	s_load_dword s5, s[0:1], 0x38
	s_add_i32 s15, s33, 31
	s_ashr_i32 s16, s15, 31
	v_and_b32_e32 v1, 0xcf, v0
	s_lshr_b32 s16, s16, 27
	v_add_u32_e32 v1, s14, v1
	s_add_i32 s15, s15, s16
	v_ashrrev_i32_e32 v2, 31, v1
	s_ashr_i32 s15, s15, 5
	v_lshrrev_b32_e32 v10, 27, v2
	s_add_i32 s15, s15, -1
	s_waitcnt lgkmcnt(0)
	s_mul_i32 s16, s2, s5
	s_mov_b32 s17, 0
	v_add_u32_e32 v2, v1, v10
	s_lshl_b64 s[16:17], s[16:17], 2
	v_ashrrev_i32_e32 v2, 5, v2
	v_mov_b32_e32 v11, s15
	v_cmp_gt_i32_e32 vcc, s33, v1
	s_add_u32 s12, s12, s16
	s_addc_u32 s13, s13, s17
	v_cndmask_b32_e32 v2, v11, v2, vcc
	v_ashrrev_i32_e32 v3, 31, v2
	v_lshl_add_u64 v[4:5], v[2:3], 2, s[12:13]
	v_or_b32_e32 v2, 16, v1
	v_add_u32_e32 v3, v2, v10
	v_ashrrev_i32_e32 v3, 5, v3
	v_cmp_gt_i32_e32 vcc, s33, v2
	s_nop 1
	v_cndmask_b32_e32 v2, v11, v3, vcc
	v_ashrrev_i32_e32 v3, 31, v2
	v_lshl_add_u64 v[6:7], v[2:3], 2, s[12:13]
	v_or_b32_e32 v2, 32, v1
	v_add_u32_e32 v3, v2, v10
	v_ashrrev_i32_e32 v3, 5, v3
	v_cmp_gt_i32_e32 vcc, s33, v2
	v_or_b32_e32 v1, 48, v1
	s_nop 0
	v_cndmask_b32_e32 v2, v11, v3, vcc
	v_ashrrev_i32_e32 v3, 31, v2
	v_lshl_add_u64 v[8:9], v[2:3], 2, s[12:13]
	v_add_u32_e32 v2, v1, v10
	v_ashrrev_i32_e32 v2, 5, v2
	v_cmp_gt_i32_e32 vcc, s33, v1
	s_nop 1
	v_cndmask_b32_e32 v2, v11, v2, vcc
	v_ashrrev_i32_e32 v3, 31, v2
	v_lshl_add_u64 v[12:13], v[2:3], 2, s[12:13]
	global_load_dword v3, v[4:5], off
	global_load_dword v2, v[6:7], off
	;; [unrolled: 1-line block ×4, first 2 shown]
	s_andn2_b64 vcc, exec, s[8:9]
	s_cbranch_vccnz .LBB183_8
; %bb.6:
	s_add_u32 s6, s6, s10
	s_addc_u32 s7, s7, s11
	s_load_dword s5, s[6:7], 0x0
	s_branch .LBB183_9
.LBB183_7:
	s_mov_b64 s[12:13], 0
	s_branch .LBB183_2
.LBB183_8:
	s_mov_b32 s5, s2
.LBB183_9:
	s_load_dwordx4 s[8:11], s[0:1], 0x8
	s_load_dwordx4 s[44:47], s[0:1], 0x48
	v_and_b32_e32 v36, 15, v0
	s_movk_i32 s6, 0xbf
	v_cmp_lt_u32_e32 vcc, s6, v0
	v_cmp_lt_u32_e64 s[6:7], 7, v36
	v_lshlrev_b32_e32 v34, 3, v36
	v_cmp_gt_u32_e64 s[30:31], 8, v36
	s_or_b64 s[6:7], vcc, s[6:7]
	s_and_saveexec_b64 s[16:17], s[6:7]
	s_xor_b64 s[6:7], exec, s[16:17]
; %bb.10:
	v_mov_b32_e32 v35, 0
; %bb.11:
	s_or_saveexec_b64 s[6:7], s[6:7]
	v_lshrrev_b32_e32 v37, 6, v0
	v_and_b32_e32 v54, 63, v0
	v_bfe_u32 v1, v0, 4, 2
	s_mul_i32 s42, s4, 12
	s_xor_b64 exec, exec, s[6:7]
	s_cbranch_execz .LBB183_13
; %bb.12:
	s_load_dwordx2 s[16:17], s[0:1], 0x0
	s_waitcnt lgkmcnt(0)
	s_ashr_i32 s18, s44, 31
	s_mul_hi_u32 s19, s5, s44
	s_mul_i32 s18, s5, s18
	s_add_i32 s19, s19, s18
	s_mul_i32 s18, s5, s44
	v_lshl_or_b32 v8, v37, 2, v1
	s_lshl_b64 s[18:19], s[18:19], 1
	s_add_u32 s16, s16, s18
	v_add_lshl_u32 v4, v8, s42, 6
	s_addc_u32 s17, s17, s19
	v_ashrrev_i32_e32 v5, 31, v4
	v_mov_b32_e32 v35, 0
	v_lshl_add_u64 v[4:5], v[4:5], 1, s[16:17]
	v_lshlrev_b32_e32 v6, 1, v34
	v_mov_b32_e32 v7, v35
	v_lshl_add_u64 v[4:5], v[4:5], 0, v[6:7]
	global_load_dwordx4 v[4:7], v[4:5], off
	v_and_b32_e32 v9, 3, v0
	v_lshlrev_b32_e32 v11, 9, v36
	v_lshlrev_b32_e32 v8, 5, v8
	;; [unrolled: 1-line block ×3, first 2 shown]
	v_and_b32_e32 v11, 0x1800, v11
	v_or3_b32 v8, v11, v9, v8
	s_waitcnt vmcnt(0)
	ds_write_b128 v8, v[4:7]
.LBB183_13:
	s_or_b64 exec, exec, s[6:7]
	s_waitcnt lgkmcnt(0)
	s_mul_i32 s4, s4, s46
	s_mov_b32 s5, 0
	s_lshl_b64 s[4:5], s[4:5], 1
	s_add_u32 s8, s8, s4
	s_addc_u32 s9, s9, s5
	s_waitcnt vmcnt(3)
	v_mad_i64_i32 v[4:5], s[16:17], v3, s45, 0
	v_lshl_add_u64 v[4:5], v[4:5], 1, s[8:9]
	v_lshlrev_b64 v[12:13], 1, v[34:35]
	v_lshlrev_b32_e32 v38, 9, v1
	v_lshl_add_u64 v[4:5], v[4:5], 0, v[12:13]
	v_mov_b32_e32 v39, 0
	v_lshl_add_u64 v[14:15], v[4:5], 0, v[38:39]
	s_waitcnt vmcnt(2)
	v_mad_i64_i32 v[2:3], s[16:17], v2, s45, 0
	v_mov_b32_e32 v4, 0x100
	v_lshl_add_u64 v[2:3], v[2:3], 1, s[8:9]
	v_lshl_or_b32 v40, v36, 4, v4
	v_mov_b32_e32 v41, v39
	s_load_dword s29, s[0:1], 0x98
	s_load_dword s6, s[0:1], 0x1c
	s_waitcnt lgkmcnt(0)
	s_barrier
	v_lshl_add_u64 v[2:3], v[2:3], 0, v[40:41]
	global_load_dwordx4 v[6:9], v[14:15], off
	global_load_dwordx4 v[22:25], v[14:15], off offset:2048
	v_lshl_add_u64 v[18:19], v[2:3], 0, v[38:39]
	global_load_dwordx4 v[2:5], v[18:19], off
	global_load_dwordx4 v[26:29], v[18:19], off offset:2048
	s_waitcnt vmcnt(5)
	v_mad_i64_i32 v[10:11], s[16:17], v10, s45, 0
	v_lshl_add_u64 v[10:11], v[10:11], 1, s[8:9]
	v_lshl_add_u64 v[10:11], v[10:11], 0, v[12:13]
	;; [unrolled: 1-line block ×3, first 2 shown]
	global_load_dwordx4 v[10:13], v[20:21], off
	global_load_dwordx4 v[30:33], v[20:21], off offset:2048
	s_waitcnt vmcnt(6)
	v_mad_i64_i32 v[42:43], s[16:17], v16, s45, 0
	v_add_u32_e32 v17, -12, v36
	v_cmp_gt_u32_e32 vcc, 12, v36
	v_lshl_add_u64 v[42:43], v[42:43], 1, s[8:9]
	v_lshl_add_u64 v[40:41], v[42:43], 0, v[40:41]
	v_cndmask_b32_e32 v14, v17, v36, vcc
	v_lshl_add_u32 v14, v14, 5, v38
	v_lshl_add_u64 v[40:41], v[40:41], 0, v[38:39]
	ds_read_b128 v[18:21], v14
	ds_read_b128 v[14:17], v14 offset:2048
	global_load_dwordx4 v[46:49], v[40:41], off
	global_load_dwordx4 v[60:63], v[40:41], off offset:2048
	s_ashr_i32 s7, s14, 31
	v_and_or_b32 v55, v0, 48, s14
	s_lshr_b32 s7, s7, 27
	v_add_u32_e32 v42, s7, v55
	v_mov_b32_e32 v64, s15
	v_or_b32_e32 v50, 64, v55
	v_ashrrev_i32_e32 v38, 5, v42
	v_cmp_gt_i32_e32 vcc, s33, v55
	v_add_u32_e32 v43, s7, v50
	v_ashrrev_i32_e32 v51, 5, v43
	v_cndmask_b32_e32 v42, v64, v38, vcc
	v_ashrrev_i32_e32 v43, 31, v42
	v_lshl_add_u64 v[42:43], v[42:43], 2, s[12:13]
	v_cmp_gt_i32_e32 vcc, s33, v50
	global_load_dword v65, v[42:43], off
	v_or_b32_e32 v40, 0x80, v55
	v_or_b32_e32 v41, 0xc0, v55
	v_and_b32_e32 v38, 16, v0
	s_add_u32 s4, s10, s4
	s_addc_u32 s5, s11, s5
	v_lshlrev_b32_e32 v38, 1, v38
	s_mov_b32 s43, 0xff7fffff
	s_waitcnt vmcnt(8) lgkmcnt(1)
	v_mfma_f32_16x16x16_f16 v[42:45], v[6:7], v[18:19], 0
	v_cndmask_b32_e32 v6, v64, v51, vcc
	v_ashrrev_i32_e32 v7, 31, v6
	v_cmp_gt_i32_e32 vcc, s33, v40
	s_waitcnt vmcnt(6)
	v_mfma_f32_16x16x16_f16 v[50:53], v[2:3], v[18:19], 0
	v_lshl_add_u64 v[2:3], v[6:7], 2, s[12:13]
	global_load_dword v66, v[2:3], off
	v_mfma_f32_16x16x16_f16 v[6:9], v[8:9], v[20:21], v[42:45]
	v_mfma_f32_16x16x16_f16 v[2:5], v[4:5], v[20:21], v[50:53]
	s_nop 1
	v_add_u32_e32 v42, s7, v40
	v_add_u32_e32 v43, s7, v41
	v_ashrrev_i32_e32 v42, 5, v42
	s_waitcnt lgkmcnt(0)
	v_mfma_f32_16x16x16_f16 v[6:9], v[22:23], v[14:15], v[6:9]
	v_lshlrev_b32_e32 v45, 6, v36
	v_ashrrev_i32_e32 v43, 5, v43
	v_cndmask_b32_e32 v44, v64, v42, vcc
	s_waitcnt vmcnt(5)
	v_mfma_f32_16x16x16_f16 v[56:59], v[10:11], v[18:19], 0
	v_cmp_gt_i32_e32 vcc, s33, v41
	v_lshl_add_u64 v[50:51], s[4:5], 0, v[38:39]
	v_lshl_or_b32 v38, v37, 10, v45
	v_mfma_f32_16x16x16_f16 v[2:5], v[26:27], v[14:15], v[2:5]
	v_cndmask_b32_e32 v26, v64, v43, vcc
	v_ashrrev_i32_e32 v45, 31, v44
	v_ashrrev_i32_e32 v27, 31, v26
	v_mfma_f32_16x16x16_f16 v[22:25], v[24:25], v[16:17], v[6:9]
	s_nop 2
	v_lshl_add_u64 v[6:7], v[44:45], 2, s[12:13]
	v_mfma_f32_16x16x16_f16 v[10:13], v[12:13], v[20:21], v[56:59]
	v_lshl_add_u64 v[8:9], v[26:27], 2, s[12:13]
	global_load_dword v55, v[6:7], off
	s_nop 0
	global_load_dword v58, v[8:9], off
	s_waitcnt vmcnt(6)
	v_mfma_f32_16x16x16_f16 v[40:43], v[30:31], v[14:15], v[10:13]
	s_nop 2
	v_lshl_add_u64 v[10:11], v[50:51], 0, v[38:39]
	v_mfma_f32_16x16x16_f16 v[30:33], v[32:33], v[16:17], v[40:43]
	v_pk_mul_f32 v[50:51], s[6:7], v[24:25] op_sel_hi:[0,1]
	s_waitcnt vmcnt(2)
	v_mad_i64_i32 v[12:13], s[4:5], v66, s45, 0
	v_mfma_f32_16x16x16_f16 v[38:41], v[46:47], v[18:19], 0
	v_lshl_add_u64 v[56:57], v[12:13], 1, v[10:11]
	v_pk_mul_f32 v[12:13], s[6:7], v[22:23] op_sel_hi:[0,1]
	s_nop 0
	v_pk_mul_f32 v[46:47], s[6:7], v[32:33] op_sel_hi:[0,1]
	v_mfma_f32_16x16x16_f16 v[18:21], v[48:49], v[20:21], v[38:41]
	v_pk_mul_f32 v[48:49], s[6:7], v[30:31] op_sel_hi:[0,1]
	v_mfma_f32_16x16x16_f16 v[18:21], v[60:61], v[14:15], v[18:21]
	v_mfma_f32_16x16x16_f16 v[26:29], v[28:29], v[16:17], v[2:5]
	;; [unrolled: 1-line block ×3, first 2 shown]
	s_nop 1
	v_mad_i64_i32 v[2:3], s[4:5], v65, s45, 0
	s_nop 2
	v_pk_mul_f32 v[42:43], s[6:7], v[26:27] op_sel_hi:[0,1]
	v_pk_mul_f32 v[52:53], s[6:7], v[28:29] op_sel_hi:[0,1]
	v_lshl_add_u64 v[2:3], v[2:3], 1, v[10:11]
	v_pk_mul_f32 v[44:45], s[6:7], v[14:15] op_sel_hi:[0,1]
	v_and_b32_e32 v14, 0xc0, v0
	v_add_u32_e32 v14, s14, v14
	v_lshl_or_b32 v14, v1, 2, v14
	v_pk_mul_f32 v[38:39], s[6:7], v[16:17] op_sel_hi:[0,1]
	v_or_b32_e32 v17, 1, v14
	v_mov_b32_e32 v15, 0xff7fffff
	v_cmp_gt_i32_e64 s[4:5], s33, v14
	v_cmp_gt_i32_e64 s[34:35], s33, v17
	v_or_b32_e32 v18, 3, v14
	v_cndmask_b32_e64 v16, v15, v12, s[4:5]
	v_cndmask_b32_e64 v17, v15, v13, s[34:35]
	v_max3_f32 v16, v16, s43, v17
	v_or_b32_e32 v17, 2, v14
	v_cmp_gt_i32_e64 s[36:37], s33, v17
	v_cmp_gt_i32_e64 s[38:39], s33, v18
	global_load_dwordx4 v[6:9], v[2:3], off
	s_nop 0
	global_load_dwordx4 v[2:5], v[2:3], off offset:16
	v_cndmask_b32_e64 v17, v15, v50, s[36:37]
	v_cndmask_b32_e64 v18, v15, v51, s[38:39]
	v_max3_f32 v16, v16, v17, v18
	v_or_b32_e32 v17, 16, v14
	v_or_b32_e32 v18, 17, v14
	v_cmp_gt_i32_e64 s[24:25], s33, v17
	v_cmp_gt_i32_e64 s[26:27], s33, v18
	global_load_dwordx4 v[30:33], v[56:57], off
	global_load_dwordx4 v[26:29], v[56:57], off offset:16
	v_cndmask_b32_e64 v17, v15, v42, s[24:25]
	v_cndmask_b32_e64 v18, v15, v43, s[26:27]
	v_max3_f32 v16, v16, v17, v18
	v_or_b32_e32 v17, 18, v14
	v_or_b32_e32 v18, 19, v14
	v_cmp_gt_i32_e64 s[20:21], s33, v17
	v_cmp_gt_i32_e64 s[22:23], s33, v18
	s_nop 0
	v_cndmask_b32_e64 v17, v15, v52, s[20:21]
	v_cndmask_b32_e64 v18, v15, v53, s[22:23]
	v_max3_f32 v16, v16, v17, v18
	v_or_b32_e32 v17, 32, v14
	v_or_b32_e32 v18, 33, v14
	v_cmp_gt_i32_e64 s[16:17], s33, v17
	v_cmp_gt_i32_e64 s[18:19], s33, v18
	s_nop 0
	;; [unrolled: 8-line block ×4, first 2 shown]
	v_cndmask_b32_e64 v17, v15, v44, s[8:9]
	v_cndmask_b32_e64 v18, v15, v45, s[10:11]
	v_max3_f32 v16, v16, v17, v18
	v_or_b32_e32 v17, 50, v14
	v_or_b32_e32 v14, 51, v14
	v_cmp_gt_i32_e32 vcc, s33, v17
	v_cmp_gt_i32_e64 s[6:7], s33, v14
	s_nop 0
	v_cndmask_b32_e32 v17, v15, v38, vcc
	v_cndmask_b32_e64 v14, v15, v39, s[6:7]
	v_max3_f32 v16, v16, v17, v14
	v_mbcnt_lo_u32_b32 v14, -1, 0
	v_mbcnt_hi_u32_b32 v17, -1, v14
	v_and_b32_e32 v14, 64, v17
	v_add_u32_e32 v18, 64, v14
	v_xor_b32_e32 v14, 32, v17
	v_cmp_lt_i32_e64 s[40:41], v14, v18
	s_nop 1
	v_cndmask_b32_e64 v14, v17, v14, s[40:41]
	v_lshlrev_b32_e32 v59, 2, v14
	ds_bpermute_b32 v19, v59, v16
	s_waitcnt vmcnt(5)
	v_mad_i64_i32 v[14:15], s[40:41], v55, s45, 0
	v_lshl_add_u64 v[14:15], v[14:15], 1, v[10:11]
	s_waitcnt lgkmcnt(0)
	v_max_f32_e32 v19, v19, v19
	v_max_f32_e32 v16, v16, v19
	v_xor_b32_e32 v19, 16, v17
	v_cmp_lt_i32_e64 s[40:41], v19, v18
	s_nop 1
	v_cndmask_b32_e64 v17, v17, v19, s[40:41]
	v_lshlrev_b32_e32 v56, 2, v17
	ds_bpermute_b32 v17, v56, v16
	global_load_dwordx4 v[22:25], v[14:15], off
	global_load_dwordx4 v[18:21], v[14:15], off offset:16
	s_waitcnt vmcnt(6)
	v_mad_i64_i32 v[14:15], s[40:41], v58, s45, 0
	v_lshl_add_u64 v[10:11], v[14:15], 1, v[10:11]
	s_waitcnt lgkmcnt(0)
	v_max_f32_e32 v14, v17, v17
	v_max_f32_e32 v55, v16, v14
	v_sub_f32_e32 v12, v12, v55
	v_mul_f32_e32 v12, 0x3fb8aa3b, v12
	v_exp_f32_e32 v40, v12
	v_sub_f32_e32 v12, v13, v55
	v_mul_f32_e32 v12, 0x3fb8aa3b, v12
	v_exp_f32_e32 v41, v12
	global_load_dwordx4 v[14:17], v[10:11], off
	s_nop 0
	global_load_dwordx4 v[10:13], v[10:11], off offset:16
	v_sub_f32_e32 v50, v50, v55
	v_mul_f32_e32 v50, 0x3fb8aa3b, v50
	v_sub_f32_e32 v51, v51, v55
	v_exp_f32_e32 v50, v50
	v_mul_f32_e32 v51, 0x3fb8aa3b, v51
	v_sub_f32_e32 v42, v42, v55
	v_exp_f32_e32 v51, v51
	v_mul_f32_e32 v42, 0x3fb8aa3b, v42
	v_sub_f32_e32 v43, v43, v55
	v_cndmask_b32_e64 v40, 0, v40, s[4:5]
	v_exp_f32_e32 v42, v42
	v_mul_f32_e32 v43, 0x3fb8aa3b, v43
	v_sub_f32_e32 v52, v52, v55
	v_add_f32_e32 v57, 0, v40
	v_cndmask_b32_e64 v41, 0, v41, s[34:35]
	v_exp_f32_e32 v43, v43
	v_mul_f32_e32 v52, 0x3fb8aa3b, v52
	v_sub_f32_e32 v53, v53, v55
	v_add_f32_e32 v57, v57, v41
	;; [unrolled: 5-line block ×10, first 2 shown]
	v_cndmask_b32_e64 v46, 0, v46, s[12:13]
	v_exp_f32_e32 v38, v38
	v_mul_f32_e32 v39, 0x3fb8aa3b, v39
	v_add_f32_e32 v57, v57, v46
	v_cndmask_b32_e64 v47, 0, v47, s[14:15]
	v_exp_f32_e32 v39, v39
	v_add_f32_e32 v57, v57, v47
	v_cndmask_b32_e64 v44, 0, v44, s[8:9]
	v_add_f32_e32 v57, v57, v44
	v_cndmask_b32_e64 v45, 0, v45, s[10:11]
	v_add_f32_e32 v57, v57, v45
	v_cndmask_b32_e32 v38, 0, v38, vcc
	v_add_f32_e32 v57, v57, v38
	v_cndmask_b32_e64 v39, 0, v39, s[6:7]
	v_add_f32_e32 v57, v57, v39
	ds_bpermute_b32 v58, v59, v57
	v_cmp_gt_u32_e32 vcc, 16, v54
	s_waitcnt lgkmcnt(0)
	s_barrier
	v_add_f32_e32 v57, v57, v58
	ds_bpermute_b32 v58, v56, v57
	v_lshlrev_b32_e32 v56, 2, v36
	s_and_saveexec_b64 s[4:5], vcc
	s_cbranch_execz .LBB183_15
; %bb.14:
	s_waitcnt lgkmcnt(0)
	v_add_f32_e32 v54, v57, v58
	v_lshl_or_b32 v57, v37, 6, v56
	ds_write2st64_b32 v57, v55, v54 offset1:1
.LBB183_15:
	s_or_b64 exec, exec, s[4:5]
	s_load_dword s6, s[0:1], 0x94
	s_waitcnt lgkmcnt(0)
	s_barrier
	ds_read2_b32 v[58:59], v56 offset1:16
	ds_read2_b32 v[60:61], v56 offset0:32 offset1:48
	ds_read2_b32 v[62:63], v56 offset0:64 offset1:80
	;; [unrolled: 1-line block ×3, first 2 shown]
	s_waitcnt lgkmcnt(0)
	v_max3_f32 v54, v58, s43, v59
	v_max3_f32 v54, v54, v60, v61
	v_sub_f32_e32 v55, v58, v54
	v_mul_f32_e32 v55, 0x3fb8aa3b, v55
	v_exp_f32_e32 v58, v55
	v_sub_f32_e32 v55, v59, v54
	v_mul_f32_e32 v55, 0x3fb8aa3b, v55
	v_exp_f32_e32 v59, v55
	;; [unrolled: 3-line block ×4, first 2 shown]
	v_fma_f32 v55, v58, v62, 0
	v_fmac_f32_e32 v55, v59, v63
	v_fmac_f32_e32 v55, v60, v56
	;; [unrolled: 1-line block ×3, first 2 shown]
	v_add_f32_e32 v56, 0x358637bd, v55
	v_div_scale_f32 v57, s[4:5], v56, v56, 1.0
	v_rcp_f32_e32 v62, v57
	s_barrier
	s_mul_i32 s7, s29, 12
	v_fma_f32 v63, -v57, v62, 1.0
	v_fmac_f32_e32 v62, v63, v62
	v_div_scale_f32 v63, vcc, 1.0, v56, 1.0
	v_mul_f32_e32 v64, v63, v62
	v_fma_f32 v65, -v57, v64, v63
	v_fmac_f32_e32 v64, v65, v62
	v_fma_f32 v57, -v57, v64, v63
	v_div_fmas_f32 v57, v57, v62, v64
	v_cmp_eq_u32_e32 vcc, 1, v37
	v_div_fixup_f32 v56, v57, v56, 1.0
	s_nop 0
	v_cndmask_b32_e32 v57, v58, v59, vcc
	v_cmp_eq_u32_e32 vcc, 2, v37
	s_nop 1
	v_cndmask_b32_e32 v57, v57, v60, vcc
	v_cmp_eq_u32_e32 vcc, 3, v37
	v_lshlrev_b32_e32 v37, 11, v37
	s_nop 0
	v_cndmask_b32_e32 v57, v57, v61, vcc
	v_mul_f32_e32 v56, v57, v56
	v_pk_mul_f32 v[50:51], v[56:57], v[50:51] op_sel_hi:[0,1]
	v_pk_mul_f32 v[40:41], v[56:57], v[40:41] op_sel_hi:[0,1]
	v_cvt_f16_f32_e32 v57, v50
	v_cvt_f16_f32_e32 v40, v40
	;; [unrolled: 1-line block ×4, first 2 shown]
	v_pk_mul_f32 v[52:53], v[56:57], v[52:53] op_sel_hi:[0,1]
	v_pk_mul_f32 v[42:43], v[56:57], v[42:43] op_sel_hi:[0,1]
	v_cvt_f16_f32_e32 v42, v42
	v_cvt_f16_f32_e32 v43, v43
	v_cvt_f16_f32_e32 v52, v52
	v_cvt_f16_f32_e32 v53, v53
	v_pack_b32_f16 v50, v40, v41
	v_lshlrev_b32_e32 v40, 3, v1
	v_lshlrev_b32_e32 v41, 5, v36
	v_pack_b32_f16 v51, v57, v51
	v_or3_b32 v40, v37, v41, v40
	v_pack_b32_f16 v42, v42, v43
	v_pack_b32_f16 v43, v52, v53
	ds_write2st64_b64 v40, v[50:51], v[42:43] offset1:1
	v_pk_mul_f32 v[42:43], v[56:57], v[46:47] op_sel_hi:[0,1]
	v_pk_mul_f32 v[46:47], v[56:57], v[48:49] op_sel_hi:[0,1]
	v_cvt_f16_f32_e32 v37, v46
	v_cvt_f16_f32_e32 v46, v47
	;; [unrolled: 1-line block ×4, first 2 shown]
	v_pk_mul_f32 v[38:39], v[56:57], v[38:39] op_sel_hi:[0,1]
	v_pk_mul_f32 v[42:43], v[56:57], v[44:45] op_sel_hi:[0,1]
	v_cvt_f16_f32_e32 v42, v42
	v_cvt_f16_f32_e32 v43, v43
	;; [unrolled: 1-line block ×4, first 2 shown]
	v_pack_b32_f16 v38, v37, v46
	v_pack_b32_f16 v39, v47, v48
	;; [unrolled: 1-line block ×4, first 2 shown]
	v_cmp_gt_u32_e32 vcc, 12, v0
	ds_write2st64_b64 v40, v[38:39], v[42:43] offset0:2 offset1:3
	s_and_saveexec_b64 s[4:5], vcc
	s_cbranch_execz .LBB183_17
; %bb.16:
	s_mov_b32 s43, 0
	v_mov_b32_e32 v37, 0
	v_lshl_add_u64 v[38:39], s[42:43], 0, v[36:37]
	v_mov_b32_e32 v36, s7
	v_mad_u64_u32 v[38:39], s[12:13], s2, v36, v[38:39]
	v_mov_b32_e32 v36, s28
	s_load_dwordx4 s[8:11], s[0:1], 0x58
	s_mul_i32 s3, s3, s7
	v_mad_u64_u32 v[36:37], s[12:13], v38, s6, v[36:37]
	v_add_u32_e32 v39, s3, v39
	v_mov_b32_e32 v38, v37
	v_mad_u64_u32 v[38:39], s[12:13], v39, s6, v[38:39]
	v_mov_b32_e32 v37, v38
	v_lshlrev_b64 v[36:37], 2, v[36:37]
	s_waitcnt lgkmcnt(0)
	v_lshl_add_u64 v[38:39], s[10:11], 0, v[36:37]
	v_lshl_add_u64 v[36:37], s[8:9], 0, v[36:37]
	global_store_dword v[38:39], v54, off
	global_store_dword v[36:37], v55, off
.LBB183_17:
	s_or_b64 exec, exec, s[4:5]
	v_lshl_or_b32 v41, v1, 9, v41
	s_waitcnt lgkmcnt(0)
	s_barrier
	ds_read_b128 v[36:39], v41
	ds_read_b128 v[42:45], v41 offset:16
	s_waitcnt vmcnt(7) lgkmcnt(1)
	v_mfma_f32_16x16x16_f16 v[46:49], v[6:7], v[36:37], 0
	v_cmp_gt_u32_e32 vcc, 64, v0
	s_mov_b32 s3, 0
	s_and_b64 s[4:5], vcc, s[30:31]
	v_mfma_f32_16x16x16_f16 v[6:9], v[8:9], v[38:39], v[46:49]
	s_waitcnt vmcnt(6) lgkmcnt(0)
	v_mfma_f32_16x16x16_f16 v[6:9], v[2:3], v[42:43], v[6:9]
	v_mfma_f32_16x16x16_f16 v[2:5], v[4:5], v[44:45], v[6:9]
	s_nop 5
	ds_read_b128 v[6:9], v41 offset:2048
	ds_read_b128 v[36:39], v41 offset:2064
	s_waitcnt vmcnt(5) lgkmcnt(1)
	v_mfma_f32_16x16x16_f16 v[2:5], v[30:31], v[6:7], v[2:5]
	v_mfma_f32_16x16x16_f16 v[2:5], v[32:33], v[8:9], v[2:5]
	s_waitcnt vmcnt(4) lgkmcnt(0)
	v_mfma_f32_16x16x16_f16 v[2:5], v[26:27], v[36:37], v[2:5]
	v_mfma_f32_16x16x16_f16 v[2:5], v[28:29], v[38:39], v[2:5]
	ds_read_b128 v[6:9], v41 offset:4096
	ds_read_b128 v[26:29], v41 offset:4112
	s_waitcnt vmcnt(3) lgkmcnt(1)
	v_mfma_f32_16x16x16_f16 v[2:5], v[22:23], v[6:7], v[2:5]
	v_mfma_f32_16x16x16_f16 v[2:5], v[24:25], v[8:9], v[2:5]
	s_waitcnt vmcnt(2) lgkmcnt(0)
	v_mfma_f32_16x16x16_f16 v[2:5], v[18:19], v[26:27], v[2:5]
	v_mfma_f32_16x16x16_f16 v[2:5], v[20:21], v[28:29], v[2:5]
	ds_read_b128 v[6:9], v41 offset:6144
	ds_read_b128 v[18:21], v41 offset:6160
	s_waitcnt lgkmcnt(0)
	s_barrier
	s_waitcnt vmcnt(1)
	v_mfma_f32_16x16x16_f16 v[2:5], v[14:15], v[6:7], v[2:5]
	v_mfma_f32_16x16x16_f16 v[2:5], v[16:17], v[8:9], v[2:5]
	s_waitcnt vmcnt(0)
	v_mfma_f32_16x16x16_f16 v[2:5], v[10:11], v[18:19], v[2:5]
	v_mfma_f32_16x16x16_f16 v[2:5], v[12:13], v[20:21], v[2:5]
	s_nop 6
	v_cvt_f16_f32_e32 v2, v2
	v_cvt_f16_f32_e32 v3, v3
	;; [unrolled: 1-line block ×4, first 2 shown]
	v_pack_b32_f16 v2, v2, v3
	v_pack_b32_f16 v3, v4, v5
	ds_write_b64 v40, v[2:3]
	s_waitcnt lgkmcnt(0)
	s_barrier
	s_and_saveexec_b64 s[8:9], s[4:5]
	s_cbranch_execz .LBB183_19
; %bb.18:
	s_load_dwordx2 s[0:1], s[0:1], 0x68
	s_lshl_b32 s6, s6, 6
	s_mul_i32 s2, s7, s2
	s_mul_hi_u32 s5, s2, s6
	s_mul_i32 s4, s2, s6
	s_lshl_b64 s[4:5], s[4:5], 1
	s_waitcnt lgkmcnt(0)
	s_add_u32 s4, s0, s4
	v_lshlrev_b32_e32 v2, 10, v0
	v_lshlrev_b32_e32 v0, 4, v0
	s_addc_u32 s5, s1, s5
	s_lshl_b32 s2, s28, 6
	v_and_b32_e32 v2, 0x1800, v2
	v_lshlrev_b32_e32 v3, 5, v1
	v_and_b32_e32 v0, 16, v0
	s_lshl_b64 s[0:1], s[2:3], 1
	v_or3_b32 v0, v2, v3, v0
	s_add_u32 s0, s4, s0
	ds_read_b128 v[2:5], v0
	ds_read_b128 v[6:9], v0 offset:128
	ds_read_b128 v[10:13], v0 offset:256
	s_addc_u32 s1, s5, s1
	v_or_b32_e32 v16, s42, v1
	v_lshl_add_u64 v[0:1], v[34:35], 1, s[0:1]
	v_mad_u64_u32 v[14:15], s[0:1], v16, s6, 0
	v_lshl_add_u64 v[14:15], v[14:15], 1, v[0:1]
	s_waitcnt lgkmcnt(2)
	global_store_dwordx4 v[14:15], v[2:5], off
	s_nop 1
	v_add_u32_e32 v2, 4, v16
	v_mad_u64_u32 v[2:3], s[0:1], v2, s6, 0
	v_lshl_add_u64 v[2:3], v[2:3], 1, v[0:1]
	s_waitcnt lgkmcnt(1)
	global_store_dwordx4 v[2:3], v[6:9], off
	v_add_u32_e32 v2, 8, v16
	v_mad_u64_u32 v[2:3], s[0:1], v2, s6, 0
	v_lshl_add_u64 v[0:1], v[2:3], 1, v[0:1]
	s_waitcnt lgkmcnt(0)
	global_store_dwordx4 v[0:1], v[10:13], off
.LBB183_19:
	s_endpgm
	.section	.rodata,"a",@progbits
	.p2align	6, 0x0
	.amdhsa_kernel _Z39paged_attention_ll4mi_QKV_mfma16_kernelIDF16_DF16_LN4vllm18Fp8KVCacheDataTypeE0EDF16_Li32ELi64ELi256ELb0ELi12EEvPKT_PKT0_S7_ifPKiS9_S9_iPKfiiiPfSC_PS2_PT2_iSB_SB_
		.amdhsa_group_segment_fixed_size 8192
		.amdhsa_private_segment_fixed_size 0
		.amdhsa_kernarg_size 400
		.amdhsa_user_sgpr_count 2
		.amdhsa_user_sgpr_dispatch_ptr 0
		.amdhsa_user_sgpr_queue_ptr 0
		.amdhsa_user_sgpr_kernarg_segment_ptr 1
		.amdhsa_user_sgpr_dispatch_id 0
		.amdhsa_user_sgpr_kernarg_preload_length 0
		.amdhsa_user_sgpr_kernarg_preload_offset 0
		.amdhsa_user_sgpr_private_segment_size 0
		.amdhsa_uses_dynamic_stack 0
		.amdhsa_enable_private_segment 0
		.amdhsa_system_sgpr_workgroup_id_x 1
		.amdhsa_system_sgpr_workgroup_id_y 1
		.amdhsa_system_sgpr_workgroup_id_z 1
		.amdhsa_system_sgpr_workgroup_info 0
		.amdhsa_system_vgpr_workitem_id 0
		.amdhsa_next_free_vgpr 67
		.amdhsa_next_free_sgpr 48
		.amdhsa_accum_offset 68
		.amdhsa_reserve_vcc 1
		.amdhsa_float_round_mode_32 0
		.amdhsa_float_round_mode_16_64 0
		.amdhsa_float_denorm_mode_32 3
		.amdhsa_float_denorm_mode_16_64 3
		.amdhsa_dx10_clamp 1
		.amdhsa_ieee_mode 1
		.amdhsa_fp16_overflow 0
		.amdhsa_tg_split 0
		.amdhsa_exception_fp_ieee_invalid_op 0
		.amdhsa_exception_fp_denorm_src 0
		.amdhsa_exception_fp_ieee_div_zero 0
		.amdhsa_exception_fp_ieee_overflow 0
		.amdhsa_exception_fp_ieee_underflow 0
		.amdhsa_exception_fp_ieee_inexact 0
		.amdhsa_exception_int_div_zero 0
	.end_amdhsa_kernel
	.section	.text._Z39paged_attention_ll4mi_QKV_mfma16_kernelIDF16_DF16_LN4vllm18Fp8KVCacheDataTypeE0EDF16_Li32ELi64ELi256ELb0ELi12EEvPKT_PKT0_S7_ifPKiS9_S9_iPKfiiiPfSC_PS2_PT2_iSB_SB_,"axG",@progbits,_Z39paged_attention_ll4mi_QKV_mfma16_kernelIDF16_DF16_LN4vllm18Fp8KVCacheDataTypeE0EDF16_Li32ELi64ELi256ELb0ELi12EEvPKT_PKT0_S7_ifPKiS9_S9_iPKfiiiPfSC_PS2_PT2_iSB_SB_,comdat
.Lfunc_end183:
	.size	_Z39paged_attention_ll4mi_QKV_mfma16_kernelIDF16_DF16_LN4vllm18Fp8KVCacheDataTypeE0EDF16_Li32ELi64ELi256ELb0ELi12EEvPKT_PKT0_S7_ifPKiS9_S9_iPKfiiiPfSC_PS2_PT2_iSB_SB_, .Lfunc_end183-_Z39paged_attention_ll4mi_QKV_mfma16_kernelIDF16_DF16_LN4vllm18Fp8KVCacheDataTypeE0EDF16_Li32ELi64ELi256ELb0ELi12EEvPKT_PKT0_S7_ifPKiS9_S9_iPKfiiiPfSC_PS2_PT2_iSB_SB_
                                        ; -- End function
	.section	.AMDGPU.csdata,"",@progbits
; Kernel info:
; codeLenInByte = 3912
; NumSgprs: 54
; NumVgprs: 67
; NumAgprs: 0
; TotalNumVgprs: 67
; ScratchSize: 0
; MemoryBound: 0
; FloatMode: 240
; IeeeMode: 1
; LDSByteSize: 8192 bytes/workgroup (compile time only)
; SGPRBlocks: 6
; VGPRBlocks: 8
; NumSGPRsForWavesPerEU: 54
; NumVGPRsForWavesPerEU: 67
; AccumOffset: 68
; Occupancy: 7
; WaveLimiterHint : 1
; COMPUTE_PGM_RSRC2:SCRATCH_EN: 0
; COMPUTE_PGM_RSRC2:USER_SGPR: 2
; COMPUTE_PGM_RSRC2:TRAP_HANDLER: 0
; COMPUTE_PGM_RSRC2:TGID_X_EN: 1
; COMPUTE_PGM_RSRC2:TGID_Y_EN: 1
; COMPUTE_PGM_RSRC2:TGID_Z_EN: 1
; COMPUTE_PGM_RSRC2:TIDIG_COMP_CNT: 0
; COMPUTE_PGM_RSRC3_GFX90A:ACCUM_OFFSET: 16
; COMPUTE_PGM_RSRC3_GFX90A:TG_SPLIT: 0
	.section	.text._Z39paged_attention_ll4mi_QKV_mfma16_kernelIDF16_DF16_LN4vllm18Fp8KVCacheDataTypeE0EDF16_Li32ELi64ELi256ELb0ELi13EEvPKT_PKT0_S7_ifPKiS9_S9_iPKfiiiPfSC_PS2_PT2_iSB_SB_,"axG",@progbits,_Z39paged_attention_ll4mi_QKV_mfma16_kernelIDF16_DF16_LN4vllm18Fp8KVCacheDataTypeE0EDF16_Li32ELi64ELi256ELb0ELi13EEvPKT_PKT0_S7_ifPKiS9_S9_iPKfiiiPfSC_PS2_PT2_iSB_SB_,comdat
	.protected	_Z39paged_attention_ll4mi_QKV_mfma16_kernelIDF16_DF16_LN4vllm18Fp8KVCacheDataTypeE0EDF16_Li32ELi64ELi256ELb0ELi13EEvPKT_PKT0_S7_ifPKiS9_S9_iPKfiiiPfSC_PS2_PT2_iSB_SB_ ; -- Begin function _Z39paged_attention_ll4mi_QKV_mfma16_kernelIDF16_DF16_LN4vllm18Fp8KVCacheDataTypeE0EDF16_Li32ELi64ELi256ELb0ELi13EEvPKT_PKT0_S7_ifPKiS9_S9_iPKfiiiPfSC_PS2_PT2_iSB_SB_
	.globl	_Z39paged_attention_ll4mi_QKV_mfma16_kernelIDF16_DF16_LN4vllm18Fp8KVCacheDataTypeE0EDF16_Li32ELi64ELi256ELb0ELi13EEvPKT_PKT0_S7_ifPKiS9_S9_iPKfiiiPfSC_PS2_PT2_iSB_SB_
	.p2align	8
	.type	_Z39paged_attention_ll4mi_QKV_mfma16_kernelIDF16_DF16_LN4vllm18Fp8KVCacheDataTypeE0EDF16_Li32ELi64ELi256ELb0ELi13EEvPKT_PKT0_S7_ifPKiS9_S9_iPKfiiiPfSC_PS2_PT2_iSB_SB_,@function
_Z39paged_attention_ll4mi_QKV_mfma16_kernelIDF16_DF16_LN4vllm18Fp8KVCacheDataTypeE0EDF16_Li32ELi64ELi256ELb0ELi13EEvPKT_PKT0_S7_ifPKiS9_S9_iPKfiiiPfSC_PS2_PT2_iSB_SB_: ; @_Z39paged_attention_ll4mi_QKV_mfma16_kernelIDF16_DF16_LN4vllm18Fp8KVCacheDataTypeE0EDF16_Li32ELi64ELi256ELb0ELi13EEvPKT_PKT0_S7_ifPKiS9_S9_iPKfiiiPfSC_PS2_PT2_iSB_SB_
; %bb.0:
	s_load_dwordx2 s[6:7], s[0:1], 0x30
	s_mov_b32 s28, s3
	s_mov_b64 s[10:11], 0
	s_waitcnt lgkmcnt(0)
	s_cmp_lg_u64 s[6:7], 0
	s_cselect_b64 s[8:9], -1, 0
	s_and_b64 vcc, exec, s[8:9]
	s_cbranch_vccz .LBB184_7
; %bb.1:
	s_add_i32 s12, s2, 1
	s_mov_b32 s13, 0
	s_lshl_b64 s[14:15], s[12:13], 2
	s_add_u32 s14, s6, s14
	s_mov_b32 s3, s13
	s_addc_u32 s15, s7, s15
	s_lshl_b64 s[12:13], s[2:3], 2
	s_add_u32 s12, s6, s12
	s_addc_u32 s13, s7, s13
	s_load_dword s5, s[14:15], 0x0
	s_load_dword s16, s[12:13], 0x0
	s_waitcnt lgkmcnt(0)
	s_sub_i32 s5, s5, s16
	s_cmp_eq_u32 s5, 1
	s_cselect_b64 s[12:13], -1, 0
	s_andn2_b64 vcc, exec, s[10:11]
	s_cbranch_vccnz .LBB184_3
.LBB184_2:
	s_mov_b32 s3, 0
	s_mov_b64 s[12:13], -1
.LBB184_3:
	s_andn2_b64 vcc, exec, s[12:13]
	s_cbranch_vccnz .LBB184_20
; %bb.4:
	s_load_dwordx2 s[12:13], s[0:1], 0x28
	s_lshl_b64 s[10:11], s[2:3], 2
	s_waitcnt lgkmcnt(0)
	s_add_u32 s12, s12, s10
	s_addc_u32 s13, s13, s11
	s_load_dword s33, s[12:13], 0x0
	s_lshl_b32 s14, s28, 8
	s_waitcnt lgkmcnt(0)
	s_cmp_ge_i32 s14, s33
	s_cbranch_scc1 .LBB184_20
; %bb.5:
	s_load_dwordx2 s[12:13], s[0:1], 0x20
	s_load_dword s5, s[0:1], 0x38
	s_add_i32 s15, s33, 31
	s_ashr_i32 s16, s15, 31
	v_and_b32_e32 v1, 0xcf, v0
	s_lshr_b32 s16, s16, 27
	v_add_u32_e32 v1, s14, v1
	s_add_i32 s15, s15, s16
	v_ashrrev_i32_e32 v2, 31, v1
	s_ashr_i32 s15, s15, 5
	v_lshrrev_b32_e32 v10, 27, v2
	s_add_i32 s15, s15, -1
	s_waitcnt lgkmcnt(0)
	s_mul_i32 s16, s2, s5
	s_mov_b32 s17, 0
	v_add_u32_e32 v2, v1, v10
	s_lshl_b64 s[16:17], s[16:17], 2
	v_ashrrev_i32_e32 v2, 5, v2
	v_mov_b32_e32 v11, s15
	v_cmp_gt_i32_e32 vcc, s33, v1
	s_add_u32 s12, s12, s16
	s_addc_u32 s13, s13, s17
	v_cndmask_b32_e32 v2, v11, v2, vcc
	v_ashrrev_i32_e32 v3, 31, v2
	v_lshl_add_u64 v[4:5], v[2:3], 2, s[12:13]
	v_or_b32_e32 v2, 16, v1
	v_add_u32_e32 v3, v2, v10
	v_ashrrev_i32_e32 v3, 5, v3
	v_cmp_gt_i32_e32 vcc, s33, v2
	s_nop 1
	v_cndmask_b32_e32 v2, v11, v3, vcc
	v_ashrrev_i32_e32 v3, 31, v2
	v_lshl_add_u64 v[6:7], v[2:3], 2, s[12:13]
	v_or_b32_e32 v2, 32, v1
	v_add_u32_e32 v3, v2, v10
	v_ashrrev_i32_e32 v3, 5, v3
	v_cmp_gt_i32_e32 vcc, s33, v2
	v_or_b32_e32 v1, 48, v1
	s_nop 0
	v_cndmask_b32_e32 v2, v11, v3, vcc
	v_ashrrev_i32_e32 v3, 31, v2
	v_lshl_add_u64 v[8:9], v[2:3], 2, s[12:13]
	v_add_u32_e32 v2, v1, v10
	v_ashrrev_i32_e32 v2, 5, v2
	v_cmp_gt_i32_e32 vcc, s33, v1
	s_nop 1
	v_cndmask_b32_e32 v2, v11, v2, vcc
	v_ashrrev_i32_e32 v3, 31, v2
	v_lshl_add_u64 v[12:13], v[2:3], 2, s[12:13]
	global_load_dword v3, v[4:5], off
	global_load_dword v2, v[6:7], off
	;; [unrolled: 1-line block ×4, first 2 shown]
	s_andn2_b64 vcc, exec, s[8:9]
	s_cbranch_vccnz .LBB184_8
; %bb.6:
	s_add_u32 s6, s6, s10
	s_addc_u32 s7, s7, s11
	s_load_dword s5, s[6:7], 0x0
	s_branch .LBB184_9
.LBB184_7:
	s_mov_b64 s[12:13], 0
	s_branch .LBB184_2
.LBB184_8:
	s_mov_b32 s5, s2
.LBB184_9:
	s_load_dwordx4 s[8:11], s[0:1], 0x8
	s_load_dwordx4 s[44:47], s[0:1], 0x48
	v_lshrrev_b32_e32 v1, 6, v0
	v_bfe_u32 v54, v0, 4, 2
	v_lshl_or_b32 v4, v1, 2, v54
	v_and_b32_e32 v36, 15, v0
	v_cmp_lt_u32_e32 vcc, 12, v4
	v_cmp_lt_u32_e64 s[6:7], 7, v36
	v_lshlrev_b32_e32 v34, 3, v36
	v_cmp_gt_u32_e64 s[30:31], 8, v36
	s_or_b64 s[6:7], s[6:7], vcc
	s_and_saveexec_b64 s[16:17], s[6:7]
	s_xor_b64 s[6:7], exec, s[16:17]
; %bb.10:
	v_mov_b32_e32 v35, 0
                                        ; implicit-def: $vgpr4
; %bb.11:
	s_or_saveexec_b64 s[6:7], s[6:7]
	v_and_b32_e32 v37, 63, v0
	s_mul_i32 s42, s4, 13
	s_xor_b64 exec, exec, s[6:7]
	s_cbranch_execz .LBB184_13
; %bb.12:
	s_load_dwordx2 s[16:17], s[0:1], 0x0
	s_waitcnt lgkmcnt(0)
	s_ashr_i32 s18, s44, 31
	s_mul_hi_u32 s19, s5, s44
	s_mul_i32 s18, s5, s18
	s_add_i32 s19, s19, s18
	s_mul_i32 s18, s5, s44
	s_lshl_b64 s[18:19], s[18:19], 1
	s_add_u32 s16, s16, s18
	v_add_lshl_u32 v6, v4, s42, 6
	s_addc_u32 s17, s17, s19
	v_ashrrev_i32_e32 v7, 31, v6
	v_mov_b32_e32 v35, 0
	v_lshl_add_u64 v[6:7], v[6:7], 1, s[16:17]
	v_lshlrev_b32_e32 v8, 1, v34
	v_mov_b32_e32 v9, v35
	v_lshl_add_u64 v[6:7], v[6:7], 0, v[8:9]
	global_load_dwordx4 v[6:9], v[6:7], off
	v_and_b32_e32 v5, 3, v0
	v_lshlrev_b32_e32 v11, 9, v36
	v_lshlrev_b32_e32 v4, 5, v4
	;; [unrolled: 1-line block ×3, first 2 shown]
	v_and_b32_e32 v11, 0x1800, v11
	v_or3_b32 v4, v11, v5, v4
	s_waitcnt vmcnt(0)
	ds_write_b128 v4, v[6:9]
.LBB184_13:
	s_or_b64 exec, exec, s[6:7]
	s_waitcnt lgkmcnt(0)
	s_mul_i32 s4, s4, s46
	s_mov_b32 s5, 0
	s_lshl_b64 s[4:5], s[4:5], 1
	s_add_u32 s8, s8, s4
	s_addc_u32 s9, s9, s5
	s_waitcnt vmcnt(3)
	v_mad_i64_i32 v[4:5], s[16:17], v3, s45, 0
	v_lshl_add_u64 v[4:5], v[4:5], 1, s[8:9]
	v_lshlrev_b64 v[12:13], 1, v[34:35]
	v_lshlrev_b32_e32 v38, 9, v54
	v_lshl_add_u64 v[4:5], v[4:5], 0, v[12:13]
	v_mov_b32_e32 v39, 0
	v_lshl_add_u64 v[14:15], v[4:5], 0, v[38:39]
	s_waitcnt vmcnt(2)
	v_mad_i64_i32 v[2:3], s[16:17], v2, s45, 0
	v_mov_b32_e32 v4, 0x100
	v_lshl_add_u64 v[2:3], v[2:3], 1, s[8:9]
	v_lshl_or_b32 v40, v36, 4, v4
	v_mov_b32_e32 v41, v39
	s_load_dword s29, s[0:1], 0x98
	s_load_dword s6, s[0:1], 0x1c
	s_waitcnt lgkmcnt(0)
	s_barrier
	v_lshl_add_u64 v[2:3], v[2:3], 0, v[40:41]
	global_load_dwordx4 v[6:9], v[14:15], off
	global_load_dwordx4 v[22:25], v[14:15], off offset:2048
	v_lshl_add_u64 v[18:19], v[2:3], 0, v[38:39]
	global_load_dwordx4 v[2:5], v[18:19], off
	global_load_dwordx4 v[26:29], v[18:19], off offset:2048
	s_waitcnt vmcnt(5)
	v_mad_i64_i32 v[10:11], s[16:17], v10, s45, 0
	v_lshl_add_u64 v[10:11], v[10:11], 1, s[8:9]
	v_lshl_add_u64 v[10:11], v[10:11], 0, v[12:13]
	;; [unrolled: 1-line block ×3, first 2 shown]
	global_load_dwordx4 v[10:13], v[20:21], off
	global_load_dwordx4 v[30:33], v[20:21], off offset:2048
	s_waitcnt vmcnt(6)
	v_mad_i64_i32 v[42:43], s[16:17], v16, s45, 0
	v_add_u32_e32 v17, -13, v36
	v_cmp_gt_u32_e32 vcc, 13, v36
	v_lshl_add_u64 v[42:43], v[42:43], 1, s[8:9]
	v_lshl_add_u64 v[40:41], v[42:43], 0, v[40:41]
	v_cndmask_b32_e32 v14, v17, v36, vcc
	v_lshl_add_u32 v14, v14, 5, v38
	v_lshl_add_u64 v[40:41], v[40:41], 0, v[38:39]
	ds_read_b128 v[18:21], v14
	ds_read_b128 v[14:17], v14 offset:2048
	global_load_dwordx4 v[46:49], v[40:41], off
	global_load_dwordx4 v[60:63], v[40:41], off offset:2048
	s_ashr_i32 s7, s14, 31
	v_and_or_b32 v55, v0, 48, s14
	s_lshr_b32 s7, s7, 27
	v_add_u32_e32 v42, s7, v55
	v_mov_b32_e32 v64, s15
	v_or_b32_e32 v50, 64, v55
	v_ashrrev_i32_e32 v38, 5, v42
	v_cmp_gt_i32_e32 vcc, s33, v55
	v_add_u32_e32 v43, s7, v50
	v_ashrrev_i32_e32 v51, 5, v43
	v_cndmask_b32_e32 v42, v64, v38, vcc
	v_ashrrev_i32_e32 v43, 31, v42
	v_lshl_add_u64 v[42:43], v[42:43], 2, s[12:13]
	v_cmp_gt_i32_e32 vcc, s33, v50
	global_load_dword v65, v[42:43], off
	v_or_b32_e32 v40, 0x80, v55
	v_or_b32_e32 v41, 0xc0, v55
	v_and_b32_e32 v38, 16, v0
	s_add_u32 s4, s10, s4
	s_addc_u32 s5, s11, s5
	v_lshlrev_b32_e32 v38, 1, v38
	s_mov_b32 s43, 0xff7fffff
	s_waitcnt vmcnt(8) lgkmcnt(1)
	v_mfma_f32_16x16x16_f16 v[42:45], v[6:7], v[18:19], 0
	v_cndmask_b32_e32 v6, v64, v51, vcc
	v_ashrrev_i32_e32 v7, 31, v6
	v_cmp_gt_i32_e32 vcc, s33, v40
	s_waitcnt vmcnt(6)
	v_mfma_f32_16x16x16_f16 v[50:53], v[2:3], v[18:19], 0
	v_lshl_add_u64 v[2:3], v[6:7], 2, s[12:13]
	global_load_dword v66, v[2:3], off
	v_mfma_f32_16x16x16_f16 v[6:9], v[8:9], v[20:21], v[42:45]
	v_mfma_f32_16x16x16_f16 v[2:5], v[4:5], v[20:21], v[50:53]
	s_nop 1
	v_add_u32_e32 v42, s7, v40
	v_add_u32_e32 v43, s7, v41
	v_ashrrev_i32_e32 v42, 5, v42
	s_waitcnt lgkmcnt(0)
	v_mfma_f32_16x16x16_f16 v[6:9], v[22:23], v[14:15], v[6:9]
	v_lshlrev_b32_e32 v45, 6, v36
	v_ashrrev_i32_e32 v43, 5, v43
	v_cndmask_b32_e32 v44, v64, v42, vcc
	s_waitcnt vmcnt(5)
	v_mfma_f32_16x16x16_f16 v[56:59], v[10:11], v[18:19], 0
	v_cmp_gt_i32_e32 vcc, s33, v41
	v_lshl_add_u64 v[50:51], s[4:5], 0, v[38:39]
	v_lshl_or_b32 v38, v1, 10, v45
	v_mfma_f32_16x16x16_f16 v[2:5], v[26:27], v[14:15], v[2:5]
	v_cndmask_b32_e32 v26, v64, v43, vcc
	v_ashrrev_i32_e32 v45, 31, v44
	v_ashrrev_i32_e32 v27, 31, v26
	v_mfma_f32_16x16x16_f16 v[22:25], v[24:25], v[16:17], v[6:9]
	s_nop 2
	v_lshl_add_u64 v[6:7], v[44:45], 2, s[12:13]
	v_mfma_f32_16x16x16_f16 v[10:13], v[12:13], v[20:21], v[56:59]
	v_lshl_add_u64 v[8:9], v[26:27], 2, s[12:13]
	global_load_dword v55, v[6:7], off
	s_nop 0
	global_load_dword v58, v[8:9], off
	s_waitcnt vmcnt(6)
	v_mfma_f32_16x16x16_f16 v[40:43], v[30:31], v[14:15], v[10:13]
	s_nop 2
	v_lshl_add_u64 v[10:11], v[50:51], 0, v[38:39]
	v_mfma_f32_16x16x16_f16 v[30:33], v[32:33], v[16:17], v[40:43]
	v_pk_mul_f32 v[50:51], s[6:7], v[24:25] op_sel_hi:[0,1]
	s_waitcnt vmcnt(2)
	v_mad_i64_i32 v[12:13], s[4:5], v66, s45, 0
	v_mfma_f32_16x16x16_f16 v[38:41], v[46:47], v[18:19], 0
	v_lshl_add_u64 v[56:57], v[12:13], 1, v[10:11]
	v_pk_mul_f32 v[12:13], s[6:7], v[22:23] op_sel_hi:[0,1]
	s_nop 0
	v_pk_mul_f32 v[46:47], s[6:7], v[32:33] op_sel_hi:[0,1]
	v_mfma_f32_16x16x16_f16 v[18:21], v[48:49], v[20:21], v[38:41]
	v_pk_mul_f32 v[48:49], s[6:7], v[30:31] op_sel_hi:[0,1]
	v_mfma_f32_16x16x16_f16 v[18:21], v[60:61], v[14:15], v[18:21]
	v_mfma_f32_16x16x16_f16 v[26:29], v[28:29], v[16:17], v[2:5]
	;; [unrolled: 1-line block ×3, first 2 shown]
	s_nop 1
	v_mad_i64_i32 v[2:3], s[4:5], v65, s45, 0
	s_nop 2
	v_pk_mul_f32 v[42:43], s[6:7], v[26:27] op_sel_hi:[0,1]
	v_pk_mul_f32 v[52:53], s[6:7], v[28:29] op_sel_hi:[0,1]
	v_lshl_add_u64 v[2:3], v[2:3], 1, v[10:11]
	v_pk_mul_f32 v[44:45], s[6:7], v[14:15] op_sel_hi:[0,1]
	v_and_b32_e32 v14, 0xc0, v0
	v_add_u32_e32 v14, s14, v14
	v_lshl_or_b32 v14, v54, 2, v14
	v_pk_mul_f32 v[38:39], s[6:7], v[16:17] op_sel_hi:[0,1]
	v_or_b32_e32 v17, 1, v14
	v_mov_b32_e32 v15, 0xff7fffff
	v_cmp_gt_i32_e64 s[4:5], s33, v14
	v_cmp_gt_i32_e64 s[34:35], s33, v17
	v_or_b32_e32 v18, 3, v14
	v_cndmask_b32_e64 v16, v15, v12, s[4:5]
	v_cndmask_b32_e64 v17, v15, v13, s[34:35]
	v_max3_f32 v16, v16, s43, v17
	v_or_b32_e32 v17, 2, v14
	v_cmp_gt_i32_e64 s[36:37], s33, v17
	v_cmp_gt_i32_e64 s[38:39], s33, v18
	global_load_dwordx4 v[6:9], v[2:3], off
	s_nop 0
	global_load_dwordx4 v[2:5], v[2:3], off offset:16
	v_cndmask_b32_e64 v17, v15, v50, s[36:37]
	v_cndmask_b32_e64 v18, v15, v51, s[38:39]
	v_max3_f32 v16, v16, v17, v18
	v_or_b32_e32 v17, 16, v14
	v_or_b32_e32 v18, 17, v14
	v_cmp_gt_i32_e64 s[24:25], s33, v17
	v_cmp_gt_i32_e64 s[26:27], s33, v18
	global_load_dwordx4 v[30:33], v[56:57], off
	global_load_dwordx4 v[26:29], v[56:57], off offset:16
	v_cndmask_b32_e64 v17, v15, v42, s[24:25]
	v_cndmask_b32_e64 v18, v15, v43, s[26:27]
	v_max3_f32 v16, v16, v17, v18
	v_or_b32_e32 v17, 18, v14
	v_or_b32_e32 v18, 19, v14
	v_cmp_gt_i32_e64 s[20:21], s33, v17
	v_cmp_gt_i32_e64 s[22:23], s33, v18
	s_nop 0
	v_cndmask_b32_e64 v17, v15, v52, s[20:21]
	v_cndmask_b32_e64 v18, v15, v53, s[22:23]
	v_max3_f32 v16, v16, v17, v18
	v_or_b32_e32 v17, 32, v14
	v_or_b32_e32 v18, 33, v14
	v_cmp_gt_i32_e64 s[16:17], s33, v17
	v_cmp_gt_i32_e64 s[18:19], s33, v18
	s_nop 0
	;; [unrolled: 8-line block ×4, first 2 shown]
	v_cndmask_b32_e64 v17, v15, v44, s[8:9]
	v_cndmask_b32_e64 v18, v15, v45, s[10:11]
	v_max3_f32 v16, v16, v17, v18
	v_or_b32_e32 v17, 50, v14
	v_or_b32_e32 v14, 51, v14
	v_cmp_gt_i32_e32 vcc, s33, v17
	v_cmp_gt_i32_e64 s[6:7], s33, v14
	s_nop 0
	v_cndmask_b32_e32 v17, v15, v38, vcc
	v_cndmask_b32_e64 v14, v15, v39, s[6:7]
	v_max3_f32 v16, v16, v17, v14
	v_mbcnt_lo_u32_b32 v14, -1, 0
	v_mbcnt_hi_u32_b32 v17, -1, v14
	v_and_b32_e32 v14, 64, v17
	v_add_u32_e32 v18, 64, v14
	v_xor_b32_e32 v14, 32, v17
	v_cmp_lt_i32_e64 s[40:41], v14, v18
	s_nop 1
	v_cndmask_b32_e64 v14, v17, v14, s[40:41]
	v_lshlrev_b32_e32 v59, 2, v14
	ds_bpermute_b32 v19, v59, v16
	s_waitcnt vmcnt(5)
	v_mad_i64_i32 v[14:15], s[40:41], v55, s45, 0
	v_lshl_add_u64 v[14:15], v[14:15], 1, v[10:11]
	s_waitcnt lgkmcnt(0)
	v_max_f32_e32 v19, v19, v19
	v_max_f32_e32 v16, v16, v19
	v_xor_b32_e32 v19, 16, v17
	v_cmp_lt_i32_e64 s[40:41], v19, v18
	s_nop 1
	v_cndmask_b32_e64 v17, v17, v19, s[40:41]
	v_lshlrev_b32_e32 v57, 2, v17
	ds_bpermute_b32 v17, v57, v16
	global_load_dwordx4 v[22:25], v[14:15], off
	global_load_dwordx4 v[18:21], v[14:15], off offset:16
	s_waitcnt vmcnt(6)
	v_mad_i64_i32 v[14:15], s[40:41], v58, s45, 0
	v_lshl_add_u64 v[10:11], v[14:15], 1, v[10:11]
	s_waitcnt lgkmcnt(0)
	v_max_f32_e32 v14, v17, v17
	v_max_f32_e32 v55, v16, v14
	v_sub_f32_e32 v12, v12, v55
	v_mul_f32_e32 v12, 0x3fb8aa3b, v12
	v_exp_f32_e32 v40, v12
	v_sub_f32_e32 v12, v13, v55
	v_mul_f32_e32 v12, 0x3fb8aa3b, v12
	v_exp_f32_e32 v41, v12
	global_load_dwordx4 v[14:17], v[10:11], off
	s_nop 0
	global_load_dwordx4 v[10:13], v[10:11], off offset:16
	v_sub_f32_e32 v50, v50, v55
	v_mul_f32_e32 v50, 0x3fb8aa3b, v50
	v_sub_f32_e32 v51, v51, v55
	v_exp_f32_e32 v50, v50
	v_mul_f32_e32 v51, 0x3fb8aa3b, v51
	v_sub_f32_e32 v42, v42, v55
	v_exp_f32_e32 v51, v51
	v_mul_f32_e32 v42, 0x3fb8aa3b, v42
	v_sub_f32_e32 v43, v43, v55
	v_cndmask_b32_e64 v40, 0, v40, s[4:5]
	v_exp_f32_e32 v42, v42
	v_mul_f32_e32 v43, 0x3fb8aa3b, v43
	v_sub_f32_e32 v52, v52, v55
	v_add_f32_e32 v56, 0, v40
	v_cndmask_b32_e64 v41, 0, v41, s[34:35]
	v_exp_f32_e32 v43, v43
	v_mul_f32_e32 v52, 0x3fb8aa3b, v52
	v_sub_f32_e32 v53, v53, v55
	v_add_f32_e32 v56, v56, v41
	;; [unrolled: 5-line block ×10, first 2 shown]
	v_cndmask_b32_e64 v46, 0, v46, s[12:13]
	v_exp_f32_e32 v38, v38
	v_mul_f32_e32 v39, 0x3fb8aa3b, v39
	v_add_f32_e32 v56, v56, v46
	v_cndmask_b32_e64 v47, 0, v47, s[14:15]
	v_exp_f32_e32 v39, v39
	v_add_f32_e32 v56, v56, v47
	v_cndmask_b32_e64 v44, 0, v44, s[8:9]
	v_add_f32_e32 v56, v56, v44
	v_cndmask_b32_e64 v45, 0, v45, s[10:11]
	v_add_f32_e32 v56, v56, v45
	v_cndmask_b32_e32 v38, 0, v38, vcc
	v_add_f32_e32 v56, v56, v38
	v_cndmask_b32_e64 v39, 0, v39, s[6:7]
	v_add_f32_e32 v56, v56, v39
	ds_bpermute_b32 v58, v59, v56
	v_cmp_gt_u32_e64 s[6:7], 16, v37
	v_lshlrev_b32_e32 v37, 2, v36
	s_waitcnt lgkmcnt(0)
	s_barrier
	v_add_f32_e32 v56, v56, v58
	ds_bpermute_b32 v57, v57, v56
	s_waitcnt lgkmcnt(0)
	s_and_saveexec_b64 s[4:5], s[6:7]
	s_cbranch_execz .LBB184_15
; %bb.14:
	v_add_f32_e32 v56, v56, v57
	v_lshl_or_b32 v57, v1, 6, v37
	ds_write2st64_b32 v57, v55, v56 offset1:1
.LBB184_15:
	s_or_b64 exec, exec, s[4:5]
	s_load_dword s8, s[0:1], 0x94
	s_waitcnt lgkmcnt(0)
	s_barrier
	ds_read2_b32 v[56:57], v37 offset1:16
	ds_read2_b32 v[58:59], v37 offset0:32 offset1:48
	ds_read2_b32 v[60:61], v37 offset0:64 offset1:80
	ds_read2_b32 v[62:63], v37 offset0:96 offset1:112
	s_waitcnt lgkmcnt(0)
	v_max3_f32 v55, v56, s43, v57
	v_max3_f32 v55, v55, v58, v59
	v_sub_f32_e32 v56, v56, v55
	v_mul_f32_e32 v56, 0x3fb8aa3b, v56
	v_exp_f32_e32 v64, v56
	v_sub_f32_e32 v56, v57, v55
	v_mul_f32_e32 v56, 0x3fb8aa3b, v56
	v_exp_f32_e32 v57, v56
	v_sub_f32_e32 v56, v58, v55
	v_mul_f32_e32 v56, 0x3fb8aa3b, v56
	v_sub_f32_e32 v37, v59, v55
	v_exp_f32_e32 v58, v56
	v_mul_f32_e32 v37, 0x3fb8aa3b, v37
	v_exp_f32_e32 v37, v37
	v_fma_f32 v56, v64, v60, 0
	v_fmac_f32_e32 v56, v57, v61
	v_fmac_f32_e32 v56, v58, v62
	;; [unrolled: 1-line block ×3, first 2 shown]
	v_add_f32_e32 v59, 0x358637bd, v56
	v_div_scale_f32 v60, s[4:5], v59, v59, 1.0
	v_rcp_f32_e32 v61, v60
	s_barrier
	s_mul_i32 s9, s29, 13
	v_fma_f32 v62, -v60, v61, 1.0
	v_fmac_f32_e32 v61, v62, v61
	v_div_scale_f32 v62, vcc, 1.0, v59, 1.0
	v_mul_f32_e32 v63, v62, v61
	v_fma_f32 v65, -v60, v63, v62
	v_fmac_f32_e32 v63, v65, v61
	v_fma_f32 v60, -v60, v63, v62
	v_div_fmas_f32 v60, v60, v61, v63
	v_cmp_eq_u32_e32 vcc, 1, v1
	v_div_fixup_f32 v59, v60, v59, 1.0
	s_nop 0
	v_cndmask_b32_e32 v57, v64, v57, vcc
	v_cmp_eq_u32_e32 vcc, 2, v1
	s_nop 1
	v_cndmask_b32_e32 v57, v57, v58, vcc
	v_cmp_eq_u32_e32 vcc, 3, v1
	v_lshlrev_b32_e32 v1, 11, v1
	s_nop 0
	v_cndmask_b32_e32 v37, v57, v37, vcc
	v_mul_f32_e32 v58, v37, v59
	v_pk_mul_f32 v[50:51], v[58:59], v[50:51] op_sel_hi:[0,1]
	v_pk_mul_f32 v[40:41], v[58:59], v[40:41] op_sel_hi:[0,1]
	v_cvt_f16_f32_e32 v37, v40
	v_cvt_f16_f32_e32 v40, v41
	v_cvt_f16_f32_e32 v41, v50
	v_cvt_f16_f32_e32 v51, v51
	v_pk_mul_f32 v[52:53], v[58:59], v[52:53] op_sel_hi:[0,1]
	v_pk_mul_f32 v[42:43], v[58:59], v[42:43] op_sel_hi:[0,1]
	v_pack_b32_f16 v50, v37, v40
	v_pack_b32_f16 v51, v41, v51
	v_cvt_f16_f32_e32 v41, v42
	v_cvt_f16_f32_e32 v42, v43
	;; [unrolled: 1-line block ×4, first 2 shown]
	v_lshlrev_b32_e32 v37, 3, v54
	v_lshlrev_b32_e32 v40, 5, v36
	v_or3_b32 v1, v1, v40, v37
	v_pack_b32_f16 v42, v41, v42
	v_pack_b32_f16 v43, v43, v52
	ds_write2st64_b64 v1, v[50:51], v[42:43] offset1:1
	v_pk_mul_f32 v[42:43], v[58:59], v[46:47] op_sel_hi:[0,1]
	v_pk_mul_f32 v[46:47], v[58:59], v[48:49] op_sel_hi:[0,1]
	v_cvt_f16_f32_e32 v37, v46
	v_cvt_f16_f32_e32 v41, v47
	;; [unrolled: 1-line block ×4, first 2 shown]
	v_pk_mul_f32 v[38:39], v[58:59], v[38:39] op_sel_hi:[0,1]
	v_pk_mul_f32 v[42:43], v[58:59], v[44:45] op_sel_hi:[0,1]
	v_cvt_f16_f32_e32 v42, v42
	v_cvt_f16_f32_e32 v43, v43
	;; [unrolled: 1-line block ×4, first 2 shown]
	v_pack_b32_f16 v38, v37, v41
	v_pack_b32_f16 v39, v46, v47
	;; [unrolled: 1-line block ×4, first 2 shown]
	v_cmp_gt_u32_e32 vcc, 13, v0
	ds_write2st64_b64 v1, v[38:39], v[42:43] offset0:2 offset1:3
	s_and_saveexec_b64 s[4:5], vcc
	s_cbranch_execz .LBB184_17
; %bb.16:
	s_mov_b32 s43, 0
	v_mov_b32_e32 v37, 0
	v_lshl_add_u64 v[38:39], s[42:43], 0, v[36:37]
	v_mov_b32_e32 v36, s9
	v_mad_u64_u32 v[38:39], s[10:11], s2, v36, v[38:39]
	v_mov_b32_e32 v36, s28
	s_load_dwordx4 s[12:15], s[0:1], 0x58
	s_mul_i32 s3, s3, s9
	v_mad_u64_u32 v[36:37], s[10:11], v38, s8, v[36:37]
	v_add_u32_e32 v39, s3, v39
	v_mov_b32_e32 v38, v37
	v_mad_u64_u32 v[38:39], s[10:11], v39, s8, v[38:39]
	v_mov_b32_e32 v37, v38
	v_lshlrev_b64 v[36:37], 2, v[36:37]
	s_waitcnt lgkmcnt(0)
	v_lshl_add_u64 v[38:39], s[14:15], 0, v[36:37]
	v_lshl_add_u64 v[36:37], s[12:13], 0, v[36:37]
	global_store_dword v[38:39], v55, off
	global_store_dword v[36:37], v56, off
.LBB184_17:
	s_or_b64 exec, exec, s[4:5]
	v_lshl_or_b32 v48, v54, 9, v40
	s_waitcnt lgkmcnt(0)
	s_barrier
	ds_read_b128 v[36:39], v48
	ds_read_b128 v[40:43], v48 offset:16
	s_waitcnt vmcnt(7) lgkmcnt(1)
	v_mfma_f32_16x16x16_f16 v[44:47], v[6:7], v[36:37], 0
	v_cmp_gt_u32_e32 vcc, 64, v0
	s_mov_b32 s3, 0
	s_and_b64 s[4:5], vcc, s[30:31]
	v_mfma_f32_16x16x16_f16 v[6:9], v[8:9], v[38:39], v[44:47]
	s_waitcnt vmcnt(6) lgkmcnt(0)
	v_mfma_f32_16x16x16_f16 v[6:9], v[2:3], v[40:41], v[6:9]
	v_mfma_f32_16x16x16_f16 v[2:5], v[4:5], v[42:43], v[6:9]
	s_nop 5
	ds_read_b128 v[6:9], v48 offset:2048
	ds_read_b128 v[36:39], v48 offset:2064
	s_waitcnt vmcnt(5) lgkmcnt(1)
	v_mfma_f32_16x16x16_f16 v[2:5], v[30:31], v[6:7], v[2:5]
	v_mfma_f32_16x16x16_f16 v[2:5], v[32:33], v[8:9], v[2:5]
	s_waitcnt vmcnt(4) lgkmcnt(0)
	v_mfma_f32_16x16x16_f16 v[2:5], v[26:27], v[36:37], v[2:5]
	v_mfma_f32_16x16x16_f16 v[2:5], v[28:29], v[38:39], v[2:5]
	ds_read_b128 v[6:9], v48 offset:4096
	ds_read_b128 v[26:29], v48 offset:4112
	s_waitcnt vmcnt(3) lgkmcnt(1)
	v_mfma_f32_16x16x16_f16 v[2:5], v[22:23], v[6:7], v[2:5]
	v_mfma_f32_16x16x16_f16 v[2:5], v[24:25], v[8:9], v[2:5]
	s_waitcnt vmcnt(2) lgkmcnt(0)
	v_mfma_f32_16x16x16_f16 v[2:5], v[18:19], v[26:27], v[2:5]
	v_mfma_f32_16x16x16_f16 v[2:5], v[20:21], v[28:29], v[2:5]
	ds_read_b128 v[6:9], v48 offset:6144
	ds_read_b128 v[18:21], v48 offset:6160
	s_waitcnt lgkmcnt(0)
	s_barrier
	s_waitcnt vmcnt(1)
	v_mfma_f32_16x16x16_f16 v[2:5], v[14:15], v[6:7], v[2:5]
	v_mfma_f32_16x16x16_f16 v[2:5], v[16:17], v[8:9], v[2:5]
	s_waitcnt vmcnt(0)
	v_mfma_f32_16x16x16_f16 v[2:5], v[10:11], v[18:19], v[2:5]
	v_mfma_f32_16x16x16_f16 v[2:5], v[12:13], v[20:21], v[2:5]
	s_nop 6
	v_cvt_f16_f32_e32 v2, v2
	v_cvt_f16_f32_e32 v3, v3
	v_cvt_f16_f32_e32 v4, v4
	v_cvt_f16_f32_e32 v5, v5
	v_pack_b32_f16 v2, v2, v3
	v_pack_b32_f16 v3, v4, v5
	ds_write_b64 v1, v[2:3]
	s_waitcnt lgkmcnt(0)
	s_barrier
	s_and_saveexec_b64 s[10:11], s[4:5]
	s_cbranch_execz .LBB184_20
; %bb.18:
	s_load_dwordx2 s[4:5], s[0:1], 0x68
	s_lshl_b32 s0, s8, 6
	s_mul_i32 s1, s9, s2
	s_mul_hi_u32 s9, s1, s0
	s_mul_i32 s8, s1, s0
	v_lshlrev_b32_e32 v1, 10, v0
	v_lshlrev_b32_e32 v0, 4, v0
	s_lshl_b64 s[8:9], s[8:9], 1
	v_and_b32_e32 v1, 0x1800, v1
	v_lshlrev_b32_e32 v2, 5, v54
	v_and_b32_e32 v0, 16, v0
	s_waitcnt lgkmcnt(0)
	s_add_u32 s1, s4, s8
	v_or3_b32 v2, v1, v2, v0
	s_addc_u32 s4, s5, s9
	s_lshl_b32 s2, s28, 6
	ds_read_b128 v[4:7], v2 offset:256
	s_lshl_b64 s[2:3], s[2:3], 1
	ds_read_b128 v[8:11], v2 offset:128
	ds_read_b128 v[12:15], v2
	s_add_u32 s2, s1, s2
	s_addc_u32 s3, s4, s3
	v_add_u32_e32 v3, s42, v54
	v_lshl_add_u64 v[0:1], v[34:35], 1, s[2:3]
	v_mad_u64_u32 v[16:17], s[2:3], v3, s0, 0
	v_lshl_add_u64 v[16:17], v[16:17], 1, v[0:1]
	s_waitcnt lgkmcnt(0)
	global_store_dwordx4 v[16:17], v[12:15], off
	s_nop 1
	v_add_u32_e32 v12, 4, v3
	v_mad_u64_u32 v[12:13], s[2:3], v12, s0, 0
	v_lshl_add_u64 v[12:13], v[12:13], 1, v[0:1]
	v_add_u32_e32 v3, 8, v3
	global_store_dwordx4 v[12:13], v[8:11], off
	s_nop 1
	v_mad_u64_u32 v[8:9], s[2:3], v3, s0, 0
	v_lshl_add_u64 v[8:9], v[8:9], 1, v[0:1]
	global_store_dwordx4 v[8:9], v[4:7], off
	s_and_b64 exec, exec, s[6:7]
	s_cbranch_execz .LBB184_20
; %bb.19:
	ds_read_b128 v[2:5], v2 offset:384
	v_add3_u32 v6, s42, v54, 12
	v_mad_u64_u32 v[6:7], s[0:1], v6, s0, 0
	v_lshl_add_u64 v[0:1], v[6:7], 1, v[0:1]
	s_waitcnt lgkmcnt(0)
	global_store_dwordx4 v[0:1], v[2:5], off
.LBB184_20:
	s_endpgm
	.section	.rodata,"a",@progbits
	.p2align	6, 0x0
	.amdhsa_kernel _Z39paged_attention_ll4mi_QKV_mfma16_kernelIDF16_DF16_LN4vllm18Fp8KVCacheDataTypeE0EDF16_Li32ELi64ELi256ELb0ELi13EEvPKT_PKT0_S7_ifPKiS9_S9_iPKfiiiPfSC_PS2_PT2_iSB_SB_
		.amdhsa_group_segment_fixed_size 8192
		.amdhsa_private_segment_fixed_size 0
		.amdhsa_kernarg_size 400
		.amdhsa_user_sgpr_count 2
		.amdhsa_user_sgpr_dispatch_ptr 0
		.amdhsa_user_sgpr_queue_ptr 0
		.amdhsa_user_sgpr_kernarg_segment_ptr 1
		.amdhsa_user_sgpr_dispatch_id 0
		.amdhsa_user_sgpr_kernarg_preload_length 0
		.amdhsa_user_sgpr_kernarg_preload_offset 0
		.amdhsa_user_sgpr_private_segment_size 0
		.amdhsa_uses_dynamic_stack 0
		.amdhsa_enable_private_segment 0
		.amdhsa_system_sgpr_workgroup_id_x 1
		.amdhsa_system_sgpr_workgroup_id_y 1
		.amdhsa_system_sgpr_workgroup_id_z 1
		.amdhsa_system_sgpr_workgroup_info 0
		.amdhsa_system_vgpr_workitem_id 0
		.amdhsa_next_free_vgpr 67
		.amdhsa_next_free_sgpr 48
		.amdhsa_accum_offset 68
		.amdhsa_reserve_vcc 1
		.amdhsa_float_round_mode_32 0
		.amdhsa_float_round_mode_16_64 0
		.amdhsa_float_denorm_mode_32 3
		.amdhsa_float_denorm_mode_16_64 3
		.amdhsa_dx10_clamp 1
		.amdhsa_ieee_mode 1
		.amdhsa_fp16_overflow 0
		.amdhsa_tg_split 0
		.amdhsa_exception_fp_ieee_invalid_op 0
		.amdhsa_exception_fp_denorm_src 0
		.amdhsa_exception_fp_ieee_div_zero 0
		.amdhsa_exception_fp_ieee_overflow 0
		.amdhsa_exception_fp_ieee_underflow 0
		.amdhsa_exception_fp_ieee_inexact 0
		.amdhsa_exception_int_div_zero 0
	.end_amdhsa_kernel
	.section	.text._Z39paged_attention_ll4mi_QKV_mfma16_kernelIDF16_DF16_LN4vllm18Fp8KVCacheDataTypeE0EDF16_Li32ELi64ELi256ELb0ELi13EEvPKT_PKT0_S7_ifPKiS9_S9_iPKfiiiPfSC_PS2_PT2_iSB_SB_,"axG",@progbits,_Z39paged_attention_ll4mi_QKV_mfma16_kernelIDF16_DF16_LN4vllm18Fp8KVCacheDataTypeE0EDF16_Li32ELi64ELi256ELb0ELi13EEvPKT_PKT0_S7_ifPKiS9_S9_iPKfiiiPfSC_PS2_PT2_iSB_SB_,comdat
.Lfunc_end184:
	.size	_Z39paged_attention_ll4mi_QKV_mfma16_kernelIDF16_DF16_LN4vllm18Fp8KVCacheDataTypeE0EDF16_Li32ELi64ELi256ELb0ELi13EEvPKT_PKT0_S7_ifPKiS9_S9_iPKfiiiPfSC_PS2_PT2_iSB_SB_, .Lfunc_end184-_Z39paged_attention_ll4mi_QKV_mfma16_kernelIDF16_DF16_LN4vllm18Fp8KVCacheDataTypeE0EDF16_Li32ELi64ELi256ELb0ELi13EEvPKT_PKT0_S7_ifPKiS9_S9_iPKfiiiPfSC_PS2_PT2_iSB_SB_
                                        ; -- End function
	.section	.AMDGPU.csdata,"",@progbits
; Kernel info:
; codeLenInByte = 3960
; NumSgprs: 54
; NumVgprs: 67
; NumAgprs: 0
; TotalNumVgprs: 67
; ScratchSize: 0
; MemoryBound: 0
; FloatMode: 240
; IeeeMode: 1
; LDSByteSize: 8192 bytes/workgroup (compile time only)
; SGPRBlocks: 6
; VGPRBlocks: 8
; NumSGPRsForWavesPerEU: 54
; NumVGPRsForWavesPerEU: 67
; AccumOffset: 68
; Occupancy: 7
; WaveLimiterHint : 1
; COMPUTE_PGM_RSRC2:SCRATCH_EN: 0
; COMPUTE_PGM_RSRC2:USER_SGPR: 2
; COMPUTE_PGM_RSRC2:TRAP_HANDLER: 0
; COMPUTE_PGM_RSRC2:TGID_X_EN: 1
; COMPUTE_PGM_RSRC2:TGID_Y_EN: 1
; COMPUTE_PGM_RSRC2:TGID_Z_EN: 1
; COMPUTE_PGM_RSRC2:TIDIG_COMP_CNT: 0
; COMPUTE_PGM_RSRC3_GFX90A:ACCUM_OFFSET: 16
; COMPUTE_PGM_RSRC3_GFX90A:TG_SPLIT: 0
	.section	.text._Z39paged_attention_ll4mi_QKV_mfma16_kernelIDF16_DF16_LN4vllm18Fp8KVCacheDataTypeE0EDF16_Li32ELi64ELi256ELb0ELi14EEvPKT_PKT0_S7_ifPKiS9_S9_iPKfiiiPfSC_PS2_PT2_iSB_SB_,"axG",@progbits,_Z39paged_attention_ll4mi_QKV_mfma16_kernelIDF16_DF16_LN4vllm18Fp8KVCacheDataTypeE0EDF16_Li32ELi64ELi256ELb0ELi14EEvPKT_PKT0_S7_ifPKiS9_S9_iPKfiiiPfSC_PS2_PT2_iSB_SB_,comdat
	.protected	_Z39paged_attention_ll4mi_QKV_mfma16_kernelIDF16_DF16_LN4vllm18Fp8KVCacheDataTypeE0EDF16_Li32ELi64ELi256ELb0ELi14EEvPKT_PKT0_S7_ifPKiS9_S9_iPKfiiiPfSC_PS2_PT2_iSB_SB_ ; -- Begin function _Z39paged_attention_ll4mi_QKV_mfma16_kernelIDF16_DF16_LN4vllm18Fp8KVCacheDataTypeE0EDF16_Li32ELi64ELi256ELb0ELi14EEvPKT_PKT0_S7_ifPKiS9_S9_iPKfiiiPfSC_PS2_PT2_iSB_SB_
	.globl	_Z39paged_attention_ll4mi_QKV_mfma16_kernelIDF16_DF16_LN4vllm18Fp8KVCacheDataTypeE0EDF16_Li32ELi64ELi256ELb0ELi14EEvPKT_PKT0_S7_ifPKiS9_S9_iPKfiiiPfSC_PS2_PT2_iSB_SB_
	.p2align	8
	.type	_Z39paged_attention_ll4mi_QKV_mfma16_kernelIDF16_DF16_LN4vllm18Fp8KVCacheDataTypeE0EDF16_Li32ELi64ELi256ELb0ELi14EEvPKT_PKT0_S7_ifPKiS9_S9_iPKfiiiPfSC_PS2_PT2_iSB_SB_,@function
_Z39paged_attention_ll4mi_QKV_mfma16_kernelIDF16_DF16_LN4vllm18Fp8KVCacheDataTypeE0EDF16_Li32ELi64ELi256ELb0ELi14EEvPKT_PKT0_S7_ifPKiS9_S9_iPKfiiiPfSC_PS2_PT2_iSB_SB_: ; @_Z39paged_attention_ll4mi_QKV_mfma16_kernelIDF16_DF16_LN4vllm18Fp8KVCacheDataTypeE0EDF16_Li32ELi64ELi256ELb0ELi14EEvPKT_PKT0_S7_ifPKiS9_S9_iPKfiiiPfSC_PS2_PT2_iSB_SB_
; %bb.0:
	s_load_dwordx2 s[6:7], s[0:1], 0x30
	s_mov_b32 s28, s3
	s_mov_b64 s[10:11], 0
	s_waitcnt lgkmcnt(0)
	s_cmp_lg_u64 s[6:7], 0
	s_cselect_b64 s[8:9], -1, 0
	s_and_b64 vcc, exec, s[8:9]
	s_cbranch_vccz .LBB185_7
; %bb.1:
	s_add_i32 s12, s2, 1
	s_mov_b32 s13, 0
	s_lshl_b64 s[14:15], s[12:13], 2
	s_add_u32 s14, s6, s14
	s_mov_b32 s3, s13
	s_addc_u32 s15, s7, s15
	s_lshl_b64 s[12:13], s[2:3], 2
	s_add_u32 s12, s6, s12
	s_addc_u32 s13, s7, s13
	s_load_dword s5, s[14:15], 0x0
	s_load_dword s16, s[12:13], 0x0
	s_waitcnt lgkmcnt(0)
	s_sub_i32 s5, s5, s16
	s_cmp_eq_u32 s5, 1
	s_cselect_b64 s[12:13], -1, 0
	s_andn2_b64 vcc, exec, s[10:11]
	s_cbranch_vccnz .LBB185_3
.LBB185_2:
	s_mov_b32 s3, 0
	s_mov_b64 s[12:13], -1
.LBB185_3:
	s_andn2_b64 vcc, exec, s[12:13]
	s_cbranch_vccnz .LBB185_20
; %bb.4:
	s_load_dwordx2 s[12:13], s[0:1], 0x28
	s_lshl_b64 s[10:11], s[2:3], 2
	s_waitcnt lgkmcnt(0)
	s_add_u32 s12, s12, s10
	s_addc_u32 s13, s13, s11
	s_load_dword s33, s[12:13], 0x0
	s_lshl_b32 s14, s28, 8
	s_waitcnt lgkmcnt(0)
	s_cmp_ge_i32 s14, s33
	s_cbranch_scc1 .LBB185_20
; %bb.5:
	s_load_dwordx2 s[12:13], s[0:1], 0x20
	s_load_dword s5, s[0:1], 0x38
	s_add_i32 s15, s33, 31
	s_ashr_i32 s16, s15, 31
	v_and_b32_e32 v1, 0xcf, v0
	s_lshr_b32 s16, s16, 27
	v_add_u32_e32 v1, s14, v1
	s_add_i32 s15, s15, s16
	v_ashrrev_i32_e32 v2, 31, v1
	s_ashr_i32 s15, s15, 5
	v_lshrrev_b32_e32 v10, 27, v2
	s_add_i32 s15, s15, -1
	s_waitcnt lgkmcnt(0)
	s_mul_i32 s16, s2, s5
	s_mov_b32 s17, 0
	v_add_u32_e32 v2, v1, v10
	s_lshl_b64 s[16:17], s[16:17], 2
	v_ashrrev_i32_e32 v2, 5, v2
	v_mov_b32_e32 v11, s15
	v_cmp_gt_i32_e32 vcc, s33, v1
	s_add_u32 s12, s12, s16
	s_addc_u32 s13, s13, s17
	v_cndmask_b32_e32 v2, v11, v2, vcc
	v_ashrrev_i32_e32 v3, 31, v2
	v_lshl_add_u64 v[4:5], v[2:3], 2, s[12:13]
	v_or_b32_e32 v2, 16, v1
	v_add_u32_e32 v3, v2, v10
	v_ashrrev_i32_e32 v3, 5, v3
	v_cmp_gt_i32_e32 vcc, s33, v2
	s_nop 1
	v_cndmask_b32_e32 v2, v11, v3, vcc
	v_ashrrev_i32_e32 v3, 31, v2
	v_lshl_add_u64 v[6:7], v[2:3], 2, s[12:13]
	v_or_b32_e32 v2, 32, v1
	v_add_u32_e32 v3, v2, v10
	v_ashrrev_i32_e32 v3, 5, v3
	v_cmp_gt_i32_e32 vcc, s33, v2
	v_or_b32_e32 v1, 48, v1
	s_nop 0
	v_cndmask_b32_e32 v2, v11, v3, vcc
	v_ashrrev_i32_e32 v3, 31, v2
	v_lshl_add_u64 v[8:9], v[2:3], 2, s[12:13]
	v_add_u32_e32 v2, v1, v10
	v_ashrrev_i32_e32 v2, 5, v2
	v_cmp_gt_i32_e32 vcc, s33, v1
	s_nop 1
	v_cndmask_b32_e32 v2, v11, v2, vcc
	v_ashrrev_i32_e32 v3, 31, v2
	v_lshl_add_u64 v[12:13], v[2:3], 2, s[12:13]
	global_load_dword v3, v[4:5], off
	global_load_dword v2, v[6:7], off
	;; [unrolled: 1-line block ×4, first 2 shown]
	s_andn2_b64 vcc, exec, s[8:9]
	s_cbranch_vccnz .LBB185_8
; %bb.6:
	s_add_u32 s6, s6, s10
	s_addc_u32 s7, s7, s11
	s_load_dword s5, s[6:7], 0x0
	s_branch .LBB185_9
.LBB185_7:
	s_mov_b64 s[12:13], 0
	s_branch .LBB185_2
.LBB185_8:
	s_mov_b32 s5, s2
.LBB185_9:
	s_load_dwordx4 s[8:11], s[0:1], 0x8
	s_load_dwordx4 s[44:47], s[0:1], 0x48
	v_lshrrev_b32_e32 v1, 6, v0
	v_bfe_u32 v54, v0, 4, 2
	v_lshl_or_b32 v4, v1, 2, v54
	v_and_b32_e32 v36, 15, v0
	v_cmp_lt_u32_e32 vcc, 13, v4
	v_cmp_lt_u32_e64 s[6:7], 7, v36
	v_lshlrev_b32_e32 v34, 3, v36
	v_cmp_gt_u32_e64 s[30:31], 8, v36
	s_or_b64 s[6:7], s[6:7], vcc
	s_and_saveexec_b64 s[16:17], s[6:7]
	s_xor_b64 s[6:7], exec, s[16:17]
; %bb.10:
	v_mov_b32_e32 v35, 0
                                        ; implicit-def: $vgpr4
; %bb.11:
	s_or_saveexec_b64 s[6:7], s[6:7]
	v_and_b32_e32 v37, 63, v0
	s_mul_i32 s42, s4, 14
	s_xor_b64 exec, exec, s[6:7]
	s_cbranch_execz .LBB185_13
; %bb.12:
	s_load_dwordx2 s[16:17], s[0:1], 0x0
	s_waitcnt lgkmcnt(0)
	s_ashr_i32 s18, s44, 31
	s_mul_hi_u32 s19, s5, s44
	s_mul_i32 s18, s5, s18
	s_add_i32 s19, s19, s18
	s_mul_i32 s18, s5, s44
	s_lshl_b64 s[18:19], s[18:19], 1
	s_add_u32 s16, s16, s18
	v_add_lshl_u32 v6, v4, s42, 6
	s_addc_u32 s17, s17, s19
	v_ashrrev_i32_e32 v7, 31, v6
	v_mov_b32_e32 v35, 0
	v_lshl_add_u64 v[6:7], v[6:7], 1, s[16:17]
	v_lshlrev_b32_e32 v8, 1, v34
	v_mov_b32_e32 v9, v35
	v_lshl_add_u64 v[6:7], v[6:7], 0, v[8:9]
	global_load_dwordx4 v[6:9], v[6:7], off
	v_and_b32_e32 v5, 3, v0
	v_lshlrev_b32_e32 v11, 9, v36
	v_lshlrev_b32_e32 v4, 5, v4
	;; [unrolled: 1-line block ×3, first 2 shown]
	v_and_b32_e32 v11, 0x1800, v11
	v_or3_b32 v4, v11, v5, v4
	s_waitcnt vmcnt(0)
	ds_write_b128 v4, v[6:9]
.LBB185_13:
	s_or_b64 exec, exec, s[6:7]
	s_waitcnt lgkmcnt(0)
	s_mul_i32 s4, s4, s46
	s_mov_b32 s5, 0
	s_lshl_b64 s[4:5], s[4:5], 1
	s_add_u32 s8, s8, s4
	s_addc_u32 s9, s9, s5
	s_waitcnt vmcnt(3)
	v_mad_i64_i32 v[4:5], s[16:17], v3, s45, 0
	v_lshl_add_u64 v[4:5], v[4:5], 1, s[8:9]
	v_lshlrev_b64 v[12:13], 1, v[34:35]
	v_lshlrev_b32_e32 v38, 9, v54
	v_lshl_add_u64 v[4:5], v[4:5], 0, v[12:13]
	v_mov_b32_e32 v39, 0
	v_lshl_add_u64 v[14:15], v[4:5], 0, v[38:39]
	s_waitcnt vmcnt(2)
	v_mad_i64_i32 v[2:3], s[16:17], v2, s45, 0
	v_mov_b32_e32 v4, 0x100
	v_lshl_add_u64 v[2:3], v[2:3], 1, s[8:9]
	v_lshl_or_b32 v40, v36, 4, v4
	v_mov_b32_e32 v41, v39
	s_load_dword s29, s[0:1], 0x98
	s_load_dword s6, s[0:1], 0x1c
	s_waitcnt lgkmcnt(0)
	s_barrier
	v_lshl_add_u64 v[2:3], v[2:3], 0, v[40:41]
	global_load_dwordx4 v[6:9], v[14:15], off
	global_load_dwordx4 v[22:25], v[14:15], off offset:2048
	v_lshl_add_u64 v[18:19], v[2:3], 0, v[38:39]
	global_load_dwordx4 v[2:5], v[18:19], off
	global_load_dwordx4 v[26:29], v[18:19], off offset:2048
	s_waitcnt vmcnt(5)
	v_mad_i64_i32 v[10:11], s[16:17], v10, s45, 0
	v_lshl_add_u64 v[10:11], v[10:11], 1, s[8:9]
	v_lshl_add_u64 v[10:11], v[10:11], 0, v[12:13]
	;; [unrolled: 1-line block ×3, first 2 shown]
	global_load_dwordx4 v[10:13], v[20:21], off
	global_load_dwordx4 v[30:33], v[20:21], off offset:2048
	s_waitcnt vmcnt(6)
	v_mad_i64_i32 v[42:43], s[16:17], v16, s45, 0
	v_add_u32_e32 v17, -14, v36
	v_cmp_gt_u32_e32 vcc, 14, v36
	v_lshl_add_u64 v[42:43], v[42:43], 1, s[8:9]
	v_lshl_add_u64 v[40:41], v[42:43], 0, v[40:41]
	v_cndmask_b32_e32 v14, v17, v36, vcc
	v_lshl_add_u32 v14, v14, 5, v38
	v_lshl_add_u64 v[40:41], v[40:41], 0, v[38:39]
	ds_read_b128 v[18:21], v14
	ds_read_b128 v[14:17], v14 offset:2048
	global_load_dwordx4 v[46:49], v[40:41], off
	global_load_dwordx4 v[60:63], v[40:41], off offset:2048
	s_ashr_i32 s7, s14, 31
	v_and_or_b32 v55, v0, 48, s14
	s_lshr_b32 s7, s7, 27
	v_add_u32_e32 v42, s7, v55
	v_mov_b32_e32 v64, s15
	v_or_b32_e32 v50, 64, v55
	v_ashrrev_i32_e32 v38, 5, v42
	v_cmp_gt_i32_e32 vcc, s33, v55
	v_add_u32_e32 v43, s7, v50
	v_ashrrev_i32_e32 v51, 5, v43
	v_cndmask_b32_e32 v42, v64, v38, vcc
	v_ashrrev_i32_e32 v43, 31, v42
	v_lshl_add_u64 v[42:43], v[42:43], 2, s[12:13]
	v_cmp_gt_i32_e32 vcc, s33, v50
	global_load_dword v65, v[42:43], off
	v_or_b32_e32 v40, 0x80, v55
	v_or_b32_e32 v41, 0xc0, v55
	v_and_b32_e32 v38, 16, v0
	s_add_u32 s4, s10, s4
	s_addc_u32 s5, s11, s5
	v_lshlrev_b32_e32 v38, 1, v38
	s_mov_b32 s43, 0xff7fffff
	s_waitcnt vmcnt(8) lgkmcnt(1)
	v_mfma_f32_16x16x16_f16 v[42:45], v[6:7], v[18:19], 0
	v_cndmask_b32_e32 v6, v64, v51, vcc
	v_ashrrev_i32_e32 v7, 31, v6
	v_cmp_gt_i32_e32 vcc, s33, v40
	s_waitcnt vmcnt(6)
	v_mfma_f32_16x16x16_f16 v[50:53], v[2:3], v[18:19], 0
	v_lshl_add_u64 v[2:3], v[6:7], 2, s[12:13]
	global_load_dword v66, v[2:3], off
	v_mfma_f32_16x16x16_f16 v[6:9], v[8:9], v[20:21], v[42:45]
	v_mfma_f32_16x16x16_f16 v[2:5], v[4:5], v[20:21], v[50:53]
	s_nop 1
	v_add_u32_e32 v42, s7, v40
	v_add_u32_e32 v43, s7, v41
	v_ashrrev_i32_e32 v42, 5, v42
	s_waitcnt lgkmcnt(0)
	v_mfma_f32_16x16x16_f16 v[6:9], v[22:23], v[14:15], v[6:9]
	v_lshlrev_b32_e32 v45, 6, v36
	v_ashrrev_i32_e32 v43, 5, v43
	v_cndmask_b32_e32 v44, v64, v42, vcc
	s_waitcnt vmcnt(5)
	v_mfma_f32_16x16x16_f16 v[56:59], v[10:11], v[18:19], 0
	v_cmp_gt_i32_e32 vcc, s33, v41
	v_lshl_add_u64 v[50:51], s[4:5], 0, v[38:39]
	v_lshl_or_b32 v38, v1, 10, v45
	v_mfma_f32_16x16x16_f16 v[2:5], v[26:27], v[14:15], v[2:5]
	v_cndmask_b32_e32 v26, v64, v43, vcc
	v_ashrrev_i32_e32 v45, 31, v44
	v_ashrrev_i32_e32 v27, 31, v26
	v_mfma_f32_16x16x16_f16 v[22:25], v[24:25], v[16:17], v[6:9]
	s_nop 2
	v_lshl_add_u64 v[6:7], v[44:45], 2, s[12:13]
	v_mfma_f32_16x16x16_f16 v[10:13], v[12:13], v[20:21], v[56:59]
	v_lshl_add_u64 v[8:9], v[26:27], 2, s[12:13]
	global_load_dword v55, v[6:7], off
	s_nop 0
	global_load_dword v58, v[8:9], off
	s_waitcnt vmcnt(6)
	v_mfma_f32_16x16x16_f16 v[40:43], v[30:31], v[14:15], v[10:13]
	s_nop 2
	v_lshl_add_u64 v[10:11], v[50:51], 0, v[38:39]
	v_mfma_f32_16x16x16_f16 v[30:33], v[32:33], v[16:17], v[40:43]
	v_pk_mul_f32 v[50:51], s[6:7], v[24:25] op_sel_hi:[0,1]
	s_waitcnt vmcnt(2)
	v_mad_i64_i32 v[12:13], s[4:5], v66, s45, 0
	v_mfma_f32_16x16x16_f16 v[38:41], v[46:47], v[18:19], 0
	v_lshl_add_u64 v[56:57], v[12:13], 1, v[10:11]
	v_pk_mul_f32 v[12:13], s[6:7], v[22:23] op_sel_hi:[0,1]
	s_nop 0
	v_pk_mul_f32 v[46:47], s[6:7], v[32:33] op_sel_hi:[0,1]
	v_mfma_f32_16x16x16_f16 v[18:21], v[48:49], v[20:21], v[38:41]
	v_pk_mul_f32 v[48:49], s[6:7], v[30:31] op_sel_hi:[0,1]
	v_mfma_f32_16x16x16_f16 v[18:21], v[60:61], v[14:15], v[18:21]
	v_mfma_f32_16x16x16_f16 v[26:29], v[28:29], v[16:17], v[2:5]
	;; [unrolled: 1-line block ×3, first 2 shown]
	s_nop 1
	v_mad_i64_i32 v[2:3], s[4:5], v65, s45, 0
	s_nop 2
	v_pk_mul_f32 v[42:43], s[6:7], v[26:27] op_sel_hi:[0,1]
	v_pk_mul_f32 v[52:53], s[6:7], v[28:29] op_sel_hi:[0,1]
	v_lshl_add_u64 v[2:3], v[2:3], 1, v[10:11]
	v_pk_mul_f32 v[44:45], s[6:7], v[14:15] op_sel_hi:[0,1]
	v_and_b32_e32 v14, 0xc0, v0
	v_add_u32_e32 v14, s14, v14
	v_lshl_or_b32 v14, v54, 2, v14
	v_pk_mul_f32 v[38:39], s[6:7], v[16:17] op_sel_hi:[0,1]
	v_or_b32_e32 v17, 1, v14
	v_mov_b32_e32 v15, 0xff7fffff
	v_cmp_gt_i32_e64 s[4:5], s33, v14
	v_cmp_gt_i32_e64 s[34:35], s33, v17
	v_or_b32_e32 v18, 3, v14
	v_cndmask_b32_e64 v16, v15, v12, s[4:5]
	v_cndmask_b32_e64 v17, v15, v13, s[34:35]
	v_max3_f32 v16, v16, s43, v17
	v_or_b32_e32 v17, 2, v14
	v_cmp_gt_i32_e64 s[36:37], s33, v17
	v_cmp_gt_i32_e64 s[38:39], s33, v18
	global_load_dwordx4 v[6:9], v[2:3], off
	s_nop 0
	global_load_dwordx4 v[2:5], v[2:3], off offset:16
	v_cndmask_b32_e64 v17, v15, v50, s[36:37]
	v_cndmask_b32_e64 v18, v15, v51, s[38:39]
	v_max3_f32 v16, v16, v17, v18
	v_or_b32_e32 v17, 16, v14
	v_or_b32_e32 v18, 17, v14
	v_cmp_gt_i32_e64 s[24:25], s33, v17
	v_cmp_gt_i32_e64 s[26:27], s33, v18
	global_load_dwordx4 v[30:33], v[56:57], off
	global_load_dwordx4 v[26:29], v[56:57], off offset:16
	v_cndmask_b32_e64 v17, v15, v42, s[24:25]
	v_cndmask_b32_e64 v18, v15, v43, s[26:27]
	v_max3_f32 v16, v16, v17, v18
	v_or_b32_e32 v17, 18, v14
	v_or_b32_e32 v18, 19, v14
	v_cmp_gt_i32_e64 s[20:21], s33, v17
	v_cmp_gt_i32_e64 s[22:23], s33, v18
	s_nop 0
	v_cndmask_b32_e64 v17, v15, v52, s[20:21]
	v_cndmask_b32_e64 v18, v15, v53, s[22:23]
	v_max3_f32 v16, v16, v17, v18
	v_or_b32_e32 v17, 32, v14
	v_or_b32_e32 v18, 33, v14
	v_cmp_gt_i32_e64 s[16:17], s33, v17
	v_cmp_gt_i32_e64 s[18:19], s33, v18
	s_nop 0
	;; [unrolled: 8-line block ×4, first 2 shown]
	v_cndmask_b32_e64 v17, v15, v44, s[8:9]
	v_cndmask_b32_e64 v18, v15, v45, s[10:11]
	v_max3_f32 v16, v16, v17, v18
	v_or_b32_e32 v17, 50, v14
	v_or_b32_e32 v14, 51, v14
	v_cmp_gt_i32_e32 vcc, s33, v17
	v_cmp_gt_i32_e64 s[6:7], s33, v14
	s_nop 0
	v_cndmask_b32_e32 v17, v15, v38, vcc
	v_cndmask_b32_e64 v14, v15, v39, s[6:7]
	v_max3_f32 v16, v16, v17, v14
	v_mbcnt_lo_u32_b32 v14, -1, 0
	v_mbcnt_hi_u32_b32 v17, -1, v14
	v_and_b32_e32 v14, 64, v17
	v_add_u32_e32 v18, 64, v14
	v_xor_b32_e32 v14, 32, v17
	v_cmp_lt_i32_e64 s[40:41], v14, v18
	s_nop 1
	v_cndmask_b32_e64 v14, v17, v14, s[40:41]
	v_lshlrev_b32_e32 v59, 2, v14
	ds_bpermute_b32 v19, v59, v16
	s_waitcnt vmcnt(5)
	v_mad_i64_i32 v[14:15], s[40:41], v55, s45, 0
	v_lshl_add_u64 v[14:15], v[14:15], 1, v[10:11]
	s_waitcnt lgkmcnt(0)
	v_max_f32_e32 v19, v19, v19
	v_max_f32_e32 v16, v16, v19
	v_xor_b32_e32 v19, 16, v17
	v_cmp_lt_i32_e64 s[40:41], v19, v18
	s_nop 1
	v_cndmask_b32_e64 v17, v17, v19, s[40:41]
	v_lshlrev_b32_e32 v57, 2, v17
	ds_bpermute_b32 v17, v57, v16
	global_load_dwordx4 v[22:25], v[14:15], off
	global_load_dwordx4 v[18:21], v[14:15], off offset:16
	s_waitcnt vmcnt(6)
	v_mad_i64_i32 v[14:15], s[40:41], v58, s45, 0
	v_lshl_add_u64 v[10:11], v[14:15], 1, v[10:11]
	s_waitcnt lgkmcnt(0)
	v_max_f32_e32 v14, v17, v17
	v_max_f32_e32 v55, v16, v14
	v_sub_f32_e32 v12, v12, v55
	v_mul_f32_e32 v12, 0x3fb8aa3b, v12
	v_exp_f32_e32 v40, v12
	v_sub_f32_e32 v12, v13, v55
	v_mul_f32_e32 v12, 0x3fb8aa3b, v12
	v_exp_f32_e32 v41, v12
	global_load_dwordx4 v[14:17], v[10:11], off
	s_nop 0
	global_load_dwordx4 v[10:13], v[10:11], off offset:16
	v_sub_f32_e32 v50, v50, v55
	v_mul_f32_e32 v50, 0x3fb8aa3b, v50
	v_sub_f32_e32 v51, v51, v55
	v_exp_f32_e32 v50, v50
	v_mul_f32_e32 v51, 0x3fb8aa3b, v51
	v_sub_f32_e32 v42, v42, v55
	v_exp_f32_e32 v51, v51
	v_mul_f32_e32 v42, 0x3fb8aa3b, v42
	v_sub_f32_e32 v43, v43, v55
	v_cndmask_b32_e64 v40, 0, v40, s[4:5]
	v_exp_f32_e32 v42, v42
	v_mul_f32_e32 v43, 0x3fb8aa3b, v43
	v_sub_f32_e32 v52, v52, v55
	v_add_f32_e32 v56, 0, v40
	v_cndmask_b32_e64 v41, 0, v41, s[34:35]
	v_exp_f32_e32 v43, v43
	v_mul_f32_e32 v52, 0x3fb8aa3b, v52
	v_sub_f32_e32 v53, v53, v55
	v_add_f32_e32 v56, v56, v41
	;; [unrolled: 5-line block ×10, first 2 shown]
	v_cndmask_b32_e64 v46, 0, v46, s[12:13]
	v_exp_f32_e32 v38, v38
	v_mul_f32_e32 v39, 0x3fb8aa3b, v39
	v_add_f32_e32 v56, v56, v46
	v_cndmask_b32_e64 v47, 0, v47, s[14:15]
	v_exp_f32_e32 v39, v39
	v_add_f32_e32 v56, v56, v47
	v_cndmask_b32_e64 v44, 0, v44, s[8:9]
	v_add_f32_e32 v56, v56, v44
	v_cndmask_b32_e64 v45, 0, v45, s[10:11]
	v_add_f32_e32 v56, v56, v45
	v_cndmask_b32_e32 v38, 0, v38, vcc
	v_add_f32_e32 v56, v56, v38
	v_cndmask_b32_e64 v39, 0, v39, s[6:7]
	v_add_f32_e32 v56, v56, v39
	ds_bpermute_b32 v58, v59, v56
	v_cmp_gt_u32_e32 vcc, 16, v37
	v_lshlrev_b32_e32 v37, 2, v36
	s_waitcnt lgkmcnt(0)
	s_barrier
	v_add_f32_e32 v56, v56, v58
	ds_bpermute_b32 v57, v57, v56
	s_waitcnt lgkmcnt(0)
	s_and_saveexec_b64 s[4:5], vcc
	s_cbranch_execz .LBB185_15
; %bb.14:
	v_add_f32_e32 v56, v56, v57
	v_lshl_or_b32 v57, v1, 6, v37
	ds_write2st64_b32 v57, v55, v56 offset1:1
.LBB185_15:
	s_or_b64 exec, exec, s[4:5]
	s_load_dword s6, s[0:1], 0x94
	s_waitcnt lgkmcnt(0)
	s_barrier
	ds_read2_b32 v[56:57], v37 offset1:16
	ds_read2_b32 v[58:59], v37 offset0:32 offset1:48
	ds_read2_b32 v[60:61], v37 offset0:64 offset1:80
	;; [unrolled: 1-line block ×3, first 2 shown]
	s_waitcnt lgkmcnt(0)
	v_max3_f32 v55, v56, s43, v57
	v_max3_f32 v55, v55, v58, v59
	v_sub_f32_e32 v56, v56, v55
	v_mul_f32_e32 v56, 0x3fb8aa3b, v56
	v_exp_f32_e32 v64, v56
	v_sub_f32_e32 v56, v57, v55
	v_mul_f32_e32 v56, 0x3fb8aa3b, v56
	v_exp_f32_e32 v57, v56
	v_sub_f32_e32 v56, v58, v55
	v_mul_f32_e32 v56, 0x3fb8aa3b, v56
	v_sub_f32_e32 v37, v59, v55
	v_exp_f32_e32 v58, v56
	v_mul_f32_e32 v37, 0x3fb8aa3b, v37
	v_exp_f32_e32 v37, v37
	v_fma_f32 v56, v64, v60, 0
	v_fmac_f32_e32 v56, v57, v61
	v_fmac_f32_e32 v56, v58, v62
	;; [unrolled: 1-line block ×3, first 2 shown]
	v_add_f32_e32 v59, 0x358637bd, v56
	v_div_scale_f32 v60, s[4:5], v59, v59, 1.0
	v_rcp_f32_e32 v61, v60
	s_barrier
	s_mul_i32 s7, s29, 14
	v_fma_f32 v62, -v60, v61, 1.0
	v_fmac_f32_e32 v61, v62, v61
	v_div_scale_f32 v62, vcc, 1.0, v59, 1.0
	v_mul_f32_e32 v63, v62, v61
	v_fma_f32 v65, -v60, v63, v62
	v_fmac_f32_e32 v63, v65, v61
	v_fma_f32 v60, -v60, v63, v62
	v_div_fmas_f32 v60, v60, v61, v63
	v_cmp_eq_u32_e32 vcc, 1, v1
	v_div_fixup_f32 v59, v60, v59, 1.0
	s_nop 0
	v_cndmask_b32_e32 v57, v64, v57, vcc
	v_cmp_eq_u32_e32 vcc, 2, v1
	s_nop 1
	v_cndmask_b32_e32 v57, v57, v58, vcc
	v_cmp_eq_u32_e32 vcc, 3, v1
	v_lshlrev_b32_e32 v1, 11, v1
	s_nop 0
	v_cndmask_b32_e32 v37, v57, v37, vcc
	v_mul_f32_e32 v58, v37, v59
	v_pk_mul_f32 v[50:51], v[58:59], v[50:51] op_sel_hi:[0,1]
	v_pk_mul_f32 v[40:41], v[58:59], v[40:41] op_sel_hi:[0,1]
	v_cvt_f16_f32_e32 v37, v40
	v_cvt_f16_f32_e32 v40, v41
	;; [unrolled: 1-line block ×4, first 2 shown]
	v_pk_mul_f32 v[52:53], v[58:59], v[52:53] op_sel_hi:[0,1]
	v_pk_mul_f32 v[42:43], v[58:59], v[42:43] op_sel_hi:[0,1]
	v_pack_b32_f16 v50, v37, v40
	v_pack_b32_f16 v51, v41, v51
	v_cvt_f16_f32_e32 v41, v42
	v_cvt_f16_f32_e32 v42, v43
	;; [unrolled: 1-line block ×4, first 2 shown]
	v_lshlrev_b32_e32 v37, 3, v54
	v_lshlrev_b32_e32 v40, 5, v36
	v_or3_b32 v1, v1, v40, v37
	v_pack_b32_f16 v42, v41, v42
	v_pack_b32_f16 v43, v43, v52
	ds_write2st64_b64 v1, v[50:51], v[42:43] offset1:1
	v_pk_mul_f32 v[42:43], v[58:59], v[46:47] op_sel_hi:[0,1]
	v_pk_mul_f32 v[46:47], v[58:59], v[48:49] op_sel_hi:[0,1]
	v_cvt_f16_f32_e32 v37, v46
	v_cvt_f16_f32_e32 v41, v47
	;; [unrolled: 1-line block ×4, first 2 shown]
	v_pk_mul_f32 v[38:39], v[58:59], v[38:39] op_sel_hi:[0,1]
	v_pk_mul_f32 v[42:43], v[58:59], v[44:45] op_sel_hi:[0,1]
	v_cvt_f16_f32_e32 v42, v42
	v_cvt_f16_f32_e32 v43, v43
	;; [unrolled: 1-line block ×4, first 2 shown]
	v_pack_b32_f16 v38, v37, v41
	v_pack_b32_f16 v39, v46, v47
	;; [unrolled: 1-line block ×4, first 2 shown]
	v_cmp_gt_u32_e32 vcc, 14, v0
	ds_write2st64_b64 v1, v[38:39], v[42:43] offset0:2 offset1:3
	s_and_saveexec_b64 s[4:5], vcc
	s_cbranch_execz .LBB185_17
; %bb.16:
	s_mov_b32 s43, 0
	v_mov_b32_e32 v37, 0
	v_lshl_add_u64 v[38:39], s[42:43], 0, v[36:37]
	v_mov_b32_e32 v36, s7
	v_mad_u64_u32 v[38:39], s[12:13], s2, v36, v[38:39]
	v_mov_b32_e32 v36, s28
	s_load_dwordx4 s[8:11], s[0:1], 0x58
	s_mul_i32 s3, s3, s7
	v_mad_u64_u32 v[36:37], s[12:13], v38, s6, v[36:37]
	v_add_u32_e32 v39, s3, v39
	v_mov_b32_e32 v38, v37
	v_mad_u64_u32 v[38:39], s[12:13], v39, s6, v[38:39]
	v_mov_b32_e32 v37, v38
	v_lshlrev_b64 v[36:37], 2, v[36:37]
	s_waitcnt lgkmcnt(0)
	v_lshl_add_u64 v[38:39], s[10:11], 0, v[36:37]
	v_lshl_add_u64 v[36:37], s[8:9], 0, v[36:37]
	global_store_dword v[38:39], v55, off
	global_store_dword v[36:37], v56, off
.LBB185_17:
	s_or_b64 exec, exec, s[4:5]
	v_lshl_or_b32 v48, v54, 9, v40
	s_waitcnt lgkmcnt(0)
	s_barrier
	ds_read_b128 v[36:39], v48
	ds_read_b128 v[40:43], v48 offset:16
	s_waitcnt vmcnt(7) lgkmcnt(1)
	v_mfma_f32_16x16x16_f16 v[44:47], v[6:7], v[36:37], 0
	v_cmp_gt_u32_e32 vcc, 64, v0
	s_mov_b32 s3, 0
	s_and_b64 s[4:5], vcc, s[30:31]
	v_mfma_f32_16x16x16_f16 v[6:9], v[8:9], v[38:39], v[44:47]
	s_waitcnt vmcnt(6) lgkmcnt(0)
	v_mfma_f32_16x16x16_f16 v[6:9], v[2:3], v[40:41], v[6:9]
	v_mfma_f32_16x16x16_f16 v[2:5], v[4:5], v[42:43], v[6:9]
	s_nop 5
	ds_read_b128 v[6:9], v48 offset:2048
	ds_read_b128 v[36:39], v48 offset:2064
	s_waitcnt vmcnt(5) lgkmcnt(1)
	v_mfma_f32_16x16x16_f16 v[2:5], v[30:31], v[6:7], v[2:5]
	v_mfma_f32_16x16x16_f16 v[2:5], v[32:33], v[8:9], v[2:5]
	s_waitcnt vmcnt(4) lgkmcnt(0)
	v_mfma_f32_16x16x16_f16 v[2:5], v[26:27], v[36:37], v[2:5]
	v_mfma_f32_16x16x16_f16 v[2:5], v[28:29], v[38:39], v[2:5]
	ds_read_b128 v[6:9], v48 offset:4096
	ds_read_b128 v[26:29], v48 offset:4112
	s_waitcnt vmcnt(3) lgkmcnt(1)
	v_mfma_f32_16x16x16_f16 v[2:5], v[22:23], v[6:7], v[2:5]
	v_mfma_f32_16x16x16_f16 v[2:5], v[24:25], v[8:9], v[2:5]
	s_waitcnt vmcnt(2) lgkmcnt(0)
	v_mfma_f32_16x16x16_f16 v[2:5], v[18:19], v[26:27], v[2:5]
	v_mfma_f32_16x16x16_f16 v[2:5], v[20:21], v[28:29], v[2:5]
	ds_read_b128 v[6:9], v48 offset:6144
	ds_read_b128 v[18:21], v48 offset:6160
	s_waitcnt lgkmcnt(0)
	s_barrier
	s_waitcnt vmcnt(1)
	v_mfma_f32_16x16x16_f16 v[2:5], v[14:15], v[6:7], v[2:5]
	v_mfma_f32_16x16x16_f16 v[2:5], v[16:17], v[8:9], v[2:5]
	s_waitcnt vmcnt(0)
	v_mfma_f32_16x16x16_f16 v[2:5], v[10:11], v[18:19], v[2:5]
	v_mfma_f32_16x16x16_f16 v[2:5], v[12:13], v[20:21], v[2:5]
	s_nop 6
	v_cvt_f16_f32_e32 v2, v2
	v_cvt_f16_f32_e32 v3, v3
	v_cvt_f16_f32_e32 v4, v4
	v_cvt_f16_f32_e32 v5, v5
	v_pack_b32_f16 v2, v2, v3
	v_pack_b32_f16 v3, v4, v5
	ds_write_b64 v1, v[2:3]
	s_waitcnt lgkmcnt(0)
	s_barrier
	s_and_saveexec_b64 s[8:9], s[4:5]
	s_cbranch_execz .LBB185_20
; %bb.18:
	s_load_dwordx2 s[4:5], s[0:1], 0x68
	s_lshl_b32 s0, s6, 6
	s_mul_i32 s1, s7, s2
	s_mul_hi_u32 s7, s1, s0
	s_mul_i32 s6, s1, s0
	v_lshlrev_b32_e32 v1, 10, v0
	v_lshlrev_b32_e32 v0, 4, v0
	s_lshl_b64 s[6:7], s[6:7], 1
	v_and_b32_e32 v1, 0x1800, v1
	v_lshlrev_b32_e32 v2, 5, v54
	v_and_b32_e32 v0, 16, v0
	s_waitcnt lgkmcnt(0)
	s_add_u32 s1, s4, s6
	v_or3_b32 v2, v1, v2, v0
	s_addc_u32 s4, s5, s7
	s_lshl_b32 s2, s28, 6
	ds_read_b128 v[4:7], v2 offset:256
	s_lshl_b64 s[2:3], s[2:3], 1
	ds_read_b128 v[8:11], v2 offset:128
	ds_read_b128 v[12:15], v2
	s_add_u32 s2, s1, s2
	s_addc_u32 s3, s4, s3
	v_add_u32_e32 v18, s42, v54
	v_lshl_add_u64 v[0:1], v[34:35], 1, s[2:3]
	v_mad_u64_u32 v[16:17], s[2:3], v18, s0, 0
	v_lshl_add_u64 v[16:17], v[16:17], 1, v[0:1]
	s_waitcnt lgkmcnt(0)
	global_store_dwordx4 v[16:17], v[12:15], off
	v_or_b32_e32 v3, 12, v54
	v_cmp_gt_u32_e32 vcc, 14, v3
	v_add_u32_e32 v12, 4, v18
	v_mad_u64_u32 v[12:13], s[2:3], v12, s0, 0
	v_lshl_add_u64 v[12:13], v[12:13], 1, v[0:1]
	global_store_dwordx4 v[12:13], v[8:11], off
	s_nop 1
	v_add_u32_e32 v8, 8, v18
	v_mad_u64_u32 v[8:9], s[2:3], v8, s0, 0
	v_lshl_add_u64 v[8:9], v[8:9], 1, v[0:1]
	global_store_dwordx4 v[8:9], v[4:7], off
	s_and_b64 exec, exec, vcc
	s_cbranch_execz .LBB185_20
; %bb.19:
	ds_read_b128 v[4:7], v2 offset:384
	v_add_u32_e32 v2, s42, v3
	v_mad_u64_u32 v[2:3], s[0:1], v2, s0, 0
	v_lshl_add_u64 v[0:1], v[2:3], 1, v[0:1]
	s_waitcnt lgkmcnt(0)
	global_store_dwordx4 v[0:1], v[4:7], off
.LBB185_20:
	s_endpgm
	.section	.rodata,"a",@progbits
	.p2align	6, 0x0
	.amdhsa_kernel _Z39paged_attention_ll4mi_QKV_mfma16_kernelIDF16_DF16_LN4vllm18Fp8KVCacheDataTypeE0EDF16_Li32ELi64ELi256ELb0ELi14EEvPKT_PKT0_S7_ifPKiS9_S9_iPKfiiiPfSC_PS2_PT2_iSB_SB_
		.amdhsa_group_segment_fixed_size 8192
		.amdhsa_private_segment_fixed_size 0
		.amdhsa_kernarg_size 400
		.amdhsa_user_sgpr_count 2
		.amdhsa_user_sgpr_dispatch_ptr 0
		.amdhsa_user_sgpr_queue_ptr 0
		.amdhsa_user_sgpr_kernarg_segment_ptr 1
		.amdhsa_user_sgpr_dispatch_id 0
		.amdhsa_user_sgpr_kernarg_preload_length 0
		.amdhsa_user_sgpr_kernarg_preload_offset 0
		.amdhsa_user_sgpr_private_segment_size 0
		.amdhsa_uses_dynamic_stack 0
		.amdhsa_enable_private_segment 0
		.amdhsa_system_sgpr_workgroup_id_x 1
		.amdhsa_system_sgpr_workgroup_id_y 1
		.amdhsa_system_sgpr_workgroup_id_z 1
		.amdhsa_system_sgpr_workgroup_info 0
		.amdhsa_system_vgpr_workitem_id 0
		.amdhsa_next_free_vgpr 67
		.amdhsa_next_free_sgpr 48
		.amdhsa_accum_offset 68
		.amdhsa_reserve_vcc 1
		.amdhsa_float_round_mode_32 0
		.amdhsa_float_round_mode_16_64 0
		.amdhsa_float_denorm_mode_32 3
		.amdhsa_float_denorm_mode_16_64 3
		.amdhsa_dx10_clamp 1
		.amdhsa_ieee_mode 1
		.amdhsa_fp16_overflow 0
		.amdhsa_tg_split 0
		.amdhsa_exception_fp_ieee_invalid_op 0
		.amdhsa_exception_fp_denorm_src 0
		.amdhsa_exception_fp_ieee_div_zero 0
		.amdhsa_exception_fp_ieee_overflow 0
		.amdhsa_exception_fp_ieee_underflow 0
		.amdhsa_exception_fp_ieee_inexact 0
		.amdhsa_exception_int_div_zero 0
	.end_amdhsa_kernel
	.section	.text._Z39paged_attention_ll4mi_QKV_mfma16_kernelIDF16_DF16_LN4vllm18Fp8KVCacheDataTypeE0EDF16_Li32ELi64ELi256ELb0ELi14EEvPKT_PKT0_S7_ifPKiS9_S9_iPKfiiiPfSC_PS2_PT2_iSB_SB_,"axG",@progbits,_Z39paged_attention_ll4mi_QKV_mfma16_kernelIDF16_DF16_LN4vllm18Fp8KVCacheDataTypeE0EDF16_Li32ELi64ELi256ELb0ELi14EEvPKT_PKT0_S7_ifPKiS9_S9_iPKfiiiPfSC_PS2_PT2_iSB_SB_,comdat
.Lfunc_end185:
	.size	_Z39paged_attention_ll4mi_QKV_mfma16_kernelIDF16_DF16_LN4vllm18Fp8KVCacheDataTypeE0EDF16_Li32ELi64ELi256ELb0ELi14EEvPKT_PKT0_S7_ifPKiS9_S9_iPKfiiiPfSC_PS2_PT2_iSB_SB_, .Lfunc_end185-_Z39paged_attention_ll4mi_QKV_mfma16_kernelIDF16_DF16_LN4vllm18Fp8KVCacheDataTypeE0EDF16_Li32ELi64ELi256ELb0ELi14EEvPKT_PKT0_S7_ifPKiS9_S9_iPKfiiiPfSC_PS2_PT2_iSB_SB_
                                        ; -- End function
	.section	.AMDGPU.csdata,"",@progbits
; Kernel info:
; codeLenInByte = 3956
; NumSgprs: 54
; NumVgprs: 67
; NumAgprs: 0
; TotalNumVgprs: 67
; ScratchSize: 0
; MemoryBound: 0
; FloatMode: 240
; IeeeMode: 1
; LDSByteSize: 8192 bytes/workgroup (compile time only)
; SGPRBlocks: 6
; VGPRBlocks: 8
; NumSGPRsForWavesPerEU: 54
; NumVGPRsForWavesPerEU: 67
; AccumOffset: 68
; Occupancy: 7
; WaveLimiterHint : 1
; COMPUTE_PGM_RSRC2:SCRATCH_EN: 0
; COMPUTE_PGM_RSRC2:USER_SGPR: 2
; COMPUTE_PGM_RSRC2:TRAP_HANDLER: 0
; COMPUTE_PGM_RSRC2:TGID_X_EN: 1
; COMPUTE_PGM_RSRC2:TGID_Y_EN: 1
; COMPUTE_PGM_RSRC2:TGID_Z_EN: 1
; COMPUTE_PGM_RSRC2:TIDIG_COMP_CNT: 0
; COMPUTE_PGM_RSRC3_GFX90A:ACCUM_OFFSET: 16
; COMPUTE_PGM_RSRC3_GFX90A:TG_SPLIT: 0
	.section	.text._Z39paged_attention_ll4mi_QKV_mfma16_kernelIDF16_DF16_LN4vllm18Fp8KVCacheDataTypeE0EDF16_Li32ELi64ELi256ELb0ELi15EEvPKT_PKT0_S7_ifPKiS9_S9_iPKfiiiPfSC_PS2_PT2_iSB_SB_,"axG",@progbits,_Z39paged_attention_ll4mi_QKV_mfma16_kernelIDF16_DF16_LN4vllm18Fp8KVCacheDataTypeE0EDF16_Li32ELi64ELi256ELb0ELi15EEvPKT_PKT0_S7_ifPKiS9_S9_iPKfiiiPfSC_PS2_PT2_iSB_SB_,comdat
	.protected	_Z39paged_attention_ll4mi_QKV_mfma16_kernelIDF16_DF16_LN4vllm18Fp8KVCacheDataTypeE0EDF16_Li32ELi64ELi256ELb0ELi15EEvPKT_PKT0_S7_ifPKiS9_S9_iPKfiiiPfSC_PS2_PT2_iSB_SB_ ; -- Begin function _Z39paged_attention_ll4mi_QKV_mfma16_kernelIDF16_DF16_LN4vllm18Fp8KVCacheDataTypeE0EDF16_Li32ELi64ELi256ELb0ELi15EEvPKT_PKT0_S7_ifPKiS9_S9_iPKfiiiPfSC_PS2_PT2_iSB_SB_
	.globl	_Z39paged_attention_ll4mi_QKV_mfma16_kernelIDF16_DF16_LN4vllm18Fp8KVCacheDataTypeE0EDF16_Li32ELi64ELi256ELb0ELi15EEvPKT_PKT0_S7_ifPKiS9_S9_iPKfiiiPfSC_PS2_PT2_iSB_SB_
	.p2align	8
	.type	_Z39paged_attention_ll4mi_QKV_mfma16_kernelIDF16_DF16_LN4vllm18Fp8KVCacheDataTypeE0EDF16_Li32ELi64ELi256ELb0ELi15EEvPKT_PKT0_S7_ifPKiS9_S9_iPKfiiiPfSC_PS2_PT2_iSB_SB_,@function
_Z39paged_attention_ll4mi_QKV_mfma16_kernelIDF16_DF16_LN4vllm18Fp8KVCacheDataTypeE0EDF16_Li32ELi64ELi256ELb0ELi15EEvPKT_PKT0_S7_ifPKiS9_S9_iPKfiiiPfSC_PS2_PT2_iSB_SB_: ; @_Z39paged_attention_ll4mi_QKV_mfma16_kernelIDF16_DF16_LN4vllm18Fp8KVCacheDataTypeE0EDF16_Li32ELi64ELi256ELb0ELi15EEvPKT_PKT0_S7_ifPKiS9_S9_iPKfiiiPfSC_PS2_PT2_iSB_SB_
; %bb.0:
	s_load_dwordx2 s[6:7], s[0:1], 0x30
	s_mov_b32 s28, s3
	s_mov_b64 s[10:11], 0
	s_waitcnt lgkmcnt(0)
	s_cmp_lg_u64 s[6:7], 0
	s_cselect_b64 s[8:9], -1, 0
	s_and_b64 vcc, exec, s[8:9]
	s_cbranch_vccz .LBB186_7
; %bb.1:
	s_add_i32 s12, s2, 1
	s_mov_b32 s13, 0
	s_lshl_b64 s[14:15], s[12:13], 2
	s_add_u32 s14, s6, s14
	s_mov_b32 s3, s13
	s_addc_u32 s15, s7, s15
	s_lshl_b64 s[12:13], s[2:3], 2
	s_add_u32 s12, s6, s12
	s_addc_u32 s13, s7, s13
	s_load_dword s5, s[14:15], 0x0
	s_load_dword s16, s[12:13], 0x0
	s_waitcnt lgkmcnt(0)
	s_sub_i32 s5, s5, s16
	s_cmp_eq_u32 s5, 1
	s_cselect_b64 s[12:13], -1, 0
	s_andn2_b64 vcc, exec, s[10:11]
	s_cbranch_vccnz .LBB186_3
.LBB186_2:
	s_mov_b32 s3, 0
	s_mov_b64 s[12:13], -1
.LBB186_3:
	s_andn2_b64 vcc, exec, s[12:13]
	s_cbranch_vccnz .LBB186_20
; %bb.4:
	s_load_dwordx2 s[12:13], s[0:1], 0x28
	s_lshl_b64 s[10:11], s[2:3], 2
	s_waitcnt lgkmcnt(0)
	s_add_u32 s12, s12, s10
	s_addc_u32 s13, s13, s11
	s_load_dword s33, s[12:13], 0x0
	s_lshl_b32 s14, s28, 8
	s_waitcnt lgkmcnt(0)
	s_cmp_ge_i32 s14, s33
	s_cbranch_scc1 .LBB186_20
; %bb.5:
	s_load_dwordx2 s[12:13], s[0:1], 0x20
	s_load_dword s5, s[0:1], 0x38
	s_add_i32 s15, s33, 31
	s_ashr_i32 s16, s15, 31
	v_and_b32_e32 v1, 0xcf, v0
	s_lshr_b32 s16, s16, 27
	v_add_u32_e32 v1, s14, v1
	s_add_i32 s15, s15, s16
	v_ashrrev_i32_e32 v2, 31, v1
	s_ashr_i32 s15, s15, 5
	v_lshrrev_b32_e32 v6, 27, v2
	s_add_i32 s15, s15, -1
	s_waitcnt lgkmcnt(0)
	s_mul_i32 s16, s2, s5
	s_mov_b32 s17, 0
	v_add_u32_e32 v2, v1, v6
	s_lshl_b64 s[16:17], s[16:17], 2
	v_ashrrev_i32_e32 v2, 5, v2
	v_mov_b32_e32 v7, s15
	v_cmp_gt_i32_e32 vcc, s33, v1
	s_add_u32 s12, s12, s16
	s_addc_u32 s13, s13, s17
	v_cndmask_b32_e32 v2, v7, v2, vcc
	v_ashrrev_i32_e32 v3, 31, v2
	v_lshl_add_u64 v[4:5], v[2:3], 2, s[12:13]
	v_or_b32_e32 v2, 16, v1
	v_add_u32_e32 v3, v2, v6
	v_ashrrev_i32_e32 v3, 5, v3
	v_cmp_gt_i32_e32 vcc, s33, v2
	s_nop 1
	v_cndmask_b32_e32 v2, v7, v3, vcc
	v_ashrrev_i32_e32 v3, 31, v2
	v_lshl_add_u64 v[8:9], v[2:3], 2, s[12:13]
	v_or_b32_e32 v2, 32, v1
	v_add_u32_e32 v3, v2, v6
	v_ashrrev_i32_e32 v3, 5, v3
	v_cmp_gt_i32_e32 vcc, s33, v2
	v_or_b32_e32 v1, 48, v1
	s_nop 0
	v_cndmask_b32_e32 v2, v7, v3, vcc
	v_ashrrev_i32_e32 v3, 31, v2
	v_lshl_add_u64 v[12:13], v[2:3], 2, s[12:13]
	v_add_u32_e32 v2, v1, v6
	v_ashrrev_i32_e32 v2, 5, v2
	v_cmp_gt_i32_e32 vcc, s33, v1
	s_nop 1
	v_cndmask_b32_e32 v2, v7, v2, vcc
	v_ashrrev_i32_e32 v3, 31, v2
	v_lshl_add_u64 v[14:15], v[2:3], 2, s[12:13]
	global_load_dword v2, v[4:5], off
	global_load_dword v6, v[8:9], off
	;; [unrolled: 1-line block ×4, first 2 shown]
	s_andn2_b64 vcc, exec, s[8:9]
	s_cbranch_vccnz .LBB186_8
; %bb.6:
	s_add_u32 s6, s6, s10
	s_addc_u32 s7, s7, s11
	s_load_dword s5, s[6:7], 0x0
	s_branch .LBB186_9
.LBB186_7:
	s_mov_b64 s[12:13], 0
	s_branch .LBB186_2
.LBB186_8:
	s_mov_b32 s5, s2
.LBB186_9:
	s_load_dwordx4 s[8:11], s[0:1], 0x8
	s_load_dwordx4 s[44:47], s[0:1], 0x48
	v_lshrrev_b32_e32 v1, 6, v0
	v_bfe_u32 v54, v0, 4, 2
	v_lshl_or_b32 v3, v1, 2, v54
	v_and_b32_e32 v36, 15, v0
	v_cmp_lt_u32_e32 vcc, 14, v3
	v_cmp_lt_u32_e64 s[6:7], 7, v36
	v_lshlrev_b32_e32 v34, 3, v36
	v_cmp_gt_u32_e64 s[30:31], 8, v36
	s_or_b64 s[6:7], s[6:7], vcc
	s_and_saveexec_b64 s[16:17], s[6:7]
	s_xor_b64 s[6:7], exec, s[16:17]
; %bb.10:
	v_mov_b32_e32 v35, 0
                                        ; implicit-def: $vgpr3
; %bb.11:
	s_or_saveexec_b64 s[6:7], s[6:7]
	v_and_b32_e32 v37, 63, v0
	s_mul_i32 s42, s4, 15
	s_xor_b64 exec, exec, s[6:7]
	s_cbranch_execz .LBB186_13
; %bb.12:
	s_load_dwordx2 s[16:17], s[0:1], 0x0
	s_waitcnt lgkmcnt(0)
	s_ashr_i32 s18, s44, 31
	s_mul_hi_u32 s19, s5, s44
	s_mul_i32 s18, s5, s18
	s_add_i32 s19, s19, s18
	s_mul_i32 s18, s5, s44
	s_lshl_b64 s[18:19], s[18:19], 1
	s_add_u32 s16, s16, s18
	v_add_lshl_u32 v4, v3, s42, 6
	s_addc_u32 s17, s17, s19
	v_ashrrev_i32_e32 v5, 31, v4
	v_mov_b32_e32 v35, 0
	v_lshl_add_u64 v[4:5], v[4:5], 1, s[16:17]
	v_lshlrev_b32_e32 v8, 1, v34
	v_mov_b32_e32 v9, v35
	v_lshl_add_u64 v[4:5], v[4:5], 0, v[8:9]
	global_load_dwordx4 v[12:15], v[4:5], off
	v_and_b32_e32 v4, 3, v0
	v_lshlrev_b32_e32 v5, 9, v36
	v_lshlrev_b32_e32 v3, 5, v3
	;; [unrolled: 1-line block ×3, first 2 shown]
	v_and_b32_e32 v5, 0x1800, v5
	v_or3_b32 v3, v5, v4, v3
	s_waitcnt vmcnt(0)
	ds_write_b128 v3, v[12:15]
.LBB186_13:
	s_or_b64 exec, exec, s[6:7]
	s_waitcnt lgkmcnt(0)
	s_mov_b32 s5, 0
	s_mul_i32 s4, s4, s46
	s_lshl_b64 s[4:5], s[4:5], 1
	s_add_u32 s8, s8, s4
	s_addc_u32 s9, s9, s5
	s_waitcnt vmcnt(3)
	v_mad_i64_i32 v[2:3], s[16:17], v2, s45, 0
	v_lshl_add_u64 v[2:3], v[2:3], 1, s[8:9]
	v_lshlrev_b64 v[12:13], 1, v[34:35]
	v_mov_b32_e32 v39, 0
	v_lshlrev_b32_e32 v38, 9, v54
	v_lshl_add_u64 v[2:3], v[2:3], 0, v[12:13]
	v_lshl_add_u64 v[20:21], v[2:3], 0, v[38:39]
	s_load_dword s29, s[0:1], 0x98
	s_load_dword s6, s[0:1], 0x1c
	s_waitcnt lgkmcnt(0)
	s_barrier
	global_load_dwordx4 v[2:5], v[20:21], off
	s_waitcnt vmcnt(3)
	v_mad_i64_i32 v[6:7], s[16:17], v6, s45, 0
	v_mov_b32_e32 v8, 0x100
	v_lshl_add_u64 v[6:7], v[6:7], 1, s[8:9]
	v_lshl_or_b32 v40, v36, 4, v8
	v_mov_b32_e32 v41, v39
	v_lshl_add_u64 v[6:7], v[6:7], 0, v[40:41]
	v_lshl_add_u64 v[22:23], v[6:7], 0, v[38:39]
	global_load_dwordx4 v[6:9], v[22:23], off
	global_load_dwordx4 v[26:29], v[22:23], off offset:2048
	s_waitcnt vmcnt(4)
	v_mad_i64_i32 v[10:11], s[16:17], v10, s45, 0
	v_lshl_add_u64 v[10:11], v[10:11], 1, s[8:9]
	v_lshl_add_u64 v[10:11], v[10:11], 0, v[12:13]
	;; [unrolled: 1-line block ×3, first 2 shown]
	global_load_dwordx4 v[10:13], v[20:21], off offset:2048
	global_load_dwordx4 v[14:17], v[24:25], off
	global_load_dwordx4 v[30:33], v[24:25], off offset:2048
	s_waitcnt vmcnt(6)
	v_mad_i64_i32 v[42:43], s[16:17], v18, s45, 0
	v_cmp_ne_u32_e32 vcc, 15, v36
	v_lshl_add_u64 v[42:43], v[42:43], 1, s[8:9]
	v_lshl_add_u64 v[40:41], v[42:43], 0, v[40:41]
	v_cndmask_b32_e32 v19, 0, v36, vcc
	v_lshl_or_b32 v18, v19, 5, v38
	v_lshl_add_u64 v[40:41], v[40:41], 0, v[38:39]
	ds_read_b128 v[22:25], v18
	ds_read_b128 v[18:21], v18 offset:2048
	global_load_dwordx4 v[46:49], v[40:41], off
	global_load_dwordx4 v[60:63], v[40:41], off offset:2048
	s_ashr_i32 s7, s14, 31
	v_and_or_b32 v55, v0, 48, s14
	s_lshr_b32 s7, s7, 27
	v_add_u32_e32 v42, s7, v55
	v_mov_b32_e32 v64, s15
	v_or_b32_e32 v50, 64, v55
	v_ashrrev_i32_e32 v38, 5, v42
	v_cmp_gt_i32_e32 vcc, s33, v55
	v_add_u32_e32 v43, s7, v50
	v_ashrrev_i32_e32 v51, 5, v43
	v_cndmask_b32_e32 v42, v64, v38, vcc
	v_ashrrev_i32_e32 v43, 31, v42
	v_lshl_add_u64 v[42:43], v[42:43], 2, s[12:13]
	v_cmp_gt_i32_e32 vcc, s33, v50
	global_load_dword v65, v[42:43], off
	v_or_b32_e32 v41, 0x80, v55
	v_and_b32_e32 v38, 16, v0
	s_add_u32 s4, s10, s4
	v_lshlrev_b32_e32 v40, 6, v36
	s_addc_u32 s5, s11, s5
	v_lshlrev_b32_e32 v38, 1, v38
	s_mov_b32 s43, 0xff7fffff
	s_waitcnt vmcnt(8) lgkmcnt(1)
	v_mfma_f32_16x16x16_f16 v[42:45], v[2:3], v[22:23], 0
	v_cndmask_b32_e32 v2, v64, v51, vcc
	v_ashrrev_i32_e32 v3, 31, v2
	v_lshl_add_u64 v[2:3], v[2:3], 2, s[12:13]
	global_load_dword v66, v[2:3], off
	s_waitcnt vmcnt(8)
	v_mfma_f32_16x16x16_f16 v[50:53], v[6:7], v[22:23], 0
	v_cmp_gt_i32_e32 vcc, s33, v41
	v_mfma_f32_16x16x16_f16 v[2:5], v[4:5], v[24:25], v[42:45]
	v_mfma_f32_16x16x16_f16 v[6:9], v[8:9], v[24:25], v[50:53]
	s_nop 1
	v_or_b32_e32 v42, 0xc0, v55
	v_add_u32_e32 v43, s7, v41
	v_add_u32_e32 v44, s7, v42
	s_waitcnt vmcnt(6) lgkmcnt(0)
	v_mfma_f32_16x16x16_f16 v[2:5], v[10:11], v[18:19], v[2:5]
	v_ashrrev_i32_e32 v43, 5, v43
	v_ashrrev_i32_e32 v45, 5, v44
	v_cndmask_b32_e32 v44, v64, v43, vcc
	s_waitcnt vmcnt(5)
	v_mfma_f32_16x16x16_f16 v[56:59], v[14:15], v[22:23], 0
	v_cmp_gt_i32_e32 vcc, s33, v42
	v_lshl_add_u64 v[10:11], s[4:5], 0, v[38:39]
	v_lshl_or_b32 v38, v1, 10, v40
	v_mfma_f32_16x16x16_f16 v[6:9], v[26:27], v[18:19], v[6:9]
	v_cndmask_b32_e32 v26, v64, v45, vcc
	v_ashrrev_i32_e32 v45, 31, v44
	v_ashrrev_i32_e32 v27, 31, v26
	v_mfma_f32_16x16x16_f16 v[40:43], v[12:13], v[20:21], v[2:5]
	v_lshl_add_u64 v[10:11], v[10:11], 0, v[38:39]
	s_waitcnt vmcnt(0)
	v_mad_i64_i32 v[12:13], s[4:5], v66, s45, 0
	v_lshl_add_u64 v[2:3], v[44:45], 2, s[12:13]
	v_mfma_f32_16x16x16_f16 v[14:17], v[16:17], v[24:25], v[56:59]
	v_lshl_add_u64 v[4:5], v[26:27], 2, s[12:13]
	global_load_dword v55, v[2:3], off
	s_nop 0
	global_load_dword v58, v[4:5], off
	v_mad_i64_i32 v[2:3], s[4:5], v65, s45, 0
	v_mfma_f32_16x16x16_f16 v[14:17], v[30:31], v[18:19], v[14:17]
	v_lshl_add_u64 v[56:57], v[12:13], 1, v[10:11]
	v_pk_mul_f32 v[12:13], s[6:7], v[40:41] op_sel_hi:[0,1]
	v_pk_mul_f32 v[50:51], s[6:7], v[42:43] op_sel_hi:[0,1]
	v_mfma_f32_16x16x16_f16 v[14:17], v[32:33], v[20:21], v[14:17]
	v_lshl_add_u64 v[2:3], v[2:3], 1, v[10:11]
	v_mfma_f32_16x16x16_f16 v[30:33], v[46:47], v[22:23], 0
	v_mfma_f32_16x16x16_f16 v[22:25], v[48:49], v[24:25], v[30:33]
	s_nop 3
	v_pk_mul_f32 v[46:47], s[6:7], v[16:17] op_sel_hi:[0,1]
	v_pk_mul_f32 v[48:49], s[6:7], v[14:15] op_sel_hi:[0,1]
	v_mfma_f32_16x16x16_f16 v[22:25], v[60:61], v[18:19], v[22:25]
	v_mfma_f32_16x16x16_f16 v[14:17], v[62:63], v[20:21], v[22:25]
	;; [unrolled: 1-line block ×3, first 2 shown]
	s_nop 2
	global_load_dwordx4 v[6:9], v[2:3], off
	s_nop 0
	global_load_dwordx4 v[2:5], v[2:3], off offset:16
	v_pk_mul_f32 v[44:45], s[6:7], v[14:15] op_sel_hi:[0,1]
	v_and_b32_e32 v14, 0xc0, v0
	v_add_u32_e32 v14, s14, v14
	v_lshl_or_b32 v14, v54, 2, v14
	v_pk_mul_f32 v[38:39], s[6:7], v[16:17] op_sel_hi:[0,1]
	v_or_b32_e32 v17, 1, v14
	v_mov_b32_e32 v15, 0xff7fffff
	v_cmp_gt_i32_e64 s[4:5], s33, v14
	v_cmp_gt_i32_e64 s[34:35], s33, v17
	v_or_b32_e32 v18, 3, v14
	v_cndmask_b32_e64 v16, v15, v12, s[4:5]
	v_cndmask_b32_e64 v17, v15, v13, s[34:35]
	v_max3_f32 v16, v16, s43, v17
	v_or_b32_e32 v17, 2, v14
	v_cmp_gt_i32_e64 s[36:37], s33, v17
	v_cmp_gt_i32_e64 s[38:39], s33, v18
	v_pk_mul_f32 v[42:43], s[6:7], v[26:27] op_sel_hi:[0,1]
	v_cndmask_b32_e64 v17, v15, v50, s[36:37]
	v_cndmask_b32_e64 v18, v15, v51, s[38:39]
	v_max3_f32 v16, v16, v17, v18
	v_or_b32_e32 v17, 16, v14
	v_or_b32_e32 v18, 17, v14
	v_cmp_gt_i32_e64 s[24:25], s33, v17
	v_cmp_gt_i32_e64 s[26:27], s33, v18
	v_pk_mul_f32 v[52:53], s[6:7], v[28:29] op_sel_hi:[0,1]
	v_cndmask_b32_e64 v17, v15, v42, s[24:25]
	v_cndmask_b32_e64 v18, v15, v43, s[26:27]
	v_max3_f32 v16, v16, v17, v18
	v_or_b32_e32 v17, 18, v14
	v_or_b32_e32 v18, 19, v14
	v_cmp_gt_i32_e64 s[20:21], s33, v17
	v_cmp_gt_i32_e64 s[22:23], s33, v18
	global_load_dwordx4 v[30:33], v[56:57], off
	global_load_dwordx4 v[26:29], v[56:57], off offset:16
	v_cndmask_b32_e64 v17, v15, v52, s[20:21]
	v_cndmask_b32_e64 v18, v15, v53, s[22:23]
	v_max3_f32 v16, v16, v17, v18
	v_or_b32_e32 v17, 32, v14
	v_or_b32_e32 v18, 33, v14
	v_cmp_gt_i32_e64 s[16:17], s33, v17
	v_cmp_gt_i32_e64 s[18:19], s33, v18
	s_nop 0
	v_cndmask_b32_e64 v17, v15, v48, s[16:17]
	v_cndmask_b32_e64 v18, v15, v49, s[18:19]
	v_max3_f32 v16, v16, v17, v18
	v_or_b32_e32 v17, 34, v14
	v_or_b32_e32 v18, 35, v14
	v_cmp_gt_i32_e64 s[12:13], s33, v17
	v_cmp_gt_i32_e64 s[14:15], s33, v18
	s_nop 0
	;; [unrolled: 8-line block ×3, first 2 shown]
	v_cndmask_b32_e64 v17, v15, v44, s[8:9]
	v_cndmask_b32_e64 v18, v15, v45, s[10:11]
	v_max3_f32 v16, v16, v17, v18
	v_or_b32_e32 v17, 50, v14
	v_or_b32_e32 v14, 51, v14
	v_cmp_gt_i32_e32 vcc, s33, v17
	v_cmp_gt_i32_e64 s[6:7], s33, v14
	s_nop 0
	v_cndmask_b32_e32 v17, v15, v38, vcc
	v_cndmask_b32_e64 v14, v15, v39, s[6:7]
	v_max3_f32 v16, v16, v17, v14
	v_mbcnt_lo_u32_b32 v14, -1, 0
	v_mbcnt_hi_u32_b32 v17, -1, v14
	v_and_b32_e32 v14, 64, v17
	v_add_u32_e32 v18, 64, v14
	v_xor_b32_e32 v14, 32, v17
	v_cmp_lt_i32_e64 s[40:41], v14, v18
	s_nop 1
	v_cndmask_b32_e64 v14, v17, v14, s[40:41]
	v_lshlrev_b32_e32 v59, 2, v14
	ds_bpermute_b32 v19, v59, v16
	s_waitcnt vmcnt(5)
	v_mad_i64_i32 v[14:15], s[40:41], v55, s45, 0
	v_lshl_add_u64 v[14:15], v[14:15], 1, v[10:11]
	s_waitcnt lgkmcnt(0)
	v_max_f32_e32 v19, v19, v19
	v_max_f32_e32 v16, v16, v19
	v_xor_b32_e32 v19, 16, v17
	v_cmp_lt_i32_e64 s[40:41], v19, v18
	s_nop 1
	v_cndmask_b32_e64 v17, v17, v19, s[40:41]
	v_lshlrev_b32_e32 v57, 2, v17
	ds_bpermute_b32 v17, v57, v16
	global_load_dwordx4 v[22:25], v[14:15], off
	global_load_dwordx4 v[18:21], v[14:15], off offset:16
	s_waitcnt vmcnt(6)
	v_mad_i64_i32 v[14:15], s[40:41], v58, s45, 0
	v_lshl_add_u64 v[10:11], v[14:15], 1, v[10:11]
	s_waitcnt lgkmcnt(0)
	v_max_f32_e32 v14, v17, v17
	v_max_f32_e32 v55, v16, v14
	v_sub_f32_e32 v12, v12, v55
	v_mul_f32_e32 v12, 0x3fb8aa3b, v12
	v_exp_f32_e32 v40, v12
	v_sub_f32_e32 v12, v13, v55
	v_mul_f32_e32 v12, 0x3fb8aa3b, v12
	v_exp_f32_e32 v41, v12
	global_load_dwordx4 v[14:17], v[10:11], off
	s_nop 0
	global_load_dwordx4 v[10:13], v[10:11], off offset:16
	v_sub_f32_e32 v50, v50, v55
	v_mul_f32_e32 v50, 0x3fb8aa3b, v50
	v_sub_f32_e32 v51, v51, v55
	v_exp_f32_e32 v50, v50
	v_mul_f32_e32 v51, 0x3fb8aa3b, v51
	v_sub_f32_e32 v42, v42, v55
	v_exp_f32_e32 v51, v51
	v_mul_f32_e32 v42, 0x3fb8aa3b, v42
	v_sub_f32_e32 v43, v43, v55
	v_cndmask_b32_e64 v40, 0, v40, s[4:5]
	v_exp_f32_e32 v42, v42
	v_mul_f32_e32 v43, 0x3fb8aa3b, v43
	v_sub_f32_e32 v52, v52, v55
	v_add_f32_e32 v56, 0, v40
	v_cndmask_b32_e64 v41, 0, v41, s[34:35]
	v_exp_f32_e32 v43, v43
	v_mul_f32_e32 v52, 0x3fb8aa3b, v52
	v_sub_f32_e32 v53, v53, v55
	v_add_f32_e32 v56, v56, v41
	;; [unrolled: 5-line block ×10, first 2 shown]
	v_cndmask_b32_e64 v46, 0, v46, s[12:13]
	v_exp_f32_e32 v38, v38
	v_mul_f32_e32 v39, 0x3fb8aa3b, v39
	v_add_f32_e32 v56, v56, v46
	v_cndmask_b32_e64 v47, 0, v47, s[14:15]
	v_exp_f32_e32 v39, v39
	v_add_f32_e32 v56, v56, v47
	v_cndmask_b32_e64 v44, 0, v44, s[8:9]
	v_add_f32_e32 v56, v56, v44
	v_cndmask_b32_e64 v45, 0, v45, s[10:11]
	v_add_f32_e32 v56, v56, v45
	v_cndmask_b32_e32 v38, 0, v38, vcc
	v_add_f32_e32 v56, v56, v38
	v_cndmask_b32_e64 v39, 0, v39, s[6:7]
	v_add_f32_e32 v56, v56, v39
	ds_bpermute_b32 v58, v59, v56
	v_cmp_gt_u32_e32 vcc, 16, v37
	v_lshlrev_b32_e32 v37, 2, v36
	s_waitcnt lgkmcnt(0)
	s_barrier
	v_add_f32_e32 v56, v56, v58
	ds_bpermute_b32 v57, v57, v56
	s_waitcnt lgkmcnt(0)
	s_and_saveexec_b64 s[4:5], vcc
	s_cbranch_execz .LBB186_15
; %bb.14:
	v_add_f32_e32 v56, v56, v57
	v_lshl_or_b32 v57, v1, 6, v37
	ds_write2st64_b32 v57, v55, v56 offset1:1
.LBB186_15:
	s_or_b64 exec, exec, s[4:5]
	s_load_dword s6, s[0:1], 0x94
	s_waitcnt lgkmcnt(0)
	s_barrier
	ds_read2_b32 v[56:57], v37 offset1:16
	ds_read2_b32 v[58:59], v37 offset0:32 offset1:48
	ds_read2_b32 v[60:61], v37 offset0:64 offset1:80
	;; [unrolled: 1-line block ×3, first 2 shown]
	s_waitcnt lgkmcnt(0)
	v_max3_f32 v55, v56, s43, v57
	v_max3_f32 v55, v55, v58, v59
	v_sub_f32_e32 v56, v56, v55
	v_mul_f32_e32 v56, 0x3fb8aa3b, v56
	v_exp_f32_e32 v64, v56
	v_sub_f32_e32 v56, v57, v55
	v_mul_f32_e32 v56, 0x3fb8aa3b, v56
	v_exp_f32_e32 v57, v56
	v_sub_f32_e32 v56, v58, v55
	v_mul_f32_e32 v56, 0x3fb8aa3b, v56
	v_sub_f32_e32 v37, v59, v55
	v_exp_f32_e32 v58, v56
	v_mul_f32_e32 v37, 0x3fb8aa3b, v37
	v_exp_f32_e32 v37, v37
	v_fma_f32 v56, v64, v60, 0
	v_fmac_f32_e32 v56, v57, v61
	v_fmac_f32_e32 v56, v58, v62
	;; [unrolled: 1-line block ×3, first 2 shown]
	v_add_f32_e32 v59, 0x358637bd, v56
	v_div_scale_f32 v60, s[4:5], v59, v59, 1.0
	v_rcp_f32_e32 v61, v60
	s_barrier
	s_mul_i32 s7, s29, 15
	v_fma_f32 v62, -v60, v61, 1.0
	v_fmac_f32_e32 v61, v62, v61
	v_div_scale_f32 v62, vcc, 1.0, v59, 1.0
	v_mul_f32_e32 v63, v62, v61
	v_fma_f32 v65, -v60, v63, v62
	v_fmac_f32_e32 v63, v65, v61
	v_fma_f32 v60, -v60, v63, v62
	v_div_fmas_f32 v60, v60, v61, v63
	v_cmp_eq_u32_e32 vcc, 1, v1
	v_div_fixup_f32 v59, v60, v59, 1.0
	s_nop 0
	v_cndmask_b32_e32 v57, v64, v57, vcc
	v_cmp_eq_u32_e32 vcc, 2, v1
	s_nop 1
	v_cndmask_b32_e32 v57, v57, v58, vcc
	v_cmp_eq_u32_e32 vcc, 3, v1
	v_lshlrev_b32_e32 v1, 11, v1
	s_nop 0
	v_cndmask_b32_e32 v37, v57, v37, vcc
	v_mul_f32_e32 v58, v37, v59
	v_pk_mul_f32 v[50:51], v[58:59], v[50:51] op_sel_hi:[0,1]
	v_pk_mul_f32 v[40:41], v[58:59], v[40:41] op_sel_hi:[0,1]
	v_cvt_f16_f32_e32 v37, v40
	v_cvt_f16_f32_e32 v40, v41
	;; [unrolled: 1-line block ×4, first 2 shown]
	v_pk_mul_f32 v[52:53], v[58:59], v[52:53] op_sel_hi:[0,1]
	v_pk_mul_f32 v[42:43], v[58:59], v[42:43] op_sel_hi:[0,1]
	v_pack_b32_f16 v50, v37, v40
	v_pack_b32_f16 v51, v41, v51
	v_cvt_f16_f32_e32 v41, v42
	v_cvt_f16_f32_e32 v42, v43
	;; [unrolled: 1-line block ×4, first 2 shown]
	v_lshlrev_b32_e32 v37, 3, v54
	v_lshlrev_b32_e32 v40, 5, v36
	v_or3_b32 v1, v1, v40, v37
	v_pack_b32_f16 v42, v41, v42
	v_pack_b32_f16 v43, v43, v52
	ds_write2st64_b64 v1, v[50:51], v[42:43] offset1:1
	v_pk_mul_f32 v[42:43], v[58:59], v[46:47] op_sel_hi:[0,1]
	v_pk_mul_f32 v[46:47], v[58:59], v[48:49] op_sel_hi:[0,1]
	v_cvt_f16_f32_e32 v37, v46
	v_cvt_f16_f32_e32 v41, v47
	;; [unrolled: 1-line block ×4, first 2 shown]
	v_pk_mul_f32 v[38:39], v[58:59], v[38:39] op_sel_hi:[0,1]
	v_pk_mul_f32 v[42:43], v[58:59], v[44:45] op_sel_hi:[0,1]
	v_cvt_f16_f32_e32 v42, v42
	v_cvt_f16_f32_e32 v43, v43
	;; [unrolled: 1-line block ×4, first 2 shown]
	v_pack_b32_f16 v38, v37, v41
	v_pack_b32_f16 v39, v46, v47
	;; [unrolled: 1-line block ×4, first 2 shown]
	v_cmp_gt_u32_e32 vcc, 15, v0
	ds_write2st64_b64 v1, v[38:39], v[42:43] offset0:2 offset1:3
	s_and_saveexec_b64 s[4:5], vcc
	s_cbranch_execz .LBB186_17
; %bb.16:
	s_mov_b32 s43, 0
	v_mov_b32_e32 v37, 0
	v_lshl_add_u64 v[38:39], s[42:43], 0, v[36:37]
	v_mov_b32_e32 v36, s7
	v_mad_u64_u32 v[38:39], s[12:13], s2, v36, v[38:39]
	v_mov_b32_e32 v36, s28
	s_load_dwordx4 s[8:11], s[0:1], 0x58
	s_mul_i32 s3, s3, s7
	v_mad_u64_u32 v[36:37], s[12:13], v38, s6, v[36:37]
	v_add_u32_e32 v39, s3, v39
	v_mov_b32_e32 v38, v37
	v_mad_u64_u32 v[38:39], s[12:13], v39, s6, v[38:39]
	v_mov_b32_e32 v37, v38
	v_lshlrev_b64 v[36:37], 2, v[36:37]
	s_waitcnt lgkmcnt(0)
	v_lshl_add_u64 v[38:39], s[10:11], 0, v[36:37]
	v_lshl_add_u64 v[36:37], s[8:9], 0, v[36:37]
	global_store_dword v[38:39], v55, off
	global_store_dword v[36:37], v56, off
.LBB186_17:
	s_or_b64 exec, exec, s[4:5]
	v_lshl_or_b32 v48, v54, 9, v40
	s_waitcnt lgkmcnt(0)
	s_barrier
	ds_read_b128 v[36:39], v48
	ds_read_b128 v[40:43], v48 offset:16
	s_waitcnt vmcnt(7) lgkmcnt(1)
	v_mfma_f32_16x16x16_f16 v[44:47], v[6:7], v[36:37], 0
	v_cmp_gt_u32_e32 vcc, 64, v0
	s_mov_b32 s3, 0
	s_and_b64 s[4:5], vcc, s[30:31]
	v_mfma_f32_16x16x16_f16 v[6:9], v[8:9], v[38:39], v[44:47]
	s_waitcnt vmcnt(6) lgkmcnt(0)
	v_mfma_f32_16x16x16_f16 v[6:9], v[2:3], v[40:41], v[6:9]
	v_mfma_f32_16x16x16_f16 v[2:5], v[4:5], v[42:43], v[6:9]
	s_nop 5
	ds_read_b128 v[6:9], v48 offset:2048
	ds_read_b128 v[36:39], v48 offset:2064
	s_waitcnt vmcnt(5) lgkmcnt(1)
	v_mfma_f32_16x16x16_f16 v[2:5], v[30:31], v[6:7], v[2:5]
	v_mfma_f32_16x16x16_f16 v[2:5], v[32:33], v[8:9], v[2:5]
	s_waitcnt vmcnt(4) lgkmcnt(0)
	v_mfma_f32_16x16x16_f16 v[2:5], v[26:27], v[36:37], v[2:5]
	v_mfma_f32_16x16x16_f16 v[2:5], v[28:29], v[38:39], v[2:5]
	ds_read_b128 v[6:9], v48 offset:4096
	ds_read_b128 v[26:29], v48 offset:4112
	s_waitcnt vmcnt(3) lgkmcnt(1)
	v_mfma_f32_16x16x16_f16 v[2:5], v[22:23], v[6:7], v[2:5]
	v_mfma_f32_16x16x16_f16 v[2:5], v[24:25], v[8:9], v[2:5]
	s_waitcnt vmcnt(2) lgkmcnt(0)
	v_mfma_f32_16x16x16_f16 v[2:5], v[18:19], v[26:27], v[2:5]
	v_mfma_f32_16x16x16_f16 v[2:5], v[20:21], v[28:29], v[2:5]
	ds_read_b128 v[6:9], v48 offset:6144
	ds_read_b128 v[18:21], v48 offset:6160
	s_waitcnt lgkmcnt(0)
	s_barrier
	s_waitcnt vmcnt(1)
	v_mfma_f32_16x16x16_f16 v[2:5], v[14:15], v[6:7], v[2:5]
	v_mfma_f32_16x16x16_f16 v[2:5], v[16:17], v[8:9], v[2:5]
	s_waitcnt vmcnt(0)
	v_mfma_f32_16x16x16_f16 v[2:5], v[10:11], v[18:19], v[2:5]
	v_mfma_f32_16x16x16_f16 v[2:5], v[12:13], v[20:21], v[2:5]
	s_nop 6
	v_cvt_f16_f32_e32 v2, v2
	v_cvt_f16_f32_e32 v3, v3
	;; [unrolled: 1-line block ×4, first 2 shown]
	v_pack_b32_f16 v2, v2, v3
	v_pack_b32_f16 v3, v4, v5
	ds_write_b64 v1, v[2:3]
	s_waitcnt lgkmcnt(0)
	s_barrier
	s_and_saveexec_b64 s[8:9], s[4:5]
	s_cbranch_execz .LBB186_20
; %bb.18:
	s_load_dwordx2 s[4:5], s[0:1], 0x68
	s_lshl_b32 s0, s6, 6
	s_mul_i32 s1, s7, s2
	s_mul_hi_u32 s7, s1, s0
	s_mul_i32 s6, s1, s0
	v_lshlrev_b32_e32 v1, 10, v0
	v_lshlrev_b32_e32 v0, 4, v0
	s_lshl_b64 s[6:7], s[6:7], 1
	v_and_b32_e32 v1, 0x1800, v1
	v_lshlrev_b32_e32 v2, 5, v54
	v_and_b32_e32 v0, 16, v0
	s_waitcnt lgkmcnt(0)
	s_add_u32 s1, s4, s6
	v_or3_b32 v2, v1, v2, v0
	s_addc_u32 s4, s5, s7
	s_lshl_b32 s2, s28, 6
	ds_read_b128 v[4:7], v2 offset:256
	s_lshl_b64 s[2:3], s[2:3], 1
	ds_read_b128 v[8:11], v2 offset:128
	ds_read_b128 v[12:15], v2
	s_add_u32 s2, s1, s2
	s_addc_u32 s3, s4, s3
	v_add_u32_e32 v3, s42, v54
	v_lshl_add_u64 v[0:1], v[34:35], 1, s[2:3]
	v_mad_u64_u32 v[16:17], s[2:3], v3, s0, 0
	v_lshl_add_u64 v[16:17], v[16:17], 1, v[0:1]
	s_waitcnt lgkmcnt(0)
	global_store_dwordx4 v[16:17], v[12:15], off
	v_cmp_ne_u32_e32 vcc, 3, v54
	s_nop 0
	v_add_u32_e32 v12, 4, v3
	v_mad_u64_u32 v[12:13], s[2:3], v12, s0, 0
	v_lshl_add_u64 v[12:13], v[12:13], 1, v[0:1]
	v_add_u32_e32 v3, 8, v3
	global_store_dwordx4 v[12:13], v[8:11], off
	s_nop 1
	v_mad_u64_u32 v[8:9], s[2:3], v3, s0, 0
	v_lshl_add_u64 v[8:9], v[8:9], 1, v[0:1]
	global_store_dwordx4 v[8:9], v[4:7], off
	s_and_b64 exec, exec, vcc
	s_cbranch_execz .LBB186_20
; %bb.19:
	ds_read_b128 v[2:5], v2 offset:384
	v_add3_u32 v6, s42, v54, 12
	v_mad_u64_u32 v[6:7], s[0:1], v6, s0, 0
	v_lshl_add_u64 v[0:1], v[6:7], 1, v[0:1]
	s_waitcnt lgkmcnt(0)
	global_store_dwordx4 v[0:1], v[2:5], off
.LBB186_20:
	s_endpgm
	.section	.rodata,"a",@progbits
	.p2align	6, 0x0
	.amdhsa_kernel _Z39paged_attention_ll4mi_QKV_mfma16_kernelIDF16_DF16_LN4vllm18Fp8KVCacheDataTypeE0EDF16_Li32ELi64ELi256ELb0ELi15EEvPKT_PKT0_S7_ifPKiS9_S9_iPKfiiiPfSC_PS2_PT2_iSB_SB_
		.amdhsa_group_segment_fixed_size 8192
		.amdhsa_private_segment_fixed_size 0
		.amdhsa_kernarg_size 400
		.amdhsa_user_sgpr_count 2
		.amdhsa_user_sgpr_dispatch_ptr 0
		.amdhsa_user_sgpr_queue_ptr 0
		.amdhsa_user_sgpr_kernarg_segment_ptr 1
		.amdhsa_user_sgpr_dispatch_id 0
		.amdhsa_user_sgpr_kernarg_preload_length 0
		.amdhsa_user_sgpr_kernarg_preload_offset 0
		.amdhsa_user_sgpr_private_segment_size 0
		.amdhsa_uses_dynamic_stack 0
		.amdhsa_enable_private_segment 0
		.amdhsa_system_sgpr_workgroup_id_x 1
		.amdhsa_system_sgpr_workgroup_id_y 1
		.amdhsa_system_sgpr_workgroup_id_z 1
		.amdhsa_system_sgpr_workgroup_info 0
		.amdhsa_system_vgpr_workitem_id 0
		.amdhsa_next_free_vgpr 67
		.amdhsa_next_free_sgpr 48
		.amdhsa_accum_offset 68
		.amdhsa_reserve_vcc 1
		.amdhsa_float_round_mode_32 0
		.amdhsa_float_round_mode_16_64 0
		.amdhsa_float_denorm_mode_32 3
		.amdhsa_float_denorm_mode_16_64 3
		.amdhsa_dx10_clamp 1
		.amdhsa_ieee_mode 1
		.amdhsa_fp16_overflow 0
		.amdhsa_tg_split 0
		.amdhsa_exception_fp_ieee_invalid_op 0
		.amdhsa_exception_fp_denorm_src 0
		.amdhsa_exception_fp_ieee_div_zero 0
		.amdhsa_exception_fp_ieee_overflow 0
		.amdhsa_exception_fp_ieee_underflow 0
		.amdhsa_exception_fp_ieee_inexact 0
		.amdhsa_exception_int_div_zero 0
	.end_amdhsa_kernel
	.section	.text._Z39paged_attention_ll4mi_QKV_mfma16_kernelIDF16_DF16_LN4vllm18Fp8KVCacheDataTypeE0EDF16_Li32ELi64ELi256ELb0ELi15EEvPKT_PKT0_S7_ifPKiS9_S9_iPKfiiiPfSC_PS2_PT2_iSB_SB_,"axG",@progbits,_Z39paged_attention_ll4mi_QKV_mfma16_kernelIDF16_DF16_LN4vllm18Fp8KVCacheDataTypeE0EDF16_Li32ELi64ELi256ELb0ELi15EEvPKT_PKT0_S7_ifPKiS9_S9_iPKfiiiPfSC_PS2_PT2_iSB_SB_,comdat
.Lfunc_end186:
	.size	_Z39paged_attention_ll4mi_QKV_mfma16_kernelIDF16_DF16_LN4vllm18Fp8KVCacheDataTypeE0EDF16_Li32ELi64ELi256ELb0ELi15EEvPKT_PKT0_S7_ifPKiS9_S9_iPKfiiiPfSC_PS2_PT2_iSB_SB_, .Lfunc_end186-_Z39paged_attention_ll4mi_QKV_mfma16_kernelIDF16_DF16_LN4vllm18Fp8KVCacheDataTypeE0EDF16_Li32ELi64ELi256ELb0ELi15EEvPKT_PKT0_S7_ifPKiS9_S9_iPKfiiiPfSC_PS2_PT2_iSB_SB_
                                        ; -- End function
	.section	.AMDGPU.csdata,"",@progbits
; Kernel info:
; codeLenInByte = 3936
; NumSgprs: 54
; NumVgprs: 67
; NumAgprs: 0
; TotalNumVgprs: 67
; ScratchSize: 0
; MemoryBound: 0
; FloatMode: 240
; IeeeMode: 1
; LDSByteSize: 8192 bytes/workgroup (compile time only)
; SGPRBlocks: 6
; VGPRBlocks: 8
; NumSGPRsForWavesPerEU: 54
; NumVGPRsForWavesPerEU: 67
; AccumOffset: 68
; Occupancy: 7
; WaveLimiterHint : 1
; COMPUTE_PGM_RSRC2:SCRATCH_EN: 0
; COMPUTE_PGM_RSRC2:USER_SGPR: 2
; COMPUTE_PGM_RSRC2:TRAP_HANDLER: 0
; COMPUTE_PGM_RSRC2:TGID_X_EN: 1
; COMPUTE_PGM_RSRC2:TGID_Y_EN: 1
; COMPUTE_PGM_RSRC2:TGID_Z_EN: 1
; COMPUTE_PGM_RSRC2:TIDIG_COMP_CNT: 0
; COMPUTE_PGM_RSRC3_GFX90A:ACCUM_OFFSET: 16
; COMPUTE_PGM_RSRC3_GFX90A:TG_SPLIT: 0
	.section	.text._Z39paged_attention_ll4mi_QKV_mfma16_kernelIDF16_DF16_LN4vllm18Fp8KVCacheDataTypeE0EDF16_Li32ELi64ELi256ELb0ELi16EEvPKT_PKT0_S7_ifPKiS9_S9_iPKfiiiPfSC_PS2_PT2_iSB_SB_,"axG",@progbits,_Z39paged_attention_ll4mi_QKV_mfma16_kernelIDF16_DF16_LN4vllm18Fp8KVCacheDataTypeE0EDF16_Li32ELi64ELi256ELb0ELi16EEvPKT_PKT0_S7_ifPKiS9_S9_iPKfiiiPfSC_PS2_PT2_iSB_SB_,comdat
	.protected	_Z39paged_attention_ll4mi_QKV_mfma16_kernelIDF16_DF16_LN4vllm18Fp8KVCacheDataTypeE0EDF16_Li32ELi64ELi256ELb0ELi16EEvPKT_PKT0_S7_ifPKiS9_S9_iPKfiiiPfSC_PS2_PT2_iSB_SB_ ; -- Begin function _Z39paged_attention_ll4mi_QKV_mfma16_kernelIDF16_DF16_LN4vllm18Fp8KVCacheDataTypeE0EDF16_Li32ELi64ELi256ELb0ELi16EEvPKT_PKT0_S7_ifPKiS9_S9_iPKfiiiPfSC_PS2_PT2_iSB_SB_
	.globl	_Z39paged_attention_ll4mi_QKV_mfma16_kernelIDF16_DF16_LN4vllm18Fp8KVCacheDataTypeE0EDF16_Li32ELi64ELi256ELb0ELi16EEvPKT_PKT0_S7_ifPKiS9_S9_iPKfiiiPfSC_PS2_PT2_iSB_SB_
	.p2align	8
	.type	_Z39paged_attention_ll4mi_QKV_mfma16_kernelIDF16_DF16_LN4vllm18Fp8KVCacheDataTypeE0EDF16_Li32ELi64ELi256ELb0ELi16EEvPKT_PKT0_S7_ifPKiS9_S9_iPKfiiiPfSC_PS2_PT2_iSB_SB_,@function
_Z39paged_attention_ll4mi_QKV_mfma16_kernelIDF16_DF16_LN4vllm18Fp8KVCacheDataTypeE0EDF16_Li32ELi64ELi256ELb0ELi16EEvPKT_PKT0_S7_ifPKiS9_S9_iPKfiiiPfSC_PS2_PT2_iSB_SB_: ; @_Z39paged_attention_ll4mi_QKV_mfma16_kernelIDF16_DF16_LN4vllm18Fp8KVCacheDataTypeE0EDF16_Li32ELi64ELi256ELb0ELi16EEvPKT_PKT0_S7_ifPKiS9_S9_iPKfiiiPfSC_PS2_PT2_iSB_SB_
; %bb.0:
	s_load_dwordx2 s[6:7], s[0:1], 0x30
	s_mov_b32 s28, s3
	s_mov_b64 s[10:11], 0
	s_waitcnt lgkmcnt(0)
	s_cmp_lg_u64 s[6:7], 0
	s_cselect_b64 s[8:9], -1, 0
	s_and_b64 vcc, exec, s[8:9]
	s_cbranch_vccz .LBB187_7
; %bb.1:
	s_add_i32 s12, s2, 1
	s_mov_b32 s13, 0
	s_lshl_b64 s[14:15], s[12:13], 2
	s_add_u32 s14, s6, s14
	s_mov_b32 s3, s13
	s_addc_u32 s15, s7, s15
	s_lshl_b64 s[12:13], s[2:3], 2
	s_add_u32 s12, s6, s12
	s_addc_u32 s13, s7, s13
	s_load_dword s5, s[14:15], 0x0
	s_load_dword s16, s[12:13], 0x0
	s_waitcnt lgkmcnt(0)
	s_sub_i32 s5, s5, s16
	s_cmp_eq_u32 s5, 1
	s_cselect_b64 s[12:13], -1, 0
	s_andn2_b64 vcc, exec, s[10:11]
	s_cbranch_vccnz .LBB187_3
.LBB187_2:
	s_mov_b32 s3, 0
	s_mov_b64 s[12:13], -1
.LBB187_3:
	s_andn2_b64 vcc, exec, s[12:13]
	s_cbranch_vccnz .LBB187_19
; %bb.4:
	s_load_dwordx2 s[12:13], s[0:1], 0x28
	s_lshl_b64 s[10:11], s[2:3], 2
	s_waitcnt lgkmcnt(0)
	s_add_u32 s12, s12, s10
	s_addc_u32 s13, s13, s11
	s_load_dword s40, s[12:13], 0x0
	s_lshl_b32 s14, s28, 8
	s_waitcnt lgkmcnt(0)
	s_cmp_ge_i32 s14, s40
	s_cbranch_scc1 .LBB187_19
; %bb.5:
	s_load_dwordx2 s[12:13], s[0:1], 0x20
	s_load_dword s5, s[0:1], 0x38
	s_add_i32 s15, s40, 31
	s_ashr_i32 s16, s15, 31
	v_and_b32_e32 v1, 0xcf, v0
	s_lshr_b32 s16, s16, 27
	v_add_u32_e32 v1, s14, v1
	s_add_i32 s15, s15, s16
	v_ashrrev_i32_e32 v2, 31, v1
	s_ashr_i32 s15, s15, 5
	v_lshrrev_b32_e32 v10, 27, v2
	s_add_i32 s15, s15, -1
	s_waitcnt lgkmcnt(0)
	s_mul_i32 s16, s2, s5
	s_mov_b32 s17, 0
	v_add_u32_e32 v2, v1, v10
	s_lshl_b64 s[16:17], s[16:17], 2
	v_ashrrev_i32_e32 v2, 5, v2
	v_mov_b32_e32 v11, s15
	v_cmp_gt_i32_e32 vcc, s40, v1
	s_add_u32 s12, s12, s16
	s_addc_u32 s13, s13, s17
	v_cndmask_b32_e32 v2, v11, v2, vcc
	v_ashrrev_i32_e32 v3, 31, v2
	v_lshl_add_u64 v[4:5], v[2:3], 2, s[12:13]
	v_or_b32_e32 v2, 16, v1
	v_add_u32_e32 v3, v2, v10
	v_ashrrev_i32_e32 v3, 5, v3
	v_cmp_gt_i32_e32 vcc, s40, v2
	s_nop 1
	v_cndmask_b32_e32 v2, v11, v3, vcc
	v_ashrrev_i32_e32 v3, 31, v2
	v_lshl_add_u64 v[6:7], v[2:3], 2, s[12:13]
	v_or_b32_e32 v2, 32, v1
	v_add_u32_e32 v3, v2, v10
	v_ashrrev_i32_e32 v3, 5, v3
	v_cmp_gt_i32_e32 vcc, s40, v2
	v_or_b32_e32 v1, 48, v1
	s_nop 0
	v_cndmask_b32_e32 v2, v11, v3, vcc
	v_ashrrev_i32_e32 v3, 31, v2
	v_lshl_add_u64 v[8:9], v[2:3], 2, s[12:13]
	v_add_u32_e32 v2, v1, v10
	v_ashrrev_i32_e32 v2, 5, v2
	v_cmp_gt_i32_e32 vcc, s40, v1
	s_nop 1
	v_cndmask_b32_e32 v2, v11, v2, vcc
	v_ashrrev_i32_e32 v3, 31, v2
	v_lshl_add_u64 v[12:13], v[2:3], 2, s[12:13]
	global_load_dword v3, v[4:5], off
	global_load_dword v2, v[6:7], off
	global_load_dword v10, v[8:9], off
	global_load_dword v18, v[12:13], off
	s_andn2_b64 vcc, exec, s[8:9]
	s_cbranch_vccnz .LBB187_8
; %bb.6:
	s_add_u32 s6, s6, s10
	s_addc_u32 s7, s7, s11
	s_load_dword s5, s[6:7], 0x0
	s_branch .LBB187_9
.LBB187_7:
	s_mov_b64 s[12:13], 0
	s_branch .LBB187_2
.LBB187_8:
	s_mov_b32 s5, s2
.LBB187_9:
	s_load_dwordx4 s[8:11], s[0:1], 0x8
	s_load_dwordx4 s[44:47], s[0:1], 0x48
	v_and_b32_e32 v53, 15, v0
	s_movk_i32 s6, 0xff
	v_cmp_lt_u32_e32 vcc, s6, v0
	v_cmp_lt_u32_e64 s[6:7], 7, v53
	v_lshlrev_b32_e32 v34, 3, v53
	v_cmp_gt_u32_e64 s[30:31], 8, v53
	s_or_b64 s[6:7], vcc, s[6:7]
	s_and_saveexec_b64 s[16:17], s[6:7]
	s_xor_b64 s[6:7], exec, s[16:17]
; %bb.10:
	v_mov_b32_e32 v35, 0
; %bb.11:
	s_or_saveexec_b64 s[6:7], s[6:7]
	v_lshrrev_b32_e32 v54, 6, v0
	v_and_b32_e32 v55, 63, v0
	s_lshl_b32 s29, s4, 4
	v_bfe_u32 v1, v0, 4, 2
	s_xor_b64 exec, exec, s[6:7]
	s_cbranch_execz .LBB187_13
; %bb.12:
	s_load_dwordx2 s[16:17], s[0:1], 0x0
	s_waitcnt lgkmcnt(0)
	s_ashr_i32 s18, s44, 31
	s_mul_hi_u32 s19, s5, s44
	s_mul_i32 s18, s5, s18
	s_add_i32 s19, s19, s18
	s_mul_i32 s18, s5, s44
	v_lshl_or_b32 v8, v54, 2, v1
	s_lshl_b64 s[18:19], s[18:19], 1
	s_add_u32 s16, s16, s18
	v_add_lshl_u32 v4, v8, s29, 6
	s_addc_u32 s17, s17, s19
	v_ashrrev_i32_e32 v5, 31, v4
	v_mov_b32_e32 v35, 0
	v_lshl_add_u64 v[4:5], v[4:5], 1, s[16:17]
	v_lshlrev_b32_e32 v6, 1, v34
	v_mov_b32_e32 v7, v35
	v_lshl_add_u64 v[4:5], v[4:5], 0, v[6:7]
	global_load_dwordx4 v[4:7], v[4:5], off
	v_and_b32_e32 v9, 3, v0
	v_lshlrev_b32_e32 v11, 9, v53
	v_lshlrev_b32_e32 v8, 5, v8
	;; [unrolled: 1-line block ×3, first 2 shown]
	v_and_b32_e32 v11, 0x1800, v11
	v_or3_b32 v8, v11, v9, v8
	s_waitcnt vmcnt(0)
	ds_write_b128 v8, v[4:7]
.LBB187_13:
	s_or_b64 exec, exec, s[6:7]
	s_waitcnt lgkmcnt(0)
	s_mul_i32 s4, s4, s46
	s_mov_b32 s5, 0
	s_lshl_b64 s[4:5], s[4:5], 1
	s_add_u32 s8, s8, s4
	s_addc_u32 s9, s9, s5
	s_waitcnt vmcnt(3)
	v_mad_i64_i32 v[4:5], s[16:17], v3, s45, 0
	v_lshl_add_u64 v[4:5], v[4:5], 1, s[8:9]
	v_lshlrev_b64 v[12:13], 1, v[34:35]
	v_lshlrev_b32_e32 v36, 9, v1
	v_lshl_add_u64 v[4:5], v[4:5], 0, v[12:13]
	v_mov_b32_e32 v37, 0
	v_lshl_add_u64 v[20:21], v[4:5], 0, v[36:37]
	s_waitcnt vmcnt(2)
	v_mad_i64_i32 v[2:3], s[16:17], v2, s45, 0
	v_mov_b32_e32 v4, 0x100
	v_lshl_add_u64 v[2:3], v[2:3], 1, s[8:9]
	v_lshl_or_b32 v38, v53, 4, v4
	v_mov_b32_e32 v39, v37
	s_load_dword s33, s[0:1], 0x98
	s_load_dword s6, s[0:1], 0x1c
	s_waitcnt lgkmcnt(0)
	s_barrier
	v_lshl_add_u64 v[2:3], v[2:3], 0, v[38:39]
	global_load_dwordx4 v[6:9], v[20:21], off
	v_lshl_add_u64 v[22:23], v[2:3], 0, v[36:37]
	global_load_dwordx4 v[2:5], v[22:23], off
	s_waitcnt vmcnt(3)
	v_mad_i64_i32 v[10:11], s[16:17], v10, s45, 0
	v_lshl_add_u64 v[10:11], v[10:11], 1, s[8:9]
	v_lshl_add_u64 v[10:11], v[10:11], 0, v[12:13]
	;; [unrolled: 1-line block ×3, first 2 shown]
	global_load_dwordx4 v[14:17], v[24:25], off
	global_load_dwordx4 v[10:13], v[20:21], off offset:2048
	global_load_dwordx4 v[26:29], v[22:23], off offset:2048
	;; [unrolled: 1-line block ×3, first 2 shown]
	s_waitcnt vmcnt(6)
	v_mad_i64_i32 v[40:41], s[16:17], v18, s45, 0
	v_lshl_add_u64 v[40:41], v[40:41], 1, s[8:9]
	v_lshl_add_u64 v[38:39], v[40:41], 0, v[38:39]
	v_lshl_or_b32 v52, v53, 5, v36
	v_lshl_add_u64 v[38:39], v[38:39], 0, v[36:37]
	ds_read_b128 v[22:25], v52
	ds_read_b128 v[18:21], v52 offset:2048
	global_load_dwordx4 v[44:47], v[38:39], off
	global_load_dwordx4 v[60:63], v[38:39], off offset:2048
	s_ashr_i32 s7, s14, 31
	v_and_or_b32 v64, v0, 48, s14
	s_lshr_b32 s7, s7, 27
	v_add_u32_e32 v40, s7, v64
	v_mov_b32_e32 v65, s15
	v_or_b32_e32 v48, 64, v64
	v_ashrrev_i32_e32 v36, 5, v40
	v_cmp_gt_i32_e32 vcc, s40, v64
	v_add_u32_e32 v41, s7, v48
	v_ashrrev_i32_e32 v49, 5, v41
	v_cndmask_b32_e32 v40, v65, v36, vcc
	v_ashrrev_i32_e32 v41, 31, v40
	v_lshl_add_u64 v[40:41], v[40:41], 2, s[12:13]
	v_cmp_gt_i32_e32 vcc, s40, v48
	global_load_dword v66, v[40:41], off
	v_or_b32_e32 v39, 0x80, v64
	v_and_b32_e32 v36, 16, v0
	s_add_u32 s4, s10, s4
	v_lshlrev_b32_e32 v38, 6, v53
	s_addc_u32 s5, s11, s5
	v_lshlrev_b32_e32 v36, 1, v36
	s_mov_b32 s42, 0xff7fffff
	s_waitcnt vmcnt(6) lgkmcnt(1)
	v_mfma_f32_16x16x16_f16 v[56:59], v[14:15], v[22:23], 0
	v_mfma_f32_16x16x16_f16 v[40:43], v[6:7], v[22:23], 0
	v_cndmask_b32_e32 v6, v65, v49, vcc
	v_ashrrev_i32_e32 v7, 31, v6
	v_cmp_gt_i32_e32 vcc, s40, v39
	v_mfma_f32_16x16x16_f16 v[48:51], v[2:3], v[22:23], 0
	v_lshl_add_u64 v[2:3], v[6:7], 2, s[12:13]
	global_load_dword v67, v[2:3], off
	v_mfma_f32_16x16x16_f16 v[6:9], v[8:9], v[24:25], v[40:43]
	v_mfma_f32_16x16x16_f16 v[2:5], v[4:5], v[24:25], v[48:51]
	s_nop 1
	v_or_b32_e32 v40, 0xc0, v64
	v_add_u32_e32 v41, s7, v39
	v_add_u32_e32 v42, s7, v40
	s_waitcnt vmcnt(6) lgkmcnt(0)
	v_mfma_f32_16x16x16_f16 v[6:9], v[10:11], v[18:19], v[6:9]
	v_ashrrev_i32_e32 v41, 5, v41
	v_ashrrev_i32_e32 v43, 5, v42
	v_cndmask_b32_e32 v42, v65, v41, vcc
	v_cmp_gt_i32_e32 vcc, s40, v40
	s_waitcnt vmcnt(5)
	v_mfma_f32_16x16x16_f16 v[2:5], v[26:27], v[18:19], v[2:5]
	v_lshl_add_u64 v[10:11], s[4:5], 0, v[36:37]
	v_cndmask_b32_e32 v26, v65, v43, vcc
	v_ashrrev_i32_e32 v43, 31, v42
	v_lshl_or_b32 v36, v54, 10, v38
	v_ashrrev_i32_e32 v27, 31, v26
	v_mfma_f32_16x16x16_f16 v[38:41], v[12:13], v[20:21], v[6:9]
	v_lshl_add_u64 v[10:11], v[10:11], 0, v[36:37]
	s_waitcnt vmcnt(0)
	v_mad_i64_i32 v[12:13], s[4:5], v67, s45, 0
	v_lshl_add_u64 v[6:7], v[42:43], 2, s[12:13]
	v_mfma_f32_16x16x16_f16 v[14:17], v[16:17], v[24:25], v[56:59]
	v_lshl_add_u64 v[8:9], v[26:27], 2, s[12:13]
	s_nop 1
	global_load_dword v58, v[6:7], off
	global_load_dword v59, v[8:9], off
	v_lshl_add_u64 v[56:57], v[12:13], 1, v[10:11]
	v_mfma_f32_16x16x16_f16 v[14:17], v[30:31], v[18:19], v[14:17]
	v_pk_mul_f32 v[12:13], s[6:7], v[38:39] op_sel_hi:[0,1]
	v_pk_mul_f32 v[48:49], s[6:7], v[40:41] op_sel_hi:[0,1]
	v_mfma_f32_16x16x16_f16 v[14:17], v[32:33], v[20:21], v[14:17]
	v_mfma_f32_16x16x16_f16 v[30:33], v[44:45], v[22:23], 0
	;; [unrolled: 1-line block ×3, first 2 shown]
	s_nop 4
	v_pk_mul_f32 v[44:45], s[6:7], v[16:17] op_sel_hi:[0,1]
	v_pk_mul_f32 v[46:47], s[6:7], v[14:15] op_sel_hi:[0,1]
	v_mfma_f32_16x16x16_f16 v[22:25], v[60:61], v[18:19], v[22:25]
	v_mfma_f32_16x16x16_f16 v[14:17], v[62:63], v[20:21], v[22:25]
	;; [unrolled: 1-line block ×3, first 2 shown]
	s_nop 5
	v_pk_mul_f32 v[42:43], s[6:7], v[14:15] op_sel_hi:[0,1]
	v_and_b32_e32 v14, 0xc0, v0
	v_add_u32_e32 v14, s14, v14
	v_lshl_or_b32 v14, v1, 2, v14
	v_mad_i64_i32 v[2:3], s[4:5], v66, s45, 0
	v_pk_mul_f32 v[36:37], s[6:7], v[16:17] op_sel_hi:[0,1]
	v_or_b32_e32 v17, 1, v14
	v_mov_b32_e32 v15, 0xff7fffff
	v_cmp_gt_i32_e64 s[4:5], s40, v14
	v_cmp_gt_i32_e64 s[34:35], s40, v17
	v_or_b32_e32 v18, 3, v14
	v_cndmask_b32_e64 v16, v15, v12, s[4:5]
	v_cndmask_b32_e64 v17, v15, v13, s[34:35]
	v_max3_f32 v16, v16, s42, v17
	v_or_b32_e32 v17, 2, v14
	v_cmp_gt_i32_e64 s[36:37], s40, v17
	v_cmp_gt_i32_e64 s[38:39], s40, v18
	v_pk_mul_f32 v[40:41], s[6:7], v[26:27] op_sel_hi:[0,1]
	v_cndmask_b32_e64 v17, v15, v48, s[36:37]
	v_cndmask_b32_e64 v18, v15, v49, s[38:39]
	v_max3_f32 v16, v16, v17, v18
	v_or_b32_e32 v17, 16, v14
	v_or_b32_e32 v18, 17, v14
	v_cmp_gt_i32_e64 s[24:25], s40, v17
	v_cmp_gt_i32_e64 s[26:27], s40, v18
	v_pk_mul_f32 v[50:51], s[6:7], v[28:29] op_sel_hi:[0,1]
	v_cndmask_b32_e64 v17, v15, v40, s[24:25]
	v_cndmask_b32_e64 v18, v15, v41, s[26:27]
	v_max3_f32 v16, v16, v17, v18
	v_or_b32_e32 v17, 18, v14
	v_or_b32_e32 v18, 19, v14
	v_cmp_gt_i32_e64 s[20:21], s40, v17
	v_cmp_gt_i32_e64 s[22:23], s40, v18
	v_lshl_add_u64 v[2:3], v[2:3], 1, v[10:11]
	v_cndmask_b32_e64 v17, v15, v50, s[20:21]
	v_cndmask_b32_e64 v18, v15, v51, s[22:23]
	v_max3_f32 v16, v16, v17, v18
	v_or_b32_e32 v17, 32, v14
	v_or_b32_e32 v18, 33, v14
	v_cmp_gt_i32_e64 s[16:17], s40, v17
	v_cmp_gt_i32_e64 s[18:19], s40, v18
	global_load_dwordx4 v[6:9], v[2:3], off
	s_nop 0
	global_load_dwordx4 v[2:5], v[2:3], off offset:16
	v_cndmask_b32_e64 v17, v15, v46, s[16:17]
	v_cndmask_b32_e64 v18, v15, v47, s[18:19]
	v_max3_f32 v16, v16, v17, v18
	v_or_b32_e32 v17, 34, v14
	v_or_b32_e32 v18, 35, v14
	v_cmp_gt_i32_e64 s[12:13], s40, v17
	v_cmp_gt_i32_e64 s[14:15], s40, v18
	global_load_dwordx4 v[30:33], v[56:57], off
	global_load_dwordx4 v[26:29], v[56:57], off offset:16
	v_cndmask_b32_e64 v17, v15, v44, s[12:13]
	v_cndmask_b32_e64 v18, v15, v45, s[14:15]
	v_max3_f32 v16, v16, v17, v18
	v_or_b32_e32 v17, 48, v14
	v_or_b32_e32 v18, 49, v14
	v_cmp_gt_i32_e64 s[8:9], s40, v17
	v_cmp_gt_i32_e64 s[10:11], s40, v18
	s_nop 0
	v_cndmask_b32_e64 v17, v15, v42, s[8:9]
	v_cndmask_b32_e64 v18, v15, v43, s[10:11]
	v_max3_f32 v16, v16, v17, v18
	v_or_b32_e32 v17, 50, v14
	v_or_b32_e32 v14, 51, v14
	v_cmp_gt_i32_e32 vcc, s40, v17
	v_cmp_gt_i32_e64 s[6:7], s40, v14
	s_nop 0
	v_cndmask_b32_e32 v17, v15, v36, vcc
	v_cndmask_b32_e64 v14, v15, v37, s[6:7]
	v_max3_f32 v16, v16, v17, v14
	v_mbcnt_lo_u32_b32 v14, -1, 0
	v_mbcnt_hi_u32_b32 v17, -1, v14
	v_and_b32_e32 v14, 64, v17
	v_add_u32_e32 v18, 64, v14
	v_xor_b32_e32 v14, 32, v17
	v_cmp_lt_i32_e64 s[40:41], v14, v18
	s_nop 1
	v_cndmask_b32_e64 v14, v17, v14, s[40:41]
	v_lshlrev_b32_e32 v60, 2, v14
	ds_bpermute_b32 v19, v60, v16
	s_waitcnt vmcnt(5)
	v_mad_i64_i32 v[14:15], s[40:41], v58, s45, 0
	v_lshl_add_u64 v[14:15], v[14:15], 1, v[10:11]
	s_waitcnt lgkmcnt(0)
	v_max_f32_e32 v19, v19, v19
	v_max_f32_e32 v16, v16, v19
	v_xor_b32_e32 v19, 16, v17
	v_cmp_lt_i32_e64 s[40:41], v19, v18
	s_nop 1
	v_cndmask_b32_e64 v17, v17, v19, s[40:41]
	v_lshlrev_b32_e32 v57, 2, v17
	ds_bpermute_b32 v17, v57, v16
	global_load_dwordx4 v[22:25], v[14:15], off
	global_load_dwordx4 v[18:21], v[14:15], off offset:16
	s_waitcnt vmcnt(6)
	v_mad_i64_i32 v[14:15], s[40:41], v59, s45, 0
	v_lshl_add_u64 v[10:11], v[14:15], 1, v[10:11]
	s_waitcnt lgkmcnt(0)
	v_max_f32_e32 v14, v17, v17
	v_max_f32_e32 v56, v16, v14
	v_sub_f32_e32 v12, v12, v56
	v_mul_f32_e32 v12, 0x3fb8aa3b, v12
	v_exp_f32_e32 v38, v12
	v_sub_f32_e32 v12, v13, v56
	v_mul_f32_e32 v12, 0x3fb8aa3b, v12
	v_exp_f32_e32 v39, v12
	global_load_dwordx4 v[14:17], v[10:11], off
	s_nop 0
	global_load_dwordx4 v[10:13], v[10:11], off offset:16
	v_sub_f32_e32 v48, v48, v56
	v_mul_f32_e32 v48, 0x3fb8aa3b, v48
	v_sub_f32_e32 v49, v49, v56
	v_exp_f32_e32 v48, v48
	v_mul_f32_e32 v49, 0x3fb8aa3b, v49
	v_sub_f32_e32 v40, v40, v56
	v_exp_f32_e32 v49, v49
	v_mul_f32_e32 v40, 0x3fb8aa3b, v40
	v_sub_f32_e32 v41, v41, v56
	v_cndmask_b32_e64 v38, 0, v38, s[4:5]
	v_exp_f32_e32 v40, v40
	v_mul_f32_e32 v41, 0x3fb8aa3b, v41
	v_sub_f32_e32 v50, v50, v56
	v_add_f32_e32 v58, 0, v38
	v_cndmask_b32_e64 v39, 0, v39, s[34:35]
	v_exp_f32_e32 v41, v41
	v_mul_f32_e32 v50, 0x3fb8aa3b, v50
	v_sub_f32_e32 v51, v51, v56
	v_add_f32_e32 v58, v58, v39
	;; [unrolled: 5-line block ×10, first 2 shown]
	v_cndmask_b32_e64 v44, 0, v44, s[12:13]
	v_exp_f32_e32 v36, v36
	v_mul_f32_e32 v37, 0x3fb8aa3b, v37
	v_add_f32_e32 v58, v58, v44
	v_cndmask_b32_e64 v45, 0, v45, s[14:15]
	v_exp_f32_e32 v37, v37
	v_add_f32_e32 v58, v58, v45
	v_cndmask_b32_e64 v42, 0, v42, s[8:9]
	v_add_f32_e32 v58, v58, v42
	v_cndmask_b32_e64 v43, 0, v43, s[10:11]
	v_add_f32_e32 v58, v58, v43
	v_cndmask_b32_e32 v36, 0, v36, vcc
	v_add_f32_e32 v58, v58, v36
	v_cndmask_b32_e64 v37, 0, v37, s[6:7]
	v_add_f32_e32 v58, v58, v37
	ds_bpermute_b32 v59, v60, v58
	v_cmp_gt_u32_e32 vcc, 16, v55
	s_waitcnt lgkmcnt(0)
	s_barrier
	v_add_f32_e32 v58, v58, v59
	ds_bpermute_b32 v59, v57, v58
	v_lshlrev_b32_e32 v57, 2, v53
	s_and_saveexec_b64 s[4:5], vcc
	s_cbranch_execz .LBB187_15
; %bb.14:
	s_waitcnt lgkmcnt(0)
	v_add_f32_e32 v55, v58, v59
	v_lshl_or_b32 v58, v54, 6, v57
	ds_write2st64_b32 v58, v56, v55 offset1:1
.LBB187_15:
	s_or_b64 exec, exec, s[4:5]
	s_load_dword s6, s[0:1], 0x94
	s_waitcnt lgkmcnt(0)
	s_barrier
	ds_read2_b32 v[58:59], v57 offset1:16
	ds_read2_b32 v[60:61], v57 offset0:32 offset1:48
	ds_read2_b32 v[62:63], v57 offset0:64 offset1:80
	v_lshlrev_b32_e32 v53, 5, v53
	s_lshl_b32 s7, s33, 4
	s_waitcnt lgkmcnt(2)
	v_max3_f32 v55, v58, s42, v59
	s_waitcnt lgkmcnt(1)
	v_max3_f32 v55, v55, v60, v61
	v_sub_f32_e32 v56, v58, v55
	v_mul_f32_e32 v56, 0x3fb8aa3b, v56
	v_exp_f32_e32 v64, v56
	v_sub_f32_e32 v56, v59, v55
	v_mul_f32_e32 v56, 0x3fb8aa3b, v56
	v_exp_f32_e32 v65, v56
	;; [unrolled: 3-line block ×3, first 2 shown]
	ds_read2_b32 v[58:59], v57 offset0:96 offset1:112
	v_sub_f32_e32 v56, v61, v55
	v_mul_f32_e32 v56, 0x3fb8aa3b, v56
	v_exp_f32_e32 v57, v56
	s_waitcnt lgkmcnt(1)
	v_fma_f32 v56, v64, v62, 0
	v_fmac_f32_e32 v56, v65, v63
	s_waitcnt lgkmcnt(0)
	v_fmac_f32_e32 v56, v60, v58
	v_fmac_f32_e32 v56, v57, v59
	v_add_f32_e32 v58, 0x358637bd, v56
	v_div_scale_f32 v59, s[4:5], v58, v58, 1.0
	v_rcp_f32_e32 v61, v59
	s_barrier
	v_fma_f32 v62, -v59, v61, 1.0
	v_fmac_f32_e32 v61, v62, v61
	v_div_scale_f32 v62, vcc, 1.0, v58, 1.0
	v_mul_f32_e32 v63, v62, v61
	v_fma_f32 v66, -v59, v63, v62
	v_fmac_f32_e32 v63, v66, v61
	v_fma_f32 v59, -v59, v63, v62
	v_div_fmas_f32 v59, v59, v61, v63
	v_cmp_eq_u32_e32 vcc, 1, v54
	v_div_fixup_f32 v58, v59, v58, 1.0
	s_nop 0
	v_cndmask_b32_e32 v59, v64, v65, vcc
	v_cmp_eq_u32_e32 vcc, 2, v54
	s_nop 1
	v_cndmask_b32_e32 v59, v59, v60, vcc
	v_cmp_eq_u32_e32 vcc, 3, v54
	s_nop 1
	v_cndmask_b32_e32 v57, v59, v57, vcc
	v_mul_f32_e32 v58, v57, v58
	v_pk_mul_f32 v[38:39], v[58:59], v[38:39] op_sel_hi:[0,1]
	v_cvt_f16_f32_e32 v38, v38
	v_cvt_f16_f32_e32 v39, v39
	v_pk_mul_f32 v[48:49], v[58:59], v[48:49] op_sel_hi:[0,1]
	v_cvt_f16_f32_e32 v57, v48
	v_cvt_f16_f32_e32 v49, v49
	v_pack_b32_f16 v48, v38, v39
	v_pk_mul_f32 v[38:39], v[58:59], v[50:51] op_sel_hi:[0,1]
	v_pk_mul_f32 v[40:41], v[58:59], v[40:41] op_sel_hi:[0,1]
	v_cvt_f16_f32_e32 v40, v40
	v_cvt_f16_f32_e32 v41, v41
	;; [unrolled: 1-line block ×4, first 2 shown]
	v_pack_b32_f16 v49, v57, v49
	v_lshlrev_b32_e32 v57, 3, v1
	v_lshlrev_b32_e32 v38, 11, v54
	v_or3_b32 v38, v38, v53, v57
	v_pack_b32_f16 v40, v40, v41
	v_pack_b32_f16 v41, v50, v39
	ds_write2st64_b64 v38, v[48:49], v[40:41] offset1:1
	v_pk_mul_f32 v[40:41], v[58:59], v[44:45] op_sel_hi:[0,1]
	v_pk_mul_f32 v[44:45], v[58:59], v[46:47] op_sel_hi:[0,1]
	v_cvt_f16_f32_e32 v39, v44
	v_cvt_f16_f32_e32 v44, v45
	;; [unrolled: 1-line block ×4, first 2 shown]
	v_pk_mul_f32 v[36:37], v[58:59], v[36:37] op_sel_hi:[0,1]
	v_pk_mul_f32 v[40:41], v[58:59], v[42:43] op_sel_hi:[0,1]
	v_cvt_f16_f32_e32 v40, v40
	v_cvt_f16_f32_e32 v41, v41
	;; [unrolled: 1-line block ×4, first 2 shown]
	v_pack_b32_f16 v36, v39, v44
	v_pack_b32_f16 v37, v45, v46
	;; [unrolled: 1-line block ×4, first 2 shown]
	v_cmp_gt_u32_e32 vcc, 16, v0
	ds_write2st64_b64 v38, v[36:37], v[40:41] offset0:2 offset1:3
	s_and_saveexec_b64 s[4:5], vcc
	s_cbranch_execz .LBB187_17
; %bb.16:
	v_or_b32_e32 v36, s29, v0
	v_mov_b32_e32 v37, 0
	v_mov_b32_e32 v39, s7
	v_mad_u64_u32 v[40:41], s[12:13], s2, v39, v[36:37]
	v_mov_b32_e32 v36, s28
	s_load_dwordx4 s[8:11], s[0:1], 0x58
	s_mul_i32 s3, s3, s7
	v_mad_u64_u32 v[36:37], s[12:13], v40, s6, v[36:37]
	v_add_u32_e32 v39, s3, v41
	v_mov_b32_e32 v40, v37
	v_mad_u64_u32 v[40:41], s[12:13], v39, s6, v[40:41]
	v_mov_b32_e32 v37, v40
	v_lshlrev_b64 v[36:37], 2, v[36:37]
	s_waitcnt lgkmcnt(0)
	v_lshl_add_u64 v[40:41], s[10:11], 0, v[36:37]
	v_lshl_add_u64 v[36:37], s[8:9], 0, v[36:37]
	global_store_dword v[40:41], v55, off
	global_store_dword v[36:37], v56, off
.LBB187_17:
	s_or_b64 exec, exec, s[4:5]
	s_waitcnt lgkmcnt(0)
	s_barrier
	ds_read_b128 v[40:43], v52
	ds_read_b128 v[44:47], v52 offset:16
	s_waitcnt vmcnt(7) lgkmcnt(1)
	v_mfma_f32_16x16x16_f16 v[48:51], v[6:7], v[40:41], 0
	v_cmp_gt_u32_e32 vcc, 64, v0
	s_mov_b32 s3, 0
	s_and_b64 s[4:5], vcc, s[30:31]
	v_mfma_f32_16x16x16_f16 v[6:9], v[8:9], v[42:43], v[48:51]
	s_waitcnt vmcnt(6) lgkmcnt(0)
	v_mfma_f32_16x16x16_f16 v[6:9], v[2:3], v[44:45], v[6:9]
	v_mfma_f32_16x16x16_f16 v[2:5], v[4:5], v[46:47], v[6:9]
	s_nop 5
	ds_read_b128 v[6:9], v52 offset:2048
	ds_read_b128 v[40:43], v52 offset:2064
	s_waitcnt vmcnt(5) lgkmcnt(1)
	v_mfma_f32_16x16x16_f16 v[2:5], v[30:31], v[6:7], v[2:5]
	v_mfma_f32_16x16x16_f16 v[2:5], v[32:33], v[8:9], v[2:5]
	s_waitcnt vmcnt(4) lgkmcnt(0)
	v_mfma_f32_16x16x16_f16 v[2:5], v[26:27], v[40:41], v[2:5]
	v_mfma_f32_16x16x16_f16 v[2:5], v[28:29], v[42:43], v[2:5]
	ds_read_b128 v[6:9], v52 offset:4096
	ds_read_b128 v[26:29], v52 offset:4112
	s_waitcnt vmcnt(3) lgkmcnt(1)
	v_mfma_f32_16x16x16_f16 v[2:5], v[22:23], v[6:7], v[2:5]
	v_mfma_f32_16x16x16_f16 v[2:5], v[24:25], v[8:9], v[2:5]
	s_waitcnt vmcnt(2) lgkmcnt(0)
	v_mfma_f32_16x16x16_f16 v[2:5], v[18:19], v[26:27], v[2:5]
	v_mfma_f32_16x16x16_f16 v[2:5], v[20:21], v[28:29], v[2:5]
	ds_read_b128 v[6:9], v52 offset:6144
	ds_read_b128 v[18:21], v52 offset:6160
	s_waitcnt lgkmcnt(0)
	s_barrier
	s_waitcnt vmcnt(1)
	v_mfma_f32_16x16x16_f16 v[2:5], v[14:15], v[6:7], v[2:5]
	v_mfma_f32_16x16x16_f16 v[2:5], v[16:17], v[8:9], v[2:5]
	s_waitcnt vmcnt(0)
	v_mfma_f32_16x16x16_f16 v[2:5], v[10:11], v[18:19], v[2:5]
	v_mfma_f32_16x16x16_f16 v[2:5], v[12:13], v[20:21], v[2:5]
	s_nop 6
	v_cvt_f16_f32_e32 v2, v2
	v_cvt_f16_f32_e32 v3, v3
	;; [unrolled: 1-line block ×4, first 2 shown]
	v_pack_b32_f16 v2, v2, v3
	v_pack_b32_f16 v3, v4, v5
	ds_write_b64 v38, v[2:3]
	s_waitcnt lgkmcnt(0)
	s_barrier
	s_and_saveexec_b64 s[8:9], s[4:5]
	s_cbranch_execz .LBB187_19
; %bb.18:
	s_load_dwordx2 s[0:1], s[0:1], 0x68
	s_lshl_b32 s6, s6, 6
	s_mul_i32 s2, s7, s2
	s_mul_hi_u32 s5, s2, s6
	s_mul_i32 s4, s2, s6
	s_lshl_b64 s[4:5], s[4:5], 1
	s_waitcnt lgkmcnt(0)
	s_add_u32 s4, s0, s4
	s_addc_u32 s5, s1, s5
	s_lshl_b32 s2, s28, 6
	v_lshlrev_b32_e32 v2, 10, v0
	v_lshlrev_b32_e32 v0, 4, v0
	s_lshl_b64 s[0:1], s[2:3], 1
	v_and_b32_e32 v2, 0x1800, v2
	v_lshlrev_b32_e32 v3, 5, v1
	v_and_b32_e32 v0, 16, v0
	s_add_u32 s0, s4, s0
	v_or3_b32 v0, v2, v3, v0
	s_addc_u32 s1, s5, s1
	v_or_b32_e32 v20, s29, v1
	ds_read_b128 v[2:5], v0
	ds_read_b128 v[6:9], v0 offset:128
	ds_read_b128 v[10:13], v0 offset:256
	ds_read_b128 v[14:17], v0 offset:384
	v_lshl_add_u64 v[18:19], v[34:35], 1, s[0:1]
	v_mad_u64_u32 v[0:1], s[0:1], v20, s6, 0
	v_lshl_add_u64 v[0:1], v[0:1], 1, v[18:19]
	s_waitcnt lgkmcnt(3)
	global_store_dwordx4 v[0:1], v[2:5], off
	v_or_b32_e32 v0, 4, v20
	v_mad_u64_u32 v[0:1], s[0:1], v0, s6, 0
	v_lshl_add_u64 v[0:1], v[0:1], 1, v[18:19]
	s_waitcnt lgkmcnt(2)
	global_store_dwordx4 v[0:1], v[6:9], off
	v_or_b32_e32 v0, 8, v20
	;; [unrolled: 5-line block ×3, first 2 shown]
	v_mad_u64_u32 v[0:1], s[0:1], v0, s6, 0
	v_lshl_add_u64 v[0:1], v[0:1], 1, v[18:19]
	s_waitcnt lgkmcnt(0)
	global_store_dwordx4 v[0:1], v[14:17], off
.LBB187_19:
	s_endpgm
	.section	.rodata,"a",@progbits
	.p2align	6, 0x0
	.amdhsa_kernel _Z39paged_attention_ll4mi_QKV_mfma16_kernelIDF16_DF16_LN4vllm18Fp8KVCacheDataTypeE0EDF16_Li32ELi64ELi256ELb0ELi16EEvPKT_PKT0_S7_ifPKiS9_S9_iPKfiiiPfSC_PS2_PT2_iSB_SB_
		.amdhsa_group_segment_fixed_size 8192
		.amdhsa_private_segment_fixed_size 0
		.amdhsa_kernarg_size 400
		.amdhsa_user_sgpr_count 2
		.amdhsa_user_sgpr_dispatch_ptr 0
		.amdhsa_user_sgpr_queue_ptr 0
		.amdhsa_user_sgpr_kernarg_segment_ptr 1
		.amdhsa_user_sgpr_dispatch_id 0
		.amdhsa_user_sgpr_kernarg_preload_length 0
		.amdhsa_user_sgpr_kernarg_preload_offset 0
		.amdhsa_user_sgpr_private_segment_size 0
		.amdhsa_uses_dynamic_stack 0
		.amdhsa_enable_private_segment 0
		.amdhsa_system_sgpr_workgroup_id_x 1
		.amdhsa_system_sgpr_workgroup_id_y 1
		.amdhsa_system_sgpr_workgroup_id_z 1
		.amdhsa_system_sgpr_workgroup_info 0
		.amdhsa_system_vgpr_workitem_id 0
		.amdhsa_next_free_vgpr 68
		.amdhsa_next_free_sgpr 48
		.amdhsa_accum_offset 68
		.amdhsa_reserve_vcc 1
		.amdhsa_float_round_mode_32 0
		.amdhsa_float_round_mode_16_64 0
		.amdhsa_float_denorm_mode_32 3
		.amdhsa_float_denorm_mode_16_64 3
		.amdhsa_dx10_clamp 1
		.amdhsa_ieee_mode 1
		.amdhsa_fp16_overflow 0
		.amdhsa_tg_split 0
		.amdhsa_exception_fp_ieee_invalid_op 0
		.amdhsa_exception_fp_denorm_src 0
		.amdhsa_exception_fp_ieee_div_zero 0
		.amdhsa_exception_fp_ieee_overflow 0
		.amdhsa_exception_fp_ieee_underflow 0
		.amdhsa_exception_fp_ieee_inexact 0
		.amdhsa_exception_int_div_zero 0
	.end_amdhsa_kernel
	.section	.text._Z39paged_attention_ll4mi_QKV_mfma16_kernelIDF16_DF16_LN4vllm18Fp8KVCacheDataTypeE0EDF16_Li32ELi64ELi256ELb0ELi16EEvPKT_PKT0_S7_ifPKiS9_S9_iPKfiiiPfSC_PS2_PT2_iSB_SB_,"axG",@progbits,_Z39paged_attention_ll4mi_QKV_mfma16_kernelIDF16_DF16_LN4vllm18Fp8KVCacheDataTypeE0EDF16_Li32ELi64ELi256ELb0ELi16EEvPKT_PKT0_S7_ifPKiS9_S9_iPKfiiiPfSC_PS2_PT2_iSB_SB_,comdat
.Lfunc_end187:
	.size	_Z39paged_attention_ll4mi_QKV_mfma16_kernelIDF16_DF16_LN4vllm18Fp8KVCacheDataTypeE0EDF16_Li32ELi64ELi256ELb0ELi16EEvPKT_PKT0_S7_ifPKiS9_S9_iPKfiiiPfSC_PS2_PT2_iSB_SB_, .Lfunc_end187-_Z39paged_attention_ll4mi_QKV_mfma16_kernelIDF16_DF16_LN4vllm18Fp8KVCacheDataTypeE0EDF16_Li32ELi64ELi256ELb0ELi16EEvPKT_PKT0_S7_ifPKiS9_S9_iPKfiiiPfSC_PS2_PT2_iSB_SB_
                                        ; -- End function
	.section	.AMDGPU.csdata,"",@progbits
; Kernel info:
; codeLenInByte = 3900
; NumSgprs: 54
; NumVgprs: 68
; NumAgprs: 0
; TotalNumVgprs: 68
; ScratchSize: 0
; MemoryBound: 0
; FloatMode: 240
; IeeeMode: 1
; LDSByteSize: 8192 bytes/workgroup (compile time only)
; SGPRBlocks: 6
; VGPRBlocks: 8
; NumSGPRsForWavesPerEU: 54
; NumVGPRsForWavesPerEU: 68
; AccumOffset: 68
; Occupancy: 7
; WaveLimiterHint : 1
; COMPUTE_PGM_RSRC2:SCRATCH_EN: 0
; COMPUTE_PGM_RSRC2:USER_SGPR: 2
; COMPUTE_PGM_RSRC2:TRAP_HANDLER: 0
; COMPUTE_PGM_RSRC2:TGID_X_EN: 1
; COMPUTE_PGM_RSRC2:TGID_Y_EN: 1
; COMPUTE_PGM_RSRC2:TGID_Z_EN: 1
; COMPUTE_PGM_RSRC2:TIDIG_COMP_CNT: 0
; COMPUTE_PGM_RSRC3_GFX90A:ACCUM_OFFSET: 16
; COMPUTE_PGM_RSRC3_GFX90A:TG_SPLIT: 0
	.section	.text._Z39paged_attention_ll4mi_QKV_mfma16_kernelIDF16_DF16_LN4vllm18Fp8KVCacheDataTypeE0EDF16_Li32ELi64ELi256ELb0ELi1EEvPKT_PKT0_S7_ifPKiS9_S9_iPKfiiiPfSC_PS2_PT2_iSB_SB_,"axG",@progbits,_Z39paged_attention_ll4mi_QKV_mfma16_kernelIDF16_DF16_LN4vllm18Fp8KVCacheDataTypeE0EDF16_Li32ELi64ELi256ELb0ELi1EEvPKT_PKT0_S7_ifPKiS9_S9_iPKfiiiPfSC_PS2_PT2_iSB_SB_,comdat
	.protected	_Z39paged_attention_ll4mi_QKV_mfma16_kernelIDF16_DF16_LN4vllm18Fp8KVCacheDataTypeE0EDF16_Li32ELi64ELi256ELb0ELi1EEvPKT_PKT0_S7_ifPKiS9_S9_iPKfiiiPfSC_PS2_PT2_iSB_SB_ ; -- Begin function _Z39paged_attention_ll4mi_QKV_mfma16_kernelIDF16_DF16_LN4vllm18Fp8KVCacheDataTypeE0EDF16_Li32ELi64ELi256ELb0ELi1EEvPKT_PKT0_S7_ifPKiS9_S9_iPKfiiiPfSC_PS2_PT2_iSB_SB_
	.globl	_Z39paged_attention_ll4mi_QKV_mfma16_kernelIDF16_DF16_LN4vllm18Fp8KVCacheDataTypeE0EDF16_Li32ELi64ELi256ELb0ELi1EEvPKT_PKT0_S7_ifPKiS9_S9_iPKfiiiPfSC_PS2_PT2_iSB_SB_
	.p2align	8
	.type	_Z39paged_attention_ll4mi_QKV_mfma16_kernelIDF16_DF16_LN4vllm18Fp8KVCacheDataTypeE0EDF16_Li32ELi64ELi256ELb0ELi1EEvPKT_PKT0_S7_ifPKiS9_S9_iPKfiiiPfSC_PS2_PT2_iSB_SB_,@function
_Z39paged_attention_ll4mi_QKV_mfma16_kernelIDF16_DF16_LN4vllm18Fp8KVCacheDataTypeE0EDF16_Li32ELi64ELi256ELb0ELi1EEvPKT_PKT0_S7_ifPKiS9_S9_iPKfiiiPfSC_PS2_PT2_iSB_SB_: ; @_Z39paged_attention_ll4mi_QKV_mfma16_kernelIDF16_DF16_LN4vllm18Fp8KVCacheDataTypeE0EDF16_Li32ELi64ELi256ELb0ELi1EEvPKT_PKT0_S7_ifPKiS9_S9_iPKfiiiPfSC_PS2_PT2_iSB_SB_
; %bb.0:
	s_load_dwordx2 s[6:7], s[0:1], 0x30
	s_mov_b32 s5, s3
	s_mov_b64 s[10:11], 0
	s_waitcnt lgkmcnt(0)
	s_cmp_lg_u64 s[6:7], 0
	s_cselect_b64 s[8:9], -1, 0
	s_and_b64 vcc, exec, s[8:9]
	s_cbranch_vccz .LBB188_7
; %bb.1:
	s_add_i32 s12, s2, 1
	s_mov_b32 s13, 0
	s_lshl_b64 s[14:15], s[12:13], 2
	s_add_u32 s14, s6, s14
	s_mov_b32 s3, s13
	s_addc_u32 s15, s7, s15
	s_lshl_b64 s[12:13], s[2:3], 2
	s_add_u32 s12, s6, s12
	s_addc_u32 s13, s7, s13
	s_load_dword s16, s[14:15], 0x0
	s_load_dword s17, s[12:13], 0x0
	s_waitcnt lgkmcnt(0)
	s_sub_i32 s12, s16, s17
	s_cmp_eq_u32 s12, 1
	s_cselect_b64 s[12:13], -1, 0
	s_andn2_b64 vcc, exec, s[10:11]
	s_cbranch_vccnz .LBB188_3
.LBB188_2:
	s_mov_b32 s3, 0
	s_mov_b64 s[12:13], -1
.LBB188_3:
	s_andn2_b64 vcc, exec, s[12:13]
	s_cbranch_vccnz .LBB188_19
; %bb.4:
	s_load_dwordx2 s[12:13], s[0:1], 0x28
	s_lshl_b64 s[10:11], s[2:3], 2
	s_waitcnt lgkmcnt(0)
	s_add_u32 s12, s12, s10
	s_addc_u32 s13, s13, s11
	s_load_dword s33, s[12:13], 0x0
	s_lshl_b32 s14, s5, 8
	s_waitcnt lgkmcnt(0)
	s_cmp_ge_i32 s14, s33
	s_cbranch_scc1 .LBB188_19
; %bb.5:
	s_load_dwordx2 s[12:13], s[0:1], 0x20
	s_load_dword s16, s[0:1], 0x38
	s_add_i32 s15, s33, 31
	s_ashr_i32 s17, s15, 31
	v_and_b32_e32 v1, 0xcf, v0
	s_lshr_b32 s17, s17, 27
	v_add_u32_e32 v1, s14, v1
	s_add_i32 s15, s15, s17
	v_ashrrev_i32_e32 v2, 31, v1
	s_ashr_i32 s15, s15, 5
	v_lshrrev_b32_e32 v10, 27, v2
	s_add_i32 s15, s15, -1
	s_waitcnt lgkmcnt(0)
	s_mul_i32 s16, s2, s16
	s_mov_b32 s17, 0
	v_add_u32_e32 v2, v1, v10
	s_lshl_b64 s[16:17], s[16:17], 2
	v_ashrrev_i32_e32 v2, 5, v2
	v_mov_b32_e32 v11, s15
	v_cmp_gt_i32_e32 vcc, s33, v1
	s_add_u32 s12, s12, s16
	s_addc_u32 s13, s13, s17
	v_cndmask_b32_e32 v2, v11, v2, vcc
	v_ashrrev_i32_e32 v3, 31, v2
	v_lshl_add_u64 v[4:5], v[2:3], 2, s[12:13]
	v_or_b32_e32 v2, 16, v1
	v_add_u32_e32 v3, v2, v10
	v_ashrrev_i32_e32 v3, 5, v3
	v_cmp_gt_i32_e32 vcc, s33, v2
	s_nop 1
	v_cndmask_b32_e32 v2, v11, v3, vcc
	v_ashrrev_i32_e32 v3, 31, v2
	v_lshl_add_u64 v[6:7], v[2:3], 2, s[12:13]
	v_or_b32_e32 v2, 32, v1
	v_add_u32_e32 v3, v2, v10
	v_ashrrev_i32_e32 v3, 5, v3
	v_cmp_gt_i32_e32 vcc, s33, v2
	v_or_b32_e32 v1, 48, v1
	s_nop 0
	v_cndmask_b32_e32 v2, v11, v3, vcc
	v_ashrrev_i32_e32 v3, 31, v2
	v_lshl_add_u64 v[8:9], v[2:3], 2, s[12:13]
	v_add_u32_e32 v2, v1, v10
	v_ashrrev_i32_e32 v2, 5, v2
	v_cmp_gt_i32_e32 vcc, s33, v1
	s_nop 1
	v_cndmask_b32_e32 v2, v11, v2, vcc
	v_ashrrev_i32_e32 v3, 31, v2
	v_lshl_add_u64 v[12:13], v[2:3], 2, s[12:13]
	global_load_dword v3, v[4:5], off
	global_load_dword v2, v[6:7], off
	;; [unrolled: 1-line block ×4, first 2 shown]
	s_andn2_b64 vcc, exec, s[8:9]
	s_cbranch_vccnz .LBB188_8
; %bb.6:
	s_add_u32 s6, s6, s10
	s_addc_u32 s7, s7, s11
	s_load_dword s16, s[6:7], 0x0
	s_branch .LBB188_9
.LBB188_7:
	s_mov_b64 s[12:13], 0
	s_branch .LBB188_2
.LBB188_8:
	s_mov_b32 s16, s2
.LBB188_9:
	s_load_dwordx4 s[8:11], s[0:1], 0x8
	s_load_dwordx4 s[44:47], s[0:1], 0x48
	v_lshrrev_b32_e32 v54, 6, v0
	v_bfe_u32 v1, v0, 4, 2
	v_lshl_or_b32 v4, v54, 2, v1
	v_and_b32_e32 v55, 15, v0
	v_cmp_ne_u32_e32 vcc, 0, v4
	v_cmp_lt_u32_e64 s[6:7], 7, v55
	v_lshlrev_b32_e32 v34, 3, v55
	v_cmp_gt_u32_e64 s[28:29], 8, v55
	s_or_b64 s[6:7], s[6:7], vcc
	s_and_saveexec_b64 s[18:19], s[6:7]
	s_xor_b64 s[6:7], exec, s[18:19]
; %bb.10:
	v_mov_b32_e32 v35, 0
; %bb.11:
	s_or_saveexec_b64 s[6:7], s[6:7]
	v_and_b32_e32 v56, 63, v0
	s_xor_b64 exec, exec, s[6:7]
	s_cbranch_execz .LBB188_13
; %bb.12:
	s_load_dwordx2 s[18:19], s[0:1], 0x0
	s_waitcnt lgkmcnt(0)
	s_ashr_i32 s17, s44, 31
	s_mul_hi_u32 s20, s16, s44
	s_mul_i32 s17, s16, s17
	s_add_i32 s17, s20, s17
	s_mul_i32 s16, s16, s44
	s_lshl_b64 s[16:17], s[16:17], 1
	s_add_u32 s18, s18, s16
	s_addc_u32 s19, s19, s17
	s_lshl_b32 s16, s4, 6
	s_ashr_i32 s17, s16, 31
	s_lshl_b64 s[16:17], s[16:17], 1
	s_add_u32 s16, s18, s16
	s_addc_u32 s17, s19, s17
	v_lshlrev_b32_e32 v4, 1, v34
	global_load_dwordx4 v[4:7], v4, s[16:17]
	v_and_b32_e32 v8, 3, v0
	v_lshlrev_b32_e32 v9, 9, v55
	v_lshlrev_b32_e32 v8, 9, v8
	s_movk_i32 s16, 0x1800
	v_mov_b32_e32 v35, 0
	v_and_or_b32 v8, v9, s16, v8
	s_waitcnt vmcnt(0)
	ds_write_b128 v8, v[4:7]
.LBB188_13:
	s_or_b64 exec, exec, s[6:7]
	s_waitcnt lgkmcnt(0)
	s_mul_i32 s6, s4, s46
	s_mov_b32 s7, 0
	s_lshl_b64 s[6:7], s[6:7], 1
	s_add_u32 s8, s8, s6
	s_addc_u32 s9, s9, s7
	s_waitcnt vmcnt(3)
	v_mad_i64_i32 v[4:5], s[16:17], v3, s45, 0
	v_lshl_add_u64 v[4:5], v[4:5], 1, s[8:9]
	v_lshlrev_b64 v[12:13], 1, v[34:35]
	v_lshlrev_b32_e32 v36, 9, v1
	v_lshl_add_u64 v[4:5], v[4:5], 0, v[12:13]
	v_mov_b32_e32 v37, 0
	v_lshl_add_u64 v[20:21], v[4:5], 0, v[36:37]
	s_waitcnt vmcnt(2)
	v_mad_i64_i32 v[2:3], s[16:17], v2, s45, 0
	v_mov_b32_e32 v4, 0x100
	v_lshl_add_u64 v[2:3], v[2:3], 1, s[8:9]
	v_lshl_or_b32 v38, v55, 4, v4
	v_mov_b32_e32 v39, v37
	s_barrier
	v_lshl_add_u64 v[2:3], v[2:3], 0, v[38:39]
	global_load_dwordx4 v[6:9], v[20:21], off
	v_lshl_add_u64 v[22:23], v[2:3], 0, v[36:37]
	global_load_dwordx4 v[2:5], v[22:23], off
	s_waitcnt vmcnt(3)
	v_mad_i64_i32 v[10:11], s[16:17], v10, s45, 0
	v_lshl_add_u64 v[10:11], v[10:11], 1, s[8:9]
	v_lshl_add_u64 v[10:11], v[10:11], 0, v[12:13]
	v_lshl_add_u64 v[30:31], v[10:11], 0, v[36:37]
	global_load_dwordx4 v[14:17], v[30:31], off
	global_load_dwordx4 v[10:13], v[20:21], off offset:2048
	global_load_dwordx4 v[26:29], v[22:23], off offset:2048
	s_waitcnt vmcnt(5)
	v_mad_i64_i32 v[40:41], s[16:17], v18, s45, 0
	ds_read_b128 v[22:25], v36
	ds_read_b128 v[18:21], v36 offset:2048
	global_load_dwordx4 v[30:33], v[30:31], off offset:2048
	v_lshl_add_u64 v[40:41], v[40:41], 1, s[8:9]
	v_lshl_add_u64 v[38:39], v[40:41], 0, v[38:39]
	;; [unrolled: 1-line block ×3, first 2 shown]
	global_load_dwordx4 v[44:47], v[38:39], off
	global_load_dwordx4 v[62:65], v[38:39], off offset:2048
	v_mov_b32_e32 v53, s15
	s_ashr_i32 s15, s14, 31
	v_and_or_b32 v52, v0, 48, s14
	s_lshr_b32 s9, s15, 27
	v_add_u32_e32 v40, s9, v52
	v_or_b32_e32 v48, 64, v52
	v_ashrrev_i32_e32 v36, 5, v40
	v_cmp_gt_i32_e32 vcc, s33, v52
	v_add_u32_e32 v41, s9, v48
	v_ashrrev_i32_e32 v49, 5, v41
	v_cndmask_b32_e32 v40, v53, v36, vcc
	v_ashrrev_i32_e32 v41, 31, v40
	v_lshl_add_u64 v[40:41], v[40:41], 2, s[12:13]
	v_cmp_gt_i32_e32 vcc, s33, v48
	global_load_dword v57, v[40:41], off
	v_or_b32_e32 v39, 0x80, v52
	v_and_b32_e32 v36, 16, v0
	s_add_u32 s6, s10, s6
	v_lshlrev_b32_e32 v38, 6, v55
	s_addc_u32 s7, s11, s7
	v_lshlrev_b32_e32 v36, 1, v36
	s_load_dword s8, s[0:1], 0x1c
	s_mov_b32 s42, 0xff7fffff
	s_waitcnt vmcnt(6) lgkmcnt(0)
	v_mfma_f32_16x16x16_f16 v[58:61], v[14:15], v[22:23], 0
	v_mfma_f32_16x16x16_f16 v[40:43], v[6:7], v[22:23], 0
	v_cndmask_b32_e32 v6, v53, v49, vcc
	v_ashrrev_i32_e32 v7, 31, v6
	v_cmp_gt_i32_e32 vcc, s33, v39
	v_mfma_f32_16x16x16_f16 v[48:51], v[2:3], v[22:23], 0
	v_lshl_add_u64 v[2:3], v[6:7], 2, s[12:13]
	global_load_dword v66, v[2:3], off
	v_mfma_f32_16x16x16_f16 v[6:9], v[8:9], v[24:25], v[40:43]
	v_mfma_f32_16x16x16_f16 v[2:5], v[4:5], v[24:25], v[48:51]
	s_nop 1
	v_or_b32_e32 v40, 0xc0, v52
	v_add_u32_e32 v41, s9, v39
	v_add_u32_e32 v42, s9, v40
	s_waitcnt vmcnt(6)
	v_mfma_f32_16x16x16_f16 v[6:9], v[10:11], v[18:19], v[6:9]
	v_ashrrev_i32_e32 v41, 5, v41
	v_ashrrev_i32_e32 v43, 5, v42
	v_cndmask_b32_e32 v42, v53, v41, vcc
	v_cmp_gt_i32_e32 vcc, s33, v40
	s_waitcnt vmcnt(5)
	v_mfma_f32_16x16x16_f16 v[2:5], v[26:27], v[18:19], v[2:5]
	v_lshl_add_u64 v[10:11], s[6:7], 0, v[36:37]
	v_cndmask_b32_e32 v26, v53, v43, vcc
	v_ashrrev_i32_e32 v43, 31, v42
	v_lshl_or_b32 v36, v54, 10, v38
	v_ashrrev_i32_e32 v27, 31, v26
	v_mfma_f32_16x16x16_f16 v[38:41], v[12:13], v[20:21], v[6:9]
	v_lshl_add_u64 v[10:11], v[10:11], 0, v[36:37]
	s_waitcnt vmcnt(0)
	v_mad_i64_i32 v[12:13], s[6:7], v66, s45, 0
	v_lshl_add_u64 v[6:7], v[42:43], 2, s[12:13]
	v_mfma_f32_16x16x16_f16 v[14:17], v[16:17], v[24:25], v[58:61]
	v_lshl_add_u64 v[8:9], v[26:27], 2, s[12:13]
	global_load_dword v36, v[6:7], off
	s_nop 0
	global_load_dword v60, v[8:9], off
	v_lshl_add_u64 v[58:59], v[12:13], 1, v[10:11]
	v_mfma_f32_16x16x16_f16 v[14:17], v[30:31], v[18:19], v[14:17]
	v_pk_mul_f32 v[12:13], s[8:9], v[38:39] op_sel_hi:[0,1]
	v_pk_mul_f32 v[50:51], s[8:9], v[40:41] op_sel_hi:[0,1]
	v_mfma_f32_16x16x16_f16 v[14:17], v[32:33], v[20:21], v[14:17]
	v_mfma_f32_16x16x16_f16 v[30:33], v[44:45], v[22:23], 0
	v_mfma_f32_16x16x16_f16 v[22:25], v[46:47], v[24:25], v[30:33]
	s_nop 4
	v_pk_mul_f32 v[46:47], s[8:9], v[16:17] op_sel_hi:[0,1]
	v_pk_mul_f32 v[48:49], s[8:9], v[14:15] op_sel_hi:[0,1]
	v_mfma_f32_16x16x16_f16 v[22:25], v[62:63], v[18:19], v[22:25]
	v_mfma_f32_16x16x16_f16 v[14:17], v[64:65], v[20:21], v[22:25]
	;; [unrolled: 1-line block ×3, first 2 shown]
	s_nop 5
	v_pk_mul_f32 v[44:45], s[8:9], v[14:15] op_sel_hi:[0,1]
	v_and_b32_e32 v14, 0xc0, v0
	v_add_u32_e32 v14, s14, v14
	v_lshl_or_b32 v14, v1, 2, v14
	v_pk_mul_f32 v[38:39], s[8:9], v[16:17] op_sel_hi:[0,1]
	v_or_b32_e32 v17, 1, v14
	v_mov_b32_e32 v15, 0xff7fffff
	v_cmp_gt_i32_e64 s[30:31], s33, v14
	v_cmp_gt_i32_e64 s[34:35], s33, v17
	v_or_b32_e32 v18, 3, v14
	v_cndmask_b32_e64 v16, v15, v12, s[30:31]
	v_cndmask_b32_e64 v17, v15, v13, s[34:35]
	v_max3_f32 v16, v16, s42, v17
	v_or_b32_e32 v17, 2, v14
	v_cmp_gt_i32_e64 s[36:37], s33, v17
	v_cmp_gt_i32_e64 s[38:39], s33, v18
	v_pk_mul_f32 v[42:43], s[8:9], v[26:27] op_sel_hi:[0,1]
	v_cndmask_b32_e64 v17, v15, v50, s[36:37]
	v_cndmask_b32_e64 v18, v15, v51, s[38:39]
	v_max3_f32 v16, v16, v17, v18
	v_or_b32_e32 v17, 16, v14
	v_or_b32_e32 v18, 17, v14
	v_cmp_gt_i32_e64 s[24:25], s33, v17
	v_cmp_gt_i32_e64 s[26:27], s33, v18
	v_pk_mul_f32 v[52:53], s[8:9], v[28:29] op_sel_hi:[0,1]
	v_cndmask_b32_e64 v17, v15, v42, s[24:25]
	v_cndmask_b32_e64 v18, v15, v43, s[26:27]
	v_max3_f32 v16, v16, v17, v18
	v_or_b32_e32 v17, 18, v14
	v_or_b32_e32 v18, 19, v14
	v_cmp_gt_i32_e64 s[20:21], s33, v17
	v_cmp_gt_i32_e64 s[22:23], s33, v18
	v_mad_i64_i32 v[2:3], s[6:7], v57, s45, 0
	v_cndmask_b32_e64 v17, v15, v52, s[20:21]
	v_cndmask_b32_e64 v18, v15, v53, s[22:23]
	v_max3_f32 v16, v16, v17, v18
	v_or_b32_e32 v17, 32, v14
	v_or_b32_e32 v18, 33, v14
	v_cmp_gt_i32_e64 s[16:17], s33, v17
	v_cmp_gt_i32_e64 s[18:19], s33, v18
	v_lshl_add_u64 v[2:3], v[2:3], 1, v[10:11]
	v_cndmask_b32_e64 v17, v15, v48, s[16:17]
	v_cndmask_b32_e64 v18, v15, v49, s[18:19]
	v_max3_f32 v16, v16, v17, v18
	v_or_b32_e32 v17, 34, v14
	v_or_b32_e32 v18, 35, v14
	v_cmp_gt_i32_e64 s[12:13], s33, v17
	v_cmp_gt_i32_e64 s[14:15], s33, v18
	global_load_dwordx4 v[6:9], v[2:3], off
	s_nop 0
	global_load_dwordx4 v[2:5], v[2:3], off offset:16
	v_cndmask_b32_e64 v17, v15, v46, s[12:13]
	v_cndmask_b32_e64 v18, v15, v47, s[14:15]
	v_max3_f32 v16, v16, v17, v18
	v_or_b32_e32 v17, 48, v14
	v_or_b32_e32 v18, 49, v14
	v_cmp_gt_i32_e64 s[8:9], s33, v17
	v_cmp_gt_i32_e64 s[10:11], s33, v18
	global_load_dwordx4 v[30:33], v[58:59], off
	global_load_dwordx4 v[26:29], v[58:59], off offset:16
	v_cndmask_b32_e64 v17, v15, v44, s[8:9]
	v_cndmask_b32_e64 v18, v15, v45, s[10:11]
	v_max3_f32 v16, v16, v17, v18
	v_or_b32_e32 v17, 50, v14
	v_or_b32_e32 v14, 51, v14
	v_cmp_gt_i32_e32 vcc, s33, v17
	v_cmp_gt_i32_e64 s[6:7], s33, v14
	s_nop 0
	v_cndmask_b32_e32 v17, v15, v38, vcc
	v_cndmask_b32_e64 v14, v15, v39, s[6:7]
	v_max3_f32 v16, v16, v17, v14
	v_mbcnt_lo_u32_b32 v14, -1, 0
	v_mbcnt_hi_u32_b32 v17, -1, v14
	v_and_b32_e32 v14, 64, v17
	v_add_u32_e32 v18, 64, v14
	v_xor_b32_e32 v14, 32, v17
	v_cmp_lt_i32_e64 s[40:41], v14, v18
	s_nop 1
	v_cndmask_b32_e64 v14, v17, v14, s[40:41]
	v_lshlrev_b32_e32 v57, 2, v14
	ds_bpermute_b32 v19, v57, v16
	s_waitcnt vmcnt(5)
	v_mad_i64_i32 v[14:15], s[40:41], v36, s45, 0
	v_lshl_add_u64 v[14:15], v[14:15], 1, v[10:11]
	s_waitcnt lgkmcnt(0)
	v_max_f32_e32 v19, v19, v19
	v_max_f32_e32 v16, v16, v19
	v_xor_b32_e32 v19, 16, v17
	v_cmp_lt_i32_e64 s[40:41], v19, v18
	s_nop 1
	v_cndmask_b32_e64 v17, v17, v19, s[40:41]
	v_lshlrev_b32_e32 v59, 2, v17
	ds_bpermute_b32 v17, v59, v16
	global_load_dwordx4 v[22:25], v[14:15], off
	global_load_dwordx4 v[18:21], v[14:15], off offset:16
	s_waitcnt vmcnt(6)
	v_mad_i64_i32 v[14:15], s[40:41], v60, s45, 0
	v_lshl_add_u64 v[10:11], v[14:15], 1, v[10:11]
	s_waitcnt lgkmcnt(0)
	v_max_f32_e32 v14, v17, v17
	v_max_f32_e32 v36, v16, v14
	v_sub_f32_e32 v12, v12, v36
	v_mul_f32_e32 v12, 0x3fb8aa3b, v12
	v_exp_f32_e32 v40, v12
	v_sub_f32_e32 v12, v13, v36
	v_mul_f32_e32 v12, 0x3fb8aa3b, v12
	v_exp_f32_e32 v41, v12
	global_load_dwordx4 v[14:17], v[10:11], off
	s_nop 0
	global_load_dwordx4 v[10:13], v[10:11], off offset:16
	v_sub_f32_e32 v50, v50, v36
	v_mul_f32_e32 v50, 0x3fb8aa3b, v50
	v_sub_f32_e32 v51, v51, v36
	v_exp_f32_e32 v50, v50
	v_mul_f32_e32 v51, 0x3fb8aa3b, v51
	v_sub_f32_e32 v42, v42, v36
	v_exp_f32_e32 v51, v51
	v_mul_f32_e32 v42, 0x3fb8aa3b, v42
	v_sub_f32_e32 v43, v43, v36
	v_cndmask_b32_e64 v40, 0, v40, s[30:31]
	v_exp_f32_e32 v42, v42
	v_mul_f32_e32 v43, 0x3fb8aa3b, v43
	v_sub_f32_e32 v52, v52, v36
	v_add_f32_e32 v58, 0, v40
	v_cndmask_b32_e64 v41, 0, v41, s[34:35]
	v_exp_f32_e32 v43, v43
	v_mul_f32_e32 v52, 0x3fb8aa3b, v52
	v_sub_f32_e32 v53, v53, v36
	v_add_f32_e32 v58, v58, v41
	;; [unrolled: 5-line block ×10, first 2 shown]
	v_cndmask_b32_e64 v46, 0, v46, s[12:13]
	v_exp_f32_e32 v38, v38
	v_mul_f32_e32 v39, 0x3fb8aa3b, v39
	v_add_f32_e32 v58, v58, v46
	v_cndmask_b32_e64 v47, 0, v47, s[14:15]
	v_exp_f32_e32 v39, v39
	v_add_f32_e32 v58, v58, v47
	v_cndmask_b32_e64 v44, 0, v44, s[8:9]
	v_add_f32_e32 v58, v58, v44
	v_cndmask_b32_e64 v45, 0, v45, s[10:11]
	v_add_f32_e32 v58, v58, v45
	v_cndmask_b32_e32 v38, 0, v38, vcc
	v_add_f32_e32 v58, v58, v38
	v_cndmask_b32_e64 v39, 0, v39, s[6:7]
	v_add_f32_e32 v58, v58, v39
	ds_bpermute_b32 v57, v57, v58
	v_cmp_gt_u32_e64 s[6:7], 16, v56
	s_waitcnt lgkmcnt(0)
	s_barrier
	v_add_f32_e32 v58, v58, v57
	ds_bpermute_b32 v59, v59, v58
	v_lshlrev_b32_e32 v57, 2, v55
	s_and_saveexec_b64 s[8:9], s[6:7]
	s_cbranch_execz .LBB188_15
; %bb.14:
	s_waitcnt lgkmcnt(0)
	v_add_f32_e32 v56, v58, v59
	v_lshl_or_b32 v58, v54, 6, v57
	ds_write2st64_b32 v58, v36, v56 offset1:1
.LBB188_15:
	s_or_b64 exec, exec, s[8:9]
	s_load_dwordx2 s[8:9], s[0:1], 0x94
	s_waitcnt lgkmcnt(0)
	s_barrier
	ds_read2_b32 v[58:59], v57 offset1:16
	ds_read2_b32 v[60:61], v57 offset0:32 offset1:48
	ds_read2_b32 v[62:63], v57 offset0:64 offset1:80
	s_waitcnt lgkmcnt(2)
	v_max3_f32 v36, v58, s42, v59
	s_waitcnt lgkmcnt(1)
	v_max3_f32 v56, v36, v60, v61
	v_sub_f32_e32 v36, v58, v56
	v_sub_f32_e32 v58, v59, v56
	v_mul_f32_e32 v58, 0x3fb8aa3b, v58
	v_mul_f32_e32 v36, 0x3fb8aa3b, v36
	v_exp_f32_e32 v64, v58
	v_sub_f32_e32 v58, v60, v56
	v_exp_f32_e32 v36, v36
	v_mul_f32_e32 v58, 0x3fb8aa3b, v58
	v_exp_f32_e32 v60, v58
	ds_read2_b32 v[58:59], v57 offset0:96 offset1:112
	v_sub_f32_e32 v57, v61, v56
	v_mul_f32_e32 v57, 0x3fb8aa3b, v57
	v_exp_f32_e32 v61, v57
	s_waitcnt lgkmcnt(1)
	v_fma_f32 v57, v36, v62, 0
	v_fmac_f32_e32 v57, v64, v63
	s_waitcnt lgkmcnt(0)
	v_fmac_f32_e32 v57, v60, v58
	v_fmac_f32_e32 v57, v61, v59
	v_add_f32_e32 v58, 0x358637bd, v57
	v_div_scale_f32 v59, s[10:11], v58, v58, 1.0
	v_rcp_f32_e32 v62, v59
	s_barrier
	v_fma_f32 v63, -v59, v62, 1.0
	v_fmac_f32_e32 v62, v63, v62
	v_div_scale_f32 v63, vcc, 1.0, v58, 1.0
	v_mul_f32_e32 v65, v63, v62
	v_fma_f32 v66, -v59, v65, v63
	v_fmac_f32_e32 v65, v66, v62
	v_fma_f32 v59, -v59, v65, v63
	v_div_fmas_f32 v59, v59, v62, v65
	v_cmp_eq_u32_e32 vcc, 1, v54
	v_div_fixup_f32 v58, v59, v58, 1.0
	s_nop 0
	v_cndmask_b32_e32 v36, v36, v64, vcc
	v_cmp_eq_u32_e32 vcc, 2, v54
	s_nop 1
	v_cndmask_b32_e32 v36, v36, v60, vcc
	v_cmp_eq_u32_e32 vcc, 3, v54
	s_nop 1
	v_cndmask_b32_e32 v36, v36, v61, vcc
	v_mul_f32_e32 v58, v36, v58
	v_pk_mul_f32 v[50:51], v[58:59], v[50:51] op_sel_hi:[0,1]
	v_pk_mul_f32 v[40:41], v[58:59], v[40:41] op_sel_hi:[0,1]
	v_cvt_f16_f32_e32 v36, v40
	v_cvt_f16_f32_e32 v40, v41
	;; [unrolled: 1-line block ×4, first 2 shown]
	v_pk_mul_f32 v[52:53], v[58:59], v[52:53] op_sel_hi:[0,1]
	v_pk_mul_f32 v[42:43], v[58:59], v[42:43] op_sel_hi:[0,1]
	v_pack_b32_f16 v50, v36, v40
	v_pack_b32_f16 v51, v41, v51
	v_cvt_f16_f32_e32 v41, v42
	v_cvt_f16_f32_e32 v42, v43
	;; [unrolled: 1-line block ×4, first 2 shown]
	v_lshlrev_b32_e32 v36, 3, v1
	v_lshlrev_b32_e32 v40, 5, v55
	;; [unrolled: 1-line block ×3, first 2 shown]
	v_or3_b32 v36, v53, v40, v36
	v_pack_b32_f16 v42, v41, v42
	v_pack_b32_f16 v43, v43, v52
	ds_write2st64_b64 v36, v[50:51], v[42:43] offset1:1
	v_pk_mul_f32 v[42:43], v[58:59], v[46:47] op_sel_hi:[0,1]
	v_pk_mul_f32 v[46:47], v[58:59], v[48:49] op_sel_hi:[0,1]
	v_cvt_f16_f32_e32 v41, v46
	v_cvt_f16_f32_e32 v46, v47
	;; [unrolled: 1-line block ×4, first 2 shown]
	v_pk_mul_f32 v[38:39], v[58:59], v[38:39] op_sel_hi:[0,1]
	v_pk_mul_f32 v[42:43], v[58:59], v[44:45] op_sel_hi:[0,1]
	v_cvt_f16_f32_e32 v42, v42
	v_cvt_f16_f32_e32 v43, v43
	;; [unrolled: 1-line block ×4, first 2 shown]
	v_pack_b32_f16 v38, v41, v46
	v_pack_b32_f16 v39, v47, v48
	;; [unrolled: 1-line block ×4, first 2 shown]
	v_cmp_eq_u32_e32 vcc, 0, v0
	ds_write2st64_b64 v36, v[38:39], v[42:43] offset0:2 offset1:3
	s_and_saveexec_b64 s[10:11], vcc
	s_cbranch_execz .LBB188_17
; %bb.16:
	s_mul_i32 s3, s3, s9
	s_mul_hi_u32 s16, s2, s9
	s_add_i32 s16, s16, s3
	s_mul_i32 s3, s2, s9
	s_add_u32 s3, s3, s4
	s_addc_u32 s16, s16, 0
	s_load_dwordx4 s[12:15], s[0:1], 0x58
	s_mul_i32 s16, s16, s8
	s_mul_hi_u32 s17, s3, s8
	s_add_i32 s17, s17, s16
	s_mul_i32 s3, s3, s8
	s_add_u32 s16, s3, s5
	s_addc_u32 s17, s17, 0
	s_lshl_b64 s[16:17], s[16:17], 2
	s_waitcnt lgkmcnt(0)
	s_add_u32 s14, s14, s16
	s_addc_u32 s15, s15, s17
	s_add_u32 s12, s12, s16
	s_addc_u32 s13, s13, s17
	global_store_dword v37, v56, s[14:15]
	global_store_dword v37, v57, s[12:13]
.LBB188_17:
	s_or_b64 exec, exec, s[10:11]
	v_lshl_or_b32 v37, v1, 9, v40
	s_waitcnt lgkmcnt(0)
	s_barrier
	ds_read_b128 v[38:41], v37
	ds_read_b128 v[42:45], v37 offset:16
	s_waitcnt vmcnt(7) lgkmcnt(1)
	v_mfma_f32_16x16x16_f16 v[46:49], v[6:7], v[38:39], 0
	v_cmp_gt_u32_e32 vcc, 64, v0
	s_and_b64 s[10:11], s[28:29], vcc
	s_mov_b32 s3, 0
	v_mfma_f32_16x16x16_f16 v[6:9], v[8:9], v[40:41], v[46:49]
	s_and_b64 s[6:7], s[10:11], s[6:7]
	s_waitcnt vmcnt(6) lgkmcnt(0)
	v_mfma_f32_16x16x16_f16 v[6:9], v[2:3], v[42:43], v[6:9]
	v_mfma_f32_16x16x16_f16 v[2:5], v[4:5], v[44:45], v[6:9]
	s_nop 5
	ds_read_b128 v[6:9], v37 offset:2048
	ds_read_b128 v[38:41], v37 offset:2064
	s_waitcnt vmcnt(5) lgkmcnt(1)
	v_mfma_f32_16x16x16_f16 v[2:5], v[30:31], v[6:7], v[2:5]
	v_mfma_f32_16x16x16_f16 v[2:5], v[32:33], v[8:9], v[2:5]
	s_waitcnt vmcnt(4) lgkmcnt(0)
	v_mfma_f32_16x16x16_f16 v[2:5], v[26:27], v[38:39], v[2:5]
	v_mfma_f32_16x16x16_f16 v[2:5], v[28:29], v[40:41], v[2:5]
	ds_read_b128 v[6:9], v37 offset:4096
	ds_read_b128 v[26:29], v37 offset:4112
	s_waitcnt vmcnt(3) lgkmcnt(1)
	v_mfma_f32_16x16x16_f16 v[2:5], v[22:23], v[6:7], v[2:5]
	v_mfma_f32_16x16x16_f16 v[2:5], v[24:25], v[8:9], v[2:5]
	s_waitcnt vmcnt(2) lgkmcnt(0)
	v_mfma_f32_16x16x16_f16 v[2:5], v[18:19], v[26:27], v[2:5]
	v_mfma_f32_16x16x16_f16 v[2:5], v[20:21], v[28:29], v[2:5]
	ds_read_b128 v[6:9], v37 offset:6144
	ds_read_b128 v[18:21], v37 offset:6160
	s_waitcnt lgkmcnt(0)
	s_barrier
	s_waitcnt vmcnt(1)
	v_mfma_f32_16x16x16_f16 v[2:5], v[14:15], v[6:7], v[2:5]
	v_mfma_f32_16x16x16_f16 v[2:5], v[16:17], v[8:9], v[2:5]
	s_waitcnt vmcnt(0)
	v_mfma_f32_16x16x16_f16 v[2:5], v[10:11], v[18:19], v[2:5]
	v_mfma_f32_16x16x16_f16 v[2:5], v[12:13], v[20:21], v[2:5]
	s_nop 6
	v_cvt_f16_f32_e32 v2, v2
	v_cvt_f16_f32_e32 v3, v3
	;; [unrolled: 1-line block ×4, first 2 shown]
	v_pack_b32_f16 v2, v2, v3
	v_pack_b32_f16 v3, v4, v5
	ds_write_b64 v36, v[2:3]
	s_waitcnt lgkmcnt(0)
	s_barrier
	s_and_saveexec_b64 s[10:11], s[6:7]
	s_cbranch_execz .LBB188_19
; %bb.18:
	s_load_dwordx2 s[0:1], s[0:1], 0x68
	s_mul_i32 s2, s9, s2
	s_lshl_b32 s8, s8, 6
	s_mul_hi_u32 s7, s2, s8
	s_mul_i32 s6, s2, s8
	s_lshl_b64 s[6:7], s[6:7], 1
	s_waitcnt lgkmcnt(0)
	s_add_u32 s6, s0, s6
	v_lshlrev_b32_e32 v2, 10, v0
	v_lshlrev_b32_e32 v0, 4, v0
	s_addc_u32 s7, s1, s7
	s_lshl_b32 s2, s5, 6
	v_and_b32_e32 v2, 0x1800, v2
	v_lshlrev_b32_e32 v1, 5, v1
	v_and_b32_e32 v0, 16, v0
	s_lshl_b64 s[0:1], s[2:3], 1
	v_or3_b32 v0, v2, v1, v0
	s_add_u32 s2, s6, s0
	ds_read_b128 v[0:3], v0
	s_addc_u32 s3, s7, s1
	s_mul_hi_u32 s1, s8, s4
	s_mul_i32 s0, s8, s4
	s_lshl_b64 s[0:1], s[0:1], 1
	s_add_u32 s0, s2, s0
	s_addc_u32 s1, s3, s1
	v_lshl_add_u64 v[4:5], v[34:35], 1, s[0:1]
	s_waitcnt lgkmcnt(0)
	global_store_dwordx4 v[4:5], v[0:3], off
.LBB188_19:
	s_endpgm
	.section	.rodata,"a",@progbits
	.p2align	6, 0x0
	.amdhsa_kernel _Z39paged_attention_ll4mi_QKV_mfma16_kernelIDF16_DF16_LN4vllm18Fp8KVCacheDataTypeE0EDF16_Li32ELi64ELi256ELb0ELi1EEvPKT_PKT0_S7_ifPKiS9_S9_iPKfiiiPfSC_PS2_PT2_iSB_SB_
		.amdhsa_group_segment_fixed_size 8192
		.amdhsa_private_segment_fixed_size 0
		.amdhsa_kernarg_size 400
		.amdhsa_user_sgpr_count 2
		.amdhsa_user_sgpr_dispatch_ptr 0
		.amdhsa_user_sgpr_queue_ptr 0
		.amdhsa_user_sgpr_kernarg_segment_ptr 1
		.amdhsa_user_sgpr_dispatch_id 0
		.amdhsa_user_sgpr_kernarg_preload_length 0
		.amdhsa_user_sgpr_kernarg_preload_offset 0
		.amdhsa_user_sgpr_private_segment_size 0
		.amdhsa_uses_dynamic_stack 0
		.amdhsa_enable_private_segment 0
		.amdhsa_system_sgpr_workgroup_id_x 1
		.amdhsa_system_sgpr_workgroup_id_y 1
		.amdhsa_system_sgpr_workgroup_id_z 1
		.amdhsa_system_sgpr_workgroup_info 0
		.amdhsa_system_vgpr_workitem_id 0
		.amdhsa_next_free_vgpr 67
		.amdhsa_next_free_sgpr 48
		.amdhsa_accum_offset 68
		.amdhsa_reserve_vcc 1
		.amdhsa_float_round_mode_32 0
		.amdhsa_float_round_mode_16_64 0
		.amdhsa_float_denorm_mode_32 3
		.amdhsa_float_denorm_mode_16_64 3
		.amdhsa_dx10_clamp 1
		.amdhsa_ieee_mode 1
		.amdhsa_fp16_overflow 0
		.amdhsa_tg_split 0
		.amdhsa_exception_fp_ieee_invalid_op 0
		.amdhsa_exception_fp_denorm_src 0
		.amdhsa_exception_fp_ieee_div_zero 0
		.amdhsa_exception_fp_ieee_overflow 0
		.amdhsa_exception_fp_ieee_underflow 0
		.amdhsa_exception_fp_ieee_inexact 0
		.amdhsa_exception_int_div_zero 0
	.end_amdhsa_kernel
	.section	.text._Z39paged_attention_ll4mi_QKV_mfma16_kernelIDF16_DF16_LN4vllm18Fp8KVCacheDataTypeE0EDF16_Li32ELi64ELi256ELb0ELi1EEvPKT_PKT0_S7_ifPKiS9_S9_iPKfiiiPfSC_PS2_PT2_iSB_SB_,"axG",@progbits,_Z39paged_attention_ll4mi_QKV_mfma16_kernelIDF16_DF16_LN4vllm18Fp8KVCacheDataTypeE0EDF16_Li32ELi64ELi256ELb0ELi1EEvPKT_PKT0_S7_ifPKiS9_S9_iPKfiiiPfSC_PS2_PT2_iSB_SB_,comdat
.Lfunc_end188:
	.size	_Z39paged_attention_ll4mi_QKV_mfma16_kernelIDF16_DF16_LN4vllm18Fp8KVCacheDataTypeE0EDF16_Li32ELi64ELi256ELb0ELi1EEvPKT_PKT0_S7_ifPKiS9_S9_iPKfiiiPfSC_PS2_PT2_iSB_SB_, .Lfunc_end188-_Z39paged_attention_ll4mi_QKV_mfma16_kernelIDF16_DF16_LN4vllm18Fp8KVCacheDataTypeE0EDF16_Li32ELi64ELi256ELb0ELi1EEvPKT_PKT0_S7_ifPKiS9_S9_iPKfiiiPfSC_PS2_PT2_iSB_SB_
                                        ; -- End function
	.section	.AMDGPU.csdata,"",@progbits
; Kernel info:
; codeLenInByte = 3728
; NumSgprs: 54
; NumVgprs: 67
; NumAgprs: 0
; TotalNumVgprs: 67
; ScratchSize: 0
; MemoryBound: 0
; FloatMode: 240
; IeeeMode: 1
; LDSByteSize: 8192 bytes/workgroup (compile time only)
; SGPRBlocks: 6
; VGPRBlocks: 8
; NumSGPRsForWavesPerEU: 54
; NumVGPRsForWavesPerEU: 67
; AccumOffset: 68
; Occupancy: 7
; WaveLimiterHint : 1
; COMPUTE_PGM_RSRC2:SCRATCH_EN: 0
; COMPUTE_PGM_RSRC2:USER_SGPR: 2
; COMPUTE_PGM_RSRC2:TRAP_HANDLER: 0
; COMPUTE_PGM_RSRC2:TGID_X_EN: 1
; COMPUTE_PGM_RSRC2:TGID_Y_EN: 1
; COMPUTE_PGM_RSRC2:TGID_Z_EN: 1
; COMPUTE_PGM_RSRC2:TIDIG_COMP_CNT: 0
; COMPUTE_PGM_RSRC3_GFX90A:ACCUM_OFFSET: 16
; COMPUTE_PGM_RSRC3_GFX90A:TG_SPLIT: 0
	.section	.text._Z39paged_attention_ll4mi_QKV_mfma16_kernelIDF16_DF16_LN4vllm18Fp8KVCacheDataTypeE0EDF16_Li32ELi64ELi256ELb0ELi2EEvPKT_PKT0_S7_ifPKiS9_S9_iPKfiiiPfSC_PS2_PT2_iSB_SB_,"axG",@progbits,_Z39paged_attention_ll4mi_QKV_mfma16_kernelIDF16_DF16_LN4vllm18Fp8KVCacheDataTypeE0EDF16_Li32ELi64ELi256ELb0ELi2EEvPKT_PKT0_S7_ifPKiS9_S9_iPKfiiiPfSC_PS2_PT2_iSB_SB_,comdat
	.protected	_Z39paged_attention_ll4mi_QKV_mfma16_kernelIDF16_DF16_LN4vllm18Fp8KVCacheDataTypeE0EDF16_Li32ELi64ELi256ELb0ELi2EEvPKT_PKT0_S7_ifPKiS9_S9_iPKfiiiPfSC_PS2_PT2_iSB_SB_ ; -- Begin function _Z39paged_attention_ll4mi_QKV_mfma16_kernelIDF16_DF16_LN4vllm18Fp8KVCacheDataTypeE0EDF16_Li32ELi64ELi256ELb0ELi2EEvPKT_PKT0_S7_ifPKiS9_S9_iPKfiiiPfSC_PS2_PT2_iSB_SB_
	.globl	_Z39paged_attention_ll4mi_QKV_mfma16_kernelIDF16_DF16_LN4vllm18Fp8KVCacheDataTypeE0EDF16_Li32ELi64ELi256ELb0ELi2EEvPKT_PKT0_S7_ifPKiS9_S9_iPKfiiiPfSC_PS2_PT2_iSB_SB_
	.p2align	8
	.type	_Z39paged_attention_ll4mi_QKV_mfma16_kernelIDF16_DF16_LN4vllm18Fp8KVCacheDataTypeE0EDF16_Li32ELi64ELi256ELb0ELi2EEvPKT_PKT0_S7_ifPKiS9_S9_iPKfiiiPfSC_PS2_PT2_iSB_SB_,@function
_Z39paged_attention_ll4mi_QKV_mfma16_kernelIDF16_DF16_LN4vllm18Fp8KVCacheDataTypeE0EDF16_Li32ELi64ELi256ELb0ELi2EEvPKT_PKT0_S7_ifPKiS9_S9_iPKfiiiPfSC_PS2_PT2_iSB_SB_: ; @_Z39paged_attention_ll4mi_QKV_mfma16_kernelIDF16_DF16_LN4vllm18Fp8KVCacheDataTypeE0EDF16_Li32ELi64ELi256ELb0ELi2EEvPKT_PKT0_S7_ifPKiS9_S9_iPKfiiiPfSC_PS2_PT2_iSB_SB_
; %bb.0:
	s_load_dwordx2 s[6:7], s[0:1], 0x30
	s_mov_b32 s28, s3
	s_mov_b64 s[10:11], 0
	s_waitcnt lgkmcnt(0)
	s_cmp_lg_u64 s[6:7], 0
	s_cselect_b64 s[8:9], -1, 0
	s_and_b64 vcc, exec, s[8:9]
	s_cbranch_vccz .LBB189_7
; %bb.1:
	s_add_i32 s12, s2, 1
	s_mov_b32 s13, 0
	s_lshl_b64 s[14:15], s[12:13], 2
	s_add_u32 s14, s6, s14
	s_mov_b32 s3, s13
	s_addc_u32 s15, s7, s15
	s_lshl_b64 s[12:13], s[2:3], 2
	s_add_u32 s12, s6, s12
	s_addc_u32 s13, s7, s13
	s_load_dword s5, s[14:15], 0x0
	s_load_dword s16, s[12:13], 0x0
	s_waitcnt lgkmcnt(0)
	s_sub_i32 s5, s5, s16
	s_cmp_eq_u32 s5, 1
	s_cselect_b64 s[12:13], -1, 0
	s_andn2_b64 vcc, exec, s[10:11]
	s_cbranch_vccnz .LBB189_3
.LBB189_2:
	s_mov_b32 s3, 0
	s_mov_b64 s[12:13], -1
.LBB189_3:
	s_andn2_b64 vcc, exec, s[12:13]
	s_cbranch_vccnz .LBB189_19
; %bb.4:
	s_load_dwordx2 s[12:13], s[0:1], 0x28
	s_lshl_b64 s[10:11], s[2:3], 2
	s_waitcnt lgkmcnt(0)
	s_add_u32 s12, s12, s10
	s_addc_u32 s13, s13, s11
	s_load_dword s40, s[12:13], 0x0
	s_lshl_b32 s14, s28, 8
	s_waitcnt lgkmcnt(0)
	s_cmp_ge_i32 s14, s40
	s_cbranch_scc1 .LBB189_19
; %bb.5:
	s_load_dwordx2 s[12:13], s[0:1], 0x20
	s_load_dword s5, s[0:1], 0x38
	s_add_i32 s15, s40, 31
	s_ashr_i32 s16, s15, 31
	v_and_b32_e32 v1, 0xcf, v0
	s_lshr_b32 s16, s16, 27
	v_add_u32_e32 v1, s14, v1
	s_add_i32 s15, s15, s16
	v_ashrrev_i32_e32 v2, 31, v1
	s_ashr_i32 s15, s15, 5
	v_lshrrev_b32_e32 v10, 27, v2
	s_add_i32 s15, s15, -1
	s_waitcnt lgkmcnt(0)
	s_mul_i32 s16, s2, s5
	s_mov_b32 s17, 0
	v_add_u32_e32 v2, v1, v10
	s_lshl_b64 s[16:17], s[16:17], 2
	v_ashrrev_i32_e32 v2, 5, v2
	v_mov_b32_e32 v11, s15
	v_cmp_gt_i32_e32 vcc, s40, v1
	s_add_u32 s12, s12, s16
	s_addc_u32 s13, s13, s17
	v_cndmask_b32_e32 v2, v11, v2, vcc
	v_ashrrev_i32_e32 v3, 31, v2
	v_lshl_add_u64 v[4:5], v[2:3], 2, s[12:13]
	v_or_b32_e32 v2, 16, v1
	v_add_u32_e32 v3, v2, v10
	v_ashrrev_i32_e32 v3, 5, v3
	v_cmp_gt_i32_e32 vcc, s40, v2
	s_nop 1
	v_cndmask_b32_e32 v2, v11, v3, vcc
	v_ashrrev_i32_e32 v3, 31, v2
	v_lshl_add_u64 v[6:7], v[2:3], 2, s[12:13]
	v_or_b32_e32 v2, 32, v1
	v_add_u32_e32 v3, v2, v10
	v_ashrrev_i32_e32 v3, 5, v3
	v_cmp_gt_i32_e32 vcc, s40, v2
	v_or_b32_e32 v1, 48, v1
	s_nop 0
	v_cndmask_b32_e32 v2, v11, v3, vcc
	v_ashrrev_i32_e32 v3, 31, v2
	v_lshl_add_u64 v[8:9], v[2:3], 2, s[12:13]
	v_add_u32_e32 v2, v1, v10
	v_ashrrev_i32_e32 v2, 5, v2
	v_cmp_gt_i32_e32 vcc, s40, v1
	s_nop 1
	v_cndmask_b32_e32 v2, v11, v2, vcc
	v_ashrrev_i32_e32 v3, 31, v2
	v_lshl_add_u64 v[12:13], v[2:3], 2, s[12:13]
	global_load_dword v3, v[4:5], off
	global_load_dword v2, v[6:7], off
	;; [unrolled: 1-line block ×4, first 2 shown]
	s_andn2_b64 vcc, exec, s[8:9]
	s_cbranch_vccnz .LBB189_8
; %bb.6:
	s_add_u32 s6, s6, s10
	s_addc_u32 s7, s7, s11
	s_load_dword s5, s[6:7], 0x0
	s_branch .LBB189_9
.LBB189_7:
	s_mov_b64 s[12:13], 0
	s_branch .LBB189_2
.LBB189_8:
	s_mov_b32 s5, s2
.LBB189_9:
	s_load_dwordx4 s[8:11], s[0:1], 0x8
	s_load_dwordx4 s[44:47], s[0:1], 0x48
	v_lshrrev_b32_e32 v53, 6, v0
	v_bfe_u32 v1, v0, 4, 2
	v_lshl_or_b32 v4, v53, 2, v1
	v_and_b32_e32 v54, 15, v0
	v_cmp_lt_u32_e32 vcc, 1, v4
	v_cmp_lt_u32_e64 s[6:7], 7, v54
	v_lshlrev_b32_e32 v34, 3, v54
	v_cmp_gt_u32_e64 s[30:31], 8, v54
	s_or_b64 s[6:7], s[6:7], vcc
	s_and_saveexec_b64 s[16:17], s[6:7]
	s_xor_b64 s[6:7], exec, s[16:17]
; %bb.10:
	v_mov_b32_e32 v35, 0
                                        ; implicit-def: $vgpr4
; %bb.11:
	s_or_saveexec_b64 s[6:7], s[6:7]
	s_lshl_b32 s29, s4, 1
	v_and_b32_e32 v52, 63, v0
	s_xor_b64 exec, exec, s[6:7]
	s_cbranch_execz .LBB189_13
; %bb.12:
	s_load_dwordx2 s[16:17], s[0:1], 0x0
	s_waitcnt lgkmcnt(0)
	s_ashr_i32 s18, s44, 31
	s_mul_hi_u32 s19, s5, s44
	s_mul_i32 s18, s5, s18
	s_add_i32 s19, s19, s18
	s_mul_i32 s18, s5, s44
	s_lshl_b64 s[18:19], s[18:19], 1
	s_add_u32 s16, s16, s18
	v_add_lshl_u32 v6, v1, s29, 6
	s_addc_u32 s17, s17, s19
	v_ashrrev_i32_e32 v7, 31, v6
	v_mov_b32_e32 v35, 0
	v_lshl_add_u64 v[6:7], v[6:7], 1, s[16:17]
	v_lshlrev_b32_e32 v8, 1, v34
	v_mov_b32_e32 v9, v35
	v_lshl_add_u64 v[6:7], v[6:7], 0, v[8:9]
	global_load_dwordx4 v[6:9], v[6:7], off
	v_and_b32_e32 v5, 3, v0
	v_lshlrev_b32_e32 v11, 9, v54
	v_lshlrev_b32_e32 v4, 5, v4
	;; [unrolled: 1-line block ×3, first 2 shown]
	v_and_b32_e32 v11, 0x1800, v11
	v_or3_b32 v4, v11, v5, v4
	s_waitcnt vmcnt(0)
	ds_write_b128 v4, v[6:9]
.LBB189_13:
	s_or_b64 exec, exec, s[6:7]
	s_waitcnt lgkmcnt(0)
	s_mul_i32 s4, s4, s46
	s_mov_b32 s5, 0
	s_lshl_b64 s[4:5], s[4:5], 1
	s_add_u32 s8, s8, s4
	s_addc_u32 s9, s9, s5
	s_waitcnt vmcnt(3)
	v_mad_i64_i32 v[4:5], s[16:17], v3, s45, 0
	v_lshl_add_u64 v[4:5], v[4:5], 1, s[8:9]
	v_lshlrev_b64 v[12:13], 1, v[34:35]
	v_lshlrev_b32_e32 v36, 9, v1
	v_lshl_add_u64 v[4:5], v[4:5], 0, v[12:13]
	v_mov_b32_e32 v37, 0
	v_lshl_add_u64 v[20:21], v[4:5], 0, v[36:37]
	s_waitcnt vmcnt(2)
	v_mad_i64_i32 v[2:3], s[16:17], v2, s45, 0
	v_mov_b32_e32 v4, 0x100
	v_lshl_add_u64 v[2:3], v[2:3], 1, s[8:9]
	v_lshl_or_b32 v38, v54, 4, v4
	v_mov_b32_e32 v39, v37
	s_load_dword s33, s[0:1], 0x98
	s_load_dword s6, s[0:1], 0x1c
	s_waitcnt lgkmcnt(0)
	s_barrier
	v_lshl_add_u64 v[2:3], v[2:3], 0, v[38:39]
	global_load_dwordx4 v[6:9], v[20:21], off
	v_lshl_add_u64 v[22:23], v[2:3], 0, v[36:37]
	global_load_dwordx4 v[2:5], v[22:23], off
	global_load_dwordx4 v[26:29], v[22:23], off offset:2048
	s_waitcnt vmcnt(4)
	v_mad_i64_i32 v[10:11], s[16:17], v10, s45, 0
	v_lshl_add_u64 v[10:11], v[10:11], 1, s[8:9]
	v_lshl_add_u64 v[10:11], v[10:11], 0, v[12:13]
	v_lshl_add_u64 v[24:25], v[10:11], 0, v[36:37]
	global_load_dwordx4 v[10:13], v[20:21], off offset:2048
	global_load_dwordx4 v[14:17], v[24:25], off
	global_load_dwordx4 v[30:33], v[24:25], off offset:2048
	s_waitcnt vmcnt(6)
	v_mad_i64_i32 v[40:41], s[16:17], v18, s45, 0
	v_lshl_add_u64 v[40:41], v[40:41], 1, s[8:9]
	v_and_b32_e32 v19, 1, v0
	v_lshl_add_u64 v[38:39], v[40:41], 0, v[38:39]
	v_lshl_or_b32 v18, v19, 5, v36
	v_lshl_add_u64 v[38:39], v[38:39], 0, v[36:37]
	ds_read_b128 v[22:25], v18
	ds_read_b128 v[18:21], v18 offset:2048
	global_load_dwordx4 v[44:47], v[38:39], off
	global_load_dwordx4 v[60:63], v[38:39], off offset:2048
	s_ashr_i32 s7, s14, 31
	v_and_or_b32 v55, v0, 48, s14
	s_lshr_b32 s7, s7, 27
	v_add_u32_e32 v40, s7, v55
	v_mov_b32_e32 v64, s15
	v_or_b32_e32 v48, 64, v55
	v_ashrrev_i32_e32 v36, 5, v40
	v_cmp_gt_i32_e32 vcc, s40, v55
	v_add_u32_e32 v41, s7, v48
	v_ashrrev_i32_e32 v49, 5, v41
	v_cndmask_b32_e32 v40, v64, v36, vcc
	v_ashrrev_i32_e32 v41, 31, v40
	v_lshl_add_u64 v[40:41], v[40:41], 2, s[12:13]
	v_cmp_gt_i32_e32 vcc, s40, v48
	global_load_dword v65, v[40:41], off
	v_or_b32_e32 v39, 0x80, v55
	v_and_b32_e32 v36, 16, v0
	s_add_u32 s4, s10, s4
	v_lshlrev_b32_e32 v38, 6, v54
	s_addc_u32 s5, s11, s5
	v_lshlrev_b32_e32 v36, 1, v36
	s_mov_b32 s42, 0xff7fffff
	s_waitcnt vmcnt(8) lgkmcnt(1)
	v_mfma_f32_16x16x16_f16 v[40:43], v[6:7], v[22:23], 0
	v_cndmask_b32_e32 v6, v64, v49, vcc
	v_ashrrev_i32_e32 v7, 31, v6
	v_cmp_gt_i32_e32 vcc, s40, v39
	s_waitcnt vmcnt(7)
	v_mfma_f32_16x16x16_f16 v[48:51], v[2:3], v[22:23], 0
	v_lshl_add_u64 v[2:3], v[6:7], 2, s[12:13]
	global_load_dword v66, v[2:3], off
	v_mfma_f32_16x16x16_f16 v[6:9], v[8:9], v[24:25], v[40:43]
	v_mfma_f32_16x16x16_f16 v[2:5], v[4:5], v[24:25], v[48:51]
	s_nop 1
	v_or_b32_e32 v40, 0xc0, v55
	v_add_u32_e32 v41, s7, v39
	v_add_u32_e32 v42, s7, v40
	s_waitcnt vmcnt(6) lgkmcnt(0)
	v_mfma_f32_16x16x16_f16 v[6:9], v[10:11], v[18:19], v[6:9]
	v_ashrrev_i32_e32 v41, 5, v41
	v_ashrrev_i32_e32 v43, 5, v42
	v_cndmask_b32_e32 v42, v64, v41, vcc
	s_waitcnt vmcnt(5)
	v_mfma_f32_16x16x16_f16 v[56:59], v[14:15], v[22:23], 0
	v_cmp_gt_i32_e32 vcc, s40, v40
	v_lshl_add_u64 v[10:11], s[4:5], 0, v[36:37]
	v_lshl_or_b32 v36, v53, 10, v38
	v_mfma_f32_16x16x16_f16 v[2:5], v[26:27], v[18:19], v[2:5]
	v_cndmask_b32_e32 v26, v64, v43, vcc
	v_ashrrev_i32_e32 v43, 31, v42
	v_ashrrev_i32_e32 v27, 31, v26
	v_mfma_f32_16x16x16_f16 v[38:41], v[12:13], v[20:21], v[6:9]
	v_lshl_add_u64 v[10:11], v[10:11], 0, v[36:37]
	s_waitcnt vmcnt(0)
	v_mad_i64_i32 v[12:13], s[4:5], v66, s45, 0
	v_lshl_add_u64 v[6:7], v[42:43], 2, s[12:13]
	v_mfma_f32_16x16x16_f16 v[14:17], v[16:17], v[24:25], v[56:59]
	v_lshl_add_u64 v[8:9], v[26:27], 2, s[12:13]
	global_load_dword v55, v[6:7], off
	s_nop 0
	global_load_dword v58, v[8:9], off
	v_lshl_add_u64 v[56:57], v[12:13], 1, v[10:11]
	v_mfma_f32_16x16x16_f16 v[14:17], v[30:31], v[18:19], v[14:17]
	v_pk_mul_f32 v[12:13], s[6:7], v[38:39] op_sel_hi:[0,1]
	v_pk_mul_f32 v[48:49], s[6:7], v[40:41] op_sel_hi:[0,1]
	v_mfma_f32_16x16x16_f16 v[14:17], v[32:33], v[20:21], v[14:17]
	v_mfma_f32_16x16x16_f16 v[30:33], v[44:45], v[22:23], 0
	;; [unrolled: 1-line block ×3, first 2 shown]
	s_nop 4
	v_pk_mul_f32 v[44:45], s[6:7], v[16:17] op_sel_hi:[0,1]
	v_pk_mul_f32 v[46:47], s[6:7], v[14:15] op_sel_hi:[0,1]
	v_mfma_f32_16x16x16_f16 v[22:25], v[60:61], v[18:19], v[22:25]
	v_mfma_f32_16x16x16_f16 v[14:17], v[62:63], v[20:21], v[22:25]
	v_mfma_f32_16x16x16_f16 v[26:29], v[28:29], v[20:21], v[2:5]
	s_nop 5
	v_pk_mul_f32 v[42:43], s[6:7], v[14:15] op_sel_hi:[0,1]
	v_and_b32_e32 v14, 0xc0, v0
	v_add_u32_e32 v14, s14, v14
	v_lshl_or_b32 v14, v1, 2, v14
	v_mad_i64_i32 v[2:3], s[4:5], v65, s45, 0
	v_pk_mul_f32 v[36:37], s[6:7], v[16:17] op_sel_hi:[0,1]
	v_or_b32_e32 v17, 1, v14
	v_mov_b32_e32 v15, 0xff7fffff
	v_cmp_gt_i32_e64 s[4:5], s40, v14
	v_cmp_gt_i32_e64 s[34:35], s40, v17
	v_or_b32_e32 v18, 3, v14
	v_cndmask_b32_e64 v16, v15, v12, s[4:5]
	v_cndmask_b32_e64 v17, v15, v13, s[34:35]
	v_max3_f32 v16, v16, s42, v17
	v_or_b32_e32 v17, 2, v14
	v_cmp_gt_i32_e64 s[36:37], s40, v17
	v_cmp_gt_i32_e64 s[38:39], s40, v18
	v_pk_mul_f32 v[40:41], s[6:7], v[26:27] op_sel_hi:[0,1]
	v_cndmask_b32_e64 v17, v15, v48, s[36:37]
	v_cndmask_b32_e64 v18, v15, v49, s[38:39]
	v_max3_f32 v16, v16, v17, v18
	v_or_b32_e32 v17, 16, v14
	v_or_b32_e32 v18, 17, v14
	v_cmp_gt_i32_e64 s[24:25], s40, v17
	v_cmp_gt_i32_e64 s[26:27], s40, v18
	v_pk_mul_f32 v[50:51], s[6:7], v[28:29] op_sel_hi:[0,1]
	v_cndmask_b32_e64 v17, v15, v40, s[24:25]
	v_cndmask_b32_e64 v18, v15, v41, s[26:27]
	v_max3_f32 v16, v16, v17, v18
	v_or_b32_e32 v17, 18, v14
	v_or_b32_e32 v18, 19, v14
	v_cmp_gt_i32_e64 s[20:21], s40, v17
	v_cmp_gt_i32_e64 s[22:23], s40, v18
	v_lshl_add_u64 v[2:3], v[2:3], 1, v[10:11]
	v_cndmask_b32_e64 v17, v15, v50, s[20:21]
	v_cndmask_b32_e64 v18, v15, v51, s[22:23]
	v_max3_f32 v16, v16, v17, v18
	v_or_b32_e32 v17, 32, v14
	v_or_b32_e32 v18, 33, v14
	v_cmp_gt_i32_e64 s[16:17], s40, v17
	v_cmp_gt_i32_e64 s[18:19], s40, v18
	global_load_dwordx4 v[6:9], v[2:3], off
	s_nop 0
	global_load_dwordx4 v[2:5], v[2:3], off offset:16
	v_cndmask_b32_e64 v17, v15, v46, s[16:17]
	v_cndmask_b32_e64 v18, v15, v47, s[18:19]
	v_max3_f32 v16, v16, v17, v18
	v_or_b32_e32 v17, 34, v14
	v_or_b32_e32 v18, 35, v14
	v_cmp_gt_i32_e64 s[12:13], s40, v17
	v_cmp_gt_i32_e64 s[14:15], s40, v18
	global_load_dwordx4 v[30:33], v[56:57], off
	global_load_dwordx4 v[26:29], v[56:57], off offset:16
	v_cndmask_b32_e64 v17, v15, v44, s[12:13]
	v_cndmask_b32_e64 v18, v15, v45, s[14:15]
	v_max3_f32 v16, v16, v17, v18
	v_or_b32_e32 v17, 48, v14
	v_or_b32_e32 v18, 49, v14
	v_cmp_gt_i32_e64 s[8:9], s40, v17
	v_cmp_gt_i32_e64 s[10:11], s40, v18
	s_nop 0
	v_cndmask_b32_e64 v17, v15, v42, s[8:9]
	v_cndmask_b32_e64 v18, v15, v43, s[10:11]
	v_max3_f32 v16, v16, v17, v18
	v_or_b32_e32 v17, 50, v14
	v_or_b32_e32 v14, 51, v14
	v_cmp_gt_i32_e32 vcc, s40, v17
	v_cmp_gt_i32_e64 s[6:7], s40, v14
	s_nop 0
	v_cndmask_b32_e32 v17, v15, v36, vcc
	v_cndmask_b32_e64 v14, v15, v37, s[6:7]
	v_max3_f32 v16, v16, v17, v14
	v_mbcnt_lo_u32_b32 v14, -1, 0
	v_mbcnt_hi_u32_b32 v17, -1, v14
	v_and_b32_e32 v14, 64, v17
	v_add_u32_e32 v18, 64, v14
	v_xor_b32_e32 v14, 32, v17
	v_cmp_lt_i32_e64 s[40:41], v14, v18
	s_nop 1
	v_cndmask_b32_e64 v14, v17, v14, s[40:41]
	v_lshlrev_b32_e32 v59, 2, v14
	ds_bpermute_b32 v19, v59, v16
	s_waitcnt vmcnt(5)
	v_mad_i64_i32 v[14:15], s[40:41], v55, s45, 0
	v_lshl_add_u64 v[14:15], v[14:15], 1, v[10:11]
	s_waitcnt lgkmcnt(0)
	v_max_f32_e32 v19, v19, v19
	v_max_f32_e32 v16, v16, v19
	v_xor_b32_e32 v19, 16, v17
	v_cmp_lt_i32_e64 s[40:41], v19, v18
	s_nop 1
	v_cndmask_b32_e64 v17, v17, v19, s[40:41]
	v_lshlrev_b32_e32 v56, 2, v17
	ds_bpermute_b32 v17, v56, v16
	global_load_dwordx4 v[22:25], v[14:15], off
	global_load_dwordx4 v[18:21], v[14:15], off offset:16
	s_waitcnt vmcnt(6)
	v_mad_i64_i32 v[14:15], s[40:41], v58, s45, 0
	v_lshl_add_u64 v[10:11], v[14:15], 1, v[10:11]
	s_waitcnt lgkmcnt(0)
	v_max_f32_e32 v14, v17, v17
	v_max_f32_e32 v55, v16, v14
	v_sub_f32_e32 v12, v12, v55
	v_mul_f32_e32 v12, 0x3fb8aa3b, v12
	v_exp_f32_e32 v38, v12
	v_sub_f32_e32 v12, v13, v55
	v_mul_f32_e32 v12, 0x3fb8aa3b, v12
	v_exp_f32_e32 v39, v12
	global_load_dwordx4 v[14:17], v[10:11], off
	s_nop 0
	global_load_dwordx4 v[10:13], v[10:11], off offset:16
	v_sub_f32_e32 v48, v48, v55
	v_mul_f32_e32 v48, 0x3fb8aa3b, v48
	v_sub_f32_e32 v49, v49, v55
	v_exp_f32_e32 v48, v48
	v_mul_f32_e32 v49, 0x3fb8aa3b, v49
	v_sub_f32_e32 v40, v40, v55
	v_exp_f32_e32 v49, v49
	v_mul_f32_e32 v40, 0x3fb8aa3b, v40
	v_sub_f32_e32 v41, v41, v55
	v_cndmask_b32_e64 v38, 0, v38, s[4:5]
	v_exp_f32_e32 v40, v40
	v_mul_f32_e32 v41, 0x3fb8aa3b, v41
	v_sub_f32_e32 v50, v50, v55
	v_add_f32_e32 v57, 0, v38
	v_cndmask_b32_e64 v39, 0, v39, s[34:35]
	v_exp_f32_e32 v41, v41
	v_mul_f32_e32 v50, 0x3fb8aa3b, v50
	v_sub_f32_e32 v51, v51, v55
	v_add_f32_e32 v57, v57, v39
	;; [unrolled: 5-line block ×10, first 2 shown]
	v_cndmask_b32_e64 v44, 0, v44, s[12:13]
	v_exp_f32_e32 v36, v36
	v_mul_f32_e32 v37, 0x3fb8aa3b, v37
	v_add_f32_e32 v57, v57, v44
	v_cndmask_b32_e64 v45, 0, v45, s[14:15]
	v_exp_f32_e32 v37, v37
	v_add_f32_e32 v57, v57, v45
	v_cndmask_b32_e64 v42, 0, v42, s[8:9]
	v_add_f32_e32 v57, v57, v42
	v_cndmask_b32_e64 v43, 0, v43, s[10:11]
	v_add_f32_e32 v57, v57, v43
	v_cndmask_b32_e32 v36, 0, v36, vcc
	v_add_f32_e32 v57, v57, v36
	v_cndmask_b32_e64 v37, 0, v37, s[6:7]
	v_add_f32_e32 v57, v57, v37
	ds_bpermute_b32 v58, v59, v57
	v_cmp_gt_u32_e32 vcc, 16, v52
	s_waitcnt lgkmcnt(0)
	s_barrier
	v_add_f32_e32 v57, v57, v58
	ds_bpermute_b32 v58, v56, v57
	v_lshlrev_b32_e32 v56, 2, v54
	s_and_saveexec_b64 s[4:5], vcc
	s_cbranch_execz .LBB189_15
; %bb.14:
	s_waitcnt lgkmcnt(0)
	v_add_f32_e32 v57, v57, v58
	v_lshl_or_b32 v58, v53, 6, v56
	ds_write2st64_b32 v58, v55, v57 offset1:1
.LBB189_15:
	s_or_b64 exec, exec, s[4:5]
	s_load_dword s6, s[0:1], 0x94
	s_waitcnt lgkmcnt(0)
	s_barrier
	ds_read2_b32 v[58:59], v56 offset1:16
	ds_read2_b32 v[60:61], v56 offset0:32 offset1:48
	ds_read2_b32 v[62:63], v56 offset0:64 offset1:80
	s_lshl_b32 s7, s33, 1
	s_waitcnt lgkmcnt(2)
	v_max3_f32 v55, v58, s42, v59
	s_waitcnt lgkmcnt(1)
	v_max3_f32 v55, v55, v60, v61
	v_sub_f32_e32 v57, v58, v55
	v_sub_f32_e32 v58, v59, v55
	v_mul_f32_e32 v58, 0x3fb8aa3b, v58
	v_mul_f32_e32 v57, 0x3fb8aa3b, v57
	v_exp_f32_e32 v64, v58
	v_sub_f32_e32 v58, v60, v55
	v_exp_f32_e32 v57, v57
	v_mul_f32_e32 v58, 0x3fb8aa3b, v58
	v_exp_f32_e32 v60, v58
	ds_read2_b32 v[58:59], v56 offset0:96 offset1:112
	v_sub_f32_e32 v56, v61, v55
	v_mul_f32_e32 v56, 0x3fb8aa3b, v56
	v_exp_f32_e32 v61, v56
	s_waitcnt lgkmcnt(1)
	v_fma_f32 v56, v57, v62, 0
	v_fmac_f32_e32 v56, v64, v63
	s_waitcnt lgkmcnt(0)
	v_fmac_f32_e32 v56, v60, v58
	v_fmac_f32_e32 v56, v61, v59
	v_add_f32_e32 v58, 0x358637bd, v56
	v_div_scale_f32 v59, s[4:5], v58, v58, 1.0
	v_rcp_f32_e32 v62, v59
	s_barrier
	v_fma_f32 v63, -v59, v62, 1.0
	v_fmac_f32_e32 v62, v63, v62
	v_div_scale_f32 v63, vcc, 1.0, v58, 1.0
	v_mul_f32_e32 v65, v63, v62
	v_fma_f32 v66, -v59, v65, v63
	v_fmac_f32_e32 v65, v66, v62
	v_fma_f32 v59, -v59, v65, v63
	v_div_fmas_f32 v59, v59, v62, v65
	v_cmp_eq_u32_e32 vcc, 1, v53
	v_div_fixup_f32 v58, v59, v58, 1.0
	s_nop 0
	v_cndmask_b32_e32 v57, v57, v64, vcc
	v_cmp_eq_u32_e32 vcc, 2, v53
	s_nop 1
	v_cndmask_b32_e32 v57, v57, v60, vcc
	v_cmp_eq_u32_e32 vcc, 3, v53
	v_lshlrev_b32_e32 v53, 11, v53
	s_nop 0
	v_cndmask_b32_e32 v57, v57, v61, vcc
	v_mul_f32_e32 v58, v57, v58
	v_pk_mul_f32 v[38:39], v[58:59], v[38:39] op_sel_hi:[0,1]
	v_pk_mul_f32 v[48:49], v[58:59], v[48:49] op_sel_hi:[0,1]
	v_cvt_f16_f32_e32 v38, v38
	v_cvt_f16_f32_e32 v39, v39
	v_pk_mul_f32 v[50:51], v[58:59], v[50:51] op_sel_hi:[0,1]
	v_pk_mul_f32 v[40:41], v[58:59], v[40:41] op_sel_hi:[0,1]
	v_cvt_f16_f32_e32 v57, v48
	v_cvt_f16_f32_e32 v49, v49
	;; [unrolled: 1-line block ×6, first 2 shown]
	v_pack_b32_f16 v48, v38, v39
	v_lshlrev_b32_e32 v38, 3, v1
	v_lshlrev_b32_e32 v39, 5, v54
	v_pack_b32_f16 v49, v57, v49
	v_or3_b32 v38, v53, v39, v38
	v_pack_b32_f16 v40, v40, v41
	v_pack_b32_f16 v41, v50, v51
	ds_write2st64_b64 v38, v[48:49], v[40:41] offset1:1
	v_pk_mul_f32 v[40:41], v[58:59], v[44:45] op_sel_hi:[0,1]
	v_pk_mul_f32 v[44:45], v[58:59], v[46:47] op_sel_hi:[0,1]
	v_cvt_f16_f32_e32 v46, v40
	v_cvt_f16_f32_e32 v47, v41
	v_pk_mul_f32 v[36:37], v[58:59], v[36:37] op_sel_hi:[0,1]
	v_pk_mul_f32 v[40:41], v[58:59], v[42:43] op_sel_hi:[0,1]
	v_cvt_f16_f32_e32 v44, v44
	v_cvt_f16_f32_e32 v45, v45
	;; [unrolled: 1-line block ×6, first 2 shown]
	v_pack_b32_f16 v36, v44, v45
	v_pack_b32_f16 v37, v46, v47
	;; [unrolled: 1-line block ×4, first 2 shown]
	v_cmp_gt_u32_e32 vcc, 2, v0
	ds_write2st64_b64 v38, v[36:37], v[40:41] offset0:2 offset1:3
	s_and_saveexec_b64 s[4:5], vcc
	s_cbranch_execz .LBB189_17
; %bb.16:
	v_or_b32_e32 v36, s29, v0
	v_mov_b32_e32 v37, 0
	v_mov_b32_e32 v40, s7
	v_mad_u64_u32 v[40:41], s[12:13], s2, v40, v[36:37]
	v_mov_b32_e32 v36, s28
	s_load_dwordx4 s[8:11], s[0:1], 0x58
	s_mul_i32 s3, s3, s7
	v_mad_u64_u32 v[36:37], s[12:13], v40, s6, v[36:37]
	v_add_u32_e32 v41, s3, v41
	v_mov_b32_e32 v40, v37
	v_mad_u64_u32 v[40:41], s[12:13], v41, s6, v[40:41]
	v_mov_b32_e32 v37, v40
	v_lshlrev_b64 v[36:37], 2, v[36:37]
	s_waitcnt lgkmcnt(0)
	v_lshl_add_u64 v[40:41], s[10:11], 0, v[36:37]
	v_lshl_add_u64 v[36:37], s[8:9], 0, v[36:37]
	global_store_dword v[40:41], v55, off
	global_store_dword v[36:37], v56, off
.LBB189_17:
	s_or_b64 exec, exec, s[4:5]
	v_lshl_or_b32 v36, v1, 9, v39
	s_waitcnt lgkmcnt(0)
	s_barrier
	ds_read_b128 v[40:43], v36
	ds_read_b128 v[44:47], v36 offset:16
	s_waitcnt vmcnt(7) lgkmcnt(1)
	v_mfma_f32_16x16x16_f16 v[48:51], v[6:7], v[40:41], 0
	v_cmp_gt_u32_e32 vcc, 64, v0
	v_cmp_gt_u32_e64 s[4:5], 32, v52
	s_and_b64 s[4:5], s[4:5], vcc
	v_mfma_f32_16x16x16_f16 v[6:9], v[8:9], v[42:43], v[48:51]
	s_mov_b32 s3, 0
	s_and_b64 s[4:5], s[4:5], s[30:31]
	s_waitcnt vmcnt(6) lgkmcnt(0)
	v_mfma_f32_16x16x16_f16 v[6:9], v[2:3], v[44:45], v[6:9]
	v_mfma_f32_16x16x16_f16 v[2:5], v[4:5], v[46:47], v[6:9]
	s_nop 5
	ds_read_b128 v[6:9], v36 offset:2048
	ds_read_b128 v[40:43], v36 offset:2064
	s_waitcnt vmcnt(5) lgkmcnt(1)
	v_mfma_f32_16x16x16_f16 v[2:5], v[30:31], v[6:7], v[2:5]
	v_mfma_f32_16x16x16_f16 v[2:5], v[32:33], v[8:9], v[2:5]
	s_waitcnt vmcnt(4) lgkmcnt(0)
	v_mfma_f32_16x16x16_f16 v[2:5], v[26:27], v[40:41], v[2:5]
	v_mfma_f32_16x16x16_f16 v[2:5], v[28:29], v[42:43], v[2:5]
	ds_read_b128 v[6:9], v36 offset:4096
	ds_read_b128 v[26:29], v36 offset:4112
	s_waitcnt vmcnt(3) lgkmcnt(1)
	v_mfma_f32_16x16x16_f16 v[2:5], v[22:23], v[6:7], v[2:5]
	v_mfma_f32_16x16x16_f16 v[2:5], v[24:25], v[8:9], v[2:5]
	s_waitcnt vmcnt(2) lgkmcnt(0)
	v_mfma_f32_16x16x16_f16 v[2:5], v[18:19], v[26:27], v[2:5]
	v_mfma_f32_16x16x16_f16 v[2:5], v[20:21], v[28:29], v[2:5]
	ds_read_b128 v[6:9], v36 offset:6144
	ds_read_b128 v[18:21], v36 offset:6160
	s_waitcnt lgkmcnt(0)
	s_barrier
	s_waitcnt vmcnt(1)
	v_mfma_f32_16x16x16_f16 v[2:5], v[14:15], v[6:7], v[2:5]
	v_mfma_f32_16x16x16_f16 v[2:5], v[16:17], v[8:9], v[2:5]
	s_waitcnt vmcnt(0)
	v_mfma_f32_16x16x16_f16 v[2:5], v[10:11], v[18:19], v[2:5]
	v_mfma_f32_16x16x16_f16 v[2:5], v[12:13], v[20:21], v[2:5]
	s_nop 6
	v_cvt_f16_f32_e32 v2, v2
	v_cvt_f16_f32_e32 v3, v3
	;; [unrolled: 1-line block ×4, first 2 shown]
	v_pack_b32_f16 v2, v2, v3
	v_pack_b32_f16 v3, v4, v5
	ds_write_b64 v38, v[2:3]
	s_waitcnt lgkmcnt(0)
	s_barrier
	s_and_saveexec_b64 s[8:9], s[4:5]
	s_cbranch_execz .LBB189_19
; %bb.18:
	s_load_dwordx2 s[0:1], s[0:1], 0x68
	s_mul_i32 s2, s7, s2
	s_lshl_b32 s6, s6, 6
	s_mul_hi_u32 s5, s2, s6
	s_mul_i32 s4, s2, s6
	v_lshlrev_b32_e32 v2, 10, v0
	v_lshlrev_b32_e32 v0, 4, v0
	s_lshl_b64 s[4:5], s[4:5], 1
	v_and_b32_e32 v2, 0x1800, v2
	v_lshlrev_b32_e32 v3, 5, v1
	v_and_b32_e32 v0, 16, v0
	s_waitcnt lgkmcnt(0)
	s_add_u32 s4, s0, s4
	v_or3_b32 v0, v2, v3, v0
	s_addc_u32 s5, s1, s5
	s_lshl_b32 s2, s28, 6
	ds_read_b128 v[2:5], v0
	s_lshl_b64 s[0:1], s[2:3], 1
	s_add_u32 s0, s4, s0
	v_or_b32_e32 v0, s29, v1
	s_addc_u32 s1, s5, s1
	v_mad_u64_u32 v[0:1], s[2:3], s6, v0, 0
	v_lshl_add_u64 v[0:1], v[0:1], 1, s[0:1]
	v_lshl_add_u64 v[0:1], v[34:35], 1, v[0:1]
	s_waitcnt lgkmcnt(0)
	global_store_dwordx4 v[0:1], v[2:5], off
.LBB189_19:
	s_endpgm
	.section	.rodata,"a",@progbits
	.p2align	6, 0x0
	.amdhsa_kernel _Z39paged_attention_ll4mi_QKV_mfma16_kernelIDF16_DF16_LN4vllm18Fp8KVCacheDataTypeE0EDF16_Li32ELi64ELi256ELb0ELi2EEvPKT_PKT0_S7_ifPKiS9_S9_iPKfiiiPfSC_PS2_PT2_iSB_SB_
		.amdhsa_group_segment_fixed_size 8192
		.amdhsa_private_segment_fixed_size 0
		.amdhsa_kernarg_size 400
		.amdhsa_user_sgpr_count 2
		.amdhsa_user_sgpr_dispatch_ptr 0
		.amdhsa_user_sgpr_queue_ptr 0
		.amdhsa_user_sgpr_kernarg_segment_ptr 1
		.amdhsa_user_sgpr_dispatch_id 0
		.amdhsa_user_sgpr_kernarg_preload_length 0
		.amdhsa_user_sgpr_kernarg_preload_offset 0
		.amdhsa_user_sgpr_private_segment_size 0
		.amdhsa_uses_dynamic_stack 0
		.amdhsa_enable_private_segment 0
		.amdhsa_system_sgpr_workgroup_id_x 1
		.amdhsa_system_sgpr_workgroup_id_y 1
		.amdhsa_system_sgpr_workgroup_id_z 1
		.amdhsa_system_sgpr_workgroup_info 0
		.amdhsa_system_vgpr_workitem_id 0
		.amdhsa_next_free_vgpr 67
		.amdhsa_next_free_sgpr 48
		.amdhsa_accum_offset 68
		.amdhsa_reserve_vcc 1
		.amdhsa_float_round_mode_32 0
		.amdhsa_float_round_mode_16_64 0
		.amdhsa_float_denorm_mode_32 3
		.amdhsa_float_denorm_mode_16_64 3
		.amdhsa_dx10_clamp 1
		.amdhsa_ieee_mode 1
		.amdhsa_fp16_overflow 0
		.amdhsa_tg_split 0
		.amdhsa_exception_fp_ieee_invalid_op 0
		.amdhsa_exception_fp_denorm_src 0
		.amdhsa_exception_fp_ieee_div_zero 0
		.amdhsa_exception_fp_ieee_overflow 0
		.amdhsa_exception_fp_ieee_underflow 0
		.amdhsa_exception_fp_ieee_inexact 0
		.amdhsa_exception_int_div_zero 0
	.end_amdhsa_kernel
	.section	.text._Z39paged_attention_ll4mi_QKV_mfma16_kernelIDF16_DF16_LN4vllm18Fp8KVCacheDataTypeE0EDF16_Li32ELi64ELi256ELb0ELi2EEvPKT_PKT0_S7_ifPKiS9_S9_iPKfiiiPfSC_PS2_PT2_iSB_SB_,"axG",@progbits,_Z39paged_attention_ll4mi_QKV_mfma16_kernelIDF16_DF16_LN4vllm18Fp8KVCacheDataTypeE0EDF16_Li32ELi64ELi256ELb0ELi2EEvPKT_PKT0_S7_ifPKiS9_S9_iPKfiiiPfSC_PS2_PT2_iSB_SB_,comdat
.Lfunc_end189:
	.size	_Z39paged_attention_ll4mi_QKV_mfma16_kernelIDF16_DF16_LN4vllm18Fp8KVCacheDataTypeE0EDF16_Li32ELi64ELi256ELb0ELi2EEvPKT_PKT0_S7_ifPKiS9_S9_iPKfiiiPfSC_PS2_PT2_iSB_SB_, .Lfunc_end189-_Z39paged_attention_ll4mi_QKV_mfma16_kernelIDF16_DF16_LN4vllm18Fp8KVCacheDataTypeE0EDF16_Li32ELi64ELi256ELb0ELi2EEvPKT_PKT0_S7_ifPKiS9_S9_iPKfiiiPfSC_PS2_PT2_iSB_SB_
                                        ; -- End function
	.section	.AMDGPU.csdata,"",@progbits
; Kernel info:
; codeLenInByte = 3804
; NumSgprs: 54
; NumVgprs: 67
; NumAgprs: 0
; TotalNumVgprs: 67
; ScratchSize: 0
; MemoryBound: 0
; FloatMode: 240
; IeeeMode: 1
; LDSByteSize: 8192 bytes/workgroup (compile time only)
; SGPRBlocks: 6
; VGPRBlocks: 8
; NumSGPRsForWavesPerEU: 54
; NumVGPRsForWavesPerEU: 67
; AccumOffset: 68
; Occupancy: 7
; WaveLimiterHint : 1
; COMPUTE_PGM_RSRC2:SCRATCH_EN: 0
; COMPUTE_PGM_RSRC2:USER_SGPR: 2
; COMPUTE_PGM_RSRC2:TRAP_HANDLER: 0
; COMPUTE_PGM_RSRC2:TGID_X_EN: 1
; COMPUTE_PGM_RSRC2:TGID_Y_EN: 1
; COMPUTE_PGM_RSRC2:TGID_Z_EN: 1
; COMPUTE_PGM_RSRC2:TIDIG_COMP_CNT: 0
; COMPUTE_PGM_RSRC3_GFX90A:ACCUM_OFFSET: 16
; COMPUTE_PGM_RSRC3_GFX90A:TG_SPLIT: 0
	.section	.text._Z39paged_attention_ll4mi_QKV_mfma16_kernelIDF16_DF16_LN4vllm18Fp8KVCacheDataTypeE0EDF16_Li32ELi64ELi256ELb0ELi3EEvPKT_PKT0_S7_ifPKiS9_S9_iPKfiiiPfSC_PS2_PT2_iSB_SB_,"axG",@progbits,_Z39paged_attention_ll4mi_QKV_mfma16_kernelIDF16_DF16_LN4vllm18Fp8KVCacheDataTypeE0EDF16_Li32ELi64ELi256ELb0ELi3EEvPKT_PKT0_S7_ifPKiS9_S9_iPKfiiiPfSC_PS2_PT2_iSB_SB_,comdat
	.protected	_Z39paged_attention_ll4mi_QKV_mfma16_kernelIDF16_DF16_LN4vllm18Fp8KVCacheDataTypeE0EDF16_Li32ELi64ELi256ELb0ELi3EEvPKT_PKT0_S7_ifPKiS9_S9_iPKfiiiPfSC_PS2_PT2_iSB_SB_ ; -- Begin function _Z39paged_attention_ll4mi_QKV_mfma16_kernelIDF16_DF16_LN4vllm18Fp8KVCacheDataTypeE0EDF16_Li32ELi64ELi256ELb0ELi3EEvPKT_PKT0_S7_ifPKiS9_S9_iPKfiiiPfSC_PS2_PT2_iSB_SB_
	.globl	_Z39paged_attention_ll4mi_QKV_mfma16_kernelIDF16_DF16_LN4vllm18Fp8KVCacheDataTypeE0EDF16_Li32ELi64ELi256ELb0ELi3EEvPKT_PKT0_S7_ifPKiS9_S9_iPKfiiiPfSC_PS2_PT2_iSB_SB_
	.p2align	8
	.type	_Z39paged_attention_ll4mi_QKV_mfma16_kernelIDF16_DF16_LN4vllm18Fp8KVCacheDataTypeE0EDF16_Li32ELi64ELi256ELb0ELi3EEvPKT_PKT0_S7_ifPKiS9_S9_iPKfiiiPfSC_PS2_PT2_iSB_SB_,@function
_Z39paged_attention_ll4mi_QKV_mfma16_kernelIDF16_DF16_LN4vllm18Fp8KVCacheDataTypeE0EDF16_Li32ELi64ELi256ELb0ELi3EEvPKT_PKT0_S7_ifPKiS9_S9_iPKfiiiPfSC_PS2_PT2_iSB_SB_: ; @_Z39paged_attention_ll4mi_QKV_mfma16_kernelIDF16_DF16_LN4vllm18Fp8KVCacheDataTypeE0EDF16_Li32ELi64ELi256ELb0ELi3EEvPKT_PKT0_S7_ifPKiS9_S9_iPKfiiiPfSC_PS2_PT2_iSB_SB_
; %bb.0:
	s_load_dwordx2 s[6:7], s[0:1], 0x30
	s_mov_b32 s28, s3
	s_mov_b64 s[10:11], 0
	s_waitcnt lgkmcnt(0)
	s_cmp_lg_u64 s[6:7], 0
	s_cselect_b64 s[8:9], -1, 0
	s_and_b64 vcc, exec, s[8:9]
	s_cbranch_vccz .LBB190_7
; %bb.1:
	s_add_i32 s12, s2, 1
	s_mov_b32 s13, 0
	s_lshl_b64 s[14:15], s[12:13], 2
	s_add_u32 s14, s6, s14
	s_mov_b32 s3, s13
	s_addc_u32 s15, s7, s15
	s_lshl_b64 s[12:13], s[2:3], 2
	s_add_u32 s12, s6, s12
	s_addc_u32 s13, s7, s13
	s_load_dword s5, s[14:15], 0x0
	s_load_dword s16, s[12:13], 0x0
	s_waitcnt lgkmcnt(0)
	s_sub_i32 s5, s5, s16
	s_cmp_eq_u32 s5, 1
	s_cselect_b64 s[12:13], -1, 0
	s_andn2_b64 vcc, exec, s[10:11]
	s_cbranch_vccnz .LBB190_3
.LBB190_2:
	s_mov_b32 s3, 0
	s_mov_b64 s[12:13], -1
.LBB190_3:
	s_andn2_b64 vcc, exec, s[12:13]
	s_cbranch_vccnz .LBB190_19
; %bb.4:
	s_load_dwordx2 s[12:13], s[0:1], 0x28
	s_lshl_b64 s[10:11], s[2:3], 2
	s_waitcnt lgkmcnt(0)
	s_add_u32 s12, s12, s10
	s_addc_u32 s13, s13, s11
	s_load_dword s33, s[12:13], 0x0
	s_lshl_b32 s14, s28, 8
	s_waitcnt lgkmcnt(0)
	s_cmp_ge_i32 s14, s33
	s_cbranch_scc1 .LBB190_19
; %bb.5:
	s_load_dwordx2 s[12:13], s[0:1], 0x20
	s_load_dword s5, s[0:1], 0x38
	s_add_i32 s15, s33, 31
	s_ashr_i32 s16, s15, 31
	v_and_b32_e32 v1, 0xcf, v0
	s_lshr_b32 s16, s16, 27
	v_add_u32_e32 v1, s14, v1
	s_add_i32 s15, s15, s16
	v_ashrrev_i32_e32 v2, 31, v1
	s_ashr_i32 s15, s15, 5
	v_lshrrev_b32_e32 v10, 27, v2
	s_add_i32 s15, s15, -1
	s_waitcnt lgkmcnt(0)
	s_mul_i32 s16, s2, s5
	s_mov_b32 s17, 0
	v_add_u32_e32 v2, v1, v10
	s_lshl_b64 s[16:17], s[16:17], 2
	v_ashrrev_i32_e32 v2, 5, v2
	v_mov_b32_e32 v11, s15
	v_cmp_gt_i32_e32 vcc, s33, v1
	s_add_u32 s12, s12, s16
	s_addc_u32 s13, s13, s17
	v_cndmask_b32_e32 v2, v11, v2, vcc
	v_ashrrev_i32_e32 v3, 31, v2
	v_lshl_add_u64 v[4:5], v[2:3], 2, s[12:13]
	v_or_b32_e32 v2, 16, v1
	v_add_u32_e32 v3, v2, v10
	v_ashrrev_i32_e32 v3, 5, v3
	v_cmp_gt_i32_e32 vcc, s33, v2
	s_nop 1
	v_cndmask_b32_e32 v2, v11, v3, vcc
	v_ashrrev_i32_e32 v3, 31, v2
	v_lshl_add_u64 v[6:7], v[2:3], 2, s[12:13]
	v_or_b32_e32 v2, 32, v1
	v_add_u32_e32 v3, v2, v10
	v_ashrrev_i32_e32 v3, 5, v3
	v_cmp_gt_i32_e32 vcc, s33, v2
	v_or_b32_e32 v1, 48, v1
	s_nop 0
	v_cndmask_b32_e32 v2, v11, v3, vcc
	v_ashrrev_i32_e32 v3, 31, v2
	v_lshl_add_u64 v[8:9], v[2:3], 2, s[12:13]
	v_add_u32_e32 v2, v1, v10
	v_ashrrev_i32_e32 v2, 5, v2
	v_cmp_gt_i32_e32 vcc, s33, v1
	s_nop 1
	v_cndmask_b32_e32 v2, v11, v2, vcc
	v_ashrrev_i32_e32 v3, 31, v2
	v_lshl_add_u64 v[12:13], v[2:3], 2, s[12:13]
	global_load_dword v3, v[4:5], off
	global_load_dword v2, v[6:7], off
	global_load_dword v10, v[8:9], off
	global_load_dword v16, v[12:13], off
	s_andn2_b64 vcc, exec, s[8:9]
	s_cbranch_vccnz .LBB190_8
; %bb.6:
	s_add_u32 s6, s6, s10
	s_addc_u32 s7, s7, s11
	s_load_dword s5, s[6:7], 0x0
	s_branch .LBB190_9
.LBB190_7:
	s_mov_b64 s[12:13], 0
	s_branch .LBB190_2
.LBB190_8:
	s_mov_b32 s5, s2
.LBB190_9:
	s_load_dwordx4 s[8:11], s[0:1], 0x8
	s_load_dwordx4 s[44:47], s[0:1], 0x48
	v_lshrrev_b32_e32 v37, 6, v0
	v_bfe_u32 v1, v0, 4, 2
	v_lshl_or_b32 v4, v37, 2, v1
	v_and_b32_e32 v36, 15, v0
	v_cmp_lt_u32_e32 vcc, 2, v4
	v_cmp_lt_u32_e64 s[6:7], 7, v36
	s_mul_i32 s42, s4, 3
	v_lshlrev_b32_e32 v34, 3, v36
	v_cmp_gt_u32_e64 s[30:31], 8, v36
	s_or_b64 s[6:7], s[6:7], vcc
	s_and_saveexec_b64 s[16:17], s[6:7]
	s_xor_b64 s[6:7], exec, s[16:17]
; %bb.10:
	v_mov_b32_e32 v35, 0
                                        ; implicit-def: $vgpr4
; %bb.11:
	s_or_saveexec_b64 s[6:7], s[6:7]
	v_and_b32_e32 v55, 63, v0
	v_add_u32_e32 v54, s42, v1
	s_xor_b64 exec, exec, s[6:7]
	s_cbranch_execz .LBB190_13
; %bb.12:
	s_load_dwordx2 s[16:17], s[0:1], 0x0
	s_waitcnt lgkmcnt(0)
	s_ashr_i32 s18, s44, 31
	s_mul_hi_u32 s19, s5, s44
	s_mul_i32 s18, s5, s18
	s_add_i32 s19, s19, s18
	s_mul_i32 s18, s5, s44
	s_lshl_b64 s[18:19], s[18:19], 1
	s_add_u32 s16, s16, s18
	v_lshlrev_b32_e32 v6, 6, v54
	s_addc_u32 s17, s17, s19
	v_ashrrev_i32_e32 v7, 31, v6
	v_mov_b32_e32 v35, 0
	v_lshl_add_u64 v[6:7], v[6:7], 1, s[16:17]
	v_lshlrev_b32_e32 v8, 1, v34
	v_mov_b32_e32 v9, v35
	v_lshl_add_u64 v[6:7], v[6:7], 0, v[8:9]
	global_load_dwordx4 v[6:9], v[6:7], off
	v_and_b32_e32 v5, 3, v0
	v_lshlrev_b32_e32 v11, 9, v36
	v_lshlrev_b32_e32 v4, 5, v4
	;; [unrolled: 1-line block ×3, first 2 shown]
	v_and_b32_e32 v11, 0x1800, v11
	v_or3_b32 v4, v11, v5, v4
	s_waitcnt vmcnt(0)
	ds_write_b128 v4, v[6:9]
.LBB190_13:
	s_or_b64 exec, exec, s[6:7]
	s_waitcnt lgkmcnt(0)
	s_mul_i32 s4, s4, s46
	s_mov_b32 s5, 0
	s_lshl_b64 s[4:5], s[4:5], 1
	s_add_u32 s8, s8, s4
	s_addc_u32 s9, s9, s5
	s_waitcnt vmcnt(3)
	v_mad_i64_i32 v[4:5], s[16:17], v3, s45, 0
	v_lshl_add_u64 v[4:5], v[4:5], 1, s[8:9]
	v_lshlrev_b64 v[12:13], 1, v[34:35]
	v_lshlrev_b32_e32 v38, 9, v1
	v_lshl_add_u64 v[4:5], v[4:5], 0, v[12:13]
	v_mov_b32_e32 v39, 0
	v_lshl_add_u64 v[14:15], v[4:5], 0, v[38:39]
	s_waitcnt vmcnt(2)
	v_mad_i64_i32 v[2:3], s[16:17], v2, s45, 0
	v_mov_b32_e32 v4, 0x100
	v_lshl_add_u64 v[2:3], v[2:3], 1, s[8:9]
	v_lshl_or_b32 v30, v36, 4, v4
	v_mov_b32_e32 v31, v39
	s_load_dword s29, s[0:1], 0x98
	s_load_dword s6, s[0:1], 0x1c
	s_waitcnt lgkmcnt(0)
	s_barrier
	v_lshl_add_u64 v[2:3], v[2:3], 0, v[30:31]
	global_load_dwordx4 v[6:9], v[14:15], off
	global_load_dwordx4 v[22:25], v[14:15], off offset:2048
	v_lshl_add_u64 v[18:19], v[2:3], 0, v[38:39]
	global_load_dwordx4 v[2:5], v[18:19], off
	global_load_dwordx4 v[26:29], v[18:19], off offset:2048
	s_waitcnt vmcnt(5)
	v_mad_i64_i32 v[10:11], s[16:17], v10, s45, 0
	v_lshl_add_u64 v[10:11], v[10:11], 1, s[8:9]
	v_lshl_add_u64 v[10:11], v[10:11], 0, v[12:13]
	v_lshl_add_u64 v[32:33], v[10:11], 0, v[38:39]
	global_load_dwordx4 v[10:13], v[32:33], off
	v_mul_lo_u16_e32 v20, 0x56, v36
	v_mov_b32_e32 v21, 3
	s_waitcnt vmcnt(5)
	v_mad_i64_i32 v[16:17], s[16:17], v16, s45, 0
	v_mul_lo_u16_sdwa v14, v20, v21 dst_sel:DWORD dst_unused:UNUSED_PAD src0_sel:BYTE_1 src1_sel:DWORD
	v_sub_u16_e32 v14, v36, v14
	v_lshl_add_u64 v[40:41], v[16:17], 1, s[8:9]
	v_and_b32_e32 v14, 0xff, v14
	v_lshl_add_u64 v[30:31], v[40:41], 0, v[30:31]
	v_lshl_add_u32 v14, v14, 5, v38
	v_lshl_add_u64 v[40:41], v[30:31], 0, v[38:39]
	ds_read_b128 v[18:21], v14
	ds_read_b128 v[14:17], v14 offset:2048
	global_load_dwordx4 v[30:33], v[32:33], off offset:2048
	s_ashr_i32 s7, s14, 31
	global_load_dwordx4 v[46:49], v[40:41], off
	global_load_dwordx4 v[60:63], v[40:41], off offset:2048
	v_and_or_b32 v64, v0, 48, s14
	s_lshr_b32 s7, s7, 27
	v_add_u32_e32 v42, s7, v64
	v_mov_b32_e32 v65, s15
	v_or_b32_e32 v50, 64, v64
	v_ashrrev_i32_e32 v38, 5, v42
	v_cmp_gt_i32_e32 vcc, s33, v64
	v_add_u32_e32 v43, s7, v50
	v_ashrrev_i32_e32 v51, 5, v43
	v_cndmask_b32_e32 v42, v65, v38, vcc
	v_ashrrev_i32_e32 v43, 31, v42
	v_lshl_add_u64 v[42:43], v[42:43], 2, s[12:13]
	v_cmp_gt_i32_e32 vcc, s33, v50
	global_load_dword v66, v[42:43], off
	v_or_b32_e32 v40, 0x80, v64
	v_and_b32_e32 v38, 16, v0
	s_add_u32 s4, s10, s4
	v_lshlrev_b32_e32 v41, 6, v36
	s_addc_u32 s5, s11, s5
	v_lshlrev_b32_e32 v38, 1, v38
	s_mov_b32 s43, 0xff7fffff
	s_waitcnt vmcnt(8) lgkmcnt(1)
	v_mfma_f32_16x16x16_f16 v[42:45], v[6:7], v[18:19], 0
	v_cndmask_b32_e32 v6, v65, v51, vcc
	v_ashrrev_i32_e32 v7, 31, v6
	v_cmp_gt_i32_e32 vcc, s33, v40
	s_waitcnt vmcnt(6)
	v_mfma_f32_16x16x16_f16 v[50:53], v[2:3], v[18:19], 0
	v_lshl_add_u64 v[2:3], v[6:7], 2, s[12:13]
	global_load_dword v67, v[2:3], off
	v_mfma_f32_16x16x16_f16 v[6:9], v[8:9], v[20:21], v[42:45]
	v_mfma_f32_16x16x16_f16 v[2:5], v[4:5], v[20:21], v[50:53]
	s_nop 1
	v_or_b32_e32 v42, 0xc0, v64
	v_add_u32_e32 v43, s7, v40
	v_add_u32_e32 v44, s7, v42
	s_waitcnt lgkmcnt(0)
	v_mfma_f32_16x16x16_f16 v[6:9], v[22:23], v[14:15], v[6:9]
	v_ashrrev_i32_e32 v43, 5, v43
	v_ashrrev_i32_e32 v44, 5, v44
	v_cndmask_b32_e32 v40, v65, v43, vcc
	s_waitcnt vmcnt(5)
	v_mfma_f32_16x16x16_f16 v[56:59], v[10:11], v[18:19], 0
	v_cmp_gt_i32_e32 vcc, s33, v42
	v_mfma_f32_16x16x16_f16 v[2:5], v[26:27], v[14:15], v[2:5]
	s_nop 0
	v_cndmask_b32_e32 v42, v65, v44, vcc
	v_lshl_add_u64 v[44:45], s[4:5], 0, v[38:39]
	v_lshl_or_b32 v38, v37, 10, v41
	v_ashrrev_i32_e32 v41, 31, v40
	v_mfma_f32_16x16x16_f16 v[22:25], v[24:25], v[16:17], v[6:9]
	v_ashrrev_i32_e32 v43, 31, v42
	s_nop 1
	v_lshl_add_u64 v[6:7], v[40:41], 2, s[12:13]
	v_mfma_f32_16x16x16_f16 v[10:13], v[12:13], v[20:21], v[56:59]
	s_nop 1
	v_pk_mul_f32 v[50:51], s[6:7], v[24:25] op_sel_hi:[0,1]
	v_mfma_f32_16x16x16_f16 v[26:29], v[28:29], v[16:17], v[2:5]
	s_nop 2
	v_lshl_add_u64 v[2:3], v[42:43], 2, s[12:13]
	global_load_dword v58, v[6:7], off
	global_load_dword v59, v[2:3], off
	s_waitcnt vmcnt(6)
	v_mfma_f32_16x16x16_f16 v[2:5], v[30:31], v[14:15], v[10:13]
	s_waitcnt vmcnt(3)
	v_mad_i64_i32 v[6:7], s[4:5], v66, s45, 0
	v_pk_mul_f32 v[42:43], s[6:7], v[26:27] op_sel_hi:[0,1]
	v_lshl_add_u64 v[10:11], v[44:45], 0, v[38:39]
	v_mfma_f32_16x16x16_f16 v[38:41], v[46:47], v[18:19], 0
	v_pk_mul_f32 v[52:53], s[6:7], v[28:29] op_sel_hi:[0,1]
	s_waitcnt vmcnt(2)
	v_mad_i64_i32 v[12:13], s[4:5], v67, s45, 0
	v_mfma_f32_16x16x16_f16 v[18:21], v[48:49], v[20:21], v[38:41]
	v_lshl_add_u64 v[56:57], v[12:13], 1, v[10:11]
	v_pk_mul_f32 v[12:13], s[6:7], v[22:23] op_sel_hi:[0,1]
	v_mfma_f32_16x16x16_f16 v[18:21], v[60:61], v[14:15], v[18:21]
	v_mfma_f32_16x16x16_f16 v[30:33], v[32:33], v[16:17], v[2:5]
	;; [unrolled: 1-line block ×3, first 2 shown]
	s_nop 1
	v_lshl_add_u64 v[2:3], v[6:7], 1, v[10:11]
	s_nop 2
	v_pk_mul_f32 v[48:49], s[6:7], v[30:31] op_sel_hi:[0,1]
	v_pk_mul_f32 v[46:47], s[6:7], v[32:33] op_sel_hi:[0,1]
	global_load_dwordx4 v[6:9], v[2:3], off
	s_nop 0
	global_load_dwordx4 v[2:5], v[2:3], off offset:16
	v_pk_mul_f32 v[44:45], s[6:7], v[14:15] op_sel_hi:[0,1]
	v_and_b32_e32 v14, 0xc0, v0
	v_add_u32_e32 v14, s14, v14
	v_lshl_or_b32 v14, v1, 2, v14
	v_pk_mul_f32 v[38:39], s[6:7], v[16:17] op_sel_hi:[0,1]
	v_or_b32_e32 v17, 1, v14
	v_mov_b32_e32 v15, 0xff7fffff
	v_cmp_gt_i32_e64 s[4:5], s33, v14
	v_cmp_gt_i32_e64 s[34:35], s33, v17
	v_or_b32_e32 v18, 3, v14
	v_cndmask_b32_e64 v16, v15, v12, s[4:5]
	v_cndmask_b32_e64 v17, v15, v13, s[34:35]
	v_max3_f32 v16, v16, s43, v17
	v_or_b32_e32 v17, 2, v14
	v_cmp_gt_i32_e64 s[36:37], s33, v17
	v_cmp_gt_i32_e64 s[38:39], s33, v18
	global_load_dwordx4 v[30:33], v[56:57], off
	global_load_dwordx4 v[26:29], v[56:57], off offset:16
	v_cndmask_b32_e64 v17, v15, v50, s[36:37]
	v_cndmask_b32_e64 v18, v15, v51, s[38:39]
	v_max3_f32 v16, v16, v17, v18
	v_or_b32_e32 v17, 16, v14
	v_or_b32_e32 v18, 17, v14
	v_cmp_gt_i32_e64 s[24:25], s33, v17
	v_cmp_gt_i32_e64 s[26:27], s33, v18
	s_nop 0
	v_cndmask_b32_e64 v17, v15, v42, s[24:25]
	v_cndmask_b32_e64 v18, v15, v43, s[26:27]
	v_max3_f32 v16, v16, v17, v18
	v_or_b32_e32 v17, 18, v14
	v_or_b32_e32 v18, 19, v14
	v_cmp_gt_i32_e64 s[20:21], s33, v17
	v_cmp_gt_i32_e64 s[22:23], s33, v18
	s_nop 0
	;; [unrolled: 8-line block ×5, first 2 shown]
	v_cndmask_b32_e64 v17, v15, v44, s[8:9]
	v_cndmask_b32_e64 v18, v15, v45, s[10:11]
	v_max3_f32 v16, v16, v17, v18
	v_or_b32_e32 v17, 50, v14
	v_or_b32_e32 v14, 51, v14
	v_cmp_gt_i32_e32 vcc, s33, v17
	v_cmp_gt_i32_e64 s[6:7], s33, v14
	s_nop 0
	v_cndmask_b32_e32 v17, v15, v38, vcc
	v_cndmask_b32_e64 v14, v15, v39, s[6:7]
	v_max3_f32 v16, v16, v17, v14
	v_mbcnt_lo_u32_b32 v14, -1, 0
	v_mbcnt_hi_u32_b32 v17, -1, v14
	v_and_b32_e32 v14, 64, v17
	v_add_u32_e32 v18, 64, v14
	v_xor_b32_e32 v14, 32, v17
	v_cmp_lt_i32_e64 s[40:41], v14, v18
	s_nop 1
	v_cndmask_b32_e64 v14, v17, v14, s[40:41]
	v_lshlrev_b32_e32 v60, 2, v14
	ds_bpermute_b32 v19, v60, v16
	s_waitcnt vmcnt(5)
	v_mad_i64_i32 v[14:15], s[40:41], v58, s45, 0
	v_lshl_add_u64 v[14:15], v[14:15], 1, v[10:11]
	s_waitcnt lgkmcnt(0)
	v_max_f32_e32 v19, v19, v19
	v_max_f32_e32 v16, v16, v19
	v_xor_b32_e32 v19, 16, v17
	v_cmp_lt_i32_e64 s[40:41], v19, v18
	s_nop 1
	v_cndmask_b32_e64 v17, v17, v19, s[40:41]
	v_lshlrev_b32_e32 v57, 2, v17
	ds_bpermute_b32 v17, v57, v16
	global_load_dwordx4 v[22:25], v[14:15], off
	global_load_dwordx4 v[18:21], v[14:15], off offset:16
	s_waitcnt vmcnt(6)
	v_mad_i64_i32 v[14:15], s[40:41], v59, s45, 0
	v_lshl_add_u64 v[10:11], v[14:15], 1, v[10:11]
	s_waitcnt lgkmcnt(0)
	v_max_f32_e32 v14, v17, v17
	v_max_f32_e32 v56, v16, v14
	v_sub_f32_e32 v12, v12, v56
	v_mul_f32_e32 v12, 0x3fb8aa3b, v12
	v_exp_f32_e32 v40, v12
	v_sub_f32_e32 v12, v13, v56
	v_mul_f32_e32 v12, 0x3fb8aa3b, v12
	v_exp_f32_e32 v41, v12
	global_load_dwordx4 v[14:17], v[10:11], off
	s_nop 0
	global_load_dwordx4 v[10:13], v[10:11], off offset:16
	v_sub_f32_e32 v50, v50, v56
	v_mul_f32_e32 v50, 0x3fb8aa3b, v50
	v_sub_f32_e32 v51, v51, v56
	v_exp_f32_e32 v50, v50
	v_mul_f32_e32 v51, 0x3fb8aa3b, v51
	v_sub_f32_e32 v42, v42, v56
	v_exp_f32_e32 v51, v51
	v_mul_f32_e32 v42, 0x3fb8aa3b, v42
	v_sub_f32_e32 v43, v43, v56
	v_cndmask_b32_e64 v40, 0, v40, s[4:5]
	v_exp_f32_e32 v42, v42
	v_mul_f32_e32 v43, 0x3fb8aa3b, v43
	v_sub_f32_e32 v52, v52, v56
	v_add_f32_e32 v58, 0, v40
	v_cndmask_b32_e64 v41, 0, v41, s[34:35]
	v_exp_f32_e32 v43, v43
	v_mul_f32_e32 v52, 0x3fb8aa3b, v52
	v_sub_f32_e32 v53, v53, v56
	v_add_f32_e32 v58, v58, v41
	;; [unrolled: 5-line block ×10, first 2 shown]
	v_cndmask_b32_e64 v46, 0, v46, s[12:13]
	v_exp_f32_e32 v38, v38
	v_mul_f32_e32 v39, 0x3fb8aa3b, v39
	v_add_f32_e32 v58, v58, v46
	v_cndmask_b32_e64 v47, 0, v47, s[14:15]
	v_exp_f32_e32 v39, v39
	v_add_f32_e32 v58, v58, v47
	v_cndmask_b32_e64 v44, 0, v44, s[8:9]
	v_add_f32_e32 v58, v58, v44
	v_cndmask_b32_e64 v45, 0, v45, s[10:11]
	v_add_f32_e32 v58, v58, v45
	v_cndmask_b32_e32 v38, 0, v38, vcc
	v_add_f32_e32 v58, v58, v38
	v_cndmask_b32_e64 v39, 0, v39, s[6:7]
	v_add_f32_e32 v58, v58, v39
	ds_bpermute_b32 v59, v60, v58
	v_cmp_gt_u32_e32 vcc, 16, v55
	s_waitcnt lgkmcnt(0)
	s_barrier
	v_add_f32_e32 v58, v58, v59
	ds_bpermute_b32 v59, v57, v58
	v_lshlrev_b32_e32 v57, 2, v36
	s_and_saveexec_b64 s[4:5], vcc
	s_cbranch_execz .LBB190_15
; %bb.14:
	s_waitcnt lgkmcnt(0)
	v_add_f32_e32 v55, v58, v59
	v_lshl_or_b32 v58, v37, 6, v57
	ds_write2st64_b32 v58, v56, v55 offset1:1
.LBB190_15:
	s_or_b64 exec, exec, s[4:5]
	s_load_dword s6, s[0:1], 0x94
	s_waitcnt lgkmcnt(0)
	s_barrier
	ds_read2_b32 v[58:59], v57 offset1:16
	ds_read2_b32 v[60:61], v57 offset0:32 offset1:48
	ds_read2_b32 v[62:63], v57 offset0:64 offset1:80
	s_mul_i32 s7, s29, 3
	s_waitcnt lgkmcnt(2)
	v_max3_f32 v55, v58, s43, v59
	s_waitcnt lgkmcnt(1)
	v_max3_f32 v55, v55, v60, v61
	v_sub_f32_e32 v56, v58, v55
	v_mul_f32_e32 v56, 0x3fb8aa3b, v56
	v_exp_f32_e32 v64, v56
	v_sub_f32_e32 v56, v59, v55
	v_mul_f32_e32 v56, 0x3fb8aa3b, v56
	v_exp_f32_e32 v65, v56
	;; [unrolled: 3-line block ×3, first 2 shown]
	ds_read2_b32 v[58:59], v57 offset0:96 offset1:112
	v_sub_f32_e32 v56, v61, v55
	v_mul_f32_e32 v56, 0x3fb8aa3b, v56
	v_exp_f32_e32 v57, v56
	s_waitcnt lgkmcnt(1)
	v_fma_f32 v56, v64, v62, 0
	v_fmac_f32_e32 v56, v65, v63
	s_waitcnt lgkmcnt(0)
	v_fmac_f32_e32 v56, v60, v58
	v_fmac_f32_e32 v56, v57, v59
	v_add_f32_e32 v58, 0x358637bd, v56
	v_div_scale_f32 v59, s[4:5], v58, v58, 1.0
	v_rcp_f32_e32 v61, v59
	s_barrier
	v_fma_f32 v62, -v59, v61, 1.0
	v_fmac_f32_e32 v61, v62, v61
	v_div_scale_f32 v62, vcc, 1.0, v58, 1.0
	v_mul_f32_e32 v63, v62, v61
	v_fma_f32 v66, -v59, v63, v62
	v_fmac_f32_e32 v63, v66, v61
	v_fma_f32 v59, -v59, v63, v62
	v_div_fmas_f32 v59, v59, v61, v63
	v_cmp_eq_u32_e32 vcc, 1, v37
	v_div_fixup_f32 v58, v59, v58, 1.0
	s_nop 0
	v_cndmask_b32_e32 v59, v64, v65, vcc
	v_cmp_eq_u32_e32 vcc, 2, v37
	s_nop 1
	v_cndmask_b32_e32 v59, v59, v60, vcc
	v_cmp_eq_u32_e32 vcc, 3, v37
	v_lshlrev_b32_e32 v37, 11, v37
	s_nop 0
	v_cndmask_b32_e32 v57, v59, v57, vcc
	v_mul_f32_e32 v58, v57, v58
	v_pk_mul_f32 v[40:41], v[58:59], v[40:41] op_sel_hi:[0,1]
	v_pk_mul_f32 v[50:51], v[58:59], v[50:51] op_sel_hi:[0,1]
	v_cvt_f16_f32_e32 v40, v40
	v_cvt_f16_f32_e32 v41, v41
	v_pk_mul_f32 v[52:53], v[58:59], v[52:53] op_sel_hi:[0,1]
	v_pk_mul_f32 v[42:43], v[58:59], v[42:43] op_sel_hi:[0,1]
	v_cvt_f16_f32_e32 v57, v50
	v_cvt_f16_f32_e32 v51, v51
	;; [unrolled: 1-line block ×6, first 2 shown]
	v_pack_b32_f16 v50, v40, v41
	v_lshlrev_b32_e32 v40, 3, v1
	v_lshlrev_b32_e32 v41, 5, v36
	v_pack_b32_f16 v51, v57, v51
	v_or3_b32 v40, v37, v41, v40
	v_pack_b32_f16 v42, v42, v43
	v_pack_b32_f16 v43, v52, v53
	ds_write2st64_b64 v40, v[50:51], v[42:43] offset1:1
	v_pk_mul_f32 v[42:43], v[58:59], v[46:47] op_sel_hi:[0,1]
	v_pk_mul_f32 v[46:47], v[58:59], v[48:49] op_sel_hi:[0,1]
	v_cvt_f16_f32_e32 v37, v46
	v_cvt_f16_f32_e32 v46, v47
	;; [unrolled: 1-line block ×4, first 2 shown]
	v_pk_mul_f32 v[38:39], v[58:59], v[38:39] op_sel_hi:[0,1]
	v_pk_mul_f32 v[42:43], v[58:59], v[44:45] op_sel_hi:[0,1]
	v_cvt_f16_f32_e32 v42, v42
	v_cvt_f16_f32_e32 v43, v43
	;; [unrolled: 1-line block ×4, first 2 shown]
	v_pack_b32_f16 v38, v37, v46
	v_pack_b32_f16 v39, v47, v48
	;; [unrolled: 1-line block ×4, first 2 shown]
	v_cmp_gt_u32_e32 vcc, 3, v0
	ds_write2st64_b64 v40, v[38:39], v[42:43] offset0:2 offset1:3
	s_and_saveexec_b64 s[4:5], vcc
	s_cbranch_execz .LBB190_17
; %bb.16:
	s_mov_b32 s43, 0
	v_mov_b32_e32 v37, 0
	v_lshl_add_u64 v[38:39], s[42:43], 0, v[36:37]
	v_mov_b32_e32 v36, s7
	v_mad_u64_u32 v[38:39], s[12:13], s2, v36, v[38:39]
	v_mov_b32_e32 v36, s28
	s_load_dwordx4 s[8:11], s[0:1], 0x58
	s_mul_i32 s3, s3, s7
	v_mad_u64_u32 v[36:37], s[12:13], v38, s6, v[36:37]
	v_add_u32_e32 v39, s3, v39
	v_mov_b32_e32 v38, v37
	v_mad_u64_u32 v[38:39], s[12:13], v39, s6, v[38:39]
	v_mov_b32_e32 v37, v38
	v_lshlrev_b64 v[36:37], 2, v[36:37]
	s_waitcnt lgkmcnt(0)
	v_lshl_add_u64 v[38:39], s[10:11], 0, v[36:37]
	v_lshl_add_u64 v[36:37], s[8:9], 0, v[36:37]
	global_store_dword v[38:39], v55, off
	global_store_dword v[36:37], v56, off
.LBB190_17:
	s_or_b64 exec, exec, s[4:5]
	v_lshl_or_b32 v41, v1, 9, v41
	s_waitcnt lgkmcnt(0)
	s_barrier
	ds_read_b128 v[36:39], v41
	ds_read_b128 v[42:45], v41 offset:16
	s_waitcnt vmcnt(7) lgkmcnt(1)
	v_mfma_f32_16x16x16_f16 v[46:49], v[6:7], v[36:37], 0
	v_cmp_gt_u32_e32 vcc, 64, v0
	v_cmp_ne_u32_e64 s[4:5], 3, v1
	s_and_b64 s[4:5], s[4:5], vcc
	v_mfma_f32_16x16x16_f16 v[6:9], v[8:9], v[38:39], v[46:49]
	s_mov_b32 s3, 0
	s_and_b64 s[4:5], s[4:5], s[30:31]
	s_waitcnt vmcnt(6) lgkmcnt(0)
	v_mfma_f32_16x16x16_f16 v[6:9], v[2:3], v[42:43], v[6:9]
	v_mfma_f32_16x16x16_f16 v[2:5], v[4:5], v[44:45], v[6:9]
	s_nop 5
	ds_read_b128 v[6:9], v41 offset:2048
	ds_read_b128 v[36:39], v41 offset:2064
	s_waitcnt vmcnt(5) lgkmcnt(1)
	v_mfma_f32_16x16x16_f16 v[2:5], v[30:31], v[6:7], v[2:5]
	v_mfma_f32_16x16x16_f16 v[2:5], v[32:33], v[8:9], v[2:5]
	s_waitcnt vmcnt(4) lgkmcnt(0)
	v_mfma_f32_16x16x16_f16 v[2:5], v[26:27], v[36:37], v[2:5]
	v_mfma_f32_16x16x16_f16 v[2:5], v[28:29], v[38:39], v[2:5]
	ds_read_b128 v[6:9], v41 offset:4096
	ds_read_b128 v[26:29], v41 offset:4112
	s_waitcnt vmcnt(3) lgkmcnt(1)
	v_mfma_f32_16x16x16_f16 v[2:5], v[22:23], v[6:7], v[2:5]
	v_mfma_f32_16x16x16_f16 v[2:5], v[24:25], v[8:9], v[2:5]
	s_waitcnt vmcnt(2) lgkmcnt(0)
	v_mfma_f32_16x16x16_f16 v[2:5], v[18:19], v[26:27], v[2:5]
	v_mfma_f32_16x16x16_f16 v[2:5], v[20:21], v[28:29], v[2:5]
	ds_read_b128 v[6:9], v41 offset:6144
	ds_read_b128 v[18:21], v41 offset:6160
	s_waitcnt lgkmcnt(0)
	s_barrier
	s_waitcnt vmcnt(1)
	v_mfma_f32_16x16x16_f16 v[2:5], v[14:15], v[6:7], v[2:5]
	v_mfma_f32_16x16x16_f16 v[2:5], v[16:17], v[8:9], v[2:5]
	s_waitcnt vmcnt(0)
	v_mfma_f32_16x16x16_f16 v[2:5], v[10:11], v[18:19], v[2:5]
	v_mfma_f32_16x16x16_f16 v[2:5], v[12:13], v[20:21], v[2:5]
	s_nop 6
	v_cvt_f16_f32_e32 v2, v2
	v_cvt_f16_f32_e32 v3, v3
	;; [unrolled: 1-line block ×4, first 2 shown]
	v_pack_b32_f16 v2, v2, v3
	v_pack_b32_f16 v3, v4, v5
	ds_write_b64 v40, v[2:3]
	s_waitcnt lgkmcnt(0)
	s_barrier
	s_and_saveexec_b64 s[8:9], s[4:5]
	s_cbranch_execz .LBB190_19
; %bb.18:
	s_load_dwordx2 s[0:1], s[0:1], 0x68
	s_mul_i32 s2, s7, s2
	s_lshl_b32 s6, s6, 6
	s_mul_hi_u32 s5, s2, s6
	s_mul_i32 s4, s2, s6
	v_lshlrev_b32_e32 v2, 10, v0
	v_lshlrev_b32_e32 v0, 4, v0
	s_lshl_b64 s[4:5], s[4:5], 1
	v_and_b32_e32 v2, 0x1800, v2
	v_lshlrev_b32_e32 v1, 5, v1
	v_and_b32_e32 v0, 16, v0
	s_waitcnt lgkmcnt(0)
	s_add_u32 s4, s0, s4
	v_or3_b32 v0, v2, v1, v0
	s_addc_u32 s5, s1, s5
	s_lshl_b32 s2, s28, 6
	ds_read_b128 v[0:3], v0
	s_lshl_b64 s[0:1], s[2:3], 1
	s_add_u32 s0, s4, s0
	s_addc_u32 s1, s5, s1
	v_mad_u64_u32 v[4:5], s[2:3], s6, v54, 0
	v_lshl_add_u64 v[4:5], v[4:5], 1, s[0:1]
	v_lshl_add_u64 v[4:5], v[34:35], 1, v[4:5]
	s_waitcnt lgkmcnt(0)
	global_store_dwordx4 v[4:5], v[0:3], off
.LBB190_19:
	s_endpgm
	.section	.rodata,"a",@progbits
	.p2align	6, 0x0
	.amdhsa_kernel _Z39paged_attention_ll4mi_QKV_mfma16_kernelIDF16_DF16_LN4vllm18Fp8KVCacheDataTypeE0EDF16_Li32ELi64ELi256ELb0ELi3EEvPKT_PKT0_S7_ifPKiS9_S9_iPKfiiiPfSC_PS2_PT2_iSB_SB_
		.amdhsa_group_segment_fixed_size 8192
		.amdhsa_private_segment_fixed_size 0
		.amdhsa_kernarg_size 400
		.amdhsa_user_sgpr_count 2
		.amdhsa_user_sgpr_dispatch_ptr 0
		.amdhsa_user_sgpr_queue_ptr 0
		.amdhsa_user_sgpr_kernarg_segment_ptr 1
		.amdhsa_user_sgpr_dispatch_id 0
		.amdhsa_user_sgpr_kernarg_preload_length 0
		.amdhsa_user_sgpr_kernarg_preload_offset 0
		.amdhsa_user_sgpr_private_segment_size 0
		.amdhsa_uses_dynamic_stack 0
		.amdhsa_enable_private_segment 0
		.amdhsa_system_sgpr_workgroup_id_x 1
		.amdhsa_system_sgpr_workgroup_id_y 1
		.amdhsa_system_sgpr_workgroup_id_z 1
		.amdhsa_system_sgpr_workgroup_info 0
		.amdhsa_system_vgpr_workitem_id 0
		.amdhsa_next_free_vgpr 68
		.amdhsa_next_free_sgpr 48
		.amdhsa_accum_offset 68
		.amdhsa_reserve_vcc 1
		.amdhsa_float_round_mode_32 0
		.amdhsa_float_round_mode_16_64 0
		.amdhsa_float_denorm_mode_32 3
		.amdhsa_float_denorm_mode_16_64 3
		.amdhsa_dx10_clamp 1
		.amdhsa_ieee_mode 1
		.amdhsa_fp16_overflow 0
		.amdhsa_tg_split 0
		.amdhsa_exception_fp_ieee_invalid_op 0
		.amdhsa_exception_fp_denorm_src 0
		.amdhsa_exception_fp_ieee_div_zero 0
		.amdhsa_exception_fp_ieee_overflow 0
		.amdhsa_exception_fp_ieee_underflow 0
		.amdhsa_exception_fp_ieee_inexact 0
		.amdhsa_exception_int_div_zero 0
	.end_amdhsa_kernel
	.section	.text._Z39paged_attention_ll4mi_QKV_mfma16_kernelIDF16_DF16_LN4vllm18Fp8KVCacheDataTypeE0EDF16_Li32ELi64ELi256ELb0ELi3EEvPKT_PKT0_S7_ifPKiS9_S9_iPKfiiiPfSC_PS2_PT2_iSB_SB_,"axG",@progbits,_Z39paged_attention_ll4mi_QKV_mfma16_kernelIDF16_DF16_LN4vllm18Fp8KVCacheDataTypeE0EDF16_Li32ELi64ELi256ELb0ELi3EEvPKT_PKT0_S7_ifPKiS9_S9_iPKfiiiPfSC_PS2_PT2_iSB_SB_,comdat
.Lfunc_end190:
	.size	_Z39paged_attention_ll4mi_QKV_mfma16_kernelIDF16_DF16_LN4vllm18Fp8KVCacheDataTypeE0EDF16_Li32ELi64ELi256ELb0ELi3EEvPKT_PKT0_S7_ifPKiS9_S9_iPKfiiiPfSC_PS2_PT2_iSB_SB_, .Lfunc_end190-_Z39paged_attention_ll4mi_QKV_mfma16_kernelIDF16_DF16_LN4vllm18Fp8KVCacheDataTypeE0EDF16_Li32ELi64ELi256ELb0ELi3EEvPKT_PKT0_S7_ifPKiS9_S9_iPKfiiiPfSC_PS2_PT2_iSB_SB_
                                        ; -- End function
	.section	.AMDGPU.csdata,"",@progbits
; Kernel info:
; codeLenInByte = 3872
; NumSgprs: 54
; NumVgprs: 68
; NumAgprs: 0
; TotalNumVgprs: 68
; ScratchSize: 0
; MemoryBound: 0
; FloatMode: 240
; IeeeMode: 1
; LDSByteSize: 8192 bytes/workgroup (compile time only)
; SGPRBlocks: 6
; VGPRBlocks: 8
; NumSGPRsForWavesPerEU: 54
; NumVGPRsForWavesPerEU: 68
; AccumOffset: 68
; Occupancy: 7
; WaveLimiterHint : 1
; COMPUTE_PGM_RSRC2:SCRATCH_EN: 0
; COMPUTE_PGM_RSRC2:USER_SGPR: 2
; COMPUTE_PGM_RSRC2:TRAP_HANDLER: 0
; COMPUTE_PGM_RSRC2:TGID_X_EN: 1
; COMPUTE_PGM_RSRC2:TGID_Y_EN: 1
; COMPUTE_PGM_RSRC2:TGID_Z_EN: 1
; COMPUTE_PGM_RSRC2:TIDIG_COMP_CNT: 0
; COMPUTE_PGM_RSRC3_GFX90A:ACCUM_OFFSET: 16
; COMPUTE_PGM_RSRC3_GFX90A:TG_SPLIT: 0
	.section	.text._Z39paged_attention_ll4mi_QKV_mfma16_kernelIDF16_DF16_LN4vllm18Fp8KVCacheDataTypeE0EDF16_Li32ELi64ELi256ELb0ELi4EEvPKT_PKT0_S7_ifPKiS9_S9_iPKfiiiPfSC_PS2_PT2_iSB_SB_,"axG",@progbits,_Z39paged_attention_ll4mi_QKV_mfma16_kernelIDF16_DF16_LN4vllm18Fp8KVCacheDataTypeE0EDF16_Li32ELi64ELi256ELb0ELi4EEvPKT_PKT0_S7_ifPKiS9_S9_iPKfiiiPfSC_PS2_PT2_iSB_SB_,comdat
	.protected	_Z39paged_attention_ll4mi_QKV_mfma16_kernelIDF16_DF16_LN4vllm18Fp8KVCacheDataTypeE0EDF16_Li32ELi64ELi256ELb0ELi4EEvPKT_PKT0_S7_ifPKiS9_S9_iPKfiiiPfSC_PS2_PT2_iSB_SB_ ; -- Begin function _Z39paged_attention_ll4mi_QKV_mfma16_kernelIDF16_DF16_LN4vllm18Fp8KVCacheDataTypeE0EDF16_Li32ELi64ELi256ELb0ELi4EEvPKT_PKT0_S7_ifPKiS9_S9_iPKfiiiPfSC_PS2_PT2_iSB_SB_
	.globl	_Z39paged_attention_ll4mi_QKV_mfma16_kernelIDF16_DF16_LN4vllm18Fp8KVCacheDataTypeE0EDF16_Li32ELi64ELi256ELb0ELi4EEvPKT_PKT0_S7_ifPKiS9_S9_iPKfiiiPfSC_PS2_PT2_iSB_SB_
	.p2align	8
	.type	_Z39paged_attention_ll4mi_QKV_mfma16_kernelIDF16_DF16_LN4vllm18Fp8KVCacheDataTypeE0EDF16_Li32ELi64ELi256ELb0ELi4EEvPKT_PKT0_S7_ifPKiS9_S9_iPKfiiiPfSC_PS2_PT2_iSB_SB_,@function
_Z39paged_attention_ll4mi_QKV_mfma16_kernelIDF16_DF16_LN4vllm18Fp8KVCacheDataTypeE0EDF16_Li32ELi64ELi256ELb0ELi4EEvPKT_PKT0_S7_ifPKiS9_S9_iPKfiiiPfSC_PS2_PT2_iSB_SB_: ; @_Z39paged_attention_ll4mi_QKV_mfma16_kernelIDF16_DF16_LN4vllm18Fp8KVCacheDataTypeE0EDF16_Li32ELi64ELi256ELb0ELi4EEvPKT_PKT0_S7_ifPKiS9_S9_iPKfiiiPfSC_PS2_PT2_iSB_SB_
; %bb.0:
	s_load_dwordx2 s[6:7], s[0:1], 0x30
	s_mov_b32 s26, s3
	s_mov_b64 s[10:11], 0
	s_waitcnt lgkmcnt(0)
	s_cmp_lg_u64 s[6:7], 0
	s_cselect_b64 s[8:9], -1, 0
	s_and_b64 vcc, exec, s[8:9]
	s_cbranch_vccz .LBB191_7
; %bb.1:
	s_add_i32 s12, s2, 1
	s_mov_b32 s13, 0
	s_lshl_b64 s[14:15], s[12:13], 2
	s_add_u32 s14, s6, s14
	s_mov_b32 s3, s13
	s_addc_u32 s15, s7, s15
	s_lshl_b64 s[12:13], s[2:3], 2
	s_add_u32 s12, s6, s12
	s_addc_u32 s13, s7, s13
	s_load_dword s5, s[14:15], 0x0
	s_load_dword s16, s[12:13], 0x0
	s_waitcnt lgkmcnt(0)
	s_sub_i32 s5, s5, s16
	s_cmp_eq_u32 s5, 1
	s_cselect_b64 s[12:13], -1, 0
	s_andn2_b64 vcc, exec, s[10:11]
	s_cbranch_vccnz .LBB191_3
.LBB191_2:
	s_mov_b32 s3, 0
	s_mov_b64 s[12:13], -1
.LBB191_3:
	s_andn2_b64 vcc, exec, s[12:13]
	s_cbranch_vccnz .LBB191_19
; %bb.4:
	s_load_dwordx2 s[12:13], s[0:1], 0x28
	s_lshl_b64 s[10:11], s[2:3], 2
	s_waitcnt lgkmcnt(0)
	s_add_u32 s12, s12, s10
	s_addc_u32 s13, s13, s11
	s_load_dword s38, s[12:13], 0x0
	s_lshl_b32 s14, s26, 8
	s_waitcnt lgkmcnt(0)
	s_cmp_ge_i32 s14, s38
	s_cbranch_scc1 .LBB191_19
; %bb.5:
	s_load_dwordx2 s[12:13], s[0:1], 0x20
	s_load_dword s5, s[0:1], 0x38
	s_add_i32 s15, s38, 31
	s_ashr_i32 s16, s15, 31
	v_and_b32_e32 v1, 0xcf, v0
	s_lshr_b32 s16, s16, 27
	v_add_u32_e32 v1, s14, v1
	s_add_i32 s15, s15, s16
	v_ashrrev_i32_e32 v2, 31, v1
	s_ashr_i32 s15, s15, 5
	v_lshrrev_b32_e32 v10, 27, v2
	s_add_i32 s15, s15, -1
	s_waitcnt lgkmcnt(0)
	s_mul_i32 s16, s2, s5
	s_mov_b32 s17, 0
	v_add_u32_e32 v2, v1, v10
	s_lshl_b64 s[16:17], s[16:17], 2
	v_ashrrev_i32_e32 v2, 5, v2
	v_mov_b32_e32 v11, s15
	v_cmp_gt_i32_e32 vcc, s38, v1
	s_add_u32 s12, s12, s16
	s_addc_u32 s13, s13, s17
	v_cndmask_b32_e32 v2, v11, v2, vcc
	v_ashrrev_i32_e32 v3, 31, v2
	v_lshl_add_u64 v[4:5], v[2:3], 2, s[12:13]
	v_or_b32_e32 v2, 16, v1
	v_add_u32_e32 v3, v2, v10
	v_ashrrev_i32_e32 v3, 5, v3
	v_cmp_gt_i32_e32 vcc, s38, v2
	s_nop 1
	v_cndmask_b32_e32 v2, v11, v3, vcc
	v_ashrrev_i32_e32 v3, 31, v2
	v_lshl_add_u64 v[6:7], v[2:3], 2, s[12:13]
	v_or_b32_e32 v2, 32, v1
	v_add_u32_e32 v3, v2, v10
	v_ashrrev_i32_e32 v3, 5, v3
	v_cmp_gt_i32_e32 vcc, s38, v2
	v_or_b32_e32 v1, 48, v1
	s_nop 0
	v_cndmask_b32_e32 v2, v11, v3, vcc
	v_ashrrev_i32_e32 v3, 31, v2
	v_lshl_add_u64 v[8:9], v[2:3], 2, s[12:13]
	v_add_u32_e32 v2, v1, v10
	v_ashrrev_i32_e32 v2, 5, v2
	v_cmp_gt_i32_e32 vcc, s38, v1
	s_nop 1
	v_cndmask_b32_e32 v2, v11, v2, vcc
	v_ashrrev_i32_e32 v3, 31, v2
	v_lshl_add_u64 v[12:13], v[2:3], 2, s[12:13]
	global_load_dword v3, v[4:5], off
	global_load_dword v2, v[6:7], off
	global_load_dword v10, v[8:9], off
	global_load_dword v18, v[12:13], off
	s_andn2_b64 vcc, exec, s[8:9]
	s_cbranch_vccnz .LBB191_8
; %bb.6:
	s_add_u32 s6, s6, s10
	s_addc_u32 s7, s7, s11
	s_load_dword s5, s[6:7], 0x0
	s_branch .LBB191_9
.LBB191_7:
	s_mov_b64 s[12:13], 0
	s_branch .LBB191_2
.LBB191_8:
	s_mov_b32 s5, s2
.LBB191_9:
	s_load_dwordx4 s[8:11], s[0:1], 0x8
	s_load_dwordx4 s[40:43], s[0:1], 0x48
	v_and_b32_e32 v54, 15, v0
	v_cmp_gt_u32_e32 vcc, 64, v0
	v_cmp_gt_u32_e64 s[6:7], 8, v54
	s_and_b64 s[44:45], vcc, s[6:7]
	v_bfe_u32 v53, v0, 4, 2
	s_lshl_b32 s27, s4, 2
	v_lshlrev_b32_e32 v34, 3, v54
	s_xor_b64 s[6:7], s[44:45], -1
	s_and_saveexec_b64 s[16:17], s[6:7]
	s_xor_b64 s[6:7], exec, s[16:17]
; %bb.10:
	v_mov_b32_e32 v35, 0
; %bb.11:
	s_or_saveexec_b64 s[6:7], s[6:7]
	v_lshrrev_b32_e32 v55, 6, v0
	v_and_b32_e32 v56, 63, v0
	v_or_b32_e32 v1, s27, v53
	v_and_b32_e32 v19, 3, v0
	v_lshlrev_b32_e32 v52, 5, v53
	s_xor_b64 exec, exec, s[6:7]
	s_cbranch_execz .LBB191_13
; %bb.12:
	s_load_dwordx2 s[16:17], s[0:1], 0x0
	s_waitcnt lgkmcnt(0)
	s_ashr_i32 s18, s40, 31
	s_mul_hi_u32 s19, s5, s40
	s_mul_i32 s18, s5, s18
	s_add_i32 s19, s19, s18
	s_mul_i32 s18, s5, s40
	s_lshl_b64 s[18:19], s[18:19], 1
	s_add_u32 s16, s16, s18
	v_lshlrev_b32_e32 v4, 6, v1
	s_addc_u32 s17, s17, s19
	v_ashrrev_i32_e32 v5, 31, v4
	v_mov_b32_e32 v35, 0
	v_lshl_add_u64 v[4:5], v[4:5], 1, s[16:17]
	v_lshlrev_b32_e32 v6, 1, v34
	v_mov_b32_e32 v7, v35
	v_lshl_add_u64 v[4:5], v[4:5], 0, v[6:7]
	global_load_dwordx4 v[4:7], v[4:5], off
	v_lshlrev_b32_e32 v11, 9, v54
	v_lshl_or_b32 v8, v55, 7, v52
	v_lshlrev_b32_e32 v9, 9, v19
	v_and_b32_e32 v11, 0x1800, v11
	v_or3_b32 v8, v11, v9, v8
	s_waitcnt vmcnt(0)
	ds_write_b128 v8, v[4:7]
.LBB191_13:
	s_or_b64 exec, exec, s[6:7]
	s_waitcnt lgkmcnt(0)
	s_mul_i32 s4, s4, s42
	s_mov_b32 s5, 0
	s_lshl_b64 s[4:5], s[4:5], 1
	s_add_u32 s8, s8, s4
	s_addc_u32 s9, s9, s5
	s_waitcnt vmcnt(3)
	v_mad_i64_i32 v[4:5], s[16:17], v3, s41, 0
	v_lshl_add_u64 v[4:5], v[4:5], 1, s[8:9]
	v_lshlrev_b64 v[12:13], 1, v[34:35]
	v_lshlrev_b32_e32 v36, 9, v53
	v_lshl_add_u64 v[4:5], v[4:5], 0, v[12:13]
	v_mov_b32_e32 v37, 0
	v_lshl_add_u64 v[20:21], v[4:5], 0, v[36:37]
	s_waitcnt vmcnt(2)
	v_mad_i64_i32 v[2:3], s[16:17], v2, s41, 0
	v_mov_b32_e32 v4, 0x100
	v_lshl_add_u64 v[2:3], v[2:3], 1, s[8:9]
	v_lshl_or_b32 v38, v54, 4, v4
	v_mov_b32_e32 v39, v37
	s_load_dword s33, s[0:1], 0x98
	s_load_dword s6, s[0:1], 0x1c
	s_waitcnt lgkmcnt(0)
	s_barrier
	v_lshl_add_u64 v[2:3], v[2:3], 0, v[38:39]
	global_load_dwordx4 v[6:9], v[20:21], off
	v_lshl_add_u64 v[22:23], v[2:3], 0, v[36:37]
	global_load_dwordx4 v[2:5], v[22:23], off
	s_waitcnt vmcnt(3)
	v_mad_i64_i32 v[10:11], s[16:17], v10, s41, 0
	v_lshl_add_u64 v[10:11], v[10:11], 1, s[8:9]
	v_lshl_add_u64 v[10:11], v[10:11], 0, v[12:13]
	v_lshl_add_u64 v[24:25], v[10:11], 0, v[36:37]
	global_load_dwordx4 v[14:17], v[24:25], off
	global_load_dwordx4 v[10:13], v[20:21], off offset:2048
	global_load_dwordx4 v[26:29], v[22:23], off offset:2048
	global_load_dwordx4 v[30:33], v[24:25], off offset:2048
	s_waitcnt vmcnt(6)
	v_mad_i64_i32 v[40:41], s[16:17], v18, s41, 0
	v_lshl_add_u64 v[40:41], v[40:41], 1, s[8:9]
	v_lshl_add_u64 v[38:39], v[40:41], 0, v[38:39]
	v_lshl_or_b32 v18, v19, 5, v36
	v_lshl_add_u64 v[38:39], v[38:39], 0, v[36:37]
	ds_read_b128 v[22:25], v18
	ds_read_b128 v[18:21], v18 offset:2048
	global_load_dwordx4 v[44:47], v[38:39], off
	global_load_dwordx4 v[62:65], v[38:39], off offset:2048
	s_ashr_i32 s7, s14, 31
	v_and_or_b32 v57, v0, 48, s14
	s_lshr_b32 s7, s7, 27
	v_add_u32_e32 v40, s7, v57
	v_mov_b32_e32 v66, s15
	v_or_b32_e32 v48, 64, v57
	v_ashrrev_i32_e32 v36, 5, v40
	v_cmp_gt_i32_e32 vcc, s38, v57
	v_add_u32_e32 v41, s7, v48
	v_ashrrev_i32_e32 v49, 5, v41
	v_cndmask_b32_e32 v40, v66, v36, vcc
	v_ashrrev_i32_e32 v41, 31, v40
	v_lshl_add_u64 v[40:41], v[40:41], 2, s[12:13]
	v_cmp_gt_i32_e32 vcc, s38, v48
	global_load_dword v67, v[40:41], off
	v_or_b32_e32 v39, 0x80, v57
	v_and_b32_e32 v36, 16, v0
	s_add_u32 s4, s10, s4
	v_lshlrev_b32_e32 v38, 6, v54
	s_addc_u32 s5, s11, s5
	v_lshlrev_b32_e32 v36, 1, v36
	s_mov_b32 s40, 0xff7fffff
	s_waitcnt vmcnt(6) lgkmcnt(1)
	v_mfma_f32_16x16x16_f16 v[58:61], v[14:15], v[22:23], 0
	v_mfma_f32_16x16x16_f16 v[40:43], v[6:7], v[22:23], 0
	v_cndmask_b32_e32 v6, v66, v49, vcc
	v_ashrrev_i32_e32 v7, 31, v6
	v_cmp_gt_i32_e32 vcc, s38, v39
	v_mfma_f32_16x16x16_f16 v[48:51], v[2:3], v[22:23], 0
	v_lshl_add_u64 v[2:3], v[6:7], 2, s[12:13]
	global_load_dword v68, v[2:3], off
	v_mfma_f32_16x16x16_f16 v[6:9], v[8:9], v[24:25], v[40:43]
	v_mfma_f32_16x16x16_f16 v[2:5], v[4:5], v[24:25], v[48:51]
	s_nop 1
	v_or_b32_e32 v40, 0xc0, v57
	v_add_u32_e32 v41, s7, v39
	v_add_u32_e32 v42, s7, v40
	s_waitcnt vmcnt(6) lgkmcnt(0)
	v_mfma_f32_16x16x16_f16 v[6:9], v[10:11], v[18:19], v[6:9]
	v_ashrrev_i32_e32 v41, 5, v41
	v_ashrrev_i32_e32 v43, 5, v42
	v_cndmask_b32_e32 v42, v66, v41, vcc
	v_cmp_gt_i32_e32 vcc, s38, v40
	s_waitcnt vmcnt(5)
	v_mfma_f32_16x16x16_f16 v[2:5], v[26:27], v[18:19], v[2:5]
	v_lshl_add_u64 v[10:11], s[4:5], 0, v[36:37]
	v_cndmask_b32_e32 v26, v66, v43, vcc
	v_ashrrev_i32_e32 v43, 31, v42
	v_lshl_or_b32 v36, v55, 10, v38
	v_ashrrev_i32_e32 v27, 31, v26
	v_mfma_f32_16x16x16_f16 v[38:41], v[12:13], v[20:21], v[6:9]
	v_lshl_add_u64 v[10:11], v[10:11], 0, v[36:37]
	s_waitcnt vmcnt(0)
	v_mad_i64_i32 v[12:13], s[4:5], v68, s41, 0
	v_lshl_add_u64 v[6:7], v[42:43], 2, s[12:13]
	v_mfma_f32_16x16x16_f16 v[14:17], v[16:17], v[24:25], v[58:61]
	v_lshl_add_u64 v[8:9], v[26:27], 2, s[12:13]
	global_load_dword v57, v[6:7], off
	s_nop 0
	global_load_dword v60, v[8:9], off
	v_lshl_add_u64 v[58:59], v[12:13], 1, v[10:11]
	v_mfma_f32_16x16x16_f16 v[14:17], v[30:31], v[18:19], v[14:17]
	v_pk_mul_f32 v[12:13], s[6:7], v[38:39] op_sel_hi:[0,1]
	v_pk_mul_f32 v[48:49], s[6:7], v[40:41] op_sel_hi:[0,1]
	v_mfma_f32_16x16x16_f16 v[14:17], v[32:33], v[20:21], v[14:17]
	v_mfma_f32_16x16x16_f16 v[30:33], v[44:45], v[22:23], 0
	;; [unrolled: 1-line block ×3, first 2 shown]
	s_nop 4
	v_pk_mul_f32 v[44:45], s[6:7], v[16:17] op_sel_hi:[0,1]
	v_pk_mul_f32 v[46:47], s[6:7], v[14:15] op_sel_hi:[0,1]
	v_mfma_f32_16x16x16_f16 v[22:25], v[62:63], v[18:19], v[22:25]
	v_mfma_f32_16x16x16_f16 v[14:17], v[64:65], v[20:21], v[22:25]
	;; [unrolled: 1-line block ×3, first 2 shown]
	s_nop 5
	v_pk_mul_f32 v[42:43], s[6:7], v[14:15] op_sel_hi:[0,1]
	v_and_b32_e32 v14, 0xc0, v0
	v_add_u32_e32 v14, s14, v14
	v_lshl_or_b32 v14, v53, 2, v14
	v_pk_mul_f32 v[36:37], s[6:7], v[16:17] op_sel_hi:[0,1]
	v_or_b32_e32 v17, 1, v14
	v_mov_b32_e32 v15, 0xff7fffff
	v_cmp_gt_i32_e64 s[28:29], s38, v14
	v_cmp_gt_i32_e64 s[30:31], s38, v17
	v_or_b32_e32 v18, 3, v14
	v_cndmask_b32_e64 v16, v15, v12, s[28:29]
	v_cndmask_b32_e64 v17, v15, v13, s[30:31]
	v_max3_f32 v16, v16, s40, v17
	v_or_b32_e32 v17, 2, v14
	v_cmp_gt_i32_e64 s[34:35], s38, v17
	v_cmp_gt_i32_e64 s[36:37], s38, v18
	v_pk_mul_f32 v[40:41], s[6:7], v[26:27] op_sel_hi:[0,1]
	v_cndmask_b32_e64 v17, v15, v48, s[34:35]
	v_cndmask_b32_e64 v18, v15, v49, s[36:37]
	v_max3_f32 v16, v16, v17, v18
	v_or_b32_e32 v17, 16, v14
	v_or_b32_e32 v18, 17, v14
	v_cmp_gt_i32_e64 s[22:23], s38, v17
	v_cmp_gt_i32_e64 s[24:25], s38, v18
	v_pk_mul_f32 v[50:51], s[6:7], v[28:29] op_sel_hi:[0,1]
	v_cndmask_b32_e64 v17, v15, v40, s[22:23]
	v_cndmask_b32_e64 v18, v15, v41, s[24:25]
	v_max3_f32 v16, v16, v17, v18
	v_or_b32_e32 v17, 18, v14
	v_or_b32_e32 v18, 19, v14
	v_cmp_gt_i32_e64 s[18:19], s38, v17
	v_cmp_gt_i32_e64 s[20:21], s38, v18
	v_mad_i64_i32 v[2:3], s[4:5], v67, s41, 0
	v_cndmask_b32_e64 v17, v15, v50, s[18:19]
	v_cndmask_b32_e64 v18, v15, v51, s[20:21]
	v_max3_f32 v16, v16, v17, v18
	v_or_b32_e32 v17, 32, v14
	v_or_b32_e32 v18, 33, v14
	v_cmp_gt_i32_e64 s[14:15], s38, v17
	v_cmp_gt_i32_e64 s[16:17], s38, v18
	v_lshl_add_u64 v[2:3], v[2:3], 1, v[10:11]
	v_cndmask_b32_e64 v17, v15, v46, s[14:15]
	v_cndmask_b32_e64 v18, v15, v47, s[16:17]
	v_max3_f32 v16, v16, v17, v18
	v_or_b32_e32 v17, 34, v14
	v_or_b32_e32 v18, 35, v14
	v_cmp_gt_i32_e64 s[10:11], s38, v17
	v_cmp_gt_i32_e64 s[12:13], s38, v18
	global_load_dwordx4 v[6:9], v[2:3], off
	s_nop 0
	global_load_dwordx4 v[2:5], v[2:3], off offset:16
	v_cndmask_b32_e64 v17, v15, v44, s[10:11]
	v_cndmask_b32_e64 v18, v15, v45, s[12:13]
	v_max3_f32 v16, v16, v17, v18
	v_or_b32_e32 v17, 48, v14
	v_or_b32_e32 v18, 49, v14
	v_cmp_gt_i32_e64 s[6:7], s38, v17
	v_cmp_gt_i32_e64 s[8:9], s38, v18
	global_load_dwordx4 v[30:33], v[58:59], off
	global_load_dwordx4 v[26:29], v[58:59], off offset:16
	v_cndmask_b32_e64 v17, v15, v42, s[6:7]
	v_cndmask_b32_e64 v18, v15, v43, s[8:9]
	v_max3_f32 v16, v16, v17, v18
	v_or_b32_e32 v17, 50, v14
	v_or_b32_e32 v14, 51, v14
	v_cmp_gt_i32_e32 vcc, s38, v17
	v_cmp_gt_i32_e64 s[4:5], s38, v14
	s_nop 0
	v_cndmask_b32_e32 v17, v15, v36, vcc
	v_cndmask_b32_e64 v14, v15, v37, s[4:5]
	v_max3_f32 v16, v16, v17, v14
	v_mbcnt_lo_u32_b32 v14, -1, 0
	v_mbcnt_hi_u32_b32 v17, -1, v14
	v_and_b32_e32 v14, 64, v17
	v_add_u32_e32 v18, 64, v14
	v_xor_b32_e32 v14, 32, v17
	v_cmp_lt_i32_e64 s[38:39], v14, v18
	s_nop 1
	v_cndmask_b32_e64 v14, v17, v14, s[38:39]
	v_lshlrev_b32_e32 v61, 2, v14
	ds_bpermute_b32 v19, v61, v16
	s_waitcnt vmcnt(5)
	v_mad_i64_i32 v[14:15], s[38:39], v57, s41, 0
	v_lshl_add_u64 v[14:15], v[14:15], 1, v[10:11]
	s_waitcnt lgkmcnt(0)
	v_max_f32_e32 v19, v19, v19
	v_max_f32_e32 v16, v16, v19
	v_xor_b32_e32 v19, 16, v17
	v_cmp_lt_i32_e64 s[38:39], v19, v18
	s_nop 1
	v_cndmask_b32_e64 v17, v17, v19, s[38:39]
	v_lshlrev_b32_e32 v58, 2, v17
	ds_bpermute_b32 v17, v58, v16
	global_load_dwordx4 v[22:25], v[14:15], off
	global_load_dwordx4 v[18:21], v[14:15], off offset:16
	s_waitcnt vmcnt(6)
	v_mad_i64_i32 v[14:15], s[38:39], v60, s41, 0
	v_lshl_add_u64 v[10:11], v[14:15], 1, v[10:11]
	s_waitcnt lgkmcnt(0)
	v_max_f32_e32 v14, v17, v17
	v_max_f32_e32 v57, v16, v14
	v_sub_f32_e32 v12, v12, v57
	v_mul_f32_e32 v12, 0x3fb8aa3b, v12
	v_exp_f32_e32 v38, v12
	v_sub_f32_e32 v12, v13, v57
	v_mul_f32_e32 v12, 0x3fb8aa3b, v12
	v_exp_f32_e32 v39, v12
	global_load_dwordx4 v[14:17], v[10:11], off
	s_nop 0
	global_load_dwordx4 v[10:13], v[10:11], off offset:16
	v_sub_f32_e32 v48, v48, v57
	v_mul_f32_e32 v48, 0x3fb8aa3b, v48
	v_sub_f32_e32 v49, v49, v57
	v_exp_f32_e32 v48, v48
	v_mul_f32_e32 v49, 0x3fb8aa3b, v49
	v_sub_f32_e32 v40, v40, v57
	v_exp_f32_e32 v49, v49
	v_mul_f32_e32 v40, 0x3fb8aa3b, v40
	v_sub_f32_e32 v41, v41, v57
	v_cndmask_b32_e64 v38, 0, v38, s[28:29]
	v_exp_f32_e32 v40, v40
	v_mul_f32_e32 v41, 0x3fb8aa3b, v41
	v_sub_f32_e32 v50, v50, v57
	v_add_f32_e32 v59, 0, v38
	v_cndmask_b32_e64 v39, 0, v39, s[30:31]
	v_exp_f32_e32 v41, v41
	v_mul_f32_e32 v50, 0x3fb8aa3b, v50
	v_sub_f32_e32 v51, v51, v57
	v_add_f32_e32 v59, v59, v39
	;; [unrolled: 5-line block ×10, first 2 shown]
	v_cndmask_b32_e64 v44, 0, v44, s[10:11]
	v_exp_f32_e32 v36, v36
	v_mul_f32_e32 v37, 0x3fb8aa3b, v37
	v_add_f32_e32 v59, v59, v44
	v_cndmask_b32_e64 v45, 0, v45, s[12:13]
	v_exp_f32_e32 v37, v37
	v_add_f32_e32 v59, v59, v45
	v_cndmask_b32_e64 v42, 0, v42, s[6:7]
	v_add_f32_e32 v59, v59, v42
	v_cndmask_b32_e64 v43, 0, v43, s[8:9]
	v_add_f32_e32 v59, v59, v43
	v_cndmask_b32_e32 v36, 0, v36, vcc
	v_add_f32_e32 v59, v59, v36
	v_cndmask_b32_e64 v37, 0, v37, s[4:5]
	v_add_f32_e32 v59, v59, v37
	ds_bpermute_b32 v60, v61, v59
	v_cmp_gt_u32_e32 vcc, 16, v56
	s_waitcnt lgkmcnt(0)
	s_barrier
	v_add_f32_e32 v59, v59, v60
	ds_bpermute_b32 v60, v58, v59
	v_lshlrev_b32_e32 v58, 2, v54
	s_and_saveexec_b64 s[4:5], vcc
	s_cbranch_execz .LBB191_15
; %bb.14:
	s_waitcnt lgkmcnt(0)
	v_add_f32_e32 v56, v59, v60
	v_lshl_or_b32 v59, v55, 6, v58
	ds_write2st64_b32 v59, v57, v56 offset1:1
.LBB191_15:
	s_or_b64 exec, exec, s[4:5]
	s_load_dword s6, s[0:1], 0x94
	s_waitcnt lgkmcnt(0)
	s_barrier
	ds_read2_b32 v[60:61], v58 offset1:16
	ds_read2_b32 v[62:63], v58 offset0:32 offset1:48
	ds_read2_b32 v[64:65], v58 offset0:64 offset1:80
	;; [unrolled: 1-line block ×3, first 2 shown]
	s_waitcnt lgkmcnt(0)
	v_max3_f32 v56, v60, s40, v61
	v_max3_f32 v56, v56, v62, v63
	v_sub_f32_e32 v57, v60, v56
	v_mul_f32_e32 v57, 0x3fb8aa3b, v57
	v_exp_f32_e32 v60, v57
	v_sub_f32_e32 v57, v61, v56
	v_mul_f32_e32 v57, 0x3fb8aa3b, v57
	v_exp_f32_e32 v61, v57
	;; [unrolled: 3-line block ×4, first 2 shown]
	v_fma_f32 v57, v60, v64, 0
	v_fmac_f32_e32 v57, v61, v65
	v_fmac_f32_e32 v57, v62, v58
	;; [unrolled: 1-line block ×3, first 2 shown]
	v_add_f32_e32 v58, 0x358637bd, v57
	v_div_scale_f32 v59, s[4:5], v58, v58, 1.0
	v_rcp_f32_e32 v64, v59
	s_barrier
	s_lshl_b32 s7, s33, 2
	v_fma_f32 v65, -v59, v64, 1.0
	v_fmac_f32_e32 v64, v65, v64
	v_div_scale_f32 v65, vcc, 1.0, v58, 1.0
	v_mul_f32_e32 v66, v65, v64
	v_fma_f32 v67, -v59, v66, v65
	v_fmac_f32_e32 v66, v67, v64
	v_fma_f32 v59, -v59, v66, v65
	v_div_fmas_f32 v59, v59, v64, v66
	v_cmp_eq_u32_e32 vcc, 1, v55
	v_div_fixup_f32 v58, v59, v58, 1.0
	s_nop 0
	v_cndmask_b32_e32 v59, v60, v61, vcc
	v_cmp_eq_u32_e32 vcc, 2, v55
	s_nop 1
	v_cndmask_b32_e32 v59, v59, v62, vcc
	v_cmp_eq_u32_e32 vcc, 3, v55
	s_nop 1
	v_cndmask_b32_e32 v59, v59, v63, vcc
	v_mul_f32_e32 v58, v59, v58
	v_pk_mul_f32 v[48:49], v[58:59], v[48:49] op_sel_hi:[0,1]
	v_pk_mul_f32 v[38:39], v[58:59], v[38:39] op_sel_hi:[0,1]
	v_cvt_f16_f32_e32 v59, v48
	v_cvt_f16_f32_e32 v38, v38
	;; [unrolled: 1-line block ×4, first 2 shown]
	v_pk_mul_f32 v[50:51], v[58:59], v[50:51] op_sel_hi:[0,1]
	v_pk_mul_f32 v[40:41], v[58:59], v[40:41] op_sel_hi:[0,1]
	v_cvt_f16_f32_e32 v40, v40
	v_cvt_f16_f32_e32 v41, v41
	;; [unrolled: 1-line block ×4, first 2 shown]
	v_pack_b32_f16 v48, v38, v39
	v_lshlrev_b32_e32 v38, 3, v53
	v_lshlrev_b32_e32 v39, 5, v54
	;; [unrolled: 1-line block ×3, first 2 shown]
	v_pack_b32_f16 v49, v59, v49
	v_or3_b32 v38, v54, v39, v38
	v_pack_b32_f16 v40, v40, v41
	v_pack_b32_f16 v41, v50, v51
	ds_write2st64_b64 v38, v[48:49], v[40:41] offset1:1
	v_pk_mul_f32 v[40:41], v[58:59], v[44:45] op_sel_hi:[0,1]
	v_pk_mul_f32 v[44:45], v[58:59], v[46:47] op_sel_hi:[0,1]
	v_cvt_f16_f32_e32 v46, v40
	v_cvt_f16_f32_e32 v47, v41
	v_pk_mul_f32 v[36:37], v[58:59], v[36:37] op_sel_hi:[0,1]
	v_pk_mul_f32 v[40:41], v[58:59], v[42:43] op_sel_hi:[0,1]
	v_cvt_f16_f32_e32 v44, v44
	v_cvt_f16_f32_e32 v45, v45
	;; [unrolled: 1-line block ×6, first 2 shown]
	v_pack_b32_f16 v36, v44, v45
	v_pack_b32_f16 v37, v46, v47
	;; [unrolled: 1-line block ×4, first 2 shown]
	v_cmp_gt_u32_e32 vcc, 4, v0
	ds_write2st64_b64 v38, v[36:37], v[40:41] offset0:2 offset1:3
	s_and_saveexec_b64 s[4:5], vcc
	s_cbranch_execz .LBB191_17
; %bb.16:
	v_or_b32_e32 v36, s27, v0
	v_mov_b32_e32 v37, 0
	v_mov_b32_e32 v40, s7
	v_mad_u64_u32 v[40:41], s[12:13], s2, v40, v[36:37]
	v_mov_b32_e32 v36, s26
	s_load_dwordx4 s[8:11], s[0:1], 0x58
	s_mul_i32 s3, s3, s7
	v_mad_u64_u32 v[36:37], s[12:13], v40, s6, v[36:37]
	v_add_u32_e32 v41, s3, v41
	v_mov_b32_e32 v40, v37
	v_mad_u64_u32 v[40:41], s[12:13], v41, s6, v[40:41]
	v_mov_b32_e32 v37, v40
	v_lshlrev_b64 v[36:37], 2, v[36:37]
	s_waitcnt lgkmcnt(0)
	v_lshl_add_u64 v[40:41], s[10:11], 0, v[36:37]
	v_lshl_add_u64 v[36:37], s[8:9], 0, v[36:37]
	global_store_dword v[40:41], v56, off
	global_store_dword v[36:37], v57, off
.LBB191_17:
	s_or_b64 exec, exec, s[4:5]
	v_lshl_or_b32 v36, v53, 9, v39
	s_waitcnt lgkmcnt(0)
	s_barrier
	ds_read_b128 v[40:43], v36
	ds_read_b128 v[44:47], v36 offset:16
	s_waitcnt vmcnt(7) lgkmcnt(1)
	v_mfma_f32_16x16x16_f16 v[48:51], v[6:7], v[40:41], 0
	s_mov_b32 s3, 0
	v_mfma_f32_16x16x16_f16 v[6:9], v[8:9], v[42:43], v[48:51]
	s_waitcnt vmcnt(6) lgkmcnt(0)
	v_mfma_f32_16x16x16_f16 v[6:9], v[2:3], v[44:45], v[6:9]
	v_mfma_f32_16x16x16_f16 v[2:5], v[4:5], v[46:47], v[6:9]
	s_nop 5
	ds_read_b128 v[6:9], v36 offset:2048
	ds_read_b128 v[40:43], v36 offset:2064
	s_waitcnt vmcnt(5) lgkmcnt(1)
	v_mfma_f32_16x16x16_f16 v[2:5], v[30:31], v[6:7], v[2:5]
	v_mfma_f32_16x16x16_f16 v[2:5], v[32:33], v[8:9], v[2:5]
	s_waitcnt vmcnt(4) lgkmcnt(0)
	v_mfma_f32_16x16x16_f16 v[2:5], v[26:27], v[40:41], v[2:5]
	v_mfma_f32_16x16x16_f16 v[2:5], v[28:29], v[42:43], v[2:5]
	ds_read_b128 v[6:9], v36 offset:4096
	ds_read_b128 v[26:29], v36 offset:4112
	s_waitcnt vmcnt(3) lgkmcnt(1)
	v_mfma_f32_16x16x16_f16 v[2:5], v[22:23], v[6:7], v[2:5]
	v_mfma_f32_16x16x16_f16 v[2:5], v[24:25], v[8:9], v[2:5]
	s_waitcnt vmcnt(2) lgkmcnt(0)
	v_mfma_f32_16x16x16_f16 v[2:5], v[18:19], v[26:27], v[2:5]
	v_mfma_f32_16x16x16_f16 v[2:5], v[20:21], v[28:29], v[2:5]
	ds_read_b128 v[6:9], v36 offset:6144
	ds_read_b128 v[18:21], v36 offset:6160
	s_waitcnt lgkmcnt(0)
	s_barrier
	s_waitcnt vmcnt(1)
	v_mfma_f32_16x16x16_f16 v[2:5], v[14:15], v[6:7], v[2:5]
	v_mfma_f32_16x16x16_f16 v[2:5], v[16:17], v[8:9], v[2:5]
	s_waitcnt vmcnt(0)
	v_mfma_f32_16x16x16_f16 v[2:5], v[10:11], v[18:19], v[2:5]
	v_mfma_f32_16x16x16_f16 v[2:5], v[12:13], v[20:21], v[2:5]
	s_nop 6
	v_cvt_f16_f32_e32 v2, v2
	v_cvt_f16_f32_e32 v3, v3
	;; [unrolled: 1-line block ×4, first 2 shown]
	v_pack_b32_f16 v2, v2, v3
	v_pack_b32_f16 v3, v4, v5
	ds_write_b64 v38, v[2:3]
	s_waitcnt lgkmcnt(0)
	s_barrier
	s_and_saveexec_b64 s[4:5], s[44:45]
	s_cbranch_execz .LBB191_19
; %bb.18:
	s_load_dwordx2 s[0:1], s[0:1], 0x68
	s_lshl_b32 s6, s6, 6
	s_mul_i32 s2, s7, s2
	s_mul_hi_u32 s5, s2, s6
	s_mul_i32 s4, s2, s6
	v_lshlrev_b32_e32 v2, 10, v0
	v_lshlrev_b32_e32 v0, 4, v0
	s_lshl_b64 s[4:5], s[4:5], 1
	v_and_b32_e32 v2, 0x1800, v2
	v_and_b32_e32 v0, 16, v0
	s_waitcnt lgkmcnt(0)
	s_add_u32 s4, s0, s4
	v_or3_b32 v0, v2, v52, v0
	s_addc_u32 s5, s1, s5
	s_lshl_b32 s2, s26, 6
	ds_read_b128 v[2:5], v0
	s_lshl_b64 s[0:1], s[2:3], 1
	s_add_u32 s0, s4, s0
	s_addc_u32 s1, s5, s1
	v_mad_u64_u32 v[0:1], s[2:3], s6, v1, 0
	v_lshl_add_u64 v[0:1], v[0:1], 1, s[0:1]
	v_lshl_add_u64 v[0:1], v[34:35], 1, v[0:1]
	s_waitcnt lgkmcnt(0)
	global_store_dwordx4 v[0:1], v[2:5], off
.LBB191_19:
	s_endpgm
	.section	.rodata,"a",@progbits
	.p2align	6, 0x0
	.amdhsa_kernel _Z39paged_attention_ll4mi_QKV_mfma16_kernelIDF16_DF16_LN4vllm18Fp8KVCacheDataTypeE0EDF16_Li32ELi64ELi256ELb0ELi4EEvPKT_PKT0_S7_ifPKiS9_S9_iPKfiiiPfSC_PS2_PT2_iSB_SB_
		.amdhsa_group_segment_fixed_size 8192
		.amdhsa_private_segment_fixed_size 0
		.amdhsa_kernarg_size 400
		.amdhsa_user_sgpr_count 2
		.amdhsa_user_sgpr_dispatch_ptr 0
		.amdhsa_user_sgpr_queue_ptr 0
		.amdhsa_user_sgpr_kernarg_segment_ptr 1
		.amdhsa_user_sgpr_dispatch_id 0
		.amdhsa_user_sgpr_kernarg_preload_length 0
		.amdhsa_user_sgpr_kernarg_preload_offset 0
		.amdhsa_user_sgpr_private_segment_size 0
		.amdhsa_uses_dynamic_stack 0
		.amdhsa_enable_private_segment 0
		.amdhsa_system_sgpr_workgroup_id_x 1
		.amdhsa_system_sgpr_workgroup_id_y 1
		.amdhsa_system_sgpr_workgroup_id_z 1
		.amdhsa_system_sgpr_workgroup_info 0
		.amdhsa_system_vgpr_workitem_id 0
		.amdhsa_next_free_vgpr 69
		.amdhsa_next_free_sgpr 46
		.amdhsa_accum_offset 72
		.amdhsa_reserve_vcc 1
		.amdhsa_float_round_mode_32 0
		.amdhsa_float_round_mode_16_64 0
		.amdhsa_float_denorm_mode_32 3
		.amdhsa_float_denorm_mode_16_64 3
		.amdhsa_dx10_clamp 1
		.amdhsa_ieee_mode 1
		.amdhsa_fp16_overflow 0
		.amdhsa_tg_split 0
		.amdhsa_exception_fp_ieee_invalid_op 0
		.amdhsa_exception_fp_denorm_src 0
		.amdhsa_exception_fp_ieee_div_zero 0
		.amdhsa_exception_fp_ieee_overflow 0
		.amdhsa_exception_fp_ieee_underflow 0
		.amdhsa_exception_fp_ieee_inexact 0
		.amdhsa_exception_int_div_zero 0
	.end_amdhsa_kernel
	.section	.text._Z39paged_attention_ll4mi_QKV_mfma16_kernelIDF16_DF16_LN4vllm18Fp8KVCacheDataTypeE0EDF16_Li32ELi64ELi256ELb0ELi4EEvPKT_PKT0_S7_ifPKiS9_S9_iPKfiiiPfSC_PS2_PT2_iSB_SB_,"axG",@progbits,_Z39paged_attention_ll4mi_QKV_mfma16_kernelIDF16_DF16_LN4vllm18Fp8KVCacheDataTypeE0EDF16_Li32ELi64ELi256ELb0ELi4EEvPKT_PKT0_S7_ifPKiS9_S9_iPKfiiiPfSC_PS2_PT2_iSB_SB_,comdat
.Lfunc_end191:
	.size	_Z39paged_attention_ll4mi_QKV_mfma16_kernelIDF16_DF16_LN4vllm18Fp8KVCacheDataTypeE0EDF16_Li32ELi64ELi256ELb0ELi4EEvPKT_PKT0_S7_ifPKiS9_S9_iPKfiiiPfSC_PS2_PT2_iSB_SB_, .Lfunc_end191-_Z39paged_attention_ll4mi_QKV_mfma16_kernelIDF16_DF16_LN4vllm18Fp8KVCacheDataTypeE0EDF16_Li32ELi64ELi256ELb0ELi4EEvPKT_PKT0_S7_ifPKiS9_S9_iPKfiiiPfSC_PS2_PT2_iSB_SB_
                                        ; -- End function
	.section	.AMDGPU.csdata,"",@progbits
; Kernel info:
; codeLenInByte = 3748
; NumSgprs: 52
; NumVgprs: 69
; NumAgprs: 0
; TotalNumVgprs: 69
; ScratchSize: 0
; MemoryBound: 0
; FloatMode: 240
; IeeeMode: 1
; LDSByteSize: 8192 bytes/workgroup (compile time only)
; SGPRBlocks: 6
; VGPRBlocks: 8
; NumSGPRsForWavesPerEU: 52
; NumVGPRsForWavesPerEU: 69
; AccumOffset: 72
; Occupancy: 7
; WaveLimiterHint : 1
; COMPUTE_PGM_RSRC2:SCRATCH_EN: 0
; COMPUTE_PGM_RSRC2:USER_SGPR: 2
; COMPUTE_PGM_RSRC2:TRAP_HANDLER: 0
; COMPUTE_PGM_RSRC2:TGID_X_EN: 1
; COMPUTE_PGM_RSRC2:TGID_Y_EN: 1
; COMPUTE_PGM_RSRC2:TGID_Z_EN: 1
; COMPUTE_PGM_RSRC2:TIDIG_COMP_CNT: 0
; COMPUTE_PGM_RSRC3_GFX90A:ACCUM_OFFSET: 17
; COMPUTE_PGM_RSRC3_GFX90A:TG_SPLIT: 0
	.section	.text._Z38paged_attention_ll4mi_QKV_mfma4_kernelIDF16_DF16_LN4vllm18Fp8KVCacheDataTypeE0EhLi16ELi128ELi256ELb1ELi1EEvPKT_PKT0_S7_ifPKiS9_S9_iPKfiiiPfSC_PS2_PT2_iSB_SB_,"axG",@progbits,_Z38paged_attention_ll4mi_QKV_mfma4_kernelIDF16_DF16_LN4vllm18Fp8KVCacheDataTypeE0EhLi16ELi128ELi256ELb1ELi1EEvPKT_PKT0_S7_ifPKiS9_S9_iPKfiiiPfSC_PS2_PT2_iSB_SB_,comdat
	.protected	_Z38paged_attention_ll4mi_QKV_mfma4_kernelIDF16_DF16_LN4vllm18Fp8KVCacheDataTypeE0EhLi16ELi128ELi256ELb1ELi1EEvPKT_PKT0_S7_ifPKiS9_S9_iPKfiiiPfSC_PS2_PT2_iSB_SB_ ; -- Begin function _Z38paged_attention_ll4mi_QKV_mfma4_kernelIDF16_DF16_LN4vllm18Fp8KVCacheDataTypeE0EhLi16ELi128ELi256ELb1ELi1EEvPKT_PKT0_S7_ifPKiS9_S9_iPKfiiiPfSC_PS2_PT2_iSB_SB_
	.globl	_Z38paged_attention_ll4mi_QKV_mfma4_kernelIDF16_DF16_LN4vllm18Fp8KVCacheDataTypeE0EhLi16ELi128ELi256ELb1ELi1EEvPKT_PKT0_S7_ifPKiS9_S9_iPKfiiiPfSC_PS2_PT2_iSB_SB_
	.p2align	8
	.type	_Z38paged_attention_ll4mi_QKV_mfma4_kernelIDF16_DF16_LN4vllm18Fp8KVCacheDataTypeE0EhLi16ELi128ELi256ELb1ELi1EEvPKT_PKT0_S7_ifPKiS9_S9_iPKfiiiPfSC_PS2_PT2_iSB_SB_,@function
_Z38paged_attention_ll4mi_QKV_mfma4_kernelIDF16_DF16_LN4vllm18Fp8KVCacheDataTypeE0EhLi16ELi128ELi256ELb1ELi1EEvPKT_PKT0_S7_ifPKiS9_S9_iPKfiiiPfSC_PS2_PT2_iSB_SB_: ; @_Z38paged_attention_ll4mi_QKV_mfma4_kernelIDF16_DF16_LN4vllm18Fp8KVCacheDataTypeE0EhLi16ELi128ELi256ELb1ELi1EEvPKT_PKT0_S7_ifPKiS9_S9_iPKfiiiPfSC_PS2_PT2_iSB_SB_
; %bb.0:
	s_load_dwordx2 s[8:9], s[0:1], 0x30
	s_mov_b32 s16, s3
	s_mov_b64 s[6:7], 0
	s_waitcnt lgkmcnt(0)
	s_cmp_lg_u64 s[8:9], 0
	s_cselect_b64 s[10:11], -1, 0
	s_and_b64 vcc, exec, s[10:11]
	s_cbranch_vccz .LBB192_10
; %bb.1:
	s_add_i32 s12, s2, 1
	s_mov_b32 s13, 0
	s_lshl_b64 s[14:15], s[12:13], 2
	s_add_u32 s14, s8, s14
	s_mov_b32 s3, s13
	s_addc_u32 s15, s9, s15
	s_lshl_b64 s[12:13], s[2:3], 2
	s_add_u32 s12, s8, s12
	s_addc_u32 s13, s9, s13
	s_load_dword s5, s[14:15], 0x0
	s_load_dword s17, s[12:13], 0x0
	s_waitcnt lgkmcnt(0)
	s_sub_i32 s5, s5, s17
	s_cmp_eq_u32 s5, 1
	s_cselect_b64 s[12:13], -1, 0
	s_andn2_b64 vcc, exec, s[6:7]
	s_cbranch_vccnz .LBB192_3
.LBB192_2:
	s_mov_b32 s3, 0
	s_mov_b64 s[12:13], -1
.LBB192_3:
	s_andn2_b64 vcc, exec, s[12:13]
	s_cbranch_vccnz .LBB192_27
; %bb.4:
	s_load_dword s5, s[0:1], 0x9c
	s_load_dwordx2 s[6:7], s[0:1], 0x28
	s_add_u32 s20, s0, 0x90
	s_addc_u32 s21, s1, 0
	s_lshl_b64 s[24:25], s[2:3], 2
	s_waitcnt lgkmcnt(0)
	s_and_b32 s5, s5, 0xffff
	s_add_u32 s6, s6, s24
	s_addc_u32 s7, s7, s25
	s_load_dword s3, s[6:7], 0x0
	s_mul_i32 s5, s16, s5
	s_waitcnt lgkmcnt(0)
	s_cmp_ge_i32 s5, s3
	s_cbranch_scc1 .LBB192_27
; %bb.5:
	v_and_b32_e32 v1, 0xc0, v0
	v_add_u32_e32 v2, s5, v1
	v_lshrrev_b32_e32 v88, 6, v0
	v_cmp_le_i32_e64 s[6:7], s3, v2
                                        ; implicit-def: $sgpr26
                                        ; implicit-def: $sgpr17
	s_and_saveexec_b64 s[12:13], s[6:7]
	s_xor_b64 s[12:13], exec, s[12:13]
	s_cbranch_execz .LBB192_7
; %bb.6:
	v_mul_u32_u24_e32 v1, 20, v88
	v_or_b32_e32 v1, 0x1400, v1
	v_mov_b32_e32 v2, 0x1450
	v_mov_b32_e32 v3, 0xff7fffff
	v_mad_u32_u24 v2, v88, 20, v2
	ds_write2_b32 v1, v3, v3 offset1:1
	v_mov_b32_e32 v1, 0
	ds_write2_b32 v2, v1, v1 offset1:1
	v_mov_b32_e32 v2, 0x1408
	s_mov_b32 s17, 0xff7fffff
	s_mov_b32 s26, 0
	v_mad_u32_u24 v2, v88, 20, v2
	v_mov_b32_e32 v4, 0x1458
	v_mad_u32_u24 v4, v88, 20, v4
	ds_write2_b32 v2, v3, v3 offset1:1
	ds_write2_b32 v4, v1, v1 offset1:1
                                        ; implicit-def: $vgpr2
.LBB192_7:
	s_or_saveexec_b64 s[22:23], s[12:13]
	s_load_dwordx2 s[18:19], s[0:1], 0x68
	s_load_dwordx4 s[12:15], s[0:1], 0x58
	s_load_dword s33, s[20:21], 0x4
	v_and_b32_e32 v1, 63, v0
	v_and_b32_e32 v89, 3, v0
	v_mov_b32_e32 v69, s26
	v_mov_b32_e32 v70, s17
	;; [unrolled: 1-line block ×5, first 2 shown]
                                        ; implicit-def: $vgpr7
                                        ; implicit-def: $vgpr3
                                        ; implicit-def: $vgpr19
                                        ; implicit-def: $vgpr23
                                        ; implicit-def: $vgpr27
                                        ; implicit-def: $vgpr31
                                        ; implicit-def: $vgpr43
                                        ; implicit-def: $vgpr47
                                        ; implicit-def: $vgpr11
                                        ; implicit-def: $vgpr15
                                        ; implicit-def: $vgpr35
                                        ; implicit-def: $vgpr39
                                        ; implicit-def: $vgpr51
                                        ; implicit-def: $vgpr55
                                        ; implicit-def: $vgpr59
                                        ; implicit-def: $vgpr63
	s_xor_b64 exec, exec, s[22:23]
	s_cbranch_execz .LBB192_19
; %bb.8:
	s_add_i32 s28, s3, 15
	s_ashr_i32 s29, s28, 31
	s_lshr_b32 s29, s29, 28
	v_add_u32_e32 v90, s5, v0
	s_add_i32 s28, s28, s29
	v_ashrrev_i32_e32 v3, 31, v90
	s_load_dwordx2 s[26:27], s[0:1], 0x20
	s_load_dword s17, s[0:1], 0x38
	s_ashr_i32 s28, s28, 4
	v_lshrrev_b32_e32 v3, 28, v3
	s_add_i32 s30, s28, -1
	v_add_u32_e32 v3, v90, v3
	v_ashrrev_i32_e32 v3, 4, v3
	v_mov_b32_e32 v4, s30
	v_cmp_gt_i32_e32 vcc, s3, v90
	s_waitcnt lgkmcnt(0)
	s_mul_i32 s28, s2, s17
	s_mov_b32 s29, 0
	v_cndmask_b32_e32 v4, v4, v3, vcc
	v_ashrrev_i32_e32 v3, 31, v2
	v_lshrrev_b32_e32 v3, 28, v3
	v_add_u32_e32 v2, v2, v3
	s_lshl_b64 s[28:29], s[28:29], 2
	v_ashrrev_i32_e32 v12, 4, v2
	s_add_u32 s26, s26, s28
	v_min_i32_e32 v2, s30, v12
	s_addc_u32 s27, s27, s29
	v_ashrrev_i32_e32 v3, 31, v2
	v_lshl_add_u64 v[6:7], v[2:3], 2, s[26:27]
	v_add_u32_e32 v2, 1, v12
	v_min_i32_e32 v2, s30, v2
	v_ashrrev_i32_e32 v3, 31, v2
	v_lshl_add_u64 v[8:9], v[2:3], 2, s[26:27]
	v_add_u32_e32 v2, 2, v12
	v_min_i32_e32 v2, s30, v2
	v_ashrrev_i32_e32 v3, 31, v2
	v_lshl_add_u64 v[10:11], v[2:3], 2, s[26:27]
	v_add_u32_e32 v2, 3, v12
	v_ashrrev_i32_e32 v5, 31, v4
	v_min_i32_e32 v2, s30, v2
	v_lshl_add_u64 v[4:5], v[4:5], 2, s[26:27]
	v_ashrrev_i32_e32 v3, 31, v2
	v_lshl_add_u64 v[12:13], v[2:3], 2, s[26:27]
	global_load_dword v3, v[4:5], off
	global_load_dword v2, v[6:7], off
	;; [unrolled: 1-line block ×5, first 2 shown]
	s_load_dwordx2 s[28:29], s[0:1], 0x8
	s_andn2_b64 vcc, exec, s[10:11]
	s_cbranch_vccnz .LBB192_11
; %bb.9:
	s_add_u32 s8, s8, s24
	s_addc_u32 s9, s9, s25
	s_load_dword s5, s[8:9], 0x0
	s_branch .LBB192_12
.LBB192_10:
	s_mov_b64 s[12:13], 0
	s_branch .LBB192_2
.LBB192_11:
	s_mov_b32 s5, s2
.LBB192_12:
	s_load_dwordx2 s[24:25], s[0:1], 0x10
	s_load_dwordx4 s[8:11], s[0:1], 0x48
	v_cmp_eq_u32_e32 vcc, 0, v89
	s_mov_b32 s27, 0
	v_mov_b32_e32 v87, 0
	v_mov_b32_e32 v58, 0
	;; [unrolled: 1-line block ×5, first 2 shown]
	s_and_saveexec_b64 s[30:31], vcc
	s_cbranch_execz .LBB192_14
; %bb.13:
	s_load_dwordx2 s[34:35], s[0:1], 0x0
	s_waitcnt lgkmcnt(0)
	s_ashr_i32 s11, s8, 31
	s_mul_hi_u32 s17, s5, s8
	s_mul_i32 s11, s5, s11
	s_add_i32 s37, s17, s11
	s_mul_i32 s36, s5, s8
	s_lshl_b64 s[36:37], s[36:37], 1
	s_add_u32 s5, s34, s36
	s_addc_u32 s8, s35, s37
	s_lshl_b32 s26, s4, 7
	s_lshl_b64 s[34:35], s[26:27], 1
	s_add_u32 s34, s5, s34
	s_addc_u32 s35, s8, s35
	v_lshlrev_b32_e32 v4, 2, v1
	global_load_dwordx4 v[58:61], v4, s[34:35]
.LBB192_14:
	s_or_b64 exec, exec, s[30:31]
	s_waitcnt lgkmcnt(0)
	s_mul_i32 s26, s4, s10
	s_lshl_b64 s[10:11], s[26:27], 1
	s_add_u32 s28, s10, s28
	s_waitcnt vmcnt(4)
	v_mad_i64_i32 v[4:5], s[30:31], v3, s9, 0
	s_addc_u32 s29, s11, s29
	v_and_b32_e32 v3, 15, v0
	v_lshl_add_u64 v[4:5], v[4:5], 1, s[28:29]
	v_lshlrev_b32_e32 v86, 4, v3
	v_lshl_add_u64 v[4:5], v[4:5], 0, v[86:87]
	global_load_dwordx4 v[82:85], v[4:5], off
	global_load_dwordx4 v[38:41], v[4:5], off offset:256
	global_load_dwordx4 v[22:25], v[4:5], off offset:512
	;; [unrolled: 1-line block ×15, first 2 shown]
	v_mov_b32_e32 v86, 0
	s_and_saveexec_b64 s[28:29], vcc
	s_cbranch_execz .LBB192_16
; %bb.15:
	s_load_dwordx2 s[30:31], s[0:1], 0x40
	s_mov_b32 s5, s27
	s_lshl_b64 s[26:27], s[4:5], 2
	v_mov_b32_e32 v87, 1.0
	s_waitcnt lgkmcnt(0)
	s_add_u32 s26, s30, s26
	s_addc_u32 s27, s31, s27
	s_load_dword s5, s[26:27], 0x0
	s_waitcnt lgkmcnt(0)
	v_mov_b32_e32 v86, s5
.LBB192_16:
	s_or_b64 exec, exec, s[28:29]
	s_waitcnt vmcnt(15)
	v_mfma_f32_4x4x4_16b_f16 a[0:3], v[58:59], v[82:83], 0 cbsz:4
	v_mul_hi_i32 v3, v2, s9
	v_ashrrev_i32_e32 v3, 31, v3
	v_mfma_f32_4x4x4_16b_f16 a[0:3], v[60:61], v[84:85], a[0:3] cbsz:4
	s_add_u32 s10, s24, s10
	v_lshrrev_b32_e32 v94, 29, v3
	s_waitcnt vmcnt(14)
	v_mfma_f32_4x4x4_16b_f16 a[0:3], v[58:59], v[38:39], a[0:3] cbsz:4 abid:1
	v_mov_b32_e32 v95, 0
	s_addc_u32 s11, s25, s11
	v_mfma_f32_4x4x4_16b_f16 a[0:3], v[60:61], v[40:41], a[0:3] cbsz:4 abid:1
	v_mad_i64_i32 v[2:3], s[24:25], v2, s9, v[94:95]
	s_waitcnt vmcnt(13)
	v_mfma_f32_4x4x4_16b_f16 a[0:3], v[58:59], v[22:23], a[0:3] cbsz:4 abid:2
	v_lshlrev_b64 v[2:3], 1, v[2:3]
	v_and_b32_e32 v2, -16, v2
	v_mfma_f32_4x4x4_16b_f16 a[0:3], v[60:61], v[24:25], a[0:3] cbsz:4 abid:2
	v_lshl_add_u64 v[2:3], s[10:11], 0, v[2:3]
	v_lshlrev_b32_e32 v94, 5, v1
	s_waitcnt vmcnt(12)
	v_mfma_f32_4x4x4_16b_f16 a[0:3], v[58:59], v[18:19], a[0:3] cbsz:4 abid:3
	v_lshl_add_u64 v[96:97], v[2:3], 0, v[94:95]
	global_load_dwordx4 v[6:9], v[96:97], off
	global_load_dwordx4 v[2:5], v[96:97], off offset:16
	global_load_dwordx4 v[10:13], v[96:97], off offset:2048
	;; [unrolled: 1-line block ×3, first 2 shown]
	v_mfma_f32_4x4x4_16b_f16 a[0:3], v[60:61], v[20:21], a[0:3] cbsz:4 abid:3
	v_mul_hi_i32 v96, v93, s9
	v_ashrrev_i32_e32 v82, 31, v96
	s_waitcnt vmcnt(15)
	v_mfma_f32_4x4x4_16b_f16 a[0:3], v[58:59], v[34:35], a[0:3] cbsz:4 abid:4
	v_lshrrev_b32_e32 v82, 29, v82
	v_mov_b32_e32 v83, v95
	v_mfma_f32_4x4x4_16b_f16 a[0:3], v[60:61], v[36:37], a[0:3] cbsz:4 abid:4
	s_load_dword s0, s[0:1], 0x1c
	v_mad_i64_i32 v[38:39], s[24:25], v93, s9, v[82:83]
	s_waitcnt vmcnt(14)
	v_mfma_f32_4x4x4_16b_f16 a[0:3], v[58:59], v[78:79], a[0:3] cbsz:4 abid:5
	v_mul_hi_i32 v78, v92, s9
	v_ashrrev_i32_e32 v78, 31, v78
	v_mfma_f32_4x4x4_16b_f16 a[0:3], v[60:61], v[80:81], a[0:3] cbsz:4 abid:5
	v_lshlrev_b64 v[22:23], 1, v[38:39]
	v_and_b32_e32 v22, -16, v22
	s_waitcnt vmcnt(13)
	v_mfma_f32_4x4x4_16b_f16 a[0:3], v[58:59], v[54:55], a[0:3] cbsz:4 abid:6
	v_lshrrev_b32_e32 v54, 29, v78
	v_mov_b32_e32 v55, v95
	v_mfma_f32_4x4x4_16b_f16 a[0:3], v[60:61], v[56:57], a[0:3] cbsz:4 abid:6
	v_lshl_add_u64 v[18:19], s[10:11], 0, v[22:23]
	v_lshl_add_u64 v[82:83], v[18:19], 0, v[94:95]
	s_waitcnt vmcnt(12)
	v_mfma_f32_4x4x4_16b_f16 a[0:3], v[58:59], v[50:51], a[0:3] cbsz:4 abid:7
	v_mad_i64_i32 v[50:51], s[24:25], v92, s9, v[54:55]
	s_nop 0
	v_mfma_f32_4x4x4_16b_f16 a[0:3], v[60:61], v[52:53], a[0:3] cbsz:4 abid:7
	v_lshlrev_b64 v[50:51], 1, v[50:51]
	v_and_b32_e32 v50, -16, v50
	s_waitcnt vmcnt(11)
	v_mfma_f32_4x4x4_16b_f16 a[0:3], v[58:59], v[30:31], a[0:3] cbsz:4 abid:8
	v_lshl_add_u64 v[30:31], s[10:11], 0, v[50:51]
	v_lshl_add_u64 v[78:79], v[30:31], 0, v[94:95]
	v_mfma_f32_4x4x4_16b_f16 a[0:3], v[60:61], v[32:33], a[0:3] cbsz:4 abid:8
	global_load_dwordx4 v[18:21], v[82:83], off
	global_load_dwordx4 v[22:25], v[82:83], off offset:16
	s_waitcnt vmcnt(12)
	v_mfma_f32_4x4x4_16b_f16 a[0:3], v[58:59], v[26:27], a[0:3] cbsz:4 abid:9
	global_load_dwordx4 v[34:37], v[82:83], off offset:2048
	global_load_dwordx4 v[38:41], v[82:83], off offset:2064
	v_mfma_f32_4x4x4_16b_f16 a[0:3], v[60:61], v[28:29], a[0:3] cbsz:4 abid:9
	global_load_dwordx4 v[26:29], v[78:79], off
	global_load_dwordx4 v[30:33], v[78:79], off offset:16
	s_waitcnt vmcnt(15)
	v_mfma_f32_4x4x4_16b_f16 a[0:3], v[58:59], v[74:75], a[0:3] cbsz:4 abid:10
	v_mul_hi_i32 v74, v91, s9
	global_load_dwordx4 v[50:53], v[78:79], off offset:2048
	global_load_dwordx4 v[54:57], v[78:79], off offset:2064
	v_mfma_f32_4x4x4_16b_f16 a[0:3], v[60:61], v[76:77], a[0:3] cbsz:4 abid:10
	v_cmp_eq_u32_e32 vcc, 1, v89
	s_waitcnt vmcnt(16)
	v_mfma_f32_4x4x4_16b_f16 a[0:3], v[58:59], v[70:71], a[0:3] cbsz:4 abid:11
	v_ashrrev_i32_e32 v70, 31, v74
	v_lshrrev_b32_e32 v70, 29, v70
	v_mfma_f32_4x4x4_16b_f16 a[0:3], v[60:61], v[72:73], a[0:3] cbsz:4 abid:11
	v_mov_b32_e32 v71, v95
	v_mov_b32_e32 v73, 0xff7fffff
	s_waitcnt vmcnt(15)
	v_mfma_f32_4x4x4_16b_f16 a[0:3], v[58:59], v[66:67], a[0:3] cbsz:4 abid:12
	v_mad_i64_i32 v[66:67], s[8:9], v91, s9, v[70:71]
	s_nop 0
	v_mfma_f32_4x4x4_16b_f16 a[0:3], v[60:61], v[68:69], a[0:3] cbsz:4 abid:12
	s_waitcnt vmcnt(14)
	s_nop 0
	v_mfma_f32_4x4x4_16b_f16 a[0:3], v[58:59], v[46:47], a[0:3] cbsz:4 abid:13
	v_lshlrev_b64 v[46:47], 1, v[66:67]
	v_and_b32_e32 v46, -16, v46
	v_mfma_f32_4x4x4_16b_f16 a[0:3], v[60:61], v[48:49], a[0:3] cbsz:4 abid:13
	s_waitcnt vmcnt(13)
	s_nop 0
	v_mfma_f32_4x4x4_16b_f16 a[0:3], v[58:59], v[42:43], a[0:3] cbsz:4 abid:14
	v_lshl_add_u64 v[42:43], s[10:11], 0, v[46:47]
	v_lshl_add_u64 v[66:67], v[42:43], 0, v[94:95]
	v_mfma_f32_4x4x4_16b_f16 a[0:3], v[60:61], v[44:45], a[0:3] cbsz:4 abid:14
	global_load_dwordx4 v[42:45], v[66:67], off
	global_load_dwordx4 v[46:49], v[66:67], off offset:16
	s_waitcnt vmcnt(14)
	v_mfma_f32_4x4x4_16b_f16 a[0:3], v[58:59], v[62:63], a[0:3] cbsz:4 abid:15
	s_nop 1
	v_mfma_f32_4x4x4_16b_f16 a[0:3], v[60:61], v[64:65], a[0:3] cbsz:4 abid:15
	s_nop 4
	v_accvgpr_read_b32 v59, a1
	v_accvgpr_read_b32 v58, a0
	s_waitcnt lgkmcnt(0)
	v_pk_mul_f32 v[68:69], s[0:1], v[58:59] op_sel_hi:[0,1]
	global_load_dwordx4 v[58:61], v[66:67], off offset:2048
	global_load_dwordx4 v[62:65], v[66:67], off offset:2064
	v_accvgpr_read_b32 v67, a3
	v_accvgpr_read_b32 v66, a2
	v_pk_mul_f32 v[66:67], s[0:1], v[66:67] op_sel_hi:[0,1]
	v_mfma_f32_4x4x1_16b_f32 a[0:3], v68, v87, 0
	v_cndmask_b32_e64 v68, 0, 1.0, vcc
	v_cmp_eq_u32_e32 vcc, 2, v89
	s_nop 0
	v_mfma_f32_4x4x1_16b_f32 a[0:3], v69, v68, a[0:3]
	v_cndmask_b32_e64 v68, 0, 1.0, vcc
	v_cmp_eq_u32_e32 vcc, 3, v89
	s_nop 0
	v_mfma_f32_4x4x1_16b_f32 a[0:3], v66, v68, a[0:3]
	v_cndmask_b32_e64 v66, 0, 1.0, vcc
	s_nop 1
	v_mfma_f32_4x4x1_16b_f32 a[0:3], v67, v66, a[0:3]
	v_and_b32_e32 v66, -4, v90
	v_subrev_u32_e32 v67, s3, v66
	v_add_u32_e32 v68, 1, v67
	v_cvt_f32_i32_e32 v68, v68
	v_add_u32_e32 v69, 2, v67
	v_cvt_f32_i32_e32 v69, v69
	v_accvgpr_read_b32 v70, a0
	v_fma_f32 v68, v86, v68, v70
	v_accvgpr_read_b32 v70, a1
	v_fma_f32 v69, v86, v69, v70
	v_add_u32_e32 v70, 3, v67
	v_cvt_f32_i32_e32 v70, v70
	v_accvgpr_read_b32 v71, a2
	v_add_u32_e32 v67, 4, v67
	v_cmp_gt_i32_e32 vcc, s3, v66
	v_fma_f32 v71, v86, v70, v71
	v_max_f32_e32 v70, 0xff7fffff, v68
	v_cvt_f32_i32_e32 v67, v67
	v_cndmask_b32_e32 v70, v73, v70, vcc
	v_or_b32_e32 v73, 1, v66
	v_max_f32_e32 v74, v70, v69
	v_cmp_gt_i32_e64 s[0:1], s3, v73
	v_or_b32_e32 v66, 2, v66
	v_accvgpr_read_b32 v72, a3
	v_cndmask_b32_e64 v70, v70, v74, s[0:1]
	v_max_f32_e32 v73, v70, v71
	v_cmp_gt_i32_e64 s[8:9], s3, v66
	v_fmac_f32_e32 v72, v86, v67
	v_lshlrev_b32_e32 v67, 2, v0
	v_cndmask_b32_e64 v66, v70, v73, s[8:9]
	v_or_b32_e32 v70, 3, v90
	v_max_f32_e32 v73, v66, v72
	v_cmp_gt_i32_e64 s[10:11], s3, v70
	v_and_or_b32 v67, v67, 48, v89
	s_nop 0
	v_cndmask_b32_e64 v66, v66, v73, s[10:11]
	;;#ASMSTART
	v_nop
 v_nop
 v_max_f32_dpp v66, v66, v66 row_ror:4
	;;#ASMEND
	v_lshlrev_b32_e32 v73, 2, v67
	;;#ASMSTART
	v_nop
 v_nop
 v_max_f32_dpp v66, v66, v66 row_ror:8
	;;#ASMEND
	ds_bpermute_b32 v66, v73, v66
	s_waitcnt lgkmcnt(0)
	;;#ASMSTART
	v_nop
 v_nop
 v_max_f32_dpp v66, v66, v66 row_ror:4
	;;#ASMEND
	s_nop 0
	;;#ASMSTART
	v_nop
 v_nop
 v_max_f32_dpp v70, v66, v66 row_ror:8
	;;#ASMEND
	s_nop 0
	v_sub_f32_e32 v66, v68, v70
	v_mul_f32_e32 v66, 0x3fb8aa3b, v66
	v_sub_f32_e32 v67, v69, v70
	v_exp_f32_e32 v66, v66
	v_mul_f32_e32 v67, 0x3fb8aa3b, v67
	v_sub_f32_e32 v69, v71, v70
	v_exp_f32_e32 v67, v67
	;; [unrolled: 3-line block ×3, first 2 shown]
	v_mul_f32_e32 v71, 0x3fb8aa3b, v71
	v_exp_f32_e32 v71, v71
	v_cndmask_b32_e32 v66, 0, v66, vcc
	v_add_f32_e32 v68, 0, v66
	v_cndmask_b32_e64 v67, 0, v67, s[0:1]
	v_add_f32_e32 v72, v68, v67
	v_cndmask_b32_e64 v68, 0, v69, s[8:9]
	;; [unrolled: 2-line block ×3, first 2 shown]
	v_add_f32_e32 v71, v72, v69
	;;#ASMSTART
	v_nop
 v_nop
 v_add_f32_dpp v71, v71, v71 row_ror:4
	;;#ASMEND
	v_cmp_gt_u32_e32 vcc, 4, v1
	;;#ASMSTART
	v_nop
 v_nop
 v_add_f32_dpp v71, v71, v71 row_ror:8
	;;#ASMEND
	ds_bpermute_b32 v71, v73, v71
	s_waitcnt lgkmcnt(0)
	;;#ASMSTART
	v_nop
 v_nop
 v_add_f32_dpp v71, v71, v71 row_ror:4
	;;#ASMEND
	s_nop 0
	;;#ASMSTART
	v_nop
 v_nop
 v_add_f32_dpp v71, v71, v71 row_ror:8
	;;#ASMEND
	s_and_saveexec_b64 s[0:1], vcc
	s_cbranch_execz .LBB192_18
; %bb.17:
	v_mul_u32_u24_e32 v72, 20, v88
	v_lshl_add_u32 v72, v89, 2, v72
	v_add_u32_e32 v72, 0x1400, v72
	ds_write2_b32 v72, v70, v71 offset1:20
.LBB192_18:
	s_or_b64 exec, exec, s[0:1]
.LBB192_19:
	s_or_b64 exec, exec, s[22:23]
	s_waitcnt lgkmcnt(0)
	s_barrier
	s_load_dword s0, s[20:21], 0x8
	v_lshlrev_b32_e32 v71, 2, v89
	v_add_u32_e32 v73, 0x1400, v71
	ds_read2_b32 v[74:75], v73 offset1:5
	ds_read2_b32 v[76:77], v73 offset0:10 offset1:15
	s_mul_i32 s1, s33, s2
	s_waitcnt lgkmcnt(0)
	s_mul_i32 s0, s1, s0
	s_mov_b32 s1, 0xff7fffff
	v_max3_f32 v71, v74, s1, v75
	v_max3_f32 v72, v71, v76, v77
	v_sub_f32_e32 v71, v74, v72
	v_sub_f32_e32 v74, v75, v72
	v_mul_f32_e32 v74, 0x3fb8aa3b, v74
	ds_read2_b32 v[78:79], v73 offset0:20 offset1:25
	v_mul_f32_e32 v71, 0x3fb8aa3b, v71
	v_exp_f32_e32 v81, v74
	ds_read2_b32 v[74:75], v73 offset0:30 offset1:35
	v_sub_f32_e32 v73, v76, v72
	v_exp_f32_e32 v80, v71
	v_mul_f32_e32 v73, 0x3fb8aa3b, v73
	v_exp_f32_e32 v76, v73
	v_sub_f32_e32 v73, v77, v72
	v_mul_f32_e32 v73, 0x3fb8aa3b, v73
	v_exp_f32_e32 v77, v73
	s_waitcnt lgkmcnt(1)
	v_fma_f32 v73, v80, v78, 0
	v_fmac_f32_e32 v73, v81, v79
	s_waitcnt lgkmcnt(0)
	v_fmac_f32_e32 v73, v76, v74
	v_mov_b32_e32 v71, 0
	v_fmac_f32_e32 v73, v77, v75
	s_mov_b32 s1, 0
	v_cmp_eq_u32_e32 vcc, 0, v89
	s_and_saveexec_b64 s[2:3], vcc
	s_cbranch_execz .LBB192_21
; %bb.20:
	s_lshl_b64 s[8:9], s[0:1], 2
	s_add_u32 s5, s12, s8
	s_mov_b32 s17, s1
	s_addc_u32 s12, s13, s9
	s_lshl_b64 s[10:11], s[16:17], 2
	s_add_u32 s5, s5, s10
	s_addc_u32 s12, s12, s11
	s_add_u32 s8, s14, s8
	s_addc_u32 s9, s15, s9
	;; [unrolled: 2-line block ×3, first 2 shown]
	s_mul_i32 s8, s33, s4
	s_mov_b32 s9, s1
	s_lshl_b64 s[8:9], s[8:9], 2
	s_add_u32 s10, s5, s8
	s_addc_u32 s11, s12, s9
	s_add_u32 s8, s13, s8
	s_addc_u32 s9, s14, s9
	global_store_dword v71, v72, s[8:9]
	global_store_dword v71, v73, s[10:11]
.LBB192_21:
	s_or_b64 exec, exec, s[2:3]
	v_lshlrev_b32_e32 v71, 3, v88
	s_and_saveexec_b64 s[2:3], s[6:7]
	s_xor_b64 s[2:3], exec, s[2:3]
	s_cbranch_execz .LBB192_23
; %bb.22:
	s_mov_b32 s6, 0
	s_mov_b32 s7, s6
	s_waitcnt vmcnt(14)
	v_mad_u32_u24 v4, v1, 40, v71
	v_mov_b64_e32 v[2:3], s[6:7]
	ds_write2st64_b64 v4, v[2:3], v[2:3] offset1:5
                                        ; implicit-def: $vgpr69
                                        ; implicit-def: $vgpr67
                                        ; implicit-def: $vgpr7
                                        ; implicit-def: $vgpr3
                                        ; implicit-def: $vgpr19
                                        ; implicit-def: $vgpr23
                                        ; implicit-def: $vgpr27
                                        ; implicit-def: $vgpr31
                                        ; implicit-def: $vgpr43
                                        ; implicit-def: $vgpr47
                                        ; implicit-def: $vgpr11
                                        ; implicit-def: $vgpr15
                                        ; implicit-def: $vgpr35
                                        ; implicit-def: $vgpr39
                                        ; implicit-def: $vgpr51
                                        ; implicit-def: $vgpr55
                                        ; implicit-def: $vgpr59
                                        ; implicit-def: $vgpr63
                                        ; implicit-def: $vgpr70
                                        ; implicit-def: $vgpr72
                                        ; implicit-def: $vgpr73
                                        ; implicit-def: $vgpr71
.LBB192_23:
	s_andn2_saveexec_b64 s[2:3], s[2:3]
	s_cbranch_execz .LBB192_25
; %bb.24:
	v_add_f32_e32 v73, 0x358637bd, v73
	v_div_scale_f32 v74, s[6:7], v73, v73, 1.0
	v_rcp_f32_e32 v75, v74
	v_sub_f32_e32 v70, v70, v72
	v_mul_f32_e32 v70, 0x3fb8aa3b, v70
	v_exp_f32_e32 v70, v70
	v_fma_f32 v72, -v74, v75, 1.0
	v_fmac_f32_e32 v75, v72, v75
	v_div_scale_f32 v72, vcc, 1.0, v73, 1.0
	v_mul_f32_e32 v76, v72, v75
	v_fma_f32 v77, -v74, v76, v72
	v_fmac_f32_e32 v76, v77, v75
	v_fma_f32 v72, -v74, v76, v72
	v_div_fmas_f32 v72, v72, v75, v76
	v_div_fixup_f32 v72, v72, v73, 1.0
	v_mul_f32_e32 v70, v70, v72
	v_pk_mul_f32 v[68:69], v[68:69], v[70:71] op_sel_hi:[1,0]
	v_pk_mul_f32 v[66:67], v[66:67], v[70:71] op_sel_hi:[1,0]
	v_cvt_f16_f32_e32 v68, v68
	v_cvt_f16_f32_e32 v66, v66
	v_cvt_f16_f32_e32 v67, v67
	v_cvt_f16_f32_e32 v69, v69
	v_pack_b32_f16 v66, v66, v67
	v_pack_b32_f16 v67, v68, v69
	s_waitcnt vmcnt(15)
	s_nop 0
	v_mfma_f32_4x4x4_16b_f16 a[0:3], v[66:67], v[6:7], 0 cbsz:4
	s_nop 1
	v_mfma_f32_4x4x4_16b_f16 a[0:3], v[66:67], v[8:9], a[0:3] cbsz:4 abid:1
	v_mad_u32_u24 v9, v1, 40, v71
	s_waitcnt vmcnt(13)
	v_mfma_f32_4x4x4_16b_f16 a[4:7], v[66:67], v[10:11], 0 cbsz:4
	v_mfma_f32_4x4x4_16b_f16 a[0:3], v[66:67], v[2:3], a[0:3] cbsz:4 abid:2
	s_nop 0
	v_mfma_f32_4x4x4_16b_f16 a[4:7], v[66:67], v[12:13], a[4:7] cbsz:4 abid:1
	v_mfma_f32_4x4x4_16b_f16 a[0:3], v[66:67], v[4:5], a[0:3] cbsz:4 abid:3
	s_waitcnt vmcnt(12)
	v_mfma_f32_4x4x4_16b_f16 a[4:7], v[66:67], v[14:15], a[4:7] cbsz:4 abid:2
	s_waitcnt vmcnt(11)
	v_mfma_f32_4x4x4_16b_f16 a[0:3], v[66:67], v[18:19], a[0:3] cbsz:4 abid:4
	v_mfma_f32_4x4x4_16b_f16 a[4:7], v[66:67], v[16:17], a[4:7] cbsz:4 abid:3
	s_nop 0
	v_mfma_f32_4x4x4_16b_f16 a[0:3], v[66:67], v[20:21], a[0:3] cbsz:4 abid:5
	s_waitcnt vmcnt(9)
	v_mfma_f32_4x4x4_16b_f16 a[4:7], v[66:67], v[34:35], a[4:7] cbsz:4 abid:4
	v_mfma_f32_4x4x4_16b_f16 a[0:3], v[66:67], v[22:23], a[0:3] cbsz:4 abid:6
	s_nop 0
	v_mfma_f32_4x4x4_16b_f16 a[4:7], v[66:67], v[36:37], a[4:7] cbsz:4 abid:5
	v_mfma_f32_4x4x4_16b_f16 a[0:3], v[66:67], v[24:25], a[0:3] cbsz:4 abid:7
	s_waitcnt vmcnt(8)
	v_mfma_f32_4x4x4_16b_f16 a[4:7], v[66:67], v[38:39], a[4:7] cbsz:4 abid:6
	s_waitcnt vmcnt(7)
	v_mfma_f32_4x4x4_16b_f16 a[0:3], v[66:67], v[26:27], a[0:3] cbsz:4 abid:8
	v_mfma_f32_4x4x4_16b_f16 a[4:7], v[66:67], v[40:41], a[4:7] cbsz:4 abid:7
	s_nop 0
	v_mfma_f32_4x4x4_16b_f16 a[0:3], v[66:67], v[28:29], a[0:3] cbsz:4 abid:9
	s_waitcnt vmcnt(5)
	v_mfma_f32_4x4x4_16b_f16 a[4:7], v[66:67], v[50:51], a[4:7] cbsz:4 abid:8
	;; [unrolled: 13-line block ×3, first 2 shown]
	v_mfma_f32_4x4x4_16b_f16 a[0:3], v[66:67], v[46:47], a[0:3] cbsz:4 abid:14
	s_nop 1
	v_mfma_f32_4x4x4_16b_f16 a[0:3], v[66:67], v[48:49], a[0:3] cbsz:4 abid:15
	s_nop 4
	v_accvgpr_read_b32 v2, a0
	v_accvgpr_read_b32 v3, a1
	v_accvgpr_read_b32 v4, a2
	v_accvgpr_read_b32 v5, a3
	v_mfma_f32_4x4x4_16b_f16 a[0:3], v[66:67], v[60:61], a[4:7] cbsz:4 abid:13
	v_cvt_f16_f32_e32 v2, v2
	v_cvt_f16_f32_e32 v3, v3
	s_waitcnt vmcnt(0)
	v_mfma_f32_4x4x4_16b_f16 a[0:3], v[66:67], v[62:63], a[0:3] cbsz:4 abid:14
	v_pack_b32_f16 v2, v2, v3
	s_nop 0
	v_mfma_f32_4x4x4_16b_f16 a[0:3], v[66:67], v[64:65], a[0:3] cbsz:4 abid:15
	v_cvt_f16_f32_e32 v3, v4
	v_cvt_f16_f32_e32 v4, v5
	v_pack_b32_f16 v3, v3, v4
	s_nop 1
	v_accvgpr_read_b32 v5, a0
	v_accvgpr_read_b32 v6, a1
	;; [unrolled: 1-line block ×4, first 2 shown]
	v_cvt_f16_f32_e32 v5, v5
	v_cvt_f16_f32_e32 v6, v6
	;; [unrolled: 1-line block ×4, first 2 shown]
	v_pack_b32_f16 v4, v5, v6
	v_pack_b32_f16 v5, v7, v8
	ds_write2st64_b64 v9, v[2:3], v[4:5] offset1:5
.LBB192_25:
	s_or_b64 exec, exec, s[2:3]
	v_cmp_gt_u32_e32 vcc, 64, v0
	s_waitcnt lgkmcnt(0)
	s_barrier
	s_and_saveexec_b64 s[2:3], vcc
	s_cbranch_execz .LBB192_27
; %bb.26:
	s_waitcnt vmcnt(14)
	v_mov_b32_e32 v2, 0xa00
	v_mad_u32_u24 v2, v1, 40, v2
	v_mov_b32_e32 v6, 0xa10
	ds_read2_b64 v[2:5], v2 offset1:1
	s_waitcnt lgkmcnt(0)
	v_mad_u32_u24 v3, v1, 40, v6
	ds_read2_b64 v[6:9], v3 offset1:1
	v_mul_u32_u24_e32 v1, 40, v1
	s_lshl_b32 s0, s0, 7
	v_pk_add_f16 v2, v2, 0
	s_lshl_b64 s[2:3], s[0:1], 1
	v_pk_add_f16 v2, v2, v4
	s_add_u32 s2, s18, s2
	s_waitcnt lgkmcnt(0)
	v_pk_add_f16 v2, v2, v6
	s_addc_u32 s3, s19, s3
	s_waitcnt vmcnt(13)
	v_pk_add_f16 v10, v2, v8
	ds_read2_b64 v[2:5], v1 offset1:1
	ds_read2_b64 v[6:9], v1 offset0:2 offset1:3
	s_lshl_b32 s0, s16, 7
	s_lshl_b64 s[0:1], s[0:1], 1
	s_add_u32 s0, s2, s0
	s_waitcnt lgkmcnt(1)
	v_pk_add_f16 v2, v2, 0
	s_mul_i32 s2, s4, s33
	v_pk_add_f16 v2, v2, v4
	s_addc_u32 s1, s3, s1
	v_lshl_or_b32 v0, s2, 7, v0
	v_mov_b32_e32 v1, 0
	s_waitcnt lgkmcnt(0)
	v_pk_add_f16 v2, v2, v6
	v_lshl_add_u64 v[0:1], v[0:1], 1, s[0:1]
	v_pk_add_f16 v2, v2, v8
	global_store_short v[0:1], v2, off
	global_store_short v[0:1], v10, off offset:128
.LBB192_27:
	s_endpgm
	.section	.rodata,"a",@progbits
	.p2align	6, 0x0
	.amdhsa_kernel _Z38paged_attention_ll4mi_QKV_mfma4_kernelIDF16_DF16_LN4vllm18Fp8KVCacheDataTypeE0EhLi16ELi128ELi256ELb1ELi1EEvPKT_PKT0_S7_ifPKiS9_S9_iPKfiiiPfSC_PS2_PT2_iSB_SB_
		.amdhsa_group_segment_fixed_size 5280
		.amdhsa_private_segment_fixed_size 0
		.amdhsa_kernarg_size 400
		.amdhsa_user_sgpr_count 2
		.amdhsa_user_sgpr_dispatch_ptr 0
		.amdhsa_user_sgpr_queue_ptr 0
		.amdhsa_user_sgpr_kernarg_segment_ptr 1
		.amdhsa_user_sgpr_dispatch_id 0
		.amdhsa_user_sgpr_kernarg_preload_length 0
		.amdhsa_user_sgpr_kernarg_preload_offset 0
		.amdhsa_user_sgpr_private_segment_size 0
		.amdhsa_uses_dynamic_stack 0
		.amdhsa_enable_private_segment 0
		.amdhsa_system_sgpr_workgroup_id_x 1
		.amdhsa_system_sgpr_workgroup_id_y 1
		.amdhsa_system_sgpr_workgroup_id_z 1
		.amdhsa_system_sgpr_workgroup_info 0
		.amdhsa_system_vgpr_workitem_id 0
		.amdhsa_next_free_vgpr 108
		.amdhsa_next_free_sgpr 38
		.amdhsa_accum_offset 100
		.amdhsa_reserve_vcc 1
		.amdhsa_float_round_mode_32 0
		.amdhsa_float_round_mode_16_64 0
		.amdhsa_float_denorm_mode_32 3
		.amdhsa_float_denorm_mode_16_64 3
		.amdhsa_dx10_clamp 1
		.amdhsa_ieee_mode 1
		.amdhsa_fp16_overflow 0
		.amdhsa_tg_split 0
		.amdhsa_exception_fp_ieee_invalid_op 0
		.amdhsa_exception_fp_denorm_src 0
		.amdhsa_exception_fp_ieee_div_zero 0
		.amdhsa_exception_fp_ieee_overflow 0
		.amdhsa_exception_fp_ieee_underflow 0
		.amdhsa_exception_fp_ieee_inexact 0
		.amdhsa_exception_int_div_zero 0
	.end_amdhsa_kernel
	.section	.text._Z38paged_attention_ll4mi_QKV_mfma4_kernelIDF16_DF16_LN4vllm18Fp8KVCacheDataTypeE0EhLi16ELi128ELi256ELb1ELi1EEvPKT_PKT0_S7_ifPKiS9_S9_iPKfiiiPfSC_PS2_PT2_iSB_SB_,"axG",@progbits,_Z38paged_attention_ll4mi_QKV_mfma4_kernelIDF16_DF16_LN4vllm18Fp8KVCacheDataTypeE0EhLi16ELi128ELi256ELb1ELi1EEvPKT_PKT0_S7_ifPKiS9_S9_iPKfiiiPfSC_PS2_PT2_iSB_SB_,comdat
.Lfunc_end192:
	.size	_Z38paged_attention_ll4mi_QKV_mfma4_kernelIDF16_DF16_LN4vllm18Fp8KVCacheDataTypeE0EhLi16ELi128ELi256ELb1ELi1EEvPKT_PKT0_S7_ifPKiS9_S9_iPKfiiiPfSC_PS2_PT2_iSB_SB_, .Lfunc_end192-_Z38paged_attention_ll4mi_QKV_mfma4_kernelIDF16_DF16_LN4vllm18Fp8KVCacheDataTypeE0EhLi16ELi128ELi256ELb1ELi1EEvPKT_PKT0_S7_ifPKiS9_S9_iPKfiiiPfSC_PS2_PT2_iSB_SB_
                                        ; -- End function
	.section	.AMDGPU.csdata,"",@progbits
; Kernel info:
; codeLenInByte = 3788
; NumSgprs: 44
; NumVgprs: 98
; NumAgprs: 8
; TotalNumVgprs: 108
; ScratchSize: 0
; MemoryBound: 0
; FloatMode: 240
; IeeeMode: 1
; LDSByteSize: 5280 bytes/workgroup (compile time only)
; SGPRBlocks: 5
; VGPRBlocks: 13
; NumSGPRsForWavesPerEU: 44
; NumVGPRsForWavesPerEU: 108
; AccumOffset: 100
; Occupancy: 4
; WaveLimiterHint : 1
; COMPUTE_PGM_RSRC2:SCRATCH_EN: 0
; COMPUTE_PGM_RSRC2:USER_SGPR: 2
; COMPUTE_PGM_RSRC2:TRAP_HANDLER: 0
; COMPUTE_PGM_RSRC2:TGID_X_EN: 1
; COMPUTE_PGM_RSRC2:TGID_Y_EN: 1
; COMPUTE_PGM_RSRC2:TGID_Z_EN: 1
; COMPUTE_PGM_RSRC2:TIDIG_COMP_CNT: 0
; COMPUTE_PGM_RSRC3_GFX90A:ACCUM_OFFSET: 24
; COMPUTE_PGM_RSRC3_GFX90A:TG_SPLIT: 0
	.section	.text._Z38paged_attention_ll4mi_QKV_mfma4_kernelIDF16_DF16_LN4vllm18Fp8KVCacheDataTypeE0EhLi16ELi128ELi256ELb1ELi2EEvPKT_PKT0_S7_ifPKiS9_S9_iPKfiiiPfSC_PS2_PT2_iSB_SB_,"axG",@progbits,_Z38paged_attention_ll4mi_QKV_mfma4_kernelIDF16_DF16_LN4vllm18Fp8KVCacheDataTypeE0EhLi16ELi128ELi256ELb1ELi2EEvPKT_PKT0_S7_ifPKiS9_S9_iPKfiiiPfSC_PS2_PT2_iSB_SB_,comdat
	.protected	_Z38paged_attention_ll4mi_QKV_mfma4_kernelIDF16_DF16_LN4vllm18Fp8KVCacheDataTypeE0EhLi16ELi128ELi256ELb1ELi2EEvPKT_PKT0_S7_ifPKiS9_S9_iPKfiiiPfSC_PS2_PT2_iSB_SB_ ; -- Begin function _Z38paged_attention_ll4mi_QKV_mfma4_kernelIDF16_DF16_LN4vllm18Fp8KVCacheDataTypeE0EhLi16ELi128ELi256ELb1ELi2EEvPKT_PKT0_S7_ifPKiS9_S9_iPKfiiiPfSC_PS2_PT2_iSB_SB_
	.globl	_Z38paged_attention_ll4mi_QKV_mfma4_kernelIDF16_DF16_LN4vllm18Fp8KVCacheDataTypeE0EhLi16ELi128ELi256ELb1ELi2EEvPKT_PKT0_S7_ifPKiS9_S9_iPKfiiiPfSC_PS2_PT2_iSB_SB_
	.p2align	8
	.type	_Z38paged_attention_ll4mi_QKV_mfma4_kernelIDF16_DF16_LN4vllm18Fp8KVCacheDataTypeE0EhLi16ELi128ELi256ELb1ELi2EEvPKT_PKT0_S7_ifPKiS9_S9_iPKfiiiPfSC_PS2_PT2_iSB_SB_,@function
_Z38paged_attention_ll4mi_QKV_mfma4_kernelIDF16_DF16_LN4vllm18Fp8KVCacheDataTypeE0EhLi16ELi128ELi256ELb1ELi2EEvPKT_PKT0_S7_ifPKiS9_S9_iPKfiiiPfSC_PS2_PT2_iSB_SB_: ; @_Z38paged_attention_ll4mi_QKV_mfma4_kernelIDF16_DF16_LN4vllm18Fp8KVCacheDataTypeE0EhLi16ELi128ELi256ELb1ELi2EEvPKT_PKT0_S7_ifPKiS9_S9_iPKfiiiPfSC_PS2_PT2_iSB_SB_
; %bb.0:
	s_load_dwordx2 s[8:9], s[0:1], 0x30
	s_mov_b32 s16, s3
	s_mov_b64 s[6:7], 0
	s_waitcnt lgkmcnt(0)
	s_cmp_lg_u64 s[8:9], 0
	s_cselect_b64 s[10:11], -1, 0
	s_and_b64 vcc, exec, s[10:11]
	s_cbranch_vccz .LBB193_10
; %bb.1:
	s_add_i32 s12, s2, 1
	s_mov_b32 s13, 0
	s_lshl_b64 s[14:15], s[12:13], 2
	s_add_u32 s14, s8, s14
	s_mov_b32 s3, s13
	s_addc_u32 s15, s9, s15
	s_lshl_b64 s[12:13], s[2:3], 2
	s_add_u32 s12, s8, s12
	s_addc_u32 s13, s9, s13
	s_load_dword s5, s[14:15], 0x0
	s_load_dword s17, s[12:13], 0x0
	s_waitcnt lgkmcnt(0)
	s_sub_i32 s5, s5, s17
	s_cmp_eq_u32 s5, 1
	s_cselect_b64 s[12:13], -1, 0
	s_andn2_b64 vcc, exec, s[6:7]
	s_cbranch_vccnz .LBB193_3
.LBB193_2:
	s_mov_b32 s3, 0
	s_mov_b64 s[12:13], -1
.LBB193_3:
	s_andn2_b64 vcc, exec, s[12:13]
	s_cbranch_vccnz .LBB193_27
; %bb.4:
	s_load_dword s5, s[0:1], 0x9c
	s_load_dwordx2 s[6:7], s[0:1], 0x28
	s_add_u32 s20, s0, 0x90
	s_addc_u32 s21, s1, 0
	s_lshl_b64 s[24:25], s[2:3], 2
	s_waitcnt lgkmcnt(0)
	s_and_b32 s5, s5, 0xffff
	s_add_u32 s6, s6, s24
	s_addc_u32 s7, s7, s25
	s_load_dword s3, s[6:7], 0x0
	s_mul_i32 s5, s16, s5
	s_waitcnt lgkmcnt(0)
	s_cmp_ge_i32 s5, s3
	s_cbranch_scc1 .LBB193_27
; %bb.5:
	v_and_b32_e32 v1, 0xc0, v0
	v_add_u32_e32 v2, s5, v1
	v_lshrrev_b32_e32 v88, 6, v0
	v_cmp_le_i32_e64 s[6:7], s3, v2
                                        ; implicit-def: $sgpr26
                                        ; implicit-def: $sgpr17
	s_and_saveexec_b64 s[12:13], s[6:7]
	s_xor_b64 s[12:13], exec, s[12:13]
	s_cbranch_execz .LBB193_7
; %bb.6:
	v_mul_u32_u24_e32 v1, 20, v88
	v_or_b32_e32 v1, 0x1400, v1
	v_mov_b32_e32 v2, 0x1450
	v_mov_b32_e32 v3, 0xff7fffff
	v_mad_u32_u24 v2, v88, 20, v2
	ds_write2_b32 v1, v3, v3 offset1:1
	v_mov_b32_e32 v1, 0
	ds_write2_b32 v2, v1, v1 offset1:1
	v_mov_b32_e32 v2, 0x1408
	s_mov_b32 s17, 0xff7fffff
	s_mov_b32 s26, 0
	v_mad_u32_u24 v2, v88, 20, v2
	v_mov_b32_e32 v4, 0x1458
	v_mad_u32_u24 v4, v88, 20, v4
	ds_write2_b32 v2, v3, v3 offset1:1
	ds_write2_b32 v4, v1, v1 offset1:1
                                        ; implicit-def: $vgpr2
.LBB193_7:
	s_or_saveexec_b64 s[22:23], s[12:13]
	s_load_dwordx2 s[18:19], s[0:1], 0x68
	s_load_dwordx4 s[12:15], s[0:1], 0x58
	s_load_dword s33, s[20:21], 0x4
	v_and_b32_e32 v1, 63, v0
	v_and_b32_e32 v89, 3, v0
	s_lshl_b32 s34, s4, 1
	v_mov_b32_e32 v69, s26
	v_mov_b32_e32 v70, s17
	;; [unrolled: 1-line block ×5, first 2 shown]
                                        ; implicit-def: $vgpr7
                                        ; implicit-def: $vgpr3
                                        ; implicit-def: $vgpr11
                                        ; implicit-def: $vgpr15
                                        ; implicit-def: $vgpr27
                                        ; implicit-def: $vgpr31
                                        ; implicit-def: $vgpr43
                                        ; implicit-def: $vgpr47
                                        ; implicit-def: $vgpr19
                                        ; implicit-def: $vgpr23
                                        ; implicit-def: $vgpr35
                                        ; implicit-def: $vgpr39
                                        ; implicit-def: $vgpr51
                                        ; implicit-def: $vgpr55
                                        ; implicit-def: $vgpr59
                                        ; implicit-def: $vgpr63
	s_xor_b64 exec, exec, s[22:23]
	s_cbranch_execz .LBB193_19
; %bb.8:
	s_add_i32 s28, s3, 15
	s_ashr_i32 s29, s28, 31
	s_lshr_b32 s29, s29, 28
	v_add_u32_e32 v90, s5, v0
	s_add_i32 s28, s28, s29
	v_ashrrev_i32_e32 v3, 31, v90
	s_load_dwordx2 s[26:27], s[0:1], 0x20
	s_load_dword s17, s[0:1], 0x38
	s_ashr_i32 s28, s28, 4
	v_lshrrev_b32_e32 v3, 28, v3
	s_add_i32 s30, s28, -1
	v_add_u32_e32 v3, v90, v3
	v_ashrrev_i32_e32 v3, 4, v3
	v_mov_b32_e32 v4, s30
	v_cmp_gt_i32_e32 vcc, s3, v90
	s_waitcnt lgkmcnt(0)
	s_mul_i32 s28, s2, s17
	s_mov_b32 s29, 0
	v_cndmask_b32_e32 v4, v4, v3, vcc
	v_ashrrev_i32_e32 v3, 31, v2
	v_lshrrev_b32_e32 v3, 28, v3
	v_add_u32_e32 v2, v2, v3
	s_lshl_b64 s[28:29], s[28:29], 2
	v_ashrrev_i32_e32 v12, 4, v2
	s_add_u32 s26, s26, s28
	v_min_i32_e32 v2, s30, v12
	s_addc_u32 s27, s27, s29
	v_ashrrev_i32_e32 v3, 31, v2
	v_lshl_add_u64 v[6:7], v[2:3], 2, s[26:27]
	v_add_u32_e32 v2, 1, v12
	v_min_i32_e32 v2, s30, v2
	v_ashrrev_i32_e32 v3, 31, v2
	v_lshl_add_u64 v[8:9], v[2:3], 2, s[26:27]
	v_add_u32_e32 v2, 2, v12
	v_min_i32_e32 v2, s30, v2
	v_ashrrev_i32_e32 v3, 31, v2
	v_lshl_add_u64 v[10:11], v[2:3], 2, s[26:27]
	v_add_u32_e32 v2, 3, v12
	v_ashrrev_i32_e32 v5, 31, v4
	v_min_i32_e32 v2, s30, v2
	v_lshl_add_u64 v[4:5], v[4:5], 2, s[26:27]
	v_ashrrev_i32_e32 v3, 31, v2
	v_lshl_add_u64 v[12:13], v[2:3], 2, s[26:27]
	global_load_dword v3, v[4:5], off
	global_load_dword v2, v[6:7], off
	;; [unrolled: 1-line block ×5, first 2 shown]
	s_load_dwordx2 s[26:27], s[0:1], 0x8
	s_andn2_b64 vcc, exec, s[10:11]
	s_cbranch_vccnz .LBB193_11
; %bb.9:
	s_add_u32 s8, s8, s24
	s_addc_u32 s9, s9, s25
	s_load_dword s5, s[8:9], 0x0
	s_branch .LBB193_12
.LBB193_10:
	s_mov_b64 s[12:13], 0
	s_branch .LBB193_2
.LBB193_11:
	s_mov_b32 s5, s2
.LBB193_12:
	s_load_dwordx2 s[24:25], s[0:1], 0x10
	s_load_dwordx4 s[8:11], s[0:1], 0x48
	v_cmp_gt_u32_e32 vcc, 2, v89
	s_mov_b32 s29, 0
	v_mov_b32_e32 v63, 0
	v_mov_b32_e32 v64, 0
	;; [unrolled: 1-line block ×5, first 2 shown]
	s_and_saveexec_b64 s[30:31], vcc
	s_cbranch_execz .LBB193_14
; %bb.13:
	s_load_dwordx2 s[36:37], s[0:1], 0x0
	s_waitcnt lgkmcnt(0)
	s_ashr_i32 s11, s8, 31
	s_mul_hi_u32 s17, s5, s8
	s_mul_i32 s11, s5, s11
	s_add_i32 s39, s17, s11
	s_mul_i32 s38, s5, s8
	s_lshl_b64 s[38:39], s[38:39], 1
	s_add_u32 s5, s36, s38
	s_addc_u32 s8, s37, s39
	s_lshl_b32 s28, s4, 8
	s_lshl_b64 s[36:37], s[28:29], 1
	v_lshlrev_b32_e32 v4, 2, v1
	s_add_u32 s36, s5, s36
	v_and_b32_e32 v4, 0xf0, v4
	s_addc_u32 s37, s8, s37
	v_lshl_or_b32 v4, v89, 8, v4
	global_load_dwordx4 v[64:67], v4, s[36:37]
.LBB193_14:
	s_or_b64 exec, exec, s[30:31]
	s_waitcnt lgkmcnt(0)
	s_mul_i32 s28, s4, s10
	s_lshl_b64 s[4:5], s[28:29], 1
	s_add_u32 s10, s4, s26
	s_waitcnt vmcnt(4)
	v_mad_i64_i32 v[4:5], s[30:31], v3, s9, 0
	s_addc_u32 s11, s5, s27
	v_and_b32_e32 v3, 15, v0
	v_lshl_add_u64 v[4:5], v[4:5], 1, s[10:11]
	v_lshlrev_b32_e32 v62, 4, v3
	v_lshl_add_u64 v[4:5], v[4:5], 0, v[62:63]
	global_load_dwordx4 v[84:87], v[4:5], off
	global_load_dwordx4 v[38:41], v[4:5], off offset:256
	global_load_dwordx4 v[34:37], v[4:5], off offset:512
	global_load_dwordx4 v[14:17], v[4:5], off offset:768
	global_load_dwordx4 v[10:13], v[4:5], off offset:1024
	global_load_dwordx4 v[80:83], v[4:5], off offset:1280
	global_load_dwordx4 v[54:57], v[4:5], off offset:1536
	global_load_dwordx4 v[50:53], v[4:5], off offset:1792
	global_load_dwordx4 v[30:33], v[4:5], off offset:2048
	global_load_dwordx4 v[26:29], v[4:5], off offset:2304
	global_load_dwordx4 v[76:79], v[4:5], off offset:2560
	global_load_dwordx4 v[72:75], v[4:5], off offset:2816
	global_load_dwordx4 v[58:61], v[4:5], off offset:3072
	global_load_dwordx4 v[46:49], v[4:5], off offset:3328
	global_load_dwordx4 v[42:45], v[4:5], off offset:3584
	global_load_dwordx4 v[68:71], v[4:5], off offset:3840
	v_mov_b32_e32 v94, 0
	s_and_saveexec_b64 s[10:11], vcc
	s_cbranch_execz .LBB193_16
; %bb.15:
	s_load_dwordx2 s[26:27], s[0:1], 0x40
	v_or_b32_e32 v4, s34, v89
	v_mov_b32_e32 v5, 0
	s_waitcnt lgkmcnt(0)
	v_lshl_add_u64 v[4:5], v[4:5], 2, s[26:27]
	global_load_dword v94, v[4:5], off
.LBB193_16:
	s_or_b64 exec, exec, s[10:11]
	s_waitcnt vmcnt(15)
	v_mfma_f32_4x4x4_16b_f16 a[0:3], v[64:65], v[84:85], 0 cbsz:4
	v_mul_hi_i32 v3, v2, s9
	v_ashrrev_i32_e32 v3, 31, v3
	v_mfma_f32_4x4x4_16b_f16 a[0:3], v[66:67], v[86:87], a[0:3] cbsz:4
	v_mul_hi_i32 v84, v93, s9
	v_lshrrev_b32_e32 v96, 29, v3
	s_waitcnt vmcnt(14)
	v_mfma_f32_4x4x4_16b_f16 a[0:3], v[64:65], v[38:39], a[0:3] cbsz:4 abid:1
	v_mov_b32_e32 v97, 0
	v_ashrrev_i32_e32 v38, 31, v84
	v_mfma_f32_4x4x4_16b_f16 a[0:3], v[66:67], v[40:41], a[0:3] cbsz:4 abid:1
	v_mad_i64_i32 v[2:3], s[10:11], v2, s9, v[96:97]
	s_waitcnt vmcnt(13)
	v_mfma_f32_4x4x4_16b_f16 a[0:3], v[64:65], v[34:35], a[0:3] cbsz:4 abid:2
	v_lshrrev_b32_e32 v96, 29, v38
	v_mad_i64_i32 v[34:35], s[10:11], v93, s9, v[96:97]
	v_mfma_f32_4x4x4_16b_f16 a[0:3], v[66:67], v[36:37], a[0:3] cbsz:4 abid:2
	s_add_u32 s4, s24, s4
	v_lshlrev_b64 v[2:3], 1, v[2:3]
	s_waitcnt vmcnt(12)
	v_mfma_f32_4x4x4_16b_f16 a[0:3], v[64:65], v[14:15], a[0:3] cbsz:4 abid:3
	v_lshlrev_b64 v[34:35], 1, v[34:35]
	s_addc_u32 s5, s25, s5
	v_mfma_f32_4x4x4_16b_f16 a[0:3], v[66:67], v[16:17], a[0:3] cbsz:4 abid:3
	v_and_b32_e32 v2, -16, v2
	v_and_b32_e32 v34, -16, v34
	s_waitcnt vmcnt(11)
	v_mfma_f32_4x4x4_16b_f16 a[0:3], v[64:65], v[10:11], a[0:3] cbsz:4 abid:4
	v_lshl_add_u64 v[2:3], s[4:5], 0, v[2:3]
	v_lshlrev_b32_e32 v62, 5, v1
	v_mfma_f32_4x4x4_16b_f16 a[0:3], v[66:67], v[12:13], a[0:3] cbsz:4 abid:4
	v_lshl_add_u64 v[14:15], s[4:5], 0, v[34:35]
	v_lshl_add_u64 v[98:99], v[2:3], 0, v[62:63]
	s_waitcnt vmcnt(10)
	v_mfma_f32_4x4x4_16b_f16 a[0:3], v[64:65], v[80:81], a[0:3] cbsz:4 abid:5
	v_mul_hi_i32 v80, v92, s9
	v_lshl_add_u64 v[84:85], v[14:15], 0, v[62:63]
	v_mfma_f32_4x4x4_16b_f16 a[0:3], v[66:67], v[82:83], a[0:3] cbsz:4 abid:5
	global_load_dwordx4 v[6:9], v[98:99], off
	global_load_dwordx4 v[2:5], v[98:99], off offset:16
	s_waitcnt vmcnt(11)
	v_mfma_f32_4x4x4_16b_f16 a[0:3], v[64:65], v[54:55], a[0:3] cbsz:4 abid:6
	v_ashrrev_i32_e32 v54, 31, v80
	v_lshrrev_b32_e32 v96, 29, v54
	v_mfma_f32_4x4x4_16b_f16 a[0:3], v[66:67], v[56:57], a[0:3] cbsz:4 abid:6
	global_load_dwordx4 v[18:21], v[98:99], off offset:2048
	global_load_dwordx4 v[22:25], v[98:99], off offset:2064
	s_waitcnt vmcnt(12)
	v_mfma_f32_4x4x4_16b_f16 a[0:3], v[64:65], v[50:51], a[0:3] cbsz:4 abid:7
	v_mad_i64_i32 v[50:51], s[10:11], v92, s9, v[96:97]
	s_nop 0
	v_mfma_f32_4x4x4_16b_f16 a[0:3], v[66:67], v[52:53], a[0:3] cbsz:4 abid:7
	v_lshlrev_b64 v[50:51], 1, v[50:51]
	v_and_b32_e32 v50, -16, v50
	s_waitcnt vmcnt(11)
	v_mfma_f32_4x4x4_16b_f16 a[0:3], v[64:65], v[30:31], a[0:3] cbsz:4 abid:8
	v_lshl_add_u64 v[30:31], s[4:5], 0, v[50:51]
	v_lshl_add_u64 v[80:81], v[30:31], 0, v[62:63]
	v_mfma_f32_4x4x4_16b_f16 a[0:3], v[66:67], v[32:33], a[0:3] cbsz:4 abid:8
	global_load_dwordx4 v[10:13], v[84:85], off
	global_load_dwordx4 v[14:17], v[84:85], off offset:16
	s_waitcnt vmcnt(12)
	v_mfma_f32_4x4x4_16b_f16 a[0:3], v[64:65], v[26:27], a[0:3] cbsz:4 abid:9
	global_load_dwordx4 v[34:37], v[84:85], off offset:2048
	global_load_dwordx4 v[38:41], v[84:85], off offset:2064
	v_mfma_f32_4x4x4_16b_f16 a[0:3], v[66:67], v[28:29], a[0:3] cbsz:4 abid:9
	global_load_dwordx4 v[26:29], v[80:81], off
	global_load_dwordx4 v[30:33], v[80:81], off offset:16
	s_waitcnt vmcnt(15)
	v_mfma_f32_4x4x4_16b_f16 a[0:3], v[64:65], v[76:77], a[0:3] cbsz:4 abid:10
	v_mul_hi_i32 v76, v91, s9
	global_load_dwordx4 v[50:53], v[80:81], off offset:2048
	global_load_dwordx4 v[54:57], v[80:81], off offset:2064
	v_mfma_f32_4x4x4_16b_f16 a[0:3], v[66:67], v[78:79], a[0:3] cbsz:4 abid:10
	s_load_dword s0, s[0:1], 0x1c
	v_cmp_eq_u32_e32 vcc, 0, v89
	s_waitcnt vmcnt(16)
	v_mfma_f32_4x4x4_16b_f16 a[0:3], v[64:65], v[72:73], a[0:3] cbsz:4 abid:11
	v_ashrrev_i32_e32 v72, 31, v76
	v_lshrrev_b32_e32 v96, 29, v72
	v_mfma_f32_4x4x4_16b_f16 a[0:3], v[66:67], v[74:75], a[0:3] cbsz:4 abid:11
	s_waitcnt vmcnt(15)
	s_nop 0
	v_mfma_f32_4x4x4_16b_f16 a[0:3], v[64:65], v[58:59], a[0:3] cbsz:4 abid:12
	v_mad_i64_i32 v[58:59], s[8:9], v91, s9, v[96:97]
	s_nop 0
	v_mfma_f32_4x4x4_16b_f16 a[0:3], v[66:67], v[60:61], a[0:3] cbsz:4 abid:12
	v_lshlrev_b64 v[58:59], 1, v[58:59]
	v_and_b32_e32 v58, -16, v58
	s_waitcnt vmcnt(14)
	v_mfma_f32_4x4x4_16b_f16 a[0:3], v[64:65], v[46:47], a[0:3] cbsz:4 abid:13
	v_lshl_add_u64 v[46:47], s[4:5], 0, v[58:59]
	v_lshl_add_u64 v[72:73], v[46:47], 0, v[62:63]
	v_mfma_f32_4x4x4_16b_f16 a[0:3], v[66:67], v[48:49], a[0:3] cbsz:4 abid:13
	s_waitcnt vmcnt(13)
	s_nop 0
	v_mfma_f32_4x4x4_16b_f16 a[0:3], v[64:65], v[42:43], a[0:3] cbsz:4 abid:14
	s_nop 1
	v_mfma_f32_4x4x4_16b_f16 a[0:3], v[66:67], v[44:45], a[0:3] cbsz:4 abid:14
	global_load_dwordx4 v[42:45], v[72:73], off
	global_load_dwordx4 v[46:49], v[72:73], off offset:16
	s_waitcnt vmcnt(14)
	v_mfma_f32_4x4x4_16b_f16 a[0:3], v[64:65], v[68:69], a[0:3] cbsz:4 abid:15
	global_load_dwordx4 v[58:61], v[72:73], off offset:2048
	global_load_dwordx4 v[62:65], v[72:73], off offset:2064
	v_mfma_f32_4x4x4_16b_f16 a[0:3], v[66:67], v[70:71], a[0:3] cbsz:4 abid:15
	v_cndmask_b32_e64 v70, 0, 1.0, vcc
	v_cmp_eq_u32_e32 vcc, 1, v89
	v_mov_b32_e32 v73, 0xff7fffff
	s_nop 1
	v_accvgpr_read_b32 v69, a1
	v_accvgpr_read_b32 v68, a0
	s_waitcnt lgkmcnt(0)
	v_pk_mul_f32 v[68:69], s[0:1], v[68:69] op_sel_hi:[0,1]
	v_accvgpr_read_b32 v67, a3
	v_accvgpr_read_b32 v66, a2
	v_pk_mul_f32 v[66:67], s[0:1], v[66:67] op_sel_hi:[0,1]
	v_mfma_f32_4x4x1_16b_f32 a[0:3], v68, v70, 0
	v_cndmask_b32_e64 v68, 0, 1.0, vcc
	v_cmp_eq_u32_e32 vcc, 2, v89
	s_nop 0
	v_mfma_f32_4x4x1_16b_f32 a[0:3], v69, v68, a[0:3]
	v_cndmask_b32_e64 v68, 0, 1.0, vcc
	v_cmp_eq_u32_e32 vcc, 3, v89
	s_nop 0
	v_mfma_f32_4x4x1_16b_f32 a[0:3], v66, v68, a[0:3]
	v_cndmask_b32_e64 v66, 0, 1.0, vcc
	s_nop 1
	v_mfma_f32_4x4x1_16b_f32 a[0:3], v67, v66, a[0:3]
	v_and_b32_e32 v66, -4, v90
	v_subrev_u32_e32 v67, s3, v66
	v_add_u32_e32 v68, 1, v67
	v_cvt_f32_i32_e32 v68, v68
	v_add_u32_e32 v69, 2, v67
	v_cvt_f32_i32_e32 v69, v69
	v_accvgpr_read_b32 v70, a0
	v_fma_f32 v68, v94, v68, v70
	v_accvgpr_read_b32 v70, a1
	v_fma_f32 v69, v94, v69, v70
	v_add_u32_e32 v70, 3, v67
	v_cvt_f32_i32_e32 v70, v70
	v_accvgpr_read_b32 v71, a2
	v_add_u32_e32 v67, 4, v67
	v_cmp_gt_i32_e32 vcc, s3, v66
	v_fma_f32 v71, v94, v70, v71
	v_max_f32_e32 v70, 0xff7fffff, v68
	v_cvt_f32_i32_e32 v67, v67
	v_cndmask_b32_e32 v70, v73, v70, vcc
	v_or_b32_e32 v73, 1, v66
	v_max_f32_e32 v74, v70, v69
	v_cmp_gt_i32_e64 s[0:1], s3, v73
	v_or_b32_e32 v66, 2, v66
	v_accvgpr_read_b32 v72, a3
	v_cndmask_b32_e64 v70, v70, v74, s[0:1]
	v_max_f32_e32 v73, v70, v71
	v_cmp_gt_i32_e64 s[4:5], s3, v66
	v_fmac_f32_e32 v72, v94, v67
	v_lshlrev_b32_e32 v67, 2, v0
	v_cndmask_b32_e64 v66, v70, v73, s[4:5]
	v_or_b32_e32 v70, 3, v90
	v_max_f32_e32 v73, v66, v72
	v_cmp_gt_i32_e64 s[8:9], s3, v70
	v_and_or_b32 v67, v67, 48, v89
	s_nop 0
	v_cndmask_b32_e64 v66, v66, v73, s[8:9]
	;;#ASMSTART
	v_nop
 v_nop
 v_max_f32_dpp v66, v66, v66 row_ror:4
	;;#ASMEND
	v_lshlrev_b32_e32 v73, 2, v67
	;;#ASMSTART
	v_nop
 v_nop
 v_max_f32_dpp v66, v66, v66 row_ror:8
	;;#ASMEND
	ds_bpermute_b32 v66, v73, v66
	s_waitcnt lgkmcnt(0)
	;;#ASMSTART
	v_nop
 v_nop
 v_max_f32_dpp v66, v66, v66 row_ror:4
	;;#ASMEND
	s_nop 0
	;;#ASMSTART
	v_nop
 v_nop
 v_max_f32_dpp v70, v66, v66 row_ror:8
	;;#ASMEND
	s_nop 0
	v_sub_f32_e32 v66, v68, v70
	v_mul_f32_e32 v66, 0x3fb8aa3b, v66
	v_sub_f32_e32 v67, v69, v70
	v_exp_f32_e32 v66, v66
	v_mul_f32_e32 v67, 0x3fb8aa3b, v67
	v_sub_f32_e32 v69, v71, v70
	v_exp_f32_e32 v67, v67
	;; [unrolled: 3-line block ×3, first 2 shown]
	v_mul_f32_e32 v71, 0x3fb8aa3b, v71
	v_exp_f32_e32 v71, v71
	v_cndmask_b32_e32 v66, 0, v66, vcc
	v_add_f32_e32 v68, 0, v66
	v_cndmask_b32_e64 v67, 0, v67, s[0:1]
	v_add_f32_e32 v72, v68, v67
	v_cndmask_b32_e64 v68, 0, v69, s[4:5]
	;; [unrolled: 2-line block ×3, first 2 shown]
	v_add_f32_e32 v71, v72, v69
	;;#ASMSTART
	v_nop
 v_nop
 v_add_f32_dpp v71, v71, v71 row_ror:4
	;;#ASMEND
	v_cmp_gt_u32_e32 vcc, 4, v1
	;;#ASMSTART
	v_nop
 v_nop
 v_add_f32_dpp v71, v71, v71 row_ror:8
	;;#ASMEND
	ds_bpermute_b32 v71, v73, v71
	s_waitcnt lgkmcnt(0)
	;;#ASMSTART
	v_nop
 v_nop
 v_add_f32_dpp v71, v71, v71 row_ror:4
	;;#ASMEND
	s_nop 0
	;;#ASMSTART
	v_nop
 v_nop
 v_add_f32_dpp v71, v71, v71 row_ror:8
	;;#ASMEND
	s_and_saveexec_b64 s[0:1], vcc
	s_cbranch_execz .LBB193_18
; %bb.17:
	v_mul_u32_u24_e32 v72, 20, v88
	v_lshl_add_u32 v72, v89, 2, v72
	v_add_u32_e32 v72, 0x1400, v72
	ds_write2_b32 v72, v70, v71 offset1:20
.LBB193_18:
	s_or_b64 exec, exec, s[0:1]
.LBB193_19:
	s_or_b64 exec, exec, s[22:23]
	s_waitcnt lgkmcnt(0)
	s_barrier
	s_load_dword s0, s[20:21], 0x8
	v_lshlrev_b32_e32 v71, 2, v89
	v_add_u32_e32 v71, 0x1400, v71
	ds_read2_b32 v[74:75], v71 offset1:5
	ds_read2_b32 v[76:77], v71 offset0:10 offset1:15
	s_mul_i32 s1, s2, s33
	s_waitcnt lgkmcnt(0)
	s_mul_i32 s1, s1, s0
	s_lshl_b32 s0, s1, 1
	s_mov_b32 s1, 0xff7fffff
	v_max3_f32 v72, v74, s1, v75
	v_max3_f32 v72, v72, v76, v77
	v_sub_f32_e32 v73, v74, v72
	v_sub_f32_e32 v74, v75, v72
	ds_read2_b32 v[78:79], v71 offset0:20 offset1:25
	v_mul_f32_e32 v73, 0x3fb8aa3b, v73
	v_mul_f32_e32 v74, 0x3fb8aa3b, v74
	v_exp_f32_e32 v73, v73
	v_exp_f32_e32 v80, v74
	ds_read2_b32 v[74:75], v71 offset0:30 offset1:35
	v_sub_f32_e32 v71, v76, v72
	v_mul_f32_e32 v71, 0x3fb8aa3b, v71
	v_sub_f32_e32 v76, v77, v72
	v_exp_f32_e32 v71, v71
	v_mul_f32_e32 v76, 0x3fb8aa3b, v76
	v_exp_f32_e32 v76, v76
	s_waitcnt lgkmcnt(1)
	v_fma_f32 v73, v73, v78, 0
	v_fmac_f32_e32 v73, v80, v79
	s_waitcnt lgkmcnt(0)
	v_fmac_f32_e32 v73, v71, v74
	v_fmac_f32_e32 v73, v76, v75
	v_cmp_gt_u32_e32 vcc, 2, v89
	s_and_saveexec_b64 s[2:3], vcc
	s_cbranch_execz .LBB193_21
; %bb.20:
	s_mov_b32 s1, 0
	s_lshl_b64 s[4:5], s[0:1], 2
	s_add_u32 s10, s12, s4
	s_mov_b32 s17, s1
	s_addc_u32 s11, s13, s5
	s_lshl_b64 s[8:9], s[16:17], 2
	s_add_u32 s10, s10, s8
	s_addc_u32 s11, s11, s9
	s_add_u32 s1, s14, s4
	s_addc_u32 s5, s15, s5
	v_or_b32_e32 v71, s34, v89
	s_add_u32 s4, s1, s8
	v_mul_lo_u32 v74, s33, v71
	v_mov_b32_e32 v75, 0
	s_addc_u32 s5, s5, s9
	v_lshlrev_b64 v[74:75], 2, v[74:75]
	v_lshl_add_u64 v[76:77], s[10:11], 0, v[74:75]
	v_lshl_add_u64 v[74:75], s[4:5], 0, v[74:75]
	global_store_dword v[74:75], v72, off
	global_store_dword v[76:77], v73, off
.LBB193_21:
	s_or_b64 exec, exec, s[2:3]
	v_lshlrev_b32_e32 v71, 3, v88
	s_and_saveexec_b64 s[2:3], s[6:7]
	s_xor_b64 s[2:3], exec, s[2:3]
	s_cbranch_execz .LBB193_23
; %bb.22:
	s_mov_b32 s4, 0
	s_mov_b32 s5, s4
	s_waitcnt vmcnt(14)
	v_mad_u32_u24 v4, v1, 40, v71
	v_mov_b64_e32 v[2:3], s[4:5]
	ds_write2st64_b64 v4, v[2:3], v[2:3] offset1:5
                                        ; implicit-def: $vgpr69
                                        ; implicit-def: $vgpr67
                                        ; implicit-def: $vgpr7
                                        ; implicit-def: $vgpr3
                                        ; implicit-def: $vgpr11
                                        ; implicit-def: $vgpr15
                                        ; implicit-def: $vgpr27
                                        ; implicit-def: $vgpr31
                                        ; implicit-def: $vgpr43
                                        ; implicit-def: $vgpr47
                                        ; implicit-def: $vgpr19
                                        ; implicit-def: $vgpr23
                                        ; implicit-def: $vgpr35
                                        ; implicit-def: $vgpr39
                                        ; implicit-def: $vgpr51
                                        ; implicit-def: $vgpr55
                                        ; implicit-def: $vgpr59
                                        ; implicit-def: $vgpr63
                                        ; implicit-def: $vgpr70
                                        ; implicit-def: $vgpr72
                                        ; implicit-def: $vgpr73
                                        ; implicit-def: $vgpr71
.LBB193_23:
	s_andn2_saveexec_b64 s[2:3], s[2:3]
	s_cbranch_execz .LBB193_25
; %bb.24:
	v_add_f32_e32 v73, 0x358637bd, v73
	v_div_scale_f32 v74, s[4:5], v73, v73, 1.0
	v_rcp_f32_e32 v75, v74
	v_sub_f32_e32 v70, v70, v72
	v_mul_f32_e32 v70, 0x3fb8aa3b, v70
	v_exp_f32_e32 v70, v70
	v_fma_f32 v72, -v74, v75, 1.0
	v_fmac_f32_e32 v75, v72, v75
	v_div_scale_f32 v72, vcc, 1.0, v73, 1.0
	v_mul_f32_e32 v76, v72, v75
	v_fma_f32 v77, -v74, v76, v72
	v_fmac_f32_e32 v76, v77, v75
	v_fma_f32 v72, -v74, v76, v72
	v_div_fmas_f32 v72, v72, v75, v76
	v_div_fixup_f32 v72, v72, v73, 1.0
	v_mul_f32_e32 v70, v70, v72
	v_pk_mul_f32 v[68:69], v[68:69], v[70:71] op_sel_hi:[1,0]
	v_pk_mul_f32 v[66:67], v[66:67], v[70:71] op_sel_hi:[1,0]
	v_cvt_f16_f32_e32 v68, v68
	v_cvt_f16_f32_e32 v66, v66
	;; [unrolled: 1-line block ×4, first 2 shown]
	v_pack_b32_f16 v66, v66, v67
	v_pack_b32_f16 v67, v68, v69
	s_waitcnt vmcnt(15)
	s_nop 0
	v_mfma_f32_4x4x4_16b_f16 a[0:3], v[66:67], v[6:7], 0 cbsz:4
	s_nop 1
	v_mfma_f32_4x4x4_16b_f16 a[0:3], v[66:67], v[8:9], a[0:3] cbsz:4 abid:1
	v_mad_u32_u24 v9, v1, 40, v71
	s_waitcnt vmcnt(13)
	v_mfma_f32_4x4x4_16b_f16 a[4:7], v[66:67], v[18:19], 0 cbsz:4
	v_mfma_f32_4x4x4_16b_f16 a[0:3], v[66:67], v[2:3], a[0:3] cbsz:4 abid:2
	s_nop 0
	v_mfma_f32_4x4x4_16b_f16 a[4:7], v[66:67], v[20:21], a[4:7] cbsz:4 abid:1
	v_mfma_f32_4x4x4_16b_f16 a[0:3], v[66:67], v[4:5], a[0:3] cbsz:4 abid:3
	s_waitcnt vmcnt(12)
	v_mfma_f32_4x4x4_16b_f16 a[4:7], v[66:67], v[22:23], a[4:7] cbsz:4 abid:2
	s_waitcnt vmcnt(11)
	v_mfma_f32_4x4x4_16b_f16 a[0:3], v[66:67], v[10:11], a[0:3] cbsz:4 abid:4
	v_mfma_f32_4x4x4_16b_f16 a[4:7], v[66:67], v[24:25], a[4:7] cbsz:4 abid:3
	s_nop 0
	v_mfma_f32_4x4x4_16b_f16 a[0:3], v[66:67], v[12:13], a[0:3] cbsz:4 abid:5
	s_waitcnt vmcnt(9)
	v_mfma_f32_4x4x4_16b_f16 a[4:7], v[66:67], v[34:35], a[4:7] cbsz:4 abid:4
	v_mfma_f32_4x4x4_16b_f16 a[0:3], v[66:67], v[14:15], a[0:3] cbsz:4 abid:6
	s_nop 0
	v_mfma_f32_4x4x4_16b_f16 a[4:7], v[66:67], v[36:37], a[4:7] cbsz:4 abid:5
	v_mfma_f32_4x4x4_16b_f16 a[0:3], v[66:67], v[16:17], a[0:3] cbsz:4 abid:7
	s_waitcnt vmcnt(8)
	v_mfma_f32_4x4x4_16b_f16 a[4:7], v[66:67], v[38:39], a[4:7] cbsz:4 abid:6
	s_waitcnt vmcnt(7)
	v_mfma_f32_4x4x4_16b_f16 a[0:3], v[66:67], v[26:27], a[0:3] cbsz:4 abid:8
	v_mfma_f32_4x4x4_16b_f16 a[4:7], v[66:67], v[40:41], a[4:7] cbsz:4 abid:7
	s_nop 0
	v_mfma_f32_4x4x4_16b_f16 a[0:3], v[66:67], v[28:29], a[0:3] cbsz:4 abid:9
	s_waitcnt vmcnt(5)
	v_mfma_f32_4x4x4_16b_f16 a[4:7], v[66:67], v[50:51], a[4:7] cbsz:4 abid:8
	;; [unrolled: 13-line block ×3, first 2 shown]
	v_mfma_f32_4x4x4_16b_f16 a[0:3], v[66:67], v[46:47], a[0:3] cbsz:4 abid:14
	s_nop 1
	v_mfma_f32_4x4x4_16b_f16 a[0:3], v[66:67], v[48:49], a[0:3] cbsz:4 abid:15
	s_nop 4
	v_accvgpr_read_b32 v2, a0
	v_accvgpr_read_b32 v3, a1
	;; [unrolled: 1-line block ×4, first 2 shown]
	v_mfma_f32_4x4x4_16b_f16 a[0:3], v[66:67], v[60:61], a[4:7] cbsz:4 abid:13
	v_cvt_f16_f32_e32 v2, v2
	v_cvt_f16_f32_e32 v3, v3
	s_waitcnt vmcnt(0)
	v_mfma_f32_4x4x4_16b_f16 a[0:3], v[66:67], v[62:63], a[0:3] cbsz:4 abid:14
	v_pack_b32_f16 v2, v2, v3
	s_nop 0
	v_mfma_f32_4x4x4_16b_f16 a[0:3], v[66:67], v[64:65], a[0:3] cbsz:4 abid:15
	v_cvt_f16_f32_e32 v3, v4
	v_cvt_f16_f32_e32 v4, v5
	v_pack_b32_f16 v3, v3, v4
	s_nop 1
	v_accvgpr_read_b32 v5, a0
	v_accvgpr_read_b32 v6, a1
	;; [unrolled: 1-line block ×4, first 2 shown]
	v_cvt_f16_f32_e32 v5, v5
	v_cvt_f16_f32_e32 v6, v6
	;; [unrolled: 1-line block ×4, first 2 shown]
	v_pack_b32_f16 v4, v5, v6
	v_pack_b32_f16 v5, v7, v8
	ds_write2st64_b64 v9, v[2:3], v[4:5] offset1:5
.LBB193_25:
	s_or_b64 exec, exec, s[2:3]
	v_cmp_gt_u32_e32 vcc, 64, v0
	s_waitcnt lgkmcnt(0)
	s_barrier
	s_and_saveexec_b64 s[2:3], vcc
	s_cbranch_execz .LBB193_27
; %bb.26:
	s_waitcnt vmcnt(15)
	v_mul_u32_u24_e32 v6, 40, v1
	s_waitcnt vmcnt(14)
	ds_read2_b64 v[2:5], v6 offset1:1
	s_mov_b32 s1, 0
	s_waitcnt lgkmcnt(0)
	v_mov_b32_e32 v3, 0xa00
	s_lshl_b32 s0, s0, 7
	ds_read2_b64 v[6:9], v6 offset0:2 offset1:3
	v_mad_u32_u24 v3, v1, 40, v3
	v_pk_add_f16 v2, v2, 0
	s_lshl_b64 s[2:3], s[0:1], 1
	s_waitcnt lgkmcnt(0)
	v_pk_add_f16 v7, v2, v4
	v_mov_b32_e32 v9, 0xa10
	ds_read2_b64 v[2:5], v3 offset1:1
	s_add_u32 s2, s18, s2
	v_mad_u32_u24 v1, v1, 40, v9
	s_waitcnt vmcnt(11)
	ds_read2_b64 v[10:13], v1 offset1:1
	s_addc_u32 s3, s19, s3
	s_lshl_b32 s0, s16, 7
	s_lshl_b64 s[0:1], s[0:1], 1
	s_add_u32 s0, s2, s0
	v_pk_add_f16 v1, v7, v6
	s_addc_u32 s1, s3, s1
	s_lshl_b32 s2, s33, 7
	v_pk_add_f16 v6, v1, v8
	s_waitcnt lgkmcnt(1)
	v_pk_add_f16 v1, v2, 0
	s_mul_i32 s3, s2, s34
	v_pk_add_f16 v1, v1, v4
	v_or_b32_e32 v2, s3, v0
	v_mov_b32_e32 v3, 0
	s_add_i32 s3, s3, s2
	s_waitcnt lgkmcnt(0)
	v_pk_add_f16 v1, v1, v10
	v_lshl_add_u64 v[4:5], v[2:3], 1, s[0:1]
	v_or_b32_e32 v2, s3, v0
	v_pk_add_f16 v7, v1, v12
	v_lshl_add_u64 v[0:1], v[2:3], 1, s[0:1]
	global_store_short v[4:5], v6, off
	global_store_short_d16_hi v[0:1], v6, off
	global_store_short v[4:5], v7, off offset:128
	global_store_short_d16_hi v[0:1], v7, off offset:128
.LBB193_27:
	s_endpgm
	.section	.rodata,"a",@progbits
	.p2align	6, 0x0
	.amdhsa_kernel _Z38paged_attention_ll4mi_QKV_mfma4_kernelIDF16_DF16_LN4vllm18Fp8KVCacheDataTypeE0EhLi16ELi128ELi256ELb1ELi2EEvPKT_PKT0_S7_ifPKiS9_S9_iPKfiiiPfSC_PS2_PT2_iSB_SB_
		.amdhsa_group_segment_fixed_size 5280
		.amdhsa_private_segment_fixed_size 0
		.amdhsa_kernarg_size 400
		.amdhsa_user_sgpr_count 2
		.amdhsa_user_sgpr_dispatch_ptr 0
		.amdhsa_user_sgpr_queue_ptr 0
		.amdhsa_user_sgpr_kernarg_segment_ptr 1
		.amdhsa_user_sgpr_dispatch_id 0
		.amdhsa_user_sgpr_kernarg_preload_length 0
		.amdhsa_user_sgpr_kernarg_preload_offset 0
		.amdhsa_user_sgpr_private_segment_size 0
		.amdhsa_uses_dynamic_stack 0
		.amdhsa_enable_private_segment 0
		.amdhsa_system_sgpr_workgroup_id_x 1
		.amdhsa_system_sgpr_workgroup_id_y 1
		.amdhsa_system_sgpr_workgroup_id_z 1
		.amdhsa_system_sgpr_workgroup_info 0
		.amdhsa_system_vgpr_workitem_id 0
		.amdhsa_next_free_vgpr 108
		.amdhsa_next_free_sgpr 40
		.amdhsa_accum_offset 100
		.amdhsa_reserve_vcc 1
		.amdhsa_float_round_mode_32 0
		.amdhsa_float_round_mode_16_64 0
		.amdhsa_float_denorm_mode_32 3
		.amdhsa_float_denorm_mode_16_64 3
		.amdhsa_dx10_clamp 1
		.amdhsa_ieee_mode 1
		.amdhsa_fp16_overflow 0
		.amdhsa_tg_split 0
		.amdhsa_exception_fp_ieee_invalid_op 0
		.amdhsa_exception_fp_denorm_src 0
		.amdhsa_exception_fp_ieee_div_zero 0
		.amdhsa_exception_fp_ieee_overflow 0
		.amdhsa_exception_fp_ieee_underflow 0
		.amdhsa_exception_fp_ieee_inexact 0
		.amdhsa_exception_int_div_zero 0
	.end_amdhsa_kernel
	.section	.text._Z38paged_attention_ll4mi_QKV_mfma4_kernelIDF16_DF16_LN4vllm18Fp8KVCacheDataTypeE0EhLi16ELi128ELi256ELb1ELi2EEvPKT_PKT0_S7_ifPKiS9_S9_iPKfiiiPfSC_PS2_PT2_iSB_SB_,"axG",@progbits,_Z38paged_attention_ll4mi_QKV_mfma4_kernelIDF16_DF16_LN4vllm18Fp8KVCacheDataTypeE0EhLi16ELi128ELi256ELb1ELi2EEvPKT_PKT0_S7_ifPKiS9_S9_iPKfiiiPfSC_PS2_PT2_iSB_SB_,comdat
.Lfunc_end193:
	.size	_Z38paged_attention_ll4mi_QKV_mfma4_kernelIDF16_DF16_LN4vllm18Fp8KVCacheDataTypeE0EhLi16ELi128ELi256ELb1ELi2EEvPKT_PKT0_S7_ifPKiS9_S9_iPKfiiiPfSC_PS2_PT2_iSB_SB_, .Lfunc_end193-_Z38paged_attention_ll4mi_QKV_mfma4_kernelIDF16_DF16_LN4vllm18Fp8KVCacheDataTypeE0EhLi16ELi128ELi256ELb1ELi2EEvPKT_PKT0_S7_ifPKiS9_S9_iPKfiiiPfSC_PS2_PT2_iSB_SB_
                                        ; -- End function
	.section	.AMDGPU.csdata,"",@progbits
; Kernel info:
; codeLenInByte = 3848
; NumSgprs: 46
; NumVgprs: 100
; NumAgprs: 8
; TotalNumVgprs: 108
; ScratchSize: 0
; MemoryBound: 0
; FloatMode: 240
; IeeeMode: 1
; LDSByteSize: 5280 bytes/workgroup (compile time only)
; SGPRBlocks: 5
; VGPRBlocks: 13
; NumSGPRsForWavesPerEU: 46
; NumVGPRsForWavesPerEU: 108
; AccumOffset: 100
; Occupancy: 4
; WaveLimiterHint : 1
; COMPUTE_PGM_RSRC2:SCRATCH_EN: 0
; COMPUTE_PGM_RSRC2:USER_SGPR: 2
; COMPUTE_PGM_RSRC2:TRAP_HANDLER: 0
; COMPUTE_PGM_RSRC2:TGID_X_EN: 1
; COMPUTE_PGM_RSRC2:TGID_Y_EN: 1
; COMPUTE_PGM_RSRC2:TGID_Z_EN: 1
; COMPUTE_PGM_RSRC2:TIDIG_COMP_CNT: 0
; COMPUTE_PGM_RSRC3_GFX90A:ACCUM_OFFSET: 24
; COMPUTE_PGM_RSRC3_GFX90A:TG_SPLIT: 0
	.section	.text._Z38paged_attention_ll4mi_QKV_mfma4_kernelIDF16_DF16_LN4vllm18Fp8KVCacheDataTypeE0EhLi16ELi128ELi256ELb1ELi3EEvPKT_PKT0_S7_ifPKiS9_S9_iPKfiiiPfSC_PS2_PT2_iSB_SB_,"axG",@progbits,_Z38paged_attention_ll4mi_QKV_mfma4_kernelIDF16_DF16_LN4vllm18Fp8KVCacheDataTypeE0EhLi16ELi128ELi256ELb1ELi3EEvPKT_PKT0_S7_ifPKiS9_S9_iPKfiiiPfSC_PS2_PT2_iSB_SB_,comdat
	.protected	_Z38paged_attention_ll4mi_QKV_mfma4_kernelIDF16_DF16_LN4vllm18Fp8KVCacheDataTypeE0EhLi16ELi128ELi256ELb1ELi3EEvPKT_PKT0_S7_ifPKiS9_S9_iPKfiiiPfSC_PS2_PT2_iSB_SB_ ; -- Begin function _Z38paged_attention_ll4mi_QKV_mfma4_kernelIDF16_DF16_LN4vllm18Fp8KVCacheDataTypeE0EhLi16ELi128ELi256ELb1ELi3EEvPKT_PKT0_S7_ifPKiS9_S9_iPKfiiiPfSC_PS2_PT2_iSB_SB_
	.globl	_Z38paged_attention_ll4mi_QKV_mfma4_kernelIDF16_DF16_LN4vllm18Fp8KVCacheDataTypeE0EhLi16ELi128ELi256ELb1ELi3EEvPKT_PKT0_S7_ifPKiS9_S9_iPKfiiiPfSC_PS2_PT2_iSB_SB_
	.p2align	8
	.type	_Z38paged_attention_ll4mi_QKV_mfma4_kernelIDF16_DF16_LN4vllm18Fp8KVCacheDataTypeE0EhLi16ELi128ELi256ELb1ELi3EEvPKT_PKT0_S7_ifPKiS9_S9_iPKfiiiPfSC_PS2_PT2_iSB_SB_,@function
_Z38paged_attention_ll4mi_QKV_mfma4_kernelIDF16_DF16_LN4vllm18Fp8KVCacheDataTypeE0EhLi16ELi128ELi256ELb1ELi3EEvPKT_PKT0_S7_ifPKiS9_S9_iPKfiiiPfSC_PS2_PT2_iSB_SB_: ; @_Z38paged_attention_ll4mi_QKV_mfma4_kernelIDF16_DF16_LN4vllm18Fp8KVCacheDataTypeE0EhLi16ELi128ELi256ELb1ELi3EEvPKT_PKT0_S7_ifPKiS9_S9_iPKfiiiPfSC_PS2_PT2_iSB_SB_
; %bb.0:
	s_load_dwordx2 s[8:9], s[0:1], 0x30
	s_mov_b32 s16, s3
	s_mov_b64 s[6:7], 0
	s_waitcnt lgkmcnt(0)
	s_cmp_lg_u64 s[8:9], 0
	s_cselect_b64 s[10:11], -1, 0
	s_and_b64 vcc, exec, s[10:11]
	s_cbranch_vccz .LBB194_10
; %bb.1:
	s_add_i32 s12, s2, 1
	s_mov_b32 s13, 0
	s_lshl_b64 s[14:15], s[12:13], 2
	s_add_u32 s14, s8, s14
	s_mov_b32 s3, s13
	s_addc_u32 s15, s9, s15
	s_lshl_b64 s[12:13], s[2:3], 2
	s_add_u32 s12, s8, s12
	s_addc_u32 s13, s9, s13
	s_load_dword s5, s[14:15], 0x0
	s_load_dword s17, s[12:13], 0x0
	s_waitcnt lgkmcnt(0)
	s_sub_i32 s5, s5, s17
	s_cmp_eq_u32 s5, 1
	s_cselect_b64 s[12:13], -1, 0
	s_andn2_b64 vcc, exec, s[6:7]
	s_cbranch_vccnz .LBB194_3
.LBB194_2:
	s_mov_b32 s3, 0
	s_mov_b64 s[12:13], -1
.LBB194_3:
	s_andn2_b64 vcc, exec, s[12:13]
	s_cbranch_vccnz .LBB194_27
; %bb.4:
	s_load_dword s5, s[0:1], 0x9c
	s_load_dwordx2 s[6:7], s[0:1], 0x28
	s_add_u32 s20, s0, 0x90
	s_addc_u32 s21, s1, 0
	s_lshl_b64 s[24:25], s[2:3], 2
	s_waitcnt lgkmcnt(0)
	s_and_b32 s5, s5, 0xffff
	s_add_u32 s6, s6, s24
	s_addc_u32 s7, s7, s25
	s_load_dword s3, s[6:7], 0x0
	s_mul_i32 s5, s16, s5
	s_waitcnt lgkmcnt(0)
	s_cmp_ge_i32 s5, s3
	s_cbranch_scc1 .LBB194_27
; %bb.5:
	v_and_b32_e32 v1, 0xc0, v0
	v_add_u32_e32 v2, s5, v1
	v_lshrrev_b32_e32 v86, 6, v0
	v_cmp_le_i32_e64 s[6:7], s3, v2
                                        ; implicit-def: $sgpr26
                                        ; implicit-def: $sgpr17
	s_and_saveexec_b64 s[12:13], s[6:7]
	s_xor_b64 s[12:13], exec, s[12:13]
	s_cbranch_execz .LBB194_7
; %bb.6:
	v_mul_u32_u24_e32 v1, 20, v86
	v_or_b32_e32 v1, 0x1400, v1
	v_mov_b32_e32 v2, 0x1450
	v_mov_b32_e32 v3, 0xff7fffff
	v_mad_u32_u24 v2, v86, 20, v2
	ds_write2_b32 v1, v3, v3 offset1:1
	v_mov_b32_e32 v1, 0
	ds_write2_b32 v2, v1, v1 offset1:1
	v_mov_b32_e32 v2, 0x1408
	s_mov_b32 s17, 0xff7fffff
	s_mov_b32 s26, 0
	v_mad_u32_u24 v2, v86, 20, v2
	v_mov_b32_e32 v4, 0x1458
	v_mad_u32_u24 v4, v86, 20, v4
	ds_write2_b32 v2, v3, v3 offset1:1
	ds_write2_b32 v4, v1, v1 offset1:1
                                        ; implicit-def: $vgpr2
.LBB194_7:
	s_or_saveexec_b64 s[22:23], s[12:13]
	s_load_dwordx2 s[18:19], s[0:1], 0x68
	s_load_dwordx4 s[12:15], s[0:1], 0x58
	s_load_dword s33, s[20:21], 0x4
	v_and_b32_e32 v1, 63, v0
	v_and_b32_e32 v87, 3, v0
	s_mul_i32 s34, s4, 3
	v_mov_b32_e32 v69, s26
	v_mov_b32_e32 v70, s17
	;; [unrolled: 1-line block ×5, first 2 shown]
                                        ; implicit-def: $vgpr7
                                        ; implicit-def: $vgpr3
                                        ; implicit-def: $vgpr11
                                        ; implicit-def: $vgpr15
                                        ; implicit-def: $vgpr27
                                        ; implicit-def: $vgpr31
                                        ; implicit-def: $vgpr43
                                        ; implicit-def: $vgpr47
                                        ; implicit-def: $vgpr19
                                        ; implicit-def: $vgpr23
                                        ; implicit-def: $vgpr35
                                        ; implicit-def: $vgpr39
                                        ; implicit-def: $vgpr51
                                        ; implicit-def: $vgpr55
                                        ; implicit-def: $vgpr59
                                        ; implicit-def: $vgpr63
	s_xor_b64 exec, exec, s[22:23]
	s_cbranch_execz .LBB194_19
; %bb.8:
	s_add_i32 s28, s3, 15
	s_ashr_i32 s29, s28, 31
	s_lshr_b32 s29, s29, 28
	v_add_u32_e32 v88, s5, v0
	s_add_i32 s28, s28, s29
	v_ashrrev_i32_e32 v3, 31, v88
	s_load_dwordx2 s[26:27], s[0:1], 0x20
	s_load_dword s17, s[0:1], 0x38
	s_ashr_i32 s28, s28, 4
	v_lshrrev_b32_e32 v3, 28, v3
	s_add_i32 s30, s28, -1
	v_add_u32_e32 v3, v88, v3
	v_ashrrev_i32_e32 v3, 4, v3
	v_mov_b32_e32 v4, s30
	v_cmp_gt_i32_e32 vcc, s3, v88
	s_waitcnt lgkmcnt(0)
	s_mul_i32 s28, s2, s17
	s_mov_b32 s29, 0
	v_cndmask_b32_e32 v4, v4, v3, vcc
	v_ashrrev_i32_e32 v3, 31, v2
	v_lshrrev_b32_e32 v3, 28, v3
	v_add_u32_e32 v2, v2, v3
	s_lshl_b64 s[28:29], s[28:29], 2
	v_ashrrev_i32_e32 v12, 4, v2
	s_add_u32 s26, s26, s28
	v_min_i32_e32 v2, s30, v12
	s_addc_u32 s27, s27, s29
	v_ashrrev_i32_e32 v3, 31, v2
	v_lshl_add_u64 v[6:7], v[2:3], 2, s[26:27]
	v_add_u32_e32 v2, 1, v12
	v_min_i32_e32 v2, s30, v2
	v_ashrrev_i32_e32 v3, 31, v2
	v_lshl_add_u64 v[8:9], v[2:3], 2, s[26:27]
	v_add_u32_e32 v2, 2, v12
	v_min_i32_e32 v2, s30, v2
	v_ashrrev_i32_e32 v3, 31, v2
	v_lshl_add_u64 v[10:11], v[2:3], 2, s[26:27]
	v_add_u32_e32 v2, 3, v12
	v_ashrrev_i32_e32 v5, 31, v4
	v_min_i32_e32 v2, s30, v2
	v_lshl_add_u64 v[4:5], v[4:5], 2, s[26:27]
	v_ashrrev_i32_e32 v3, 31, v2
	v_lshl_add_u64 v[12:13], v[2:3], 2, s[26:27]
	global_load_dword v3, v[4:5], off
	global_load_dword v2, v[6:7], off
	;; [unrolled: 1-line block ×5, first 2 shown]
	s_load_dwordx2 s[26:27], s[0:1], 0x8
	s_andn2_b64 vcc, exec, s[10:11]
	s_cbranch_vccnz .LBB194_11
; %bb.9:
	s_add_u32 s8, s8, s24
	s_addc_u32 s9, s9, s25
	s_load_dword s5, s[8:9], 0x0
	s_branch .LBB194_12
.LBB194_10:
	s_mov_b64 s[12:13], 0
	s_branch .LBB194_2
.LBB194_11:
	s_mov_b32 s5, s2
.LBB194_12:
	s_load_dwordx2 s[24:25], s[0:1], 0x10
	s_load_dwordx4 s[8:11], s[0:1], 0x48
	v_cmp_ne_u32_e32 vcc, 3, v87
	s_mov_b32 s29, 0
	v_mov_b32_e32 v83, 0
	v_mov_b32_e32 v58, 0
	;; [unrolled: 1-line block ×5, first 2 shown]
	s_and_saveexec_b64 s[30:31], vcc
	s_cbranch_execz .LBB194_14
; %bb.13:
	s_load_dwordx2 s[36:37], s[0:1], 0x0
	s_waitcnt lgkmcnt(0)
	s_ashr_i32 s11, s8, 31
	s_mul_hi_u32 s17, s5, s8
	s_mul_i32 s11, s5, s11
	s_add_i32 s39, s17, s11
	s_mul_i32 s38, s5, s8
	s_lshl_b64 s[38:39], s[38:39], 1
	s_add_u32 s5, s36, s38
	s_mul_i32 s28, s4, 0x180
	s_addc_u32 s8, s37, s39
	s_lshl_b64 s[36:37], s[28:29], 1
	v_lshlrev_b32_e32 v4, 2, v1
	s_add_u32 s36, s5, s36
	v_and_b32_e32 v4, 0xf0, v4
	s_addc_u32 s37, s8, s37
	v_lshl_or_b32 v4, v87, 8, v4
	global_load_dwordx4 v[58:61], v4, s[36:37]
.LBB194_14:
	s_or_b64 exec, exec, s[30:31]
	s_waitcnt lgkmcnt(0)
	s_mul_i32 s28, s4, s10
	s_lshl_b64 s[4:5], s[28:29], 1
	s_add_u32 s10, s4, s26
	s_waitcnt vmcnt(4)
	v_mad_i64_i32 v[4:5], s[30:31], v3, s9, 0
	s_addc_u32 s11, s5, s27
	v_and_b32_e32 v3, 15, v0
	v_lshl_add_u64 v[4:5], v[4:5], 1, s[10:11]
	v_lshlrev_b32_e32 v82, 4, v3
	v_lshl_add_u64 v[4:5], v[4:5], 0, v[82:83]
	global_load_dwordx4 v[18:21], v[4:5], off
	global_load_dwordx4 v[78:81], v[4:5], off offset:256
	global_load_dwordx4 v[38:41], v[4:5], off offset:512
	global_load_dwordx4 v[14:17], v[4:5], off offset:768
	global_load_dwordx4 v[10:13], v[4:5], off offset:1024
	global_load_dwordx4 v[34:37], v[4:5], off offset:1280
	global_load_dwordx4 v[74:77], v[4:5], off offset:1536
	global_load_dwordx4 v[54:57], v[4:5], off offset:1792
	global_load_dwordx4 v[30:33], v[4:5], off offset:2048
	global_load_dwordx4 v[26:29], v[4:5], off offset:2304
	global_load_dwordx4 v[50:53], v[4:5], off offset:2560
	global_load_dwordx4 v[70:73], v[4:5], off offset:2816
	global_load_dwordx4 v[66:69], v[4:5], off offset:3072
	global_load_dwordx4 v[46:49], v[4:5], off offset:3328
	global_load_dwordx4 v[42:45], v[4:5], off offset:3584
	global_load_dwordx4 v[62:65], v[4:5], off offset:3840
	v_mov_b32_e32 v85, 1.0
	v_mov_b32_e32 v84, 0
	s_and_saveexec_b64 s[10:11], vcc
	s_cbranch_execz .LBB194_16
; %bb.15:
	s_load_dwordx2 s[26:27], s[0:1], 0x40
	v_add_u32_e32 v84, s34, v87
	v_mov_b32_e32 v85, 0
	s_waitcnt lgkmcnt(0)
	v_lshl_add_u64 v[4:5], v[84:85], 2, s[26:27]
	global_load_dword v84, v[4:5], off
.LBB194_16:
	s_or_b64 exec, exec, s[10:11]
	s_waitcnt vmcnt(15)
	v_mfma_f32_4x4x4_16b_f16 a[0:3], v[58:59], v[18:19], 0 cbsz:4
	s_load_dword s0, s[0:1], 0x1c
	v_mul_hi_i32 v3, v2, s9
	v_mfma_f32_4x4x4_16b_f16 a[0:3], v[60:61], v[20:21], a[0:3] cbsz:4
	v_ashrrev_i32_e32 v3, 31, v3
	v_lshrrev_b32_e32 v92, 29, v3
	s_waitcnt vmcnt(14)
	v_mfma_f32_4x4x4_16b_f16 a[0:3], v[58:59], v[78:79], a[0:3] cbsz:4 abid:1
	v_mul_hi_i32 v78, v91, s9
	v_mov_b32_e32 v93, 0
	v_mfma_f32_4x4x4_16b_f16 a[0:3], v[60:61], v[80:81], a[0:3] cbsz:4 abid:1
	v_ashrrev_i32_e32 v78, 31, v78
	v_mad_i64_i32 v[2:3], s[10:11], v2, s9, v[92:93]
	s_waitcnt vmcnt(13)
	v_mfma_f32_4x4x4_16b_f16 a[0:3], v[58:59], v[38:39], a[0:3] cbsz:4 abid:2
	v_lshrrev_b32_e32 v92, 29, v78
	v_mad_i64_i32 v[38:39], s[10:11], v91, s9, v[92:93]
	v_mfma_f32_4x4x4_16b_f16 a[0:3], v[60:61], v[40:41], a[0:3] cbsz:4 abid:2
	v_cmp_eq_u32_e32 vcc, 0, v87
	s_add_u32 s4, s24, s4
	s_waitcnt vmcnt(12)
	v_mfma_f32_4x4x4_16b_f16 a[0:3], v[58:59], v[14:15], a[0:3] cbsz:4 abid:3
	v_lshlrev_b64 v[2:3], 1, v[2:3]
	v_lshlrev_b64 v[14:15], 1, v[38:39]
	v_mfma_f32_4x4x4_16b_f16 a[0:3], v[60:61], v[16:17], a[0:3] cbsz:4 abid:3
	s_addc_u32 s5, s25, s5
	v_and_b32_e32 v2, -16, v2
	s_waitcnt vmcnt(11)
	v_mfma_f32_4x4x4_16b_f16 a[0:3], v[58:59], v[10:11], a[0:3] cbsz:4 abid:4
	v_and_b32_e32 v14, -16, v14
	v_lshl_add_u64 v[2:3], s[4:5], 0, v[2:3]
	v_mfma_f32_4x4x4_16b_f16 a[0:3], v[60:61], v[12:13], a[0:3] cbsz:4 abid:4
	v_lshlrev_b32_e32 v82, 5, v1
	v_lshl_add_u64 v[10:11], s[4:5], 0, v[14:15]
	s_waitcnt vmcnt(10)
	v_mfma_f32_4x4x4_16b_f16 a[0:3], v[58:59], v[34:35], a[0:3] cbsz:4 abid:5
	v_lshl_add_u64 v[94:95], v[2:3], 0, v[82:83]
	v_lshl_add_u64 v[78:79], v[10:11], 0, v[82:83]
	v_mfma_f32_4x4x4_16b_f16 a[0:3], v[60:61], v[36:37], a[0:3] cbsz:4 abid:5
	global_load_dwordx4 v[6:9], v[94:95], off
	global_load_dwordx4 v[2:5], v[94:95], off offset:16
	s_waitcnt vmcnt(11)
	v_mfma_f32_4x4x4_16b_f16 a[0:3], v[58:59], v[74:75], a[0:3] cbsz:4 abid:6
	v_mul_hi_i32 v74, v90, s9
	v_ashrrev_i32_e32 v74, 31, v74
	v_mfma_f32_4x4x4_16b_f16 a[0:3], v[60:61], v[76:77], a[0:3] cbsz:4 abid:6
	v_lshrrev_b32_e32 v92, 29, v74
	global_load_dwordx4 v[18:21], v[94:95], off offset:2048
	global_load_dwordx4 v[22:25], v[94:95], off offset:2064
	s_waitcnt vmcnt(12)
	v_mfma_f32_4x4x4_16b_f16 a[0:3], v[58:59], v[54:55], a[0:3] cbsz:4 abid:7
	v_mad_i64_i32 v[54:55], s[10:11], v90, s9, v[92:93]
	s_nop 0
	v_mfma_f32_4x4x4_16b_f16 a[0:3], v[60:61], v[56:57], a[0:3] cbsz:4 abid:7
	global_load_dwordx4 v[10:13], v[78:79], off
	global_load_dwordx4 v[14:17], v[78:79], off offset:16
	s_waitcnt vmcnt(13)
	v_mfma_f32_4x4x4_16b_f16 a[0:3], v[58:59], v[30:31], a[0:3] cbsz:4 abid:8
	v_lshlrev_b64 v[30:31], 1, v[54:55]
	v_and_b32_e32 v30, -16, v30
	v_mfma_f32_4x4x4_16b_f16 a[0:3], v[60:61], v[32:33], a[0:3] cbsz:4 abid:8
	global_load_dwordx4 v[34:37], v[78:79], off offset:2048
	global_load_dwordx4 v[38:41], v[78:79], off offset:2064
	s_waitcnt vmcnt(14)
	v_mfma_f32_4x4x4_16b_f16 a[0:3], v[58:59], v[26:27], a[0:3] cbsz:4 abid:9
	v_lshl_add_u64 v[26:27], s[4:5], 0, v[30:31]
	v_lshl_add_u64 v[74:75], v[26:27], 0, v[82:83]
	v_mfma_f32_4x4x4_16b_f16 a[0:3], v[60:61], v[28:29], a[0:3] cbsz:4 abid:9
	global_load_dwordx4 v[26:29], v[74:75], off
	global_load_dwordx4 v[30:33], v[74:75], off offset:16
	s_waitcnt vmcnt(15)
	v_mfma_f32_4x4x4_16b_f16 a[0:3], v[58:59], v[50:51], a[0:3] cbsz:4 abid:10
	s_nop 1
	v_mfma_f32_4x4x4_16b_f16 a[0:3], v[60:61], v[52:53], a[0:3] cbsz:4 abid:10
	global_load_dwordx4 v[50:53], v[74:75], off offset:2048
	global_load_dwordx4 v[54:57], v[74:75], off offset:2064
	s_waitcnt vmcnt(16)
	v_mfma_f32_4x4x4_16b_f16 a[0:3], v[58:59], v[70:71], a[0:3] cbsz:4 abid:11
	v_mul_hi_i32 v70, v89, s9
	v_ashrrev_i32_e32 v70, 31, v70
	v_mfma_f32_4x4x4_16b_f16 a[0:3], v[60:61], v[72:73], a[0:3] cbsz:4 abid:11
	v_lshrrev_b32_e32 v92, 29, v70
	v_mov_b32_e32 v73, 0xff7fffff
	s_waitcnt vmcnt(15)
	v_mfma_f32_4x4x4_16b_f16 a[0:3], v[58:59], v[66:67], a[0:3] cbsz:4 abid:12
	v_mad_i64_i32 v[66:67], s[8:9], v89, s9, v[92:93]
	s_nop 0
	v_mfma_f32_4x4x4_16b_f16 a[0:3], v[60:61], v[68:69], a[0:3] cbsz:4 abid:12
	s_waitcnt vmcnt(14)
	s_nop 0
	v_mfma_f32_4x4x4_16b_f16 a[0:3], v[58:59], v[46:47], a[0:3] cbsz:4 abid:13
	v_lshlrev_b64 v[46:47], 1, v[66:67]
	v_and_b32_e32 v46, -16, v46
	v_mfma_f32_4x4x4_16b_f16 a[0:3], v[60:61], v[48:49], a[0:3] cbsz:4 abid:13
	s_waitcnt vmcnt(13)
	s_nop 0
	v_mfma_f32_4x4x4_16b_f16 a[0:3], v[58:59], v[42:43], a[0:3] cbsz:4 abid:14
	v_lshl_add_u64 v[42:43], s[4:5], 0, v[46:47]
	v_lshl_add_u64 v[66:67], v[42:43], 0, v[82:83]
	v_mfma_f32_4x4x4_16b_f16 a[0:3], v[60:61], v[44:45], a[0:3] cbsz:4 abid:14
	global_load_dwordx4 v[42:45], v[66:67], off
	global_load_dwordx4 v[46:49], v[66:67], off offset:16
	s_waitcnt vmcnt(14)
	v_mfma_f32_4x4x4_16b_f16 a[0:3], v[58:59], v[62:63], a[0:3] cbsz:4 abid:15
	s_nop 1
	v_mfma_f32_4x4x4_16b_f16 a[0:3], v[60:61], v[64:65], a[0:3] cbsz:4 abid:15
	s_nop 4
	v_accvgpr_read_b32 v61, a1
	v_accvgpr_read_b32 v60, a0
	s_waitcnt lgkmcnt(0)
	v_pk_mul_f32 v[60:61], s[0:1], v[60:61] op_sel_hi:[0,1]
	v_accvgpr_read_b32 v59, a3
	v_accvgpr_read_b32 v58, a2
	v_pk_mul_f32 v[68:69], s[0:1], v[58:59] op_sel_hi:[0,1]
	v_cndmask_b32_e64 v58, 0, 1.0, vcc
	v_cmp_eq_u32_e32 vcc, 1, v87
	s_nop 0
	v_mfma_f32_4x4x1_16b_f32 a[0:3], v60, v58, 0
	v_cndmask_b32_e64 v58, 0, 1.0, vcc
	v_cmp_eq_u32_e32 vcc, 2, v87
	s_nop 0
	v_mfma_f32_4x4x1_16b_f32 a[0:3], v61, v58, a[0:3]
	v_cndmask_b32_e64 v58, 0, 1.0, vcc
	s_nop 1
	v_mfma_f32_4x4x1_16b_f32 a[0:3], v68, v58, a[0:3]
	global_load_dwordx4 v[58:61], v[66:67], off offset:2048
	global_load_dwordx4 v[62:65], v[66:67], off offset:2064
	v_and_b32_e32 v66, -4, v88
	v_subrev_u32_e32 v67, s3, v66
	v_add_u32_e32 v68, 1, v67
	v_mfma_f32_4x4x1_16b_f32 a[0:3], v69, v85, a[0:3]
	v_cvt_f32_i32_e32 v68, v68
	v_add_u32_e32 v69, 2, v67
	v_cvt_f32_i32_e32 v69, v69
	v_cmp_gt_i32_e32 vcc, s3, v66
	v_accvgpr_read_b32 v70, a0
	v_fma_f32 v68, v84, v68, v70
	v_accvgpr_read_b32 v70, a1
	v_fma_f32 v69, v84, v69, v70
	v_add_u32_e32 v70, 3, v67
	v_cvt_f32_i32_e32 v70, v70
	v_accvgpr_read_b32 v71, a2
	v_add_u32_e32 v67, 4, v67
	v_cvt_f32_i32_e32 v67, v67
	v_fma_f32 v71, v84, v70, v71
	v_max_f32_e32 v70, 0xff7fffff, v68
	v_cndmask_b32_e32 v70, v73, v70, vcc
	v_or_b32_e32 v73, 1, v66
	v_max_f32_e32 v74, v70, v69
	v_cmp_gt_i32_e64 s[0:1], s3, v73
	v_or_b32_e32 v66, 2, v66
	v_accvgpr_read_b32 v72, a3
	v_cndmask_b32_e64 v70, v70, v74, s[0:1]
	v_max_f32_e32 v73, v70, v71
	v_cmp_gt_i32_e64 s[4:5], s3, v66
	v_fmac_f32_e32 v72, v84, v67
	v_lshlrev_b32_e32 v67, 2, v0
	v_cndmask_b32_e64 v66, v70, v73, s[4:5]
	v_or_b32_e32 v70, 3, v88
	v_max_f32_e32 v73, v66, v72
	v_cmp_gt_i32_e64 s[8:9], s3, v70
	v_and_or_b32 v67, v67, 48, v87
	s_nop 0
	v_cndmask_b32_e64 v66, v66, v73, s[8:9]
	;;#ASMSTART
	v_nop
 v_nop
 v_max_f32_dpp v66, v66, v66 row_ror:4
	;;#ASMEND
	v_lshlrev_b32_e32 v73, 2, v67
	;;#ASMSTART
	v_nop
 v_nop
 v_max_f32_dpp v66, v66, v66 row_ror:8
	;;#ASMEND
	ds_bpermute_b32 v66, v73, v66
	s_waitcnt lgkmcnt(0)
	;;#ASMSTART
	v_nop
 v_nop
 v_max_f32_dpp v66, v66, v66 row_ror:4
	;;#ASMEND
	s_nop 0
	;;#ASMSTART
	v_nop
 v_nop
 v_max_f32_dpp v70, v66, v66 row_ror:8
	;;#ASMEND
	s_nop 0
	v_sub_f32_e32 v66, v68, v70
	v_mul_f32_e32 v66, 0x3fb8aa3b, v66
	v_sub_f32_e32 v67, v69, v70
	v_exp_f32_e32 v66, v66
	v_mul_f32_e32 v67, 0x3fb8aa3b, v67
	v_sub_f32_e32 v69, v71, v70
	v_exp_f32_e32 v67, v67
	;; [unrolled: 3-line block ×3, first 2 shown]
	v_mul_f32_e32 v71, 0x3fb8aa3b, v71
	v_exp_f32_e32 v71, v71
	v_cndmask_b32_e32 v66, 0, v66, vcc
	v_add_f32_e32 v68, 0, v66
	v_cndmask_b32_e64 v67, 0, v67, s[0:1]
	v_add_f32_e32 v72, v68, v67
	v_cndmask_b32_e64 v68, 0, v69, s[4:5]
	;; [unrolled: 2-line block ×3, first 2 shown]
	v_add_f32_e32 v71, v72, v69
	;;#ASMSTART
	v_nop
 v_nop
 v_add_f32_dpp v71, v71, v71 row_ror:4
	;;#ASMEND
	v_cmp_gt_u32_e32 vcc, 4, v1
	;;#ASMSTART
	v_nop
 v_nop
 v_add_f32_dpp v71, v71, v71 row_ror:8
	;;#ASMEND
	ds_bpermute_b32 v71, v73, v71
	s_waitcnt lgkmcnt(0)
	;;#ASMSTART
	v_nop
 v_nop
 v_add_f32_dpp v71, v71, v71 row_ror:4
	;;#ASMEND
	s_nop 0
	;;#ASMSTART
	v_nop
 v_nop
 v_add_f32_dpp v71, v71, v71 row_ror:8
	;;#ASMEND
	s_and_saveexec_b64 s[0:1], vcc
	s_cbranch_execz .LBB194_18
; %bb.17:
	v_mul_u32_u24_e32 v72, 20, v86
	v_lshl_add_u32 v72, v87, 2, v72
	v_add_u32_e32 v72, 0x1400, v72
	ds_write2_b32 v72, v70, v71 offset1:20
.LBB194_18:
	s_or_b64 exec, exec, s[0:1]
.LBB194_19:
	s_or_b64 exec, exec, s[22:23]
	s_waitcnt lgkmcnt(0)
	s_barrier
	s_load_dword s0, s[20:21], 0x8
	v_lshlrev_b32_e32 v71, 2, v87
	v_add_u32_e32 v71, 0x1400, v71
	ds_read2_b32 v[74:75], v71 offset1:5
	ds_read2_b32 v[76:77], v71 offset0:10 offset1:15
	s_mul_i32 s1, s2, s33
	s_waitcnt lgkmcnt(0)
	s_mul_i32 s0, s1, s0
	s_mov_b32 s1, 0xff7fffff
	v_max3_f32 v72, v74, s1, v75
	v_max3_f32 v72, v72, v76, v77
	v_sub_f32_e32 v73, v74, v72
	v_sub_f32_e32 v74, v75, v72
	ds_read2_b32 v[78:79], v71 offset0:20 offset1:25
	v_mul_f32_e32 v73, 0x3fb8aa3b, v73
	v_mul_f32_e32 v74, 0x3fb8aa3b, v74
	v_exp_f32_e32 v73, v73
	v_exp_f32_e32 v80, v74
	ds_read2_b32 v[74:75], v71 offset0:30 offset1:35
	v_sub_f32_e32 v71, v76, v72
	v_mul_f32_e32 v71, 0x3fb8aa3b, v71
	v_sub_f32_e32 v76, v77, v72
	v_exp_f32_e32 v71, v71
	v_mul_f32_e32 v76, 0x3fb8aa3b, v76
	v_exp_f32_e32 v76, v76
	s_waitcnt lgkmcnt(1)
	v_fma_f32 v73, v73, v78, 0
	v_fmac_f32_e32 v73, v80, v79
	s_waitcnt lgkmcnt(0)
	v_fmac_f32_e32 v73, v71, v74
	s_mul_i32 s0, s0, 3
	v_fmac_f32_e32 v73, v76, v75
	v_cmp_ne_u32_e32 vcc, 3, v87
	s_and_saveexec_b64 s[2:3], vcc
	s_cbranch_execz .LBB194_21
; %bb.20:
	s_mov_b32 s1, 0
	s_lshl_b64 s[4:5], s[0:1], 2
	s_add_u32 s10, s12, s4
	s_mov_b32 s17, s1
	s_addc_u32 s11, s13, s5
	s_lshl_b64 s[8:9], s[16:17], 2
	s_add_u32 s10, s10, s8
	s_addc_u32 s11, s11, s9
	s_add_u32 s1, s14, s4
	s_addc_u32 s5, s15, s5
	v_add_u32_e32 v71, s34, v87
	s_add_u32 s4, s1, s8
	v_mul_lo_u32 v74, s33, v71
	v_mov_b32_e32 v75, 0
	s_addc_u32 s5, s5, s9
	v_lshlrev_b64 v[74:75], 2, v[74:75]
	v_lshl_add_u64 v[76:77], s[10:11], 0, v[74:75]
	v_lshl_add_u64 v[74:75], s[4:5], 0, v[74:75]
	global_store_dword v[74:75], v72, off
	global_store_dword v[76:77], v73, off
.LBB194_21:
	s_or_b64 exec, exec, s[2:3]
	v_lshlrev_b32_e32 v71, 3, v86
	s_and_saveexec_b64 s[2:3], s[6:7]
	s_xor_b64 s[2:3], exec, s[2:3]
	s_cbranch_execz .LBB194_23
; %bb.22:
	s_mov_b32 s4, 0
	s_mov_b32 s5, s4
	s_waitcnt vmcnt(14)
	v_mad_u32_u24 v4, v1, 40, v71
	v_mov_b64_e32 v[2:3], s[4:5]
	ds_write2st64_b64 v4, v[2:3], v[2:3] offset1:5
                                        ; implicit-def: $vgpr69
                                        ; implicit-def: $vgpr67
                                        ; implicit-def: $vgpr7
                                        ; implicit-def: $vgpr3
                                        ; implicit-def: $vgpr11
                                        ; implicit-def: $vgpr15
                                        ; implicit-def: $vgpr27
                                        ; implicit-def: $vgpr31
                                        ; implicit-def: $vgpr43
                                        ; implicit-def: $vgpr47
                                        ; implicit-def: $vgpr19
                                        ; implicit-def: $vgpr23
                                        ; implicit-def: $vgpr35
                                        ; implicit-def: $vgpr39
                                        ; implicit-def: $vgpr51
                                        ; implicit-def: $vgpr55
                                        ; implicit-def: $vgpr59
                                        ; implicit-def: $vgpr63
                                        ; implicit-def: $vgpr70
                                        ; implicit-def: $vgpr72
                                        ; implicit-def: $vgpr73
                                        ; implicit-def: $vgpr71
.LBB194_23:
	s_andn2_saveexec_b64 s[2:3], s[2:3]
	s_cbranch_execz .LBB194_25
; %bb.24:
	v_add_f32_e32 v73, 0x358637bd, v73
	v_div_scale_f32 v74, s[4:5], v73, v73, 1.0
	v_rcp_f32_e32 v75, v74
	v_sub_f32_e32 v70, v70, v72
	v_mul_f32_e32 v70, 0x3fb8aa3b, v70
	v_exp_f32_e32 v70, v70
	v_fma_f32 v72, -v74, v75, 1.0
	v_fmac_f32_e32 v75, v72, v75
	v_div_scale_f32 v72, vcc, 1.0, v73, 1.0
	v_mul_f32_e32 v76, v72, v75
	v_fma_f32 v77, -v74, v76, v72
	v_fmac_f32_e32 v76, v77, v75
	v_fma_f32 v72, -v74, v76, v72
	v_div_fmas_f32 v72, v72, v75, v76
	v_div_fixup_f32 v72, v72, v73, 1.0
	v_mul_f32_e32 v70, v70, v72
	v_pk_mul_f32 v[68:69], v[68:69], v[70:71] op_sel_hi:[1,0]
	v_pk_mul_f32 v[66:67], v[66:67], v[70:71] op_sel_hi:[1,0]
	v_cvt_f16_f32_e32 v68, v68
	v_cvt_f16_f32_e32 v66, v66
	;; [unrolled: 1-line block ×4, first 2 shown]
	v_pack_b32_f16 v66, v66, v67
	v_pack_b32_f16 v67, v68, v69
	s_waitcnt vmcnt(15)
	s_nop 0
	v_mfma_f32_4x4x4_16b_f16 a[0:3], v[66:67], v[6:7], 0 cbsz:4
	s_nop 1
	v_mfma_f32_4x4x4_16b_f16 a[0:3], v[66:67], v[8:9], a[0:3] cbsz:4 abid:1
	v_mad_u32_u24 v9, v1, 40, v71
	s_waitcnt vmcnt(13)
	v_mfma_f32_4x4x4_16b_f16 a[4:7], v[66:67], v[18:19], 0 cbsz:4
	v_mfma_f32_4x4x4_16b_f16 a[0:3], v[66:67], v[2:3], a[0:3] cbsz:4 abid:2
	s_nop 0
	v_mfma_f32_4x4x4_16b_f16 a[4:7], v[66:67], v[20:21], a[4:7] cbsz:4 abid:1
	v_mfma_f32_4x4x4_16b_f16 a[0:3], v[66:67], v[4:5], a[0:3] cbsz:4 abid:3
	s_waitcnt vmcnt(12)
	v_mfma_f32_4x4x4_16b_f16 a[4:7], v[66:67], v[22:23], a[4:7] cbsz:4 abid:2
	s_waitcnt vmcnt(11)
	v_mfma_f32_4x4x4_16b_f16 a[0:3], v[66:67], v[10:11], a[0:3] cbsz:4 abid:4
	v_mfma_f32_4x4x4_16b_f16 a[4:7], v[66:67], v[24:25], a[4:7] cbsz:4 abid:3
	s_nop 0
	v_mfma_f32_4x4x4_16b_f16 a[0:3], v[66:67], v[12:13], a[0:3] cbsz:4 abid:5
	s_waitcnt vmcnt(9)
	v_mfma_f32_4x4x4_16b_f16 a[4:7], v[66:67], v[34:35], a[4:7] cbsz:4 abid:4
	v_mfma_f32_4x4x4_16b_f16 a[0:3], v[66:67], v[14:15], a[0:3] cbsz:4 abid:6
	s_nop 0
	v_mfma_f32_4x4x4_16b_f16 a[4:7], v[66:67], v[36:37], a[4:7] cbsz:4 abid:5
	v_mfma_f32_4x4x4_16b_f16 a[0:3], v[66:67], v[16:17], a[0:3] cbsz:4 abid:7
	s_waitcnt vmcnt(8)
	v_mfma_f32_4x4x4_16b_f16 a[4:7], v[66:67], v[38:39], a[4:7] cbsz:4 abid:6
	s_waitcnt vmcnt(7)
	v_mfma_f32_4x4x4_16b_f16 a[0:3], v[66:67], v[26:27], a[0:3] cbsz:4 abid:8
	v_mfma_f32_4x4x4_16b_f16 a[4:7], v[66:67], v[40:41], a[4:7] cbsz:4 abid:7
	s_nop 0
	v_mfma_f32_4x4x4_16b_f16 a[0:3], v[66:67], v[28:29], a[0:3] cbsz:4 abid:9
	s_waitcnt vmcnt(5)
	v_mfma_f32_4x4x4_16b_f16 a[4:7], v[66:67], v[50:51], a[4:7] cbsz:4 abid:8
	;; [unrolled: 13-line block ×3, first 2 shown]
	v_mfma_f32_4x4x4_16b_f16 a[0:3], v[66:67], v[46:47], a[0:3] cbsz:4 abid:14
	s_nop 1
	v_mfma_f32_4x4x4_16b_f16 a[0:3], v[66:67], v[48:49], a[0:3] cbsz:4 abid:15
	s_nop 4
	v_accvgpr_read_b32 v2, a0
	v_accvgpr_read_b32 v3, a1
	;; [unrolled: 1-line block ×4, first 2 shown]
	v_mfma_f32_4x4x4_16b_f16 a[0:3], v[66:67], v[60:61], a[4:7] cbsz:4 abid:13
	v_cvt_f16_f32_e32 v2, v2
	v_cvt_f16_f32_e32 v3, v3
	s_waitcnt vmcnt(0)
	v_mfma_f32_4x4x4_16b_f16 a[0:3], v[66:67], v[62:63], a[0:3] cbsz:4 abid:14
	v_pack_b32_f16 v2, v2, v3
	s_nop 0
	v_mfma_f32_4x4x4_16b_f16 a[0:3], v[66:67], v[64:65], a[0:3] cbsz:4 abid:15
	v_cvt_f16_f32_e32 v3, v4
	v_cvt_f16_f32_e32 v4, v5
	v_pack_b32_f16 v3, v3, v4
	s_nop 1
	v_accvgpr_read_b32 v5, a0
	v_accvgpr_read_b32 v6, a1
	;; [unrolled: 1-line block ×4, first 2 shown]
	v_cvt_f16_f32_e32 v5, v5
	v_cvt_f16_f32_e32 v6, v6
	v_cvt_f16_f32_e32 v7, v7
	v_cvt_f16_f32_e32 v8, v8
	v_pack_b32_f16 v4, v5, v6
	v_pack_b32_f16 v5, v7, v8
	ds_write2st64_b64 v9, v[2:3], v[4:5] offset1:5
.LBB194_25:
	s_or_b64 exec, exec, s[2:3]
	v_cmp_gt_u32_e32 vcc, 64, v0
	s_waitcnt lgkmcnt(0)
	s_barrier
	s_and_saveexec_b64 s[2:3], vcc
	s_cbranch_execz .LBB194_27
; %bb.26:
	s_waitcnt vmcnt(15)
	v_mul_u32_u24_e32 v6, 40, v1
	s_waitcnt vmcnt(14)
	ds_read2_b64 v[2:5], v6 offset1:1
	ds_read2_b64 v[6:9], v6 offset0:2 offset1:3
	s_mov_b32 s1, 0
	s_lshl_b32 s0, s0, 7
	s_lshl_b64 s[2:3], s[0:1], 1
	s_waitcnt lgkmcnt(1)
	v_pk_add_f16 v2, v2, 0
	v_pk_add_f16 v3, v3, 0
	;; [unrolled: 1-line block ×4, first 2 shown]
	s_waitcnt lgkmcnt(0)
	v_pk_add_f16 v2, v2, v6
	v_pk_add_f16 v6, v3, v7
	s_waitcnt vmcnt(11)
	v_pk_add_f16 v10, v2, v8
	v_mov_b32_e32 v2, 0xa00
	v_mad_u32_u24 v2, v1, 40, v2
	ds_read2_b64 v[2:5], v2 offset1:1
	v_pk_add_f16 v11, v6, v9
	v_mov_b32_e32 v6, 0xa10
	v_mad_u32_u24 v1, v1, 40, v6
	ds_read2_b64 v[6:9], v1 offset1:1
	s_add_u32 s2, s18, s2
	s_addc_u32 s3, s19, s3
	s_lshl_b32 s0, s16, 7
	s_lshl_b64 s[0:1], s[0:1], 1
	s_waitcnt lgkmcnt(1)
	v_pk_add_f16 v1, v2, 0
	v_pk_add_f16 v2, v3, 0
	s_add_u32 s0, s2, s0
	v_pk_add_f16 v2, v2, v5
	s_addc_u32 s1, s3, s1
	s_lshl_b32 s2, s33, 7
	s_waitcnt lgkmcnt(0)
	v_pk_add_f16 v2, v2, v7
	s_mul_i32 s3, s2, s34
	v_pk_add_f16 v9, v2, v9
	v_or_b32_e32 v2, s3, v0
	v_mov_b32_e32 v3, 0
	s_add_i32 s3, s3, s2
	v_pk_add_f16 v1, v1, v4
	v_lshl_add_u64 v[4:5], v[2:3], 1, s[0:1]
	v_or_b32_e32 v2, s3, v0
	s_add_i32 s3, s3, s2
	v_pk_add_f16 v1, v1, v6
	v_lshl_add_u64 v[6:7], v[2:3], 1, s[0:1]
	v_or_b32_e32 v2, s3, v0
	v_pk_add_f16 v8, v1, v8
	v_lshl_add_u64 v[0:1], v[2:3], 1, s[0:1]
	global_store_short v[4:5], v10, off
	global_store_short_d16_hi v[6:7], v10, off
	global_store_short v[0:1], v11, off
	global_store_short v[4:5], v8, off offset:128
	global_store_short_d16_hi v[6:7], v8, off offset:128
	global_store_short v[0:1], v9, off offset:128
.LBB194_27:
	s_endpgm
	.section	.rodata,"a",@progbits
	.p2align	6, 0x0
	.amdhsa_kernel _Z38paged_attention_ll4mi_QKV_mfma4_kernelIDF16_DF16_LN4vllm18Fp8KVCacheDataTypeE0EhLi16ELi128ELi256ELb1ELi3EEvPKT_PKT0_S7_ifPKiS9_S9_iPKfiiiPfSC_PS2_PT2_iSB_SB_
		.amdhsa_group_segment_fixed_size 5280
		.amdhsa_private_segment_fixed_size 0
		.amdhsa_kernarg_size 400
		.amdhsa_user_sgpr_count 2
		.amdhsa_user_sgpr_dispatch_ptr 0
		.amdhsa_user_sgpr_queue_ptr 0
		.amdhsa_user_sgpr_kernarg_segment_ptr 1
		.amdhsa_user_sgpr_dispatch_id 0
		.amdhsa_user_sgpr_kernarg_preload_length 0
		.amdhsa_user_sgpr_kernarg_preload_offset 0
		.amdhsa_user_sgpr_private_segment_size 0
		.amdhsa_uses_dynamic_stack 0
		.amdhsa_enable_private_segment 0
		.amdhsa_system_sgpr_workgroup_id_x 1
		.amdhsa_system_sgpr_workgroup_id_y 1
		.amdhsa_system_sgpr_workgroup_id_z 1
		.amdhsa_system_sgpr_workgroup_info 0
		.amdhsa_system_vgpr_workitem_id 0
		.amdhsa_next_free_vgpr 104
		.amdhsa_next_free_sgpr 40
		.amdhsa_accum_offset 96
		.amdhsa_reserve_vcc 1
		.amdhsa_float_round_mode_32 0
		.amdhsa_float_round_mode_16_64 0
		.amdhsa_float_denorm_mode_32 3
		.amdhsa_float_denorm_mode_16_64 3
		.amdhsa_dx10_clamp 1
		.amdhsa_ieee_mode 1
		.amdhsa_fp16_overflow 0
		.amdhsa_tg_split 0
		.amdhsa_exception_fp_ieee_invalid_op 0
		.amdhsa_exception_fp_denorm_src 0
		.amdhsa_exception_fp_ieee_div_zero 0
		.amdhsa_exception_fp_ieee_overflow 0
		.amdhsa_exception_fp_ieee_underflow 0
		.amdhsa_exception_fp_ieee_inexact 0
		.amdhsa_exception_int_div_zero 0
	.end_amdhsa_kernel
	.section	.text._Z38paged_attention_ll4mi_QKV_mfma4_kernelIDF16_DF16_LN4vllm18Fp8KVCacheDataTypeE0EhLi16ELi128ELi256ELb1ELi3EEvPKT_PKT0_S7_ifPKiS9_S9_iPKfiiiPfSC_PS2_PT2_iSB_SB_,"axG",@progbits,_Z38paged_attention_ll4mi_QKV_mfma4_kernelIDF16_DF16_LN4vllm18Fp8KVCacheDataTypeE0EhLi16ELi128ELi256ELb1ELi3EEvPKT_PKT0_S7_ifPKiS9_S9_iPKfiiiPfSC_PS2_PT2_iSB_SB_,comdat
.Lfunc_end194:
	.size	_Z38paged_attention_ll4mi_QKV_mfma4_kernelIDF16_DF16_LN4vllm18Fp8KVCacheDataTypeE0EhLi16ELi128ELi256ELb1ELi3EEvPKT_PKT0_S7_ifPKiS9_S9_iPKfiiiPfSC_PS2_PT2_iSB_SB_, .Lfunc_end194-_Z38paged_attention_ll4mi_QKV_mfma4_kernelIDF16_DF16_LN4vllm18Fp8KVCacheDataTypeE0EhLi16ELi128ELi256ELb1ELi3EEvPKT_PKT0_S7_ifPKiS9_S9_iPKfiiiPfSC_PS2_PT2_iSB_SB_
                                        ; -- End function
	.section	.AMDGPU.csdata,"",@progbits
; Kernel info:
; codeLenInByte = 3944
; NumSgprs: 46
; NumVgprs: 96
; NumAgprs: 8
; TotalNumVgprs: 104
; ScratchSize: 0
; MemoryBound: 0
; FloatMode: 240
; IeeeMode: 1
; LDSByteSize: 5280 bytes/workgroup (compile time only)
; SGPRBlocks: 5
; VGPRBlocks: 12
; NumSGPRsForWavesPerEU: 46
; NumVGPRsForWavesPerEU: 104
; AccumOffset: 96
; Occupancy: 4
; WaveLimiterHint : 1
; COMPUTE_PGM_RSRC2:SCRATCH_EN: 0
; COMPUTE_PGM_RSRC2:USER_SGPR: 2
; COMPUTE_PGM_RSRC2:TRAP_HANDLER: 0
; COMPUTE_PGM_RSRC2:TGID_X_EN: 1
; COMPUTE_PGM_RSRC2:TGID_Y_EN: 1
; COMPUTE_PGM_RSRC2:TGID_Z_EN: 1
; COMPUTE_PGM_RSRC2:TIDIG_COMP_CNT: 0
; COMPUTE_PGM_RSRC3_GFX90A:ACCUM_OFFSET: 23
; COMPUTE_PGM_RSRC3_GFX90A:TG_SPLIT: 0
	.section	.text._Z38paged_attention_ll4mi_QKV_mfma4_kernelIDF16_DF16_LN4vllm18Fp8KVCacheDataTypeE0EhLi16ELi128ELi256ELb1ELi4EEvPKT_PKT0_S7_ifPKiS9_S9_iPKfiiiPfSC_PS2_PT2_iSB_SB_,"axG",@progbits,_Z38paged_attention_ll4mi_QKV_mfma4_kernelIDF16_DF16_LN4vllm18Fp8KVCacheDataTypeE0EhLi16ELi128ELi256ELb1ELi4EEvPKT_PKT0_S7_ifPKiS9_S9_iPKfiiiPfSC_PS2_PT2_iSB_SB_,comdat
	.protected	_Z38paged_attention_ll4mi_QKV_mfma4_kernelIDF16_DF16_LN4vllm18Fp8KVCacheDataTypeE0EhLi16ELi128ELi256ELb1ELi4EEvPKT_PKT0_S7_ifPKiS9_S9_iPKfiiiPfSC_PS2_PT2_iSB_SB_ ; -- Begin function _Z38paged_attention_ll4mi_QKV_mfma4_kernelIDF16_DF16_LN4vllm18Fp8KVCacheDataTypeE0EhLi16ELi128ELi256ELb1ELi4EEvPKT_PKT0_S7_ifPKiS9_S9_iPKfiiiPfSC_PS2_PT2_iSB_SB_
	.globl	_Z38paged_attention_ll4mi_QKV_mfma4_kernelIDF16_DF16_LN4vllm18Fp8KVCacheDataTypeE0EhLi16ELi128ELi256ELb1ELi4EEvPKT_PKT0_S7_ifPKiS9_S9_iPKfiiiPfSC_PS2_PT2_iSB_SB_
	.p2align	8
	.type	_Z38paged_attention_ll4mi_QKV_mfma4_kernelIDF16_DF16_LN4vllm18Fp8KVCacheDataTypeE0EhLi16ELi128ELi256ELb1ELi4EEvPKT_PKT0_S7_ifPKiS9_S9_iPKfiiiPfSC_PS2_PT2_iSB_SB_,@function
_Z38paged_attention_ll4mi_QKV_mfma4_kernelIDF16_DF16_LN4vllm18Fp8KVCacheDataTypeE0EhLi16ELi128ELi256ELb1ELi4EEvPKT_PKT0_S7_ifPKiS9_S9_iPKfiiiPfSC_PS2_PT2_iSB_SB_: ; @_Z38paged_attention_ll4mi_QKV_mfma4_kernelIDF16_DF16_LN4vllm18Fp8KVCacheDataTypeE0EhLi16ELi128ELi256ELb1ELi4EEvPKT_PKT0_S7_ifPKiS9_S9_iPKfiiiPfSC_PS2_PT2_iSB_SB_
; %bb.0:
	s_load_dwordx2 s[8:9], s[0:1], 0x30
	s_mov_b32 s20, s3
	s_mov_b64 s[6:7], 0
	s_waitcnt lgkmcnt(0)
	s_cmp_lg_u64 s[8:9], 0
	s_cselect_b64 s[10:11], -1, 0
	s_and_b64 vcc, exec, s[10:11]
	s_cbranch_vccz .LBB195_20
; %bb.1:
	s_add_i32 s12, s2, 1
	s_mov_b32 s13, 0
	s_lshl_b64 s[14:15], s[12:13], 2
	s_add_u32 s14, s8, s14
	s_mov_b32 s3, s13
	s_addc_u32 s15, s9, s15
	s_lshl_b64 s[12:13], s[2:3], 2
	s_add_u32 s12, s8, s12
	s_addc_u32 s13, s9, s13
	s_load_dword s5, s[14:15], 0x0
	s_load_dword s16, s[12:13], 0x0
	s_mov_b64 s[34:35], s[2:3]
	s_waitcnt lgkmcnt(0)
	s_sub_i32 s5, s5, s16
	s_cmp_eq_u32 s5, 1
	s_cselect_b64 s[12:13], -1, 0
	s_andn2_b64 vcc, exec, s[6:7]
	s_cbranch_vccnz .LBB195_3
.LBB195_2:
	s_mov_b32 s3, 0
	s_mov_b64 s[12:13], -1
	s_mov_b64 s[34:35], s[2:3]
.LBB195_3:
	s_andn2_b64 vcc, exec, s[12:13]
	s_cbranch_vccnz .LBB195_19
; %bb.4:
	s_load_dword s3, s[0:1], 0x9c
	s_load_dwordx2 s[6:7], s[0:1], 0x28
	s_add_u32 s24, s0, 0x90
	s_addc_u32 s25, s1, 0
	s_lshl_b64 s[36:37], s[34:35], 2
	s_waitcnt lgkmcnt(0)
	s_and_b32 s5, s3, 0xffff
	s_add_u32 s6, s6, s36
	s_addc_u32 s7, s7, s37
	s_load_dword s3, s[6:7], 0x0
	s_mul_i32 s5, s20, s5
	s_waitcnt lgkmcnt(0)
	s_cmp_ge_i32 s5, s3
	s_cbranch_scc1 .LBB195_19
; %bb.5:
	v_and_b32_e32 v1, 0xc0, v0
	v_and_b32_e32 v73, 3, v0
	s_lshl_b32 s33, s4, 2
	v_add_u32_e32 v2, s5, v1
	v_lshrrev_b32_e32 v72, 6, v0
	v_cmp_le_i32_e64 s[6:7], s3, v2
	v_or_b32_e32 v66, s33, v73
                                        ; implicit-def: $sgpr17
                                        ; implicit-def: $sgpr16
	s_and_saveexec_b64 s[12:13], s[6:7]
	s_xor_b64 s[12:13], exec, s[12:13]
	s_cbranch_execz .LBB195_7
; %bb.6:
	v_mul_u32_u24_e32 v1, 20, v72
	v_or_b32_e32 v1, 0x1400, v1
	v_mov_b32_e32 v2, 0x1450
	v_mov_b32_e32 v3, 0xff7fffff
	v_mad_u32_u24 v2, v72, 20, v2
	ds_write2_b32 v1, v3, v3 offset1:1
	v_mov_b32_e32 v1, 0
	ds_write2_b32 v2, v1, v1 offset1:1
	v_mov_b32_e32 v2, 0x1408
	s_mov_b32 s16, 0xff7fffff
	s_mov_b32 s17, 0
	v_mad_u32_u24 v2, v72, 20, v2
	v_mov_b32_e32 v4, 0x1458
	v_or_b32_e32 v66, s33, v73
	v_mad_u32_u24 v4, v72, 20, v4
	ds_write2_b32 v2, v3, v3 offset1:1
	ds_write2_b32 v4, v1, v1 offset1:1
                                        ; implicit-def: $vgpr2
.LBB195_7:
	s_or_saveexec_b64 s[26:27], s[12:13]
	s_load_dwordx2 s[22:23], s[0:1], 0x68
	s_load_dwordx4 s[12:15], s[0:1], 0x58
	s_load_dword s40, s[24:25], 0x4
	v_and_b32_e32 v1, 63, v0
	v_mov_b32_e32 v71, s17
	v_mov_b32_e32 v67, s16
	;; [unrolled: 1-line block ×5, first 2 shown]
                                        ; implicit-def: $vgpr43
                                        ; implicit-def: $vgpr27
                                        ; implicit-def: $vgpr3
                                        ; implicit-def: $vgpr7
                                        ; implicit-def: $vgpr11
                                        ; implicit-def: $vgpr15
                                        ; implicit-def: $vgpr19
                                        ; implicit-def: $vgpr23
                                        ; implicit-def: $vgpr59
                                        ; implicit-def: $vgpr63
                                        ; implicit-def: $vgpr31
                                        ; implicit-def: $vgpr35
                                        ; implicit-def: $vgpr39
                                        ; implicit-def: $vgpr47
                                        ; implicit-def: $vgpr51
                                        ; implicit-def: $vgpr55
	s_xor_b64 exec, exec, s[26:27]
	s_cbranch_execz .LBB195_13
; %bb.8:
	s_add_i32 s19, s3, 15
	s_load_dwordx2 s[16:17], s[0:1], 0x20
	s_load_dword s18, s[0:1], 0x38
	s_ashr_i32 s21, s19, 31
	s_lshr_b32 s21, s21, 28
	v_add_u32_e32 v68, s5, v0
	s_add_i32 s19, s19, s21
	v_ashrrev_i32_e32 v3, 31, v68
	s_ashr_i32 s19, s19, 4
	v_lshrrev_b32_e32 v3, 28, v3
	s_add_i32 s21, s19, -1
	v_add_u32_e32 v3, v68, v3
	s_waitcnt lgkmcnt(0)
	s_mul_i32 s38, s2, s18
	s_mov_b32 s39, 0
	v_ashrrev_i32_e32 v3, 4, v3
	v_mov_b32_e32 v4, s21
	v_cmp_gt_i32_e32 vcc, s3, v68
	s_lshl_b64 s[18:19], s[38:39], 2
	s_add_u32 s16, s16, s18
	v_cndmask_b32_e32 v4, v4, v3, vcc
	v_ashrrev_i32_e32 v3, 31, v2
	v_lshrrev_b32_e32 v3, 28, v3
	s_addc_u32 s17, s17, s19
	v_ashrrev_i32_e32 v5, 31, v4
	v_add_u32_e32 v2, v2, v3
	v_lshl_add_u64 v[8:9], v[4:5], 2, s[16:17]
	v_ashrrev_i32_e32 v4, 4, v2
	v_min_i32_e32 v2, s21, v4
	v_ashrrev_i32_e32 v3, 31, v2
	v_lshl_add_u64 v[10:11], v[2:3], 2, s[16:17]
	v_add_u32_e32 v2, 1, v4
	v_min_i32_e32 v2, s21, v2
	v_ashrrev_i32_e32 v3, 31, v2
	v_lshl_add_u64 v[12:13], v[2:3], 2, s[16:17]
	v_add_u32_e32 v2, 2, v4
	;; [unrolled: 4-line block ×3, first 2 shown]
	v_min_i32_e32 v2, s21, v2
	v_ashrrev_i32_e32 v3, 31, v2
	v_lshl_add_u64 v[16:17], v[2:3], 2, s[16:17]
	global_load_dword v2, v[8:9], off
	global_load_dword v4, v[10:11], off
	;; [unrolled: 1-line block ×5, first 2 shown]
	s_load_dwordx2 s[30:31], s[0:1], 0x40
	s_load_dwordx4 s[16:19], s[0:1], 0x0
	s_load_dwordx2 s[28:29], s[0:1], 0x10
	s_andn2_b64 vcc, exec, s[10:11]
	s_cbranch_vccnz .LBB195_10
; %bb.9:
	s_add_u32 s8, s8, s36
	s_addc_u32 s9, s9, s37
	s_load_dword s38, s[8:9], 0x0
	s_waitcnt lgkmcnt(0)
	s_mov_b64 s[34:35], s[38:39]
.LBB195_10:
	s_load_dwordx4 s[8:11], s[0:1], 0x48
	v_lshlrev_b32_e32 v3, 2, v1
	v_and_b32_e32 v3, 0xf0, v3
	v_lshl_or_b32 v3, v73, 8, v3
	v_and_b32_e32 v8, 15, v0
	s_waitcnt lgkmcnt(0)
	s_ashr_i32 s5, s8, 31
	s_mul_hi_u32 s11, s34, s8
	s_mul_i32 s5, s34, s5
	s_mul_i32 s21, s35, s8
	s_add_i32 s5, s11, s5
	s_mul_i32 s36, s34, s8
	s_add_i32 s37, s5, s21
	s_lshl_b64 s[34:35], s[36:37], 1
	s_add_u32 s5, s16, s34
	s_addc_u32 s8, s17, s35
	s_lshl_b32 s38, s4, 9
	s_lshl_b64 s[16:17], s[38:39], 1
	s_add_u32 s16, s5, s16
	s_addc_u32 s17, s8, s17
	global_load_dwordx4 v[74:77], v3, s[16:17]
	s_mul_i32 s38, s4, s10
	s_lshl_b64 s[4:5], s[38:39], 1
	s_add_u32 s10, s4, s18
	s_waitcnt vmcnt(5)
	v_mad_i64_i32 v[2:3], s[16:17], v2, s9, 0
	s_addc_u32 s11, s5, s19
	v_lshl_add_u64 v[2:3], v[2:3], 1, s[10:11]
	v_lshlrev_b32_e32 v26, 4, v8
	v_mov_b32_e32 v27, 0
	v_lshl_add_u64 v[2:3], v[2:3], 0, v[26:27]
	global_load_dwordx4 v[8:11], v[2:3], off
	global_load_dwordx4 v[12:15], v[2:3], off offset:256
	global_load_dwordx4 v[16:19], v[2:3], off offset:512
	;; [unrolled: 1-line block ×13, first 2 shown]
	v_mov_b32_e32 v67, v27
	v_lshl_add_u64 v[86:87], v[66:67], 2, s[30:31]
	global_load_dword v99, v[86:87], off
	global_load_dwordx4 v[82:85], v[2:3], off offset:3584
	v_and_b32_e32 v93, -4, v68
	global_load_dwordx4 v[86:89], v[2:3], off offset:3840
	v_lshlrev_b32_e32 v24, 2, v0
	v_subrev_u32_e32 v26, s3, v93
	v_and_or_b32 v95, v24, 48, v73
	v_add_u32_e32 v67, 1, v26
	v_add_u32_e32 v96, 2, v26
	;; [unrolled: 1-line block ×4, first 2 shown]
	s_waitcnt vmcnt(21)
	v_mul_hi_i32 v24, v4, s9
	s_waitcnt vmcnt(20)
	v_mul_hi_i32 v26, v7, s9
	;; [unrolled: 2-line block ×4, first 2 shown]
	v_ashrrev_i32_e32 v100, 31, v24
	v_ashrrev_i32_e32 v2, 31, v26
	v_ashrrev_i32_e32 v3, 31, v64
	v_ashrrev_i32_e32 v26, 31, v70
	v_mov_b32_e32 v25, v27
	v_mov_b32_e32 v65, v27
	;; [unrolled: 1-line block ×3, first 2 shown]
	v_lshrrev_b32_e32 v24, 29, v2
	v_lshrrev_b32_e32 v64, 29, v3
	;; [unrolled: 1-line block ×4, first 2 shown]
	v_mad_i64_i32 v[2:3], s[10:11], v7, s9, v[24:25]
	v_mad_i64_i32 v[6:7], s[10:11], v6, s9, v[64:65]
	v_lshlrev_b64 v[2:3], 1, v[2:3]
	v_lshlrev_b64 v[6:7], 1, v[6:7]
	s_add_u32 s4, s28, s4
	v_and_b32_e32 v2, -16, v2
	v_and_b32_e32 v6, -16, v6
	s_addc_u32 s5, s29, s5
	v_lshl_add_u64 v[2:3], s[4:5], 0, v[2:3]
	v_lshl_add_u64 v[6:7], s[4:5], 0, v[6:7]
	s_load_dword s0, s[0:1], 0x1c
	v_cmp_eq_u32_e32 vcc, 0, v73
	v_cvt_f32_i32_e32 v67, v67
	v_mov_b32_e32 v94, 0xff7fffff
	v_cndmask_b32_e64 v69, 0, 1.0, vcc
	v_cmp_eq_u32_e32 vcc, 1, v73
	v_or_b32_e32 v68, 3, v68
	s_waitcnt vmcnt(16)
	v_mfma_f32_4x4x4_16b_f16 a[0:3], v[74:75], v[8:9], 0 cbsz:4
	v_mad_i64_i32 v[8:9], s[10:11], v5, s9, v[70:71]
	s_nop 0
	v_mfma_f32_4x4x4_16b_f16 a[0:3], v[76:77], v[10:11], a[0:3] cbsz:4
	v_mad_i64_i32 v[4:5], s[8:9], v4, s9, v[26:27]
	s_waitcnt vmcnt(15)
	v_mfma_f32_4x4x4_16b_f16 a[0:3], v[74:75], v[12:13], a[0:3] cbsz:4 abid:1
	v_lshlrev_b64 v[8:9], 1, v[8:9]
	v_and_b32_e32 v8, -16, v8
	v_mfma_f32_4x4x4_16b_f16 a[0:3], v[76:77], v[14:15], a[0:3] cbsz:4 abid:1
	v_lshlrev_b32_e32 v26, 5, v1
	v_lshl_add_u64 v[8:9], s[4:5], 0, v[8:9]
	s_waitcnt vmcnt(14)
	v_mfma_f32_4x4x4_16b_f16 a[0:3], v[74:75], v[16:17], a[0:3] cbsz:4 abid:2
	v_lshl_add_u64 v[10:11], v[2:3], 0, v[26:27]
	v_cndmask_b32_e64 v90, 0, 1.0, vcc
	v_mfma_f32_4x4x4_16b_f16 a[0:3], v[76:77], v[18:19], a[0:3] cbsz:4 abid:2
	v_lshl_add_u64 v[18:19], v[6:7], 0, v[26:27]
	v_cmp_eq_u32_e32 vcc, 2, v73
	s_waitcnt vmcnt(13)
	v_mfma_f32_4x4x4_16b_f16 a[0:3], v[74:75], v[20:21], a[0:3] cbsz:4 abid:3
	v_cmp_gt_i32_e64 s[8:9], s3, v68
	v_cndmask_b32_e64 v91, 0, 1.0, vcc
	v_mfma_f32_4x4x4_16b_f16 a[0:3], v[76:77], v[22:23], a[0:3] cbsz:4 abid:3
	v_cmp_eq_u32_e32 vcc, 3, v73
	s_waitcnt vmcnt(12)
	v_mfma_f32_4x4x4_16b_f16 a[0:3], v[74:75], v[28:29], a[0:3] cbsz:4 abid:4
	v_lshlrev_b64 v[28:29], 1, v[4:5]
	v_and_b32_e32 v28, -16, v28
	v_mfma_f32_4x4x4_16b_f16 a[0:3], v[76:77], v[30:31], a[0:3] cbsz:4 abid:4
	v_lshl_add_u64 v[28:29], s[4:5], 0, v[28:29]
	v_lshl_add_u64 v[70:71], v[28:29], 0, v[26:27]
	s_waitcnt vmcnt(11)
	v_mfma_f32_4x4x4_16b_f16 a[0:3], v[74:75], v[32:33], a[0:3] cbsz:4 abid:5
	v_cndmask_b32_e64 v92, 0, 1.0, vcc
	v_cmp_gt_i32_e32 vcc, s3, v93
	v_mfma_f32_4x4x4_16b_f16 a[0:3], v[76:77], v[34:35], a[0:3] cbsz:4 abid:5
	s_waitcnt vmcnt(10)
	s_nop 0
	v_mfma_f32_4x4x4_16b_f16 a[0:3], v[74:75], v[36:37], a[0:3] cbsz:4 abid:6
	s_nop 1
	v_mfma_f32_4x4x4_16b_f16 a[0:3], v[76:77], v[38:39], a[0:3] cbsz:4 abid:6
	s_waitcnt vmcnt(9)
	s_nop 0
	v_mfma_f32_4x4x4_16b_f16 a[0:3], v[74:75], v[40:41], a[0:3] cbsz:4 abid:7
	s_nop 1
	v_mfma_f32_4x4x4_16b_f16 a[0:3], v[76:77], v[42:43], a[0:3] cbsz:4 abid:7
	v_lshl_add_u64 v[42:43], v[8:9], 0, v[26:27]
	global_load_dwordx4 v[2:5], v[10:11], off
	global_load_dwordx4 v[6:9], v[10:11], off offset:16
	s_waitcnt vmcnt(10)
	v_mfma_f32_4x4x4_16b_f16 a[0:3], v[74:75], v[44:45], a[0:3] cbsz:4 abid:8
	global_load_dwordx4 v[30:33], v[10:11], off offset:2048
	global_load_dwordx4 v[34:37], v[10:11], off offset:2064
	v_mfma_f32_4x4x4_16b_f16 a[0:3], v[76:77], v[46:47], a[0:3] cbsz:4 abid:8
	global_load_dwordx4 v[10:13], v[18:19], off
	global_load_dwordx4 v[14:17], v[18:19], off offset:16
	s_waitcnt vmcnt(13)
	v_mfma_f32_4x4x4_16b_f16 a[0:3], v[74:75], v[48:49], a[0:3] cbsz:4 abid:9
	global_load_dwordx4 v[38:41], v[18:19], off offset:2048
	global_load_dwordx4 v[46:49], v[18:19], off offset:2064
	v_mfma_f32_4x4x4_16b_f16 a[0:3], v[76:77], v[50:51], a[0:3] cbsz:4 abid:9
	global_load_dwordx4 v[18:21], v[42:43], off
	global_load_dwordx4 v[22:25], v[42:43], off offset:16
	s_waitcnt vmcnt(16)
	v_mfma_f32_4x4x4_16b_f16 a[0:3], v[74:75], v[52:53], a[0:3] cbsz:4 abid:10
	s_nop 1
	v_mfma_f32_4x4x4_16b_f16 a[0:3], v[76:77], v[54:55], a[0:3] cbsz:4 abid:10
	s_waitcnt vmcnt(15)
	s_nop 0
	v_mfma_f32_4x4x4_16b_f16 a[0:3], v[74:75], v[56:57], a[0:3] cbsz:4 abid:11
	global_load_dwordx4 v[50:53], v[42:43], off offset:2048
	global_load_dwordx4 v[54:57], v[42:43], off offset:2064
	v_mfma_f32_4x4x4_16b_f16 a[0:3], v[76:77], v[58:59], a[0:3] cbsz:4 abid:11
	global_load_dwordx4 v[42:45], v[70:71], off
	global_load_dwordx4 v[26:29], v[70:71], off offset:16
	s_waitcnt vmcnt(18)
	v_mfma_f32_4x4x4_16b_f16 a[0:3], v[74:75], v[60:61], a[0:3] cbsz:4 abid:12
	s_nop 1
	v_mfma_f32_4x4x4_16b_f16 a[0:3], v[76:77], v[62:63], a[0:3] cbsz:4 abid:12
	global_load_dwordx4 v[58:61], v[70:71], off offset:2048
	global_load_dwordx4 v[62:65], v[70:71], off offset:2064
	s_waitcnt vmcnt(19)
	v_mfma_f32_4x4x4_16b_f16 a[0:3], v[74:75], v[78:79], a[0:3] cbsz:4 abid:13
	s_nop 1
	v_mfma_f32_4x4x4_16b_f16 a[0:3], v[76:77], v[80:81], a[0:3] cbsz:4 abid:13
	s_waitcnt vmcnt(17)
	s_nop 0
	v_mfma_f32_4x4x4_16b_f16 a[0:3], v[74:75], v[82:83], a[0:3] cbsz:4 abid:14
	s_nop 1
	v_mfma_f32_4x4x4_16b_f16 a[0:3], v[76:77], v[84:85], a[0:3] cbsz:4 abid:14
	s_waitcnt vmcnt(16)
	s_nop 0
	v_mfma_f32_4x4x4_16b_f16 a[0:3], v[74:75], v[86:87], a[0:3] cbsz:4 abid:15
	s_nop 1
	v_mfma_f32_4x4x4_16b_f16 a[0:3], v[76:77], v[88:89], a[0:3] cbsz:4 abid:15
	s_nop 4
	v_accvgpr_read_b32 v71, a1
	v_accvgpr_read_b32 v70, a0
	s_waitcnt lgkmcnt(0)
	v_pk_mul_f32 v[70:71], s[0:1], v[70:71] op_sel_hi:[0,1]
	v_accvgpr_read_b32 v75, a3
	v_accvgpr_read_b32 v74, a2
	v_pk_mul_f32 v[74:75], s[0:1], v[74:75] op_sel_hi:[0,1]
	v_mfma_f32_4x4x1_16b_f32 a[0:3], v70, v69, 0
	v_cvt_f32_i32_e32 v69, v96
	s_nop 0
	v_mfma_f32_4x4x1_16b_f32 a[0:3], v71, v90, a[0:3]
	v_cvt_f32_i32_e32 v71, v98
	v_cvt_f32_i32_e32 v70, v97
	v_mfma_f32_4x4x1_16b_f32 a[0:3], v74, v91, a[0:3]
	s_nop 1
	v_mfma_f32_4x4x1_16b_f32 a[0:3], v75, v92, a[0:3]
	s_nop 3
	v_accvgpr_read_b32 v74, a0
	v_fma_f32 v74, v99, v67, v74
	v_accvgpr_read_b32 v75, a1
	v_accvgpr_read_b32 v77, a3
	v_max_f32_e32 v67, 0xff7fffff, v74
	v_fma_f32 v69, v99, v69, v75
	v_fmac_f32_e32 v77, v99, v71
	v_cndmask_b32_e32 v67, v94, v67, vcc
	v_or_b32_e32 v71, 1, v93
	v_accvgpr_read_b32 v76, a2
	v_max_f32_e32 v75, v67, v69
	v_cmp_gt_i32_e64 s[0:1], s3, v71
	v_fma_f32 v70, v99, v70, v76
	v_or_b32_e32 v71, 2, v93
	v_cndmask_b32_e64 v67, v67, v75, s[0:1]
	v_max_f32_e32 v75, v67, v70
	v_cmp_gt_i32_e64 s[4:5], s3, v71
	s_nop 1
	v_cndmask_b32_e64 v67, v67, v75, s[4:5]
	v_max_f32_e32 v71, v67, v77
	v_cndmask_b32_e64 v67, v67, v71, s[8:9]
	;;#ASMSTART
	v_nop
 v_nop
 v_max_f32_dpp v67, v67, v67 row_ror:4
	;;#ASMEND
	v_lshlrev_b32_e32 v75, 2, v95
	;;#ASMSTART
	v_nop
 v_nop
 v_max_f32_dpp v67, v67, v67 row_ror:8
	;;#ASMEND
	ds_bpermute_b32 v67, v75, v67
	s_waitcnt lgkmcnt(0)
	;;#ASMSTART
	v_nop
 v_nop
 v_max_f32_dpp v67, v67, v67 row_ror:4
	;;#ASMEND
	s_nop 0
	;;#ASMSTART
	v_nop
 v_nop
 v_max_f32_dpp v67, v67, v67 row_ror:8
	;;#ASMEND
	s_nop 0
	v_sub_f32_e32 v68, v74, v67
	v_mul_f32_e32 v68, 0x3fb8aa3b, v68
	v_sub_f32_e32 v69, v69, v67
	v_exp_f32_e32 v68, v68
	v_mul_f32_e32 v69, 0x3fb8aa3b, v69
	v_sub_f32_e32 v70, v70, v67
	v_exp_f32_e32 v69, v69
	v_mul_f32_e32 v70, 0x3fb8aa3b, v70
	v_sub_f32_e32 v74, v77, v67
	v_exp_f32_e32 v70, v70
	v_mul_f32_e32 v74, 0x3fb8aa3b, v74
	v_exp_f32_e32 v74, v74
	v_cndmask_b32_e32 v68, 0, v68, vcc
	v_add_f32_e32 v71, 0, v68
	v_cndmask_b32_e64 v69, 0, v69, s[0:1]
	v_add_f32_e32 v71, v71, v69
	v_cndmask_b32_e64 v70, 0, v70, s[4:5]
	;; [unrolled: 2-line block ×3, first 2 shown]
	v_add_f32_e32 v74, v76, v71
	;;#ASMSTART
	v_nop
 v_nop
 v_add_f32_dpp v74, v74, v74 row_ror:4
	;;#ASMEND
	v_cmp_gt_u32_e32 vcc, 4, v1
	;;#ASMSTART
	v_nop
 v_nop
 v_add_f32_dpp v74, v74, v74 row_ror:8
	;;#ASMEND
	ds_bpermute_b32 v74, v75, v74
	s_waitcnt lgkmcnt(0)
	;;#ASMSTART
	v_nop
 v_nop
 v_add_f32_dpp v74, v74, v74 row_ror:4
	;;#ASMEND
	s_nop 0
	;;#ASMSTART
	v_nop
 v_nop
 v_add_f32_dpp v74, v74, v74 row_ror:8
	;;#ASMEND
	s_and_saveexec_b64 s[0:1], vcc
	s_cbranch_execz .LBB195_12
; %bb.11:
	v_mul_u32_u24_e32 v75, 20, v72
	v_lshl_add_u32 v75, v73, 2, v75
	v_add_u32_e32 v75, 0x1400, v75
	ds_write2_b32 v75, v67, v74 offset1:20
.LBB195_12:
	s_or_b64 exec, exec, s[0:1]
.LBB195_13:
	s_or_b64 exec, exec, s[26:27]
	v_lshlrev_b32_e32 v73, 2, v73
	v_add_u32_e32 v80, 0x1400, v73
	s_waitcnt lgkmcnt(0)
	s_barrier
	s_load_dword s0, s[24:25], 0x8
	ds_read2_b32 v[74:75], v80 offset1:5
	ds_read2_b32 v[76:77], v80 offset0:10 offset1:15
	s_mov_b32 s4, 0xff7fffff
	s_mul_i32 s1, s2, s40
	ds_read2_b32 v[78:79], v80 offset0:20 offset1:25
	s_waitcnt lgkmcnt(0)
	v_max3_f32 v73, v74, s4, v75
	v_max3_f32 v73, v73, v76, v77
	s_mul_i32 s1, s1, s0
	v_sub_f32_e32 v74, v74, v73
	s_lshl_b32 s0, s1, 2
	s_mov_b32 s1, 0
	v_mul_f32_e32 v74, 0x3fb8aa3b, v74
	v_sub_f32_e32 v75, v75, v73
	s_lshl_b64 s[2:3], s[0:1], 2
	v_exp_f32_e32 v74, v74
	v_mul_f32_e32 v75, 0x3fb8aa3b, v75
	v_sub_f32_e32 v76, v76, v73
	s_add_u32 s8, s12, s2
	v_exp_f32_e32 v75, v75
	ds_read2_b32 v[80:81], v80 offset0:30 offset1:35
	v_mul_f32_e32 v76, 0x3fb8aa3b, v76
	v_sub_f32_e32 v77, v77, v73
	s_addc_u32 s9, s13, s3
	v_exp_f32_e32 v76, v76
	v_mul_f32_e32 v77, 0x3fb8aa3b, v77
	s_mov_b32 s21, s1
	s_add_u32 s4, s14, s2
	v_exp_f32_e32 v77, v77
	s_addc_u32 s5, s15, s3
	s_lshl_b64 s[2:3], s[20:21], 2
	v_fma_f32 v74, v74, v78, 0
	s_add_u32 s4, s4, s2
	v_fmac_f32_e32 v74, v75, v79
	s_addc_u32 s5, s5, s3
	s_waitcnt lgkmcnt(0)
	v_fmac_f32_e32 v74, v76, v80
	v_fmac_f32_e32 v74, v77, v81
	s_add_u32 s2, s8, s2
	v_mul_lo_u32 v76, s40, v66
	v_mov_b32_e32 v77, 0
	s_addc_u32 s3, s9, s3
	v_lshlrev_b64 v[76:77], 2, v[76:77]
	v_lshl_add_u64 v[78:79], s[4:5], 0, v[76:77]
	v_lshl_add_u64 v[76:77], s[2:3], 0, v[76:77]
	v_lshlrev_b32_e32 v66, 3, v72
	global_store_dword v[78:79], v73, off
	global_store_dword v[76:77], v74, off
	s_and_saveexec_b64 s[2:3], s[6:7]
	s_xor_b64 s[2:3], exec, s[2:3]
	s_cbranch_execz .LBB195_15
; %bb.14:
	s_mov_b32 s4, s1
	s_mov_b32 s5, s1
	s_waitcnt vmcnt(17)
	v_mad_u32_u24 v4, v1, 40, v66
	v_mov_b64_e32 v[2:3], s[4:5]
	ds_write2st64_b64 v4, v[2:3], v[2:3] offset1:5
                                        ; implicit-def: $vgpr71
                                        ; implicit-def: $vgpr69
                                        ; implicit-def: $vgpr43
                                        ; implicit-def: $vgpr27
                                        ; implicit-def: $vgpr3
                                        ; implicit-def: $vgpr7
                                        ; implicit-def: $vgpr11
                                        ; implicit-def: $vgpr15
                                        ; implicit-def: $vgpr19
                                        ; implicit-def: $vgpr23
                                        ; implicit-def: $vgpr59
                                        ; implicit-def: $vgpr63
                                        ; implicit-def: $vgpr31
                                        ; implicit-def: $vgpr35
                                        ; implicit-def: $vgpr39
                                        ; implicit-def: $vgpr47
                                        ; implicit-def: $vgpr51
                                        ; implicit-def: $vgpr55
                                        ; implicit-def: $vgpr67
                                        ; implicit-def: $vgpr73
                                        ; implicit-def: $vgpr74
                                        ; implicit-def: $vgpr66
.LBB195_15:
	s_andn2_saveexec_b64 s[2:3], s[2:3]
	s_cbranch_execz .LBB195_17
; %bb.16:
	v_add_f32_e32 v72, 0x358637bd, v74
	v_div_scale_f32 v74, s[4:5], v72, v72, 1.0
	v_rcp_f32_e32 v75, v74
	v_sub_f32_e32 v67, v67, v73
	v_mul_f32_e32 v67, 0x3fb8aa3b, v67
	v_exp_f32_e32 v67, v67
	v_fma_f32 v73, -v74, v75, 1.0
	v_fmac_f32_e32 v75, v73, v75
	v_div_scale_f32 v73, vcc, 1.0, v72, 1.0
	v_mul_f32_e32 v76, v73, v75
	v_fma_f32 v77, -v74, v76, v73
	v_fmac_f32_e32 v76, v77, v75
	v_fma_f32 v73, -v74, v76, v73
	v_div_fmas_f32 v73, v73, v75, v76
	v_div_fixup_f32 v72, v73, v72, 1.0
	v_mul_f32_e32 v72, v67, v72
	v_pk_mul_f32 v[70:71], v[70:71], v[72:73] op_sel_hi:[1,0]
	v_pk_mul_f32 v[68:69], v[68:69], v[72:73] op_sel_hi:[1,0]
	s_nop 0
	v_cvt_f16_f32_e32 v67, v68
	v_cvt_f16_f32_e32 v68, v69
	;; [unrolled: 1-line block ×4, first 2 shown]
	v_pack_b32_f16 v68, v67, v68
	v_pack_b32_f16 v69, v69, v70
	s_waitcnt vmcnt(5)
	s_nop 0
	v_mfma_f32_4x4x4_16b_f16 a[0:3], v[68:69], v[42:43], 0 cbsz:4
	s_nop 1
	v_mfma_f32_4x4x4_16b_f16 a[0:3], v[68:69], v[44:45], a[0:3] cbsz:4 abid:1
	s_waitcnt vmcnt(3)
	v_mfma_f32_4x4x4_16b_f16 a[4:7], v[68:69], v[58:59], 0 cbsz:4
	v_mfma_f32_4x4x4_16b_f16 a[0:3], v[68:69], v[26:27], a[0:3] cbsz:4 abid:2
	s_nop 0
	v_mfma_f32_4x4x4_16b_f16 a[4:7], v[68:69], v[60:61], a[4:7] cbsz:4 abid:1
	v_mfma_f32_4x4x4_16b_f16 a[0:3], v[68:69], v[28:29], a[0:3] cbsz:4 abid:3
	s_waitcnt vmcnt(2)
	v_mfma_f32_4x4x4_16b_f16 a[4:7], v[68:69], v[62:63], a[4:7] cbsz:4 abid:2
	v_mfma_f32_4x4x4_16b_f16 a[0:3], v[68:69], v[2:3], a[0:3] cbsz:4 abid:4
	s_nop 0
	v_mfma_f32_4x4x4_16b_f16 a[4:7], v[68:69], v[64:65], a[4:7] cbsz:4 abid:3
	v_mfma_f32_4x4x4_16b_f16 a[0:3], v[68:69], v[4:5], a[0:3] cbsz:4 abid:5
	s_nop 0
	;; [unrolled: 3-line block ×3, first 2 shown]
	v_mfma_f32_4x4x4_16b_f16 a[4:7], v[68:69], v[32:33], a[4:7] cbsz:4 abid:5
	v_mfma_f32_4x4x4_16b_f16 a[0:3], v[68:69], v[8:9], a[0:3] cbsz:4 abid:7
	v_mad_u32_u24 v9, v1, 40, v66
	v_mfma_f32_4x4x4_16b_f16 a[4:7], v[68:69], v[34:35], a[4:7] cbsz:4 abid:6
	v_mfma_f32_4x4x4_16b_f16 a[0:3], v[68:69], v[10:11], a[0:3] cbsz:4 abid:8
	s_nop 0
	v_mfma_f32_4x4x4_16b_f16 a[4:7], v[68:69], v[36:37], a[4:7] cbsz:4 abid:7
	v_mfma_f32_4x4x4_16b_f16 a[0:3], v[68:69], v[12:13], a[0:3] cbsz:4 abid:9
	s_nop 0
	;; [unrolled: 3-line block ×7, first 2 shown]
	v_mfma_f32_4x4x4_16b_f16 a[0:3], v[68:69], v[24:25], a[0:3] cbsz:4 abid:15
	s_nop 4
	v_accvgpr_read_b32 v2, a0
	v_accvgpr_read_b32 v3, a1
	;; [unrolled: 1-line block ×4, first 2 shown]
	v_mfma_f32_4x4x4_16b_f16 a[0:3], v[68:69], v[52:53], a[4:7] cbsz:4 abid:13
	v_cvt_f16_f32_e32 v2, v2
	v_cvt_f16_f32_e32 v3, v3
	v_mfma_f32_4x4x4_16b_f16 a[0:3], v[68:69], v[54:55], a[0:3] cbsz:4 abid:14
	v_pack_b32_f16 v2, v2, v3
	s_nop 0
	v_mfma_f32_4x4x4_16b_f16 a[0:3], v[68:69], v[56:57], a[0:3] cbsz:4 abid:15
	v_cvt_f16_f32_e32 v3, v4
	v_cvt_f16_f32_e32 v4, v5
	v_pack_b32_f16 v3, v3, v4
	s_nop 1
	v_accvgpr_read_b32 v5, a0
	v_accvgpr_read_b32 v6, a1
	v_accvgpr_read_b32 v7, a2
	v_accvgpr_read_b32 v8, a3
	v_cvt_f16_f32_e32 v5, v5
	v_cvt_f16_f32_e32 v6, v6
	;; [unrolled: 1-line block ×4, first 2 shown]
	v_pack_b32_f16 v4, v5, v6
	v_pack_b32_f16 v5, v7, v8
	ds_write2st64_b64 v9, v[2:3], v[4:5] offset1:5
.LBB195_17:
	s_or_b64 exec, exec, s[2:3]
	v_cmp_gt_u32_e32 vcc, 64, v0
	s_waitcnt lgkmcnt(0)
	s_barrier
	s_and_saveexec_b64 s[2:3], vcc
	s_cbranch_execz .LBB195_19
; %bb.18:
	s_waitcnt vmcnt(16)
	v_mul_u32_u24_e32 v6, 40, v1
	ds_read2_b64 v[2:5], v6 offset1:1
	ds_read2_b64 v[6:9], v6 offset0:2 offset1:3
	s_lshl_b32 s0, s0, 7
	s_lshl_b64 s[2:3], s[0:1], 1
	s_add_u32 s2, s22, s2
	s_waitcnt lgkmcnt(1)
	v_pk_add_f16 v2, v2, 0
	v_pk_add_f16 v3, v3, 0
	;; [unrolled: 1-line block ×4, first 2 shown]
	s_waitcnt lgkmcnt(0)
	v_pk_add_f16 v2, v2, v6
	v_pk_add_f16 v6, v3, v7
	s_waitcnt vmcnt(13)
	v_pk_add_f16 v10, v2, v8
	v_mov_b32_e32 v2, 0xa00
	v_mad_u32_u24 v2, v1, 40, v2
	ds_read2_b64 v[2:5], v2 offset1:1
	v_pk_add_f16 v11, v6, v9
	v_mov_b32_e32 v6, 0xa10
	v_mad_u32_u24 v1, v1, 40, v6
	ds_read2_b64 v[6:9], v1 offset1:1
	s_addc_u32 s3, s23, s3
	s_lshl_b32 s0, s20, 7
	s_lshl_b64 s[0:1], s[0:1], 1
	s_waitcnt lgkmcnt(1)
	v_pk_add_f16 v1, v2, 0
	v_pk_add_f16 v2, v3, 0
	s_add_u32 s0, s2, s0
	v_pk_add_f16 v2, v2, v5
	s_addc_u32 s1, s3, s1
	s_lshl_b32 s2, s40, 7
	s_waitcnt lgkmcnt(0)
	v_pk_add_f16 v2, v2, v7
	s_mul_i32 s3, s2, s33
	v_pk_add_f16 v13, v2, v9
	v_or_b32_e32 v2, s3, v0
	v_mov_b32_e32 v3, 0
	s_add_i32 s3, s3, s2
	v_pk_add_f16 v1, v1, v4
	v_lshl_add_u64 v[4:5], v[2:3], 1, s[0:1]
	v_or_b32_e32 v2, s3, v0
	s_add_i32 s3, s3, s2
	v_pk_add_f16 v1, v1, v6
	v_lshl_add_u64 v[6:7], v[2:3], 1, s[0:1]
	v_or_b32_e32 v2, s3, v0
	;; [unrolled: 4-line block ×3, first 2 shown]
	v_lshl_add_u64 v[0:1], v[2:3], 1, s[0:1]
	global_store_short v[4:5], v10, off
	global_store_short_d16_hi v[6:7], v10, off
	global_store_short v[8:9], v11, off
	global_store_short_d16_hi v[0:1], v11, off
	global_store_short v[4:5], v12, off offset:128
	global_store_short_d16_hi v[6:7], v12, off offset:128
	global_store_short v[8:9], v13, off offset:128
	global_store_short_d16_hi v[0:1], v13, off offset:128
.LBB195_19:
	s_endpgm
.LBB195_20:
	s_mov_b64 s[12:13], 0
                                        ; implicit-def: $sgpr34_sgpr35
	s_branch .LBB195_2
	.section	.rodata,"a",@progbits
	.p2align	6, 0x0
	.amdhsa_kernel _Z38paged_attention_ll4mi_QKV_mfma4_kernelIDF16_DF16_LN4vllm18Fp8KVCacheDataTypeE0EhLi16ELi128ELi256ELb1ELi4EEvPKT_PKT0_S7_ifPKiS9_S9_iPKfiiiPfSC_PS2_PT2_iSB_SB_
		.amdhsa_group_segment_fixed_size 5280
		.amdhsa_private_segment_fixed_size 0
		.amdhsa_kernarg_size 400
		.amdhsa_user_sgpr_count 2
		.amdhsa_user_sgpr_dispatch_ptr 0
		.amdhsa_user_sgpr_queue_ptr 0
		.amdhsa_user_sgpr_kernarg_segment_ptr 1
		.amdhsa_user_sgpr_dispatch_id 0
		.amdhsa_user_sgpr_kernarg_preload_length 0
		.amdhsa_user_sgpr_kernarg_preload_offset 0
		.amdhsa_user_sgpr_private_segment_size 0
		.amdhsa_uses_dynamic_stack 0
		.amdhsa_enable_private_segment 0
		.amdhsa_system_sgpr_workgroup_id_x 1
		.amdhsa_system_sgpr_workgroup_id_y 1
		.amdhsa_system_sgpr_workgroup_id_z 1
		.amdhsa_system_sgpr_workgroup_info 0
		.amdhsa_system_vgpr_workitem_id 0
		.amdhsa_next_free_vgpr 112
		.amdhsa_next_free_sgpr 41
		.amdhsa_accum_offset 104
		.amdhsa_reserve_vcc 1
		.amdhsa_float_round_mode_32 0
		.amdhsa_float_round_mode_16_64 0
		.amdhsa_float_denorm_mode_32 3
		.amdhsa_float_denorm_mode_16_64 3
		.amdhsa_dx10_clamp 1
		.amdhsa_ieee_mode 1
		.amdhsa_fp16_overflow 0
		.amdhsa_tg_split 0
		.amdhsa_exception_fp_ieee_invalid_op 0
		.amdhsa_exception_fp_denorm_src 0
		.amdhsa_exception_fp_ieee_div_zero 0
		.amdhsa_exception_fp_ieee_overflow 0
		.amdhsa_exception_fp_ieee_underflow 0
		.amdhsa_exception_fp_ieee_inexact 0
		.amdhsa_exception_int_div_zero 0
	.end_amdhsa_kernel
	.section	.text._Z38paged_attention_ll4mi_QKV_mfma4_kernelIDF16_DF16_LN4vllm18Fp8KVCacheDataTypeE0EhLi16ELi128ELi256ELb1ELi4EEvPKT_PKT0_S7_ifPKiS9_S9_iPKfiiiPfSC_PS2_PT2_iSB_SB_,"axG",@progbits,_Z38paged_attention_ll4mi_QKV_mfma4_kernelIDF16_DF16_LN4vllm18Fp8KVCacheDataTypeE0EhLi16ELi128ELi256ELb1ELi4EEvPKT_PKT0_S7_ifPKiS9_S9_iPKfiiiPfSC_PS2_PT2_iSB_SB_,comdat
.Lfunc_end195:
	.size	_Z38paged_attention_ll4mi_QKV_mfma4_kernelIDF16_DF16_LN4vllm18Fp8KVCacheDataTypeE0EhLi16ELi128ELi256ELb1ELi4EEvPKT_PKT0_S7_ifPKiS9_S9_iPKfiiiPfSC_PS2_PT2_iSB_SB_, .Lfunc_end195-_Z38paged_attention_ll4mi_QKV_mfma4_kernelIDF16_DF16_LN4vllm18Fp8KVCacheDataTypeE0EhLi16ELi128ELi256ELb1ELi4EEvPKT_PKT0_S7_ifPKiS9_S9_iPKfiiiPfSC_PS2_PT2_iSB_SB_
                                        ; -- End function
	.section	.AMDGPU.csdata,"",@progbits
; Kernel info:
; codeLenInByte = 3936
; NumSgprs: 47
; NumVgprs: 101
; NumAgprs: 8
; TotalNumVgprs: 112
; ScratchSize: 0
; MemoryBound: 0
; FloatMode: 240
; IeeeMode: 1
; LDSByteSize: 5280 bytes/workgroup (compile time only)
; SGPRBlocks: 5
; VGPRBlocks: 13
; NumSGPRsForWavesPerEU: 47
; NumVGPRsForWavesPerEU: 112
; AccumOffset: 104
; Occupancy: 4
; WaveLimiterHint : 1
; COMPUTE_PGM_RSRC2:SCRATCH_EN: 0
; COMPUTE_PGM_RSRC2:USER_SGPR: 2
; COMPUTE_PGM_RSRC2:TRAP_HANDLER: 0
; COMPUTE_PGM_RSRC2:TGID_X_EN: 1
; COMPUTE_PGM_RSRC2:TGID_Y_EN: 1
; COMPUTE_PGM_RSRC2:TGID_Z_EN: 1
; COMPUTE_PGM_RSRC2:TIDIG_COMP_CNT: 0
; COMPUTE_PGM_RSRC3_GFX90A:ACCUM_OFFSET: 25
; COMPUTE_PGM_RSRC3_GFX90A:TG_SPLIT: 0
	.section	.text._Z39paged_attention_ll4mi_QKV_mfma16_kernelIDF16_DF16_LN4vllm18Fp8KVCacheDataTypeE0EhLi16ELi128ELi256ELb1ELi5EEvPKT_PKT0_S7_ifPKiS9_S9_iPKfiiiPfSC_PS2_PT2_iSB_SB_,"axG",@progbits,_Z39paged_attention_ll4mi_QKV_mfma16_kernelIDF16_DF16_LN4vllm18Fp8KVCacheDataTypeE0EhLi16ELi128ELi256ELb1ELi5EEvPKT_PKT0_S7_ifPKiS9_S9_iPKfiiiPfSC_PS2_PT2_iSB_SB_,comdat
	.protected	_Z39paged_attention_ll4mi_QKV_mfma16_kernelIDF16_DF16_LN4vllm18Fp8KVCacheDataTypeE0EhLi16ELi128ELi256ELb1ELi5EEvPKT_PKT0_S7_ifPKiS9_S9_iPKfiiiPfSC_PS2_PT2_iSB_SB_ ; -- Begin function _Z39paged_attention_ll4mi_QKV_mfma16_kernelIDF16_DF16_LN4vllm18Fp8KVCacheDataTypeE0EhLi16ELi128ELi256ELb1ELi5EEvPKT_PKT0_S7_ifPKiS9_S9_iPKfiiiPfSC_PS2_PT2_iSB_SB_
	.globl	_Z39paged_attention_ll4mi_QKV_mfma16_kernelIDF16_DF16_LN4vllm18Fp8KVCacheDataTypeE0EhLi16ELi128ELi256ELb1ELi5EEvPKT_PKT0_S7_ifPKiS9_S9_iPKfiiiPfSC_PS2_PT2_iSB_SB_
	.p2align	8
	.type	_Z39paged_attention_ll4mi_QKV_mfma16_kernelIDF16_DF16_LN4vllm18Fp8KVCacheDataTypeE0EhLi16ELi128ELi256ELb1ELi5EEvPKT_PKT0_S7_ifPKiS9_S9_iPKfiiiPfSC_PS2_PT2_iSB_SB_,@function
_Z39paged_attention_ll4mi_QKV_mfma16_kernelIDF16_DF16_LN4vllm18Fp8KVCacheDataTypeE0EhLi16ELi128ELi256ELb1ELi5EEvPKT_PKT0_S7_ifPKiS9_S9_iPKfiiiPfSC_PS2_PT2_iSB_SB_: ; @_Z39paged_attention_ll4mi_QKV_mfma16_kernelIDF16_DF16_LN4vllm18Fp8KVCacheDataTypeE0EhLi16ELi128ELi256ELb1ELi5EEvPKT_PKT0_S7_ifPKiS9_S9_iPKfiiiPfSC_PS2_PT2_iSB_SB_
; %bb.0:
	s_load_dwordx2 s[8:9], s[0:1], 0x30
	s_mov_b32 s26, s3
	s_mov_b64 s[6:7], 0
	s_waitcnt lgkmcnt(0)
	s_cmp_lg_u64 s[8:9], 0
	s_cselect_b64 s[10:11], -1, 0
	s_and_b64 vcc, exec, s[10:11]
	s_cbranch_vccz .LBB196_7
; %bb.1:
	s_add_i32 s12, s2, 1
	s_mov_b32 s13, 0
	s_lshl_b64 s[14:15], s[12:13], 2
	s_add_u32 s14, s8, s14
	s_mov_b32 s3, s13
	s_addc_u32 s15, s9, s15
	s_lshl_b64 s[12:13], s[2:3], 2
	s_add_u32 s12, s8, s12
	s_addc_u32 s13, s9, s13
	s_load_dword s5, s[14:15], 0x0
	s_load_dword s16, s[12:13], 0x0
	s_waitcnt lgkmcnt(0)
	s_sub_i32 s5, s5, s16
	s_cmp_eq_u32 s5, 1
	s_cselect_b64 s[12:13], -1, 0
	s_andn2_b64 vcc, exec, s[6:7]
	s_cbranch_vccnz .LBB196_3
.LBB196_2:
	s_mov_b32 s3, 0
	s_mov_b64 s[12:13], -1
.LBB196_3:
	s_andn2_b64 vcc, exec, s[12:13]
	s_cbranch_vccnz .LBB196_20
; %bb.4:
	s_load_dwordx2 s[6:7], s[0:1], 0x28
	s_lshl_b64 s[12:13], s[2:3], 2
	s_waitcnt lgkmcnt(0)
	s_add_u32 s6, s6, s12
	s_addc_u32 s7, s7, s13
	s_load_dword s27, s[6:7], 0x0
	s_lshl_b32 s18, s26, 8
	s_waitcnt lgkmcnt(0)
	s_cmp_ge_i32 s18, s27
	s_cbranch_scc1 .LBB196_20
; %bb.5:
	s_load_dwordx2 s[6:7], s[0:1], 0x20
	s_load_dword s5, s[0:1], 0x38
	s_add_i32 s14, s27, 15
	s_ashr_i32 s15, s14, 31
	v_and_b32_e32 v1, 0xcf, v0
	s_lshr_b32 s15, s15, 28
	v_add_u32_e32 v1, s18, v1
	s_add_i32 s14, s14, s15
	v_ashrrev_i32_e32 v2, 31, v1
	s_ashr_i32 s19, s14, 4
	v_lshrrev_b32_e32 v4, 28, v2
	s_add_i32 s19, s19, -1
	s_waitcnt lgkmcnt(0)
	s_mul_i32 s14, s2, s5
	s_mov_b32 s15, 0
	v_add_u32_e32 v2, v1, v4
	s_lshl_b64 s[14:15], s[14:15], 2
	v_ashrrev_i32_e32 v2, 4, v2
	v_mov_b32_e32 v5, s19
	v_cmp_gt_i32_e32 vcc, s27, v1
	s_add_u32 s6, s6, s14
	s_addc_u32 s7, s7, s15
	v_cndmask_b32_e32 v2, v5, v2, vcc
	v_ashrrev_i32_e32 v3, 31, v2
	v_lshl_add_u64 v[6:7], v[2:3], 2, s[6:7]
	v_or_b32_e32 v2, 16, v1
	v_add_u32_e32 v3, v2, v4
	v_ashrrev_i32_e32 v3, 4, v3
	v_cmp_gt_i32_e32 vcc, s27, v2
	s_load_dwordx2 s[14:15], s[0:1], 0x8
	s_nop 0
	v_cndmask_b32_e32 v2, v5, v3, vcc
	v_ashrrev_i32_e32 v3, 31, v2
	v_lshl_add_u64 v[8:9], v[2:3], 2, s[6:7]
	v_or_b32_e32 v2, 32, v1
	v_add_u32_e32 v3, v2, v4
	v_ashrrev_i32_e32 v3, 4, v3
	v_cmp_gt_i32_e32 vcc, s27, v2
	v_or_b32_e32 v1, 48, v1
	s_nop 0
	v_cndmask_b32_e32 v2, v5, v3, vcc
	v_ashrrev_i32_e32 v3, 31, v2
	v_lshl_add_u64 v[10:11], v[2:3], 2, s[6:7]
	v_add_u32_e32 v2, v1, v4
	v_ashrrev_i32_e32 v2, 4, v2
	v_cmp_gt_i32_e32 vcc, s27, v1
	s_nop 1
	v_cndmask_b32_e32 v2, v5, v2, vcc
	v_ashrrev_i32_e32 v3, 31, v2
	v_lshl_add_u64 v[12:13], v[2:3], 2, s[6:7]
	global_load_dword v5, v[6:7], off
	global_load_dword v4, v[8:9], off
	;; [unrolled: 1-line block ×4, first 2 shown]
	s_andn2_b64 vcc, exec, s[10:11]
	s_cbranch_vccnz .LBB196_8
; %bb.6:
	s_add_u32 s8, s8, s12
	s_addc_u32 s9, s9, s13
	s_load_dword s5, s[8:9], 0x0
	s_branch .LBB196_9
.LBB196_7:
	s_mov_b64 s[12:13], 0
	s_branch .LBB196_2
.LBB196_8:
	s_mov_b32 s5, s2
.LBB196_9:
	s_load_dwordx2 s[12:13], s[0:1], 0x10
	s_load_dwordx4 s[8:11], s[0:1], 0x48
	v_lshrrev_b32_e32 v85, 6, v0
	v_bfe_u32 v88, v0, 4, 2
	v_and_b32_e32 v84, 15, v0
	v_lshl_or_b32 v1, v85, 2, v88
	v_lshlrev_b32_e32 v6, 3, v84
	s_mul_i32 s40, s4, 5
	v_cmp_gt_u32_e32 vcc, 5, v1
	v_lshlrev_b32_e32 v82, 1, v6
	s_and_saveexec_b64 s[16:17], vcc
	s_cbranch_execz .LBB196_11
; %bb.10:
	s_load_dwordx2 s[20:21], s[0:1], 0x0
	s_waitcnt lgkmcnt(0)
	s_ashr_i32 s11, s8, 31
	s_mul_hi_u32 s22, s5, s8
	s_mul_i32 s11, s5, s11
	s_add_i32 s23, s22, s11
	s_mul_i32 s22, s5, s8
	s_lshl_b64 s[22:23], s[22:23], 1
	s_add_u32 s20, s20, s22
	v_add_lshl_u32 v6, v1, s40, 7
	s_addc_u32 s21, s21, s23
	v_ashrrev_i32_e32 v7, 31, v6
	v_lshl_add_u64 v[6:7], v[6:7], 1, s[20:21]
	v_mov_b32_e32 v83, 0
	v_lshl_add_u64 v[6:7], v[6:7], 0, v[82:83]
	global_load_dwordx4 v[6:9], v[6:7], off
	v_and_b32_e32 v10, 3, v0
	v_lshlrev_b32_e32 v11, 9, v84
	v_lshlrev_b32_e32 v1, 5, v1
	;; [unrolled: 1-line block ×3, first 2 shown]
	v_and_b32_e32 v11, 0x1800, v11
	v_or3_b32 v1, v11, v10, v1
	s_waitcnt vmcnt(0)
	ds_write_b128 v1, v[6:9]
.LBB196_11:
	s_or_b64 exec, exec, s[16:17]
	s_waitcnt lgkmcnt(0)
	s_mul_i32 s4, s4, s10
	s_mov_b32 s5, 0
	s_lshl_b64 s[4:5], s[4:5], 1
	s_add_u32 s10, s14, s4
	v_lshlrev_b32_e32 v1, 4, v0
	s_addc_u32 s11, s15, s5
	v_and_b32_e32 v86, 0xf0, v1
	v_mov_b32_e32 v87, 0
	v_lshl_add_u64 v[6:7], s[10:11], 0, v[86:87]
	s_waitcnt vmcnt(3)
	v_mad_i64_i32 v[8:9], s[10:11], v5, s9, 0
	s_waitcnt vmcnt(2)
	v_mad_i64_i32 v[4:5], s[10:11], v4, s9, 0
	v_lshl_add_u64 v[8:9], v[8:9], 1, v[6:7]
	v_and_b32_e32 v86, 0x300, v1
	v_lshl_add_u64 v[4:5], v[4:5], 1, v[6:7]
	v_lshl_add_u64 v[8:9], v[8:9], 0, v[86:87]
	;; [unrolled: 1-line block ×3, first 2 shown]
	s_barrier
	global_load_dwordx4 v[78:81], v[8:9], off
	global_load_dwordx4 v[74:77], v[8:9], off offset:1024
	global_load_dwordx4 v[70:73], v[8:9], off offset:2048
	global_load_dwordx4 v[10:13], v[8:9], off offset:3072
	global_load_dwordx4 v[66:69], v[4:5], off
	global_load_dwordx4 v[62:65], v[4:5], off offset:1024
	global_load_dwordx4 v[58:61], v[4:5], off offset:2048
	;; [unrolled: 1-line block ×3, first 2 shown]
	s_waitcnt vmcnt(9)
	v_mad_i64_i32 v[4:5], s[10:11], v3, s9, 0
	s_waitcnt vmcnt(8)
	v_mad_i64_i32 v[2:3], s[10:11], v2, s9, 0
	v_lshl_add_u64 v[4:5], v[4:5], 1, v[6:7]
	v_lshl_add_u64 v[2:3], v[2:3], 1, v[6:7]
	;; [unrolled: 1-line block ×4, first 2 shown]
	global_load_dwordx4 v[30:33], v[4:5], off
	global_load_dwordx4 v[26:29], v[4:5], off offset:1024
	global_load_dwordx4 v[22:25], v[4:5], off offset:2048
	;; [unrolled: 1-line block ×3, first 2 shown]
	global_load_dwordx4 v[6:9], v[34:35], off
	s_nop 0
	global_load_dwordx4 v[2:5], v[34:35], off offset:1024
	global_load_dwordx4 v[38:41], v[34:35], off offset:2048
	s_nop 0
	global_load_dwordx4 v[34:37], v[34:35], off offset:3072
	v_mul_lo_u16_e32 v42, 52, v84
	v_mov_b32_e32 v43, 5
	v_mul_lo_u16_sdwa v42, v42, v43 dst_sel:DWORD dst_unused:UNUSED_PAD src0_sel:BYTE_1 src1_sel:DWORD
	v_sub_u16_e32 v42, v84, v42
	v_lshlrev_b32_sdwa v42, v43, v42 dst_sel:DWORD dst_unused:UNUSED_PAD src0_sel:DWORD src1_sel:BYTE_0
	v_lshl_add_u32 v42, v88, 9, v42
	ds_read_b128 v[54:57], v42
	ds_read_b128 v[50:53], v42 offset:2048
	ds_read_b128 v[46:49], v42 offset:4096
	;; [unrolled: 1-line block ×3, first 2 shown]
	v_and_b32_e32 v83, 63, v0
	v_cmp_gt_u32_e32 vcc, 5, v84
	v_mov_b32_e32 v89, 0
	s_and_saveexec_b64 s[10:11], vcc
	s_cbranch_execz .LBB196_13
; %bb.12:
	s_load_dwordx2 s[14:15], s[0:1], 0x40
	v_add_u32_e32 v90, s40, v84
	v_ashrrev_i32_e32 v91, 31, v90
	s_waitcnt lgkmcnt(0)
	v_lshl_add_u64 v[90:91], v[90:91], 2, s[14:15]
	global_load_dword v89, v[90:91], off
.LBB196_13:
	s_or_b64 exec, exec, s[10:11]
	s_waitcnt vmcnt(15) lgkmcnt(3)
	v_mfma_f32_16x16x16_f16 v[90:93], v[78:79], v[54:55], 0
	s_add_u32 s4, s12, s4
	s_addc_u32 s5, s13, s5
	s_mov_b32 s33, 0xff7fffff
	v_mfma_f32_16x16x16_f16 v[78:81], v[80:81], v[56:57], v[90:93]
	s_waitcnt vmcnt(14) lgkmcnt(2)
	v_mfma_f32_16x16x16_f16 v[78:81], v[74:75], v[50:51], v[78:81]
	s_nop 0
	v_lshl_or_b32 v90, v85, 4, v84
	v_lshlrev_b32_e32 v86, 5, v90
	v_mfma_f32_16x16x16_f16 v[74:77], v[76:77], v[52:53], v[78:81]
	s_waitcnt vmcnt(13) lgkmcnt(1)
	v_mfma_f32_16x16x16_f16 v[74:77], v[70:71], v[46:47], v[74:77]
	v_mfma_f32_16x16x16_f16 v[70:73], v[72:73], v[48:49], v[74:77]
	s_waitcnt vmcnt(11)
	v_mfma_f32_16x16x16_f16 v[74:77], v[66:67], v[54:55], 0
	v_mfma_f32_16x16x16_f16 v[66:69], v[68:69], v[56:57], v[74:77]
	s_nop 5
	v_and_or_b32 v74, v0, 48, s18
	s_waitcnt lgkmcnt(0)
	v_mfma_f32_16x16x16_f16 v[70:73], v[10:11], v[42:43], v[70:73]
	v_ashrrev_i32_e32 v10, 4, v74
	v_mov_b32_e32 v75, s19
	v_cmp_gt_i32_e32 vcc, s27, v74
	s_waitcnt vmcnt(10)
	v_mfma_f32_16x16x16_f16 v[66:69], v[62:63], v[50:51], v[66:69]
	v_cndmask_b32_e32 v10, v75, v10, vcc
	v_ashrrev_i32_e32 v11, 31, v10
	v_lshl_add_u64 v[10:11], v[10:11], 2, s[6:7]
	global_load_dword v76, v[10:11], off
	v_mfma_f32_16x16x16_f16 v[62:65], v[64:65], v[52:53], v[66:69]
	v_or_b32_e32 v10, 64, v74
	v_ashrrev_i32_e32 v11, 4, v10
	v_cmp_gt_i32_e32 vcc, s27, v10
	s_waitcnt vmcnt(10)
	v_mfma_f32_16x16x16_f16 v[62:65], v[58:59], v[46:47], v[62:65]
	v_cndmask_b32_e32 v10, v75, v11, vcc
	v_ashrrev_i32_e32 v11, 31, v10
	v_lshl_add_u64 v[10:11], v[10:11], 2, s[6:7]
	global_load_dword v77, v[10:11], off
	v_or_b32_e32 v10, 0x80, v74
	v_mfma_f32_16x16x16_f16 v[58:61], v[60:61], v[48:49], v[62:65]
	v_ashrrev_i32_e32 v11, 4, v10
	v_cmp_gt_i32_e32 vcc, s27, v10
	s_waitcnt vmcnt(9)
	v_mfma_f32_16x16x16_f16 v[62:65], v[30:31], v[54:55], 0
	v_cndmask_b32_e32 v10, v75, v11, vcc
	v_ashrrev_i32_e32 v11, 31, v10
	v_lshl_add_u64 v[10:11], v[10:11], 2, s[6:7]
	v_mfma_f32_16x16x16_f16 v[30:33], v[32:33], v[56:57], v[62:65]
	s_nop 2
	global_load_dword v64, v[10:11], off
	v_or_b32_e32 v10, 0xc0, v74
	v_ashrrev_i32_e32 v11, 4, v10
	v_cmp_gt_i32_e32 vcc, s27, v10
	s_waitcnt vmcnt(9)
	v_mfma_f32_16x16x16_f16 v[30:33], v[26:27], v[50:51], v[30:33]
	v_lshl_add_u64 v[62:63], s[4:5], 0, v[86:87]
	v_cndmask_b32_e32 v10, v75, v11, vcc
	v_ashrrev_i32_e32 v11, 31, v10
	v_lshl_add_u64 v[10:11], v[10:11], 2, s[6:7]
	global_load_dword v65, v[10:11], off
	v_mfma_f32_16x16x16_f16 v[26:29], v[28:29], v[52:53], v[30:33]
	s_load_dword s6, s[0:1], 0x1c
	v_or_b32_e32 v86, 0x800, v86
	s_waitcnt vmcnt(3)
	v_mad_i64_i32 v[10:11], s[10:11], v76, s9, 0
	v_mfma_f32_16x16x16_f16 v[26:29], v[22:23], v[46:47], v[26:29]
	v_lshlrev_b64 v[74:75], 1, v[10:11]
	v_mfma_f32_16x16x16_f16 v[66:69], v[12:13], v[44:45], v[70:73]
	v_mfma_f32_16x16x16_f16 v[10:13], v[24:25], v[48:49], v[26:29]
	;; [unrolled: 1-line block ×3, first 2 shown]
	v_lshl_add_u64 v[14:15], v[62:63], 0, v[74:75]
	s_waitcnt lgkmcnt(0)
	s_nop 2
	v_pk_mul_f32 v[78:79], s[6:7], v[68:69] op_sel_hi:[0,1]
	v_mfma_f32_16x16x16_f16 v[10:13], v[18:19], v[42:43], v[10:13]
	v_mfma_f32_16x16x16_f16 v[70:73], v[16:17], v[44:45], v[30:33]
	s_nop 2
	global_load_dwordx4 v[30:33], v[14:15], off
	global_load_dwordx4 v[26:29], v[14:15], off offset:16
	s_waitcnt vmcnt(4)
	v_mad_i64_i32 v[14:15], s[10:11], v77, s9, 0
	v_lshlrev_b64 v[58:59], 1, v[14:15]
	v_mfma_f32_16x16x16_f16 v[92:95], v[20:21], v[44:45], v[10:13]
	v_pk_mul_f32 v[76:77], s[6:7], v[70:71] op_sel_hi:[0,1]
	s_nop 1
	v_lshl_add_u64 v[10:11], v[62:63], 0, v[58:59]
	global_load_dwordx4 v[22:25], v[10:11], off
	global_load_dwordx4 v[18:21], v[10:11], off offset:16
	v_mfma_f32_16x16x16_f16 v[10:13], v[6:7], v[54:55], 0
	s_waitcnt vmcnt(5)
	v_mad_i64_i32 v[6:7], s[10:11], v64, s9, 0
	v_lshlrev_b64 v[54:55], 1, v[6:7]
	v_mfma_f32_16x16x16_f16 v[6:9], v[8:9], v[56:57], v[10:13]
	v_pk_mul_f32 v[70:71], s[6:7], v[94:95] op_sel_hi:[0,1]
	v_mfma_f32_16x16x16_f16 v[6:9], v[2:3], v[50:51], v[6:9]
	s_waitcnt vmcnt(4)
	v_mad_i64_i32 v[2:3], s[8:9], v65, s9, 0
	v_lshlrev_b64 v[60:61], 1, v[2:3]
	v_mfma_f32_16x16x16_f16 v[50:53], v[4:5], v[52:53], v[6:9]
	v_lshl_add_u64 v[10:11], v[62:63], 0, v[54:55]
	v_lshl_add_u64 v[2:3], v[62:63], 0, v[60:61]
	v_pk_mul_f32 v[62:63], s[6:7], v[66:67] op_sel_hi:[0,1]
	v_mfma_f32_16x16x16_f16 v[50:53], v[38:39], v[46:47], v[50:53]
	v_lshl_add_u64 v[64:65], s[4:5], 0, v[86:87]
	v_lshl_add_u64 v[38:39], v[64:65], 0, v[74:75]
	v_pk_mul_f32 v[74:75], s[6:7], v[72:73] op_sel_hi:[0,1]
	v_mfma_f32_16x16x16_f16 v[46:49], v[40:41], v[48:49], v[50:53]
	v_pk_mul_f32 v[72:73], s[6:7], v[92:93] op_sel_hi:[0,1]
	global_load_dwordx4 v[14:17], v[10:11], off
	s_nop 0
	global_load_dwordx4 v[10:13], v[10:11], off offset:16
	s_nop 0
	global_load_dwordx4 v[6:9], v[2:3], off
	s_nop 0
	global_load_dwordx4 v[2:5], v[2:3], off offset:16
	v_mfma_f32_16x16x16_f16 v[40:43], v[34:35], v[42:43], v[46:49]
	v_mfma_f32_16x16x16_f16 v[34:37], v[36:37], v[44:45], v[40:43]
	s_nop 6
	v_pk_mul_f32 v[68:69], s[6:7], v[34:35] op_sel_hi:[0,1]
	v_and_b32_e32 v34, 0xc0, v0
	v_add_u32_e32 v34, s18, v34
	v_lshl_or_b32 v34, v88, 2, v34
	v_or_b32_e32 v35, 1, v34
	v_pk_mul_f32 v[66:67], s[6:7], v[36:37] op_sel_hi:[0,1]
	v_subrev_u32_e32 v36, s27, v35
	v_add_u32_e32 v40, 1, v36
	v_add_u32_e32 v41, 2, v36
	v_cvt_f32_i32_e32 v37, v36
	v_cvt_f32_i32_e32 v40, v40
	v_cvt_f32_i32_e32 v41, v41
	v_add_u32_e32 v42, 3, v36
	v_fma_f32 v62, v89, v37, v62
	v_fmac_f32_e32 v63, v89, v40
	v_fma_f32 v78, v89, v41, v78
	v_add_u32_e32 v37, 16, v36
	v_add_u32_e32 v40, 17, v36
	;; [unrolled: 1-line block ×3, first 2 shown]
	v_cvt_f32_i32_e32 v42, v42
	v_cvt_f32_i32_e32 v37, v37
	;; [unrolled: 1-line block ×4, first 2 shown]
	v_fmac_f32_e32 v79, v89, v42
	v_add_u32_e32 v42, 19, v36
	v_fma_f32 v76, v89, v37, v76
	v_fmac_f32_e32 v77, v89, v40
	v_fma_f32 v74, v89, v41, v74
	v_add_u32_e32 v37, 32, v36
	v_add_u32_e32 v40, 33, v36
	;; [unrolled: 1-line block ×3, first 2 shown]
	v_cvt_f32_i32_e32 v42, v42
	v_cvt_f32_i32_e32 v37, v37
	;; [unrolled: 1-line block ×4, first 2 shown]
	v_fmac_f32_e32 v75, v89, v42
	v_add_u32_e32 v42, 35, v36
	v_fma_f32 v72, v89, v37, v72
	v_fmac_f32_e32 v73, v89, v40
	v_fma_f32 v70, v89, v41, v70
	v_add_u32_e32 v37, 48, v36
	v_add_u32_e32 v40, 49, v36
	;; [unrolled: 1-line block ×4, first 2 shown]
	v_cvt_f32_i32_e32 v36, v36
	v_cvt_f32_i32_e32 v37, v37
	;; [unrolled: 1-line block ×3, first 2 shown]
	v_cmp_gt_i32_e64 s[28:29], s27, v34
	v_fmac_f32_e32 v67, v89, v36
	v_mov_b32_e32 v36, 0xff7fffff
	v_cmp_gt_i32_e64 s[30:31], s27, v35
	v_fma_f32 v68, v89, v37, v68
	v_cndmask_b32_e64 v37, v36, v62, s[28:29]
	v_cndmask_b32_e64 v35, v36, v63, s[30:31]
	v_fmac_f32_e32 v69, v89, v40
	v_max3_f32 v35, v37, s33, v35
	v_or_b32_e32 v37, 2, v34
	v_or_b32_e32 v40, 3, v34
	v_cmp_gt_i32_e64 s[34:35], s27, v37
	v_cmp_gt_i32_e64 s[36:37], s27, v40
	v_cvt_f32_i32_e32 v42, v42
	v_cndmask_b32_e64 v37, v36, v78, s[34:35]
	v_cndmask_b32_e64 v40, v36, v79, s[36:37]
	v_max3_f32 v35, v35, v37, v40
	v_or_b32_e32 v37, 16, v34
	v_or_b32_e32 v40, 17, v34
	v_cmp_gt_i32_e64 s[22:23], s27, v37
	v_cmp_gt_i32_e64 s[24:25], s27, v40
	v_fmac_f32_e32 v71, v89, v42
	v_cndmask_b32_e64 v37, v36, v76, s[22:23]
	v_cndmask_b32_e64 v40, v36, v77, s[24:25]
	v_max3_f32 v35, v35, v37, v40
	v_or_b32_e32 v37, 18, v34
	v_or_b32_e32 v40, 19, v34
	v_cmp_gt_i32_e64 s[18:19], s27, v37
	v_cmp_gt_i32_e64 s[20:21], s27, v40
	v_cvt_f32_i32_e32 v41, v41
	v_cndmask_b32_e64 v37, v36, v74, s[18:19]
	v_cndmask_b32_e64 v40, v36, v75, s[20:21]
	v_max3_f32 v35, v35, v37, v40
	v_or_b32_e32 v37, 32, v34
	v_or_b32_e32 v40, 33, v34
	v_cmp_gt_i32_e64 s[14:15], s27, v37
	v_cmp_gt_i32_e64 s[16:17], s27, v40
	v_fma_f32 v66, v89, v41, v66
	v_cndmask_b32_e64 v37, v36, v72, s[14:15]
	v_cndmask_b32_e64 v40, v36, v73, s[16:17]
	v_max3_f32 v35, v35, v37, v40
	v_or_b32_e32 v37, 34, v34
	v_or_b32_e32 v40, 35, v34
	v_cmp_gt_i32_e64 s[10:11], s27, v37
	v_cmp_gt_i32_e64 s[12:13], s27, v40
	s_nop 0
	v_cndmask_b32_e64 v37, v36, v70, s[10:11]
	v_cndmask_b32_e64 v40, v36, v71, s[12:13]
	v_max3_f32 v35, v35, v37, v40
	v_or_b32_e32 v37, 48, v34
	v_or_b32_e32 v40, 49, v34
	v_cmp_gt_i32_e64 s[6:7], s27, v37
	v_cmp_gt_i32_e64 s[8:9], s27, v40
	s_nop 0
	v_cndmask_b32_e64 v37, v36, v68, s[6:7]
	v_cndmask_b32_e64 v40, v36, v69, s[8:9]
	v_max3_f32 v35, v35, v37, v40
	v_or_b32_e32 v37, 50, v34
	v_or_b32_e32 v34, 51, v34
	v_cmp_gt_i32_e32 vcc, s27, v37
	v_cmp_gt_i32_e64 s[4:5], s27, v34
	global_load_dwordx4 v[46:49], v[38:39], off
	s_nop 0
	global_load_dwordx4 v[38:41], v[38:39], off offset:16
	v_cndmask_b32_e32 v37, v36, v66, vcc
	v_cndmask_b32_e64 v34, v36, v67, s[4:5]
	v_max3_f32 v50, v35, v37, v34
	v_mbcnt_lo_u32_b32 v34, -1, 0
	v_mbcnt_hi_u32_b32 v51, -1, v34
	v_and_b32_e32 v34, 64, v51
	v_add_u32_e32 v52, 64, v34
	v_xor_b32_e32 v34, 32, v51
	v_cmp_lt_i32_e64 s[38:39], v34, v52
	s_nop 1
	v_cndmask_b32_e64 v34, v51, v34, s[38:39]
	v_lshlrev_b32_e32 v87, 2, v34
	ds_bpermute_b32 v53, v87, v50
	v_lshl_add_u64 v[34:35], v[64:65], 0, v[58:59]
	v_lshl_add_u64 v[58:59], v[64:65], 0, v[60:61]
	global_load_dwordx4 v[42:45], v[34:35], off
	s_nop 0
	global_load_dwordx4 v[34:37], v[34:35], off offset:16
	s_waitcnt lgkmcnt(0)
	v_max_f32_e32 v53, v53, v53
	v_max_f32_e32 v80, v50, v53
	v_xor_b32_e32 v50, 16, v51
	v_cmp_lt_i32_e64 s[38:39], v50, v52
	s_nop 1
	v_cndmask_b32_e64 v50, v51, v50, s[38:39]
	v_lshlrev_b32_e32 v89, 2, v50
	ds_bpermute_b32 v81, v89, v80
	v_lshl_add_u64 v[50:51], v[64:65], 0, v[54:55]
	global_load_dwordx4 v[54:57], v[50:51], off
	s_nop 0
	global_load_dwordx4 v[50:53], v[50:51], off offset:16
	s_waitcnt lgkmcnt(0)
	v_max_f32_e32 v60, v81, v81
	v_max_f32_e32 v86, v80, v60
	v_sub_f32_e32 v60, v62, v86
	v_mul_f32_e32 v60, 0x3fb8aa3b, v60
	v_exp_f32_e32 v80, v60
	v_sub_f32_e32 v60, v63, v86
	v_mul_f32_e32 v60, 0x3fb8aa3b, v60
	v_exp_f32_e32 v81, v60
	global_load_dwordx4 v[62:65], v[58:59], off
	s_nop 0
	global_load_dwordx4 v[58:61], v[58:59], off offset:16
	v_sub_f32_e32 v78, v78, v86
	v_mul_f32_e32 v78, 0x3fb8aa3b, v78
	v_sub_f32_e32 v79, v79, v86
	v_exp_f32_e32 v78, v78
	v_mul_f32_e32 v79, 0x3fb8aa3b, v79
	v_sub_f32_e32 v76, v76, v86
	v_exp_f32_e32 v79, v79
	v_mul_f32_e32 v76, 0x3fb8aa3b, v76
	v_sub_f32_e32 v77, v77, v86
	v_cndmask_b32_e64 v80, 0, v80, s[28:29]
	v_exp_f32_e32 v76, v76
	v_mul_f32_e32 v77, 0x3fb8aa3b, v77
	v_sub_f32_e32 v74, v74, v86
	v_add_f32_e32 v91, 0, v80
	v_cndmask_b32_e64 v81, 0, v81, s[30:31]
	v_exp_f32_e32 v77, v77
	v_mul_f32_e32 v74, 0x3fb8aa3b, v74
	v_sub_f32_e32 v75, v75, v86
	v_add_f32_e32 v91, v91, v81
	v_cndmask_b32_e64 v78, 0, v78, s[34:35]
	v_exp_f32_e32 v74, v74
	v_mul_f32_e32 v75, 0x3fb8aa3b, v75
	v_sub_f32_e32 v72, v72, v86
	v_add_f32_e32 v91, v91, v78
	v_cndmask_b32_e64 v79, 0, v79, s[36:37]
	v_exp_f32_e32 v75, v75
	v_mul_f32_e32 v72, 0x3fb8aa3b, v72
	v_sub_f32_e32 v73, v73, v86
	v_add_f32_e32 v91, v91, v79
	v_cndmask_b32_e64 v76, 0, v76, s[22:23]
	v_exp_f32_e32 v72, v72
	v_mul_f32_e32 v73, 0x3fb8aa3b, v73
	v_sub_f32_e32 v70, v70, v86
	v_add_f32_e32 v91, v91, v76
	v_cndmask_b32_e64 v77, 0, v77, s[24:25]
	v_exp_f32_e32 v73, v73
	v_mul_f32_e32 v70, 0x3fb8aa3b, v70
	v_sub_f32_e32 v71, v71, v86
	v_add_f32_e32 v91, v91, v77
	v_cndmask_b32_e64 v74, 0, v74, s[18:19]
	v_exp_f32_e32 v70, v70
	v_mul_f32_e32 v71, 0x3fb8aa3b, v71
	v_sub_f32_e32 v68, v68, v86
	v_add_f32_e32 v91, v91, v74
	v_cndmask_b32_e64 v75, 0, v75, s[20:21]
	v_exp_f32_e32 v71, v71
	v_mul_f32_e32 v68, 0x3fb8aa3b, v68
	v_sub_f32_e32 v69, v69, v86
	v_add_f32_e32 v91, v91, v75
	v_cndmask_b32_e64 v72, 0, v72, s[14:15]
	v_exp_f32_e32 v68, v68
	v_mul_f32_e32 v69, 0x3fb8aa3b, v69
	v_sub_f32_e32 v66, v66, v86
	v_add_f32_e32 v91, v91, v72
	v_cndmask_b32_e64 v73, 0, v73, s[16:17]
	v_exp_f32_e32 v69, v69
	v_mul_f32_e32 v66, 0x3fb8aa3b, v66
	v_sub_f32_e32 v67, v67, v86
	v_add_f32_e32 v91, v91, v73
	v_cndmask_b32_e64 v70, 0, v70, s[10:11]
	v_exp_f32_e32 v66, v66
	v_mul_f32_e32 v67, 0x3fb8aa3b, v67
	v_add_f32_e32 v91, v91, v70
	v_cndmask_b32_e64 v71, 0, v71, s[12:13]
	v_exp_f32_e32 v67, v67
	v_add_f32_e32 v91, v91, v71
	v_cndmask_b32_e64 v68, 0, v68, s[6:7]
	v_add_f32_e32 v91, v91, v68
	v_cndmask_b32_e64 v69, 0, v69, s[8:9]
	v_add_f32_e32 v91, v91, v69
	v_cndmask_b32_e32 v66, 0, v66, vcc
	v_add_f32_e32 v91, v91, v66
	v_cndmask_b32_e64 v67, 0, v67, s[4:5]
	v_add_f32_e32 v91, v91, v67
	ds_bpermute_b32 v87, v87, v91
	s_load_dword s9, s[0:1], 0x98
	v_cmp_gt_u32_e64 s[4:5], 16, v83
	s_waitcnt lgkmcnt(0)
	s_barrier
	v_add_f32_e32 v87, v91, v87
	ds_bpermute_b32 v89, v89, v87
	s_waitcnt lgkmcnt(0)
	s_and_saveexec_b64 s[6:7], s[4:5]
	s_cbranch_execz .LBB196_15
; %bb.14:
	v_add_f32_e32 v83, v87, v89
	v_lshlrev_b32_e32 v87, 2, v90
	ds_write2st64_b32 v87, v86, v83 offset1:1
.LBB196_15:
	s_or_b64 exec, exec, s[6:7]
	v_lshlrev_b32_e32 v89, 2, v84
	s_load_dword s8, s[0:1], 0x94
	s_waitcnt lgkmcnt(0)
	s_barrier
	ds_read2_b32 v[86:87], v89 offset1:16
	ds_read2_b32 v[90:91], v89 offset0:32 offset1:48
	ds_read2_b32 v[92:93], v89 offset0:64 offset1:80
	;; [unrolled: 1-line block ×3, first 2 shown]
	s_mul_i32 s9, s9, 5
	s_waitcnt lgkmcnt(3)
	v_max3_f32 v83, v86, s33, v87
	s_waitcnt lgkmcnt(2)
	v_max3_f32 v83, v83, v90, v91
	v_sub_f32_e32 v86, v86, v83
	v_mul_f32_e32 v86, 0x3fb8aa3b, v86
	v_exp_f32_e32 v1, v86
	v_sub_f32_e32 v86, v87, v83
	v_mul_f32_e32 v86, 0x3fb8aa3b, v86
	v_exp_f32_e32 v87, v86
	;; [unrolled: 3-line block ×4, first 2 shown]
	s_waitcnt lgkmcnt(1)
	v_fma_f32 v86, v1, v92, 0
	v_fmac_f32_e32 v86, v87, v93
	s_waitcnt lgkmcnt(0)
	v_fmac_f32_e32 v86, v90, v94
	v_fmac_f32_e32 v86, v89, v95
	v_add_f32_e32 v91, 0x358637bd, v86
	v_div_scale_f32 v92, s[6:7], v91, v91, 1.0
	v_rcp_f32_e32 v93, v92
	s_barrier
	v_fma_f32 v94, -v92, v93, 1.0
	v_fmac_f32_e32 v93, v94, v93
	v_div_scale_f32 v94, vcc, 1.0, v91, 1.0
	v_mul_f32_e32 v95, v94, v93
	v_fma_f32 v88, -v92, v95, v94
	v_fmac_f32_e32 v95, v88, v93
	v_fma_f32 v88, -v92, v95, v94
	v_div_fmas_f32 v88, v88, v93, v95
	v_cmp_eq_u32_e32 vcc, 1, v85
	v_div_fixup_f32 v88, v88, v91, 1.0
	s_nop 0
	v_cndmask_b32_e32 v1, v1, v87, vcc
	v_cmp_eq_u32_e32 vcc, 2, v85
	v_bfe_u32 v87, v0, 4, 2
	s_nop 0
	v_cndmask_b32_e32 v1, v1, v90, vcc
	v_cmp_eq_u32_e32 vcc, 3, v85
	s_nop 1
	v_cndmask_b32_e32 v1, v1, v89, vcc
	v_mul_f32_e32 v90, v1, v88
	v_pk_mul_f32 v[78:79], v[90:91], v[78:79] op_sel_hi:[0,1]
	v_cvt_f16_f32_e32 v78, v78
	v_cvt_f16_f32_e32 v79, v79
	v_pk_mul_f32 v[80:81], v[90:91], v[80:81] op_sel_hi:[0,1]
	v_cvt_f16_f32_e32 v1, v80
	v_cvt_f16_f32_e32 v80, v81
	v_pk_mul_f32 v[74:75], v[90:91], v[74:75] op_sel_hi:[0,1]
	v_pk_mul_f32 v[76:77], v[90:91], v[76:77] op_sel_hi:[0,1]
	v_pack_b32_f16 v81, v78, v79
	v_cvt_f16_f32_e32 v76, v76
	v_cvt_f16_f32_e32 v77, v77
	;; [unrolled: 1-line block ×4, first 2 shown]
	v_pack_b32_f16 v80, v1, v80
	v_lshlrev_b32_e32 v1, 3, v87
	v_lshlrev_b32_e32 v78, 5, v84
	;; [unrolled: 1-line block ×3, first 2 shown]
	v_pk_mul_f32 v[70:71], v[90:91], v[70:71] op_sel_hi:[0,1]
	v_pk_mul_f32 v[72:73], v[90:91], v[72:73] op_sel_hi:[0,1]
	;; [unrolled: 1-line block ×4, first 2 shown]
	v_or3_b32 v74, v74, v78, v1
	v_pack_b32_f16 v76, v76, v77
	v_pack_b32_f16 v77, v79, v75
	v_cvt_f16_f32_e32 v1, v72
	v_cvt_f16_f32_e32 v72, v73
	;; [unrolled: 1-line block ×8, first 2 shown]
	v_pack_b32_f16 v66, v1, v72
	v_pack_b32_f16 v67, v70, v71
	v_pack_b32_f16 v68, v68, v69
	v_pack_b32_f16 v69, v73, v75
	v_cmp_gt_u32_e32 vcc, 5, v0
	ds_write2st64_b64 v74, v[80:81], v[76:77] offset1:1
	ds_write2st64_b64 v74, v[66:67], v[68:69] offset0:2 offset1:3
	s_and_saveexec_b64 s[6:7], vcc
	s_cbranch_execz .LBB196_17
; %bb.16:
	s_mov_b32 s41, 0
	v_mov_b32_e32 v85, 0
	v_lshl_add_u64 v[66:67], s[40:41], 0, v[84:85]
	v_mov_b32_e32 v1, s9
	v_mad_u64_u32 v[66:67], s[10:11], s2, v1, v[66:67]
	s_mul_i32 s3, s3, s9
	v_mov_b32_e32 v68, s26
	v_mov_b32_e32 v69, v85
	s_load_dwordx4 s[12:15], s[0:1], 0x58
	v_add_u32_e32 v1, s3, v67
	v_mad_u64_u32 v[66:67], s[10:11], v66, s8, v[68:69]
	v_mov_b32_e32 v68, v67
	v_mad_u64_u32 v[68:69], s[10:11], v1, s8, v[68:69]
	v_mov_b32_e32 v67, v68
	v_lshlrev_b64 v[66:67], 2, v[66:67]
	s_waitcnt lgkmcnt(0)
	v_lshl_add_u64 v[68:69], s[14:15], 0, v[66:67]
	v_lshl_add_u64 v[66:67], s[12:13], 0, v[66:67]
	global_store_dword v[68:69], v83, off
	global_store_dword v[66:67], v86, off
.LBB196_17:
	s_or_b64 exec, exec, s[6:7]
	v_lshl_or_b32 v1, v87, 9, v78
	s_waitcnt lgkmcnt(0)
	s_barrier
	ds_read_b128 v[70:73], v1
	ds_read_b128 v[66:69], v1 offset:16
	s_waitcnt vmcnt(15) lgkmcnt(1)
	v_mfma_f32_16x16x16_f16 v[76:79], v[30:31], v[70:71], 0
	s_mov_b32 s3, 0
	v_cmp_gt_u32_e32 vcc, 64, v0
	v_mfma_f32_16x16x16_f16 v[30:33], v[32:33], v[72:73], v[76:79]
	s_waitcnt vmcnt(14) lgkmcnt(0)
	v_mfma_f32_16x16x16_f16 v[30:33], v[26:27], v[66:67], v[30:33]
	v_mfma_f32_16x16x16_f16 v[26:29], v[28:29], v[68:69], v[30:33]
	s_nop 5
	ds_read_b128 v[30:33], v1 offset:2048
	ds_read_b128 v[76:79], v1 offset:2064
	s_waitcnt vmcnt(13) lgkmcnt(1)
	v_mfma_f32_16x16x16_f16 v[26:29], v[22:23], v[30:31], v[26:29]
	v_mfma_f32_16x16x16_f16 v[22:25], v[24:25], v[32:33], v[26:29]
	s_waitcnt vmcnt(12) lgkmcnt(0)
	v_mfma_f32_16x16x16_f16 v[22:25], v[18:19], v[76:77], v[22:25]
	v_mfma_f32_16x16x16_f16 v[18:21], v[20:21], v[78:79], v[22:25]
	s_nop 5
	ds_read_b128 v[22:25], v1 offset:4096
	ds_read_b128 v[26:29], v1 offset:4112
	s_waitcnt vmcnt(11) lgkmcnt(1)
	v_mfma_f32_16x16x16_f16 v[18:21], v[14:15], v[22:23], v[18:21]
	v_mfma_f32_16x16x16_f16 v[14:17], v[16:17], v[24:25], v[18:21]
	s_waitcnt vmcnt(10) lgkmcnt(0)
	v_mfma_f32_16x16x16_f16 v[14:17], v[10:11], v[26:27], v[14:17]
	v_mfma_f32_16x16x16_f16 v[10:13], v[12:13], v[28:29], v[14:17]
	s_nop 5
	ds_read_b128 v[14:17], v1 offset:6144
	ds_read_b128 v[18:21], v1 offset:6160
	s_waitcnt lgkmcnt(0)
	s_barrier
	s_waitcnt vmcnt(9)
	v_mfma_f32_16x16x16_f16 v[10:13], v[6:7], v[14:15], v[10:13]
	v_mfma_f32_16x16x16_f16 v[6:9], v[8:9], v[16:17], v[10:13]
	s_waitcnt vmcnt(8)
	v_mfma_f32_16x16x16_f16 v[6:9], v[2:3], v[18:19], v[6:9]
	v_mfma_f32_16x16x16_f16 v[2:5], v[4:5], v[20:21], v[6:9]
	;; [unrolled: 3-line block ×3, first 2 shown]
	s_nop 3
	v_cvt_f16_f32_e32 v1, v2
	v_cvt_f16_f32_e32 v10, v3
	;; [unrolled: 1-line block ×3, first 2 shown]
	s_waitcnt vmcnt(6)
	v_mfma_f32_16x16x16_f16 v[6:9], v[38:39], v[66:67], v[6:9]
	v_cvt_f16_f32_e32 v12, v5
	v_mfma_f32_16x16x16_f16 v[6:9], v[40:41], v[68:69], v[6:9]
	s_waitcnt vmcnt(5)
	v_mfma_f32_16x16x16_f16 v[6:9], v[42:43], v[30:31], v[6:9]
	v_mfma_f32_16x16x16_f16 v[6:9], v[44:45], v[32:33], v[6:9]
	s_waitcnt vmcnt(4)
	v_mfma_f32_16x16x16_f16 v[6:9], v[34:35], v[76:77], v[6:9]
	;; [unrolled: 3-line block ×6, first 2 shown]
	v_mfma_f32_16x16x16_f16 v[2:5], v[60:61], v[20:21], v[6:9]
	s_nop 6
	v_cvt_f16_f32_e32 v6, v2
	v_cvt_f16_f32_e32 v7, v3
	;; [unrolled: 1-line block ×4, first 2 shown]
	v_pack_b32_f16 v2, v1, v10
	v_pack_b32_f16 v3, v11, v12
	;; [unrolled: 1-line block ×4, first 2 shown]
	ds_write2st64_b64 v74, v[2:3], v[4:5] offset1:1
	s_waitcnt lgkmcnt(0)
	s_barrier
	s_and_saveexec_b64 s[6:7], vcc
	s_cbranch_execz .LBB196_20
; %bb.18:
	s_load_dwordx2 s[6:7], s[0:1], 0x68
	s_lshl_b32 s0, s8, 7
	s_mul_i32 s1, s9, s2
	v_lshlrev_b32_e32 v3, 6, v84
	s_mul_hi_u32 s9, s1, s0
	s_mul_i32 s8, s1, s0
	v_lshlrev_b32_e32 v2, 4, v0
	v_lshl_or_b32 v0, v0, 10, v3
	s_lshl_b64 s[8:9], s[8:9], 1
	v_lshlrev_b32_e32 v1, 5, v87
	v_and_b32_e32 v2, 16, v2
	v_and_b32_e32 v0, 0x1a00, v0
	s_waitcnt lgkmcnt(0)
	s_add_u32 s1, s6, s8
	v_or3_b32 v2, v0, v1, v2
	s_addc_u32 s6, s7, s9
	s_lshl_b32 s2, s26, 7
	s_lshl_b64 s[2:3], s[2:3], 1
	ds_read_b128 v[4:7], v2
	s_add_u32 s2, s1, s2
	s_addc_u32 s3, s6, s3
	v_mov_b32_e32 v83, 0
	v_add_u32_e32 v3, s40, v87
	v_lshl_add_u64 v[0:1], s[2:3], 0, v[82:83]
	v_mad_u64_u32 v[8:9], s[2:3], v3, s0, 0
	v_lshl_add_u64 v[8:9], v[8:9], 1, v[0:1]
	s_waitcnt lgkmcnt(0)
	global_store_dwordx4 v[8:9], v[4:7], off
	s_and_b64 exec, exec, s[4:5]
	s_cbranch_execz .LBB196_20
; %bb.19:
	ds_read_b128 v[2:5], v2 offset:128
	v_add3_u32 v6, s40, v87, 4
	v_mad_u64_u32 v[6:7], s[0:1], v6, s0, 0
	v_lshl_add_u64 v[0:1], v[6:7], 1, v[0:1]
	s_waitcnt lgkmcnt(0)
	global_store_dwordx4 v[0:1], v[2:5], off
.LBB196_20:
	s_endpgm
	.section	.rodata,"a",@progbits
	.p2align	6, 0x0
	.amdhsa_kernel _Z39paged_attention_ll4mi_QKV_mfma16_kernelIDF16_DF16_LN4vllm18Fp8KVCacheDataTypeE0EhLi16ELi128ELi256ELb1ELi5EEvPKT_PKT0_S7_ifPKiS9_S9_iPKfiiiPfSC_PS2_PT2_iSB_SB_
		.amdhsa_group_segment_fixed_size 8192
		.amdhsa_private_segment_fixed_size 0
		.amdhsa_kernarg_size 400
		.amdhsa_user_sgpr_count 2
		.amdhsa_user_sgpr_dispatch_ptr 0
		.amdhsa_user_sgpr_queue_ptr 0
		.amdhsa_user_sgpr_kernarg_segment_ptr 1
		.amdhsa_user_sgpr_dispatch_id 0
		.amdhsa_user_sgpr_kernarg_preload_length 0
		.amdhsa_user_sgpr_kernarg_preload_offset 0
		.amdhsa_user_sgpr_private_segment_size 0
		.amdhsa_uses_dynamic_stack 0
		.amdhsa_enable_private_segment 0
		.amdhsa_system_sgpr_workgroup_id_x 1
		.amdhsa_system_sgpr_workgroup_id_y 1
		.amdhsa_system_sgpr_workgroup_id_z 1
		.amdhsa_system_sgpr_workgroup_info 0
		.amdhsa_system_vgpr_workitem_id 0
		.amdhsa_next_free_vgpr 96
		.amdhsa_next_free_sgpr 42
		.amdhsa_accum_offset 96
		.amdhsa_reserve_vcc 1
		.amdhsa_float_round_mode_32 0
		.amdhsa_float_round_mode_16_64 0
		.amdhsa_float_denorm_mode_32 3
		.amdhsa_float_denorm_mode_16_64 3
		.amdhsa_dx10_clamp 1
		.amdhsa_ieee_mode 1
		.amdhsa_fp16_overflow 0
		.amdhsa_tg_split 0
		.amdhsa_exception_fp_ieee_invalid_op 0
		.amdhsa_exception_fp_denorm_src 0
		.amdhsa_exception_fp_ieee_div_zero 0
		.amdhsa_exception_fp_ieee_overflow 0
		.amdhsa_exception_fp_ieee_underflow 0
		.amdhsa_exception_fp_ieee_inexact 0
		.amdhsa_exception_int_div_zero 0
	.end_amdhsa_kernel
	.section	.text._Z39paged_attention_ll4mi_QKV_mfma16_kernelIDF16_DF16_LN4vllm18Fp8KVCacheDataTypeE0EhLi16ELi128ELi256ELb1ELi5EEvPKT_PKT0_S7_ifPKiS9_S9_iPKfiiiPfSC_PS2_PT2_iSB_SB_,"axG",@progbits,_Z39paged_attention_ll4mi_QKV_mfma16_kernelIDF16_DF16_LN4vllm18Fp8KVCacheDataTypeE0EhLi16ELi128ELi256ELb1ELi5EEvPKT_PKT0_S7_ifPKiS9_S9_iPKfiiiPfSC_PS2_PT2_iSB_SB_,comdat
.Lfunc_end196:
	.size	_Z39paged_attention_ll4mi_QKV_mfma16_kernelIDF16_DF16_LN4vllm18Fp8KVCacheDataTypeE0EhLi16ELi128ELi256ELb1ELi5EEvPKT_PKT0_S7_ifPKiS9_S9_iPKfiiiPfSC_PS2_PT2_iSB_SB_, .Lfunc_end196-_Z39paged_attention_ll4mi_QKV_mfma16_kernelIDF16_DF16_LN4vllm18Fp8KVCacheDataTypeE0EhLi16ELi128ELi256ELb1ELi5EEvPKT_PKT0_S7_ifPKiS9_S9_iPKfiiiPfSC_PS2_PT2_iSB_SB_
                                        ; -- End function
	.section	.AMDGPU.csdata,"",@progbits
; Kernel info:
; codeLenInByte = 4688
; NumSgprs: 48
; NumVgprs: 96
; NumAgprs: 0
; TotalNumVgprs: 96
; ScratchSize: 0
; MemoryBound: 0
; FloatMode: 240
; IeeeMode: 1
; LDSByteSize: 8192 bytes/workgroup (compile time only)
; SGPRBlocks: 5
; VGPRBlocks: 11
; NumSGPRsForWavesPerEU: 48
; NumVGPRsForWavesPerEU: 96
; AccumOffset: 96
; Occupancy: 5
; WaveLimiterHint : 1
; COMPUTE_PGM_RSRC2:SCRATCH_EN: 0
; COMPUTE_PGM_RSRC2:USER_SGPR: 2
; COMPUTE_PGM_RSRC2:TRAP_HANDLER: 0
; COMPUTE_PGM_RSRC2:TGID_X_EN: 1
; COMPUTE_PGM_RSRC2:TGID_Y_EN: 1
; COMPUTE_PGM_RSRC2:TGID_Z_EN: 1
; COMPUTE_PGM_RSRC2:TIDIG_COMP_CNT: 0
; COMPUTE_PGM_RSRC3_GFX90A:ACCUM_OFFSET: 23
; COMPUTE_PGM_RSRC3_GFX90A:TG_SPLIT: 0
	.section	.text._Z39paged_attention_ll4mi_QKV_mfma16_kernelIDF16_DF16_LN4vllm18Fp8KVCacheDataTypeE0EhLi16ELi128ELi256ELb1ELi6EEvPKT_PKT0_S7_ifPKiS9_S9_iPKfiiiPfSC_PS2_PT2_iSB_SB_,"axG",@progbits,_Z39paged_attention_ll4mi_QKV_mfma16_kernelIDF16_DF16_LN4vllm18Fp8KVCacheDataTypeE0EhLi16ELi128ELi256ELb1ELi6EEvPKT_PKT0_S7_ifPKiS9_S9_iPKfiiiPfSC_PS2_PT2_iSB_SB_,comdat
	.protected	_Z39paged_attention_ll4mi_QKV_mfma16_kernelIDF16_DF16_LN4vllm18Fp8KVCacheDataTypeE0EhLi16ELi128ELi256ELb1ELi6EEvPKT_PKT0_S7_ifPKiS9_S9_iPKfiiiPfSC_PS2_PT2_iSB_SB_ ; -- Begin function _Z39paged_attention_ll4mi_QKV_mfma16_kernelIDF16_DF16_LN4vllm18Fp8KVCacheDataTypeE0EhLi16ELi128ELi256ELb1ELi6EEvPKT_PKT0_S7_ifPKiS9_S9_iPKfiiiPfSC_PS2_PT2_iSB_SB_
	.globl	_Z39paged_attention_ll4mi_QKV_mfma16_kernelIDF16_DF16_LN4vllm18Fp8KVCacheDataTypeE0EhLi16ELi128ELi256ELb1ELi6EEvPKT_PKT0_S7_ifPKiS9_S9_iPKfiiiPfSC_PS2_PT2_iSB_SB_
	.p2align	8
	.type	_Z39paged_attention_ll4mi_QKV_mfma16_kernelIDF16_DF16_LN4vllm18Fp8KVCacheDataTypeE0EhLi16ELi128ELi256ELb1ELi6EEvPKT_PKT0_S7_ifPKiS9_S9_iPKfiiiPfSC_PS2_PT2_iSB_SB_,@function
_Z39paged_attention_ll4mi_QKV_mfma16_kernelIDF16_DF16_LN4vllm18Fp8KVCacheDataTypeE0EhLi16ELi128ELi256ELb1ELi6EEvPKT_PKT0_S7_ifPKiS9_S9_iPKfiiiPfSC_PS2_PT2_iSB_SB_: ; @_Z39paged_attention_ll4mi_QKV_mfma16_kernelIDF16_DF16_LN4vllm18Fp8KVCacheDataTypeE0EhLi16ELi128ELi256ELb1ELi6EEvPKT_PKT0_S7_ifPKiS9_S9_iPKfiiiPfSC_PS2_PT2_iSB_SB_
; %bb.0:
	s_load_dwordx2 s[8:9], s[0:1], 0x30
	s_mov_b32 s26, s3
	s_mov_b64 s[6:7], 0
	s_waitcnt lgkmcnt(0)
	s_cmp_lg_u64 s[8:9], 0
	s_cselect_b64 s[10:11], -1, 0
	s_and_b64 vcc, exec, s[10:11]
	s_cbranch_vccz .LBB197_7
; %bb.1:
	s_add_i32 s12, s2, 1
	s_mov_b32 s13, 0
	s_lshl_b64 s[14:15], s[12:13], 2
	s_add_u32 s14, s8, s14
	s_mov_b32 s3, s13
	s_addc_u32 s15, s9, s15
	s_lshl_b64 s[12:13], s[2:3], 2
	s_add_u32 s12, s8, s12
	s_addc_u32 s13, s9, s13
	s_load_dword s5, s[14:15], 0x0
	s_load_dword s16, s[12:13], 0x0
	s_waitcnt lgkmcnt(0)
	s_sub_i32 s5, s5, s16
	s_cmp_eq_u32 s5, 1
	s_cselect_b64 s[12:13], -1, 0
	s_andn2_b64 vcc, exec, s[6:7]
	s_cbranch_vccnz .LBB197_3
.LBB197_2:
	s_mov_b32 s3, 0
	s_mov_b64 s[12:13], -1
.LBB197_3:
	s_andn2_b64 vcc, exec, s[12:13]
	s_cbranch_vccnz .LBB197_20
; %bb.4:
	s_load_dwordx2 s[6:7], s[0:1], 0x28
	s_lshl_b64 s[12:13], s[2:3], 2
	s_waitcnt lgkmcnt(0)
	s_add_u32 s6, s6, s12
	s_addc_u32 s7, s7, s13
	s_load_dword s27, s[6:7], 0x0
	s_lshl_b32 s18, s26, 8
	s_waitcnt lgkmcnt(0)
	s_cmp_ge_i32 s18, s27
	s_cbranch_scc1 .LBB197_20
; %bb.5:
	s_load_dwordx2 s[6:7], s[0:1], 0x20
	s_load_dword s5, s[0:1], 0x38
	s_add_i32 s14, s27, 15
	s_ashr_i32 s15, s14, 31
	v_and_b32_e32 v1, 0xcf, v0
	s_lshr_b32 s15, s15, 28
	v_add_u32_e32 v1, s18, v1
	s_add_i32 s14, s14, s15
	v_ashrrev_i32_e32 v2, 31, v1
	s_ashr_i32 s19, s14, 4
	v_lshrrev_b32_e32 v4, 28, v2
	s_add_i32 s19, s19, -1
	s_waitcnt lgkmcnt(0)
	s_mul_i32 s14, s2, s5
	s_mov_b32 s15, 0
	v_add_u32_e32 v2, v1, v4
	s_lshl_b64 s[14:15], s[14:15], 2
	v_ashrrev_i32_e32 v2, 4, v2
	v_mov_b32_e32 v5, s19
	v_cmp_gt_i32_e32 vcc, s27, v1
	s_add_u32 s6, s6, s14
	s_addc_u32 s7, s7, s15
	v_cndmask_b32_e32 v2, v5, v2, vcc
	v_ashrrev_i32_e32 v3, 31, v2
	v_lshl_add_u64 v[6:7], v[2:3], 2, s[6:7]
	v_or_b32_e32 v2, 16, v1
	v_add_u32_e32 v3, v2, v4
	v_ashrrev_i32_e32 v3, 4, v3
	v_cmp_gt_i32_e32 vcc, s27, v2
	s_load_dwordx2 s[14:15], s[0:1], 0x8
	s_nop 0
	v_cndmask_b32_e32 v2, v5, v3, vcc
	v_ashrrev_i32_e32 v3, 31, v2
	v_lshl_add_u64 v[8:9], v[2:3], 2, s[6:7]
	v_or_b32_e32 v2, 32, v1
	v_add_u32_e32 v3, v2, v4
	v_ashrrev_i32_e32 v3, 4, v3
	v_cmp_gt_i32_e32 vcc, s27, v2
	v_or_b32_e32 v1, 48, v1
	s_nop 0
	v_cndmask_b32_e32 v2, v5, v3, vcc
	v_ashrrev_i32_e32 v3, 31, v2
	v_lshl_add_u64 v[10:11], v[2:3], 2, s[6:7]
	v_add_u32_e32 v2, v1, v4
	v_ashrrev_i32_e32 v2, 4, v2
	v_cmp_gt_i32_e32 vcc, s27, v1
	s_nop 1
	v_cndmask_b32_e32 v2, v5, v2, vcc
	v_ashrrev_i32_e32 v3, 31, v2
	v_lshl_add_u64 v[12:13], v[2:3], 2, s[6:7]
	global_load_dword v5, v[6:7], off
	global_load_dword v4, v[8:9], off
	;; [unrolled: 1-line block ×4, first 2 shown]
	s_andn2_b64 vcc, exec, s[10:11]
	s_cbranch_vccnz .LBB197_8
; %bb.6:
	s_add_u32 s8, s8, s12
	s_addc_u32 s9, s9, s13
	s_load_dword s5, s[8:9], 0x0
	s_branch .LBB197_9
.LBB197_7:
	s_mov_b64 s[12:13], 0
	s_branch .LBB197_2
.LBB197_8:
	s_mov_b32 s5, s2
.LBB197_9:
	s_load_dwordx2 s[12:13], s[0:1], 0x10
	s_load_dwordx4 s[8:11], s[0:1], 0x48
	v_lshrrev_b32_e32 v85, 6, v0
	v_bfe_u32 v88, v0, 4, 2
	v_and_b32_e32 v84, 15, v0
	v_lshl_or_b32 v1, v85, 2, v88
	v_lshlrev_b32_e32 v6, 3, v84
	s_mul_i32 s40, s4, 6
	v_cmp_gt_u32_e32 vcc, 6, v1
	v_lshlrev_b32_e32 v82, 1, v6
	s_and_saveexec_b64 s[16:17], vcc
	s_cbranch_execz .LBB197_11
; %bb.10:
	s_load_dwordx2 s[20:21], s[0:1], 0x0
	s_waitcnt lgkmcnt(0)
	s_ashr_i32 s11, s8, 31
	s_mul_hi_u32 s22, s5, s8
	s_mul_i32 s11, s5, s11
	s_add_i32 s23, s22, s11
	s_mul_i32 s22, s5, s8
	s_lshl_b64 s[22:23], s[22:23], 1
	s_add_u32 s20, s20, s22
	v_add_lshl_u32 v6, v1, s40, 7
	s_addc_u32 s21, s21, s23
	v_ashrrev_i32_e32 v7, 31, v6
	v_lshl_add_u64 v[6:7], v[6:7], 1, s[20:21]
	v_mov_b32_e32 v83, 0
	v_lshl_add_u64 v[6:7], v[6:7], 0, v[82:83]
	global_load_dwordx4 v[6:9], v[6:7], off
	v_and_b32_e32 v10, 3, v0
	v_lshlrev_b32_e32 v11, 9, v84
	v_lshlrev_b32_e32 v1, 5, v1
	;; [unrolled: 1-line block ×3, first 2 shown]
	v_and_b32_e32 v11, 0x1800, v11
	v_or3_b32 v1, v11, v10, v1
	s_waitcnt vmcnt(0)
	ds_write_b128 v1, v[6:9]
.LBB197_11:
	s_or_b64 exec, exec, s[16:17]
	s_waitcnt lgkmcnt(0)
	s_mul_i32 s4, s4, s10
	s_mov_b32 s5, 0
	s_lshl_b64 s[4:5], s[4:5], 1
	s_add_u32 s10, s14, s4
	v_lshlrev_b32_e32 v1, 4, v0
	s_addc_u32 s11, s15, s5
	v_and_b32_e32 v86, 0xf0, v1
	v_mov_b32_e32 v87, 0
	v_lshl_add_u64 v[6:7], s[10:11], 0, v[86:87]
	s_waitcnt vmcnt(3)
	v_mad_i64_i32 v[8:9], s[10:11], v5, s9, 0
	s_waitcnt vmcnt(2)
	v_mad_i64_i32 v[4:5], s[10:11], v4, s9, 0
	v_lshl_add_u64 v[8:9], v[8:9], 1, v[6:7]
	v_and_b32_e32 v86, 0x300, v1
	v_lshl_add_u64 v[4:5], v[4:5], 1, v[6:7]
	v_lshl_add_u64 v[8:9], v[8:9], 0, v[86:87]
	;; [unrolled: 1-line block ×3, first 2 shown]
	s_barrier
	global_load_dwordx4 v[78:81], v[8:9], off
	global_load_dwordx4 v[74:77], v[8:9], off offset:1024
	global_load_dwordx4 v[70:73], v[8:9], off offset:2048
	;; [unrolled: 1-line block ×3, first 2 shown]
	global_load_dwordx4 v[66:69], v[4:5], off
	global_load_dwordx4 v[62:65], v[4:5], off offset:1024
	global_load_dwordx4 v[58:61], v[4:5], off offset:2048
	;; [unrolled: 1-line block ×3, first 2 shown]
	s_waitcnt vmcnt(9)
	v_mad_i64_i32 v[4:5], s[10:11], v3, s9, 0
	s_waitcnt vmcnt(8)
	v_mad_i64_i32 v[2:3], s[10:11], v2, s9, 0
	v_lshl_add_u64 v[4:5], v[4:5], 1, v[6:7]
	v_lshl_add_u64 v[2:3], v[2:3], 1, v[6:7]
	;; [unrolled: 1-line block ×4, first 2 shown]
	global_load_dwordx4 v[30:33], v[4:5], off
	global_load_dwordx4 v[26:29], v[4:5], off offset:1024
	global_load_dwordx4 v[22:25], v[4:5], off offset:2048
	;; [unrolled: 1-line block ×3, first 2 shown]
	global_load_dwordx4 v[6:9], v[34:35], off
	s_nop 0
	global_load_dwordx4 v[2:5], v[34:35], off offset:1024
	global_load_dwordx4 v[38:41], v[34:35], off offset:2048
	s_nop 0
	global_load_dwordx4 v[34:37], v[34:35], off offset:3072
	v_mul_lo_u16_e32 v42, 43, v84
	v_mov_b32_e32 v43, 6
	v_mul_lo_u16_sdwa v42, v42, v43 dst_sel:DWORD dst_unused:UNUSED_PAD src0_sel:BYTE_1 src1_sel:DWORD
	v_sub_u16_e32 v42, v84, v42
	v_mov_b32_e32 v43, 5
	v_lshlrev_b32_sdwa v42, v43, v42 dst_sel:DWORD dst_unused:UNUSED_PAD src0_sel:DWORD src1_sel:BYTE_0
	v_lshl_add_u32 v42, v88, 9, v42
	ds_read_b128 v[54:57], v42
	ds_read_b128 v[50:53], v42 offset:2048
	ds_read_b128 v[46:49], v42 offset:4096
	;; [unrolled: 1-line block ×3, first 2 shown]
	v_and_b32_e32 v83, 63, v0
	v_cmp_gt_u32_e32 vcc, 6, v84
	v_mov_b32_e32 v89, 0
	s_and_saveexec_b64 s[10:11], vcc
	s_cbranch_execz .LBB197_13
; %bb.12:
	s_load_dwordx2 s[14:15], s[0:1], 0x40
	v_add_u32_e32 v90, s40, v84
	v_ashrrev_i32_e32 v91, 31, v90
	s_waitcnt lgkmcnt(0)
	v_lshl_add_u64 v[90:91], v[90:91], 2, s[14:15]
	global_load_dword v89, v[90:91], off
.LBB197_13:
	s_or_b64 exec, exec, s[10:11]
	s_waitcnt vmcnt(15) lgkmcnt(3)
	v_mfma_f32_16x16x16_f16 v[90:93], v[78:79], v[54:55], 0
	s_add_u32 s4, s12, s4
	s_addc_u32 s5, s13, s5
	s_mov_b32 s33, 0xff7fffff
	v_mfma_f32_16x16x16_f16 v[78:81], v[80:81], v[56:57], v[90:93]
	s_waitcnt vmcnt(14) lgkmcnt(2)
	v_mfma_f32_16x16x16_f16 v[78:81], v[74:75], v[50:51], v[78:81]
	s_nop 0
	v_lshl_or_b32 v90, v85, 4, v84
	v_lshlrev_b32_e32 v86, 5, v90
	v_mfma_f32_16x16x16_f16 v[74:77], v[76:77], v[52:53], v[78:81]
	s_waitcnt vmcnt(13) lgkmcnt(1)
	v_mfma_f32_16x16x16_f16 v[74:77], v[70:71], v[46:47], v[74:77]
	v_mfma_f32_16x16x16_f16 v[70:73], v[72:73], v[48:49], v[74:77]
	s_waitcnt vmcnt(11)
	v_mfma_f32_16x16x16_f16 v[74:77], v[66:67], v[54:55], 0
	v_mfma_f32_16x16x16_f16 v[66:69], v[68:69], v[56:57], v[74:77]
	s_nop 5
	v_and_or_b32 v74, v0, 48, s18
	s_waitcnt lgkmcnt(0)
	v_mfma_f32_16x16x16_f16 v[70:73], v[10:11], v[42:43], v[70:73]
	v_ashrrev_i32_e32 v10, 4, v74
	v_mov_b32_e32 v75, s19
	v_cmp_gt_i32_e32 vcc, s27, v74
	s_waitcnt vmcnt(10)
	v_mfma_f32_16x16x16_f16 v[66:69], v[62:63], v[50:51], v[66:69]
	v_cndmask_b32_e32 v10, v75, v10, vcc
	v_ashrrev_i32_e32 v11, 31, v10
	v_lshl_add_u64 v[10:11], v[10:11], 2, s[6:7]
	global_load_dword v76, v[10:11], off
	v_mfma_f32_16x16x16_f16 v[62:65], v[64:65], v[52:53], v[66:69]
	v_or_b32_e32 v10, 64, v74
	v_ashrrev_i32_e32 v11, 4, v10
	v_cmp_gt_i32_e32 vcc, s27, v10
	s_waitcnt vmcnt(10)
	v_mfma_f32_16x16x16_f16 v[62:65], v[58:59], v[46:47], v[62:65]
	v_cndmask_b32_e32 v10, v75, v11, vcc
	v_ashrrev_i32_e32 v11, 31, v10
	v_lshl_add_u64 v[10:11], v[10:11], 2, s[6:7]
	global_load_dword v77, v[10:11], off
	v_or_b32_e32 v10, 0x80, v74
	v_mfma_f32_16x16x16_f16 v[58:61], v[60:61], v[48:49], v[62:65]
	v_ashrrev_i32_e32 v11, 4, v10
	v_cmp_gt_i32_e32 vcc, s27, v10
	s_waitcnt vmcnt(9)
	v_mfma_f32_16x16x16_f16 v[62:65], v[30:31], v[54:55], 0
	v_cndmask_b32_e32 v10, v75, v11, vcc
	v_ashrrev_i32_e32 v11, 31, v10
	v_lshl_add_u64 v[10:11], v[10:11], 2, s[6:7]
	v_mfma_f32_16x16x16_f16 v[30:33], v[32:33], v[56:57], v[62:65]
	s_nop 2
	global_load_dword v64, v[10:11], off
	v_or_b32_e32 v10, 0xc0, v74
	v_ashrrev_i32_e32 v11, 4, v10
	v_cmp_gt_i32_e32 vcc, s27, v10
	s_waitcnt vmcnt(9)
	v_mfma_f32_16x16x16_f16 v[30:33], v[26:27], v[50:51], v[30:33]
	v_lshl_add_u64 v[62:63], s[4:5], 0, v[86:87]
	v_cndmask_b32_e32 v10, v75, v11, vcc
	v_ashrrev_i32_e32 v11, 31, v10
	v_lshl_add_u64 v[10:11], v[10:11], 2, s[6:7]
	global_load_dword v65, v[10:11], off
	v_mfma_f32_16x16x16_f16 v[26:29], v[28:29], v[52:53], v[30:33]
	s_load_dword s6, s[0:1], 0x1c
	v_or_b32_e32 v86, 0x800, v86
	s_waitcnt vmcnt(3)
	v_mad_i64_i32 v[10:11], s[10:11], v76, s9, 0
	v_mfma_f32_16x16x16_f16 v[26:29], v[22:23], v[46:47], v[26:29]
	v_lshlrev_b64 v[74:75], 1, v[10:11]
	v_mfma_f32_16x16x16_f16 v[66:69], v[12:13], v[44:45], v[70:73]
	v_mfma_f32_16x16x16_f16 v[10:13], v[24:25], v[48:49], v[26:29]
	;; [unrolled: 1-line block ×3, first 2 shown]
	v_lshl_add_u64 v[14:15], v[62:63], 0, v[74:75]
	s_waitcnt lgkmcnt(0)
	s_nop 2
	v_pk_mul_f32 v[78:79], s[6:7], v[68:69] op_sel_hi:[0,1]
	v_mfma_f32_16x16x16_f16 v[10:13], v[18:19], v[42:43], v[10:13]
	v_mfma_f32_16x16x16_f16 v[70:73], v[16:17], v[44:45], v[30:33]
	s_nop 2
	global_load_dwordx4 v[30:33], v[14:15], off
	global_load_dwordx4 v[26:29], v[14:15], off offset:16
	s_waitcnt vmcnt(4)
	v_mad_i64_i32 v[14:15], s[10:11], v77, s9, 0
	v_lshlrev_b64 v[58:59], 1, v[14:15]
	v_mfma_f32_16x16x16_f16 v[92:95], v[20:21], v[44:45], v[10:13]
	v_pk_mul_f32 v[76:77], s[6:7], v[70:71] op_sel_hi:[0,1]
	s_nop 1
	v_lshl_add_u64 v[10:11], v[62:63], 0, v[58:59]
	global_load_dwordx4 v[22:25], v[10:11], off
	global_load_dwordx4 v[18:21], v[10:11], off offset:16
	v_mfma_f32_16x16x16_f16 v[10:13], v[6:7], v[54:55], 0
	s_waitcnt vmcnt(5)
	v_mad_i64_i32 v[6:7], s[10:11], v64, s9, 0
	v_lshlrev_b64 v[54:55], 1, v[6:7]
	v_mfma_f32_16x16x16_f16 v[6:9], v[8:9], v[56:57], v[10:13]
	v_pk_mul_f32 v[70:71], s[6:7], v[94:95] op_sel_hi:[0,1]
	v_mfma_f32_16x16x16_f16 v[6:9], v[2:3], v[50:51], v[6:9]
	s_waitcnt vmcnt(4)
	v_mad_i64_i32 v[2:3], s[8:9], v65, s9, 0
	v_lshlrev_b64 v[60:61], 1, v[2:3]
	v_mfma_f32_16x16x16_f16 v[50:53], v[4:5], v[52:53], v[6:9]
	v_lshl_add_u64 v[10:11], v[62:63], 0, v[54:55]
	v_lshl_add_u64 v[2:3], v[62:63], 0, v[60:61]
	v_pk_mul_f32 v[62:63], s[6:7], v[66:67] op_sel_hi:[0,1]
	v_mfma_f32_16x16x16_f16 v[50:53], v[38:39], v[46:47], v[50:53]
	v_lshl_add_u64 v[64:65], s[4:5], 0, v[86:87]
	v_lshl_add_u64 v[38:39], v[64:65], 0, v[74:75]
	v_pk_mul_f32 v[74:75], s[6:7], v[72:73] op_sel_hi:[0,1]
	v_mfma_f32_16x16x16_f16 v[46:49], v[40:41], v[48:49], v[50:53]
	v_pk_mul_f32 v[72:73], s[6:7], v[92:93] op_sel_hi:[0,1]
	global_load_dwordx4 v[14:17], v[10:11], off
	s_nop 0
	global_load_dwordx4 v[10:13], v[10:11], off offset:16
	s_nop 0
	global_load_dwordx4 v[6:9], v[2:3], off
	s_nop 0
	global_load_dwordx4 v[2:5], v[2:3], off offset:16
	v_mfma_f32_16x16x16_f16 v[40:43], v[34:35], v[42:43], v[46:49]
	v_mfma_f32_16x16x16_f16 v[34:37], v[36:37], v[44:45], v[40:43]
	s_nop 6
	v_pk_mul_f32 v[68:69], s[6:7], v[34:35] op_sel_hi:[0,1]
	v_and_b32_e32 v34, 0xc0, v0
	v_add_u32_e32 v34, s18, v34
	v_lshl_or_b32 v34, v88, 2, v34
	v_or_b32_e32 v35, 1, v34
	v_pk_mul_f32 v[66:67], s[6:7], v[36:37] op_sel_hi:[0,1]
	v_subrev_u32_e32 v36, s27, v35
	v_add_u32_e32 v40, 1, v36
	v_add_u32_e32 v41, 2, v36
	v_cvt_f32_i32_e32 v37, v36
	v_cvt_f32_i32_e32 v40, v40
	;; [unrolled: 1-line block ×3, first 2 shown]
	v_add_u32_e32 v42, 3, v36
	v_fma_f32 v62, v89, v37, v62
	v_fmac_f32_e32 v63, v89, v40
	v_fma_f32 v78, v89, v41, v78
	v_add_u32_e32 v37, 16, v36
	v_add_u32_e32 v40, 17, v36
	;; [unrolled: 1-line block ×3, first 2 shown]
	v_cvt_f32_i32_e32 v42, v42
	v_cvt_f32_i32_e32 v37, v37
	;; [unrolled: 1-line block ×4, first 2 shown]
	v_fmac_f32_e32 v79, v89, v42
	v_add_u32_e32 v42, 19, v36
	v_fma_f32 v76, v89, v37, v76
	v_fmac_f32_e32 v77, v89, v40
	v_fma_f32 v74, v89, v41, v74
	v_add_u32_e32 v37, 32, v36
	v_add_u32_e32 v40, 33, v36
	;; [unrolled: 1-line block ×3, first 2 shown]
	v_cvt_f32_i32_e32 v42, v42
	v_cvt_f32_i32_e32 v37, v37
	;; [unrolled: 1-line block ×4, first 2 shown]
	v_fmac_f32_e32 v75, v89, v42
	v_add_u32_e32 v42, 35, v36
	v_fma_f32 v72, v89, v37, v72
	v_fmac_f32_e32 v73, v89, v40
	v_fma_f32 v70, v89, v41, v70
	v_add_u32_e32 v37, 48, v36
	v_add_u32_e32 v40, 49, v36
	v_add_u32_e32 v41, 50, v36
	v_add_u32_e32 v36, 51, v36
	v_cvt_f32_i32_e32 v36, v36
	v_cvt_f32_i32_e32 v37, v37
	;; [unrolled: 1-line block ×3, first 2 shown]
	v_cmp_gt_i32_e64 s[28:29], s27, v34
	v_fmac_f32_e32 v67, v89, v36
	v_mov_b32_e32 v36, 0xff7fffff
	v_cmp_gt_i32_e64 s[30:31], s27, v35
	v_fma_f32 v68, v89, v37, v68
	v_cndmask_b32_e64 v37, v36, v62, s[28:29]
	v_cndmask_b32_e64 v35, v36, v63, s[30:31]
	v_fmac_f32_e32 v69, v89, v40
	v_max3_f32 v35, v37, s33, v35
	v_or_b32_e32 v37, 2, v34
	v_or_b32_e32 v40, 3, v34
	v_cmp_gt_i32_e64 s[34:35], s27, v37
	v_cmp_gt_i32_e64 s[36:37], s27, v40
	v_cvt_f32_i32_e32 v42, v42
	v_cndmask_b32_e64 v37, v36, v78, s[34:35]
	v_cndmask_b32_e64 v40, v36, v79, s[36:37]
	v_max3_f32 v35, v35, v37, v40
	v_or_b32_e32 v37, 16, v34
	v_or_b32_e32 v40, 17, v34
	v_cmp_gt_i32_e64 s[22:23], s27, v37
	v_cmp_gt_i32_e64 s[24:25], s27, v40
	v_fmac_f32_e32 v71, v89, v42
	v_cndmask_b32_e64 v37, v36, v76, s[22:23]
	v_cndmask_b32_e64 v40, v36, v77, s[24:25]
	v_max3_f32 v35, v35, v37, v40
	v_or_b32_e32 v37, 18, v34
	v_or_b32_e32 v40, 19, v34
	v_cmp_gt_i32_e64 s[18:19], s27, v37
	v_cmp_gt_i32_e64 s[20:21], s27, v40
	v_cvt_f32_i32_e32 v41, v41
	v_cndmask_b32_e64 v37, v36, v74, s[18:19]
	v_cndmask_b32_e64 v40, v36, v75, s[20:21]
	v_max3_f32 v35, v35, v37, v40
	v_or_b32_e32 v37, 32, v34
	v_or_b32_e32 v40, 33, v34
	v_cmp_gt_i32_e64 s[14:15], s27, v37
	v_cmp_gt_i32_e64 s[16:17], s27, v40
	v_fma_f32 v66, v89, v41, v66
	v_cndmask_b32_e64 v37, v36, v72, s[14:15]
	v_cndmask_b32_e64 v40, v36, v73, s[16:17]
	v_max3_f32 v35, v35, v37, v40
	v_or_b32_e32 v37, 34, v34
	v_or_b32_e32 v40, 35, v34
	v_cmp_gt_i32_e64 s[10:11], s27, v37
	v_cmp_gt_i32_e64 s[12:13], s27, v40
	s_nop 0
	v_cndmask_b32_e64 v37, v36, v70, s[10:11]
	v_cndmask_b32_e64 v40, v36, v71, s[12:13]
	v_max3_f32 v35, v35, v37, v40
	v_or_b32_e32 v37, 48, v34
	v_or_b32_e32 v40, 49, v34
	v_cmp_gt_i32_e64 s[6:7], s27, v37
	v_cmp_gt_i32_e64 s[8:9], s27, v40
	s_nop 0
	v_cndmask_b32_e64 v37, v36, v68, s[6:7]
	v_cndmask_b32_e64 v40, v36, v69, s[8:9]
	v_max3_f32 v35, v35, v37, v40
	v_or_b32_e32 v37, 50, v34
	v_or_b32_e32 v34, 51, v34
	v_cmp_gt_i32_e32 vcc, s27, v37
	v_cmp_gt_i32_e64 s[4:5], s27, v34
	global_load_dwordx4 v[46:49], v[38:39], off
	s_nop 0
	global_load_dwordx4 v[38:41], v[38:39], off offset:16
	v_cndmask_b32_e32 v37, v36, v66, vcc
	v_cndmask_b32_e64 v34, v36, v67, s[4:5]
	v_max3_f32 v50, v35, v37, v34
	v_mbcnt_lo_u32_b32 v34, -1, 0
	v_mbcnt_hi_u32_b32 v51, -1, v34
	v_and_b32_e32 v34, 64, v51
	v_add_u32_e32 v52, 64, v34
	v_xor_b32_e32 v34, 32, v51
	v_cmp_lt_i32_e64 s[38:39], v34, v52
	s_nop 1
	v_cndmask_b32_e64 v34, v51, v34, s[38:39]
	v_lshlrev_b32_e32 v87, 2, v34
	ds_bpermute_b32 v53, v87, v50
	v_lshl_add_u64 v[34:35], v[64:65], 0, v[58:59]
	v_lshl_add_u64 v[58:59], v[64:65], 0, v[60:61]
	global_load_dwordx4 v[42:45], v[34:35], off
	s_nop 0
	global_load_dwordx4 v[34:37], v[34:35], off offset:16
	s_waitcnt lgkmcnt(0)
	v_max_f32_e32 v53, v53, v53
	v_max_f32_e32 v80, v50, v53
	v_xor_b32_e32 v50, 16, v51
	v_cmp_lt_i32_e64 s[38:39], v50, v52
	s_nop 1
	v_cndmask_b32_e64 v50, v51, v50, s[38:39]
	v_lshlrev_b32_e32 v89, 2, v50
	ds_bpermute_b32 v81, v89, v80
	v_lshl_add_u64 v[50:51], v[64:65], 0, v[54:55]
	global_load_dwordx4 v[54:57], v[50:51], off
	s_nop 0
	global_load_dwordx4 v[50:53], v[50:51], off offset:16
	s_waitcnt lgkmcnt(0)
	v_max_f32_e32 v60, v81, v81
	v_max_f32_e32 v86, v80, v60
	v_sub_f32_e32 v60, v62, v86
	v_mul_f32_e32 v60, 0x3fb8aa3b, v60
	v_exp_f32_e32 v80, v60
	v_sub_f32_e32 v60, v63, v86
	v_mul_f32_e32 v60, 0x3fb8aa3b, v60
	v_exp_f32_e32 v81, v60
	global_load_dwordx4 v[62:65], v[58:59], off
	s_nop 0
	global_load_dwordx4 v[58:61], v[58:59], off offset:16
	v_sub_f32_e32 v78, v78, v86
	v_mul_f32_e32 v78, 0x3fb8aa3b, v78
	v_sub_f32_e32 v79, v79, v86
	v_exp_f32_e32 v78, v78
	v_mul_f32_e32 v79, 0x3fb8aa3b, v79
	v_sub_f32_e32 v76, v76, v86
	v_exp_f32_e32 v79, v79
	v_mul_f32_e32 v76, 0x3fb8aa3b, v76
	v_sub_f32_e32 v77, v77, v86
	v_cndmask_b32_e64 v80, 0, v80, s[28:29]
	v_exp_f32_e32 v76, v76
	v_mul_f32_e32 v77, 0x3fb8aa3b, v77
	v_sub_f32_e32 v74, v74, v86
	v_add_f32_e32 v91, 0, v80
	v_cndmask_b32_e64 v81, 0, v81, s[30:31]
	v_exp_f32_e32 v77, v77
	v_mul_f32_e32 v74, 0x3fb8aa3b, v74
	v_sub_f32_e32 v75, v75, v86
	v_add_f32_e32 v91, v91, v81
	;; [unrolled: 5-line block ×10, first 2 shown]
	v_cndmask_b32_e64 v70, 0, v70, s[10:11]
	v_exp_f32_e32 v66, v66
	v_mul_f32_e32 v67, 0x3fb8aa3b, v67
	v_add_f32_e32 v91, v91, v70
	v_cndmask_b32_e64 v71, 0, v71, s[12:13]
	v_exp_f32_e32 v67, v67
	v_add_f32_e32 v91, v91, v71
	v_cndmask_b32_e64 v68, 0, v68, s[6:7]
	v_add_f32_e32 v91, v91, v68
	v_cndmask_b32_e64 v69, 0, v69, s[8:9]
	v_add_f32_e32 v91, v91, v69
	v_cndmask_b32_e32 v66, 0, v66, vcc
	v_add_f32_e32 v91, v91, v66
	v_cndmask_b32_e64 v67, 0, v67, s[4:5]
	v_add_f32_e32 v91, v91, v67
	ds_bpermute_b32 v87, v87, v91
	s_load_dword s7, s[0:1], 0x98
	v_cmp_gt_u32_e32 vcc, 16, v83
	s_waitcnt lgkmcnt(0)
	s_barrier
	v_add_f32_e32 v87, v91, v87
	ds_bpermute_b32 v89, v89, v87
	s_waitcnt lgkmcnt(0)
	s_and_saveexec_b64 s[4:5], vcc
	s_cbranch_execz .LBB197_15
; %bb.14:
	v_add_f32_e32 v83, v87, v89
	v_lshlrev_b32_e32 v87, 2, v90
	ds_write2st64_b32 v87, v86, v83 offset1:1
.LBB197_15:
	s_or_b64 exec, exec, s[4:5]
	v_lshlrev_b32_e32 v89, 2, v84
	s_load_dword s6, s[0:1], 0x94
	s_waitcnt lgkmcnt(0)
	s_barrier
	ds_read2_b32 v[86:87], v89 offset1:16
	ds_read2_b32 v[90:91], v89 offset0:32 offset1:48
	ds_read2_b32 v[92:93], v89 offset0:64 offset1:80
	;; [unrolled: 1-line block ×3, first 2 shown]
	s_mul_i32 s7, s7, 6
	s_waitcnt lgkmcnt(3)
	v_max3_f32 v83, v86, s33, v87
	s_waitcnt lgkmcnt(2)
	v_max3_f32 v83, v83, v90, v91
	v_sub_f32_e32 v86, v86, v83
	v_mul_f32_e32 v86, 0x3fb8aa3b, v86
	v_exp_f32_e32 v1, v86
	v_sub_f32_e32 v86, v87, v83
	v_mul_f32_e32 v86, 0x3fb8aa3b, v86
	v_exp_f32_e32 v87, v86
	;; [unrolled: 3-line block ×4, first 2 shown]
	s_waitcnt lgkmcnt(1)
	v_fma_f32 v86, v1, v92, 0
	v_fmac_f32_e32 v86, v87, v93
	s_waitcnt lgkmcnt(0)
	v_fmac_f32_e32 v86, v90, v94
	v_fmac_f32_e32 v86, v89, v95
	v_add_f32_e32 v91, 0x358637bd, v86
	v_div_scale_f32 v92, s[4:5], v91, v91, 1.0
	v_rcp_f32_e32 v93, v92
	s_barrier
	v_fma_f32 v94, -v92, v93, 1.0
	v_fmac_f32_e32 v93, v94, v93
	v_div_scale_f32 v94, vcc, 1.0, v91, 1.0
	v_mul_f32_e32 v95, v94, v93
	v_fma_f32 v88, -v92, v95, v94
	v_fmac_f32_e32 v95, v88, v93
	v_fma_f32 v88, -v92, v95, v94
	v_div_fmas_f32 v88, v88, v93, v95
	v_cmp_eq_u32_e32 vcc, 1, v85
	v_div_fixup_f32 v88, v88, v91, 1.0
	s_nop 0
	v_cndmask_b32_e32 v1, v1, v87, vcc
	v_cmp_eq_u32_e32 vcc, 2, v85
	v_bfe_u32 v87, v0, 4, 2
	s_nop 0
	v_cndmask_b32_e32 v1, v1, v90, vcc
	v_cmp_eq_u32_e32 vcc, 3, v85
	s_nop 1
	v_cndmask_b32_e32 v1, v1, v89, vcc
	v_mul_f32_e32 v90, v1, v88
	v_pk_mul_f32 v[78:79], v[90:91], v[78:79] op_sel_hi:[0,1]
	v_cvt_f16_f32_e32 v78, v78
	v_cvt_f16_f32_e32 v79, v79
	v_pk_mul_f32 v[80:81], v[90:91], v[80:81] op_sel_hi:[0,1]
	v_cvt_f16_f32_e32 v1, v80
	v_cvt_f16_f32_e32 v80, v81
	v_pk_mul_f32 v[74:75], v[90:91], v[74:75] op_sel_hi:[0,1]
	v_pk_mul_f32 v[76:77], v[90:91], v[76:77] op_sel_hi:[0,1]
	v_pack_b32_f16 v81, v78, v79
	v_cvt_f16_f32_e32 v76, v76
	v_cvt_f16_f32_e32 v77, v77
	;; [unrolled: 1-line block ×4, first 2 shown]
	v_pack_b32_f16 v80, v1, v80
	v_lshlrev_b32_e32 v1, 3, v87
	v_lshlrev_b32_e32 v78, 5, v84
	;; [unrolled: 1-line block ×3, first 2 shown]
	v_pk_mul_f32 v[70:71], v[90:91], v[70:71] op_sel_hi:[0,1]
	v_pk_mul_f32 v[72:73], v[90:91], v[72:73] op_sel_hi:[0,1]
	;; [unrolled: 1-line block ×4, first 2 shown]
	v_or3_b32 v74, v74, v78, v1
	v_pack_b32_f16 v76, v76, v77
	v_pack_b32_f16 v77, v79, v75
	v_cvt_f16_f32_e32 v1, v72
	v_cvt_f16_f32_e32 v72, v73
	;; [unrolled: 1-line block ×8, first 2 shown]
	v_pack_b32_f16 v66, v1, v72
	v_pack_b32_f16 v67, v70, v71
	;; [unrolled: 1-line block ×4, first 2 shown]
	v_cmp_gt_u32_e32 vcc, 6, v0
	ds_write2st64_b64 v74, v[80:81], v[76:77] offset1:1
	ds_write2st64_b64 v74, v[66:67], v[68:69] offset0:2 offset1:3
	s_and_saveexec_b64 s[4:5], vcc
	s_cbranch_execz .LBB197_17
; %bb.16:
	s_mov_b32 s41, 0
	v_mov_b32_e32 v85, 0
	v_lshl_add_u64 v[66:67], s[40:41], 0, v[84:85]
	v_mov_b32_e32 v1, s7
	v_mad_u64_u32 v[66:67], s[12:13], s2, v1, v[66:67]
	s_mul_i32 s3, s3, s7
	v_mov_b32_e32 v68, s26
	v_mov_b32_e32 v69, v85
	s_load_dwordx4 s[8:11], s[0:1], 0x58
	v_add_u32_e32 v1, s3, v67
	v_mad_u64_u32 v[66:67], s[12:13], v66, s6, v[68:69]
	v_mov_b32_e32 v68, v67
	v_mad_u64_u32 v[68:69], s[12:13], v1, s6, v[68:69]
	v_mov_b32_e32 v67, v68
	v_lshlrev_b64 v[66:67], 2, v[66:67]
	s_waitcnt lgkmcnt(0)
	v_lshl_add_u64 v[68:69], s[10:11], 0, v[66:67]
	v_lshl_add_u64 v[66:67], s[8:9], 0, v[66:67]
	global_store_dword v[68:69], v83, off
	global_store_dword v[66:67], v86, off
.LBB197_17:
	s_or_b64 exec, exec, s[4:5]
	v_lshl_or_b32 v1, v87, 9, v78
	s_waitcnt lgkmcnt(0)
	s_barrier
	ds_read_b128 v[70:73], v1
	ds_read_b128 v[66:69], v1 offset:16
	s_waitcnt vmcnt(15) lgkmcnt(1)
	v_mfma_f32_16x16x16_f16 v[76:79], v[30:31], v[70:71], 0
	s_mov_b32 s3, 0
	v_cmp_gt_u32_e32 vcc, 64, v0
	v_mfma_f32_16x16x16_f16 v[30:33], v[32:33], v[72:73], v[76:79]
	s_waitcnt vmcnt(14) lgkmcnt(0)
	v_mfma_f32_16x16x16_f16 v[30:33], v[26:27], v[66:67], v[30:33]
	v_mfma_f32_16x16x16_f16 v[26:29], v[28:29], v[68:69], v[30:33]
	s_nop 5
	ds_read_b128 v[30:33], v1 offset:2048
	ds_read_b128 v[76:79], v1 offset:2064
	s_waitcnt vmcnt(13) lgkmcnt(1)
	v_mfma_f32_16x16x16_f16 v[26:29], v[22:23], v[30:31], v[26:29]
	v_mfma_f32_16x16x16_f16 v[22:25], v[24:25], v[32:33], v[26:29]
	s_waitcnt vmcnt(12) lgkmcnt(0)
	v_mfma_f32_16x16x16_f16 v[22:25], v[18:19], v[76:77], v[22:25]
	v_mfma_f32_16x16x16_f16 v[18:21], v[20:21], v[78:79], v[22:25]
	s_nop 5
	ds_read_b128 v[22:25], v1 offset:4096
	ds_read_b128 v[26:29], v1 offset:4112
	s_waitcnt vmcnt(11) lgkmcnt(1)
	v_mfma_f32_16x16x16_f16 v[18:21], v[14:15], v[22:23], v[18:21]
	v_mfma_f32_16x16x16_f16 v[14:17], v[16:17], v[24:25], v[18:21]
	s_waitcnt vmcnt(10) lgkmcnt(0)
	v_mfma_f32_16x16x16_f16 v[14:17], v[10:11], v[26:27], v[14:17]
	v_mfma_f32_16x16x16_f16 v[10:13], v[12:13], v[28:29], v[14:17]
	s_nop 5
	ds_read_b128 v[14:17], v1 offset:6144
	ds_read_b128 v[18:21], v1 offset:6160
	s_waitcnt lgkmcnt(0)
	s_barrier
	s_waitcnt vmcnt(9)
	v_mfma_f32_16x16x16_f16 v[10:13], v[6:7], v[14:15], v[10:13]
	v_mfma_f32_16x16x16_f16 v[6:9], v[8:9], v[16:17], v[10:13]
	s_waitcnt vmcnt(8)
	v_mfma_f32_16x16x16_f16 v[6:9], v[2:3], v[18:19], v[6:9]
	v_mfma_f32_16x16x16_f16 v[2:5], v[4:5], v[20:21], v[6:9]
	;; [unrolled: 3-line block ×3, first 2 shown]
	s_nop 3
	v_cvt_f16_f32_e32 v1, v2
	v_cvt_f16_f32_e32 v10, v3
	;; [unrolled: 1-line block ×3, first 2 shown]
	s_waitcnt vmcnt(6)
	v_mfma_f32_16x16x16_f16 v[6:9], v[38:39], v[66:67], v[6:9]
	v_cvt_f16_f32_e32 v12, v5
	v_mfma_f32_16x16x16_f16 v[6:9], v[40:41], v[68:69], v[6:9]
	s_waitcnt vmcnt(5)
	v_mfma_f32_16x16x16_f16 v[6:9], v[42:43], v[30:31], v[6:9]
	v_mfma_f32_16x16x16_f16 v[6:9], v[44:45], v[32:33], v[6:9]
	s_waitcnt vmcnt(4)
	v_mfma_f32_16x16x16_f16 v[6:9], v[34:35], v[76:77], v[6:9]
	;; [unrolled: 3-line block ×6, first 2 shown]
	v_mfma_f32_16x16x16_f16 v[2:5], v[60:61], v[20:21], v[6:9]
	s_nop 6
	v_cvt_f16_f32_e32 v6, v2
	v_cvt_f16_f32_e32 v7, v3
	;; [unrolled: 1-line block ×4, first 2 shown]
	v_pack_b32_f16 v2, v1, v10
	v_pack_b32_f16 v3, v11, v12
	;; [unrolled: 1-line block ×4, first 2 shown]
	ds_write2st64_b64 v74, v[2:3], v[4:5] offset1:1
	s_waitcnt lgkmcnt(0)
	s_barrier
	s_and_saveexec_b64 s[4:5], vcc
	s_cbranch_execz .LBB197_20
; %bb.18:
	s_load_dwordx2 s[4:5], s[0:1], 0x68
	s_lshl_b32 s0, s6, 7
	s_mul_i32 s1, s7, s2
	v_lshlrev_b32_e32 v4, 6, v84
	s_mul_hi_u32 s7, s1, s0
	s_mul_i32 s6, s1, s0
	v_lshlrev_b32_e32 v3, 4, v0
	v_lshl_or_b32 v0, v0, 10, v4
	s_lshl_b64 s[6:7], s[6:7], 1
	v_lshlrev_b32_e32 v1, 5, v87
	v_and_b32_e32 v3, 16, v3
	v_and_b32_e32 v0, 0x1a00, v0
	s_waitcnt lgkmcnt(0)
	s_add_u32 s1, s4, s6
	v_or3_b32 v3, v0, v1, v3
	s_addc_u32 s4, s5, s7
	s_lshl_b32 s2, s26, 7
	s_lshl_b64 s[2:3], s[2:3], 1
	ds_read_b128 v[4:7], v3
	s_add_u32 s2, s1, s2
	s_addc_u32 s3, s4, s3
	v_mov_b32_e32 v83, 0
	v_add_u32_e32 v8, s40, v87
	v_or_b32_e32 v2, 4, v87
	v_lshl_add_u64 v[0:1], s[2:3], 0, v[82:83]
	v_mad_u64_u32 v[8:9], s[2:3], v8, s0, 0
	v_lshl_add_u64 v[8:9], v[8:9], 1, v[0:1]
	v_cmp_gt_u32_e32 vcc, 6, v2
	s_waitcnt lgkmcnt(0)
	global_store_dwordx4 v[8:9], v[4:7], off
	s_and_b64 exec, exec, vcc
	s_cbranch_execz .LBB197_20
; %bb.19:
	ds_read_b128 v[4:7], v3 offset:128
	v_add_u32_e32 v2, s40, v2
	v_mad_u64_u32 v[2:3], s[0:1], v2, s0, 0
	v_lshl_add_u64 v[0:1], v[2:3], 1, v[0:1]
	s_waitcnt lgkmcnt(0)
	global_store_dwordx4 v[0:1], v[4:7], off
.LBB197_20:
	s_endpgm
	.section	.rodata,"a",@progbits
	.p2align	6, 0x0
	.amdhsa_kernel _Z39paged_attention_ll4mi_QKV_mfma16_kernelIDF16_DF16_LN4vllm18Fp8KVCacheDataTypeE0EhLi16ELi128ELi256ELb1ELi6EEvPKT_PKT0_S7_ifPKiS9_S9_iPKfiiiPfSC_PS2_PT2_iSB_SB_
		.amdhsa_group_segment_fixed_size 8192
		.amdhsa_private_segment_fixed_size 0
		.amdhsa_kernarg_size 400
		.amdhsa_user_sgpr_count 2
		.amdhsa_user_sgpr_dispatch_ptr 0
		.amdhsa_user_sgpr_queue_ptr 0
		.amdhsa_user_sgpr_kernarg_segment_ptr 1
		.amdhsa_user_sgpr_dispatch_id 0
		.amdhsa_user_sgpr_kernarg_preload_length 0
		.amdhsa_user_sgpr_kernarg_preload_offset 0
		.amdhsa_user_sgpr_private_segment_size 0
		.amdhsa_uses_dynamic_stack 0
		.amdhsa_enable_private_segment 0
		.amdhsa_system_sgpr_workgroup_id_x 1
		.amdhsa_system_sgpr_workgroup_id_y 1
		.amdhsa_system_sgpr_workgroup_id_z 1
		.amdhsa_system_sgpr_workgroup_info 0
		.amdhsa_system_vgpr_workitem_id 0
		.amdhsa_next_free_vgpr 96
		.amdhsa_next_free_sgpr 42
		.amdhsa_accum_offset 96
		.amdhsa_reserve_vcc 1
		.amdhsa_float_round_mode_32 0
		.amdhsa_float_round_mode_16_64 0
		.amdhsa_float_denorm_mode_32 3
		.amdhsa_float_denorm_mode_16_64 3
		.amdhsa_dx10_clamp 1
		.amdhsa_ieee_mode 1
		.amdhsa_fp16_overflow 0
		.amdhsa_tg_split 0
		.amdhsa_exception_fp_ieee_invalid_op 0
		.amdhsa_exception_fp_denorm_src 0
		.amdhsa_exception_fp_ieee_div_zero 0
		.amdhsa_exception_fp_ieee_overflow 0
		.amdhsa_exception_fp_ieee_underflow 0
		.amdhsa_exception_fp_ieee_inexact 0
		.amdhsa_exception_int_div_zero 0
	.end_amdhsa_kernel
	.section	.text._Z39paged_attention_ll4mi_QKV_mfma16_kernelIDF16_DF16_LN4vllm18Fp8KVCacheDataTypeE0EhLi16ELi128ELi256ELb1ELi6EEvPKT_PKT0_S7_ifPKiS9_S9_iPKfiiiPfSC_PS2_PT2_iSB_SB_,"axG",@progbits,_Z39paged_attention_ll4mi_QKV_mfma16_kernelIDF16_DF16_LN4vllm18Fp8KVCacheDataTypeE0EhLi16ELi128ELi256ELb1ELi6EEvPKT_PKT0_S7_ifPKiS9_S9_iPKfiiiPfSC_PS2_PT2_iSB_SB_,comdat
.Lfunc_end197:
	.size	_Z39paged_attention_ll4mi_QKV_mfma16_kernelIDF16_DF16_LN4vllm18Fp8KVCacheDataTypeE0EhLi16ELi128ELi256ELb1ELi6EEvPKT_PKT0_S7_ifPKiS9_S9_iPKfiiiPfSC_PS2_PT2_iSB_SB_, .Lfunc_end197-_Z39paged_attention_ll4mi_QKV_mfma16_kernelIDF16_DF16_LN4vllm18Fp8KVCacheDataTypeE0EhLi16ELi128ELi256ELb1ELi6EEvPKT_PKT0_S7_ifPKiS9_S9_iPKfiiiPfSC_PS2_PT2_iSB_SB_
                                        ; -- End function
	.section	.AMDGPU.csdata,"",@progbits
; Kernel info:
; codeLenInByte = 4692
; NumSgprs: 48
; NumVgprs: 96
; NumAgprs: 0
; TotalNumVgprs: 96
; ScratchSize: 0
; MemoryBound: 0
; FloatMode: 240
; IeeeMode: 1
; LDSByteSize: 8192 bytes/workgroup (compile time only)
; SGPRBlocks: 5
; VGPRBlocks: 11
; NumSGPRsForWavesPerEU: 48
; NumVGPRsForWavesPerEU: 96
; AccumOffset: 96
; Occupancy: 5
; WaveLimiterHint : 1
; COMPUTE_PGM_RSRC2:SCRATCH_EN: 0
; COMPUTE_PGM_RSRC2:USER_SGPR: 2
; COMPUTE_PGM_RSRC2:TRAP_HANDLER: 0
; COMPUTE_PGM_RSRC2:TGID_X_EN: 1
; COMPUTE_PGM_RSRC2:TGID_Y_EN: 1
; COMPUTE_PGM_RSRC2:TGID_Z_EN: 1
; COMPUTE_PGM_RSRC2:TIDIG_COMP_CNT: 0
; COMPUTE_PGM_RSRC3_GFX90A:ACCUM_OFFSET: 23
; COMPUTE_PGM_RSRC3_GFX90A:TG_SPLIT: 0
	.section	.text._Z39paged_attention_ll4mi_QKV_mfma16_kernelIDF16_DF16_LN4vllm18Fp8KVCacheDataTypeE0EhLi16ELi128ELi256ELb1ELi7EEvPKT_PKT0_S7_ifPKiS9_S9_iPKfiiiPfSC_PS2_PT2_iSB_SB_,"axG",@progbits,_Z39paged_attention_ll4mi_QKV_mfma16_kernelIDF16_DF16_LN4vllm18Fp8KVCacheDataTypeE0EhLi16ELi128ELi256ELb1ELi7EEvPKT_PKT0_S7_ifPKiS9_S9_iPKfiiiPfSC_PS2_PT2_iSB_SB_,comdat
	.protected	_Z39paged_attention_ll4mi_QKV_mfma16_kernelIDF16_DF16_LN4vllm18Fp8KVCacheDataTypeE0EhLi16ELi128ELi256ELb1ELi7EEvPKT_PKT0_S7_ifPKiS9_S9_iPKfiiiPfSC_PS2_PT2_iSB_SB_ ; -- Begin function _Z39paged_attention_ll4mi_QKV_mfma16_kernelIDF16_DF16_LN4vllm18Fp8KVCacheDataTypeE0EhLi16ELi128ELi256ELb1ELi7EEvPKT_PKT0_S7_ifPKiS9_S9_iPKfiiiPfSC_PS2_PT2_iSB_SB_
	.globl	_Z39paged_attention_ll4mi_QKV_mfma16_kernelIDF16_DF16_LN4vllm18Fp8KVCacheDataTypeE0EhLi16ELi128ELi256ELb1ELi7EEvPKT_PKT0_S7_ifPKiS9_S9_iPKfiiiPfSC_PS2_PT2_iSB_SB_
	.p2align	8
	.type	_Z39paged_attention_ll4mi_QKV_mfma16_kernelIDF16_DF16_LN4vllm18Fp8KVCacheDataTypeE0EhLi16ELi128ELi256ELb1ELi7EEvPKT_PKT0_S7_ifPKiS9_S9_iPKfiiiPfSC_PS2_PT2_iSB_SB_,@function
_Z39paged_attention_ll4mi_QKV_mfma16_kernelIDF16_DF16_LN4vllm18Fp8KVCacheDataTypeE0EhLi16ELi128ELi256ELb1ELi7EEvPKT_PKT0_S7_ifPKiS9_S9_iPKfiiiPfSC_PS2_PT2_iSB_SB_: ; @_Z39paged_attention_ll4mi_QKV_mfma16_kernelIDF16_DF16_LN4vllm18Fp8KVCacheDataTypeE0EhLi16ELi128ELi256ELb1ELi7EEvPKT_PKT0_S7_ifPKiS9_S9_iPKfiiiPfSC_PS2_PT2_iSB_SB_
; %bb.0:
	s_load_dwordx2 s[8:9], s[0:1], 0x30
	s_mov_b32 s26, s3
	s_mov_b64 s[6:7], 0
	s_waitcnt lgkmcnt(0)
	s_cmp_lg_u64 s[8:9], 0
	s_cselect_b64 s[10:11], -1, 0
	s_and_b64 vcc, exec, s[10:11]
	s_cbranch_vccz .LBB198_7
; %bb.1:
	s_add_i32 s12, s2, 1
	s_mov_b32 s13, 0
	s_lshl_b64 s[14:15], s[12:13], 2
	s_add_u32 s14, s8, s14
	s_mov_b32 s3, s13
	s_addc_u32 s15, s9, s15
	s_lshl_b64 s[12:13], s[2:3], 2
	s_add_u32 s12, s8, s12
	s_addc_u32 s13, s9, s13
	s_load_dword s5, s[14:15], 0x0
	s_load_dword s16, s[12:13], 0x0
	s_waitcnt lgkmcnt(0)
	s_sub_i32 s5, s5, s16
	s_cmp_eq_u32 s5, 1
	s_cselect_b64 s[12:13], -1, 0
	s_andn2_b64 vcc, exec, s[6:7]
	s_cbranch_vccnz .LBB198_3
.LBB198_2:
	s_mov_b32 s3, 0
	s_mov_b64 s[12:13], -1
.LBB198_3:
	s_andn2_b64 vcc, exec, s[12:13]
	s_cbranch_vccnz .LBB198_20
; %bb.4:
	s_load_dwordx2 s[6:7], s[0:1], 0x28
	s_lshl_b64 s[12:13], s[2:3], 2
	s_waitcnt lgkmcnt(0)
	s_add_u32 s6, s6, s12
	s_addc_u32 s7, s7, s13
	s_load_dword s27, s[6:7], 0x0
	s_lshl_b32 s18, s26, 8
	s_waitcnt lgkmcnt(0)
	s_cmp_ge_i32 s18, s27
	s_cbranch_scc1 .LBB198_20
; %bb.5:
	s_load_dwordx2 s[6:7], s[0:1], 0x20
	s_load_dword s5, s[0:1], 0x38
	s_add_i32 s14, s27, 15
	s_ashr_i32 s15, s14, 31
	v_and_b32_e32 v1, 0xcf, v0
	s_lshr_b32 s15, s15, 28
	v_add_u32_e32 v1, s18, v1
	s_add_i32 s14, s14, s15
	v_ashrrev_i32_e32 v2, 31, v1
	s_ashr_i32 s19, s14, 4
	v_lshrrev_b32_e32 v4, 28, v2
	s_add_i32 s19, s19, -1
	s_waitcnt lgkmcnt(0)
	s_mul_i32 s14, s2, s5
	s_mov_b32 s15, 0
	v_add_u32_e32 v2, v1, v4
	s_lshl_b64 s[14:15], s[14:15], 2
	v_ashrrev_i32_e32 v2, 4, v2
	v_mov_b32_e32 v5, s19
	v_cmp_gt_i32_e32 vcc, s27, v1
	s_add_u32 s6, s6, s14
	s_addc_u32 s7, s7, s15
	v_cndmask_b32_e32 v2, v5, v2, vcc
	v_ashrrev_i32_e32 v3, 31, v2
	v_lshl_add_u64 v[6:7], v[2:3], 2, s[6:7]
	v_or_b32_e32 v2, 16, v1
	v_add_u32_e32 v3, v2, v4
	v_ashrrev_i32_e32 v3, 4, v3
	v_cmp_gt_i32_e32 vcc, s27, v2
	s_load_dwordx2 s[14:15], s[0:1], 0x8
	s_nop 0
	v_cndmask_b32_e32 v2, v5, v3, vcc
	v_ashrrev_i32_e32 v3, 31, v2
	v_lshl_add_u64 v[8:9], v[2:3], 2, s[6:7]
	v_or_b32_e32 v2, 32, v1
	v_add_u32_e32 v3, v2, v4
	v_ashrrev_i32_e32 v3, 4, v3
	v_cmp_gt_i32_e32 vcc, s27, v2
	v_or_b32_e32 v1, 48, v1
	s_nop 0
	v_cndmask_b32_e32 v2, v5, v3, vcc
	v_ashrrev_i32_e32 v3, 31, v2
	v_lshl_add_u64 v[10:11], v[2:3], 2, s[6:7]
	v_add_u32_e32 v2, v1, v4
	v_ashrrev_i32_e32 v2, 4, v2
	v_cmp_gt_i32_e32 vcc, s27, v1
	s_nop 1
	v_cndmask_b32_e32 v2, v5, v2, vcc
	v_ashrrev_i32_e32 v3, 31, v2
	v_lshl_add_u64 v[12:13], v[2:3], 2, s[6:7]
	global_load_dword v5, v[6:7], off
	global_load_dword v4, v[8:9], off
	;; [unrolled: 1-line block ×4, first 2 shown]
	s_andn2_b64 vcc, exec, s[10:11]
	s_cbranch_vccnz .LBB198_8
; %bb.6:
	s_add_u32 s8, s8, s12
	s_addc_u32 s9, s9, s13
	s_load_dword s5, s[8:9], 0x0
	s_branch .LBB198_9
.LBB198_7:
	s_mov_b64 s[12:13], 0
	s_branch .LBB198_2
.LBB198_8:
	s_mov_b32 s5, s2
.LBB198_9:
	s_load_dwordx2 s[12:13], s[0:1], 0x10
	s_load_dwordx4 s[8:11], s[0:1], 0x48
	v_lshrrev_b32_e32 v85, 6, v0
	v_bfe_u32 v88, v0, 4, 2
	v_and_b32_e32 v84, 15, v0
	v_lshl_or_b32 v1, v85, 2, v88
	v_lshlrev_b32_e32 v6, 3, v84
	s_mul_i32 s40, s4, 7
	v_cmp_gt_u32_e32 vcc, 7, v1
	v_lshlrev_b32_e32 v82, 1, v6
	s_and_saveexec_b64 s[16:17], vcc
	s_cbranch_execz .LBB198_11
; %bb.10:
	s_load_dwordx2 s[20:21], s[0:1], 0x0
	s_waitcnt lgkmcnt(0)
	s_ashr_i32 s11, s8, 31
	s_mul_hi_u32 s22, s5, s8
	s_mul_i32 s11, s5, s11
	s_add_i32 s23, s22, s11
	s_mul_i32 s22, s5, s8
	s_lshl_b64 s[22:23], s[22:23], 1
	s_add_u32 s20, s20, s22
	v_add_lshl_u32 v6, v1, s40, 7
	s_addc_u32 s21, s21, s23
	v_ashrrev_i32_e32 v7, 31, v6
	v_lshl_add_u64 v[6:7], v[6:7], 1, s[20:21]
	v_mov_b32_e32 v83, 0
	v_lshl_add_u64 v[6:7], v[6:7], 0, v[82:83]
	global_load_dwordx4 v[6:9], v[6:7], off
	v_and_b32_e32 v10, 3, v0
	v_lshlrev_b32_e32 v11, 9, v84
	v_lshlrev_b32_e32 v1, 5, v1
	;; [unrolled: 1-line block ×3, first 2 shown]
	v_and_b32_e32 v11, 0x1800, v11
	v_or3_b32 v1, v11, v10, v1
	s_waitcnt vmcnt(0)
	ds_write_b128 v1, v[6:9]
.LBB198_11:
	s_or_b64 exec, exec, s[16:17]
	s_waitcnt lgkmcnt(0)
	s_mul_i32 s4, s4, s10
	s_mov_b32 s5, 0
	s_lshl_b64 s[4:5], s[4:5], 1
	s_add_u32 s10, s14, s4
	v_lshlrev_b32_e32 v1, 4, v0
	s_addc_u32 s11, s15, s5
	v_and_b32_e32 v86, 0xf0, v1
	v_mov_b32_e32 v87, 0
	v_lshl_add_u64 v[6:7], s[10:11], 0, v[86:87]
	s_waitcnt vmcnt(3)
	v_mad_i64_i32 v[8:9], s[10:11], v5, s9, 0
	s_waitcnt vmcnt(2)
	v_mad_i64_i32 v[4:5], s[10:11], v4, s9, 0
	v_lshl_add_u64 v[8:9], v[8:9], 1, v[6:7]
	v_and_b32_e32 v86, 0x300, v1
	v_lshl_add_u64 v[4:5], v[4:5], 1, v[6:7]
	v_lshl_add_u64 v[8:9], v[8:9], 0, v[86:87]
	;; [unrolled: 1-line block ×3, first 2 shown]
	s_barrier
	global_load_dwordx4 v[78:81], v[8:9], off
	global_load_dwordx4 v[74:77], v[8:9], off offset:1024
	global_load_dwordx4 v[70:73], v[8:9], off offset:2048
	;; [unrolled: 1-line block ×3, first 2 shown]
	global_load_dwordx4 v[66:69], v[4:5], off
	global_load_dwordx4 v[62:65], v[4:5], off offset:1024
	global_load_dwordx4 v[58:61], v[4:5], off offset:2048
	;; [unrolled: 1-line block ×3, first 2 shown]
	s_waitcnt vmcnt(9)
	v_mad_i64_i32 v[4:5], s[10:11], v3, s9, 0
	s_waitcnt vmcnt(8)
	v_mad_i64_i32 v[2:3], s[10:11], v2, s9, 0
	v_lshl_add_u64 v[4:5], v[4:5], 1, v[6:7]
	v_lshl_add_u64 v[2:3], v[2:3], 1, v[6:7]
	;; [unrolled: 1-line block ×4, first 2 shown]
	global_load_dwordx4 v[30:33], v[4:5], off
	global_load_dwordx4 v[26:29], v[4:5], off offset:1024
	global_load_dwordx4 v[22:25], v[4:5], off offset:2048
	;; [unrolled: 1-line block ×3, first 2 shown]
	global_load_dwordx4 v[6:9], v[34:35], off
	s_nop 0
	global_load_dwordx4 v[2:5], v[34:35], off offset:1024
	global_load_dwordx4 v[38:41], v[34:35], off offset:2048
	s_nop 0
	global_load_dwordx4 v[34:37], v[34:35], off offset:3072
	v_mul_lo_u16_e32 v42, 37, v84
	v_mov_b32_e32 v43, 7
	v_mul_lo_u16_sdwa v42, v42, v43 dst_sel:DWORD dst_unused:UNUSED_PAD src0_sel:BYTE_1 src1_sel:DWORD
	v_sub_u16_e32 v42, v84, v42
	v_mov_b32_e32 v43, 5
	v_lshlrev_b32_sdwa v42, v43, v42 dst_sel:DWORD dst_unused:UNUSED_PAD src0_sel:DWORD src1_sel:BYTE_0
	v_lshl_add_u32 v42, v88, 9, v42
	ds_read_b128 v[54:57], v42
	ds_read_b128 v[50:53], v42 offset:2048
	ds_read_b128 v[46:49], v42 offset:4096
	;; [unrolled: 1-line block ×3, first 2 shown]
	v_and_b32_e32 v83, 63, v0
	v_cmp_gt_u32_e32 vcc, 7, v84
	v_mov_b32_e32 v89, 0
	s_and_saveexec_b64 s[10:11], vcc
	s_cbranch_execz .LBB198_13
; %bb.12:
	s_load_dwordx2 s[14:15], s[0:1], 0x40
	v_add_u32_e32 v90, s40, v84
	v_ashrrev_i32_e32 v91, 31, v90
	s_waitcnt lgkmcnt(0)
	v_lshl_add_u64 v[90:91], v[90:91], 2, s[14:15]
	global_load_dword v89, v[90:91], off
.LBB198_13:
	s_or_b64 exec, exec, s[10:11]
	s_waitcnt vmcnt(15) lgkmcnt(3)
	v_mfma_f32_16x16x16_f16 v[90:93], v[78:79], v[54:55], 0
	s_add_u32 s4, s12, s4
	s_addc_u32 s5, s13, s5
	s_mov_b32 s33, 0xff7fffff
	v_mfma_f32_16x16x16_f16 v[78:81], v[80:81], v[56:57], v[90:93]
	s_waitcnt vmcnt(14) lgkmcnt(2)
	v_mfma_f32_16x16x16_f16 v[78:81], v[74:75], v[50:51], v[78:81]
	s_nop 0
	v_lshl_or_b32 v90, v85, 4, v84
	v_lshlrev_b32_e32 v86, 5, v90
	v_mfma_f32_16x16x16_f16 v[74:77], v[76:77], v[52:53], v[78:81]
	s_waitcnt vmcnt(13) lgkmcnt(1)
	v_mfma_f32_16x16x16_f16 v[74:77], v[70:71], v[46:47], v[74:77]
	v_mfma_f32_16x16x16_f16 v[70:73], v[72:73], v[48:49], v[74:77]
	s_waitcnt vmcnt(11)
	v_mfma_f32_16x16x16_f16 v[74:77], v[66:67], v[54:55], 0
	v_mfma_f32_16x16x16_f16 v[66:69], v[68:69], v[56:57], v[74:77]
	s_nop 5
	v_and_or_b32 v74, v0, 48, s18
	s_waitcnt lgkmcnt(0)
	v_mfma_f32_16x16x16_f16 v[70:73], v[10:11], v[42:43], v[70:73]
	v_ashrrev_i32_e32 v10, 4, v74
	v_mov_b32_e32 v75, s19
	v_cmp_gt_i32_e32 vcc, s27, v74
	s_waitcnt vmcnt(10)
	v_mfma_f32_16x16x16_f16 v[66:69], v[62:63], v[50:51], v[66:69]
	v_cndmask_b32_e32 v10, v75, v10, vcc
	v_ashrrev_i32_e32 v11, 31, v10
	v_lshl_add_u64 v[10:11], v[10:11], 2, s[6:7]
	global_load_dword v76, v[10:11], off
	v_mfma_f32_16x16x16_f16 v[62:65], v[64:65], v[52:53], v[66:69]
	v_or_b32_e32 v10, 64, v74
	v_ashrrev_i32_e32 v11, 4, v10
	v_cmp_gt_i32_e32 vcc, s27, v10
	s_waitcnt vmcnt(10)
	v_mfma_f32_16x16x16_f16 v[62:65], v[58:59], v[46:47], v[62:65]
	v_cndmask_b32_e32 v10, v75, v11, vcc
	v_ashrrev_i32_e32 v11, 31, v10
	v_lshl_add_u64 v[10:11], v[10:11], 2, s[6:7]
	global_load_dword v77, v[10:11], off
	v_or_b32_e32 v10, 0x80, v74
	v_mfma_f32_16x16x16_f16 v[58:61], v[60:61], v[48:49], v[62:65]
	v_ashrrev_i32_e32 v11, 4, v10
	v_cmp_gt_i32_e32 vcc, s27, v10
	s_waitcnt vmcnt(9)
	v_mfma_f32_16x16x16_f16 v[62:65], v[30:31], v[54:55], 0
	v_cndmask_b32_e32 v10, v75, v11, vcc
	v_ashrrev_i32_e32 v11, 31, v10
	v_lshl_add_u64 v[10:11], v[10:11], 2, s[6:7]
	v_mfma_f32_16x16x16_f16 v[30:33], v[32:33], v[56:57], v[62:65]
	s_nop 2
	global_load_dword v64, v[10:11], off
	v_or_b32_e32 v10, 0xc0, v74
	v_ashrrev_i32_e32 v11, 4, v10
	v_cmp_gt_i32_e32 vcc, s27, v10
	s_waitcnt vmcnt(9)
	v_mfma_f32_16x16x16_f16 v[30:33], v[26:27], v[50:51], v[30:33]
	v_lshl_add_u64 v[62:63], s[4:5], 0, v[86:87]
	v_cndmask_b32_e32 v10, v75, v11, vcc
	v_ashrrev_i32_e32 v11, 31, v10
	v_lshl_add_u64 v[10:11], v[10:11], 2, s[6:7]
	global_load_dword v65, v[10:11], off
	v_mfma_f32_16x16x16_f16 v[26:29], v[28:29], v[52:53], v[30:33]
	s_load_dword s6, s[0:1], 0x1c
	v_or_b32_e32 v86, 0x800, v86
	s_waitcnt vmcnt(3)
	v_mad_i64_i32 v[10:11], s[10:11], v76, s9, 0
	v_mfma_f32_16x16x16_f16 v[26:29], v[22:23], v[46:47], v[26:29]
	v_lshlrev_b64 v[74:75], 1, v[10:11]
	v_mfma_f32_16x16x16_f16 v[66:69], v[12:13], v[44:45], v[70:73]
	v_mfma_f32_16x16x16_f16 v[10:13], v[24:25], v[48:49], v[26:29]
	;; [unrolled: 1-line block ×3, first 2 shown]
	v_lshl_add_u64 v[14:15], v[62:63], 0, v[74:75]
	s_waitcnt lgkmcnt(0)
	s_nop 2
	v_pk_mul_f32 v[78:79], s[6:7], v[68:69] op_sel_hi:[0,1]
	v_mfma_f32_16x16x16_f16 v[10:13], v[18:19], v[42:43], v[10:13]
	v_mfma_f32_16x16x16_f16 v[70:73], v[16:17], v[44:45], v[30:33]
	s_nop 2
	global_load_dwordx4 v[30:33], v[14:15], off
	global_load_dwordx4 v[26:29], v[14:15], off offset:16
	s_waitcnt vmcnt(4)
	v_mad_i64_i32 v[14:15], s[10:11], v77, s9, 0
	v_lshlrev_b64 v[58:59], 1, v[14:15]
	v_mfma_f32_16x16x16_f16 v[92:95], v[20:21], v[44:45], v[10:13]
	v_pk_mul_f32 v[76:77], s[6:7], v[70:71] op_sel_hi:[0,1]
	s_nop 1
	v_lshl_add_u64 v[10:11], v[62:63], 0, v[58:59]
	global_load_dwordx4 v[22:25], v[10:11], off
	global_load_dwordx4 v[18:21], v[10:11], off offset:16
	v_mfma_f32_16x16x16_f16 v[10:13], v[6:7], v[54:55], 0
	s_waitcnt vmcnt(5)
	v_mad_i64_i32 v[6:7], s[10:11], v64, s9, 0
	v_lshlrev_b64 v[54:55], 1, v[6:7]
	v_mfma_f32_16x16x16_f16 v[6:9], v[8:9], v[56:57], v[10:13]
	v_pk_mul_f32 v[70:71], s[6:7], v[94:95] op_sel_hi:[0,1]
	v_mfma_f32_16x16x16_f16 v[6:9], v[2:3], v[50:51], v[6:9]
	s_waitcnt vmcnt(4)
	v_mad_i64_i32 v[2:3], s[8:9], v65, s9, 0
	v_lshlrev_b64 v[60:61], 1, v[2:3]
	v_mfma_f32_16x16x16_f16 v[50:53], v[4:5], v[52:53], v[6:9]
	v_lshl_add_u64 v[10:11], v[62:63], 0, v[54:55]
	v_lshl_add_u64 v[2:3], v[62:63], 0, v[60:61]
	v_pk_mul_f32 v[62:63], s[6:7], v[66:67] op_sel_hi:[0,1]
	v_mfma_f32_16x16x16_f16 v[50:53], v[38:39], v[46:47], v[50:53]
	v_lshl_add_u64 v[64:65], s[4:5], 0, v[86:87]
	v_lshl_add_u64 v[38:39], v[64:65], 0, v[74:75]
	v_pk_mul_f32 v[74:75], s[6:7], v[72:73] op_sel_hi:[0,1]
	v_mfma_f32_16x16x16_f16 v[46:49], v[40:41], v[48:49], v[50:53]
	v_pk_mul_f32 v[72:73], s[6:7], v[92:93] op_sel_hi:[0,1]
	global_load_dwordx4 v[14:17], v[10:11], off
	s_nop 0
	global_load_dwordx4 v[10:13], v[10:11], off offset:16
	s_nop 0
	global_load_dwordx4 v[6:9], v[2:3], off
	s_nop 0
	global_load_dwordx4 v[2:5], v[2:3], off offset:16
	v_mfma_f32_16x16x16_f16 v[40:43], v[34:35], v[42:43], v[46:49]
	v_mfma_f32_16x16x16_f16 v[34:37], v[36:37], v[44:45], v[40:43]
	s_nop 6
	v_pk_mul_f32 v[68:69], s[6:7], v[34:35] op_sel_hi:[0,1]
	v_and_b32_e32 v34, 0xc0, v0
	v_add_u32_e32 v34, s18, v34
	v_lshl_or_b32 v34, v88, 2, v34
	v_or_b32_e32 v35, 1, v34
	v_pk_mul_f32 v[66:67], s[6:7], v[36:37] op_sel_hi:[0,1]
	v_subrev_u32_e32 v36, s27, v35
	v_add_u32_e32 v40, 1, v36
	v_add_u32_e32 v41, 2, v36
	v_cvt_f32_i32_e32 v37, v36
	v_cvt_f32_i32_e32 v40, v40
	;; [unrolled: 1-line block ×3, first 2 shown]
	v_add_u32_e32 v42, 3, v36
	v_fma_f32 v62, v89, v37, v62
	v_fmac_f32_e32 v63, v89, v40
	v_fma_f32 v78, v89, v41, v78
	v_add_u32_e32 v37, 16, v36
	v_add_u32_e32 v40, 17, v36
	;; [unrolled: 1-line block ×3, first 2 shown]
	v_cvt_f32_i32_e32 v42, v42
	v_cvt_f32_i32_e32 v37, v37
	;; [unrolled: 1-line block ×4, first 2 shown]
	v_fmac_f32_e32 v79, v89, v42
	v_add_u32_e32 v42, 19, v36
	v_fma_f32 v76, v89, v37, v76
	v_fmac_f32_e32 v77, v89, v40
	v_fma_f32 v74, v89, v41, v74
	v_add_u32_e32 v37, 32, v36
	v_add_u32_e32 v40, 33, v36
	;; [unrolled: 1-line block ×3, first 2 shown]
	v_cvt_f32_i32_e32 v42, v42
	v_cvt_f32_i32_e32 v37, v37
	;; [unrolled: 1-line block ×4, first 2 shown]
	v_fmac_f32_e32 v75, v89, v42
	v_add_u32_e32 v42, 35, v36
	v_fma_f32 v72, v89, v37, v72
	v_fmac_f32_e32 v73, v89, v40
	v_fma_f32 v70, v89, v41, v70
	v_add_u32_e32 v37, 48, v36
	v_add_u32_e32 v40, 49, v36
	;; [unrolled: 1-line block ×4, first 2 shown]
	v_cvt_f32_i32_e32 v36, v36
	v_cvt_f32_i32_e32 v37, v37
	;; [unrolled: 1-line block ×3, first 2 shown]
	v_cmp_gt_i32_e64 s[28:29], s27, v34
	v_fmac_f32_e32 v67, v89, v36
	v_mov_b32_e32 v36, 0xff7fffff
	v_cmp_gt_i32_e64 s[30:31], s27, v35
	v_fma_f32 v68, v89, v37, v68
	v_cndmask_b32_e64 v37, v36, v62, s[28:29]
	v_cndmask_b32_e64 v35, v36, v63, s[30:31]
	v_fmac_f32_e32 v69, v89, v40
	v_max3_f32 v35, v37, s33, v35
	v_or_b32_e32 v37, 2, v34
	v_or_b32_e32 v40, 3, v34
	v_cmp_gt_i32_e64 s[34:35], s27, v37
	v_cmp_gt_i32_e64 s[36:37], s27, v40
	v_cvt_f32_i32_e32 v42, v42
	v_cndmask_b32_e64 v37, v36, v78, s[34:35]
	v_cndmask_b32_e64 v40, v36, v79, s[36:37]
	v_max3_f32 v35, v35, v37, v40
	v_or_b32_e32 v37, 16, v34
	v_or_b32_e32 v40, 17, v34
	v_cmp_gt_i32_e64 s[22:23], s27, v37
	v_cmp_gt_i32_e64 s[24:25], s27, v40
	v_fmac_f32_e32 v71, v89, v42
	v_cndmask_b32_e64 v37, v36, v76, s[22:23]
	v_cndmask_b32_e64 v40, v36, v77, s[24:25]
	v_max3_f32 v35, v35, v37, v40
	v_or_b32_e32 v37, 18, v34
	v_or_b32_e32 v40, 19, v34
	v_cmp_gt_i32_e64 s[18:19], s27, v37
	v_cmp_gt_i32_e64 s[20:21], s27, v40
	v_cvt_f32_i32_e32 v41, v41
	v_cndmask_b32_e64 v37, v36, v74, s[18:19]
	v_cndmask_b32_e64 v40, v36, v75, s[20:21]
	v_max3_f32 v35, v35, v37, v40
	v_or_b32_e32 v37, 32, v34
	v_or_b32_e32 v40, 33, v34
	v_cmp_gt_i32_e64 s[14:15], s27, v37
	v_cmp_gt_i32_e64 s[16:17], s27, v40
	v_fma_f32 v66, v89, v41, v66
	v_cndmask_b32_e64 v37, v36, v72, s[14:15]
	v_cndmask_b32_e64 v40, v36, v73, s[16:17]
	v_max3_f32 v35, v35, v37, v40
	v_or_b32_e32 v37, 34, v34
	v_or_b32_e32 v40, 35, v34
	v_cmp_gt_i32_e64 s[10:11], s27, v37
	v_cmp_gt_i32_e64 s[12:13], s27, v40
	s_nop 0
	v_cndmask_b32_e64 v37, v36, v70, s[10:11]
	v_cndmask_b32_e64 v40, v36, v71, s[12:13]
	v_max3_f32 v35, v35, v37, v40
	v_or_b32_e32 v37, 48, v34
	v_or_b32_e32 v40, 49, v34
	v_cmp_gt_i32_e64 s[6:7], s27, v37
	v_cmp_gt_i32_e64 s[8:9], s27, v40
	s_nop 0
	v_cndmask_b32_e64 v37, v36, v68, s[6:7]
	v_cndmask_b32_e64 v40, v36, v69, s[8:9]
	v_max3_f32 v35, v35, v37, v40
	v_or_b32_e32 v37, 50, v34
	v_or_b32_e32 v34, 51, v34
	v_cmp_gt_i32_e32 vcc, s27, v37
	v_cmp_gt_i32_e64 s[4:5], s27, v34
	global_load_dwordx4 v[46:49], v[38:39], off
	s_nop 0
	global_load_dwordx4 v[38:41], v[38:39], off offset:16
	v_cndmask_b32_e32 v37, v36, v66, vcc
	v_cndmask_b32_e64 v34, v36, v67, s[4:5]
	v_max3_f32 v50, v35, v37, v34
	v_mbcnt_lo_u32_b32 v34, -1, 0
	v_mbcnt_hi_u32_b32 v51, -1, v34
	v_and_b32_e32 v34, 64, v51
	v_add_u32_e32 v52, 64, v34
	v_xor_b32_e32 v34, 32, v51
	v_cmp_lt_i32_e64 s[38:39], v34, v52
	s_nop 1
	v_cndmask_b32_e64 v34, v51, v34, s[38:39]
	v_lshlrev_b32_e32 v87, 2, v34
	ds_bpermute_b32 v53, v87, v50
	v_lshl_add_u64 v[34:35], v[64:65], 0, v[58:59]
	v_lshl_add_u64 v[58:59], v[64:65], 0, v[60:61]
	global_load_dwordx4 v[42:45], v[34:35], off
	s_nop 0
	global_load_dwordx4 v[34:37], v[34:35], off offset:16
	s_waitcnt lgkmcnt(0)
	v_max_f32_e32 v53, v53, v53
	v_max_f32_e32 v80, v50, v53
	v_xor_b32_e32 v50, 16, v51
	v_cmp_lt_i32_e64 s[38:39], v50, v52
	s_nop 1
	v_cndmask_b32_e64 v50, v51, v50, s[38:39]
	v_lshlrev_b32_e32 v89, 2, v50
	ds_bpermute_b32 v81, v89, v80
	v_lshl_add_u64 v[50:51], v[64:65], 0, v[54:55]
	global_load_dwordx4 v[54:57], v[50:51], off
	s_nop 0
	global_load_dwordx4 v[50:53], v[50:51], off offset:16
	s_waitcnt lgkmcnt(0)
	v_max_f32_e32 v60, v81, v81
	v_max_f32_e32 v86, v80, v60
	v_sub_f32_e32 v60, v62, v86
	v_mul_f32_e32 v60, 0x3fb8aa3b, v60
	v_exp_f32_e32 v80, v60
	v_sub_f32_e32 v60, v63, v86
	v_mul_f32_e32 v60, 0x3fb8aa3b, v60
	v_exp_f32_e32 v81, v60
	global_load_dwordx4 v[62:65], v[58:59], off
	s_nop 0
	global_load_dwordx4 v[58:61], v[58:59], off offset:16
	v_sub_f32_e32 v78, v78, v86
	v_mul_f32_e32 v78, 0x3fb8aa3b, v78
	v_sub_f32_e32 v79, v79, v86
	v_exp_f32_e32 v78, v78
	v_mul_f32_e32 v79, 0x3fb8aa3b, v79
	v_sub_f32_e32 v76, v76, v86
	v_exp_f32_e32 v79, v79
	v_mul_f32_e32 v76, 0x3fb8aa3b, v76
	v_sub_f32_e32 v77, v77, v86
	v_cndmask_b32_e64 v80, 0, v80, s[28:29]
	v_exp_f32_e32 v76, v76
	v_mul_f32_e32 v77, 0x3fb8aa3b, v77
	v_sub_f32_e32 v74, v74, v86
	v_add_f32_e32 v91, 0, v80
	v_cndmask_b32_e64 v81, 0, v81, s[30:31]
	v_exp_f32_e32 v77, v77
	v_mul_f32_e32 v74, 0x3fb8aa3b, v74
	v_sub_f32_e32 v75, v75, v86
	v_add_f32_e32 v91, v91, v81
	;; [unrolled: 5-line block ×10, first 2 shown]
	v_cndmask_b32_e64 v70, 0, v70, s[10:11]
	v_exp_f32_e32 v66, v66
	v_mul_f32_e32 v67, 0x3fb8aa3b, v67
	v_add_f32_e32 v91, v91, v70
	v_cndmask_b32_e64 v71, 0, v71, s[12:13]
	v_exp_f32_e32 v67, v67
	v_add_f32_e32 v91, v91, v71
	v_cndmask_b32_e64 v68, 0, v68, s[6:7]
	v_add_f32_e32 v91, v91, v68
	v_cndmask_b32_e64 v69, 0, v69, s[8:9]
	v_add_f32_e32 v91, v91, v69
	v_cndmask_b32_e32 v66, 0, v66, vcc
	v_add_f32_e32 v91, v91, v66
	v_cndmask_b32_e64 v67, 0, v67, s[4:5]
	v_add_f32_e32 v91, v91, v67
	ds_bpermute_b32 v87, v87, v91
	s_load_dword s7, s[0:1], 0x98
	v_cmp_gt_u32_e32 vcc, 16, v83
	s_waitcnt lgkmcnt(0)
	s_barrier
	v_add_f32_e32 v87, v91, v87
	ds_bpermute_b32 v89, v89, v87
	s_waitcnt lgkmcnt(0)
	s_and_saveexec_b64 s[4:5], vcc
	s_cbranch_execz .LBB198_15
; %bb.14:
	v_add_f32_e32 v83, v87, v89
	v_lshlrev_b32_e32 v87, 2, v90
	ds_write2st64_b32 v87, v86, v83 offset1:1
.LBB198_15:
	s_or_b64 exec, exec, s[4:5]
	v_lshlrev_b32_e32 v89, 2, v84
	s_load_dword s6, s[0:1], 0x94
	s_waitcnt lgkmcnt(0)
	s_barrier
	ds_read2_b32 v[86:87], v89 offset1:16
	ds_read2_b32 v[90:91], v89 offset0:32 offset1:48
	ds_read2_b32 v[92:93], v89 offset0:64 offset1:80
	;; [unrolled: 1-line block ×3, first 2 shown]
	s_mul_i32 s7, s7, 7
	s_waitcnt lgkmcnt(3)
	v_max3_f32 v83, v86, s33, v87
	s_waitcnt lgkmcnt(2)
	v_max3_f32 v83, v83, v90, v91
	v_sub_f32_e32 v86, v86, v83
	v_mul_f32_e32 v86, 0x3fb8aa3b, v86
	v_exp_f32_e32 v1, v86
	v_sub_f32_e32 v86, v87, v83
	v_mul_f32_e32 v86, 0x3fb8aa3b, v86
	v_exp_f32_e32 v87, v86
	;; [unrolled: 3-line block ×4, first 2 shown]
	s_waitcnt lgkmcnt(1)
	v_fma_f32 v86, v1, v92, 0
	v_fmac_f32_e32 v86, v87, v93
	s_waitcnt lgkmcnt(0)
	v_fmac_f32_e32 v86, v90, v94
	v_fmac_f32_e32 v86, v89, v95
	v_add_f32_e32 v91, 0x358637bd, v86
	v_div_scale_f32 v92, s[4:5], v91, v91, 1.0
	v_rcp_f32_e32 v93, v92
	s_barrier
	v_fma_f32 v94, -v92, v93, 1.0
	v_fmac_f32_e32 v93, v94, v93
	v_div_scale_f32 v94, vcc, 1.0, v91, 1.0
	v_mul_f32_e32 v95, v94, v93
	v_fma_f32 v88, -v92, v95, v94
	v_fmac_f32_e32 v95, v88, v93
	v_fma_f32 v88, -v92, v95, v94
	v_div_fmas_f32 v88, v88, v93, v95
	v_cmp_eq_u32_e32 vcc, 1, v85
	v_div_fixup_f32 v88, v88, v91, 1.0
	s_nop 0
	v_cndmask_b32_e32 v1, v1, v87, vcc
	v_cmp_eq_u32_e32 vcc, 2, v85
	v_bfe_u32 v87, v0, 4, 2
	s_nop 0
	v_cndmask_b32_e32 v1, v1, v90, vcc
	v_cmp_eq_u32_e32 vcc, 3, v85
	s_nop 1
	v_cndmask_b32_e32 v1, v1, v89, vcc
	v_mul_f32_e32 v90, v1, v88
	v_pk_mul_f32 v[78:79], v[90:91], v[78:79] op_sel_hi:[0,1]
	v_cvt_f16_f32_e32 v78, v78
	v_cvt_f16_f32_e32 v79, v79
	v_pk_mul_f32 v[80:81], v[90:91], v[80:81] op_sel_hi:[0,1]
	v_cvt_f16_f32_e32 v1, v80
	v_cvt_f16_f32_e32 v80, v81
	v_pk_mul_f32 v[74:75], v[90:91], v[74:75] op_sel_hi:[0,1]
	v_pk_mul_f32 v[76:77], v[90:91], v[76:77] op_sel_hi:[0,1]
	v_pack_b32_f16 v81, v78, v79
	v_cvt_f16_f32_e32 v76, v76
	v_cvt_f16_f32_e32 v77, v77
	v_cvt_f16_f32_e32 v79, v74
	v_cvt_f16_f32_e32 v75, v75
	v_pack_b32_f16 v80, v1, v80
	v_lshlrev_b32_e32 v1, 3, v87
	v_lshlrev_b32_e32 v78, 5, v84
	;; [unrolled: 1-line block ×3, first 2 shown]
	v_pk_mul_f32 v[70:71], v[90:91], v[70:71] op_sel_hi:[0,1]
	v_pk_mul_f32 v[72:73], v[90:91], v[72:73] op_sel_hi:[0,1]
	;; [unrolled: 1-line block ×4, first 2 shown]
	v_or3_b32 v74, v74, v78, v1
	v_pack_b32_f16 v76, v76, v77
	v_pack_b32_f16 v77, v79, v75
	v_cvt_f16_f32_e32 v1, v72
	v_cvt_f16_f32_e32 v72, v73
	;; [unrolled: 1-line block ×8, first 2 shown]
	v_pack_b32_f16 v66, v1, v72
	v_pack_b32_f16 v67, v70, v71
	;; [unrolled: 1-line block ×4, first 2 shown]
	v_cmp_gt_u32_e32 vcc, 7, v0
	ds_write2st64_b64 v74, v[80:81], v[76:77] offset1:1
	ds_write2st64_b64 v74, v[66:67], v[68:69] offset0:2 offset1:3
	s_and_saveexec_b64 s[4:5], vcc
	s_cbranch_execz .LBB198_17
; %bb.16:
	s_mov_b32 s41, 0
	v_mov_b32_e32 v85, 0
	v_lshl_add_u64 v[66:67], s[40:41], 0, v[84:85]
	v_mov_b32_e32 v1, s7
	v_mad_u64_u32 v[66:67], s[12:13], s2, v1, v[66:67]
	s_mul_i32 s3, s3, s7
	v_mov_b32_e32 v68, s26
	v_mov_b32_e32 v69, v85
	s_load_dwordx4 s[8:11], s[0:1], 0x58
	v_add_u32_e32 v1, s3, v67
	v_mad_u64_u32 v[66:67], s[12:13], v66, s6, v[68:69]
	v_mov_b32_e32 v68, v67
	v_mad_u64_u32 v[68:69], s[12:13], v1, s6, v[68:69]
	v_mov_b32_e32 v67, v68
	v_lshlrev_b64 v[66:67], 2, v[66:67]
	s_waitcnt lgkmcnt(0)
	v_lshl_add_u64 v[68:69], s[10:11], 0, v[66:67]
	v_lshl_add_u64 v[66:67], s[8:9], 0, v[66:67]
	global_store_dword v[68:69], v83, off
	global_store_dword v[66:67], v86, off
.LBB198_17:
	s_or_b64 exec, exec, s[4:5]
	v_lshl_or_b32 v1, v87, 9, v78
	s_waitcnt lgkmcnt(0)
	s_barrier
	ds_read_b128 v[70:73], v1
	ds_read_b128 v[66:69], v1 offset:16
	s_waitcnt vmcnt(15) lgkmcnt(1)
	v_mfma_f32_16x16x16_f16 v[76:79], v[30:31], v[70:71], 0
	s_mov_b32 s3, 0
	v_cmp_gt_u32_e32 vcc, 64, v0
	v_mfma_f32_16x16x16_f16 v[30:33], v[32:33], v[72:73], v[76:79]
	s_waitcnt vmcnt(14) lgkmcnt(0)
	v_mfma_f32_16x16x16_f16 v[30:33], v[26:27], v[66:67], v[30:33]
	v_mfma_f32_16x16x16_f16 v[26:29], v[28:29], v[68:69], v[30:33]
	s_nop 5
	ds_read_b128 v[30:33], v1 offset:2048
	ds_read_b128 v[76:79], v1 offset:2064
	s_waitcnt vmcnt(13) lgkmcnt(1)
	v_mfma_f32_16x16x16_f16 v[26:29], v[22:23], v[30:31], v[26:29]
	v_mfma_f32_16x16x16_f16 v[22:25], v[24:25], v[32:33], v[26:29]
	s_waitcnt vmcnt(12) lgkmcnt(0)
	v_mfma_f32_16x16x16_f16 v[22:25], v[18:19], v[76:77], v[22:25]
	v_mfma_f32_16x16x16_f16 v[18:21], v[20:21], v[78:79], v[22:25]
	s_nop 5
	ds_read_b128 v[22:25], v1 offset:4096
	ds_read_b128 v[26:29], v1 offset:4112
	s_waitcnt vmcnt(11) lgkmcnt(1)
	v_mfma_f32_16x16x16_f16 v[18:21], v[14:15], v[22:23], v[18:21]
	v_mfma_f32_16x16x16_f16 v[14:17], v[16:17], v[24:25], v[18:21]
	s_waitcnt vmcnt(10) lgkmcnt(0)
	v_mfma_f32_16x16x16_f16 v[14:17], v[10:11], v[26:27], v[14:17]
	v_mfma_f32_16x16x16_f16 v[10:13], v[12:13], v[28:29], v[14:17]
	s_nop 5
	ds_read_b128 v[14:17], v1 offset:6144
	ds_read_b128 v[18:21], v1 offset:6160
	s_waitcnt lgkmcnt(0)
	s_barrier
	s_waitcnt vmcnt(9)
	v_mfma_f32_16x16x16_f16 v[10:13], v[6:7], v[14:15], v[10:13]
	v_mfma_f32_16x16x16_f16 v[6:9], v[8:9], v[16:17], v[10:13]
	s_waitcnt vmcnt(8)
	v_mfma_f32_16x16x16_f16 v[6:9], v[2:3], v[18:19], v[6:9]
	v_mfma_f32_16x16x16_f16 v[2:5], v[4:5], v[20:21], v[6:9]
	;; [unrolled: 3-line block ×3, first 2 shown]
	s_nop 3
	v_cvt_f16_f32_e32 v1, v2
	v_cvt_f16_f32_e32 v10, v3
	;; [unrolled: 1-line block ×3, first 2 shown]
	s_waitcnt vmcnt(6)
	v_mfma_f32_16x16x16_f16 v[6:9], v[38:39], v[66:67], v[6:9]
	v_cvt_f16_f32_e32 v12, v5
	v_mfma_f32_16x16x16_f16 v[6:9], v[40:41], v[68:69], v[6:9]
	s_waitcnt vmcnt(5)
	v_mfma_f32_16x16x16_f16 v[6:9], v[42:43], v[30:31], v[6:9]
	v_mfma_f32_16x16x16_f16 v[6:9], v[44:45], v[32:33], v[6:9]
	s_waitcnt vmcnt(4)
	v_mfma_f32_16x16x16_f16 v[6:9], v[34:35], v[76:77], v[6:9]
	v_mfma_f32_16x16x16_f16 v[6:9], v[36:37], v[78:79], v[6:9]
	s_waitcnt vmcnt(3)
	v_mfma_f32_16x16x16_f16 v[6:9], v[54:55], v[22:23], v[6:9]
	v_mfma_f32_16x16x16_f16 v[6:9], v[56:57], v[24:25], v[6:9]
	s_waitcnt vmcnt(2)
	v_mfma_f32_16x16x16_f16 v[6:9], v[50:51], v[26:27], v[6:9]
	v_mfma_f32_16x16x16_f16 v[6:9], v[52:53], v[28:29], v[6:9]
	s_waitcnt vmcnt(1)
	v_mfma_f32_16x16x16_f16 v[6:9], v[62:63], v[14:15], v[6:9]
	v_mfma_f32_16x16x16_f16 v[6:9], v[64:65], v[16:17], v[6:9]
	s_waitcnt vmcnt(0)
	v_mfma_f32_16x16x16_f16 v[6:9], v[58:59], v[18:19], v[6:9]
	v_mfma_f32_16x16x16_f16 v[2:5], v[60:61], v[20:21], v[6:9]
	s_nop 6
	v_cvt_f16_f32_e32 v6, v2
	v_cvt_f16_f32_e32 v7, v3
	v_cvt_f16_f32_e32 v8, v4
	v_cvt_f16_f32_e32 v5, v5
	v_pack_b32_f16 v2, v1, v10
	v_pack_b32_f16 v3, v11, v12
	;; [unrolled: 1-line block ×4, first 2 shown]
	ds_write2st64_b64 v74, v[2:3], v[4:5] offset1:1
	s_waitcnt lgkmcnt(0)
	s_barrier
	s_and_saveexec_b64 s[4:5], vcc
	s_cbranch_execz .LBB198_20
; %bb.18:
	s_load_dwordx2 s[4:5], s[0:1], 0x68
	s_lshl_b32 s0, s6, 7
	s_mul_i32 s1, s7, s2
	v_lshlrev_b32_e32 v3, 6, v84
	s_mul_hi_u32 s7, s1, s0
	s_mul_i32 s6, s1, s0
	v_lshlrev_b32_e32 v2, 4, v0
	v_lshl_or_b32 v0, v0, 10, v3
	s_lshl_b64 s[6:7], s[6:7], 1
	v_lshlrev_b32_e32 v1, 5, v87
	v_and_b32_e32 v2, 16, v2
	v_and_b32_e32 v0, 0x1a00, v0
	s_waitcnt lgkmcnt(0)
	s_add_u32 s1, s4, s6
	v_or3_b32 v2, v0, v1, v2
	s_addc_u32 s4, s5, s7
	s_lshl_b32 s2, s26, 7
	s_lshl_b64 s[2:3], s[2:3], 1
	ds_read_b128 v[4:7], v2
	s_add_u32 s2, s1, s2
	s_addc_u32 s3, s4, s3
	v_mov_b32_e32 v83, 0
	v_add_u32_e32 v3, s40, v87
	v_lshl_add_u64 v[0:1], s[2:3], 0, v[82:83]
	v_mad_u64_u32 v[8:9], s[2:3], v3, s0, 0
	v_lshl_add_u64 v[8:9], v[8:9], 1, v[0:1]
	v_cmp_ne_u32_e32 vcc, 3, v87
	s_waitcnt lgkmcnt(0)
	global_store_dwordx4 v[8:9], v[4:7], off
	s_and_b64 exec, exec, vcc
	s_cbranch_execz .LBB198_20
; %bb.19:
	ds_read_b128 v[2:5], v2 offset:128
	v_add3_u32 v6, s40, v87, 4
	v_mad_u64_u32 v[6:7], s[0:1], v6, s0, 0
	v_lshl_add_u64 v[0:1], v[6:7], 1, v[0:1]
	s_waitcnt lgkmcnt(0)
	global_store_dwordx4 v[0:1], v[2:5], off
.LBB198_20:
	s_endpgm
	.section	.rodata,"a",@progbits
	.p2align	6, 0x0
	.amdhsa_kernel _Z39paged_attention_ll4mi_QKV_mfma16_kernelIDF16_DF16_LN4vllm18Fp8KVCacheDataTypeE0EhLi16ELi128ELi256ELb1ELi7EEvPKT_PKT0_S7_ifPKiS9_S9_iPKfiiiPfSC_PS2_PT2_iSB_SB_
		.amdhsa_group_segment_fixed_size 8192
		.amdhsa_private_segment_fixed_size 0
		.amdhsa_kernarg_size 400
		.amdhsa_user_sgpr_count 2
		.amdhsa_user_sgpr_dispatch_ptr 0
		.amdhsa_user_sgpr_queue_ptr 0
		.amdhsa_user_sgpr_kernarg_segment_ptr 1
		.amdhsa_user_sgpr_dispatch_id 0
		.amdhsa_user_sgpr_kernarg_preload_length 0
		.amdhsa_user_sgpr_kernarg_preload_offset 0
		.amdhsa_user_sgpr_private_segment_size 0
		.amdhsa_uses_dynamic_stack 0
		.amdhsa_enable_private_segment 0
		.amdhsa_system_sgpr_workgroup_id_x 1
		.amdhsa_system_sgpr_workgroup_id_y 1
		.amdhsa_system_sgpr_workgroup_id_z 1
		.amdhsa_system_sgpr_workgroup_info 0
		.amdhsa_system_vgpr_workitem_id 0
		.amdhsa_next_free_vgpr 96
		.amdhsa_next_free_sgpr 42
		.amdhsa_accum_offset 96
		.amdhsa_reserve_vcc 1
		.amdhsa_float_round_mode_32 0
		.amdhsa_float_round_mode_16_64 0
		.amdhsa_float_denorm_mode_32 3
		.amdhsa_float_denorm_mode_16_64 3
		.amdhsa_dx10_clamp 1
		.amdhsa_ieee_mode 1
		.amdhsa_fp16_overflow 0
		.amdhsa_tg_split 0
		.amdhsa_exception_fp_ieee_invalid_op 0
		.amdhsa_exception_fp_denorm_src 0
		.amdhsa_exception_fp_ieee_div_zero 0
		.amdhsa_exception_fp_ieee_overflow 0
		.amdhsa_exception_fp_ieee_underflow 0
		.amdhsa_exception_fp_ieee_inexact 0
		.amdhsa_exception_int_div_zero 0
	.end_amdhsa_kernel
	.section	.text._Z39paged_attention_ll4mi_QKV_mfma16_kernelIDF16_DF16_LN4vllm18Fp8KVCacheDataTypeE0EhLi16ELi128ELi256ELb1ELi7EEvPKT_PKT0_S7_ifPKiS9_S9_iPKfiiiPfSC_PS2_PT2_iSB_SB_,"axG",@progbits,_Z39paged_attention_ll4mi_QKV_mfma16_kernelIDF16_DF16_LN4vllm18Fp8KVCacheDataTypeE0EhLi16ELi128ELi256ELb1ELi7EEvPKT_PKT0_S7_ifPKiS9_S9_iPKfiiiPfSC_PS2_PT2_iSB_SB_,comdat
.Lfunc_end198:
	.size	_Z39paged_attention_ll4mi_QKV_mfma16_kernelIDF16_DF16_LN4vllm18Fp8KVCacheDataTypeE0EhLi16ELi128ELi256ELb1ELi7EEvPKT_PKT0_S7_ifPKiS9_S9_iPKfiiiPfSC_PS2_PT2_iSB_SB_, .Lfunc_end198-_Z39paged_attention_ll4mi_QKV_mfma16_kernelIDF16_DF16_LN4vllm18Fp8KVCacheDataTypeE0EhLi16ELi128ELi256ELb1ELi7EEvPKT_PKT0_S7_ifPKiS9_S9_iPKfiiiPfSC_PS2_PT2_iSB_SB_
                                        ; -- End function
	.section	.AMDGPU.csdata,"",@progbits
; Kernel info:
; codeLenInByte = 4692
; NumSgprs: 48
; NumVgprs: 96
; NumAgprs: 0
; TotalNumVgprs: 96
; ScratchSize: 0
; MemoryBound: 0
; FloatMode: 240
; IeeeMode: 1
; LDSByteSize: 8192 bytes/workgroup (compile time only)
; SGPRBlocks: 5
; VGPRBlocks: 11
; NumSGPRsForWavesPerEU: 48
; NumVGPRsForWavesPerEU: 96
; AccumOffset: 96
; Occupancy: 5
; WaveLimiterHint : 1
; COMPUTE_PGM_RSRC2:SCRATCH_EN: 0
; COMPUTE_PGM_RSRC2:USER_SGPR: 2
; COMPUTE_PGM_RSRC2:TRAP_HANDLER: 0
; COMPUTE_PGM_RSRC2:TGID_X_EN: 1
; COMPUTE_PGM_RSRC2:TGID_Y_EN: 1
; COMPUTE_PGM_RSRC2:TGID_Z_EN: 1
; COMPUTE_PGM_RSRC2:TIDIG_COMP_CNT: 0
; COMPUTE_PGM_RSRC3_GFX90A:ACCUM_OFFSET: 23
; COMPUTE_PGM_RSRC3_GFX90A:TG_SPLIT: 0
	.section	.text._Z39paged_attention_ll4mi_QKV_mfma16_kernelIDF16_DF16_LN4vllm18Fp8KVCacheDataTypeE0EhLi16ELi128ELi256ELb1ELi8EEvPKT_PKT0_S7_ifPKiS9_S9_iPKfiiiPfSC_PS2_PT2_iSB_SB_,"axG",@progbits,_Z39paged_attention_ll4mi_QKV_mfma16_kernelIDF16_DF16_LN4vllm18Fp8KVCacheDataTypeE0EhLi16ELi128ELi256ELb1ELi8EEvPKT_PKT0_S7_ifPKiS9_S9_iPKfiiiPfSC_PS2_PT2_iSB_SB_,comdat
	.protected	_Z39paged_attention_ll4mi_QKV_mfma16_kernelIDF16_DF16_LN4vllm18Fp8KVCacheDataTypeE0EhLi16ELi128ELi256ELb1ELi8EEvPKT_PKT0_S7_ifPKiS9_S9_iPKfiiiPfSC_PS2_PT2_iSB_SB_ ; -- Begin function _Z39paged_attention_ll4mi_QKV_mfma16_kernelIDF16_DF16_LN4vllm18Fp8KVCacheDataTypeE0EhLi16ELi128ELi256ELb1ELi8EEvPKT_PKT0_S7_ifPKiS9_S9_iPKfiiiPfSC_PS2_PT2_iSB_SB_
	.globl	_Z39paged_attention_ll4mi_QKV_mfma16_kernelIDF16_DF16_LN4vllm18Fp8KVCacheDataTypeE0EhLi16ELi128ELi256ELb1ELi8EEvPKT_PKT0_S7_ifPKiS9_S9_iPKfiiiPfSC_PS2_PT2_iSB_SB_
	.p2align	8
	.type	_Z39paged_attention_ll4mi_QKV_mfma16_kernelIDF16_DF16_LN4vllm18Fp8KVCacheDataTypeE0EhLi16ELi128ELi256ELb1ELi8EEvPKT_PKT0_S7_ifPKiS9_S9_iPKfiiiPfSC_PS2_PT2_iSB_SB_,@function
_Z39paged_attention_ll4mi_QKV_mfma16_kernelIDF16_DF16_LN4vllm18Fp8KVCacheDataTypeE0EhLi16ELi128ELi256ELb1ELi8EEvPKT_PKT0_S7_ifPKiS9_S9_iPKfiiiPfSC_PS2_PT2_iSB_SB_: ; @_Z39paged_attention_ll4mi_QKV_mfma16_kernelIDF16_DF16_LN4vllm18Fp8KVCacheDataTypeE0EhLi16ELi128ELi256ELb1ELi8EEvPKT_PKT0_S7_ifPKiS9_S9_iPKfiiiPfSC_PS2_PT2_iSB_SB_
; %bb.0:
	s_load_dwordx2 s[8:9], s[0:1], 0x30
	s_mov_b32 s26, s3
	s_mov_b64 s[6:7], 0
	s_waitcnt lgkmcnt(0)
	s_cmp_lg_u64 s[8:9], 0
	s_cselect_b64 s[10:11], -1, 0
	s_and_b64 vcc, exec, s[10:11]
	s_cbranch_vccz .LBB199_7
; %bb.1:
	s_add_i32 s12, s2, 1
	s_mov_b32 s13, 0
	s_lshl_b64 s[14:15], s[12:13], 2
	s_add_u32 s14, s8, s14
	s_mov_b32 s3, s13
	s_addc_u32 s15, s9, s15
	s_lshl_b64 s[12:13], s[2:3], 2
	s_add_u32 s12, s8, s12
	s_addc_u32 s13, s9, s13
	s_load_dword s5, s[14:15], 0x0
	s_load_dword s16, s[12:13], 0x0
	s_waitcnt lgkmcnt(0)
	s_sub_i32 s5, s5, s16
	s_cmp_eq_u32 s5, 1
	s_cselect_b64 s[12:13], -1, 0
	s_andn2_b64 vcc, exec, s[6:7]
	s_cbranch_vccnz .LBB199_3
.LBB199_2:
	s_mov_b32 s3, 0
	s_mov_b64 s[12:13], -1
.LBB199_3:
	s_andn2_b64 vcc, exec, s[12:13]
	s_cbranch_vccnz .LBB199_19
; %bb.4:
	s_load_dwordx2 s[6:7], s[0:1], 0x28
	s_lshl_b64 s[12:13], s[2:3], 2
	s_waitcnt lgkmcnt(0)
	s_add_u32 s6, s6, s12
	s_addc_u32 s7, s7, s13
	s_load_dword s33, s[6:7], 0x0
	s_lshl_b32 s18, s26, 8
	s_waitcnt lgkmcnt(0)
	s_cmp_ge_i32 s18, s33
	s_cbranch_scc1 .LBB199_19
; %bb.5:
	s_load_dwordx2 s[6:7], s[0:1], 0x20
	s_load_dword s5, s[0:1], 0x38
	s_add_i32 s14, s33, 15
	s_ashr_i32 s15, s14, 31
	v_and_b32_e32 v1, 0xcf, v0
	s_lshr_b32 s15, s15, 28
	v_add_u32_e32 v1, s18, v1
	s_add_i32 s14, s14, s15
	v_ashrrev_i32_e32 v2, 31, v1
	s_ashr_i32 s19, s14, 4
	v_lshrrev_b32_e32 v4, 28, v2
	s_add_i32 s19, s19, -1
	s_waitcnt lgkmcnt(0)
	s_mul_i32 s14, s2, s5
	s_mov_b32 s15, 0
	v_add_u32_e32 v2, v1, v4
	s_lshl_b64 s[14:15], s[14:15], 2
	v_ashrrev_i32_e32 v2, 4, v2
	v_mov_b32_e32 v5, s19
	v_cmp_gt_i32_e32 vcc, s33, v1
	s_add_u32 s6, s6, s14
	s_addc_u32 s7, s7, s15
	v_cndmask_b32_e32 v2, v5, v2, vcc
	v_ashrrev_i32_e32 v3, 31, v2
	v_lshl_add_u64 v[6:7], v[2:3], 2, s[6:7]
	v_or_b32_e32 v2, 16, v1
	v_add_u32_e32 v3, v2, v4
	v_ashrrev_i32_e32 v3, 4, v3
	v_cmp_gt_i32_e32 vcc, s33, v2
	s_load_dwordx2 s[14:15], s[0:1], 0x8
	s_nop 0
	v_cndmask_b32_e32 v2, v5, v3, vcc
	v_ashrrev_i32_e32 v3, 31, v2
	v_lshl_add_u64 v[8:9], v[2:3], 2, s[6:7]
	v_or_b32_e32 v2, 32, v1
	v_add_u32_e32 v3, v2, v4
	v_ashrrev_i32_e32 v3, 4, v3
	v_cmp_gt_i32_e32 vcc, s33, v2
	v_or_b32_e32 v1, 48, v1
	s_nop 0
	v_cndmask_b32_e32 v2, v5, v3, vcc
	v_ashrrev_i32_e32 v3, 31, v2
	v_lshl_add_u64 v[10:11], v[2:3], 2, s[6:7]
	v_add_u32_e32 v2, v1, v4
	v_ashrrev_i32_e32 v2, 4, v2
	v_cmp_gt_i32_e32 vcc, s33, v1
	s_nop 1
	v_cndmask_b32_e32 v2, v5, v2, vcc
	v_ashrrev_i32_e32 v3, 31, v2
	v_lshl_add_u64 v[12:13], v[2:3], 2, s[6:7]
	global_load_dword v5, v[6:7], off
	global_load_dword v4, v[8:9], off
	;; [unrolled: 1-line block ×4, first 2 shown]
	s_andn2_b64 vcc, exec, s[10:11]
	s_cbranch_vccnz .LBB199_8
; %bb.6:
	s_add_u32 s8, s8, s12
	s_addc_u32 s9, s9, s13
	s_load_dword s5, s[8:9], 0x0
	s_branch .LBB199_9
.LBB199_7:
	s_mov_b64 s[12:13], 0
	s_branch .LBB199_2
.LBB199_8:
	s_mov_b32 s5, s2
.LBB199_9:
	s_load_dwordx2 s[12:13], s[0:1], 0x10
	s_load_dwordx4 s[8:11], s[0:1], 0x48
	v_and_b32_e32 v86, 15, v0
	v_lshlrev_b32_e32 v6, 3, v86
	s_waitcnt lgkmcnt(0)
	s_movk_i32 s11, 0x80
	v_lshrrev_b32_e32 v87, 6, v0
	v_bfe_u32 v1, v0, 4, 2
	s_lshl_b32 s27, s4, 3
	v_cmp_gt_u32_e32 vcc, s11, v0
	v_lshlrev_b32_e32 v82, 1, v6
	s_and_saveexec_b64 s[16:17], vcc
	s_cbranch_execz .LBB199_11
; %bb.10:
	s_load_dwordx2 s[20:21], s[0:1], 0x0
	s_ashr_i32 s11, s8, 31
	s_mul_hi_u32 s22, s5, s8
	s_mul_i32 s11, s5, s11
	s_add_i32 s23, s22, s11
	s_mul_i32 s22, s5, s8
	v_lshl_or_b32 v10, v87, 2, v1
	s_lshl_b64 s[22:23], s[22:23], 1
	s_waitcnt lgkmcnt(0)
	s_add_u32 s20, s20, s22
	v_add_lshl_u32 v6, v10, s27, 7
	s_addc_u32 s21, s21, s23
	v_ashrrev_i32_e32 v7, 31, v6
	v_lshl_add_u64 v[6:7], v[6:7], 1, s[20:21]
	v_mov_b32_e32 v83, 0
	v_lshl_add_u64 v[6:7], v[6:7], 0, v[82:83]
	global_load_dwordx4 v[6:9], v[6:7], off
	v_and_b32_e32 v11, 3, v0
	v_lshlrev_b32_e32 v12, 9, v86
	v_lshlrev_b32_e32 v10, 5, v10
	v_lshlrev_b32_e32 v11, 9, v11
	v_and_b32_e32 v12, 0x1800, v12
	v_bfe_u32 v1, v0, 4, 2
	v_or3_b32 v10, v12, v11, v10
	s_waitcnt vmcnt(0)
	ds_write_b128 v10, v[6:9]
.LBB199_11:
	s_or_b64 exec, exec, s[16:17]
	s_mul_i32 s4, s4, s10
	s_mov_b32 s5, 0
	s_lshl_b64 s[4:5], s[4:5], 1
	s_add_u32 s10, s14, s4
	v_lshlrev_b32_e32 v10, 4, v0
	s_addc_u32 s11, s15, s5
	v_and_b32_e32 v84, 0xf0, v10
	v_mov_b32_e32 v85, 0
	v_lshl_add_u64 v[6:7], s[10:11], 0, v[84:85]
	s_waitcnt vmcnt(3)
	v_mad_i64_i32 v[8:9], s[10:11], v5, s9, 0
	s_waitcnt vmcnt(2)
	v_mad_i64_i32 v[4:5], s[10:11], v4, s9, 0
	v_lshl_add_u64 v[8:9], v[8:9], 1, v[6:7]
	v_and_b32_e32 v84, 0x300, v10
	v_lshl_add_u64 v[4:5], v[4:5], 1, v[6:7]
	v_lshl_add_u64 v[8:9], v[8:9], 0, v[84:85]
	;; [unrolled: 1-line block ×3, first 2 shown]
	s_waitcnt lgkmcnt(0)
	s_barrier
	global_load_dwordx4 v[78:81], v[8:9], off
	global_load_dwordx4 v[74:77], v[8:9], off offset:1024
	global_load_dwordx4 v[70:73], v[8:9], off offset:2048
	;; [unrolled: 1-line block ×3, first 2 shown]
	global_load_dwordx4 v[66:69], v[4:5], off
	global_load_dwordx4 v[62:65], v[4:5], off offset:1024
	global_load_dwordx4 v[58:61], v[4:5], off offset:2048
	;; [unrolled: 1-line block ×3, first 2 shown]
	s_waitcnt vmcnt(9)
	v_mad_i64_i32 v[4:5], s[10:11], v3, s9, 0
	s_waitcnt vmcnt(8)
	v_mad_i64_i32 v[2:3], s[10:11], v2, s9, 0
	v_lshl_add_u64 v[4:5], v[4:5], 1, v[6:7]
	v_lshl_add_u64 v[2:3], v[2:3], 1, v[6:7]
	;; [unrolled: 1-line block ×4, first 2 shown]
	global_load_dwordx4 v[54:57], v[4:5], off
	global_load_dwordx4 v[30:33], v[4:5], off offset:1024
	global_load_dwordx4 v[26:29], v[4:5], off offset:2048
	;; [unrolled: 1-line block ×3, first 2 shown]
	global_load_dwordx4 v[6:9], v[14:15], off
	s_nop 0
	global_load_dwordx4 v[2:5], v[14:15], off offset:1024
	global_load_dwordx4 v[42:45], v[14:15], off offset:2048
	;; [unrolled: 1-line block ×3, first 2 shown]
	v_and_b32_e32 v14, 7, v0
	v_lshlrev_b32_e32 v14, 5, v14
	v_lshl_or_b32 v38, v1, 9, v14
	ds_read_b128 v[14:17], v38
	ds_read_b128 v[50:53], v38 offset:2048
	ds_read_b128 v[46:49], v38 offset:4096
	;; [unrolled: 1-line block ×3, first 2 shown]
	v_and_b32_e32 v88, 63, v0
	v_cmp_gt_u32_e32 vcc, 8, v86
	v_mov_b32_e32 v89, 0
	s_and_saveexec_b64 s[10:11], vcc
	s_cbranch_execz .LBB199_13
; %bb.12:
	s_load_dwordx2 s[14:15], s[0:1], 0x40
	v_or_b32_e32 v90, s27, v86
	v_ashrrev_i32_e32 v91, 31, v90
	s_waitcnt lgkmcnt(0)
	v_lshl_add_u64 v[90:91], v[90:91], 2, s[14:15]
	global_load_dword v89, v[90:91], off
.LBB199_13:
	s_or_b64 exec, exec, s[10:11]
	s_waitcnt vmcnt(15) lgkmcnt(3)
	v_mfma_f32_16x16x16_f16 v[90:93], v[78:79], v[14:15], 0
	s_add_u32 s4, s12, s4
	s_addc_u32 s5, s13, s5
	s_mov_b32 s40, 0xff7fffff
	v_mfma_f32_16x16x16_f16 v[78:81], v[80:81], v[16:17], v[90:93]
	s_waitcnt vmcnt(14) lgkmcnt(2)
	v_mfma_f32_16x16x16_f16 v[78:81], v[74:75], v[50:51], v[78:81]
	s_nop 0
	v_lshl_or_b32 v90, v87, 4, v86
	v_lshlrev_b32_e32 v84, 5, v90
	v_mfma_f32_16x16x16_f16 v[74:77], v[76:77], v[52:53], v[78:81]
	s_waitcnt vmcnt(13) lgkmcnt(1)
	v_mfma_f32_16x16x16_f16 v[74:77], v[70:71], v[46:47], v[74:77]
	v_mfma_f32_16x16x16_f16 v[70:73], v[72:73], v[48:49], v[74:77]
	s_waitcnt vmcnt(11)
	v_mfma_f32_16x16x16_f16 v[74:77], v[66:67], v[14:15], 0
	v_mfma_f32_16x16x16_f16 v[66:69], v[68:69], v[16:17], v[74:77]
	s_nop 5
	v_and_or_b32 v74, v0, 48, s18
	s_waitcnt lgkmcnt(0)
	v_mfma_f32_16x16x16_f16 v[70:73], v[10:11], v[38:39], v[70:73]
	v_ashrrev_i32_e32 v10, 4, v74
	v_mov_b32_e32 v75, s19
	v_cmp_gt_i32_e32 vcc, s33, v74
	s_waitcnt vmcnt(10)
	v_mfma_f32_16x16x16_f16 v[66:69], v[62:63], v[50:51], v[66:69]
	v_cndmask_b32_e32 v10, v75, v10, vcc
	v_ashrrev_i32_e32 v11, 31, v10
	v_lshl_add_u64 v[10:11], v[10:11], 2, s[6:7]
	global_load_dword v76, v[10:11], off
	v_mfma_f32_16x16x16_f16 v[62:65], v[64:65], v[52:53], v[66:69]
	v_or_b32_e32 v10, 64, v74
	v_ashrrev_i32_e32 v11, 4, v10
	v_cmp_gt_i32_e32 vcc, s33, v10
	s_waitcnt vmcnt(10)
	v_mfma_f32_16x16x16_f16 v[62:65], v[58:59], v[46:47], v[62:65]
	v_cndmask_b32_e32 v10, v75, v11, vcc
	v_ashrrev_i32_e32 v11, 31, v10
	v_lshl_add_u64 v[10:11], v[10:11], 2, s[6:7]
	global_load_dword v77, v[10:11], off
	v_or_b32_e32 v10, 0x80, v74
	v_mfma_f32_16x16x16_f16 v[58:61], v[60:61], v[48:49], v[62:65]
	v_ashrrev_i32_e32 v11, 4, v10
	v_cmp_gt_i32_e32 vcc, s33, v10
	s_waitcnt vmcnt(9)
	v_mfma_f32_16x16x16_f16 v[62:65], v[54:55], v[14:15], 0
	v_cndmask_b32_e32 v10, v75, v11, vcc
	v_ashrrev_i32_e32 v11, 31, v10
	v_lshl_add_u64 v[10:11], v[10:11], 2, s[6:7]
	v_mfma_f32_16x16x16_f16 v[54:57], v[56:57], v[16:17], v[62:65]
	s_nop 2
	global_load_dword v62, v[10:11], off
	v_or_b32_e32 v10, 0xc0, v74
	v_ashrrev_i32_e32 v11, 4, v10
	v_cmp_gt_i32_e32 vcc, s33, v10
	s_waitcnt vmcnt(9)
	v_mfma_f32_16x16x16_f16 v[54:57], v[30:31], v[50:51], v[54:57]
	v_cndmask_b32_e32 v10, v75, v11, vcc
	v_ashrrev_i32_e32 v11, 31, v10
	v_lshl_add_u64 v[10:11], v[10:11], 2, s[6:7]
	global_load_dword v63, v[10:11], off
	v_mfma_f32_16x16x16_f16 v[30:33], v[32:33], v[52:53], v[54:57]
	s_load_dword s6, s[0:1], 0x1c
	s_waitcnt vmcnt(3)
	v_mad_i64_i32 v[10:11], s[10:11], v76, s9, 0
	v_mfma_f32_16x16x16_f16 v[30:33], v[26:27], v[46:47], v[30:33]
	v_mfma_f32_16x16x16_f16 v[64:67], v[12:13], v[40:41], v[70:73]
	s_nop 2
	v_lshlrev_b64 v[72:73], 1, v[10:11]
	v_mfma_f32_16x16x16_f16 v[10:13], v[28:29], v[48:49], v[30:33]
	s_waitcnt lgkmcnt(0)
	s_nop 0
	v_pk_mul_f32 v[78:79], s[6:7], v[66:67] op_sel_hi:[0,1]
	v_mfma_f32_16x16x16_f16 v[54:57], v[18:19], v[38:39], v[58:61]
	s_nop 2
	v_lshl_add_u64 v[60:61], s[4:5], 0, v[84:85]
	v_mfma_f32_16x16x16_f16 v[10:13], v[22:23], v[38:39], v[10:13]
	v_lshl_add_u64 v[18:19], v[60:61], 0, v[72:73]
	global_load_dwordx4 v[30:33], v[18:19], off
	global_load_dwordx4 v[26:29], v[18:19], off offset:16
	s_waitcnt vmcnt(4)
	v_mad_i64_i32 v[18:19], s[10:11], v77, s9, 0
	v_mfma_f32_16x16x16_f16 v[68:71], v[20:21], v[40:41], v[54:57]
	v_or_b32_e32 v84, 0x800, v84
	s_nop 1
	v_lshlrev_b64 v[54:55], 1, v[18:19]
	v_mfma_f32_16x16x16_f16 v[92:95], v[24:25], v[40:41], v[10:13]
	s_nop 1
	v_pk_mul_f32 v[76:77], s[6:7], v[68:69] op_sel_hi:[0,1]
	v_pk_mul_f32 v[74:75], s[6:7], v[70:71] op_sel_hi:[0,1]
	v_lshl_add_u64 v[10:11], v[60:61], 0, v[54:55]
	global_load_dwordx4 v[22:25], v[10:11], off
	global_load_dwordx4 v[18:21], v[10:11], off offset:16
	v_mfma_f32_16x16x16_f16 v[10:13], v[6:7], v[14:15], 0
	s_waitcnt vmcnt(5)
	v_mad_i64_i32 v[6:7], s[10:11], v62, s9, 0
	v_lshlrev_b64 v[56:57], 1, v[6:7]
	v_mfma_f32_16x16x16_f16 v[6:9], v[8:9], v[16:17], v[10:13]
	v_pk_mul_f32 v[70:71], s[6:7], v[94:95] op_sel_hi:[0,1]
	v_mfma_f32_16x16x16_f16 v[6:9], v[2:3], v[50:51], v[6:9]
	s_waitcnt vmcnt(4)
	v_mad_i64_i32 v[2:3], s[8:9], v63, s9, 0
	v_lshlrev_b64 v[58:59], 1, v[2:3]
	v_mfma_f32_16x16x16_f16 v[50:53], v[4:5], v[52:53], v[6:9]
	v_lshl_add_u64 v[10:11], v[60:61], 0, v[56:57]
	v_lshl_add_u64 v[2:3], v[60:61], 0, v[58:59]
	v_pk_mul_f32 v[60:61], s[6:7], v[64:65] op_sel_hi:[0,1]
	v_mfma_f32_16x16x16_f16 v[50:53], v[42:43], v[46:47], v[50:53]
	v_lshl_add_u64 v[62:63], s[4:5], 0, v[84:85]
	v_lshl_add_u64 v[42:43], v[62:63], 0, v[72:73]
	v_pk_mul_f32 v[72:73], s[6:7], v[92:93] op_sel_hi:[0,1]
	v_mfma_f32_16x16x16_f16 v[44:47], v[44:45], v[48:49], v[50:53]
	v_lshl_add_u64 v[58:59], v[62:63], 0, v[58:59]
	global_load_dwordx4 v[14:17], v[10:11], off
	s_nop 0
	global_load_dwordx4 v[10:13], v[10:11], off offset:16
	s_nop 0
	global_load_dwordx4 v[6:9], v[2:3], off
	s_nop 0
	global_load_dwordx4 v[2:5], v[2:3], off offset:16
	v_mfma_f32_16x16x16_f16 v[44:47], v[34:35], v[38:39], v[44:47]
	v_mfma_f32_16x16x16_f16 v[34:37], v[36:37], v[40:41], v[44:47]
	s_nop 6
	v_pk_mul_f32 v[68:69], s[6:7], v[34:35] op_sel_hi:[0,1]
	v_and_b32_e32 v34, 0xc0, v0
	v_add_u32_e32 v34, s18, v34
	v_lshl_or_b32 v34, v1, 2, v34
	v_or_b32_e32 v35, 1, v34
	v_pk_mul_f32 v[66:67], s[6:7], v[36:37] op_sel_hi:[0,1]
	v_subrev_u32_e32 v36, s33, v35
	v_add_u32_e32 v38, 1, v36
	v_add_u32_e32 v39, 2, v36
	v_cvt_f32_i32_e32 v37, v36
	v_cvt_f32_i32_e32 v38, v38
	;; [unrolled: 1-line block ×3, first 2 shown]
	v_add_u32_e32 v40, 3, v36
	v_fma_f32 v60, v89, v37, v60
	v_fmac_f32_e32 v61, v89, v38
	v_fma_f32 v78, v89, v39, v78
	v_add_u32_e32 v37, 16, v36
	v_add_u32_e32 v38, 17, v36
	;; [unrolled: 1-line block ×3, first 2 shown]
	v_cvt_f32_i32_e32 v40, v40
	v_cvt_f32_i32_e32 v37, v37
	;; [unrolled: 1-line block ×4, first 2 shown]
	v_fmac_f32_e32 v79, v89, v40
	v_add_u32_e32 v40, 19, v36
	v_fma_f32 v76, v89, v37, v76
	v_fmac_f32_e32 v77, v89, v38
	v_fma_f32 v74, v89, v39, v74
	v_add_u32_e32 v37, 32, v36
	v_add_u32_e32 v38, 33, v36
	;; [unrolled: 1-line block ×3, first 2 shown]
	v_cvt_f32_i32_e32 v40, v40
	v_cvt_f32_i32_e32 v37, v37
	v_cvt_f32_i32_e32 v38, v38
	v_cvt_f32_i32_e32 v39, v39
	v_fmac_f32_e32 v75, v89, v40
	v_add_u32_e32 v40, 35, v36
	v_fma_f32 v72, v89, v37, v72
	v_fmac_f32_e32 v73, v89, v38
	v_fma_f32 v70, v89, v39, v70
	v_add_u32_e32 v37, 48, v36
	v_add_u32_e32 v38, 49, v36
	;; [unrolled: 1-line block ×4, first 2 shown]
	v_cvt_f32_i32_e32 v36, v36
	v_cvt_f32_i32_e32 v37, v37
	v_cvt_f32_i32_e32 v38, v38
	v_cmp_gt_i32_e64 s[28:29], s33, v34
	v_fmac_f32_e32 v67, v89, v36
	v_mov_b32_e32 v36, 0xff7fffff
	v_cmp_gt_i32_e64 s[30:31], s33, v35
	v_fma_f32 v68, v89, v37, v68
	v_cndmask_b32_e64 v37, v36, v60, s[28:29]
	v_cndmask_b32_e64 v35, v36, v61, s[30:31]
	v_fmac_f32_e32 v69, v89, v38
	v_max3_f32 v35, v37, s40, v35
	v_or_b32_e32 v37, 2, v34
	v_or_b32_e32 v38, 3, v34
	v_cmp_gt_i32_e64 s[34:35], s33, v37
	v_cmp_gt_i32_e64 s[36:37], s33, v38
	v_cvt_f32_i32_e32 v40, v40
	v_cndmask_b32_e64 v37, v36, v78, s[34:35]
	v_cndmask_b32_e64 v38, v36, v79, s[36:37]
	v_max3_f32 v35, v35, v37, v38
	v_or_b32_e32 v37, 16, v34
	v_or_b32_e32 v38, 17, v34
	v_cmp_gt_i32_e64 s[22:23], s33, v37
	v_cmp_gt_i32_e64 s[24:25], s33, v38
	v_fmac_f32_e32 v71, v89, v40
	v_cndmask_b32_e64 v37, v36, v76, s[22:23]
	v_cndmask_b32_e64 v38, v36, v77, s[24:25]
	v_max3_f32 v35, v35, v37, v38
	v_or_b32_e32 v37, 18, v34
	v_or_b32_e32 v38, 19, v34
	v_cmp_gt_i32_e64 s[18:19], s33, v37
	v_cmp_gt_i32_e64 s[20:21], s33, v38
	v_cvt_f32_i32_e32 v39, v39
	v_cndmask_b32_e64 v37, v36, v74, s[18:19]
	v_cndmask_b32_e64 v38, v36, v75, s[20:21]
	v_max3_f32 v35, v35, v37, v38
	v_or_b32_e32 v37, 32, v34
	v_or_b32_e32 v38, 33, v34
	v_cmp_gt_i32_e64 s[14:15], s33, v37
	v_cmp_gt_i32_e64 s[16:17], s33, v38
	v_fma_f32 v66, v89, v39, v66
	v_cndmask_b32_e64 v37, v36, v72, s[14:15]
	v_cndmask_b32_e64 v38, v36, v73, s[16:17]
	v_max3_f32 v35, v35, v37, v38
	v_or_b32_e32 v37, 34, v34
	v_or_b32_e32 v38, 35, v34
	v_cmp_gt_i32_e64 s[10:11], s33, v37
	v_cmp_gt_i32_e64 s[12:13], s33, v38
	s_nop 0
	v_cndmask_b32_e64 v37, v36, v70, s[10:11]
	v_cndmask_b32_e64 v38, v36, v71, s[12:13]
	v_max3_f32 v35, v35, v37, v38
	v_or_b32_e32 v37, 48, v34
	v_or_b32_e32 v38, 49, v34
	v_cmp_gt_i32_e64 s[6:7], s33, v37
	v_cmp_gt_i32_e64 s[8:9], s33, v38
	s_nop 0
	v_cndmask_b32_e64 v37, v36, v68, s[6:7]
	v_cndmask_b32_e64 v38, v36, v69, s[8:9]
	v_max3_f32 v35, v35, v37, v38
	v_or_b32_e32 v37, 50, v34
	v_or_b32_e32 v34, 51, v34
	v_cmp_gt_i32_e32 vcc, s33, v37
	v_cmp_gt_i32_e64 s[4:5], s33, v34
	global_load_dwordx4 v[46:49], v[42:43], off
	global_load_dwordx4 v[38:41], v[42:43], off offset:16
	v_cndmask_b32_e32 v37, v36, v66, vcc
	v_cndmask_b32_e64 v34, v36, v67, s[4:5]
	v_max3_f32 v50, v35, v37, v34
	v_mbcnt_lo_u32_b32 v34, -1, 0
	v_mbcnt_hi_u32_b32 v51, -1, v34
	v_and_b32_e32 v34, 64, v51
	v_add_u32_e32 v52, 64, v34
	v_xor_b32_e32 v34, 32, v51
	v_cmp_lt_i32_e64 s[38:39], v34, v52
	s_nop 1
	v_cndmask_b32_e64 v34, v51, v34, s[38:39]
	v_lshlrev_b32_e32 v85, 2, v34
	ds_bpermute_b32 v53, v85, v50
	v_lshl_add_u64 v[34:35], v[62:63], 0, v[54:55]
	global_load_dwordx4 v[42:45], v[34:35], off
	s_nop 0
	global_load_dwordx4 v[34:37], v[34:35], off offset:16
	s_waitcnt lgkmcnt(0)
	v_max_f32_e32 v53, v53, v53
	v_max_f32_e32 v64, v50, v53
	v_xor_b32_e32 v50, 16, v51
	v_cmp_lt_i32_e64 s[38:39], v50, v52
	s_nop 1
	v_cndmask_b32_e64 v50, v51, v50, s[38:39]
	v_lshlrev_b32_e32 v89, 2, v50
	ds_bpermute_b32 v65, v89, v64
	v_lshl_add_u64 v[50:51], v[62:63], 0, v[56:57]
	global_load_dwordx4 v[54:57], v[50:51], off
	s_nop 0
	global_load_dwordx4 v[50:53], v[50:51], off offset:16
	s_waitcnt lgkmcnt(0)
	v_max_f32_e32 v62, v65, v65
	v_max_f32_e32 v84, v64, v62
	v_sub_f32_e32 v60, v60, v84
	v_mul_f32_e32 v60, 0x3fb8aa3b, v60
	v_exp_f32_e32 v80, v60
	v_sub_f32_e32 v60, v61, v84
	v_mul_f32_e32 v60, 0x3fb8aa3b, v60
	v_exp_f32_e32 v81, v60
	global_load_dwordx4 v[62:65], v[58:59], off
	s_nop 0
	global_load_dwordx4 v[58:61], v[58:59], off offset:16
	v_sub_f32_e32 v78, v78, v84
	v_mul_f32_e32 v78, 0x3fb8aa3b, v78
	v_sub_f32_e32 v79, v79, v84
	v_exp_f32_e32 v78, v78
	v_mul_f32_e32 v79, 0x3fb8aa3b, v79
	v_sub_f32_e32 v76, v76, v84
	v_exp_f32_e32 v79, v79
	v_mul_f32_e32 v76, 0x3fb8aa3b, v76
	v_sub_f32_e32 v77, v77, v84
	v_cndmask_b32_e64 v80, 0, v80, s[28:29]
	v_exp_f32_e32 v76, v76
	v_mul_f32_e32 v77, 0x3fb8aa3b, v77
	v_sub_f32_e32 v74, v74, v84
	v_add_f32_e32 v91, 0, v80
	v_cndmask_b32_e64 v81, 0, v81, s[30:31]
	v_exp_f32_e32 v77, v77
	v_mul_f32_e32 v74, 0x3fb8aa3b, v74
	v_sub_f32_e32 v75, v75, v84
	v_add_f32_e32 v91, v91, v81
	;; [unrolled: 5-line block ×10, first 2 shown]
	v_cndmask_b32_e64 v70, 0, v70, s[10:11]
	v_exp_f32_e32 v66, v66
	v_mul_f32_e32 v67, 0x3fb8aa3b, v67
	v_add_f32_e32 v91, v91, v70
	v_cndmask_b32_e64 v71, 0, v71, s[12:13]
	v_exp_f32_e32 v67, v67
	v_add_f32_e32 v91, v91, v71
	v_cndmask_b32_e64 v68, 0, v68, s[6:7]
	v_add_f32_e32 v91, v91, v68
	v_cndmask_b32_e64 v69, 0, v69, s[8:9]
	v_add_f32_e32 v91, v91, v69
	v_cndmask_b32_e32 v66, 0, v66, vcc
	v_add_f32_e32 v91, v91, v66
	v_cndmask_b32_e64 v67, 0, v67, s[4:5]
	v_add_f32_e32 v91, v91, v67
	ds_bpermute_b32 v85, v85, v91
	s_load_dword s7, s[0:1], 0x98
	v_cmp_gt_u32_e32 vcc, 16, v88
	s_waitcnt lgkmcnt(0)
	s_barrier
	v_add_f32_e32 v85, v91, v85
	ds_bpermute_b32 v89, v89, v85
	s_waitcnt lgkmcnt(0)
	s_and_saveexec_b64 s[4:5], vcc
	s_cbranch_execz .LBB199_15
; %bb.14:
	v_add_f32_e32 v85, v85, v89
	v_lshlrev_b32_e32 v88, 2, v90
	ds_write2st64_b32 v88, v84, v85 offset1:1
.LBB199_15:
	s_or_b64 exec, exec, s[4:5]
	v_lshlrev_b32_e32 v85, 2, v86
	s_load_dword s6, s[0:1], 0x94
	s_waitcnt lgkmcnt(0)
	s_barrier
	ds_read2_b32 v[88:89], v85 offset1:16
	ds_read2_b32 v[90:91], v85 offset0:32 offset1:48
	ds_read2_b32 v[92:93], v85 offset0:64 offset1:80
	s_lshl_b32 s7, s7, 3
	s_waitcnt lgkmcnt(2)
	v_max3_f32 v84, v88, s40, v89
	s_waitcnt lgkmcnt(1)
	v_max3_f32 v84, v84, v90, v91
	v_sub_f32_e32 v88, v88, v84
	v_mul_f32_e32 v88, 0x3fb8aa3b, v88
	v_exp_f32_e32 v94, v88
	v_sub_f32_e32 v88, v89, v84
	v_mul_f32_e32 v88, 0x3fb8aa3b, v88
	v_exp_f32_e32 v95, v88
	;; [unrolled: 3-line block ×3, first 2 shown]
	ds_read2_b32 v[88:89], v85 offset0:96 offset1:112
	v_sub_f32_e32 v85, v91, v84
	v_mul_f32_e32 v85, 0x3fb8aa3b, v85
	v_exp_f32_e32 v91, v85
	s_waitcnt lgkmcnt(1)
	v_fma_f32 v85, v94, v92, 0
	v_fmac_f32_e32 v85, v95, v93
	s_waitcnt lgkmcnt(0)
	v_fmac_f32_e32 v85, v90, v88
	v_fmac_f32_e32 v85, v91, v89
	v_add_f32_e32 v88, 0x358637bd, v85
	v_div_scale_f32 v89, s[4:5], v88, v88, 1.0
	v_rcp_f32_e32 v92, v89
	s_barrier
	v_fma_f32 v93, -v89, v92, 1.0
	v_fmac_f32_e32 v92, v93, v92
	v_div_scale_f32 v93, vcc, 1.0, v88, 1.0
	v_mul_f32_e32 v83, v93, v92
	v_fma_f32 v1, -v89, v83, v93
	v_fmac_f32_e32 v83, v1, v92
	v_fma_f32 v1, -v89, v83, v93
	v_div_fmas_f32 v1, v1, v92, v83
	v_cmp_eq_u32_e32 vcc, 1, v87
	v_div_fixup_f32 v1, v1, v88, 1.0
	s_nop 0
	v_cndmask_b32_e32 v83, v94, v95, vcc
	v_cmp_eq_u32_e32 vcc, 2, v87
	s_nop 1
	v_cndmask_b32_e32 v83, v83, v90, vcc
	v_cmp_eq_u32_e32 vcc, 3, v87
	s_nop 1
	v_cndmask_b32_e32 v83, v83, v91, vcc
	v_mul_f32_e32 v88, v83, v1
	v_pk_mul_f32 v[78:79], v[88:89], v[78:79] op_sel_hi:[0,1]
	v_cvt_f16_f32_e32 v78, v78
	v_cvt_f16_f32_e32 v79, v79
	v_pk_mul_f32 v[80:81], v[88:89], v[80:81] op_sel_hi:[0,1]
	v_cvt_f16_f32_e32 v1, v80
	v_cvt_f16_f32_e32 v80, v81
	v_pk_mul_f32 v[74:75], v[88:89], v[74:75] op_sel_hi:[0,1]
	v_pk_mul_f32 v[76:77], v[88:89], v[76:77] op_sel_hi:[0,1]
	v_pack_b32_f16 v81, v78, v79
	v_cvt_f16_f32_e32 v76, v76
	v_cvt_f16_f32_e32 v77, v77
	v_cvt_f16_f32_e32 v79, v74
	v_cvt_f16_f32_e32 v75, v75
	v_bfe_u32 v83, v0, 4, 2
	v_pack_b32_f16 v80, v1, v80
	v_lshlrev_b32_e32 v1, 3, v83
	v_lshlrev_b32_e32 v78, 5, v86
	v_lshlrev_b32_e32 v74, 11, v87
	v_pk_mul_f32 v[70:71], v[88:89], v[70:71] op_sel_hi:[0,1]
	v_pk_mul_f32 v[72:73], v[88:89], v[72:73] op_sel_hi:[0,1]
	;; [unrolled: 1-line block ×4, first 2 shown]
	v_or3_b32 v74, v74, v78, v1
	v_pack_b32_f16 v76, v76, v77
	v_pack_b32_f16 v77, v79, v75
	v_cvt_f16_f32_e32 v1, v72
	v_cvt_f16_f32_e32 v72, v73
	;; [unrolled: 1-line block ×8, first 2 shown]
	v_pack_b32_f16 v66, v1, v72
	v_pack_b32_f16 v67, v70, v71
	;; [unrolled: 1-line block ×4, first 2 shown]
	v_cmp_gt_u32_e32 vcc, 8, v0
	ds_write2st64_b64 v74, v[80:81], v[76:77] offset1:1
	ds_write2st64_b64 v74, v[66:67], v[68:69] offset0:2 offset1:3
	s_and_saveexec_b64 s[4:5], vcc
	s_cbranch_execz .LBB199_17
; %bb.16:
	v_or_b32_e32 v66, s27, v0
	v_mov_b32_e32 v67, 0
	v_mov_b32_e32 v1, s7
	v_mad_u64_u32 v[68:69], s[12:13], s2, v1, v[66:67]
	v_mov_b32_e32 v66, s26
	s_load_dwordx4 s[8:11], s[0:1], 0x58
	s_mul_i32 s3, s3, s7
	v_mad_u64_u32 v[66:67], s[12:13], v68, s6, v[66:67]
	v_add_u32_e32 v1, s3, v69
	v_mov_b32_e32 v68, v67
	v_mad_u64_u32 v[68:69], s[12:13], v1, s6, v[68:69]
	v_mov_b32_e32 v67, v68
	v_lshlrev_b64 v[66:67], 2, v[66:67]
	s_waitcnt lgkmcnt(0)
	v_lshl_add_u64 v[68:69], s[10:11], 0, v[66:67]
	v_lshl_add_u64 v[66:67], s[8:9], 0, v[66:67]
	global_store_dword v[68:69], v84, off
	global_store_dword v[66:67], v85, off
.LBB199_17:
	s_or_b64 exec, exec, s[4:5]
	v_lshl_or_b32 v1, v83, 9, v78
	s_waitcnt lgkmcnt(0)
	s_barrier
	ds_read_b128 v[70:73], v1
	ds_read_b128 v[66:69], v1 offset:16
	s_waitcnt vmcnt(15) lgkmcnt(1)
	v_mfma_f32_16x16x16_f16 v[76:79], v[30:31], v[70:71], 0
	s_mov_b32 s3, 0
	v_cmp_gt_u32_e32 vcc, 64, v0
	v_mfma_f32_16x16x16_f16 v[30:33], v[32:33], v[72:73], v[76:79]
	s_waitcnt vmcnt(14) lgkmcnt(0)
	v_mfma_f32_16x16x16_f16 v[30:33], v[26:27], v[66:67], v[30:33]
	v_mfma_f32_16x16x16_f16 v[26:29], v[28:29], v[68:69], v[30:33]
	s_nop 5
	ds_read_b128 v[30:33], v1 offset:2048
	ds_read_b128 v[76:79], v1 offset:2064
	s_waitcnt vmcnt(13) lgkmcnt(1)
	v_mfma_f32_16x16x16_f16 v[26:29], v[22:23], v[30:31], v[26:29]
	v_mfma_f32_16x16x16_f16 v[22:25], v[24:25], v[32:33], v[26:29]
	s_waitcnt vmcnt(12) lgkmcnt(0)
	v_mfma_f32_16x16x16_f16 v[22:25], v[18:19], v[76:77], v[22:25]
	v_mfma_f32_16x16x16_f16 v[18:21], v[20:21], v[78:79], v[22:25]
	s_nop 5
	ds_read_b128 v[22:25], v1 offset:4096
	ds_read_b128 v[26:29], v1 offset:4112
	s_waitcnt vmcnt(11) lgkmcnt(1)
	v_mfma_f32_16x16x16_f16 v[18:21], v[14:15], v[22:23], v[18:21]
	v_mfma_f32_16x16x16_f16 v[14:17], v[16:17], v[24:25], v[18:21]
	s_waitcnt vmcnt(10) lgkmcnt(0)
	v_mfma_f32_16x16x16_f16 v[14:17], v[10:11], v[26:27], v[14:17]
	v_mfma_f32_16x16x16_f16 v[10:13], v[12:13], v[28:29], v[14:17]
	s_nop 5
	ds_read_b128 v[14:17], v1 offset:6144
	ds_read_b128 v[18:21], v1 offset:6160
	s_waitcnt lgkmcnt(0)
	s_barrier
	s_waitcnt vmcnt(9)
	v_mfma_f32_16x16x16_f16 v[10:13], v[6:7], v[14:15], v[10:13]
	v_mfma_f32_16x16x16_f16 v[6:9], v[8:9], v[16:17], v[10:13]
	s_waitcnt vmcnt(8)
	v_mfma_f32_16x16x16_f16 v[6:9], v[2:3], v[18:19], v[6:9]
	v_mfma_f32_16x16x16_f16 v[2:5], v[4:5], v[20:21], v[6:9]
	;; [unrolled: 3-line block ×3, first 2 shown]
	s_nop 3
	v_cvt_f16_f32_e32 v1, v2
	v_cvt_f16_f32_e32 v10, v3
	;; [unrolled: 1-line block ×3, first 2 shown]
	s_waitcnt vmcnt(6)
	v_mfma_f32_16x16x16_f16 v[6:9], v[38:39], v[66:67], v[6:9]
	v_cvt_f16_f32_e32 v12, v5
	v_mfma_f32_16x16x16_f16 v[6:9], v[40:41], v[68:69], v[6:9]
	s_waitcnt vmcnt(5)
	v_mfma_f32_16x16x16_f16 v[6:9], v[42:43], v[30:31], v[6:9]
	v_mfma_f32_16x16x16_f16 v[6:9], v[44:45], v[32:33], v[6:9]
	s_waitcnt vmcnt(4)
	v_mfma_f32_16x16x16_f16 v[6:9], v[34:35], v[76:77], v[6:9]
	;; [unrolled: 3-line block ×6, first 2 shown]
	v_mfma_f32_16x16x16_f16 v[2:5], v[60:61], v[20:21], v[6:9]
	s_nop 6
	v_cvt_f16_f32_e32 v6, v2
	v_cvt_f16_f32_e32 v7, v3
	;; [unrolled: 1-line block ×4, first 2 shown]
	v_pack_b32_f16 v2, v1, v10
	v_pack_b32_f16 v3, v11, v12
	;; [unrolled: 1-line block ×4, first 2 shown]
	ds_write2st64_b64 v74, v[2:3], v[4:5] offset1:1
	s_waitcnt lgkmcnt(0)
	s_barrier
	s_and_saveexec_b64 s[4:5], vcc
	s_cbranch_execz .LBB199_19
; %bb.18:
	s_load_dwordx2 s[0:1], s[0:1], 0x68
	s_lshl_b32 s6, s6, 7
	s_mul_i32 s2, s7, s2
	s_mul_hi_u32 s5, s2, s6
	s_mul_i32 s4, s2, s6
	v_lshlrev_b32_e32 v3, 6, v86
	s_lshl_b64 s[4:5], s[4:5], 1
	v_lshlrev_b32_e32 v2, 4, v0
	v_lshl_or_b32 v0, v0, 10, v3
	s_waitcnt lgkmcnt(0)
	s_add_u32 s4, s0, s4
	v_lshlrev_b32_e32 v1, 5, v83
	v_and_b32_e32 v2, 16, v2
	v_and_b32_e32 v0, 0x1a00, v0
	s_addc_u32 s5, s1, s5
	s_lshl_b32 s2, s26, 7
	v_or3_b32 v0, v0, v1, v2
	s_lshl_b64 s[0:1], s[2:3], 1
	ds_read_b128 v[2:5], v0
	ds_read_b128 v[6:9], v0 offset:128
	s_add_u32 s0, s4, s0
	v_mov_b32_e32 v0, v83
	s_addc_u32 s1, s5, s1
	v_mov_b32_e32 v83, 0
	v_or_b32_e32 v12, s27, v0
	v_lshl_add_u64 v[10:11], s[0:1], 0, v[82:83]
	v_mad_u64_u32 v[0:1], s[0:1], v12, s6, 0
	v_lshl_add_u64 v[0:1], v[0:1], 1, v[10:11]
	s_waitcnt lgkmcnt(1)
	global_store_dwordx4 v[0:1], v[2:5], off
	v_or_b32_e32 v0, 4, v12
	v_mad_u64_u32 v[0:1], s[0:1], v0, s6, 0
	v_lshl_add_u64 v[0:1], v[0:1], 1, v[10:11]
	s_waitcnt lgkmcnt(0)
	global_store_dwordx4 v[0:1], v[6:9], off
.LBB199_19:
	s_endpgm
	.section	.rodata,"a",@progbits
	.p2align	6, 0x0
	.amdhsa_kernel _Z39paged_attention_ll4mi_QKV_mfma16_kernelIDF16_DF16_LN4vllm18Fp8KVCacheDataTypeE0EhLi16ELi128ELi256ELb1ELi8EEvPKT_PKT0_S7_ifPKiS9_S9_iPKfiiiPfSC_PS2_PT2_iSB_SB_
		.amdhsa_group_segment_fixed_size 8192
		.amdhsa_private_segment_fixed_size 0
		.amdhsa_kernarg_size 400
		.amdhsa_user_sgpr_count 2
		.amdhsa_user_sgpr_dispatch_ptr 0
		.amdhsa_user_sgpr_queue_ptr 0
		.amdhsa_user_sgpr_kernarg_segment_ptr 1
		.amdhsa_user_sgpr_dispatch_id 0
		.amdhsa_user_sgpr_kernarg_preload_length 0
		.amdhsa_user_sgpr_kernarg_preload_offset 0
		.amdhsa_user_sgpr_private_segment_size 0
		.amdhsa_uses_dynamic_stack 0
		.amdhsa_enable_private_segment 0
		.amdhsa_system_sgpr_workgroup_id_x 1
		.amdhsa_system_sgpr_workgroup_id_y 1
		.amdhsa_system_sgpr_workgroup_id_z 1
		.amdhsa_system_sgpr_workgroup_info 0
		.amdhsa_system_vgpr_workitem_id 0
		.amdhsa_next_free_vgpr 96
		.amdhsa_next_free_sgpr 41
		.amdhsa_accum_offset 96
		.amdhsa_reserve_vcc 1
		.amdhsa_float_round_mode_32 0
		.amdhsa_float_round_mode_16_64 0
		.amdhsa_float_denorm_mode_32 3
		.amdhsa_float_denorm_mode_16_64 3
		.amdhsa_dx10_clamp 1
		.amdhsa_ieee_mode 1
		.amdhsa_fp16_overflow 0
		.amdhsa_tg_split 0
		.amdhsa_exception_fp_ieee_invalid_op 0
		.amdhsa_exception_fp_denorm_src 0
		.amdhsa_exception_fp_ieee_div_zero 0
		.amdhsa_exception_fp_ieee_overflow 0
		.amdhsa_exception_fp_ieee_underflow 0
		.amdhsa_exception_fp_ieee_inexact 0
		.amdhsa_exception_int_div_zero 0
	.end_amdhsa_kernel
	.section	.text._Z39paged_attention_ll4mi_QKV_mfma16_kernelIDF16_DF16_LN4vllm18Fp8KVCacheDataTypeE0EhLi16ELi128ELi256ELb1ELi8EEvPKT_PKT0_S7_ifPKiS9_S9_iPKfiiiPfSC_PS2_PT2_iSB_SB_,"axG",@progbits,_Z39paged_attention_ll4mi_QKV_mfma16_kernelIDF16_DF16_LN4vllm18Fp8KVCacheDataTypeE0EhLi16ELi128ELi256ELb1ELi8EEvPKT_PKT0_S7_ifPKiS9_S9_iPKfiiiPfSC_PS2_PT2_iSB_SB_,comdat
.Lfunc_end199:
	.size	_Z39paged_attention_ll4mi_QKV_mfma16_kernelIDF16_DF16_LN4vllm18Fp8KVCacheDataTypeE0EhLi16ELi128ELi256ELb1ELi8EEvPKT_PKT0_S7_ifPKiS9_S9_iPKfiiiPfSC_PS2_PT2_iSB_SB_, .Lfunc_end199-_Z39paged_attention_ll4mi_QKV_mfma16_kernelIDF16_DF16_LN4vllm18Fp8KVCacheDataTypeE0EhLi16ELi128ELi256ELb1ELi8EEvPKT_PKT0_S7_ifPKiS9_S9_iPKfiiiPfSC_PS2_PT2_iSB_SB_
                                        ; -- End function
	.section	.AMDGPU.csdata,"",@progbits
; Kernel info:
; codeLenInByte = 4660
; NumSgprs: 47
; NumVgprs: 96
; NumAgprs: 0
; TotalNumVgprs: 96
; ScratchSize: 0
; MemoryBound: 0
; FloatMode: 240
; IeeeMode: 1
; LDSByteSize: 8192 bytes/workgroup (compile time only)
; SGPRBlocks: 5
; VGPRBlocks: 11
; NumSGPRsForWavesPerEU: 47
; NumVGPRsForWavesPerEU: 96
; AccumOffset: 96
; Occupancy: 5
; WaveLimiterHint : 1
; COMPUTE_PGM_RSRC2:SCRATCH_EN: 0
; COMPUTE_PGM_RSRC2:USER_SGPR: 2
; COMPUTE_PGM_RSRC2:TRAP_HANDLER: 0
; COMPUTE_PGM_RSRC2:TGID_X_EN: 1
; COMPUTE_PGM_RSRC2:TGID_Y_EN: 1
; COMPUTE_PGM_RSRC2:TGID_Z_EN: 1
; COMPUTE_PGM_RSRC2:TIDIG_COMP_CNT: 0
; COMPUTE_PGM_RSRC3_GFX90A:ACCUM_OFFSET: 23
; COMPUTE_PGM_RSRC3_GFX90A:TG_SPLIT: 0
	.section	.text._Z39paged_attention_ll4mi_QKV_mfma16_kernelIDF16_DF16_LN4vllm18Fp8KVCacheDataTypeE0EhLi16ELi128ELi256ELb1ELi9EEvPKT_PKT0_S7_ifPKiS9_S9_iPKfiiiPfSC_PS2_PT2_iSB_SB_,"axG",@progbits,_Z39paged_attention_ll4mi_QKV_mfma16_kernelIDF16_DF16_LN4vllm18Fp8KVCacheDataTypeE0EhLi16ELi128ELi256ELb1ELi9EEvPKT_PKT0_S7_ifPKiS9_S9_iPKfiiiPfSC_PS2_PT2_iSB_SB_,comdat
	.protected	_Z39paged_attention_ll4mi_QKV_mfma16_kernelIDF16_DF16_LN4vllm18Fp8KVCacheDataTypeE0EhLi16ELi128ELi256ELb1ELi9EEvPKT_PKT0_S7_ifPKiS9_S9_iPKfiiiPfSC_PS2_PT2_iSB_SB_ ; -- Begin function _Z39paged_attention_ll4mi_QKV_mfma16_kernelIDF16_DF16_LN4vllm18Fp8KVCacheDataTypeE0EhLi16ELi128ELi256ELb1ELi9EEvPKT_PKT0_S7_ifPKiS9_S9_iPKfiiiPfSC_PS2_PT2_iSB_SB_
	.globl	_Z39paged_attention_ll4mi_QKV_mfma16_kernelIDF16_DF16_LN4vllm18Fp8KVCacheDataTypeE0EhLi16ELi128ELi256ELb1ELi9EEvPKT_PKT0_S7_ifPKiS9_S9_iPKfiiiPfSC_PS2_PT2_iSB_SB_
	.p2align	8
	.type	_Z39paged_attention_ll4mi_QKV_mfma16_kernelIDF16_DF16_LN4vllm18Fp8KVCacheDataTypeE0EhLi16ELi128ELi256ELb1ELi9EEvPKT_PKT0_S7_ifPKiS9_S9_iPKfiiiPfSC_PS2_PT2_iSB_SB_,@function
_Z39paged_attention_ll4mi_QKV_mfma16_kernelIDF16_DF16_LN4vllm18Fp8KVCacheDataTypeE0EhLi16ELi128ELi256ELb1ELi9EEvPKT_PKT0_S7_ifPKiS9_S9_iPKfiiiPfSC_PS2_PT2_iSB_SB_: ; @_Z39paged_attention_ll4mi_QKV_mfma16_kernelIDF16_DF16_LN4vllm18Fp8KVCacheDataTypeE0EhLi16ELi128ELi256ELb1ELi9EEvPKT_PKT0_S7_ifPKiS9_S9_iPKfiiiPfSC_PS2_PT2_iSB_SB_
; %bb.0:
	s_load_dwordx2 s[8:9], s[0:1], 0x30
	s_mov_b32 s26, s3
	s_mov_b64 s[6:7], 0
	s_waitcnt lgkmcnt(0)
	s_cmp_lg_u64 s[8:9], 0
	s_cselect_b64 s[10:11], -1, 0
	s_and_b64 vcc, exec, s[10:11]
	s_cbranch_vccz .LBB200_7
; %bb.1:
	s_add_i32 s12, s2, 1
	s_mov_b32 s13, 0
	s_lshl_b64 s[14:15], s[12:13], 2
	s_add_u32 s14, s8, s14
	s_mov_b32 s3, s13
	s_addc_u32 s15, s9, s15
	s_lshl_b64 s[12:13], s[2:3], 2
	s_add_u32 s12, s8, s12
	s_addc_u32 s13, s9, s13
	s_load_dword s5, s[14:15], 0x0
	s_load_dword s16, s[12:13], 0x0
	s_waitcnt lgkmcnt(0)
	s_sub_i32 s5, s5, s16
	s_cmp_eq_u32 s5, 1
	s_cselect_b64 s[12:13], -1, 0
	s_andn2_b64 vcc, exec, s[6:7]
	s_cbranch_vccnz .LBB200_3
.LBB200_2:
	s_mov_b32 s3, 0
	s_mov_b64 s[12:13], -1
.LBB200_3:
	s_andn2_b64 vcc, exec, s[12:13]
	s_cbranch_vccnz .LBB200_20
; %bb.4:
	s_load_dwordx2 s[6:7], s[0:1], 0x28
	s_lshl_b64 s[12:13], s[2:3], 2
	s_waitcnt lgkmcnt(0)
	s_add_u32 s6, s6, s12
	s_addc_u32 s7, s7, s13
	s_load_dword s27, s[6:7], 0x0
	s_lshl_b32 s18, s26, 8
	s_waitcnt lgkmcnt(0)
	s_cmp_ge_i32 s18, s27
	s_cbranch_scc1 .LBB200_20
; %bb.5:
	s_load_dwordx2 s[6:7], s[0:1], 0x20
	s_load_dword s5, s[0:1], 0x38
	s_add_i32 s14, s27, 15
	s_ashr_i32 s15, s14, 31
	v_and_b32_e32 v1, 0xcf, v0
	s_lshr_b32 s15, s15, 28
	v_add_u32_e32 v1, s18, v1
	s_add_i32 s14, s14, s15
	v_ashrrev_i32_e32 v2, 31, v1
	s_ashr_i32 s19, s14, 4
	v_lshrrev_b32_e32 v4, 28, v2
	s_add_i32 s19, s19, -1
	s_waitcnt lgkmcnt(0)
	s_mul_i32 s14, s2, s5
	s_mov_b32 s15, 0
	v_add_u32_e32 v2, v1, v4
	s_lshl_b64 s[14:15], s[14:15], 2
	v_ashrrev_i32_e32 v2, 4, v2
	v_mov_b32_e32 v5, s19
	v_cmp_gt_i32_e32 vcc, s27, v1
	s_add_u32 s6, s6, s14
	s_addc_u32 s7, s7, s15
	v_cndmask_b32_e32 v2, v5, v2, vcc
	v_ashrrev_i32_e32 v3, 31, v2
	v_lshl_add_u64 v[6:7], v[2:3], 2, s[6:7]
	v_or_b32_e32 v2, 16, v1
	v_add_u32_e32 v3, v2, v4
	v_ashrrev_i32_e32 v3, 4, v3
	v_cmp_gt_i32_e32 vcc, s27, v2
	s_load_dwordx2 s[14:15], s[0:1], 0x8
	s_nop 0
	v_cndmask_b32_e32 v2, v5, v3, vcc
	v_ashrrev_i32_e32 v3, 31, v2
	v_lshl_add_u64 v[8:9], v[2:3], 2, s[6:7]
	v_or_b32_e32 v2, 32, v1
	v_add_u32_e32 v3, v2, v4
	v_ashrrev_i32_e32 v3, 4, v3
	v_cmp_gt_i32_e32 vcc, s27, v2
	v_or_b32_e32 v1, 48, v1
	s_nop 0
	v_cndmask_b32_e32 v2, v5, v3, vcc
	v_ashrrev_i32_e32 v3, 31, v2
	v_lshl_add_u64 v[10:11], v[2:3], 2, s[6:7]
	v_add_u32_e32 v2, v1, v4
	v_ashrrev_i32_e32 v2, 4, v2
	v_cmp_gt_i32_e32 vcc, s27, v1
	s_nop 1
	v_cndmask_b32_e32 v2, v5, v2, vcc
	v_ashrrev_i32_e32 v3, 31, v2
	v_lshl_add_u64 v[12:13], v[2:3], 2, s[6:7]
	global_load_dword v5, v[6:7], off
	global_load_dword v4, v[8:9], off
	;; [unrolled: 1-line block ×4, first 2 shown]
	s_andn2_b64 vcc, exec, s[10:11]
	s_cbranch_vccnz .LBB200_8
; %bb.6:
	s_add_u32 s8, s8, s12
	s_addc_u32 s9, s9, s13
	s_load_dword s5, s[8:9], 0x0
	s_branch .LBB200_9
.LBB200_7:
	s_mov_b64 s[12:13], 0
	s_branch .LBB200_2
.LBB200_8:
	s_mov_b32 s5, s2
.LBB200_9:
	s_load_dwordx2 s[12:13], s[0:1], 0x10
	s_load_dwordx4 s[8:11], s[0:1], 0x48
	v_lshrrev_b32_e32 v85, 6, v0
	v_bfe_u32 v88, v0, 4, 2
	v_and_b32_e32 v84, 15, v0
	v_lshl_or_b32 v1, v85, 2, v88
	v_lshlrev_b32_e32 v6, 3, v84
	s_mul_i32 s40, s4, 9
	v_cmp_gt_u32_e32 vcc, 9, v1
	v_lshlrev_b32_e32 v82, 1, v6
	s_and_saveexec_b64 s[16:17], vcc
	s_cbranch_execz .LBB200_11
; %bb.10:
	s_load_dwordx2 s[20:21], s[0:1], 0x0
	s_waitcnt lgkmcnt(0)
	s_ashr_i32 s11, s8, 31
	s_mul_hi_u32 s22, s5, s8
	s_mul_i32 s11, s5, s11
	s_add_i32 s23, s22, s11
	s_mul_i32 s22, s5, s8
	s_lshl_b64 s[22:23], s[22:23], 1
	s_add_u32 s20, s20, s22
	v_add_lshl_u32 v6, v1, s40, 7
	s_addc_u32 s21, s21, s23
	v_ashrrev_i32_e32 v7, 31, v6
	v_lshl_add_u64 v[6:7], v[6:7], 1, s[20:21]
	v_mov_b32_e32 v83, 0
	v_lshl_add_u64 v[6:7], v[6:7], 0, v[82:83]
	global_load_dwordx4 v[6:9], v[6:7], off
	v_and_b32_e32 v10, 3, v0
	v_lshlrev_b32_e32 v11, 9, v84
	v_lshlrev_b32_e32 v1, 5, v1
	;; [unrolled: 1-line block ×3, first 2 shown]
	v_and_b32_e32 v11, 0x1800, v11
	v_or3_b32 v1, v11, v10, v1
	s_waitcnt vmcnt(0)
	ds_write_b128 v1, v[6:9]
.LBB200_11:
	s_or_b64 exec, exec, s[16:17]
	s_waitcnt lgkmcnt(0)
	s_mul_i32 s4, s4, s10
	s_mov_b32 s5, 0
	s_lshl_b64 s[4:5], s[4:5], 1
	s_add_u32 s10, s14, s4
	v_lshlrev_b32_e32 v1, 4, v0
	s_addc_u32 s11, s15, s5
	v_and_b32_e32 v86, 0xf0, v1
	v_mov_b32_e32 v87, 0
	v_lshl_add_u64 v[6:7], s[10:11], 0, v[86:87]
	s_waitcnt vmcnt(3)
	v_mad_i64_i32 v[8:9], s[10:11], v5, s9, 0
	s_waitcnt vmcnt(2)
	v_mad_i64_i32 v[4:5], s[10:11], v4, s9, 0
	v_lshl_add_u64 v[8:9], v[8:9], 1, v[6:7]
	v_and_b32_e32 v86, 0x300, v1
	v_lshl_add_u64 v[4:5], v[4:5], 1, v[6:7]
	v_lshl_add_u64 v[8:9], v[8:9], 0, v[86:87]
	;; [unrolled: 1-line block ×3, first 2 shown]
	s_barrier
	global_load_dwordx4 v[78:81], v[8:9], off
	global_load_dwordx4 v[74:77], v[8:9], off offset:1024
	global_load_dwordx4 v[70:73], v[8:9], off offset:2048
	;; [unrolled: 1-line block ×3, first 2 shown]
	global_load_dwordx4 v[66:69], v[4:5], off
	global_load_dwordx4 v[62:65], v[4:5], off offset:1024
	global_load_dwordx4 v[58:61], v[4:5], off offset:2048
	;; [unrolled: 1-line block ×3, first 2 shown]
	s_waitcnt vmcnt(9)
	v_mad_i64_i32 v[4:5], s[10:11], v3, s9, 0
	s_waitcnt vmcnt(8)
	v_mad_i64_i32 v[2:3], s[10:11], v2, s9, 0
	v_lshl_add_u64 v[4:5], v[4:5], 1, v[6:7]
	v_lshl_add_u64 v[2:3], v[2:3], 1, v[6:7]
	v_lshl_add_u64 v[4:5], v[4:5], 0, v[86:87]
	v_lshl_add_u64 v[34:35], v[2:3], 0, v[86:87]
	global_load_dwordx4 v[30:33], v[4:5], off
	global_load_dwordx4 v[26:29], v[4:5], off offset:1024
	global_load_dwordx4 v[22:25], v[4:5], off offset:2048
	;; [unrolled: 1-line block ×3, first 2 shown]
	global_load_dwordx4 v[6:9], v[34:35], off
	s_nop 0
	global_load_dwordx4 v[2:5], v[34:35], off offset:1024
	global_load_dwordx4 v[38:41], v[34:35], off offset:2048
	s_nop 0
	global_load_dwordx4 v[34:37], v[34:35], off offset:3072
	v_add_u32_e32 v42, -9, v84
	v_cmp_gt_u32_e32 vcc, 9, v84
	v_and_b32_e32 v83, 63, v0
	v_mov_b32_e32 v89, 0
	v_cndmask_b32_e32 v42, v42, v84, vcc
	v_lshlrev_b32_e32 v42, 5, v42
	v_lshl_add_u32 v42, v88, 9, v42
	ds_read_b128 v[54:57], v42
	ds_read_b128 v[50:53], v42 offset:2048
	ds_read_b128 v[46:49], v42 offset:4096
	ds_read_b128 v[42:45], v42 offset:6144
	s_and_saveexec_b64 s[10:11], vcc
	s_cbranch_execz .LBB200_13
; %bb.12:
	s_load_dwordx2 s[14:15], s[0:1], 0x40
	v_add_u32_e32 v90, s40, v84
	v_ashrrev_i32_e32 v91, 31, v90
	s_waitcnt lgkmcnt(0)
	v_lshl_add_u64 v[90:91], v[90:91], 2, s[14:15]
	global_load_dword v89, v[90:91], off
.LBB200_13:
	s_or_b64 exec, exec, s[10:11]
	s_waitcnt vmcnt(15) lgkmcnt(3)
	v_mfma_f32_16x16x16_f16 v[90:93], v[78:79], v[54:55], 0
	s_add_u32 s4, s12, s4
	s_addc_u32 s5, s13, s5
	s_mov_b32 s33, 0xff7fffff
	v_mfma_f32_16x16x16_f16 v[78:81], v[80:81], v[56:57], v[90:93]
	s_waitcnt vmcnt(14) lgkmcnt(2)
	v_mfma_f32_16x16x16_f16 v[78:81], v[74:75], v[50:51], v[78:81]
	s_nop 0
	v_lshl_or_b32 v90, v85, 4, v84
	v_lshlrev_b32_e32 v86, 5, v90
	v_mfma_f32_16x16x16_f16 v[74:77], v[76:77], v[52:53], v[78:81]
	s_waitcnt vmcnt(13) lgkmcnt(1)
	v_mfma_f32_16x16x16_f16 v[74:77], v[70:71], v[46:47], v[74:77]
	v_mfma_f32_16x16x16_f16 v[70:73], v[72:73], v[48:49], v[74:77]
	s_waitcnt vmcnt(11)
	v_mfma_f32_16x16x16_f16 v[74:77], v[66:67], v[54:55], 0
	v_mfma_f32_16x16x16_f16 v[66:69], v[68:69], v[56:57], v[74:77]
	s_nop 5
	v_and_or_b32 v74, v0, 48, s18
	s_waitcnt lgkmcnt(0)
	v_mfma_f32_16x16x16_f16 v[70:73], v[10:11], v[42:43], v[70:73]
	v_ashrrev_i32_e32 v10, 4, v74
	v_mov_b32_e32 v75, s19
	v_cmp_gt_i32_e32 vcc, s27, v74
	s_waitcnt vmcnt(10)
	v_mfma_f32_16x16x16_f16 v[66:69], v[62:63], v[50:51], v[66:69]
	v_cndmask_b32_e32 v10, v75, v10, vcc
	v_ashrrev_i32_e32 v11, 31, v10
	v_lshl_add_u64 v[10:11], v[10:11], 2, s[6:7]
	global_load_dword v76, v[10:11], off
	v_mfma_f32_16x16x16_f16 v[62:65], v[64:65], v[52:53], v[66:69]
	v_or_b32_e32 v10, 64, v74
	v_ashrrev_i32_e32 v11, 4, v10
	v_cmp_gt_i32_e32 vcc, s27, v10
	s_waitcnt vmcnt(10)
	v_mfma_f32_16x16x16_f16 v[62:65], v[58:59], v[46:47], v[62:65]
	v_cndmask_b32_e32 v10, v75, v11, vcc
	v_ashrrev_i32_e32 v11, 31, v10
	v_lshl_add_u64 v[10:11], v[10:11], 2, s[6:7]
	global_load_dword v77, v[10:11], off
	v_or_b32_e32 v10, 0x80, v74
	v_mfma_f32_16x16x16_f16 v[58:61], v[60:61], v[48:49], v[62:65]
	v_ashrrev_i32_e32 v11, 4, v10
	v_cmp_gt_i32_e32 vcc, s27, v10
	s_waitcnt vmcnt(9)
	v_mfma_f32_16x16x16_f16 v[62:65], v[30:31], v[54:55], 0
	v_cndmask_b32_e32 v10, v75, v11, vcc
	v_ashrrev_i32_e32 v11, 31, v10
	v_lshl_add_u64 v[10:11], v[10:11], 2, s[6:7]
	v_mfma_f32_16x16x16_f16 v[30:33], v[32:33], v[56:57], v[62:65]
	s_nop 2
	global_load_dword v64, v[10:11], off
	v_or_b32_e32 v10, 0xc0, v74
	v_ashrrev_i32_e32 v11, 4, v10
	v_cmp_gt_i32_e32 vcc, s27, v10
	s_waitcnt vmcnt(9)
	v_mfma_f32_16x16x16_f16 v[30:33], v[26:27], v[50:51], v[30:33]
	v_lshl_add_u64 v[62:63], s[4:5], 0, v[86:87]
	v_cndmask_b32_e32 v10, v75, v11, vcc
	v_ashrrev_i32_e32 v11, 31, v10
	v_lshl_add_u64 v[10:11], v[10:11], 2, s[6:7]
	global_load_dword v65, v[10:11], off
	v_mfma_f32_16x16x16_f16 v[26:29], v[28:29], v[52:53], v[30:33]
	s_load_dword s6, s[0:1], 0x1c
	v_or_b32_e32 v86, 0x800, v86
	s_waitcnt vmcnt(3)
	v_mad_i64_i32 v[10:11], s[10:11], v76, s9, 0
	v_mfma_f32_16x16x16_f16 v[26:29], v[22:23], v[46:47], v[26:29]
	v_lshlrev_b64 v[74:75], 1, v[10:11]
	v_mfma_f32_16x16x16_f16 v[66:69], v[12:13], v[44:45], v[70:73]
	v_mfma_f32_16x16x16_f16 v[10:13], v[24:25], v[48:49], v[26:29]
	;; [unrolled: 1-line block ×3, first 2 shown]
	v_lshl_add_u64 v[14:15], v[62:63], 0, v[74:75]
	s_waitcnt lgkmcnt(0)
	s_nop 2
	v_pk_mul_f32 v[78:79], s[6:7], v[68:69] op_sel_hi:[0,1]
	v_mfma_f32_16x16x16_f16 v[10:13], v[18:19], v[42:43], v[10:13]
	v_mfma_f32_16x16x16_f16 v[70:73], v[16:17], v[44:45], v[30:33]
	s_nop 2
	global_load_dwordx4 v[30:33], v[14:15], off
	global_load_dwordx4 v[26:29], v[14:15], off offset:16
	s_waitcnt vmcnt(4)
	v_mad_i64_i32 v[14:15], s[10:11], v77, s9, 0
	v_lshlrev_b64 v[58:59], 1, v[14:15]
	v_mfma_f32_16x16x16_f16 v[92:95], v[20:21], v[44:45], v[10:13]
	v_pk_mul_f32 v[76:77], s[6:7], v[70:71] op_sel_hi:[0,1]
	s_nop 1
	v_lshl_add_u64 v[10:11], v[62:63], 0, v[58:59]
	global_load_dwordx4 v[22:25], v[10:11], off
	global_load_dwordx4 v[18:21], v[10:11], off offset:16
	v_mfma_f32_16x16x16_f16 v[10:13], v[6:7], v[54:55], 0
	s_waitcnt vmcnt(5)
	v_mad_i64_i32 v[6:7], s[10:11], v64, s9, 0
	v_lshlrev_b64 v[54:55], 1, v[6:7]
	v_mfma_f32_16x16x16_f16 v[6:9], v[8:9], v[56:57], v[10:13]
	v_pk_mul_f32 v[70:71], s[6:7], v[94:95] op_sel_hi:[0,1]
	v_mfma_f32_16x16x16_f16 v[6:9], v[2:3], v[50:51], v[6:9]
	s_waitcnt vmcnt(4)
	v_mad_i64_i32 v[2:3], s[8:9], v65, s9, 0
	v_lshlrev_b64 v[60:61], 1, v[2:3]
	v_mfma_f32_16x16x16_f16 v[50:53], v[4:5], v[52:53], v[6:9]
	v_lshl_add_u64 v[10:11], v[62:63], 0, v[54:55]
	v_lshl_add_u64 v[2:3], v[62:63], 0, v[60:61]
	v_pk_mul_f32 v[62:63], s[6:7], v[66:67] op_sel_hi:[0,1]
	v_mfma_f32_16x16x16_f16 v[50:53], v[38:39], v[46:47], v[50:53]
	v_lshl_add_u64 v[64:65], s[4:5], 0, v[86:87]
	v_lshl_add_u64 v[38:39], v[64:65], 0, v[74:75]
	v_pk_mul_f32 v[74:75], s[6:7], v[72:73] op_sel_hi:[0,1]
	v_mfma_f32_16x16x16_f16 v[46:49], v[40:41], v[48:49], v[50:53]
	v_pk_mul_f32 v[72:73], s[6:7], v[92:93] op_sel_hi:[0,1]
	global_load_dwordx4 v[14:17], v[10:11], off
	s_nop 0
	global_load_dwordx4 v[10:13], v[10:11], off offset:16
	s_nop 0
	global_load_dwordx4 v[6:9], v[2:3], off
	s_nop 0
	global_load_dwordx4 v[2:5], v[2:3], off offset:16
	v_mfma_f32_16x16x16_f16 v[40:43], v[34:35], v[42:43], v[46:49]
	v_mfma_f32_16x16x16_f16 v[34:37], v[36:37], v[44:45], v[40:43]
	s_nop 6
	v_pk_mul_f32 v[68:69], s[6:7], v[34:35] op_sel_hi:[0,1]
	v_and_b32_e32 v34, 0xc0, v0
	v_add_u32_e32 v34, s18, v34
	v_lshl_or_b32 v34, v88, 2, v34
	v_or_b32_e32 v35, 1, v34
	v_pk_mul_f32 v[66:67], s[6:7], v[36:37] op_sel_hi:[0,1]
	v_subrev_u32_e32 v36, s27, v35
	v_add_u32_e32 v40, 1, v36
	v_add_u32_e32 v41, 2, v36
	v_cvt_f32_i32_e32 v37, v36
	v_cvt_f32_i32_e32 v40, v40
	;; [unrolled: 1-line block ×3, first 2 shown]
	v_add_u32_e32 v42, 3, v36
	v_fma_f32 v62, v89, v37, v62
	v_fmac_f32_e32 v63, v89, v40
	v_fma_f32 v78, v89, v41, v78
	v_add_u32_e32 v37, 16, v36
	v_add_u32_e32 v40, 17, v36
	;; [unrolled: 1-line block ×3, first 2 shown]
	v_cvt_f32_i32_e32 v42, v42
	v_cvt_f32_i32_e32 v37, v37
	;; [unrolled: 1-line block ×4, first 2 shown]
	v_fmac_f32_e32 v79, v89, v42
	v_add_u32_e32 v42, 19, v36
	v_fma_f32 v76, v89, v37, v76
	v_fmac_f32_e32 v77, v89, v40
	v_fma_f32 v74, v89, v41, v74
	v_add_u32_e32 v37, 32, v36
	v_add_u32_e32 v40, 33, v36
	;; [unrolled: 1-line block ×3, first 2 shown]
	v_cvt_f32_i32_e32 v42, v42
	v_cvt_f32_i32_e32 v37, v37
	;; [unrolled: 1-line block ×4, first 2 shown]
	v_fmac_f32_e32 v75, v89, v42
	v_add_u32_e32 v42, 35, v36
	v_fma_f32 v72, v89, v37, v72
	v_fmac_f32_e32 v73, v89, v40
	v_fma_f32 v70, v89, v41, v70
	v_add_u32_e32 v37, 48, v36
	v_add_u32_e32 v40, 49, v36
	;; [unrolled: 1-line block ×4, first 2 shown]
	v_cvt_f32_i32_e32 v36, v36
	v_cvt_f32_i32_e32 v37, v37
	;; [unrolled: 1-line block ×3, first 2 shown]
	v_cmp_gt_i32_e64 s[28:29], s27, v34
	v_fmac_f32_e32 v67, v89, v36
	v_mov_b32_e32 v36, 0xff7fffff
	v_cmp_gt_i32_e64 s[30:31], s27, v35
	v_fma_f32 v68, v89, v37, v68
	v_cndmask_b32_e64 v37, v36, v62, s[28:29]
	v_cndmask_b32_e64 v35, v36, v63, s[30:31]
	v_fmac_f32_e32 v69, v89, v40
	v_max3_f32 v35, v37, s33, v35
	v_or_b32_e32 v37, 2, v34
	v_or_b32_e32 v40, 3, v34
	v_cmp_gt_i32_e64 s[34:35], s27, v37
	v_cmp_gt_i32_e64 s[36:37], s27, v40
	v_cvt_f32_i32_e32 v42, v42
	v_cndmask_b32_e64 v37, v36, v78, s[34:35]
	v_cndmask_b32_e64 v40, v36, v79, s[36:37]
	v_max3_f32 v35, v35, v37, v40
	v_or_b32_e32 v37, 16, v34
	v_or_b32_e32 v40, 17, v34
	v_cmp_gt_i32_e64 s[22:23], s27, v37
	v_cmp_gt_i32_e64 s[24:25], s27, v40
	v_fmac_f32_e32 v71, v89, v42
	v_cndmask_b32_e64 v37, v36, v76, s[22:23]
	v_cndmask_b32_e64 v40, v36, v77, s[24:25]
	v_max3_f32 v35, v35, v37, v40
	v_or_b32_e32 v37, 18, v34
	v_or_b32_e32 v40, 19, v34
	v_cmp_gt_i32_e64 s[18:19], s27, v37
	v_cmp_gt_i32_e64 s[20:21], s27, v40
	v_cvt_f32_i32_e32 v41, v41
	v_cndmask_b32_e64 v37, v36, v74, s[18:19]
	v_cndmask_b32_e64 v40, v36, v75, s[20:21]
	v_max3_f32 v35, v35, v37, v40
	v_or_b32_e32 v37, 32, v34
	v_or_b32_e32 v40, 33, v34
	v_cmp_gt_i32_e64 s[14:15], s27, v37
	v_cmp_gt_i32_e64 s[16:17], s27, v40
	v_fma_f32 v66, v89, v41, v66
	v_cndmask_b32_e64 v37, v36, v72, s[14:15]
	v_cndmask_b32_e64 v40, v36, v73, s[16:17]
	v_max3_f32 v35, v35, v37, v40
	v_or_b32_e32 v37, 34, v34
	v_or_b32_e32 v40, 35, v34
	v_cmp_gt_i32_e64 s[10:11], s27, v37
	v_cmp_gt_i32_e64 s[12:13], s27, v40
	s_nop 0
	v_cndmask_b32_e64 v37, v36, v70, s[10:11]
	v_cndmask_b32_e64 v40, v36, v71, s[12:13]
	v_max3_f32 v35, v35, v37, v40
	v_or_b32_e32 v37, 48, v34
	v_or_b32_e32 v40, 49, v34
	v_cmp_gt_i32_e64 s[6:7], s27, v37
	v_cmp_gt_i32_e64 s[8:9], s27, v40
	s_nop 0
	v_cndmask_b32_e64 v37, v36, v68, s[6:7]
	v_cndmask_b32_e64 v40, v36, v69, s[8:9]
	v_max3_f32 v35, v35, v37, v40
	v_or_b32_e32 v37, 50, v34
	v_or_b32_e32 v34, 51, v34
	v_cmp_gt_i32_e32 vcc, s27, v37
	v_cmp_gt_i32_e64 s[4:5], s27, v34
	global_load_dwordx4 v[46:49], v[38:39], off
	s_nop 0
	global_load_dwordx4 v[38:41], v[38:39], off offset:16
	v_cndmask_b32_e32 v37, v36, v66, vcc
	v_cndmask_b32_e64 v34, v36, v67, s[4:5]
	v_max3_f32 v50, v35, v37, v34
	v_mbcnt_lo_u32_b32 v34, -1, 0
	v_mbcnt_hi_u32_b32 v51, -1, v34
	v_and_b32_e32 v34, 64, v51
	v_add_u32_e32 v52, 64, v34
	v_xor_b32_e32 v34, 32, v51
	v_cmp_lt_i32_e64 s[38:39], v34, v52
	s_nop 1
	v_cndmask_b32_e64 v34, v51, v34, s[38:39]
	v_lshlrev_b32_e32 v87, 2, v34
	ds_bpermute_b32 v53, v87, v50
	v_lshl_add_u64 v[34:35], v[64:65], 0, v[58:59]
	v_lshl_add_u64 v[58:59], v[64:65], 0, v[60:61]
	global_load_dwordx4 v[42:45], v[34:35], off
	s_nop 0
	global_load_dwordx4 v[34:37], v[34:35], off offset:16
	s_waitcnt lgkmcnt(0)
	v_max_f32_e32 v53, v53, v53
	v_max_f32_e32 v80, v50, v53
	v_xor_b32_e32 v50, 16, v51
	v_cmp_lt_i32_e64 s[38:39], v50, v52
	s_nop 1
	v_cndmask_b32_e64 v50, v51, v50, s[38:39]
	v_lshlrev_b32_e32 v89, 2, v50
	ds_bpermute_b32 v81, v89, v80
	v_lshl_add_u64 v[50:51], v[64:65], 0, v[54:55]
	global_load_dwordx4 v[54:57], v[50:51], off
	s_nop 0
	global_load_dwordx4 v[50:53], v[50:51], off offset:16
	s_waitcnt lgkmcnt(0)
	v_max_f32_e32 v60, v81, v81
	v_max_f32_e32 v86, v80, v60
	v_sub_f32_e32 v60, v62, v86
	v_mul_f32_e32 v60, 0x3fb8aa3b, v60
	v_exp_f32_e32 v80, v60
	v_sub_f32_e32 v60, v63, v86
	v_mul_f32_e32 v60, 0x3fb8aa3b, v60
	v_exp_f32_e32 v81, v60
	global_load_dwordx4 v[62:65], v[58:59], off
	s_nop 0
	global_load_dwordx4 v[58:61], v[58:59], off offset:16
	v_sub_f32_e32 v78, v78, v86
	v_mul_f32_e32 v78, 0x3fb8aa3b, v78
	v_sub_f32_e32 v79, v79, v86
	v_exp_f32_e32 v78, v78
	v_mul_f32_e32 v79, 0x3fb8aa3b, v79
	v_sub_f32_e32 v76, v76, v86
	v_exp_f32_e32 v79, v79
	v_mul_f32_e32 v76, 0x3fb8aa3b, v76
	v_sub_f32_e32 v77, v77, v86
	v_cndmask_b32_e64 v80, 0, v80, s[28:29]
	v_exp_f32_e32 v76, v76
	v_mul_f32_e32 v77, 0x3fb8aa3b, v77
	v_sub_f32_e32 v74, v74, v86
	v_add_f32_e32 v91, 0, v80
	v_cndmask_b32_e64 v81, 0, v81, s[30:31]
	v_exp_f32_e32 v77, v77
	v_mul_f32_e32 v74, 0x3fb8aa3b, v74
	v_sub_f32_e32 v75, v75, v86
	v_add_f32_e32 v91, v91, v81
	;; [unrolled: 5-line block ×10, first 2 shown]
	v_cndmask_b32_e64 v70, 0, v70, s[10:11]
	v_exp_f32_e32 v66, v66
	v_mul_f32_e32 v67, 0x3fb8aa3b, v67
	v_add_f32_e32 v91, v91, v70
	v_cndmask_b32_e64 v71, 0, v71, s[12:13]
	v_exp_f32_e32 v67, v67
	v_add_f32_e32 v91, v91, v71
	v_cndmask_b32_e64 v68, 0, v68, s[6:7]
	v_add_f32_e32 v91, v91, v68
	v_cndmask_b32_e64 v69, 0, v69, s[8:9]
	v_add_f32_e32 v91, v91, v69
	v_cndmask_b32_e32 v66, 0, v66, vcc
	v_add_f32_e32 v91, v91, v66
	v_cndmask_b32_e64 v67, 0, v67, s[4:5]
	v_add_f32_e32 v91, v91, v67
	ds_bpermute_b32 v87, v87, v91
	s_load_dword s9, s[0:1], 0x98
	v_cmp_gt_u32_e64 s[4:5], 16, v83
	s_waitcnt lgkmcnt(0)
	s_barrier
	v_add_f32_e32 v87, v91, v87
	ds_bpermute_b32 v89, v89, v87
	s_waitcnt lgkmcnt(0)
	s_and_saveexec_b64 s[6:7], s[4:5]
	s_cbranch_execz .LBB200_15
; %bb.14:
	v_add_f32_e32 v83, v87, v89
	v_lshlrev_b32_e32 v87, 2, v90
	ds_write2st64_b32 v87, v86, v83 offset1:1
.LBB200_15:
	s_or_b64 exec, exec, s[6:7]
	v_lshlrev_b32_e32 v89, 2, v84
	s_load_dword s8, s[0:1], 0x94
	s_waitcnt lgkmcnt(0)
	s_barrier
	ds_read2_b32 v[86:87], v89 offset1:16
	ds_read2_b32 v[90:91], v89 offset0:32 offset1:48
	ds_read2_b32 v[92:93], v89 offset0:64 offset1:80
	;; [unrolled: 1-line block ×3, first 2 shown]
	s_mul_i32 s9, s9, 9
	s_waitcnt lgkmcnt(3)
	v_max3_f32 v83, v86, s33, v87
	s_waitcnt lgkmcnt(2)
	v_max3_f32 v83, v83, v90, v91
	v_sub_f32_e32 v86, v86, v83
	v_mul_f32_e32 v86, 0x3fb8aa3b, v86
	v_exp_f32_e32 v1, v86
	v_sub_f32_e32 v86, v87, v83
	v_mul_f32_e32 v86, 0x3fb8aa3b, v86
	v_exp_f32_e32 v87, v86
	;; [unrolled: 3-line block ×4, first 2 shown]
	s_waitcnt lgkmcnt(1)
	v_fma_f32 v86, v1, v92, 0
	v_fmac_f32_e32 v86, v87, v93
	s_waitcnt lgkmcnt(0)
	v_fmac_f32_e32 v86, v90, v94
	v_fmac_f32_e32 v86, v89, v95
	v_add_f32_e32 v91, 0x358637bd, v86
	v_div_scale_f32 v92, s[6:7], v91, v91, 1.0
	v_rcp_f32_e32 v93, v92
	s_barrier
	v_fma_f32 v94, -v92, v93, 1.0
	v_fmac_f32_e32 v93, v94, v93
	v_div_scale_f32 v94, vcc, 1.0, v91, 1.0
	v_mul_f32_e32 v95, v94, v93
	v_fma_f32 v88, -v92, v95, v94
	v_fmac_f32_e32 v95, v88, v93
	v_fma_f32 v88, -v92, v95, v94
	v_div_fmas_f32 v88, v88, v93, v95
	v_cmp_eq_u32_e32 vcc, 1, v85
	v_div_fixup_f32 v88, v88, v91, 1.0
	s_nop 0
	v_cndmask_b32_e32 v1, v1, v87, vcc
	v_cmp_eq_u32_e32 vcc, 2, v85
	v_bfe_u32 v87, v0, 4, 2
	s_nop 0
	v_cndmask_b32_e32 v1, v1, v90, vcc
	v_cmp_eq_u32_e32 vcc, 3, v85
	s_nop 1
	v_cndmask_b32_e32 v1, v1, v89, vcc
	v_mul_f32_e32 v90, v1, v88
	v_pk_mul_f32 v[78:79], v[90:91], v[78:79] op_sel_hi:[0,1]
	v_cvt_f16_f32_e32 v78, v78
	v_cvt_f16_f32_e32 v79, v79
	v_pk_mul_f32 v[80:81], v[90:91], v[80:81] op_sel_hi:[0,1]
	v_cvt_f16_f32_e32 v1, v80
	v_cvt_f16_f32_e32 v80, v81
	v_pk_mul_f32 v[74:75], v[90:91], v[74:75] op_sel_hi:[0,1]
	v_pk_mul_f32 v[76:77], v[90:91], v[76:77] op_sel_hi:[0,1]
	v_pack_b32_f16 v81, v78, v79
	v_cvt_f16_f32_e32 v76, v76
	v_cvt_f16_f32_e32 v77, v77
	;; [unrolled: 1-line block ×4, first 2 shown]
	v_pack_b32_f16 v80, v1, v80
	v_lshlrev_b32_e32 v1, 3, v87
	v_lshlrev_b32_e32 v78, 5, v84
	;; [unrolled: 1-line block ×3, first 2 shown]
	v_pk_mul_f32 v[70:71], v[90:91], v[70:71] op_sel_hi:[0,1]
	v_pk_mul_f32 v[72:73], v[90:91], v[72:73] op_sel_hi:[0,1]
	;; [unrolled: 1-line block ×4, first 2 shown]
	v_or3_b32 v74, v74, v78, v1
	v_pack_b32_f16 v76, v76, v77
	v_pack_b32_f16 v77, v79, v75
	v_cvt_f16_f32_e32 v1, v72
	v_cvt_f16_f32_e32 v72, v73
	;; [unrolled: 1-line block ×8, first 2 shown]
	v_pack_b32_f16 v66, v1, v72
	v_pack_b32_f16 v67, v70, v71
	;; [unrolled: 1-line block ×4, first 2 shown]
	v_cmp_gt_u32_e32 vcc, 9, v0
	ds_write2st64_b64 v74, v[80:81], v[76:77] offset1:1
	ds_write2st64_b64 v74, v[66:67], v[68:69] offset0:2 offset1:3
	s_and_saveexec_b64 s[6:7], vcc
	s_cbranch_execz .LBB200_17
; %bb.16:
	s_mov_b32 s41, 0
	v_mov_b32_e32 v85, 0
	v_lshl_add_u64 v[66:67], s[40:41], 0, v[84:85]
	v_mov_b32_e32 v1, s9
	v_mad_u64_u32 v[66:67], s[10:11], s2, v1, v[66:67]
	s_mul_i32 s3, s3, s9
	v_mov_b32_e32 v68, s26
	v_mov_b32_e32 v69, v85
	s_load_dwordx4 s[12:15], s[0:1], 0x58
	v_add_u32_e32 v1, s3, v67
	v_mad_u64_u32 v[66:67], s[10:11], v66, s8, v[68:69]
	v_mov_b32_e32 v68, v67
	v_mad_u64_u32 v[68:69], s[10:11], v1, s8, v[68:69]
	v_mov_b32_e32 v67, v68
	v_lshlrev_b64 v[66:67], 2, v[66:67]
	s_waitcnt lgkmcnt(0)
	v_lshl_add_u64 v[68:69], s[14:15], 0, v[66:67]
	v_lshl_add_u64 v[66:67], s[12:13], 0, v[66:67]
	global_store_dword v[68:69], v83, off
	global_store_dword v[66:67], v86, off
.LBB200_17:
	s_or_b64 exec, exec, s[6:7]
	v_lshl_or_b32 v1, v87, 9, v78
	s_waitcnt lgkmcnt(0)
	s_barrier
	ds_read_b128 v[70:73], v1
	ds_read_b128 v[66:69], v1 offset:16
	s_waitcnt vmcnt(15) lgkmcnt(1)
	v_mfma_f32_16x16x16_f16 v[76:79], v[30:31], v[70:71], 0
	s_mov_b32 s3, 0
	v_cmp_gt_u32_e32 vcc, 64, v0
	v_mfma_f32_16x16x16_f16 v[30:33], v[32:33], v[72:73], v[76:79]
	s_waitcnt vmcnt(14) lgkmcnt(0)
	v_mfma_f32_16x16x16_f16 v[30:33], v[26:27], v[66:67], v[30:33]
	v_mfma_f32_16x16x16_f16 v[26:29], v[28:29], v[68:69], v[30:33]
	s_nop 5
	ds_read_b128 v[30:33], v1 offset:2048
	ds_read_b128 v[76:79], v1 offset:2064
	s_waitcnt vmcnt(13) lgkmcnt(1)
	v_mfma_f32_16x16x16_f16 v[26:29], v[22:23], v[30:31], v[26:29]
	v_mfma_f32_16x16x16_f16 v[22:25], v[24:25], v[32:33], v[26:29]
	s_waitcnt vmcnt(12) lgkmcnt(0)
	v_mfma_f32_16x16x16_f16 v[22:25], v[18:19], v[76:77], v[22:25]
	v_mfma_f32_16x16x16_f16 v[18:21], v[20:21], v[78:79], v[22:25]
	s_nop 5
	ds_read_b128 v[22:25], v1 offset:4096
	ds_read_b128 v[26:29], v1 offset:4112
	s_waitcnt vmcnt(11) lgkmcnt(1)
	v_mfma_f32_16x16x16_f16 v[18:21], v[14:15], v[22:23], v[18:21]
	v_mfma_f32_16x16x16_f16 v[14:17], v[16:17], v[24:25], v[18:21]
	s_waitcnt vmcnt(10) lgkmcnt(0)
	v_mfma_f32_16x16x16_f16 v[14:17], v[10:11], v[26:27], v[14:17]
	v_mfma_f32_16x16x16_f16 v[10:13], v[12:13], v[28:29], v[14:17]
	s_nop 5
	ds_read_b128 v[14:17], v1 offset:6144
	ds_read_b128 v[18:21], v1 offset:6160
	s_waitcnt lgkmcnt(0)
	s_barrier
	s_waitcnt vmcnt(9)
	v_mfma_f32_16x16x16_f16 v[10:13], v[6:7], v[14:15], v[10:13]
	v_mfma_f32_16x16x16_f16 v[6:9], v[8:9], v[16:17], v[10:13]
	s_waitcnt vmcnt(8)
	v_mfma_f32_16x16x16_f16 v[6:9], v[2:3], v[18:19], v[6:9]
	v_mfma_f32_16x16x16_f16 v[2:5], v[4:5], v[20:21], v[6:9]
	;; [unrolled: 3-line block ×3, first 2 shown]
	s_nop 3
	v_cvt_f16_f32_e32 v1, v2
	v_cvt_f16_f32_e32 v10, v3
	;; [unrolled: 1-line block ×3, first 2 shown]
	s_waitcnt vmcnt(6)
	v_mfma_f32_16x16x16_f16 v[6:9], v[38:39], v[66:67], v[6:9]
	v_cvt_f16_f32_e32 v12, v5
	v_mfma_f32_16x16x16_f16 v[6:9], v[40:41], v[68:69], v[6:9]
	s_waitcnt vmcnt(5)
	v_mfma_f32_16x16x16_f16 v[6:9], v[42:43], v[30:31], v[6:9]
	v_mfma_f32_16x16x16_f16 v[6:9], v[44:45], v[32:33], v[6:9]
	s_waitcnt vmcnt(4)
	v_mfma_f32_16x16x16_f16 v[6:9], v[34:35], v[76:77], v[6:9]
	;; [unrolled: 3-line block ×6, first 2 shown]
	v_mfma_f32_16x16x16_f16 v[2:5], v[60:61], v[20:21], v[6:9]
	s_nop 6
	v_cvt_f16_f32_e32 v6, v2
	v_cvt_f16_f32_e32 v7, v3
	;; [unrolled: 1-line block ×4, first 2 shown]
	v_pack_b32_f16 v2, v1, v10
	v_pack_b32_f16 v3, v11, v12
	;; [unrolled: 1-line block ×4, first 2 shown]
	ds_write2st64_b64 v74, v[2:3], v[4:5] offset1:1
	s_waitcnt lgkmcnt(0)
	s_barrier
	s_and_saveexec_b64 s[6:7], vcc
	s_cbranch_execz .LBB200_20
; %bb.18:
	s_load_dwordx2 s[6:7], s[0:1], 0x68
	s_lshl_b32 s0, s8, 7
	s_mul_i32 s1, s9, s2
	v_lshlrev_b32_e32 v3, 6, v84
	s_mul_hi_u32 s9, s1, s0
	s_mul_i32 s8, s1, s0
	v_lshlrev_b32_e32 v2, 4, v0
	v_lshl_or_b32 v0, v0, 10, v3
	s_lshl_b64 s[8:9], s[8:9], 1
	v_lshlrev_b32_e32 v1, 5, v87
	v_and_b32_e32 v2, 16, v2
	v_and_b32_e32 v0, 0x1a00, v0
	s_waitcnt lgkmcnt(0)
	s_add_u32 s1, s6, s8
	v_or3_b32 v2, v0, v1, v2
	s_addc_u32 s6, s7, s9
	s_lshl_b32 s2, s26, 7
	s_lshl_b64 s[2:3], s[2:3], 1
	ds_read_b128 v[4:7], v2 offset:128
	ds_read_b128 v[8:11], v2
	s_add_u32 s2, s1, s2
	s_addc_u32 s3, s6, s3
	v_mov_b32_e32 v83, 0
	v_add_u32_e32 v3, s40, v87
	v_lshl_add_u64 v[0:1], s[2:3], 0, v[82:83]
	v_mad_u64_u32 v[12:13], s[2:3], v3, s0, 0
	v_lshl_add_u64 v[12:13], v[12:13], 1, v[0:1]
	v_add_u32_e32 v3, 4, v3
	s_waitcnt lgkmcnt(0)
	global_store_dwordx4 v[12:13], v[8:11], off
	s_nop 1
	v_mad_u64_u32 v[8:9], s[2:3], v3, s0, 0
	v_lshl_add_u64 v[8:9], v[8:9], 1, v[0:1]
	global_store_dwordx4 v[8:9], v[4:7], off
	s_and_b64 exec, exec, s[4:5]
	s_cbranch_execz .LBB200_20
; %bb.19:
	ds_read_b128 v[2:5], v2 offset:256
	v_add3_u32 v6, s40, v87, 8
	v_mad_u64_u32 v[6:7], s[0:1], v6, s0, 0
	v_lshl_add_u64 v[0:1], v[6:7], 1, v[0:1]
	s_waitcnt lgkmcnt(0)
	global_store_dwordx4 v[0:1], v[2:5], off
.LBB200_20:
	s_endpgm
	.section	.rodata,"a",@progbits
	.p2align	6, 0x0
	.amdhsa_kernel _Z39paged_attention_ll4mi_QKV_mfma16_kernelIDF16_DF16_LN4vllm18Fp8KVCacheDataTypeE0EhLi16ELi128ELi256ELb1ELi9EEvPKT_PKT0_S7_ifPKiS9_S9_iPKfiiiPfSC_PS2_PT2_iSB_SB_
		.amdhsa_group_segment_fixed_size 8192
		.amdhsa_private_segment_fixed_size 0
		.amdhsa_kernarg_size 400
		.amdhsa_user_sgpr_count 2
		.amdhsa_user_sgpr_dispatch_ptr 0
		.amdhsa_user_sgpr_queue_ptr 0
		.amdhsa_user_sgpr_kernarg_segment_ptr 1
		.amdhsa_user_sgpr_dispatch_id 0
		.amdhsa_user_sgpr_kernarg_preload_length 0
		.amdhsa_user_sgpr_kernarg_preload_offset 0
		.amdhsa_user_sgpr_private_segment_size 0
		.amdhsa_uses_dynamic_stack 0
		.amdhsa_enable_private_segment 0
		.amdhsa_system_sgpr_workgroup_id_x 1
		.amdhsa_system_sgpr_workgroup_id_y 1
		.amdhsa_system_sgpr_workgroup_id_z 1
		.amdhsa_system_sgpr_workgroup_info 0
		.amdhsa_system_vgpr_workitem_id 0
		.amdhsa_next_free_vgpr 96
		.amdhsa_next_free_sgpr 42
		.amdhsa_accum_offset 96
		.amdhsa_reserve_vcc 1
		.amdhsa_float_round_mode_32 0
		.amdhsa_float_round_mode_16_64 0
		.amdhsa_float_denorm_mode_32 3
		.amdhsa_float_denorm_mode_16_64 3
		.amdhsa_dx10_clamp 1
		.amdhsa_ieee_mode 1
		.amdhsa_fp16_overflow 0
		.amdhsa_tg_split 0
		.amdhsa_exception_fp_ieee_invalid_op 0
		.amdhsa_exception_fp_denorm_src 0
		.amdhsa_exception_fp_ieee_div_zero 0
		.amdhsa_exception_fp_ieee_overflow 0
		.amdhsa_exception_fp_ieee_underflow 0
		.amdhsa_exception_fp_ieee_inexact 0
		.amdhsa_exception_int_div_zero 0
	.end_amdhsa_kernel
	.section	.text._Z39paged_attention_ll4mi_QKV_mfma16_kernelIDF16_DF16_LN4vllm18Fp8KVCacheDataTypeE0EhLi16ELi128ELi256ELb1ELi9EEvPKT_PKT0_S7_ifPKiS9_S9_iPKfiiiPfSC_PS2_PT2_iSB_SB_,"axG",@progbits,_Z39paged_attention_ll4mi_QKV_mfma16_kernelIDF16_DF16_LN4vllm18Fp8KVCacheDataTypeE0EhLi16ELi128ELi256ELb1ELi9EEvPKT_PKT0_S7_ifPKiS9_S9_iPKfiiiPfSC_PS2_PT2_iSB_SB_,comdat
.Lfunc_end200:
	.size	_Z39paged_attention_ll4mi_QKV_mfma16_kernelIDF16_DF16_LN4vllm18Fp8KVCacheDataTypeE0EhLi16ELi128ELi256ELb1ELi9EEvPKT_PKT0_S7_ifPKiS9_S9_iPKfiiiPfSC_PS2_PT2_iSB_SB_, .Lfunc_end200-_Z39paged_attention_ll4mi_QKV_mfma16_kernelIDF16_DF16_LN4vllm18Fp8KVCacheDataTypeE0EhLi16ELi128ELi256ELb1ELi9EEvPKT_PKT0_S7_ifPKiS9_S9_iPKfiiiPfSC_PS2_PT2_iSB_SB_
                                        ; -- End function
	.section	.AMDGPU.csdata,"",@progbits
; Kernel info:
; codeLenInByte = 4712
; NumSgprs: 48
; NumVgprs: 96
; NumAgprs: 0
; TotalNumVgprs: 96
; ScratchSize: 0
; MemoryBound: 0
; FloatMode: 240
; IeeeMode: 1
; LDSByteSize: 8192 bytes/workgroup (compile time only)
; SGPRBlocks: 5
; VGPRBlocks: 11
; NumSGPRsForWavesPerEU: 48
; NumVGPRsForWavesPerEU: 96
; AccumOffset: 96
; Occupancy: 5
; WaveLimiterHint : 1
; COMPUTE_PGM_RSRC2:SCRATCH_EN: 0
; COMPUTE_PGM_RSRC2:USER_SGPR: 2
; COMPUTE_PGM_RSRC2:TRAP_HANDLER: 0
; COMPUTE_PGM_RSRC2:TGID_X_EN: 1
; COMPUTE_PGM_RSRC2:TGID_Y_EN: 1
; COMPUTE_PGM_RSRC2:TGID_Z_EN: 1
; COMPUTE_PGM_RSRC2:TIDIG_COMP_CNT: 0
; COMPUTE_PGM_RSRC3_GFX90A:ACCUM_OFFSET: 23
; COMPUTE_PGM_RSRC3_GFX90A:TG_SPLIT: 0
	.section	.text._Z39paged_attention_ll4mi_QKV_mfma16_kernelIDF16_DF16_LN4vllm18Fp8KVCacheDataTypeE0EhLi16ELi128ELi256ELb1ELi10EEvPKT_PKT0_S7_ifPKiS9_S9_iPKfiiiPfSC_PS2_PT2_iSB_SB_,"axG",@progbits,_Z39paged_attention_ll4mi_QKV_mfma16_kernelIDF16_DF16_LN4vllm18Fp8KVCacheDataTypeE0EhLi16ELi128ELi256ELb1ELi10EEvPKT_PKT0_S7_ifPKiS9_S9_iPKfiiiPfSC_PS2_PT2_iSB_SB_,comdat
	.protected	_Z39paged_attention_ll4mi_QKV_mfma16_kernelIDF16_DF16_LN4vllm18Fp8KVCacheDataTypeE0EhLi16ELi128ELi256ELb1ELi10EEvPKT_PKT0_S7_ifPKiS9_S9_iPKfiiiPfSC_PS2_PT2_iSB_SB_ ; -- Begin function _Z39paged_attention_ll4mi_QKV_mfma16_kernelIDF16_DF16_LN4vllm18Fp8KVCacheDataTypeE0EhLi16ELi128ELi256ELb1ELi10EEvPKT_PKT0_S7_ifPKiS9_S9_iPKfiiiPfSC_PS2_PT2_iSB_SB_
	.globl	_Z39paged_attention_ll4mi_QKV_mfma16_kernelIDF16_DF16_LN4vllm18Fp8KVCacheDataTypeE0EhLi16ELi128ELi256ELb1ELi10EEvPKT_PKT0_S7_ifPKiS9_S9_iPKfiiiPfSC_PS2_PT2_iSB_SB_
	.p2align	8
	.type	_Z39paged_attention_ll4mi_QKV_mfma16_kernelIDF16_DF16_LN4vllm18Fp8KVCacheDataTypeE0EhLi16ELi128ELi256ELb1ELi10EEvPKT_PKT0_S7_ifPKiS9_S9_iPKfiiiPfSC_PS2_PT2_iSB_SB_,@function
_Z39paged_attention_ll4mi_QKV_mfma16_kernelIDF16_DF16_LN4vllm18Fp8KVCacheDataTypeE0EhLi16ELi128ELi256ELb1ELi10EEvPKT_PKT0_S7_ifPKiS9_S9_iPKfiiiPfSC_PS2_PT2_iSB_SB_: ; @_Z39paged_attention_ll4mi_QKV_mfma16_kernelIDF16_DF16_LN4vllm18Fp8KVCacheDataTypeE0EhLi16ELi128ELi256ELb1ELi10EEvPKT_PKT0_S7_ifPKiS9_S9_iPKfiiiPfSC_PS2_PT2_iSB_SB_
; %bb.0:
	s_load_dwordx2 s[8:9], s[0:1], 0x30
	s_mov_b32 s26, s3
	s_mov_b64 s[6:7], 0
	s_waitcnt lgkmcnt(0)
	s_cmp_lg_u64 s[8:9], 0
	s_cselect_b64 s[10:11], -1, 0
	s_and_b64 vcc, exec, s[10:11]
	s_cbranch_vccz .LBB201_7
; %bb.1:
	s_add_i32 s12, s2, 1
	s_mov_b32 s13, 0
	s_lshl_b64 s[14:15], s[12:13], 2
	s_add_u32 s14, s8, s14
	s_mov_b32 s3, s13
	s_addc_u32 s15, s9, s15
	s_lshl_b64 s[12:13], s[2:3], 2
	s_add_u32 s12, s8, s12
	s_addc_u32 s13, s9, s13
	s_load_dword s5, s[14:15], 0x0
	s_load_dword s16, s[12:13], 0x0
	s_waitcnt lgkmcnt(0)
	s_sub_i32 s5, s5, s16
	s_cmp_eq_u32 s5, 1
	s_cselect_b64 s[12:13], -1, 0
	s_andn2_b64 vcc, exec, s[6:7]
	s_cbranch_vccnz .LBB201_3
.LBB201_2:
	s_mov_b32 s3, 0
	s_mov_b64 s[12:13], -1
.LBB201_3:
	s_andn2_b64 vcc, exec, s[12:13]
	s_cbranch_vccnz .LBB201_20
; %bb.4:
	s_load_dwordx2 s[6:7], s[0:1], 0x28
	s_lshl_b64 s[12:13], s[2:3], 2
	s_waitcnt lgkmcnt(0)
	s_add_u32 s6, s6, s12
	s_addc_u32 s7, s7, s13
	s_load_dword s27, s[6:7], 0x0
	s_lshl_b32 s18, s26, 8
	s_waitcnt lgkmcnt(0)
	s_cmp_ge_i32 s18, s27
	s_cbranch_scc1 .LBB201_20
; %bb.5:
	s_load_dwordx2 s[6:7], s[0:1], 0x20
	s_load_dword s5, s[0:1], 0x38
	s_add_i32 s14, s27, 15
	s_ashr_i32 s15, s14, 31
	v_and_b32_e32 v1, 0xcf, v0
	s_lshr_b32 s15, s15, 28
	v_add_u32_e32 v1, s18, v1
	s_add_i32 s14, s14, s15
	v_ashrrev_i32_e32 v2, 31, v1
	s_ashr_i32 s19, s14, 4
	v_lshrrev_b32_e32 v4, 28, v2
	s_add_i32 s19, s19, -1
	s_waitcnt lgkmcnt(0)
	s_mul_i32 s14, s2, s5
	s_mov_b32 s15, 0
	v_add_u32_e32 v2, v1, v4
	s_lshl_b64 s[14:15], s[14:15], 2
	v_ashrrev_i32_e32 v2, 4, v2
	v_mov_b32_e32 v5, s19
	v_cmp_gt_i32_e32 vcc, s27, v1
	s_add_u32 s6, s6, s14
	s_addc_u32 s7, s7, s15
	v_cndmask_b32_e32 v2, v5, v2, vcc
	v_ashrrev_i32_e32 v3, 31, v2
	v_lshl_add_u64 v[6:7], v[2:3], 2, s[6:7]
	v_or_b32_e32 v2, 16, v1
	v_add_u32_e32 v3, v2, v4
	v_ashrrev_i32_e32 v3, 4, v3
	v_cmp_gt_i32_e32 vcc, s27, v2
	s_load_dwordx2 s[14:15], s[0:1], 0x8
	s_nop 0
	v_cndmask_b32_e32 v2, v5, v3, vcc
	v_ashrrev_i32_e32 v3, 31, v2
	v_lshl_add_u64 v[8:9], v[2:3], 2, s[6:7]
	v_or_b32_e32 v2, 32, v1
	v_add_u32_e32 v3, v2, v4
	v_ashrrev_i32_e32 v3, 4, v3
	v_cmp_gt_i32_e32 vcc, s27, v2
	v_or_b32_e32 v1, 48, v1
	s_nop 0
	v_cndmask_b32_e32 v2, v5, v3, vcc
	v_ashrrev_i32_e32 v3, 31, v2
	v_lshl_add_u64 v[10:11], v[2:3], 2, s[6:7]
	v_add_u32_e32 v2, v1, v4
	v_ashrrev_i32_e32 v2, 4, v2
	v_cmp_gt_i32_e32 vcc, s27, v1
	s_nop 1
	v_cndmask_b32_e32 v2, v5, v2, vcc
	v_ashrrev_i32_e32 v3, 31, v2
	v_lshl_add_u64 v[12:13], v[2:3], 2, s[6:7]
	global_load_dword v5, v[6:7], off
	global_load_dword v4, v[8:9], off
	;; [unrolled: 1-line block ×4, first 2 shown]
	s_andn2_b64 vcc, exec, s[10:11]
	s_cbranch_vccnz .LBB201_8
; %bb.6:
	s_add_u32 s8, s8, s12
	s_addc_u32 s9, s9, s13
	s_load_dword s5, s[8:9], 0x0
	s_branch .LBB201_9
.LBB201_7:
	s_mov_b64 s[12:13], 0
	s_branch .LBB201_2
.LBB201_8:
	s_mov_b32 s5, s2
.LBB201_9:
	s_load_dwordx2 s[12:13], s[0:1], 0x10
	s_load_dwordx4 s[8:11], s[0:1], 0x48
	v_lshrrev_b32_e32 v85, 6, v0
	v_bfe_u32 v88, v0, 4, 2
	v_and_b32_e32 v84, 15, v0
	v_lshl_or_b32 v1, v85, 2, v88
	v_lshlrev_b32_e32 v6, 3, v84
	s_mul_i32 s40, s4, 10
	v_cmp_gt_u32_e32 vcc, 10, v1
	v_lshlrev_b32_e32 v82, 1, v6
	s_and_saveexec_b64 s[16:17], vcc
	s_cbranch_execz .LBB201_11
; %bb.10:
	s_load_dwordx2 s[20:21], s[0:1], 0x0
	s_waitcnt lgkmcnt(0)
	s_ashr_i32 s11, s8, 31
	s_mul_hi_u32 s22, s5, s8
	s_mul_i32 s11, s5, s11
	s_add_i32 s23, s22, s11
	s_mul_i32 s22, s5, s8
	s_lshl_b64 s[22:23], s[22:23], 1
	s_add_u32 s20, s20, s22
	v_add_lshl_u32 v6, v1, s40, 7
	s_addc_u32 s21, s21, s23
	v_ashrrev_i32_e32 v7, 31, v6
	v_lshl_add_u64 v[6:7], v[6:7], 1, s[20:21]
	v_mov_b32_e32 v83, 0
	v_lshl_add_u64 v[6:7], v[6:7], 0, v[82:83]
	global_load_dwordx4 v[6:9], v[6:7], off
	v_and_b32_e32 v10, 3, v0
	v_lshlrev_b32_e32 v11, 9, v84
	v_lshlrev_b32_e32 v1, 5, v1
	;; [unrolled: 1-line block ×3, first 2 shown]
	v_and_b32_e32 v11, 0x1800, v11
	v_or3_b32 v1, v11, v10, v1
	s_waitcnt vmcnt(0)
	ds_write_b128 v1, v[6:9]
.LBB201_11:
	s_or_b64 exec, exec, s[16:17]
	s_waitcnt lgkmcnt(0)
	s_mul_i32 s4, s4, s10
	s_mov_b32 s5, 0
	s_lshl_b64 s[4:5], s[4:5], 1
	s_add_u32 s10, s14, s4
	v_lshlrev_b32_e32 v1, 4, v0
	s_addc_u32 s11, s15, s5
	v_and_b32_e32 v86, 0xf0, v1
	v_mov_b32_e32 v87, 0
	v_lshl_add_u64 v[6:7], s[10:11], 0, v[86:87]
	s_waitcnt vmcnt(3)
	v_mad_i64_i32 v[8:9], s[10:11], v5, s9, 0
	s_waitcnt vmcnt(2)
	v_mad_i64_i32 v[4:5], s[10:11], v4, s9, 0
	v_lshl_add_u64 v[8:9], v[8:9], 1, v[6:7]
	v_and_b32_e32 v86, 0x300, v1
	v_lshl_add_u64 v[4:5], v[4:5], 1, v[6:7]
	v_lshl_add_u64 v[8:9], v[8:9], 0, v[86:87]
	;; [unrolled: 1-line block ×3, first 2 shown]
	s_barrier
	global_load_dwordx4 v[78:81], v[8:9], off
	global_load_dwordx4 v[74:77], v[8:9], off offset:1024
	global_load_dwordx4 v[70:73], v[8:9], off offset:2048
	;; [unrolled: 1-line block ×3, first 2 shown]
	global_load_dwordx4 v[66:69], v[4:5], off
	global_load_dwordx4 v[62:65], v[4:5], off offset:1024
	global_load_dwordx4 v[58:61], v[4:5], off offset:2048
	;; [unrolled: 1-line block ×3, first 2 shown]
	s_waitcnt vmcnt(9)
	v_mad_i64_i32 v[4:5], s[10:11], v3, s9, 0
	s_waitcnt vmcnt(8)
	v_mad_i64_i32 v[2:3], s[10:11], v2, s9, 0
	v_lshl_add_u64 v[4:5], v[4:5], 1, v[6:7]
	v_lshl_add_u64 v[2:3], v[2:3], 1, v[6:7]
	;; [unrolled: 1-line block ×4, first 2 shown]
	global_load_dwordx4 v[30:33], v[4:5], off
	global_load_dwordx4 v[26:29], v[4:5], off offset:1024
	global_load_dwordx4 v[22:25], v[4:5], off offset:2048
	;; [unrolled: 1-line block ×3, first 2 shown]
	global_load_dwordx4 v[6:9], v[34:35], off
	s_nop 0
	global_load_dwordx4 v[2:5], v[34:35], off offset:1024
	global_load_dwordx4 v[38:41], v[34:35], off offset:2048
	s_nop 0
	global_load_dwordx4 v[34:37], v[34:35], off offset:3072
	v_add_u32_e32 v42, -10, v84
	v_cmp_gt_u32_e32 vcc, 10, v84
	v_and_b32_e32 v83, 63, v0
	v_mov_b32_e32 v89, 0
	v_cndmask_b32_e32 v42, v42, v84, vcc
	v_lshlrev_b32_e32 v42, 5, v42
	v_lshl_add_u32 v42, v88, 9, v42
	ds_read_b128 v[54:57], v42
	ds_read_b128 v[50:53], v42 offset:2048
	ds_read_b128 v[46:49], v42 offset:4096
	;; [unrolled: 1-line block ×3, first 2 shown]
	s_and_saveexec_b64 s[10:11], vcc
	s_cbranch_execz .LBB201_13
; %bb.12:
	s_load_dwordx2 s[14:15], s[0:1], 0x40
	v_add_u32_e32 v90, s40, v84
	v_ashrrev_i32_e32 v91, 31, v90
	s_waitcnt lgkmcnt(0)
	v_lshl_add_u64 v[90:91], v[90:91], 2, s[14:15]
	global_load_dword v89, v[90:91], off
.LBB201_13:
	s_or_b64 exec, exec, s[10:11]
	s_waitcnt vmcnt(15) lgkmcnt(3)
	v_mfma_f32_16x16x16_f16 v[90:93], v[78:79], v[54:55], 0
	s_add_u32 s4, s12, s4
	s_addc_u32 s5, s13, s5
	s_mov_b32 s33, 0xff7fffff
	v_mfma_f32_16x16x16_f16 v[78:81], v[80:81], v[56:57], v[90:93]
	s_waitcnt vmcnt(14) lgkmcnt(2)
	v_mfma_f32_16x16x16_f16 v[78:81], v[74:75], v[50:51], v[78:81]
	s_nop 0
	v_lshl_or_b32 v90, v85, 4, v84
	v_lshlrev_b32_e32 v86, 5, v90
	v_mfma_f32_16x16x16_f16 v[74:77], v[76:77], v[52:53], v[78:81]
	s_waitcnt vmcnt(13) lgkmcnt(1)
	v_mfma_f32_16x16x16_f16 v[74:77], v[70:71], v[46:47], v[74:77]
	v_mfma_f32_16x16x16_f16 v[70:73], v[72:73], v[48:49], v[74:77]
	s_waitcnt vmcnt(11)
	v_mfma_f32_16x16x16_f16 v[74:77], v[66:67], v[54:55], 0
	v_mfma_f32_16x16x16_f16 v[66:69], v[68:69], v[56:57], v[74:77]
	s_nop 5
	v_and_or_b32 v74, v0, 48, s18
	s_waitcnt lgkmcnt(0)
	v_mfma_f32_16x16x16_f16 v[70:73], v[10:11], v[42:43], v[70:73]
	v_ashrrev_i32_e32 v10, 4, v74
	v_mov_b32_e32 v75, s19
	v_cmp_gt_i32_e32 vcc, s27, v74
	s_waitcnt vmcnt(10)
	v_mfma_f32_16x16x16_f16 v[66:69], v[62:63], v[50:51], v[66:69]
	v_cndmask_b32_e32 v10, v75, v10, vcc
	v_ashrrev_i32_e32 v11, 31, v10
	v_lshl_add_u64 v[10:11], v[10:11], 2, s[6:7]
	global_load_dword v76, v[10:11], off
	v_mfma_f32_16x16x16_f16 v[62:65], v[64:65], v[52:53], v[66:69]
	v_or_b32_e32 v10, 64, v74
	v_ashrrev_i32_e32 v11, 4, v10
	v_cmp_gt_i32_e32 vcc, s27, v10
	s_waitcnt vmcnt(10)
	v_mfma_f32_16x16x16_f16 v[62:65], v[58:59], v[46:47], v[62:65]
	v_cndmask_b32_e32 v10, v75, v11, vcc
	v_ashrrev_i32_e32 v11, 31, v10
	v_lshl_add_u64 v[10:11], v[10:11], 2, s[6:7]
	global_load_dword v77, v[10:11], off
	v_or_b32_e32 v10, 0x80, v74
	v_mfma_f32_16x16x16_f16 v[58:61], v[60:61], v[48:49], v[62:65]
	v_ashrrev_i32_e32 v11, 4, v10
	v_cmp_gt_i32_e32 vcc, s27, v10
	s_waitcnt vmcnt(9)
	v_mfma_f32_16x16x16_f16 v[62:65], v[30:31], v[54:55], 0
	v_cndmask_b32_e32 v10, v75, v11, vcc
	v_ashrrev_i32_e32 v11, 31, v10
	v_lshl_add_u64 v[10:11], v[10:11], 2, s[6:7]
	v_mfma_f32_16x16x16_f16 v[30:33], v[32:33], v[56:57], v[62:65]
	s_nop 2
	global_load_dword v64, v[10:11], off
	v_or_b32_e32 v10, 0xc0, v74
	v_ashrrev_i32_e32 v11, 4, v10
	v_cmp_gt_i32_e32 vcc, s27, v10
	s_waitcnt vmcnt(9)
	v_mfma_f32_16x16x16_f16 v[30:33], v[26:27], v[50:51], v[30:33]
	v_lshl_add_u64 v[62:63], s[4:5], 0, v[86:87]
	v_cndmask_b32_e32 v10, v75, v11, vcc
	v_ashrrev_i32_e32 v11, 31, v10
	v_lshl_add_u64 v[10:11], v[10:11], 2, s[6:7]
	global_load_dword v65, v[10:11], off
	v_mfma_f32_16x16x16_f16 v[26:29], v[28:29], v[52:53], v[30:33]
	s_load_dword s6, s[0:1], 0x1c
	v_or_b32_e32 v86, 0x800, v86
	s_waitcnt vmcnt(3)
	v_mad_i64_i32 v[10:11], s[10:11], v76, s9, 0
	v_mfma_f32_16x16x16_f16 v[26:29], v[22:23], v[46:47], v[26:29]
	v_lshlrev_b64 v[74:75], 1, v[10:11]
	v_mfma_f32_16x16x16_f16 v[66:69], v[12:13], v[44:45], v[70:73]
	v_mfma_f32_16x16x16_f16 v[10:13], v[24:25], v[48:49], v[26:29]
	;; [unrolled: 1-line block ×3, first 2 shown]
	v_lshl_add_u64 v[14:15], v[62:63], 0, v[74:75]
	s_waitcnt lgkmcnt(0)
	s_nop 2
	v_pk_mul_f32 v[78:79], s[6:7], v[68:69] op_sel_hi:[0,1]
	v_mfma_f32_16x16x16_f16 v[10:13], v[18:19], v[42:43], v[10:13]
	v_mfma_f32_16x16x16_f16 v[70:73], v[16:17], v[44:45], v[30:33]
	s_nop 2
	global_load_dwordx4 v[30:33], v[14:15], off
	global_load_dwordx4 v[26:29], v[14:15], off offset:16
	s_waitcnt vmcnt(4)
	v_mad_i64_i32 v[14:15], s[10:11], v77, s9, 0
	v_lshlrev_b64 v[58:59], 1, v[14:15]
	v_mfma_f32_16x16x16_f16 v[92:95], v[20:21], v[44:45], v[10:13]
	v_pk_mul_f32 v[76:77], s[6:7], v[70:71] op_sel_hi:[0,1]
	s_nop 1
	v_lshl_add_u64 v[10:11], v[62:63], 0, v[58:59]
	global_load_dwordx4 v[22:25], v[10:11], off
	global_load_dwordx4 v[18:21], v[10:11], off offset:16
	v_mfma_f32_16x16x16_f16 v[10:13], v[6:7], v[54:55], 0
	s_waitcnt vmcnt(5)
	v_mad_i64_i32 v[6:7], s[10:11], v64, s9, 0
	v_lshlrev_b64 v[54:55], 1, v[6:7]
	v_mfma_f32_16x16x16_f16 v[6:9], v[8:9], v[56:57], v[10:13]
	v_pk_mul_f32 v[70:71], s[6:7], v[94:95] op_sel_hi:[0,1]
	v_mfma_f32_16x16x16_f16 v[6:9], v[2:3], v[50:51], v[6:9]
	s_waitcnt vmcnt(4)
	v_mad_i64_i32 v[2:3], s[8:9], v65, s9, 0
	v_lshlrev_b64 v[60:61], 1, v[2:3]
	v_mfma_f32_16x16x16_f16 v[50:53], v[4:5], v[52:53], v[6:9]
	v_lshl_add_u64 v[10:11], v[62:63], 0, v[54:55]
	v_lshl_add_u64 v[2:3], v[62:63], 0, v[60:61]
	v_pk_mul_f32 v[62:63], s[6:7], v[66:67] op_sel_hi:[0,1]
	v_mfma_f32_16x16x16_f16 v[50:53], v[38:39], v[46:47], v[50:53]
	v_lshl_add_u64 v[64:65], s[4:5], 0, v[86:87]
	v_lshl_add_u64 v[38:39], v[64:65], 0, v[74:75]
	v_pk_mul_f32 v[74:75], s[6:7], v[72:73] op_sel_hi:[0,1]
	v_mfma_f32_16x16x16_f16 v[46:49], v[40:41], v[48:49], v[50:53]
	v_pk_mul_f32 v[72:73], s[6:7], v[92:93] op_sel_hi:[0,1]
	global_load_dwordx4 v[14:17], v[10:11], off
	s_nop 0
	global_load_dwordx4 v[10:13], v[10:11], off offset:16
	s_nop 0
	global_load_dwordx4 v[6:9], v[2:3], off
	s_nop 0
	global_load_dwordx4 v[2:5], v[2:3], off offset:16
	v_mfma_f32_16x16x16_f16 v[40:43], v[34:35], v[42:43], v[46:49]
	v_mfma_f32_16x16x16_f16 v[34:37], v[36:37], v[44:45], v[40:43]
	s_nop 6
	v_pk_mul_f32 v[68:69], s[6:7], v[34:35] op_sel_hi:[0,1]
	v_and_b32_e32 v34, 0xc0, v0
	v_add_u32_e32 v34, s18, v34
	v_lshl_or_b32 v34, v88, 2, v34
	v_or_b32_e32 v35, 1, v34
	v_pk_mul_f32 v[66:67], s[6:7], v[36:37] op_sel_hi:[0,1]
	v_subrev_u32_e32 v36, s27, v35
	v_add_u32_e32 v40, 1, v36
	v_add_u32_e32 v41, 2, v36
	v_cvt_f32_i32_e32 v37, v36
	v_cvt_f32_i32_e32 v40, v40
	;; [unrolled: 1-line block ×3, first 2 shown]
	v_add_u32_e32 v42, 3, v36
	v_fma_f32 v62, v89, v37, v62
	v_fmac_f32_e32 v63, v89, v40
	v_fma_f32 v78, v89, v41, v78
	v_add_u32_e32 v37, 16, v36
	v_add_u32_e32 v40, 17, v36
	;; [unrolled: 1-line block ×3, first 2 shown]
	v_cvt_f32_i32_e32 v42, v42
	v_cvt_f32_i32_e32 v37, v37
	;; [unrolled: 1-line block ×4, first 2 shown]
	v_fmac_f32_e32 v79, v89, v42
	v_add_u32_e32 v42, 19, v36
	v_fma_f32 v76, v89, v37, v76
	v_fmac_f32_e32 v77, v89, v40
	v_fma_f32 v74, v89, v41, v74
	v_add_u32_e32 v37, 32, v36
	v_add_u32_e32 v40, 33, v36
	;; [unrolled: 1-line block ×3, first 2 shown]
	v_cvt_f32_i32_e32 v42, v42
	v_cvt_f32_i32_e32 v37, v37
	;; [unrolled: 1-line block ×4, first 2 shown]
	v_fmac_f32_e32 v75, v89, v42
	v_add_u32_e32 v42, 35, v36
	v_fma_f32 v72, v89, v37, v72
	v_fmac_f32_e32 v73, v89, v40
	v_fma_f32 v70, v89, v41, v70
	v_add_u32_e32 v37, 48, v36
	v_add_u32_e32 v40, 49, v36
	v_add_u32_e32 v41, 50, v36
	v_add_u32_e32 v36, 51, v36
	v_cvt_f32_i32_e32 v36, v36
	v_cvt_f32_i32_e32 v37, v37
	;; [unrolled: 1-line block ×3, first 2 shown]
	v_cmp_gt_i32_e64 s[28:29], s27, v34
	v_fmac_f32_e32 v67, v89, v36
	v_mov_b32_e32 v36, 0xff7fffff
	v_cmp_gt_i32_e64 s[30:31], s27, v35
	v_fma_f32 v68, v89, v37, v68
	v_cndmask_b32_e64 v37, v36, v62, s[28:29]
	v_cndmask_b32_e64 v35, v36, v63, s[30:31]
	v_fmac_f32_e32 v69, v89, v40
	v_max3_f32 v35, v37, s33, v35
	v_or_b32_e32 v37, 2, v34
	v_or_b32_e32 v40, 3, v34
	v_cmp_gt_i32_e64 s[34:35], s27, v37
	v_cmp_gt_i32_e64 s[36:37], s27, v40
	v_cvt_f32_i32_e32 v42, v42
	v_cndmask_b32_e64 v37, v36, v78, s[34:35]
	v_cndmask_b32_e64 v40, v36, v79, s[36:37]
	v_max3_f32 v35, v35, v37, v40
	v_or_b32_e32 v37, 16, v34
	v_or_b32_e32 v40, 17, v34
	v_cmp_gt_i32_e64 s[22:23], s27, v37
	v_cmp_gt_i32_e64 s[24:25], s27, v40
	v_fmac_f32_e32 v71, v89, v42
	v_cndmask_b32_e64 v37, v36, v76, s[22:23]
	v_cndmask_b32_e64 v40, v36, v77, s[24:25]
	v_max3_f32 v35, v35, v37, v40
	v_or_b32_e32 v37, 18, v34
	v_or_b32_e32 v40, 19, v34
	v_cmp_gt_i32_e64 s[18:19], s27, v37
	v_cmp_gt_i32_e64 s[20:21], s27, v40
	v_cvt_f32_i32_e32 v41, v41
	v_cndmask_b32_e64 v37, v36, v74, s[18:19]
	v_cndmask_b32_e64 v40, v36, v75, s[20:21]
	v_max3_f32 v35, v35, v37, v40
	v_or_b32_e32 v37, 32, v34
	v_or_b32_e32 v40, 33, v34
	v_cmp_gt_i32_e64 s[14:15], s27, v37
	v_cmp_gt_i32_e64 s[16:17], s27, v40
	v_fma_f32 v66, v89, v41, v66
	v_cndmask_b32_e64 v37, v36, v72, s[14:15]
	v_cndmask_b32_e64 v40, v36, v73, s[16:17]
	v_max3_f32 v35, v35, v37, v40
	v_or_b32_e32 v37, 34, v34
	v_or_b32_e32 v40, 35, v34
	v_cmp_gt_i32_e64 s[10:11], s27, v37
	v_cmp_gt_i32_e64 s[12:13], s27, v40
	s_nop 0
	v_cndmask_b32_e64 v37, v36, v70, s[10:11]
	v_cndmask_b32_e64 v40, v36, v71, s[12:13]
	v_max3_f32 v35, v35, v37, v40
	v_or_b32_e32 v37, 48, v34
	v_or_b32_e32 v40, 49, v34
	v_cmp_gt_i32_e64 s[6:7], s27, v37
	v_cmp_gt_i32_e64 s[8:9], s27, v40
	s_nop 0
	v_cndmask_b32_e64 v37, v36, v68, s[6:7]
	v_cndmask_b32_e64 v40, v36, v69, s[8:9]
	v_max3_f32 v35, v35, v37, v40
	v_or_b32_e32 v37, 50, v34
	v_or_b32_e32 v34, 51, v34
	v_cmp_gt_i32_e32 vcc, s27, v37
	v_cmp_gt_i32_e64 s[4:5], s27, v34
	global_load_dwordx4 v[46:49], v[38:39], off
	s_nop 0
	global_load_dwordx4 v[38:41], v[38:39], off offset:16
	v_cndmask_b32_e32 v37, v36, v66, vcc
	v_cndmask_b32_e64 v34, v36, v67, s[4:5]
	v_max3_f32 v50, v35, v37, v34
	v_mbcnt_lo_u32_b32 v34, -1, 0
	v_mbcnt_hi_u32_b32 v51, -1, v34
	v_and_b32_e32 v34, 64, v51
	v_add_u32_e32 v52, 64, v34
	v_xor_b32_e32 v34, 32, v51
	v_cmp_lt_i32_e64 s[38:39], v34, v52
	s_nop 1
	v_cndmask_b32_e64 v34, v51, v34, s[38:39]
	v_lshlrev_b32_e32 v87, 2, v34
	ds_bpermute_b32 v53, v87, v50
	v_lshl_add_u64 v[34:35], v[64:65], 0, v[58:59]
	v_lshl_add_u64 v[58:59], v[64:65], 0, v[60:61]
	global_load_dwordx4 v[42:45], v[34:35], off
	s_nop 0
	global_load_dwordx4 v[34:37], v[34:35], off offset:16
	s_waitcnt lgkmcnt(0)
	v_max_f32_e32 v53, v53, v53
	v_max_f32_e32 v80, v50, v53
	v_xor_b32_e32 v50, 16, v51
	v_cmp_lt_i32_e64 s[38:39], v50, v52
	s_nop 1
	v_cndmask_b32_e64 v50, v51, v50, s[38:39]
	v_lshlrev_b32_e32 v89, 2, v50
	ds_bpermute_b32 v81, v89, v80
	v_lshl_add_u64 v[50:51], v[64:65], 0, v[54:55]
	global_load_dwordx4 v[54:57], v[50:51], off
	s_nop 0
	global_load_dwordx4 v[50:53], v[50:51], off offset:16
	s_waitcnt lgkmcnt(0)
	v_max_f32_e32 v60, v81, v81
	v_max_f32_e32 v86, v80, v60
	v_sub_f32_e32 v60, v62, v86
	v_mul_f32_e32 v60, 0x3fb8aa3b, v60
	v_exp_f32_e32 v80, v60
	v_sub_f32_e32 v60, v63, v86
	v_mul_f32_e32 v60, 0x3fb8aa3b, v60
	v_exp_f32_e32 v81, v60
	global_load_dwordx4 v[62:65], v[58:59], off
	s_nop 0
	global_load_dwordx4 v[58:61], v[58:59], off offset:16
	v_sub_f32_e32 v78, v78, v86
	v_mul_f32_e32 v78, 0x3fb8aa3b, v78
	v_sub_f32_e32 v79, v79, v86
	v_exp_f32_e32 v78, v78
	v_mul_f32_e32 v79, 0x3fb8aa3b, v79
	v_sub_f32_e32 v76, v76, v86
	v_exp_f32_e32 v79, v79
	v_mul_f32_e32 v76, 0x3fb8aa3b, v76
	v_sub_f32_e32 v77, v77, v86
	v_cndmask_b32_e64 v80, 0, v80, s[28:29]
	v_exp_f32_e32 v76, v76
	v_mul_f32_e32 v77, 0x3fb8aa3b, v77
	v_sub_f32_e32 v74, v74, v86
	v_add_f32_e32 v91, 0, v80
	v_cndmask_b32_e64 v81, 0, v81, s[30:31]
	v_exp_f32_e32 v77, v77
	v_mul_f32_e32 v74, 0x3fb8aa3b, v74
	v_sub_f32_e32 v75, v75, v86
	v_add_f32_e32 v91, v91, v81
	;; [unrolled: 5-line block ×10, first 2 shown]
	v_cndmask_b32_e64 v70, 0, v70, s[10:11]
	v_exp_f32_e32 v66, v66
	v_mul_f32_e32 v67, 0x3fb8aa3b, v67
	v_add_f32_e32 v91, v91, v70
	v_cndmask_b32_e64 v71, 0, v71, s[12:13]
	v_exp_f32_e32 v67, v67
	v_add_f32_e32 v91, v91, v71
	v_cndmask_b32_e64 v68, 0, v68, s[6:7]
	v_add_f32_e32 v91, v91, v68
	v_cndmask_b32_e64 v69, 0, v69, s[8:9]
	v_add_f32_e32 v91, v91, v69
	v_cndmask_b32_e32 v66, 0, v66, vcc
	v_add_f32_e32 v91, v91, v66
	v_cndmask_b32_e64 v67, 0, v67, s[4:5]
	v_add_f32_e32 v91, v91, v67
	ds_bpermute_b32 v87, v87, v91
	s_load_dword s7, s[0:1], 0x98
	v_cmp_gt_u32_e32 vcc, 16, v83
	s_waitcnt lgkmcnt(0)
	s_barrier
	v_add_f32_e32 v87, v91, v87
	ds_bpermute_b32 v89, v89, v87
	s_waitcnt lgkmcnt(0)
	s_and_saveexec_b64 s[4:5], vcc
	s_cbranch_execz .LBB201_15
; %bb.14:
	v_add_f32_e32 v83, v87, v89
	v_lshlrev_b32_e32 v87, 2, v90
	ds_write2st64_b32 v87, v86, v83 offset1:1
.LBB201_15:
	s_or_b64 exec, exec, s[4:5]
	v_lshlrev_b32_e32 v89, 2, v84
	s_load_dword s6, s[0:1], 0x94
	s_waitcnt lgkmcnt(0)
	s_barrier
	ds_read2_b32 v[86:87], v89 offset1:16
	ds_read2_b32 v[90:91], v89 offset0:32 offset1:48
	ds_read2_b32 v[92:93], v89 offset0:64 offset1:80
	;; [unrolled: 1-line block ×3, first 2 shown]
	s_mul_i32 s7, s7, 10
	s_waitcnt lgkmcnt(3)
	v_max3_f32 v83, v86, s33, v87
	s_waitcnt lgkmcnt(2)
	v_max3_f32 v83, v83, v90, v91
	v_sub_f32_e32 v86, v86, v83
	v_mul_f32_e32 v86, 0x3fb8aa3b, v86
	v_exp_f32_e32 v1, v86
	v_sub_f32_e32 v86, v87, v83
	v_mul_f32_e32 v86, 0x3fb8aa3b, v86
	v_exp_f32_e32 v87, v86
	;; [unrolled: 3-line block ×4, first 2 shown]
	s_waitcnt lgkmcnt(1)
	v_fma_f32 v86, v1, v92, 0
	v_fmac_f32_e32 v86, v87, v93
	s_waitcnt lgkmcnt(0)
	v_fmac_f32_e32 v86, v90, v94
	v_fmac_f32_e32 v86, v89, v95
	v_add_f32_e32 v91, 0x358637bd, v86
	v_div_scale_f32 v92, s[4:5], v91, v91, 1.0
	v_rcp_f32_e32 v93, v92
	s_barrier
	v_fma_f32 v94, -v92, v93, 1.0
	v_fmac_f32_e32 v93, v94, v93
	v_div_scale_f32 v94, vcc, 1.0, v91, 1.0
	v_mul_f32_e32 v95, v94, v93
	v_fma_f32 v88, -v92, v95, v94
	v_fmac_f32_e32 v95, v88, v93
	v_fma_f32 v88, -v92, v95, v94
	v_div_fmas_f32 v88, v88, v93, v95
	v_cmp_eq_u32_e32 vcc, 1, v85
	v_div_fixup_f32 v88, v88, v91, 1.0
	s_nop 0
	v_cndmask_b32_e32 v1, v1, v87, vcc
	v_cmp_eq_u32_e32 vcc, 2, v85
	v_bfe_u32 v87, v0, 4, 2
	s_nop 0
	v_cndmask_b32_e32 v1, v1, v90, vcc
	v_cmp_eq_u32_e32 vcc, 3, v85
	s_nop 1
	v_cndmask_b32_e32 v1, v1, v89, vcc
	v_mul_f32_e32 v90, v1, v88
	v_pk_mul_f32 v[78:79], v[90:91], v[78:79] op_sel_hi:[0,1]
	v_cvt_f16_f32_e32 v78, v78
	v_cvt_f16_f32_e32 v79, v79
	v_pk_mul_f32 v[80:81], v[90:91], v[80:81] op_sel_hi:[0,1]
	v_cvt_f16_f32_e32 v1, v80
	v_cvt_f16_f32_e32 v80, v81
	v_pk_mul_f32 v[74:75], v[90:91], v[74:75] op_sel_hi:[0,1]
	v_pk_mul_f32 v[76:77], v[90:91], v[76:77] op_sel_hi:[0,1]
	v_pack_b32_f16 v81, v78, v79
	v_cvt_f16_f32_e32 v76, v76
	v_cvt_f16_f32_e32 v77, v77
	;; [unrolled: 1-line block ×4, first 2 shown]
	v_pack_b32_f16 v80, v1, v80
	v_lshlrev_b32_e32 v1, 3, v87
	v_lshlrev_b32_e32 v78, 5, v84
	;; [unrolled: 1-line block ×3, first 2 shown]
	v_pk_mul_f32 v[70:71], v[90:91], v[70:71] op_sel_hi:[0,1]
	v_pk_mul_f32 v[72:73], v[90:91], v[72:73] op_sel_hi:[0,1]
	;; [unrolled: 1-line block ×4, first 2 shown]
	v_or3_b32 v74, v74, v78, v1
	v_pack_b32_f16 v76, v76, v77
	v_pack_b32_f16 v77, v79, v75
	v_cvt_f16_f32_e32 v1, v72
	v_cvt_f16_f32_e32 v72, v73
	;; [unrolled: 1-line block ×8, first 2 shown]
	v_pack_b32_f16 v66, v1, v72
	v_pack_b32_f16 v67, v70, v71
	;; [unrolled: 1-line block ×4, first 2 shown]
	v_cmp_gt_u32_e32 vcc, 10, v0
	ds_write2st64_b64 v74, v[80:81], v[76:77] offset1:1
	ds_write2st64_b64 v74, v[66:67], v[68:69] offset0:2 offset1:3
	s_and_saveexec_b64 s[4:5], vcc
	s_cbranch_execz .LBB201_17
; %bb.16:
	s_mov_b32 s41, 0
	v_mov_b32_e32 v85, 0
	v_lshl_add_u64 v[66:67], s[40:41], 0, v[84:85]
	v_mov_b32_e32 v1, s7
	v_mad_u64_u32 v[66:67], s[12:13], s2, v1, v[66:67]
	s_mul_i32 s3, s3, s7
	v_mov_b32_e32 v68, s26
	v_mov_b32_e32 v69, v85
	s_load_dwordx4 s[8:11], s[0:1], 0x58
	v_add_u32_e32 v1, s3, v67
	v_mad_u64_u32 v[66:67], s[12:13], v66, s6, v[68:69]
	v_mov_b32_e32 v68, v67
	v_mad_u64_u32 v[68:69], s[12:13], v1, s6, v[68:69]
	v_mov_b32_e32 v67, v68
	v_lshlrev_b64 v[66:67], 2, v[66:67]
	s_waitcnt lgkmcnt(0)
	v_lshl_add_u64 v[68:69], s[10:11], 0, v[66:67]
	v_lshl_add_u64 v[66:67], s[8:9], 0, v[66:67]
	global_store_dword v[68:69], v83, off
	global_store_dword v[66:67], v86, off
.LBB201_17:
	s_or_b64 exec, exec, s[4:5]
	v_lshl_or_b32 v1, v87, 9, v78
	s_waitcnt lgkmcnt(0)
	s_barrier
	ds_read_b128 v[70:73], v1
	ds_read_b128 v[66:69], v1 offset:16
	s_waitcnt vmcnt(15) lgkmcnt(1)
	v_mfma_f32_16x16x16_f16 v[76:79], v[30:31], v[70:71], 0
	s_mov_b32 s3, 0
	v_cmp_gt_u32_e32 vcc, 64, v0
	v_mfma_f32_16x16x16_f16 v[30:33], v[32:33], v[72:73], v[76:79]
	s_waitcnt vmcnt(14) lgkmcnt(0)
	v_mfma_f32_16x16x16_f16 v[30:33], v[26:27], v[66:67], v[30:33]
	v_mfma_f32_16x16x16_f16 v[26:29], v[28:29], v[68:69], v[30:33]
	s_nop 5
	ds_read_b128 v[30:33], v1 offset:2048
	ds_read_b128 v[76:79], v1 offset:2064
	s_waitcnt vmcnt(13) lgkmcnt(1)
	v_mfma_f32_16x16x16_f16 v[26:29], v[22:23], v[30:31], v[26:29]
	v_mfma_f32_16x16x16_f16 v[22:25], v[24:25], v[32:33], v[26:29]
	s_waitcnt vmcnt(12) lgkmcnt(0)
	v_mfma_f32_16x16x16_f16 v[22:25], v[18:19], v[76:77], v[22:25]
	v_mfma_f32_16x16x16_f16 v[18:21], v[20:21], v[78:79], v[22:25]
	s_nop 5
	ds_read_b128 v[22:25], v1 offset:4096
	ds_read_b128 v[26:29], v1 offset:4112
	s_waitcnt vmcnt(11) lgkmcnt(1)
	v_mfma_f32_16x16x16_f16 v[18:21], v[14:15], v[22:23], v[18:21]
	v_mfma_f32_16x16x16_f16 v[14:17], v[16:17], v[24:25], v[18:21]
	s_waitcnt vmcnt(10) lgkmcnt(0)
	v_mfma_f32_16x16x16_f16 v[14:17], v[10:11], v[26:27], v[14:17]
	v_mfma_f32_16x16x16_f16 v[10:13], v[12:13], v[28:29], v[14:17]
	s_nop 5
	ds_read_b128 v[14:17], v1 offset:6144
	ds_read_b128 v[18:21], v1 offset:6160
	s_waitcnt lgkmcnt(0)
	s_barrier
	s_waitcnt vmcnt(9)
	v_mfma_f32_16x16x16_f16 v[10:13], v[6:7], v[14:15], v[10:13]
	v_mfma_f32_16x16x16_f16 v[6:9], v[8:9], v[16:17], v[10:13]
	s_waitcnt vmcnt(8)
	v_mfma_f32_16x16x16_f16 v[6:9], v[2:3], v[18:19], v[6:9]
	v_mfma_f32_16x16x16_f16 v[2:5], v[4:5], v[20:21], v[6:9]
	;; [unrolled: 3-line block ×3, first 2 shown]
	s_nop 3
	v_cvt_f16_f32_e32 v1, v2
	v_cvt_f16_f32_e32 v10, v3
	;; [unrolled: 1-line block ×3, first 2 shown]
	s_waitcnt vmcnt(6)
	v_mfma_f32_16x16x16_f16 v[6:9], v[38:39], v[66:67], v[6:9]
	v_cvt_f16_f32_e32 v12, v5
	v_mfma_f32_16x16x16_f16 v[6:9], v[40:41], v[68:69], v[6:9]
	s_waitcnt vmcnt(5)
	v_mfma_f32_16x16x16_f16 v[6:9], v[42:43], v[30:31], v[6:9]
	v_mfma_f32_16x16x16_f16 v[6:9], v[44:45], v[32:33], v[6:9]
	s_waitcnt vmcnt(4)
	v_mfma_f32_16x16x16_f16 v[6:9], v[34:35], v[76:77], v[6:9]
	;; [unrolled: 3-line block ×6, first 2 shown]
	v_mfma_f32_16x16x16_f16 v[2:5], v[60:61], v[20:21], v[6:9]
	s_nop 6
	v_cvt_f16_f32_e32 v6, v2
	v_cvt_f16_f32_e32 v7, v3
	;; [unrolled: 1-line block ×4, first 2 shown]
	v_pack_b32_f16 v2, v1, v10
	v_pack_b32_f16 v3, v11, v12
	;; [unrolled: 1-line block ×4, first 2 shown]
	ds_write2st64_b64 v74, v[2:3], v[4:5] offset1:1
	s_waitcnt lgkmcnt(0)
	s_barrier
	s_and_saveexec_b64 s[4:5], vcc
	s_cbranch_execz .LBB201_20
; %bb.18:
	s_load_dwordx2 s[4:5], s[0:1], 0x68
	s_lshl_b32 s0, s6, 7
	s_mul_i32 s1, s7, s2
	v_lshlrev_b32_e32 v3, 6, v84
	s_mul_hi_u32 s7, s1, s0
	s_mul_i32 s6, s1, s0
	v_lshlrev_b32_e32 v2, 4, v0
	v_lshl_or_b32 v0, v0, 10, v3
	s_lshl_b64 s[6:7], s[6:7], 1
	v_lshlrev_b32_e32 v1, 5, v87
	v_and_b32_e32 v2, 16, v2
	v_and_b32_e32 v0, 0x1a00, v0
	s_waitcnt lgkmcnt(0)
	s_add_u32 s1, s4, s6
	v_or3_b32 v2, v0, v1, v2
	s_addc_u32 s4, s5, s7
	s_lshl_b32 s2, s26, 7
	s_lshl_b64 s[2:3], s[2:3], 1
	ds_read_b128 v[4:7], v2 offset:128
	ds_read_b128 v[8:11], v2
	s_add_u32 s2, s1, s2
	s_addc_u32 s3, s4, s3
	v_mov_b32_e32 v83, 0
	v_add_u32_e32 v14, s40, v87
	v_lshl_add_u64 v[0:1], s[2:3], 0, v[82:83]
	v_mad_u64_u32 v[12:13], s[2:3], v14, s0, 0
	v_lshl_add_u64 v[12:13], v[12:13], 1, v[0:1]
	s_waitcnt lgkmcnt(0)
	global_store_dwordx4 v[12:13], v[8:11], off
	v_or_b32_e32 v3, 8, v87
	v_cmp_gt_u32_e32 vcc, 10, v3
	v_add_u32_e32 v8, 4, v14
	v_mad_u64_u32 v[8:9], s[2:3], v8, s0, 0
	v_lshl_add_u64 v[8:9], v[8:9], 1, v[0:1]
	global_store_dwordx4 v[8:9], v[4:7], off
	s_and_b64 exec, exec, vcc
	s_cbranch_execz .LBB201_20
; %bb.19:
	ds_read_b128 v[4:7], v2 offset:256
	v_add_u32_e32 v2, s40, v3
	v_mad_u64_u32 v[2:3], s[0:1], v2, s0, 0
	v_lshl_add_u64 v[0:1], v[2:3], 1, v[0:1]
	s_waitcnt lgkmcnt(0)
	global_store_dwordx4 v[0:1], v[4:7], off
.LBB201_20:
	s_endpgm
	.section	.rodata,"a",@progbits
	.p2align	6, 0x0
	.amdhsa_kernel _Z39paged_attention_ll4mi_QKV_mfma16_kernelIDF16_DF16_LN4vllm18Fp8KVCacheDataTypeE0EhLi16ELi128ELi256ELb1ELi10EEvPKT_PKT0_S7_ifPKiS9_S9_iPKfiiiPfSC_PS2_PT2_iSB_SB_
		.amdhsa_group_segment_fixed_size 8192
		.amdhsa_private_segment_fixed_size 0
		.amdhsa_kernarg_size 400
		.amdhsa_user_sgpr_count 2
		.amdhsa_user_sgpr_dispatch_ptr 0
		.amdhsa_user_sgpr_queue_ptr 0
		.amdhsa_user_sgpr_kernarg_segment_ptr 1
		.amdhsa_user_sgpr_dispatch_id 0
		.amdhsa_user_sgpr_kernarg_preload_length 0
		.amdhsa_user_sgpr_kernarg_preload_offset 0
		.amdhsa_user_sgpr_private_segment_size 0
		.amdhsa_uses_dynamic_stack 0
		.amdhsa_enable_private_segment 0
		.amdhsa_system_sgpr_workgroup_id_x 1
		.amdhsa_system_sgpr_workgroup_id_y 1
		.amdhsa_system_sgpr_workgroup_id_z 1
		.amdhsa_system_sgpr_workgroup_info 0
		.amdhsa_system_vgpr_workitem_id 0
		.amdhsa_next_free_vgpr 96
		.amdhsa_next_free_sgpr 42
		.amdhsa_accum_offset 96
		.amdhsa_reserve_vcc 1
		.amdhsa_float_round_mode_32 0
		.amdhsa_float_round_mode_16_64 0
		.amdhsa_float_denorm_mode_32 3
		.amdhsa_float_denorm_mode_16_64 3
		.amdhsa_dx10_clamp 1
		.amdhsa_ieee_mode 1
		.amdhsa_fp16_overflow 0
		.amdhsa_tg_split 0
		.amdhsa_exception_fp_ieee_invalid_op 0
		.amdhsa_exception_fp_denorm_src 0
		.amdhsa_exception_fp_ieee_div_zero 0
		.amdhsa_exception_fp_ieee_overflow 0
		.amdhsa_exception_fp_ieee_underflow 0
		.amdhsa_exception_fp_ieee_inexact 0
		.amdhsa_exception_int_div_zero 0
	.end_amdhsa_kernel
	.section	.text._Z39paged_attention_ll4mi_QKV_mfma16_kernelIDF16_DF16_LN4vllm18Fp8KVCacheDataTypeE0EhLi16ELi128ELi256ELb1ELi10EEvPKT_PKT0_S7_ifPKiS9_S9_iPKfiiiPfSC_PS2_PT2_iSB_SB_,"axG",@progbits,_Z39paged_attention_ll4mi_QKV_mfma16_kernelIDF16_DF16_LN4vllm18Fp8KVCacheDataTypeE0EhLi16ELi128ELi256ELb1ELi10EEvPKT_PKT0_S7_ifPKiS9_S9_iPKfiiiPfSC_PS2_PT2_iSB_SB_,comdat
.Lfunc_end201:
	.size	_Z39paged_attention_ll4mi_QKV_mfma16_kernelIDF16_DF16_LN4vllm18Fp8KVCacheDataTypeE0EhLi16ELi128ELi256ELb1ELi10EEvPKT_PKT0_S7_ifPKiS9_S9_iPKfiiiPfSC_PS2_PT2_iSB_SB_, .Lfunc_end201-_Z39paged_attention_ll4mi_QKV_mfma16_kernelIDF16_DF16_LN4vllm18Fp8KVCacheDataTypeE0EhLi16ELi128ELi256ELb1ELi10EEvPKT_PKT0_S7_ifPKiS9_S9_iPKfiiiPfSC_PS2_PT2_iSB_SB_
                                        ; -- End function
	.section	.AMDGPU.csdata,"",@progbits
; Kernel info:
; codeLenInByte = 4708
; NumSgprs: 48
; NumVgprs: 96
; NumAgprs: 0
; TotalNumVgprs: 96
; ScratchSize: 0
; MemoryBound: 0
; FloatMode: 240
; IeeeMode: 1
; LDSByteSize: 8192 bytes/workgroup (compile time only)
; SGPRBlocks: 5
; VGPRBlocks: 11
; NumSGPRsForWavesPerEU: 48
; NumVGPRsForWavesPerEU: 96
; AccumOffset: 96
; Occupancy: 5
; WaveLimiterHint : 1
; COMPUTE_PGM_RSRC2:SCRATCH_EN: 0
; COMPUTE_PGM_RSRC2:USER_SGPR: 2
; COMPUTE_PGM_RSRC2:TRAP_HANDLER: 0
; COMPUTE_PGM_RSRC2:TGID_X_EN: 1
; COMPUTE_PGM_RSRC2:TGID_Y_EN: 1
; COMPUTE_PGM_RSRC2:TGID_Z_EN: 1
; COMPUTE_PGM_RSRC2:TIDIG_COMP_CNT: 0
; COMPUTE_PGM_RSRC3_GFX90A:ACCUM_OFFSET: 23
; COMPUTE_PGM_RSRC3_GFX90A:TG_SPLIT: 0
	.section	.text._Z39paged_attention_ll4mi_QKV_mfma16_kernelIDF16_DF16_LN4vllm18Fp8KVCacheDataTypeE0EhLi16ELi128ELi256ELb1ELi11EEvPKT_PKT0_S7_ifPKiS9_S9_iPKfiiiPfSC_PS2_PT2_iSB_SB_,"axG",@progbits,_Z39paged_attention_ll4mi_QKV_mfma16_kernelIDF16_DF16_LN4vllm18Fp8KVCacheDataTypeE0EhLi16ELi128ELi256ELb1ELi11EEvPKT_PKT0_S7_ifPKiS9_S9_iPKfiiiPfSC_PS2_PT2_iSB_SB_,comdat
	.protected	_Z39paged_attention_ll4mi_QKV_mfma16_kernelIDF16_DF16_LN4vllm18Fp8KVCacheDataTypeE0EhLi16ELi128ELi256ELb1ELi11EEvPKT_PKT0_S7_ifPKiS9_S9_iPKfiiiPfSC_PS2_PT2_iSB_SB_ ; -- Begin function _Z39paged_attention_ll4mi_QKV_mfma16_kernelIDF16_DF16_LN4vllm18Fp8KVCacheDataTypeE0EhLi16ELi128ELi256ELb1ELi11EEvPKT_PKT0_S7_ifPKiS9_S9_iPKfiiiPfSC_PS2_PT2_iSB_SB_
	.globl	_Z39paged_attention_ll4mi_QKV_mfma16_kernelIDF16_DF16_LN4vllm18Fp8KVCacheDataTypeE0EhLi16ELi128ELi256ELb1ELi11EEvPKT_PKT0_S7_ifPKiS9_S9_iPKfiiiPfSC_PS2_PT2_iSB_SB_
	.p2align	8
	.type	_Z39paged_attention_ll4mi_QKV_mfma16_kernelIDF16_DF16_LN4vllm18Fp8KVCacheDataTypeE0EhLi16ELi128ELi256ELb1ELi11EEvPKT_PKT0_S7_ifPKiS9_S9_iPKfiiiPfSC_PS2_PT2_iSB_SB_,@function
_Z39paged_attention_ll4mi_QKV_mfma16_kernelIDF16_DF16_LN4vllm18Fp8KVCacheDataTypeE0EhLi16ELi128ELi256ELb1ELi11EEvPKT_PKT0_S7_ifPKiS9_S9_iPKfiiiPfSC_PS2_PT2_iSB_SB_: ; @_Z39paged_attention_ll4mi_QKV_mfma16_kernelIDF16_DF16_LN4vllm18Fp8KVCacheDataTypeE0EhLi16ELi128ELi256ELb1ELi11EEvPKT_PKT0_S7_ifPKiS9_S9_iPKfiiiPfSC_PS2_PT2_iSB_SB_
; %bb.0:
	s_load_dwordx2 s[8:9], s[0:1], 0x30
	s_mov_b32 s26, s3
	s_mov_b64 s[6:7], 0
	s_waitcnt lgkmcnt(0)
	s_cmp_lg_u64 s[8:9], 0
	s_cselect_b64 s[10:11], -1, 0
	s_and_b64 vcc, exec, s[10:11]
	s_cbranch_vccz .LBB202_7
; %bb.1:
	s_add_i32 s12, s2, 1
	s_mov_b32 s13, 0
	s_lshl_b64 s[14:15], s[12:13], 2
	s_add_u32 s14, s8, s14
	s_mov_b32 s3, s13
	s_addc_u32 s15, s9, s15
	s_lshl_b64 s[12:13], s[2:3], 2
	s_add_u32 s12, s8, s12
	s_addc_u32 s13, s9, s13
	s_load_dword s5, s[14:15], 0x0
	s_load_dword s16, s[12:13], 0x0
	s_waitcnt lgkmcnt(0)
	s_sub_i32 s5, s5, s16
	s_cmp_eq_u32 s5, 1
	s_cselect_b64 s[12:13], -1, 0
	s_andn2_b64 vcc, exec, s[6:7]
	s_cbranch_vccnz .LBB202_3
.LBB202_2:
	s_mov_b32 s3, 0
	s_mov_b64 s[12:13], -1
.LBB202_3:
	s_andn2_b64 vcc, exec, s[12:13]
	s_cbranch_vccnz .LBB202_20
; %bb.4:
	s_load_dwordx2 s[6:7], s[0:1], 0x28
	s_lshl_b64 s[12:13], s[2:3], 2
	s_waitcnt lgkmcnt(0)
	s_add_u32 s6, s6, s12
	s_addc_u32 s7, s7, s13
	s_load_dword s27, s[6:7], 0x0
	s_lshl_b32 s18, s26, 8
	s_waitcnt lgkmcnt(0)
	s_cmp_ge_i32 s18, s27
	s_cbranch_scc1 .LBB202_20
; %bb.5:
	s_load_dwordx2 s[6:7], s[0:1], 0x20
	s_load_dword s5, s[0:1], 0x38
	s_add_i32 s14, s27, 15
	s_ashr_i32 s15, s14, 31
	v_and_b32_e32 v1, 0xcf, v0
	s_lshr_b32 s15, s15, 28
	v_add_u32_e32 v1, s18, v1
	s_add_i32 s14, s14, s15
	v_ashrrev_i32_e32 v2, 31, v1
	s_ashr_i32 s19, s14, 4
	v_lshrrev_b32_e32 v4, 28, v2
	s_add_i32 s19, s19, -1
	s_waitcnt lgkmcnt(0)
	s_mul_i32 s14, s2, s5
	s_mov_b32 s15, 0
	v_add_u32_e32 v2, v1, v4
	s_lshl_b64 s[14:15], s[14:15], 2
	v_ashrrev_i32_e32 v2, 4, v2
	v_mov_b32_e32 v5, s19
	v_cmp_gt_i32_e32 vcc, s27, v1
	s_add_u32 s6, s6, s14
	s_addc_u32 s7, s7, s15
	v_cndmask_b32_e32 v2, v5, v2, vcc
	v_ashrrev_i32_e32 v3, 31, v2
	v_lshl_add_u64 v[6:7], v[2:3], 2, s[6:7]
	v_or_b32_e32 v2, 16, v1
	v_add_u32_e32 v3, v2, v4
	v_ashrrev_i32_e32 v3, 4, v3
	v_cmp_gt_i32_e32 vcc, s27, v2
	s_load_dwordx2 s[14:15], s[0:1], 0x8
	s_nop 0
	v_cndmask_b32_e32 v2, v5, v3, vcc
	v_ashrrev_i32_e32 v3, 31, v2
	v_lshl_add_u64 v[8:9], v[2:3], 2, s[6:7]
	v_or_b32_e32 v2, 32, v1
	v_add_u32_e32 v3, v2, v4
	v_ashrrev_i32_e32 v3, 4, v3
	v_cmp_gt_i32_e32 vcc, s27, v2
	v_or_b32_e32 v1, 48, v1
	s_nop 0
	v_cndmask_b32_e32 v2, v5, v3, vcc
	v_ashrrev_i32_e32 v3, 31, v2
	v_lshl_add_u64 v[10:11], v[2:3], 2, s[6:7]
	v_add_u32_e32 v2, v1, v4
	v_ashrrev_i32_e32 v2, 4, v2
	v_cmp_gt_i32_e32 vcc, s27, v1
	s_nop 1
	v_cndmask_b32_e32 v2, v5, v2, vcc
	v_ashrrev_i32_e32 v3, 31, v2
	v_lshl_add_u64 v[12:13], v[2:3], 2, s[6:7]
	global_load_dword v5, v[6:7], off
	global_load_dword v4, v[8:9], off
	;; [unrolled: 1-line block ×4, first 2 shown]
	s_andn2_b64 vcc, exec, s[10:11]
	s_cbranch_vccnz .LBB202_8
; %bb.6:
	s_add_u32 s8, s8, s12
	s_addc_u32 s9, s9, s13
	s_load_dword s5, s[8:9], 0x0
	s_branch .LBB202_9
.LBB202_7:
	s_mov_b64 s[12:13], 0
	s_branch .LBB202_2
.LBB202_8:
	s_mov_b32 s5, s2
.LBB202_9:
	s_load_dwordx2 s[12:13], s[0:1], 0x10
	s_load_dwordx4 s[8:11], s[0:1], 0x48
	v_lshrrev_b32_e32 v85, 6, v0
	v_bfe_u32 v88, v0, 4, 2
	v_and_b32_e32 v84, 15, v0
	v_lshl_or_b32 v1, v85, 2, v88
	v_lshlrev_b32_e32 v6, 3, v84
	s_mul_i32 s40, s4, 11
	v_cmp_gt_u32_e32 vcc, 11, v1
	v_lshlrev_b32_e32 v82, 1, v6
	s_and_saveexec_b64 s[16:17], vcc
	s_cbranch_execz .LBB202_11
; %bb.10:
	s_load_dwordx2 s[20:21], s[0:1], 0x0
	s_waitcnt lgkmcnt(0)
	s_ashr_i32 s11, s8, 31
	s_mul_hi_u32 s22, s5, s8
	s_mul_i32 s11, s5, s11
	s_add_i32 s23, s22, s11
	s_mul_i32 s22, s5, s8
	s_lshl_b64 s[22:23], s[22:23], 1
	s_add_u32 s20, s20, s22
	v_add_lshl_u32 v6, v1, s40, 7
	s_addc_u32 s21, s21, s23
	v_ashrrev_i32_e32 v7, 31, v6
	v_lshl_add_u64 v[6:7], v[6:7], 1, s[20:21]
	v_mov_b32_e32 v83, 0
	v_lshl_add_u64 v[6:7], v[6:7], 0, v[82:83]
	global_load_dwordx4 v[6:9], v[6:7], off
	v_and_b32_e32 v10, 3, v0
	v_lshlrev_b32_e32 v11, 9, v84
	v_lshlrev_b32_e32 v1, 5, v1
	;; [unrolled: 1-line block ×3, first 2 shown]
	v_and_b32_e32 v11, 0x1800, v11
	v_or3_b32 v1, v11, v10, v1
	s_waitcnt vmcnt(0)
	ds_write_b128 v1, v[6:9]
.LBB202_11:
	s_or_b64 exec, exec, s[16:17]
	s_waitcnt lgkmcnt(0)
	s_mul_i32 s4, s4, s10
	s_mov_b32 s5, 0
	s_lshl_b64 s[4:5], s[4:5], 1
	s_add_u32 s10, s14, s4
	v_lshlrev_b32_e32 v1, 4, v0
	s_addc_u32 s11, s15, s5
	v_and_b32_e32 v86, 0xf0, v1
	v_mov_b32_e32 v87, 0
	v_lshl_add_u64 v[6:7], s[10:11], 0, v[86:87]
	s_waitcnt vmcnt(3)
	v_mad_i64_i32 v[8:9], s[10:11], v5, s9, 0
	s_waitcnt vmcnt(2)
	v_mad_i64_i32 v[4:5], s[10:11], v4, s9, 0
	v_lshl_add_u64 v[8:9], v[8:9], 1, v[6:7]
	v_and_b32_e32 v86, 0x300, v1
	v_lshl_add_u64 v[4:5], v[4:5], 1, v[6:7]
	v_lshl_add_u64 v[8:9], v[8:9], 0, v[86:87]
	;; [unrolled: 1-line block ×3, first 2 shown]
	s_barrier
	global_load_dwordx4 v[78:81], v[8:9], off
	global_load_dwordx4 v[74:77], v[8:9], off offset:1024
	global_load_dwordx4 v[70:73], v[8:9], off offset:2048
	;; [unrolled: 1-line block ×3, first 2 shown]
	global_load_dwordx4 v[66:69], v[4:5], off
	global_load_dwordx4 v[62:65], v[4:5], off offset:1024
	global_load_dwordx4 v[58:61], v[4:5], off offset:2048
	;; [unrolled: 1-line block ×3, first 2 shown]
	s_waitcnt vmcnt(9)
	v_mad_i64_i32 v[4:5], s[10:11], v3, s9, 0
	s_waitcnt vmcnt(8)
	v_mad_i64_i32 v[2:3], s[10:11], v2, s9, 0
	v_lshl_add_u64 v[4:5], v[4:5], 1, v[6:7]
	v_lshl_add_u64 v[2:3], v[2:3], 1, v[6:7]
	;; [unrolled: 1-line block ×4, first 2 shown]
	global_load_dwordx4 v[30:33], v[4:5], off
	global_load_dwordx4 v[26:29], v[4:5], off offset:1024
	global_load_dwordx4 v[22:25], v[4:5], off offset:2048
	;; [unrolled: 1-line block ×3, first 2 shown]
	global_load_dwordx4 v[6:9], v[34:35], off
	s_nop 0
	global_load_dwordx4 v[2:5], v[34:35], off offset:1024
	global_load_dwordx4 v[38:41], v[34:35], off offset:2048
	s_nop 0
	global_load_dwordx4 v[34:37], v[34:35], off offset:3072
	v_add_u32_e32 v42, -11, v84
	v_cmp_gt_u32_e32 vcc, 11, v84
	v_and_b32_e32 v83, 63, v0
	v_mov_b32_e32 v89, 0
	v_cndmask_b32_e32 v42, v42, v84, vcc
	v_lshlrev_b32_e32 v42, 5, v42
	v_lshl_add_u32 v42, v88, 9, v42
	ds_read_b128 v[54:57], v42
	ds_read_b128 v[50:53], v42 offset:2048
	ds_read_b128 v[46:49], v42 offset:4096
	;; [unrolled: 1-line block ×3, first 2 shown]
	s_and_saveexec_b64 s[10:11], vcc
	s_cbranch_execz .LBB202_13
; %bb.12:
	s_load_dwordx2 s[14:15], s[0:1], 0x40
	v_add_u32_e32 v90, s40, v84
	v_ashrrev_i32_e32 v91, 31, v90
	s_waitcnt lgkmcnt(0)
	v_lshl_add_u64 v[90:91], v[90:91], 2, s[14:15]
	global_load_dword v89, v[90:91], off
.LBB202_13:
	s_or_b64 exec, exec, s[10:11]
	s_waitcnt vmcnt(15) lgkmcnt(3)
	v_mfma_f32_16x16x16_f16 v[90:93], v[78:79], v[54:55], 0
	s_add_u32 s4, s12, s4
	s_addc_u32 s5, s13, s5
	s_mov_b32 s33, 0xff7fffff
	v_mfma_f32_16x16x16_f16 v[78:81], v[80:81], v[56:57], v[90:93]
	s_waitcnt vmcnt(14) lgkmcnt(2)
	v_mfma_f32_16x16x16_f16 v[78:81], v[74:75], v[50:51], v[78:81]
	s_nop 0
	v_lshl_or_b32 v90, v85, 4, v84
	v_lshlrev_b32_e32 v86, 5, v90
	v_mfma_f32_16x16x16_f16 v[74:77], v[76:77], v[52:53], v[78:81]
	s_waitcnt vmcnt(13) lgkmcnt(1)
	v_mfma_f32_16x16x16_f16 v[74:77], v[70:71], v[46:47], v[74:77]
	v_mfma_f32_16x16x16_f16 v[70:73], v[72:73], v[48:49], v[74:77]
	s_waitcnt vmcnt(11)
	v_mfma_f32_16x16x16_f16 v[74:77], v[66:67], v[54:55], 0
	v_mfma_f32_16x16x16_f16 v[66:69], v[68:69], v[56:57], v[74:77]
	s_nop 5
	v_and_or_b32 v74, v0, 48, s18
	s_waitcnt lgkmcnt(0)
	v_mfma_f32_16x16x16_f16 v[70:73], v[10:11], v[42:43], v[70:73]
	v_ashrrev_i32_e32 v10, 4, v74
	v_mov_b32_e32 v75, s19
	v_cmp_gt_i32_e32 vcc, s27, v74
	s_waitcnt vmcnt(10)
	v_mfma_f32_16x16x16_f16 v[66:69], v[62:63], v[50:51], v[66:69]
	v_cndmask_b32_e32 v10, v75, v10, vcc
	v_ashrrev_i32_e32 v11, 31, v10
	v_lshl_add_u64 v[10:11], v[10:11], 2, s[6:7]
	global_load_dword v76, v[10:11], off
	v_mfma_f32_16x16x16_f16 v[62:65], v[64:65], v[52:53], v[66:69]
	v_or_b32_e32 v10, 64, v74
	v_ashrrev_i32_e32 v11, 4, v10
	v_cmp_gt_i32_e32 vcc, s27, v10
	s_waitcnt vmcnt(10)
	v_mfma_f32_16x16x16_f16 v[62:65], v[58:59], v[46:47], v[62:65]
	v_cndmask_b32_e32 v10, v75, v11, vcc
	v_ashrrev_i32_e32 v11, 31, v10
	v_lshl_add_u64 v[10:11], v[10:11], 2, s[6:7]
	global_load_dword v77, v[10:11], off
	v_or_b32_e32 v10, 0x80, v74
	v_mfma_f32_16x16x16_f16 v[58:61], v[60:61], v[48:49], v[62:65]
	v_ashrrev_i32_e32 v11, 4, v10
	v_cmp_gt_i32_e32 vcc, s27, v10
	s_waitcnt vmcnt(9)
	v_mfma_f32_16x16x16_f16 v[62:65], v[30:31], v[54:55], 0
	v_cndmask_b32_e32 v10, v75, v11, vcc
	v_ashrrev_i32_e32 v11, 31, v10
	v_lshl_add_u64 v[10:11], v[10:11], 2, s[6:7]
	v_mfma_f32_16x16x16_f16 v[30:33], v[32:33], v[56:57], v[62:65]
	s_nop 2
	global_load_dword v64, v[10:11], off
	v_or_b32_e32 v10, 0xc0, v74
	v_ashrrev_i32_e32 v11, 4, v10
	v_cmp_gt_i32_e32 vcc, s27, v10
	s_waitcnt vmcnt(9)
	v_mfma_f32_16x16x16_f16 v[30:33], v[26:27], v[50:51], v[30:33]
	v_lshl_add_u64 v[62:63], s[4:5], 0, v[86:87]
	v_cndmask_b32_e32 v10, v75, v11, vcc
	v_ashrrev_i32_e32 v11, 31, v10
	v_lshl_add_u64 v[10:11], v[10:11], 2, s[6:7]
	global_load_dword v65, v[10:11], off
	v_mfma_f32_16x16x16_f16 v[26:29], v[28:29], v[52:53], v[30:33]
	s_load_dword s6, s[0:1], 0x1c
	v_or_b32_e32 v86, 0x800, v86
	s_waitcnt vmcnt(3)
	v_mad_i64_i32 v[10:11], s[10:11], v76, s9, 0
	v_mfma_f32_16x16x16_f16 v[26:29], v[22:23], v[46:47], v[26:29]
	v_lshlrev_b64 v[74:75], 1, v[10:11]
	v_mfma_f32_16x16x16_f16 v[66:69], v[12:13], v[44:45], v[70:73]
	v_mfma_f32_16x16x16_f16 v[10:13], v[24:25], v[48:49], v[26:29]
	;; [unrolled: 1-line block ×3, first 2 shown]
	v_lshl_add_u64 v[14:15], v[62:63], 0, v[74:75]
	s_waitcnt lgkmcnt(0)
	s_nop 2
	v_pk_mul_f32 v[78:79], s[6:7], v[68:69] op_sel_hi:[0,1]
	v_mfma_f32_16x16x16_f16 v[10:13], v[18:19], v[42:43], v[10:13]
	v_mfma_f32_16x16x16_f16 v[70:73], v[16:17], v[44:45], v[30:33]
	s_nop 2
	global_load_dwordx4 v[30:33], v[14:15], off
	global_load_dwordx4 v[26:29], v[14:15], off offset:16
	s_waitcnt vmcnt(4)
	v_mad_i64_i32 v[14:15], s[10:11], v77, s9, 0
	v_lshlrev_b64 v[58:59], 1, v[14:15]
	v_mfma_f32_16x16x16_f16 v[92:95], v[20:21], v[44:45], v[10:13]
	v_pk_mul_f32 v[76:77], s[6:7], v[70:71] op_sel_hi:[0,1]
	s_nop 1
	v_lshl_add_u64 v[10:11], v[62:63], 0, v[58:59]
	global_load_dwordx4 v[22:25], v[10:11], off
	global_load_dwordx4 v[18:21], v[10:11], off offset:16
	v_mfma_f32_16x16x16_f16 v[10:13], v[6:7], v[54:55], 0
	s_waitcnt vmcnt(5)
	v_mad_i64_i32 v[6:7], s[10:11], v64, s9, 0
	v_lshlrev_b64 v[54:55], 1, v[6:7]
	v_mfma_f32_16x16x16_f16 v[6:9], v[8:9], v[56:57], v[10:13]
	v_pk_mul_f32 v[70:71], s[6:7], v[94:95] op_sel_hi:[0,1]
	v_mfma_f32_16x16x16_f16 v[6:9], v[2:3], v[50:51], v[6:9]
	s_waitcnt vmcnt(4)
	v_mad_i64_i32 v[2:3], s[8:9], v65, s9, 0
	v_lshlrev_b64 v[60:61], 1, v[2:3]
	v_mfma_f32_16x16x16_f16 v[50:53], v[4:5], v[52:53], v[6:9]
	v_lshl_add_u64 v[10:11], v[62:63], 0, v[54:55]
	v_lshl_add_u64 v[2:3], v[62:63], 0, v[60:61]
	v_pk_mul_f32 v[62:63], s[6:7], v[66:67] op_sel_hi:[0,1]
	v_mfma_f32_16x16x16_f16 v[50:53], v[38:39], v[46:47], v[50:53]
	v_lshl_add_u64 v[64:65], s[4:5], 0, v[86:87]
	v_lshl_add_u64 v[38:39], v[64:65], 0, v[74:75]
	v_pk_mul_f32 v[74:75], s[6:7], v[72:73] op_sel_hi:[0,1]
	v_mfma_f32_16x16x16_f16 v[46:49], v[40:41], v[48:49], v[50:53]
	v_pk_mul_f32 v[72:73], s[6:7], v[92:93] op_sel_hi:[0,1]
	global_load_dwordx4 v[14:17], v[10:11], off
	s_nop 0
	global_load_dwordx4 v[10:13], v[10:11], off offset:16
	s_nop 0
	global_load_dwordx4 v[6:9], v[2:3], off
	s_nop 0
	global_load_dwordx4 v[2:5], v[2:3], off offset:16
	v_mfma_f32_16x16x16_f16 v[40:43], v[34:35], v[42:43], v[46:49]
	v_mfma_f32_16x16x16_f16 v[34:37], v[36:37], v[44:45], v[40:43]
	s_nop 6
	v_pk_mul_f32 v[68:69], s[6:7], v[34:35] op_sel_hi:[0,1]
	v_and_b32_e32 v34, 0xc0, v0
	v_add_u32_e32 v34, s18, v34
	v_lshl_or_b32 v34, v88, 2, v34
	v_or_b32_e32 v35, 1, v34
	v_pk_mul_f32 v[66:67], s[6:7], v[36:37] op_sel_hi:[0,1]
	v_subrev_u32_e32 v36, s27, v35
	v_add_u32_e32 v40, 1, v36
	v_add_u32_e32 v41, 2, v36
	v_cvt_f32_i32_e32 v37, v36
	v_cvt_f32_i32_e32 v40, v40
	;; [unrolled: 1-line block ×3, first 2 shown]
	v_add_u32_e32 v42, 3, v36
	v_fma_f32 v62, v89, v37, v62
	v_fmac_f32_e32 v63, v89, v40
	v_fma_f32 v78, v89, v41, v78
	v_add_u32_e32 v37, 16, v36
	v_add_u32_e32 v40, 17, v36
	;; [unrolled: 1-line block ×3, first 2 shown]
	v_cvt_f32_i32_e32 v42, v42
	v_cvt_f32_i32_e32 v37, v37
	;; [unrolled: 1-line block ×4, first 2 shown]
	v_fmac_f32_e32 v79, v89, v42
	v_add_u32_e32 v42, 19, v36
	v_fma_f32 v76, v89, v37, v76
	v_fmac_f32_e32 v77, v89, v40
	v_fma_f32 v74, v89, v41, v74
	v_add_u32_e32 v37, 32, v36
	v_add_u32_e32 v40, 33, v36
	;; [unrolled: 1-line block ×3, first 2 shown]
	v_cvt_f32_i32_e32 v42, v42
	v_cvt_f32_i32_e32 v37, v37
	;; [unrolled: 1-line block ×4, first 2 shown]
	v_fmac_f32_e32 v75, v89, v42
	v_add_u32_e32 v42, 35, v36
	v_fma_f32 v72, v89, v37, v72
	v_fmac_f32_e32 v73, v89, v40
	v_fma_f32 v70, v89, v41, v70
	v_add_u32_e32 v37, 48, v36
	v_add_u32_e32 v40, 49, v36
	;; [unrolled: 1-line block ×4, first 2 shown]
	v_cvt_f32_i32_e32 v36, v36
	v_cvt_f32_i32_e32 v37, v37
	;; [unrolled: 1-line block ×3, first 2 shown]
	v_cmp_gt_i32_e64 s[28:29], s27, v34
	v_fmac_f32_e32 v67, v89, v36
	v_mov_b32_e32 v36, 0xff7fffff
	v_cmp_gt_i32_e64 s[30:31], s27, v35
	v_fma_f32 v68, v89, v37, v68
	v_cndmask_b32_e64 v37, v36, v62, s[28:29]
	v_cndmask_b32_e64 v35, v36, v63, s[30:31]
	v_fmac_f32_e32 v69, v89, v40
	v_max3_f32 v35, v37, s33, v35
	v_or_b32_e32 v37, 2, v34
	v_or_b32_e32 v40, 3, v34
	v_cmp_gt_i32_e64 s[34:35], s27, v37
	v_cmp_gt_i32_e64 s[36:37], s27, v40
	v_cvt_f32_i32_e32 v42, v42
	v_cndmask_b32_e64 v37, v36, v78, s[34:35]
	v_cndmask_b32_e64 v40, v36, v79, s[36:37]
	v_max3_f32 v35, v35, v37, v40
	v_or_b32_e32 v37, 16, v34
	v_or_b32_e32 v40, 17, v34
	v_cmp_gt_i32_e64 s[22:23], s27, v37
	v_cmp_gt_i32_e64 s[24:25], s27, v40
	v_fmac_f32_e32 v71, v89, v42
	v_cndmask_b32_e64 v37, v36, v76, s[22:23]
	v_cndmask_b32_e64 v40, v36, v77, s[24:25]
	v_max3_f32 v35, v35, v37, v40
	v_or_b32_e32 v37, 18, v34
	v_or_b32_e32 v40, 19, v34
	v_cmp_gt_i32_e64 s[18:19], s27, v37
	v_cmp_gt_i32_e64 s[20:21], s27, v40
	v_cvt_f32_i32_e32 v41, v41
	v_cndmask_b32_e64 v37, v36, v74, s[18:19]
	v_cndmask_b32_e64 v40, v36, v75, s[20:21]
	v_max3_f32 v35, v35, v37, v40
	v_or_b32_e32 v37, 32, v34
	v_or_b32_e32 v40, 33, v34
	v_cmp_gt_i32_e64 s[14:15], s27, v37
	v_cmp_gt_i32_e64 s[16:17], s27, v40
	v_fma_f32 v66, v89, v41, v66
	v_cndmask_b32_e64 v37, v36, v72, s[14:15]
	v_cndmask_b32_e64 v40, v36, v73, s[16:17]
	v_max3_f32 v35, v35, v37, v40
	v_or_b32_e32 v37, 34, v34
	v_or_b32_e32 v40, 35, v34
	v_cmp_gt_i32_e64 s[10:11], s27, v37
	v_cmp_gt_i32_e64 s[12:13], s27, v40
	s_nop 0
	v_cndmask_b32_e64 v37, v36, v70, s[10:11]
	v_cndmask_b32_e64 v40, v36, v71, s[12:13]
	v_max3_f32 v35, v35, v37, v40
	v_or_b32_e32 v37, 48, v34
	v_or_b32_e32 v40, 49, v34
	v_cmp_gt_i32_e64 s[6:7], s27, v37
	v_cmp_gt_i32_e64 s[8:9], s27, v40
	s_nop 0
	v_cndmask_b32_e64 v37, v36, v68, s[6:7]
	v_cndmask_b32_e64 v40, v36, v69, s[8:9]
	v_max3_f32 v35, v35, v37, v40
	v_or_b32_e32 v37, 50, v34
	v_or_b32_e32 v34, 51, v34
	v_cmp_gt_i32_e32 vcc, s27, v37
	v_cmp_gt_i32_e64 s[4:5], s27, v34
	global_load_dwordx4 v[46:49], v[38:39], off
	s_nop 0
	global_load_dwordx4 v[38:41], v[38:39], off offset:16
	v_cndmask_b32_e32 v37, v36, v66, vcc
	v_cndmask_b32_e64 v34, v36, v67, s[4:5]
	v_max3_f32 v50, v35, v37, v34
	v_mbcnt_lo_u32_b32 v34, -1, 0
	v_mbcnt_hi_u32_b32 v51, -1, v34
	v_and_b32_e32 v34, 64, v51
	v_add_u32_e32 v52, 64, v34
	v_xor_b32_e32 v34, 32, v51
	v_cmp_lt_i32_e64 s[38:39], v34, v52
	s_nop 1
	v_cndmask_b32_e64 v34, v51, v34, s[38:39]
	v_lshlrev_b32_e32 v87, 2, v34
	ds_bpermute_b32 v53, v87, v50
	v_lshl_add_u64 v[34:35], v[64:65], 0, v[58:59]
	v_lshl_add_u64 v[58:59], v[64:65], 0, v[60:61]
	global_load_dwordx4 v[42:45], v[34:35], off
	s_nop 0
	global_load_dwordx4 v[34:37], v[34:35], off offset:16
	s_waitcnt lgkmcnt(0)
	v_max_f32_e32 v53, v53, v53
	v_max_f32_e32 v80, v50, v53
	v_xor_b32_e32 v50, 16, v51
	v_cmp_lt_i32_e64 s[38:39], v50, v52
	s_nop 1
	v_cndmask_b32_e64 v50, v51, v50, s[38:39]
	v_lshlrev_b32_e32 v89, 2, v50
	ds_bpermute_b32 v81, v89, v80
	v_lshl_add_u64 v[50:51], v[64:65], 0, v[54:55]
	global_load_dwordx4 v[54:57], v[50:51], off
	s_nop 0
	global_load_dwordx4 v[50:53], v[50:51], off offset:16
	s_waitcnt lgkmcnt(0)
	v_max_f32_e32 v60, v81, v81
	v_max_f32_e32 v86, v80, v60
	v_sub_f32_e32 v60, v62, v86
	v_mul_f32_e32 v60, 0x3fb8aa3b, v60
	v_exp_f32_e32 v80, v60
	v_sub_f32_e32 v60, v63, v86
	v_mul_f32_e32 v60, 0x3fb8aa3b, v60
	v_exp_f32_e32 v81, v60
	global_load_dwordx4 v[62:65], v[58:59], off
	s_nop 0
	global_load_dwordx4 v[58:61], v[58:59], off offset:16
	v_sub_f32_e32 v78, v78, v86
	v_mul_f32_e32 v78, 0x3fb8aa3b, v78
	v_sub_f32_e32 v79, v79, v86
	v_exp_f32_e32 v78, v78
	v_mul_f32_e32 v79, 0x3fb8aa3b, v79
	v_sub_f32_e32 v76, v76, v86
	v_exp_f32_e32 v79, v79
	v_mul_f32_e32 v76, 0x3fb8aa3b, v76
	v_sub_f32_e32 v77, v77, v86
	v_cndmask_b32_e64 v80, 0, v80, s[28:29]
	v_exp_f32_e32 v76, v76
	v_mul_f32_e32 v77, 0x3fb8aa3b, v77
	v_sub_f32_e32 v74, v74, v86
	v_add_f32_e32 v91, 0, v80
	v_cndmask_b32_e64 v81, 0, v81, s[30:31]
	v_exp_f32_e32 v77, v77
	v_mul_f32_e32 v74, 0x3fb8aa3b, v74
	v_sub_f32_e32 v75, v75, v86
	v_add_f32_e32 v91, v91, v81
	;; [unrolled: 5-line block ×10, first 2 shown]
	v_cndmask_b32_e64 v70, 0, v70, s[10:11]
	v_exp_f32_e32 v66, v66
	v_mul_f32_e32 v67, 0x3fb8aa3b, v67
	v_add_f32_e32 v91, v91, v70
	v_cndmask_b32_e64 v71, 0, v71, s[12:13]
	v_exp_f32_e32 v67, v67
	v_add_f32_e32 v91, v91, v71
	v_cndmask_b32_e64 v68, 0, v68, s[6:7]
	v_add_f32_e32 v91, v91, v68
	v_cndmask_b32_e64 v69, 0, v69, s[8:9]
	v_add_f32_e32 v91, v91, v69
	v_cndmask_b32_e32 v66, 0, v66, vcc
	v_add_f32_e32 v91, v91, v66
	v_cndmask_b32_e64 v67, 0, v67, s[4:5]
	v_add_f32_e32 v91, v91, v67
	ds_bpermute_b32 v87, v87, v91
	s_load_dword s7, s[0:1], 0x98
	v_cmp_gt_u32_e32 vcc, 16, v83
	s_waitcnt lgkmcnt(0)
	s_barrier
	v_add_f32_e32 v87, v91, v87
	ds_bpermute_b32 v89, v89, v87
	s_waitcnt lgkmcnt(0)
	s_and_saveexec_b64 s[4:5], vcc
	s_cbranch_execz .LBB202_15
; %bb.14:
	v_add_f32_e32 v83, v87, v89
	v_lshlrev_b32_e32 v87, 2, v90
	ds_write2st64_b32 v87, v86, v83 offset1:1
.LBB202_15:
	s_or_b64 exec, exec, s[4:5]
	v_lshlrev_b32_e32 v89, 2, v84
	s_load_dword s6, s[0:1], 0x94
	s_waitcnt lgkmcnt(0)
	s_barrier
	ds_read2_b32 v[86:87], v89 offset1:16
	ds_read2_b32 v[90:91], v89 offset0:32 offset1:48
	ds_read2_b32 v[92:93], v89 offset0:64 offset1:80
	;; [unrolled: 1-line block ×3, first 2 shown]
	s_mul_i32 s7, s7, 11
	s_waitcnt lgkmcnt(3)
	v_max3_f32 v83, v86, s33, v87
	s_waitcnt lgkmcnt(2)
	v_max3_f32 v83, v83, v90, v91
	v_sub_f32_e32 v86, v86, v83
	v_mul_f32_e32 v86, 0x3fb8aa3b, v86
	v_exp_f32_e32 v1, v86
	v_sub_f32_e32 v86, v87, v83
	v_mul_f32_e32 v86, 0x3fb8aa3b, v86
	v_exp_f32_e32 v87, v86
	;; [unrolled: 3-line block ×4, first 2 shown]
	s_waitcnt lgkmcnt(1)
	v_fma_f32 v86, v1, v92, 0
	v_fmac_f32_e32 v86, v87, v93
	s_waitcnt lgkmcnt(0)
	v_fmac_f32_e32 v86, v90, v94
	v_fmac_f32_e32 v86, v89, v95
	v_add_f32_e32 v91, 0x358637bd, v86
	v_div_scale_f32 v92, s[4:5], v91, v91, 1.0
	v_rcp_f32_e32 v93, v92
	s_barrier
	v_fma_f32 v94, -v92, v93, 1.0
	v_fmac_f32_e32 v93, v94, v93
	v_div_scale_f32 v94, vcc, 1.0, v91, 1.0
	v_mul_f32_e32 v95, v94, v93
	v_fma_f32 v88, -v92, v95, v94
	v_fmac_f32_e32 v95, v88, v93
	v_fma_f32 v88, -v92, v95, v94
	v_div_fmas_f32 v88, v88, v93, v95
	v_cmp_eq_u32_e32 vcc, 1, v85
	v_div_fixup_f32 v88, v88, v91, 1.0
	s_nop 0
	v_cndmask_b32_e32 v1, v1, v87, vcc
	v_cmp_eq_u32_e32 vcc, 2, v85
	v_bfe_u32 v87, v0, 4, 2
	s_nop 0
	v_cndmask_b32_e32 v1, v1, v90, vcc
	v_cmp_eq_u32_e32 vcc, 3, v85
	s_nop 1
	v_cndmask_b32_e32 v1, v1, v89, vcc
	v_mul_f32_e32 v90, v1, v88
	v_pk_mul_f32 v[78:79], v[90:91], v[78:79] op_sel_hi:[0,1]
	v_cvt_f16_f32_e32 v78, v78
	v_cvt_f16_f32_e32 v79, v79
	v_pk_mul_f32 v[80:81], v[90:91], v[80:81] op_sel_hi:[0,1]
	v_cvt_f16_f32_e32 v1, v80
	v_cvt_f16_f32_e32 v80, v81
	v_pk_mul_f32 v[74:75], v[90:91], v[74:75] op_sel_hi:[0,1]
	v_pk_mul_f32 v[76:77], v[90:91], v[76:77] op_sel_hi:[0,1]
	v_pack_b32_f16 v81, v78, v79
	v_cvt_f16_f32_e32 v76, v76
	v_cvt_f16_f32_e32 v77, v77
	;; [unrolled: 1-line block ×4, first 2 shown]
	v_pack_b32_f16 v80, v1, v80
	v_lshlrev_b32_e32 v1, 3, v87
	v_lshlrev_b32_e32 v78, 5, v84
	;; [unrolled: 1-line block ×3, first 2 shown]
	v_pk_mul_f32 v[70:71], v[90:91], v[70:71] op_sel_hi:[0,1]
	v_pk_mul_f32 v[72:73], v[90:91], v[72:73] op_sel_hi:[0,1]
	v_pk_mul_f32 v[66:67], v[90:91], v[66:67] op_sel_hi:[0,1]
	v_pk_mul_f32 v[68:69], v[90:91], v[68:69] op_sel_hi:[0,1]
	v_or3_b32 v74, v74, v78, v1
	v_pack_b32_f16 v76, v76, v77
	v_pack_b32_f16 v77, v79, v75
	v_cvt_f16_f32_e32 v1, v72
	v_cvt_f16_f32_e32 v72, v73
	;; [unrolled: 1-line block ×8, first 2 shown]
	v_pack_b32_f16 v66, v1, v72
	v_pack_b32_f16 v67, v70, v71
	v_pack_b32_f16 v68, v68, v69
	v_pack_b32_f16 v69, v73, v75
	v_cmp_gt_u32_e32 vcc, 11, v0
	ds_write2st64_b64 v74, v[80:81], v[76:77] offset1:1
	ds_write2st64_b64 v74, v[66:67], v[68:69] offset0:2 offset1:3
	s_and_saveexec_b64 s[4:5], vcc
	s_cbranch_execz .LBB202_17
; %bb.16:
	s_mov_b32 s41, 0
	v_mov_b32_e32 v85, 0
	v_lshl_add_u64 v[66:67], s[40:41], 0, v[84:85]
	v_mov_b32_e32 v1, s7
	v_mad_u64_u32 v[66:67], s[12:13], s2, v1, v[66:67]
	s_mul_i32 s3, s3, s7
	v_mov_b32_e32 v68, s26
	v_mov_b32_e32 v69, v85
	s_load_dwordx4 s[8:11], s[0:1], 0x58
	v_add_u32_e32 v1, s3, v67
	v_mad_u64_u32 v[66:67], s[12:13], v66, s6, v[68:69]
	v_mov_b32_e32 v68, v67
	v_mad_u64_u32 v[68:69], s[12:13], v1, s6, v[68:69]
	v_mov_b32_e32 v67, v68
	v_lshlrev_b64 v[66:67], 2, v[66:67]
	s_waitcnt lgkmcnt(0)
	v_lshl_add_u64 v[68:69], s[10:11], 0, v[66:67]
	v_lshl_add_u64 v[66:67], s[8:9], 0, v[66:67]
	global_store_dword v[68:69], v83, off
	global_store_dword v[66:67], v86, off
.LBB202_17:
	s_or_b64 exec, exec, s[4:5]
	v_lshl_or_b32 v1, v87, 9, v78
	s_waitcnt lgkmcnt(0)
	s_barrier
	ds_read_b128 v[70:73], v1
	ds_read_b128 v[66:69], v1 offset:16
	s_waitcnt vmcnt(15) lgkmcnt(1)
	v_mfma_f32_16x16x16_f16 v[76:79], v[30:31], v[70:71], 0
	s_mov_b32 s3, 0
	v_cmp_gt_u32_e32 vcc, 64, v0
	v_mfma_f32_16x16x16_f16 v[30:33], v[32:33], v[72:73], v[76:79]
	s_waitcnt vmcnt(14) lgkmcnt(0)
	v_mfma_f32_16x16x16_f16 v[30:33], v[26:27], v[66:67], v[30:33]
	v_mfma_f32_16x16x16_f16 v[26:29], v[28:29], v[68:69], v[30:33]
	s_nop 5
	ds_read_b128 v[30:33], v1 offset:2048
	ds_read_b128 v[76:79], v1 offset:2064
	s_waitcnt vmcnt(13) lgkmcnt(1)
	v_mfma_f32_16x16x16_f16 v[26:29], v[22:23], v[30:31], v[26:29]
	v_mfma_f32_16x16x16_f16 v[22:25], v[24:25], v[32:33], v[26:29]
	s_waitcnt vmcnt(12) lgkmcnt(0)
	v_mfma_f32_16x16x16_f16 v[22:25], v[18:19], v[76:77], v[22:25]
	v_mfma_f32_16x16x16_f16 v[18:21], v[20:21], v[78:79], v[22:25]
	s_nop 5
	ds_read_b128 v[22:25], v1 offset:4096
	ds_read_b128 v[26:29], v1 offset:4112
	s_waitcnt vmcnt(11) lgkmcnt(1)
	v_mfma_f32_16x16x16_f16 v[18:21], v[14:15], v[22:23], v[18:21]
	v_mfma_f32_16x16x16_f16 v[14:17], v[16:17], v[24:25], v[18:21]
	s_waitcnt vmcnt(10) lgkmcnt(0)
	v_mfma_f32_16x16x16_f16 v[14:17], v[10:11], v[26:27], v[14:17]
	v_mfma_f32_16x16x16_f16 v[10:13], v[12:13], v[28:29], v[14:17]
	s_nop 5
	ds_read_b128 v[14:17], v1 offset:6144
	ds_read_b128 v[18:21], v1 offset:6160
	s_waitcnt lgkmcnt(0)
	s_barrier
	s_waitcnt vmcnt(9)
	v_mfma_f32_16x16x16_f16 v[10:13], v[6:7], v[14:15], v[10:13]
	v_mfma_f32_16x16x16_f16 v[6:9], v[8:9], v[16:17], v[10:13]
	s_waitcnt vmcnt(8)
	v_mfma_f32_16x16x16_f16 v[6:9], v[2:3], v[18:19], v[6:9]
	v_mfma_f32_16x16x16_f16 v[2:5], v[4:5], v[20:21], v[6:9]
	;; [unrolled: 3-line block ×3, first 2 shown]
	s_nop 3
	v_cvt_f16_f32_e32 v1, v2
	v_cvt_f16_f32_e32 v10, v3
	v_cvt_f16_f32_e32 v11, v4
	s_waitcnt vmcnt(6)
	v_mfma_f32_16x16x16_f16 v[6:9], v[38:39], v[66:67], v[6:9]
	v_cvt_f16_f32_e32 v12, v5
	v_mfma_f32_16x16x16_f16 v[6:9], v[40:41], v[68:69], v[6:9]
	s_waitcnt vmcnt(5)
	v_mfma_f32_16x16x16_f16 v[6:9], v[42:43], v[30:31], v[6:9]
	v_mfma_f32_16x16x16_f16 v[6:9], v[44:45], v[32:33], v[6:9]
	s_waitcnt vmcnt(4)
	v_mfma_f32_16x16x16_f16 v[6:9], v[34:35], v[76:77], v[6:9]
	;; [unrolled: 3-line block ×6, first 2 shown]
	v_mfma_f32_16x16x16_f16 v[2:5], v[60:61], v[20:21], v[6:9]
	s_nop 6
	v_cvt_f16_f32_e32 v6, v2
	v_cvt_f16_f32_e32 v7, v3
	;; [unrolled: 1-line block ×4, first 2 shown]
	v_pack_b32_f16 v2, v1, v10
	v_pack_b32_f16 v3, v11, v12
	;; [unrolled: 1-line block ×4, first 2 shown]
	ds_write2st64_b64 v74, v[2:3], v[4:5] offset1:1
	s_waitcnt lgkmcnt(0)
	s_barrier
	s_and_saveexec_b64 s[4:5], vcc
	s_cbranch_execz .LBB202_20
; %bb.18:
	s_load_dwordx2 s[4:5], s[0:1], 0x68
	s_lshl_b32 s0, s6, 7
	s_mul_i32 s1, s7, s2
	v_lshlrev_b32_e32 v3, 6, v84
	s_mul_hi_u32 s7, s1, s0
	s_mul_i32 s6, s1, s0
	v_lshlrev_b32_e32 v2, 4, v0
	v_lshl_or_b32 v0, v0, 10, v3
	s_lshl_b64 s[6:7], s[6:7], 1
	v_lshlrev_b32_e32 v1, 5, v87
	v_and_b32_e32 v2, 16, v2
	v_and_b32_e32 v0, 0x1a00, v0
	s_waitcnt lgkmcnt(0)
	s_add_u32 s1, s4, s6
	v_or3_b32 v2, v0, v1, v2
	s_addc_u32 s4, s5, s7
	s_lshl_b32 s2, s26, 7
	s_lshl_b64 s[2:3], s[2:3], 1
	ds_read_b128 v[4:7], v2 offset:128
	ds_read_b128 v[8:11], v2
	s_add_u32 s2, s1, s2
	s_addc_u32 s3, s4, s3
	v_mov_b32_e32 v83, 0
	v_add_u32_e32 v3, s40, v87
	v_lshl_add_u64 v[0:1], s[2:3], 0, v[82:83]
	v_mad_u64_u32 v[12:13], s[2:3], v3, s0, 0
	v_lshl_add_u64 v[12:13], v[12:13], 1, v[0:1]
	v_add_u32_e32 v3, 4, v3
	s_waitcnt lgkmcnt(0)
	global_store_dwordx4 v[12:13], v[8:11], off
	v_cmp_ne_u32_e32 vcc, 3, v87
	s_nop 0
	v_mad_u64_u32 v[8:9], s[2:3], v3, s0, 0
	v_lshl_add_u64 v[8:9], v[8:9], 1, v[0:1]
	global_store_dwordx4 v[8:9], v[4:7], off
	s_and_b64 exec, exec, vcc
	s_cbranch_execz .LBB202_20
; %bb.19:
	ds_read_b128 v[2:5], v2 offset:256
	v_add3_u32 v6, s40, v87, 8
	v_mad_u64_u32 v[6:7], s[0:1], v6, s0, 0
	v_lshl_add_u64 v[0:1], v[6:7], 1, v[0:1]
	s_waitcnt lgkmcnt(0)
	global_store_dwordx4 v[0:1], v[2:5], off
.LBB202_20:
	s_endpgm
	.section	.rodata,"a",@progbits
	.p2align	6, 0x0
	.amdhsa_kernel _Z39paged_attention_ll4mi_QKV_mfma16_kernelIDF16_DF16_LN4vllm18Fp8KVCacheDataTypeE0EhLi16ELi128ELi256ELb1ELi11EEvPKT_PKT0_S7_ifPKiS9_S9_iPKfiiiPfSC_PS2_PT2_iSB_SB_
		.amdhsa_group_segment_fixed_size 8192
		.amdhsa_private_segment_fixed_size 0
		.amdhsa_kernarg_size 400
		.amdhsa_user_sgpr_count 2
		.amdhsa_user_sgpr_dispatch_ptr 0
		.amdhsa_user_sgpr_queue_ptr 0
		.amdhsa_user_sgpr_kernarg_segment_ptr 1
		.amdhsa_user_sgpr_dispatch_id 0
		.amdhsa_user_sgpr_kernarg_preload_length 0
		.amdhsa_user_sgpr_kernarg_preload_offset 0
		.amdhsa_user_sgpr_private_segment_size 0
		.amdhsa_uses_dynamic_stack 0
		.amdhsa_enable_private_segment 0
		.amdhsa_system_sgpr_workgroup_id_x 1
		.amdhsa_system_sgpr_workgroup_id_y 1
		.amdhsa_system_sgpr_workgroup_id_z 1
		.amdhsa_system_sgpr_workgroup_info 0
		.amdhsa_system_vgpr_workitem_id 0
		.amdhsa_next_free_vgpr 96
		.amdhsa_next_free_sgpr 42
		.amdhsa_accum_offset 96
		.amdhsa_reserve_vcc 1
		.amdhsa_float_round_mode_32 0
		.amdhsa_float_round_mode_16_64 0
		.amdhsa_float_denorm_mode_32 3
		.amdhsa_float_denorm_mode_16_64 3
		.amdhsa_dx10_clamp 1
		.amdhsa_ieee_mode 1
		.amdhsa_fp16_overflow 0
		.amdhsa_tg_split 0
		.amdhsa_exception_fp_ieee_invalid_op 0
		.amdhsa_exception_fp_denorm_src 0
		.amdhsa_exception_fp_ieee_div_zero 0
		.amdhsa_exception_fp_ieee_overflow 0
		.amdhsa_exception_fp_ieee_underflow 0
		.amdhsa_exception_fp_ieee_inexact 0
		.amdhsa_exception_int_div_zero 0
	.end_amdhsa_kernel
	.section	.text._Z39paged_attention_ll4mi_QKV_mfma16_kernelIDF16_DF16_LN4vllm18Fp8KVCacheDataTypeE0EhLi16ELi128ELi256ELb1ELi11EEvPKT_PKT0_S7_ifPKiS9_S9_iPKfiiiPfSC_PS2_PT2_iSB_SB_,"axG",@progbits,_Z39paged_attention_ll4mi_QKV_mfma16_kernelIDF16_DF16_LN4vllm18Fp8KVCacheDataTypeE0EhLi16ELi128ELi256ELb1ELi11EEvPKT_PKT0_S7_ifPKiS9_S9_iPKfiiiPfSC_PS2_PT2_iSB_SB_,comdat
.Lfunc_end202:
	.size	_Z39paged_attention_ll4mi_QKV_mfma16_kernelIDF16_DF16_LN4vllm18Fp8KVCacheDataTypeE0EhLi16ELi128ELi256ELb1ELi11EEvPKT_PKT0_S7_ifPKiS9_S9_iPKfiiiPfSC_PS2_PT2_iSB_SB_, .Lfunc_end202-_Z39paged_attention_ll4mi_QKV_mfma16_kernelIDF16_DF16_LN4vllm18Fp8KVCacheDataTypeE0EhLi16ELi128ELi256ELb1ELi11EEvPKT_PKT0_S7_ifPKiS9_S9_iPKfiiiPfSC_PS2_PT2_iSB_SB_
                                        ; -- End function
	.section	.AMDGPU.csdata,"",@progbits
; Kernel info:
; codeLenInByte = 4712
; NumSgprs: 48
; NumVgprs: 96
; NumAgprs: 0
; TotalNumVgprs: 96
; ScratchSize: 0
; MemoryBound: 0
; FloatMode: 240
; IeeeMode: 1
; LDSByteSize: 8192 bytes/workgroup (compile time only)
; SGPRBlocks: 5
; VGPRBlocks: 11
; NumSGPRsForWavesPerEU: 48
; NumVGPRsForWavesPerEU: 96
; AccumOffset: 96
; Occupancy: 5
; WaveLimiterHint : 1
; COMPUTE_PGM_RSRC2:SCRATCH_EN: 0
; COMPUTE_PGM_RSRC2:USER_SGPR: 2
; COMPUTE_PGM_RSRC2:TRAP_HANDLER: 0
; COMPUTE_PGM_RSRC2:TGID_X_EN: 1
; COMPUTE_PGM_RSRC2:TGID_Y_EN: 1
; COMPUTE_PGM_RSRC2:TGID_Z_EN: 1
; COMPUTE_PGM_RSRC2:TIDIG_COMP_CNT: 0
; COMPUTE_PGM_RSRC3_GFX90A:ACCUM_OFFSET: 23
; COMPUTE_PGM_RSRC3_GFX90A:TG_SPLIT: 0
	.section	.text._Z39paged_attention_ll4mi_QKV_mfma16_kernelIDF16_DF16_LN4vllm18Fp8KVCacheDataTypeE0EhLi16ELi128ELi256ELb1ELi12EEvPKT_PKT0_S7_ifPKiS9_S9_iPKfiiiPfSC_PS2_PT2_iSB_SB_,"axG",@progbits,_Z39paged_attention_ll4mi_QKV_mfma16_kernelIDF16_DF16_LN4vllm18Fp8KVCacheDataTypeE0EhLi16ELi128ELi256ELb1ELi12EEvPKT_PKT0_S7_ifPKiS9_S9_iPKfiiiPfSC_PS2_PT2_iSB_SB_,comdat
	.protected	_Z39paged_attention_ll4mi_QKV_mfma16_kernelIDF16_DF16_LN4vllm18Fp8KVCacheDataTypeE0EhLi16ELi128ELi256ELb1ELi12EEvPKT_PKT0_S7_ifPKiS9_S9_iPKfiiiPfSC_PS2_PT2_iSB_SB_ ; -- Begin function _Z39paged_attention_ll4mi_QKV_mfma16_kernelIDF16_DF16_LN4vllm18Fp8KVCacheDataTypeE0EhLi16ELi128ELi256ELb1ELi12EEvPKT_PKT0_S7_ifPKiS9_S9_iPKfiiiPfSC_PS2_PT2_iSB_SB_
	.globl	_Z39paged_attention_ll4mi_QKV_mfma16_kernelIDF16_DF16_LN4vllm18Fp8KVCacheDataTypeE0EhLi16ELi128ELi256ELb1ELi12EEvPKT_PKT0_S7_ifPKiS9_S9_iPKfiiiPfSC_PS2_PT2_iSB_SB_
	.p2align	8
	.type	_Z39paged_attention_ll4mi_QKV_mfma16_kernelIDF16_DF16_LN4vllm18Fp8KVCacheDataTypeE0EhLi16ELi128ELi256ELb1ELi12EEvPKT_PKT0_S7_ifPKiS9_S9_iPKfiiiPfSC_PS2_PT2_iSB_SB_,@function
_Z39paged_attention_ll4mi_QKV_mfma16_kernelIDF16_DF16_LN4vllm18Fp8KVCacheDataTypeE0EhLi16ELi128ELi256ELb1ELi12EEvPKT_PKT0_S7_ifPKiS9_S9_iPKfiiiPfSC_PS2_PT2_iSB_SB_: ; @_Z39paged_attention_ll4mi_QKV_mfma16_kernelIDF16_DF16_LN4vllm18Fp8KVCacheDataTypeE0EhLi16ELi128ELi256ELb1ELi12EEvPKT_PKT0_S7_ifPKiS9_S9_iPKfiiiPfSC_PS2_PT2_iSB_SB_
; %bb.0:
	s_load_dwordx2 s[8:9], s[0:1], 0x30
	s_mov_b32 s26, s3
	s_mov_b64 s[6:7], 0
	s_waitcnt lgkmcnt(0)
	s_cmp_lg_u64 s[8:9], 0
	s_cselect_b64 s[10:11], -1, 0
	s_and_b64 vcc, exec, s[10:11]
	s_cbranch_vccz .LBB203_7
; %bb.1:
	s_add_i32 s12, s2, 1
	s_mov_b32 s13, 0
	s_lshl_b64 s[14:15], s[12:13], 2
	s_add_u32 s14, s8, s14
	s_mov_b32 s3, s13
	s_addc_u32 s15, s9, s15
	s_lshl_b64 s[12:13], s[2:3], 2
	s_add_u32 s12, s8, s12
	s_addc_u32 s13, s9, s13
	s_load_dword s5, s[14:15], 0x0
	s_load_dword s16, s[12:13], 0x0
	s_waitcnt lgkmcnt(0)
	s_sub_i32 s5, s5, s16
	s_cmp_eq_u32 s5, 1
	s_cselect_b64 s[12:13], -1, 0
	s_andn2_b64 vcc, exec, s[6:7]
	s_cbranch_vccnz .LBB203_3
.LBB203_2:
	s_mov_b32 s3, 0
	s_mov_b64 s[12:13], -1
.LBB203_3:
	s_andn2_b64 vcc, exec, s[12:13]
	s_cbranch_vccnz .LBB203_19
; %bb.4:
	s_load_dwordx2 s[6:7], s[0:1], 0x28
	s_lshl_b64 s[12:13], s[2:3], 2
	s_waitcnt lgkmcnt(0)
	s_add_u32 s6, s6, s12
	s_addc_u32 s7, s7, s13
	s_load_dword s27, s[6:7], 0x0
	s_lshl_b32 s18, s26, 8
	s_waitcnt lgkmcnt(0)
	s_cmp_ge_i32 s18, s27
	s_cbranch_scc1 .LBB203_19
; %bb.5:
	s_load_dwordx2 s[6:7], s[0:1], 0x20
	s_load_dword s5, s[0:1], 0x38
	s_add_i32 s14, s27, 15
	s_ashr_i32 s15, s14, 31
	v_and_b32_e32 v1, 0xcf, v0
	s_lshr_b32 s15, s15, 28
	v_add_u32_e32 v1, s18, v1
	s_add_i32 s14, s14, s15
	v_ashrrev_i32_e32 v2, 31, v1
	s_ashr_i32 s19, s14, 4
	v_lshrrev_b32_e32 v4, 28, v2
	s_add_i32 s19, s19, -1
	s_waitcnt lgkmcnt(0)
	s_mul_i32 s14, s2, s5
	s_mov_b32 s15, 0
	v_add_u32_e32 v2, v1, v4
	s_lshl_b64 s[14:15], s[14:15], 2
	v_ashrrev_i32_e32 v2, 4, v2
	v_mov_b32_e32 v5, s19
	v_cmp_gt_i32_e32 vcc, s27, v1
	s_add_u32 s6, s6, s14
	s_addc_u32 s7, s7, s15
	v_cndmask_b32_e32 v2, v5, v2, vcc
	v_ashrrev_i32_e32 v3, 31, v2
	v_lshl_add_u64 v[6:7], v[2:3], 2, s[6:7]
	v_or_b32_e32 v2, 16, v1
	v_add_u32_e32 v3, v2, v4
	v_ashrrev_i32_e32 v3, 4, v3
	v_cmp_gt_i32_e32 vcc, s27, v2
	s_load_dwordx2 s[14:15], s[0:1], 0x8
	s_nop 0
	v_cndmask_b32_e32 v2, v5, v3, vcc
	v_ashrrev_i32_e32 v3, 31, v2
	v_lshl_add_u64 v[8:9], v[2:3], 2, s[6:7]
	v_or_b32_e32 v2, 32, v1
	v_add_u32_e32 v3, v2, v4
	v_ashrrev_i32_e32 v3, 4, v3
	v_cmp_gt_i32_e32 vcc, s27, v2
	v_or_b32_e32 v1, 48, v1
	s_nop 0
	v_cndmask_b32_e32 v2, v5, v3, vcc
	v_ashrrev_i32_e32 v3, 31, v2
	v_lshl_add_u64 v[10:11], v[2:3], 2, s[6:7]
	v_add_u32_e32 v2, v1, v4
	v_ashrrev_i32_e32 v2, 4, v2
	v_cmp_gt_i32_e32 vcc, s27, v1
	s_nop 1
	v_cndmask_b32_e32 v2, v5, v2, vcc
	v_ashrrev_i32_e32 v3, 31, v2
	v_lshl_add_u64 v[12:13], v[2:3], 2, s[6:7]
	global_load_dword v5, v[6:7], off
	global_load_dword v4, v[8:9], off
	;; [unrolled: 1-line block ×4, first 2 shown]
	s_andn2_b64 vcc, exec, s[10:11]
	s_cbranch_vccnz .LBB203_8
; %bb.6:
	s_add_u32 s8, s8, s12
	s_addc_u32 s9, s9, s13
	s_load_dword s5, s[8:9], 0x0
	s_branch .LBB203_9
.LBB203_7:
	s_mov_b64 s[12:13], 0
	s_branch .LBB203_2
.LBB203_8:
	s_mov_b32 s5, s2
.LBB203_9:
	s_load_dwordx2 s[12:13], s[0:1], 0x10
	s_load_dwordx4 s[8:11], s[0:1], 0x48
	v_and_b32_e32 v84, 15, v0
	v_lshlrev_b32_e32 v6, 3, v84
	s_waitcnt lgkmcnt(0)
	s_movk_i32 s11, 0xc0
	v_lshrrev_b32_e32 v85, 6, v0
	v_bfe_u32 v1, v0, 4, 2
	s_mul_i32 s40, s4, 12
	v_cmp_gt_u32_e32 vcc, s11, v0
	v_lshlrev_b32_e32 v82, 1, v6
	s_and_saveexec_b64 s[16:17], vcc
	s_cbranch_execz .LBB203_11
; %bb.10:
	s_load_dwordx2 s[20:21], s[0:1], 0x0
	s_ashr_i32 s11, s8, 31
	s_mul_hi_u32 s22, s5, s8
	s_mul_i32 s11, s5, s11
	s_add_i32 s23, s22, s11
	s_mul_i32 s22, s5, s8
	v_lshl_or_b32 v10, v85, 2, v1
	s_lshl_b64 s[22:23], s[22:23], 1
	s_waitcnt lgkmcnt(0)
	s_add_u32 s20, s20, s22
	v_add_lshl_u32 v6, v10, s40, 7
	s_addc_u32 s21, s21, s23
	v_ashrrev_i32_e32 v7, 31, v6
	v_lshl_add_u64 v[6:7], v[6:7], 1, s[20:21]
	v_mov_b32_e32 v83, 0
	v_lshl_add_u64 v[6:7], v[6:7], 0, v[82:83]
	global_load_dwordx4 v[6:9], v[6:7], off
	v_and_b32_e32 v11, 3, v0
	v_lshlrev_b32_e32 v12, 9, v84
	v_lshlrev_b32_e32 v10, 5, v10
	v_lshlrev_b32_e32 v11, 9, v11
	v_and_b32_e32 v12, 0x1800, v12
	v_bfe_u32 v1, v0, 4, 2
	v_or3_b32 v10, v12, v11, v10
	s_waitcnt vmcnt(0)
	ds_write_b128 v10, v[6:9]
.LBB203_11:
	s_or_b64 exec, exec, s[16:17]
	s_mul_i32 s4, s4, s10
	s_mov_b32 s5, 0
	s_lshl_b64 s[4:5], s[4:5], 1
	s_add_u32 s10, s14, s4
	v_lshlrev_b32_e32 v10, 4, v0
	s_addc_u32 s11, s15, s5
	v_and_b32_e32 v86, 0xf0, v10
	v_mov_b32_e32 v87, 0
	v_lshl_add_u64 v[6:7], s[10:11], 0, v[86:87]
	s_waitcnt vmcnt(3)
	v_mad_i64_i32 v[8:9], s[10:11], v5, s9, 0
	s_waitcnt vmcnt(2)
	v_mad_i64_i32 v[4:5], s[10:11], v4, s9, 0
	v_lshl_add_u64 v[8:9], v[8:9], 1, v[6:7]
	v_and_b32_e32 v86, 0x300, v10
	v_lshl_add_u64 v[4:5], v[4:5], 1, v[6:7]
	v_lshl_add_u64 v[8:9], v[8:9], 0, v[86:87]
	;; [unrolled: 1-line block ×3, first 2 shown]
	s_waitcnt lgkmcnt(0)
	s_barrier
	global_load_dwordx4 v[78:81], v[8:9], off
	global_load_dwordx4 v[74:77], v[8:9], off offset:1024
	global_load_dwordx4 v[70:73], v[8:9], off offset:2048
	;; [unrolled: 1-line block ×3, first 2 shown]
	global_load_dwordx4 v[66:69], v[4:5], off
	global_load_dwordx4 v[62:65], v[4:5], off offset:1024
	global_load_dwordx4 v[58:61], v[4:5], off offset:2048
	;; [unrolled: 1-line block ×3, first 2 shown]
	s_waitcnt vmcnt(9)
	v_mad_i64_i32 v[4:5], s[10:11], v3, s9, 0
	s_waitcnt vmcnt(8)
	v_mad_i64_i32 v[2:3], s[10:11], v2, s9, 0
	v_lshl_add_u64 v[4:5], v[4:5], 1, v[6:7]
	v_lshl_add_u64 v[2:3], v[2:3], 1, v[6:7]
	;; [unrolled: 1-line block ×4, first 2 shown]
	global_load_dwordx4 v[30:33], v[4:5], off
	global_load_dwordx4 v[26:29], v[4:5], off offset:1024
	global_load_dwordx4 v[22:25], v[4:5], off offset:2048
	;; [unrolled: 1-line block ×3, first 2 shown]
	global_load_dwordx4 v[6:9], v[34:35], off
	s_nop 0
	global_load_dwordx4 v[2:5], v[34:35], off offset:1024
	global_load_dwordx4 v[38:41], v[34:35], off offset:2048
	s_nop 0
	global_load_dwordx4 v[34:37], v[34:35], off offset:3072
	v_add_u32_e32 v42, -12, v84
	v_cmp_gt_u32_e32 vcc, 12, v84
	v_and_b32_e32 v88, 63, v0
	v_mov_b32_e32 v89, 0
	v_cndmask_b32_e32 v42, v42, v84, vcc
	v_lshlrev_b32_e32 v42, 5, v42
	v_lshl_add_u32 v42, v1, 9, v42
	ds_read_b128 v[54:57], v42
	ds_read_b128 v[50:53], v42 offset:2048
	ds_read_b128 v[46:49], v42 offset:4096
	;; [unrolled: 1-line block ×3, first 2 shown]
	s_and_saveexec_b64 s[10:11], vcc
	s_cbranch_execz .LBB203_13
; %bb.12:
	s_load_dwordx2 s[14:15], s[0:1], 0x40
	v_add_u32_e32 v90, s40, v84
	v_ashrrev_i32_e32 v91, 31, v90
	s_waitcnt lgkmcnt(0)
	v_lshl_add_u64 v[90:91], v[90:91], 2, s[14:15]
	global_load_dword v89, v[90:91], off
.LBB203_13:
	s_or_b64 exec, exec, s[10:11]
	s_waitcnt vmcnt(15) lgkmcnt(3)
	v_mfma_f32_16x16x16_f16 v[90:93], v[78:79], v[54:55], 0
	s_add_u32 s4, s12, s4
	s_addc_u32 s5, s13, s5
	s_mov_b32 s33, 0xff7fffff
	v_mfma_f32_16x16x16_f16 v[78:81], v[80:81], v[56:57], v[90:93]
	s_waitcnt vmcnt(14) lgkmcnt(2)
	v_mfma_f32_16x16x16_f16 v[78:81], v[74:75], v[50:51], v[78:81]
	s_nop 0
	v_lshl_or_b32 v90, v85, 4, v84
	v_lshlrev_b32_e32 v86, 5, v90
	v_mfma_f32_16x16x16_f16 v[74:77], v[76:77], v[52:53], v[78:81]
	s_waitcnt vmcnt(13) lgkmcnt(1)
	v_mfma_f32_16x16x16_f16 v[74:77], v[70:71], v[46:47], v[74:77]
	v_mfma_f32_16x16x16_f16 v[70:73], v[72:73], v[48:49], v[74:77]
	s_waitcnt vmcnt(11)
	v_mfma_f32_16x16x16_f16 v[74:77], v[66:67], v[54:55], 0
	v_mfma_f32_16x16x16_f16 v[66:69], v[68:69], v[56:57], v[74:77]
	s_nop 5
	v_and_or_b32 v74, v0, 48, s18
	s_waitcnt lgkmcnt(0)
	v_mfma_f32_16x16x16_f16 v[70:73], v[10:11], v[42:43], v[70:73]
	v_ashrrev_i32_e32 v10, 4, v74
	v_mov_b32_e32 v75, s19
	v_cmp_gt_i32_e32 vcc, s27, v74
	s_waitcnt vmcnt(10)
	v_mfma_f32_16x16x16_f16 v[66:69], v[62:63], v[50:51], v[66:69]
	v_cndmask_b32_e32 v10, v75, v10, vcc
	v_ashrrev_i32_e32 v11, 31, v10
	v_lshl_add_u64 v[10:11], v[10:11], 2, s[6:7]
	global_load_dword v76, v[10:11], off
	v_mfma_f32_16x16x16_f16 v[62:65], v[64:65], v[52:53], v[66:69]
	v_or_b32_e32 v10, 64, v74
	v_ashrrev_i32_e32 v11, 4, v10
	v_cmp_gt_i32_e32 vcc, s27, v10
	s_waitcnt vmcnt(10)
	v_mfma_f32_16x16x16_f16 v[62:65], v[58:59], v[46:47], v[62:65]
	v_cndmask_b32_e32 v10, v75, v11, vcc
	v_ashrrev_i32_e32 v11, 31, v10
	v_lshl_add_u64 v[10:11], v[10:11], 2, s[6:7]
	global_load_dword v77, v[10:11], off
	v_or_b32_e32 v10, 0x80, v74
	v_mfma_f32_16x16x16_f16 v[58:61], v[60:61], v[48:49], v[62:65]
	v_ashrrev_i32_e32 v11, 4, v10
	v_cmp_gt_i32_e32 vcc, s27, v10
	s_waitcnt vmcnt(9)
	v_mfma_f32_16x16x16_f16 v[62:65], v[30:31], v[54:55], 0
	v_cndmask_b32_e32 v10, v75, v11, vcc
	v_ashrrev_i32_e32 v11, 31, v10
	v_lshl_add_u64 v[10:11], v[10:11], 2, s[6:7]
	v_mfma_f32_16x16x16_f16 v[30:33], v[32:33], v[56:57], v[62:65]
	s_nop 2
	global_load_dword v64, v[10:11], off
	v_or_b32_e32 v10, 0xc0, v74
	v_ashrrev_i32_e32 v11, 4, v10
	v_cmp_gt_i32_e32 vcc, s27, v10
	s_waitcnt vmcnt(9)
	v_mfma_f32_16x16x16_f16 v[30:33], v[26:27], v[50:51], v[30:33]
	v_lshl_add_u64 v[62:63], s[4:5], 0, v[86:87]
	v_cndmask_b32_e32 v10, v75, v11, vcc
	v_ashrrev_i32_e32 v11, 31, v10
	v_lshl_add_u64 v[10:11], v[10:11], 2, s[6:7]
	global_load_dword v65, v[10:11], off
	v_mfma_f32_16x16x16_f16 v[26:29], v[28:29], v[52:53], v[30:33]
	s_load_dword s6, s[0:1], 0x1c
	v_or_b32_e32 v86, 0x800, v86
	s_waitcnt vmcnt(3)
	v_mad_i64_i32 v[10:11], s[10:11], v76, s9, 0
	v_mfma_f32_16x16x16_f16 v[26:29], v[22:23], v[46:47], v[26:29]
	v_lshlrev_b64 v[74:75], 1, v[10:11]
	v_mfma_f32_16x16x16_f16 v[66:69], v[12:13], v[44:45], v[70:73]
	v_mfma_f32_16x16x16_f16 v[10:13], v[24:25], v[48:49], v[26:29]
	;; [unrolled: 1-line block ×3, first 2 shown]
	v_lshl_add_u64 v[14:15], v[62:63], 0, v[74:75]
	s_waitcnt lgkmcnt(0)
	s_nop 2
	v_pk_mul_f32 v[78:79], s[6:7], v[68:69] op_sel_hi:[0,1]
	v_mfma_f32_16x16x16_f16 v[10:13], v[18:19], v[42:43], v[10:13]
	v_mfma_f32_16x16x16_f16 v[70:73], v[16:17], v[44:45], v[30:33]
	s_nop 2
	global_load_dwordx4 v[30:33], v[14:15], off
	global_load_dwordx4 v[26:29], v[14:15], off offset:16
	s_waitcnt vmcnt(4)
	v_mad_i64_i32 v[14:15], s[10:11], v77, s9, 0
	v_lshlrev_b64 v[58:59], 1, v[14:15]
	v_mfma_f32_16x16x16_f16 v[92:95], v[20:21], v[44:45], v[10:13]
	v_pk_mul_f32 v[76:77], s[6:7], v[70:71] op_sel_hi:[0,1]
	s_nop 1
	v_lshl_add_u64 v[10:11], v[62:63], 0, v[58:59]
	global_load_dwordx4 v[22:25], v[10:11], off
	global_load_dwordx4 v[18:21], v[10:11], off offset:16
	v_mfma_f32_16x16x16_f16 v[10:13], v[6:7], v[54:55], 0
	s_waitcnt vmcnt(5)
	v_mad_i64_i32 v[6:7], s[10:11], v64, s9, 0
	v_lshlrev_b64 v[54:55], 1, v[6:7]
	v_mfma_f32_16x16x16_f16 v[6:9], v[8:9], v[56:57], v[10:13]
	v_pk_mul_f32 v[70:71], s[6:7], v[94:95] op_sel_hi:[0,1]
	v_mfma_f32_16x16x16_f16 v[6:9], v[2:3], v[50:51], v[6:9]
	s_waitcnt vmcnt(4)
	v_mad_i64_i32 v[2:3], s[8:9], v65, s9, 0
	v_lshlrev_b64 v[60:61], 1, v[2:3]
	v_mfma_f32_16x16x16_f16 v[50:53], v[4:5], v[52:53], v[6:9]
	v_lshl_add_u64 v[10:11], v[62:63], 0, v[54:55]
	v_lshl_add_u64 v[2:3], v[62:63], 0, v[60:61]
	v_pk_mul_f32 v[62:63], s[6:7], v[66:67] op_sel_hi:[0,1]
	v_mfma_f32_16x16x16_f16 v[50:53], v[38:39], v[46:47], v[50:53]
	v_lshl_add_u64 v[64:65], s[4:5], 0, v[86:87]
	v_lshl_add_u64 v[38:39], v[64:65], 0, v[74:75]
	v_pk_mul_f32 v[74:75], s[6:7], v[72:73] op_sel_hi:[0,1]
	v_mfma_f32_16x16x16_f16 v[46:49], v[40:41], v[48:49], v[50:53]
	v_pk_mul_f32 v[72:73], s[6:7], v[92:93] op_sel_hi:[0,1]
	global_load_dwordx4 v[14:17], v[10:11], off
	s_nop 0
	global_load_dwordx4 v[10:13], v[10:11], off offset:16
	s_nop 0
	global_load_dwordx4 v[6:9], v[2:3], off
	s_nop 0
	global_load_dwordx4 v[2:5], v[2:3], off offset:16
	v_mfma_f32_16x16x16_f16 v[40:43], v[34:35], v[42:43], v[46:49]
	v_mfma_f32_16x16x16_f16 v[34:37], v[36:37], v[44:45], v[40:43]
	s_nop 6
	v_pk_mul_f32 v[68:69], s[6:7], v[34:35] op_sel_hi:[0,1]
	v_and_b32_e32 v34, 0xc0, v0
	v_add_u32_e32 v34, s18, v34
	v_lshl_or_b32 v34, v1, 2, v34
	v_or_b32_e32 v35, 1, v34
	v_pk_mul_f32 v[66:67], s[6:7], v[36:37] op_sel_hi:[0,1]
	v_subrev_u32_e32 v36, s27, v35
	v_add_u32_e32 v40, 1, v36
	v_add_u32_e32 v41, 2, v36
	v_cvt_f32_i32_e32 v37, v36
	v_cvt_f32_i32_e32 v40, v40
	;; [unrolled: 1-line block ×3, first 2 shown]
	v_add_u32_e32 v42, 3, v36
	v_fma_f32 v62, v89, v37, v62
	v_fmac_f32_e32 v63, v89, v40
	v_fma_f32 v78, v89, v41, v78
	v_add_u32_e32 v37, 16, v36
	v_add_u32_e32 v40, 17, v36
	;; [unrolled: 1-line block ×3, first 2 shown]
	v_cvt_f32_i32_e32 v42, v42
	v_cvt_f32_i32_e32 v37, v37
	;; [unrolled: 1-line block ×4, first 2 shown]
	v_fmac_f32_e32 v79, v89, v42
	v_add_u32_e32 v42, 19, v36
	v_fma_f32 v76, v89, v37, v76
	v_fmac_f32_e32 v77, v89, v40
	v_fma_f32 v74, v89, v41, v74
	v_add_u32_e32 v37, 32, v36
	v_add_u32_e32 v40, 33, v36
	;; [unrolled: 1-line block ×3, first 2 shown]
	v_cvt_f32_i32_e32 v42, v42
	v_cvt_f32_i32_e32 v37, v37
	;; [unrolled: 1-line block ×4, first 2 shown]
	v_fmac_f32_e32 v75, v89, v42
	v_add_u32_e32 v42, 35, v36
	v_fma_f32 v72, v89, v37, v72
	v_fmac_f32_e32 v73, v89, v40
	v_fma_f32 v70, v89, v41, v70
	v_add_u32_e32 v37, 48, v36
	v_add_u32_e32 v40, 49, v36
	;; [unrolled: 1-line block ×4, first 2 shown]
	v_cvt_f32_i32_e32 v36, v36
	v_cvt_f32_i32_e32 v37, v37
	;; [unrolled: 1-line block ×3, first 2 shown]
	v_cmp_gt_i32_e64 s[28:29], s27, v34
	v_fmac_f32_e32 v67, v89, v36
	v_mov_b32_e32 v36, 0xff7fffff
	v_cmp_gt_i32_e64 s[30:31], s27, v35
	v_fma_f32 v68, v89, v37, v68
	v_cndmask_b32_e64 v37, v36, v62, s[28:29]
	v_cndmask_b32_e64 v35, v36, v63, s[30:31]
	v_fmac_f32_e32 v69, v89, v40
	v_max3_f32 v35, v37, s33, v35
	v_or_b32_e32 v37, 2, v34
	v_or_b32_e32 v40, 3, v34
	v_cmp_gt_i32_e64 s[34:35], s27, v37
	v_cmp_gt_i32_e64 s[36:37], s27, v40
	v_cvt_f32_i32_e32 v42, v42
	v_cndmask_b32_e64 v37, v36, v78, s[34:35]
	v_cndmask_b32_e64 v40, v36, v79, s[36:37]
	v_max3_f32 v35, v35, v37, v40
	v_or_b32_e32 v37, 16, v34
	v_or_b32_e32 v40, 17, v34
	v_cmp_gt_i32_e64 s[22:23], s27, v37
	v_cmp_gt_i32_e64 s[24:25], s27, v40
	v_fmac_f32_e32 v71, v89, v42
	v_cndmask_b32_e64 v37, v36, v76, s[22:23]
	v_cndmask_b32_e64 v40, v36, v77, s[24:25]
	v_max3_f32 v35, v35, v37, v40
	v_or_b32_e32 v37, 18, v34
	v_or_b32_e32 v40, 19, v34
	v_cmp_gt_i32_e64 s[18:19], s27, v37
	v_cmp_gt_i32_e64 s[20:21], s27, v40
	v_cvt_f32_i32_e32 v41, v41
	v_cndmask_b32_e64 v37, v36, v74, s[18:19]
	v_cndmask_b32_e64 v40, v36, v75, s[20:21]
	v_max3_f32 v35, v35, v37, v40
	v_or_b32_e32 v37, 32, v34
	v_or_b32_e32 v40, 33, v34
	v_cmp_gt_i32_e64 s[14:15], s27, v37
	v_cmp_gt_i32_e64 s[16:17], s27, v40
	v_fma_f32 v66, v89, v41, v66
	v_cndmask_b32_e64 v37, v36, v72, s[14:15]
	v_cndmask_b32_e64 v40, v36, v73, s[16:17]
	v_max3_f32 v35, v35, v37, v40
	v_or_b32_e32 v37, 34, v34
	v_or_b32_e32 v40, 35, v34
	v_cmp_gt_i32_e64 s[10:11], s27, v37
	v_cmp_gt_i32_e64 s[12:13], s27, v40
	s_nop 0
	v_cndmask_b32_e64 v37, v36, v70, s[10:11]
	v_cndmask_b32_e64 v40, v36, v71, s[12:13]
	v_max3_f32 v35, v35, v37, v40
	v_or_b32_e32 v37, 48, v34
	v_or_b32_e32 v40, 49, v34
	v_cmp_gt_i32_e64 s[6:7], s27, v37
	v_cmp_gt_i32_e64 s[8:9], s27, v40
	s_nop 0
	v_cndmask_b32_e64 v37, v36, v68, s[6:7]
	v_cndmask_b32_e64 v40, v36, v69, s[8:9]
	v_max3_f32 v35, v35, v37, v40
	v_or_b32_e32 v37, 50, v34
	v_or_b32_e32 v34, 51, v34
	v_cmp_gt_i32_e32 vcc, s27, v37
	v_cmp_gt_i32_e64 s[4:5], s27, v34
	global_load_dwordx4 v[46:49], v[38:39], off
	s_nop 0
	global_load_dwordx4 v[38:41], v[38:39], off offset:16
	v_cndmask_b32_e32 v37, v36, v66, vcc
	v_cndmask_b32_e64 v34, v36, v67, s[4:5]
	v_max3_f32 v50, v35, v37, v34
	v_mbcnt_lo_u32_b32 v34, -1, 0
	v_mbcnt_hi_u32_b32 v51, -1, v34
	v_and_b32_e32 v34, 64, v51
	v_add_u32_e32 v52, 64, v34
	v_xor_b32_e32 v34, 32, v51
	v_cmp_lt_i32_e64 s[38:39], v34, v52
	s_nop 1
	v_cndmask_b32_e64 v34, v51, v34, s[38:39]
	v_lshlrev_b32_e32 v87, 2, v34
	ds_bpermute_b32 v53, v87, v50
	v_lshl_add_u64 v[34:35], v[64:65], 0, v[58:59]
	v_lshl_add_u64 v[58:59], v[64:65], 0, v[60:61]
	global_load_dwordx4 v[42:45], v[34:35], off
	s_nop 0
	global_load_dwordx4 v[34:37], v[34:35], off offset:16
	s_waitcnt lgkmcnt(0)
	v_max_f32_e32 v53, v53, v53
	v_max_f32_e32 v80, v50, v53
	v_xor_b32_e32 v50, 16, v51
	v_cmp_lt_i32_e64 s[38:39], v50, v52
	s_nop 1
	v_cndmask_b32_e64 v50, v51, v50, s[38:39]
	v_lshlrev_b32_e32 v89, 2, v50
	ds_bpermute_b32 v81, v89, v80
	v_lshl_add_u64 v[50:51], v[64:65], 0, v[54:55]
	global_load_dwordx4 v[54:57], v[50:51], off
	s_nop 0
	global_load_dwordx4 v[50:53], v[50:51], off offset:16
	s_waitcnt lgkmcnt(0)
	v_max_f32_e32 v60, v81, v81
	v_max_f32_e32 v86, v80, v60
	v_sub_f32_e32 v60, v62, v86
	v_mul_f32_e32 v60, 0x3fb8aa3b, v60
	v_exp_f32_e32 v80, v60
	v_sub_f32_e32 v60, v63, v86
	v_mul_f32_e32 v60, 0x3fb8aa3b, v60
	v_exp_f32_e32 v81, v60
	global_load_dwordx4 v[62:65], v[58:59], off
	s_nop 0
	global_load_dwordx4 v[58:61], v[58:59], off offset:16
	v_sub_f32_e32 v78, v78, v86
	v_mul_f32_e32 v78, 0x3fb8aa3b, v78
	v_sub_f32_e32 v79, v79, v86
	v_exp_f32_e32 v78, v78
	v_mul_f32_e32 v79, 0x3fb8aa3b, v79
	v_sub_f32_e32 v76, v76, v86
	v_exp_f32_e32 v79, v79
	v_mul_f32_e32 v76, 0x3fb8aa3b, v76
	v_sub_f32_e32 v77, v77, v86
	v_cndmask_b32_e64 v80, 0, v80, s[28:29]
	v_exp_f32_e32 v76, v76
	v_mul_f32_e32 v77, 0x3fb8aa3b, v77
	v_sub_f32_e32 v74, v74, v86
	v_add_f32_e32 v91, 0, v80
	v_cndmask_b32_e64 v81, 0, v81, s[30:31]
	v_exp_f32_e32 v77, v77
	v_mul_f32_e32 v74, 0x3fb8aa3b, v74
	v_sub_f32_e32 v75, v75, v86
	v_add_f32_e32 v91, v91, v81
	;; [unrolled: 5-line block ×10, first 2 shown]
	v_cndmask_b32_e64 v70, 0, v70, s[10:11]
	v_exp_f32_e32 v66, v66
	v_mul_f32_e32 v67, 0x3fb8aa3b, v67
	v_add_f32_e32 v91, v91, v70
	v_cndmask_b32_e64 v71, 0, v71, s[12:13]
	v_exp_f32_e32 v67, v67
	v_add_f32_e32 v91, v91, v71
	v_cndmask_b32_e64 v68, 0, v68, s[6:7]
	v_add_f32_e32 v91, v91, v68
	v_cndmask_b32_e64 v69, 0, v69, s[8:9]
	v_add_f32_e32 v91, v91, v69
	v_cndmask_b32_e32 v66, 0, v66, vcc
	v_add_f32_e32 v91, v91, v66
	v_cndmask_b32_e64 v67, 0, v67, s[4:5]
	v_add_f32_e32 v91, v91, v67
	ds_bpermute_b32 v87, v87, v91
	s_load_dword s7, s[0:1], 0x98
	v_cmp_gt_u32_e32 vcc, 16, v88
	s_waitcnt lgkmcnt(0)
	s_barrier
	v_add_f32_e32 v87, v91, v87
	ds_bpermute_b32 v89, v89, v87
	s_waitcnt lgkmcnt(0)
	s_and_saveexec_b64 s[4:5], vcc
	s_cbranch_execz .LBB203_15
; %bb.14:
	v_add_f32_e32 v87, v87, v89
	v_lshlrev_b32_e32 v88, 2, v90
	ds_write2st64_b32 v88, v86, v87 offset1:1
.LBB203_15:
	s_or_b64 exec, exec, s[4:5]
	v_lshlrev_b32_e32 v87, 2, v84
	s_load_dword s6, s[0:1], 0x94
	s_waitcnt lgkmcnt(0)
	s_barrier
	ds_read2_b32 v[88:89], v87 offset1:16
	ds_read2_b32 v[90:91], v87 offset0:32 offset1:48
	ds_read2_b32 v[92:93], v87 offset0:64 offset1:80
	s_mul_i32 s7, s7, 12
	s_waitcnt lgkmcnt(2)
	v_max3_f32 v86, v88, s33, v89
	s_waitcnt lgkmcnt(1)
	v_max3_f32 v86, v86, v90, v91
	v_sub_f32_e32 v88, v88, v86
	v_mul_f32_e32 v88, 0x3fb8aa3b, v88
	v_exp_f32_e32 v94, v88
	v_sub_f32_e32 v88, v89, v86
	v_mul_f32_e32 v88, 0x3fb8aa3b, v88
	v_exp_f32_e32 v95, v88
	v_sub_f32_e32 v88, v90, v86
	v_mul_f32_e32 v88, 0x3fb8aa3b, v88
	v_exp_f32_e32 v90, v88
	ds_read2_b32 v[88:89], v87 offset0:96 offset1:112
	v_sub_f32_e32 v87, v91, v86
	v_mul_f32_e32 v87, 0x3fb8aa3b, v87
	v_exp_f32_e32 v91, v87
	s_waitcnt lgkmcnt(1)
	v_fma_f32 v87, v94, v92, 0
	v_fmac_f32_e32 v87, v95, v93
	s_waitcnt lgkmcnt(0)
	v_fmac_f32_e32 v87, v90, v88
	v_fmac_f32_e32 v87, v91, v89
	v_add_f32_e32 v88, 0x358637bd, v87
	v_div_scale_f32 v89, s[4:5], v88, v88, 1.0
	v_rcp_f32_e32 v92, v89
	s_barrier
	v_fma_f32 v93, -v89, v92, 1.0
	v_fmac_f32_e32 v92, v93, v92
	v_div_scale_f32 v93, vcc, 1.0, v88, 1.0
	v_mul_f32_e32 v83, v93, v92
	v_fma_f32 v1, -v89, v83, v93
	v_fmac_f32_e32 v83, v1, v92
	v_fma_f32 v1, -v89, v83, v93
	v_div_fmas_f32 v1, v1, v92, v83
	v_cmp_eq_u32_e32 vcc, 1, v85
	v_div_fixup_f32 v1, v1, v88, 1.0
	s_nop 0
	v_cndmask_b32_e32 v83, v94, v95, vcc
	v_cmp_eq_u32_e32 vcc, 2, v85
	s_nop 1
	v_cndmask_b32_e32 v83, v83, v90, vcc
	v_cmp_eq_u32_e32 vcc, 3, v85
	s_nop 1
	v_cndmask_b32_e32 v83, v83, v91, vcc
	v_mul_f32_e32 v88, v83, v1
	v_pk_mul_f32 v[78:79], v[88:89], v[78:79] op_sel_hi:[0,1]
	v_cvt_f16_f32_e32 v78, v78
	v_cvt_f16_f32_e32 v79, v79
	v_pk_mul_f32 v[80:81], v[88:89], v[80:81] op_sel_hi:[0,1]
	v_cvt_f16_f32_e32 v1, v80
	v_cvt_f16_f32_e32 v80, v81
	v_pk_mul_f32 v[74:75], v[88:89], v[74:75] op_sel_hi:[0,1]
	v_pk_mul_f32 v[76:77], v[88:89], v[76:77] op_sel_hi:[0,1]
	v_pack_b32_f16 v81, v78, v79
	v_cvt_f16_f32_e32 v76, v76
	v_cvt_f16_f32_e32 v77, v77
	;; [unrolled: 1-line block ×4, first 2 shown]
	v_bfe_u32 v83, v0, 4, 2
	v_pack_b32_f16 v80, v1, v80
	v_lshlrev_b32_e32 v1, 3, v83
	v_lshlrev_b32_e32 v78, 5, v84
	;; [unrolled: 1-line block ×3, first 2 shown]
	v_pk_mul_f32 v[70:71], v[88:89], v[70:71] op_sel_hi:[0,1]
	v_pk_mul_f32 v[72:73], v[88:89], v[72:73] op_sel_hi:[0,1]
	;; [unrolled: 1-line block ×4, first 2 shown]
	v_or3_b32 v74, v74, v78, v1
	v_pack_b32_f16 v76, v76, v77
	v_pack_b32_f16 v77, v79, v75
	v_cvt_f16_f32_e32 v1, v72
	v_cvt_f16_f32_e32 v72, v73
	v_cvt_f16_f32_e32 v70, v70
	v_cvt_f16_f32_e32 v71, v71
	v_cvt_f16_f32_e32 v68, v68
	v_cvt_f16_f32_e32 v69, v69
	v_cvt_f16_f32_e32 v73, v66
	v_cvt_f16_f32_e32 v75, v67
	v_pack_b32_f16 v66, v1, v72
	v_pack_b32_f16 v67, v70, v71
	;; [unrolled: 1-line block ×4, first 2 shown]
	v_cmp_gt_u32_e32 vcc, 12, v0
	ds_write2st64_b64 v74, v[80:81], v[76:77] offset1:1
	ds_write2st64_b64 v74, v[66:67], v[68:69] offset0:2 offset1:3
	s_and_saveexec_b64 s[4:5], vcc
	s_cbranch_execz .LBB203_17
; %bb.16:
	s_mov_b32 s41, 0
	v_mov_b32_e32 v85, 0
	v_lshl_add_u64 v[66:67], s[40:41], 0, v[84:85]
	v_mov_b32_e32 v1, s7
	v_mad_u64_u32 v[66:67], s[12:13], s2, v1, v[66:67]
	s_mul_i32 s3, s3, s7
	v_mov_b32_e32 v68, s26
	v_mov_b32_e32 v69, v85
	s_load_dwordx4 s[8:11], s[0:1], 0x58
	v_add_u32_e32 v1, s3, v67
	v_mad_u64_u32 v[66:67], s[12:13], v66, s6, v[68:69]
	v_mov_b32_e32 v68, v67
	v_mad_u64_u32 v[68:69], s[12:13], v1, s6, v[68:69]
	v_mov_b32_e32 v67, v68
	v_lshlrev_b64 v[66:67], 2, v[66:67]
	s_waitcnt lgkmcnt(0)
	v_lshl_add_u64 v[68:69], s[10:11], 0, v[66:67]
	v_lshl_add_u64 v[66:67], s[8:9], 0, v[66:67]
	global_store_dword v[68:69], v86, off
	global_store_dword v[66:67], v87, off
.LBB203_17:
	s_or_b64 exec, exec, s[4:5]
	v_lshl_or_b32 v1, v83, 9, v78
	s_waitcnt lgkmcnt(0)
	s_barrier
	ds_read_b128 v[70:73], v1
	ds_read_b128 v[66:69], v1 offset:16
	s_waitcnt vmcnt(15) lgkmcnt(1)
	v_mfma_f32_16x16x16_f16 v[76:79], v[30:31], v[70:71], 0
	s_mov_b32 s3, 0
	v_cmp_gt_u32_e32 vcc, 64, v0
	v_mfma_f32_16x16x16_f16 v[30:33], v[32:33], v[72:73], v[76:79]
	s_waitcnt vmcnt(14) lgkmcnt(0)
	v_mfma_f32_16x16x16_f16 v[30:33], v[26:27], v[66:67], v[30:33]
	v_mfma_f32_16x16x16_f16 v[26:29], v[28:29], v[68:69], v[30:33]
	s_nop 5
	ds_read_b128 v[30:33], v1 offset:2048
	ds_read_b128 v[76:79], v1 offset:2064
	s_waitcnt vmcnt(13) lgkmcnt(1)
	v_mfma_f32_16x16x16_f16 v[26:29], v[22:23], v[30:31], v[26:29]
	v_mfma_f32_16x16x16_f16 v[22:25], v[24:25], v[32:33], v[26:29]
	s_waitcnt vmcnt(12) lgkmcnt(0)
	v_mfma_f32_16x16x16_f16 v[22:25], v[18:19], v[76:77], v[22:25]
	v_mfma_f32_16x16x16_f16 v[18:21], v[20:21], v[78:79], v[22:25]
	s_nop 5
	ds_read_b128 v[22:25], v1 offset:4096
	ds_read_b128 v[26:29], v1 offset:4112
	s_waitcnt vmcnt(11) lgkmcnt(1)
	v_mfma_f32_16x16x16_f16 v[18:21], v[14:15], v[22:23], v[18:21]
	v_mfma_f32_16x16x16_f16 v[14:17], v[16:17], v[24:25], v[18:21]
	s_waitcnt vmcnt(10) lgkmcnt(0)
	v_mfma_f32_16x16x16_f16 v[14:17], v[10:11], v[26:27], v[14:17]
	v_mfma_f32_16x16x16_f16 v[10:13], v[12:13], v[28:29], v[14:17]
	s_nop 5
	ds_read_b128 v[14:17], v1 offset:6144
	ds_read_b128 v[18:21], v1 offset:6160
	s_waitcnt lgkmcnt(0)
	s_barrier
	s_waitcnt vmcnt(9)
	v_mfma_f32_16x16x16_f16 v[10:13], v[6:7], v[14:15], v[10:13]
	v_mfma_f32_16x16x16_f16 v[6:9], v[8:9], v[16:17], v[10:13]
	s_waitcnt vmcnt(8)
	v_mfma_f32_16x16x16_f16 v[6:9], v[2:3], v[18:19], v[6:9]
	v_mfma_f32_16x16x16_f16 v[2:5], v[4:5], v[20:21], v[6:9]
	;; [unrolled: 3-line block ×3, first 2 shown]
	s_nop 3
	v_cvt_f16_f32_e32 v1, v2
	v_cvt_f16_f32_e32 v10, v3
	;; [unrolled: 1-line block ×3, first 2 shown]
	s_waitcnt vmcnt(6)
	v_mfma_f32_16x16x16_f16 v[6:9], v[38:39], v[66:67], v[6:9]
	v_cvt_f16_f32_e32 v12, v5
	v_mfma_f32_16x16x16_f16 v[6:9], v[40:41], v[68:69], v[6:9]
	s_waitcnt vmcnt(5)
	v_mfma_f32_16x16x16_f16 v[6:9], v[42:43], v[30:31], v[6:9]
	v_mfma_f32_16x16x16_f16 v[6:9], v[44:45], v[32:33], v[6:9]
	s_waitcnt vmcnt(4)
	v_mfma_f32_16x16x16_f16 v[6:9], v[34:35], v[76:77], v[6:9]
	;; [unrolled: 3-line block ×6, first 2 shown]
	v_mfma_f32_16x16x16_f16 v[2:5], v[60:61], v[20:21], v[6:9]
	s_nop 6
	v_cvt_f16_f32_e32 v6, v2
	v_cvt_f16_f32_e32 v7, v3
	v_cvt_f16_f32_e32 v8, v4
	v_cvt_f16_f32_e32 v5, v5
	v_pack_b32_f16 v2, v1, v10
	v_pack_b32_f16 v3, v11, v12
	;; [unrolled: 1-line block ×4, first 2 shown]
	ds_write2st64_b64 v74, v[2:3], v[4:5] offset1:1
	s_waitcnt lgkmcnt(0)
	s_barrier
	s_and_saveexec_b64 s[4:5], vcc
	s_cbranch_execz .LBB203_19
; %bb.18:
	s_load_dwordx2 s[0:1], s[0:1], 0x68
	s_lshl_b32 s6, s6, 7
	s_mul_i32 s2, s7, s2
	s_mul_hi_u32 s5, s2, s6
	s_mul_i32 s4, s2, s6
	s_lshl_b64 s[4:5], s[4:5], 1
	v_lshlrev_b32_e32 v3, 6, v84
	s_waitcnt lgkmcnt(0)
	s_add_u32 s4, s0, s4
	v_lshlrev_b32_e32 v2, 4, v0
	v_lshl_or_b32 v0, v0, 10, v3
	s_addc_u32 s5, s1, s5
	s_lshl_b32 s2, s26, 7
	v_lshlrev_b32_e32 v1, 5, v83
	v_and_b32_e32 v2, 16, v2
	v_and_b32_e32 v0, 0x1a00, v0
	s_lshl_b64 s[0:1], s[2:3], 1
	v_or3_b32 v0, v0, v1, v2
	s_add_u32 s0, s4, s0
	ds_read_b128 v[2:5], v0
	ds_read_b128 v[6:9], v0 offset:128
	ds_read_b128 v[10:13], v0 offset:256
	s_addc_u32 s1, s5, s1
	v_or_b32_e32 v16, s40, v83
	v_mov_b32_e32 v83, 0
	v_lshl_add_u64 v[0:1], s[0:1], 0, v[82:83]
	v_mad_u64_u32 v[14:15], s[0:1], v16, s6, 0
	v_lshl_add_u64 v[14:15], v[14:15], 1, v[0:1]
	s_waitcnt lgkmcnt(2)
	global_store_dwordx4 v[14:15], v[2:5], off
	s_nop 1
	v_add_u32_e32 v2, 4, v16
	v_mad_u64_u32 v[2:3], s[0:1], v2, s6, 0
	v_lshl_add_u64 v[2:3], v[2:3], 1, v[0:1]
	s_waitcnt lgkmcnt(1)
	global_store_dwordx4 v[2:3], v[6:9], off
	v_add_u32_e32 v2, 8, v16
	v_mad_u64_u32 v[2:3], s[0:1], v2, s6, 0
	v_lshl_add_u64 v[0:1], v[2:3], 1, v[0:1]
	s_waitcnt lgkmcnt(0)
	global_store_dwordx4 v[0:1], v[10:13], off
.LBB203_19:
	s_endpgm
	.section	.rodata,"a",@progbits
	.p2align	6, 0x0
	.amdhsa_kernel _Z39paged_attention_ll4mi_QKV_mfma16_kernelIDF16_DF16_LN4vllm18Fp8KVCacheDataTypeE0EhLi16ELi128ELi256ELb1ELi12EEvPKT_PKT0_S7_ifPKiS9_S9_iPKfiiiPfSC_PS2_PT2_iSB_SB_
		.amdhsa_group_segment_fixed_size 8192
		.amdhsa_private_segment_fixed_size 0
		.amdhsa_kernarg_size 400
		.amdhsa_user_sgpr_count 2
		.amdhsa_user_sgpr_dispatch_ptr 0
		.amdhsa_user_sgpr_queue_ptr 0
		.amdhsa_user_sgpr_kernarg_segment_ptr 1
		.amdhsa_user_sgpr_dispatch_id 0
		.amdhsa_user_sgpr_kernarg_preload_length 0
		.amdhsa_user_sgpr_kernarg_preload_offset 0
		.amdhsa_user_sgpr_private_segment_size 0
		.amdhsa_uses_dynamic_stack 0
		.amdhsa_enable_private_segment 0
		.amdhsa_system_sgpr_workgroup_id_x 1
		.amdhsa_system_sgpr_workgroup_id_y 1
		.amdhsa_system_sgpr_workgroup_id_z 1
		.amdhsa_system_sgpr_workgroup_info 0
		.amdhsa_system_vgpr_workitem_id 0
		.amdhsa_next_free_vgpr 96
		.amdhsa_next_free_sgpr 42
		.amdhsa_accum_offset 96
		.amdhsa_reserve_vcc 1
		.amdhsa_float_round_mode_32 0
		.amdhsa_float_round_mode_16_64 0
		.amdhsa_float_denorm_mode_32 3
		.amdhsa_float_denorm_mode_16_64 3
		.amdhsa_dx10_clamp 1
		.amdhsa_ieee_mode 1
		.amdhsa_fp16_overflow 0
		.amdhsa_tg_split 0
		.amdhsa_exception_fp_ieee_invalid_op 0
		.amdhsa_exception_fp_denorm_src 0
		.amdhsa_exception_fp_ieee_div_zero 0
		.amdhsa_exception_fp_ieee_overflow 0
		.amdhsa_exception_fp_ieee_underflow 0
		.amdhsa_exception_fp_ieee_inexact 0
		.amdhsa_exception_int_div_zero 0
	.end_amdhsa_kernel
	.section	.text._Z39paged_attention_ll4mi_QKV_mfma16_kernelIDF16_DF16_LN4vllm18Fp8KVCacheDataTypeE0EhLi16ELi128ELi256ELb1ELi12EEvPKT_PKT0_S7_ifPKiS9_S9_iPKfiiiPfSC_PS2_PT2_iSB_SB_,"axG",@progbits,_Z39paged_attention_ll4mi_QKV_mfma16_kernelIDF16_DF16_LN4vllm18Fp8KVCacheDataTypeE0EhLi16ELi128ELi256ELb1ELi12EEvPKT_PKT0_S7_ifPKiS9_S9_iPKfiiiPfSC_PS2_PT2_iSB_SB_,comdat
.Lfunc_end203:
	.size	_Z39paged_attention_ll4mi_QKV_mfma16_kernelIDF16_DF16_LN4vllm18Fp8KVCacheDataTypeE0EhLi16ELi128ELi256ELb1ELi12EEvPKT_PKT0_S7_ifPKiS9_S9_iPKfiiiPfSC_PS2_PT2_iSB_SB_, .Lfunc_end203-_Z39paged_attention_ll4mi_QKV_mfma16_kernelIDF16_DF16_LN4vllm18Fp8KVCacheDataTypeE0EhLi16ELi128ELi256ELb1ELi12EEvPKT_PKT0_S7_ifPKiS9_S9_iPKfiiiPfSC_PS2_PT2_iSB_SB_
                                        ; -- End function
	.section	.AMDGPU.csdata,"",@progbits
; Kernel info:
; codeLenInByte = 4716
; NumSgprs: 48
; NumVgprs: 96
; NumAgprs: 0
; TotalNumVgprs: 96
; ScratchSize: 0
; MemoryBound: 0
; FloatMode: 240
; IeeeMode: 1
; LDSByteSize: 8192 bytes/workgroup (compile time only)
; SGPRBlocks: 5
; VGPRBlocks: 11
; NumSGPRsForWavesPerEU: 48
; NumVGPRsForWavesPerEU: 96
; AccumOffset: 96
; Occupancy: 5
; WaveLimiterHint : 1
; COMPUTE_PGM_RSRC2:SCRATCH_EN: 0
; COMPUTE_PGM_RSRC2:USER_SGPR: 2
; COMPUTE_PGM_RSRC2:TRAP_HANDLER: 0
; COMPUTE_PGM_RSRC2:TGID_X_EN: 1
; COMPUTE_PGM_RSRC2:TGID_Y_EN: 1
; COMPUTE_PGM_RSRC2:TGID_Z_EN: 1
; COMPUTE_PGM_RSRC2:TIDIG_COMP_CNT: 0
; COMPUTE_PGM_RSRC3_GFX90A:ACCUM_OFFSET: 23
; COMPUTE_PGM_RSRC3_GFX90A:TG_SPLIT: 0
	.section	.text._Z39paged_attention_ll4mi_QKV_mfma16_kernelIDF16_DF16_LN4vllm18Fp8KVCacheDataTypeE0EhLi16ELi128ELi256ELb1ELi13EEvPKT_PKT0_S7_ifPKiS9_S9_iPKfiiiPfSC_PS2_PT2_iSB_SB_,"axG",@progbits,_Z39paged_attention_ll4mi_QKV_mfma16_kernelIDF16_DF16_LN4vllm18Fp8KVCacheDataTypeE0EhLi16ELi128ELi256ELb1ELi13EEvPKT_PKT0_S7_ifPKiS9_S9_iPKfiiiPfSC_PS2_PT2_iSB_SB_,comdat
	.protected	_Z39paged_attention_ll4mi_QKV_mfma16_kernelIDF16_DF16_LN4vllm18Fp8KVCacheDataTypeE0EhLi16ELi128ELi256ELb1ELi13EEvPKT_PKT0_S7_ifPKiS9_S9_iPKfiiiPfSC_PS2_PT2_iSB_SB_ ; -- Begin function _Z39paged_attention_ll4mi_QKV_mfma16_kernelIDF16_DF16_LN4vllm18Fp8KVCacheDataTypeE0EhLi16ELi128ELi256ELb1ELi13EEvPKT_PKT0_S7_ifPKiS9_S9_iPKfiiiPfSC_PS2_PT2_iSB_SB_
	.globl	_Z39paged_attention_ll4mi_QKV_mfma16_kernelIDF16_DF16_LN4vllm18Fp8KVCacheDataTypeE0EhLi16ELi128ELi256ELb1ELi13EEvPKT_PKT0_S7_ifPKiS9_S9_iPKfiiiPfSC_PS2_PT2_iSB_SB_
	.p2align	8
	.type	_Z39paged_attention_ll4mi_QKV_mfma16_kernelIDF16_DF16_LN4vllm18Fp8KVCacheDataTypeE0EhLi16ELi128ELi256ELb1ELi13EEvPKT_PKT0_S7_ifPKiS9_S9_iPKfiiiPfSC_PS2_PT2_iSB_SB_,@function
_Z39paged_attention_ll4mi_QKV_mfma16_kernelIDF16_DF16_LN4vllm18Fp8KVCacheDataTypeE0EhLi16ELi128ELi256ELb1ELi13EEvPKT_PKT0_S7_ifPKiS9_S9_iPKfiiiPfSC_PS2_PT2_iSB_SB_: ; @_Z39paged_attention_ll4mi_QKV_mfma16_kernelIDF16_DF16_LN4vllm18Fp8KVCacheDataTypeE0EhLi16ELi128ELi256ELb1ELi13EEvPKT_PKT0_S7_ifPKiS9_S9_iPKfiiiPfSC_PS2_PT2_iSB_SB_
; %bb.0:
	s_load_dwordx2 s[8:9], s[0:1], 0x30
	s_mov_b32 s26, s3
	s_mov_b64 s[6:7], 0
	s_waitcnt lgkmcnt(0)
	s_cmp_lg_u64 s[8:9], 0
	s_cselect_b64 s[10:11], -1, 0
	s_and_b64 vcc, exec, s[10:11]
	s_cbranch_vccz .LBB204_7
; %bb.1:
	s_add_i32 s12, s2, 1
	s_mov_b32 s13, 0
	s_lshl_b64 s[14:15], s[12:13], 2
	s_add_u32 s14, s8, s14
	s_mov_b32 s3, s13
	s_addc_u32 s15, s9, s15
	s_lshl_b64 s[12:13], s[2:3], 2
	s_add_u32 s12, s8, s12
	s_addc_u32 s13, s9, s13
	s_load_dword s5, s[14:15], 0x0
	s_load_dword s16, s[12:13], 0x0
	s_waitcnt lgkmcnt(0)
	s_sub_i32 s5, s5, s16
	s_cmp_eq_u32 s5, 1
	s_cselect_b64 s[12:13], -1, 0
	s_andn2_b64 vcc, exec, s[6:7]
	s_cbranch_vccnz .LBB204_3
.LBB204_2:
	s_mov_b32 s3, 0
	s_mov_b64 s[12:13], -1
.LBB204_3:
	s_andn2_b64 vcc, exec, s[12:13]
	s_cbranch_vccnz .LBB204_20
; %bb.4:
	s_load_dwordx2 s[6:7], s[0:1], 0x28
	s_lshl_b64 s[12:13], s[2:3], 2
	s_waitcnt lgkmcnt(0)
	s_add_u32 s6, s6, s12
	s_addc_u32 s7, s7, s13
	s_load_dword s27, s[6:7], 0x0
	s_lshl_b32 s18, s26, 8
	s_waitcnt lgkmcnt(0)
	s_cmp_ge_i32 s18, s27
	s_cbranch_scc1 .LBB204_20
; %bb.5:
	s_load_dwordx2 s[6:7], s[0:1], 0x20
	s_load_dword s5, s[0:1], 0x38
	s_add_i32 s14, s27, 15
	s_ashr_i32 s15, s14, 31
	v_and_b32_e32 v1, 0xcf, v0
	s_lshr_b32 s15, s15, 28
	v_add_u32_e32 v1, s18, v1
	s_add_i32 s14, s14, s15
	v_ashrrev_i32_e32 v2, 31, v1
	s_ashr_i32 s19, s14, 4
	v_lshrrev_b32_e32 v4, 28, v2
	s_add_i32 s19, s19, -1
	s_waitcnt lgkmcnt(0)
	s_mul_i32 s14, s2, s5
	s_mov_b32 s15, 0
	v_add_u32_e32 v2, v1, v4
	s_lshl_b64 s[14:15], s[14:15], 2
	v_ashrrev_i32_e32 v2, 4, v2
	v_mov_b32_e32 v5, s19
	v_cmp_gt_i32_e32 vcc, s27, v1
	s_add_u32 s6, s6, s14
	s_addc_u32 s7, s7, s15
	v_cndmask_b32_e32 v2, v5, v2, vcc
	v_ashrrev_i32_e32 v3, 31, v2
	v_lshl_add_u64 v[6:7], v[2:3], 2, s[6:7]
	v_or_b32_e32 v2, 16, v1
	v_add_u32_e32 v3, v2, v4
	v_ashrrev_i32_e32 v3, 4, v3
	v_cmp_gt_i32_e32 vcc, s27, v2
	s_load_dwordx2 s[14:15], s[0:1], 0x8
	s_nop 0
	v_cndmask_b32_e32 v2, v5, v3, vcc
	v_ashrrev_i32_e32 v3, 31, v2
	v_lshl_add_u64 v[8:9], v[2:3], 2, s[6:7]
	v_or_b32_e32 v2, 32, v1
	v_add_u32_e32 v3, v2, v4
	v_ashrrev_i32_e32 v3, 4, v3
	v_cmp_gt_i32_e32 vcc, s27, v2
	v_or_b32_e32 v1, 48, v1
	s_nop 0
	v_cndmask_b32_e32 v2, v5, v3, vcc
	v_ashrrev_i32_e32 v3, 31, v2
	v_lshl_add_u64 v[10:11], v[2:3], 2, s[6:7]
	v_add_u32_e32 v2, v1, v4
	v_ashrrev_i32_e32 v2, 4, v2
	v_cmp_gt_i32_e32 vcc, s27, v1
	s_nop 1
	v_cndmask_b32_e32 v2, v5, v2, vcc
	v_ashrrev_i32_e32 v3, 31, v2
	v_lshl_add_u64 v[12:13], v[2:3], 2, s[6:7]
	global_load_dword v5, v[6:7], off
	global_load_dword v4, v[8:9], off
	;; [unrolled: 1-line block ×4, first 2 shown]
	s_andn2_b64 vcc, exec, s[10:11]
	s_cbranch_vccnz .LBB204_8
; %bb.6:
	s_add_u32 s8, s8, s12
	s_addc_u32 s9, s9, s13
	s_load_dword s5, s[8:9], 0x0
	s_branch .LBB204_9
.LBB204_7:
	s_mov_b64 s[12:13], 0
	s_branch .LBB204_2
.LBB204_8:
	s_mov_b32 s5, s2
.LBB204_9:
	s_load_dwordx2 s[12:13], s[0:1], 0x10
	s_load_dwordx4 s[8:11], s[0:1], 0x48
	v_lshrrev_b32_e32 v85, 6, v0
	v_bfe_u32 v88, v0, 4, 2
	v_and_b32_e32 v84, 15, v0
	v_lshl_or_b32 v1, v85, 2, v88
	v_lshlrev_b32_e32 v6, 3, v84
	s_mul_i32 s40, s4, 13
	v_cmp_gt_u32_e32 vcc, 13, v1
	v_lshlrev_b32_e32 v82, 1, v6
	s_and_saveexec_b64 s[16:17], vcc
	s_cbranch_execz .LBB204_11
; %bb.10:
	s_load_dwordx2 s[20:21], s[0:1], 0x0
	s_waitcnt lgkmcnt(0)
	s_ashr_i32 s11, s8, 31
	s_mul_hi_u32 s22, s5, s8
	s_mul_i32 s11, s5, s11
	s_add_i32 s23, s22, s11
	s_mul_i32 s22, s5, s8
	s_lshl_b64 s[22:23], s[22:23], 1
	s_add_u32 s20, s20, s22
	v_add_lshl_u32 v6, v1, s40, 7
	s_addc_u32 s21, s21, s23
	v_ashrrev_i32_e32 v7, 31, v6
	v_lshl_add_u64 v[6:7], v[6:7], 1, s[20:21]
	v_mov_b32_e32 v83, 0
	v_lshl_add_u64 v[6:7], v[6:7], 0, v[82:83]
	global_load_dwordx4 v[6:9], v[6:7], off
	v_and_b32_e32 v10, 3, v0
	v_lshlrev_b32_e32 v11, 9, v84
	v_lshlrev_b32_e32 v1, 5, v1
	;; [unrolled: 1-line block ×3, first 2 shown]
	v_and_b32_e32 v11, 0x1800, v11
	v_or3_b32 v1, v11, v10, v1
	s_waitcnt vmcnt(0)
	ds_write_b128 v1, v[6:9]
.LBB204_11:
	s_or_b64 exec, exec, s[16:17]
	s_waitcnt lgkmcnt(0)
	s_mul_i32 s4, s4, s10
	s_mov_b32 s5, 0
	s_lshl_b64 s[4:5], s[4:5], 1
	s_add_u32 s10, s14, s4
	v_lshlrev_b32_e32 v1, 4, v0
	s_addc_u32 s11, s15, s5
	v_and_b32_e32 v86, 0xf0, v1
	v_mov_b32_e32 v87, 0
	v_lshl_add_u64 v[6:7], s[10:11], 0, v[86:87]
	s_waitcnt vmcnt(3)
	v_mad_i64_i32 v[8:9], s[10:11], v5, s9, 0
	s_waitcnt vmcnt(2)
	v_mad_i64_i32 v[4:5], s[10:11], v4, s9, 0
	v_lshl_add_u64 v[8:9], v[8:9], 1, v[6:7]
	v_and_b32_e32 v86, 0x300, v1
	v_lshl_add_u64 v[4:5], v[4:5], 1, v[6:7]
	v_lshl_add_u64 v[8:9], v[8:9], 0, v[86:87]
	;; [unrolled: 1-line block ×3, first 2 shown]
	s_barrier
	global_load_dwordx4 v[78:81], v[8:9], off
	global_load_dwordx4 v[74:77], v[8:9], off offset:1024
	global_load_dwordx4 v[70:73], v[8:9], off offset:2048
	;; [unrolled: 1-line block ×3, first 2 shown]
	global_load_dwordx4 v[66:69], v[4:5], off
	global_load_dwordx4 v[62:65], v[4:5], off offset:1024
	global_load_dwordx4 v[58:61], v[4:5], off offset:2048
	;; [unrolled: 1-line block ×3, first 2 shown]
	s_waitcnt vmcnt(9)
	v_mad_i64_i32 v[4:5], s[10:11], v3, s9, 0
	s_waitcnt vmcnt(8)
	v_mad_i64_i32 v[2:3], s[10:11], v2, s9, 0
	v_lshl_add_u64 v[4:5], v[4:5], 1, v[6:7]
	v_lshl_add_u64 v[2:3], v[2:3], 1, v[6:7]
	;; [unrolled: 1-line block ×4, first 2 shown]
	global_load_dwordx4 v[30:33], v[4:5], off
	global_load_dwordx4 v[26:29], v[4:5], off offset:1024
	global_load_dwordx4 v[22:25], v[4:5], off offset:2048
	;; [unrolled: 1-line block ×3, first 2 shown]
	global_load_dwordx4 v[6:9], v[34:35], off
	s_nop 0
	global_load_dwordx4 v[2:5], v[34:35], off offset:1024
	global_load_dwordx4 v[38:41], v[34:35], off offset:2048
	s_nop 0
	global_load_dwordx4 v[34:37], v[34:35], off offset:3072
	v_add_u32_e32 v42, -13, v84
	v_cmp_gt_u32_e32 vcc, 13, v84
	v_and_b32_e32 v83, 63, v0
	v_mov_b32_e32 v89, 0
	v_cndmask_b32_e32 v42, v42, v84, vcc
	v_lshlrev_b32_e32 v42, 5, v42
	v_lshl_add_u32 v42, v88, 9, v42
	ds_read_b128 v[54:57], v42
	ds_read_b128 v[50:53], v42 offset:2048
	ds_read_b128 v[46:49], v42 offset:4096
	;; [unrolled: 1-line block ×3, first 2 shown]
	s_and_saveexec_b64 s[10:11], vcc
	s_cbranch_execz .LBB204_13
; %bb.12:
	s_load_dwordx2 s[14:15], s[0:1], 0x40
	v_add_u32_e32 v90, s40, v84
	v_ashrrev_i32_e32 v91, 31, v90
	s_waitcnt lgkmcnt(0)
	v_lshl_add_u64 v[90:91], v[90:91], 2, s[14:15]
	global_load_dword v89, v[90:91], off
.LBB204_13:
	s_or_b64 exec, exec, s[10:11]
	s_waitcnt vmcnt(15) lgkmcnt(3)
	v_mfma_f32_16x16x16_f16 v[90:93], v[78:79], v[54:55], 0
	s_add_u32 s4, s12, s4
	s_addc_u32 s5, s13, s5
	s_mov_b32 s33, 0xff7fffff
	v_mfma_f32_16x16x16_f16 v[78:81], v[80:81], v[56:57], v[90:93]
	s_waitcnt vmcnt(14) lgkmcnt(2)
	v_mfma_f32_16x16x16_f16 v[78:81], v[74:75], v[50:51], v[78:81]
	s_nop 0
	v_lshl_or_b32 v90, v85, 4, v84
	v_lshlrev_b32_e32 v86, 5, v90
	v_mfma_f32_16x16x16_f16 v[74:77], v[76:77], v[52:53], v[78:81]
	s_waitcnt vmcnt(13) lgkmcnt(1)
	v_mfma_f32_16x16x16_f16 v[74:77], v[70:71], v[46:47], v[74:77]
	v_mfma_f32_16x16x16_f16 v[70:73], v[72:73], v[48:49], v[74:77]
	s_waitcnt vmcnt(11)
	v_mfma_f32_16x16x16_f16 v[74:77], v[66:67], v[54:55], 0
	v_mfma_f32_16x16x16_f16 v[66:69], v[68:69], v[56:57], v[74:77]
	s_nop 5
	v_and_or_b32 v74, v0, 48, s18
	s_waitcnt lgkmcnt(0)
	v_mfma_f32_16x16x16_f16 v[70:73], v[10:11], v[42:43], v[70:73]
	v_ashrrev_i32_e32 v10, 4, v74
	v_mov_b32_e32 v75, s19
	v_cmp_gt_i32_e32 vcc, s27, v74
	s_waitcnt vmcnt(10)
	v_mfma_f32_16x16x16_f16 v[66:69], v[62:63], v[50:51], v[66:69]
	v_cndmask_b32_e32 v10, v75, v10, vcc
	v_ashrrev_i32_e32 v11, 31, v10
	v_lshl_add_u64 v[10:11], v[10:11], 2, s[6:7]
	global_load_dword v76, v[10:11], off
	v_mfma_f32_16x16x16_f16 v[62:65], v[64:65], v[52:53], v[66:69]
	v_or_b32_e32 v10, 64, v74
	v_ashrrev_i32_e32 v11, 4, v10
	v_cmp_gt_i32_e32 vcc, s27, v10
	s_waitcnt vmcnt(10)
	v_mfma_f32_16x16x16_f16 v[62:65], v[58:59], v[46:47], v[62:65]
	v_cndmask_b32_e32 v10, v75, v11, vcc
	v_ashrrev_i32_e32 v11, 31, v10
	v_lshl_add_u64 v[10:11], v[10:11], 2, s[6:7]
	global_load_dword v77, v[10:11], off
	v_or_b32_e32 v10, 0x80, v74
	v_mfma_f32_16x16x16_f16 v[58:61], v[60:61], v[48:49], v[62:65]
	v_ashrrev_i32_e32 v11, 4, v10
	v_cmp_gt_i32_e32 vcc, s27, v10
	s_waitcnt vmcnt(9)
	v_mfma_f32_16x16x16_f16 v[62:65], v[30:31], v[54:55], 0
	v_cndmask_b32_e32 v10, v75, v11, vcc
	v_ashrrev_i32_e32 v11, 31, v10
	v_lshl_add_u64 v[10:11], v[10:11], 2, s[6:7]
	v_mfma_f32_16x16x16_f16 v[30:33], v[32:33], v[56:57], v[62:65]
	s_nop 2
	global_load_dword v64, v[10:11], off
	v_or_b32_e32 v10, 0xc0, v74
	v_ashrrev_i32_e32 v11, 4, v10
	v_cmp_gt_i32_e32 vcc, s27, v10
	s_waitcnt vmcnt(9)
	v_mfma_f32_16x16x16_f16 v[30:33], v[26:27], v[50:51], v[30:33]
	v_lshl_add_u64 v[62:63], s[4:5], 0, v[86:87]
	v_cndmask_b32_e32 v10, v75, v11, vcc
	v_ashrrev_i32_e32 v11, 31, v10
	v_lshl_add_u64 v[10:11], v[10:11], 2, s[6:7]
	global_load_dword v65, v[10:11], off
	v_mfma_f32_16x16x16_f16 v[26:29], v[28:29], v[52:53], v[30:33]
	s_load_dword s6, s[0:1], 0x1c
	v_or_b32_e32 v86, 0x800, v86
	s_waitcnt vmcnt(3)
	v_mad_i64_i32 v[10:11], s[10:11], v76, s9, 0
	v_mfma_f32_16x16x16_f16 v[26:29], v[22:23], v[46:47], v[26:29]
	v_lshlrev_b64 v[74:75], 1, v[10:11]
	v_mfma_f32_16x16x16_f16 v[66:69], v[12:13], v[44:45], v[70:73]
	v_mfma_f32_16x16x16_f16 v[10:13], v[24:25], v[48:49], v[26:29]
	;; [unrolled: 1-line block ×3, first 2 shown]
	v_lshl_add_u64 v[14:15], v[62:63], 0, v[74:75]
	s_waitcnt lgkmcnt(0)
	s_nop 2
	v_pk_mul_f32 v[78:79], s[6:7], v[68:69] op_sel_hi:[0,1]
	v_mfma_f32_16x16x16_f16 v[10:13], v[18:19], v[42:43], v[10:13]
	v_mfma_f32_16x16x16_f16 v[70:73], v[16:17], v[44:45], v[30:33]
	s_nop 2
	global_load_dwordx4 v[30:33], v[14:15], off
	global_load_dwordx4 v[26:29], v[14:15], off offset:16
	s_waitcnt vmcnt(4)
	v_mad_i64_i32 v[14:15], s[10:11], v77, s9, 0
	v_lshlrev_b64 v[58:59], 1, v[14:15]
	v_mfma_f32_16x16x16_f16 v[92:95], v[20:21], v[44:45], v[10:13]
	v_pk_mul_f32 v[76:77], s[6:7], v[70:71] op_sel_hi:[0,1]
	s_nop 1
	v_lshl_add_u64 v[10:11], v[62:63], 0, v[58:59]
	global_load_dwordx4 v[22:25], v[10:11], off
	global_load_dwordx4 v[18:21], v[10:11], off offset:16
	v_mfma_f32_16x16x16_f16 v[10:13], v[6:7], v[54:55], 0
	s_waitcnt vmcnt(5)
	v_mad_i64_i32 v[6:7], s[10:11], v64, s9, 0
	v_lshlrev_b64 v[54:55], 1, v[6:7]
	v_mfma_f32_16x16x16_f16 v[6:9], v[8:9], v[56:57], v[10:13]
	v_pk_mul_f32 v[70:71], s[6:7], v[94:95] op_sel_hi:[0,1]
	v_mfma_f32_16x16x16_f16 v[6:9], v[2:3], v[50:51], v[6:9]
	s_waitcnt vmcnt(4)
	v_mad_i64_i32 v[2:3], s[8:9], v65, s9, 0
	v_lshlrev_b64 v[60:61], 1, v[2:3]
	v_mfma_f32_16x16x16_f16 v[50:53], v[4:5], v[52:53], v[6:9]
	v_lshl_add_u64 v[10:11], v[62:63], 0, v[54:55]
	v_lshl_add_u64 v[2:3], v[62:63], 0, v[60:61]
	v_pk_mul_f32 v[62:63], s[6:7], v[66:67] op_sel_hi:[0,1]
	v_mfma_f32_16x16x16_f16 v[50:53], v[38:39], v[46:47], v[50:53]
	v_lshl_add_u64 v[64:65], s[4:5], 0, v[86:87]
	v_lshl_add_u64 v[38:39], v[64:65], 0, v[74:75]
	v_pk_mul_f32 v[74:75], s[6:7], v[72:73] op_sel_hi:[0,1]
	v_mfma_f32_16x16x16_f16 v[46:49], v[40:41], v[48:49], v[50:53]
	v_pk_mul_f32 v[72:73], s[6:7], v[92:93] op_sel_hi:[0,1]
	global_load_dwordx4 v[14:17], v[10:11], off
	s_nop 0
	global_load_dwordx4 v[10:13], v[10:11], off offset:16
	s_nop 0
	global_load_dwordx4 v[6:9], v[2:3], off
	s_nop 0
	global_load_dwordx4 v[2:5], v[2:3], off offset:16
	v_mfma_f32_16x16x16_f16 v[40:43], v[34:35], v[42:43], v[46:49]
	v_mfma_f32_16x16x16_f16 v[34:37], v[36:37], v[44:45], v[40:43]
	s_nop 6
	v_pk_mul_f32 v[68:69], s[6:7], v[34:35] op_sel_hi:[0,1]
	v_and_b32_e32 v34, 0xc0, v0
	v_add_u32_e32 v34, s18, v34
	v_lshl_or_b32 v34, v88, 2, v34
	v_or_b32_e32 v35, 1, v34
	v_pk_mul_f32 v[66:67], s[6:7], v[36:37] op_sel_hi:[0,1]
	v_subrev_u32_e32 v36, s27, v35
	v_add_u32_e32 v40, 1, v36
	v_add_u32_e32 v41, 2, v36
	v_cvt_f32_i32_e32 v37, v36
	v_cvt_f32_i32_e32 v40, v40
	;; [unrolled: 1-line block ×3, first 2 shown]
	v_add_u32_e32 v42, 3, v36
	v_fma_f32 v62, v89, v37, v62
	v_fmac_f32_e32 v63, v89, v40
	v_fma_f32 v78, v89, v41, v78
	v_add_u32_e32 v37, 16, v36
	v_add_u32_e32 v40, 17, v36
	;; [unrolled: 1-line block ×3, first 2 shown]
	v_cvt_f32_i32_e32 v42, v42
	v_cvt_f32_i32_e32 v37, v37
	;; [unrolled: 1-line block ×4, first 2 shown]
	v_fmac_f32_e32 v79, v89, v42
	v_add_u32_e32 v42, 19, v36
	v_fma_f32 v76, v89, v37, v76
	v_fmac_f32_e32 v77, v89, v40
	v_fma_f32 v74, v89, v41, v74
	v_add_u32_e32 v37, 32, v36
	v_add_u32_e32 v40, 33, v36
	v_add_u32_e32 v41, 34, v36
	v_cvt_f32_i32_e32 v42, v42
	v_cvt_f32_i32_e32 v37, v37
	;; [unrolled: 1-line block ×4, first 2 shown]
	v_fmac_f32_e32 v75, v89, v42
	v_add_u32_e32 v42, 35, v36
	v_fma_f32 v72, v89, v37, v72
	v_fmac_f32_e32 v73, v89, v40
	v_fma_f32 v70, v89, v41, v70
	v_add_u32_e32 v37, 48, v36
	v_add_u32_e32 v40, 49, v36
	;; [unrolled: 1-line block ×4, first 2 shown]
	v_cvt_f32_i32_e32 v36, v36
	v_cvt_f32_i32_e32 v37, v37
	;; [unrolled: 1-line block ×3, first 2 shown]
	v_cmp_gt_i32_e64 s[28:29], s27, v34
	v_fmac_f32_e32 v67, v89, v36
	v_mov_b32_e32 v36, 0xff7fffff
	v_cmp_gt_i32_e64 s[30:31], s27, v35
	v_fma_f32 v68, v89, v37, v68
	v_cndmask_b32_e64 v37, v36, v62, s[28:29]
	v_cndmask_b32_e64 v35, v36, v63, s[30:31]
	v_fmac_f32_e32 v69, v89, v40
	v_max3_f32 v35, v37, s33, v35
	v_or_b32_e32 v37, 2, v34
	v_or_b32_e32 v40, 3, v34
	v_cmp_gt_i32_e64 s[34:35], s27, v37
	v_cmp_gt_i32_e64 s[36:37], s27, v40
	v_cvt_f32_i32_e32 v42, v42
	v_cndmask_b32_e64 v37, v36, v78, s[34:35]
	v_cndmask_b32_e64 v40, v36, v79, s[36:37]
	v_max3_f32 v35, v35, v37, v40
	v_or_b32_e32 v37, 16, v34
	v_or_b32_e32 v40, 17, v34
	v_cmp_gt_i32_e64 s[22:23], s27, v37
	v_cmp_gt_i32_e64 s[24:25], s27, v40
	v_fmac_f32_e32 v71, v89, v42
	v_cndmask_b32_e64 v37, v36, v76, s[22:23]
	v_cndmask_b32_e64 v40, v36, v77, s[24:25]
	v_max3_f32 v35, v35, v37, v40
	v_or_b32_e32 v37, 18, v34
	v_or_b32_e32 v40, 19, v34
	v_cmp_gt_i32_e64 s[18:19], s27, v37
	v_cmp_gt_i32_e64 s[20:21], s27, v40
	v_cvt_f32_i32_e32 v41, v41
	v_cndmask_b32_e64 v37, v36, v74, s[18:19]
	v_cndmask_b32_e64 v40, v36, v75, s[20:21]
	v_max3_f32 v35, v35, v37, v40
	v_or_b32_e32 v37, 32, v34
	v_or_b32_e32 v40, 33, v34
	v_cmp_gt_i32_e64 s[14:15], s27, v37
	v_cmp_gt_i32_e64 s[16:17], s27, v40
	v_fma_f32 v66, v89, v41, v66
	v_cndmask_b32_e64 v37, v36, v72, s[14:15]
	v_cndmask_b32_e64 v40, v36, v73, s[16:17]
	v_max3_f32 v35, v35, v37, v40
	v_or_b32_e32 v37, 34, v34
	v_or_b32_e32 v40, 35, v34
	v_cmp_gt_i32_e64 s[10:11], s27, v37
	v_cmp_gt_i32_e64 s[12:13], s27, v40
	s_nop 0
	v_cndmask_b32_e64 v37, v36, v70, s[10:11]
	v_cndmask_b32_e64 v40, v36, v71, s[12:13]
	v_max3_f32 v35, v35, v37, v40
	v_or_b32_e32 v37, 48, v34
	v_or_b32_e32 v40, 49, v34
	v_cmp_gt_i32_e64 s[6:7], s27, v37
	v_cmp_gt_i32_e64 s[8:9], s27, v40
	s_nop 0
	v_cndmask_b32_e64 v37, v36, v68, s[6:7]
	v_cndmask_b32_e64 v40, v36, v69, s[8:9]
	v_max3_f32 v35, v35, v37, v40
	v_or_b32_e32 v37, 50, v34
	v_or_b32_e32 v34, 51, v34
	v_cmp_gt_i32_e32 vcc, s27, v37
	v_cmp_gt_i32_e64 s[4:5], s27, v34
	global_load_dwordx4 v[46:49], v[38:39], off
	s_nop 0
	global_load_dwordx4 v[38:41], v[38:39], off offset:16
	v_cndmask_b32_e32 v37, v36, v66, vcc
	v_cndmask_b32_e64 v34, v36, v67, s[4:5]
	v_max3_f32 v50, v35, v37, v34
	v_mbcnt_lo_u32_b32 v34, -1, 0
	v_mbcnt_hi_u32_b32 v51, -1, v34
	v_and_b32_e32 v34, 64, v51
	v_add_u32_e32 v52, 64, v34
	v_xor_b32_e32 v34, 32, v51
	v_cmp_lt_i32_e64 s[38:39], v34, v52
	s_nop 1
	v_cndmask_b32_e64 v34, v51, v34, s[38:39]
	v_lshlrev_b32_e32 v87, 2, v34
	ds_bpermute_b32 v53, v87, v50
	v_lshl_add_u64 v[34:35], v[64:65], 0, v[58:59]
	v_lshl_add_u64 v[58:59], v[64:65], 0, v[60:61]
	global_load_dwordx4 v[42:45], v[34:35], off
	s_nop 0
	global_load_dwordx4 v[34:37], v[34:35], off offset:16
	s_waitcnt lgkmcnt(0)
	v_max_f32_e32 v53, v53, v53
	v_max_f32_e32 v80, v50, v53
	v_xor_b32_e32 v50, 16, v51
	v_cmp_lt_i32_e64 s[38:39], v50, v52
	s_nop 1
	v_cndmask_b32_e64 v50, v51, v50, s[38:39]
	v_lshlrev_b32_e32 v89, 2, v50
	ds_bpermute_b32 v81, v89, v80
	v_lshl_add_u64 v[50:51], v[64:65], 0, v[54:55]
	global_load_dwordx4 v[54:57], v[50:51], off
	s_nop 0
	global_load_dwordx4 v[50:53], v[50:51], off offset:16
	s_waitcnt lgkmcnt(0)
	v_max_f32_e32 v60, v81, v81
	v_max_f32_e32 v86, v80, v60
	v_sub_f32_e32 v60, v62, v86
	v_mul_f32_e32 v60, 0x3fb8aa3b, v60
	v_exp_f32_e32 v80, v60
	v_sub_f32_e32 v60, v63, v86
	v_mul_f32_e32 v60, 0x3fb8aa3b, v60
	v_exp_f32_e32 v81, v60
	global_load_dwordx4 v[62:65], v[58:59], off
	s_nop 0
	global_load_dwordx4 v[58:61], v[58:59], off offset:16
	v_sub_f32_e32 v78, v78, v86
	v_mul_f32_e32 v78, 0x3fb8aa3b, v78
	v_sub_f32_e32 v79, v79, v86
	v_exp_f32_e32 v78, v78
	v_mul_f32_e32 v79, 0x3fb8aa3b, v79
	v_sub_f32_e32 v76, v76, v86
	v_exp_f32_e32 v79, v79
	v_mul_f32_e32 v76, 0x3fb8aa3b, v76
	v_sub_f32_e32 v77, v77, v86
	v_cndmask_b32_e64 v80, 0, v80, s[28:29]
	v_exp_f32_e32 v76, v76
	v_mul_f32_e32 v77, 0x3fb8aa3b, v77
	v_sub_f32_e32 v74, v74, v86
	v_add_f32_e32 v91, 0, v80
	v_cndmask_b32_e64 v81, 0, v81, s[30:31]
	v_exp_f32_e32 v77, v77
	v_mul_f32_e32 v74, 0x3fb8aa3b, v74
	v_sub_f32_e32 v75, v75, v86
	v_add_f32_e32 v91, v91, v81
	;; [unrolled: 5-line block ×10, first 2 shown]
	v_cndmask_b32_e64 v70, 0, v70, s[10:11]
	v_exp_f32_e32 v66, v66
	v_mul_f32_e32 v67, 0x3fb8aa3b, v67
	v_add_f32_e32 v91, v91, v70
	v_cndmask_b32_e64 v71, 0, v71, s[12:13]
	v_exp_f32_e32 v67, v67
	v_add_f32_e32 v91, v91, v71
	v_cndmask_b32_e64 v68, 0, v68, s[6:7]
	v_add_f32_e32 v91, v91, v68
	v_cndmask_b32_e64 v69, 0, v69, s[8:9]
	v_add_f32_e32 v91, v91, v69
	v_cndmask_b32_e32 v66, 0, v66, vcc
	v_add_f32_e32 v91, v91, v66
	v_cndmask_b32_e64 v67, 0, v67, s[4:5]
	v_add_f32_e32 v91, v91, v67
	ds_bpermute_b32 v87, v87, v91
	s_load_dword s9, s[0:1], 0x98
	v_cmp_gt_u32_e64 s[4:5], 16, v83
	s_waitcnt lgkmcnt(0)
	s_barrier
	v_add_f32_e32 v87, v91, v87
	ds_bpermute_b32 v89, v89, v87
	s_waitcnt lgkmcnt(0)
	s_and_saveexec_b64 s[6:7], s[4:5]
	s_cbranch_execz .LBB204_15
; %bb.14:
	v_add_f32_e32 v83, v87, v89
	v_lshlrev_b32_e32 v87, 2, v90
	ds_write2st64_b32 v87, v86, v83 offset1:1
.LBB204_15:
	s_or_b64 exec, exec, s[6:7]
	v_lshlrev_b32_e32 v89, 2, v84
	s_load_dword s8, s[0:1], 0x94
	s_waitcnt lgkmcnt(0)
	s_barrier
	ds_read2_b32 v[86:87], v89 offset1:16
	ds_read2_b32 v[90:91], v89 offset0:32 offset1:48
	ds_read2_b32 v[92:93], v89 offset0:64 offset1:80
	;; [unrolled: 1-line block ×3, first 2 shown]
	s_mul_i32 s9, s9, 13
	s_waitcnt lgkmcnt(3)
	v_max3_f32 v83, v86, s33, v87
	s_waitcnt lgkmcnt(2)
	v_max3_f32 v83, v83, v90, v91
	v_sub_f32_e32 v86, v86, v83
	v_mul_f32_e32 v86, 0x3fb8aa3b, v86
	v_exp_f32_e32 v1, v86
	v_sub_f32_e32 v86, v87, v83
	v_mul_f32_e32 v86, 0x3fb8aa3b, v86
	v_exp_f32_e32 v87, v86
	;; [unrolled: 3-line block ×4, first 2 shown]
	s_waitcnt lgkmcnt(1)
	v_fma_f32 v86, v1, v92, 0
	v_fmac_f32_e32 v86, v87, v93
	s_waitcnt lgkmcnt(0)
	v_fmac_f32_e32 v86, v90, v94
	v_fmac_f32_e32 v86, v89, v95
	v_add_f32_e32 v91, 0x358637bd, v86
	v_div_scale_f32 v92, s[6:7], v91, v91, 1.0
	v_rcp_f32_e32 v93, v92
	s_barrier
	v_fma_f32 v94, -v92, v93, 1.0
	v_fmac_f32_e32 v93, v94, v93
	v_div_scale_f32 v94, vcc, 1.0, v91, 1.0
	v_mul_f32_e32 v95, v94, v93
	v_fma_f32 v88, -v92, v95, v94
	v_fmac_f32_e32 v95, v88, v93
	v_fma_f32 v88, -v92, v95, v94
	v_div_fmas_f32 v88, v88, v93, v95
	v_cmp_eq_u32_e32 vcc, 1, v85
	v_div_fixup_f32 v88, v88, v91, 1.0
	s_nop 0
	v_cndmask_b32_e32 v1, v1, v87, vcc
	v_cmp_eq_u32_e32 vcc, 2, v85
	v_bfe_u32 v87, v0, 4, 2
	s_nop 0
	v_cndmask_b32_e32 v1, v1, v90, vcc
	v_cmp_eq_u32_e32 vcc, 3, v85
	s_nop 1
	v_cndmask_b32_e32 v1, v1, v89, vcc
	v_mul_f32_e32 v90, v1, v88
	v_pk_mul_f32 v[78:79], v[90:91], v[78:79] op_sel_hi:[0,1]
	v_cvt_f16_f32_e32 v78, v78
	v_cvt_f16_f32_e32 v79, v79
	v_pk_mul_f32 v[80:81], v[90:91], v[80:81] op_sel_hi:[0,1]
	v_cvt_f16_f32_e32 v1, v80
	v_cvt_f16_f32_e32 v80, v81
	v_pk_mul_f32 v[74:75], v[90:91], v[74:75] op_sel_hi:[0,1]
	v_pk_mul_f32 v[76:77], v[90:91], v[76:77] op_sel_hi:[0,1]
	v_pack_b32_f16 v81, v78, v79
	v_cvt_f16_f32_e32 v76, v76
	v_cvt_f16_f32_e32 v77, v77
	;; [unrolled: 1-line block ×4, first 2 shown]
	v_pack_b32_f16 v80, v1, v80
	v_lshlrev_b32_e32 v1, 3, v87
	v_lshlrev_b32_e32 v78, 5, v84
	v_lshlrev_b32_e32 v74, 11, v85
	v_pk_mul_f32 v[70:71], v[90:91], v[70:71] op_sel_hi:[0,1]
	v_pk_mul_f32 v[72:73], v[90:91], v[72:73] op_sel_hi:[0,1]
	;; [unrolled: 1-line block ×4, first 2 shown]
	v_or3_b32 v74, v74, v78, v1
	v_pack_b32_f16 v76, v76, v77
	v_pack_b32_f16 v77, v79, v75
	v_cvt_f16_f32_e32 v1, v72
	v_cvt_f16_f32_e32 v72, v73
	;; [unrolled: 1-line block ×8, first 2 shown]
	v_pack_b32_f16 v66, v1, v72
	v_pack_b32_f16 v67, v70, v71
	;; [unrolled: 1-line block ×4, first 2 shown]
	v_cmp_gt_u32_e32 vcc, 13, v0
	ds_write2st64_b64 v74, v[80:81], v[76:77] offset1:1
	ds_write2st64_b64 v74, v[66:67], v[68:69] offset0:2 offset1:3
	s_and_saveexec_b64 s[6:7], vcc
	s_cbranch_execz .LBB204_17
; %bb.16:
	s_mov_b32 s41, 0
	v_mov_b32_e32 v85, 0
	v_lshl_add_u64 v[66:67], s[40:41], 0, v[84:85]
	v_mov_b32_e32 v1, s9
	v_mad_u64_u32 v[66:67], s[10:11], s2, v1, v[66:67]
	s_mul_i32 s3, s3, s9
	v_mov_b32_e32 v68, s26
	v_mov_b32_e32 v69, v85
	s_load_dwordx4 s[12:15], s[0:1], 0x58
	v_add_u32_e32 v1, s3, v67
	v_mad_u64_u32 v[66:67], s[10:11], v66, s8, v[68:69]
	v_mov_b32_e32 v68, v67
	v_mad_u64_u32 v[68:69], s[10:11], v1, s8, v[68:69]
	v_mov_b32_e32 v67, v68
	v_lshlrev_b64 v[66:67], 2, v[66:67]
	s_waitcnt lgkmcnt(0)
	v_lshl_add_u64 v[68:69], s[14:15], 0, v[66:67]
	v_lshl_add_u64 v[66:67], s[12:13], 0, v[66:67]
	global_store_dword v[68:69], v83, off
	global_store_dword v[66:67], v86, off
.LBB204_17:
	s_or_b64 exec, exec, s[6:7]
	v_lshl_or_b32 v1, v87, 9, v78
	s_waitcnt lgkmcnt(0)
	s_barrier
	ds_read_b128 v[70:73], v1
	ds_read_b128 v[66:69], v1 offset:16
	s_waitcnt vmcnt(15) lgkmcnt(1)
	v_mfma_f32_16x16x16_f16 v[76:79], v[30:31], v[70:71], 0
	s_mov_b32 s3, 0
	v_cmp_gt_u32_e32 vcc, 64, v0
	v_mfma_f32_16x16x16_f16 v[30:33], v[32:33], v[72:73], v[76:79]
	s_waitcnt vmcnt(14) lgkmcnt(0)
	v_mfma_f32_16x16x16_f16 v[30:33], v[26:27], v[66:67], v[30:33]
	v_mfma_f32_16x16x16_f16 v[26:29], v[28:29], v[68:69], v[30:33]
	s_nop 5
	ds_read_b128 v[30:33], v1 offset:2048
	ds_read_b128 v[76:79], v1 offset:2064
	s_waitcnt vmcnt(13) lgkmcnt(1)
	v_mfma_f32_16x16x16_f16 v[26:29], v[22:23], v[30:31], v[26:29]
	v_mfma_f32_16x16x16_f16 v[22:25], v[24:25], v[32:33], v[26:29]
	s_waitcnt vmcnt(12) lgkmcnt(0)
	v_mfma_f32_16x16x16_f16 v[22:25], v[18:19], v[76:77], v[22:25]
	v_mfma_f32_16x16x16_f16 v[18:21], v[20:21], v[78:79], v[22:25]
	s_nop 5
	ds_read_b128 v[22:25], v1 offset:4096
	ds_read_b128 v[26:29], v1 offset:4112
	s_waitcnt vmcnt(11) lgkmcnt(1)
	v_mfma_f32_16x16x16_f16 v[18:21], v[14:15], v[22:23], v[18:21]
	v_mfma_f32_16x16x16_f16 v[14:17], v[16:17], v[24:25], v[18:21]
	s_waitcnt vmcnt(10) lgkmcnt(0)
	v_mfma_f32_16x16x16_f16 v[14:17], v[10:11], v[26:27], v[14:17]
	v_mfma_f32_16x16x16_f16 v[10:13], v[12:13], v[28:29], v[14:17]
	s_nop 5
	ds_read_b128 v[14:17], v1 offset:6144
	ds_read_b128 v[18:21], v1 offset:6160
	s_waitcnt lgkmcnt(0)
	s_barrier
	s_waitcnt vmcnt(9)
	v_mfma_f32_16x16x16_f16 v[10:13], v[6:7], v[14:15], v[10:13]
	v_mfma_f32_16x16x16_f16 v[6:9], v[8:9], v[16:17], v[10:13]
	s_waitcnt vmcnt(8)
	v_mfma_f32_16x16x16_f16 v[6:9], v[2:3], v[18:19], v[6:9]
	v_mfma_f32_16x16x16_f16 v[2:5], v[4:5], v[20:21], v[6:9]
	;; [unrolled: 3-line block ×3, first 2 shown]
	s_nop 3
	v_cvt_f16_f32_e32 v1, v2
	v_cvt_f16_f32_e32 v10, v3
	;; [unrolled: 1-line block ×3, first 2 shown]
	s_waitcnt vmcnt(6)
	v_mfma_f32_16x16x16_f16 v[6:9], v[38:39], v[66:67], v[6:9]
	v_cvt_f16_f32_e32 v12, v5
	v_mfma_f32_16x16x16_f16 v[6:9], v[40:41], v[68:69], v[6:9]
	s_waitcnt vmcnt(5)
	v_mfma_f32_16x16x16_f16 v[6:9], v[42:43], v[30:31], v[6:9]
	v_mfma_f32_16x16x16_f16 v[6:9], v[44:45], v[32:33], v[6:9]
	s_waitcnt vmcnt(4)
	v_mfma_f32_16x16x16_f16 v[6:9], v[34:35], v[76:77], v[6:9]
	;; [unrolled: 3-line block ×6, first 2 shown]
	v_mfma_f32_16x16x16_f16 v[2:5], v[60:61], v[20:21], v[6:9]
	s_nop 6
	v_cvt_f16_f32_e32 v6, v2
	v_cvt_f16_f32_e32 v7, v3
	;; [unrolled: 1-line block ×4, first 2 shown]
	v_pack_b32_f16 v2, v1, v10
	v_pack_b32_f16 v3, v11, v12
	;; [unrolled: 1-line block ×4, first 2 shown]
	ds_write2st64_b64 v74, v[2:3], v[4:5] offset1:1
	s_waitcnt lgkmcnt(0)
	s_barrier
	s_and_saveexec_b64 s[6:7], vcc
	s_cbranch_execz .LBB204_20
; %bb.18:
	s_load_dwordx2 s[6:7], s[0:1], 0x68
	s_lshl_b32 s0, s8, 7
	s_mul_i32 s1, s9, s2
	v_lshlrev_b32_e32 v3, 6, v84
	s_mul_hi_u32 s9, s1, s0
	s_mul_i32 s8, s1, s0
	v_lshlrev_b32_e32 v2, 4, v0
	v_lshl_or_b32 v0, v0, 10, v3
	s_lshl_b64 s[8:9], s[8:9], 1
	v_lshlrev_b32_e32 v1, 5, v87
	v_and_b32_e32 v2, 16, v2
	v_and_b32_e32 v0, 0x1a00, v0
	s_waitcnt lgkmcnt(0)
	s_add_u32 s1, s6, s8
	v_or3_b32 v2, v0, v1, v2
	s_addc_u32 s6, s7, s9
	s_lshl_b32 s2, s26, 7
	ds_read_b128 v[4:7], v2 offset:256
	s_lshl_b64 s[2:3], s[2:3], 1
	ds_read_b128 v[8:11], v2 offset:128
	ds_read_b128 v[12:15], v2
	s_add_u32 s2, s1, s2
	s_addc_u32 s3, s6, s3
	v_mov_b32_e32 v83, 0
	v_add_u32_e32 v3, s40, v87
	v_lshl_add_u64 v[0:1], s[2:3], 0, v[82:83]
	v_mad_u64_u32 v[16:17], s[2:3], v3, s0, 0
	v_lshl_add_u64 v[16:17], v[16:17], 1, v[0:1]
	s_waitcnt lgkmcnt(0)
	global_store_dwordx4 v[16:17], v[12:15], off
	s_nop 1
	v_add_u32_e32 v12, 4, v3
	v_mad_u64_u32 v[12:13], s[2:3], v12, s0, 0
	v_lshl_add_u64 v[12:13], v[12:13], 1, v[0:1]
	v_add_u32_e32 v3, 8, v3
	global_store_dwordx4 v[12:13], v[8:11], off
	s_nop 1
	v_mad_u64_u32 v[8:9], s[2:3], v3, s0, 0
	v_lshl_add_u64 v[8:9], v[8:9], 1, v[0:1]
	global_store_dwordx4 v[8:9], v[4:7], off
	s_and_b64 exec, exec, s[4:5]
	s_cbranch_execz .LBB204_20
; %bb.19:
	ds_read_b128 v[2:5], v2 offset:384
	v_add3_u32 v6, s40, v87, 12
	v_mad_u64_u32 v[6:7], s[0:1], v6, s0, 0
	v_lshl_add_u64 v[0:1], v[6:7], 1, v[0:1]
	s_waitcnt lgkmcnt(0)
	global_store_dwordx4 v[0:1], v[2:5], off
.LBB204_20:
	s_endpgm
	.section	.rodata,"a",@progbits
	.p2align	6, 0x0
	.amdhsa_kernel _Z39paged_attention_ll4mi_QKV_mfma16_kernelIDF16_DF16_LN4vllm18Fp8KVCacheDataTypeE0EhLi16ELi128ELi256ELb1ELi13EEvPKT_PKT0_S7_ifPKiS9_S9_iPKfiiiPfSC_PS2_PT2_iSB_SB_
		.amdhsa_group_segment_fixed_size 8192
		.amdhsa_private_segment_fixed_size 0
		.amdhsa_kernarg_size 400
		.amdhsa_user_sgpr_count 2
		.amdhsa_user_sgpr_dispatch_ptr 0
		.amdhsa_user_sgpr_queue_ptr 0
		.amdhsa_user_sgpr_kernarg_segment_ptr 1
		.amdhsa_user_sgpr_dispatch_id 0
		.amdhsa_user_sgpr_kernarg_preload_length 0
		.amdhsa_user_sgpr_kernarg_preload_offset 0
		.amdhsa_user_sgpr_private_segment_size 0
		.amdhsa_uses_dynamic_stack 0
		.amdhsa_enable_private_segment 0
		.amdhsa_system_sgpr_workgroup_id_x 1
		.amdhsa_system_sgpr_workgroup_id_y 1
		.amdhsa_system_sgpr_workgroup_id_z 1
		.amdhsa_system_sgpr_workgroup_info 0
		.amdhsa_system_vgpr_workitem_id 0
		.amdhsa_next_free_vgpr 96
		.amdhsa_next_free_sgpr 42
		.amdhsa_accum_offset 96
		.amdhsa_reserve_vcc 1
		.amdhsa_float_round_mode_32 0
		.amdhsa_float_round_mode_16_64 0
		.amdhsa_float_denorm_mode_32 3
		.amdhsa_float_denorm_mode_16_64 3
		.amdhsa_dx10_clamp 1
		.amdhsa_ieee_mode 1
		.amdhsa_fp16_overflow 0
		.amdhsa_tg_split 0
		.amdhsa_exception_fp_ieee_invalid_op 0
		.amdhsa_exception_fp_denorm_src 0
		.amdhsa_exception_fp_ieee_div_zero 0
		.amdhsa_exception_fp_ieee_overflow 0
		.amdhsa_exception_fp_ieee_underflow 0
		.amdhsa_exception_fp_ieee_inexact 0
		.amdhsa_exception_int_div_zero 0
	.end_amdhsa_kernel
	.section	.text._Z39paged_attention_ll4mi_QKV_mfma16_kernelIDF16_DF16_LN4vllm18Fp8KVCacheDataTypeE0EhLi16ELi128ELi256ELb1ELi13EEvPKT_PKT0_S7_ifPKiS9_S9_iPKfiiiPfSC_PS2_PT2_iSB_SB_,"axG",@progbits,_Z39paged_attention_ll4mi_QKV_mfma16_kernelIDF16_DF16_LN4vllm18Fp8KVCacheDataTypeE0EhLi16ELi128ELi256ELb1ELi13EEvPKT_PKT0_S7_ifPKiS9_S9_iPKfiiiPfSC_PS2_PT2_iSB_SB_,comdat
.Lfunc_end204:
	.size	_Z39paged_attention_ll4mi_QKV_mfma16_kernelIDF16_DF16_LN4vllm18Fp8KVCacheDataTypeE0EhLi16ELi128ELi256ELb1ELi13EEvPKT_PKT0_S7_ifPKiS9_S9_iPKfiiiPfSC_PS2_PT2_iSB_SB_, .Lfunc_end204-_Z39paged_attention_ll4mi_QKV_mfma16_kernelIDF16_DF16_LN4vllm18Fp8KVCacheDataTypeE0EhLi16ELi128ELi256ELb1ELi13EEvPKT_PKT0_S7_ifPKiS9_S9_iPKfiiiPfSC_PS2_PT2_iSB_SB_
                                        ; -- End function
	.section	.AMDGPU.csdata,"",@progbits
; Kernel info:
; codeLenInByte = 4752
; NumSgprs: 48
; NumVgprs: 96
; NumAgprs: 0
; TotalNumVgprs: 96
; ScratchSize: 0
; MemoryBound: 0
; FloatMode: 240
; IeeeMode: 1
; LDSByteSize: 8192 bytes/workgroup (compile time only)
; SGPRBlocks: 5
; VGPRBlocks: 11
; NumSGPRsForWavesPerEU: 48
; NumVGPRsForWavesPerEU: 96
; AccumOffset: 96
; Occupancy: 5
; WaveLimiterHint : 1
; COMPUTE_PGM_RSRC2:SCRATCH_EN: 0
; COMPUTE_PGM_RSRC2:USER_SGPR: 2
; COMPUTE_PGM_RSRC2:TRAP_HANDLER: 0
; COMPUTE_PGM_RSRC2:TGID_X_EN: 1
; COMPUTE_PGM_RSRC2:TGID_Y_EN: 1
; COMPUTE_PGM_RSRC2:TGID_Z_EN: 1
; COMPUTE_PGM_RSRC2:TIDIG_COMP_CNT: 0
; COMPUTE_PGM_RSRC3_GFX90A:ACCUM_OFFSET: 23
; COMPUTE_PGM_RSRC3_GFX90A:TG_SPLIT: 0
	.section	.text._Z39paged_attention_ll4mi_QKV_mfma16_kernelIDF16_DF16_LN4vllm18Fp8KVCacheDataTypeE0EhLi16ELi128ELi256ELb1ELi14EEvPKT_PKT0_S7_ifPKiS9_S9_iPKfiiiPfSC_PS2_PT2_iSB_SB_,"axG",@progbits,_Z39paged_attention_ll4mi_QKV_mfma16_kernelIDF16_DF16_LN4vllm18Fp8KVCacheDataTypeE0EhLi16ELi128ELi256ELb1ELi14EEvPKT_PKT0_S7_ifPKiS9_S9_iPKfiiiPfSC_PS2_PT2_iSB_SB_,comdat
	.protected	_Z39paged_attention_ll4mi_QKV_mfma16_kernelIDF16_DF16_LN4vllm18Fp8KVCacheDataTypeE0EhLi16ELi128ELi256ELb1ELi14EEvPKT_PKT0_S7_ifPKiS9_S9_iPKfiiiPfSC_PS2_PT2_iSB_SB_ ; -- Begin function _Z39paged_attention_ll4mi_QKV_mfma16_kernelIDF16_DF16_LN4vllm18Fp8KVCacheDataTypeE0EhLi16ELi128ELi256ELb1ELi14EEvPKT_PKT0_S7_ifPKiS9_S9_iPKfiiiPfSC_PS2_PT2_iSB_SB_
	.globl	_Z39paged_attention_ll4mi_QKV_mfma16_kernelIDF16_DF16_LN4vllm18Fp8KVCacheDataTypeE0EhLi16ELi128ELi256ELb1ELi14EEvPKT_PKT0_S7_ifPKiS9_S9_iPKfiiiPfSC_PS2_PT2_iSB_SB_
	.p2align	8
	.type	_Z39paged_attention_ll4mi_QKV_mfma16_kernelIDF16_DF16_LN4vllm18Fp8KVCacheDataTypeE0EhLi16ELi128ELi256ELb1ELi14EEvPKT_PKT0_S7_ifPKiS9_S9_iPKfiiiPfSC_PS2_PT2_iSB_SB_,@function
_Z39paged_attention_ll4mi_QKV_mfma16_kernelIDF16_DF16_LN4vllm18Fp8KVCacheDataTypeE0EhLi16ELi128ELi256ELb1ELi14EEvPKT_PKT0_S7_ifPKiS9_S9_iPKfiiiPfSC_PS2_PT2_iSB_SB_: ; @_Z39paged_attention_ll4mi_QKV_mfma16_kernelIDF16_DF16_LN4vllm18Fp8KVCacheDataTypeE0EhLi16ELi128ELi256ELb1ELi14EEvPKT_PKT0_S7_ifPKiS9_S9_iPKfiiiPfSC_PS2_PT2_iSB_SB_
; %bb.0:
	s_load_dwordx2 s[8:9], s[0:1], 0x30
	s_mov_b32 s26, s3
	s_mov_b64 s[6:7], 0
	s_waitcnt lgkmcnt(0)
	s_cmp_lg_u64 s[8:9], 0
	s_cselect_b64 s[10:11], -1, 0
	s_and_b64 vcc, exec, s[10:11]
	s_cbranch_vccz .LBB205_7
; %bb.1:
	s_add_i32 s12, s2, 1
	s_mov_b32 s13, 0
	s_lshl_b64 s[14:15], s[12:13], 2
	s_add_u32 s14, s8, s14
	s_mov_b32 s3, s13
	s_addc_u32 s15, s9, s15
	s_lshl_b64 s[12:13], s[2:3], 2
	s_add_u32 s12, s8, s12
	s_addc_u32 s13, s9, s13
	s_load_dword s5, s[14:15], 0x0
	s_load_dword s16, s[12:13], 0x0
	s_waitcnt lgkmcnt(0)
	s_sub_i32 s5, s5, s16
	s_cmp_eq_u32 s5, 1
	s_cselect_b64 s[12:13], -1, 0
	s_andn2_b64 vcc, exec, s[6:7]
	s_cbranch_vccnz .LBB205_3
.LBB205_2:
	s_mov_b32 s3, 0
	s_mov_b64 s[12:13], -1
.LBB205_3:
	s_andn2_b64 vcc, exec, s[12:13]
	s_cbranch_vccnz .LBB205_20
; %bb.4:
	s_load_dwordx2 s[6:7], s[0:1], 0x28
	s_lshl_b64 s[12:13], s[2:3], 2
	s_waitcnt lgkmcnt(0)
	s_add_u32 s6, s6, s12
	s_addc_u32 s7, s7, s13
	s_load_dword s27, s[6:7], 0x0
	s_lshl_b32 s18, s26, 8
	s_waitcnt lgkmcnt(0)
	s_cmp_ge_i32 s18, s27
	s_cbranch_scc1 .LBB205_20
; %bb.5:
	s_load_dwordx2 s[6:7], s[0:1], 0x20
	s_load_dword s5, s[0:1], 0x38
	s_add_i32 s14, s27, 15
	s_ashr_i32 s15, s14, 31
	v_and_b32_e32 v1, 0xcf, v0
	s_lshr_b32 s15, s15, 28
	v_add_u32_e32 v1, s18, v1
	s_add_i32 s14, s14, s15
	v_ashrrev_i32_e32 v2, 31, v1
	s_ashr_i32 s19, s14, 4
	v_lshrrev_b32_e32 v4, 28, v2
	s_add_i32 s19, s19, -1
	s_waitcnt lgkmcnt(0)
	s_mul_i32 s14, s2, s5
	s_mov_b32 s15, 0
	v_add_u32_e32 v2, v1, v4
	s_lshl_b64 s[14:15], s[14:15], 2
	v_ashrrev_i32_e32 v2, 4, v2
	v_mov_b32_e32 v5, s19
	v_cmp_gt_i32_e32 vcc, s27, v1
	s_add_u32 s6, s6, s14
	s_addc_u32 s7, s7, s15
	v_cndmask_b32_e32 v2, v5, v2, vcc
	v_ashrrev_i32_e32 v3, 31, v2
	v_lshl_add_u64 v[6:7], v[2:3], 2, s[6:7]
	v_or_b32_e32 v2, 16, v1
	v_add_u32_e32 v3, v2, v4
	v_ashrrev_i32_e32 v3, 4, v3
	v_cmp_gt_i32_e32 vcc, s27, v2
	s_load_dwordx2 s[14:15], s[0:1], 0x8
	s_nop 0
	v_cndmask_b32_e32 v2, v5, v3, vcc
	v_ashrrev_i32_e32 v3, 31, v2
	v_lshl_add_u64 v[8:9], v[2:3], 2, s[6:7]
	v_or_b32_e32 v2, 32, v1
	v_add_u32_e32 v3, v2, v4
	v_ashrrev_i32_e32 v3, 4, v3
	v_cmp_gt_i32_e32 vcc, s27, v2
	v_or_b32_e32 v1, 48, v1
	s_nop 0
	v_cndmask_b32_e32 v2, v5, v3, vcc
	v_ashrrev_i32_e32 v3, 31, v2
	v_lshl_add_u64 v[10:11], v[2:3], 2, s[6:7]
	v_add_u32_e32 v2, v1, v4
	v_ashrrev_i32_e32 v2, 4, v2
	v_cmp_gt_i32_e32 vcc, s27, v1
	s_nop 1
	v_cndmask_b32_e32 v2, v5, v2, vcc
	v_ashrrev_i32_e32 v3, 31, v2
	v_lshl_add_u64 v[12:13], v[2:3], 2, s[6:7]
	global_load_dword v5, v[6:7], off
	global_load_dword v4, v[8:9], off
	;; [unrolled: 1-line block ×4, first 2 shown]
	s_andn2_b64 vcc, exec, s[10:11]
	s_cbranch_vccnz .LBB205_8
; %bb.6:
	s_add_u32 s8, s8, s12
	s_addc_u32 s9, s9, s13
	s_load_dword s5, s[8:9], 0x0
	s_branch .LBB205_9
.LBB205_7:
	s_mov_b64 s[12:13], 0
	s_branch .LBB205_2
.LBB205_8:
	s_mov_b32 s5, s2
.LBB205_9:
	s_load_dwordx2 s[12:13], s[0:1], 0x10
	s_load_dwordx4 s[8:11], s[0:1], 0x48
	v_lshrrev_b32_e32 v85, 6, v0
	v_bfe_u32 v88, v0, 4, 2
	v_and_b32_e32 v84, 15, v0
	v_lshl_or_b32 v1, v85, 2, v88
	v_lshlrev_b32_e32 v6, 3, v84
	s_mul_i32 s40, s4, 14
	v_cmp_gt_u32_e32 vcc, 14, v1
	v_lshlrev_b32_e32 v82, 1, v6
	s_and_saveexec_b64 s[16:17], vcc
	s_cbranch_execz .LBB205_11
; %bb.10:
	s_load_dwordx2 s[20:21], s[0:1], 0x0
	s_waitcnt lgkmcnt(0)
	s_ashr_i32 s11, s8, 31
	s_mul_hi_u32 s22, s5, s8
	s_mul_i32 s11, s5, s11
	s_add_i32 s23, s22, s11
	s_mul_i32 s22, s5, s8
	s_lshl_b64 s[22:23], s[22:23], 1
	s_add_u32 s20, s20, s22
	v_add_lshl_u32 v6, v1, s40, 7
	s_addc_u32 s21, s21, s23
	v_ashrrev_i32_e32 v7, 31, v6
	v_lshl_add_u64 v[6:7], v[6:7], 1, s[20:21]
	v_mov_b32_e32 v83, 0
	v_lshl_add_u64 v[6:7], v[6:7], 0, v[82:83]
	global_load_dwordx4 v[6:9], v[6:7], off
	v_and_b32_e32 v10, 3, v0
	v_lshlrev_b32_e32 v11, 9, v84
	v_lshlrev_b32_e32 v1, 5, v1
	;; [unrolled: 1-line block ×3, first 2 shown]
	v_and_b32_e32 v11, 0x1800, v11
	v_or3_b32 v1, v11, v10, v1
	s_waitcnt vmcnt(0)
	ds_write_b128 v1, v[6:9]
.LBB205_11:
	s_or_b64 exec, exec, s[16:17]
	s_waitcnt lgkmcnt(0)
	s_mul_i32 s4, s4, s10
	s_mov_b32 s5, 0
	s_lshl_b64 s[4:5], s[4:5], 1
	s_add_u32 s10, s14, s4
	v_lshlrev_b32_e32 v1, 4, v0
	s_addc_u32 s11, s15, s5
	v_and_b32_e32 v86, 0xf0, v1
	v_mov_b32_e32 v87, 0
	v_lshl_add_u64 v[6:7], s[10:11], 0, v[86:87]
	s_waitcnt vmcnt(3)
	v_mad_i64_i32 v[8:9], s[10:11], v5, s9, 0
	s_waitcnt vmcnt(2)
	v_mad_i64_i32 v[4:5], s[10:11], v4, s9, 0
	v_lshl_add_u64 v[8:9], v[8:9], 1, v[6:7]
	v_and_b32_e32 v86, 0x300, v1
	v_lshl_add_u64 v[4:5], v[4:5], 1, v[6:7]
	v_lshl_add_u64 v[8:9], v[8:9], 0, v[86:87]
	;; [unrolled: 1-line block ×3, first 2 shown]
	s_barrier
	global_load_dwordx4 v[78:81], v[8:9], off
	global_load_dwordx4 v[74:77], v[8:9], off offset:1024
	global_load_dwordx4 v[70:73], v[8:9], off offset:2048
	;; [unrolled: 1-line block ×3, first 2 shown]
	global_load_dwordx4 v[66:69], v[4:5], off
	global_load_dwordx4 v[62:65], v[4:5], off offset:1024
	global_load_dwordx4 v[58:61], v[4:5], off offset:2048
	;; [unrolled: 1-line block ×3, first 2 shown]
	s_waitcnt vmcnt(9)
	v_mad_i64_i32 v[4:5], s[10:11], v3, s9, 0
	s_waitcnt vmcnt(8)
	v_mad_i64_i32 v[2:3], s[10:11], v2, s9, 0
	v_lshl_add_u64 v[4:5], v[4:5], 1, v[6:7]
	v_lshl_add_u64 v[2:3], v[2:3], 1, v[6:7]
	;; [unrolled: 1-line block ×4, first 2 shown]
	global_load_dwordx4 v[30:33], v[4:5], off
	global_load_dwordx4 v[26:29], v[4:5], off offset:1024
	global_load_dwordx4 v[22:25], v[4:5], off offset:2048
	;; [unrolled: 1-line block ×3, first 2 shown]
	global_load_dwordx4 v[6:9], v[34:35], off
	s_nop 0
	global_load_dwordx4 v[2:5], v[34:35], off offset:1024
	global_load_dwordx4 v[38:41], v[34:35], off offset:2048
	s_nop 0
	global_load_dwordx4 v[34:37], v[34:35], off offset:3072
	v_add_u32_e32 v42, -14, v84
	v_cmp_gt_u32_e32 vcc, 14, v84
	v_and_b32_e32 v83, 63, v0
	v_mov_b32_e32 v89, 0
	v_cndmask_b32_e32 v42, v42, v84, vcc
	v_lshlrev_b32_e32 v42, 5, v42
	v_lshl_add_u32 v42, v88, 9, v42
	ds_read_b128 v[54:57], v42
	ds_read_b128 v[50:53], v42 offset:2048
	ds_read_b128 v[46:49], v42 offset:4096
	;; [unrolled: 1-line block ×3, first 2 shown]
	s_and_saveexec_b64 s[10:11], vcc
	s_cbranch_execz .LBB205_13
; %bb.12:
	s_load_dwordx2 s[14:15], s[0:1], 0x40
	v_add_u32_e32 v90, s40, v84
	v_ashrrev_i32_e32 v91, 31, v90
	s_waitcnt lgkmcnt(0)
	v_lshl_add_u64 v[90:91], v[90:91], 2, s[14:15]
	global_load_dword v89, v[90:91], off
.LBB205_13:
	s_or_b64 exec, exec, s[10:11]
	s_waitcnt vmcnt(15) lgkmcnt(3)
	v_mfma_f32_16x16x16_f16 v[90:93], v[78:79], v[54:55], 0
	s_add_u32 s4, s12, s4
	s_addc_u32 s5, s13, s5
	s_mov_b32 s33, 0xff7fffff
	v_mfma_f32_16x16x16_f16 v[78:81], v[80:81], v[56:57], v[90:93]
	s_waitcnt vmcnt(14) lgkmcnt(2)
	v_mfma_f32_16x16x16_f16 v[78:81], v[74:75], v[50:51], v[78:81]
	s_nop 0
	v_lshl_or_b32 v90, v85, 4, v84
	v_lshlrev_b32_e32 v86, 5, v90
	v_mfma_f32_16x16x16_f16 v[74:77], v[76:77], v[52:53], v[78:81]
	s_waitcnt vmcnt(13) lgkmcnt(1)
	v_mfma_f32_16x16x16_f16 v[74:77], v[70:71], v[46:47], v[74:77]
	v_mfma_f32_16x16x16_f16 v[70:73], v[72:73], v[48:49], v[74:77]
	s_waitcnt vmcnt(11)
	v_mfma_f32_16x16x16_f16 v[74:77], v[66:67], v[54:55], 0
	v_mfma_f32_16x16x16_f16 v[66:69], v[68:69], v[56:57], v[74:77]
	s_nop 5
	v_and_or_b32 v74, v0, 48, s18
	s_waitcnt lgkmcnt(0)
	v_mfma_f32_16x16x16_f16 v[70:73], v[10:11], v[42:43], v[70:73]
	v_ashrrev_i32_e32 v10, 4, v74
	v_mov_b32_e32 v75, s19
	v_cmp_gt_i32_e32 vcc, s27, v74
	s_waitcnt vmcnt(10)
	v_mfma_f32_16x16x16_f16 v[66:69], v[62:63], v[50:51], v[66:69]
	v_cndmask_b32_e32 v10, v75, v10, vcc
	v_ashrrev_i32_e32 v11, 31, v10
	v_lshl_add_u64 v[10:11], v[10:11], 2, s[6:7]
	global_load_dword v76, v[10:11], off
	v_mfma_f32_16x16x16_f16 v[62:65], v[64:65], v[52:53], v[66:69]
	v_or_b32_e32 v10, 64, v74
	v_ashrrev_i32_e32 v11, 4, v10
	v_cmp_gt_i32_e32 vcc, s27, v10
	s_waitcnt vmcnt(10)
	v_mfma_f32_16x16x16_f16 v[62:65], v[58:59], v[46:47], v[62:65]
	v_cndmask_b32_e32 v10, v75, v11, vcc
	v_ashrrev_i32_e32 v11, 31, v10
	v_lshl_add_u64 v[10:11], v[10:11], 2, s[6:7]
	global_load_dword v77, v[10:11], off
	v_or_b32_e32 v10, 0x80, v74
	v_mfma_f32_16x16x16_f16 v[58:61], v[60:61], v[48:49], v[62:65]
	v_ashrrev_i32_e32 v11, 4, v10
	v_cmp_gt_i32_e32 vcc, s27, v10
	s_waitcnt vmcnt(9)
	v_mfma_f32_16x16x16_f16 v[62:65], v[30:31], v[54:55], 0
	v_cndmask_b32_e32 v10, v75, v11, vcc
	v_ashrrev_i32_e32 v11, 31, v10
	v_lshl_add_u64 v[10:11], v[10:11], 2, s[6:7]
	v_mfma_f32_16x16x16_f16 v[30:33], v[32:33], v[56:57], v[62:65]
	s_nop 2
	global_load_dword v64, v[10:11], off
	v_or_b32_e32 v10, 0xc0, v74
	v_ashrrev_i32_e32 v11, 4, v10
	v_cmp_gt_i32_e32 vcc, s27, v10
	s_waitcnt vmcnt(9)
	v_mfma_f32_16x16x16_f16 v[30:33], v[26:27], v[50:51], v[30:33]
	v_lshl_add_u64 v[62:63], s[4:5], 0, v[86:87]
	v_cndmask_b32_e32 v10, v75, v11, vcc
	v_ashrrev_i32_e32 v11, 31, v10
	v_lshl_add_u64 v[10:11], v[10:11], 2, s[6:7]
	global_load_dword v65, v[10:11], off
	v_mfma_f32_16x16x16_f16 v[26:29], v[28:29], v[52:53], v[30:33]
	s_load_dword s6, s[0:1], 0x1c
	v_or_b32_e32 v86, 0x800, v86
	s_waitcnt vmcnt(3)
	v_mad_i64_i32 v[10:11], s[10:11], v76, s9, 0
	v_mfma_f32_16x16x16_f16 v[26:29], v[22:23], v[46:47], v[26:29]
	v_lshlrev_b64 v[74:75], 1, v[10:11]
	v_mfma_f32_16x16x16_f16 v[66:69], v[12:13], v[44:45], v[70:73]
	v_mfma_f32_16x16x16_f16 v[10:13], v[24:25], v[48:49], v[26:29]
	;; [unrolled: 1-line block ×3, first 2 shown]
	v_lshl_add_u64 v[14:15], v[62:63], 0, v[74:75]
	s_waitcnt lgkmcnt(0)
	s_nop 2
	v_pk_mul_f32 v[78:79], s[6:7], v[68:69] op_sel_hi:[0,1]
	v_mfma_f32_16x16x16_f16 v[10:13], v[18:19], v[42:43], v[10:13]
	v_mfma_f32_16x16x16_f16 v[70:73], v[16:17], v[44:45], v[30:33]
	s_nop 2
	global_load_dwordx4 v[30:33], v[14:15], off
	global_load_dwordx4 v[26:29], v[14:15], off offset:16
	s_waitcnt vmcnt(4)
	v_mad_i64_i32 v[14:15], s[10:11], v77, s9, 0
	v_lshlrev_b64 v[58:59], 1, v[14:15]
	v_mfma_f32_16x16x16_f16 v[92:95], v[20:21], v[44:45], v[10:13]
	v_pk_mul_f32 v[76:77], s[6:7], v[70:71] op_sel_hi:[0,1]
	s_nop 1
	v_lshl_add_u64 v[10:11], v[62:63], 0, v[58:59]
	global_load_dwordx4 v[22:25], v[10:11], off
	global_load_dwordx4 v[18:21], v[10:11], off offset:16
	v_mfma_f32_16x16x16_f16 v[10:13], v[6:7], v[54:55], 0
	s_waitcnt vmcnt(5)
	v_mad_i64_i32 v[6:7], s[10:11], v64, s9, 0
	v_lshlrev_b64 v[54:55], 1, v[6:7]
	v_mfma_f32_16x16x16_f16 v[6:9], v[8:9], v[56:57], v[10:13]
	v_pk_mul_f32 v[70:71], s[6:7], v[94:95] op_sel_hi:[0,1]
	v_mfma_f32_16x16x16_f16 v[6:9], v[2:3], v[50:51], v[6:9]
	s_waitcnt vmcnt(4)
	v_mad_i64_i32 v[2:3], s[8:9], v65, s9, 0
	v_lshlrev_b64 v[60:61], 1, v[2:3]
	v_mfma_f32_16x16x16_f16 v[50:53], v[4:5], v[52:53], v[6:9]
	v_lshl_add_u64 v[10:11], v[62:63], 0, v[54:55]
	v_lshl_add_u64 v[2:3], v[62:63], 0, v[60:61]
	v_pk_mul_f32 v[62:63], s[6:7], v[66:67] op_sel_hi:[0,1]
	v_mfma_f32_16x16x16_f16 v[50:53], v[38:39], v[46:47], v[50:53]
	v_lshl_add_u64 v[64:65], s[4:5], 0, v[86:87]
	v_lshl_add_u64 v[38:39], v[64:65], 0, v[74:75]
	v_pk_mul_f32 v[74:75], s[6:7], v[72:73] op_sel_hi:[0,1]
	v_mfma_f32_16x16x16_f16 v[46:49], v[40:41], v[48:49], v[50:53]
	v_pk_mul_f32 v[72:73], s[6:7], v[92:93] op_sel_hi:[0,1]
	global_load_dwordx4 v[14:17], v[10:11], off
	s_nop 0
	global_load_dwordx4 v[10:13], v[10:11], off offset:16
	s_nop 0
	global_load_dwordx4 v[6:9], v[2:3], off
	s_nop 0
	global_load_dwordx4 v[2:5], v[2:3], off offset:16
	v_mfma_f32_16x16x16_f16 v[40:43], v[34:35], v[42:43], v[46:49]
	v_mfma_f32_16x16x16_f16 v[34:37], v[36:37], v[44:45], v[40:43]
	s_nop 6
	v_pk_mul_f32 v[68:69], s[6:7], v[34:35] op_sel_hi:[0,1]
	v_and_b32_e32 v34, 0xc0, v0
	v_add_u32_e32 v34, s18, v34
	v_lshl_or_b32 v34, v88, 2, v34
	v_or_b32_e32 v35, 1, v34
	v_pk_mul_f32 v[66:67], s[6:7], v[36:37] op_sel_hi:[0,1]
	v_subrev_u32_e32 v36, s27, v35
	v_add_u32_e32 v40, 1, v36
	v_add_u32_e32 v41, 2, v36
	v_cvt_f32_i32_e32 v37, v36
	v_cvt_f32_i32_e32 v40, v40
	v_cvt_f32_i32_e32 v41, v41
	v_add_u32_e32 v42, 3, v36
	v_fma_f32 v62, v89, v37, v62
	v_fmac_f32_e32 v63, v89, v40
	v_fma_f32 v78, v89, v41, v78
	v_add_u32_e32 v37, 16, v36
	v_add_u32_e32 v40, 17, v36
	v_add_u32_e32 v41, 18, v36
	v_cvt_f32_i32_e32 v42, v42
	v_cvt_f32_i32_e32 v37, v37
	;; [unrolled: 1-line block ×4, first 2 shown]
	v_fmac_f32_e32 v79, v89, v42
	v_add_u32_e32 v42, 19, v36
	v_fma_f32 v76, v89, v37, v76
	v_fmac_f32_e32 v77, v89, v40
	v_fma_f32 v74, v89, v41, v74
	v_add_u32_e32 v37, 32, v36
	v_add_u32_e32 v40, 33, v36
	;; [unrolled: 1-line block ×3, first 2 shown]
	v_cvt_f32_i32_e32 v42, v42
	v_cvt_f32_i32_e32 v37, v37
	;; [unrolled: 1-line block ×4, first 2 shown]
	v_fmac_f32_e32 v75, v89, v42
	v_add_u32_e32 v42, 35, v36
	v_fma_f32 v72, v89, v37, v72
	v_fmac_f32_e32 v73, v89, v40
	v_fma_f32 v70, v89, v41, v70
	v_add_u32_e32 v37, 48, v36
	v_add_u32_e32 v40, 49, v36
	;; [unrolled: 1-line block ×4, first 2 shown]
	v_cvt_f32_i32_e32 v36, v36
	v_cvt_f32_i32_e32 v37, v37
	;; [unrolled: 1-line block ×3, first 2 shown]
	v_cmp_gt_i32_e64 s[28:29], s27, v34
	v_fmac_f32_e32 v67, v89, v36
	v_mov_b32_e32 v36, 0xff7fffff
	v_cmp_gt_i32_e64 s[30:31], s27, v35
	v_fma_f32 v68, v89, v37, v68
	v_cndmask_b32_e64 v37, v36, v62, s[28:29]
	v_cndmask_b32_e64 v35, v36, v63, s[30:31]
	v_fmac_f32_e32 v69, v89, v40
	v_max3_f32 v35, v37, s33, v35
	v_or_b32_e32 v37, 2, v34
	v_or_b32_e32 v40, 3, v34
	v_cmp_gt_i32_e64 s[34:35], s27, v37
	v_cmp_gt_i32_e64 s[36:37], s27, v40
	v_cvt_f32_i32_e32 v42, v42
	v_cndmask_b32_e64 v37, v36, v78, s[34:35]
	v_cndmask_b32_e64 v40, v36, v79, s[36:37]
	v_max3_f32 v35, v35, v37, v40
	v_or_b32_e32 v37, 16, v34
	v_or_b32_e32 v40, 17, v34
	v_cmp_gt_i32_e64 s[22:23], s27, v37
	v_cmp_gt_i32_e64 s[24:25], s27, v40
	v_fmac_f32_e32 v71, v89, v42
	v_cndmask_b32_e64 v37, v36, v76, s[22:23]
	v_cndmask_b32_e64 v40, v36, v77, s[24:25]
	v_max3_f32 v35, v35, v37, v40
	v_or_b32_e32 v37, 18, v34
	v_or_b32_e32 v40, 19, v34
	v_cmp_gt_i32_e64 s[18:19], s27, v37
	v_cmp_gt_i32_e64 s[20:21], s27, v40
	v_cvt_f32_i32_e32 v41, v41
	v_cndmask_b32_e64 v37, v36, v74, s[18:19]
	v_cndmask_b32_e64 v40, v36, v75, s[20:21]
	v_max3_f32 v35, v35, v37, v40
	v_or_b32_e32 v37, 32, v34
	v_or_b32_e32 v40, 33, v34
	v_cmp_gt_i32_e64 s[14:15], s27, v37
	v_cmp_gt_i32_e64 s[16:17], s27, v40
	v_fma_f32 v66, v89, v41, v66
	v_cndmask_b32_e64 v37, v36, v72, s[14:15]
	v_cndmask_b32_e64 v40, v36, v73, s[16:17]
	v_max3_f32 v35, v35, v37, v40
	v_or_b32_e32 v37, 34, v34
	v_or_b32_e32 v40, 35, v34
	v_cmp_gt_i32_e64 s[10:11], s27, v37
	v_cmp_gt_i32_e64 s[12:13], s27, v40
	s_nop 0
	v_cndmask_b32_e64 v37, v36, v70, s[10:11]
	v_cndmask_b32_e64 v40, v36, v71, s[12:13]
	v_max3_f32 v35, v35, v37, v40
	v_or_b32_e32 v37, 48, v34
	v_or_b32_e32 v40, 49, v34
	v_cmp_gt_i32_e64 s[6:7], s27, v37
	v_cmp_gt_i32_e64 s[8:9], s27, v40
	s_nop 0
	v_cndmask_b32_e64 v37, v36, v68, s[6:7]
	v_cndmask_b32_e64 v40, v36, v69, s[8:9]
	v_max3_f32 v35, v35, v37, v40
	v_or_b32_e32 v37, 50, v34
	v_or_b32_e32 v34, 51, v34
	v_cmp_gt_i32_e32 vcc, s27, v37
	v_cmp_gt_i32_e64 s[4:5], s27, v34
	global_load_dwordx4 v[46:49], v[38:39], off
	s_nop 0
	global_load_dwordx4 v[38:41], v[38:39], off offset:16
	v_cndmask_b32_e32 v37, v36, v66, vcc
	v_cndmask_b32_e64 v34, v36, v67, s[4:5]
	v_max3_f32 v50, v35, v37, v34
	v_mbcnt_lo_u32_b32 v34, -1, 0
	v_mbcnt_hi_u32_b32 v51, -1, v34
	v_and_b32_e32 v34, 64, v51
	v_add_u32_e32 v52, 64, v34
	v_xor_b32_e32 v34, 32, v51
	v_cmp_lt_i32_e64 s[38:39], v34, v52
	s_nop 1
	v_cndmask_b32_e64 v34, v51, v34, s[38:39]
	v_lshlrev_b32_e32 v87, 2, v34
	ds_bpermute_b32 v53, v87, v50
	v_lshl_add_u64 v[34:35], v[64:65], 0, v[58:59]
	v_lshl_add_u64 v[58:59], v[64:65], 0, v[60:61]
	global_load_dwordx4 v[42:45], v[34:35], off
	s_nop 0
	global_load_dwordx4 v[34:37], v[34:35], off offset:16
	s_waitcnt lgkmcnt(0)
	v_max_f32_e32 v53, v53, v53
	v_max_f32_e32 v80, v50, v53
	v_xor_b32_e32 v50, 16, v51
	v_cmp_lt_i32_e64 s[38:39], v50, v52
	s_nop 1
	v_cndmask_b32_e64 v50, v51, v50, s[38:39]
	v_lshlrev_b32_e32 v89, 2, v50
	ds_bpermute_b32 v81, v89, v80
	v_lshl_add_u64 v[50:51], v[64:65], 0, v[54:55]
	global_load_dwordx4 v[54:57], v[50:51], off
	s_nop 0
	global_load_dwordx4 v[50:53], v[50:51], off offset:16
	s_waitcnt lgkmcnt(0)
	v_max_f32_e32 v60, v81, v81
	v_max_f32_e32 v86, v80, v60
	v_sub_f32_e32 v60, v62, v86
	v_mul_f32_e32 v60, 0x3fb8aa3b, v60
	v_exp_f32_e32 v80, v60
	v_sub_f32_e32 v60, v63, v86
	v_mul_f32_e32 v60, 0x3fb8aa3b, v60
	v_exp_f32_e32 v81, v60
	global_load_dwordx4 v[62:65], v[58:59], off
	s_nop 0
	global_load_dwordx4 v[58:61], v[58:59], off offset:16
	v_sub_f32_e32 v78, v78, v86
	v_mul_f32_e32 v78, 0x3fb8aa3b, v78
	v_sub_f32_e32 v79, v79, v86
	v_exp_f32_e32 v78, v78
	v_mul_f32_e32 v79, 0x3fb8aa3b, v79
	v_sub_f32_e32 v76, v76, v86
	v_exp_f32_e32 v79, v79
	v_mul_f32_e32 v76, 0x3fb8aa3b, v76
	v_sub_f32_e32 v77, v77, v86
	v_cndmask_b32_e64 v80, 0, v80, s[28:29]
	v_exp_f32_e32 v76, v76
	v_mul_f32_e32 v77, 0x3fb8aa3b, v77
	v_sub_f32_e32 v74, v74, v86
	v_add_f32_e32 v91, 0, v80
	v_cndmask_b32_e64 v81, 0, v81, s[30:31]
	v_exp_f32_e32 v77, v77
	v_mul_f32_e32 v74, 0x3fb8aa3b, v74
	v_sub_f32_e32 v75, v75, v86
	v_add_f32_e32 v91, v91, v81
	;; [unrolled: 5-line block ×10, first 2 shown]
	v_cndmask_b32_e64 v70, 0, v70, s[10:11]
	v_exp_f32_e32 v66, v66
	v_mul_f32_e32 v67, 0x3fb8aa3b, v67
	v_add_f32_e32 v91, v91, v70
	v_cndmask_b32_e64 v71, 0, v71, s[12:13]
	v_exp_f32_e32 v67, v67
	v_add_f32_e32 v91, v91, v71
	v_cndmask_b32_e64 v68, 0, v68, s[6:7]
	v_add_f32_e32 v91, v91, v68
	v_cndmask_b32_e64 v69, 0, v69, s[8:9]
	v_add_f32_e32 v91, v91, v69
	v_cndmask_b32_e32 v66, 0, v66, vcc
	v_add_f32_e32 v91, v91, v66
	v_cndmask_b32_e64 v67, 0, v67, s[4:5]
	v_add_f32_e32 v91, v91, v67
	ds_bpermute_b32 v87, v87, v91
	s_load_dword s7, s[0:1], 0x98
	v_cmp_gt_u32_e32 vcc, 16, v83
	s_waitcnt lgkmcnt(0)
	s_barrier
	v_add_f32_e32 v87, v91, v87
	ds_bpermute_b32 v89, v89, v87
	s_waitcnt lgkmcnt(0)
	s_and_saveexec_b64 s[4:5], vcc
	s_cbranch_execz .LBB205_15
; %bb.14:
	v_add_f32_e32 v83, v87, v89
	v_lshlrev_b32_e32 v87, 2, v90
	ds_write2st64_b32 v87, v86, v83 offset1:1
.LBB205_15:
	s_or_b64 exec, exec, s[4:5]
	v_lshlrev_b32_e32 v89, 2, v84
	s_load_dword s6, s[0:1], 0x94
	s_waitcnt lgkmcnt(0)
	s_barrier
	ds_read2_b32 v[86:87], v89 offset1:16
	ds_read2_b32 v[90:91], v89 offset0:32 offset1:48
	ds_read2_b32 v[92:93], v89 offset0:64 offset1:80
	;; [unrolled: 1-line block ×3, first 2 shown]
	s_mul_i32 s7, s7, 14
	s_waitcnt lgkmcnt(3)
	v_max3_f32 v83, v86, s33, v87
	s_waitcnt lgkmcnt(2)
	v_max3_f32 v83, v83, v90, v91
	v_sub_f32_e32 v86, v86, v83
	v_mul_f32_e32 v86, 0x3fb8aa3b, v86
	v_exp_f32_e32 v1, v86
	v_sub_f32_e32 v86, v87, v83
	v_mul_f32_e32 v86, 0x3fb8aa3b, v86
	v_exp_f32_e32 v87, v86
	;; [unrolled: 3-line block ×4, first 2 shown]
	s_waitcnt lgkmcnt(1)
	v_fma_f32 v86, v1, v92, 0
	v_fmac_f32_e32 v86, v87, v93
	s_waitcnt lgkmcnt(0)
	v_fmac_f32_e32 v86, v90, v94
	v_fmac_f32_e32 v86, v89, v95
	v_add_f32_e32 v91, 0x358637bd, v86
	v_div_scale_f32 v92, s[4:5], v91, v91, 1.0
	v_rcp_f32_e32 v93, v92
	s_barrier
	v_fma_f32 v94, -v92, v93, 1.0
	v_fmac_f32_e32 v93, v94, v93
	v_div_scale_f32 v94, vcc, 1.0, v91, 1.0
	v_mul_f32_e32 v95, v94, v93
	v_fma_f32 v88, -v92, v95, v94
	v_fmac_f32_e32 v95, v88, v93
	v_fma_f32 v88, -v92, v95, v94
	v_div_fmas_f32 v88, v88, v93, v95
	v_cmp_eq_u32_e32 vcc, 1, v85
	v_div_fixup_f32 v88, v88, v91, 1.0
	s_nop 0
	v_cndmask_b32_e32 v1, v1, v87, vcc
	v_cmp_eq_u32_e32 vcc, 2, v85
	v_bfe_u32 v87, v0, 4, 2
	s_nop 0
	v_cndmask_b32_e32 v1, v1, v90, vcc
	v_cmp_eq_u32_e32 vcc, 3, v85
	s_nop 1
	v_cndmask_b32_e32 v1, v1, v89, vcc
	v_mul_f32_e32 v90, v1, v88
	v_pk_mul_f32 v[78:79], v[90:91], v[78:79] op_sel_hi:[0,1]
	v_cvt_f16_f32_e32 v78, v78
	v_cvt_f16_f32_e32 v79, v79
	v_pk_mul_f32 v[80:81], v[90:91], v[80:81] op_sel_hi:[0,1]
	v_cvt_f16_f32_e32 v1, v80
	v_cvt_f16_f32_e32 v80, v81
	v_pk_mul_f32 v[74:75], v[90:91], v[74:75] op_sel_hi:[0,1]
	v_pk_mul_f32 v[76:77], v[90:91], v[76:77] op_sel_hi:[0,1]
	v_pack_b32_f16 v81, v78, v79
	v_cvt_f16_f32_e32 v76, v76
	v_cvt_f16_f32_e32 v77, v77
	v_cvt_f16_f32_e32 v79, v74
	v_cvt_f16_f32_e32 v75, v75
	v_pack_b32_f16 v80, v1, v80
	v_lshlrev_b32_e32 v1, 3, v87
	v_lshlrev_b32_e32 v78, 5, v84
	;; [unrolled: 1-line block ×3, first 2 shown]
	v_pk_mul_f32 v[70:71], v[90:91], v[70:71] op_sel_hi:[0,1]
	v_pk_mul_f32 v[72:73], v[90:91], v[72:73] op_sel_hi:[0,1]
	;; [unrolled: 1-line block ×4, first 2 shown]
	v_or3_b32 v74, v74, v78, v1
	v_pack_b32_f16 v76, v76, v77
	v_pack_b32_f16 v77, v79, v75
	v_cvt_f16_f32_e32 v1, v72
	v_cvt_f16_f32_e32 v72, v73
	;; [unrolled: 1-line block ×8, first 2 shown]
	v_pack_b32_f16 v66, v1, v72
	v_pack_b32_f16 v67, v70, v71
	v_pack_b32_f16 v68, v68, v69
	v_pack_b32_f16 v69, v73, v75
	v_cmp_gt_u32_e32 vcc, 14, v0
	ds_write2st64_b64 v74, v[80:81], v[76:77] offset1:1
	ds_write2st64_b64 v74, v[66:67], v[68:69] offset0:2 offset1:3
	s_and_saveexec_b64 s[4:5], vcc
	s_cbranch_execz .LBB205_17
; %bb.16:
	s_mov_b32 s41, 0
	v_mov_b32_e32 v85, 0
	v_lshl_add_u64 v[66:67], s[40:41], 0, v[84:85]
	v_mov_b32_e32 v1, s7
	v_mad_u64_u32 v[66:67], s[12:13], s2, v1, v[66:67]
	s_mul_i32 s3, s3, s7
	v_mov_b32_e32 v68, s26
	v_mov_b32_e32 v69, v85
	s_load_dwordx4 s[8:11], s[0:1], 0x58
	v_add_u32_e32 v1, s3, v67
	v_mad_u64_u32 v[66:67], s[12:13], v66, s6, v[68:69]
	v_mov_b32_e32 v68, v67
	v_mad_u64_u32 v[68:69], s[12:13], v1, s6, v[68:69]
	v_mov_b32_e32 v67, v68
	v_lshlrev_b64 v[66:67], 2, v[66:67]
	s_waitcnt lgkmcnt(0)
	v_lshl_add_u64 v[68:69], s[10:11], 0, v[66:67]
	v_lshl_add_u64 v[66:67], s[8:9], 0, v[66:67]
	global_store_dword v[68:69], v83, off
	global_store_dword v[66:67], v86, off
.LBB205_17:
	s_or_b64 exec, exec, s[4:5]
	v_lshl_or_b32 v1, v87, 9, v78
	s_waitcnt lgkmcnt(0)
	s_barrier
	ds_read_b128 v[70:73], v1
	ds_read_b128 v[66:69], v1 offset:16
	s_waitcnt vmcnt(15) lgkmcnt(1)
	v_mfma_f32_16x16x16_f16 v[76:79], v[30:31], v[70:71], 0
	s_mov_b32 s3, 0
	v_cmp_gt_u32_e32 vcc, 64, v0
	v_mfma_f32_16x16x16_f16 v[30:33], v[32:33], v[72:73], v[76:79]
	s_waitcnt vmcnt(14) lgkmcnt(0)
	v_mfma_f32_16x16x16_f16 v[30:33], v[26:27], v[66:67], v[30:33]
	v_mfma_f32_16x16x16_f16 v[26:29], v[28:29], v[68:69], v[30:33]
	s_nop 5
	ds_read_b128 v[30:33], v1 offset:2048
	ds_read_b128 v[76:79], v1 offset:2064
	s_waitcnt vmcnt(13) lgkmcnt(1)
	v_mfma_f32_16x16x16_f16 v[26:29], v[22:23], v[30:31], v[26:29]
	v_mfma_f32_16x16x16_f16 v[22:25], v[24:25], v[32:33], v[26:29]
	s_waitcnt vmcnt(12) lgkmcnt(0)
	v_mfma_f32_16x16x16_f16 v[22:25], v[18:19], v[76:77], v[22:25]
	v_mfma_f32_16x16x16_f16 v[18:21], v[20:21], v[78:79], v[22:25]
	s_nop 5
	ds_read_b128 v[22:25], v1 offset:4096
	ds_read_b128 v[26:29], v1 offset:4112
	s_waitcnt vmcnt(11) lgkmcnt(1)
	v_mfma_f32_16x16x16_f16 v[18:21], v[14:15], v[22:23], v[18:21]
	v_mfma_f32_16x16x16_f16 v[14:17], v[16:17], v[24:25], v[18:21]
	s_waitcnt vmcnt(10) lgkmcnt(0)
	v_mfma_f32_16x16x16_f16 v[14:17], v[10:11], v[26:27], v[14:17]
	v_mfma_f32_16x16x16_f16 v[10:13], v[12:13], v[28:29], v[14:17]
	s_nop 5
	ds_read_b128 v[14:17], v1 offset:6144
	ds_read_b128 v[18:21], v1 offset:6160
	s_waitcnt lgkmcnt(0)
	s_barrier
	s_waitcnt vmcnt(9)
	v_mfma_f32_16x16x16_f16 v[10:13], v[6:7], v[14:15], v[10:13]
	v_mfma_f32_16x16x16_f16 v[6:9], v[8:9], v[16:17], v[10:13]
	s_waitcnt vmcnt(8)
	v_mfma_f32_16x16x16_f16 v[6:9], v[2:3], v[18:19], v[6:9]
	v_mfma_f32_16x16x16_f16 v[2:5], v[4:5], v[20:21], v[6:9]
	;; [unrolled: 3-line block ×3, first 2 shown]
	s_nop 3
	v_cvt_f16_f32_e32 v1, v2
	v_cvt_f16_f32_e32 v10, v3
	;; [unrolled: 1-line block ×3, first 2 shown]
	s_waitcnt vmcnt(6)
	v_mfma_f32_16x16x16_f16 v[6:9], v[38:39], v[66:67], v[6:9]
	v_cvt_f16_f32_e32 v12, v5
	v_mfma_f32_16x16x16_f16 v[6:9], v[40:41], v[68:69], v[6:9]
	s_waitcnt vmcnt(5)
	v_mfma_f32_16x16x16_f16 v[6:9], v[42:43], v[30:31], v[6:9]
	v_mfma_f32_16x16x16_f16 v[6:9], v[44:45], v[32:33], v[6:9]
	s_waitcnt vmcnt(4)
	v_mfma_f32_16x16x16_f16 v[6:9], v[34:35], v[76:77], v[6:9]
	;; [unrolled: 3-line block ×6, first 2 shown]
	v_mfma_f32_16x16x16_f16 v[2:5], v[60:61], v[20:21], v[6:9]
	s_nop 6
	v_cvt_f16_f32_e32 v6, v2
	v_cvt_f16_f32_e32 v7, v3
	;; [unrolled: 1-line block ×4, first 2 shown]
	v_pack_b32_f16 v2, v1, v10
	v_pack_b32_f16 v3, v11, v12
	;; [unrolled: 1-line block ×4, first 2 shown]
	ds_write2st64_b64 v74, v[2:3], v[4:5] offset1:1
	s_waitcnt lgkmcnt(0)
	s_barrier
	s_and_saveexec_b64 s[4:5], vcc
	s_cbranch_execz .LBB205_20
; %bb.18:
	s_load_dwordx2 s[4:5], s[0:1], 0x68
	s_lshl_b32 s0, s6, 7
	s_mul_i32 s1, s7, s2
	v_lshlrev_b32_e32 v3, 6, v84
	s_mul_hi_u32 s7, s1, s0
	s_mul_i32 s6, s1, s0
	v_lshlrev_b32_e32 v2, 4, v0
	v_lshl_or_b32 v0, v0, 10, v3
	s_lshl_b64 s[6:7], s[6:7], 1
	v_lshlrev_b32_e32 v1, 5, v87
	v_and_b32_e32 v2, 16, v2
	v_and_b32_e32 v0, 0x1a00, v0
	s_waitcnt lgkmcnt(0)
	s_add_u32 s1, s4, s6
	v_or3_b32 v2, v0, v1, v2
	s_addc_u32 s4, s5, s7
	s_lshl_b32 s2, s26, 7
	ds_read_b128 v[4:7], v2 offset:256
	s_lshl_b64 s[2:3], s[2:3], 1
	ds_read_b128 v[8:11], v2 offset:128
	ds_read_b128 v[12:15], v2
	s_add_u32 s2, s1, s2
	s_addc_u32 s3, s4, s3
	v_mov_b32_e32 v83, 0
	v_add_u32_e32 v18, s40, v87
	v_lshl_add_u64 v[0:1], s[2:3], 0, v[82:83]
	v_mad_u64_u32 v[16:17], s[2:3], v18, s0, 0
	v_lshl_add_u64 v[16:17], v[16:17], 1, v[0:1]
	s_waitcnt lgkmcnt(0)
	global_store_dwordx4 v[16:17], v[12:15], off
	v_or_b32_e32 v3, 12, v87
	v_cmp_gt_u32_e32 vcc, 14, v3
	v_add_u32_e32 v12, 4, v18
	v_mad_u64_u32 v[12:13], s[2:3], v12, s0, 0
	v_lshl_add_u64 v[12:13], v[12:13], 1, v[0:1]
	global_store_dwordx4 v[12:13], v[8:11], off
	s_nop 1
	v_add_u32_e32 v8, 8, v18
	v_mad_u64_u32 v[8:9], s[2:3], v8, s0, 0
	v_lshl_add_u64 v[8:9], v[8:9], 1, v[0:1]
	global_store_dwordx4 v[8:9], v[4:7], off
	s_and_b64 exec, exec, vcc
	s_cbranch_execz .LBB205_20
; %bb.19:
	ds_read_b128 v[4:7], v2 offset:384
	v_add_u32_e32 v2, s40, v3
	v_mad_u64_u32 v[2:3], s[0:1], v2, s0, 0
	v_lshl_add_u64 v[0:1], v[2:3], 1, v[0:1]
	s_waitcnt lgkmcnt(0)
	global_store_dwordx4 v[0:1], v[4:7], off
.LBB205_20:
	s_endpgm
	.section	.rodata,"a",@progbits
	.p2align	6, 0x0
	.amdhsa_kernel _Z39paged_attention_ll4mi_QKV_mfma16_kernelIDF16_DF16_LN4vllm18Fp8KVCacheDataTypeE0EhLi16ELi128ELi256ELb1ELi14EEvPKT_PKT0_S7_ifPKiS9_S9_iPKfiiiPfSC_PS2_PT2_iSB_SB_
		.amdhsa_group_segment_fixed_size 8192
		.amdhsa_private_segment_fixed_size 0
		.amdhsa_kernarg_size 400
		.amdhsa_user_sgpr_count 2
		.amdhsa_user_sgpr_dispatch_ptr 0
		.amdhsa_user_sgpr_queue_ptr 0
		.amdhsa_user_sgpr_kernarg_segment_ptr 1
		.amdhsa_user_sgpr_dispatch_id 0
		.amdhsa_user_sgpr_kernarg_preload_length 0
		.amdhsa_user_sgpr_kernarg_preload_offset 0
		.amdhsa_user_sgpr_private_segment_size 0
		.amdhsa_uses_dynamic_stack 0
		.amdhsa_enable_private_segment 0
		.amdhsa_system_sgpr_workgroup_id_x 1
		.amdhsa_system_sgpr_workgroup_id_y 1
		.amdhsa_system_sgpr_workgroup_id_z 1
		.amdhsa_system_sgpr_workgroup_info 0
		.amdhsa_system_vgpr_workitem_id 0
		.amdhsa_next_free_vgpr 96
		.amdhsa_next_free_sgpr 42
		.amdhsa_accum_offset 96
		.amdhsa_reserve_vcc 1
		.amdhsa_float_round_mode_32 0
		.amdhsa_float_round_mode_16_64 0
		.amdhsa_float_denorm_mode_32 3
		.amdhsa_float_denorm_mode_16_64 3
		.amdhsa_dx10_clamp 1
		.amdhsa_ieee_mode 1
		.amdhsa_fp16_overflow 0
		.amdhsa_tg_split 0
		.amdhsa_exception_fp_ieee_invalid_op 0
		.amdhsa_exception_fp_denorm_src 0
		.amdhsa_exception_fp_ieee_div_zero 0
		.amdhsa_exception_fp_ieee_overflow 0
		.amdhsa_exception_fp_ieee_underflow 0
		.amdhsa_exception_fp_ieee_inexact 0
		.amdhsa_exception_int_div_zero 0
	.end_amdhsa_kernel
	.section	.text._Z39paged_attention_ll4mi_QKV_mfma16_kernelIDF16_DF16_LN4vllm18Fp8KVCacheDataTypeE0EhLi16ELi128ELi256ELb1ELi14EEvPKT_PKT0_S7_ifPKiS9_S9_iPKfiiiPfSC_PS2_PT2_iSB_SB_,"axG",@progbits,_Z39paged_attention_ll4mi_QKV_mfma16_kernelIDF16_DF16_LN4vllm18Fp8KVCacheDataTypeE0EhLi16ELi128ELi256ELb1ELi14EEvPKT_PKT0_S7_ifPKiS9_S9_iPKfiiiPfSC_PS2_PT2_iSB_SB_,comdat
.Lfunc_end205:
	.size	_Z39paged_attention_ll4mi_QKV_mfma16_kernelIDF16_DF16_LN4vllm18Fp8KVCacheDataTypeE0EhLi16ELi128ELi256ELb1ELi14EEvPKT_PKT0_S7_ifPKiS9_S9_iPKfiiiPfSC_PS2_PT2_iSB_SB_, .Lfunc_end205-_Z39paged_attention_ll4mi_QKV_mfma16_kernelIDF16_DF16_LN4vllm18Fp8KVCacheDataTypeE0EhLi16ELi128ELi256ELb1ELi14EEvPKT_PKT0_S7_ifPKiS9_S9_iPKfiiiPfSC_PS2_PT2_iSB_SB_
                                        ; -- End function
	.section	.AMDGPU.csdata,"",@progbits
; Kernel info:
; codeLenInByte = 4748
; NumSgprs: 48
; NumVgprs: 96
; NumAgprs: 0
; TotalNumVgprs: 96
; ScratchSize: 0
; MemoryBound: 0
; FloatMode: 240
; IeeeMode: 1
; LDSByteSize: 8192 bytes/workgroup (compile time only)
; SGPRBlocks: 5
; VGPRBlocks: 11
; NumSGPRsForWavesPerEU: 48
; NumVGPRsForWavesPerEU: 96
; AccumOffset: 96
; Occupancy: 5
; WaveLimiterHint : 1
; COMPUTE_PGM_RSRC2:SCRATCH_EN: 0
; COMPUTE_PGM_RSRC2:USER_SGPR: 2
; COMPUTE_PGM_RSRC2:TRAP_HANDLER: 0
; COMPUTE_PGM_RSRC2:TGID_X_EN: 1
; COMPUTE_PGM_RSRC2:TGID_Y_EN: 1
; COMPUTE_PGM_RSRC2:TGID_Z_EN: 1
; COMPUTE_PGM_RSRC2:TIDIG_COMP_CNT: 0
; COMPUTE_PGM_RSRC3_GFX90A:ACCUM_OFFSET: 23
; COMPUTE_PGM_RSRC3_GFX90A:TG_SPLIT: 0
	.section	.text._Z39paged_attention_ll4mi_QKV_mfma16_kernelIDF16_DF16_LN4vllm18Fp8KVCacheDataTypeE0EhLi16ELi128ELi256ELb1ELi15EEvPKT_PKT0_S7_ifPKiS9_S9_iPKfiiiPfSC_PS2_PT2_iSB_SB_,"axG",@progbits,_Z39paged_attention_ll4mi_QKV_mfma16_kernelIDF16_DF16_LN4vllm18Fp8KVCacheDataTypeE0EhLi16ELi128ELi256ELb1ELi15EEvPKT_PKT0_S7_ifPKiS9_S9_iPKfiiiPfSC_PS2_PT2_iSB_SB_,comdat
	.protected	_Z39paged_attention_ll4mi_QKV_mfma16_kernelIDF16_DF16_LN4vllm18Fp8KVCacheDataTypeE0EhLi16ELi128ELi256ELb1ELi15EEvPKT_PKT0_S7_ifPKiS9_S9_iPKfiiiPfSC_PS2_PT2_iSB_SB_ ; -- Begin function _Z39paged_attention_ll4mi_QKV_mfma16_kernelIDF16_DF16_LN4vllm18Fp8KVCacheDataTypeE0EhLi16ELi128ELi256ELb1ELi15EEvPKT_PKT0_S7_ifPKiS9_S9_iPKfiiiPfSC_PS2_PT2_iSB_SB_
	.globl	_Z39paged_attention_ll4mi_QKV_mfma16_kernelIDF16_DF16_LN4vllm18Fp8KVCacheDataTypeE0EhLi16ELi128ELi256ELb1ELi15EEvPKT_PKT0_S7_ifPKiS9_S9_iPKfiiiPfSC_PS2_PT2_iSB_SB_
	.p2align	8
	.type	_Z39paged_attention_ll4mi_QKV_mfma16_kernelIDF16_DF16_LN4vllm18Fp8KVCacheDataTypeE0EhLi16ELi128ELi256ELb1ELi15EEvPKT_PKT0_S7_ifPKiS9_S9_iPKfiiiPfSC_PS2_PT2_iSB_SB_,@function
_Z39paged_attention_ll4mi_QKV_mfma16_kernelIDF16_DF16_LN4vllm18Fp8KVCacheDataTypeE0EhLi16ELi128ELi256ELb1ELi15EEvPKT_PKT0_S7_ifPKiS9_S9_iPKfiiiPfSC_PS2_PT2_iSB_SB_: ; @_Z39paged_attention_ll4mi_QKV_mfma16_kernelIDF16_DF16_LN4vllm18Fp8KVCacheDataTypeE0EhLi16ELi128ELi256ELb1ELi15EEvPKT_PKT0_S7_ifPKiS9_S9_iPKfiiiPfSC_PS2_PT2_iSB_SB_
; %bb.0:
	s_load_dwordx2 s[8:9], s[0:1], 0x30
	s_mov_b32 s26, s3
	s_mov_b64 s[6:7], 0
	s_waitcnt lgkmcnt(0)
	s_cmp_lg_u64 s[8:9], 0
	s_cselect_b64 s[10:11], -1, 0
	s_and_b64 vcc, exec, s[10:11]
	s_cbranch_vccz .LBB206_7
; %bb.1:
	s_add_i32 s12, s2, 1
	s_mov_b32 s13, 0
	s_lshl_b64 s[14:15], s[12:13], 2
	s_add_u32 s14, s8, s14
	s_mov_b32 s3, s13
	s_addc_u32 s15, s9, s15
	s_lshl_b64 s[12:13], s[2:3], 2
	s_add_u32 s12, s8, s12
	s_addc_u32 s13, s9, s13
	s_load_dword s5, s[14:15], 0x0
	s_load_dword s16, s[12:13], 0x0
	s_waitcnt lgkmcnt(0)
	s_sub_i32 s5, s5, s16
	s_cmp_eq_u32 s5, 1
	s_cselect_b64 s[12:13], -1, 0
	s_andn2_b64 vcc, exec, s[6:7]
	s_cbranch_vccnz .LBB206_3
.LBB206_2:
	s_mov_b32 s3, 0
	s_mov_b64 s[12:13], -1
.LBB206_3:
	s_andn2_b64 vcc, exec, s[12:13]
	s_cbranch_vccnz .LBB206_20
; %bb.4:
	s_load_dwordx2 s[6:7], s[0:1], 0x28
	s_lshl_b64 s[12:13], s[2:3], 2
	s_waitcnt lgkmcnt(0)
	s_add_u32 s6, s6, s12
	s_addc_u32 s7, s7, s13
	s_load_dword s27, s[6:7], 0x0
	s_lshl_b32 s18, s26, 8
	s_waitcnt lgkmcnt(0)
	s_cmp_ge_i32 s18, s27
	s_cbranch_scc1 .LBB206_20
; %bb.5:
	s_load_dwordx2 s[6:7], s[0:1], 0x20
	s_load_dword s5, s[0:1], 0x38
	s_add_i32 s14, s27, 15
	s_ashr_i32 s15, s14, 31
	v_and_b32_e32 v1, 0xcf, v0
	s_lshr_b32 s15, s15, 28
	v_add_u32_e32 v1, s18, v1
	s_add_i32 s14, s14, s15
	v_ashrrev_i32_e32 v2, 31, v1
	s_ashr_i32 s19, s14, 4
	v_lshrrev_b32_e32 v4, 28, v2
	s_add_i32 s19, s19, -1
	s_waitcnt lgkmcnt(0)
	s_mul_i32 s14, s2, s5
	s_mov_b32 s15, 0
	v_add_u32_e32 v2, v1, v4
	s_lshl_b64 s[14:15], s[14:15], 2
	v_ashrrev_i32_e32 v2, 4, v2
	v_mov_b32_e32 v5, s19
	v_cmp_gt_i32_e32 vcc, s27, v1
	s_add_u32 s6, s6, s14
	s_addc_u32 s7, s7, s15
	v_cndmask_b32_e32 v2, v5, v2, vcc
	v_ashrrev_i32_e32 v3, 31, v2
	v_lshl_add_u64 v[6:7], v[2:3], 2, s[6:7]
	v_or_b32_e32 v2, 16, v1
	v_add_u32_e32 v3, v2, v4
	v_ashrrev_i32_e32 v3, 4, v3
	v_cmp_gt_i32_e32 vcc, s27, v2
	s_load_dwordx2 s[14:15], s[0:1], 0x8
	s_nop 0
	v_cndmask_b32_e32 v2, v5, v3, vcc
	v_ashrrev_i32_e32 v3, 31, v2
	v_lshl_add_u64 v[8:9], v[2:3], 2, s[6:7]
	v_or_b32_e32 v2, 32, v1
	v_add_u32_e32 v3, v2, v4
	v_ashrrev_i32_e32 v3, 4, v3
	v_cmp_gt_i32_e32 vcc, s27, v2
	v_or_b32_e32 v1, 48, v1
	s_nop 0
	v_cndmask_b32_e32 v2, v5, v3, vcc
	v_ashrrev_i32_e32 v3, 31, v2
	v_lshl_add_u64 v[10:11], v[2:3], 2, s[6:7]
	v_add_u32_e32 v2, v1, v4
	v_ashrrev_i32_e32 v2, 4, v2
	v_cmp_gt_i32_e32 vcc, s27, v1
	s_nop 1
	v_cndmask_b32_e32 v2, v5, v2, vcc
	v_ashrrev_i32_e32 v3, 31, v2
	v_lshl_add_u64 v[12:13], v[2:3], 2, s[6:7]
	global_load_dword v5, v[6:7], off
	global_load_dword v4, v[8:9], off
	;; [unrolled: 1-line block ×4, first 2 shown]
	s_andn2_b64 vcc, exec, s[10:11]
	s_cbranch_vccnz .LBB206_8
; %bb.6:
	s_add_u32 s8, s8, s12
	s_addc_u32 s9, s9, s13
	s_load_dword s5, s[8:9], 0x0
	s_branch .LBB206_9
.LBB206_7:
	s_mov_b64 s[12:13], 0
	s_branch .LBB206_2
.LBB206_8:
	s_mov_b32 s5, s2
.LBB206_9:
	s_load_dwordx2 s[12:13], s[0:1], 0x10
	s_load_dwordx4 s[8:11], s[0:1], 0x48
	v_lshrrev_b32_e32 v85, 6, v0
	v_bfe_u32 v88, v0, 4, 2
	v_and_b32_e32 v84, 15, v0
	v_lshl_or_b32 v1, v85, 2, v88
	v_lshlrev_b32_e32 v6, 3, v84
	s_mul_i32 s40, s4, 15
	v_cmp_gt_u32_e32 vcc, 15, v1
	v_lshlrev_b32_e32 v82, 1, v6
	s_and_saveexec_b64 s[16:17], vcc
	s_cbranch_execz .LBB206_11
; %bb.10:
	s_load_dwordx2 s[20:21], s[0:1], 0x0
	s_waitcnt lgkmcnt(0)
	s_ashr_i32 s11, s8, 31
	s_mul_hi_u32 s22, s5, s8
	s_mul_i32 s11, s5, s11
	s_add_i32 s23, s22, s11
	s_mul_i32 s22, s5, s8
	s_lshl_b64 s[22:23], s[22:23], 1
	s_add_u32 s20, s20, s22
	v_add_lshl_u32 v6, v1, s40, 7
	s_addc_u32 s21, s21, s23
	v_ashrrev_i32_e32 v7, 31, v6
	v_lshl_add_u64 v[6:7], v[6:7], 1, s[20:21]
	v_mov_b32_e32 v83, 0
	v_lshl_add_u64 v[6:7], v[6:7], 0, v[82:83]
	global_load_dwordx4 v[6:9], v[6:7], off
	v_and_b32_e32 v10, 3, v0
	v_lshlrev_b32_e32 v11, 9, v84
	v_lshlrev_b32_e32 v1, 5, v1
	;; [unrolled: 1-line block ×3, first 2 shown]
	v_and_b32_e32 v11, 0x1800, v11
	v_or3_b32 v1, v11, v10, v1
	s_waitcnt vmcnt(0)
	ds_write_b128 v1, v[6:9]
.LBB206_11:
	s_or_b64 exec, exec, s[16:17]
	s_waitcnt lgkmcnt(0)
	s_mov_b32 s5, 0
	s_mul_i32 s4, s4, s10
	s_lshl_b64 s[4:5], s[4:5], 1
	s_add_u32 s10, s14, s4
	v_lshlrev_b32_e32 v1, 4, v0
	v_mov_b32_e32 v87, 0
	s_addc_u32 s11, s15, s5
	v_and_b32_e32 v86, 0xf0, v1
	v_lshl_add_u64 v[6:7], s[10:11], 0, v[86:87]
	s_waitcnt vmcnt(3)
	v_mad_i64_i32 v[8:9], s[10:11], v5, s9, 0
	s_waitcnt vmcnt(2)
	v_mad_i64_i32 v[4:5], s[10:11], v4, s9, 0
	v_lshl_add_u64 v[8:9], v[8:9], 1, v[6:7]
	v_and_b32_e32 v86, 0x300, v1
	v_lshl_add_u64 v[4:5], v[4:5], 1, v[6:7]
	v_lshl_add_u64 v[8:9], v[8:9], 0, v[86:87]
	;; [unrolled: 1-line block ×3, first 2 shown]
	s_barrier
	global_load_dwordx4 v[78:81], v[8:9], off
	global_load_dwordx4 v[74:77], v[8:9], off offset:1024
	global_load_dwordx4 v[70:73], v[8:9], off offset:2048
	;; [unrolled: 1-line block ×3, first 2 shown]
	global_load_dwordx4 v[66:69], v[4:5], off
	global_load_dwordx4 v[62:65], v[4:5], off offset:1024
	global_load_dwordx4 v[58:61], v[4:5], off offset:2048
	;; [unrolled: 1-line block ×3, first 2 shown]
	s_waitcnt vmcnt(9)
	v_mad_i64_i32 v[4:5], s[10:11], v3, s9, 0
	s_waitcnt vmcnt(8)
	v_mad_i64_i32 v[2:3], s[10:11], v2, s9, 0
	v_lshl_add_u64 v[4:5], v[4:5], 1, v[6:7]
	v_lshl_add_u64 v[2:3], v[2:3], 1, v[6:7]
	;; [unrolled: 1-line block ×4, first 2 shown]
	global_load_dwordx4 v[30:33], v[4:5], off
	global_load_dwordx4 v[26:29], v[4:5], off offset:1024
	global_load_dwordx4 v[22:25], v[4:5], off offset:2048
	;; [unrolled: 1-line block ×3, first 2 shown]
	global_load_dwordx4 v[6:9], v[34:35], off
	s_nop 0
	global_load_dwordx4 v[2:5], v[34:35], off offset:1024
	global_load_dwordx4 v[38:41], v[34:35], off offset:2048
	s_nop 0
	global_load_dwordx4 v[34:37], v[34:35], off offset:3072
	v_cmp_ne_u32_e32 vcc, 15, v84
	v_and_b32_e32 v83, 63, v0
	v_mov_b32_e32 v89, 0
	v_cndmask_b32_e32 v42, 0, v84, vcc
	v_lshlrev_b32_e32 v42, 5, v42
	v_lshl_or_b32 v42, v88, 9, v42
	ds_read_b128 v[54:57], v42
	ds_read_b128 v[50:53], v42 offset:2048
	ds_read_b128 v[46:49], v42 offset:4096
	;; [unrolled: 1-line block ×3, first 2 shown]
	s_and_saveexec_b64 s[10:11], vcc
	s_cbranch_execz .LBB206_13
; %bb.12:
	s_load_dwordx2 s[14:15], s[0:1], 0x40
	v_add_u32_e32 v90, s40, v84
	v_ashrrev_i32_e32 v91, 31, v90
	s_waitcnt lgkmcnt(0)
	v_lshl_add_u64 v[90:91], v[90:91], 2, s[14:15]
	global_load_dword v89, v[90:91], off
.LBB206_13:
	s_or_b64 exec, exec, s[10:11]
	s_waitcnt vmcnt(15) lgkmcnt(3)
	v_mfma_f32_16x16x16_f16 v[90:93], v[78:79], v[54:55], 0
	s_add_u32 s4, s12, s4
	s_addc_u32 s5, s13, s5
	s_mov_b32 s33, 0xff7fffff
	v_mfma_f32_16x16x16_f16 v[78:81], v[80:81], v[56:57], v[90:93]
	s_waitcnt vmcnt(14) lgkmcnt(2)
	v_mfma_f32_16x16x16_f16 v[78:81], v[74:75], v[50:51], v[78:81]
	s_nop 0
	v_lshl_or_b32 v90, v85, 4, v84
	v_lshlrev_b32_e32 v86, 5, v90
	v_mfma_f32_16x16x16_f16 v[74:77], v[76:77], v[52:53], v[78:81]
	s_waitcnt vmcnt(13) lgkmcnt(1)
	v_mfma_f32_16x16x16_f16 v[74:77], v[70:71], v[46:47], v[74:77]
	v_mfma_f32_16x16x16_f16 v[70:73], v[72:73], v[48:49], v[74:77]
	s_waitcnt vmcnt(11)
	v_mfma_f32_16x16x16_f16 v[74:77], v[66:67], v[54:55], 0
	v_mfma_f32_16x16x16_f16 v[66:69], v[68:69], v[56:57], v[74:77]
	s_nop 5
	v_and_or_b32 v74, v0, 48, s18
	s_waitcnt lgkmcnt(0)
	v_mfma_f32_16x16x16_f16 v[70:73], v[10:11], v[42:43], v[70:73]
	v_ashrrev_i32_e32 v10, 4, v74
	v_mov_b32_e32 v75, s19
	v_cmp_gt_i32_e32 vcc, s27, v74
	s_waitcnt vmcnt(10)
	v_mfma_f32_16x16x16_f16 v[66:69], v[62:63], v[50:51], v[66:69]
	v_cndmask_b32_e32 v10, v75, v10, vcc
	v_ashrrev_i32_e32 v11, 31, v10
	v_lshl_add_u64 v[10:11], v[10:11], 2, s[6:7]
	global_load_dword v76, v[10:11], off
	v_mfma_f32_16x16x16_f16 v[62:65], v[64:65], v[52:53], v[66:69]
	v_or_b32_e32 v10, 64, v74
	v_ashrrev_i32_e32 v11, 4, v10
	v_cmp_gt_i32_e32 vcc, s27, v10
	s_waitcnt vmcnt(10)
	v_mfma_f32_16x16x16_f16 v[62:65], v[58:59], v[46:47], v[62:65]
	v_cndmask_b32_e32 v10, v75, v11, vcc
	v_ashrrev_i32_e32 v11, 31, v10
	v_lshl_add_u64 v[10:11], v[10:11], 2, s[6:7]
	global_load_dword v77, v[10:11], off
	v_or_b32_e32 v10, 0x80, v74
	v_mfma_f32_16x16x16_f16 v[58:61], v[60:61], v[48:49], v[62:65]
	v_ashrrev_i32_e32 v11, 4, v10
	v_cmp_gt_i32_e32 vcc, s27, v10
	s_waitcnt vmcnt(9)
	v_mfma_f32_16x16x16_f16 v[62:65], v[30:31], v[54:55], 0
	v_cndmask_b32_e32 v10, v75, v11, vcc
	v_ashrrev_i32_e32 v11, 31, v10
	v_lshl_add_u64 v[10:11], v[10:11], 2, s[6:7]
	v_mfma_f32_16x16x16_f16 v[30:33], v[32:33], v[56:57], v[62:65]
	s_nop 2
	global_load_dword v64, v[10:11], off
	v_or_b32_e32 v10, 0xc0, v74
	v_ashrrev_i32_e32 v11, 4, v10
	v_cmp_gt_i32_e32 vcc, s27, v10
	s_waitcnt vmcnt(9)
	v_mfma_f32_16x16x16_f16 v[30:33], v[26:27], v[50:51], v[30:33]
	v_lshl_add_u64 v[62:63], s[4:5], 0, v[86:87]
	v_cndmask_b32_e32 v10, v75, v11, vcc
	v_ashrrev_i32_e32 v11, 31, v10
	v_lshl_add_u64 v[10:11], v[10:11], 2, s[6:7]
	global_load_dword v65, v[10:11], off
	v_mfma_f32_16x16x16_f16 v[26:29], v[28:29], v[52:53], v[30:33]
	s_load_dword s6, s[0:1], 0x1c
	v_or_b32_e32 v86, 0x800, v86
	s_waitcnt vmcnt(3)
	v_mad_i64_i32 v[10:11], s[10:11], v76, s9, 0
	v_mfma_f32_16x16x16_f16 v[26:29], v[22:23], v[46:47], v[26:29]
	v_lshlrev_b64 v[74:75], 1, v[10:11]
	v_mfma_f32_16x16x16_f16 v[66:69], v[12:13], v[44:45], v[70:73]
	v_mfma_f32_16x16x16_f16 v[10:13], v[24:25], v[48:49], v[26:29]
	;; [unrolled: 1-line block ×3, first 2 shown]
	v_lshl_add_u64 v[14:15], v[62:63], 0, v[74:75]
	s_waitcnt lgkmcnt(0)
	s_nop 2
	v_pk_mul_f32 v[78:79], s[6:7], v[68:69] op_sel_hi:[0,1]
	v_mfma_f32_16x16x16_f16 v[10:13], v[18:19], v[42:43], v[10:13]
	v_mfma_f32_16x16x16_f16 v[70:73], v[16:17], v[44:45], v[30:33]
	s_nop 2
	global_load_dwordx4 v[30:33], v[14:15], off
	global_load_dwordx4 v[26:29], v[14:15], off offset:16
	s_waitcnt vmcnt(4)
	v_mad_i64_i32 v[14:15], s[10:11], v77, s9, 0
	v_lshlrev_b64 v[58:59], 1, v[14:15]
	v_mfma_f32_16x16x16_f16 v[92:95], v[20:21], v[44:45], v[10:13]
	v_pk_mul_f32 v[76:77], s[6:7], v[70:71] op_sel_hi:[0,1]
	s_nop 1
	v_lshl_add_u64 v[10:11], v[62:63], 0, v[58:59]
	global_load_dwordx4 v[22:25], v[10:11], off
	global_load_dwordx4 v[18:21], v[10:11], off offset:16
	v_mfma_f32_16x16x16_f16 v[10:13], v[6:7], v[54:55], 0
	s_waitcnt vmcnt(5)
	v_mad_i64_i32 v[6:7], s[10:11], v64, s9, 0
	v_lshlrev_b64 v[54:55], 1, v[6:7]
	v_mfma_f32_16x16x16_f16 v[6:9], v[8:9], v[56:57], v[10:13]
	v_pk_mul_f32 v[70:71], s[6:7], v[94:95] op_sel_hi:[0,1]
	v_mfma_f32_16x16x16_f16 v[6:9], v[2:3], v[50:51], v[6:9]
	s_waitcnt vmcnt(4)
	v_mad_i64_i32 v[2:3], s[8:9], v65, s9, 0
	v_lshlrev_b64 v[60:61], 1, v[2:3]
	v_mfma_f32_16x16x16_f16 v[50:53], v[4:5], v[52:53], v[6:9]
	v_lshl_add_u64 v[10:11], v[62:63], 0, v[54:55]
	v_lshl_add_u64 v[2:3], v[62:63], 0, v[60:61]
	v_pk_mul_f32 v[62:63], s[6:7], v[66:67] op_sel_hi:[0,1]
	v_mfma_f32_16x16x16_f16 v[50:53], v[38:39], v[46:47], v[50:53]
	v_lshl_add_u64 v[64:65], s[4:5], 0, v[86:87]
	v_lshl_add_u64 v[38:39], v[64:65], 0, v[74:75]
	v_pk_mul_f32 v[74:75], s[6:7], v[72:73] op_sel_hi:[0,1]
	v_mfma_f32_16x16x16_f16 v[46:49], v[40:41], v[48:49], v[50:53]
	v_pk_mul_f32 v[72:73], s[6:7], v[92:93] op_sel_hi:[0,1]
	global_load_dwordx4 v[14:17], v[10:11], off
	s_nop 0
	global_load_dwordx4 v[10:13], v[10:11], off offset:16
	s_nop 0
	global_load_dwordx4 v[6:9], v[2:3], off
	s_nop 0
	global_load_dwordx4 v[2:5], v[2:3], off offset:16
	v_mfma_f32_16x16x16_f16 v[40:43], v[34:35], v[42:43], v[46:49]
	v_mfma_f32_16x16x16_f16 v[34:37], v[36:37], v[44:45], v[40:43]
	s_nop 6
	v_pk_mul_f32 v[68:69], s[6:7], v[34:35] op_sel_hi:[0,1]
	v_and_b32_e32 v34, 0xc0, v0
	v_add_u32_e32 v34, s18, v34
	v_lshl_or_b32 v34, v88, 2, v34
	v_or_b32_e32 v35, 1, v34
	v_pk_mul_f32 v[66:67], s[6:7], v[36:37] op_sel_hi:[0,1]
	v_subrev_u32_e32 v36, s27, v35
	v_add_u32_e32 v40, 1, v36
	v_add_u32_e32 v41, 2, v36
	v_cvt_f32_i32_e32 v37, v36
	v_cvt_f32_i32_e32 v40, v40
	;; [unrolled: 1-line block ×3, first 2 shown]
	v_add_u32_e32 v42, 3, v36
	v_fma_f32 v62, v89, v37, v62
	v_fmac_f32_e32 v63, v89, v40
	v_fma_f32 v78, v89, v41, v78
	v_add_u32_e32 v37, 16, v36
	v_add_u32_e32 v40, 17, v36
	v_add_u32_e32 v41, 18, v36
	v_cvt_f32_i32_e32 v42, v42
	v_cvt_f32_i32_e32 v37, v37
	;; [unrolled: 1-line block ×4, first 2 shown]
	v_fmac_f32_e32 v79, v89, v42
	v_add_u32_e32 v42, 19, v36
	v_fma_f32 v76, v89, v37, v76
	v_fmac_f32_e32 v77, v89, v40
	v_fma_f32 v74, v89, v41, v74
	v_add_u32_e32 v37, 32, v36
	v_add_u32_e32 v40, 33, v36
	;; [unrolled: 1-line block ×3, first 2 shown]
	v_cvt_f32_i32_e32 v42, v42
	v_cvt_f32_i32_e32 v37, v37
	;; [unrolled: 1-line block ×4, first 2 shown]
	v_fmac_f32_e32 v75, v89, v42
	v_add_u32_e32 v42, 35, v36
	v_fma_f32 v72, v89, v37, v72
	v_fmac_f32_e32 v73, v89, v40
	v_fma_f32 v70, v89, v41, v70
	v_add_u32_e32 v37, 48, v36
	v_add_u32_e32 v40, 49, v36
	;; [unrolled: 1-line block ×4, first 2 shown]
	v_cvt_f32_i32_e32 v36, v36
	v_cvt_f32_i32_e32 v37, v37
	;; [unrolled: 1-line block ×3, first 2 shown]
	v_cmp_gt_i32_e64 s[28:29], s27, v34
	v_fmac_f32_e32 v67, v89, v36
	v_mov_b32_e32 v36, 0xff7fffff
	v_cmp_gt_i32_e64 s[30:31], s27, v35
	v_fma_f32 v68, v89, v37, v68
	v_cndmask_b32_e64 v37, v36, v62, s[28:29]
	v_cndmask_b32_e64 v35, v36, v63, s[30:31]
	v_fmac_f32_e32 v69, v89, v40
	v_max3_f32 v35, v37, s33, v35
	v_or_b32_e32 v37, 2, v34
	v_or_b32_e32 v40, 3, v34
	v_cmp_gt_i32_e64 s[34:35], s27, v37
	v_cmp_gt_i32_e64 s[36:37], s27, v40
	v_cvt_f32_i32_e32 v42, v42
	v_cndmask_b32_e64 v37, v36, v78, s[34:35]
	v_cndmask_b32_e64 v40, v36, v79, s[36:37]
	v_max3_f32 v35, v35, v37, v40
	v_or_b32_e32 v37, 16, v34
	v_or_b32_e32 v40, 17, v34
	v_cmp_gt_i32_e64 s[22:23], s27, v37
	v_cmp_gt_i32_e64 s[24:25], s27, v40
	v_fmac_f32_e32 v71, v89, v42
	v_cndmask_b32_e64 v37, v36, v76, s[22:23]
	v_cndmask_b32_e64 v40, v36, v77, s[24:25]
	v_max3_f32 v35, v35, v37, v40
	v_or_b32_e32 v37, 18, v34
	v_or_b32_e32 v40, 19, v34
	v_cmp_gt_i32_e64 s[18:19], s27, v37
	v_cmp_gt_i32_e64 s[20:21], s27, v40
	v_cvt_f32_i32_e32 v41, v41
	v_cndmask_b32_e64 v37, v36, v74, s[18:19]
	v_cndmask_b32_e64 v40, v36, v75, s[20:21]
	v_max3_f32 v35, v35, v37, v40
	v_or_b32_e32 v37, 32, v34
	v_or_b32_e32 v40, 33, v34
	v_cmp_gt_i32_e64 s[14:15], s27, v37
	v_cmp_gt_i32_e64 s[16:17], s27, v40
	v_fma_f32 v66, v89, v41, v66
	v_cndmask_b32_e64 v37, v36, v72, s[14:15]
	v_cndmask_b32_e64 v40, v36, v73, s[16:17]
	v_max3_f32 v35, v35, v37, v40
	v_or_b32_e32 v37, 34, v34
	v_or_b32_e32 v40, 35, v34
	v_cmp_gt_i32_e64 s[10:11], s27, v37
	v_cmp_gt_i32_e64 s[12:13], s27, v40
	s_nop 0
	v_cndmask_b32_e64 v37, v36, v70, s[10:11]
	v_cndmask_b32_e64 v40, v36, v71, s[12:13]
	v_max3_f32 v35, v35, v37, v40
	v_or_b32_e32 v37, 48, v34
	v_or_b32_e32 v40, 49, v34
	v_cmp_gt_i32_e64 s[6:7], s27, v37
	v_cmp_gt_i32_e64 s[8:9], s27, v40
	s_nop 0
	v_cndmask_b32_e64 v37, v36, v68, s[6:7]
	v_cndmask_b32_e64 v40, v36, v69, s[8:9]
	v_max3_f32 v35, v35, v37, v40
	v_or_b32_e32 v37, 50, v34
	v_or_b32_e32 v34, 51, v34
	v_cmp_gt_i32_e32 vcc, s27, v37
	v_cmp_gt_i32_e64 s[4:5], s27, v34
	global_load_dwordx4 v[46:49], v[38:39], off
	s_nop 0
	global_load_dwordx4 v[38:41], v[38:39], off offset:16
	v_cndmask_b32_e32 v37, v36, v66, vcc
	v_cndmask_b32_e64 v34, v36, v67, s[4:5]
	v_max3_f32 v50, v35, v37, v34
	v_mbcnt_lo_u32_b32 v34, -1, 0
	v_mbcnt_hi_u32_b32 v51, -1, v34
	v_and_b32_e32 v34, 64, v51
	v_add_u32_e32 v52, 64, v34
	v_xor_b32_e32 v34, 32, v51
	v_cmp_lt_i32_e64 s[38:39], v34, v52
	s_nop 1
	v_cndmask_b32_e64 v34, v51, v34, s[38:39]
	v_lshlrev_b32_e32 v87, 2, v34
	ds_bpermute_b32 v53, v87, v50
	v_lshl_add_u64 v[34:35], v[64:65], 0, v[58:59]
	v_lshl_add_u64 v[58:59], v[64:65], 0, v[60:61]
	global_load_dwordx4 v[42:45], v[34:35], off
	s_nop 0
	global_load_dwordx4 v[34:37], v[34:35], off offset:16
	s_waitcnt lgkmcnt(0)
	v_max_f32_e32 v53, v53, v53
	v_max_f32_e32 v80, v50, v53
	v_xor_b32_e32 v50, 16, v51
	v_cmp_lt_i32_e64 s[38:39], v50, v52
	s_nop 1
	v_cndmask_b32_e64 v50, v51, v50, s[38:39]
	v_lshlrev_b32_e32 v89, 2, v50
	ds_bpermute_b32 v81, v89, v80
	v_lshl_add_u64 v[50:51], v[64:65], 0, v[54:55]
	global_load_dwordx4 v[54:57], v[50:51], off
	s_nop 0
	global_load_dwordx4 v[50:53], v[50:51], off offset:16
	s_waitcnt lgkmcnt(0)
	v_max_f32_e32 v60, v81, v81
	v_max_f32_e32 v86, v80, v60
	v_sub_f32_e32 v60, v62, v86
	v_mul_f32_e32 v60, 0x3fb8aa3b, v60
	v_exp_f32_e32 v80, v60
	v_sub_f32_e32 v60, v63, v86
	v_mul_f32_e32 v60, 0x3fb8aa3b, v60
	v_exp_f32_e32 v81, v60
	global_load_dwordx4 v[62:65], v[58:59], off
	s_nop 0
	global_load_dwordx4 v[58:61], v[58:59], off offset:16
	v_sub_f32_e32 v78, v78, v86
	v_mul_f32_e32 v78, 0x3fb8aa3b, v78
	v_sub_f32_e32 v79, v79, v86
	v_exp_f32_e32 v78, v78
	v_mul_f32_e32 v79, 0x3fb8aa3b, v79
	v_sub_f32_e32 v76, v76, v86
	v_exp_f32_e32 v79, v79
	v_mul_f32_e32 v76, 0x3fb8aa3b, v76
	v_sub_f32_e32 v77, v77, v86
	v_cndmask_b32_e64 v80, 0, v80, s[28:29]
	v_exp_f32_e32 v76, v76
	v_mul_f32_e32 v77, 0x3fb8aa3b, v77
	v_sub_f32_e32 v74, v74, v86
	v_add_f32_e32 v91, 0, v80
	v_cndmask_b32_e64 v81, 0, v81, s[30:31]
	v_exp_f32_e32 v77, v77
	v_mul_f32_e32 v74, 0x3fb8aa3b, v74
	v_sub_f32_e32 v75, v75, v86
	v_add_f32_e32 v91, v91, v81
	v_cndmask_b32_e64 v78, 0, v78, s[34:35]
	v_exp_f32_e32 v74, v74
	v_mul_f32_e32 v75, 0x3fb8aa3b, v75
	v_sub_f32_e32 v72, v72, v86
	v_add_f32_e32 v91, v91, v78
	v_cndmask_b32_e64 v79, 0, v79, s[36:37]
	v_exp_f32_e32 v75, v75
	v_mul_f32_e32 v72, 0x3fb8aa3b, v72
	v_sub_f32_e32 v73, v73, v86
	v_add_f32_e32 v91, v91, v79
	v_cndmask_b32_e64 v76, 0, v76, s[22:23]
	v_exp_f32_e32 v72, v72
	v_mul_f32_e32 v73, 0x3fb8aa3b, v73
	v_sub_f32_e32 v70, v70, v86
	v_add_f32_e32 v91, v91, v76
	v_cndmask_b32_e64 v77, 0, v77, s[24:25]
	v_exp_f32_e32 v73, v73
	v_mul_f32_e32 v70, 0x3fb8aa3b, v70
	v_sub_f32_e32 v71, v71, v86
	v_add_f32_e32 v91, v91, v77
	v_cndmask_b32_e64 v74, 0, v74, s[18:19]
	v_exp_f32_e32 v70, v70
	v_mul_f32_e32 v71, 0x3fb8aa3b, v71
	v_sub_f32_e32 v68, v68, v86
	v_add_f32_e32 v91, v91, v74
	v_cndmask_b32_e64 v75, 0, v75, s[20:21]
	v_exp_f32_e32 v71, v71
	v_mul_f32_e32 v68, 0x3fb8aa3b, v68
	v_sub_f32_e32 v69, v69, v86
	v_add_f32_e32 v91, v91, v75
	v_cndmask_b32_e64 v72, 0, v72, s[14:15]
	v_exp_f32_e32 v68, v68
	v_mul_f32_e32 v69, 0x3fb8aa3b, v69
	v_sub_f32_e32 v66, v66, v86
	v_add_f32_e32 v91, v91, v72
	v_cndmask_b32_e64 v73, 0, v73, s[16:17]
	v_exp_f32_e32 v69, v69
	v_mul_f32_e32 v66, 0x3fb8aa3b, v66
	v_sub_f32_e32 v67, v67, v86
	v_add_f32_e32 v91, v91, v73
	v_cndmask_b32_e64 v70, 0, v70, s[10:11]
	v_exp_f32_e32 v66, v66
	v_mul_f32_e32 v67, 0x3fb8aa3b, v67
	v_add_f32_e32 v91, v91, v70
	v_cndmask_b32_e64 v71, 0, v71, s[12:13]
	v_exp_f32_e32 v67, v67
	v_add_f32_e32 v91, v91, v71
	v_cndmask_b32_e64 v68, 0, v68, s[6:7]
	v_add_f32_e32 v91, v91, v68
	v_cndmask_b32_e64 v69, 0, v69, s[8:9]
	v_add_f32_e32 v91, v91, v69
	v_cndmask_b32_e32 v66, 0, v66, vcc
	v_add_f32_e32 v91, v91, v66
	v_cndmask_b32_e64 v67, 0, v67, s[4:5]
	v_add_f32_e32 v91, v91, v67
	ds_bpermute_b32 v87, v87, v91
	s_load_dword s7, s[0:1], 0x98
	v_cmp_gt_u32_e32 vcc, 16, v83
	s_waitcnt lgkmcnt(0)
	s_barrier
	v_add_f32_e32 v87, v91, v87
	ds_bpermute_b32 v89, v89, v87
	s_waitcnt lgkmcnt(0)
	s_and_saveexec_b64 s[4:5], vcc
	s_cbranch_execz .LBB206_15
; %bb.14:
	v_add_f32_e32 v83, v87, v89
	v_lshlrev_b32_e32 v87, 2, v90
	ds_write2st64_b32 v87, v86, v83 offset1:1
.LBB206_15:
	s_or_b64 exec, exec, s[4:5]
	v_lshlrev_b32_e32 v89, 2, v84
	s_load_dword s6, s[0:1], 0x94
	s_waitcnt lgkmcnt(0)
	s_barrier
	ds_read2_b32 v[86:87], v89 offset1:16
	ds_read2_b32 v[90:91], v89 offset0:32 offset1:48
	ds_read2_b32 v[92:93], v89 offset0:64 offset1:80
	;; [unrolled: 1-line block ×3, first 2 shown]
	s_mul_i32 s7, s7, 15
	s_waitcnt lgkmcnt(3)
	v_max3_f32 v83, v86, s33, v87
	s_waitcnt lgkmcnt(2)
	v_max3_f32 v83, v83, v90, v91
	v_sub_f32_e32 v86, v86, v83
	v_mul_f32_e32 v86, 0x3fb8aa3b, v86
	v_exp_f32_e32 v1, v86
	v_sub_f32_e32 v86, v87, v83
	v_mul_f32_e32 v86, 0x3fb8aa3b, v86
	v_exp_f32_e32 v87, v86
	;; [unrolled: 3-line block ×4, first 2 shown]
	s_waitcnt lgkmcnt(1)
	v_fma_f32 v86, v1, v92, 0
	v_fmac_f32_e32 v86, v87, v93
	s_waitcnt lgkmcnt(0)
	v_fmac_f32_e32 v86, v90, v94
	v_fmac_f32_e32 v86, v89, v95
	v_add_f32_e32 v91, 0x358637bd, v86
	v_div_scale_f32 v92, s[4:5], v91, v91, 1.0
	v_rcp_f32_e32 v93, v92
	s_barrier
	v_fma_f32 v94, -v92, v93, 1.0
	v_fmac_f32_e32 v93, v94, v93
	v_div_scale_f32 v94, vcc, 1.0, v91, 1.0
	v_mul_f32_e32 v95, v94, v93
	v_fma_f32 v88, -v92, v95, v94
	v_fmac_f32_e32 v95, v88, v93
	v_fma_f32 v88, -v92, v95, v94
	v_div_fmas_f32 v88, v88, v93, v95
	v_cmp_eq_u32_e32 vcc, 1, v85
	v_div_fixup_f32 v88, v88, v91, 1.0
	s_nop 0
	v_cndmask_b32_e32 v1, v1, v87, vcc
	v_cmp_eq_u32_e32 vcc, 2, v85
	v_bfe_u32 v87, v0, 4, 2
	s_nop 0
	v_cndmask_b32_e32 v1, v1, v90, vcc
	v_cmp_eq_u32_e32 vcc, 3, v85
	s_nop 1
	v_cndmask_b32_e32 v1, v1, v89, vcc
	v_mul_f32_e32 v90, v1, v88
	v_pk_mul_f32 v[78:79], v[90:91], v[78:79] op_sel_hi:[0,1]
	v_cvt_f16_f32_e32 v78, v78
	v_cvt_f16_f32_e32 v79, v79
	v_pk_mul_f32 v[80:81], v[90:91], v[80:81] op_sel_hi:[0,1]
	v_cvt_f16_f32_e32 v1, v80
	v_cvt_f16_f32_e32 v80, v81
	v_pk_mul_f32 v[74:75], v[90:91], v[74:75] op_sel_hi:[0,1]
	v_pk_mul_f32 v[76:77], v[90:91], v[76:77] op_sel_hi:[0,1]
	v_pack_b32_f16 v81, v78, v79
	v_cvt_f16_f32_e32 v76, v76
	v_cvt_f16_f32_e32 v77, v77
	;; [unrolled: 1-line block ×4, first 2 shown]
	v_pack_b32_f16 v80, v1, v80
	v_lshlrev_b32_e32 v1, 3, v87
	v_lshlrev_b32_e32 v78, 5, v84
	;; [unrolled: 1-line block ×3, first 2 shown]
	v_pk_mul_f32 v[70:71], v[90:91], v[70:71] op_sel_hi:[0,1]
	v_pk_mul_f32 v[72:73], v[90:91], v[72:73] op_sel_hi:[0,1]
	;; [unrolled: 1-line block ×4, first 2 shown]
	v_or3_b32 v74, v74, v78, v1
	v_pack_b32_f16 v76, v76, v77
	v_pack_b32_f16 v77, v79, v75
	v_cvt_f16_f32_e32 v1, v72
	v_cvt_f16_f32_e32 v72, v73
	;; [unrolled: 1-line block ×8, first 2 shown]
	v_pack_b32_f16 v66, v1, v72
	v_pack_b32_f16 v67, v70, v71
	;; [unrolled: 1-line block ×4, first 2 shown]
	v_cmp_gt_u32_e32 vcc, 15, v0
	ds_write2st64_b64 v74, v[80:81], v[76:77] offset1:1
	ds_write2st64_b64 v74, v[66:67], v[68:69] offset0:2 offset1:3
	s_and_saveexec_b64 s[4:5], vcc
	s_cbranch_execz .LBB206_17
; %bb.16:
	s_mov_b32 s41, 0
	v_mov_b32_e32 v85, 0
	v_lshl_add_u64 v[66:67], s[40:41], 0, v[84:85]
	v_mov_b32_e32 v1, s7
	v_mad_u64_u32 v[66:67], s[12:13], s2, v1, v[66:67]
	s_mul_i32 s3, s3, s7
	v_mov_b32_e32 v68, s26
	v_mov_b32_e32 v69, v85
	s_load_dwordx4 s[8:11], s[0:1], 0x58
	v_add_u32_e32 v1, s3, v67
	v_mad_u64_u32 v[66:67], s[12:13], v66, s6, v[68:69]
	v_mov_b32_e32 v68, v67
	v_mad_u64_u32 v[68:69], s[12:13], v1, s6, v[68:69]
	v_mov_b32_e32 v67, v68
	v_lshlrev_b64 v[66:67], 2, v[66:67]
	s_waitcnt lgkmcnt(0)
	v_lshl_add_u64 v[68:69], s[10:11], 0, v[66:67]
	v_lshl_add_u64 v[66:67], s[8:9], 0, v[66:67]
	global_store_dword v[68:69], v83, off
	global_store_dword v[66:67], v86, off
.LBB206_17:
	s_or_b64 exec, exec, s[4:5]
	v_lshl_or_b32 v1, v87, 9, v78
	s_waitcnt lgkmcnt(0)
	s_barrier
	ds_read_b128 v[70:73], v1
	ds_read_b128 v[66:69], v1 offset:16
	s_waitcnt vmcnt(15) lgkmcnt(1)
	v_mfma_f32_16x16x16_f16 v[76:79], v[30:31], v[70:71], 0
	s_mov_b32 s3, 0
	v_cmp_gt_u32_e32 vcc, 64, v0
	v_mfma_f32_16x16x16_f16 v[30:33], v[32:33], v[72:73], v[76:79]
	s_waitcnt vmcnt(14) lgkmcnt(0)
	v_mfma_f32_16x16x16_f16 v[30:33], v[26:27], v[66:67], v[30:33]
	v_mfma_f32_16x16x16_f16 v[26:29], v[28:29], v[68:69], v[30:33]
	s_nop 5
	ds_read_b128 v[30:33], v1 offset:2048
	ds_read_b128 v[76:79], v1 offset:2064
	s_waitcnt vmcnt(13) lgkmcnt(1)
	v_mfma_f32_16x16x16_f16 v[26:29], v[22:23], v[30:31], v[26:29]
	v_mfma_f32_16x16x16_f16 v[22:25], v[24:25], v[32:33], v[26:29]
	s_waitcnt vmcnt(12) lgkmcnt(0)
	v_mfma_f32_16x16x16_f16 v[22:25], v[18:19], v[76:77], v[22:25]
	v_mfma_f32_16x16x16_f16 v[18:21], v[20:21], v[78:79], v[22:25]
	s_nop 5
	ds_read_b128 v[22:25], v1 offset:4096
	ds_read_b128 v[26:29], v1 offset:4112
	s_waitcnt vmcnt(11) lgkmcnt(1)
	v_mfma_f32_16x16x16_f16 v[18:21], v[14:15], v[22:23], v[18:21]
	v_mfma_f32_16x16x16_f16 v[14:17], v[16:17], v[24:25], v[18:21]
	s_waitcnt vmcnt(10) lgkmcnt(0)
	v_mfma_f32_16x16x16_f16 v[14:17], v[10:11], v[26:27], v[14:17]
	v_mfma_f32_16x16x16_f16 v[10:13], v[12:13], v[28:29], v[14:17]
	s_nop 5
	ds_read_b128 v[14:17], v1 offset:6144
	ds_read_b128 v[18:21], v1 offset:6160
	s_waitcnt lgkmcnt(0)
	s_barrier
	s_waitcnt vmcnt(9)
	v_mfma_f32_16x16x16_f16 v[10:13], v[6:7], v[14:15], v[10:13]
	v_mfma_f32_16x16x16_f16 v[6:9], v[8:9], v[16:17], v[10:13]
	s_waitcnt vmcnt(8)
	v_mfma_f32_16x16x16_f16 v[6:9], v[2:3], v[18:19], v[6:9]
	v_mfma_f32_16x16x16_f16 v[2:5], v[4:5], v[20:21], v[6:9]
	;; [unrolled: 3-line block ×3, first 2 shown]
	s_nop 3
	v_cvt_f16_f32_e32 v1, v2
	v_cvt_f16_f32_e32 v10, v3
	;; [unrolled: 1-line block ×3, first 2 shown]
	s_waitcnt vmcnt(6)
	v_mfma_f32_16x16x16_f16 v[6:9], v[38:39], v[66:67], v[6:9]
	v_cvt_f16_f32_e32 v12, v5
	v_mfma_f32_16x16x16_f16 v[6:9], v[40:41], v[68:69], v[6:9]
	s_waitcnt vmcnt(5)
	v_mfma_f32_16x16x16_f16 v[6:9], v[42:43], v[30:31], v[6:9]
	v_mfma_f32_16x16x16_f16 v[6:9], v[44:45], v[32:33], v[6:9]
	s_waitcnt vmcnt(4)
	v_mfma_f32_16x16x16_f16 v[6:9], v[34:35], v[76:77], v[6:9]
	;; [unrolled: 3-line block ×6, first 2 shown]
	v_mfma_f32_16x16x16_f16 v[2:5], v[60:61], v[20:21], v[6:9]
	s_nop 6
	v_cvt_f16_f32_e32 v6, v2
	v_cvt_f16_f32_e32 v7, v3
	;; [unrolled: 1-line block ×4, first 2 shown]
	v_pack_b32_f16 v2, v1, v10
	v_pack_b32_f16 v3, v11, v12
	;; [unrolled: 1-line block ×4, first 2 shown]
	ds_write2st64_b64 v74, v[2:3], v[4:5] offset1:1
	s_waitcnt lgkmcnt(0)
	s_barrier
	s_and_saveexec_b64 s[4:5], vcc
	s_cbranch_execz .LBB206_20
; %bb.18:
	s_load_dwordx2 s[4:5], s[0:1], 0x68
	s_lshl_b32 s0, s6, 7
	s_mul_i32 s1, s7, s2
	v_lshlrev_b32_e32 v3, 6, v84
	s_mul_hi_u32 s7, s1, s0
	s_mul_i32 s6, s1, s0
	v_lshlrev_b32_e32 v2, 4, v0
	v_lshl_or_b32 v0, v0, 10, v3
	s_lshl_b64 s[6:7], s[6:7], 1
	v_lshlrev_b32_e32 v1, 5, v87
	v_and_b32_e32 v2, 16, v2
	v_and_b32_e32 v0, 0x1a00, v0
	s_waitcnt lgkmcnt(0)
	s_add_u32 s1, s4, s6
	v_or3_b32 v2, v0, v1, v2
	s_addc_u32 s4, s5, s7
	s_lshl_b32 s2, s26, 7
	ds_read_b128 v[4:7], v2 offset:256
	s_lshl_b64 s[2:3], s[2:3], 1
	ds_read_b128 v[8:11], v2 offset:128
	ds_read_b128 v[12:15], v2
	s_add_u32 s2, s1, s2
	s_addc_u32 s3, s4, s3
	v_mov_b32_e32 v83, 0
	v_add_u32_e32 v3, s40, v87
	v_lshl_add_u64 v[0:1], s[2:3], 0, v[82:83]
	v_mad_u64_u32 v[16:17], s[2:3], v3, s0, 0
	v_lshl_add_u64 v[16:17], v[16:17], 1, v[0:1]
	s_waitcnt lgkmcnt(0)
	global_store_dwordx4 v[16:17], v[12:15], off
	v_cmp_ne_u32_e32 vcc, 3, v87
	s_nop 0
	v_add_u32_e32 v12, 4, v3
	v_mad_u64_u32 v[12:13], s[2:3], v12, s0, 0
	v_lshl_add_u64 v[12:13], v[12:13], 1, v[0:1]
	v_add_u32_e32 v3, 8, v3
	global_store_dwordx4 v[12:13], v[8:11], off
	s_nop 1
	v_mad_u64_u32 v[8:9], s[2:3], v3, s0, 0
	v_lshl_add_u64 v[8:9], v[8:9], 1, v[0:1]
	global_store_dwordx4 v[8:9], v[4:7], off
	s_and_b64 exec, exec, vcc
	s_cbranch_execz .LBB206_20
; %bb.19:
	ds_read_b128 v[2:5], v2 offset:384
	v_add3_u32 v6, s40, v87, 12
	v_mad_u64_u32 v[6:7], s[0:1], v6, s0, 0
	v_lshl_add_u64 v[0:1], v[6:7], 1, v[0:1]
	s_waitcnt lgkmcnt(0)
	global_store_dwordx4 v[0:1], v[2:5], off
.LBB206_20:
	s_endpgm
	.section	.rodata,"a",@progbits
	.p2align	6, 0x0
	.amdhsa_kernel _Z39paged_attention_ll4mi_QKV_mfma16_kernelIDF16_DF16_LN4vllm18Fp8KVCacheDataTypeE0EhLi16ELi128ELi256ELb1ELi15EEvPKT_PKT0_S7_ifPKiS9_S9_iPKfiiiPfSC_PS2_PT2_iSB_SB_
		.amdhsa_group_segment_fixed_size 8192
		.amdhsa_private_segment_fixed_size 0
		.amdhsa_kernarg_size 400
		.amdhsa_user_sgpr_count 2
		.amdhsa_user_sgpr_dispatch_ptr 0
		.amdhsa_user_sgpr_queue_ptr 0
		.amdhsa_user_sgpr_kernarg_segment_ptr 1
		.amdhsa_user_sgpr_dispatch_id 0
		.amdhsa_user_sgpr_kernarg_preload_length 0
		.amdhsa_user_sgpr_kernarg_preload_offset 0
		.amdhsa_user_sgpr_private_segment_size 0
		.amdhsa_uses_dynamic_stack 0
		.amdhsa_enable_private_segment 0
		.amdhsa_system_sgpr_workgroup_id_x 1
		.amdhsa_system_sgpr_workgroup_id_y 1
		.amdhsa_system_sgpr_workgroup_id_z 1
		.amdhsa_system_sgpr_workgroup_info 0
		.amdhsa_system_vgpr_workitem_id 0
		.amdhsa_next_free_vgpr 96
		.amdhsa_next_free_sgpr 42
		.amdhsa_accum_offset 96
		.amdhsa_reserve_vcc 1
		.amdhsa_float_round_mode_32 0
		.amdhsa_float_round_mode_16_64 0
		.amdhsa_float_denorm_mode_32 3
		.amdhsa_float_denorm_mode_16_64 3
		.amdhsa_dx10_clamp 1
		.amdhsa_ieee_mode 1
		.amdhsa_fp16_overflow 0
		.amdhsa_tg_split 0
		.amdhsa_exception_fp_ieee_invalid_op 0
		.amdhsa_exception_fp_denorm_src 0
		.amdhsa_exception_fp_ieee_div_zero 0
		.amdhsa_exception_fp_ieee_overflow 0
		.amdhsa_exception_fp_ieee_underflow 0
		.amdhsa_exception_fp_ieee_inexact 0
		.amdhsa_exception_int_div_zero 0
	.end_amdhsa_kernel
	.section	.text._Z39paged_attention_ll4mi_QKV_mfma16_kernelIDF16_DF16_LN4vllm18Fp8KVCacheDataTypeE0EhLi16ELi128ELi256ELb1ELi15EEvPKT_PKT0_S7_ifPKiS9_S9_iPKfiiiPfSC_PS2_PT2_iSB_SB_,"axG",@progbits,_Z39paged_attention_ll4mi_QKV_mfma16_kernelIDF16_DF16_LN4vllm18Fp8KVCacheDataTypeE0EhLi16ELi128ELi256ELb1ELi15EEvPKT_PKT0_S7_ifPKiS9_S9_iPKfiiiPfSC_PS2_PT2_iSB_SB_,comdat
.Lfunc_end206:
	.size	_Z39paged_attention_ll4mi_QKV_mfma16_kernelIDF16_DF16_LN4vllm18Fp8KVCacheDataTypeE0EhLi16ELi128ELi256ELb1ELi15EEvPKT_PKT0_S7_ifPKiS9_S9_iPKfiiiPfSC_PS2_PT2_iSB_SB_, .Lfunc_end206-_Z39paged_attention_ll4mi_QKV_mfma16_kernelIDF16_DF16_LN4vllm18Fp8KVCacheDataTypeE0EhLi16ELi128ELi256ELb1ELi15EEvPKT_PKT0_S7_ifPKiS9_S9_iPKfiiiPfSC_PS2_PT2_iSB_SB_
                                        ; -- End function
	.section	.AMDGPU.csdata,"",@progbits
; Kernel info:
; codeLenInByte = 4748
; NumSgprs: 48
; NumVgprs: 96
; NumAgprs: 0
; TotalNumVgprs: 96
; ScratchSize: 0
; MemoryBound: 0
; FloatMode: 240
; IeeeMode: 1
; LDSByteSize: 8192 bytes/workgroup (compile time only)
; SGPRBlocks: 5
; VGPRBlocks: 11
; NumSGPRsForWavesPerEU: 48
; NumVGPRsForWavesPerEU: 96
; AccumOffset: 96
; Occupancy: 5
; WaveLimiterHint : 1
; COMPUTE_PGM_RSRC2:SCRATCH_EN: 0
; COMPUTE_PGM_RSRC2:USER_SGPR: 2
; COMPUTE_PGM_RSRC2:TRAP_HANDLER: 0
; COMPUTE_PGM_RSRC2:TGID_X_EN: 1
; COMPUTE_PGM_RSRC2:TGID_Y_EN: 1
; COMPUTE_PGM_RSRC2:TGID_Z_EN: 1
; COMPUTE_PGM_RSRC2:TIDIG_COMP_CNT: 0
; COMPUTE_PGM_RSRC3_GFX90A:ACCUM_OFFSET: 23
; COMPUTE_PGM_RSRC3_GFX90A:TG_SPLIT: 0
	.section	.text._Z39paged_attention_ll4mi_QKV_mfma16_kernelIDF16_DF16_LN4vllm18Fp8KVCacheDataTypeE0EhLi16ELi128ELi256ELb1ELi16EEvPKT_PKT0_S7_ifPKiS9_S9_iPKfiiiPfSC_PS2_PT2_iSB_SB_,"axG",@progbits,_Z39paged_attention_ll4mi_QKV_mfma16_kernelIDF16_DF16_LN4vllm18Fp8KVCacheDataTypeE0EhLi16ELi128ELi256ELb1ELi16EEvPKT_PKT0_S7_ifPKiS9_S9_iPKfiiiPfSC_PS2_PT2_iSB_SB_,comdat
	.protected	_Z39paged_attention_ll4mi_QKV_mfma16_kernelIDF16_DF16_LN4vllm18Fp8KVCacheDataTypeE0EhLi16ELi128ELi256ELb1ELi16EEvPKT_PKT0_S7_ifPKiS9_S9_iPKfiiiPfSC_PS2_PT2_iSB_SB_ ; -- Begin function _Z39paged_attention_ll4mi_QKV_mfma16_kernelIDF16_DF16_LN4vllm18Fp8KVCacheDataTypeE0EhLi16ELi128ELi256ELb1ELi16EEvPKT_PKT0_S7_ifPKiS9_S9_iPKfiiiPfSC_PS2_PT2_iSB_SB_
	.globl	_Z39paged_attention_ll4mi_QKV_mfma16_kernelIDF16_DF16_LN4vllm18Fp8KVCacheDataTypeE0EhLi16ELi128ELi256ELb1ELi16EEvPKT_PKT0_S7_ifPKiS9_S9_iPKfiiiPfSC_PS2_PT2_iSB_SB_
	.p2align	8
	.type	_Z39paged_attention_ll4mi_QKV_mfma16_kernelIDF16_DF16_LN4vllm18Fp8KVCacheDataTypeE0EhLi16ELi128ELi256ELb1ELi16EEvPKT_PKT0_S7_ifPKiS9_S9_iPKfiiiPfSC_PS2_PT2_iSB_SB_,@function
_Z39paged_attention_ll4mi_QKV_mfma16_kernelIDF16_DF16_LN4vllm18Fp8KVCacheDataTypeE0EhLi16ELi128ELi256ELb1ELi16EEvPKT_PKT0_S7_ifPKiS9_S9_iPKfiiiPfSC_PS2_PT2_iSB_SB_: ; @_Z39paged_attention_ll4mi_QKV_mfma16_kernelIDF16_DF16_LN4vllm18Fp8KVCacheDataTypeE0EhLi16ELi128ELi256ELb1ELi16EEvPKT_PKT0_S7_ifPKiS9_S9_iPKfiiiPfSC_PS2_PT2_iSB_SB_
; %bb.0:
	s_load_dwordx2 s[8:9], s[0:1], 0x30
	s_mov_b32 s26, s3
	s_mov_b64 s[6:7], 0
	s_waitcnt lgkmcnt(0)
	s_cmp_lg_u64 s[8:9], 0
	s_cselect_b64 s[10:11], -1, 0
	s_and_b64 vcc, exec, s[10:11]
	s_cbranch_vccz .LBB207_7
; %bb.1:
	s_add_i32 s12, s2, 1
	s_mov_b32 s13, 0
	s_lshl_b64 s[14:15], s[12:13], 2
	s_add_u32 s14, s8, s14
	s_mov_b32 s3, s13
	s_addc_u32 s15, s9, s15
	s_lshl_b64 s[12:13], s[2:3], 2
	s_add_u32 s12, s8, s12
	s_addc_u32 s13, s9, s13
	s_load_dword s5, s[14:15], 0x0
	s_load_dword s16, s[12:13], 0x0
	s_waitcnt lgkmcnt(0)
	s_sub_i32 s5, s5, s16
	s_cmp_eq_u32 s5, 1
	s_cselect_b64 s[12:13], -1, 0
	s_andn2_b64 vcc, exec, s[6:7]
	s_cbranch_vccnz .LBB207_3
.LBB207_2:
	s_mov_b32 s3, 0
	s_mov_b64 s[12:13], -1
.LBB207_3:
	s_andn2_b64 vcc, exec, s[12:13]
	s_cbranch_vccnz .LBB207_17
; %bb.4:
	s_load_dwordx2 s[6:7], s[0:1], 0x28
	s_lshl_b64 s[18:19], s[2:3], 2
	s_waitcnt lgkmcnt(0)
	s_add_u32 s6, s6, s18
	s_addc_u32 s7, s7, s19
	s_load_dword s38, s[6:7], 0x0
	s_lshl_b32 s20, s26, 8
	s_waitcnt lgkmcnt(0)
	s_cmp_ge_i32 s20, s38
	s_cbranch_scc1 .LBB207_17
; %bb.5:
	s_load_dwordx2 s[6:7], s[0:1], 0x20
	s_load_dword s5, s[0:1], 0x38
	s_add_i32 s12, s38, 15
	s_ashr_i32 s13, s12, 31
	v_and_b32_e32 v1, 0xcf, v0
	s_lshr_b32 s13, s13, 28
	v_add_u32_e32 v1, s20, v1
	s_add_i32 s12, s12, s13
	v_ashrrev_i32_e32 v2, 31, v1
	s_ashr_i32 s21, s12, 4
	v_lshrrev_b32_e32 v4, 28, v2
	s_add_i32 s21, s21, -1
	s_waitcnt lgkmcnt(0)
	s_mul_i32 s12, s2, s5
	s_mov_b32 s13, 0
	v_add_u32_e32 v2, v1, v4
	s_lshl_b64 s[12:13], s[12:13], 2
	v_ashrrev_i32_e32 v2, 4, v2
	v_mov_b32_e32 v5, s21
	v_cmp_gt_i32_e32 vcc, s38, v1
	s_add_u32 s6, s6, s12
	s_addc_u32 s7, s7, s13
	v_cndmask_b32_e32 v2, v5, v2, vcc
	v_ashrrev_i32_e32 v3, 31, v2
	v_lshl_add_u64 v[6:7], v[2:3], 2, s[6:7]
	v_or_b32_e32 v2, 16, v1
	v_add_u32_e32 v3, v2, v4
	v_ashrrev_i32_e32 v3, 4, v3
	v_cmp_gt_i32_e32 vcc, s38, v2
	s_nop 1
	v_cndmask_b32_e32 v2, v5, v3, vcc
	v_ashrrev_i32_e32 v3, 31, v2
	v_lshl_add_u64 v[8:9], v[2:3], 2, s[6:7]
	v_or_b32_e32 v2, 32, v1
	v_add_u32_e32 v3, v2, v4
	v_ashrrev_i32_e32 v3, 4, v3
	v_cmp_gt_i32_e32 vcc, s38, v2
	v_or_b32_e32 v1, 48, v1
	s_nop 0
	v_cndmask_b32_e32 v2, v5, v3, vcc
	v_ashrrev_i32_e32 v3, 31, v2
	v_lshl_add_u64 v[10:11], v[2:3], 2, s[6:7]
	v_add_u32_e32 v2, v1, v4
	v_ashrrev_i32_e32 v2, 4, v2
	v_cmp_gt_i32_e32 vcc, s38, v1
	s_nop 1
	v_cndmask_b32_e32 v2, v5, v2, vcc
	v_ashrrev_i32_e32 v3, 31, v2
	v_lshl_add_u64 v[12:13], v[2:3], 2, s[6:7]
	global_load_dword v4, v[6:7], off
	global_load_dword v3, v[8:9], off
	;; [unrolled: 1-line block ×4, first 2 shown]
	s_load_dwordx2 s[16:17], s[0:1], 0x40
	s_load_dwordx4 s[12:15], s[0:1], 0x8
	s_andn2_b64 vcc, exec, s[10:11]
	s_cbranch_vccnz .LBB207_8
; %bb.6:
	s_add_u32 s8, s8, s18
	s_addc_u32 s9, s9, s19
	s_load_dword s5, s[8:9], 0x0
	s_branch .LBB207_9
.LBB207_7:
	s_mov_b64 s[12:13], 0
	s_branch .LBB207_2
.LBB207_8:
	s_mov_b32 s5, s2
.LBB207_9:
	s_load_dwordx4 s[8:11], s[0:1], 0x48
	v_and_b32_e32 v84, 15, v0
	v_lshlrev_b32_e32 v5, 3, v84
	s_waitcnt lgkmcnt(0)
	s_movk_i32 s11, 0x100
	v_lshrrev_b32_e32 v1, 6, v0
	v_bfe_u32 v86, v0, 4, 2
	s_lshl_b32 s27, s4, 4
	v_cmp_gt_u32_e32 vcc, s11, v0
	v_lshlrev_b32_e32 v6, 1, v5
	scratch_store_dwordx2 off, v[6:7], off  ; 8-byte Folded Spill
	s_and_saveexec_b64 s[18:19], vcc
	s_cbranch_execz .LBB207_11
; %bb.10:
	scratch_load_dwordx2 v[8:9], off, off   ; 8-byte Folded Reload
	s_load_dwordx2 s[22:23], s[0:1], 0x0
	s_ashr_i32 s11, s8, 31
	s_mul_hi_u32 s24, s5, s8
	s_mul_i32 s11, s5, s11
	s_add_i32 s25, s24, s11
	s_mul_i32 s24, s5, s8
	v_lshl_or_b32 v5, v1, 2, v86
	s_lshl_b64 s[24:25], s[24:25], 1
	s_waitcnt lgkmcnt(0)
	s_add_u32 s22, s22, s24
	v_add_lshl_u32 v6, v5, s27, 7
	s_addc_u32 s23, s23, s25
	v_ashrrev_i32_e32 v7, 31, v6
	v_lshl_add_u64 v[6:7], v[6:7], 1, s[22:23]
	v_mov_b32_e32 v11, 0
	v_lshlrev_b32_e32 v5, 5, v5
	s_waitcnt vmcnt(0)
	v_mov_b32_e32 v10, v8
	v_lshl_add_u64 v[6:7], v[6:7], 0, v[10:11]
	scratch_store_dwordx2 off, v[8:9], off  ; 8-byte Folded Spill
	global_load_dwordx4 v[6:9], v[6:7], off
	v_and_b32_e32 v10, 3, v0
	v_lshlrev_b32_e32 v11, 9, v84
	v_lshlrev_b32_e32 v10, 9, v10
	v_and_b32_e32 v11, 0x1800, v11
	v_or3_b32 v5, v11, v10, v5
	s_waitcnt vmcnt(0)
	ds_write_b128 v5, v[6:9]
.LBB207_11:
	s_or_b64 exec, exec, s[18:19]
	s_mul_i32 s4, s4, s10
	s_mov_b32 s5, 0
	s_lshl_b64 s[4:5], s[4:5], 1
	s_add_u32 s10, s12, s4
	v_lshlrev_b32_e32 v6, 4, v0
	s_addc_u32 s11, s13, s5
	v_and_b32_e32 v38, 0xf0, v6
	v_mov_b32_e32 v39, 0
	v_lshl_add_u64 v[40:41], s[10:11], 0, v[38:39]
	s_waitcnt vmcnt(4)
	v_mad_i64_i32 v[4:5], s[10:11], v4, s9, 0
	v_lshl_add_u64 v[4:5], v[4:5], 1, v[40:41]
	v_and_b32_e32 v38, 0x300, v6
	v_lshl_add_u64 v[34:35], v[4:5], 0, v[38:39]
	s_waitcnt vmcnt(3)
	v_mad_i64_i32 v[4:5], s[10:11], v3, s9, 0
	s_load_dword s33, s[0:1], 0x98
	s_load_dword s8, s[0:1], 0x1c
	s_waitcnt lgkmcnt(0)
	s_barrier
	global_load_dwordx4 v[10:13], v[34:35], off
	v_lshl_add_u64 v[4:5], v[4:5], 1, v[40:41]
	v_lshl_add_u64 v[42:43], v[4:5], 0, v[38:39]
	global_load_dwordx4 v[14:17], v[42:43], off
	s_waitcnt vmcnt(4)
	v_mad_i64_i32 v[2:3], s[10:11], v2, s9, 0
	v_lshl_add_u64 v[2:3], v[2:3], 1, v[40:41]
	v_lshl_add_u64 v[44:45], v[2:3], 0, v[38:39]
	global_load_dwordx4 v[30:33], v[44:45], off
	global_load_dwordx4 v[22:25], v[34:35], off offset:1024
	global_load_dwordx4 v[18:21], v[42:43], off offset:1024
	;; [unrolled: 1-line block ×3, first 2 shown]
	v_lshlrev_b32_e32 v2, 5, v84
	scratch_store_dword off, v2, off offset:8 ; 4-byte Folded Spill
	v_lshl_or_b32 v87, v86, 9, v2
	ds_read_b128 v[6:9], v87
	ds_read_b128 v[2:5], v87 offset:2048
	global_load_dwordx4 v[50:53], v[34:35], off offset:2048
	global_load_dwordx4 v[58:61], v[42:43], off offset:2048
	global_load_dwordx4 v[66:69], v[44:45], off offset:2048
	global_load_dwordx4 v[70:73], v[34:35], off offset:3072
	v_and_or_b32 v74, v0, 48, s20
	v_mov_b32_e32 v75, s21
	v_cmp_gt_i32_e32 vcc, s38, v74
	s_waitcnt vmcnt(12)
	v_mad_i64_i32 v[76:77], s[10:11], v36, s9, 0
	v_or_b32_e32 v78, 64, v74
	v_or_b32_e32 v79, 0x80, v74
	;; [unrolled: 1-line block ×3, first 2 shown]
	v_ashrrev_i32_e32 v81, 4, v80
	s_add_u32 s4, s14, s4
	s_addc_u32 s5, s15, s5
	s_mov_b32 s40, 0xff7fffff
	s_waitcnt vmcnt(8) lgkmcnt(1)
	v_mfma_f32_16x16x16_f16 v[62:65], v[30:31], v[6:7], 0
	v_mfma_f32_16x16x16_f16 v[46:49], v[10:11], v[6:7], 0
	;; [unrolled: 1-line block ×4, first 2 shown]
	s_nop 4
	ds_read_b128 v[46:49], v87 offset:4096
	ds_read_b128 v[34:37], v87 offset:6144
	v_mfma_f32_16x16x16_f16 v[14:17], v[16:17], v[8:9], v[54:57]
	s_nop 2
	v_ashrrev_i32_e32 v54, 4, v74
	v_mfma_f32_16x16x16_f16 v[30:33], v[32:33], v[8:9], v[62:65]
	v_ashrrev_i32_e32 v74, 4, v79
	s_waitcnt vmcnt(7) lgkmcnt(2)
	v_mfma_f32_16x16x16_f16 v[10:13], v[22:23], v[2:3], v[10:13]
	v_cndmask_b32_e32 v22, v75, v54, vcc
	global_load_dwordx4 v[54:57], v[42:43], off offset:3072
	v_ashrrev_i32_e32 v23, 31, v22
	global_load_dwordx4 v[42:45], v[44:45], off offset:3072
	v_ashrrev_i32_e32 v62, 4, v78
	s_waitcnt vmcnt(8)
	v_mfma_f32_16x16x16_f16 v[14:17], v[18:19], v[2:3], v[14:17]
	v_lshl_add_u64 v[18:19], v[22:23], 2, s[6:7]
	v_cmp_gt_i32_e32 vcc, s38, v78
	v_lshl_add_u64 v[22:23], v[76:77], 1, v[40:41]
	s_waitcnt vmcnt(7)
	v_mfma_f32_16x16x16_f16 v[30:33], v[26:27], v[2:3], v[30:33]
	global_load_dword v26, v[18:19], off
	v_cndmask_b32_e32 v18, v75, v62, vcc
	v_ashrrev_i32_e32 v19, 31, v18
	v_lshl_add_u64 v[22:23], v[22:23], 0, v[38:39]
	v_lshl_add_u64 v[18:19], v[18:19], 2, s[6:7]
	global_load_dwordx4 v[62:65], v[22:23], off
	global_load_dword v88, v[18:19], off
	v_mfma_f32_16x16x16_f16 v[10:13], v[24:25], v[4:5], v[10:13]
	v_cmp_gt_i32_e32 vcc, s38, v79
	global_load_dwordx4 v[76:79], v[22:23], off offset:1024
	global_load_dwordx4 v[92:95], v[22:23], off offset:3072
	v_cndmask_b32_e32 v24, v75, v74, vcc
	v_ashrrev_i32_e32 v25, 31, v24
	v_lshl_add_u64 v[24:25], v[24:25], 2, s[6:7]
	s_waitcnt vmcnt(10) lgkmcnt(1)
	v_mfma_f32_16x16x16_f16 v[10:13], v[50:51], v[46:47], v[10:13]
	global_load_dword v50, v[24:25], off
	v_cmp_gt_i32_e32 vcc, s38, v80
	v_mfma_f32_16x16x16_f16 v[14:17], v[20:21], v[4:5], v[14:17]
	s_nop 0
	v_cndmask_b32_e32 v24, v75, v81, vcc
	global_load_dwordx4 v[80:83], v[22:23], off offset:2048
	v_ashrrev_i32_e32 v25, 31, v24
	v_lshl_add_u64 v[24:25], v[24:25], 2, s[6:7]
	v_mfma_f32_16x16x16_f16 v[18:21], v[28:29], v[4:5], v[30:33]
	s_waitcnt vmcnt(11)
	v_mfma_f32_16x16x16_f16 v[14:17], v[58:59], v[46:47], v[14:17]
	global_load_dword v58, v[24:25], off
	s_waitcnt vmcnt(11)
	v_mfma_f32_16x16x16_f16 v[18:21], v[66:67], v[46:47], v[18:21]
	v_or_b32_e32 v66, s27, v84
	v_ashrrev_i32_e32 v67, 31, v66
	v_lshl_add_u64 v[22:23], v[66:67], 2, s[16:17]
	global_load_dword v74, v[22:23], off
	v_mfma_f32_16x16x16_f16 v[10:13], v[52:53], v[48:49], v[10:13]
	v_lshl_or_b32 v67, v1, 4, v84
	v_lshlrev_b32_e32 v38, 5, v67
	v_lshl_add_u64 v[40:41], s[4:5], 0, v[38:39]
	v_mfma_f32_16x16x16_f16 v[14:17], v[60:61], v[48:49], v[14:17]
	v_or_b32_e32 v38, 0x800, v38
	s_waitcnt vmcnt(8)
	v_mad_i64_i32 v[22:23], s[6:7], v26, s9, 0
	v_mfma_f32_16x16x16_f16 v[18:21], v[68:69], v[48:49], v[18:21]
	v_lshlrev_b64 v[84:85], 1, v[22:23]
	s_waitcnt lgkmcnt(0)
	v_mfma_f32_16x16x16_f16 v[10:13], v[70:71], v[34:35], v[10:13]
	v_mfma_f32_16x16x16_f16 v[14:17], v[54:55], v[34:35], v[14:17]
	;; [unrolled: 1-line block ×4, first 2 shown]
	s_nop 3
	v_lshl_add_u64 v[10:11], v[40:41], 0, v[84:85]
	global_load_dwordx4 v[30:33], v[10:11], off
	global_load_dwordx4 v[26:29], v[10:11], off offset:16
	s_waitcnt vmcnt(8)
	v_mad_i64_i32 v[10:11], s[6:7], v88, s9, 0
	v_lshlrev_b64 v[42:43], 1, v[10:11]
	v_lshl_add_u64 v[10:11], v[40:41], 0, v[42:43]
	v_mfma_f32_16x16x16_f16 v[88:91], v[44:45], v[36:37], v[18:21]
	global_load_dwordx4 v[22:25], v[10:11], off
	s_nop 1
	global_load_dwordx4 v[18:21], v[10:11], off offset:16
	v_mfma_f32_16x16x16_f16 v[10:13], v[62:63], v[6:7], 0
	s_waitcnt vmcnt(7)
	v_mad_i64_i32 v[6:7], s[6:7], v50, s9, 0
	v_lshlrev_b64 v[50:51], 1, v[6:7]
	v_mfma_f32_16x16x16_f16 v[6:9], v[64:65], v[8:9], v[10:13]
	v_pk_mul_f32 v[72:73], s[8:9], v[90:91] op_sel_hi:[0,1]
	v_mfma_f32_16x16x16_f16 v[6:9], v[76:77], v[2:3], v[6:9]
	s_waitcnt vmcnt(5)
	v_mad_i64_i32 v[2:3], s[6:7], v58, s9, 0
	v_lshlrev_b64 v[58:59], 1, v[2:3]
	v_mfma_f32_16x16x16_f16 v[60:63], v[78:79], v[4:5], v[6:9]
	v_lshl_add_u64 v[10:11], v[40:41], 0, v[50:51]
	v_lshl_add_u64 v[2:3], v[40:41], 0, v[58:59]
	v_pk_mul_f32 v[76:77], s[8:9], v[88:89] op_sel_hi:[0,1]
	v_mfma_f32_16x16x16_f16 v[44:47], v[80:81], v[46:47], v[60:63]
	v_mfma_f32_16x16x16_f16 v[44:47], v[82:83], v[48:49], v[44:47]
	v_pk_mul_f32 v[82:83], s[8:9], v[54:55] op_sel_hi:[0,1]
	s_nop 0
	v_pk_mul_f32 v[60:61], s[8:9], v[52:53] op_sel_hi:[0,1]
	v_lshl_add_u64 v[62:63], s[4:5], 0, v[38:39]
	v_mfma_f32_16x16x16_f16 v[44:47], v[92:93], v[34:35], v[44:47]
	v_lshl_add_u64 v[38:39], v[62:63], 0, v[84:85]
	v_lshl_add_u64 v[50:51], v[62:63], 0, v[50:51]
	;; [unrolled: 1-line block ×3, first 2 shown]
	v_mfma_f32_16x16x16_f16 v[68:71], v[56:57], v[36:37], v[14:17]
	s_nop 2
	global_load_dwordx4 v[14:17], v[10:11], off
	s_nop 0
	global_load_dwordx4 v[10:13], v[10:11], off offset:16
	s_nop 0
	global_load_dwordx4 v[6:9], v[2:3], off
	s_nop 0
	global_load_dwordx4 v[2:5], v[2:3], off offset:16
	v_pk_mul_f32 v[78:79], s[8:9], v[70:71] op_sel_hi:[0,1]
	v_mfma_f32_16x16x16_f16 v[34:37], v[94:95], v[36:37], v[44:47]
	v_pk_mul_f32 v[80:81], s[8:9], v[68:69] op_sel_hi:[0,1]
	s_nop 5
	v_pk_mul_f32 v[70:71], s[8:9], v[34:35] op_sel_hi:[0,1]
	v_and_b32_e32 v34, 0xc0, v0
	v_add_u32_e32 v34, s20, v34
	v_lshl_or_b32 v34, v86, 2, v34
	v_or_b32_e32 v35, 1, v34
	v_pk_mul_f32 v[68:69], s[8:9], v[36:37] op_sel_hi:[0,1]
	v_subrev_u32_e32 v36, s38, v35
	v_add_u32_e32 v40, 1, v36
	v_add_u32_e32 v41, 2, v36
	v_cvt_f32_i32_e32 v37, v36
	v_cvt_f32_i32_e32 v40, v40
	;; [unrolled: 1-line block ×3, first 2 shown]
	v_add_u32_e32 v44, 3, v36
	s_waitcnt vmcnt(8)
	v_fma_f32 v60, v74, v37, v60
	v_fmac_f32_e32 v61, v74, v40
	v_fma_f32 v75, v74, v41, v82
	v_add_u32_e32 v37, 16, v36
	v_add_u32_e32 v40, 17, v36
	;; [unrolled: 1-line block ×3, first 2 shown]
	v_cvt_f32_i32_e32 v44, v44
	v_cvt_f32_i32_e32 v37, v37
	;; [unrolled: 1-line block ×4, first 2 shown]
	v_fmac_f32_e32 v83, v74, v44
	v_add_u32_e32 v44, 19, v36
	v_fma_f32 v80, v74, v37, v80
	v_fmac_f32_e32 v81, v74, v40
	v_fma_f32 v78, v74, v41, v78
	v_add_u32_e32 v37, 32, v36
	v_add_u32_e32 v40, 33, v36
	;; [unrolled: 1-line block ×3, first 2 shown]
	v_cvt_f32_i32_e32 v44, v44
	v_cvt_f32_i32_e32 v37, v37
	;; [unrolled: 1-line block ×4, first 2 shown]
	v_fmac_f32_e32 v79, v74, v44
	v_add_u32_e32 v44, 35, v36
	v_fma_f32 v76, v74, v37, v76
	v_fmac_f32_e32 v77, v74, v40
	v_fma_f32 v72, v74, v41, v72
	v_add_u32_e32 v37, 48, v36
	v_add_u32_e32 v40, 49, v36
	;; [unrolled: 1-line block ×4, first 2 shown]
	v_cvt_f32_i32_e32 v36, v36
	v_cvt_f32_i32_e32 v37, v37
	;; [unrolled: 1-line block ×3, first 2 shown]
	v_cmp_gt_i32_e64 s[28:29], s38, v34
	v_fmac_f32_e32 v69, v74, v36
	v_mov_b32_e32 v36, 0xff7fffff
	v_cmp_gt_i32_e64 s[30:31], s38, v35
	v_fma_f32 v70, v74, v37, v70
	v_cndmask_b32_e64 v37, v36, v60, s[28:29]
	v_cndmask_b32_e64 v35, v36, v61, s[30:31]
	v_fmac_f32_e32 v71, v74, v40
	v_max3_f32 v35, v37, s40, v35
	v_or_b32_e32 v37, 2, v34
	v_or_b32_e32 v40, 3, v34
	v_cmp_gt_i32_e64 s[34:35], s38, v37
	v_cmp_gt_i32_e64 s[36:37], s38, v40
	v_cvt_f32_i32_e32 v44, v44
	v_cndmask_b32_e64 v37, v36, v75, s[34:35]
	v_cndmask_b32_e64 v40, v36, v83, s[36:37]
	v_max3_f32 v35, v35, v37, v40
	v_or_b32_e32 v37, 16, v34
	v_or_b32_e32 v40, 17, v34
	v_cmp_gt_i32_e64 s[22:23], s38, v37
	v_cmp_gt_i32_e64 s[24:25], s38, v40
	v_fmac_f32_e32 v73, v74, v44
	v_cndmask_b32_e64 v37, v36, v80, s[22:23]
	v_cndmask_b32_e64 v40, v36, v81, s[24:25]
	v_max3_f32 v35, v35, v37, v40
	v_or_b32_e32 v37, 18, v34
	v_or_b32_e32 v40, 19, v34
	v_cmp_gt_i32_e64 s[18:19], s38, v37
	v_cmp_gt_i32_e64 s[20:21], s38, v40
	v_cvt_f32_i32_e32 v41, v41
	v_cndmask_b32_e64 v37, v36, v78, s[18:19]
	v_cndmask_b32_e64 v40, v36, v79, s[20:21]
	v_max3_f32 v35, v35, v37, v40
	v_or_b32_e32 v37, 32, v34
	v_or_b32_e32 v40, 33, v34
	v_cmp_gt_i32_e64 s[14:15], s38, v37
	v_cmp_gt_i32_e64 s[16:17], s38, v40
	v_fma_f32 v68, v74, v41, v68
	v_cndmask_b32_e64 v37, v36, v76, s[14:15]
	v_cndmask_b32_e64 v40, v36, v77, s[16:17]
	v_max3_f32 v35, v35, v37, v40
	v_or_b32_e32 v37, 34, v34
	v_or_b32_e32 v40, 35, v34
	v_cmp_gt_i32_e64 s[10:11], s38, v37
	v_cmp_gt_i32_e64 s[12:13], s38, v40
	s_nop 0
	v_cndmask_b32_e64 v37, v36, v72, s[10:11]
	v_cndmask_b32_e64 v40, v36, v73, s[12:13]
	v_max3_f32 v35, v35, v37, v40
	v_or_b32_e32 v37, 48, v34
	v_or_b32_e32 v40, 49, v34
	v_cmp_gt_i32_e64 s[6:7], s38, v37
	v_cmp_gt_i32_e64 s[8:9], s38, v40
	s_nop 0
	v_cndmask_b32_e64 v37, v36, v70, s[6:7]
	v_cndmask_b32_e64 v40, v36, v71, s[8:9]
	v_max3_f32 v35, v35, v37, v40
	v_or_b32_e32 v37, 50, v34
	v_or_b32_e32 v34, 51, v34
	v_cmp_gt_i32_e32 vcc, s38, v37
	v_cmp_gt_i32_e64 s[4:5], s38, v34
	global_load_dwordx4 v[46:49], v[38:39], off
	s_nop 0
	global_load_dwordx4 v[38:41], v[38:39], off offset:16
	v_cndmask_b32_e32 v37, v36, v68, vcc
	v_cndmask_b32_e64 v34, v36, v69, s[4:5]
	v_max3_f32 v52, v35, v37, v34
	v_mbcnt_lo_u32_b32 v34, -1, 0
	v_mbcnt_hi_u32_b32 v53, -1, v34
	v_and_b32_e32 v34, 64, v53
	v_add_u32_e32 v54, 64, v34
	v_xor_b32_e32 v34, 32, v53
	v_cmp_lt_i32_e64 s[38:39], v34, v54
	s_nop 1
	v_cndmask_b32_e64 v34, v53, v34, s[38:39]
	v_lshlrev_b32_e32 v74, 2, v34
	ds_bpermute_b32 v55, v74, v52
	v_lshl_add_u64 v[34:35], v[62:63], 0, v[42:43]
	global_load_dwordx4 v[42:45], v[34:35], off
	s_nop 0
	global_load_dwordx4 v[34:37], v[34:35], off offset:16
	s_waitcnt lgkmcnt(0)
	v_max_f32_e32 v55, v55, v55
	v_max_f32_e32 v64, v52, v55
	v_xor_b32_e32 v52, 16, v53
	v_cmp_lt_i32_e64 s[38:39], v52, v54
	s_nop 1
	v_cndmask_b32_e64 v52, v53, v52, s[38:39]
	v_lshlrev_b32_e32 v88, 2, v52
	ds_bpermute_b32 v65, v88, v64
	global_load_dwordx4 v[54:57], v[50:51], off
	s_nop 0
	global_load_dwordx4 v[50:53], v[50:51], off offset:16
	s_waitcnt lgkmcnt(0)
	v_max_f32_e32 v62, v65, v65
	v_max_f32_e32 v91, v64, v62
	v_sub_f32_e32 v60, v60, v91
	v_mul_f32_e32 v60, 0x3fb8aa3b, v60
	v_exp_f32_e32 v82, v60
	v_sub_f32_e32 v60, v61, v91
	v_mul_f32_e32 v60, 0x3fb8aa3b, v60
	v_exp_f32_e32 v85, v60
	global_load_dwordx4 v[62:65], v[58:59], off
	s_nop 0
	global_load_dwordx4 v[58:61], v[58:59], off offset:16
	v_sub_f32_e32 v75, v75, v91
	v_mul_f32_e32 v75, 0x3fb8aa3b, v75
	v_sub_f32_e32 v83, v83, v91
	v_exp_f32_e32 v75, v75
	v_mul_f32_e32 v83, 0x3fb8aa3b, v83
	v_sub_f32_e32 v80, v80, v91
	v_exp_f32_e32 v83, v83
	v_mul_f32_e32 v80, 0x3fb8aa3b, v80
	v_sub_f32_e32 v81, v81, v91
	v_cndmask_b32_e64 v84, 0, v82, s[28:29]
	v_exp_f32_e32 v80, v80
	v_mul_f32_e32 v81, 0x3fb8aa3b, v81
	v_sub_f32_e32 v78, v78, v91
	v_add_f32_e32 v82, 0, v84
	v_cndmask_b32_e64 v85, 0, v85, s[30:31]
	v_exp_f32_e32 v81, v81
	v_mul_f32_e32 v78, 0x3fb8aa3b, v78
	v_sub_f32_e32 v79, v79, v91
	v_add_f32_e32 v89, v82, v85
	v_cndmask_b32_e64 v82, 0, v75, s[34:35]
	v_exp_f32_e32 v78, v78
	v_mul_f32_e32 v79, 0x3fb8aa3b, v79
	v_sub_f32_e32 v76, v76, v91
	v_add_f32_e32 v75, v89, v82
	v_cndmask_b32_e64 v83, 0, v83, s[36:37]
	v_exp_f32_e32 v79, v79
	v_mul_f32_e32 v76, 0x3fb8aa3b, v76
	v_sub_f32_e32 v77, v77, v91
	v_add_f32_e32 v75, v75, v83
	v_cndmask_b32_e64 v80, 0, v80, s[22:23]
	v_exp_f32_e32 v76, v76
	v_mul_f32_e32 v77, 0x3fb8aa3b, v77
	v_sub_f32_e32 v72, v72, v91
	v_add_f32_e32 v75, v75, v80
	v_cndmask_b32_e64 v81, 0, v81, s[24:25]
	v_exp_f32_e32 v77, v77
	v_mul_f32_e32 v72, 0x3fb8aa3b, v72
	v_sub_f32_e32 v73, v73, v91
	v_add_f32_e32 v75, v75, v81
	v_cndmask_b32_e64 v78, 0, v78, s[18:19]
	v_exp_f32_e32 v72, v72
	v_mul_f32_e32 v73, 0x3fb8aa3b, v73
	v_sub_f32_e32 v70, v70, v91
	v_add_f32_e32 v75, v75, v78
	v_cndmask_b32_e64 v79, 0, v79, s[20:21]
	v_exp_f32_e32 v73, v73
	v_mul_f32_e32 v70, 0x3fb8aa3b, v70
	v_sub_f32_e32 v71, v71, v91
	v_add_f32_e32 v75, v75, v79
	v_cndmask_b32_e64 v76, 0, v76, s[14:15]
	v_exp_f32_e32 v70, v70
	v_mul_f32_e32 v71, 0x3fb8aa3b, v71
	v_sub_f32_e32 v68, v68, v91
	v_add_f32_e32 v75, v75, v76
	v_cndmask_b32_e64 v77, 0, v77, s[16:17]
	v_exp_f32_e32 v71, v71
	v_mul_f32_e32 v68, 0x3fb8aa3b, v68
	v_sub_f32_e32 v69, v69, v91
	v_add_f32_e32 v75, v75, v77
	v_cndmask_b32_e64 v72, 0, v72, s[10:11]
	v_exp_f32_e32 v68, v68
	v_mul_f32_e32 v69, 0x3fb8aa3b, v69
	v_add_f32_e32 v75, v75, v72
	v_cndmask_b32_e64 v73, 0, v73, s[12:13]
	v_exp_f32_e32 v69, v69
	v_add_f32_e32 v75, v75, v73
	v_cndmask_b32_e64 v70, 0, v70, s[6:7]
	v_add_f32_e32 v75, v75, v70
	v_cndmask_b32_e64 v71, 0, v71, s[8:9]
	v_add_f32_e32 v75, v75, v71
	v_cndmask_b32_e32 v68, 0, v68, vcc
	v_add_f32_e32 v75, v75, v68
	v_cndmask_b32_e64 v69, 0, v69, s[4:5]
	v_add_f32_e32 v75, v75, v69
	ds_bpermute_b32 v74, v74, v75
	s_waitcnt lgkmcnt(0)
	s_barrier
	v_add_f32_e32 v92, v75, v74
	ds_bpermute_b32 v93, v88, v92
	v_and_b32_e32 v74, 63, v0
	v_cmp_gt_u32_e32 vcc, 16, v74
	s_and_saveexec_b64 s[4:5], vcc
	s_cbranch_execz .LBB207_13
; %bb.12:
	s_waitcnt lgkmcnt(0)
	v_add_f32_e32 v74, v92, v93
	v_lshlrev_b32_e32 v67, 2, v67
	ds_write2st64_b32 v67, v91, v74 offset1:1
.LBB207_13:
	s_or_b64 exec, exec, s[4:5]
	v_and_b32_e32 v67, 15, v0
	v_lshlrev_b32_e32 v67, 2, v67
	s_load_dword s6, s[0:1], 0x94
	s_waitcnt lgkmcnt(0)
	s_barrier
	ds_read2_b32 v[90:91], v67 offset1:16
	ds_read2_b32 v[92:93], v67 offset0:32 offset1:48
	ds_read2_b32 v[94:95], v67 offset0:64 offset1:80
	s_lshl_b32 s7, s33, 4
	s_waitcnt lgkmcnt(2)
	v_max3_f32 v74, v90, s40, v91
	s_waitcnt lgkmcnt(1)
	v_max3_f32 v89, v74, v92, v93
	v_sub_f32_e32 v74, v90, v89
	v_mul_f32_e32 v74, 0x3fb8aa3b, v74
	v_exp_f32_e32 v88, v74
	v_sub_f32_e32 v74, v91, v89
	v_mul_f32_e32 v74, 0x3fb8aa3b, v74
	v_exp_f32_e32 v90, v74
	;; [unrolled: 3-line block ×3, first 2 shown]
	ds_read2_b32 v[74:75], v67 offset0:96 offset1:112
	v_sub_f32_e32 v67, v93, v89
	v_mul_f32_e32 v67, 0x3fb8aa3b, v67
	v_exp_f32_e32 v67, v67
	s_waitcnt lgkmcnt(1)
	v_fma_f32 v91, v88, v94, 0
	v_fmac_f32_e32 v91, v90, v95
	s_waitcnt lgkmcnt(0)
	v_fmac_f32_e32 v91, v92, v74
	v_fmac_f32_e32 v91, v67, v75
	v_add_f32_e32 v74, 0x358637bd, v91
	v_div_scale_f32 v75, s[4:5], v74, v74, 1.0
	v_rcp_f32_e32 v93, v75
	s_barrier
	v_fma_f32 v94, -v75, v93, 1.0
	v_fmac_f32_e32 v93, v94, v93
	v_div_scale_f32 v94, vcc, 1.0, v74, 1.0
	v_mul_f32_e32 v95, v94, v93
	v_fma_f32 v86, -v75, v95, v94
	v_fmac_f32_e32 v95, v86, v93
	v_fma_f32 v75, -v75, v95, v94
	v_div_fmas_f32 v75, v75, v93, v95
	v_cmp_eq_u32_e32 vcc, 1, v1
	v_div_fixup_f32 v74, v75, v74, 1.0
	s_nop 0
	v_cndmask_b32_e32 v75, v88, v90, vcc
	v_cmp_eq_u32_e32 vcc, 2, v1
	s_nop 1
	v_cndmask_b32_e32 v75, v75, v92, vcc
	v_cmp_eq_u32_e32 vcc, 3, v1
	v_lshlrev_b32_e32 v1, 11, v1
	s_nop 0
	v_cndmask_b32_e32 v67, v75, v67, vcc
	v_mul_f32_e32 v74, v67, v74
	v_pk_mul_f32 v[84:85], v[74:75], v[84:85] op_sel_hi:[0,1]
	v_pk_mul_f32 v[82:83], v[74:75], v[82:83] op_sel_hi:[0,1]
	v_cvt_f16_f32_e32 v75, v85
	v_cvt_f16_f32_e32 v67, v84
	v_cvt_f16_f32_e32 v84, v82
	v_cvt_f16_f32_e32 v83, v83
	v_pk_mul_f32 v[78:79], v[74:75], v[78:79] op_sel_hi:[0,1]
	v_pk_mul_f32 v[80:81], v[74:75], v[80:81] op_sel_hi:[0,1]
	v_pack_b32_f16 v82, v67, v75
	v_cvt_f16_f32_e32 v75, v80
	v_cvt_f16_f32_e32 v80, v81
	;; [unrolled: 1-line block ×3, first 2 shown]
	scratch_load_dword v78, off, off offset:8 ; 4-byte Folded Reload
	v_pack_b32_f16 v83, v84, v83
	v_bfe_u32 v84, v0, 4, 2
	v_lshlrev_b32_e32 v67, 3, v84
	v_pk_mul_f32 v[72:73], v[74:75], v[72:73] op_sel_hi:[0,1]
	v_pk_mul_f32 v[76:77], v[74:75], v[76:77] op_sel_hi:[0,1]
	;; [unrolled: 1-line block ×4, first 2 shown]
	v_cvt_f16_f32_e32 v79, v79
	v_pack_b32_f16 v80, v75, v80
	v_cvt_f16_f32_e32 v72, v72
	v_cvt_f16_f32_e32 v73, v73
	v_cvt_f16_f32_e32 v70, v70
	v_cvt_f16_f32_e32 v71, v71
	v_cvt_f16_f32_e32 v74, v68
	v_cvt_f16_f32_e32 v75, v69
	v_pack_b32_f16 v81, v81, v79
	v_pack_b32_f16 v69, v72, v73
	;; [unrolled: 1-line block ×4, first 2 shown]
	v_cmp_gt_u32_e32 vcc, 16, v0
	s_waitcnt vmcnt(0)
	v_or3_b32 v78, v1, v78, v67
	v_cvt_f16_f32_e32 v1, v76
	v_cvt_f16_f32_e32 v67, v77
	ds_write2st64_b64 v78, v[82:83], v[80:81] offset1:1
	v_pack_b32_f16 v68, v1, v67
	ds_write2st64_b64 v78, v[68:69], v[70:71] offset0:2 offset1:3
	s_and_saveexec_b64 s[4:5], vcc
	s_cbranch_execz .LBB207_15
; %bb.14:
	v_mov_b32_e32 v67, 0
	v_mov_b32_e32 v1, s7
	v_mad_u64_u32 v[68:69], s[12:13], s2, v1, v[66:67]
	v_mov_b32_e32 v66, s26
	s_load_dwordx4 s[8:11], s[0:1], 0x58
	s_mul_i32 s3, s3, s7
	v_mad_u64_u32 v[66:67], s[12:13], v68, s6, v[66:67]
	v_add_u32_e32 v1, s3, v69
	v_mov_b32_e32 v68, v67
	v_mad_u64_u32 v[68:69], s[12:13], v1, s6, v[68:69]
	v_mov_b32_e32 v67, v68
	v_lshlrev_b64 v[66:67], 2, v[66:67]
	s_waitcnt lgkmcnt(0)
	v_lshl_add_u64 v[68:69], s[10:11], 0, v[66:67]
	v_lshl_add_u64 v[66:67], s[8:9], 0, v[66:67]
	global_store_dword v[68:69], v89, off
	global_store_dword v[66:67], v91, off
.LBB207_15:
	s_or_b64 exec, exec, s[4:5]
	s_waitcnt lgkmcnt(0)
	s_barrier
	ds_read_b128 v[70:73], v87
	ds_read_b128 v[66:69], v87 offset:16
	s_waitcnt lgkmcnt(1)
	v_mfma_f32_16x16x16_f16 v[80:83], v[30:31], v[70:71], 0
	s_mov_b32 s3, 0
	v_cmp_gt_u32_e32 vcc, 64, v0
	v_mfma_f32_16x16x16_f16 v[30:33], v[32:33], v[72:73], v[80:83]
	s_waitcnt lgkmcnt(0)
	v_mfma_f32_16x16x16_f16 v[30:33], v[26:27], v[66:67], v[30:33]
	v_mfma_f32_16x16x16_f16 v[26:29], v[28:29], v[68:69], v[30:33]
	s_nop 5
	ds_read_b128 v[30:33], v87 offset:2048
	ds_read_b128 v[80:83], v87 offset:2064
	s_waitcnt lgkmcnt(1)
	v_mfma_f32_16x16x16_f16 v[26:29], v[22:23], v[30:31], v[26:29]
	v_mfma_f32_16x16x16_f16 v[22:25], v[24:25], v[32:33], v[26:29]
	s_waitcnt lgkmcnt(0)
	v_mfma_f32_16x16x16_f16 v[22:25], v[18:19], v[80:81], v[22:25]
	v_mfma_f32_16x16x16_f16 v[18:21], v[20:21], v[82:83], v[22:25]
	s_nop 5
	ds_read_b128 v[22:25], v87 offset:4096
	ds_read_b128 v[26:29], v87 offset:4112
	s_waitcnt lgkmcnt(1)
	v_mfma_f32_16x16x16_f16 v[18:21], v[14:15], v[22:23], v[18:21]
	v_mfma_f32_16x16x16_f16 v[14:17], v[16:17], v[24:25], v[18:21]
	s_waitcnt lgkmcnt(0)
	v_mfma_f32_16x16x16_f16 v[14:17], v[10:11], v[26:27], v[14:17]
	v_mfma_f32_16x16x16_f16 v[10:13], v[12:13], v[28:29], v[14:17]
	s_nop 5
	ds_read_b128 v[14:17], v87 offset:6144
	ds_read_b128 v[18:21], v87 offset:6160
	s_waitcnt lgkmcnt(0)
	s_barrier
	v_mfma_f32_16x16x16_f16 v[10:13], v[6:7], v[14:15], v[10:13]
	v_mfma_f32_16x16x16_f16 v[6:9], v[8:9], v[16:17], v[10:13]
	;; [unrolled: 1-line block ×6, first 2 shown]
	s_nop 4
	v_cvt_f16_f32_e32 v1, v2
	v_cvt_f16_f32_e32 v10, v3
	;; [unrolled: 1-line block ×3, first 2 shown]
	v_mfma_f32_16x16x16_f16 v[6:9], v[38:39], v[66:67], v[6:9]
	v_cvt_f16_f32_e32 v12, v5
	v_mfma_f32_16x16x16_f16 v[6:9], v[40:41], v[68:69], v[6:9]
	v_mfma_f32_16x16x16_f16 v[6:9], v[42:43], v[30:31], v[6:9]
	;; [unrolled: 1-line block ×13, first 2 shown]
	s_nop 6
	v_cvt_f16_f32_e32 v6, v2
	v_cvt_f16_f32_e32 v7, v3
	;; [unrolled: 1-line block ×4, first 2 shown]
	v_pack_b32_f16 v2, v1, v10
	v_pack_b32_f16 v3, v11, v12
	;; [unrolled: 1-line block ×4, first 2 shown]
	ds_write2st64_b64 v78, v[2:3], v[4:5] offset1:1
	s_waitcnt lgkmcnt(0)
	s_barrier
	s_and_saveexec_b64 s[4:5], vcc
	s_cbranch_execz .LBB207_17
; %bb.16:
	v_and_b32_e32 v3, 15, v0
	v_lshlrev_b32_e32 v3, 6, v3
	v_lshlrev_b32_e32 v2, 4, v0
	v_lshl_or_b32 v0, v0, 10, v3
	v_lshlrev_b32_e32 v1, 5, v84
	v_and_b32_e32 v2, 16, v2
	v_and_b32_e32 v0, 0x1a00, v0
	v_or3_b32 v12, v0, v1, v2
	ds_read_b128 v[0:3], v12
	ds_read_b128 v[4:7], v12 offset:128
	ds_read_b128 v[8:11], v12 offset:256
	;; [unrolled: 1-line block ×3, first 2 shown]
	scratch_load_dwordx2 v[16:17], off, off ; 8-byte Folded Reload
	s_load_dwordx2 s[0:1], s[0:1], 0x68
	s_lshl_b32 s6, s6, 7
	s_mul_i32 s2, s7, s2
	s_mul_hi_u32 s5, s2, s6
	s_mul_i32 s4, s2, s6
	s_lshl_b64 s[4:5], s[4:5], 1
	s_waitcnt lgkmcnt(0)
	s_add_u32 s4, s0, s4
	s_addc_u32 s5, s1, s5
	s_lshl_b32 s2, s26, 7
	s_lshl_b64 s[0:1], s[2:3], 1
	s_add_u32 s0, s4, s0
	s_addc_u32 s1, s5, s1
	s_waitcnt vmcnt(0)
	v_mov_b32_e32 v17, 0
	v_or_b32_e32 v20, s27, v84
	v_lshl_add_u64 v[16:17], s[0:1], 0, v[16:17]
	v_mad_u64_u32 v[18:19], s[0:1], v20, s6, 0
	v_lshl_add_u64 v[18:19], v[18:19], 1, v[16:17]
	global_store_dwordx4 v[18:19], v[0:3], off
	s_nop 1
	v_or_b32_e32 v0, 4, v20
	v_mad_u64_u32 v[0:1], s[0:1], v0, s6, 0
	v_lshl_add_u64 v[0:1], v[0:1], 1, v[16:17]
	global_store_dwordx4 v[0:1], v[4:7], off
	v_or_b32_e32 v0, 8, v20
	v_mad_u64_u32 v[0:1], s[0:1], v0, s6, 0
	v_lshl_add_u64 v[0:1], v[0:1], 1, v[16:17]
	global_store_dwordx4 v[0:1], v[8:11], off
	;; [unrolled: 4-line block ×3, first 2 shown]
.LBB207_17:
	s_endpgm
	.section	.rodata,"a",@progbits
	.p2align	6, 0x0
	.amdhsa_kernel _Z39paged_attention_ll4mi_QKV_mfma16_kernelIDF16_DF16_LN4vllm18Fp8KVCacheDataTypeE0EhLi16ELi128ELi256ELb1ELi16EEvPKT_PKT0_S7_ifPKiS9_S9_iPKfiiiPfSC_PS2_PT2_iSB_SB_
		.amdhsa_group_segment_fixed_size 8192
		.amdhsa_private_segment_fixed_size 16
		.amdhsa_kernarg_size 400
		.amdhsa_user_sgpr_count 2
		.amdhsa_user_sgpr_dispatch_ptr 0
		.amdhsa_user_sgpr_queue_ptr 0
		.amdhsa_user_sgpr_kernarg_segment_ptr 1
		.amdhsa_user_sgpr_dispatch_id 0
		.amdhsa_user_sgpr_kernarg_preload_length 0
		.amdhsa_user_sgpr_kernarg_preload_offset 0
		.amdhsa_user_sgpr_private_segment_size 0
		.amdhsa_uses_dynamic_stack 0
		.amdhsa_enable_private_segment 1
		.amdhsa_system_sgpr_workgroup_id_x 1
		.amdhsa_system_sgpr_workgroup_id_y 1
		.amdhsa_system_sgpr_workgroup_id_z 1
		.amdhsa_system_sgpr_workgroup_info 0
		.amdhsa_system_vgpr_workitem_id 0
		.amdhsa_next_free_vgpr 96
		.amdhsa_next_free_sgpr 41
		.amdhsa_accum_offset 96
		.amdhsa_reserve_vcc 1
		.amdhsa_float_round_mode_32 0
		.amdhsa_float_round_mode_16_64 0
		.amdhsa_float_denorm_mode_32 3
		.amdhsa_float_denorm_mode_16_64 3
		.amdhsa_dx10_clamp 1
		.amdhsa_ieee_mode 1
		.amdhsa_fp16_overflow 0
		.amdhsa_tg_split 0
		.amdhsa_exception_fp_ieee_invalid_op 0
		.amdhsa_exception_fp_denorm_src 0
		.amdhsa_exception_fp_ieee_div_zero 0
		.amdhsa_exception_fp_ieee_overflow 0
		.amdhsa_exception_fp_ieee_underflow 0
		.amdhsa_exception_fp_ieee_inexact 0
		.amdhsa_exception_int_div_zero 0
	.end_amdhsa_kernel
	.section	.text._Z39paged_attention_ll4mi_QKV_mfma16_kernelIDF16_DF16_LN4vllm18Fp8KVCacheDataTypeE0EhLi16ELi128ELi256ELb1ELi16EEvPKT_PKT0_S7_ifPKiS9_S9_iPKfiiiPfSC_PS2_PT2_iSB_SB_,"axG",@progbits,_Z39paged_attention_ll4mi_QKV_mfma16_kernelIDF16_DF16_LN4vllm18Fp8KVCacheDataTypeE0EhLi16ELi128ELi256ELb1ELi16EEvPKT_PKT0_S7_ifPKiS9_S9_iPKfiiiPfSC_PS2_PT2_iSB_SB_,comdat
.Lfunc_end207:
	.size	_Z39paged_attention_ll4mi_QKV_mfma16_kernelIDF16_DF16_LN4vllm18Fp8KVCacheDataTypeE0EhLi16ELi128ELi256ELb1ELi16EEvPKT_PKT0_S7_ifPKiS9_S9_iPKfiiiPfSC_PS2_PT2_iSB_SB_, .Lfunc_end207-_Z39paged_attention_ll4mi_QKV_mfma16_kernelIDF16_DF16_LN4vllm18Fp8KVCacheDataTypeE0EhLi16ELi128ELi256ELb1ELi16EEvPKT_PKT0_S7_ifPKiS9_S9_iPKfiiiPfSC_PS2_PT2_iSB_SB_
                                        ; -- End function
	.section	.AMDGPU.csdata,"",@progbits
; Kernel info:
; codeLenInByte = 4688
; NumSgprs: 47
; NumVgprs: 96
; NumAgprs: 0
; TotalNumVgprs: 96
; ScratchSize: 16
; MemoryBound: 0
; FloatMode: 240
; IeeeMode: 1
; LDSByteSize: 8192 bytes/workgroup (compile time only)
; SGPRBlocks: 5
; VGPRBlocks: 11
; NumSGPRsForWavesPerEU: 47
; NumVGPRsForWavesPerEU: 96
; AccumOffset: 96
; Occupancy: 5
; WaveLimiterHint : 1
; COMPUTE_PGM_RSRC2:SCRATCH_EN: 1
; COMPUTE_PGM_RSRC2:USER_SGPR: 2
; COMPUTE_PGM_RSRC2:TRAP_HANDLER: 0
; COMPUTE_PGM_RSRC2:TGID_X_EN: 1
; COMPUTE_PGM_RSRC2:TGID_Y_EN: 1
; COMPUTE_PGM_RSRC2:TGID_Z_EN: 1
; COMPUTE_PGM_RSRC2:TIDIG_COMP_CNT: 0
; COMPUTE_PGM_RSRC3_GFX90A:ACCUM_OFFSET: 23
; COMPUTE_PGM_RSRC3_GFX90A:TG_SPLIT: 0
	.section	.text._Z35paged_attention_ll4mi_reduce_kernelIDF16_hLi128ELi128ELi256ELi1EEvPT0_PKfS3_PKT_PKiS8_iS3_,"axG",@progbits,_Z35paged_attention_ll4mi_reduce_kernelIDF16_hLi128ELi128ELi256ELi1EEvPT0_PKfS3_PKT_PKiS8_iS3_,comdat
	.protected	_Z35paged_attention_ll4mi_reduce_kernelIDF16_hLi128ELi128ELi256ELi1EEvPT0_PKfS3_PKT_PKiS8_iS3_ ; -- Begin function _Z35paged_attention_ll4mi_reduce_kernelIDF16_hLi128ELi128ELi256ELi1EEvPT0_PKfS3_PKT_PKiS8_iS3_
	.globl	_Z35paged_attention_ll4mi_reduce_kernelIDF16_hLi128ELi128ELi256ELi1EEvPT0_PKfS3_PKT_PKiS8_iS3_
	.p2align	8
	.type	_Z35paged_attention_ll4mi_reduce_kernelIDF16_hLi128ELi128ELi256ELi1EEvPT0_PKfS3_PKT_PKiS8_iS3_,@function
_Z35paged_attention_ll4mi_reduce_kernelIDF16_hLi128ELi128ELi256ELi1EEvPT0_PKfS3_PKT_PKiS8_iS3_: ; @_Z35paged_attention_ll4mi_reduce_kernelIDF16_hLi128ELi128ELi256ELi1EEvPT0_PKfS3_PKT_PKiS8_iS3_
; %bb.0:
	s_load_dwordx2 s[14:15], s[0:1], 0x28
	s_mov_b32 s12, s3
	s_mov_b64 s[4:5], 0
	s_waitcnt lgkmcnt(0)
	s_cmp_lg_u64 s[14:15], 0
	s_cselect_b64 s[16:17], -1, 0
	s_and_b64 vcc, exec, s[16:17]
	s_cbranch_vccz .LBB208_19
; %bb.1:
	s_add_i32 s6, s12, 1
	s_mov_b32 s7, 0
	s_lshl_b64 s[8:9], s[6:7], 2
	s_add_u32 s8, s14, s8
	s_mov_b32 s13, s7
	s_addc_u32 s9, s15, s9
	s_lshl_b64 s[6:7], s[12:13], 2
	s_add_u32 s6, s14, s6
	s_addc_u32 s7, s15, s7
	s_load_dword s3, s[8:9], 0x0
	s_load_dword s10, s[6:7], 0x0
	s_waitcnt lgkmcnt(0)
	s_sub_i32 s3, s3, s10
	s_cmp_eq_u32 s3, 1
	s_cselect_b64 s[6:7], -1, 0
	s_andn2_b64 vcc, exec, s[4:5]
	s_cbranch_vccnz .LBB208_3
.LBB208_2:
	s_mov_b32 s13, 0
	s_mov_b64 s[6:7], -1
.LBB208_3:
	s_andn2_b64 vcc, exec, s[6:7]
	s_cbranch_vccz .LBB208_5
; %bb.4:
	s_endpgm
.LBB208_5:
	s_load_dwordx4 s[8:11], s[0:1], 0x18
	s_load_dword s20, s[0:1], 0x30
	s_lshl_b64 s[18:19], s[12:13], 2
	v_cmp_lt_u32_e32 vcc, 63, v0
	s_waitcnt lgkmcnt(0)
	s_add_u32 s4, s10, s18
	s_addc_u32 s5, s11, s19
	s_load_dword s24, s[4:5], 0x0
	s_load_dword s3, s[0:1], 0x40
	s_mul_i32 s10, s2, s20
	s_mul_i32 s6, s12, s20
	s_waitcnt lgkmcnt(0)
	s_add_i32 s7, s24, 0xff
	s_ashr_i32 s4, s7, 31
	s_lshr_b32 s4, s4, 24
	s_add_i32 s7, s7, s4
	s_and_saveexec_b64 s[4:5], vcc
	s_xor_b64 s[4:5], exec, s[4:5]
	s_or_saveexec_b64 s[20:21], s[4:5]
	s_ashr_i32 s25, s7, 8
	v_mov_b32_e32 v1, s10
	s_mul_i32 s22, s6, s3
	s_xor_b64 exec, exec, s[20:21]
	s_cbranch_execz .LBB208_9
; %bb.6:
	s_load_dwordx4 s[4:7], s[0:1], 0x8
	s_mov_b32 s23, 0
	s_lshl_b64 s[26:27], s[22:23], 2
	s_mov_b32 s11, s23
	v_cmp_gt_u32_e32 vcc, s25, v0
	s_waitcnt lgkmcnt(0)
	s_add_u32 s23, s6, s26
	s_addc_u32 s29, s7, s27
	s_lshl_b64 s[6:7], s[10:11], 2
	s_add_u32 s28, s23, s6
	s_addc_u32 s29, s29, s7
	s_add_i32 s11, s25, -1
	v_mov_b32_e32 v1, s11
	v_cndmask_b32_e32 v2, v1, v0, vcc
	v_ashrrev_i32_e32 v3, 31, v2
	v_lshlrev_b64 v[2:3], 2, v[2:3]
	v_lshl_add_u64 v[4:5], s[28:29], 0, v[2:3]
	global_load_dword v1, v[4:5], off
	s_add_u32 s4, s4, s26
	s_addc_u32 s5, s5, s27
	s_add_u32 s4, s4, s6
	s_addc_u32 s5, s5, s7
	v_lshl_add_u64 v[2:3], s[4:5], 0, v[2:3]
	global_load_dword v2, v[2:3], off
	v_mbcnt_lo_u32_b32 v3, -1, 0
	v_mbcnt_hi_u32_b32 v3, -1, v3
	v_and_b32_e32 v4, 64, v3
	v_xor_b32_e32 v5, 32, v3
	v_add_u32_e32 v4, 64, v4
	v_cmp_lt_i32_e64 s[4:5], v5, v4
	v_xor_b32_e32 v6, 16, v3
	v_xor_b32_e32 v9, 8, v3
	v_cndmask_b32_e64 v5, v3, v5, s[4:5]
	v_lshlrev_b32_e32 v5, 2, v5
	v_cmp_lt_i32_e64 s[4:5], v6, v4
	v_xor_b32_e32 v10, 4, v3
	v_xor_b32_e32 v11, 2, v3
	v_cndmask_b32_e64 v6, v3, v6, s[4:5]
	v_lshlrev_b32_e32 v6, 2, v6
	v_cmp_lt_i32_e64 s[4:5], v9, v4
	v_xor_b32_e32 v12, 1, v3
	s_mov_b32 s6, 0x42b17218
	v_cndmask_b32_e64 v9, v3, v9, s[4:5]
	v_lshlrev_b32_e32 v9, 2, v9
	v_cmp_lt_i32_e64 s[4:5], v10, v4
	s_waitcnt vmcnt(1)
	ds_bpermute_b32 v7, v5, v1
	v_max_f32_e32 v8, v1, v1
	v_cndmask_b32_e64 v10, v3, v10, s[4:5]
	v_lshlrev_b32_e32 v10, 2, v10
	v_cmp_lt_i32_e64 s[4:5], v11, v4
	s_waitcnt lgkmcnt(0)
	v_max_f32_e32 v7, v7, v7
	v_max_f32_e32 v7, v8, v7
	ds_bpermute_b32 v8, v6, v7
	v_cndmask_b32_e64 v11, v3, v11, s[4:5]
	v_lshlrev_b32_e32 v11, 2, v11
	v_cmp_lt_i32_e64 s[4:5], v12, v4
	s_waitcnt lgkmcnt(0)
	v_max_f32_e32 v8, v8, v8
	v_max_f32_e32 v7, v7, v8
	ds_bpermute_b32 v8, v9, v7
	v_cndmask_b32_e64 v3, v3, v12, s[4:5]
	v_lshlrev_b32_e32 v3, 2, v3
	s_mov_b32 s4, 0x3fb8aa3b
	s_waitcnt lgkmcnt(0)
	v_max_f32_e32 v8, v8, v8
	v_max_f32_e32 v7, v7, v8
	ds_bpermute_b32 v8, v10, v7
	s_waitcnt lgkmcnt(0)
	v_max_f32_e32 v8, v8, v8
	v_max_f32_e32 v7, v7, v8
	ds_bpermute_b32 v8, v11, v7
	;; [unrolled: 4-line block ×3, first 2 shown]
	s_waitcnt lgkmcnt(0)
	v_max_f32_e32 v7, v7, v7
	v_max_f32_e32 v4, v4, v7
	v_sub_f32_e32 v1, v1, v4
	v_mul_f32_e32 v4, 0x3fb8aa3b, v1
	v_fma_f32 v7, v1, s4, -v4
	v_rndne_f32_e32 v8, v4
	v_fmamk_f32 v7, v1, 0x32a5705f, v7
	v_sub_f32_e32 v4, v4, v8
	v_add_f32_e32 v4, v4, v7
	v_cvt_i32_f32_e32 v8, v8
	v_exp_f32_e32 v4, v4
	s_mov_b32 s4, 0xc2ce8ed0
	v_cmp_ngt_f32_e64 s[4:5], s4, v1
	v_mov_b32_e32 v7, 0x7f800000
	v_ldexp_f32 v4, v4, v8
	v_cndmask_b32_e64 v4, 0, v4, s[4:5]
	v_cmp_nlt_f32_e64 s[4:5], s6, v1
	s_nop 1
	v_cndmask_b32_e64 v1, v7, v4, s[4:5]
	v_cndmask_b32_e32 v1, 0, v1, vcc
	s_waitcnt vmcnt(0)
	v_mul_f32_e32 v4, v1, v2
	ds_bpermute_b32 v1, v5, v4
	v_cmp_eq_u32_e32 vcc, 0, v0
	s_waitcnt lgkmcnt(0)
	v_add_f32_e32 v1, v4, v1
	ds_bpermute_b32 v2, v6, v1
	s_waitcnt lgkmcnt(0)
	v_add_f32_e32 v1, v1, v2
	ds_bpermute_b32 v2, v9, v1
	;; [unrolled: 3-line block ×5, first 2 shown]
	v_lshlrev_b32_e32 v3, 2, v0
	ds_write_b32 v3, v4
	s_and_saveexec_b64 s[4:5], vcc
	s_cbranch_execz .LBB208_8
; %bb.7:
	s_waitcnt lgkmcnt(1)
	v_add_f32_e32 v1, v1, v2
	v_mov_b32_e32 v2, 0
	ds_write_b32 v2, v1 offset:256
.LBB208_8:
	s_or_b64 exec, exec, s[4:5]
	v_mov_b32_e32 v1, s10
.LBB208_9:
	s_or_b64 exec, exec, s[20:21]
	s_lshl_b32 s4, s22, 7
	s_mov_b32 s5, 0
	s_lshl_b64 s[4:5], s[4:5], 1
	s_add_u32 s4, s8, s4
	s_addc_u32 s5, s9, s5
	s_lshl_b32 s6, s25, 7
	s_waitcnt lgkmcnt(1)
	v_lshlrev_b32_e32 v2, 7, v1
	v_mov_b32_e32 v1, 0
	s_addk_i32 s6, 0xff80
	v_mov_b32_e32 v3, v1
	s_cmp_lt_i32 s24, 1
	v_lshl_add_u64 v[2:3], v[2:3], 1, s[4:5]
	s_cselect_b32 s4, s6, 0
	v_lshlrev_b32_e32 v4, 1, v0
	v_mov_b32_e32 v5, v1
	s_ashr_i32 s5, s4, 31
	v_lshl_add_u64 v[2:3], v[2:3], 0, v[4:5]
	s_cmpk_lt_i32 s24, 0x101
	v_lshl_add_u64 v[12:13], s[4:5], 1, v[2:3]
	s_cselect_b32 s4, s6, 0x80
	s_ashr_i32 s5, s4, 31
	s_cmpk_lt_i32 s24, 0x201
	v_lshl_add_u64 v[14:15], s[4:5], 1, v[2:3]
	s_cselect_b32 s4, s6, 0x100
	s_ashr_i32 s5, s4, 31
	;; [unrolled: 4-line block ×8, first 2 shown]
	s_cmpk_lt_i32 s24, 0x901
	global_load_ushort v4, v[12:13], off
	global_load_ushort v5, v[14:15], off
	;; [unrolled: 1-line block ×8, first 2 shown]
	v_lshl_add_u64 v[20:21], s[4:5], 1, v[2:3]
	s_cselect_b32 s4, s6, 0x480
	s_ashr_i32 s5, s4, 31
	s_cmpk_lt_i32 s24, 0xa01
	v_lshl_add_u64 v[22:23], s[4:5], 1, v[2:3]
	s_cselect_b32 s4, s6, 0x500
	s_ashr_i32 s5, s4, 31
	s_cmpk_lt_i32 s24, 0xb01
	;; [unrolled: 4-line block ×6, first 2 shown]
	v_lshl_add_u64 v[32:33], s[4:5], 1, v[2:3]
	s_cselect_b32 s4, s6, 0x780
	s_ashr_i32 s5, s4, 31
	v_lshl_add_u64 v[34:35], s[4:5], 1, v[2:3]
	global_load_ushort v13, v[20:21], off
	global_load_ushort v14, v[22:23], off
	;; [unrolled: 1-line block ×8, first 2 shown]
	s_cmpk_gt_i32 s24, 0x1000
	s_cselect_b64 s[4:5], -1, 0
	s_cmpk_lt_i32 s24, 0x1001
	v_mov_b32_e32 v36, 0
	v_mov_b32_e32 v37, 0
	;; [unrolled: 1-line block ×48, first 2 shown]
	s_waitcnt lgkmcnt(0)
	s_barrier
	s_cbranch_scc1 .LBB208_12
; %bb.10:
	s_cmpk_lt_u32 s24, 0x1101
	s_cselect_b32 s8, s6, 0x880
	s_ashr_i32 s9, s8, 31
	s_cmpk_lt_u32 s24, 0x1201
	v_lshl_add_u64 v[30:31], s[8:9], 1, v[2:3]
	s_cselect_b32 s8, s6, 0x900
	s_ashr_i32 s9, s8, 31
	s_cmpk_lt_u32 s24, 0x1301
	v_lshl_add_u64 v[32:33], s[8:9], 1, v[2:3]
	;; [unrolled: 4-line block ×7, first 2 shown]
	s_cselect_b32 s8, s6, 0xc00
	v_add_co_u32_e32 v28, vcc, 0x1000, v2
	s_ashr_i32 s9, s8, 31
	s_nop 0
	v_addc_co_u32_e32 v29, vcc, 0, v3, vcc
	s_cmpk_lt_u32 s24, 0x1901
	global_load_ushort v27, v[28:29], off
	global_load_ushort v26, v[30:31], off
	;; [unrolled: 1-line block ×8, first 2 shown]
	v_lshl_add_u64 v[36:37], s[8:9], 1, v[2:3]
	s_cselect_b32 s8, s6, 0xc80
	s_ashr_i32 s9, s8, 31
	s_cmpk_lt_u32 s24, 0x1a01
	v_lshl_add_u64 v[38:39], s[8:9], 1, v[2:3]
	s_cselect_b32 s8, s6, 0xd00
	s_ashr_i32 s9, s8, 31
	s_cmpk_lt_u32 s24, 0x1b01
	;; [unrolled: 4-line block ×6, first 2 shown]
	v_lshl_add_u64 v[48:49], s[8:9], 1, v[2:3]
	s_cselect_b32 s8, s6, 0xf80
	s_ashr_i32 s9, s8, 31
	v_lshl_add_u64 v[50:51], s[8:9], 1, v[2:3]
	global_load_ushort v35, v[36:37], off
	global_load_ushort v34, v[38:39], off
	;; [unrolled: 1-line block ×8, first 2 shown]
	s_cmpk_lt_u32 s24, 0x2001
	v_mov_b32_e32 v67, 0
	v_mov_b32_e32 v66, 0
	;; [unrolled: 1-line block ×32, first 2 shown]
	s_cbranch_scc1 .LBB208_12
; %bb.11:
	s_cmpk_lt_u32 s24, 0x2101
	s_cselect_b32 s8, s6, 0x1080
	s_ashr_i32 s9, s8, 31
	s_cmpk_lt_u32 s24, 0x2201
	v_lshl_add_u64 v[38:39], s[8:9], 1, v[2:3]
	s_cselect_b32 s8, s6, 0x1100
	s_ashr_i32 s9, s8, 31
	s_cmpk_lt_u32 s24, 0x2301
	v_lshl_add_u64 v[40:41], s[8:9], 1, v[2:3]
	;; [unrolled: 4-line block ×7, first 2 shown]
	s_cselect_b32 s8, s6, 0x1400
	v_add_co_u32_e32 v36, vcc, 0x2000, v2
	s_ashr_i32 s9, s8, 31
	s_nop 0
	v_addc_co_u32_e32 v37, vcc, 0, v3, vcc
	s_cmpk_lt_u32 s24, 0x2901
	global_load_ushort v52, v[36:37], off
	global_load_ushort v53, v[38:39], off
	;; [unrolled: 1-line block ×8, first 2 shown]
	v_lshl_add_u64 v[36:37], s[8:9], 1, v[2:3]
	s_cselect_b32 s8, s6, 0x1480
	s_ashr_i32 s9, s8, 31
	s_cmpk_lt_u32 s24, 0x2a01
	v_lshl_add_u64 v[38:39], s[8:9], 1, v[2:3]
	s_cselect_b32 s8, s6, 0x1500
	s_ashr_i32 s9, s8, 31
	s_cmpk_lt_u32 s24, 0x2b01
	;; [unrolled: 4-line block ×8, first 2 shown]
	global_load_ushort v68, v[36:37], off
	global_load_ushort v69, v[38:39], off
	;; [unrolled: 1-line block ×8, first 2 shown]
	v_lshl_add_u64 v[36:37], s[8:9], 1, v[2:3]
	s_cselect_b32 s8, s6, 0x1880
	s_ashr_i32 s9, s8, 31
	s_cmpk_lt_u32 s24, 0x3201
	v_lshl_add_u64 v[38:39], s[8:9], 1, v[2:3]
	s_cselect_b32 s8, s6, 0x1900
	s_ashr_i32 s9, s8, 31
	s_cmpk_lt_u32 s24, 0x3301
	;; [unrolled: 4-line block ×8, first 2 shown]
	global_load_ushort v76, v[36:37], off
	global_load_ushort v77, v[38:39], off
	;; [unrolled: 1-line block ×8, first 2 shown]
	v_lshl_add_u64 v[36:37], s[8:9], 1, v[2:3]
	s_cselect_b32 s8, s6, 0x1c80
	s_ashr_i32 s9, s8, 31
	s_cmpk_lt_u32 s24, 0x3a01
	v_lshl_add_u64 v[38:39], s[8:9], 1, v[2:3]
	s_cselect_b32 s8, s6, 0x1d00
	s_ashr_i32 s9, s8, 31
	s_cmpk_lt_u32 s24, 0x3b01
	;; [unrolled: 4-line block ×6, first 2 shown]
	s_cselect_b32 s6, s6, 0x1f80
	s_ashr_i32 s7, s6, 31
	v_lshl_add_u64 v[48:49], s[8:9], 1, v[2:3]
	v_lshl_add_u64 v[2:3], s[6:7], 1, v[2:3]
	global_load_ushort v84, v[36:37], off
	global_load_ushort v85, v[38:39], off
	;; [unrolled: 1-line block ×8, first 2 shown]
	s_waitcnt vmcnt(31)
	v_cvt_f32_f16_e32 v67, v52
	s_waitcnt vmcnt(30)
	v_cvt_f32_f16_e32 v66, v53
	;; [unrolled: 2-line block ×32, first 2 shown]
.LBB208_12:
	ds_read_b128 v[68:71], v1
	ds_read_b128 v[72:75], v1 offset:16
	ds_read_b128 v[76:79], v1 offset:32
	;; [unrolled: 1-line block ×3, first 2 shown]
	s_load_dwordx2 s[6:7], s[0:1], 0x38
	s_andn2_b64 vcc, exec, s[4:5]
	s_waitcnt vmcnt(15) lgkmcnt(0)
	v_fma_mix_f32 v2, v68, v4, 0 op_sel_hi:[0,1,0]
	s_waitcnt vmcnt(14)
	v_fma_mix_f32 v2, v69, v5, v2 op_sel_hi:[0,1,0]
	s_waitcnt vmcnt(13)
	;; [unrolled: 2-line block ×15, first 2 shown]
	v_fma_mix_f32 v2, v83, v12, v2 op_sel_hi:[0,1,0]
	s_cbranch_vccnz .LBB208_15
; %bb.13:
	ds_read_b128 v[4:7], v1 offset:64
	ds_read_b128 v[8:11], v1 offset:80
	;; [unrolled: 1-line block ×4, first 2 shown]
	s_cmpk_lt_u32 s24, 0x2001
	s_waitcnt lgkmcnt(3)
	v_fma_mix_f32 v2, v4, v27, v2 op_sel_hi:[0,1,0]
	v_fma_mix_f32 v2, v5, v26, v2 op_sel_hi:[0,1,0]
	v_fma_mix_f32 v2, v6, v25, v2 op_sel_hi:[0,1,0]
	v_fma_mix_f32 v2, v7, v24, v2 op_sel_hi:[0,1,0]
	s_waitcnt lgkmcnt(2)
	v_fma_mix_f32 v2, v8, v23, v2 op_sel_hi:[0,1,0]
	v_fma_mix_f32 v2, v9, v22, v2 op_sel_hi:[0,1,0]
	v_fma_mix_f32 v2, v10, v21, v2 op_sel_hi:[0,1,0]
	v_fma_mix_f32 v2, v11, v20, v2 op_sel_hi:[0,1,0]
	s_waitcnt lgkmcnt(1)
	v_fma_mix_f32 v2, v12, v35, v2 op_sel_hi:[0,1,0]
	v_fma_mix_f32 v2, v13, v34, v2 op_sel_hi:[0,1,0]
	v_fma_mix_f32 v2, v14, v33, v2 op_sel_hi:[0,1,0]
	v_fma_mix_f32 v2, v15, v32, v2 op_sel_hi:[0,1,0]
	s_waitcnt lgkmcnt(0)
	v_fma_mix_f32 v2, v16, v31, v2 op_sel_hi:[0,1,0]
	v_fma_mix_f32 v2, v17, v30, v2 op_sel_hi:[0,1,0]
	v_fma_mix_f32 v2, v18, v29, v2 op_sel_hi:[0,1,0]
	v_fma_mix_f32 v2, v19, v28, v2 op_sel_hi:[0,1,0]
	s_cbranch_scc1 .LBB208_15
; %bb.14:
	v_mov_b32_e32 v3, 0
	ds_read_b128 v[4:7], v3 offset:128
	ds_read_b128 v[8:11], v3 offset:144
	ds_read_b128 v[12:15], v3 offset:160
	ds_read_b128 v[16:19], v3 offset:176
	s_waitcnt lgkmcnt(3)
	v_fmac_f32_e32 v2, v4, v67
	v_fmac_f32_e32 v2, v5, v66
	v_fmac_f32_e32 v2, v6, v65
	v_fmac_f32_e32 v2, v7, v64
	s_waitcnt lgkmcnt(2)
	v_fmac_f32_e32 v2, v8, v63
	v_fmac_f32_e32 v2, v9, v62
	v_fmac_f32_e32 v2, v10, v61
	v_fmac_f32_e32 v2, v11, v60
	;; [unrolled: 5-line block ×3, first 2 shown]
	ds_read_b128 v[4:7], v3 offset:192
	ds_read_b128 v[8:11], v3 offset:208
	s_waitcnt lgkmcnt(2)
	v_fmac_f32_e32 v2, v16, v55
	v_fmac_f32_e32 v2, v17, v54
	;; [unrolled: 1-line block ×4, first 2 shown]
	s_waitcnt lgkmcnt(1)
	v_fmac_f32_e32 v2, v4, v51
	v_fmac_f32_e32 v2, v5, v50
	;; [unrolled: 1-line block ×4, first 2 shown]
	ds_read_b128 v[4:7], v3 offset:224
	s_waitcnt lgkmcnt(1)
	v_fmac_f32_e32 v2, v8, v47
	v_fmac_f32_e32 v2, v9, v46
	;; [unrolled: 1-line block ×4, first 2 shown]
	ds_read_b128 v[8:11], v3 offset:240
	s_waitcnt lgkmcnt(1)
	v_fmac_f32_e32 v2, v4, v43
	v_fmac_f32_e32 v2, v5, v42
	;; [unrolled: 1-line block ×4, first 2 shown]
	s_waitcnt lgkmcnt(0)
	v_fmac_f32_e32 v2, v8, v39
	v_fmac_f32_e32 v2, v9, v38
	;; [unrolled: 1-line block ×4, first 2 shown]
.LBB208_15:
	s_load_dwordx2 s[0:1], s[0:1], 0x0
	ds_read_b32 v3, v1 offset:256
	s_cmp_eq_u64 s[6:7], 0
	s_cbranch_scc1 .LBB208_20
; %bb.16:
	s_load_dword s6, s[6:7], 0x0
	s_waitcnt lgkmcnt(0)
	v_div_scale_f32 v4, s[4:5], s6, s6, 1.0
	v_rcp_f32_e32 v5, v4
	v_div_scale_f32 v6, vcc, 1.0, s6, 1.0
	v_fma_f32 v7, -v4, v5, 1.0
	v_fmac_f32_e32 v5, v7, v5
	v_mul_f32_e32 v7, v6, v5
	v_fma_f32 v8, -v4, v7, v6
	v_fmac_f32_e32 v7, v8, v5
	v_fma_f32 v4, -v4, v7, v6
	v_div_fmas_f32 v4, v4, v5, v7
	v_div_fixup_f32 v4, v4, s6, 1.0
	s_andn2_b64 vcc, exec, s[16:17]
	s_cbranch_vccnz .LBB208_18
.LBB208_17:
	s_add_u32 s4, s14, s18
	s_addc_u32 s5, s15, s19
	s_load_dword s12, s[4:5], 0x0
	s_mov_b32 s13, 0
.LBB208_18:
	s_waitcnt lgkmcnt(0)
	v_add_f32_e32 v3, 0x358637bd, v3
	v_div_scale_f32 v5, s[4:5], v3, v3, 1.0
	v_rcp_f32_e32 v6, v5
	v_div_scale_f32 v7, vcc, 1.0, v3, 1.0
	s_mul_i32 s4, s3, s13
	v_fma_f32 v8, -v5, v6, 1.0
	v_fmac_f32_e32 v6, v8, v6
	v_mul_f32_e32 v8, v7, v6
	v_fma_f32 v9, -v5, v8, v7
	v_fmac_f32_e32 v8, v9, v6
	v_fma_f32 v5, -v5, v8, v7
	s_mul_hi_u32 s5, s3, s12
	v_div_fmas_f32 v5, v5, v6, v8
	s_add_i32 s5, s5, s4
	s_mul_i32 s4, s3, s12
	v_div_fixup_f32 v3, v5, v3, 1.0
	s_lshl_b64 s[4:5], s[4:5], 7
	v_mul_f32_e32 v2, v2, v3
	s_add_u32 s4, s0, s4
	s_mov_b32 s3, 0
	v_mul_f32_e32 v2, v2, v4
	s_addc_u32 s5, s1, s5
	s_lshl_b64 s[0:1], s[2:3], 7
	s_mov_b32 s2, 0x7f800000
	s_mov_b32 s3, 0x43700000
	v_mov_b32_e32 v3, 0xc3700000
	v_med3_f32 v3, v2, s3, v3
	v_cmp_nlg_f32_e64 vcc, |v2|, s2
	s_add_u32 s0, s4, s0
	s_addc_u32 s1, s5, s1
	v_cndmask_b32_e32 v2, v3, v2, vcc
	v_mov_b32_e32 v3, 0
	v_cvt_pk_fp8_f32 v3, v2, v2
	v_lshl_add_u64 v[0:1], s[0:1], 0, v[0:1]
	global_store_byte v[0:1], v3, off
	s_endpgm
.LBB208_19:
	s_mov_b64 s[6:7], 0
	s_branch .LBB208_2
.LBB208_20:
	v_mov_b32_e32 v4, 1.0
	s_andn2_b64 vcc, exec, s[16:17]
	s_cbranch_vccz .LBB208_17
	s_branch .LBB208_18
	.section	.rodata,"a",@progbits
	.p2align	6, 0x0
	.amdhsa_kernel _Z35paged_attention_ll4mi_reduce_kernelIDF16_hLi128ELi128ELi256ELi1EEvPT0_PKfS3_PKT_PKiS8_iS3_
		.amdhsa_group_segment_fixed_size 260
		.amdhsa_private_segment_fixed_size 0
		.amdhsa_kernarg_size 320
		.amdhsa_user_sgpr_count 2
		.amdhsa_user_sgpr_dispatch_ptr 0
		.amdhsa_user_sgpr_queue_ptr 0
		.amdhsa_user_sgpr_kernarg_segment_ptr 1
		.amdhsa_user_sgpr_dispatch_id 0
		.amdhsa_user_sgpr_kernarg_preload_length 0
		.amdhsa_user_sgpr_kernarg_preload_offset 0
		.amdhsa_user_sgpr_private_segment_size 0
		.amdhsa_uses_dynamic_stack 0
		.amdhsa_enable_private_segment 0
		.amdhsa_system_sgpr_workgroup_id_x 1
		.amdhsa_system_sgpr_workgroup_id_y 1
		.amdhsa_system_sgpr_workgroup_id_z 0
		.amdhsa_system_sgpr_workgroup_info 0
		.amdhsa_system_vgpr_workitem_id 0
		.amdhsa_next_free_vgpr 92
		.amdhsa_next_free_sgpr 30
		.amdhsa_accum_offset 92
		.amdhsa_reserve_vcc 1
		.amdhsa_float_round_mode_32 0
		.amdhsa_float_round_mode_16_64 0
		.amdhsa_float_denorm_mode_32 3
		.amdhsa_float_denorm_mode_16_64 3
		.amdhsa_dx10_clamp 1
		.amdhsa_ieee_mode 1
		.amdhsa_fp16_overflow 0
		.amdhsa_tg_split 0
		.amdhsa_exception_fp_ieee_invalid_op 0
		.amdhsa_exception_fp_denorm_src 0
		.amdhsa_exception_fp_ieee_div_zero 0
		.amdhsa_exception_fp_ieee_overflow 0
		.amdhsa_exception_fp_ieee_underflow 0
		.amdhsa_exception_fp_ieee_inexact 0
		.amdhsa_exception_int_div_zero 0
	.end_amdhsa_kernel
	.section	.text._Z35paged_attention_ll4mi_reduce_kernelIDF16_hLi128ELi128ELi256ELi1EEvPT0_PKfS3_PKT_PKiS8_iS3_,"axG",@progbits,_Z35paged_attention_ll4mi_reduce_kernelIDF16_hLi128ELi128ELi256ELi1EEvPT0_PKfS3_PKT_PKiS8_iS3_,comdat
.Lfunc_end208:
	.size	_Z35paged_attention_ll4mi_reduce_kernelIDF16_hLi128ELi128ELi256ELi1EEvPT0_PKfS3_PKT_PKiS8_iS3_, .Lfunc_end208-_Z35paged_attention_ll4mi_reduce_kernelIDF16_hLi128ELi128ELi256ELi1EEvPT0_PKfS3_PKT_PKiS8_iS3_
                                        ; -- End function
	.section	.AMDGPU.csdata,"",@progbits
; Kernel info:
; codeLenInByte = 4672
; NumSgprs: 36
; NumVgprs: 92
; NumAgprs: 0
; TotalNumVgprs: 92
; ScratchSize: 0
; MemoryBound: 0
; FloatMode: 240
; IeeeMode: 1
; LDSByteSize: 260 bytes/workgroup (compile time only)
; SGPRBlocks: 4
; VGPRBlocks: 11
; NumSGPRsForWavesPerEU: 36
; NumVGPRsForWavesPerEU: 92
; AccumOffset: 92
; Occupancy: 5
; WaveLimiterHint : 1
; COMPUTE_PGM_RSRC2:SCRATCH_EN: 0
; COMPUTE_PGM_RSRC2:USER_SGPR: 2
; COMPUTE_PGM_RSRC2:TRAP_HANDLER: 0
; COMPUTE_PGM_RSRC2:TGID_X_EN: 1
; COMPUTE_PGM_RSRC2:TGID_Y_EN: 1
; COMPUTE_PGM_RSRC2:TGID_Z_EN: 0
; COMPUTE_PGM_RSRC2:TIDIG_COMP_CNT: 0
; COMPUTE_PGM_RSRC3_GFX90A:ACCUM_OFFSET: 22
; COMPUTE_PGM_RSRC3_GFX90A:TG_SPLIT: 0
	.section	.text._Z35paged_attention_ll4mi_reduce_kernelIDF16_hLi128ELi128ELi256ELi2EEvPT0_PKfS3_PKT_PKiS8_iS3_,"axG",@progbits,_Z35paged_attention_ll4mi_reduce_kernelIDF16_hLi128ELi128ELi256ELi2EEvPT0_PKfS3_PKT_PKiS8_iS3_,comdat
	.protected	_Z35paged_attention_ll4mi_reduce_kernelIDF16_hLi128ELi128ELi256ELi2EEvPT0_PKfS3_PKT_PKiS8_iS3_ ; -- Begin function _Z35paged_attention_ll4mi_reduce_kernelIDF16_hLi128ELi128ELi256ELi2EEvPT0_PKfS3_PKT_PKiS8_iS3_
	.globl	_Z35paged_attention_ll4mi_reduce_kernelIDF16_hLi128ELi128ELi256ELi2EEvPT0_PKfS3_PKT_PKiS8_iS3_
	.p2align	8
	.type	_Z35paged_attention_ll4mi_reduce_kernelIDF16_hLi128ELi128ELi256ELi2EEvPT0_PKfS3_PKT_PKiS8_iS3_,@function
_Z35paged_attention_ll4mi_reduce_kernelIDF16_hLi128ELi128ELi256ELi2EEvPT0_PKfS3_PKT_PKiS8_iS3_: ; @_Z35paged_attention_ll4mi_reduce_kernelIDF16_hLi128ELi128ELi256ELi2EEvPT0_PKfS3_PKT_PKiS8_iS3_
; %bb.0:
	s_load_dwordx2 s[18:19], s[0:1], 0x28
	s_mov_b32 s16, s3
	s_mov_b64 s[4:5], 0
	s_waitcnt lgkmcnt(0)
	s_cmp_lg_u64 s[18:19], 0
	s_cselect_b64 s[20:21], -1, 0
	s_and_b64 vcc, exec, s[20:21]
	s_cbranch_vccz .LBB209_21
; %bb.1:
	s_add_i32 s6, s16, 1
	s_mov_b32 s7, 0
	s_lshl_b64 s[8:9], s[6:7], 2
	s_add_u32 s8, s18, s8
	s_mov_b32 s17, s7
	s_addc_u32 s9, s19, s9
	s_lshl_b64 s[6:7], s[16:17], 2
	s_add_u32 s6, s18, s6
	s_addc_u32 s7, s19, s7
	s_load_dword s3, s[8:9], 0x0
	s_load_dword s10, s[6:7], 0x0
	s_waitcnt lgkmcnt(0)
	s_sub_i32 s3, s3, s10
	s_cmp_eq_u32 s3, 1
	s_cselect_b64 s[6:7], -1, 0
	s_andn2_b64 vcc, exec, s[4:5]
	s_cbranch_vccnz .LBB209_3
.LBB209_2:
	s_mov_b32 s17, 0
	s_mov_b64 s[6:7], -1
.LBB209_3:
	s_andn2_b64 vcc, exec, s[6:7]
	s_cbranch_vccz .LBB209_5
; %bb.4:
	s_endpgm
.LBB209_5:
	s_load_dwordx4 s[8:11], s[0:1], 0x18
	s_load_dword s12, s[0:1], 0x30
	s_lshl_b64 s[22:23], s[16:17], 2
	v_cmp_lt_u32_e32 vcc, 63, v0
	s_waitcnt lgkmcnt(0)
	s_add_u32 s4, s10, s22
	s_addc_u32 s5, s11, s23
	s_load_dword s28, s[4:5], 0x0
	s_load_dword s3, s[0:1], 0x40
	s_mul_i32 s10, s2, s12
	s_mul_i32 s6, s16, s12
	s_waitcnt lgkmcnt(0)
	s_add_i32 s7, s28, 0xff
	s_ashr_i32 s4, s7, 31
	s_lshr_b32 s4, s4, 24
	s_add_i32 s7, s7, s4
	s_and_saveexec_b64 s[4:5], vcc
	s_xor_b64 s[4:5], exec, s[4:5]
	s_or_saveexec_b64 s[24:25], s[4:5]
	s_ashr_i32 s29, s7, 8
	v_mov_b32_e32 v1, s10
	s_mul_i32 s26, s6, s3
	s_xor_b64 exec, exec, s[24:25]
	s_cbranch_execz .LBB209_9
; %bb.6:
	s_load_dwordx4 s[12:15], s[0:1], 0x8
	s_mov_b32 s27, 0
	s_add_i32 s4, s29, -1
	v_or_b32_e32 v3, 64, v0
	s_lshl_b64 s[30:31], s[26:27], 2
	s_mov_b32 s11, s27
	v_mov_b32_e32 v1, s4
	v_cmp_gt_u32_e64 s[4:5], s29, v3
	s_waitcnt lgkmcnt(0)
	s_add_u32 s6, s14, s30
	v_cmp_gt_u32_e32 vcc, s29, v0
	v_cndmask_b32_e64 v4, v1, v3, s[4:5]
	s_addc_u32 s7, s15, s31
	s_lshl_b64 s[14:15], s[10:11], 2
	v_cndmask_b32_e32 v2, v1, v0, vcc
	s_add_u32 s6, s6, s14
	v_ashrrev_i32_e32 v5, 31, v4
	s_addc_u32 s7, s7, s15
	v_ashrrev_i32_e32 v3, 31, v2
	v_lshlrev_b64 v[4:5], 2, v[4:5]
	v_lshlrev_b64 v[2:3], 2, v[2:3]
	v_lshl_add_u64 v[8:9], s[6:7], 0, v[4:5]
	v_lshl_add_u64 v[6:7], s[6:7], 0, v[2:3]
	global_load_dword v1, v[8:9], off
	global_load_dword v10, v[6:7], off
	v_mbcnt_lo_u32_b32 v6, -1, 0
	v_mbcnt_hi_u32_b32 v6, -1, v6
	v_and_b32_e32 v7, 64, v6
	v_xor_b32_e32 v8, 32, v6
	v_add_u32_e32 v7, 64, v7
	v_cmp_lt_i32_e64 s[6:7], v8, v7
	v_xor_b32_e32 v12, 4, v6
	v_xor_b32_e32 v13, 2, v6
	v_cndmask_b32_e64 v8, v6, v8, s[6:7]
	s_add_u32 s6, s12, s30
	s_addc_u32 s7, s13, s31
	s_add_u32 s6, s6, s14
	s_addc_u32 s7, s7, s15
	v_lshl_add_u64 v[2:3], s[6:7], 0, v[2:3]
	v_lshl_add_u64 v[4:5], s[6:7], 0, v[4:5]
	global_load_dword v9, v[2:3], off
	global_load_dword v11, v[4:5], off
	v_lshlrev_b32_e32 v2, 2, v8
	v_xor_b32_e32 v5, 16, v6
	v_cmp_lt_i32_e64 s[6:7], v5, v7
	v_xor_b32_e32 v8, 8, v6
	v_xor_b32_e32 v14, 1, v6
	v_cndmask_b32_e64 v5, v6, v5, s[6:7]
	v_lshlrev_b32_e32 v5, 2, v5
	v_cmp_lt_i32_e64 s[6:7], v8, v7
	s_mov_b32 s11, 0xc2ce8ed0
	s_mov_b32 s12, 0x42b17218
	v_cndmask_b32_e64 v8, v6, v8, s[6:7]
	v_lshlrev_b32_e32 v8, 2, v8
	v_cmp_lt_i32_e64 s[6:7], v12, v7
	s_waitcnt vmcnt(3)
	v_max_f32_e32 v3, v1, v1
	s_waitcnt vmcnt(2)
	v_max_f32_e32 v4, v10, v10
	v_max_f32_e32 v3, v4, v3
	ds_bpermute_b32 v4, v2, v3
	v_cndmask_b32_e64 v12, v6, v12, s[6:7]
	v_lshlrev_b32_e32 v12, 2, v12
	v_cmp_lt_i32_e64 s[6:7], v13, v7
	s_waitcnt lgkmcnt(0)
	v_max_f32_e32 v4, v4, v4
	v_max_f32_e32 v3, v3, v4
	ds_bpermute_b32 v4, v5, v3
	v_cndmask_b32_e64 v13, v6, v13, s[6:7]
	v_lshlrev_b32_e32 v13, 2, v13
	v_cmp_lt_i32_e64 s[6:7], v14, v7
	s_waitcnt lgkmcnt(0)
	v_max_f32_e32 v4, v4, v4
	v_max_f32_e32 v3, v3, v4
	ds_bpermute_b32 v4, v8, v3
	v_cndmask_b32_e64 v6, v6, v14, s[6:7]
	v_lshlrev_b32_e32 v6, 2, v6
	s_mov_b32 s6, 0x3fb8aa3b
	s_waitcnt lgkmcnt(0)
	v_max_f32_e32 v4, v4, v4
	v_max_f32_e32 v3, v3, v4
	ds_bpermute_b32 v4, v12, v3
	s_waitcnt lgkmcnt(0)
	v_max_f32_e32 v4, v4, v4
	v_max_f32_e32 v3, v3, v4
	ds_bpermute_b32 v4, v13, v3
	;; [unrolled: 4-line block ×3, first 2 shown]
	s_waitcnt lgkmcnt(0)
	v_max_f32_e32 v4, v4, v4
	v_max_f32_e32 v3, v3, v4
	v_sub_f32_e32 v4, v10, v3
	v_sub_f32_e32 v1, v1, v3
	v_mul_f32_e32 v3, 0x3fb8aa3b, v4
	v_mul_f32_e32 v7, 0x3fb8aa3b, v1
	v_fma_f32 v10, v4, s6, -v3
	v_rndne_f32_e32 v14, v3
	v_fma_f32 v15, v1, s6, -v7
	v_rndne_f32_e32 v16, v7
	v_fmac_f32_e32 v10, 0x32a5705f, v4
	v_sub_f32_e32 v3, v3, v14
	v_fmac_f32_e32 v15, 0x32a5705f, v1
	v_sub_f32_e32 v7, v7, v16
	v_add_f32_e32 v3, v3, v10
	v_cvt_i32_f32_e32 v14, v14
	v_add_f32_e32 v7, v7, v15
	v_exp_f32_e32 v3, v3
	v_cvt_i32_f32_e32 v16, v16
	v_exp_f32_e32 v7, v7
	v_cmp_ngt_f32_e64 s[6:7], s11, v4
	v_ldexp_f32 v3, v3, v14
	v_mov_b32_e32 v10, 0x7f800000
	v_ldexp_f32 v7, v7, v16
	v_cndmask_b32_e64 v3, 0, v3, s[6:7]
	v_cmp_ngt_f32_e64 s[6:7], s11, v1
	v_lshlrev_b32_e32 v15, 2, v0
	s_nop 0
	v_cndmask_b32_e64 v7, 0, v7, s[6:7]
	v_cmp_nlt_f32_e64 s[6:7], s12, v4
	s_nop 1
	v_cndmask_b32_e64 v3, v10, v3, s[6:7]
	v_cmp_nlt_f32_e64 s[6:7], s12, v1
	v_cndmask_b32_e32 v3, 0, v3, vcc
	s_waitcnt vmcnt(1)
	v_mul_f32_e32 v3, v9, v3
	v_cndmask_b32_e64 v1, v10, v7, s[6:7]
	v_cndmask_b32_e64 v1, 0, v1, s[4:5]
	s_waitcnt vmcnt(0)
	v_mul_f32_e32 v4, v11, v1
	ds_write2st64_b32 v15, v3, v4 offset1:1
	v_fmac_f32_e32 v3, v11, v1
	ds_bpermute_b32 v1, v2, v3
	v_cmp_eq_u32_e32 vcc, 0, v0
	s_waitcnt lgkmcnt(0)
	v_add_f32_e32 v1, v3, v1
	ds_bpermute_b32 v2, v5, v1
	s_waitcnt lgkmcnt(0)
	v_add_f32_e32 v1, v1, v2
	ds_bpermute_b32 v2, v8, v1
	;; [unrolled: 3-line block ×5, first 2 shown]
	s_and_saveexec_b64 s[4:5], vcc
	s_cbranch_execz .LBB209_8
; %bb.7:
	s_waitcnt lgkmcnt(0)
	v_add_f32_e32 v1, v1, v2
	v_mov_b32_e32 v2, 0
	ds_write_b32 v2, v1 offset:512
.LBB209_8:
	s_or_b64 exec, exec, s[4:5]
	v_mov_b32_e32 v1, s10
.LBB209_9:
	s_or_b64 exec, exec, s[24:25]
	s_lshl_b32 s4, s26, 7
	s_mov_b32 s5, 0
	s_lshl_b64 s[4:5], s[4:5], 1
	s_add_u32 s4, s8, s4
	s_addc_u32 s5, s9, s5
	s_lshl_b32 s6, s29, 7
	s_waitcnt lgkmcnt(0)
	v_lshlrev_b32_e32 v2, 7, v1
	v_mov_b32_e32 v1, 0
	s_addk_i32 s6, 0xff80
	v_mov_b32_e32 v3, v1
	s_cmp_lt_i32 s28, 1
	v_lshl_add_u64 v[2:3], v[2:3], 1, s[4:5]
	s_cselect_b32 s4, s6, 0
	v_lshlrev_b32_e32 v4, 1, v0
	v_mov_b32_e32 v5, v1
	s_ashr_i32 s5, s4, 31
	v_lshl_add_u64 v[2:3], v[2:3], 0, v[4:5]
	s_cmpk_lt_i32 s28, 0x101
	v_lshl_add_u64 v[12:13], s[4:5], 1, v[2:3]
	s_cselect_b32 s4, s6, 0x80
	s_ashr_i32 s5, s4, 31
	s_cmpk_lt_i32 s28, 0x201
	v_lshl_add_u64 v[14:15], s[4:5], 1, v[2:3]
	s_cselect_b32 s4, s6, 0x100
	s_ashr_i32 s5, s4, 31
	;; [unrolled: 4-line block ×8, first 2 shown]
	s_cmpk_lt_i32 s28, 0x901
	global_load_ushort v4, v[12:13], off
	global_load_ushort v5, v[14:15], off
	;; [unrolled: 1-line block ×8, first 2 shown]
	v_lshl_add_u64 v[20:21], s[4:5], 1, v[2:3]
	s_cselect_b32 s4, s6, 0x480
	s_ashr_i32 s5, s4, 31
	s_cmpk_lt_i32 s28, 0xa01
	v_lshl_add_u64 v[22:23], s[4:5], 1, v[2:3]
	s_cselect_b32 s4, s6, 0x500
	s_ashr_i32 s5, s4, 31
	s_cmpk_lt_i32 s28, 0xb01
	;; [unrolled: 4-line block ×6, first 2 shown]
	v_lshl_add_u64 v[32:33], s[4:5], 1, v[2:3]
	s_cselect_b32 s4, s6, 0x780
	s_ashr_i32 s5, s4, 31
	v_lshl_add_u64 v[34:35], s[4:5], 1, v[2:3]
	global_load_ushort v13, v[20:21], off
	global_load_ushort v14, v[22:23], off
	;; [unrolled: 1-line block ×8, first 2 shown]
	s_cmpk_gt_i32 s28, 0x1000
	s_cselect_b64 s[4:5], -1, 0
	s_cmpk_lt_i32 s28, 0x1001
	v_mov_b32_e32 v36, 0
	v_mov_b32_e32 v37, 0
	;; [unrolled: 1-line block ×48, first 2 shown]
	s_barrier
	s_cbranch_scc1 .LBB209_12
; %bb.10:
	s_cmpk_lt_u32 s28, 0x1101
	s_cselect_b32 s8, s6, 0x880
	s_ashr_i32 s9, s8, 31
	s_cmpk_lt_u32 s28, 0x1201
	v_lshl_add_u64 v[30:31], s[8:9], 1, v[2:3]
	s_cselect_b32 s8, s6, 0x900
	s_ashr_i32 s9, s8, 31
	s_cmpk_lt_u32 s28, 0x1301
	v_lshl_add_u64 v[32:33], s[8:9], 1, v[2:3]
	;; [unrolled: 4-line block ×7, first 2 shown]
	s_cselect_b32 s8, s6, 0xc00
	v_add_co_u32_e32 v28, vcc, 0x1000, v2
	s_ashr_i32 s9, s8, 31
	s_nop 0
	v_addc_co_u32_e32 v29, vcc, 0, v3, vcc
	s_cmpk_lt_u32 s28, 0x1901
	global_load_ushort v27, v[28:29], off
	global_load_ushort v26, v[30:31], off
	;; [unrolled: 1-line block ×8, first 2 shown]
	v_lshl_add_u64 v[36:37], s[8:9], 1, v[2:3]
	s_cselect_b32 s8, s6, 0xc80
	s_ashr_i32 s9, s8, 31
	s_cmpk_lt_u32 s28, 0x1a01
	v_lshl_add_u64 v[38:39], s[8:9], 1, v[2:3]
	s_cselect_b32 s8, s6, 0xd00
	s_ashr_i32 s9, s8, 31
	s_cmpk_lt_u32 s28, 0x1b01
	;; [unrolled: 4-line block ×6, first 2 shown]
	v_lshl_add_u64 v[48:49], s[8:9], 1, v[2:3]
	s_cselect_b32 s8, s6, 0xf80
	s_ashr_i32 s9, s8, 31
	v_lshl_add_u64 v[50:51], s[8:9], 1, v[2:3]
	global_load_ushort v35, v[36:37], off
	global_load_ushort v34, v[38:39], off
	;; [unrolled: 1-line block ×8, first 2 shown]
	s_cmpk_lt_u32 s28, 0x2001
	v_mov_b32_e32 v67, 0
	v_mov_b32_e32 v66, 0
	;; [unrolled: 1-line block ×32, first 2 shown]
	s_cbranch_scc1 .LBB209_12
; %bb.11:
	s_cmpk_lt_u32 s28, 0x2101
	s_cselect_b32 s8, s6, 0x1080
	s_ashr_i32 s9, s8, 31
	s_cmpk_lt_u32 s28, 0x2201
	v_lshl_add_u64 v[38:39], s[8:9], 1, v[2:3]
	s_cselect_b32 s8, s6, 0x1100
	s_ashr_i32 s9, s8, 31
	s_cmpk_lt_u32 s28, 0x2301
	v_lshl_add_u64 v[40:41], s[8:9], 1, v[2:3]
	;; [unrolled: 4-line block ×7, first 2 shown]
	s_cselect_b32 s8, s6, 0x1400
	v_add_co_u32_e32 v36, vcc, 0x2000, v2
	s_ashr_i32 s9, s8, 31
	s_nop 0
	v_addc_co_u32_e32 v37, vcc, 0, v3, vcc
	s_cmpk_lt_u32 s28, 0x2901
	global_load_ushort v52, v[36:37], off
	global_load_ushort v53, v[38:39], off
	;; [unrolled: 1-line block ×8, first 2 shown]
	v_lshl_add_u64 v[36:37], s[8:9], 1, v[2:3]
	s_cselect_b32 s8, s6, 0x1480
	s_ashr_i32 s9, s8, 31
	s_cmpk_lt_u32 s28, 0x2a01
	v_lshl_add_u64 v[38:39], s[8:9], 1, v[2:3]
	s_cselect_b32 s8, s6, 0x1500
	s_ashr_i32 s9, s8, 31
	s_cmpk_lt_u32 s28, 0x2b01
	;; [unrolled: 4-line block ×8, first 2 shown]
	global_load_ushort v68, v[36:37], off
	global_load_ushort v69, v[38:39], off
	global_load_ushort v70, v[40:41], off
	global_load_ushort v71, v[42:43], off
	global_load_ushort v72, v[44:45], off
	global_load_ushort v73, v[46:47], off
	global_load_ushort v74, v[48:49], off
	global_load_ushort v75, v[50:51], off
	v_lshl_add_u64 v[36:37], s[8:9], 1, v[2:3]
	s_cselect_b32 s8, s6, 0x1880
	s_ashr_i32 s9, s8, 31
	s_cmpk_lt_u32 s28, 0x3201
	v_lshl_add_u64 v[38:39], s[8:9], 1, v[2:3]
	s_cselect_b32 s8, s6, 0x1900
	s_ashr_i32 s9, s8, 31
	s_cmpk_lt_u32 s28, 0x3301
	;; [unrolled: 4-line block ×8, first 2 shown]
	global_load_ushort v76, v[36:37], off
	global_load_ushort v77, v[38:39], off
	global_load_ushort v78, v[40:41], off
	global_load_ushort v79, v[42:43], off
	global_load_ushort v80, v[44:45], off
	global_load_ushort v81, v[46:47], off
	global_load_ushort v82, v[48:49], off
	global_load_ushort v83, v[50:51], off
	v_lshl_add_u64 v[36:37], s[8:9], 1, v[2:3]
	s_cselect_b32 s8, s6, 0x1c80
	s_ashr_i32 s9, s8, 31
	s_cmpk_lt_u32 s28, 0x3a01
	v_lshl_add_u64 v[38:39], s[8:9], 1, v[2:3]
	s_cselect_b32 s8, s6, 0x1d00
	s_ashr_i32 s9, s8, 31
	s_cmpk_lt_u32 s28, 0x3b01
	;; [unrolled: 4-line block ×6, first 2 shown]
	v_lshl_add_u64 v[48:49], s[8:9], 1, v[2:3]
	s_cselect_b32 s8, s6, 0x1f80
	s_ashr_i32 s9, s8, 31
	v_lshl_add_u64 v[50:51], s[8:9], 1, v[2:3]
	global_load_ushort v84, v[36:37], off
	global_load_ushort v85, v[38:39], off
	;; [unrolled: 1-line block ×8, first 2 shown]
	s_waitcnt vmcnt(31)
	v_cvt_f32_f16_e32 v67, v52
	s_waitcnt vmcnt(30)
	v_cvt_f32_f16_e32 v66, v53
	;; [unrolled: 2-line block ×32, first 2 shown]
.LBB209_12:
	ds_read_b128 v[68:71], v1
	ds_read_b128 v[72:75], v1 offset:16
	ds_read_b128 v[76:79], v1 offset:32
	;; [unrolled: 1-line block ×3, first 2 shown]
	s_andn2_b64 vcc, exec, s[4:5]
	s_waitcnt vmcnt(15) lgkmcnt(3)
	v_fma_mix_f32 v4, v68, v4, 0 op_sel_hi:[0,1,0]
	s_waitcnt vmcnt(14)
	v_fma_mix_f32 v4, v69, v5, v4 op_sel_hi:[0,1,0]
	s_waitcnt vmcnt(13)
	v_fma_mix_f32 v4, v70, v6, v4 op_sel_hi:[0,1,0]
	s_waitcnt vmcnt(12)
	v_fma_mix_f32 v4, v71, v7, v4 op_sel_hi:[0,1,0]
	s_waitcnt vmcnt(11) lgkmcnt(2)
	v_fma_mix_f32 v4, v72, v8, v4 op_sel_hi:[0,1,0]
	s_waitcnt vmcnt(10)
	v_fma_mix_f32 v4, v73, v9, v4 op_sel_hi:[0,1,0]
	s_waitcnt vmcnt(9)
	v_fma_mix_f32 v4, v74, v10, v4 op_sel_hi:[0,1,0]
	s_waitcnt vmcnt(8)
	v_fma_mix_f32 v4, v75, v11, v4 op_sel_hi:[0,1,0]
	;; [unrolled: 8-line block ×4, first 2 shown]
	s_cbranch_vccnz .LBB209_15
; %bb.13:
	ds_read_b128 v[6:9], v1 offset:64
	ds_read_b128 v[10:13], v1 offset:80
	;; [unrolled: 1-line block ×4, first 2 shown]
	s_cmpk_lt_u32 s28, 0x2001
	s_waitcnt lgkmcnt(3)
	v_fma_mix_f32 v4, v6, v27, v4 op_sel_hi:[0,1,0]
	v_fma_mix_f32 v4, v7, v26, v4 op_sel_hi:[0,1,0]
	v_fma_mix_f32 v4, v8, v25, v4 op_sel_hi:[0,1,0]
	v_fma_mix_f32 v4, v9, v24, v4 op_sel_hi:[0,1,0]
	s_waitcnt lgkmcnt(2)
	v_fma_mix_f32 v4, v10, v23, v4 op_sel_hi:[0,1,0]
	v_fma_mix_f32 v4, v11, v22, v4 op_sel_hi:[0,1,0]
	v_fma_mix_f32 v4, v12, v21, v4 op_sel_hi:[0,1,0]
	v_fma_mix_f32 v4, v13, v20, v4 op_sel_hi:[0,1,0]
	;; [unrolled: 5-line block ×4, first 2 shown]
	s_cbranch_scc1 .LBB209_15
; %bb.14:
	v_mov_b32_e32 v5, 0
	ds_read_b128 v[6:9], v5 offset:128
	ds_read_b128 v[10:13], v5 offset:144
	;; [unrolled: 1-line block ×4, first 2 shown]
	s_waitcnt lgkmcnt(3)
	v_fmac_f32_e32 v4, v6, v67
	v_fmac_f32_e32 v4, v7, v66
	v_fmac_f32_e32 v4, v8, v65
	v_fmac_f32_e32 v4, v9, v64
	s_waitcnt lgkmcnt(2)
	v_fmac_f32_e32 v4, v10, v63
	v_fmac_f32_e32 v4, v11, v62
	v_fmac_f32_e32 v4, v12, v61
	v_fmac_f32_e32 v4, v13, v60
	;; [unrolled: 5-line block ×3, first 2 shown]
	ds_read_b128 v[6:9], v5 offset:192
	ds_read_b128 v[10:13], v5 offset:208
	s_waitcnt lgkmcnt(2)
	v_fmac_f32_e32 v4, v18, v55
	v_fmac_f32_e32 v4, v19, v54
	;; [unrolled: 1-line block ×4, first 2 shown]
	s_waitcnt lgkmcnt(1)
	v_fmac_f32_e32 v4, v6, v51
	v_fmac_f32_e32 v4, v7, v50
	v_fmac_f32_e32 v4, v8, v49
	v_fmac_f32_e32 v4, v9, v48
	ds_read_b128 v[6:9], v5 offset:224
	s_waitcnt lgkmcnt(1)
	v_fmac_f32_e32 v4, v10, v47
	v_fmac_f32_e32 v4, v11, v46
	;; [unrolled: 1-line block ×4, first 2 shown]
	ds_read_b128 v[10:13], v5 offset:240
	s_waitcnt lgkmcnt(1)
	v_fmac_f32_e32 v4, v6, v43
	v_fmac_f32_e32 v4, v7, v42
	v_fmac_f32_e32 v4, v8, v41
	v_fmac_f32_e32 v4, v9, v40
	s_waitcnt lgkmcnt(0)
	v_fmac_f32_e32 v4, v10, v39
	v_fmac_f32_e32 v4, v11, v38
	;; [unrolled: 1-line block ×4, first 2 shown]
.LBB209_15:
	s_load_dwordx2 s[4:5], s[0:1], 0x38
	s_cmpk_lt_i32 s28, 0x4001
	s_cbranch_scc1 .LBB209_17
; %bb.16:
	s_cmpk_lt_u32 s28, 0x4101
	s_cselect_b32 s8, s6, 0x2080
	s_ashr_i32 s9, s8, 31
	s_cmpk_lt_u32 s28, 0x4201
	v_lshl_add_u64 v[16:17], s[8:9], 1, v[2:3]
	s_cselect_b32 s8, s6, 0x2100
	s_ashr_i32 s9, s8, 31
	s_cmpk_lt_u32 s28, 0x4301
	v_lshl_add_u64 v[18:19], s[8:9], 1, v[2:3]
	;; [unrolled: 4-line block ×7, first 2 shown]
	s_cselect_b32 s8, s6, 0x2400
	v_add_co_u32_e32 v14, vcc, 0x4000, v2
	s_ashr_i32 s9, s8, 31
	s_nop 0
	v_addc_co_u32_e32 v15, vcc, 0, v3, vcc
	s_cmpk_lt_u32 s28, 0x4901
	global_load_ushort v5, v[14:15], off
	global_load_ushort v6, v[16:17], off
	global_load_ushort v7, v[18:19], off
	global_load_ushort v8, v[20:21], off
	global_load_ushort v9, v[22:23], off
	global_load_ushort v10, v[24:25], off
	global_load_ushort v11, v[26:27], off
	global_load_ushort v12, v[28:29], off
	v_lshl_add_u64 v[14:15], s[8:9], 1, v[2:3]
	s_cselect_b32 s8, s6, 0x2480
	s_ashr_i32 s9, s8, 31
	s_cmpk_lt_u32 s28, 0x4a01
	v_lshl_add_u64 v[16:17], s[8:9], 1, v[2:3]
	s_cselect_b32 s8, s6, 0x2500
	s_ashr_i32 s9, s8, 31
	s_cmpk_lt_u32 s28, 0x4b01
	v_lshl_add_u64 v[18:19], s[8:9], 1, v[2:3]
	s_cselect_b32 s8, s6, 0x2580
	s_ashr_i32 s9, s8, 31
	s_cmpk_lt_u32 s28, 0x4c01
	v_lshl_add_u64 v[20:21], s[8:9], 1, v[2:3]
	s_cselect_b32 s8, s6, 0x2600
	s_ashr_i32 s9, s8, 31
	s_cmpk_lt_u32 s28, 0x4d01
	v_lshl_add_u64 v[22:23], s[8:9], 1, v[2:3]
	s_cselect_b32 s8, s6, 0x2680
	s_ashr_i32 s9, s8, 31
	s_cmpk_lt_u32 s28, 0x4e01
	v_lshl_add_u64 v[24:25], s[8:9], 1, v[2:3]
	s_cselect_b32 s8, s6, 0x2700
	s_ashr_i32 s9, s8, 31
	s_cmpk_lt_u32 s28, 0x4f01
	v_lshl_add_u64 v[26:27], s[8:9], 1, v[2:3]
	s_cselect_b32 s8, s6, 0x2780
	s_ashr_i32 s9, s8, 31
	s_cmpk_lt_u32 s28, 0x5001
	v_lshl_add_u64 v[28:29], s[8:9], 1, v[2:3]
	s_cselect_b32 s8, s6, 0x2800
	s_ashr_i32 s9, s8, 31
	s_cmpk_lt_u32 s28, 0x5101
	global_load_ushort v13, v[14:15], off
	global_load_ushort v30, v[16:17], off
	global_load_ushort v31, v[18:19], off
	global_load_ushort v32, v[20:21], off
	global_load_ushort v33, v[22:23], off
	global_load_ushort v34, v[24:25], off
	global_load_ushort v35, v[26:27], off
	global_load_ushort v36, v[28:29], off
	v_lshl_add_u64 v[14:15], s[8:9], 1, v[2:3]
	s_cselect_b32 s8, s6, 0x2880
	s_ashr_i32 s9, s8, 31
	s_cmpk_lt_u32 s28, 0x5201
	v_lshl_add_u64 v[16:17], s[8:9], 1, v[2:3]
	s_cselect_b32 s8, s6, 0x2900
	s_ashr_i32 s9, s8, 31
	s_cmpk_lt_u32 s28, 0x5301
	v_lshl_add_u64 v[18:19], s[8:9], 1, v[2:3]
	s_cselect_b32 s8, s6, 0x2980
	s_ashr_i32 s9, s8, 31
	s_cmpk_lt_u32 s28, 0x5401
	v_lshl_add_u64 v[20:21], s[8:9], 1, v[2:3]
	s_cselect_b32 s8, s6, 0x2a00
	s_ashr_i32 s9, s8, 31
	s_cmpk_lt_u32 s28, 0x5501
	v_lshl_add_u64 v[22:23], s[8:9], 1, v[2:3]
	s_cselect_b32 s8, s6, 0x2a80
	s_ashr_i32 s9, s8, 31
	s_cmpk_lt_u32 s28, 0x5601
	v_lshl_add_u64 v[24:25], s[8:9], 1, v[2:3]
	s_cselect_b32 s8, s6, 0x2b00
	s_ashr_i32 s9, s8, 31
	s_cmpk_lt_u32 s28, 0x5701
	v_lshl_add_u64 v[26:27], s[8:9], 1, v[2:3]
	s_cselect_b32 s8, s6, 0x2b80
	s_ashr_i32 s9, s8, 31
	s_cmpk_lt_u32 s28, 0x5801
	v_lshl_add_u64 v[28:29], s[8:9], 1, v[2:3]
	s_cselect_b32 s8, s6, 0x2c00
	s_ashr_i32 s9, s8, 31
	;; [unrolled: 40-line block ×6, first 2 shown]
	s_cmpk_lt_u32 s28, 0x7901
	global_load_ushort v69, v[14:15], off
	global_load_ushort v70, v[16:17], off
	;; [unrolled: 1-line block ×8, first 2 shown]
	v_lshl_add_u64 v[14:15], s[8:9], 1, v[2:3]
	s_cselect_b32 s8, s6, 0x3c80
	s_ashr_i32 s9, s8, 31
	s_cmpk_lt_u32 s28, 0x7a01
	v_lshl_add_u64 v[16:17], s[8:9], 1, v[2:3]
	s_cselect_b32 s8, s6, 0x3d00
	s_ashr_i32 s9, s8, 31
	s_cmpk_lt_u32 s28, 0x7b01
	;; [unrolled: 4-line block ×6, first 2 shown]
	s_cselect_b32 s6, s6, 0x3f80
	s_ashr_i32 s7, s6, 31
	v_lshl_add_u64 v[26:27], s[8:9], 1, v[2:3]
	v_lshl_add_u64 v[2:3], s[6:7], 1, v[2:3]
	global_load_ushort v77, v[14:15], off
	global_load_ushort v78, v[16:17], off
	;; [unrolled: 1-line block ×8, first 2 shown]
	v_mov_b32_e32 v85, 0
	ds_read_b128 v[14:17], v85 offset:256
	ds_read_b128 v[18:21], v85 offset:272
	;; [unrolled: 1-line block ×4, first 2 shown]
	s_waitcnt vmcnt(62) lgkmcnt(0)
	v_fma_mix_f32 v2, v14, v5, v4 op_sel_hi:[0,1,0]
	v_fma_mix_f32 v2, v15, v6, v2 op_sel_hi:[0,1,0]
	s_waitcnt vmcnt(61)
	v_fma_mix_f32 v2, v16, v7, v2 op_sel_hi:[0,1,0]
	s_waitcnt vmcnt(60)
	;; [unrolled: 2-line block ×11, first 2 shown]
	v_fma_mix_f32 v6, v26, v33, v2 op_sel_hi:[0,1,0]
	ds_read_b128 v[2:5], v85 offset:320
	s_waitcnt vmcnt(50)
	v_fma_mix_f32 v6, v27, v34, v6 op_sel_hi:[0,1,0]
	s_waitcnt vmcnt(49)
	v_fma_mix_f32 v6, v28, v35, v6 op_sel_hi:[0,1,0]
	s_waitcnt vmcnt(48)
	v_fma_mix_f32 v10, v29, v36, v6 op_sel_hi:[0,1,0]
	ds_read_b128 v[6:9], v85 offset:336
	s_waitcnt vmcnt(47) lgkmcnt(1)
	v_fma_mix_f32 v2, v2, v37, v10 op_sel_hi:[0,1,0]
	s_waitcnt vmcnt(46)
	v_fma_mix_f32 v2, v3, v38, v2 op_sel_hi:[0,1,0]
	s_waitcnt vmcnt(45)
	v_fma_mix_f32 v2, v4, v39, v2 op_sel_hi:[0,1,0]
	s_waitcnt vmcnt(44)
	v_fma_mix_f32 v2, v5, v40, v2 op_sel_hi:[0,1,0]
	s_waitcnt vmcnt(43) lgkmcnt(0)
	v_fma_mix_f32 v6, v6, v41, v2 op_sel_hi:[0,1,0]
	ds_read_b128 v[2:5], v85 offset:352
	s_waitcnt vmcnt(42)
	v_fma_mix_f32 v6, v7, v42, v6 op_sel_hi:[0,1,0]
	s_waitcnt vmcnt(41)
	v_fma_mix_f32 v6, v8, v43, v6 op_sel_hi:[0,1,0]
	s_waitcnt vmcnt(40)
	v_fma_mix_f32 v10, v9, v44, v6 op_sel_hi:[0,1,0]
	ds_read_b128 v[6:9], v85 offset:368
	s_waitcnt vmcnt(39) lgkmcnt(1)
	v_fma_mix_f32 v2, v2, v45, v10 op_sel_hi:[0,1,0]
	s_waitcnt vmcnt(38)
	v_fma_mix_f32 v2, v3, v46, v2 op_sel_hi:[0,1,0]
	s_waitcnt vmcnt(37)
	v_fma_mix_f32 v2, v4, v47, v2 op_sel_hi:[0,1,0]
	s_waitcnt vmcnt(36)
	v_fma_mix_f32 v2, v5, v48, v2 op_sel_hi:[0,1,0]
	s_waitcnt vmcnt(35) lgkmcnt(0)
	;; [unrolled: 18-line block ×6, first 2 shown]
	v_fma_mix_f32 v2, v6, v81, v2 op_sel_hi:[0,1,0]
	s_waitcnt vmcnt(2)
	v_fma_mix_f32 v2, v7, v82, v2 op_sel_hi:[0,1,0]
	s_waitcnt vmcnt(1)
	;; [unrolled: 2-line block ×3, first 2 shown]
	v_fma_mix_f32 v4, v9, v84, v2 op_sel_hi:[0,1,0]
.LBB209_17:
	v_mov_b32_e32 v2, 0
	s_load_dwordx2 s[0:1], s[0:1], 0x0
	ds_read_b32 v2, v2 offset:512
	s_waitcnt lgkmcnt(0)
	s_cmp_eq_u64 s[4:5], 0
	s_cbranch_scc1 .LBB209_22
; %bb.18:
	s_load_dword s6, s[4:5], 0x0
	s_waitcnt lgkmcnt(0)
	v_div_scale_f32 v3, s[4:5], s6, s6, 1.0
	v_rcp_f32_e32 v5, v3
	v_div_scale_f32 v6, vcc, 1.0, s6, 1.0
	v_fma_f32 v7, -v3, v5, 1.0
	v_fmac_f32_e32 v5, v7, v5
	v_mul_f32_e32 v7, v6, v5
	v_fma_f32 v8, -v3, v7, v6
	v_fmac_f32_e32 v7, v8, v5
	v_fma_f32 v3, -v3, v7, v6
	v_div_fmas_f32 v3, v3, v5, v7
	v_div_fixup_f32 v3, v3, s6, 1.0
	s_andn2_b64 vcc, exec, s[20:21]
	s_cbranch_vccnz .LBB209_20
.LBB209_19:
	s_add_u32 s4, s18, s22
	s_addc_u32 s5, s19, s23
	s_load_dword s16, s[4:5], 0x0
	s_mov_b32 s17, 0
.LBB209_20:
	v_add_f32_e32 v2, 0x358637bd, v2
	v_div_scale_f32 v5, s[4:5], v2, v2, 1.0
	v_rcp_f32_e32 v6, v5
	v_div_scale_f32 v7, vcc, 1.0, v2, 1.0
	s_mul_i32 s4, s3, s17
	v_fma_f32 v8, -v5, v6, 1.0
	v_fmac_f32_e32 v6, v8, v6
	v_mul_f32_e32 v8, v7, v6
	v_fma_f32 v9, -v5, v8, v7
	v_fmac_f32_e32 v8, v9, v6
	v_fma_f32 v5, -v5, v8, v7
	s_waitcnt lgkmcnt(0)
	s_mul_hi_u32 s5, s3, s16
	v_div_fmas_f32 v5, v5, v6, v8
	s_add_i32 s5, s5, s4
	s_mul_i32 s4, s3, s16
	v_div_fixup_f32 v2, v5, v2, 1.0
	s_lshl_b64 s[4:5], s[4:5], 7
	v_mul_f32_e32 v2, v4, v2
	s_add_u32 s4, s0, s4
	s_mov_b32 s3, 0
	v_mul_f32_e32 v2, v2, v3
	s_addc_u32 s5, s1, s5
	s_lshl_b64 s[0:1], s[2:3], 7
	s_mov_b32 s2, 0x7f800000
	s_mov_b32 s3, 0x43700000
	v_mov_b32_e32 v3, 0xc3700000
	v_med3_f32 v3, v2, s3, v3
	v_cmp_nlg_f32_e64 vcc, |v2|, s2
	s_add_u32 s0, s4, s0
	s_addc_u32 s1, s5, s1
	v_cndmask_b32_e32 v2, v3, v2, vcc
	v_mov_b32_e32 v3, 0
	v_cvt_pk_fp8_f32 v3, v2, v2
	v_lshl_add_u64 v[0:1], s[0:1], 0, v[0:1]
	global_store_byte v[0:1], v3, off
	s_endpgm
.LBB209_21:
	s_mov_b64 s[6:7], 0
	s_branch .LBB209_2
.LBB209_22:
	v_mov_b32_e32 v3, 1.0
	s_andn2_b64 vcc, exec, s[20:21]
	s_cbranch_vccz .LBB209_19
	s_branch .LBB209_20
	.section	.rodata,"a",@progbits
	.p2align	6, 0x0
	.amdhsa_kernel _Z35paged_attention_ll4mi_reduce_kernelIDF16_hLi128ELi128ELi256ELi2EEvPT0_PKfS3_PKT_PKiS8_iS3_
		.amdhsa_group_segment_fixed_size 516
		.amdhsa_private_segment_fixed_size 0
		.amdhsa_kernarg_size 320
		.amdhsa_user_sgpr_count 2
		.amdhsa_user_sgpr_dispatch_ptr 0
		.amdhsa_user_sgpr_queue_ptr 0
		.amdhsa_user_sgpr_kernarg_segment_ptr 1
		.amdhsa_user_sgpr_dispatch_id 0
		.amdhsa_user_sgpr_kernarg_preload_length 0
		.amdhsa_user_sgpr_kernarg_preload_offset 0
		.amdhsa_user_sgpr_private_segment_size 0
		.amdhsa_uses_dynamic_stack 0
		.amdhsa_enable_private_segment 0
		.amdhsa_system_sgpr_workgroup_id_x 1
		.amdhsa_system_sgpr_workgroup_id_y 1
		.amdhsa_system_sgpr_workgroup_id_z 0
		.amdhsa_system_sgpr_workgroup_info 0
		.amdhsa_system_vgpr_workitem_id 0
		.amdhsa_next_free_vgpr 92
		.amdhsa_next_free_sgpr 32
		.amdhsa_accum_offset 92
		.amdhsa_reserve_vcc 1
		.amdhsa_float_round_mode_32 0
		.amdhsa_float_round_mode_16_64 0
		.amdhsa_float_denorm_mode_32 3
		.amdhsa_float_denorm_mode_16_64 3
		.amdhsa_dx10_clamp 1
		.amdhsa_ieee_mode 1
		.amdhsa_fp16_overflow 0
		.amdhsa_tg_split 0
		.amdhsa_exception_fp_ieee_invalid_op 0
		.amdhsa_exception_fp_denorm_src 0
		.amdhsa_exception_fp_ieee_div_zero 0
		.amdhsa_exception_fp_ieee_overflow 0
		.amdhsa_exception_fp_ieee_underflow 0
		.amdhsa_exception_fp_ieee_inexact 0
		.amdhsa_exception_int_div_zero 0
	.end_amdhsa_kernel
	.section	.text._Z35paged_attention_ll4mi_reduce_kernelIDF16_hLi128ELi128ELi256ELi2EEvPT0_PKfS3_PKT_PKiS8_iS3_,"axG",@progbits,_Z35paged_attention_ll4mi_reduce_kernelIDF16_hLi128ELi128ELi256ELi2EEvPT0_PKfS3_PKT_PKiS8_iS3_,comdat
.Lfunc_end209:
	.size	_Z35paged_attention_ll4mi_reduce_kernelIDF16_hLi128ELi128ELi256ELi2EEvPT0_PKfS3_PKT_PKiS8_iS3_, .Lfunc_end209-_Z35paged_attention_ll4mi_reduce_kernelIDF16_hLi128ELi128ELi256ELi2EEvPT0_PKfS3_PKT_PKiS8_iS3_
                                        ; -- End function
	.section	.AMDGPU.csdata,"",@progbits
; Kernel info:
; codeLenInByte = 7808
; NumSgprs: 38
; NumVgprs: 92
; NumAgprs: 0
; TotalNumVgprs: 92
; ScratchSize: 0
; MemoryBound: 0
; FloatMode: 240
; IeeeMode: 1
; LDSByteSize: 516 bytes/workgroup (compile time only)
; SGPRBlocks: 4
; VGPRBlocks: 11
; NumSGPRsForWavesPerEU: 38
; NumVGPRsForWavesPerEU: 92
; AccumOffset: 92
; Occupancy: 5
; WaveLimiterHint : 1
; COMPUTE_PGM_RSRC2:SCRATCH_EN: 0
; COMPUTE_PGM_RSRC2:USER_SGPR: 2
; COMPUTE_PGM_RSRC2:TRAP_HANDLER: 0
; COMPUTE_PGM_RSRC2:TGID_X_EN: 1
; COMPUTE_PGM_RSRC2:TGID_Y_EN: 1
; COMPUTE_PGM_RSRC2:TGID_Z_EN: 0
; COMPUTE_PGM_RSRC2:TIDIG_COMP_CNT: 0
; COMPUTE_PGM_RSRC3_GFX90A:ACCUM_OFFSET: 22
; COMPUTE_PGM_RSRC3_GFX90A:TG_SPLIT: 0
	.section	.text._Z35paged_attention_ll4mi_reduce_kernelIDF16_hLi128ELi128ELi256ELi3EEvPT0_PKfS3_PKT_PKiS8_iS3_,"axG",@progbits,_Z35paged_attention_ll4mi_reduce_kernelIDF16_hLi128ELi128ELi256ELi3EEvPT0_PKfS3_PKT_PKiS8_iS3_,comdat
	.protected	_Z35paged_attention_ll4mi_reduce_kernelIDF16_hLi128ELi128ELi256ELi3EEvPT0_PKfS3_PKT_PKiS8_iS3_ ; -- Begin function _Z35paged_attention_ll4mi_reduce_kernelIDF16_hLi128ELi128ELi256ELi3EEvPT0_PKfS3_PKT_PKiS8_iS3_
	.globl	_Z35paged_attention_ll4mi_reduce_kernelIDF16_hLi128ELi128ELi256ELi3EEvPT0_PKfS3_PKT_PKiS8_iS3_
	.p2align	8
	.type	_Z35paged_attention_ll4mi_reduce_kernelIDF16_hLi128ELi128ELi256ELi3EEvPT0_PKfS3_PKT_PKiS8_iS3_,@function
_Z35paged_attention_ll4mi_reduce_kernelIDF16_hLi128ELi128ELi256ELi3EEvPT0_PKfS3_PKT_PKiS8_iS3_: ; @_Z35paged_attention_ll4mi_reduce_kernelIDF16_hLi128ELi128ELi256ELi3EEvPT0_PKfS3_PKT_PKiS8_iS3_
; %bb.0:
	s_load_dwordx2 s[20:21], s[0:1], 0x28
	s_mov_b32 s10, s3
	s_mov_b64 s[4:5], 0
	s_waitcnt lgkmcnt(0)
	s_cmp_lg_u64 s[20:21], 0
	s_cselect_b64 s[22:23], -1, 0
	s_and_b64 vcc, exec, s[22:23]
	s_cbranch_vccz .LBB210_23
; %bb.1:
	s_add_i32 s6, s10, 1
	s_mov_b32 s7, 0
	s_lshl_b64 s[8:9], s[6:7], 2
	s_add_u32 s8, s20, s8
	s_mov_b32 s11, s7
	s_addc_u32 s9, s21, s9
	s_lshl_b64 s[6:7], s[10:11], 2
	s_add_u32 s6, s20, s6
	s_addc_u32 s7, s21, s7
	s_load_dword s3, s[8:9], 0x0
	s_load_dword s12, s[6:7], 0x0
	s_waitcnt lgkmcnt(0)
	s_sub_i32 s3, s3, s12
	s_cmp_eq_u32 s3, 1
	s_cselect_b64 s[6:7], -1, 0
	s_andn2_b64 vcc, exec, s[4:5]
	s_cbranch_vccnz .LBB210_3
.LBB210_2:
	s_mov_b32 s11, 0
	s_mov_b64 s[6:7], -1
.LBB210_3:
	s_andn2_b64 vcc, exec, s[6:7]
	s_cbranch_vccz .LBB210_5
; %bb.4:
	s_endpgm
.LBB210_5:
	s_load_dwordx4 s[12:15], s[0:1], 0x18
	s_load_dword s8, s[0:1], 0x30
	s_lshl_b64 s[24:25], s[10:11], 2
	v_cmp_lt_u32_e32 vcc, 63, v0
	s_waitcnt lgkmcnt(0)
	s_add_u32 s4, s14, s24
	s_addc_u32 s5, s15, s25
	s_load_dword s30, s[4:5], 0x0
	s_load_dword s3, s[0:1], 0x40
	s_mul_i32 s14, s2, s8
	s_mul_i32 s6, s10, s8
	s_waitcnt lgkmcnt(0)
	s_add_i32 s7, s30, 0xff
	s_ashr_i32 s4, s7, 31
	s_lshr_b32 s4, s4, 24
	s_add_i32 s7, s7, s4
	s_and_saveexec_b64 s[4:5], vcc
	s_xor_b64 s[4:5], exec, s[4:5]
	s_or_saveexec_b64 s[26:27], s[4:5]
	s_ashr_i32 s31, s7, 8
	v_mov_b32_e32 v1, s14
	s_mul_i32 s28, s6, s3
	s_xor_b64 exec, exec, s[26:27]
	s_cbranch_execz .LBB210_9
; %bb.6:
	s_load_dwordx4 s[16:19], s[0:1], 0x8
	s_mov_b32 s29, 0
	s_add_i32 s4, s31, -1
	v_or_b32_e32 v3, 64, v0
	v_mov_b32_e32 v1, s4
	v_cmp_gt_u32_e64 s[4:5], s31, v3
	s_lshl_b64 s[34:35], s[28:29], 2
	s_mov_b32 s15, s29
	v_cmp_gt_u32_e32 vcc, s31, v0
	v_cndmask_b32_e64 v4, v1, v3, s[4:5]
	v_or_b32_e32 v3, 0x80, v0
	s_waitcnt lgkmcnt(0)
	s_add_u32 s8, s18, s34
	v_cndmask_b32_e32 v2, v1, v0, vcc
	v_cmp_gt_u32_e64 s[6:7], s31, v3
	s_addc_u32 s9, s19, s35
	s_lshl_b64 s[18:19], s[14:15], 2
	v_cndmask_b32_e64 v6, v1, v3, s[6:7]
	s_add_u32 s8, s8, s18
	v_ashrrev_i32_e32 v3, 31, v2
	s_addc_u32 s9, s9, s19
	v_lshlrev_b64 v[2:3], 2, v[2:3]
	v_ashrrev_i32_e32 v5, 31, v4
	v_ashrrev_i32_e32 v7, 31, v6
	v_lshl_add_u64 v[8:9], s[8:9], 0, v[2:3]
	v_lshlrev_b64 v[4:5], 2, v[4:5]
	v_lshlrev_b64 v[6:7], 2, v[6:7]
	v_lshl_add_u64 v[10:11], s[8:9], 0, v[4:5]
	v_lshl_add_u64 v[12:13], s[8:9], 0, v[6:7]
	global_load_dword v1, v[8:9], off
	global_load_dword v14, v[10:11], off
	;; [unrolled: 1-line block ×3, first 2 shown]
	v_mbcnt_lo_u32_b32 v8, -1, 0
	v_mbcnt_hi_u32_b32 v8, -1, v8
	v_and_b32_e32 v9, 64, v8
	v_xor_b32_e32 v10, 32, v8
	v_add_u32_e32 v9, 64, v9
	v_xor_b32_e32 v11, 16, v8
	v_cmp_lt_i32_e64 s[8:9], v10, v9
	v_xor_b32_e32 v12, 8, v8
	s_mov_b32 s15, 0xc2ce8ed0
	v_cndmask_b32_e64 v10, v8, v10, s[8:9]
	v_cmp_lt_i32_e64 s[8:9], v11, v9
	v_lshlrev_b32_e32 v10, 2, v10
	s_waitcnt vmcnt(0)
	v_max3_f32 v13, v1, v14, v15
	v_cndmask_b32_e64 v11, v8, v11, s[8:9]
	v_cmp_lt_i32_e64 s[8:9], v12, v9
	ds_bpermute_b32 v16, v10, v13
	v_lshlrev_b32_e32 v11, 2, v11
	v_cndmask_b32_e64 v12, v8, v12, s[8:9]
	s_add_u32 s8, s16, s34
	s_addc_u32 s9, s17, s35
	s_add_u32 s8, s8, s18
	s_addc_u32 s9, s9, s19
	v_lshl_add_u64 v[2:3], s[8:9], 0, v[2:3]
	v_lshl_add_u64 v[4:5], s[8:9], 0, v[4:5]
	global_load_dword v17, v[2:3], off
	global_load_dword v18, v[4:5], off
	v_lshl_add_u64 v[2:3], s[8:9], 0, v[6:7]
	global_load_dword v3, v[2:3], off
	s_waitcnt lgkmcnt(0)
	v_max_f32_e32 v16, v16, v16
	v_max_f32_e32 v13, v13, v16
	ds_bpermute_b32 v16, v11, v13
	v_lshlrev_b32_e32 v12, 2, v12
	v_xor_b32_e32 v5, 4, v8
	v_cmp_lt_i32_e64 s[8:9], v5, v9
	v_xor_b32_e32 v6, 2, v8
	s_waitcnt lgkmcnt(0)
	v_max_f32_e32 v2, v16, v16
	v_max_f32_e32 v2, v13, v2
	ds_bpermute_b32 v4, v12, v2
	v_cndmask_b32_e64 v5, v8, v5, s[8:9]
	v_lshlrev_b32_e32 v5, 2, v5
	v_cmp_lt_i32_e64 s[8:9], v6, v9
	v_xor_b32_e32 v7, 1, v8
	s_waitcnt lgkmcnt(0)
	v_max_f32_e32 v4, v4, v4
	v_max_f32_e32 v2, v2, v4
	ds_bpermute_b32 v4, v5, v2
	v_cndmask_b32_e64 v6, v8, v6, s[8:9]
	v_lshlrev_b32_e32 v6, 2, v6
	v_cmp_lt_i32_e64 s[8:9], v7, v9
	s_mov_b32 s16, 0x42b17218
	s_waitcnt lgkmcnt(0)
	v_max_f32_e32 v4, v4, v4
	v_max_f32_e32 v2, v2, v4
	ds_bpermute_b32 v4, v6, v2
	v_cndmask_b32_e64 v7, v8, v7, s[8:9]
	v_lshlrev_b32_e32 v7, 2, v7
	s_mov_b32 s8, 0x3fb8aa3b
	v_mov_b32_e32 v8, 0x7f800000
	s_waitcnt lgkmcnt(0)
	v_max_f32_e32 v4, v4, v4
	v_max_f32_e32 v2, v2, v4
	ds_bpermute_b32 v4, v7, v2
	s_waitcnt lgkmcnt(0)
	v_max_f32_e32 v4, v4, v4
	v_max_f32_e32 v2, v2, v4
	v_sub_f32_e32 v1, v1, v2
	v_sub_f32_e32 v4, v14, v2
	v_mul_f32_e32 v9, 0x3fb8aa3b, v1
	v_sub_f32_e32 v2, v15, v2
	v_mul_f32_e32 v13, 0x3fb8aa3b, v4
	v_fma_f32 v15, v1, s8, -v9
	v_rndne_f32_e32 v16, v9
	v_mul_f32_e32 v14, 0x3fb8aa3b, v2
	v_fma_f32 v19, v4, s8, -v13
	v_rndne_f32_e32 v20, v13
	v_fmac_f32_e32 v15, 0x32a5705f, v1
	v_sub_f32_e32 v9, v9, v16
	v_fma_f32 v21, v2, s8, -v14
	v_rndne_f32_e32 v22, v14
	v_fmac_f32_e32 v19, 0x32a5705f, v4
	v_sub_f32_e32 v13, v13, v20
	v_add_f32_e32 v9, v9, v15
	v_cvt_i32_f32_e32 v16, v16
	v_fmac_f32_e32 v21, 0x32a5705f, v2
	v_sub_f32_e32 v14, v14, v22
	v_add_f32_e32 v13, v13, v19
	v_exp_f32_e32 v9, v9
	v_cvt_i32_f32_e32 v20, v20
	v_add_f32_e32 v14, v14, v21
	v_exp_f32_e32 v13, v13
	v_cvt_i32_f32_e32 v22, v22
	v_exp_f32_e32 v14, v14
	v_ldexp_f32 v9, v9, v16
	v_cmp_ngt_f32_e64 s[8:9], s15, v1
	v_ldexp_f32 v13, v13, v20
	v_ldexp_f32 v14, v14, v22
	v_cndmask_b32_e64 v9, 0, v9, s[8:9]
	v_cmp_ngt_f32_e64 s[8:9], s15, v4
	v_lshlrev_b32_e32 v15, 2, v0
	s_nop 0
	v_cndmask_b32_e64 v13, 0, v13, s[8:9]
	v_cmp_ngt_f32_e64 s[8:9], s15, v2
	s_nop 1
	v_cndmask_b32_e64 v14, 0, v14, s[8:9]
	v_cmp_nlt_f32_e64 s[8:9], s16, v1
	s_nop 1
	v_cndmask_b32_e64 v1, v8, v9, s[8:9]
	v_cmp_nlt_f32_e64 s[8:9], s16, v4
	v_cndmask_b32_e32 v1, 0, v1, vcc
	s_waitcnt vmcnt(2)
	v_mul_f32_e32 v1, v17, v1
	v_cndmask_b32_e64 v4, v8, v13, s[8:9]
	v_cmp_nlt_f32_e64 s[8:9], s16, v2
	v_cndmask_b32_e64 v4, 0, v4, s[4:5]
	v_cmp_eq_u32_e32 vcc, 0, v0
	v_cndmask_b32_e64 v2, v8, v14, s[8:9]
	v_cndmask_b32_e64 v8, 0, v2, s[6:7]
	s_waitcnt vmcnt(1)
	v_mul_f32_e32 v2, v18, v4
	ds_write2st64_b32 v15, v1, v2 offset1:1
	v_fmac_f32_e32 v1, v18, v4
	s_waitcnt vmcnt(0)
	v_fmac_f32_e32 v1, v3, v8
	ds_bpermute_b32 v2, v10, v1
	v_mul_f32_e32 v3, v3, v8
	ds_write_b32 v15, v3 offset:512
	s_waitcnt lgkmcnt(1)
	v_add_f32_e32 v1, v1, v2
	ds_bpermute_b32 v2, v11, v1
	s_waitcnt lgkmcnt(0)
	v_add_f32_e32 v1, v1, v2
	ds_bpermute_b32 v2, v12, v1
	;; [unrolled: 3-line block ×5, first 2 shown]
	s_and_saveexec_b64 s[4:5], vcc
	s_cbranch_execz .LBB210_8
; %bb.7:
	s_waitcnt lgkmcnt(0)
	v_add_f32_e32 v1, v1, v2
	v_mov_b32_e32 v2, 0
	ds_write_b32 v2, v1 offset:768
.LBB210_8:
	s_or_b64 exec, exec, s[4:5]
	v_mov_b32_e32 v1, s14
.LBB210_9:
	s_or_b64 exec, exec, s[26:27]
	s_lshl_b32 s4, s28, 7
	s_mov_b32 s5, 0
	s_lshl_b64 s[4:5], s[4:5], 1
	s_add_u32 s4, s12, s4
	s_addc_u32 s5, s13, s5
	s_lshl_b32 s6, s31, 7
	s_waitcnt lgkmcnt(0)
	v_lshlrev_b32_e32 v2, 7, v1
	v_mov_b32_e32 v1, 0
	s_addk_i32 s6, 0xff80
	v_mov_b32_e32 v3, v1
	s_cmp_lt_i32 s30, 1
	v_lshl_add_u64 v[2:3], v[2:3], 1, s[4:5]
	s_cselect_b32 s4, s6, 0
	v_lshlrev_b32_e32 v4, 1, v0
	v_mov_b32_e32 v5, v1
	s_ashr_i32 s5, s4, 31
	v_lshl_add_u64 v[2:3], v[2:3], 0, v[4:5]
	s_cmpk_lt_i32 s30, 0x101
	v_lshl_add_u64 v[12:13], s[4:5], 1, v[2:3]
	s_cselect_b32 s4, s6, 0x80
	s_ashr_i32 s5, s4, 31
	s_cmpk_lt_i32 s30, 0x201
	v_lshl_add_u64 v[14:15], s[4:5], 1, v[2:3]
	s_cselect_b32 s4, s6, 0x100
	s_ashr_i32 s5, s4, 31
	;; [unrolled: 4-line block ×8, first 2 shown]
	s_cmpk_lt_i32 s30, 0x901
	global_load_ushort v4, v[12:13], off
	global_load_ushort v5, v[14:15], off
	;; [unrolled: 1-line block ×8, first 2 shown]
	v_lshl_add_u64 v[20:21], s[4:5], 1, v[2:3]
	s_cselect_b32 s4, s6, 0x480
	s_ashr_i32 s5, s4, 31
	s_cmpk_lt_i32 s30, 0xa01
	v_lshl_add_u64 v[22:23], s[4:5], 1, v[2:3]
	s_cselect_b32 s4, s6, 0x500
	s_ashr_i32 s5, s4, 31
	s_cmpk_lt_i32 s30, 0xb01
	;; [unrolled: 4-line block ×6, first 2 shown]
	v_lshl_add_u64 v[32:33], s[4:5], 1, v[2:3]
	s_cselect_b32 s4, s6, 0x780
	s_ashr_i32 s5, s4, 31
	v_lshl_add_u64 v[34:35], s[4:5], 1, v[2:3]
	global_load_ushort v13, v[20:21], off
	global_load_ushort v14, v[22:23], off
	global_load_ushort v15, v[24:25], off
	global_load_ushort v16, v[26:27], off
	global_load_ushort v17, v[28:29], off
	global_load_ushort v18, v[30:31], off
	global_load_ushort v19, v[32:33], off
	global_load_ushort v12, v[34:35], off
	s_cmpk_gt_i32 s30, 0x1000
	s_cselect_b64 s[4:5], -1, 0
	s_cmpk_lt_i32 s30, 0x1001
	v_mov_b32_e32 v36, 0
	v_mov_b32_e32 v37, 0
	;; [unrolled: 1-line block ×48, first 2 shown]
	s_barrier
	s_cbranch_scc1 .LBB210_12
; %bb.10:
	s_cmpk_lt_u32 s30, 0x1101
	s_cselect_b32 s8, s6, 0x880
	s_ashr_i32 s9, s8, 31
	s_cmpk_lt_u32 s30, 0x1201
	v_lshl_add_u64 v[30:31], s[8:9], 1, v[2:3]
	s_cselect_b32 s8, s6, 0x900
	s_ashr_i32 s9, s8, 31
	s_cmpk_lt_u32 s30, 0x1301
	v_lshl_add_u64 v[32:33], s[8:9], 1, v[2:3]
	;; [unrolled: 4-line block ×7, first 2 shown]
	s_cselect_b32 s8, s6, 0xc00
	v_add_co_u32_e32 v28, vcc, 0x1000, v2
	s_ashr_i32 s9, s8, 31
	s_nop 0
	v_addc_co_u32_e32 v29, vcc, 0, v3, vcc
	s_cmpk_lt_u32 s30, 0x1901
	global_load_ushort v27, v[28:29], off
	global_load_ushort v26, v[30:31], off
	;; [unrolled: 1-line block ×8, first 2 shown]
	v_lshl_add_u64 v[36:37], s[8:9], 1, v[2:3]
	s_cselect_b32 s8, s6, 0xc80
	s_ashr_i32 s9, s8, 31
	s_cmpk_lt_u32 s30, 0x1a01
	v_lshl_add_u64 v[38:39], s[8:9], 1, v[2:3]
	s_cselect_b32 s8, s6, 0xd00
	s_ashr_i32 s9, s8, 31
	s_cmpk_lt_u32 s30, 0x1b01
	;; [unrolled: 4-line block ×6, first 2 shown]
	v_lshl_add_u64 v[48:49], s[8:9], 1, v[2:3]
	s_cselect_b32 s8, s6, 0xf80
	s_ashr_i32 s9, s8, 31
	v_lshl_add_u64 v[50:51], s[8:9], 1, v[2:3]
	global_load_ushort v35, v[36:37], off
	global_load_ushort v34, v[38:39], off
	global_load_ushort v33, v[40:41], off
	global_load_ushort v32, v[42:43], off
	global_load_ushort v31, v[44:45], off
	global_load_ushort v30, v[46:47], off
	global_load_ushort v29, v[48:49], off
	global_load_ushort v28, v[50:51], off
	s_cmpk_lt_u32 s30, 0x2001
	v_mov_b32_e32 v67, 0
	v_mov_b32_e32 v66, 0
	v_mov_b32_e32 v65, 0
	v_mov_b32_e32 v64, 0
	v_mov_b32_e32 v63, 0
	v_mov_b32_e32 v62, 0
	v_mov_b32_e32 v61, 0
	v_mov_b32_e32 v60, 0
	v_mov_b32_e32 v59, 0
	v_mov_b32_e32 v58, 0
	v_mov_b32_e32 v57, 0
	v_mov_b32_e32 v56, 0
	v_mov_b32_e32 v55, 0
	v_mov_b32_e32 v54, 0
	v_mov_b32_e32 v53, 0
	v_mov_b32_e32 v52, 0
	v_mov_b32_e32 v51, 0
	v_mov_b32_e32 v50, 0
	v_mov_b32_e32 v49, 0
	v_mov_b32_e32 v48, 0
	v_mov_b32_e32 v47, 0
	v_mov_b32_e32 v46, 0
	v_mov_b32_e32 v45, 0
	v_mov_b32_e32 v44, 0
	v_mov_b32_e32 v43, 0
	v_mov_b32_e32 v42, 0
	v_mov_b32_e32 v41, 0
	v_mov_b32_e32 v40, 0
	v_mov_b32_e32 v39, 0
	v_mov_b32_e32 v38, 0
	v_mov_b32_e32 v37, 0
	v_mov_b32_e32 v36, 0
	s_cbranch_scc1 .LBB210_12
; %bb.11:
	s_cmpk_lt_u32 s30, 0x2101
	s_cselect_b32 s8, s6, 0x1080
	s_ashr_i32 s9, s8, 31
	s_cmpk_lt_u32 s30, 0x2201
	v_lshl_add_u64 v[38:39], s[8:9], 1, v[2:3]
	s_cselect_b32 s8, s6, 0x1100
	s_ashr_i32 s9, s8, 31
	s_cmpk_lt_u32 s30, 0x2301
	v_lshl_add_u64 v[40:41], s[8:9], 1, v[2:3]
	;; [unrolled: 4-line block ×7, first 2 shown]
	s_cselect_b32 s8, s6, 0x1400
	v_add_co_u32_e32 v36, vcc, 0x2000, v2
	s_ashr_i32 s9, s8, 31
	s_nop 0
	v_addc_co_u32_e32 v37, vcc, 0, v3, vcc
	s_cmpk_lt_u32 s30, 0x2901
	global_load_ushort v52, v[36:37], off
	global_load_ushort v53, v[38:39], off
	;; [unrolled: 1-line block ×8, first 2 shown]
	v_lshl_add_u64 v[36:37], s[8:9], 1, v[2:3]
	s_cselect_b32 s8, s6, 0x1480
	s_ashr_i32 s9, s8, 31
	s_cmpk_lt_u32 s30, 0x2a01
	v_lshl_add_u64 v[38:39], s[8:9], 1, v[2:3]
	s_cselect_b32 s8, s6, 0x1500
	s_ashr_i32 s9, s8, 31
	s_cmpk_lt_u32 s30, 0x2b01
	;; [unrolled: 4-line block ×8, first 2 shown]
	global_load_ushort v68, v[36:37], off
	global_load_ushort v69, v[38:39], off
	;; [unrolled: 1-line block ×8, first 2 shown]
	v_lshl_add_u64 v[36:37], s[8:9], 1, v[2:3]
	s_cselect_b32 s8, s6, 0x1880
	s_ashr_i32 s9, s8, 31
	s_cmpk_lt_u32 s30, 0x3201
	v_lshl_add_u64 v[38:39], s[8:9], 1, v[2:3]
	s_cselect_b32 s8, s6, 0x1900
	s_ashr_i32 s9, s8, 31
	s_cmpk_lt_u32 s30, 0x3301
	v_lshl_add_u64 v[40:41], s[8:9], 1, v[2:3]
	s_cselect_b32 s8, s6, 0x1980
	s_ashr_i32 s9, s8, 31
	s_cmpk_lt_u32 s30, 0x3401
	v_lshl_add_u64 v[42:43], s[8:9], 1, v[2:3]
	s_cselect_b32 s8, s6, 0x1a00
	s_ashr_i32 s9, s8, 31
	s_cmpk_lt_u32 s30, 0x3501
	v_lshl_add_u64 v[44:45], s[8:9], 1, v[2:3]
	s_cselect_b32 s8, s6, 0x1a80
	s_ashr_i32 s9, s8, 31
	s_cmpk_lt_u32 s30, 0x3601
	v_lshl_add_u64 v[46:47], s[8:9], 1, v[2:3]
	s_cselect_b32 s8, s6, 0x1b00
	s_ashr_i32 s9, s8, 31
	s_cmpk_lt_u32 s30, 0x3701
	v_lshl_add_u64 v[48:49], s[8:9], 1, v[2:3]
	s_cselect_b32 s8, s6, 0x1b80
	s_ashr_i32 s9, s8, 31
	s_cmpk_lt_u32 s30, 0x3801
	v_lshl_add_u64 v[50:51], s[8:9], 1, v[2:3]
	s_cselect_b32 s8, s6, 0x1c00
	s_ashr_i32 s9, s8, 31
	s_cmpk_lt_u32 s30, 0x3901
	global_load_ushort v76, v[36:37], off
	global_load_ushort v77, v[38:39], off
	;; [unrolled: 1-line block ×8, first 2 shown]
	v_lshl_add_u64 v[36:37], s[8:9], 1, v[2:3]
	s_cselect_b32 s8, s6, 0x1c80
	s_ashr_i32 s9, s8, 31
	s_cmpk_lt_u32 s30, 0x3a01
	v_lshl_add_u64 v[38:39], s[8:9], 1, v[2:3]
	s_cselect_b32 s8, s6, 0x1d00
	s_ashr_i32 s9, s8, 31
	s_cmpk_lt_u32 s30, 0x3b01
	;; [unrolled: 4-line block ×6, first 2 shown]
	v_lshl_add_u64 v[48:49], s[8:9], 1, v[2:3]
	s_cselect_b32 s8, s6, 0x1f80
	s_ashr_i32 s9, s8, 31
	v_lshl_add_u64 v[50:51], s[8:9], 1, v[2:3]
	global_load_ushort v84, v[36:37], off
	global_load_ushort v85, v[38:39], off
	;; [unrolled: 1-line block ×8, first 2 shown]
	s_waitcnt vmcnt(31)
	v_cvt_f32_f16_e32 v67, v52
	s_waitcnt vmcnt(30)
	v_cvt_f32_f16_e32 v66, v53
	;; [unrolled: 2-line block ×32, first 2 shown]
.LBB210_12:
	ds_read_b128 v[68:71], v1
	ds_read_b128 v[72:75], v1 offset:16
	ds_read_b128 v[76:79], v1 offset:32
	;; [unrolled: 1-line block ×3, first 2 shown]
	s_andn2_b64 vcc, exec, s[4:5]
	s_waitcnt vmcnt(15) lgkmcnt(3)
	v_fma_mix_f32 v4, v68, v4, 0 op_sel_hi:[0,1,0]
	s_waitcnt vmcnt(14)
	v_fma_mix_f32 v4, v69, v5, v4 op_sel_hi:[0,1,0]
	s_waitcnt vmcnt(13)
	v_fma_mix_f32 v4, v70, v6, v4 op_sel_hi:[0,1,0]
	s_waitcnt vmcnt(12)
	v_fma_mix_f32 v4, v71, v7, v4 op_sel_hi:[0,1,0]
	s_waitcnt vmcnt(11) lgkmcnt(2)
	v_fma_mix_f32 v4, v72, v8, v4 op_sel_hi:[0,1,0]
	s_waitcnt vmcnt(10)
	v_fma_mix_f32 v4, v73, v9, v4 op_sel_hi:[0,1,0]
	s_waitcnt vmcnt(9)
	v_fma_mix_f32 v4, v74, v10, v4 op_sel_hi:[0,1,0]
	s_waitcnt vmcnt(8)
	v_fma_mix_f32 v4, v75, v11, v4 op_sel_hi:[0,1,0]
	;; [unrolled: 8-line block ×4, first 2 shown]
	s_cbranch_vccnz .LBB210_15
; %bb.13:
	ds_read_b128 v[6:9], v1 offset:64
	ds_read_b128 v[10:13], v1 offset:80
	ds_read_b128 v[14:17], v1 offset:96
	ds_read_b128 v[68:71], v1 offset:112
	s_cmpk_lt_u32 s30, 0x2001
	s_waitcnt lgkmcnt(3)
	v_fma_mix_f32 v4, v6, v27, v4 op_sel_hi:[0,1,0]
	v_fma_mix_f32 v4, v7, v26, v4 op_sel_hi:[0,1,0]
	v_fma_mix_f32 v4, v8, v25, v4 op_sel_hi:[0,1,0]
	v_fma_mix_f32 v4, v9, v24, v4 op_sel_hi:[0,1,0]
	s_waitcnt lgkmcnt(2)
	v_fma_mix_f32 v4, v10, v23, v4 op_sel_hi:[0,1,0]
	v_fma_mix_f32 v4, v11, v22, v4 op_sel_hi:[0,1,0]
	v_fma_mix_f32 v4, v12, v21, v4 op_sel_hi:[0,1,0]
	v_fma_mix_f32 v4, v13, v20, v4 op_sel_hi:[0,1,0]
	;; [unrolled: 5-line block ×4, first 2 shown]
	s_cbranch_scc1 .LBB210_15
; %bb.14:
	v_mov_b32_e32 v5, 0
	ds_read_b128 v[6:9], v5 offset:128
	ds_read_b128 v[10:13], v5 offset:144
	;; [unrolled: 1-line block ×4, first 2 shown]
	s_waitcnt lgkmcnt(3)
	v_fmac_f32_e32 v4, v6, v67
	v_fmac_f32_e32 v4, v7, v66
	v_fmac_f32_e32 v4, v8, v65
	v_fmac_f32_e32 v4, v9, v64
	s_waitcnt lgkmcnt(2)
	v_fmac_f32_e32 v4, v10, v63
	v_fmac_f32_e32 v4, v11, v62
	v_fmac_f32_e32 v4, v12, v61
	v_fmac_f32_e32 v4, v13, v60
	;; [unrolled: 5-line block ×3, first 2 shown]
	ds_read_b128 v[6:9], v5 offset:192
	ds_read_b128 v[10:13], v5 offset:208
	s_waitcnt lgkmcnt(2)
	v_fmac_f32_e32 v4, v18, v55
	v_fmac_f32_e32 v4, v19, v54
	;; [unrolled: 1-line block ×4, first 2 shown]
	s_waitcnt lgkmcnt(1)
	v_fmac_f32_e32 v4, v6, v51
	v_fmac_f32_e32 v4, v7, v50
	;; [unrolled: 1-line block ×4, first 2 shown]
	ds_read_b128 v[6:9], v5 offset:224
	s_waitcnt lgkmcnt(1)
	v_fmac_f32_e32 v4, v10, v47
	v_fmac_f32_e32 v4, v11, v46
	;; [unrolled: 1-line block ×4, first 2 shown]
	ds_read_b128 v[10:13], v5 offset:240
	s_waitcnt lgkmcnt(1)
	v_fmac_f32_e32 v4, v6, v43
	v_fmac_f32_e32 v4, v7, v42
	;; [unrolled: 1-line block ×4, first 2 shown]
	s_waitcnt lgkmcnt(0)
	v_fmac_f32_e32 v4, v10, v39
	v_fmac_f32_e32 v4, v11, v38
	;; [unrolled: 1-line block ×4, first 2 shown]
.LBB210_15:
	s_cmpk_lt_i32 s30, 0x4001
	s_cbranch_scc1 .LBB210_17
; %bb.16:
	s_cmpk_lt_i32 s30, 0x4101
	s_cselect_b32 s4, s6, 0x2080
	s_ashr_i32 s5, s4, 31
	s_cmpk_lt_i32 s30, 0x4201
	v_lshl_add_u64 v[16:17], s[4:5], 1, v[2:3]
	s_cselect_b32 s4, s6, 0x2100
	s_ashr_i32 s5, s4, 31
	s_cmpk_lt_i32 s30, 0x4301
	v_lshl_add_u64 v[18:19], s[4:5], 1, v[2:3]
	;; [unrolled: 4-line block ×7, first 2 shown]
	s_cselect_b32 s4, s6, 0x2400
	v_add_co_u32_e32 v14, vcc, 0x4000, v2
	s_ashr_i32 s5, s4, 31
	s_nop 0
	v_addc_co_u32_e32 v15, vcc, 0, v3, vcc
	s_cmpk_lt_i32 s30, 0x4901
	global_load_ushort v5, v[14:15], off
	global_load_ushort v6, v[16:17], off
	global_load_ushort v7, v[18:19], off
	global_load_ushort v8, v[20:21], off
	global_load_ushort v9, v[22:23], off
	global_load_ushort v10, v[24:25], off
	global_load_ushort v11, v[26:27], off
	global_load_ushort v12, v[28:29], off
	v_lshl_add_u64 v[14:15], s[4:5], 1, v[2:3]
	s_cselect_b32 s4, s6, 0x2480
	s_ashr_i32 s5, s4, 31
	s_cmpk_lt_i32 s30, 0x4a01
	v_lshl_add_u64 v[16:17], s[4:5], 1, v[2:3]
	s_cselect_b32 s4, s6, 0x2500
	s_ashr_i32 s5, s4, 31
	s_cmpk_lt_i32 s30, 0x4b01
	v_lshl_add_u64 v[18:19], s[4:5], 1, v[2:3]
	s_cselect_b32 s4, s6, 0x2580
	s_ashr_i32 s5, s4, 31
	s_cmpk_lt_i32 s30, 0x4c01
	v_lshl_add_u64 v[20:21], s[4:5], 1, v[2:3]
	s_cselect_b32 s4, s6, 0x2600
	s_ashr_i32 s5, s4, 31
	s_cmpk_lt_i32 s30, 0x4d01
	v_lshl_add_u64 v[22:23], s[4:5], 1, v[2:3]
	s_cselect_b32 s4, s6, 0x2680
	s_ashr_i32 s5, s4, 31
	s_cmpk_lt_i32 s30, 0x4e01
	v_lshl_add_u64 v[24:25], s[4:5], 1, v[2:3]
	s_cselect_b32 s4, s6, 0x2700
	s_ashr_i32 s5, s4, 31
	s_cmpk_lt_i32 s30, 0x4f01
	v_lshl_add_u64 v[26:27], s[4:5], 1, v[2:3]
	s_cselect_b32 s4, s6, 0x2780
	s_ashr_i32 s5, s4, 31
	s_cmpk_lt_i32 s30, 0x5001
	v_lshl_add_u64 v[28:29], s[4:5], 1, v[2:3]
	s_cselect_b32 s4, s6, 0x2800
	s_ashr_i32 s5, s4, 31
	s_cmpk_lt_i32 s30, 0x5101
	global_load_ushort v13, v[14:15], off
	global_load_ushort v30, v[16:17], off
	global_load_ushort v31, v[18:19], off
	global_load_ushort v32, v[20:21], off
	global_load_ushort v33, v[22:23], off
	global_load_ushort v34, v[24:25], off
	global_load_ushort v35, v[26:27], off
	global_load_ushort v36, v[28:29], off
	v_lshl_add_u64 v[14:15], s[4:5], 1, v[2:3]
	s_cselect_b32 s4, s6, 0x2880
	s_ashr_i32 s5, s4, 31
	s_cmpk_lt_i32 s30, 0x5201
	v_lshl_add_u64 v[16:17], s[4:5], 1, v[2:3]
	s_cselect_b32 s4, s6, 0x2900
	s_ashr_i32 s5, s4, 31
	s_cmpk_lt_i32 s30, 0x5301
	v_lshl_add_u64 v[18:19], s[4:5], 1, v[2:3]
	s_cselect_b32 s4, s6, 0x2980
	s_ashr_i32 s5, s4, 31
	s_cmpk_lt_i32 s30, 0x5401
	v_lshl_add_u64 v[20:21], s[4:5], 1, v[2:3]
	s_cselect_b32 s4, s6, 0x2a00
	s_ashr_i32 s5, s4, 31
	s_cmpk_lt_i32 s30, 0x5501
	v_lshl_add_u64 v[22:23], s[4:5], 1, v[2:3]
	s_cselect_b32 s4, s6, 0x2a80
	s_ashr_i32 s5, s4, 31
	s_cmpk_lt_i32 s30, 0x5601
	v_lshl_add_u64 v[24:25], s[4:5], 1, v[2:3]
	s_cselect_b32 s4, s6, 0x2b00
	s_ashr_i32 s5, s4, 31
	s_cmpk_lt_i32 s30, 0x5701
	v_lshl_add_u64 v[26:27], s[4:5], 1, v[2:3]
	s_cselect_b32 s4, s6, 0x2b80
	s_ashr_i32 s5, s4, 31
	s_cmpk_lt_i32 s30, 0x5801
	v_lshl_add_u64 v[28:29], s[4:5], 1, v[2:3]
	s_cselect_b32 s4, s6, 0x2c00
	s_ashr_i32 s5, s4, 31
	;; [unrolled: 40-line block ×6, first 2 shown]
	s_cmpk_lt_i32 s30, 0x7901
	global_load_ushort v69, v[14:15], off
	global_load_ushort v70, v[16:17], off
	global_load_ushort v71, v[18:19], off
	global_load_ushort v72, v[20:21], off
	global_load_ushort v73, v[22:23], off
	global_load_ushort v74, v[24:25], off
	global_load_ushort v75, v[26:27], off
	global_load_ushort v76, v[28:29], off
	v_lshl_add_u64 v[14:15], s[4:5], 1, v[2:3]
	s_cselect_b32 s4, s6, 0x3c80
	s_ashr_i32 s5, s4, 31
	s_cmpk_lt_i32 s30, 0x7a01
	v_lshl_add_u64 v[16:17], s[4:5], 1, v[2:3]
	s_cselect_b32 s4, s6, 0x3d00
	s_ashr_i32 s5, s4, 31
	s_cmpk_lt_i32 s30, 0x7b01
	;; [unrolled: 4-line block ×6, first 2 shown]
	v_lshl_add_u64 v[26:27], s[4:5], 1, v[2:3]
	s_cselect_b32 s4, s6, 0x3f80
	s_ashr_i32 s5, s4, 31
	v_lshl_add_u64 v[28:29], s[4:5], 1, v[2:3]
	global_load_ushort v77, v[14:15], off
	global_load_ushort v78, v[16:17], off
	;; [unrolled: 1-line block ×8, first 2 shown]
	v_mov_b32_e32 v85, 0
	ds_read_b128 v[14:17], v85 offset:256
	ds_read_b128 v[18:21], v85 offset:272
	;; [unrolled: 1-line block ×4, first 2 shown]
	s_waitcnt vmcnt(62) lgkmcnt(3)
	v_fma_mix_f32 v4, v14, v5, v4 op_sel_hi:[0,1,0]
	v_fma_mix_f32 v4, v15, v6, v4 op_sel_hi:[0,1,0]
	s_waitcnt vmcnt(61)
	v_fma_mix_f32 v4, v16, v7, v4 op_sel_hi:[0,1,0]
	s_waitcnt vmcnt(60)
	v_fma_mix_f32 v4, v17, v8, v4 op_sel_hi:[0,1,0]
	s_waitcnt vmcnt(59) lgkmcnt(2)
	v_fma_mix_f32 v4, v18, v9, v4 op_sel_hi:[0,1,0]
	s_waitcnt vmcnt(58)
	v_fma_mix_f32 v4, v19, v10, v4 op_sel_hi:[0,1,0]
	s_waitcnt vmcnt(57)
	;; [unrolled: 2-line block ×3, first 2 shown]
	v_fma_mix_f32 v4, v21, v12, v4 op_sel_hi:[0,1,0]
	s_waitcnt vmcnt(55) lgkmcnt(1)
	v_fma_mix_f32 v4, v22, v13, v4 op_sel_hi:[0,1,0]
	s_waitcnt vmcnt(54)
	v_fma_mix_f32 v4, v23, v30, v4 op_sel_hi:[0,1,0]
	s_waitcnt vmcnt(53)
	v_fma_mix_f32 v4, v24, v31, v4 op_sel_hi:[0,1,0]
	s_waitcnt vmcnt(52)
	v_fma_mix_f32 v4, v25, v32, v4 op_sel_hi:[0,1,0]
	s_waitcnt vmcnt(51) lgkmcnt(0)
	v_fma_mix_f32 v8, v26, v33, v4 op_sel_hi:[0,1,0]
	ds_read_b128 v[4:7], v85 offset:320
	s_waitcnt vmcnt(50)
	v_fma_mix_f32 v8, v27, v34, v8 op_sel_hi:[0,1,0]
	s_waitcnt vmcnt(49)
	v_fma_mix_f32 v8, v28, v35, v8 op_sel_hi:[0,1,0]
	s_waitcnt vmcnt(48)
	v_fma_mix_f32 v12, v29, v36, v8 op_sel_hi:[0,1,0]
	ds_read_b128 v[8:11], v85 offset:336
	s_waitcnt vmcnt(47) lgkmcnt(1)
	v_fma_mix_f32 v4, v4, v37, v12 op_sel_hi:[0,1,0]
	s_waitcnt vmcnt(46)
	v_fma_mix_f32 v4, v5, v38, v4 op_sel_hi:[0,1,0]
	s_waitcnt vmcnt(45)
	v_fma_mix_f32 v4, v6, v39, v4 op_sel_hi:[0,1,0]
	s_waitcnt vmcnt(44)
	v_fma_mix_f32 v4, v7, v40, v4 op_sel_hi:[0,1,0]
	s_waitcnt vmcnt(43) lgkmcnt(0)
	v_fma_mix_f32 v8, v8, v41, v4 op_sel_hi:[0,1,0]
	ds_read_b128 v[4:7], v85 offset:352
	s_waitcnt vmcnt(42)
	v_fma_mix_f32 v8, v9, v42, v8 op_sel_hi:[0,1,0]
	s_waitcnt vmcnt(41)
	v_fma_mix_f32 v8, v10, v43, v8 op_sel_hi:[0,1,0]
	s_waitcnt vmcnt(40)
	v_fma_mix_f32 v12, v11, v44, v8 op_sel_hi:[0,1,0]
	ds_read_b128 v[8:11], v85 offset:368
	;; [unrolled: 18-line block ×6, first 2 shown]
	s_waitcnt vmcnt(7) lgkmcnt(1)
	v_fma_mix_f32 v4, v4, v77, v12 op_sel_hi:[0,1,0]
	s_waitcnt vmcnt(6)
	v_fma_mix_f32 v4, v5, v78, v4 op_sel_hi:[0,1,0]
	s_waitcnt vmcnt(5)
	;; [unrolled: 2-line block ×3, first 2 shown]
	v_fma_mix_f32 v4, v7, v80, v4 op_sel_hi:[0,1,0]
	s_waitcnt vmcnt(3) lgkmcnt(0)
	v_fma_mix_f32 v4, v8, v81, v4 op_sel_hi:[0,1,0]
	s_waitcnt vmcnt(2)
	v_fma_mix_f32 v4, v9, v82, v4 op_sel_hi:[0,1,0]
	s_waitcnt vmcnt(1)
	;; [unrolled: 2-line block ×3, first 2 shown]
	v_fma_mix_f32 v4, v11, v84, v4 op_sel_hi:[0,1,0]
.LBB210_17:
	s_load_dwordx2 s[4:5], s[0:1], 0x38
	s_cmp_lt_i32 s30, 0x8001
	s_cbranch_scc1 .LBB210_19
; %bb.18:
	s_cmp_lt_i32 s30, 0x8101
	s_cselect_b32 s8, s6, 0x4080
	s_ashr_i32 s9, s8, 31
	s_cmp_lt_i32 s30, 0x8201
	v_lshl_add_u64 v[16:17], s[8:9], 1, v[2:3]
	s_cselect_b32 s8, s6, 0x4100
	s_ashr_i32 s9, s8, 31
	s_cmp_lt_i32 s30, 0x8301
	v_lshl_add_u64 v[18:19], s[8:9], 1, v[2:3]
	;; [unrolled: 4-line block ×7, first 2 shown]
	s_cselect_b32 s8, s6, 0x4400
	v_add_co_u32_e32 v14, vcc, 0x8000, v2
	s_ashr_i32 s9, s8, 31
	s_nop 0
	v_addc_co_u32_e32 v15, vcc, 0, v3, vcc
	s_cmp_lt_i32 s30, 0x8901
	global_load_ushort v5, v[14:15], off
	global_load_ushort v6, v[16:17], off
	global_load_ushort v7, v[18:19], off
	global_load_ushort v8, v[20:21], off
	global_load_ushort v9, v[22:23], off
	global_load_ushort v10, v[24:25], off
	global_load_ushort v11, v[26:27], off
	global_load_ushort v12, v[28:29], off
	v_lshl_add_u64 v[14:15], s[8:9], 1, v[2:3]
	s_cselect_b32 s8, s6, 0x4480
	s_ashr_i32 s9, s8, 31
	s_cmp_lt_i32 s30, 0x8a01
	v_lshl_add_u64 v[16:17], s[8:9], 1, v[2:3]
	s_cselect_b32 s8, s6, 0x4500
	s_ashr_i32 s9, s8, 31
	s_cmp_lt_i32 s30, 0x8b01
	v_lshl_add_u64 v[18:19], s[8:9], 1, v[2:3]
	s_cselect_b32 s8, s6, 0x4580
	s_ashr_i32 s9, s8, 31
	s_cmp_lt_i32 s30, 0x8c01
	v_lshl_add_u64 v[20:21], s[8:9], 1, v[2:3]
	s_cselect_b32 s8, s6, 0x4600
	s_ashr_i32 s9, s8, 31
	s_cmp_lt_i32 s30, 0x8d01
	v_lshl_add_u64 v[22:23], s[8:9], 1, v[2:3]
	s_cselect_b32 s8, s6, 0x4680
	s_ashr_i32 s9, s8, 31
	s_cmp_lt_i32 s30, 0x8e01
	v_lshl_add_u64 v[24:25], s[8:9], 1, v[2:3]
	s_cselect_b32 s8, s6, 0x4700
	s_ashr_i32 s9, s8, 31
	s_cmp_lt_i32 s30, 0x8f01
	v_lshl_add_u64 v[26:27], s[8:9], 1, v[2:3]
	s_cselect_b32 s8, s6, 0x4780
	s_ashr_i32 s9, s8, 31
	s_cmp_lt_i32 s30, 0x9001
	v_lshl_add_u64 v[28:29], s[8:9], 1, v[2:3]
	s_cselect_b32 s8, s6, 0x4800
	s_ashr_i32 s9, s8, 31
	s_cmp_lt_i32 s30, 0x9101
	global_load_ushort v13, v[14:15], off
	global_load_ushort v30, v[16:17], off
	global_load_ushort v31, v[18:19], off
	global_load_ushort v32, v[20:21], off
	global_load_ushort v33, v[22:23], off
	global_load_ushort v34, v[24:25], off
	global_load_ushort v35, v[26:27], off
	global_load_ushort v36, v[28:29], off
	v_lshl_add_u64 v[14:15], s[8:9], 1, v[2:3]
	s_cselect_b32 s8, s6, 0x4880
	s_ashr_i32 s9, s8, 31
	s_cmp_lt_i32 s30, 0x9201
	v_lshl_add_u64 v[16:17], s[8:9], 1, v[2:3]
	s_cselect_b32 s8, s6, 0x4900
	s_ashr_i32 s9, s8, 31
	s_cmp_lt_i32 s30, 0x9301
	v_lshl_add_u64 v[18:19], s[8:9], 1, v[2:3]
	s_cselect_b32 s8, s6, 0x4980
	s_ashr_i32 s9, s8, 31
	s_cmp_lt_i32 s30, 0x9401
	v_lshl_add_u64 v[20:21], s[8:9], 1, v[2:3]
	s_cselect_b32 s8, s6, 0x4a00
	s_ashr_i32 s9, s8, 31
	s_cmp_lt_i32 s30, 0x9501
	v_lshl_add_u64 v[22:23], s[8:9], 1, v[2:3]
	s_cselect_b32 s8, s6, 0x4a80
	s_ashr_i32 s9, s8, 31
	s_cmp_lt_i32 s30, 0x9601
	v_lshl_add_u64 v[24:25], s[8:9], 1, v[2:3]
	s_cselect_b32 s8, s6, 0x4b00
	s_ashr_i32 s9, s8, 31
	s_cmp_lt_i32 s30, 0x9701
	v_lshl_add_u64 v[26:27], s[8:9], 1, v[2:3]
	s_cselect_b32 s8, s6, 0x4b80
	s_ashr_i32 s9, s8, 31
	s_cmp_lt_i32 s30, 0x9801
	v_lshl_add_u64 v[28:29], s[8:9], 1, v[2:3]
	s_cselect_b32 s8, s6, 0x4c00
	s_ashr_i32 s9, s8, 31
	;; [unrolled: 40-line block ×6, first 2 shown]
	s_cmp_lt_i32 s30, 0xb901
	global_load_ushort v69, v[14:15], off
	global_load_ushort v70, v[16:17], off
	global_load_ushort v71, v[18:19], off
	global_load_ushort v72, v[20:21], off
	global_load_ushort v73, v[22:23], off
	global_load_ushort v74, v[24:25], off
	global_load_ushort v75, v[26:27], off
	global_load_ushort v76, v[28:29], off
	v_lshl_add_u64 v[14:15], s[8:9], 1, v[2:3]
	s_cselect_b32 s8, s6, 0x5c80
	s_ashr_i32 s9, s8, 31
	s_cmp_lt_i32 s30, 0xba01
	v_lshl_add_u64 v[16:17], s[8:9], 1, v[2:3]
	s_cselect_b32 s8, s6, 0x5d00
	s_ashr_i32 s9, s8, 31
	s_cmp_lt_i32 s30, 0xbb01
	;; [unrolled: 4-line block ×6, first 2 shown]
	s_cselect_b32 s6, s6, 0x5f80
	s_ashr_i32 s7, s6, 31
	v_lshl_add_u64 v[26:27], s[8:9], 1, v[2:3]
	v_lshl_add_u64 v[2:3], s[6:7], 1, v[2:3]
	global_load_ushort v77, v[14:15], off
	global_load_ushort v78, v[16:17], off
	;; [unrolled: 1-line block ×8, first 2 shown]
	v_mov_b32_e32 v85, 0
	ds_read_b128 v[14:17], v85 offset:512
	ds_read_b128 v[18:21], v85 offset:528
	;; [unrolled: 1-line block ×4, first 2 shown]
	s_waitcnt vmcnt(62) lgkmcnt(0)
	v_fma_mix_f32 v2, v14, v5, v4 op_sel_hi:[0,1,0]
	v_fma_mix_f32 v2, v15, v6, v2 op_sel_hi:[0,1,0]
	s_waitcnt vmcnt(61)
	v_fma_mix_f32 v2, v16, v7, v2 op_sel_hi:[0,1,0]
	s_waitcnt vmcnt(60)
	;; [unrolled: 2-line block ×11, first 2 shown]
	v_fma_mix_f32 v6, v26, v33, v2 op_sel_hi:[0,1,0]
	ds_read_b128 v[2:5], v85 offset:576
	s_waitcnt vmcnt(50)
	v_fma_mix_f32 v6, v27, v34, v6 op_sel_hi:[0,1,0]
	s_waitcnt vmcnt(49)
	v_fma_mix_f32 v6, v28, v35, v6 op_sel_hi:[0,1,0]
	s_waitcnt vmcnt(48)
	v_fma_mix_f32 v10, v29, v36, v6 op_sel_hi:[0,1,0]
	ds_read_b128 v[6:9], v85 offset:592
	s_waitcnt vmcnt(47) lgkmcnt(1)
	v_fma_mix_f32 v2, v2, v37, v10 op_sel_hi:[0,1,0]
	s_waitcnt vmcnt(46)
	v_fma_mix_f32 v2, v3, v38, v2 op_sel_hi:[0,1,0]
	s_waitcnt vmcnt(45)
	v_fma_mix_f32 v2, v4, v39, v2 op_sel_hi:[0,1,0]
	s_waitcnt vmcnt(44)
	v_fma_mix_f32 v2, v5, v40, v2 op_sel_hi:[0,1,0]
	s_waitcnt vmcnt(43) lgkmcnt(0)
	v_fma_mix_f32 v6, v6, v41, v2 op_sel_hi:[0,1,0]
	ds_read_b128 v[2:5], v85 offset:608
	s_waitcnt vmcnt(42)
	v_fma_mix_f32 v6, v7, v42, v6 op_sel_hi:[0,1,0]
	s_waitcnt vmcnt(41)
	v_fma_mix_f32 v6, v8, v43, v6 op_sel_hi:[0,1,0]
	s_waitcnt vmcnt(40)
	v_fma_mix_f32 v10, v9, v44, v6 op_sel_hi:[0,1,0]
	ds_read_b128 v[6:9], v85 offset:624
	s_waitcnt vmcnt(39) lgkmcnt(1)
	v_fma_mix_f32 v2, v2, v45, v10 op_sel_hi:[0,1,0]
	s_waitcnt vmcnt(38)
	v_fma_mix_f32 v2, v3, v46, v2 op_sel_hi:[0,1,0]
	s_waitcnt vmcnt(37)
	v_fma_mix_f32 v2, v4, v47, v2 op_sel_hi:[0,1,0]
	s_waitcnt vmcnt(36)
	v_fma_mix_f32 v2, v5, v48, v2 op_sel_hi:[0,1,0]
	s_waitcnt vmcnt(35) lgkmcnt(0)
	;; [unrolled: 18-line block ×6, first 2 shown]
	v_fma_mix_f32 v2, v6, v81, v2 op_sel_hi:[0,1,0]
	s_waitcnt vmcnt(2)
	v_fma_mix_f32 v2, v7, v82, v2 op_sel_hi:[0,1,0]
	s_waitcnt vmcnt(1)
	;; [unrolled: 2-line block ×3, first 2 shown]
	v_fma_mix_f32 v4, v9, v84, v2 op_sel_hi:[0,1,0]
.LBB210_19:
	v_mov_b32_e32 v2, 0
	s_load_dwordx2 s[0:1], s[0:1], 0x0
	ds_read_b32 v2, v2 offset:768
	s_waitcnt lgkmcnt(0)
	s_cmp_eq_u64 s[4:5], 0
	s_cbranch_scc1 .LBB210_24
; %bb.20:
	s_load_dword s6, s[4:5], 0x0
	s_waitcnt lgkmcnt(0)
	v_div_scale_f32 v3, s[4:5], s6, s6, 1.0
	v_rcp_f32_e32 v5, v3
	v_div_scale_f32 v6, vcc, 1.0, s6, 1.0
	v_fma_f32 v7, -v3, v5, 1.0
	v_fmac_f32_e32 v5, v7, v5
	v_mul_f32_e32 v7, v6, v5
	v_fma_f32 v8, -v3, v7, v6
	v_fmac_f32_e32 v7, v8, v5
	v_fma_f32 v3, -v3, v7, v6
	v_div_fmas_f32 v3, v3, v5, v7
	v_div_fixup_f32 v3, v3, s6, 1.0
	s_andn2_b64 vcc, exec, s[22:23]
	s_cbranch_vccnz .LBB210_22
.LBB210_21:
	s_add_u32 s4, s20, s24
	s_addc_u32 s5, s21, s25
	s_load_dword s10, s[4:5], 0x0
	s_mov_b32 s11, 0
.LBB210_22:
	v_add_f32_e32 v2, 0x358637bd, v2
	v_div_scale_f32 v5, s[4:5], v2, v2, 1.0
	v_rcp_f32_e32 v6, v5
	v_div_scale_f32 v7, vcc, 1.0, v2, 1.0
	s_mul_i32 s4, s3, s11
	v_fma_f32 v8, -v5, v6, 1.0
	v_fmac_f32_e32 v6, v8, v6
	v_mul_f32_e32 v8, v7, v6
	v_fma_f32 v9, -v5, v8, v7
	v_fmac_f32_e32 v8, v9, v6
	v_fma_f32 v5, -v5, v8, v7
	s_waitcnt lgkmcnt(0)
	s_mul_hi_u32 s5, s3, s10
	v_div_fmas_f32 v5, v5, v6, v8
	s_add_i32 s5, s5, s4
	s_mul_i32 s4, s3, s10
	v_div_fixup_f32 v2, v5, v2, 1.0
	s_lshl_b64 s[4:5], s[4:5], 7
	v_mul_f32_e32 v2, v4, v2
	s_add_u32 s4, s0, s4
	s_mov_b32 s3, 0
	v_mul_f32_e32 v2, v2, v3
	s_addc_u32 s5, s1, s5
	s_lshl_b64 s[0:1], s[2:3], 7
	s_mov_b32 s2, 0x7f800000
	s_mov_b32 s3, 0x43700000
	v_mov_b32_e32 v3, 0xc3700000
	v_med3_f32 v3, v2, s3, v3
	v_cmp_nlg_f32_e64 vcc, |v2|, s2
	s_add_u32 s0, s4, s0
	s_addc_u32 s1, s5, s1
	v_cndmask_b32_e32 v2, v3, v2, vcc
	v_mov_b32_e32 v3, 0
	v_cvt_pk_fp8_f32 v3, v2, v2
	v_lshl_add_u64 v[0:1], s[0:1], 0, v[0:1]
	global_store_byte v[0:1], v3, off
	s_endpgm
.LBB210_23:
	s_mov_b64 s[6:7], 0
	s_branch .LBB210_2
.LBB210_24:
	v_mov_b32_e32 v3, 1.0
	s_andn2_b64 vcc, exec, s[22:23]
	s_cbranch_vccz .LBB210_21
	s_branch .LBB210_22
	.section	.rodata,"a",@progbits
	.p2align	6, 0x0
	.amdhsa_kernel _Z35paged_attention_ll4mi_reduce_kernelIDF16_hLi128ELi128ELi256ELi3EEvPT0_PKfS3_PKT_PKiS8_iS3_
		.amdhsa_group_segment_fixed_size 772
		.amdhsa_private_segment_fixed_size 0
		.amdhsa_kernarg_size 320
		.amdhsa_user_sgpr_count 2
		.amdhsa_user_sgpr_dispatch_ptr 0
		.amdhsa_user_sgpr_queue_ptr 0
		.amdhsa_user_sgpr_kernarg_segment_ptr 1
		.amdhsa_user_sgpr_dispatch_id 0
		.amdhsa_user_sgpr_kernarg_preload_length 0
		.amdhsa_user_sgpr_kernarg_preload_offset 0
		.amdhsa_user_sgpr_private_segment_size 0
		.amdhsa_uses_dynamic_stack 0
		.amdhsa_enable_private_segment 0
		.amdhsa_system_sgpr_workgroup_id_x 1
		.amdhsa_system_sgpr_workgroup_id_y 1
		.amdhsa_system_sgpr_workgroup_id_z 0
		.amdhsa_system_sgpr_workgroup_info 0
		.amdhsa_system_vgpr_workitem_id 0
		.amdhsa_next_free_vgpr 92
		.amdhsa_next_free_sgpr 36
		.amdhsa_accum_offset 92
		.amdhsa_reserve_vcc 1
		.amdhsa_float_round_mode_32 0
		.amdhsa_float_round_mode_16_64 0
		.amdhsa_float_denorm_mode_32 3
		.amdhsa_float_denorm_mode_16_64 3
		.amdhsa_dx10_clamp 1
		.amdhsa_ieee_mode 1
		.amdhsa_fp16_overflow 0
		.amdhsa_tg_split 0
		.amdhsa_exception_fp_ieee_invalid_op 0
		.amdhsa_exception_fp_denorm_src 0
		.amdhsa_exception_fp_ieee_div_zero 0
		.amdhsa_exception_fp_ieee_overflow 0
		.amdhsa_exception_fp_ieee_underflow 0
		.amdhsa_exception_fp_ieee_inexact 0
		.amdhsa_exception_int_div_zero 0
	.end_amdhsa_kernel
	.section	.text._Z35paged_attention_ll4mi_reduce_kernelIDF16_hLi128ELi128ELi256ELi3EEvPT0_PKfS3_PKT_PKiS8_iS3_,"axG",@progbits,_Z35paged_attention_ll4mi_reduce_kernelIDF16_hLi128ELi128ELi256ELi3EEvPT0_PKfS3_PKT_PKiS8_iS3_,comdat
.Lfunc_end210:
	.size	_Z35paged_attention_ll4mi_reduce_kernelIDF16_hLi128ELi128ELi256ELi3EEvPT0_PKfS3_PKT_PKiS8_iS3_, .Lfunc_end210-_Z35paged_attention_ll4mi_reduce_kernelIDF16_hLi128ELi128ELi256ELi3EEvPT0_PKfS3_PKT_PKiS8_iS3_
                                        ; -- End function
	.section	.AMDGPU.csdata,"",@progbits
; Kernel info:
; codeLenInByte = 11188
; NumSgprs: 42
; NumVgprs: 92
; NumAgprs: 0
; TotalNumVgprs: 92
; ScratchSize: 0
; MemoryBound: 0
; FloatMode: 240
; IeeeMode: 1
; LDSByteSize: 772 bytes/workgroup (compile time only)
; SGPRBlocks: 5
; VGPRBlocks: 11
; NumSGPRsForWavesPerEU: 42
; NumVGPRsForWavesPerEU: 92
; AccumOffset: 92
; Occupancy: 5
; WaveLimiterHint : 1
; COMPUTE_PGM_RSRC2:SCRATCH_EN: 0
; COMPUTE_PGM_RSRC2:USER_SGPR: 2
; COMPUTE_PGM_RSRC2:TRAP_HANDLER: 0
; COMPUTE_PGM_RSRC2:TGID_X_EN: 1
; COMPUTE_PGM_RSRC2:TGID_Y_EN: 1
; COMPUTE_PGM_RSRC2:TGID_Z_EN: 0
; COMPUTE_PGM_RSRC2:TIDIG_COMP_CNT: 0
; COMPUTE_PGM_RSRC3_GFX90A:ACCUM_OFFSET: 22
; COMPUTE_PGM_RSRC3_GFX90A:TG_SPLIT: 0
	.section	.text._Z35paged_attention_ll4mi_reduce_kernelIDF16_hLi128ELi128ELi256ELi4EEvPT0_PKfS3_PKT_PKiS8_iS3_,"axG",@progbits,_Z35paged_attention_ll4mi_reduce_kernelIDF16_hLi128ELi128ELi256ELi4EEvPT0_PKfS3_PKT_PKiS8_iS3_,comdat
	.protected	_Z35paged_attention_ll4mi_reduce_kernelIDF16_hLi128ELi128ELi256ELi4EEvPT0_PKfS3_PKT_PKiS8_iS3_ ; -- Begin function _Z35paged_attention_ll4mi_reduce_kernelIDF16_hLi128ELi128ELi256ELi4EEvPT0_PKfS3_PKT_PKiS8_iS3_
	.globl	_Z35paged_attention_ll4mi_reduce_kernelIDF16_hLi128ELi128ELi256ELi4EEvPT0_PKfS3_PKT_PKiS8_iS3_
	.p2align	8
	.type	_Z35paged_attention_ll4mi_reduce_kernelIDF16_hLi128ELi128ELi256ELi4EEvPT0_PKfS3_PKT_PKiS8_iS3_,@function
_Z35paged_attention_ll4mi_reduce_kernelIDF16_hLi128ELi128ELi256ELi4EEvPT0_PKfS3_PKT_PKiS8_iS3_: ; @_Z35paged_attention_ll4mi_reduce_kernelIDF16_hLi128ELi128ELi256ELi4EEvPT0_PKfS3_PKT_PKiS8_iS3_
; %bb.0:
	s_load_dwordx2 s[22:23], s[0:1], 0x28
	s_mov_b32 s20, s3
	s_mov_b64 s[4:5], 0
	s_waitcnt lgkmcnt(0)
	s_cmp_lg_u64 s[22:23], 0
	s_cselect_b64 s[24:25], -1, 0
	s_and_b64 vcc, exec, s[24:25]
	s_cbranch_vccz .LBB211_23
; %bb.1:
	s_add_i32 s6, s20, 1
	s_mov_b32 s7, 0
	s_lshl_b64 s[8:9], s[6:7], 2
	s_add_u32 s8, s22, s8
	s_mov_b32 s21, s7
	s_addc_u32 s9, s23, s9
	s_lshl_b64 s[6:7], s[20:21], 2
	s_add_u32 s6, s22, s6
	s_addc_u32 s7, s23, s7
	s_load_dword s3, s[8:9], 0x0
	s_load_dword s10, s[6:7], 0x0
	s_waitcnt lgkmcnt(0)
	s_sub_i32 s3, s3, s10
	s_cmp_eq_u32 s3, 1
	s_cselect_b64 s[6:7], -1, 0
	s_andn2_b64 vcc, exec, s[4:5]
	s_cbranch_vccnz .LBB211_3
.LBB211_2:
	s_mov_b32 s21, 0
	s_mov_b64 s[6:7], -1
.LBB211_3:
	s_andn2_b64 vcc, exec, s[6:7]
	s_cbranch_vccz .LBB211_5
; %bb.4:
	s_endpgm
.LBB211_5:
	s_load_dwordx4 s[12:15], s[0:1], 0x18
	s_load_dword s8, s[0:1], 0x30
	s_lshl_b64 s[26:27], s[20:21], 2
	v_cmp_lt_u32_e32 vcc, 63, v0
	s_waitcnt lgkmcnt(0)
	s_add_u32 s4, s14, s26
	s_addc_u32 s5, s15, s27
	s_load_dword s34, s[4:5], 0x0
	s_load_dword s3, s[0:1], 0x40
	s_mul_i32 s14, s2, s8
	s_mul_i32 s6, s20, s8
	s_waitcnt lgkmcnt(0)
	s_add_i32 s7, s34, 0xff
	s_ashr_i32 s4, s7, 31
	s_lshr_b32 s4, s4, 24
	s_add_i32 s7, s7, s4
	s_and_saveexec_b64 s[4:5], vcc
	s_xor_b64 s[4:5], exec, s[4:5]
	s_or_saveexec_b64 s[28:29], s[4:5]
	s_ashr_i32 s33, s7, 8
	v_mov_b32_e32 v1, s14
	s_mul_i32 s30, s6, s3
	s_xor_b64 exec, exec, s[28:29]
	s_cbranch_execz .LBB211_9
; %bb.6:
	s_load_dwordx4 s[16:19], s[0:1], 0x8
	s_add_i32 s4, s33, -1
	v_or_b32_e32 v3, 64, v0
	v_mov_b32_e32 v1, s4
	v_cmp_gt_u32_e64 s[8:9], s33, v3
	s_mov_b32 s31, 0
	s_lshl_b64 s[36:37], s[30:31], 2
	v_cndmask_b32_e64 v4, v1, v3, s[8:9]
	v_or_b32_e32 v3, 0x80, v0
	v_cmp_gt_u32_e64 s[4:5], s33, v3
	s_mov_b32 s15, s31
	v_cmp_gt_u32_e64 s[6:7], s33, v0
	v_cndmask_b32_e64 v6, v1, v3, s[4:5]
	v_or_b32_e32 v3, 0xc0, v0
	s_waitcnt lgkmcnt(0)
	s_add_u32 s10, s18, s36
	v_cndmask_b32_e64 v2, v1, v0, s[6:7]
	v_cmp_gt_u32_e32 vcc, s33, v3
	s_addc_u32 s11, s19, s37
	s_lshl_b64 s[18:19], s[14:15], 2
	v_cndmask_b32_e32 v8, v1, v3, vcc
	s_add_u32 s10, s10, s18
	v_ashrrev_i32_e32 v3, 31, v2
	s_addc_u32 s11, s11, s19
	v_lshlrev_b64 v[2:3], 2, v[2:3]
	v_ashrrev_i32_e32 v5, 31, v4
	v_lshl_add_u64 v[10:11], s[10:11], 0, v[2:3]
	v_lshlrev_b64 v[4:5], 2, v[4:5]
	v_ashrrev_i32_e32 v7, 31, v6
	v_lshl_add_u64 v[12:13], s[10:11], 0, v[4:5]
	v_lshlrev_b64 v[6:7], 2, v[6:7]
	v_ashrrev_i32_e32 v9, 31, v8
	global_load_dword v1, v[10:11], off
	global_load_dword v16, v[12:13], off
	v_lshl_add_u64 v[14:15], s[10:11], 0, v[6:7]
	v_lshlrev_b64 v[8:9], 2, v[8:9]
	v_lshl_add_u64 v[10:11], s[10:11], 0, v[8:9]
	global_load_dword v12, v[14:15], off
	global_load_dword v13, v[10:11], off
	v_mbcnt_lo_u32_b32 v10, -1, 0
	v_mbcnt_hi_u32_b32 v10, -1, v10
	v_and_b32_e32 v11, 64, v10
	v_xor_b32_e32 v14, 32, v10
	v_add_u32_e32 v11, 64, v11
	v_cmp_lt_i32_e64 s[10:11], v14, v11
	v_xor_b32_e32 v15, 16, v10
	v_xor_b32_e32 v17, 8, v10
	v_cndmask_b32_e64 v14, v10, v14, s[10:11]
	v_cmp_lt_i32_e64 s[10:11], v15, v11
	v_lshlrev_b32_e32 v14, 2, v14
	v_xor_b32_e32 v18, 4, v10
	v_cndmask_b32_e64 v15, v10, v15, s[10:11]
	s_add_u32 s10, s16, s36
	s_addc_u32 s11, s17, s37
	s_add_u32 s16, s10, s18
	s_addc_u32 s17, s11, s19
	v_lshl_add_u64 v[2:3], s[16:17], 0, v[2:3]
	v_lshl_add_u64 v[4:5], s[16:17], 0, v[4:5]
	global_load_dword v22, v[2:3], off
	global_load_dword v23, v[4:5], off
	v_lshlrev_b32_e32 v15, 2, v15
	v_cmp_lt_i32_e64 s[10:11], v17, v11
	v_xor_b32_e32 v19, 2, v10
	s_mov_b32 s15, 0x3fb8aa3b
	v_cndmask_b32_e64 v4, v10, v17, s[10:11]
	v_lshlrev_b32_e32 v17, 2, v4
	v_cmp_lt_i32_e64 s[10:11], v18, v11
	s_waitcnt vmcnt(5)
	v_max_f32_e32 v21, v1, v1
	s_waitcnt vmcnt(4)
	v_max_f32_e32 v20, v16, v16
	v_max_f32_e32 v20, v21, v20
	v_cndmask_b32_e64 v5, v10, v18, s[10:11]
	v_cmp_lt_i32_e64 s[10:11], v19, v11
	s_waitcnt vmcnt(2)
	v_max3_f32 v20, v20, v12, v13
	ds_bpermute_b32 v21, v14, v20
	v_cndmask_b32_e64 v4, v10, v19, s[10:11]
	v_lshlrev_b32_e32 v18, 2, v5
	v_lshlrev_b32_e32 v19, 2, v4
	v_lshl_add_u64 v[4:5], s[16:17], 0, v[8:9]
	s_waitcnt lgkmcnt(0)
	v_max_f32_e32 v2, v21, v21
	v_max_f32_e32 v2, v20, v2
	ds_bpermute_b32 v3, v15, v2
	s_waitcnt lgkmcnt(0)
	v_max_f32_e32 v3, v3, v3
	v_max_f32_e32 v2, v2, v3
	ds_bpermute_b32 v3, v17, v2
	s_waitcnt lgkmcnt(0)
	v_max_f32_e32 v3, v3, v3
	v_max_f32_e32 v20, v2, v3
	v_lshl_add_u64 v[2:3], s[16:17], 0, v[6:7]
	global_load_dword v6, v[2:3], off
	global_load_dword v7, v[4:5], off
	ds_bpermute_b32 v21, v18, v20
	v_xor_b32_e32 v4, 1, v10
	v_cmp_lt_i32_e64 s[10:11], v4, v11
	s_mov_b32 s16, 0xc2ce8ed0
	s_mov_b32 s17, 0x42b17218
	s_waitcnt lgkmcnt(0)
	v_max_f32_e32 v2, v21, v21
	v_max_f32_e32 v2, v20, v2
	ds_bpermute_b32 v3, v19, v2
	v_cndmask_b32_e64 v4, v10, v4, s[10:11]
	v_lshlrev_b32_e32 v4, 2, v4
	v_mov_b32_e32 v5, 0x7f800000
	s_waitcnt lgkmcnt(0)
	v_max_f32_e32 v3, v3, v3
	v_max_f32_e32 v2, v2, v3
	ds_bpermute_b32 v3, v4, v2
	s_waitcnt lgkmcnt(0)
	v_max_f32_e32 v3, v3, v3
	v_max_f32_e32 v2, v2, v3
	v_sub_f32_e32 v1, v1, v2
	v_sub_f32_e32 v3, v16, v2
	v_mul_f32_e32 v9, 0x3fb8aa3b, v1
	v_sub_f32_e32 v8, v12, v2
	v_mul_f32_e32 v10, 0x3fb8aa3b, v3
	v_fma_f32 v12, v1, s15, -v9
	v_rndne_f32_e32 v16, v9
	v_mul_f32_e32 v11, 0x3fb8aa3b, v8
	v_fma_f32 v20, v3, s15, -v10
	v_rndne_f32_e32 v21, v10
	v_fmac_f32_e32 v12, 0x32a5705f, v1
	v_sub_f32_e32 v9, v9, v16
	v_fma_f32 v24, v8, s15, -v11
	v_rndne_f32_e32 v25, v11
	v_fmac_f32_e32 v20, 0x32a5705f, v3
	v_sub_f32_e32 v10, v10, v21
	v_add_f32_e32 v9, v9, v12
	v_cvt_i32_f32_e32 v16, v16
	v_fmac_f32_e32 v24, 0x32a5705f, v8
	v_sub_f32_e32 v11, v11, v25
	v_add_f32_e32 v10, v10, v20
	v_exp_f32_e32 v9, v9
	v_cvt_i32_f32_e32 v21, v21
	v_add_f32_e32 v11, v11, v24
	v_exp_f32_e32 v10, v10
	v_cvt_i32_f32_e32 v25, v25
	v_exp_f32_e32 v11, v11
	v_ldexp_f32 v9, v9, v16
	v_cmp_ngt_f32_e64 s[10:11], s16, v1
	v_ldexp_f32 v10, v10, v21
	v_ldexp_f32 v11, v11, v25
	v_cndmask_b32_e64 v9, 0, v9, s[10:11]
	v_cmp_ngt_f32_e64 s[10:11], s16, v3
	v_sub_f32_e32 v2, v13, v2
	s_nop 0
	v_cndmask_b32_e64 v10, 0, v10, s[10:11]
	v_cmp_ngt_f32_e64 s[10:11], s16, v8
	s_nop 1
	v_cndmask_b32_e64 v11, 0, v11, s[10:11]
	v_cmp_nlt_f32_e64 s[10:11], s17, v1
	s_nop 1
	v_cndmask_b32_e64 v1, v5, v9, s[10:11]
	v_cmp_nlt_f32_e64 s[10:11], s17, v3
	v_cndmask_b32_e64 v1, 0, v1, s[6:7]
	v_cmp_nlt_f32_e64 s[6:7], s17, v8
	v_cndmask_b32_e64 v3, v5, v10, s[10:11]
	v_mul_f32_e32 v10, 0x3fb8aa3b, v2
	v_fma_f32 v12, v2, s15, -v10
	v_rndne_f32_e32 v13, v10
	v_fmac_f32_e32 v12, 0x32a5705f, v2
	v_sub_f32_e32 v10, v10, v13
	v_add_f32_e32 v10, v10, v12
	v_exp_f32_e32 v10, v10
	v_cvt_i32_f32_e32 v12, v13
	v_cndmask_b32_e64 v8, v5, v11, s[6:7]
	v_cndmask_b32_e64 v8, 0, v8, s[4:5]
	v_cmp_ngt_f32_e64 s[4:5], s16, v2
	v_ldexp_f32 v10, v10, v12
	v_cndmask_b32_e64 v3, 0, v3, s[8:9]
	v_cndmask_b32_e64 v10, 0, v10, s[4:5]
	v_cmp_nlt_f32_e64 s[4:5], s17, v2
	s_waitcnt vmcnt(3)
	v_mul_f32_e32 v1, v22, v1
	s_waitcnt vmcnt(2)
	v_mul_f32_e32 v9, v23, v3
	v_cndmask_b32_e64 v2, v5, v10, s[4:5]
	v_lshlrev_b32_e32 v10, 2, v0
	ds_write2st64_b32 v10, v1, v9 offset1:1
	v_fmac_f32_e32 v1, v23, v3
	v_cndmask_b32_e32 v5, 0, v2, vcc
	s_waitcnt vmcnt(1)
	v_fmac_f32_e32 v1, v6, v8
	s_waitcnt vmcnt(0)
	v_fmac_f32_e32 v1, v7, v5
	ds_bpermute_b32 v2, v14, v1
	v_mul_f32_e32 v3, v6, v8
	v_cmp_eq_u32_e32 vcc, 0, v0
	s_waitcnt lgkmcnt(0)
	v_add_f32_e32 v1, v1, v2
	ds_bpermute_b32 v2, v15, v1
	s_waitcnt lgkmcnt(0)
	v_add_f32_e32 v1, v1, v2
	ds_bpermute_b32 v2, v17, v1
	;; [unrolled: 3-line block ×5, first 2 shown]
	v_mul_f32_e32 v4, v7, v5
	ds_write2st64_b32 v10, v3, v4 offset0:2 offset1:3
	s_and_saveexec_b64 s[4:5], vcc
	s_cbranch_execz .LBB211_8
; %bb.7:
	s_waitcnt lgkmcnt(1)
	v_add_f32_e32 v1, v1, v2
	v_mov_b32_e32 v2, 0
	ds_write_b32 v2, v1 offset:1024
.LBB211_8:
	s_or_b64 exec, exec, s[4:5]
	v_mov_b32_e32 v1, s14
.LBB211_9:
	s_or_b64 exec, exec, s[28:29]
	s_lshl_b32 s4, s30, 7
	s_mov_b32 s5, 0
	s_lshl_b64 s[4:5], s[4:5], 1
	s_add_u32 s4, s12, s4
	s_addc_u32 s5, s13, s5
	s_lshl_b32 s10, s33, 7
	s_waitcnt lgkmcnt(1)
	v_lshlrev_b32_e32 v2, 7, v1
	v_mov_b32_e32 v1, 0
	s_add_i32 s11, s10, 0xffffff80
	v_mov_b32_e32 v3, v1
	s_cmp_lt_i32 s34, 1
	v_lshl_add_u64 v[2:3], v[2:3], 1, s[4:5]
	s_cselect_b32 s4, s11, 0
	v_lshlrev_b32_e32 v4, 1, v0
	v_mov_b32_e32 v5, v1
	s_ashr_i32 s5, s4, 31
	v_lshl_add_u64 v[2:3], v[2:3], 0, v[4:5]
	s_cmpk_lt_i32 s34, 0x101
	v_lshl_add_u64 v[12:13], s[4:5], 1, v[2:3]
	s_cselect_b32 s4, s11, 0x80
	s_ashr_i32 s5, s4, 31
	s_cmpk_lt_i32 s34, 0x201
	v_lshl_add_u64 v[14:15], s[4:5], 1, v[2:3]
	s_cselect_b32 s4, s11, 0x100
	s_ashr_i32 s5, s4, 31
	;; [unrolled: 4-line block ×8, first 2 shown]
	s_cmpk_lt_i32 s34, 0x901
	global_load_ushort v4, v[12:13], off
	global_load_ushort v5, v[14:15], off
	;; [unrolled: 1-line block ×8, first 2 shown]
	v_lshl_add_u64 v[20:21], s[4:5], 1, v[2:3]
	s_cselect_b32 s4, s11, 0x480
	s_ashr_i32 s5, s4, 31
	s_cmpk_lt_i32 s34, 0xa01
	v_lshl_add_u64 v[22:23], s[4:5], 1, v[2:3]
	s_cselect_b32 s4, s11, 0x500
	s_ashr_i32 s5, s4, 31
	s_cmpk_lt_i32 s34, 0xb01
	;; [unrolled: 4-line block ×6, first 2 shown]
	v_lshl_add_u64 v[32:33], s[4:5], 1, v[2:3]
	s_cselect_b32 s4, s11, 0x780
	s_ashr_i32 s5, s4, 31
	v_lshl_add_u64 v[34:35], s[4:5], 1, v[2:3]
	global_load_ushort v12, v[20:21], off
	global_load_ushort v13, v[22:23], off
	;; [unrolled: 1-line block ×8, first 2 shown]
	s_cmpk_gt_i32 s34, 0x1000
	s_cselect_b64 s[8:9], -1, 0
	s_cmpk_lt_i32 s34, 0x1001
	v_mov_b32_e32 v36, 0
	v_mov_b32_e32 v37, 0
	;; [unrolled: 1-line block ×48, first 2 shown]
	s_waitcnt lgkmcnt(0)
	s_barrier
	s_cbranch_scc1 .LBB211_12
; %bb.10:
	s_cmpk_lt_u32 s34, 0x1101
	s_cselect_b32 s4, s11, 0x880
	s_ashr_i32 s5, s4, 31
	s_cmpk_lt_u32 s34, 0x1201
	v_lshl_add_u64 v[30:31], s[4:5], 1, v[2:3]
	s_cselect_b32 s4, s11, 0x900
	s_ashr_i32 s5, s4, 31
	s_cmpk_lt_u32 s34, 0x1301
	v_lshl_add_u64 v[32:33], s[4:5], 1, v[2:3]
	;; [unrolled: 4-line block ×7, first 2 shown]
	s_cselect_b32 s4, s11, 0xc00
	v_add_co_u32_e32 v28, vcc, 0x1000, v2
	s_ashr_i32 s5, s4, 31
	s_nop 0
	v_addc_co_u32_e32 v29, vcc, 0, v3, vcc
	s_cmpk_lt_u32 s34, 0x1901
	global_load_ushort v27, v[28:29], off
	global_load_ushort v26, v[30:31], off
	;; [unrolled: 1-line block ×8, first 2 shown]
	v_lshl_add_u64 v[36:37], s[4:5], 1, v[2:3]
	s_cselect_b32 s4, s11, 0xc80
	s_ashr_i32 s5, s4, 31
	s_cmpk_lt_u32 s34, 0x1a01
	v_lshl_add_u64 v[38:39], s[4:5], 1, v[2:3]
	s_cselect_b32 s4, s11, 0xd00
	s_ashr_i32 s5, s4, 31
	s_cmpk_lt_u32 s34, 0x1b01
	;; [unrolled: 4-line block ×6, first 2 shown]
	v_lshl_add_u64 v[48:49], s[4:5], 1, v[2:3]
	s_cselect_b32 s4, s11, 0xf80
	s_ashr_i32 s5, s4, 31
	v_lshl_add_u64 v[50:51], s[4:5], 1, v[2:3]
	global_load_ushort v35, v[36:37], off
	global_load_ushort v34, v[38:39], off
	;; [unrolled: 1-line block ×8, first 2 shown]
	s_cmpk_lt_u32 s34, 0x2001
	v_mov_b32_e32 v67, 0
	v_mov_b32_e32 v66, 0
	;; [unrolled: 1-line block ×32, first 2 shown]
	s_cbranch_scc1 .LBB211_12
; %bb.11:
	s_cmpk_lt_u32 s34, 0x2101
	s_cselect_b32 s4, s11, 0x1080
	s_ashr_i32 s5, s4, 31
	s_cmpk_lt_u32 s34, 0x2201
	v_lshl_add_u64 v[38:39], s[4:5], 1, v[2:3]
	s_cselect_b32 s4, s11, 0x1100
	s_ashr_i32 s5, s4, 31
	s_cmpk_lt_u32 s34, 0x2301
	v_lshl_add_u64 v[40:41], s[4:5], 1, v[2:3]
	;; [unrolled: 4-line block ×7, first 2 shown]
	s_cselect_b32 s4, s11, 0x1400
	v_add_co_u32_e32 v36, vcc, 0x2000, v2
	s_ashr_i32 s5, s4, 31
	s_nop 0
	v_addc_co_u32_e32 v37, vcc, 0, v3, vcc
	s_cmpk_lt_u32 s34, 0x2901
	global_load_ushort v52, v[36:37], off
	global_load_ushort v53, v[38:39], off
	;; [unrolled: 1-line block ×8, first 2 shown]
	v_lshl_add_u64 v[36:37], s[4:5], 1, v[2:3]
	s_cselect_b32 s4, s11, 0x1480
	s_ashr_i32 s5, s4, 31
	s_cmpk_lt_u32 s34, 0x2a01
	v_lshl_add_u64 v[38:39], s[4:5], 1, v[2:3]
	s_cselect_b32 s4, s11, 0x1500
	s_ashr_i32 s5, s4, 31
	s_cmpk_lt_u32 s34, 0x2b01
	;; [unrolled: 4-line block ×8, first 2 shown]
	global_load_ushort v68, v[36:37], off
	global_load_ushort v69, v[38:39], off
	;; [unrolled: 1-line block ×8, first 2 shown]
	v_lshl_add_u64 v[36:37], s[4:5], 1, v[2:3]
	s_cselect_b32 s4, s11, 0x1880
	s_ashr_i32 s5, s4, 31
	s_cmpk_lt_u32 s34, 0x3201
	v_lshl_add_u64 v[38:39], s[4:5], 1, v[2:3]
	s_cselect_b32 s4, s11, 0x1900
	s_ashr_i32 s5, s4, 31
	s_cmpk_lt_u32 s34, 0x3301
	v_lshl_add_u64 v[40:41], s[4:5], 1, v[2:3]
	s_cselect_b32 s4, s11, 0x1980
	s_ashr_i32 s5, s4, 31
	s_cmpk_lt_u32 s34, 0x3401
	v_lshl_add_u64 v[42:43], s[4:5], 1, v[2:3]
	s_cselect_b32 s4, s11, 0x1a00
	s_ashr_i32 s5, s4, 31
	s_cmpk_lt_u32 s34, 0x3501
	v_lshl_add_u64 v[44:45], s[4:5], 1, v[2:3]
	s_cselect_b32 s4, s11, 0x1a80
	s_ashr_i32 s5, s4, 31
	s_cmpk_lt_u32 s34, 0x3601
	v_lshl_add_u64 v[46:47], s[4:5], 1, v[2:3]
	s_cselect_b32 s4, s11, 0x1b00
	s_ashr_i32 s5, s4, 31
	s_cmpk_lt_u32 s34, 0x3701
	v_lshl_add_u64 v[48:49], s[4:5], 1, v[2:3]
	s_cselect_b32 s4, s11, 0x1b80
	s_ashr_i32 s5, s4, 31
	s_cmpk_lt_u32 s34, 0x3801
	v_lshl_add_u64 v[50:51], s[4:5], 1, v[2:3]
	s_cselect_b32 s4, s11, 0x1c00
	s_ashr_i32 s5, s4, 31
	s_cmpk_lt_u32 s34, 0x3901
	global_load_ushort v76, v[36:37], off
	global_load_ushort v77, v[38:39], off
	;; [unrolled: 1-line block ×8, first 2 shown]
	v_lshl_add_u64 v[36:37], s[4:5], 1, v[2:3]
	s_cselect_b32 s4, s11, 0x1c80
	s_ashr_i32 s5, s4, 31
	s_cmpk_lt_u32 s34, 0x3a01
	v_lshl_add_u64 v[38:39], s[4:5], 1, v[2:3]
	s_cselect_b32 s4, s11, 0x1d00
	s_ashr_i32 s5, s4, 31
	s_cmpk_lt_u32 s34, 0x3b01
	;; [unrolled: 4-line block ×6, first 2 shown]
	v_lshl_add_u64 v[48:49], s[4:5], 1, v[2:3]
	s_cselect_b32 s4, s11, 0x1f80
	s_ashr_i32 s5, s4, 31
	v_lshl_add_u64 v[50:51], s[4:5], 1, v[2:3]
	global_load_ushort v84, v[36:37], off
	global_load_ushort v85, v[38:39], off
	;; [unrolled: 1-line block ×8, first 2 shown]
	s_waitcnt vmcnt(31)
	v_cvt_f32_f16_e32 v67, v52
	s_waitcnt vmcnt(30)
	v_cvt_f32_f16_e32 v66, v53
	;; [unrolled: 2-line block ×32, first 2 shown]
.LBB211_12:
	ds_read_b128 v[68:71], v1
	s_load_dwordx2 s[4:5], s[0:1], 0x0
	s_load_dwordx2 s[6:7], s[0:1], 0x38
	ds_read_b128 v[72:75], v1 offset:16
	ds_read_b128 v[76:79], v1 offset:32
	ds_read_b128 v[80:83], v1 offset:48
	s_and_b64 vcc, exec, s[8:9]
	s_waitcnt vmcnt(15) lgkmcnt(0)
	v_fma_mix_f32 v4, v68, v4, 0 op_sel_hi:[0,1,0]
	s_waitcnt vmcnt(14)
	v_fma_mix_f32 v4, v69, v5, v4 op_sel_hi:[0,1,0]
	s_waitcnt vmcnt(13)
	;; [unrolled: 2-line block ×15, first 2 shown]
	v_fma_mix_f32 v4, v83, v19, v4 op_sel_hi:[0,1,0]
	s_cbranch_vccz .LBB211_15
; %bb.13:
	ds_read_b128 v[6:9], v1 offset:64
	ds_read_b128 v[10:13], v1 offset:80
	;; [unrolled: 1-line block ×4, first 2 shown]
	s_cmpk_lt_u32 s34, 0x2001
	s_waitcnt lgkmcnt(3)
	v_fma_mix_f32 v4, v6, v27, v4 op_sel_hi:[0,1,0]
	v_fma_mix_f32 v4, v7, v26, v4 op_sel_hi:[0,1,0]
	v_fma_mix_f32 v4, v8, v25, v4 op_sel_hi:[0,1,0]
	v_fma_mix_f32 v4, v9, v24, v4 op_sel_hi:[0,1,0]
	s_waitcnt lgkmcnt(2)
	v_fma_mix_f32 v4, v10, v23, v4 op_sel_hi:[0,1,0]
	v_fma_mix_f32 v4, v11, v22, v4 op_sel_hi:[0,1,0]
	v_fma_mix_f32 v4, v12, v21, v4 op_sel_hi:[0,1,0]
	v_fma_mix_f32 v4, v13, v20, v4 op_sel_hi:[0,1,0]
	;; [unrolled: 5-line block ×4, first 2 shown]
	s_cbranch_scc1 .LBB211_15
; %bb.14:
	v_mov_b32_e32 v5, 0
	ds_read_b128 v[6:9], v5 offset:128
	ds_read_b128 v[10:13], v5 offset:144
	;; [unrolled: 1-line block ×4, first 2 shown]
	s_waitcnt lgkmcnt(3)
	v_fmac_f32_e32 v4, v6, v67
	v_fmac_f32_e32 v4, v7, v66
	v_fmac_f32_e32 v4, v8, v65
	v_fmac_f32_e32 v4, v9, v64
	s_waitcnt lgkmcnt(2)
	v_fmac_f32_e32 v4, v10, v63
	v_fmac_f32_e32 v4, v11, v62
	v_fmac_f32_e32 v4, v12, v61
	v_fmac_f32_e32 v4, v13, v60
	;; [unrolled: 5-line block ×3, first 2 shown]
	ds_read_b128 v[6:9], v5 offset:192
	ds_read_b128 v[10:13], v5 offset:208
	s_waitcnt lgkmcnt(2)
	v_fmac_f32_e32 v4, v18, v55
	v_fmac_f32_e32 v4, v19, v54
	;; [unrolled: 1-line block ×4, first 2 shown]
	s_waitcnt lgkmcnt(1)
	v_fmac_f32_e32 v4, v6, v51
	v_fmac_f32_e32 v4, v7, v50
	;; [unrolled: 1-line block ×4, first 2 shown]
	ds_read_b128 v[6:9], v5 offset:224
	s_waitcnt lgkmcnt(1)
	v_fmac_f32_e32 v4, v10, v47
	v_fmac_f32_e32 v4, v11, v46
	;; [unrolled: 1-line block ×4, first 2 shown]
	ds_read_b128 v[10:13], v5 offset:240
	s_waitcnt lgkmcnt(1)
	v_fmac_f32_e32 v4, v6, v43
	v_fmac_f32_e32 v4, v7, v42
	v_fmac_f32_e32 v4, v8, v41
	v_fmac_f32_e32 v4, v9, v40
	s_waitcnt lgkmcnt(0)
	v_fmac_f32_e32 v4, v10, v39
	v_fmac_f32_e32 v4, v11, v38
	;; [unrolled: 1-line block ×4, first 2 shown]
.LBB211_15:
	s_movk_i32 s0, 0x3f80
	s_movk_i32 s1, 0x100
	s_mov_b32 s8, 64
	s_branch .LBB211_17
.LBB211_16:                             ;   in Loop: Header=BB211_17 Depth=1
	s_addk_i32 s0, 0x2000
	s_addk_i32 s1, 0x100
	s_add_i32 s8, s8, 64
	s_cmpk_eq_u32 s0, 0x9f80
	s_cbranch_scc1 .LBB211_19
.LBB211_17:                             ; =>This Inner Loop Header: Depth=1
	s_cmp_le_i32 s33, s8
	s_cbranch_scc1 .LBB211_16
; %bb.18:                               ;   in Loop: Header=BB211_17 Depth=1
	s_add_i32 s9, s0, 0xffffe080
	s_cmp_lt_i32 s9, s10
	s_cselect_b32 s12, s9, s11
	s_ashr_i32 s13, s12, 31
	s_add_i32 s9, s0, 0xffffe100
	s_cmp_lt_i32 s9, s10
	v_lshl_add_u64 v[14:15], s[12:13], 1, v[2:3]
	s_cselect_b32 s12, s9, s11
	s_ashr_i32 s13, s12, 31
	s_add_i32 s9, s0, 0xffffe180
	s_cmp_lt_i32 s9, s10
	v_lshl_add_u64 v[16:17], s[12:13], 1, v[2:3]
	;; [unrolled: 5-line block ×8, first 2 shown]
	s_cselect_b32 s12, s9, s11
	s_ashr_i32 s13, s12, 31
	s_add_i32 s9, s0, 0xffffe500
	s_cmp_lt_i32 s9, s10
	global_load_ushort v5, v[14:15], off
	global_load_ushort v6, v[16:17], off
	global_load_ushort v7, v[18:19], off
	global_load_ushort v8, v[20:21], off
	global_load_ushort v9, v[22:23], off
	global_load_ushort v10, v[24:25], off
	global_load_ushort v11, v[26:27], off
	global_load_ushort v12, v[28:29], off
	v_lshl_add_u64 v[14:15], s[12:13], 1, v[2:3]
	s_cselect_b32 s12, s9, s11
	s_ashr_i32 s13, s12, 31
	s_add_i32 s9, s0, 0xffffe580
	s_cmp_lt_i32 s9, s10
	v_lshl_add_u64 v[16:17], s[12:13], 1, v[2:3]
	s_cselect_b32 s12, s9, s11
	s_ashr_i32 s13, s12, 31
	s_add_i32 s9, s0, 0xffffe600
	s_cmp_lt_i32 s9, s10
	v_lshl_add_u64 v[18:19], s[12:13], 1, v[2:3]
	s_cselect_b32 s12, s9, s11
	s_ashr_i32 s13, s12, 31
	s_add_i32 s9, s0, 0xffffe680
	s_cmp_lt_i32 s9, s10
	v_lshl_add_u64 v[20:21], s[12:13], 1, v[2:3]
	s_cselect_b32 s12, s9, s11
	s_ashr_i32 s13, s12, 31
	s_add_i32 s9, s0, 0xffffe700
	s_cmp_lt_i32 s9, s10
	v_lshl_add_u64 v[22:23], s[12:13], 1, v[2:3]
	s_cselect_b32 s12, s9, s11
	s_ashr_i32 s13, s12, 31
	s_add_i32 s9, s0, 0xffffe780
	s_cmp_lt_i32 s9, s10
	v_lshl_add_u64 v[24:25], s[12:13], 1, v[2:3]
	s_cselect_b32 s12, s9, s11
	s_ashr_i32 s13, s12, 31
	s_add_i32 s9, s0, 0xffffe800
	s_cmp_lt_i32 s9, s10
	v_lshl_add_u64 v[26:27], s[12:13], 1, v[2:3]
	s_cselect_b32 s12, s9, s11
	s_ashr_i32 s13, s12, 31
	s_add_i32 s9, s0, 0xffffe880
	s_cmp_lt_i32 s9, s10
	v_lshl_add_u64 v[28:29], s[12:13], 1, v[2:3]
	s_cselect_b32 s12, s9, s11
	s_ashr_i32 s13, s12, 31
	s_add_i32 s9, s0, 0xffffe900
	s_cmp_lt_i32 s9, s10
	global_load_ushort v13, v[14:15], off
	global_load_ushort v30, v[16:17], off
	global_load_ushort v31, v[18:19], off
	global_load_ushort v32, v[20:21], off
	global_load_ushort v33, v[22:23], off
	global_load_ushort v34, v[24:25], off
	global_load_ushort v35, v[26:27], off
	global_load_ushort v36, v[28:29], off
	v_lshl_add_u64 v[14:15], s[12:13], 1, v[2:3]
	s_cselect_b32 s12, s9, s11
	s_ashr_i32 s13, s12, 31
	s_add_i32 s9, s0, 0xffffe980
	s_cmp_lt_i32 s9, s10
	v_lshl_add_u64 v[16:17], s[12:13], 1, v[2:3]
	s_cselect_b32 s12, s9, s11
	s_ashr_i32 s13, s12, 31
	s_add_i32 s9, s0, 0xffffea00
	s_cmp_lt_i32 s9, s10
	v_lshl_add_u64 v[18:19], s[12:13], 1, v[2:3]
	s_cselect_b32 s12, s9, s11
	s_ashr_i32 s13, s12, 31
	s_add_i32 s9, s0, 0xffffea80
	s_cmp_lt_i32 s9, s10
	v_lshl_add_u64 v[20:21], s[12:13], 1, v[2:3]
	s_cselect_b32 s12, s9, s11
	s_ashr_i32 s13, s12, 31
	s_add_i32 s9, s0, 0xffffeb00
	s_cmp_lt_i32 s9, s10
	v_lshl_add_u64 v[22:23], s[12:13], 1, v[2:3]
	s_cselect_b32 s12, s9, s11
	s_ashr_i32 s13, s12, 31
	s_add_i32 s9, s0, 0xffffeb80
	s_cmp_lt_i32 s9, s10
	v_lshl_add_u64 v[24:25], s[12:13], 1, v[2:3]
	s_cselect_b32 s12, s9, s11
	s_ashr_i32 s13, s12, 31
	s_add_i32 s9, s0, 0xffffec00
	s_cmp_lt_i32 s9, s10
	v_lshl_add_u64 v[26:27], s[12:13], 1, v[2:3]
	s_cselect_b32 s12, s9, s11
	s_ashr_i32 s13, s12, 31
	s_add_i32 s9, s0, 0xffffec80
	s_cmp_lt_i32 s9, s10
	v_lshl_add_u64 v[28:29], s[12:13], 1, v[2:3]
	;; [unrolled: 48-line block ×6, first 2 shown]
	s_cselect_b32 s12, s9, s11
	s_ashr_i32 s13, s12, 31
	s_add_i32 s9, s0, 0xfffffd00
	s_cmp_lt_i32 s9, s10
	global_load_ushort v69, v[14:15], off
	global_load_ushort v70, v[16:17], off
	;; [unrolled: 1-line block ×8, first 2 shown]
	v_lshl_add_u64 v[14:15], s[12:13], 1, v[2:3]
	s_cselect_b32 s12, s9, s11
	s_ashr_i32 s13, s12, 31
	s_add_i32 s9, s0, 0xfffffd80
	s_cmp_lt_i32 s9, s10
	v_lshl_add_u64 v[16:17], s[12:13], 1, v[2:3]
	s_cselect_b32 s12, s9, s11
	s_ashr_i32 s13, s12, 31
	s_add_i32 s9, s0, 0xfffffe00
	s_cmp_lt_i32 s9, s10
	;; [unrolled: 5-line block ×5, first 2 shown]
	v_lshl_add_u64 v[24:25], s[12:13], 1, v[2:3]
	s_cselect_b32 s12, s9, s11
	s_ashr_i32 s13, s12, 31
	s_cmp_lt_i32 s0, s10
	v_lshl_add_u64 v[26:27], s[12:13], 1, v[2:3]
	s_cselect_b32 s12, s0, s11
	s_ashr_i32 s13, s12, 31
	v_lshl_add_u64 v[28:29], s[12:13], 1, v[2:3]
	global_load_ushort v77, v[14:15], off
	global_load_ushort v78, v[16:17], off
	;; [unrolled: 1-line block ×8, first 2 shown]
	v_mov_b32_e32 v85, s1
	ds_read_b128 v[14:17], v85
	ds_read_b128 v[18:21], v85 offset:16
	ds_read_b128 v[22:25], v85 offset:32
	;; [unrolled: 1-line block ×3, first 2 shown]
	s_waitcnt vmcnt(62) lgkmcnt(3)
	v_fma_mix_f32 v4, v14, v5, v4 op_sel_hi:[0,1,0]
	v_fma_mix_f32 v4, v15, v6, v4 op_sel_hi:[0,1,0]
	s_waitcnt vmcnt(61)
	v_fma_mix_f32 v4, v16, v7, v4 op_sel_hi:[0,1,0]
	s_waitcnt vmcnt(60)
	v_fma_mix_f32 v4, v17, v8, v4 op_sel_hi:[0,1,0]
	s_waitcnt vmcnt(59) lgkmcnt(2)
	v_fma_mix_f32 v4, v18, v9, v4 op_sel_hi:[0,1,0]
	s_waitcnt vmcnt(58)
	v_fma_mix_f32 v4, v19, v10, v4 op_sel_hi:[0,1,0]
	s_waitcnt vmcnt(57)
	;; [unrolled: 2-line block ×3, first 2 shown]
	v_fma_mix_f32 v4, v21, v12, v4 op_sel_hi:[0,1,0]
	s_waitcnt vmcnt(55) lgkmcnt(1)
	v_fma_mix_f32 v4, v22, v13, v4 op_sel_hi:[0,1,0]
	s_waitcnt vmcnt(54)
	v_fma_mix_f32 v4, v23, v30, v4 op_sel_hi:[0,1,0]
	s_waitcnt vmcnt(53)
	v_fma_mix_f32 v4, v24, v31, v4 op_sel_hi:[0,1,0]
	s_waitcnt vmcnt(52)
	v_fma_mix_f32 v4, v25, v32, v4 op_sel_hi:[0,1,0]
	s_waitcnt vmcnt(51) lgkmcnt(0)
	v_fma_mix_f32 v8, v26, v33, v4 op_sel_hi:[0,1,0]
	ds_read_b128 v[4:7], v85 offset:64
	s_waitcnt vmcnt(50)
	v_fma_mix_f32 v8, v27, v34, v8 op_sel_hi:[0,1,0]
	s_waitcnt vmcnt(49)
	v_fma_mix_f32 v8, v28, v35, v8 op_sel_hi:[0,1,0]
	s_waitcnt vmcnt(48)
	v_fma_mix_f32 v12, v29, v36, v8 op_sel_hi:[0,1,0]
	ds_read_b128 v[8:11], v85 offset:80
	s_waitcnt vmcnt(47) lgkmcnt(1)
	v_fma_mix_f32 v4, v4, v37, v12 op_sel_hi:[0,1,0]
	s_waitcnt vmcnt(46)
	v_fma_mix_f32 v4, v5, v38, v4 op_sel_hi:[0,1,0]
	s_waitcnt vmcnt(45)
	v_fma_mix_f32 v4, v6, v39, v4 op_sel_hi:[0,1,0]
	s_waitcnt vmcnt(44)
	v_fma_mix_f32 v4, v7, v40, v4 op_sel_hi:[0,1,0]
	s_waitcnt vmcnt(43) lgkmcnt(0)
	v_fma_mix_f32 v8, v8, v41, v4 op_sel_hi:[0,1,0]
	ds_read_b128 v[4:7], v85 offset:96
	s_waitcnt vmcnt(42)
	v_fma_mix_f32 v8, v9, v42, v8 op_sel_hi:[0,1,0]
	s_waitcnt vmcnt(41)
	v_fma_mix_f32 v8, v10, v43, v8 op_sel_hi:[0,1,0]
	s_waitcnt vmcnt(40)
	v_fma_mix_f32 v12, v11, v44, v8 op_sel_hi:[0,1,0]
	ds_read_b128 v[8:11], v85 offset:112
	;; [unrolled: 18-line block ×6, first 2 shown]
	s_waitcnt vmcnt(7) lgkmcnt(1)
	v_fma_mix_f32 v4, v4, v77, v12 op_sel_hi:[0,1,0]
	s_waitcnt vmcnt(6)
	v_fma_mix_f32 v4, v5, v78, v4 op_sel_hi:[0,1,0]
	s_waitcnt vmcnt(5)
	;; [unrolled: 2-line block ×3, first 2 shown]
	v_fma_mix_f32 v4, v7, v80, v4 op_sel_hi:[0,1,0]
	s_waitcnt vmcnt(3) lgkmcnt(0)
	v_fma_mix_f32 v4, v8, v81, v4 op_sel_hi:[0,1,0]
	s_waitcnt vmcnt(2)
	v_fma_mix_f32 v4, v9, v82, v4 op_sel_hi:[0,1,0]
	s_waitcnt vmcnt(1)
	;; [unrolled: 2-line block ×3, first 2 shown]
	v_fma_mix_f32 v4, v11, v84, v4 op_sel_hi:[0,1,0]
	s_branch .LBB211_16
.LBB211_19:
	v_mov_b32_e32 v2, 0
	ds_read_b32 v2, v2 offset:1024
	s_cmp_lg_u64 s[6:7], 0
	s_cbranch_scc0 .LBB211_24
; %bb.20:
	s_load_dword s6, s[6:7], 0x0
	s_waitcnt lgkmcnt(0)
	v_div_scale_f32 v3, s[0:1], s6, s6, 1.0
	v_rcp_f32_e32 v5, v3
	v_div_scale_f32 v6, vcc, 1.0, s6, 1.0
	v_fma_f32 v7, -v3, v5, 1.0
	v_fmac_f32_e32 v5, v7, v5
	v_mul_f32_e32 v7, v6, v5
	v_fma_f32 v8, -v3, v7, v6
	v_fmac_f32_e32 v7, v8, v5
	v_fma_f32 v3, -v3, v7, v6
	v_div_fmas_f32 v3, v3, v5, v7
	v_div_fixup_f32 v3, v3, s6, 1.0
	s_andn2_b64 vcc, exec, s[24:25]
	s_cbranch_vccnz .LBB211_22
.LBB211_21:
	s_add_u32 s0, s22, s26
	s_addc_u32 s1, s23, s27
	s_load_dword s20, s[0:1], 0x0
	s_mov_b32 s21, 0
.LBB211_22:
	s_waitcnt lgkmcnt(0)
	v_add_f32_e32 v2, 0x358637bd, v2
	v_div_scale_f32 v5, s[0:1], v2, v2, 1.0
	v_rcp_f32_e32 v6, v5
	v_div_scale_f32 v7, vcc, 1.0, v2, 1.0
	s_mul_i32 s0, s3, s21
	v_fma_f32 v8, -v5, v6, 1.0
	v_fmac_f32_e32 v6, v8, v6
	v_mul_f32_e32 v8, v7, v6
	v_fma_f32 v9, -v5, v8, v7
	v_fmac_f32_e32 v8, v9, v6
	v_fma_f32 v5, -v5, v8, v7
	s_mul_hi_u32 s1, s3, s20
	v_div_fmas_f32 v5, v5, v6, v8
	s_add_i32 s1, s1, s0
	s_mul_i32 s0, s3, s20
	v_div_fixup_f32 v2, v5, v2, 1.0
	s_lshl_b64 s[0:1], s[0:1], 7
	v_mul_f32_e32 v2, v4, v2
	s_add_u32 s4, s4, s0
	s_mov_b32 s3, 0
	v_mul_f32_e32 v2, v2, v3
	s_addc_u32 s5, s5, s1
	s_lshl_b64 s[0:1], s[2:3], 7
	s_mov_b32 s2, 0x7f800000
	s_mov_b32 s3, 0x43700000
	v_mov_b32_e32 v3, 0xc3700000
	v_med3_f32 v3, v2, s3, v3
	v_cmp_nlg_f32_e64 vcc, |v2|, s2
	s_add_u32 s0, s4, s0
	s_addc_u32 s1, s5, s1
	v_cndmask_b32_e32 v2, v3, v2, vcc
	v_mov_b32_e32 v3, 0
	v_cvt_pk_fp8_f32 v3, v2, v2
	v_lshl_add_u64 v[0:1], s[0:1], 0, v[0:1]
	global_store_byte v[0:1], v3, off
	s_endpgm
.LBB211_23:
	s_mov_b64 s[6:7], 0
	s_branch .LBB211_2
.LBB211_24:
	v_mov_b32_e32 v3, 1.0
	s_andn2_b64 vcc, exec, s[24:25]
	s_cbranch_vccz .LBB211_21
	s_branch .LBB211_22
	.section	.rodata,"a",@progbits
	.p2align	6, 0x0
	.amdhsa_kernel _Z35paged_attention_ll4mi_reduce_kernelIDF16_hLi128ELi128ELi256ELi4EEvPT0_PKfS3_PKT_PKiS8_iS3_
		.amdhsa_group_segment_fixed_size 1028
		.amdhsa_private_segment_fixed_size 0
		.amdhsa_kernarg_size 320
		.amdhsa_user_sgpr_count 2
		.amdhsa_user_sgpr_dispatch_ptr 0
		.amdhsa_user_sgpr_queue_ptr 0
		.amdhsa_user_sgpr_kernarg_segment_ptr 1
		.amdhsa_user_sgpr_dispatch_id 0
		.amdhsa_user_sgpr_kernarg_preload_length 0
		.amdhsa_user_sgpr_kernarg_preload_offset 0
		.amdhsa_user_sgpr_private_segment_size 0
		.amdhsa_uses_dynamic_stack 0
		.amdhsa_enable_private_segment 0
		.amdhsa_system_sgpr_workgroup_id_x 1
		.amdhsa_system_sgpr_workgroup_id_y 1
		.amdhsa_system_sgpr_workgroup_id_z 0
		.amdhsa_system_sgpr_workgroup_info 0
		.amdhsa_system_vgpr_workitem_id 0
		.amdhsa_next_free_vgpr 92
		.amdhsa_next_free_sgpr 38
		.amdhsa_accum_offset 92
		.amdhsa_reserve_vcc 1
		.amdhsa_float_round_mode_32 0
		.amdhsa_float_round_mode_16_64 0
		.amdhsa_float_denorm_mode_32 3
		.amdhsa_float_denorm_mode_16_64 3
		.amdhsa_dx10_clamp 1
		.amdhsa_ieee_mode 1
		.amdhsa_fp16_overflow 0
		.amdhsa_tg_split 0
		.amdhsa_exception_fp_ieee_invalid_op 0
		.amdhsa_exception_fp_denorm_src 0
		.amdhsa_exception_fp_ieee_div_zero 0
		.amdhsa_exception_fp_ieee_overflow 0
		.amdhsa_exception_fp_ieee_underflow 0
		.amdhsa_exception_fp_ieee_inexact 0
		.amdhsa_exception_int_div_zero 0
	.end_amdhsa_kernel
	.section	.text._Z35paged_attention_ll4mi_reduce_kernelIDF16_hLi128ELi128ELi256ELi4EEvPT0_PKfS3_PKT_PKiS8_iS3_,"axG",@progbits,_Z35paged_attention_ll4mi_reduce_kernelIDF16_hLi128ELi128ELi256ELi4EEvPT0_PKfS3_PKT_PKiS8_iS3_,comdat
.Lfunc_end211:
	.size	_Z35paged_attention_ll4mi_reduce_kernelIDF16_hLi128ELi128ELi256ELi4EEvPT0_PKfS3_PKT_PKiS8_iS3_, .Lfunc_end211-_Z35paged_attention_ll4mi_reduce_kernelIDF16_hLi128ELi128ELi256ELi4EEvPT0_PKfS3_PKT_PKiS8_iS3_
                                        ; -- End function
	.section	.AMDGPU.csdata,"",@progbits
; Kernel info:
; codeLenInByte = 8484
; NumSgprs: 44
; NumVgprs: 92
; NumAgprs: 0
; TotalNumVgprs: 92
; ScratchSize: 0
; MemoryBound: 0
; FloatMode: 240
; IeeeMode: 1
; LDSByteSize: 1028 bytes/workgroup (compile time only)
; SGPRBlocks: 5
; VGPRBlocks: 11
; NumSGPRsForWavesPerEU: 44
; NumVGPRsForWavesPerEU: 92
; AccumOffset: 92
; Occupancy: 5
; WaveLimiterHint : 1
; COMPUTE_PGM_RSRC2:SCRATCH_EN: 0
; COMPUTE_PGM_RSRC2:USER_SGPR: 2
; COMPUTE_PGM_RSRC2:TRAP_HANDLER: 0
; COMPUTE_PGM_RSRC2:TGID_X_EN: 1
; COMPUTE_PGM_RSRC2:TGID_Y_EN: 1
; COMPUTE_PGM_RSRC2:TGID_Z_EN: 0
; COMPUTE_PGM_RSRC2:TIDIG_COMP_CNT: 0
; COMPUTE_PGM_RSRC3_GFX90A:ACCUM_OFFSET: 22
; COMPUTE_PGM_RSRC3_GFX90A:TG_SPLIT: 0
	.section	.text._Z35paged_attention_ll4mi_reduce_kernelIDF16_hLi128ELi128ELi256ELi5EEvPT0_PKfS3_PKT_PKiS8_iS3_,"axG",@progbits,_Z35paged_attention_ll4mi_reduce_kernelIDF16_hLi128ELi128ELi256ELi5EEvPT0_PKfS3_PKT_PKiS8_iS3_,comdat
	.protected	_Z35paged_attention_ll4mi_reduce_kernelIDF16_hLi128ELi128ELi256ELi5EEvPT0_PKfS3_PKT_PKiS8_iS3_ ; -- Begin function _Z35paged_attention_ll4mi_reduce_kernelIDF16_hLi128ELi128ELi256ELi5EEvPT0_PKfS3_PKT_PKiS8_iS3_
	.globl	_Z35paged_attention_ll4mi_reduce_kernelIDF16_hLi128ELi128ELi256ELi5EEvPT0_PKfS3_PKT_PKiS8_iS3_
	.p2align	8
	.type	_Z35paged_attention_ll4mi_reduce_kernelIDF16_hLi128ELi128ELi256ELi5EEvPT0_PKfS3_PKT_PKiS8_iS3_,@function
_Z35paged_attention_ll4mi_reduce_kernelIDF16_hLi128ELi128ELi256ELi5EEvPT0_PKfS3_PKT_PKiS8_iS3_: ; @_Z35paged_attention_ll4mi_reduce_kernelIDF16_hLi128ELi128ELi256ELi5EEvPT0_PKfS3_PKT_PKiS8_iS3_
; %bb.0:
	s_load_dwordx2 s[24:25], s[0:1], 0x28
	s_mov_b32 s14, s3
	s_mov_b64 s[4:5], 0
	s_waitcnt lgkmcnt(0)
	s_cmp_lg_u64 s[24:25], 0
	s_cselect_b64 s[26:27], -1, 0
	s_and_b64 vcc, exec, s[26:27]
	s_cbranch_vccz .LBB212_23
; %bb.1:
	s_add_i32 s6, s14, 1
	s_mov_b32 s7, 0
	s_lshl_b64 s[8:9], s[6:7], 2
	s_add_u32 s8, s24, s8
	s_mov_b32 s15, s7
	s_addc_u32 s9, s25, s9
	s_lshl_b64 s[6:7], s[14:15], 2
	s_add_u32 s6, s24, s6
	s_addc_u32 s7, s25, s7
	s_load_dword s3, s[8:9], 0x0
	s_load_dword s10, s[6:7], 0x0
	s_waitcnt lgkmcnt(0)
	s_sub_i32 s3, s3, s10
	s_cmp_eq_u32 s3, 1
	s_cselect_b64 s[6:7], -1, 0
	s_andn2_b64 vcc, exec, s[4:5]
	s_cbranch_vccnz .LBB212_3
.LBB212_2:
	s_mov_b32 s15, 0
	s_mov_b64 s[6:7], -1
.LBB212_3:
	s_andn2_b64 vcc, exec, s[6:7]
	s_cbranch_vccz .LBB212_5
; %bb.4:
	s_endpgm
.LBB212_5:
	s_load_dwordx4 s[16:19], s[0:1], 0x18
	s_load_dword s8, s[0:1], 0x30
	s_lshl_b64 s[28:29], s[14:15], 2
	v_cmp_lt_u32_e32 vcc, 63, v0
	s_waitcnt lgkmcnt(0)
	s_add_u32 s4, s18, s28
	s_addc_u32 s5, s19, s29
	s_load_dword s38, s[4:5], 0x0
	s_load_dword s3, s[0:1], 0x40
	s_mul_i32 s18, s2, s8
	s_mul_i32 s6, s14, s8
	s_waitcnt lgkmcnt(0)
	s_add_i32 s7, s38, 0xff
	s_ashr_i32 s4, s7, 31
	s_lshr_b32 s4, s4, 24
	s_add_i32 s7, s7, s4
	s_and_saveexec_b64 s[4:5], vcc
	s_xor_b64 s[4:5], exec, s[4:5]
	s_or_saveexec_b64 s[30:31], s[4:5]
	s_ashr_i32 s33, s7, 8
	v_mov_b32_e32 v1, s18
	s_mul_i32 s34, s6, s3
	s_xor_b64 exec, exec, s[30:31]
	s_cbranch_execz .LBB212_9
; %bb.6:
	s_add_i32 s4, s33, -1
	v_or_b32_e32 v3, 64, v0
	s_load_dwordx4 s[20:23], s[0:1], 0x8
	v_mov_b32_e32 v1, s4
	v_cmp_gt_u32_e64 s[8:9], s33, v3
	s_mov_b32 s35, 0
	s_lshl_b64 s[36:37], s[34:35], 2
	v_cndmask_b32_e64 v4, v1, v3, s[8:9]
	v_or_b32_e32 v3, 0x80, v0
	v_cmp_gt_u32_e64 s[6:7], s33, v3
	s_mov_b32 s19, s35
	v_cmp_gt_u32_e64 s[10:11], s33, v0
	v_cndmask_b32_e64 v6, v1, v3, s[6:7]
	v_or_b32_e32 v3, 0xc0, v0
	v_cmp_gt_u32_e64 s[4:5], s33, v3
	s_waitcnt lgkmcnt(0)
	s_add_u32 s12, s22, s36
	v_cndmask_b32_e64 v2, v1, v0, s[10:11]
	v_cndmask_b32_e64 v8, v1, v3, s[4:5]
	v_or_b32_e32 v3, 0x100, v0
	v_cmp_gt_u32_e32 vcc, s33, v3
	s_addc_u32 s13, s23, s37
	s_lshl_b64 s[22:23], s[18:19], 2
	v_cndmask_b32_e32 v10, v1, v3, vcc
	s_add_u32 s12, s12, s22
	v_ashrrev_i32_e32 v3, 31, v2
	s_addc_u32 s13, s13, s23
	v_lshlrev_b64 v[2:3], 2, v[2:3]
	v_ashrrev_i32_e32 v5, 31, v4
	v_ashrrev_i32_e32 v7, 31, v6
	;; [unrolled: 1-line block ×4, first 2 shown]
	v_lshl_add_u64 v[12:13], s[12:13], 0, v[2:3]
	v_lshlrev_b64 v[4:5], 2, v[4:5]
	v_lshlrev_b64 v[6:7], 2, v[6:7]
	;; [unrolled: 1-line block ×4, first 2 shown]
	v_lshl_add_u64 v[14:15], s[12:13], 0, v[4:5]
	v_lshl_add_u64 v[16:17], s[12:13], 0, v[6:7]
	;; [unrolled: 1-line block ×4, first 2 shown]
	global_load_dword v1, v[12:13], off
	global_load_dword v22, v[14:15], off
	;; [unrolled: 1-line block ×5, first 2 shown]
	v_mbcnt_lo_u32_b32 v12, -1, 0
	v_mbcnt_hi_u32_b32 v12, -1, v12
	v_and_b32_e32 v14, 64, v12
	v_xor_b32_e32 v15, 32, v12
	v_add_u32_e32 v14, 64, v14
	v_cmp_lt_i32_e64 s[12:13], v15, v14
	v_xor_b32_e32 v16, 16, v12
	v_xor_b32_e32 v17, 8, v12
	v_cndmask_b32_e64 v15, v12, v15, s[12:13]
	s_add_u32 s12, s20, s36
	s_addc_u32 s13, s21, s37
	s_add_u32 s20, s12, s22
	s_addc_u32 s21, s13, s23
	v_lshl_add_u64 v[2:3], s[20:21], 0, v[2:3]
	global_load_dword v18, v[2:3], off
	v_lshlrev_b32_e32 v15, 2, v15
	v_cmp_lt_i32_e64 s[12:13], v16, v14
	s_mov_b32 s19, 0x3fb8aa3b
	s_mov_b32 s35, 0xc2ce8ed0
	v_cndmask_b32_e64 v16, v12, v16, s[12:13]
	v_lshlrev_b32_e32 v16, 2, v16
	v_cmp_lt_i32_e64 s[12:13], v17, v14
	s_mov_b32 s39, 0x42b17218
	v_mov_b32_e32 v13, 0x7f800000
	s_waitcnt vmcnt(3)
	v_max3_f32 v2, v1, v22, v23
	s_waitcnt vmcnt(1)
	v_max3_f32 v19, v2, v24, v25
	ds_bpermute_b32 v20, v15, v19
	v_lshl_add_u64 v[2:3], s[20:21], 0, v[4:5]
	global_load_dword v21, v[2:3], off
	v_cndmask_b32_e64 v5, v12, v17, s[12:13]
	v_lshlrev_b32_e32 v17, 2, v5
	s_waitcnt lgkmcnt(0)
	v_max_f32_e32 v2, v20, v20
	v_max_f32_e32 v2, v19, v2
	ds_bpermute_b32 v3, v16, v2
	v_xor_b32_e32 v4, 4, v12
	v_cmp_lt_i32_e64 s[12:13], v4, v14
	v_xor_b32_e32 v5, 2, v12
	s_waitcnt lgkmcnt(0)
	v_max_f32_e32 v3, v3, v3
	v_max_f32_e32 v2, v2, v3
	ds_bpermute_b32 v3, v17, v2
	v_cndmask_b32_e64 v4, v12, v4, s[12:13]
	v_lshlrev_b32_e32 v19, 2, v4
	v_cmp_lt_i32_e64 s[12:13], v5, v14
	v_xor_b32_e32 v4, 1, v12
	s_waitcnt lgkmcnt(0)
	v_max_f32_e32 v3, v3, v3
	v_max_f32_e32 v2, v2, v3
	ds_bpermute_b32 v3, v19, v2
	v_cndmask_b32_e64 v5, v12, v5, s[12:13]
	v_lshlrev_b32_e32 v20, 2, v5
	v_cmp_lt_i32_e64 s[12:13], v4, v14
	s_waitcnt lgkmcnt(0)
	v_max_f32_e32 v3, v3, v3
	v_max_f32_e32 v26, v2, v3
	ds_bpermute_b32 v27, v20, v26
	v_cndmask_b32_e64 v2, v12, v4, s[12:13]
	v_lshlrev_b32_e32 v12, 2, v2
	v_lshl_add_u64 v[2:3], s[20:21], 0, v[6:7]
	v_lshl_add_u64 v[4:5], s[20:21], 0, v[8:9]
	s_waitcnt lgkmcnt(0)
	v_max_f32_e32 v6, v27, v27
	v_max_f32_e32 v8, v26, v6
	v_lshl_add_u64 v[6:7], s[20:21], 0, v[10:11]
	global_load_dword v10, v[2:3], off
	global_load_dword v11, v[4:5], off
	;; [unrolled: 1-line block ×3, first 2 shown]
	ds_bpermute_b32 v9, v12, v8
	s_waitcnt lgkmcnt(0)
	v_max_f32_e32 v2, v9, v9
	v_max_f32_e32 v2, v8, v2
	v_sub_f32_e32 v1, v1, v2
	v_sub_f32_e32 v3, v22, v2
	v_mul_f32_e32 v5, 0x3fb8aa3b, v1
	v_mul_f32_e32 v6, 0x3fb8aa3b, v3
	v_fma_f32 v8, v1, s19, -v5
	v_rndne_f32_e32 v9, v5
	v_sub_f32_e32 v4, v23, v2
	v_fma_f32 v22, v3, s19, -v6
	v_rndne_f32_e32 v23, v6
	v_fmac_f32_e32 v8, 0x32a5705f, v1
	v_sub_f32_e32 v5, v5, v9
	v_fmac_f32_e32 v22, 0x32a5705f, v3
	v_sub_f32_e32 v6, v6, v23
	v_add_f32_e32 v5, v5, v8
	v_cvt_i32_f32_e32 v9, v9
	v_add_f32_e32 v6, v6, v22
	v_exp_f32_e32 v5, v5
	v_mul_f32_e32 v7, 0x3fb8aa3b, v4
	v_cvt_i32_f32_e32 v23, v23
	v_exp_f32_e32 v6, v6
	v_fma_f32 v26, v4, s19, -v7
	v_rndne_f32_e32 v27, v7
	v_fmac_f32_e32 v26, 0x32a5705f, v4
	v_sub_f32_e32 v7, v7, v27
	v_add_f32_e32 v7, v7, v26
	v_ldexp_f32 v5, v5, v9
	v_cmp_ngt_f32_e64 s[12:13], s35, v1
	v_cvt_i32_f32_e32 v27, v27
	v_exp_f32_e32 v7, v7
	v_ldexp_f32 v6, v6, v23
	v_cndmask_b32_e64 v5, 0, v5, s[12:13]
	v_cmp_ngt_f32_e64 s[12:13], s35, v3
	s_nop 1
	v_cndmask_b32_e64 v6, 0, v6, s[12:13]
	v_cmp_nlt_f32_e64 s[12:13], s39, v1
	s_nop 1
	v_cndmask_b32_e64 v1, v13, v5, s[12:13]
	v_cndmask_b32_e64 v1, 0, v1, s[10:11]
	v_cmp_nlt_f32_e64 s[10:11], s39, v3
	s_waitcnt vmcnt(4)
	v_mul_f32_e32 v1, v18, v1
	v_cndmask_b32_e64 v3, v13, v6, s[10:11]
	v_ldexp_f32 v6, v7, v27
	v_sub_f32_e32 v7, v24, v2
	v_mul_f32_e32 v8, 0x3fb8aa3b, v7
	v_fma_f32 v9, v7, s19, -v8
	v_rndne_f32_e32 v18, v8
	v_fmac_f32_e32 v9, 0x32a5705f, v7
	v_sub_f32_e32 v8, v8, v18
	v_add_f32_e32 v8, v8, v9
	v_exp_f32_e32 v8, v8
	v_cvt_i32_f32_e32 v9, v18
	v_cndmask_b32_e64 v3, 0, v3, s[8:9]
	v_cmp_ngt_f32_e64 s[8:9], s35, v4
	v_sub_f32_e32 v2, v25, v2
	s_waitcnt vmcnt(3)
	v_mul_f32_e32 v5, v21, v3
	v_cndmask_b32_e64 v6, 0, v6, s[8:9]
	v_cmp_nlt_f32_e64 s[8:9], s39, v4
	s_nop 1
	v_cndmask_b32_e64 v4, v13, v6, s[8:9]
	v_ldexp_f32 v6, v8, v9
	v_mul_f32_e32 v8, 0x3fb8aa3b, v2
	v_fma_f32 v9, v2, s19, -v8
	v_rndne_f32_e32 v18, v8
	v_fmac_f32_e32 v9, 0x32a5705f, v2
	v_sub_f32_e32 v8, v8, v18
	v_add_f32_e32 v8, v8, v9
	v_exp_f32_e32 v8, v8
	v_cvt_i32_f32_e32 v9, v18
	v_cndmask_b32_e64 v4, 0, v4, s[6:7]
	v_cmp_ngt_f32_e64 s[6:7], s35, v7
	s_nop 1
	v_cndmask_b32_e64 v6, 0, v6, s[6:7]
	v_cmp_nlt_f32_e64 s[6:7], s39, v7
	v_ldexp_f32 v7, v8, v9
	v_lshlrev_b32_e32 v8, 2, v0
	v_cndmask_b32_e64 v6, v13, v6, s[6:7]
	v_cndmask_b32_e64 v6, 0, v6, s[4:5]
	v_cmp_ngt_f32_e64 s[4:5], s35, v2
	ds_write2st64_b32 v8, v1, v5 offset1:1
	v_fmac_f32_e32 v1, v21, v3
	v_cndmask_b32_e64 v7, 0, v7, s[4:5]
	v_cmp_nlt_f32_e64 s[4:5], s39, v2
	s_waitcnt vmcnt(2)
	v_fmac_f32_e32 v1, v10, v4
	s_waitcnt vmcnt(1)
	v_fmac_f32_e32 v1, v11, v6
	v_cndmask_b32_e64 v2, v13, v7, s[4:5]
	v_cndmask_b32_e32 v7, 0, v2, vcc
	s_waitcnt vmcnt(0)
	v_fmac_f32_e32 v1, v14, v7
	ds_bpermute_b32 v2, v15, v1
	v_mul_f32_e32 v3, v10, v4
	v_mul_f32_e32 v4, v11, v6
	v_cmp_eq_u32_e32 vcc, 0, v0
	v_mul_f32_e32 v5, v14, v7
	s_waitcnt lgkmcnt(0)
	v_add_f32_e32 v1, v1, v2
	ds_bpermute_b32 v2, v16, v1
	ds_write2st64_b32 v8, v3, v4 offset0:2 offset1:3
	ds_write_b32 v8, v5 offset:1024
	s_waitcnt lgkmcnt(2)
	v_add_f32_e32 v1, v1, v2
	ds_bpermute_b32 v2, v17, v1
	s_waitcnt lgkmcnt(0)
	v_add_f32_e32 v1, v1, v2
	ds_bpermute_b32 v2, v19, v1
	;; [unrolled: 3-line block ×4, first 2 shown]
	s_and_saveexec_b64 s[4:5], vcc
	s_cbranch_execz .LBB212_8
; %bb.7:
	s_waitcnt lgkmcnt(0)
	v_add_f32_e32 v1, v1, v2
	v_mov_b32_e32 v2, 0
	ds_write_b32 v2, v1 offset:1280
.LBB212_8:
	s_or_b64 exec, exec, s[4:5]
	v_mov_b32_e32 v1, s18
.LBB212_9:
	s_or_b64 exec, exec, s[30:31]
	s_lshl_b32 s4, s34, 7
	s_mov_b32 s5, 0
	s_lshl_b64 s[4:5], s[4:5], 1
	s_add_u32 s4, s16, s4
	s_addc_u32 s5, s17, s5
	s_lshl_b32 s10, s33, 7
	s_waitcnt lgkmcnt(0)
	v_lshlrev_b32_e32 v2, 7, v1
	v_mov_b32_e32 v1, 0
	s_add_i32 s11, s10, 0xffffff80
	v_mov_b32_e32 v3, v1
	s_cmp_lt_i32 s38, 1
	v_lshl_add_u64 v[2:3], v[2:3], 1, s[4:5]
	s_cselect_b32 s4, s11, 0
	v_lshlrev_b32_e32 v4, 1, v0
	v_mov_b32_e32 v5, v1
	s_ashr_i32 s5, s4, 31
	v_lshl_add_u64 v[2:3], v[2:3], 0, v[4:5]
	s_cmpk_lt_i32 s38, 0x101
	v_lshl_add_u64 v[12:13], s[4:5], 1, v[2:3]
	s_cselect_b32 s4, s11, 0x80
	s_ashr_i32 s5, s4, 31
	s_cmpk_lt_i32 s38, 0x201
	v_lshl_add_u64 v[14:15], s[4:5], 1, v[2:3]
	s_cselect_b32 s4, s11, 0x100
	s_ashr_i32 s5, s4, 31
	;; [unrolled: 4-line block ×8, first 2 shown]
	s_cmpk_lt_i32 s38, 0x901
	global_load_ushort v4, v[12:13], off
	global_load_ushort v5, v[14:15], off
	;; [unrolled: 1-line block ×8, first 2 shown]
	v_lshl_add_u64 v[20:21], s[4:5], 1, v[2:3]
	s_cselect_b32 s4, s11, 0x480
	s_ashr_i32 s5, s4, 31
	s_cmpk_lt_i32 s38, 0xa01
	v_lshl_add_u64 v[22:23], s[4:5], 1, v[2:3]
	s_cselect_b32 s4, s11, 0x500
	s_ashr_i32 s5, s4, 31
	s_cmpk_lt_i32 s38, 0xb01
	;; [unrolled: 4-line block ×6, first 2 shown]
	v_lshl_add_u64 v[32:33], s[4:5], 1, v[2:3]
	s_cselect_b32 s4, s11, 0x780
	s_ashr_i32 s5, s4, 31
	v_lshl_add_u64 v[34:35], s[4:5], 1, v[2:3]
	global_load_ushort v12, v[20:21], off
	global_load_ushort v13, v[22:23], off
	;; [unrolled: 1-line block ×8, first 2 shown]
	s_cmpk_gt_i32 s38, 0x1000
	s_cselect_b64 s[8:9], -1, 0
	s_cmpk_lt_i32 s38, 0x1001
	v_mov_b32_e32 v36, 0
	v_mov_b32_e32 v37, 0
	;; [unrolled: 1-line block ×48, first 2 shown]
	s_barrier
	s_cbranch_scc1 .LBB212_12
; %bb.10:
	s_cmpk_lt_u32 s38, 0x1101
	s_cselect_b32 s4, s11, 0x880
	s_ashr_i32 s5, s4, 31
	s_cmpk_lt_u32 s38, 0x1201
	v_lshl_add_u64 v[30:31], s[4:5], 1, v[2:3]
	s_cselect_b32 s4, s11, 0x900
	s_ashr_i32 s5, s4, 31
	s_cmpk_lt_u32 s38, 0x1301
	v_lshl_add_u64 v[32:33], s[4:5], 1, v[2:3]
	;; [unrolled: 4-line block ×7, first 2 shown]
	s_cselect_b32 s4, s11, 0xc00
	v_add_co_u32_e32 v28, vcc, 0x1000, v2
	s_ashr_i32 s5, s4, 31
	s_nop 0
	v_addc_co_u32_e32 v29, vcc, 0, v3, vcc
	s_cmpk_lt_u32 s38, 0x1901
	global_load_ushort v27, v[28:29], off
	global_load_ushort v26, v[30:31], off
	;; [unrolled: 1-line block ×8, first 2 shown]
	v_lshl_add_u64 v[36:37], s[4:5], 1, v[2:3]
	s_cselect_b32 s4, s11, 0xc80
	s_ashr_i32 s5, s4, 31
	s_cmpk_lt_u32 s38, 0x1a01
	v_lshl_add_u64 v[38:39], s[4:5], 1, v[2:3]
	s_cselect_b32 s4, s11, 0xd00
	s_ashr_i32 s5, s4, 31
	s_cmpk_lt_u32 s38, 0x1b01
	;; [unrolled: 4-line block ×6, first 2 shown]
	v_lshl_add_u64 v[48:49], s[4:5], 1, v[2:3]
	s_cselect_b32 s4, s11, 0xf80
	s_ashr_i32 s5, s4, 31
	v_lshl_add_u64 v[50:51], s[4:5], 1, v[2:3]
	global_load_ushort v35, v[36:37], off
	global_load_ushort v34, v[38:39], off
	;; [unrolled: 1-line block ×8, first 2 shown]
	s_cmpk_lt_u32 s38, 0x2001
	v_mov_b32_e32 v67, 0
	v_mov_b32_e32 v66, 0
	;; [unrolled: 1-line block ×32, first 2 shown]
	s_cbranch_scc1 .LBB212_12
; %bb.11:
	s_cmpk_lt_u32 s38, 0x2101
	s_cselect_b32 s4, s11, 0x1080
	s_ashr_i32 s5, s4, 31
	s_cmpk_lt_u32 s38, 0x2201
	v_lshl_add_u64 v[38:39], s[4:5], 1, v[2:3]
	s_cselect_b32 s4, s11, 0x1100
	s_ashr_i32 s5, s4, 31
	s_cmpk_lt_u32 s38, 0x2301
	v_lshl_add_u64 v[40:41], s[4:5], 1, v[2:3]
	;; [unrolled: 4-line block ×7, first 2 shown]
	s_cselect_b32 s4, s11, 0x1400
	v_add_co_u32_e32 v36, vcc, 0x2000, v2
	s_ashr_i32 s5, s4, 31
	s_nop 0
	v_addc_co_u32_e32 v37, vcc, 0, v3, vcc
	s_cmpk_lt_u32 s38, 0x2901
	global_load_ushort v52, v[36:37], off
	global_load_ushort v53, v[38:39], off
	;; [unrolled: 1-line block ×8, first 2 shown]
	v_lshl_add_u64 v[36:37], s[4:5], 1, v[2:3]
	s_cselect_b32 s4, s11, 0x1480
	s_ashr_i32 s5, s4, 31
	s_cmpk_lt_u32 s38, 0x2a01
	v_lshl_add_u64 v[38:39], s[4:5], 1, v[2:3]
	s_cselect_b32 s4, s11, 0x1500
	s_ashr_i32 s5, s4, 31
	s_cmpk_lt_u32 s38, 0x2b01
	v_lshl_add_u64 v[40:41], s[4:5], 1, v[2:3]
	s_cselect_b32 s4, s11, 0x1580
	s_ashr_i32 s5, s4, 31
	s_cmpk_lt_u32 s38, 0x2c01
	v_lshl_add_u64 v[42:43], s[4:5], 1, v[2:3]
	s_cselect_b32 s4, s11, 0x1600
	s_ashr_i32 s5, s4, 31
	s_cmpk_lt_u32 s38, 0x2d01
	v_lshl_add_u64 v[44:45], s[4:5], 1, v[2:3]
	s_cselect_b32 s4, s11, 0x1680
	s_ashr_i32 s5, s4, 31
	s_cmpk_lt_u32 s38, 0x2e01
	v_lshl_add_u64 v[46:47], s[4:5], 1, v[2:3]
	s_cselect_b32 s4, s11, 0x1700
	s_ashr_i32 s5, s4, 31
	s_cmpk_lt_u32 s38, 0x2f01
	v_lshl_add_u64 v[48:49], s[4:5], 1, v[2:3]
	s_cselect_b32 s4, s11, 0x1780
	s_ashr_i32 s5, s4, 31
	s_cmpk_lt_u32 s38, 0x3001
	v_lshl_add_u64 v[50:51], s[4:5], 1, v[2:3]
	s_cselect_b32 s4, s11, 0x1800
	s_ashr_i32 s5, s4, 31
	s_cmpk_lt_u32 s38, 0x3101
	global_load_ushort v68, v[36:37], off
	global_load_ushort v69, v[38:39], off
	;; [unrolled: 1-line block ×8, first 2 shown]
	v_lshl_add_u64 v[36:37], s[4:5], 1, v[2:3]
	s_cselect_b32 s4, s11, 0x1880
	s_ashr_i32 s5, s4, 31
	s_cmpk_lt_u32 s38, 0x3201
	v_lshl_add_u64 v[38:39], s[4:5], 1, v[2:3]
	s_cselect_b32 s4, s11, 0x1900
	s_ashr_i32 s5, s4, 31
	s_cmpk_lt_u32 s38, 0x3301
	;; [unrolled: 4-line block ×8, first 2 shown]
	global_load_ushort v76, v[36:37], off
	global_load_ushort v77, v[38:39], off
	global_load_ushort v78, v[40:41], off
	global_load_ushort v79, v[42:43], off
	global_load_ushort v80, v[44:45], off
	global_load_ushort v81, v[46:47], off
	global_load_ushort v82, v[48:49], off
	global_load_ushort v83, v[50:51], off
	v_lshl_add_u64 v[36:37], s[4:5], 1, v[2:3]
	s_cselect_b32 s4, s11, 0x1c80
	s_ashr_i32 s5, s4, 31
	s_cmpk_lt_u32 s38, 0x3a01
	v_lshl_add_u64 v[38:39], s[4:5], 1, v[2:3]
	s_cselect_b32 s4, s11, 0x1d00
	s_ashr_i32 s5, s4, 31
	s_cmpk_lt_u32 s38, 0x3b01
	;; [unrolled: 4-line block ×6, first 2 shown]
	v_lshl_add_u64 v[48:49], s[4:5], 1, v[2:3]
	s_cselect_b32 s4, s11, 0x1f80
	s_ashr_i32 s5, s4, 31
	v_lshl_add_u64 v[50:51], s[4:5], 1, v[2:3]
	global_load_ushort v84, v[36:37], off
	global_load_ushort v85, v[38:39], off
	;; [unrolled: 1-line block ×8, first 2 shown]
	s_waitcnt vmcnt(31)
	v_cvt_f32_f16_e32 v67, v52
	s_waitcnt vmcnt(30)
	v_cvt_f32_f16_e32 v66, v53
	;; [unrolled: 2-line block ×32, first 2 shown]
.LBB212_12:
	ds_read_b128 v[68:71], v1
	s_load_dwordx2 s[4:5], s[0:1], 0x0
	s_load_dwordx2 s[6:7], s[0:1], 0x38
	ds_read_b128 v[72:75], v1 offset:16
	ds_read_b128 v[76:79], v1 offset:32
	ds_read_b128 v[80:83], v1 offset:48
	s_and_b64 vcc, exec, s[8:9]
	s_waitcnt vmcnt(15) lgkmcnt(0)
	v_fma_mix_f32 v4, v68, v4, 0 op_sel_hi:[0,1,0]
	s_waitcnt vmcnt(14)
	v_fma_mix_f32 v4, v69, v5, v4 op_sel_hi:[0,1,0]
	s_waitcnt vmcnt(13)
	;; [unrolled: 2-line block ×15, first 2 shown]
	v_fma_mix_f32 v4, v83, v19, v4 op_sel_hi:[0,1,0]
	s_cbranch_vccz .LBB212_15
; %bb.13:
	ds_read_b128 v[6:9], v1 offset:64
	ds_read_b128 v[10:13], v1 offset:80
	ds_read_b128 v[14:17], v1 offset:96
	ds_read_b128 v[68:71], v1 offset:112
	s_cmpk_lt_u32 s38, 0x2001
	s_waitcnt lgkmcnt(3)
	v_fma_mix_f32 v4, v6, v27, v4 op_sel_hi:[0,1,0]
	v_fma_mix_f32 v4, v7, v26, v4 op_sel_hi:[0,1,0]
	v_fma_mix_f32 v4, v8, v25, v4 op_sel_hi:[0,1,0]
	v_fma_mix_f32 v4, v9, v24, v4 op_sel_hi:[0,1,0]
	s_waitcnt lgkmcnt(2)
	v_fma_mix_f32 v4, v10, v23, v4 op_sel_hi:[0,1,0]
	v_fma_mix_f32 v4, v11, v22, v4 op_sel_hi:[0,1,0]
	v_fma_mix_f32 v4, v12, v21, v4 op_sel_hi:[0,1,0]
	v_fma_mix_f32 v4, v13, v20, v4 op_sel_hi:[0,1,0]
	;; [unrolled: 5-line block ×4, first 2 shown]
	s_cbranch_scc1 .LBB212_15
; %bb.14:
	v_mov_b32_e32 v5, 0
	ds_read_b128 v[6:9], v5 offset:128
	ds_read_b128 v[10:13], v5 offset:144
	;; [unrolled: 1-line block ×4, first 2 shown]
	s_waitcnt lgkmcnt(3)
	v_fmac_f32_e32 v4, v6, v67
	v_fmac_f32_e32 v4, v7, v66
	v_fmac_f32_e32 v4, v8, v65
	v_fmac_f32_e32 v4, v9, v64
	s_waitcnt lgkmcnt(2)
	v_fmac_f32_e32 v4, v10, v63
	v_fmac_f32_e32 v4, v11, v62
	v_fmac_f32_e32 v4, v12, v61
	v_fmac_f32_e32 v4, v13, v60
	;; [unrolled: 5-line block ×3, first 2 shown]
	ds_read_b128 v[6:9], v5 offset:192
	ds_read_b128 v[10:13], v5 offset:208
	s_waitcnt lgkmcnt(2)
	v_fmac_f32_e32 v4, v18, v55
	v_fmac_f32_e32 v4, v19, v54
	;; [unrolled: 1-line block ×4, first 2 shown]
	s_waitcnt lgkmcnt(1)
	v_fmac_f32_e32 v4, v6, v51
	v_fmac_f32_e32 v4, v7, v50
	;; [unrolled: 1-line block ×4, first 2 shown]
	ds_read_b128 v[6:9], v5 offset:224
	s_waitcnt lgkmcnt(1)
	v_fmac_f32_e32 v4, v10, v47
	v_fmac_f32_e32 v4, v11, v46
	;; [unrolled: 1-line block ×4, first 2 shown]
	ds_read_b128 v[10:13], v5 offset:240
	s_waitcnt lgkmcnt(1)
	v_fmac_f32_e32 v4, v6, v43
	v_fmac_f32_e32 v4, v7, v42
	;; [unrolled: 1-line block ×4, first 2 shown]
	s_waitcnt lgkmcnt(0)
	v_fmac_f32_e32 v4, v10, v39
	v_fmac_f32_e32 v4, v11, v38
	v_fmac_f32_e32 v4, v12, v37
	v_fmac_f32_e32 v4, v13, v36
.LBB212_15:
	s_movk_i32 s0, 0x3f80
	s_movk_i32 s1, 0x100
	s_mov_b32 s8, 64
	s_branch .LBB212_17
.LBB212_16:                             ;   in Loop: Header=BB212_17 Depth=1
	s_addk_i32 s0, 0x2000
	s_addk_i32 s1, 0x100
	s_add_i32 s8, s8, 64
	s_cmpk_eq_u32 s0, 0xbf80
	s_cbranch_scc1 .LBB212_19
.LBB212_17:                             ; =>This Inner Loop Header: Depth=1
	s_cmp_le_i32 s33, s8
	s_cbranch_scc1 .LBB212_16
; %bb.18:                               ;   in Loop: Header=BB212_17 Depth=1
	s_add_i32 s9, s0, 0xffffe080
	s_cmp_lt_i32 s9, s10
	s_cselect_b32 s12, s9, s11
	s_ashr_i32 s13, s12, 31
	s_add_i32 s9, s0, 0xffffe100
	s_cmp_lt_i32 s9, s10
	v_lshl_add_u64 v[14:15], s[12:13], 1, v[2:3]
	s_cselect_b32 s12, s9, s11
	s_ashr_i32 s13, s12, 31
	s_add_i32 s9, s0, 0xffffe180
	s_cmp_lt_i32 s9, s10
	v_lshl_add_u64 v[16:17], s[12:13], 1, v[2:3]
	;; [unrolled: 5-line block ×8, first 2 shown]
	s_cselect_b32 s12, s9, s11
	s_ashr_i32 s13, s12, 31
	s_add_i32 s9, s0, 0xffffe500
	s_cmp_lt_i32 s9, s10
	global_load_ushort v5, v[14:15], off
	global_load_ushort v6, v[16:17], off
	global_load_ushort v7, v[18:19], off
	global_load_ushort v8, v[20:21], off
	global_load_ushort v9, v[22:23], off
	global_load_ushort v10, v[24:25], off
	global_load_ushort v11, v[26:27], off
	global_load_ushort v12, v[28:29], off
	v_lshl_add_u64 v[14:15], s[12:13], 1, v[2:3]
	s_cselect_b32 s12, s9, s11
	s_ashr_i32 s13, s12, 31
	s_add_i32 s9, s0, 0xffffe580
	s_cmp_lt_i32 s9, s10
	v_lshl_add_u64 v[16:17], s[12:13], 1, v[2:3]
	s_cselect_b32 s12, s9, s11
	s_ashr_i32 s13, s12, 31
	s_add_i32 s9, s0, 0xffffe600
	s_cmp_lt_i32 s9, s10
	v_lshl_add_u64 v[18:19], s[12:13], 1, v[2:3]
	s_cselect_b32 s12, s9, s11
	s_ashr_i32 s13, s12, 31
	s_add_i32 s9, s0, 0xffffe680
	s_cmp_lt_i32 s9, s10
	v_lshl_add_u64 v[20:21], s[12:13], 1, v[2:3]
	s_cselect_b32 s12, s9, s11
	s_ashr_i32 s13, s12, 31
	s_add_i32 s9, s0, 0xffffe700
	s_cmp_lt_i32 s9, s10
	v_lshl_add_u64 v[22:23], s[12:13], 1, v[2:3]
	s_cselect_b32 s12, s9, s11
	s_ashr_i32 s13, s12, 31
	s_add_i32 s9, s0, 0xffffe780
	s_cmp_lt_i32 s9, s10
	v_lshl_add_u64 v[24:25], s[12:13], 1, v[2:3]
	s_cselect_b32 s12, s9, s11
	s_ashr_i32 s13, s12, 31
	s_add_i32 s9, s0, 0xffffe800
	s_cmp_lt_i32 s9, s10
	v_lshl_add_u64 v[26:27], s[12:13], 1, v[2:3]
	s_cselect_b32 s12, s9, s11
	s_ashr_i32 s13, s12, 31
	s_add_i32 s9, s0, 0xffffe880
	s_cmp_lt_i32 s9, s10
	v_lshl_add_u64 v[28:29], s[12:13], 1, v[2:3]
	s_cselect_b32 s12, s9, s11
	s_ashr_i32 s13, s12, 31
	s_add_i32 s9, s0, 0xffffe900
	s_cmp_lt_i32 s9, s10
	global_load_ushort v13, v[14:15], off
	global_load_ushort v30, v[16:17], off
	global_load_ushort v31, v[18:19], off
	global_load_ushort v32, v[20:21], off
	global_load_ushort v33, v[22:23], off
	global_load_ushort v34, v[24:25], off
	global_load_ushort v35, v[26:27], off
	global_load_ushort v36, v[28:29], off
	v_lshl_add_u64 v[14:15], s[12:13], 1, v[2:3]
	s_cselect_b32 s12, s9, s11
	s_ashr_i32 s13, s12, 31
	s_add_i32 s9, s0, 0xffffe980
	s_cmp_lt_i32 s9, s10
	v_lshl_add_u64 v[16:17], s[12:13], 1, v[2:3]
	s_cselect_b32 s12, s9, s11
	s_ashr_i32 s13, s12, 31
	s_add_i32 s9, s0, 0xffffea00
	s_cmp_lt_i32 s9, s10
	v_lshl_add_u64 v[18:19], s[12:13], 1, v[2:3]
	s_cselect_b32 s12, s9, s11
	s_ashr_i32 s13, s12, 31
	s_add_i32 s9, s0, 0xffffea80
	s_cmp_lt_i32 s9, s10
	v_lshl_add_u64 v[20:21], s[12:13], 1, v[2:3]
	s_cselect_b32 s12, s9, s11
	s_ashr_i32 s13, s12, 31
	s_add_i32 s9, s0, 0xffffeb00
	s_cmp_lt_i32 s9, s10
	v_lshl_add_u64 v[22:23], s[12:13], 1, v[2:3]
	s_cselect_b32 s12, s9, s11
	s_ashr_i32 s13, s12, 31
	s_add_i32 s9, s0, 0xffffeb80
	s_cmp_lt_i32 s9, s10
	v_lshl_add_u64 v[24:25], s[12:13], 1, v[2:3]
	s_cselect_b32 s12, s9, s11
	s_ashr_i32 s13, s12, 31
	s_add_i32 s9, s0, 0xffffec00
	s_cmp_lt_i32 s9, s10
	v_lshl_add_u64 v[26:27], s[12:13], 1, v[2:3]
	s_cselect_b32 s12, s9, s11
	s_ashr_i32 s13, s12, 31
	s_add_i32 s9, s0, 0xffffec80
	s_cmp_lt_i32 s9, s10
	v_lshl_add_u64 v[28:29], s[12:13], 1, v[2:3]
	s_cselect_b32 s12, s9, s11
	s_ashr_i32 s13, s12, 31
	s_add_i32 s9, s0, 0xffffed00
	s_cmp_lt_i32 s9, s10
	global_load_ushort v37, v[14:15], off
	global_load_ushort v38, v[16:17], off
	global_load_ushort v39, v[18:19], off
	global_load_ushort v40, v[20:21], off
	global_load_ushort v41, v[22:23], off
	global_load_ushort v42, v[24:25], off
	global_load_ushort v43, v[26:27], off
	global_load_ushort v44, v[28:29], off
	v_lshl_add_u64 v[14:15], s[12:13], 1, v[2:3]
	s_cselect_b32 s12, s9, s11
	s_ashr_i32 s13, s12, 31
	s_add_i32 s9, s0, 0xffffed80
	s_cmp_lt_i32 s9, s10
	v_lshl_add_u64 v[16:17], s[12:13], 1, v[2:3]
	s_cselect_b32 s12, s9, s11
	s_ashr_i32 s13, s12, 31
	s_add_i32 s9, s0, 0xffffee00
	s_cmp_lt_i32 s9, s10
	v_lshl_add_u64 v[18:19], s[12:13], 1, v[2:3]
	s_cselect_b32 s12, s9, s11
	s_ashr_i32 s13, s12, 31
	s_add_i32 s9, s0, 0xffffee80
	s_cmp_lt_i32 s9, s10
	v_lshl_add_u64 v[20:21], s[12:13], 1, v[2:3]
	s_cselect_b32 s12, s9, s11
	s_ashr_i32 s13, s12, 31
	s_add_i32 s9, s0, 0xffffef00
	s_cmp_lt_i32 s9, s10
	v_lshl_add_u64 v[22:23], s[12:13], 1, v[2:3]
	s_cselect_b32 s12, s9, s11
	s_ashr_i32 s13, s12, 31
	s_add_i32 s9, s0, 0xffffef80
	s_cmp_lt_i32 s9, s10
	v_lshl_add_u64 v[24:25], s[12:13], 1, v[2:3]
	s_cselect_b32 s12, s9, s11
	s_ashr_i32 s13, s12, 31
	s_add_i32 s9, s0, 0xfffff000
	s_cmp_lt_i32 s9, s10
	v_lshl_add_u64 v[26:27], s[12:13], 1, v[2:3]
	s_cselect_b32 s12, s9, s11
	s_ashr_i32 s13, s12, 31
	s_add_i32 s9, s0, 0xfffff080
	s_cmp_lt_i32 s9, s10
	v_lshl_add_u64 v[28:29], s[12:13], 1, v[2:3]
	s_cselect_b32 s12, s9, s11
	s_ashr_i32 s13, s12, 31
	s_add_i32 s9, s0, 0xfffff100
	s_cmp_lt_i32 s9, s10
	global_load_ushort v45, v[14:15], off
	global_load_ushort v46, v[16:17], off
	global_load_ushort v47, v[18:19], off
	global_load_ushort v48, v[20:21], off
	global_load_ushort v49, v[22:23], off
	global_load_ushort v50, v[24:25], off
	global_load_ushort v51, v[26:27], off
	global_load_ushort v52, v[28:29], off
	v_lshl_add_u64 v[14:15], s[12:13], 1, v[2:3]
	s_cselect_b32 s12, s9, s11
	s_ashr_i32 s13, s12, 31
	s_add_i32 s9, s0, 0xfffff180
	s_cmp_lt_i32 s9, s10
	v_lshl_add_u64 v[16:17], s[12:13], 1, v[2:3]
	s_cselect_b32 s12, s9, s11
	s_ashr_i32 s13, s12, 31
	s_add_i32 s9, s0, 0xfffff200
	s_cmp_lt_i32 s9, s10
	v_lshl_add_u64 v[18:19], s[12:13], 1, v[2:3]
	s_cselect_b32 s12, s9, s11
	s_ashr_i32 s13, s12, 31
	s_add_i32 s9, s0, 0xfffff280
	s_cmp_lt_i32 s9, s10
	v_lshl_add_u64 v[20:21], s[12:13], 1, v[2:3]
	s_cselect_b32 s12, s9, s11
	s_ashr_i32 s13, s12, 31
	s_add_i32 s9, s0, 0xfffff300
	s_cmp_lt_i32 s9, s10
	v_lshl_add_u64 v[22:23], s[12:13], 1, v[2:3]
	s_cselect_b32 s12, s9, s11
	s_ashr_i32 s13, s12, 31
	s_add_i32 s9, s0, 0xfffff380
	s_cmp_lt_i32 s9, s10
	v_lshl_add_u64 v[24:25], s[12:13], 1, v[2:3]
	s_cselect_b32 s12, s9, s11
	s_ashr_i32 s13, s12, 31
	s_add_i32 s9, s0, 0xfffff400
	s_cmp_lt_i32 s9, s10
	v_lshl_add_u64 v[26:27], s[12:13], 1, v[2:3]
	s_cselect_b32 s12, s9, s11
	s_ashr_i32 s13, s12, 31
	s_add_i32 s9, s0, 0xfffff480
	s_cmp_lt_i32 s9, s10
	v_lshl_add_u64 v[28:29], s[12:13], 1, v[2:3]
	s_cselect_b32 s12, s9, s11
	s_ashr_i32 s13, s12, 31
	s_add_i32 s9, s0, 0xfffff500
	s_cmp_lt_i32 s9, s10
	global_load_ushort v53, v[14:15], off
	global_load_ushort v54, v[16:17], off
	global_load_ushort v55, v[18:19], off
	global_load_ushort v56, v[20:21], off
	global_load_ushort v57, v[22:23], off
	global_load_ushort v58, v[24:25], off
	global_load_ushort v59, v[26:27], off
	global_load_ushort v60, v[28:29], off
	v_lshl_add_u64 v[14:15], s[12:13], 1, v[2:3]
	s_cselect_b32 s12, s9, s11
	s_ashr_i32 s13, s12, 31
	s_add_i32 s9, s0, 0xfffff580
	s_cmp_lt_i32 s9, s10
	v_lshl_add_u64 v[16:17], s[12:13], 1, v[2:3]
	s_cselect_b32 s12, s9, s11
	s_ashr_i32 s13, s12, 31
	s_add_i32 s9, s0, 0xfffff600
	s_cmp_lt_i32 s9, s10
	v_lshl_add_u64 v[18:19], s[12:13], 1, v[2:3]
	s_cselect_b32 s12, s9, s11
	s_ashr_i32 s13, s12, 31
	s_add_i32 s9, s0, 0xfffff680
	s_cmp_lt_i32 s9, s10
	v_lshl_add_u64 v[20:21], s[12:13], 1, v[2:3]
	s_cselect_b32 s12, s9, s11
	s_ashr_i32 s13, s12, 31
	s_add_i32 s9, s0, 0xfffff700
	s_cmp_lt_i32 s9, s10
	v_lshl_add_u64 v[22:23], s[12:13], 1, v[2:3]
	s_cselect_b32 s12, s9, s11
	s_ashr_i32 s13, s12, 31
	s_add_i32 s9, s0, 0xfffff780
	s_cmp_lt_i32 s9, s10
	v_lshl_add_u64 v[24:25], s[12:13], 1, v[2:3]
	s_cselect_b32 s12, s9, s11
	s_ashr_i32 s13, s12, 31
	s_add_i32 s9, s0, 0xfffff800
	s_cmp_lt_i32 s9, s10
	v_lshl_add_u64 v[26:27], s[12:13], 1, v[2:3]
	s_cselect_b32 s12, s9, s11
	s_ashr_i32 s13, s12, 31
	s_add_i32 s9, s0, 0xfffff880
	s_cmp_lt_i32 s9, s10
	v_lshl_add_u64 v[28:29], s[12:13], 1, v[2:3]
	s_cselect_b32 s12, s9, s11
	s_ashr_i32 s13, s12, 31
	s_add_i32 s9, s0, 0xfffff900
	s_cmp_lt_i32 s9, s10
	global_load_ushort v61, v[14:15], off
	global_load_ushort v62, v[16:17], off
	global_load_ushort v63, v[18:19], off
	global_load_ushort v64, v[20:21], off
	global_load_ushort v65, v[22:23], off
	global_load_ushort v66, v[24:25], off
	global_load_ushort v67, v[26:27], off
	global_load_ushort v68, v[28:29], off
	v_lshl_add_u64 v[14:15], s[12:13], 1, v[2:3]
	s_cselect_b32 s12, s9, s11
	s_ashr_i32 s13, s12, 31
	s_add_i32 s9, s0, 0xfffff980
	s_cmp_lt_i32 s9, s10
	v_lshl_add_u64 v[16:17], s[12:13], 1, v[2:3]
	s_cselect_b32 s12, s9, s11
	s_ashr_i32 s13, s12, 31
	s_add_i32 s9, s0, 0xfffffa00
	s_cmp_lt_i32 s9, s10
	v_lshl_add_u64 v[18:19], s[12:13], 1, v[2:3]
	s_cselect_b32 s12, s9, s11
	s_ashr_i32 s13, s12, 31
	s_add_i32 s9, s0, 0xfffffa80
	s_cmp_lt_i32 s9, s10
	v_lshl_add_u64 v[20:21], s[12:13], 1, v[2:3]
	s_cselect_b32 s12, s9, s11
	s_ashr_i32 s13, s12, 31
	s_add_i32 s9, s0, 0xfffffb00
	s_cmp_lt_i32 s9, s10
	v_lshl_add_u64 v[22:23], s[12:13], 1, v[2:3]
	s_cselect_b32 s12, s9, s11
	s_ashr_i32 s13, s12, 31
	s_add_i32 s9, s0, 0xfffffb80
	s_cmp_lt_i32 s9, s10
	v_lshl_add_u64 v[24:25], s[12:13], 1, v[2:3]
	s_cselect_b32 s12, s9, s11
	s_ashr_i32 s13, s12, 31
	s_add_i32 s9, s0, 0xfffffc00
	s_cmp_lt_i32 s9, s10
	v_lshl_add_u64 v[26:27], s[12:13], 1, v[2:3]
	s_cselect_b32 s12, s9, s11
	s_ashr_i32 s13, s12, 31
	s_add_i32 s9, s0, 0xfffffc80
	s_cmp_lt_i32 s9, s10
	v_lshl_add_u64 v[28:29], s[12:13], 1, v[2:3]
	s_cselect_b32 s12, s9, s11
	s_ashr_i32 s13, s12, 31
	s_add_i32 s9, s0, 0xfffffd00
	s_cmp_lt_i32 s9, s10
	global_load_ushort v69, v[14:15], off
	global_load_ushort v70, v[16:17], off
	;; [unrolled: 1-line block ×8, first 2 shown]
	v_lshl_add_u64 v[14:15], s[12:13], 1, v[2:3]
	s_cselect_b32 s12, s9, s11
	s_ashr_i32 s13, s12, 31
	s_add_i32 s9, s0, 0xfffffd80
	s_cmp_lt_i32 s9, s10
	v_lshl_add_u64 v[16:17], s[12:13], 1, v[2:3]
	s_cselect_b32 s12, s9, s11
	s_ashr_i32 s13, s12, 31
	s_add_i32 s9, s0, 0xfffffe00
	s_cmp_lt_i32 s9, s10
	;; [unrolled: 5-line block ×5, first 2 shown]
	v_lshl_add_u64 v[24:25], s[12:13], 1, v[2:3]
	s_cselect_b32 s12, s9, s11
	s_ashr_i32 s13, s12, 31
	s_cmp_lt_i32 s0, s10
	v_lshl_add_u64 v[26:27], s[12:13], 1, v[2:3]
	s_cselect_b32 s12, s0, s11
	s_ashr_i32 s13, s12, 31
	v_lshl_add_u64 v[28:29], s[12:13], 1, v[2:3]
	global_load_ushort v77, v[14:15], off
	global_load_ushort v78, v[16:17], off
	;; [unrolled: 1-line block ×8, first 2 shown]
	v_mov_b32_e32 v85, s1
	ds_read_b128 v[14:17], v85
	ds_read_b128 v[18:21], v85 offset:16
	ds_read_b128 v[22:25], v85 offset:32
	;; [unrolled: 1-line block ×3, first 2 shown]
	s_waitcnt vmcnt(62) lgkmcnt(3)
	v_fma_mix_f32 v4, v14, v5, v4 op_sel_hi:[0,1,0]
	v_fma_mix_f32 v4, v15, v6, v4 op_sel_hi:[0,1,0]
	s_waitcnt vmcnt(61)
	v_fma_mix_f32 v4, v16, v7, v4 op_sel_hi:[0,1,0]
	s_waitcnt vmcnt(60)
	v_fma_mix_f32 v4, v17, v8, v4 op_sel_hi:[0,1,0]
	s_waitcnt vmcnt(59) lgkmcnt(2)
	v_fma_mix_f32 v4, v18, v9, v4 op_sel_hi:[0,1,0]
	s_waitcnt vmcnt(58)
	v_fma_mix_f32 v4, v19, v10, v4 op_sel_hi:[0,1,0]
	s_waitcnt vmcnt(57)
	;; [unrolled: 2-line block ×3, first 2 shown]
	v_fma_mix_f32 v4, v21, v12, v4 op_sel_hi:[0,1,0]
	s_waitcnt vmcnt(55) lgkmcnt(1)
	v_fma_mix_f32 v4, v22, v13, v4 op_sel_hi:[0,1,0]
	s_waitcnt vmcnt(54)
	v_fma_mix_f32 v4, v23, v30, v4 op_sel_hi:[0,1,0]
	s_waitcnt vmcnt(53)
	v_fma_mix_f32 v4, v24, v31, v4 op_sel_hi:[0,1,0]
	s_waitcnt vmcnt(52)
	v_fma_mix_f32 v4, v25, v32, v4 op_sel_hi:[0,1,0]
	s_waitcnt vmcnt(51) lgkmcnt(0)
	v_fma_mix_f32 v8, v26, v33, v4 op_sel_hi:[0,1,0]
	ds_read_b128 v[4:7], v85 offset:64
	s_waitcnt vmcnt(50)
	v_fma_mix_f32 v8, v27, v34, v8 op_sel_hi:[0,1,0]
	s_waitcnt vmcnt(49)
	v_fma_mix_f32 v8, v28, v35, v8 op_sel_hi:[0,1,0]
	s_waitcnt vmcnt(48)
	v_fma_mix_f32 v12, v29, v36, v8 op_sel_hi:[0,1,0]
	ds_read_b128 v[8:11], v85 offset:80
	s_waitcnt vmcnt(47) lgkmcnt(1)
	v_fma_mix_f32 v4, v4, v37, v12 op_sel_hi:[0,1,0]
	s_waitcnt vmcnt(46)
	v_fma_mix_f32 v4, v5, v38, v4 op_sel_hi:[0,1,0]
	s_waitcnt vmcnt(45)
	v_fma_mix_f32 v4, v6, v39, v4 op_sel_hi:[0,1,0]
	s_waitcnt vmcnt(44)
	v_fma_mix_f32 v4, v7, v40, v4 op_sel_hi:[0,1,0]
	s_waitcnt vmcnt(43) lgkmcnt(0)
	v_fma_mix_f32 v8, v8, v41, v4 op_sel_hi:[0,1,0]
	ds_read_b128 v[4:7], v85 offset:96
	s_waitcnt vmcnt(42)
	v_fma_mix_f32 v8, v9, v42, v8 op_sel_hi:[0,1,0]
	s_waitcnt vmcnt(41)
	v_fma_mix_f32 v8, v10, v43, v8 op_sel_hi:[0,1,0]
	s_waitcnt vmcnt(40)
	v_fma_mix_f32 v12, v11, v44, v8 op_sel_hi:[0,1,0]
	ds_read_b128 v[8:11], v85 offset:112
	;; [unrolled: 18-line block ×6, first 2 shown]
	s_waitcnt vmcnt(7) lgkmcnt(1)
	v_fma_mix_f32 v4, v4, v77, v12 op_sel_hi:[0,1,0]
	s_waitcnt vmcnt(6)
	v_fma_mix_f32 v4, v5, v78, v4 op_sel_hi:[0,1,0]
	s_waitcnt vmcnt(5)
	;; [unrolled: 2-line block ×3, first 2 shown]
	v_fma_mix_f32 v4, v7, v80, v4 op_sel_hi:[0,1,0]
	s_waitcnt vmcnt(3) lgkmcnt(0)
	v_fma_mix_f32 v4, v8, v81, v4 op_sel_hi:[0,1,0]
	s_waitcnt vmcnt(2)
	v_fma_mix_f32 v4, v9, v82, v4 op_sel_hi:[0,1,0]
	s_waitcnt vmcnt(1)
	;; [unrolled: 2-line block ×3, first 2 shown]
	v_fma_mix_f32 v4, v11, v84, v4 op_sel_hi:[0,1,0]
	s_branch .LBB212_16
.LBB212_19:
	v_mov_b32_e32 v2, 0
	ds_read_b32 v2, v2 offset:1280
	s_cmp_lg_u64 s[6:7], 0
	s_cbranch_scc0 .LBB212_24
; %bb.20:
	s_load_dword s6, s[6:7], 0x0
	s_waitcnt lgkmcnt(0)
	v_div_scale_f32 v3, s[0:1], s6, s6, 1.0
	v_rcp_f32_e32 v5, v3
	v_div_scale_f32 v6, vcc, 1.0, s6, 1.0
	v_fma_f32 v7, -v3, v5, 1.0
	v_fmac_f32_e32 v5, v7, v5
	v_mul_f32_e32 v7, v6, v5
	v_fma_f32 v8, -v3, v7, v6
	v_fmac_f32_e32 v7, v8, v5
	v_fma_f32 v3, -v3, v7, v6
	v_div_fmas_f32 v3, v3, v5, v7
	v_div_fixup_f32 v3, v3, s6, 1.0
	s_andn2_b64 vcc, exec, s[26:27]
	s_cbranch_vccnz .LBB212_22
.LBB212_21:
	s_add_u32 s0, s24, s28
	s_addc_u32 s1, s25, s29
	s_load_dword s14, s[0:1], 0x0
	s_mov_b32 s15, 0
.LBB212_22:
	s_waitcnt lgkmcnt(0)
	v_add_f32_e32 v2, 0x358637bd, v2
	v_div_scale_f32 v5, s[0:1], v2, v2, 1.0
	v_rcp_f32_e32 v6, v5
	v_div_scale_f32 v7, vcc, 1.0, v2, 1.0
	s_mul_i32 s0, s3, s15
	v_fma_f32 v8, -v5, v6, 1.0
	v_fmac_f32_e32 v6, v8, v6
	v_mul_f32_e32 v8, v7, v6
	v_fma_f32 v9, -v5, v8, v7
	v_fmac_f32_e32 v8, v9, v6
	v_fma_f32 v5, -v5, v8, v7
	s_mul_hi_u32 s1, s3, s14
	v_div_fmas_f32 v5, v5, v6, v8
	s_add_i32 s1, s1, s0
	s_mul_i32 s0, s3, s14
	v_div_fixup_f32 v2, v5, v2, 1.0
	s_lshl_b64 s[0:1], s[0:1], 7
	v_mul_f32_e32 v2, v4, v2
	s_add_u32 s4, s4, s0
	s_mov_b32 s3, 0
	v_mul_f32_e32 v2, v2, v3
	s_addc_u32 s5, s5, s1
	s_lshl_b64 s[0:1], s[2:3], 7
	s_mov_b32 s2, 0x7f800000
	s_mov_b32 s3, 0x43700000
	v_mov_b32_e32 v3, 0xc3700000
	v_med3_f32 v3, v2, s3, v3
	v_cmp_nlg_f32_e64 vcc, |v2|, s2
	s_add_u32 s0, s4, s0
	s_addc_u32 s1, s5, s1
	v_cndmask_b32_e32 v2, v3, v2, vcc
	v_mov_b32_e32 v3, 0
	v_cvt_pk_fp8_f32 v3, v2, v2
	v_lshl_add_u64 v[0:1], s[0:1], 0, v[0:1]
	global_store_byte v[0:1], v3, off
	s_endpgm
.LBB212_23:
	s_mov_b64 s[6:7], 0
	s_branch .LBB212_2
.LBB212_24:
	v_mov_b32_e32 v3, 1.0
	s_andn2_b64 vcc, exec, s[26:27]
	s_cbranch_vccz .LBB212_21
	s_branch .LBB212_22
	.section	.rodata,"a",@progbits
	.p2align	6, 0x0
	.amdhsa_kernel _Z35paged_attention_ll4mi_reduce_kernelIDF16_hLi128ELi128ELi256ELi5EEvPT0_PKfS3_PKT_PKiS8_iS3_
		.amdhsa_group_segment_fixed_size 1284
		.amdhsa_private_segment_fixed_size 0
		.amdhsa_kernarg_size 320
		.amdhsa_user_sgpr_count 2
		.amdhsa_user_sgpr_dispatch_ptr 0
		.amdhsa_user_sgpr_queue_ptr 0
		.amdhsa_user_sgpr_kernarg_segment_ptr 1
		.amdhsa_user_sgpr_dispatch_id 0
		.amdhsa_user_sgpr_kernarg_preload_length 0
		.amdhsa_user_sgpr_kernarg_preload_offset 0
		.amdhsa_user_sgpr_private_segment_size 0
		.amdhsa_uses_dynamic_stack 0
		.amdhsa_enable_private_segment 0
		.amdhsa_system_sgpr_workgroup_id_x 1
		.amdhsa_system_sgpr_workgroup_id_y 1
		.amdhsa_system_sgpr_workgroup_id_z 0
		.amdhsa_system_sgpr_workgroup_info 0
		.amdhsa_system_vgpr_workitem_id 0
		.amdhsa_next_free_vgpr 92
		.amdhsa_next_free_sgpr 40
		.amdhsa_accum_offset 92
		.amdhsa_reserve_vcc 1
		.amdhsa_float_round_mode_32 0
		.amdhsa_float_round_mode_16_64 0
		.amdhsa_float_denorm_mode_32 3
		.amdhsa_float_denorm_mode_16_64 3
		.amdhsa_dx10_clamp 1
		.amdhsa_ieee_mode 1
		.amdhsa_fp16_overflow 0
		.amdhsa_tg_split 0
		.amdhsa_exception_fp_ieee_invalid_op 0
		.amdhsa_exception_fp_denorm_src 0
		.amdhsa_exception_fp_ieee_div_zero 0
		.amdhsa_exception_fp_ieee_overflow 0
		.amdhsa_exception_fp_ieee_underflow 0
		.amdhsa_exception_fp_ieee_inexact 0
		.amdhsa_exception_int_div_zero 0
	.end_amdhsa_kernel
	.section	.text._Z35paged_attention_ll4mi_reduce_kernelIDF16_hLi128ELi128ELi256ELi5EEvPT0_PKfS3_PKT_PKiS8_iS3_,"axG",@progbits,_Z35paged_attention_ll4mi_reduce_kernelIDF16_hLi128ELi128ELi256ELi5EEvPT0_PKfS3_PKT_PKiS8_iS3_,comdat
.Lfunc_end212:
	.size	_Z35paged_attention_ll4mi_reduce_kernelIDF16_hLi128ELi128ELi256ELi5EEvPT0_PKfS3_PKT_PKiS8_iS3_, .Lfunc_end212-_Z35paged_attention_ll4mi_reduce_kernelIDF16_hLi128ELi128ELi256ELi5EEvPT0_PKfS3_PKT_PKiS8_iS3_
                                        ; -- End function
	.section	.AMDGPU.csdata,"",@progbits
; Kernel info:
; codeLenInByte = 8660
; NumSgprs: 46
; NumVgprs: 92
; NumAgprs: 0
; TotalNumVgprs: 92
; ScratchSize: 0
; MemoryBound: 0
; FloatMode: 240
; IeeeMode: 1
; LDSByteSize: 1284 bytes/workgroup (compile time only)
; SGPRBlocks: 5
; VGPRBlocks: 11
; NumSGPRsForWavesPerEU: 46
; NumVGPRsForWavesPerEU: 92
; AccumOffset: 92
; Occupancy: 5
; WaveLimiterHint : 1
; COMPUTE_PGM_RSRC2:SCRATCH_EN: 0
; COMPUTE_PGM_RSRC2:USER_SGPR: 2
; COMPUTE_PGM_RSRC2:TRAP_HANDLER: 0
; COMPUTE_PGM_RSRC2:TGID_X_EN: 1
; COMPUTE_PGM_RSRC2:TGID_Y_EN: 1
; COMPUTE_PGM_RSRC2:TGID_Z_EN: 0
; COMPUTE_PGM_RSRC2:TIDIG_COMP_CNT: 0
; COMPUTE_PGM_RSRC3_GFX90A:ACCUM_OFFSET: 22
; COMPUTE_PGM_RSRC3_GFX90A:TG_SPLIT: 0
	.section	.text._Z35paged_attention_ll4mi_reduce_kernelIDF16_hLi128ELi128ELi256ELi6EEvPT0_PKfS3_PKT_PKiS8_iS3_,"axG",@progbits,_Z35paged_attention_ll4mi_reduce_kernelIDF16_hLi128ELi128ELi256ELi6EEvPT0_PKfS3_PKT_PKiS8_iS3_,comdat
	.protected	_Z35paged_attention_ll4mi_reduce_kernelIDF16_hLi128ELi128ELi256ELi6EEvPT0_PKfS3_PKT_PKiS8_iS3_ ; -- Begin function _Z35paged_attention_ll4mi_reduce_kernelIDF16_hLi128ELi128ELi256ELi6EEvPT0_PKfS3_PKT_PKiS8_iS3_
	.globl	_Z35paged_attention_ll4mi_reduce_kernelIDF16_hLi128ELi128ELi256ELi6EEvPT0_PKfS3_PKT_PKiS8_iS3_
	.p2align	8
	.type	_Z35paged_attention_ll4mi_reduce_kernelIDF16_hLi128ELi128ELi256ELi6EEvPT0_PKfS3_PKT_PKiS8_iS3_,@function
_Z35paged_attention_ll4mi_reduce_kernelIDF16_hLi128ELi128ELi256ELi6EEvPT0_PKfS3_PKT_PKiS8_iS3_: ; @_Z35paged_attention_ll4mi_reduce_kernelIDF16_hLi128ELi128ELi256ELi6EEvPT0_PKfS3_PKT_PKiS8_iS3_
; %bb.0:
	s_load_dwordx2 s[26:27], s[0:1], 0x28
	s_mov_b32 s24, s3
	s_mov_b64 s[4:5], 0
	s_waitcnt lgkmcnt(0)
	s_cmp_lg_u64 s[26:27], 0
	s_cselect_b64 s[28:29], -1, 0
	s_and_b64 vcc, exec, s[28:29]
	s_cbranch_vccz .LBB213_23
; %bb.1:
	s_add_i32 s6, s24, 1
	s_mov_b32 s7, 0
	s_lshl_b64 s[8:9], s[6:7], 2
	s_add_u32 s8, s26, s8
	s_mov_b32 s25, s7
	s_addc_u32 s9, s27, s9
	s_lshl_b64 s[6:7], s[24:25], 2
	s_add_u32 s6, s26, s6
	s_addc_u32 s7, s27, s7
	s_load_dword s3, s[8:9], 0x0
	s_load_dword s10, s[6:7], 0x0
	s_waitcnt lgkmcnt(0)
	s_sub_i32 s3, s3, s10
	s_cmp_eq_u32 s3, 1
	s_cselect_b64 s[6:7], -1, 0
	s_andn2_b64 vcc, exec, s[4:5]
	s_cbranch_vccnz .LBB213_3
.LBB213_2:
	s_mov_b32 s25, 0
	s_mov_b64 s[6:7], -1
.LBB213_3:
	s_andn2_b64 vcc, exec, s[6:7]
	s_cbranch_vccz .LBB213_5
; %bb.4:
	s_endpgm
.LBB213_5:
	s_load_dwordx4 s[16:19], s[0:1], 0x18
	s_load_dword s8, s[0:1], 0x30
	s_lshl_b64 s[30:31], s[24:25], 2
	v_cmp_lt_u32_e32 vcc, 63, v0
	s_waitcnt lgkmcnt(0)
	s_add_u32 s4, s18, s30
	s_addc_u32 s5, s19, s31
	s_load_dword s38, s[4:5], 0x0
	s_load_dword s3, s[0:1], 0x40
	s_mul_i32 s18, s2, s8
	s_mul_i32 s6, s24, s8
	s_waitcnt lgkmcnt(0)
	s_add_i32 s7, s38, 0xff
	s_ashr_i32 s4, s7, 31
	s_lshr_b32 s4, s4, 24
	s_add_i32 s7, s7, s4
	s_and_saveexec_b64 s[4:5], vcc
	s_xor_b64 s[4:5], exec, s[4:5]
	s_or_saveexec_b64 s[34:35], s[4:5]
	s_ashr_i32 s33, s7, 8
	v_mov_b32_e32 v1, s18
	s_mul_i32 s36, s6, s3
	s_xor_b64 exec, exec, s[34:35]
	s_cbranch_execz .LBB213_9
; %bb.6:
	s_add_i32 s4, s33, -1
	v_or_b32_e32 v3, 64, v0
	v_mov_b32_e32 v1, s4
	v_cmp_gt_u32_e64 s[10:11], s33, v3
	s_load_dwordx4 s[20:23], s[0:1], 0x8
	s_mov_b32 s37, 0
	v_cndmask_b32_e64 v4, v1, v3, s[10:11]
	v_or_b32_e32 v3, 0x80, v0
	v_cmp_gt_u32_e64 s[8:9], s33, v3
	s_lshl_b64 s[14:15], s[36:37], 2
	s_mov_b32 s19, s37
	v_cndmask_b32_e64 v6, v1, v3, s[8:9]
	v_or_b32_e32 v3, 0xc0, v0
	v_cmp_gt_u32_e64 s[6:7], s33, v3
	v_cmp_gt_u32_e64 s[12:13], s33, v0
	s_waitcnt lgkmcnt(0)
	s_add_u32 s37, s22, s14
	v_cndmask_b32_e64 v8, v1, v3, s[6:7]
	v_or_b32_e32 v3, 0x100, v0
	v_cmp_gt_u32_e64 s[4:5], s33, v3
	v_cndmask_b32_e64 v2, v1, v0, s[12:13]
	s_addc_u32 s39, s23, s15
	v_cndmask_b32_e64 v10, v1, v3, s[4:5]
	v_or_b32_e32 v3, 0x140, v0
	v_cmp_gt_u32_e32 vcc, s33, v3
	s_lshl_b64 s[22:23], s[18:19], 2
	s_add_u32 s40, s37, s22
	v_cndmask_b32_e32 v12, v1, v3, vcc
	v_ashrrev_i32_e32 v3, 31, v2
	s_addc_u32 s41, s39, s23
	v_lshlrev_b64 v[2:3], 2, v[2:3]
	v_ashrrev_i32_e32 v5, 31, v4
	v_ashrrev_i32_e32 v7, 31, v6
	;; [unrolled: 1-line block ×5, first 2 shown]
	v_lshl_add_u64 v[14:15], s[40:41], 0, v[2:3]
	v_lshlrev_b64 v[4:5], 2, v[4:5]
	v_lshlrev_b64 v[6:7], 2, v[6:7]
	;; [unrolled: 1-line block ×5, first 2 shown]
	v_lshl_add_u64 v[16:17], s[40:41], 0, v[4:5]
	v_lshl_add_u64 v[18:19], s[40:41], 0, v[6:7]
	;; [unrolled: 1-line block ×5, first 2 shown]
	global_load_dword v1, v[14:15], off
	global_load_dword v26, v[16:17], off
	;; [unrolled: 1-line block ×6, first 2 shown]
	v_mbcnt_lo_u32_b32 v14, -1, 0
	s_add_u32 s14, s20, s14
	v_mbcnt_hi_u32_b32 v14, -1, v14
	s_addc_u32 s15, s21, s15
	v_and_b32_e32 v15, 64, v14
	s_add_u32 s20, s14, s22
	v_xor_b32_e32 v16, 32, v14
	v_add_u32_e32 v15, 64, v15
	s_addc_u32 s21, s15, s23
	v_lshl_add_u64 v[2:3], s[20:21], 0, v[2:3]
	v_cmp_lt_i32_e64 s[14:15], v16, v15
	global_load_dword v20, v[2:3], off
	v_xor_b32_e32 v17, 16, v14
	v_cndmask_b32_e64 v2, v14, v16, s[14:15]
	v_lshlrev_b32_e32 v16, 2, v2
	v_cmp_lt_i32_e64 s[14:15], v17, v15
	v_xor_b32_e32 v18, 8, v14
	v_xor_b32_e32 v19, 4, v14
	s_mov_b32 s19, 0x3fb8aa3b
	s_mov_b32 s37, 0xc2ce8ed0
	s_waitcnt vmcnt(6)
	v_max_f32_e32 v3, v1, v1
	s_waitcnt vmcnt(5)
	v_max_f32_e32 v2, v26, v26
	v_max_f32_e32 v2, v3, v2
	s_waitcnt vmcnt(3)
	v_max3_f32 v2, v2, v27, v28
	s_waitcnt vmcnt(1)
	v_max3_f32 v21, v2, v29, v30
	ds_bpermute_b32 v22, v16, v21
	v_cndmask_b32_e64 v2, v14, v17, s[14:15]
	v_lshlrev_b32_e32 v17, 2, v2
	v_lshl_add_u64 v[2:3], s[20:21], 0, v[4:5]
	global_load_dword v23, v[2:3], off
	s_waitcnt lgkmcnt(0)
	v_max_f32_e32 v2, v22, v22
	v_max_f32_e32 v2, v21, v2
	ds_bpermute_b32 v3, v17, v2
	v_cmp_lt_i32_e64 s[14:15], v18, v15
	v_xor_b32_e32 v4, 2, v14
	s_waitcnt lgkmcnt(0)
	v_max_f32_e32 v3, v3, v3
	v_cndmask_b32_e64 v5, v14, v18, s[14:15]
	v_lshlrev_b32_e32 v18, 2, v5
	v_max_f32_e32 v5, v2, v3
	ds_bpermute_b32 v21, v18, v5
	v_cmp_lt_i32_e64 s[14:15], v19, v15
	s_nop 1
	v_cndmask_b32_e64 v2, v14, v19, s[14:15]
	v_lshlrev_b32_e32 v19, 2, v2
	v_lshl_add_u64 v[2:3], s[20:21], 0, v[6:7]
	global_load_dword v6, v[2:3], off
	s_waitcnt lgkmcnt(0)
	v_max_f32_e32 v2, v21, v21
	v_max_f32_e32 v2, v5, v2
	ds_bpermute_b32 v3, v19, v2
	v_xor_b32_e32 v5, 1, v14
	v_cmp_lt_i32_e64 s[14:15], v4, v15
	s_waitcnt lgkmcnt(0)
	v_max_f32_e32 v3, v3, v3
	v_cndmask_b32_e64 v4, v14, v4, s[14:15]
	v_cmp_lt_i32_e64 s[14:15], v5, v15
	v_max_f32_e32 v21, v2, v3
	v_lshlrev_b32_e32 v7, 2, v4
	v_cndmask_b32_e64 v2, v14, v5, s[14:15]
	v_lshlrev_b32_e32 v14, 2, v2
	v_lshl_add_u64 v[2:3], s[20:21], 0, v[8:9]
	v_lshl_add_u64 v[4:5], s[20:21], 0, v[10:11]
	global_load_dword v10, v[2:3], off
	v_lshl_add_u64 v[2:3], s[20:21], 0, v[12:13]
	global_load_dword v11, v[4:5], off
	global_load_dword v12, v[2:3], off
	ds_bpermute_b32 v22, v7, v21
	s_mov_b32 s20, 0x42b17218
	s_waitcnt lgkmcnt(0)
	v_max_f32_e32 v8, v22, v22
	v_max_f32_e32 v8, v21, v8
	ds_bpermute_b32 v9, v14, v8
	s_waitcnt lgkmcnt(0)
	v_max_f32_e32 v2, v9, v9
	v_max_f32_e32 v2, v8, v2
	v_sub_f32_e32 v1, v1, v2
	v_mul_f32_e32 v4, 0x3fb8aa3b, v1
	v_fma_f32 v8, v1, s19, -v4
	v_rndne_f32_e32 v9, v4
	v_sub_f32_e32 v3, v26, v2
	v_fmac_f32_e32 v8, 0x32a5705f, v1
	v_sub_f32_e32 v4, v4, v9
	v_mul_f32_e32 v5, 0x3fb8aa3b, v3
	v_add_f32_e32 v4, v4, v8
	v_fma_f32 v13, v3, s19, -v5
	v_rndne_f32_e32 v15, v5
	v_cvt_i32_f32_e32 v9, v9
	v_exp_f32_e32 v4, v4
	v_fmac_f32_e32 v13, 0x32a5705f, v3
	v_sub_f32_e32 v5, v5, v15
	v_add_f32_e32 v5, v5, v13
	v_cvt_i32_f32_e32 v15, v15
	v_exp_f32_e32 v5, v5
	v_ldexp_f32 v4, v4, v9
	v_cmp_ngt_f32_e64 s[14:15], s37, v1
	v_mov_b32_e32 v8, 0x7f800000
	v_ldexp_f32 v5, v5, v15
	v_cndmask_b32_e64 v4, 0, v4, s[14:15]
	v_cmp_nlt_f32_e64 s[14:15], s20, v1
	s_nop 1
	v_cndmask_b32_e64 v1, v8, v4, s[14:15]
	v_cndmask_b32_e64 v1, 0, v1, s[12:13]
	v_cmp_ngt_f32_e64 s[12:13], s37, v3
	s_waitcnt vmcnt(5)
	v_mul_f32_e32 v4, v20, v1
	v_cndmask_b32_e64 v1, 0, v5, s[12:13]
	v_sub_f32_e32 v5, v27, v2
	v_mul_f32_e32 v9, 0x3fb8aa3b, v5
	v_fma_f32 v13, v5, s19, -v9
	v_rndne_f32_e32 v15, v9
	v_fmac_f32_e32 v13, 0x32a5705f, v5
	v_sub_f32_e32 v9, v9, v15
	v_add_f32_e32 v9, v9, v13
	v_exp_f32_e32 v9, v9
	v_cvt_i32_f32_e32 v13, v15
	v_cmp_nlt_f32_e64 s[12:13], s20, v3
	s_nop 1
	v_cndmask_b32_e64 v1, v8, v1, s[12:13]
	v_cndmask_b32_e64 v1, 0, v1, s[10:11]
	s_waitcnt vmcnt(4)
	v_mul_f32_e32 v3, v23, v1
	v_ldexp_f32 v1, v9, v13
	v_sub_f32_e32 v9, v28, v2
	v_mul_f32_e32 v13, 0x3fb8aa3b, v9
	v_fma_f32 v15, v9, s19, -v13
	v_rndne_f32_e32 v20, v13
	v_fmac_f32_e32 v15, 0x32a5705f, v9
	v_sub_f32_e32 v13, v13, v20
	v_cmp_ngt_f32_e64 s[10:11], s37, v5
	v_add_f32_e32 v13, v13, v15
	v_exp_f32_e32 v13, v13
	v_cndmask_b32_e64 v1, 0, v1, s[10:11]
	v_cvt_i32_f32_e32 v15, v20
	v_cmp_nlt_f32_e64 s[10:11], s20, v5
	s_nop 1
	v_cndmask_b32_e64 v1, v8, v1, s[10:11]
	v_cndmask_b32_e64 v1, 0, v1, s[8:9]
	s_waitcnt vmcnt(3)
	v_mul_f32_e32 v5, v6, v1
	v_sub_f32_e32 v6, v29, v2
	v_ldexp_f32 v1, v13, v15
	v_mul_f32_e32 v13, 0x3fb8aa3b, v6
	v_fma_f32 v15, v6, s19, -v13
	v_rndne_f32_e32 v20, v13
	v_fmac_f32_e32 v15, 0x32a5705f, v6
	v_sub_f32_e32 v13, v13, v20
	v_cmp_ngt_f32_e64 s[8:9], s37, v9
	v_add_f32_e32 v13, v13, v15
	v_exp_f32_e32 v13, v13
	v_cndmask_b32_e64 v1, 0, v1, s[8:9]
	v_cvt_i32_f32_e32 v15, v20
	v_cmp_nlt_f32_e64 s[8:9], s20, v9
	v_sub_f32_e32 v2, v30, v2
	s_nop 0
	v_cndmask_b32_e64 v1, v8, v1, s[8:9]
	v_cndmask_b32_e64 v1, 0, v1, s[6:7]
	s_waitcnt vmcnt(2)
	v_mul_f32_e32 v9, v10, v1
	v_mul_f32_e32 v10, 0x3fb8aa3b, v2
	v_ldexp_f32 v1, v13, v15
	v_fma_f32 v13, v2, s19, -v10
	v_rndne_f32_e32 v15, v10
	v_fmac_f32_e32 v13, 0x32a5705f, v2
	v_sub_f32_e32 v10, v10, v15
	v_add_f32_e32 v10, v10, v13
	v_cmp_ngt_f32_e64 s[6:7], s37, v6
	v_exp_f32_e32 v10, v10
	v_cvt_i32_f32_e32 v13, v15
	v_cndmask_b32_e64 v1, 0, v1, s[6:7]
	v_cmp_nlt_f32_e64 s[6:7], s20, v6
	s_nop 1
	v_cndmask_b32_e64 v1, v8, v1, s[6:7]
	v_cndmask_b32_e64 v1, 0, v1, s[4:5]
	s_waitcnt vmcnt(1)
	v_mul_f32_e32 v6, v11, v1
	v_ldexp_f32 v1, v10, v13
	v_cmp_ngt_f32_e64 s[4:5], s37, v2
	s_nop 1
	v_cndmask_b32_e64 v1, 0, v1, s[4:5]
	v_cmp_nlt_f32_e64 s[4:5], s20, v2
	s_nop 1
	v_cndmask_b32_e64 v1, v8, v1, s[4:5]
	v_cndmask_b32_e32 v1, 0, v1, vcc
	s_waitcnt vmcnt(0)
	v_mul_f32_e32 v8, v12, v1
	v_add_f32_e32 v1, v4, v3
	v_add_f32_e32 v1, v1, v5
	;; [unrolled: 1-line block ×5, first 2 shown]
	ds_bpermute_b32 v2, v16, v1
	v_cmp_eq_u32_e32 vcc, 0, v0
	s_waitcnt lgkmcnt(0)
	v_add_f32_e32 v1, v1, v2
	ds_bpermute_b32 v2, v17, v1
	s_waitcnt lgkmcnt(0)
	v_add_f32_e32 v1, v1, v2
	ds_bpermute_b32 v2, v18, v1
	;; [unrolled: 3-line block ×4, first 2 shown]
	v_lshlrev_b32_e32 v7, 2, v0
	ds_write2st64_b32 v7, v4, v3 offset1:1
	ds_write2st64_b32 v7, v5, v9 offset0:2 offset1:3
	ds_write2st64_b32 v7, v6, v8 offset0:4 offset1:5
	s_waitcnt lgkmcnt(3)
	v_add_f32_e32 v1, v1, v2
	ds_bpermute_b32 v2, v14, v1
	s_and_saveexec_b64 s[4:5], vcc
	s_cbranch_execz .LBB213_8
; %bb.7:
	s_waitcnt lgkmcnt(0)
	v_add_f32_e32 v1, v1, v2
	v_mov_b32_e32 v2, 0
	ds_write_b32 v2, v1 offset:1536
.LBB213_8:
	s_or_b64 exec, exec, s[4:5]
	v_mov_b32_e32 v1, s18
.LBB213_9:
	s_or_b64 exec, exec, s[34:35]
	s_lshl_b32 s4, s36, 7
	s_mov_b32 s5, 0
	s_lshl_b64 s[4:5], s[4:5], 1
	s_add_u32 s4, s16, s4
	s_addc_u32 s5, s17, s5
	s_lshl_b32 s10, s33, 7
	s_waitcnt lgkmcnt(0)
	v_lshlrev_b32_e32 v2, 7, v1
	v_mov_b32_e32 v1, 0
	s_add_i32 s11, s10, 0xffffff80
	v_mov_b32_e32 v3, v1
	s_cmp_lt_i32 s38, 1
	v_lshl_add_u64 v[2:3], v[2:3], 1, s[4:5]
	s_cselect_b32 s4, s11, 0
	v_lshlrev_b32_e32 v4, 1, v0
	v_mov_b32_e32 v5, v1
	s_ashr_i32 s5, s4, 31
	v_lshl_add_u64 v[2:3], v[2:3], 0, v[4:5]
	s_cmpk_lt_i32 s38, 0x101
	v_lshl_add_u64 v[12:13], s[4:5], 1, v[2:3]
	s_cselect_b32 s4, s11, 0x80
	s_ashr_i32 s5, s4, 31
	s_cmpk_lt_i32 s38, 0x201
	v_lshl_add_u64 v[14:15], s[4:5], 1, v[2:3]
	s_cselect_b32 s4, s11, 0x100
	s_ashr_i32 s5, s4, 31
	;; [unrolled: 4-line block ×8, first 2 shown]
	s_cmpk_lt_i32 s38, 0x901
	global_load_ushort v4, v[12:13], off
	global_load_ushort v5, v[14:15], off
	;; [unrolled: 1-line block ×8, first 2 shown]
	v_lshl_add_u64 v[20:21], s[4:5], 1, v[2:3]
	s_cselect_b32 s4, s11, 0x480
	s_ashr_i32 s5, s4, 31
	s_cmpk_lt_i32 s38, 0xa01
	v_lshl_add_u64 v[22:23], s[4:5], 1, v[2:3]
	s_cselect_b32 s4, s11, 0x500
	s_ashr_i32 s5, s4, 31
	s_cmpk_lt_i32 s38, 0xb01
	;; [unrolled: 4-line block ×6, first 2 shown]
	v_lshl_add_u64 v[32:33], s[4:5], 1, v[2:3]
	s_cselect_b32 s4, s11, 0x780
	s_ashr_i32 s5, s4, 31
	v_lshl_add_u64 v[34:35], s[4:5], 1, v[2:3]
	global_load_ushort v12, v[20:21], off
	global_load_ushort v13, v[22:23], off
	;; [unrolled: 1-line block ×8, first 2 shown]
	s_cmpk_gt_i32 s38, 0x1000
	s_cselect_b64 s[8:9], -1, 0
	s_cmpk_lt_i32 s38, 0x1001
	v_mov_b32_e32 v36, 0
	v_mov_b32_e32 v37, 0
	;; [unrolled: 1-line block ×48, first 2 shown]
	s_barrier
	s_cbranch_scc1 .LBB213_12
; %bb.10:
	s_cmpk_lt_u32 s38, 0x1101
	s_cselect_b32 s4, s11, 0x880
	s_ashr_i32 s5, s4, 31
	s_cmpk_lt_u32 s38, 0x1201
	v_lshl_add_u64 v[30:31], s[4:5], 1, v[2:3]
	s_cselect_b32 s4, s11, 0x900
	s_ashr_i32 s5, s4, 31
	s_cmpk_lt_u32 s38, 0x1301
	v_lshl_add_u64 v[32:33], s[4:5], 1, v[2:3]
	;; [unrolled: 4-line block ×7, first 2 shown]
	s_cselect_b32 s4, s11, 0xc00
	v_add_co_u32_e32 v28, vcc, 0x1000, v2
	s_ashr_i32 s5, s4, 31
	s_nop 0
	v_addc_co_u32_e32 v29, vcc, 0, v3, vcc
	s_cmpk_lt_u32 s38, 0x1901
	global_load_ushort v27, v[28:29], off
	global_load_ushort v26, v[30:31], off
	;; [unrolled: 1-line block ×8, first 2 shown]
	v_lshl_add_u64 v[36:37], s[4:5], 1, v[2:3]
	s_cselect_b32 s4, s11, 0xc80
	s_ashr_i32 s5, s4, 31
	s_cmpk_lt_u32 s38, 0x1a01
	v_lshl_add_u64 v[38:39], s[4:5], 1, v[2:3]
	s_cselect_b32 s4, s11, 0xd00
	s_ashr_i32 s5, s4, 31
	s_cmpk_lt_u32 s38, 0x1b01
	;; [unrolled: 4-line block ×6, first 2 shown]
	v_lshl_add_u64 v[48:49], s[4:5], 1, v[2:3]
	s_cselect_b32 s4, s11, 0xf80
	s_ashr_i32 s5, s4, 31
	v_lshl_add_u64 v[50:51], s[4:5], 1, v[2:3]
	global_load_ushort v35, v[36:37], off
	global_load_ushort v34, v[38:39], off
	;; [unrolled: 1-line block ×8, first 2 shown]
	s_cmpk_lt_u32 s38, 0x2001
	v_mov_b32_e32 v67, 0
	v_mov_b32_e32 v66, 0
	;; [unrolled: 1-line block ×32, first 2 shown]
	s_cbranch_scc1 .LBB213_12
; %bb.11:
	s_cmpk_lt_u32 s38, 0x2101
	s_cselect_b32 s4, s11, 0x1080
	s_ashr_i32 s5, s4, 31
	s_cmpk_lt_u32 s38, 0x2201
	v_lshl_add_u64 v[38:39], s[4:5], 1, v[2:3]
	s_cselect_b32 s4, s11, 0x1100
	s_ashr_i32 s5, s4, 31
	s_cmpk_lt_u32 s38, 0x2301
	v_lshl_add_u64 v[40:41], s[4:5], 1, v[2:3]
	;; [unrolled: 4-line block ×7, first 2 shown]
	s_cselect_b32 s4, s11, 0x1400
	v_add_co_u32_e32 v36, vcc, 0x2000, v2
	s_ashr_i32 s5, s4, 31
	s_nop 0
	v_addc_co_u32_e32 v37, vcc, 0, v3, vcc
	s_cmpk_lt_u32 s38, 0x2901
	global_load_ushort v52, v[36:37], off
	global_load_ushort v53, v[38:39], off
	;; [unrolled: 1-line block ×8, first 2 shown]
	v_lshl_add_u64 v[36:37], s[4:5], 1, v[2:3]
	s_cselect_b32 s4, s11, 0x1480
	s_ashr_i32 s5, s4, 31
	s_cmpk_lt_u32 s38, 0x2a01
	v_lshl_add_u64 v[38:39], s[4:5], 1, v[2:3]
	s_cselect_b32 s4, s11, 0x1500
	s_ashr_i32 s5, s4, 31
	s_cmpk_lt_u32 s38, 0x2b01
	;; [unrolled: 4-line block ×8, first 2 shown]
	global_load_ushort v68, v[36:37], off
	global_load_ushort v69, v[38:39], off
	;; [unrolled: 1-line block ×8, first 2 shown]
	v_lshl_add_u64 v[36:37], s[4:5], 1, v[2:3]
	s_cselect_b32 s4, s11, 0x1880
	s_ashr_i32 s5, s4, 31
	s_cmpk_lt_u32 s38, 0x3201
	v_lshl_add_u64 v[38:39], s[4:5], 1, v[2:3]
	s_cselect_b32 s4, s11, 0x1900
	s_ashr_i32 s5, s4, 31
	s_cmpk_lt_u32 s38, 0x3301
	;; [unrolled: 4-line block ×8, first 2 shown]
	global_load_ushort v76, v[36:37], off
	global_load_ushort v77, v[38:39], off
	;; [unrolled: 1-line block ×8, first 2 shown]
	v_lshl_add_u64 v[36:37], s[4:5], 1, v[2:3]
	s_cselect_b32 s4, s11, 0x1c80
	s_ashr_i32 s5, s4, 31
	s_cmpk_lt_u32 s38, 0x3a01
	v_lshl_add_u64 v[38:39], s[4:5], 1, v[2:3]
	s_cselect_b32 s4, s11, 0x1d00
	s_ashr_i32 s5, s4, 31
	s_cmpk_lt_u32 s38, 0x3b01
	;; [unrolled: 4-line block ×6, first 2 shown]
	v_lshl_add_u64 v[48:49], s[4:5], 1, v[2:3]
	s_cselect_b32 s4, s11, 0x1f80
	s_ashr_i32 s5, s4, 31
	v_lshl_add_u64 v[50:51], s[4:5], 1, v[2:3]
	global_load_ushort v84, v[36:37], off
	global_load_ushort v85, v[38:39], off
	;; [unrolled: 1-line block ×8, first 2 shown]
	s_waitcnt vmcnt(31)
	v_cvt_f32_f16_e32 v67, v52
	s_waitcnt vmcnt(30)
	v_cvt_f32_f16_e32 v66, v53
	;; [unrolled: 2-line block ×32, first 2 shown]
.LBB213_12:
	ds_read_b128 v[68:71], v1
	s_load_dwordx2 s[4:5], s[0:1], 0x0
	s_load_dwordx2 s[6:7], s[0:1], 0x38
	ds_read_b128 v[72:75], v1 offset:16
	ds_read_b128 v[76:79], v1 offset:32
	;; [unrolled: 1-line block ×3, first 2 shown]
	s_and_b64 vcc, exec, s[8:9]
	s_waitcnt vmcnt(15) lgkmcnt(0)
	v_fma_mix_f32 v4, v68, v4, 0 op_sel_hi:[0,1,0]
	s_waitcnt vmcnt(14)
	v_fma_mix_f32 v4, v69, v5, v4 op_sel_hi:[0,1,0]
	s_waitcnt vmcnt(13)
	;; [unrolled: 2-line block ×15, first 2 shown]
	v_fma_mix_f32 v4, v83, v19, v4 op_sel_hi:[0,1,0]
	s_cbranch_vccz .LBB213_15
; %bb.13:
	ds_read_b128 v[6:9], v1 offset:64
	ds_read_b128 v[10:13], v1 offset:80
	;; [unrolled: 1-line block ×4, first 2 shown]
	s_cmpk_lt_u32 s38, 0x2001
	s_waitcnt lgkmcnt(3)
	v_fma_mix_f32 v4, v6, v27, v4 op_sel_hi:[0,1,0]
	v_fma_mix_f32 v4, v7, v26, v4 op_sel_hi:[0,1,0]
	v_fma_mix_f32 v4, v8, v25, v4 op_sel_hi:[0,1,0]
	v_fma_mix_f32 v4, v9, v24, v4 op_sel_hi:[0,1,0]
	s_waitcnt lgkmcnt(2)
	v_fma_mix_f32 v4, v10, v23, v4 op_sel_hi:[0,1,0]
	v_fma_mix_f32 v4, v11, v22, v4 op_sel_hi:[0,1,0]
	v_fma_mix_f32 v4, v12, v21, v4 op_sel_hi:[0,1,0]
	v_fma_mix_f32 v4, v13, v20, v4 op_sel_hi:[0,1,0]
	;; [unrolled: 5-line block ×4, first 2 shown]
	s_cbranch_scc1 .LBB213_15
; %bb.14:
	v_mov_b32_e32 v5, 0
	ds_read_b128 v[6:9], v5 offset:128
	ds_read_b128 v[10:13], v5 offset:144
	;; [unrolled: 1-line block ×4, first 2 shown]
	s_waitcnt lgkmcnt(3)
	v_fmac_f32_e32 v4, v6, v67
	v_fmac_f32_e32 v4, v7, v66
	v_fmac_f32_e32 v4, v8, v65
	v_fmac_f32_e32 v4, v9, v64
	s_waitcnt lgkmcnt(2)
	v_fmac_f32_e32 v4, v10, v63
	v_fmac_f32_e32 v4, v11, v62
	v_fmac_f32_e32 v4, v12, v61
	v_fmac_f32_e32 v4, v13, v60
	;; [unrolled: 5-line block ×3, first 2 shown]
	ds_read_b128 v[6:9], v5 offset:192
	ds_read_b128 v[10:13], v5 offset:208
	s_waitcnt lgkmcnt(2)
	v_fmac_f32_e32 v4, v18, v55
	v_fmac_f32_e32 v4, v19, v54
	v_fmac_f32_e32 v4, v20, v53
	v_fmac_f32_e32 v4, v21, v52
	s_waitcnt lgkmcnt(1)
	v_fmac_f32_e32 v4, v6, v51
	v_fmac_f32_e32 v4, v7, v50
	;; [unrolled: 1-line block ×4, first 2 shown]
	ds_read_b128 v[6:9], v5 offset:224
	s_waitcnt lgkmcnt(1)
	v_fmac_f32_e32 v4, v10, v47
	v_fmac_f32_e32 v4, v11, v46
	;; [unrolled: 1-line block ×4, first 2 shown]
	ds_read_b128 v[10:13], v5 offset:240
	s_waitcnt lgkmcnt(1)
	v_fmac_f32_e32 v4, v6, v43
	v_fmac_f32_e32 v4, v7, v42
	;; [unrolled: 1-line block ×4, first 2 shown]
	s_waitcnt lgkmcnt(0)
	v_fmac_f32_e32 v4, v10, v39
	v_fmac_f32_e32 v4, v11, v38
	;; [unrolled: 1-line block ×4, first 2 shown]
.LBB213_15:
	s_movk_i32 s0, 0x3f80
	s_movk_i32 s1, 0x100
	s_mov_b32 s8, 64
	s_branch .LBB213_17
.LBB213_16:                             ;   in Loop: Header=BB213_17 Depth=1
	s_addk_i32 s0, 0x2000
	s_addk_i32 s1, 0x100
	s_add_i32 s8, s8, 64
	s_cmpk_eq_u32 s0, 0xdf80
	s_cbranch_scc1 .LBB213_19
.LBB213_17:                             ; =>This Inner Loop Header: Depth=1
	s_cmp_le_i32 s33, s8
	s_cbranch_scc1 .LBB213_16
; %bb.18:                               ;   in Loop: Header=BB213_17 Depth=1
	s_add_i32 s9, s0, 0xffffe080
	s_cmp_lt_i32 s9, s10
	s_cselect_b32 s12, s9, s11
	s_ashr_i32 s13, s12, 31
	s_add_i32 s9, s0, 0xffffe100
	s_cmp_lt_i32 s9, s10
	v_lshl_add_u64 v[14:15], s[12:13], 1, v[2:3]
	s_cselect_b32 s12, s9, s11
	s_ashr_i32 s13, s12, 31
	s_add_i32 s9, s0, 0xffffe180
	s_cmp_lt_i32 s9, s10
	v_lshl_add_u64 v[16:17], s[12:13], 1, v[2:3]
	s_cselect_b32 s12, s9, s11
	s_ashr_i32 s13, s12, 31
	s_add_i32 s9, s0, 0xffffe200
	s_cmp_lt_i32 s9, s10
	v_lshl_add_u64 v[18:19], s[12:13], 1, v[2:3]
	s_cselect_b32 s12, s9, s11
	s_ashr_i32 s13, s12, 31
	s_add_i32 s9, s0, 0xffffe280
	s_cmp_lt_i32 s9, s10
	v_lshl_add_u64 v[20:21], s[12:13], 1, v[2:3]
	s_cselect_b32 s12, s9, s11
	s_ashr_i32 s13, s12, 31
	s_add_i32 s9, s0, 0xffffe300
	s_cmp_lt_i32 s9, s10
	v_lshl_add_u64 v[22:23], s[12:13], 1, v[2:3]
	s_cselect_b32 s12, s9, s11
	s_ashr_i32 s13, s12, 31
	s_add_i32 s9, s0, 0xffffe380
	s_cmp_lt_i32 s9, s10
	v_lshl_add_u64 v[24:25], s[12:13], 1, v[2:3]
	s_cselect_b32 s12, s9, s11
	s_ashr_i32 s13, s12, 31
	s_add_i32 s9, s0, 0xffffe400
	s_cmp_lt_i32 s9, s10
	v_lshl_add_u64 v[26:27], s[12:13], 1, v[2:3]
	s_cselect_b32 s12, s9, s11
	s_ashr_i32 s13, s12, 31
	s_add_i32 s9, s0, 0xffffe480
	s_cmp_lt_i32 s9, s10
	v_lshl_add_u64 v[28:29], s[12:13], 1, v[2:3]
	s_cselect_b32 s12, s9, s11
	s_ashr_i32 s13, s12, 31
	s_add_i32 s9, s0, 0xffffe500
	s_cmp_lt_i32 s9, s10
	global_load_ushort v5, v[14:15], off
	global_load_ushort v6, v[16:17], off
	global_load_ushort v7, v[18:19], off
	global_load_ushort v8, v[20:21], off
	global_load_ushort v9, v[22:23], off
	global_load_ushort v10, v[24:25], off
	global_load_ushort v11, v[26:27], off
	global_load_ushort v12, v[28:29], off
	v_lshl_add_u64 v[14:15], s[12:13], 1, v[2:3]
	s_cselect_b32 s12, s9, s11
	s_ashr_i32 s13, s12, 31
	s_add_i32 s9, s0, 0xffffe580
	s_cmp_lt_i32 s9, s10
	v_lshl_add_u64 v[16:17], s[12:13], 1, v[2:3]
	s_cselect_b32 s12, s9, s11
	s_ashr_i32 s13, s12, 31
	s_add_i32 s9, s0, 0xffffe600
	s_cmp_lt_i32 s9, s10
	v_lshl_add_u64 v[18:19], s[12:13], 1, v[2:3]
	s_cselect_b32 s12, s9, s11
	s_ashr_i32 s13, s12, 31
	s_add_i32 s9, s0, 0xffffe680
	s_cmp_lt_i32 s9, s10
	v_lshl_add_u64 v[20:21], s[12:13], 1, v[2:3]
	s_cselect_b32 s12, s9, s11
	s_ashr_i32 s13, s12, 31
	s_add_i32 s9, s0, 0xffffe700
	s_cmp_lt_i32 s9, s10
	v_lshl_add_u64 v[22:23], s[12:13], 1, v[2:3]
	s_cselect_b32 s12, s9, s11
	s_ashr_i32 s13, s12, 31
	s_add_i32 s9, s0, 0xffffe780
	s_cmp_lt_i32 s9, s10
	v_lshl_add_u64 v[24:25], s[12:13], 1, v[2:3]
	s_cselect_b32 s12, s9, s11
	s_ashr_i32 s13, s12, 31
	s_add_i32 s9, s0, 0xffffe800
	s_cmp_lt_i32 s9, s10
	v_lshl_add_u64 v[26:27], s[12:13], 1, v[2:3]
	s_cselect_b32 s12, s9, s11
	s_ashr_i32 s13, s12, 31
	s_add_i32 s9, s0, 0xffffe880
	s_cmp_lt_i32 s9, s10
	v_lshl_add_u64 v[28:29], s[12:13], 1, v[2:3]
	s_cselect_b32 s12, s9, s11
	s_ashr_i32 s13, s12, 31
	s_add_i32 s9, s0, 0xffffe900
	s_cmp_lt_i32 s9, s10
	global_load_ushort v13, v[14:15], off
	global_load_ushort v30, v[16:17], off
	global_load_ushort v31, v[18:19], off
	global_load_ushort v32, v[20:21], off
	global_load_ushort v33, v[22:23], off
	global_load_ushort v34, v[24:25], off
	global_load_ushort v35, v[26:27], off
	global_load_ushort v36, v[28:29], off
	v_lshl_add_u64 v[14:15], s[12:13], 1, v[2:3]
	s_cselect_b32 s12, s9, s11
	s_ashr_i32 s13, s12, 31
	s_add_i32 s9, s0, 0xffffe980
	s_cmp_lt_i32 s9, s10
	v_lshl_add_u64 v[16:17], s[12:13], 1, v[2:3]
	s_cselect_b32 s12, s9, s11
	s_ashr_i32 s13, s12, 31
	s_add_i32 s9, s0, 0xffffea00
	s_cmp_lt_i32 s9, s10
	v_lshl_add_u64 v[18:19], s[12:13], 1, v[2:3]
	s_cselect_b32 s12, s9, s11
	s_ashr_i32 s13, s12, 31
	s_add_i32 s9, s0, 0xffffea80
	s_cmp_lt_i32 s9, s10
	v_lshl_add_u64 v[20:21], s[12:13], 1, v[2:3]
	s_cselect_b32 s12, s9, s11
	s_ashr_i32 s13, s12, 31
	s_add_i32 s9, s0, 0xffffeb00
	s_cmp_lt_i32 s9, s10
	v_lshl_add_u64 v[22:23], s[12:13], 1, v[2:3]
	s_cselect_b32 s12, s9, s11
	s_ashr_i32 s13, s12, 31
	s_add_i32 s9, s0, 0xffffeb80
	s_cmp_lt_i32 s9, s10
	v_lshl_add_u64 v[24:25], s[12:13], 1, v[2:3]
	s_cselect_b32 s12, s9, s11
	s_ashr_i32 s13, s12, 31
	s_add_i32 s9, s0, 0xffffec00
	s_cmp_lt_i32 s9, s10
	v_lshl_add_u64 v[26:27], s[12:13], 1, v[2:3]
	s_cselect_b32 s12, s9, s11
	s_ashr_i32 s13, s12, 31
	s_add_i32 s9, s0, 0xffffec80
	s_cmp_lt_i32 s9, s10
	v_lshl_add_u64 v[28:29], s[12:13], 1, v[2:3]
	;; [unrolled: 48-line block ×6, first 2 shown]
	s_cselect_b32 s12, s9, s11
	s_ashr_i32 s13, s12, 31
	s_add_i32 s9, s0, 0xfffffd00
	s_cmp_lt_i32 s9, s10
	global_load_ushort v69, v[14:15], off
	global_load_ushort v70, v[16:17], off
	;; [unrolled: 1-line block ×8, first 2 shown]
	v_lshl_add_u64 v[14:15], s[12:13], 1, v[2:3]
	s_cselect_b32 s12, s9, s11
	s_ashr_i32 s13, s12, 31
	s_add_i32 s9, s0, 0xfffffd80
	s_cmp_lt_i32 s9, s10
	v_lshl_add_u64 v[16:17], s[12:13], 1, v[2:3]
	s_cselect_b32 s12, s9, s11
	s_ashr_i32 s13, s12, 31
	s_add_i32 s9, s0, 0xfffffe00
	s_cmp_lt_i32 s9, s10
	;; [unrolled: 5-line block ×5, first 2 shown]
	v_lshl_add_u64 v[24:25], s[12:13], 1, v[2:3]
	s_cselect_b32 s12, s9, s11
	s_ashr_i32 s13, s12, 31
	s_cmp_lt_i32 s0, s10
	v_lshl_add_u64 v[26:27], s[12:13], 1, v[2:3]
	s_cselect_b32 s12, s0, s11
	s_ashr_i32 s13, s12, 31
	v_lshl_add_u64 v[28:29], s[12:13], 1, v[2:3]
	global_load_ushort v77, v[14:15], off
	global_load_ushort v78, v[16:17], off
	;; [unrolled: 1-line block ×8, first 2 shown]
	v_mov_b32_e32 v85, s1
	ds_read_b128 v[14:17], v85
	ds_read_b128 v[18:21], v85 offset:16
	ds_read_b128 v[22:25], v85 offset:32
	;; [unrolled: 1-line block ×3, first 2 shown]
	s_waitcnt vmcnt(62) lgkmcnt(3)
	v_fma_mix_f32 v4, v14, v5, v4 op_sel_hi:[0,1,0]
	v_fma_mix_f32 v4, v15, v6, v4 op_sel_hi:[0,1,0]
	s_waitcnt vmcnt(61)
	v_fma_mix_f32 v4, v16, v7, v4 op_sel_hi:[0,1,0]
	s_waitcnt vmcnt(60)
	v_fma_mix_f32 v4, v17, v8, v4 op_sel_hi:[0,1,0]
	s_waitcnt vmcnt(59) lgkmcnt(2)
	v_fma_mix_f32 v4, v18, v9, v4 op_sel_hi:[0,1,0]
	s_waitcnt vmcnt(58)
	v_fma_mix_f32 v4, v19, v10, v4 op_sel_hi:[0,1,0]
	s_waitcnt vmcnt(57)
	;; [unrolled: 2-line block ×3, first 2 shown]
	v_fma_mix_f32 v4, v21, v12, v4 op_sel_hi:[0,1,0]
	s_waitcnt vmcnt(55) lgkmcnt(1)
	v_fma_mix_f32 v4, v22, v13, v4 op_sel_hi:[0,1,0]
	s_waitcnt vmcnt(54)
	v_fma_mix_f32 v4, v23, v30, v4 op_sel_hi:[0,1,0]
	s_waitcnt vmcnt(53)
	v_fma_mix_f32 v4, v24, v31, v4 op_sel_hi:[0,1,0]
	s_waitcnt vmcnt(52)
	v_fma_mix_f32 v4, v25, v32, v4 op_sel_hi:[0,1,0]
	s_waitcnt vmcnt(51) lgkmcnt(0)
	v_fma_mix_f32 v8, v26, v33, v4 op_sel_hi:[0,1,0]
	ds_read_b128 v[4:7], v85 offset:64
	s_waitcnt vmcnt(50)
	v_fma_mix_f32 v8, v27, v34, v8 op_sel_hi:[0,1,0]
	s_waitcnt vmcnt(49)
	v_fma_mix_f32 v8, v28, v35, v8 op_sel_hi:[0,1,0]
	s_waitcnt vmcnt(48)
	v_fma_mix_f32 v12, v29, v36, v8 op_sel_hi:[0,1,0]
	ds_read_b128 v[8:11], v85 offset:80
	s_waitcnt vmcnt(47) lgkmcnt(1)
	v_fma_mix_f32 v4, v4, v37, v12 op_sel_hi:[0,1,0]
	s_waitcnt vmcnt(46)
	v_fma_mix_f32 v4, v5, v38, v4 op_sel_hi:[0,1,0]
	s_waitcnt vmcnt(45)
	v_fma_mix_f32 v4, v6, v39, v4 op_sel_hi:[0,1,0]
	s_waitcnt vmcnt(44)
	v_fma_mix_f32 v4, v7, v40, v4 op_sel_hi:[0,1,0]
	s_waitcnt vmcnt(43) lgkmcnt(0)
	v_fma_mix_f32 v8, v8, v41, v4 op_sel_hi:[0,1,0]
	ds_read_b128 v[4:7], v85 offset:96
	s_waitcnt vmcnt(42)
	v_fma_mix_f32 v8, v9, v42, v8 op_sel_hi:[0,1,0]
	s_waitcnt vmcnt(41)
	v_fma_mix_f32 v8, v10, v43, v8 op_sel_hi:[0,1,0]
	s_waitcnt vmcnt(40)
	v_fma_mix_f32 v12, v11, v44, v8 op_sel_hi:[0,1,0]
	ds_read_b128 v[8:11], v85 offset:112
	;; [unrolled: 18-line block ×6, first 2 shown]
	s_waitcnt vmcnt(7) lgkmcnt(1)
	v_fma_mix_f32 v4, v4, v77, v12 op_sel_hi:[0,1,0]
	s_waitcnt vmcnt(6)
	v_fma_mix_f32 v4, v5, v78, v4 op_sel_hi:[0,1,0]
	s_waitcnt vmcnt(5)
	;; [unrolled: 2-line block ×3, first 2 shown]
	v_fma_mix_f32 v4, v7, v80, v4 op_sel_hi:[0,1,0]
	s_waitcnt vmcnt(3) lgkmcnt(0)
	v_fma_mix_f32 v4, v8, v81, v4 op_sel_hi:[0,1,0]
	s_waitcnt vmcnt(2)
	v_fma_mix_f32 v4, v9, v82, v4 op_sel_hi:[0,1,0]
	s_waitcnt vmcnt(1)
	;; [unrolled: 2-line block ×3, first 2 shown]
	v_fma_mix_f32 v4, v11, v84, v4 op_sel_hi:[0,1,0]
	s_branch .LBB213_16
.LBB213_19:
	v_mov_b32_e32 v2, 0
	ds_read_b32 v2, v2 offset:1536
	s_cmp_lg_u64 s[6:7], 0
	s_cbranch_scc0 .LBB213_24
; %bb.20:
	s_load_dword s6, s[6:7], 0x0
	s_waitcnt lgkmcnt(0)
	v_div_scale_f32 v3, s[0:1], s6, s6, 1.0
	v_rcp_f32_e32 v5, v3
	v_div_scale_f32 v6, vcc, 1.0, s6, 1.0
	v_fma_f32 v7, -v3, v5, 1.0
	v_fmac_f32_e32 v5, v7, v5
	v_mul_f32_e32 v7, v6, v5
	v_fma_f32 v8, -v3, v7, v6
	v_fmac_f32_e32 v7, v8, v5
	v_fma_f32 v3, -v3, v7, v6
	v_div_fmas_f32 v3, v3, v5, v7
	v_div_fixup_f32 v3, v3, s6, 1.0
	s_andn2_b64 vcc, exec, s[28:29]
	s_cbranch_vccnz .LBB213_22
.LBB213_21:
	s_add_u32 s0, s26, s30
	s_addc_u32 s1, s27, s31
	s_load_dword s24, s[0:1], 0x0
	s_mov_b32 s25, 0
.LBB213_22:
	s_waitcnt lgkmcnt(0)
	v_add_f32_e32 v2, 0x358637bd, v2
	v_div_scale_f32 v5, s[0:1], v2, v2, 1.0
	v_rcp_f32_e32 v6, v5
	v_div_scale_f32 v7, vcc, 1.0, v2, 1.0
	s_mul_i32 s0, s3, s25
	v_fma_f32 v8, -v5, v6, 1.0
	v_fmac_f32_e32 v6, v8, v6
	v_mul_f32_e32 v8, v7, v6
	v_fma_f32 v9, -v5, v8, v7
	v_fmac_f32_e32 v8, v9, v6
	v_fma_f32 v5, -v5, v8, v7
	s_mul_hi_u32 s1, s3, s24
	v_div_fmas_f32 v5, v5, v6, v8
	s_add_i32 s1, s1, s0
	s_mul_i32 s0, s3, s24
	v_div_fixup_f32 v2, v5, v2, 1.0
	s_lshl_b64 s[0:1], s[0:1], 7
	v_mul_f32_e32 v2, v4, v2
	s_add_u32 s4, s4, s0
	s_mov_b32 s3, 0
	v_mul_f32_e32 v2, v2, v3
	s_addc_u32 s5, s5, s1
	s_lshl_b64 s[0:1], s[2:3], 7
	s_mov_b32 s2, 0x7f800000
	s_mov_b32 s3, 0x43700000
	v_mov_b32_e32 v3, 0xc3700000
	v_med3_f32 v3, v2, s3, v3
	v_cmp_nlg_f32_e64 vcc, |v2|, s2
	s_add_u32 s0, s4, s0
	s_addc_u32 s1, s5, s1
	v_cndmask_b32_e32 v2, v3, v2, vcc
	v_mov_b32_e32 v3, 0
	v_cvt_pk_fp8_f32 v3, v2, v2
	v_lshl_add_u64 v[0:1], s[0:1], 0, v[0:1]
	global_store_byte v[0:1], v3, off
	s_endpgm
.LBB213_23:
	s_mov_b64 s[6:7], 0
	s_branch .LBB213_2
.LBB213_24:
	v_mov_b32_e32 v3, 1.0
	s_andn2_b64 vcc, exec, s[28:29]
	s_cbranch_vccz .LBB213_21
	s_branch .LBB213_22
	.section	.rodata,"a",@progbits
	.p2align	6, 0x0
	.amdhsa_kernel _Z35paged_attention_ll4mi_reduce_kernelIDF16_hLi128ELi128ELi256ELi6EEvPT0_PKfS3_PKT_PKiS8_iS3_
		.amdhsa_group_segment_fixed_size 1540
		.amdhsa_private_segment_fixed_size 0
		.amdhsa_kernarg_size 320
		.amdhsa_user_sgpr_count 2
		.amdhsa_user_sgpr_dispatch_ptr 0
		.amdhsa_user_sgpr_queue_ptr 0
		.amdhsa_user_sgpr_kernarg_segment_ptr 1
		.amdhsa_user_sgpr_dispatch_id 0
		.amdhsa_user_sgpr_kernarg_preload_length 0
		.amdhsa_user_sgpr_kernarg_preload_offset 0
		.amdhsa_user_sgpr_private_segment_size 0
		.amdhsa_uses_dynamic_stack 0
		.amdhsa_enable_private_segment 0
		.amdhsa_system_sgpr_workgroup_id_x 1
		.amdhsa_system_sgpr_workgroup_id_y 1
		.amdhsa_system_sgpr_workgroup_id_z 0
		.amdhsa_system_sgpr_workgroup_info 0
		.amdhsa_system_vgpr_workitem_id 0
		.amdhsa_next_free_vgpr 92
		.amdhsa_next_free_sgpr 42
		.amdhsa_accum_offset 92
		.amdhsa_reserve_vcc 1
		.amdhsa_float_round_mode_32 0
		.amdhsa_float_round_mode_16_64 0
		.amdhsa_float_denorm_mode_32 3
		.amdhsa_float_denorm_mode_16_64 3
		.amdhsa_dx10_clamp 1
		.amdhsa_ieee_mode 1
		.amdhsa_fp16_overflow 0
		.amdhsa_tg_split 0
		.amdhsa_exception_fp_ieee_invalid_op 0
		.amdhsa_exception_fp_denorm_src 0
		.amdhsa_exception_fp_ieee_div_zero 0
		.amdhsa_exception_fp_ieee_overflow 0
		.amdhsa_exception_fp_ieee_underflow 0
		.amdhsa_exception_fp_ieee_inexact 0
		.amdhsa_exception_int_div_zero 0
	.end_amdhsa_kernel
	.section	.text._Z35paged_attention_ll4mi_reduce_kernelIDF16_hLi128ELi128ELi256ELi6EEvPT0_PKfS3_PKT_PKiS8_iS3_,"axG",@progbits,_Z35paged_attention_ll4mi_reduce_kernelIDF16_hLi128ELi128ELi256ELi6EEvPT0_PKfS3_PKT_PKiS8_iS3_,comdat
.Lfunc_end213:
	.size	_Z35paged_attention_ll4mi_reduce_kernelIDF16_hLi128ELi128ELi256ELi6EEvPT0_PKfS3_PKT_PKiS8_iS3_, .Lfunc_end213-_Z35paged_attention_ll4mi_reduce_kernelIDF16_hLi128ELi128ELi256ELi6EEvPT0_PKfS3_PKT_PKiS8_iS3_
                                        ; -- End function
	.section	.AMDGPU.csdata,"",@progbits
; Kernel info:
; codeLenInByte = 8872
; NumSgprs: 48
; NumVgprs: 92
; NumAgprs: 0
; TotalNumVgprs: 92
; ScratchSize: 0
; MemoryBound: 0
; FloatMode: 240
; IeeeMode: 1
; LDSByteSize: 1540 bytes/workgroup (compile time only)
; SGPRBlocks: 5
; VGPRBlocks: 11
; NumSGPRsForWavesPerEU: 48
; NumVGPRsForWavesPerEU: 92
; AccumOffset: 92
; Occupancy: 5
; WaveLimiterHint : 1
; COMPUTE_PGM_RSRC2:SCRATCH_EN: 0
; COMPUTE_PGM_RSRC2:USER_SGPR: 2
; COMPUTE_PGM_RSRC2:TRAP_HANDLER: 0
; COMPUTE_PGM_RSRC2:TGID_X_EN: 1
; COMPUTE_PGM_RSRC2:TGID_Y_EN: 1
; COMPUTE_PGM_RSRC2:TGID_Z_EN: 0
; COMPUTE_PGM_RSRC2:TIDIG_COMP_CNT: 0
; COMPUTE_PGM_RSRC3_GFX90A:ACCUM_OFFSET: 22
; COMPUTE_PGM_RSRC3_GFX90A:TG_SPLIT: 0
	.section	.text._Z35paged_attention_ll4mi_reduce_kernelIDF16_hLi128ELi128ELi256ELi7EEvPT0_PKfS3_PKT_PKiS8_iS3_,"axG",@progbits,_Z35paged_attention_ll4mi_reduce_kernelIDF16_hLi128ELi128ELi256ELi7EEvPT0_PKfS3_PKT_PKiS8_iS3_,comdat
	.protected	_Z35paged_attention_ll4mi_reduce_kernelIDF16_hLi128ELi128ELi256ELi7EEvPT0_PKfS3_PKT_PKiS8_iS3_ ; -- Begin function _Z35paged_attention_ll4mi_reduce_kernelIDF16_hLi128ELi128ELi256ELi7EEvPT0_PKfS3_PKT_PKiS8_iS3_
	.globl	_Z35paged_attention_ll4mi_reduce_kernelIDF16_hLi128ELi128ELi256ELi7EEvPT0_PKfS3_PKT_PKiS8_iS3_
	.p2align	8
	.type	_Z35paged_attention_ll4mi_reduce_kernelIDF16_hLi128ELi128ELi256ELi7EEvPT0_PKfS3_PKT_PKiS8_iS3_,@function
_Z35paged_attention_ll4mi_reduce_kernelIDF16_hLi128ELi128ELi256ELi7EEvPT0_PKfS3_PKT_PKiS8_iS3_: ; @_Z35paged_attention_ll4mi_reduce_kernelIDF16_hLi128ELi128ELi256ELi7EEvPT0_PKfS3_PKT_PKiS8_iS3_
; %bb.0:
	s_load_dwordx2 s[26:27], s[0:1], 0x28
	s_mov_b32 s24, s3
	s_mov_b64 s[4:5], 0
	s_waitcnt lgkmcnt(0)
	s_cmp_lg_u64 s[26:27], 0
	s_cselect_b64 s[28:29], -1, 0
	s_and_b64 vcc, exec, s[28:29]
	s_cbranch_vccz .LBB214_23
; %bb.1:
	s_add_i32 s6, s24, 1
	s_mov_b32 s7, 0
	s_lshl_b64 s[8:9], s[6:7], 2
	s_add_u32 s8, s26, s8
	s_mov_b32 s25, s7
	s_addc_u32 s9, s27, s9
	s_lshl_b64 s[6:7], s[24:25], 2
	s_add_u32 s6, s26, s6
	s_addc_u32 s7, s27, s7
	s_load_dword s3, s[8:9], 0x0
	s_load_dword s10, s[6:7], 0x0
	s_waitcnt lgkmcnt(0)
	s_sub_i32 s3, s3, s10
	s_cmp_eq_u32 s3, 1
	s_cselect_b64 s[6:7], -1, 0
	s_andn2_b64 vcc, exec, s[4:5]
	s_cbranch_vccnz .LBB214_3
.LBB214_2:
	s_mov_b32 s25, 0
	s_mov_b64 s[6:7], -1
.LBB214_3:
	s_andn2_b64 vcc, exec, s[6:7]
	s_cbranch_vccz .LBB214_5
; %bb.4:
	s_endpgm
.LBB214_5:
	s_load_dwordx4 s[20:23], s[0:1], 0x18
	s_load_dword s8, s[0:1], 0x30
	s_lshl_b64 s[30:31], s[24:25], 2
	v_cmp_lt_u32_e32 vcc, 63, v0
	s_waitcnt lgkmcnt(0)
	s_add_u32 s4, s22, s30
	s_addc_u32 s5, s23, s31
	s_load_dword s40, s[4:5], 0x0
	s_load_dword s3, s[0:1], 0x40
	s_mul_i32 s22, s2, s8
	s_mul_i32 s6, s24, s8
	s_waitcnt lgkmcnt(0)
	s_add_i32 s7, s40, 0xff
	s_ashr_i32 s4, s7, 31
	s_lshr_b32 s4, s4, 24
	s_add_i32 s7, s7, s4
	s_and_saveexec_b64 s[4:5], vcc
	s_xor_b64 s[4:5], exec, s[4:5]
	s_or_saveexec_b64 s[34:35], s[4:5]
	s_ashr_i32 s33, s7, 8
	v_mov_b32_e32 v1, s22
	s_mul_i32 s36, s6, s3
	s_xor_b64 exec, exec, s[34:35]
	s_cbranch_execz .LBB214_9
; %bb.6:
	s_add_i32 s4, s33, -1
	v_or_b32_e32 v3, 64, v0
	v_mov_b32_e32 v1, s4
	v_cmp_gt_u32_e64 s[12:13], s33, v3
	s_load_dwordx4 s[16:19], s[0:1], 0x8
	s_mov_b32 s37, 0
	v_cndmask_b32_e64 v4, v1, v3, s[12:13]
	v_or_b32_e32 v3, 0x80, v0
	v_cmp_gt_u32_e64 s[10:11], s33, v3
	s_lshl_b64 s[38:39], s[36:37], 2
	s_mov_b32 s23, s37
	v_cndmask_b32_e64 v6, v1, v3, s[10:11]
	v_or_b32_e32 v3, 0xc0, v0
	v_cmp_gt_u32_e64 s[8:9], s33, v3
	v_cmp_gt_u32_e64 s[14:15], s33, v0
	s_waitcnt lgkmcnt(0)
	s_add_u32 s37, s18, s38
	v_cndmask_b32_e64 v8, v1, v3, s[8:9]
	v_or_b32_e32 v3, 0x100, v0
	v_cmp_gt_u32_e64 s[6:7], s33, v3
	v_cndmask_b32_e64 v2, v1, v0, s[14:15]
	s_addc_u32 s41, s19, s39
	v_cndmask_b32_e64 v10, v1, v3, s[6:7]
	v_or_b32_e32 v3, 0x140, v0
	v_cmp_gt_u32_e64 s[4:5], s33, v3
	s_lshl_b64 s[18:19], s[22:23], 2
	s_add_u32 s42, s37, s18
	v_cndmask_b32_e64 v12, v1, v3, s[4:5]
	v_or_b32_e32 v3, 0x180, v0
	v_cmp_gt_u32_e32 vcc, s33, v3
	s_addc_u32 s43, s41, s19
	v_ashrrev_i32_e32 v5, 31, v4
	v_cndmask_b32_e32 v14, v1, v3, vcc
	v_ashrrev_i32_e32 v3, 31, v2
	v_lshlrev_b64 v[2:3], 2, v[2:3]
	v_ashrrev_i32_e32 v7, 31, v6
	v_ashrrev_i32_e32 v9, 31, v8
	;; [unrolled: 1-line block ×5, first 2 shown]
	v_lshl_add_u64 v[16:17], s[42:43], 0, v[2:3]
	v_lshlrev_b64 v[4:5], 2, v[4:5]
	v_lshlrev_b64 v[6:7], 2, v[6:7]
	;; [unrolled: 1-line block ×6, first 2 shown]
	v_lshl_add_u64 v[18:19], s[42:43], 0, v[4:5]
	v_lshl_add_u64 v[20:21], s[42:43], 0, v[6:7]
	;; [unrolled: 1-line block ×6, first 2 shown]
	global_load_dword v1, v[16:17], off
	global_load_dword v30, v[18:19], off
	global_load_dword v31, v[20:21], off
	global_load_dword v32, v[22:23], off
	global_load_dword v33, v[24:25], off
	global_load_dword v34, v[26:27], off
	global_load_dword v35, v[28:29], off
	v_mbcnt_lo_u32_b32 v16, -1, 0
	s_add_u32 s16, s16, s38
	v_mbcnt_hi_u32_b32 v16, -1, v16
	s_addc_u32 s17, s17, s39
	v_and_b32_e32 v18, 64, v16
	s_add_u32 s18, s16, s18
	v_xor_b32_e32 v19, 32, v16
	s_addc_u32 s19, s17, s19
	v_add_u32_e32 v18, 64, v18
	v_lshl_add_u64 v[2:3], s[18:19], 0, v[2:3]
	v_cmp_lt_i32_e64 s[16:17], v19, v18
	global_load_dword v22, v[2:3], off
	v_xor_b32_e32 v20, 16, v16
	v_cndmask_b32_e64 v2, v16, v19, s[16:17]
	v_lshlrev_b32_e32 v19, 2, v2
	v_cmp_lt_i32_e64 s[16:17], v20, v18
	v_xor_b32_e32 v21, 8, v16
	v_xor_b32_e32 v23, 4, v16
	;; [unrolled: 1-line block ×3, first 2 shown]
	s_mov_b32 s41, 0x3fb8aa3b
	s_mov_b32 s23, 0xc2ce8ed0
	;; [unrolled: 1-line block ×3, first 2 shown]
	v_mov_b32_e32 v17, 0x7f800000
	s_waitcnt vmcnt(5)
	v_max3_f32 v2, v1, v30, v31
	s_waitcnt vmcnt(3)
	v_max3_f32 v2, v2, v32, v33
	;; [unrolled: 2-line block ×3, first 2 shown]
	ds_bpermute_b32 v26, v19, v25
	v_cndmask_b32_e64 v2, v16, v20, s[16:17]
	v_lshlrev_b32_e32 v20, 2, v2
	v_lshl_add_u64 v[2:3], s[18:19], 0, v[4:5]
	global_load_dword v27, v[2:3], off
	s_waitcnt lgkmcnt(0)
	v_max_f32_e32 v2, v26, v26
	v_max_f32_e32 v2, v25, v2
	ds_bpermute_b32 v3, v20, v2
	v_cmp_lt_i32_e64 s[16:17], v21, v18
	v_xor_b32_e32 v4, 1, v16
	s_waitcnt lgkmcnt(0)
	v_max_f32_e32 v3, v3, v3
	v_cndmask_b32_e64 v5, v16, v21, s[16:17]
	v_lshlrev_b32_e32 v21, 2, v5
	v_max_f32_e32 v5, v2, v3
	ds_bpermute_b32 v25, v21, v5
	v_cmp_lt_i32_e64 s[16:17], v23, v18
	s_nop 1
	v_cndmask_b32_e64 v2, v16, v23, s[16:17]
	v_lshlrev_b32_e32 v23, 2, v2
	v_lshl_add_u64 v[2:3], s[18:19], 0, v[6:7]
	global_load_dword v26, v[2:3], off
	s_waitcnt lgkmcnt(0)
	v_max_f32_e32 v2, v25, v25
	v_max_f32_e32 v2, v5, v2
	ds_bpermute_b32 v3, v23, v2
	v_cmp_lt_i32_e64 s[16:17], v24, v18
	v_lshl_add_u64 v[6:7], s[18:19], 0, v[12:13]
	s_waitcnt lgkmcnt(0)
	v_max_f32_e32 v3, v3, v3
	v_cndmask_b32_e64 v5, v16, v24, s[16:17]
	v_cmp_lt_i32_e64 s[16:17], v4, v18
	v_max_f32_e32 v18, v2, v3
	v_lshl_add_u64 v[2:3], s[18:19], 0, v[8:9]
	global_load_dword v9, v[2:3], off
	v_cndmask_b32_e64 v4, v16, v4, s[16:17]
	v_lshlrev_b32_e32 v16, 2, v5
	v_lshlrev_b32_e32 v25, 2, v4
	v_lshl_add_u64 v[4:5], s[18:19], 0, v[10:11]
	v_lshl_add_u64 v[2:3], s[18:19], 0, v[14:15]
	global_load_dword v11, v[4:5], off
	global_load_dword v12, v[6:7], off
	;; [unrolled: 1-line block ×3, first 2 shown]
	ds_bpermute_b32 v24, v16, v18
	s_waitcnt lgkmcnt(0)
	v_max_f32_e32 v8, v24, v24
	v_max_f32_e32 v8, v18, v8
	ds_bpermute_b32 v10, v25, v8
	s_waitcnt lgkmcnt(0)
	v_max_f32_e32 v2, v10, v10
	v_max_f32_e32 v2, v8, v2
	v_sub_f32_e32 v1, v1, v2
	v_mul_f32_e32 v4, 0x3fb8aa3b, v1
	v_fma_f32 v5, v1, s41, -v4
	v_rndne_f32_e32 v6, v4
	v_fmac_f32_e32 v5, 0x32a5705f, v1
	v_sub_f32_e32 v4, v4, v6
	v_add_f32_e32 v4, v4, v5
	v_cvt_i32_f32_e32 v6, v6
	v_exp_f32_e32 v4, v4
	v_sub_f32_e32 v3, v30, v2
	v_mul_f32_e32 v5, 0x3fb8aa3b, v3
	v_fma_f32 v7, v3, s41, -v5
	v_ldexp_f32 v4, v4, v6
	v_rndne_f32_e32 v6, v5
	v_fmac_f32_e32 v7, 0x32a5705f, v3
	v_sub_f32_e32 v5, v5, v6
	v_add_f32_e32 v5, v5, v7
	v_exp_f32_e32 v5, v5
	v_cvt_i32_f32_e32 v6, v6
	v_cmp_ngt_f32_e64 s[16:17], s23, v1
	s_nop 1
	v_cndmask_b32_e64 v4, 0, v4, s[16:17]
	v_cmp_nlt_f32_e64 s[16:17], s37, v1
	s_nop 1
	v_cndmask_b32_e64 v1, v17, v4, s[16:17]
	v_ldexp_f32 v4, v5, v6
	v_sub_f32_e32 v5, v31, v2
	v_mul_f32_e32 v6, 0x3fb8aa3b, v5
	v_fma_f32 v7, v5, s41, -v6
	v_rndne_f32_e32 v8, v6
	v_fmac_f32_e32 v7, 0x32a5705f, v5
	v_sub_f32_e32 v6, v6, v8
	v_add_f32_e32 v6, v6, v7
	v_exp_f32_e32 v6, v6
	v_cvt_i32_f32_e32 v7, v8
	v_cndmask_b32_e64 v1, 0, v1, s[14:15]
	v_cmp_ngt_f32_e64 s[14:15], s23, v3
	s_waitcnt vmcnt(6)
	v_mul_f32_e32 v1, v22, v1
	v_cndmask_b32_e64 v4, 0, v4, s[14:15]
	v_cmp_nlt_f32_e64 s[14:15], s37, v3
	s_nop 1
	v_cndmask_b32_e64 v3, v17, v4, s[14:15]
	v_ldexp_f32 v4, v6, v7
	v_sub_f32_e32 v6, v32, v2
	v_mul_f32_e32 v7, 0x3fb8aa3b, v6
	v_fma_f32 v8, v6, s41, -v7
	v_rndne_f32_e32 v10, v7
	v_fmac_f32_e32 v8, 0x32a5705f, v6
	v_sub_f32_e32 v7, v7, v10
	v_add_f32_e32 v7, v7, v8
	v_exp_f32_e32 v7, v7
	v_cvt_i32_f32_e32 v8, v10
	v_cndmask_b32_e64 v3, 0, v3, s[12:13]
	v_cmp_ngt_f32_e64 s[12:13], s23, v5
	s_waitcnt vmcnt(5)
	v_mul_f32_e32 v3, v27, v3
	v_cndmask_b32_e64 v4, 0, v4, s[12:13]
	v_cmp_nlt_f32_e64 s[12:13], s37, v5
	v_ldexp_f32 v5, v7, v8
	v_sub_f32_e32 v7, v33, v2
	v_mul_f32_e32 v8, 0x3fb8aa3b, v7
	v_fma_f32 v10, v7, s41, -v8
	v_rndne_f32_e32 v14, v8
	v_fmac_f32_e32 v10, 0x32a5705f, v7
	v_sub_f32_e32 v8, v8, v14
	v_add_f32_e32 v8, v8, v10
	v_cndmask_b32_e64 v4, v17, v4, s[12:13]
	v_exp_f32_e32 v8, v8
	v_cvt_i32_f32_e32 v10, v14
	v_cndmask_b32_e64 v4, 0, v4, s[10:11]
	v_cmp_ngt_f32_e64 s[10:11], s23, v6
	s_waitcnt vmcnt(4)
	v_mul_f32_e32 v4, v26, v4
	v_cndmask_b32_e64 v5, 0, v5, s[10:11]
	v_cmp_nlt_f32_e64 s[10:11], s37, v6
	v_ldexp_f32 v6, v8, v10
	v_sub_f32_e32 v8, v34, v2
	v_cndmask_b32_e64 v5, v17, v5, s[10:11]
	v_cndmask_b32_e64 v5, 0, v5, s[8:9]
	s_waitcnt vmcnt(3)
	v_mul_f32_e32 v5, v9, v5
	v_mul_f32_e32 v9, 0x3fb8aa3b, v8
	v_fma_f32 v10, v8, s41, -v9
	v_rndne_f32_e32 v14, v9
	v_fmac_f32_e32 v10, 0x32a5705f, v8
	v_sub_f32_e32 v9, v9, v14
	v_add_f32_e32 v9, v9, v10
	v_exp_f32_e32 v9, v9
	v_cvt_i32_f32_e32 v10, v14
	v_cmp_ngt_f32_e64 s[8:9], s23, v7
	v_sub_f32_e32 v2, v35, v2
	s_nop 0
	v_cndmask_b32_e64 v6, 0, v6, s[8:9]
	v_cmp_nlt_f32_e64 s[8:9], s37, v7
	v_ldexp_f32 v7, v9, v10
	v_mul_f32_e32 v9, 0x3fb8aa3b, v2
	v_cndmask_b32_e64 v6, v17, v6, s[8:9]
	v_cndmask_b32_e64 v6, 0, v6, s[6:7]
	s_waitcnt vmcnt(2)
	v_mul_f32_e32 v6, v11, v6
	v_fma_f32 v10, v2, s41, -v9
	v_rndne_f32_e32 v11, v9
	v_fmac_f32_e32 v10, 0x32a5705f, v2
	v_sub_f32_e32 v9, v9, v11
	v_add_f32_e32 v9, v9, v10
	v_exp_f32_e32 v9, v9
	v_cvt_i32_f32_e32 v10, v11
	v_cmp_ngt_f32_e64 s[6:7], s23, v8
	v_lshlrev_b32_e32 v11, 2, v0
	ds_write2st64_b32 v11, v1, v3 offset1:1
	v_cndmask_b32_e64 v7, 0, v7, s[6:7]
	v_cmp_nlt_f32_e64 s[6:7], s37, v8
	v_ldexp_f32 v8, v9, v10
	s_nop 0
	v_cndmask_b32_e64 v7, v17, v7, s[6:7]
	v_cndmask_b32_e64 v7, 0, v7, s[4:5]
	v_cmp_ngt_f32_e64 s[4:5], s23, v2
	s_waitcnt vmcnt(1)
	v_mul_f32_e32 v7, v12, v7
	v_cndmask_b32_e64 v8, 0, v8, s[4:5]
	v_cmp_nlt_f32_e64 s[4:5], s37, v2
	s_nop 1
	v_cndmask_b32_e64 v2, v17, v8, s[4:5]
	v_add_f32_e32 v8, v1, v3
	v_add_f32_e32 v8, v8, v4
	;; [unrolled: 1-line block ×4, first 2 shown]
	v_cndmask_b32_e32 v2, 0, v2, vcc
	v_add_f32_e32 v8, v8, v7
	s_waitcnt vmcnt(0)
	v_fmac_f32_e32 v8, v13, v2
	ds_bpermute_b32 v9, v19, v8
	v_mul_f32_e32 v10, v13, v2
	v_cmp_eq_u32_e32 vcc, 0, v0
	ds_write2st64_b32 v11, v4, v5 offset0:2 offset1:3
	ds_write2st64_b32 v11, v6, v7 offset0:4 offset1:5
	ds_write_b32 v11, v10 offset:1536
	s_waitcnt lgkmcnt(3)
	v_add_f32_e32 v8, v8, v9
	ds_bpermute_b32 v9, v20, v8
	s_waitcnt lgkmcnt(0)
	v_add_f32_e32 v8, v8, v9
	ds_bpermute_b32 v9, v21, v8
	;; [unrolled: 3-line block ×5, first 2 shown]
	s_and_saveexec_b64 s[4:5], vcc
	s_cbranch_execz .LBB214_8
; %bb.7:
	s_waitcnt lgkmcnt(0)
	v_add_f32_e32 v1, v1, v2
	v_mov_b32_e32 v2, 0
	ds_write_b32 v2, v1 offset:1792
.LBB214_8:
	s_or_b64 exec, exec, s[4:5]
	v_mov_b32_e32 v1, s22
.LBB214_9:
	s_or_b64 exec, exec, s[34:35]
	s_lshl_b32 s4, s36, 7
	s_mov_b32 s5, 0
	s_lshl_b64 s[4:5], s[4:5], 1
	s_add_u32 s4, s20, s4
	s_addc_u32 s5, s21, s5
	s_lshl_b32 s10, s33, 7
	s_waitcnt lgkmcnt(0)
	v_lshlrev_b32_e32 v2, 7, v1
	v_mov_b32_e32 v1, 0
	s_add_i32 s11, s10, 0xffffff80
	v_mov_b32_e32 v3, v1
	s_cmp_lt_i32 s40, 1
	v_lshl_add_u64 v[2:3], v[2:3], 1, s[4:5]
	s_cselect_b32 s4, s11, 0
	v_lshlrev_b32_e32 v4, 1, v0
	v_mov_b32_e32 v5, v1
	s_ashr_i32 s5, s4, 31
	v_lshl_add_u64 v[2:3], v[2:3], 0, v[4:5]
	s_cmpk_lt_i32 s40, 0x101
	v_lshl_add_u64 v[12:13], s[4:5], 1, v[2:3]
	s_cselect_b32 s4, s11, 0x80
	s_ashr_i32 s5, s4, 31
	s_cmpk_lt_i32 s40, 0x201
	v_lshl_add_u64 v[14:15], s[4:5], 1, v[2:3]
	s_cselect_b32 s4, s11, 0x100
	s_ashr_i32 s5, s4, 31
	;; [unrolled: 4-line block ×8, first 2 shown]
	s_cmpk_lt_i32 s40, 0x901
	global_load_ushort v4, v[12:13], off
	global_load_ushort v5, v[14:15], off
	;; [unrolled: 1-line block ×8, first 2 shown]
	v_lshl_add_u64 v[20:21], s[4:5], 1, v[2:3]
	s_cselect_b32 s4, s11, 0x480
	s_ashr_i32 s5, s4, 31
	s_cmpk_lt_i32 s40, 0xa01
	v_lshl_add_u64 v[22:23], s[4:5], 1, v[2:3]
	s_cselect_b32 s4, s11, 0x500
	s_ashr_i32 s5, s4, 31
	s_cmpk_lt_i32 s40, 0xb01
	v_lshl_add_u64 v[24:25], s[4:5], 1, v[2:3]
	s_cselect_b32 s4, s11, 0x580
	s_ashr_i32 s5, s4, 31
	s_cmpk_lt_i32 s40, 0xc01
	v_lshl_add_u64 v[26:27], s[4:5], 1, v[2:3]
	s_cselect_b32 s4, s11, 0x600
	s_ashr_i32 s5, s4, 31
	s_cmpk_lt_i32 s40, 0xd01
	v_lshl_add_u64 v[28:29], s[4:5], 1, v[2:3]
	s_cselect_b32 s4, s11, 0x680
	s_ashr_i32 s5, s4, 31
	s_cmpk_lt_i32 s40, 0xe01
	v_lshl_add_u64 v[30:31], s[4:5], 1, v[2:3]
	s_cselect_b32 s4, s11, 0x700
	s_ashr_i32 s5, s4, 31
	s_cmpk_lt_i32 s40, 0xf01
	v_lshl_add_u64 v[32:33], s[4:5], 1, v[2:3]
	s_cselect_b32 s4, s11, 0x780
	s_ashr_i32 s5, s4, 31
	v_lshl_add_u64 v[34:35], s[4:5], 1, v[2:3]
	global_load_ushort v12, v[20:21], off
	global_load_ushort v13, v[22:23], off
	;; [unrolled: 1-line block ×8, first 2 shown]
	s_cmpk_gt_i32 s40, 0x1000
	s_cselect_b64 s[8:9], -1, 0
	s_cmpk_lt_i32 s40, 0x1001
	v_mov_b32_e32 v36, 0
	v_mov_b32_e32 v37, 0
	;; [unrolled: 1-line block ×48, first 2 shown]
	s_barrier
	s_cbranch_scc1 .LBB214_12
; %bb.10:
	s_cmpk_lt_u32 s40, 0x1101
	s_cselect_b32 s4, s11, 0x880
	s_ashr_i32 s5, s4, 31
	s_cmpk_lt_u32 s40, 0x1201
	v_lshl_add_u64 v[30:31], s[4:5], 1, v[2:3]
	s_cselect_b32 s4, s11, 0x900
	s_ashr_i32 s5, s4, 31
	s_cmpk_lt_u32 s40, 0x1301
	v_lshl_add_u64 v[32:33], s[4:5], 1, v[2:3]
	s_cselect_b32 s4, s11, 0x980
	s_ashr_i32 s5, s4, 31
	s_cmpk_lt_u32 s40, 0x1401
	v_lshl_add_u64 v[34:35], s[4:5], 1, v[2:3]
	s_cselect_b32 s4, s11, 0xa00
	s_ashr_i32 s5, s4, 31
	s_cmpk_lt_u32 s40, 0x1501
	v_lshl_add_u64 v[36:37], s[4:5], 1, v[2:3]
	s_cselect_b32 s4, s11, 0xa80
	s_ashr_i32 s5, s4, 31
	s_cmpk_lt_u32 s40, 0x1601
	v_lshl_add_u64 v[38:39], s[4:5], 1, v[2:3]
	s_cselect_b32 s4, s11, 0xb00
	s_ashr_i32 s5, s4, 31
	s_cmpk_lt_u32 s40, 0x1701
	v_lshl_add_u64 v[40:41], s[4:5], 1, v[2:3]
	s_cselect_b32 s4, s11, 0xb80
	s_ashr_i32 s5, s4, 31
	s_cmpk_lt_u32 s40, 0x1801
	v_lshl_add_u64 v[42:43], s[4:5], 1, v[2:3]
	s_cselect_b32 s4, s11, 0xc00
	v_add_co_u32_e32 v28, vcc, 0x1000, v2
	s_ashr_i32 s5, s4, 31
	s_nop 0
	v_addc_co_u32_e32 v29, vcc, 0, v3, vcc
	s_cmpk_lt_u32 s40, 0x1901
	global_load_ushort v27, v[28:29], off
	global_load_ushort v26, v[30:31], off
	;; [unrolled: 1-line block ×8, first 2 shown]
	v_lshl_add_u64 v[36:37], s[4:5], 1, v[2:3]
	s_cselect_b32 s4, s11, 0xc80
	s_ashr_i32 s5, s4, 31
	s_cmpk_lt_u32 s40, 0x1a01
	v_lshl_add_u64 v[38:39], s[4:5], 1, v[2:3]
	s_cselect_b32 s4, s11, 0xd00
	s_ashr_i32 s5, s4, 31
	s_cmpk_lt_u32 s40, 0x1b01
	;; [unrolled: 4-line block ×6, first 2 shown]
	v_lshl_add_u64 v[48:49], s[4:5], 1, v[2:3]
	s_cselect_b32 s4, s11, 0xf80
	s_ashr_i32 s5, s4, 31
	v_lshl_add_u64 v[50:51], s[4:5], 1, v[2:3]
	global_load_ushort v35, v[36:37], off
	global_load_ushort v34, v[38:39], off
	;; [unrolled: 1-line block ×8, first 2 shown]
	s_cmpk_lt_u32 s40, 0x2001
	v_mov_b32_e32 v67, 0
	v_mov_b32_e32 v66, 0
	;; [unrolled: 1-line block ×32, first 2 shown]
	s_cbranch_scc1 .LBB214_12
; %bb.11:
	s_cmpk_lt_u32 s40, 0x2101
	s_cselect_b32 s4, s11, 0x1080
	s_ashr_i32 s5, s4, 31
	s_cmpk_lt_u32 s40, 0x2201
	v_lshl_add_u64 v[38:39], s[4:5], 1, v[2:3]
	s_cselect_b32 s4, s11, 0x1100
	s_ashr_i32 s5, s4, 31
	s_cmpk_lt_u32 s40, 0x2301
	v_lshl_add_u64 v[40:41], s[4:5], 1, v[2:3]
	;; [unrolled: 4-line block ×7, first 2 shown]
	s_cselect_b32 s4, s11, 0x1400
	v_add_co_u32_e32 v36, vcc, 0x2000, v2
	s_ashr_i32 s5, s4, 31
	s_nop 0
	v_addc_co_u32_e32 v37, vcc, 0, v3, vcc
	s_cmpk_lt_u32 s40, 0x2901
	global_load_ushort v52, v[36:37], off
	global_load_ushort v53, v[38:39], off
	;; [unrolled: 1-line block ×8, first 2 shown]
	v_lshl_add_u64 v[36:37], s[4:5], 1, v[2:3]
	s_cselect_b32 s4, s11, 0x1480
	s_ashr_i32 s5, s4, 31
	s_cmpk_lt_u32 s40, 0x2a01
	v_lshl_add_u64 v[38:39], s[4:5], 1, v[2:3]
	s_cselect_b32 s4, s11, 0x1500
	s_ashr_i32 s5, s4, 31
	s_cmpk_lt_u32 s40, 0x2b01
	;; [unrolled: 4-line block ×8, first 2 shown]
	global_load_ushort v68, v[36:37], off
	global_load_ushort v69, v[38:39], off
	;; [unrolled: 1-line block ×8, first 2 shown]
	v_lshl_add_u64 v[36:37], s[4:5], 1, v[2:3]
	s_cselect_b32 s4, s11, 0x1880
	s_ashr_i32 s5, s4, 31
	s_cmpk_lt_u32 s40, 0x3201
	v_lshl_add_u64 v[38:39], s[4:5], 1, v[2:3]
	s_cselect_b32 s4, s11, 0x1900
	s_ashr_i32 s5, s4, 31
	s_cmpk_lt_u32 s40, 0x3301
	;; [unrolled: 4-line block ×8, first 2 shown]
	global_load_ushort v76, v[36:37], off
	global_load_ushort v77, v[38:39], off
	;; [unrolled: 1-line block ×8, first 2 shown]
	v_lshl_add_u64 v[36:37], s[4:5], 1, v[2:3]
	s_cselect_b32 s4, s11, 0x1c80
	s_ashr_i32 s5, s4, 31
	s_cmpk_lt_u32 s40, 0x3a01
	v_lshl_add_u64 v[38:39], s[4:5], 1, v[2:3]
	s_cselect_b32 s4, s11, 0x1d00
	s_ashr_i32 s5, s4, 31
	s_cmpk_lt_u32 s40, 0x3b01
	;; [unrolled: 4-line block ×6, first 2 shown]
	v_lshl_add_u64 v[48:49], s[4:5], 1, v[2:3]
	s_cselect_b32 s4, s11, 0x1f80
	s_ashr_i32 s5, s4, 31
	v_lshl_add_u64 v[50:51], s[4:5], 1, v[2:3]
	global_load_ushort v84, v[36:37], off
	global_load_ushort v85, v[38:39], off
	;; [unrolled: 1-line block ×8, first 2 shown]
	s_waitcnt vmcnt(31)
	v_cvt_f32_f16_e32 v67, v52
	s_waitcnt vmcnt(30)
	v_cvt_f32_f16_e32 v66, v53
	;; [unrolled: 2-line block ×32, first 2 shown]
.LBB214_12:
	ds_read_b128 v[68:71], v1
	s_load_dwordx2 s[4:5], s[0:1], 0x0
	s_load_dwordx2 s[6:7], s[0:1], 0x38
	ds_read_b128 v[72:75], v1 offset:16
	ds_read_b128 v[76:79], v1 offset:32
	;; [unrolled: 1-line block ×3, first 2 shown]
	s_and_b64 vcc, exec, s[8:9]
	s_waitcnt vmcnt(15) lgkmcnt(0)
	v_fma_mix_f32 v4, v68, v4, 0 op_sel_hi:[0,1,0]
	s_waitcnt vmcnt(14)
	v_fma_mix_f32 v4, v69, v5, v4 op_sel_hi:[0,1,0]
	s_waitcnt vmcnt(13)
	v_fma_mix_f32 v4, v70, v6, v4 op_sel_hi:[0,1,0]
	s_waitcnt vmcnt(12)
	v_fma_mix_f32 v4, v71, v7, v4 op_sel_hi:[0,1,0]
	s_waitcnt vmcnt(11)
	v_fma_mix_f32 v4, v72, v8, v4 op_sel_hi:[0,1,0]
	s_waitcnt vmcnt(10)
	v_fma_mix_f32 v4, v73, v9, v4 op_sel_hi:[0,1,0]
	s_waitcnt vmcnt(9)
	v_fma_mix_f32 v4, v74, v10, v4 op_sel_hi:[0,1,0]
	s_waitcnt vmcnt(8)
	v_fma_mix_f32 v4, v75, v11, v4 op_sel_hi:[0,1,0]
	s_waitcnt vmcnt(7)
	v_fma_mix_f32 v4, v76, v12, v4 op_sel_hi:[0,1,0]
	s_waitcnt vmcnt(6)
	v_fma_mix_f32 v4, v77, v13, v4 op_sel_hi:[0,1,0]
	s_waitcnt vmcnt(5)
	v_fma_mix_f32 v4, v78, v14, v4 op_sel_hi:[0,1,0]
	s_waitcnt vmcnt(4)
	v_fma_mix_f32 v4, v79, v15, v4 op_sel_hi:[0,1,0]
	s_waitcnt vmcnt(3)
	v_fma_mix_f32 v4, v80, v16, v4 op_sel_hi:[0,1,0]
	s_waitcnt vmcnt(2)
	v_fma_mix_f32 v4, v81, v17, v4 op_sel_hi:[0,1,0]
	s_waitcnt vmcnt(1)
	v_fma_mix_f32 v4, v82, v18, v4 op_sel_hi:[0,1,0]
	s_waitcnt vmcnt(0)
	v_fma_mix_f32 v4, v83, v19, v4 op_sel_hi:[0,1,0]
	s_cbranch_vccz .LBB214_15
; %bb.13:
	ds_read_b128 v[6:9], v1 offset:64
	ds_read_b128 v[10:13], v1 offset:80
	;; [unrolled: 1-line block ×4, first 2 shown]
	s_cmpk_lt_u32 s40, 0x2001
	s_waitcnt lgkmcnt(3)
	v_fma_mix_f32 v4, v6, v27, v4 op_sel_hi:[0,1,0]
	v_fma_mix_f32 v4, v7, v26, v4 op_sel_hi:[0,1,0]
	v_fma_mix_f32 v4, v8, v25, v4 op_sel_hi:[0,1,0]
	v_fma_mix_f32 v4, v9, v24, v4 op_sel_hi:[0,1,0]
	s_waitcnt lgkmcnt(2)
	v_fma_mix_f32 v4, v10, v23, v4 op_sel_hi:[0,1,0]
	v_fma_mix_f32 v4, v11, v22, v4 op_sel_hi:[0,1,0]
	v_fma_mix_f32 v4, v12, v21, v4 op_sel_hi:[0,1,0]
	v_fma_mix_f32 v4, v13, v20, v4 op_sel_hi:[0,1,0]
	;; [unrolled: 5-line block ×4, first 2 shown]
	s_cbranch_scc1 .LBB214_15
; %bb.14:
	v_mov_b32_e32 v5, 0
	ds_read_b128 v[6:9], v5 offset:128
	ds_read_b128 v[10:13], v5 offset:144
	;; [unrolled: 1-line block ×4, first 2 shown]
	s_waitcnt lgkmcnt(3)
	v_fmac_f32_e32 v4, v6, v67
	v_fmac_f32_e32 v4, v7, v66
	v_fmac_f32_e32 v4, v8, v65
	v_fmac_f32_e32 v4, v9, v64
	s_waitcnt lgkmcnt(2)
	v_fmac_f32_e32 v4, v10, v63
	v_fmac_f32_e32 v4, v11, v62
	v_fmac_f32_e32 v4, v12, v61
	v_fmac_f32_e32 v4, v13, v60
	;; [unrolled: 5-line block ×3, first 2 shown]
	ds_read_b128 v[6:9], v5 offset:192
	ds_read_b128 v[10:13], v5 offset:208
	s_waitcnt lgkmcnt(2)
	v_fmac_f32_e32 v4, v18, v55
	v_fmac_f32_e32 v4, v19, v54
	;; [unrolled: 1-line block ×4, first 2 shown]
	s_waitcnt lgkmcnt(1)
	v_fmac_f32_e32 v4, v6, v51
	v_fmac_f32_e32 v4, v7, v50
	;; [unrolled: 1-line block ×4, first 2 shown]
	ds_read_b128 v[6:9], v5 offset:224
	s_waitcnt lgkmcnt(1)
	v_fmac_f32_e32 v4, v10, v47
	v_fmac_f32_e32 v4, v11, v46
	;; [unrolled: 1-line block ×4, first 2 shown]
	ds_read_b128 v[10:13], v5 offset:240
	s_waitcnt lgkmcnt(1)
	v_fmac_f32_e32 v4, v6, v43
	v_fmac_f32_e32 v4, v7, v42
	;; [unrolled: 1-line block ×4, first 2 shown]
	s_waitcnt lgkmcnt(0)
	v_fmac_f32_e32 v4, v10, v39
	v_fmac_f32_e32 v4, v11, v38
	;; [unrolled: 1-line block ×4, first 2 shown]
.LBB214_15:
	s_movk_i32 s0, 0x3f80
	s_movk_i32 s1, 0x100
	s_mov_b32 s8, 64
	s_branch .LBB214_17
.LBB214_16:                             ;   in Loop: Header=BB214_17 Depth=1
	s_addk_i32 s0, 0x2000
	s_addk_i32 s1, 0x100
	s_add_i32 s8, s8, 64
	s_cmpk_eq_u32 s0, 0xff80
	s_cbranch_scc1 .LBB214_19
.LBB214_17:                             ; =>This Inner Loop Header: Depth=1
	s_cmp_le_i32 s33, s8
	s_cbranch_scc1 .LBB214_16
; %bb.18:                               ;   in Loop: Header=BB214_17 Depth=1
	s_add_i32 s9, s0, 0xffffe080
	s_cmp_lt_i32 s9, s10
	s_cselect_b32 s12, s9, s11
	s_ashr_i32 s13, s12, 31
	s_add_i32 s9, s0, 0xffffe100
	s_cmp_lt_i32 s9, s10
	v_lshl_add_u64 v[14:15], s[12:13], 1, v[2:3]
	s_cselect_b32 s12, s9, s11
	s_ashr_i32 s13, s12, 31
	s_add_i32 s9, s0, 0xffffe180
	s_cmp_lt_i32 s9, s10
	v_lshl_add_u64 v[16:17], s[12:13], 1, v[2:3]
	;; [unrolled: 5-line block ×8, first 2 shown]
	s_cselect_b32 s12, s9, s11
	s_ashr_i32 s13, s12, 31
	s_add_i32 s9, s0, 0xffffe500
	s_cmp_lt_i32 s9, s10
	global_load_ushort v5, v[14:15], off
	global_load_ushort v6, v[16:17], off
	global_load_ushort v7, v[18:19], off
	global_load_ushort v8, v[20:21], off
	global_load_ushort v9, v[22:23], off
	global_load_ushort v10, v[24:25], off
	global_load_ushort v11, v[26:27], off
	global_load_ushort v12, v[28:29], off
	v_lshl_add_u64 v[14:15], s[12:13], 1, v[2:3]
	s_cselect_b32 s12, s9, s11
	s_ashr_i32 s13, s12, 31
	s_add_i32 s9, s0, 0xffffe580
	s_cmp_lt_i32 s9, s10
	v_lshl_add_u64 v[16:17], s[12:13], 1, v[2:3]
	s_cselect_b32 s12, s9, s11
	s_ashr_i32 s13, s12, 31
	s_add_i32 s9, s0, 0xffffe600
	s_cmp_lt_i32 s9, s10
	v_lshl_add_u64 v[18:19], s[12:13], 1, v[2:3]
	s_cselect_b32 s12, s9, s11
	s_ashr_i32 s13, s12, 31
	s_add_i32 s9, s0, 0xffffe680
	s_cmp_lt_i32 s9, s10
	v_lshl_add_u64 v[20:21], s[12:13], 1, v[2:3]
	s_cselect_b32 s12, s9, s11
	s_ashr_i32 s13, s12, 31
	s_add_i32 s9, s0, 0xffffe700
	s_cmp_lt_i32 s9, s10
	v_lshl_add_u64 v[22:23], s[12:13], 1, v[2:3]
	s_cselect_b32 s12, s9, s11
	s_ashr_i32 s13, s12, 31
	s_add_i32 s9, s0, 0xffffe780
	s_cmp_lt_i32 s9, s10
	v_lshl_add_u64 v[24:25], s[12:13], 1, v[2:3]
	s_cselect_b32 s12, s9, s11
	s_ashr_i32 s13, s12, 31
	s_add_i32 s9, s0, 0xffffe800
	s_cmp_lt_i32 s9, s10
	v_lshl_add_u64 v[26:27], s[12:13], 1, v[2:3]
	s_cselect_b32 s12, s9, s11
	s_ashr_i32 s13, s12, 31
	s_add_i32 s9, s0, 0xffffe880
	s_cmp_lt_i32 s9, s10
	v_lshl_add_u64 v[28:29], s[12:13], 1, v[2:3]
	s_cselect_b32 s12, s9, s11
	s_ashr_i32 s13, s12, 31
	s_add_i32 s9, s0, 0xffffe900
	s_cmp_lt_i32 s9, s10
	global_load_ushort v13, v[14:15], off
	global_load_ushort v30, v[16:17], off
	global_load_ushort v31, v[18:19], off
	global_load_ushort v32, v[20:21], off
	global_load_ushort v33, v[22:23], off
	global_load_ushort v34, v[24:25], off
	global_load_ushort v35, v[26:27], off
	global_load_ushort v36, v[28:29], off
	v_lshl_add_u64 v[14:15], s[12:13], 1, v[2:3]
	s_cselect_b32 s12, s9, s11
	s_ashr_i32 s13, s12, 31
	s_add_i32 s9, s0, 0xffffe980
	s_cmp_lt_i32 s9, s10
	v_lshl_add_u64 v[16:17], s[12:13], 1, v[2:3]
	s_cselect_b32 s12, s9, s11
	s_ashr_i32 s13, s12, 31
	s_add_i32 s9, s0, 0xffffea00
	s_cmp_lt_i32 s9, s10
	v_lshl_add_u64 v[18:19], s[12:13], 1, v[2:3]
	s_cselect_b32 s12, s9, s11
	s_ashr_i32 s13, s12, 31
	s_add_i32 s9, s0, 0xffffea80
	s_cmp_lt_i32 s9, s10
	v_lshl_add_u64 v[20:21], s[12:13], 1, v[2:3]
	s_cselect_b32 s12, s9, s11
	s_ashr_i32 s13, s12, 31
	s_add_i32 s9, s0, 0xffffeb00
	s_cmp_lt_i32 s9, s10
	v_lshl_add_u64 v[22:23], s[12:13], 1, v[2:3]
	s_cselect_b32 s12, s9, s11
	s_ashr_i32 s13, s12, 31
	s_add_i32 s9, s0, 0xffffeb80
	s_cmp_lt_i32 s9, s10
	v_lshl_add_u64 v[24:25], s[12:13], 1, v[2:3]
	s_cselect_b32 s12, s9, s11
	s_ashr_i32 s13, s12, 31
	s_add_i32 s9, s0, 0xffffec00
	s_cmp_lt_i32 s9, s10
	v_lshl_add_u64 v[26:27], s[12:13], 1, v[2:3]
	s_cselect_b32 s12, s9, s11
	s_ashr_i32 s13, s12, 31
	s_add_i32 s9, s0, 0xffffec80
	s_cmp_lt_i32 s9, s10
	v_lshl_add_u64 v[28:29], s[12:13], 1, v[2:3]
	;; [unrolled: 48-line block ×6, first 2 shown]
	s_cselect_b32 s12, s9, s11
	s_ashr_i32 s13, s12, 31
	s_add_i32 s9, s0, 0xfffffd00
	s_cmp_lt_i32 s9, s10
	global_load_ushort v69, v[14:15], off
	global_load_ushort v70, v[16:17], off
	;; [unrolled: 1-line block ×8, first 2 shown]
	v_lshl_add_u64 v[14:15], s[12:13], 1, v[2:3]
	s_cselect_b32 s12, s9, s11
	s_ashr_i32 s13, s12, 31
	s_add_i32 s9, s0, 0xfffffd80
	s_cmp_lt_i32 s9, s10
	v_lshl_add_u64 v[16:17], s[12:13], 1, v[2:3]
	s_cselect_b32 s12, s9, s11
	s_ashr_i32 s13, s12, 31
	s_add_i32 s9, s0, 0xfffffe00
	s_cmp_lt_i32 s9, s10
	;; [unrolled: 5-line block ×5, first 2 shown]
	v_lshl_add_u64 v[24:25], s[12:13], 1, v[2:3]
	s_cselect_b32 s12, s9, s11
	s_ashr_i32 s13, s12, 31
	s_cmp_lt_i32 s0, s10
	v_lshl_add_u64 v[26:27], s[12:13], 1, v[2:3]
	s_cselect_b32 s12, s0, s11
	s_ashr_i32 s13, s12, 31
	v_lshl_add_u64 v[28:29], s[12:13], 1, v[2:3]
	global_load_ushort v77, v[14:15], off
	global_load_ushort v78, v[16:17], off
	;; [unrolled: 1-line block ×8, first 2 shown]
	v_mov_b32_e32 v85, s1
	ds_read_b128 v[14:17], v85
	ds_read_b128 v[18:21], v85 offset:16
	ds_read_b128 v[22:25], v85 offset:32
	;; [unrolled: 1-line block ×3, first 2 shown]
	s_waitcnt vmcnt(62) lgkmcnt(3)
	v_fma_mix_f32 v4, v14, v5, v4 op_sel_hi:[0,1,0]
	v_fma_mix_f32 v4, v15, v6, v4 op_sel_hi:[0,1,0]
	s_waitcnt vmcnt(61)
	v_fma_mix_f32 v4, v16, v7, v4 op_sel_hi:[0,1,0]
	s_waitcnt vmcnt(60)
	v_fma_mix_f32 v4, v17, v8, v4 op_sel_hi:[0,1,0]
	s_waitcnt vmcnt(59) lgkmcnt(2)
	v_fma_mix_f32 v4, v18, v9, v4 op_sel_hi:[0,1,0]
	s_waitcnt vmcnt(58)
	v_fma_mix_f32 v4, v19, v10, v4 op_sel_hi:[0,1,0]
	s_waitcnt vmcnt(57)
	;; [unrolled: 2-line block ×3, first 2 shown]
	v_fma_mix_f32 v4, v21, v12, v4 op_sel_hi:[0,1,0]
	s_waitcnt vmcnt(55) lgkmcnt(1)
	v_fma_mix_f32 v4, v22, v13, v4 op_sel_hi:[0,1,0]
	s_waitcnt vmcnt(54)
	v_fma_mix_f32 v4, v23, v30, v4 op_sel_hi:[0,1,0]
	s_waitcnt vmcnt(53)
	v_fma_mix_f32 v4, v24, v31, v4 op_sel_hi:[0,1,0]
	s_waitcnt vmcnt(52)
	v_fma_mix_f32 v4, v25, v32, v4 op_sel_hi:[0,1,0]
	s_waitcnt vmcnt(51) lgkmcnt(0)
	v_fma_mix_f32 v8, v26, v33, v4 op_sel_hi:[0,1,0]
	ds_read_b128 v[4:7], v85 offset:64
	s_waitcnt vmcnt(50)
	v_fma_mix_f32 v8, v27, v34, v8 op_sel_hi:[0,1,0]
	s_waitcnt vmcnt(49)
	v_fma_mix_f32 v8, v28, v35, v8 op_sel_hi:[0,1,0]
	s_waitcnt vmcnt(48)
	v_fma_mix_f32 v12, v29, v36, v8 op_sel_hi:[0,1,0]
	ds_read_b128 v[8:11], v85 offset:80
	s_waitcnt vmcnt(47) lgkmcnt(1)
	v_fma_mix_f32 v4, v4, v37, v12 op_sel_hi:[0,1,0]
	s_waitcnt vmcnt(46)
	v_fma_mix_f32 v4, v5, v38, v4 op_sel_hi:[0,1,0]
	s_waitcnt vmcnt(45)
	v_fma_mix_f32 v4, v6, v39, v4 op_sel_hi:[0,1,0]
	s_waitcnt vmcnt(44)
	v_fma_mix_f32 v4, v7, v40, v4 op_sel_hi:[0,1,0]
	s_waitcnt vmcnt(43) lgkmcnt(0)
	v_fma_mix_f32 v8, v8, v41, v4 op_sel_hi:[0,1,0]
	ds_read_b128 v[4:7], v85 offset:96
	s_waitcnt vmcnt(42)
	v_fma_mix_f32 v8, v9, v42, v8 op_sel_hi:[0,1,0]
	s_waitcnt vmcnt(41)
	v_fma_mix_f32 v8, v10, v43, v8 op_sel_hi:[0,1,0]
	s_waitcnt vmcnt(40)
	v_fma_mix_f32 v12, v11, v44, v8 op_sel_hi:[0,1,0]
	ds_read_b128 v[8:11], v85 offset:112
	;; [unrolled: 18-line block ×6, first 2 shown]
	s_waitcnt vmcnt(7) lgkmcnt(1)
	v_fma_mix_f32 v4, v4, v77, v12 op_sel_hi:[0,1,0]
	s_waitcnt vmcnt(6)
	v_fma_mix_f32 v4, v5, v78, v4 op_sel_hi:[0,1,0]
	s_waitcnt vmcnt(5)
	v_fma_mix_f32 v4, v6, v79, v4 op_sel_hi:[0,1,0]
	s_waitcnt vmcnt(4)
	v_fma_mix_f32 v4, v7, v80, v4 op_sel_hi:[0,1,0]
	s_waitcnt vmcnt(3) lgkmcnt(0)
	v_fma_mix_f32 v4, v8, v81, v4 op_sel_hi:[0,1,0]
	s_waitcnt vmcnt(2)
	v_fma_mix_f32 v4, v9, v82, v4 op_sel_hi:[0,1,0]
	s_waitcnt vmcnt(1)
	;; [unrolled: 2-line block ×3, first 2 shown]
	v_fma_mix_f32 v4, v11, v84, v4 op_sel_hi:[0,1,0]
	s_branch .LBB214_16
.LBB214_19:
	v_mov_b32_e32 v2, 0
	ds_read_b32 v2, v2 offset:1792
	s_cmp_lg_u64 s[6:7], 0
	s_cbranch_scc0 .LBB214_24
; %bb.20:
	s_load_dword s6, s[6:7], 0x0
	s_waitcnt lgkmcnt(0)
	v_div_scale_f32 v3, s[0:1], s6, s6, 1.0
	v_rcp_f32_e32 v5, v3
	v_div_scale_f32 v6, vcc, 1.0, s6, 1.0
	v_fma_f32 v7, -v3, v5, 1.0
	v_fmac_f32_e32 v5, v7, v5
	v_mul_f32_e32 v7, v6, v5
	v_fma_f32 v8, -v3, v7, v6
	v_fmac_f32_e32 v7, v8, v5
	v_fma_f32 v3, -v3, v7, v6
	v_div_fmas_f32 v3, v3, v5, v7
	v_div_fixup_f32 v3, v3, s6, 1.0
	s_andn2_b64 vcc, exec, s[28:29]
	s_cbranch_vccnz .LBB214_22
.LBB214_21:
	s_add_u32 s0, s26, s30
	s_addc_u32 s1, s27, s31
	s_load_dword s24, s[0:1], 0x0
	s_mov_b32 s25, 0
.LBB214_22:
	s_waitcnt lgkmcnt(0)
	v_add_f32_e32 v2, 0x358637bd, v2
	v_div_scale_f32 v5, s[0:1], v2, v2, 1.0
	v_rcp_f32_e32 v6, v5
	v_div_scale_f32 v7, vcc, 1.0, v2, 1.0
	s_mul_i32 s0, s3, s25
	v_fma_f32 v8, -v5, v6, 1.0
	v_fmac_f32_e32 v6, v8, v6
	v_mul_f32_e32 v8, v7, v6
	v_fma_f32 v9, -v5, v8, v7
	v_fmac_f32_e32 v8, v9, v6
	v_fma_f32 v5, -v5, v8, v7
	s_mul_hi_u32 s1, s3, s24
	v_div_fmas_f32 v5, v5, v6, v8
	s_add_i32 s1, s1, s0
	s_mul_i32 s0, s3, s24
	v_div_fixup_f32 v2, v5, v2, 1.0
	s_lshl_b64 s[0:1], s[0:1], 7
	v_mul_f32_e32 v2, v4, v2
	s_add_u32 s4, s4, s0
	s_mov_b32 s3, 0
	v_mul_f32_e32 v2, v2, v3
	s_addc_u32 s5, s5, s1
	s_lshl_b64 s[0:1], s[2:3], 7
	s_mov_b32 s2, 0x7f800000
	s_mov_b32 s3, 0x43700000
	v_mov_b32_e32 v3, 0xc3700000
	v_med3_f32 v3, v2, s3, v3
	v_cmp_nlg_f32_e64 vcc, |v2|, s2
	s_add_u32 s0, s4, s0
	s_addc_u32 s1, s5, s1
	v_cndmask_b32_e32 v2, v3, v2, vcc
	v_mov_b32_e32 v3, 0
	v_cvt_pk_fp8_f32 v3, v2, v2
	v_lshl_add_u64 v[0:1], s[0:1], 0, v[0:1]
	global_store_byte v[0:1], v3, off
	s_endpgm
.LBB214_23:
	s_mov_b64 s[6:7], 0
	s_branch .LBB214_2
.LBB214_24:
	v_mov_b32_e32 v3, 1.0
	s_andn2_b64 vcc, exec, s[28:29]
	s_cbranch_vccz .LBB214_21
	s_branch .LBB214_22
	.section	.rodata,"a",@progbits
	.p2align	6, 0x0
	.amdhsa_kernel _Z35paged_attention_ll4mi_reduce_kernelIDF16_hLi128ELi128ELi256ELi7EEvPT0_PKfS3_PKT_PKiS8_iS3_
		.amdhsa_group_segment_fixed_size 1796
		.amdhsa_private_segment_fixed_size 0
		.amdhsa_kernarg_size 320
		.amdhsa_user_sgpr_count 2
		.amdhsa_user_sgpr_dispatch_ptr 0
		.amdhsa_user_sgpr_queue_ptr 0
		.amdhsa_user_sgpr_kernarg_segment_ptr 1
		.amdhsa_user_sgpr_dispatch_id 0
		.amdhsa_user_sgpr_kernarg_preload_length 0
		.amdhsa_user_sgpr_kernarg_preload_offset 0
		.amdhsa_user_sgpr_private_segment_size 0
		.amdhsa_uses_dynamic_stack 0
		.amdhsa_enable_private_segment 0
		.amdhsa_system_sgpr_workgroup_id_x 1
		.amdhsa_system_sgpr_workgroup_id_y 1
		.amdhsa_system_sgpr_workgroup_id_z 0
		.amdhsa_system_sgpr_workgroup_info 0
		.amdhsa_system_vgpr_workitem_id 0
		.amdhsa_next_free_vgpr 92
		.amdhsa_next_free_sgpr 44
		.amdhsa_accum_offset 92
		.amdhsa_reserve_vcc 1
		.amdhsa_float_round_mode_32 0
		.amdhsa_float_round_mode_16_64 0
		.amdhsa_float_denorm_mode_32 3
		.amdhsa_float_denorm_mode_16_64 3
		.amdhsa_dx10_clamp 1
		.amdhsa_ieee_mode 1
		.amdhsa_fp16_overflow 0
		.amdhsa_tg_split 0
		.amdhsa_exception_fp_ieee_invalid_op 0
		.amdhsa_exception_fp_denorm_src 0
		.amdhsa_exception_fp_ieee_div_zero 0
		.amdhsa_exception_fp_ieee_overflow 0
		.amdhsa_exception_fp_ieee_underflow 0
		.amdhsa_exception_fp_ieee_inexact 0
		.amdhsa_exception_int_div_zero 0
	.end_amdhsa_kernel
	.section	.text._Z35paged_attention_ll4mi_reduce_kernelIDF16_hLi128ELi128ELi256ELi7EEvPT0_PKfS3_PKT_PKiS8_iS3_,"axG",@progbits,_Z35paged_attention_ll4mi_reduce_kernelIDF16_hLi128ELi128ELi256ELi7EEvPT0_PKfS3_PKT_PKiS8_iS3_,comdat
.Lfunc_end214:
	.size	_Z35paged_attention_ll4mi_reduce_kernelIDF16_hLi128ELi128ELi256ELi7EEvPT0_PKfS3_PKT_PKiS8_iS3_, .Lfunc_end214-_Z35paged_attention_ll4mi_reduce_kernelIDF16_hLi128ELi128ELi256ELi7EEvPT0_PKfS3_PKT_PKiS8_iS3_
                                        ; -- End function
	.section	.AMDGPU.csdata,"",@progbits
; Kernel info:
; codeLenInByte = 9044
; NumSgprs: 50
; NumVgprs: 92
; NumAgprs: 0
; TotalNumVgprs: 92
; ScratchSize: 0
; MemoryBound: 0
; FloatMode: 240
; IeeeMode: 1
; LDSByteSize: 1796 bytes/workgroup (compile time only)
; SGPRBlocks: 6
; VGPRBlocks: 11
; NumSGPRsForWavesPerEU: 50
; NumVGPRsForWavesPerEU: 92
; AccumOffset: 92
; Occupancy: 5
; WaveLimiterHint : 1
; COMPUTE_PGM_RSRC2:SCRATCH_EN: 0
; COMPUTE_PGM_RSRC2:USER_SGPR: 2
; COMPUTE_PGM_RSRC2:TRAP_HANDLER: 0
; COMPUTE_PGM_RSRC2:TGID_X_EN: 1
; COMPUTE_PGM_RSRC2:TGID_Y_EN: 1
; COMPUTE_PGM_RSRC2:TGID_Z_EN: 0
; COMPUTE_PGM_RSRC2:TIDIG_COMP_CNT: 0
; COMPUTE_PGM_RSRC3_GFX90A:ACCUM_OFFSET: 22
; COMPUTE_PGM_RSRC3_GFX90A:TG_SPLIT: 0
	.section	.text._Z35paged_attention_ll4mi_reduce_kernelIDF16_hLi128ELi128ELi256ELi8EEvPT0_PKfS3_PKT_PKiS8_iS3_,"axG",@progbits,_Z35paged_attention_ll4mi_reduce_kernelIDF16_hLi128ELi128ELi256ELi8EEvPT0_PKfS3_PKT_PKiS8_iS3_,comdat
	.protected	_Z35paged_attention_ll4mi_reduce_kernelIDF16_hLi128ELi128ELi256ELi8EEvPT0_PKfS3_PKT_PKiS8_iS3_ ; -- Begin function _Z35paged_attention_ll4mi_reduce_kernelIDF16_hLi128ELi128ELi256ELi8EEvPT0_PKfS3_PKT_PKiS8_iS3_
	.globl	_Z35paged_attention_ll4mi_reduce_kernelIDF16_hLi128ELi128ELi256ELi8EEvPT0_PKfS3_PKT_PKiS8_iS3_
	.p2align	8
	.type	_Z35paged_attention_ll4mi_reduce_kernelIDF16_hLi128ELi128ELi256ELi8EEvPT0_PKfS3_PKT_PKiS8_iS3_,@function
_Z35paged_attention_ll4mi_reduce_kernelIDF16_hLi128ELi128ELi256ELi8EEvPT0_PKfS3_PKT_PKiS8_iS3_: ; @_Z35paged_attention_ll4mi_reduce_kernelIDF16_hLi128ELi128ELi256ELi8EEvPT0_PKfS3_PKT_PKiS8_iS3_
; %bb.0:
	s_load_dwordx2 s[30:31], s[0:1], 0x28
	s_mov_b32 s28, s3
	s_mov_b64 s[4:5], 0
	s_waitcnt lgkmcnt(0)
	s_cmp_lg_u64 s[30:31], 0
	s_cselect_b64 s[34:35], -1, 0
	s_and_b64 vcc, exec, s[34:35]
	s_cbranch_vccz .LBB215_23
; %bb.1:
	s_add_i32 s6, s28, 1
	s_mov_b32 s7, 0
	s_lshl_b64 s[8:9], s[6:7], 2
	s_add_u32 s8, s30, s8
	s_mov_b32 s29, s7
	s_addc_u32 s9, s31, s9
	s_lshl_b64 s[6:7], s[28:29], 2
	s_add_u32 s6, s30, s6
	s_addc_u32 s7, s31, s7
	s_load_dword s3, s[8:9], 0x0
	s_load_dword s10, s[6:7], 0x0
	s_waitcnt lgkmcnt(0)
	s_sub_i32 s3, s3, s10
	s_cmp_eq_u32 s3, 1
	s_cselect_b64 s[6:7], -1, 0
	s_andn2_b64 vcc, exec, s[4:5]
	s_cbranch_vccnz .LBB215_3
.LBB215_2:
	s_mov_b32 s29, 0
	s_mov_b64 s[6:7], -1
.LBB215_3:
	s_andn2_b64 vcc, exec, s[6:7]
	s_cbranch_vccz .LBB215_5
; %bb.4:
	s_endpgm
.LBB215_5:
	s_load_dwordx4 s[20:23], s[0:1], 0x18
	s_load_dword s8, s[0:1], 0x30
	s_lshl_b64 s[36:37], s[28:29], 2
	v_cmp_lt_u32_e32 vcc, 63, v0
	s_waitcnt lgkmcnt(0)
	s_add_u32 s4, s22, s36
	s_addc_u32 s5, s23, s37
	s_load_dword s44, s[4:5], 0x0
	s_load_dword s3, s[0:1], 0x40
	s_mul_i32 s22, s2, s8
	s_mul_i32 s6, s28, s8
	s_waitcnt lgkmcnt(0)
	s_add_i32 s7, s44, 0xff
	s_ashr_i32 s4, s7, 31
	s_lshr_b32 s4, s4, 24
	s_add_i32 s7, s7, s4
	s_and_saveexec_b64 s[4:5], vcc
	s_xor_b64 s[4:5], exec, s[4:5]
	s_or_saveexec_b64 s[38:39], s[4:5]
	s_ashr_i32 s33, s7, 8
	v_mov_b32_e32 v1, s22
	s_mul_i32 s40, s6, s3
	s_xor_b64 exec, exec, s[38:39]
	s_cbranch_execz .LBB215_9
; %bb.6:
	s_add_i32 s4, s33, -1
	v_or_b32_e32 v3, 64, v0
	v_mov_b32_e32 v1, s4
	v_cmp_gt_u32_e64 s[14:15], s33, v3
	s_load_dwordx4 s[24:27], s[0:1], 0x8
	s_mov_b32 s41, 0
	v_cndmask_b32_e64 v4, v1, v3, s[14:15]
	v_or_b32_e32 v3, 0x80, v0
	v_cmp_gt_u32_e64 s[12:13], s33, v3
	s_lshl_b64 s[42:43], s[40:41], 2
	s_mov_b32 s23, s41
	v_cndmask_b32_e64 v6, v1, v3, s[12:13]
	v_or_b32_e32 v3, 0xc0, v0
	v_cmp_gt_u32_e64 s[10:11], s33, v3
	v_cmp_gt_u32_e64 s[16:17], s33, v0
	s_waitcnt lgkmcnt(0)
	s_add_u32 s18, s26, s42
	v_cndmask_b32_e64 v8, v1, v3, s[10:11]
	v_or_b32_e32 v3, 0x100, v0
	v_cmp_gt_u32_e64 s[8:9], s33, v3
	v_cndmask_b32_e64 v2, v1, v0, s[16:17]
	s_addc_u32 s19, s27, s43
	v_cndmask_b32_e64 v10, v1, v3, s[8:9]
	v_or_b32_e32 v3, 0x140, v0
	v_cmp_gt_u32_e64 s[6:7], s33, v3
	s_lshl_b64 s[26:27], s[22:23], 2
	s_add_u32 s18, s18, s26
	v_cndmask_b32_e64 v12, v1, v3, s[6:7]
	v_or_b32_e32 v3, 0x180, v0
	v_cmp_gt_u32_e64 s[4:5], s33, v3
	s_addc_u32 s19, s19, s27
	v_ashrrev_i32_e32 v5, 31, v4
	v_cndmask_b32_e64 v14, v1, v3, s[4:5]
	v_or_b32_e32 v3, 0x1c0, v0
	v_cmp_gt_u32_e32 vcc, s33, v3
	v_ashrrev_i32_e32 v7, 31, v6
	v_ashrrev_i32_e32 v9, 31, v8
	v_cndmask_b32_e32 v16, v1, v3, vcc
	v_ashrrev_i32_e32 v3, 31, v2
	v_lshlrev_b64 v[2:3], 2, v[2:3]
	v_ashrrev_i32_e32 v11, 31, v10
	v_ashrrev_i32_e32 v13, 31, v12
	;; [unrolled: 1-line block ×4, first 2 shown]
	v_lshl_add_u64 v[18:19], s[18:19], 0, v[2:3]
	v_lshlrev_b64 v[4:5], 2, v[4:5]
	v_lshlrev_b64 v[6:7], 2, v[6:7]
	;; [unrolled: 1-line block ×7, first 2 shown]
	v_lshl_add_u64 v[20:21], s[18:19], 0, v[4:5]
	v_lshl_add_u64 v[22:23], s[18:19], 0, v[6:7]
	;; [unrolled: 1-line block ×7, first 2 shown]
	global_load_dword v1, v[18:19], off
	global_load_dword v34, v[20:21], off
	;; [unrolled: 1-line block ×8, first 2 shown]
	v_mbcnt_lo_u32_b32 v18, -1, 0
	v_mbcnt_hi_u32_b32 v18, -1, v18
	v_and_b32_e32 v19, 64, v18
	v_xor_b32_e32 v20, 32, v18
	v_add_u32_e32 v19, 64, v19
	v_cmp_lt_i32_e64 s[18:19], v20, v19
	v_xor_b32_e32 v21, 16, v18
	v_xor_b32_e32 v22, 8, v18
	v_cndmask_b32_e64 v20, v18, v20, s[18:19]
	s_add_u32 s18, s24, s42
	s_addc_u32 s19, s25, s43
	s_add_u32 s24, s18, s26
	s_addc_u32 s25, s19, s27
	v_lshl_add_u64 v[2:3], s[24:25], 0, v[2:3]
	global_load_dword v24, v[2:3], off
	v_lshlrev_b32_e32 v20, 2, v20
	v_cmp_lt_i32_e64 s[18:19], v21, v19
	v_xor_b32_e32 v23, 4, v18
	v_xor_b32_e32 v25, 2, v18
	v_cndmask_b32_e64 v21, v18, v21, s[18:19]
	v_lshlrev_b32_e32 v21, 2, v21
	v_cmp_lt_i32_e64 s[18:19], v22, v19
	s_mov_b32 s23, 0x3fb8aa3b
	s_waitcnt vmcnt(8)
	v_max_f32_e32 v3, v1, v1
	s_waitcnt vmcnt(7)
	v_max_f32_e32 v2, v34, v34
	v_max_f32_e32 v2, v3, v2
	s_waitcnt vmcnt(5)
	v_max3_f32 v2, v2, v35, v36
	s_waitcnt vmcnt(3)
	v_max3_f32 v2, v2, v37, v38
	;; [unrolled: 2-line block ×3, first 2 shown]
	ds_bpermute_b32 v3, v20, v2
	s_waitcnt lgkmcnt(0)
	v_max_f32_e32 v3, v3, v3
	v_max_f32_e32 v26, v2, v3
	ds_bpermute_b32 v27, v21, v26
	v_cndmask_b32_e64 v2, v18, v22, s[18:19]
	v_lshlrev_b32_e32 v22, 2, v2
	v_lshl_add_u64 v[2:3], s[24:25], 0, v[4:5]
	global_load_dword v28, v[2:3], off
	s_waitcnt lgkmcnt(0)
	v_max_f32_e32 v2, v27, v27
	v_max_f32_e32 v2, v26, v2
	ds_bpermute_b32 v3, v22, v2
	v_cmp_lt_i32_e64 s[18:19], v23, v19
	v_xor_b32_e32 v4, 1, v18
	s_waitcnt lgkmcnt(0)
	v_max_f32_e32 v3, v3, v3
	v_cndmask_b32_e64 v5, v18, v23, s[18:19]
	v_lshlrev_b32_e32 v23, 2, v5
	v_max_f32_e32 v5, v2, v3
	ds_bpermute_b32 v26, v23, v5
	v_cmp_lt_i32_e64 s[18:19], v25, v19
	s_nop 1
	v_cndmask_b32_e64 v2, v18, v25, s[18:19]
	v_lshlrev_b32_e32 v25, 2, v2
	v_lshl_add_u64 v[2:3], s[24:25], 0, v[6:7]
	global_load_dword v27, v[2:3], off
	s_waitcnt lgkmcnt(0)
	v_max_f32_e32 v2, v26, v26
	v_max_f32_e32 v5, v5, v2
	ds_bpermute_b32 v6, v25, v5
	v_cmp_lt_i32_e64 s[18:19], v4, v19
	s_nop 1
	v_cndmask_b32_e64 v2, v18, v4, s[18:19]
	s_waitcnt lgkmcnt(0)
	v_max_f32_e32 v4, v6, v6
	v_lshlrev_b32_e32 v18, 2, v2
	v_lshl_add_u64 v[2:3], s[24:25], 0, v[8:9]
	v_max_f32_e32 v19, v5, v4
	ds_bpermute_b32 v26, v18, v19
	global_load_dword v2, v[2:3], off
	v_lshl_add_u64 v[6:7], s[24:25], 0, v[12:13]
	v_lshl_add_u64 v[8:9], s[24:25], 0, v[14:15]
	;; [unrolled: 1-line block ×3, first 2 shown]
	s_waitcnt lgkmcnt(0)
	v_max_f32_e32 v12, v26, v26
	v_max_f32_e32 v12, v19, v12
	v_sub_f32_e32 v1, v1, v12
	v_mul_f32_e32 v3, 0x3fb8aa3b, v1
	v_fma_f32 v13, v1, s23, -v3
	v_rndne_f32_e32 v14, v3
	v_fmac_f32_e32 v13, 0x32a5705f, v1
	v_sub_f32_e32 v3, v3, v14
	v_lshl_add_u64 v[10:11], s[24:25], 0, v[16:17]
	v_add_f32_e32 v3, v3, v13
	v_cvt_i32_f32_e32 v13, v14
	global_load_dword v14, v[4:5], off
	global_load_dword v15, v[6:7], off
	;; [unrolled: 1-line block ×4, first 2 shown]
	v_sub_f32_e32 v5, v34, v12
	v_mul_f32_e32 v6, 0x3fb8aa3b, v5
	v_fma_f32 v7, v5, s23, -v6
	v_rndne_f32_e32 v8, v6
	v_exp_f32_e32 v3, v3
	v_fmac_f32_e32 v7, 0x32a5705f, v5
	v_sub_f32_e32 v6, v6, v8
	v_add_f32_e32 v6, v6, v7
	v_exp_f32_e32 v6, v6
	v_cvt_i32_f32_e32 v7, v8
	s_mov_b32 s24, 0xc2ce8ed0
	v_ldexp_f32 v3, v3, v13
	v_cmp_ngt_f32_e64 s[18:19], s24, v1
	s_mov_b32 s25, 0x42b17218
	v_mov_b32_e32 v4, 0x7f800000
	v_cndmask_b32_e64 v3, 0, v3, s[18:19]
	v_cmp_nlt_f32_e64 s[18:19], s25, v1
	s_nop 1
	v_cndmask_b32_e64 v1, v4, v3, s[18:19]
	v_ldexp_f32 v3, v6, v7
	v_sub_f32_e32 v6, v35, v12
	v_mul_f32_e32 v7, 0x3fb8aa3b, v6
	v_fma_f32 v8, v6, s23, -v7
	v_rndne_f32_e32 v9, v7
	v_fmac_f32_e32 v8, 0x32a5705f, v6
	v_sub_f32_e32 v7, v7, v9
	v_add_f32_e32 v7, v7, v8
	v_exp_f32_e32 v7, v7
	v_cvt_i32_f32_e32 v8, v9
	v_cndmask_b32_e64 v1, 0, v1, s[16:17]
	v_cmp_ngt_f32_e64 s[16:17], s24, v5
	s_waitcnt vmcnt(7)
	v_mul_f32_e32 v1, v24, v1
	v_cndmask_b32_e64 v3, 0, v3, s[16:17]
	v_cmp_nlt_f32_e64 s[16:17], s25, v5
	v_ldexp_f32 v5, v7, v8
	v_sub_f32_e32 v7, v36, v12
	v_mul_f32_e32 v8, 0x3fb8aa3b, v7
	v_fma_f32 v9, v7, s23, -v8
	v_rndne_f32_e32 v10, v8
	v_fmac_f32_e32 v9, 0x32a5705f, v7
	v_sub_f32_e32 v8, v8, v10
	v_add_f32_e32 v8, v8, v9
	v_exp_f32_e32 v8, v8
	v_cvt_i32_f32_e32 v9, v10
	v_cndmask_b32_e64 v3, v4, v3, s[16:17]
	v_cndmask_b32_e64 v3, 0, v3, s[14:15]
	v_cmp_ngt_f32_e64 s[14:15], s24, v6
	s_waitcnt vmcnt(6)
	v_mul_f32_e32 v3, v28, v3
	v_cndmask_b32_e64 v5, 0, v5, s[14:15]
	v_cmp_nlt_f32_e64 s[14:15], s25, v6
	v_ldexp_f32 v6, v8, v9
	v_sub_f32_e32 v8, v37, v12
	v_mul_f32_e32 v9, 0x3fb8aa3b, v8
	v_fma_f32 v10, v8, s23, -v9
	v_rndne_f32_e32 v11, v9
	v_fmac_f32_e32 v10, 0x32a5705f, v8
	v_sub_f32_e32 v9, v9, v11
	v_cndmask_b32_e64 v5, v4, v5, s[14:15]
	v_add_f32_e32 v9, v9, v10
	v_cndmask_b32_e64 v5, 0, v5, s[12:13]
	v_cmp_ngt_f32_e64 s[12:13], s24, v7
	v_exp_f32_e32 v9, v9
	v_cvt_i32_f32_e32 v10, v11
	v_cndmask_b32_e64 v6, 0, v6, s[12:13]
	v_cmp_nlt_f32_e64 s[12:13], s25, v7
	v_sub_f32_e32 v7, v38, v12
	s_waitcnt vmcnt(5)
	v_mul_f32_e32 v5, v27, v5
	v_cndmask_b32_e64 v6, v4, v6, s[12:13]
	v_cndmask_b32_e64 v6, 0, v6, s[10:11]
	s_waitcnt vmcnt(4)
	v_mul_f32_e32 v6, v2, v6
	v_ldexp_f32 v2, v9, v10
	v_mul_f32_e32 v9, 0x3fb8aa3b, v7
	v_fma_f32 v10, v7, s23, -v9
	v_rndne_f32_e32 v11, v9
	v_fmac_f32_e32 v10, 0x32a5705f, v7
	v_sub_f32_e32 v9, v9, v11
	v_add_f32_e32 v9, v9, v10
	v_cmp_ngt_f32_e64 s[10:11], s24, v8
	v_exp_f32_e32 v9, v9
	v_cvt_i32_f32_e32 v10, v11
	v_cndmask_b32_e64 v2, 0, v2, s[10:11]
	v_cmp_nlt_f32_e64 s[10:11], s25, v8
	s_nop 1
	v_cndmask_b32_e64 v2, v4, v2, s[10:11]
	v_cndmask_b32_e64 v2, 0, v2, s[8:9]
	s_waitcnt vmcnt(3)
	v_mul_f32_e32 v8, v14, v2
	v_ldexp_f32 v2, v9, v10
	v_sub_f32_e32 v9, v39, v12
	v_mul_f32_e32 v10, 0x3fb8aa3b, v9
	v_fma_f32 v11, v9, s23, -v10
	v_rndne_f32_e32 v13, v10
	v_fmac_f32_e32 v11, 0x32a5705f, v9
	v_sub_f32_e32 v10, v10, v13
	v_add_f32_e32 v10, v10, v11
	v_cmp_ngt_f32_e64 s[8:9], s24, v7
	v_exp_f32_e32 v10, v10
	v_cvt_i32_f32_e32 v11, v13
	v_cndmask_b32_e64 v2, 0, v2, s[8:9]
	v_cmp_nlt_f32_e64 s[8:9], s25, v7
	s_nop 1
	v_cndmask_b32_e64 v2, v4, v2, s[8:9]
	v_cndmask_b32_e64 v2, 0, v2, s[6:7]
	s_waitcnt vmcnt(2)
	v_mul_f32_e32 v7, v15, v2
	v_ldexp_f32 v2, v10, v11
	v_sub_f32_e32 v10, v40, v12
	v_mul_f32_e32 v11, 0x3fb8aa3b, v10
	v_fma_f32 v12, v10, s23, -v11
	v_rndne_f32_e32 v13, v11
	v_fmac_f32_e32 v12, 0x32a5705f, v10
	v_sub_f32_e32 v11, v11, v13
	v_add_f32_e32 v11, v11, v12
	v_exp_f32_e32 v11, v11
	v_cvt_i32_f32_e32 v12, v13
	v_cmp_ngt_f32_e64 s[6:7], s24, v9
	s_nop 1
	v_cndmask_b32_e64 v2, 0, v2, s[6:7]
	v_cmp_nlt_f32_e64 s[6:7], s25, v9
	v_ldexp_f32 v9, v11, v12
	v_lshlrev_b32_e32 v12, 2, v0
	v_cndmask_b32_e64 v2, v4, v2, s[6:7]
	v_cndmask_b32_e64 v2, 0, v2, s[4:5]
	v_cmp_ngt_f32_e64 s[4:5], s24, v10
	ds_write2st64_b32 v12, v1, v3 offset1:1
	s_waitcnt vmcnt(1)
	v_mul_f32_e32 v11, v16, v2
	v_cndmask_b32_e64 v9, 0, v9, s[4:5]
	v_cmp_nlt_f32_e64 s[4:5], s25, v10
	s_nop 1
	v_cndmask_b32_e64 v4, v4, v9, s[4:5]
	v_add_f32_e32 v9, v1, v3
	v_add_f32_e32 v9, v9, v5
	;; [unrolled: 1-line block ×5, first 2 shown]
	v_cndmask_b32_e32 v4, 0, v4, vcc
	v_fmac_f32_e32 v9, v16, v2
	s_waitcnt vmcnt(0)
	v_fmac_f32_e32 v9, v17, v4
	ds_bpermute_b32 v10, v20, v9
	v_cmp_eq_u32_e32 vcc, 0, v0
	v_mul_f32_e32 v4, v17, v4
	ds_write2st64_b32 v12, v5, v6 offset0:2 offset1:3
	ds_write2st64_b32 v12, v8, v7 offset0:4 offset1:5
	;; [unrolled: 1-line block ×3, first 2 shown]
	s_waitcnt lgkmcnt(3)
	v_add_f32_e32 v9, v9, v10
	ds_bpermute_b32 v10, v21, v9
	s_waitcnt lgkmcnt(0)
	v_add_f32_e32 v9, v9, v10
	ds_bpermute_b32 v10, v22, v9
	;; [unrolled: 3-line block ×5, first 2 shown]
	s_and_saveexec_b64 s[4:5], vcc
	s_cbranch_execz .LBB215_8
; %bb.7:
	s_waitcnt lgkmcnt(0)
	v_add_f32_e32 v1, v1, v2
	v_mov_b32_e32 v2, 0
	ds_write_b32 v2, v1 offset:2048
.LBB215_8:
	s_or_b64 exec, exec, s[4:5]
	v_mov_b32_e32 v1, s22
.LBB215_9:
	s_or_b64 exec, exec, s[38:39]
	s_lshl_b32 s4, s40, 7
	s_mov_b32 s5, 0
	s_lshl_b64 s[4:5], s[4:5], 1
	s_add_u32 s4, s20, s4
	s_addc_u32 s5, s21, s5
	s_lshl_b32 s10, s33, 7
	s_waitcnt lgkmcnt(0)
	v_lshlrev_b32_e32 v2, 7, v1
	v_mov_b32_e32 v1, 0
	s_add_i32 s11, s10, 0xffffff80
	v_mov_b32_e32 v3, v1
	s_cmp_lt_i32 s44, 1
	v_lshl_add_u64 v[2:3], v[2:3], 1, s[4:5]
	s_cselect_b32 s4, s11, 0
	v_lshlrev_b32_e32 v4, 1, v0
	v_mov_b32_e32 v5, v1
	s_ashr_i32 s5, s4, 31
	v_lshl_add_u64 v[2:3], v[2:3], 0, v[4:5]
	s_cmpk_lt_i32 s44, 0x101
	v_lshl_add_u64 v[12:13], s[4:5], 1, v[2:3]
	s_cselect_b32 s4, s11, 0x80
	s_ashr_i32 s5, s4, 31
	s_cmpk_lt_i32 s44, 0x201
	v_lshl_add_u64 v[14:15], s[4:5], 1, v[2:3]
	s_cselect_b32 s4, s11, 0x100
	s_ashr_i32 s5, s4, 31
	;; [unrolled: 4-line block ×8, first 2 shown]
	s_cmpk_lt_i32 s44, 0x901
	global_load_ushort v4, v[12:13], off
	global_load_ushort v5, v[14:15], off
	;; [unrolled: 1-line block ×8, first 2 shown]
	v_lshl_add_u64 v[20:21], s[4:5], 1, v[2:3]
	s_cselect_b32 s4, s11, 0x480
	s_ashr_i32 s5, s4, 31
	s_cmpk_lt_i32 s44, 0xa01
	v_lshl_add_u64 v[22:23], s[4:5], 1, v[2:3]
	s_cselect_b32 s4, s11, 0x500
	s_ashr_i32 s5, s4, 31
	s_cmpk_lt_i32 s44, 0xb01
	;; [unrolled: 4-line block ×6, first 2 shown]
	v_lshl_add_u64 v[32:33], s[4:5], 1, v[2:3]
	s_cselect_b32 s4, s11, 0x780
	s_ashr_i32 s5, s4, 31
	v_lshl_add_u64 v[34:35], s[4:5], 1, v[2:3]
	global_load_ushort v12, v[20:21], off
	global_load_ushort v13, v[22:23], off
	;; [unrolled: 1-line block ×8, first 2 shown]
	s_cmpk_gt_i32 s44, 0x1000
	s_cselect_b64 s[8:9], -1, 0
	s_cmpk_lt_i32 s44, 0x1001
	v_mov_b32_e32 v36, 0
	v_mov_b32_e32 v37, 0
	;; [unrolled: 1-line block ×48, first 2 shown]
	s_barrier
	s_cbranch_scc1 .LBB215_12
; %bb.10:
	s_cmpk_lt_u32 s44, 0x1101
	s_cselect_b32 s4, s11, 0x880
	s_ashr_i32 s5, s4, 31
	s_cmpk_lt_u32 s44, 0x1201
	v_lshl_add_u64 v[30:31], s[4:5], 1, v[2:3]
	s_cselect_b32 s4, s11, 0x900
	s_ashr_i32 s5, s4, 31
	s_cmpk_lt_u32 s44, 0x1301
	v_lshl_add_u64 v[32:33], s[4:5], 1, v[2:3]
	;; [unrolled: 4-line block ×7, first 2 shown]
	s_cselect_b32 s4, s11, 0xc00
	v_add_co_u32_e32 v28, vcc, 0x1000, v2
	s_ashr_i32 s5, s4, 31
	s_nop 0
	v_addc_co_u32_e32 v29, vcc, 0, v3, vcc
	s_cmpk_lt_u32 s44, 0x1901
	global_load_ushort v27, v[28:29], off
	global_load_ushort v26, v[30:31], off
	;; [unrolled: 1-line block ×8, first 2 shown]
	v_lshl_add_u64 v[36:37], s[4:5], 1, v[2:3]
	s_cselect_b32 s4, s11, 0xc80
	s_ashr_i32 s5, s4, 31
	s_cmpk_lt_u32 s44, 0x1a01
	v_lshl_add_u64 v[38:39], s[4:5], 1, v[2:3]
	s_cselect_b32 s4, s11, 0xd00
	s_ashr_i32 s5, s4, 31
	s_cmpk_lt_u32 s44, 0x1b01
	;; [unrolled: 4-line block ×6, first 2 shown]
	v_lshl_add_u64 v[48:49], s[4:5], 1, v[2:3]
	s_cselect_b32 s4, s11, 0xf80
	s_ashr_i32 s5, s4, 31
	v_lshl_add_u64 v[50:51], s[4:5], 1, v[2:3]
	global_load_ushort v35, v[36:37], off
	global_load_ushort v34, v[38:39], off
	;; [unrolled: 1-line block ×8, first 2 shown]
	s_cmpk_lt_u32 s44, 0x2001
	v_mov_b32_e32 v67, 0
	v_mov_b32_e32 v66, 0
	;; [unrolled: 1-line block ×32, first 2 shown]
	s_cbranch_scc1 .LBB215_12
; %bb.11:
	s_cmpk_lt_u32 s44, 0x2101
	s_cselect_b32 s4, s11, 0x1080
	s_ashr_i32 s5, s4, 31
	s_cmpk_lt_u32 s44, 0x2201
	v_lshl_add_u64 v[38:39], s[4:5], 1, v[2:3]
	s_cselect_b32 s4, s11, 0x1100
	s_ashr_i32 s5, s4, 31
	s_cmpk_lt_u32 s44, 0x2301
	v_lshl_add_u64 v[40:41], s[4:5], 1, v[2:3]
	;; [unrolled: 4-line block ×7, first 2 shown]
	s_cselect_b32 s4, s11, 0x1400
	v_add_co_u32_e32 v36, vcc, 0x2000, v2
	s_ashr_i32 s5, s4, 31
	s_nop 0
	v_addc_co_u32_e32 v37, vcc, 0, v3, vcc
	s_cmpk_lt_u32 s44, 0x2901
	global_load_ushort v52, v[36:37], off
	global_load_ushort v53, v[38:39], off
	;; [unrolled: 1-line block ×8, first 2 shown]
	v_lshl_add_u64 v[36:37], s[4:5], 1, v[2:3]
	s_cselect_b32 s4, s11, 0x1480
	s_ashr_i32 s5, s4, 31
	s_cmpk_lt_u32 s44, 0x2a01
	v_lshl_add_u64 v[38:39], s[4:5], 1, v[2:3]
	s_cselect_b32 s4, s11, 0x1500
	s_ashr_i32 s5, s4, 31
	s_cmpk_lt_u32 s44, 0x2b01
	;; [unrolled: 4-line block ×8, first 2 shown]
	global_load_ushort v68, v[36:37], off
	global_load_ushort v69, v[38:39], off
	;; [unrolled: 1-line block ×8, first 2 shown]
	v_lshl_add_u64 v[36:37], s[4:5], 1, v[2:3]
	s_cselect_b32 s4, s11, 0x1880
	s_ashr_i32 s5, s4, 31
	s_cmpk_lt_u32 s44, 0x3201
	v_lshl_add_u64 v[38:39], s[4:5], 1, v[2:3]
	s_cselect_b32 s4, s11, 0x1900
	s_ashr_i32 s5, s4, 31
	s_cmpk_lt_u32 s44, 0x3301
	v_lshl_add_u64 v[40:41], s[4:5], 1, v[2:3]
	s_cselect_b32 s4, s11, 0x1980
	s_ashr_i32 s5, s4, 31
	s_cmpk_lt_u32 s44, 0x3401
	v_lshl_add_u64 v[42:43], s[4:5], 1, v[2:3]
	s_cselect_b32 s4, s11, 0x1a00
	s_ashr_i32 s5, s4, 31
	s_cmpk_lt_u32 s44, 0x3501
	v_lshl_add_u64 v[44:45], s[4:5], 1, v[2:3]
	s_cselect_b32 s4, s11, 0x1a80
	s_ashr_i32 s5, s4, 31
	s_cmpk_lt_u32 s44, 0x3601
	v_lshl_add_u64 v[46:47], s[4:5], 1, v[2:3]
	s_cselect_b32 s4, s11, 0x1b00
	s_ashr_i32 s5, s4, 31
	s_cmpk_lt_u32 s44, 0x3701
	v_lshl_add_u64 v[48:49], s[4:5], 1, v[2:3]
	s_cselect_b32 s4, s11, 0x1b80
	s_ashr_i32 s5, s4, 31
	s_cmpk_lt_u32 s44, 0x3801
	v_lshl_add_u64 v[50:51], s[4:5], 1, v[2:3]
	s_cselect_b32 s4, s11, 0x1c00
	s_ashr_i32 s5, s4, 31
	s_cmpk_lt_u32 s44, 0x3901
	global_load_ushort v76, v[36:37], off
	global_load_ushort v77, v[38:39], off
	;; [unrolled: 1-line block ×8, first 2 shown]
	v_lshl_add_u64 v[36:37], s[4:5], 1, v[2:3]
	s_cselect_b32 s4, s11, 0x1c80
	s_ashr_i32 s5, s4, 31
	s_cmpk_lt_u32 s44, 0x3a01
	v_lshl_add_u64 v[38:39], s[4:5], 1, v[2:3]
	s_cselect_b32 s4, s11, 0x1d00
	s_ashr_i32 s5, s4, 31
	s_cmpk_lt_u32 s44, 0x3b01
	v_lshl_add_u64 v[40:41], s[4:5], 1, v[2:3]
	s_cselect_b32 s4, s11, 0x1d80
	s_ashr_i32 s5, s4, 31
	s_cmpk_lt_u32 s44, 0x3c01
	v_lshl_add_u64 v[42:43], s[4:5], 1, v[2:3]
	s_cselect_b32 s4, s11, 0x1e00
	s_ashr_i32 s5, s4, 31
	s_cmpk_lt_u32 s44, 0x3d01
	v_lshl_add_u64 v[44:45], s[4:5], 1, v[2:3]
	s_cselect_b32 s4, s11, 0x1e80
	s_ashr_i32 s5, s4, 31
	s_cmpk_lt_u32 s44, 0x3e01
	v_lshl_add_u64 v[46:47], s[4:5], 1, v[2:3]
	s_cselect_b32 s4, s11, 0x1f00
	s_ashr_i32 s5, s4, 31
	s_cmpk_lt_u32 s44, 0x3f01
	v_lshl_add_u64 v[48:49], s[4:5], 1, v[2:3]
	s_cselect_b32 s4, s11, 0x1f80
	s_ashr_i32 s5, s4, 31
	v_lshl_add_u64 v[50:51], s[4:5], 1, v[2:3]
	global_load_ushort v84, v[36:37], off
	global_load_ushort v85, v[38:39], off
	;; [unrolled: 1-line block ×8, first 2 shown]
	s_waitcnt vmcnt(31)
	v_cvt_f32_f16_e32 v67, v52
	s_waitcnt vmcnt(30)
	v_cvt_f32_f16_e32 v66, v53
	;; [unrolled: 2-line block ×32, first 2 shown]
.LBB215_12:
	ds_read_b128 v[68:71], v1
	s_load_dwordx2 s[4:5], s[0:1], 0x0
	s_load_dwordx2 s[6:7], s[0:1], 0x38
	ds_read_b128 v[72:75], v1 offset:16
	ds_read_b128 v[76:79], v1 offset:32
	;; [unrolled: 1-line block ×3, first 2 shown]
	s_and_b64 vcc, exec, s[8:9]
	s_waitcnt vmcnt(15) lgkmcnt(0)
	v_fma_mix_f32 v4, v68, v4, 0 op_sel_hi:[0,1,0]
	s_waitcnt vmcnt(14)
	v_fma_mix_f32 v4, v69, v5, v4 op_sel_hi:[0,1,0]
	s_waitcnt vmcnt(13)
	v_fma_mix_f32 v4, v70, v6, v4 op_sel_hi:[0,1,0]
	s_waitcnt vmcnt(12)
	v_fma_mix_f32 v4, v71, v7, v4 op_sel_hi:[0,1,0]
	s_waitcnt vmcnt(11)
	v_fma_mix_f32 v4, v72, v8, v4 op_sel_hi:[0,1,0]
	s_waitcnt vmcnt(10)
	v_fma_mix_f32 v4, v73, v9, v4 op_sel_hi:[0,1,0]
	s_waitcnt vmcnt(9)
	v_fma_mix_f32 v4, v74, v10, v4 op_sel_hi:[0,1,0]
	s_waitcnt vmcnt(8)
	v_fma_mix_f32 v4, v75, v11, v4 op_sel_hi:[0,1,0]
	s_waitcnt vmcnt(7)
	v_fma_mix_f32 v4, v76, v12, v4 op_sel_hi:[0,1,0]
	s_waitcnt vmcnt(6)
	v_fma_mix_f32 v4, v77, v13, v4 op_sel_hi:[0,1,0]
	s_waitcnt vmcnt(5)
	v_fma_mix_f32 v4, v78, v14, v4 op_sel_hi:[0,1,0]
	s_waitcnt vmcnt(4)
	v_fma_mix_f32 v4, v79, v15, v4 op_sel_hi:[0,1,0]
	s_waitcnt vmcnt(3)
	v_fma_mix_f32 v4, v80, v16, v4 op_sel_hi:[0,1,0]
	s_waitcnt vmcnt(2)
	v_fma_mix_f32 v4, v81, v17, v4 op_sel_hi:[0,1,0]
	s_waitcnt vmcnt(1)
	v_fma_mix_f32 v4, v82, v18, v4 op_sel_hi:[0,1,0]
	s_waitcnt vmcnt(0)
	v_fma_mix_f32 v4, v83, v19, v4 op_sel_hi:[0,1,0]
	s_cbranch_vccz .LBB215_15
; %bb.13:
	ds_read_b128 v[6:9], v1 offset:64
	ds_read_b128 v[10:13], v1 offset:80
	ds_read_b128 v[14:17], v1 offset:96
	ds_read_b128 v[68:71], v1 offset:112
	s_cmpk_lt_u32 s44, 0x2001
	s_waitcnt lgkmcnt(3)
	v_fma_mix_f32 v4, v6, v27, v4 op_sel_hi:[0,1,0]
	v_fma_mix_f32 v4, v7, v26, v4 op_sel_hi:[0,1,0]
	v_fma_mix_f32 v4, v8, v25, v4 op_sel_hi:[0,1,0]
	v_fma_mix_f32 v4, v9, v24, v4 op_sel_hi:[0,1,0]
	s_waitcnt lgkmcnt(2)
	v_fma_mix_f32 v4, v10, v23, v4 op_sel_hi:[0,1,0]
	v_fma_mix_f32 v4, v11, v22, v4 op_sel_hi:[0,1,0]
	v_fma_mix_f32 v4, v12, v21, v4 op_sel_hi:[0,1,0]
	v_fma_mix_f32 v4, v13, v20, v4 op_sel_hi:[0,1,0]
	s_waitcnt lgkmcnt(1)
	v_fma_mix_f32 v4, v14, v35, v4 op_sel_hi:[0,1,0]
	v_fma_mix_f32 v4, v15, v34, v4 op_sel_hi:[0,1,0]
	v_fma_mix_f32 v4, v16, v33, v4 op_sel_hi:[0,1,0]
	v_fma_mix_f32 v4, v17, v32, v4 op_sel_hi:[0,1,0]
	s_waitcnt lgkmcnt(0)
	v_fma_mix_f32 v4, v68, v31, v4 op_sel_hi:[0,1,0]
	v_fma_mix_f32 v4, v69, v30, v4 op_sel_hi:[0,1,0]
	v_fma_mix_f32 v4, v70, v29, v4 op_sel_hi:[0,1,0]
	v_fma_mix_f32 v4, v71, v28, v4 op_sel_hi:[0,1,0]
	s_cbranch_scc1 .LBB215_15
; %bb.14:
	v_mov_b32_e32 v5, 0
	ds_read_b128 v[6:9], v5 offset:128
	ds_read_b128 v[10:13], v5 offset:144
	ds_read_b128 v[14:17], v5 offset:160
	ds_read_b128 v[18:21], v5 offset:176
	s_waitcnt lgkmcnt(3)
	v_fmac_f32_e32 v4, v6, v67
	v_fmac_f32_e32 v4, v7, v66
	v_fmac_f32_e32 v4, v8, v65
	v_fmac_f32_e32 v4, v9, v64
	s_waitcnt lgkmcnt(2)
	v_fmac_f32_e32 v4, v10, v63
	v_fmac_f32_e32 v4, v11, v62
	v_fmac_f32_e32 v4, v12, v61
	v_fmac_f32_e32 v4, v13, v60
	;; [unrolled: 5-line block ×3, first 2 shown]
	ds_read_b128 v[6:9], v5 offset:192
	ds_read_b128 v[10:13], v5 offset:208
	s_waitcnt lgkmcnt(2)
	v_fmac_f32_e32 v4, v18, v55
	v_fmac_f32_e32 v4, v19, v54
	;; [unrolled: 1-line block ×4, first 2 shown]
	s_waitcnt lgkmcnt(1)
	v_fmac_f32_e32 v4, v6, v51
	v_fmac_f32_e32 v4, v7, v50
	;; [unrolled: 1-line block ×4, first 2 shown]
	ds_read_b128 v[6:9], v5 offset:224
	s_waitcnt lgkmcnt(1)
	v_fmac_f32_e32 v4, v10, v47
	v_fmac_f32_e32 v4, v11, v46
	;; [unrolled: 1-line block ×4, first 2 shown]
	ds_read_b128 v[10:13], v5 offset:240
	s_waitcnt lgkmcnt(1)
	v_fmac_f32_e32 v4, v6, v43
	v_fmac_f32_e32 v4, v7, v42
	;; [unrolled: 1-line block ×4, first 2 shown]
	s_waitcnt lgkmcnt(0)
	v_fmac_f32_e32 v4, v10, v39
	v_fmac_f32_e32 v4, v11, v38
	;; [unrolled: 1-line block ×4, first 2 shown]
.LBB215_15:
	s_movk_i32 s0, 0x3f80
	s_movk_i32 s1, 0x100
	s_mov_b32 s8, 64
	s_branch .LBB215_17
.LBB215_16:                             ;   in Loop: Header=BB215_17 Depth=1
	s_addk_i32 s0, 0x2000
	s_addk_i32 s1, 0x100
	s_add_i32 s8, s8, 64
	s_cmp_eq_u32 s0, 0x11f80
	s_cbranch_scc1 .LBB215_19
.LBB215_17:                             ; =>This Inner Loop Header: Depth=1
	s_cmp_le_i32 s33, s8
	s_cbranch_scc1 .LBB215_16
; %bb.18:                               ;   in Loop: Header=BB215_17 Depth=1
	s_add_i32 s9, s0, 0xffffe080
	s_cmp_lt_i32 s9, s10
	s_cselect_b32 s12, s9, s11
	s_ashr_i32 s13, s12, 31
	s_add_i32 s9, s0, 0xffffe100
	s_cmp_lt_i32 s9, s10
	v_lshl_add_u64 v[14:15], s[12:13], 1, v[2:3]
	s_cselect_b32 s12, s9, s11
	s_ashr_i32 s13, s12, 31
	s_add_i32 s9, s0, 0xffffe180
	s_cmp_lt_i32 s9, s10
	v_lshl_add_u64 v[16:17], s[12:13], 1, v[2:3]
	s_cselect_b32 s12, s9, s11
	s_ashr_i32 s13, s12, 31
	s_add_i32 s9, s0, 0xffffe200
	s_cmp_lt_i32 s9, s10
	v_lshl_add_u64 v[18:19], s[12:13], 1, v[2:3]
	s_cselect_b32 s12, s9, s11
	s_ashr_i32 s13, s12, 31
	s_add_i32 s9, s0, 0xffffe280
	s_cmp_lt_i32 s9, s10
	v_lshl_add_u64 v[20:21], s[12:13], 1, v[2:3]
	s_cselect_b32 s12, s9, s11
	s_ashr_i32 s13, s12, 31
	s_add_i32 s9, s0, 0xffffe300
	s_cmp_lt_i32 s9, s10
	v_lshl_add_u64 v[22:23], s[12:13], 1, v[2:3]
	s_cselect_b32 s12, s9, s11
	s_ashr_i32 s13, s12, 31
	s_add_i32 s9, s0, 0xffffe380
	s_cmp_lt_i32 s9, s10
	v_lshl_add_u64 v[24:25], s[12:13], 1, v[2:3]
	s_cselect_b32 s12, s9, s11
	s_ashr_i32 s13, s12, 31
	s_add_i32 s9, s0, 0xffffe400
	s_cmp_lt_i32 s9, s10
	v_lshl_add_u64 v[26:27], s[12:13], 1, v[2:3]
	s_cselect_b32 s12, s9, s11
	s_ashr_i32 s13, s12, 31
	s_add_i32 s9, s0, 0xffffe480
	s_cmp_lt_i32 s9, s10
	v_lshl_add_u64 v[28:29], s[12:13], 1, v[2:3]
	s_cselect_b32 s12, s9, s11
	s_ashr_i32 s13, s12, 31
	s_add_i32 s9, s0, 0xffffe500
	s_cmp_lt_i32 s9, s10
	global_load_ushort v5, v[14:15], off
	global_load_ushort v6, v[16:17], off
	global_load_ushort v7, v[18:19], off
	global_load_ushort v8, v[20:21], off
	global_load_ushort v9, v[22:23], off
	global_load_ushort v10, v[24:25], off
	global_load_ushort v11, v[26:27], off
	global_load_ushort v12, v[28:29], off
	v_lshl_add_u64 v[14:15], s[12:13], 1, v[2:3]
	s_cselect_b32 s12, s9, s11
	s_ashr_i32 s13, s12, 31
	s_add_i32 s9, s0, 0xffffe580
	s_cmp_lt_i32 s9, s10
	v_lshl_add_u64 v[16:17], s[12:13], 1, v[2:3]
	s_cselect_b32 s12, s9, s11
	s_ashr_i32 s13, s12, 31
	s_add_i32 s9, s0, 0xffffe600
	s_cmp_lt_i32 s9, s10
	v_lshl_add_u64 v[18:19], s[12:13], 1, v[2:3]
	s_cselect_b32 s12, s9, s11
	s_ashr_i32 s13, s12, 31
	s_add_i32 s9, s0, 0xffffe680
	s_cmp_lt_i32 s9, s10
	v_lshl_add_u64 v[20:21], s[12:13], 1, v[2:3]
	s_cselect_b32 s12, s9, s11
	s_ashr_i32 s13, s12, 31
	s_add_i32 s9, s0, 0xffffe700
	s_cmp_lt_i32 s9, s10
	v_lshl_add_u64 v[22:23], s[12:13], 1, v[2:3]
	s_cselect_b32 s12, s9, s11
	s_ashr_i32 s13, s12, 31
	s_add_i32 s9, s0, 0xffffe780
	s_cmp_lt_i32 s9, s10
	v_lshl_add_u64 v[24:25], s[12:13], 1, v[2:3]
	s_cselect_b32 s12, s9, s11
	s_ashr_i32 s13, s12, 31
	s_add_i32 s9, s0, 0xffffe800
	s_cmp_lt_i32 s9, s10
	v_lshl_add_u64 v[26:27], s[12:13], 1, v[2:3]
	s_cselect_b32 s12, s9, s11
	s_ashr_i32 s13, s12, 31
	s_add_i32 s9, s0, 0xffffe880
	s_cmp_lt_i32 s9, s10
	v_lshl_add_u64 v[28:29], s[12:13], 1, v[2:3]
	s_cselect_b32 s12, s9, s11
	s_ashr_i32 s13, s12, 31
	s_add_i32 s9, s0, 0xffffe900
	s_cmp_lt_i32 s9, s10
	global_load_ushort v13, v[14:15], off
	global_load_ushort v30, v[16:17], off
	global_load_ushort v31, v[18:19], off
	global_load_ushort v32, v[20:21], off
	global_load_ushort v33, v[22:23], off
	global_load_ushort v34, v[24:25], off
	global_load_ushort v35, v[26:27], off
	global_load_ushort v36, v[28:29], off
	v_lshl_add_u64 v[14:15], s[12:13], 1, v[2:3]
	s_cselect_b32 s12, s9, s11
	s_ashr_i32 s13, s12, 31
	s_add_i32 s9, s0, 0xffffe980
	s_cmp_lt_i32 s9, s10
	v_lshl_add_u64 v[16:17], s[12:13], 1, v[2:3]
	s_cselect_b32 s12, s9, s11
	s_ashr_i32 s13, s12, 31
	s_add_i32 s9, s0, 0xffffea00
	s_cmp_lt_i32 s9, s10
	v_lshl_add_u64 v[18:19], s[12:13], 1, v[2:3]
	s_cselect_b32 s12, s9, s11
	s_ashr_i32 s13, s12, 31
	s_add_i32 s9, s0, 0xffffea80
	s_cmp_lt_i32 s9, s10
	v_lshl_add_u64 v[20:21], s[12:13], 1, v[2:3]
	s_cselect_b32 s12, s9, s11
	s_ashr_i32 s13, s12, 31
	s_add_i32 s9, s0, 0xffffeb00
	s_cmp_lt_i32 s9, s10
	v_lshl_add_u64 v[22:23], s[12:13], 1, v[2:3]
	s_cselect_b32 s12, s9, s11
	s_ashr_i32 s13, s12, 31
	s_add_i32 s9, s0, 0xffffeb80
	s_cmp_lt_i32 s9, s10
	v_lshl_add_u64 v[24:25], s[12:13], 1, v[2:3]
	s_cselect_b32 s12, s9, s11
	s_ashr_i32 s13, s12, 31
	s_add_i32 s9, s0, 0xffffec00
	s_cmp_lt_i32 s9, s10
	v_lshl_add_u64 v[26:27], s[12:13], 1, v[2:3]
	s_cselect_b32 s12, s9, s11
	s_ashr_i32 s13, s12, 31
	s_add_i32 s9, s0, 0xffffec80
	s_cmp_lt_i32 s9, s10
	v_lshl_add_u64 v[28:29], s[12:13], 1, v[2:3]
	;; [unrolled: 48-line block ×6, first 2 shown]
	s_cselect_b32 s12, s9, s11
	s_ashr_i32 s13, s12, 31
	s_add_i32 s9, s0, 0xfffffd00
	s_cmp_lt_i32 s9, s10
	global_load_ushort v69, v[14:15], off
	global_load_ushort v70, v[16:17], off
	;; [unrolled: 1-line block ×8, first 2 shown]
	v_lshl_add_u64 v[14:15], s[12:13], 1, v[2:3]
	s_cselect_b32 s12, s9, s11
	s_ashr_i32 s13, s12, 31
	s_add_i32 s9, s0, 0xfffffd80
	s_cmp_lt_i32 s9, s10
	v_lshl_add_u64 v[16:17], s[12:13], 1, v[2:3]
	s_cselect_b32 s12, s9, s11
	s_ashr_i32 s13, s12, 31
	s_add_i32 s9, s0, 0xfffffe00
	s_cmp_lt_i32 s9, s10
	;; [unrolled: 5-line block ×5, first 2 shown]
	v_lshl_add_u64 v[24:25], s[12:13], 1, v[2:3]
	s_cselect_b32 s12, s9, s11
	s_ashr_i32 s13, s12, 31
	s_cmp_lt_i32 s0, s10
	v_lshl_add_u64 v[26:27], s[12:13], 1, v[2:3]
	s_cselect_b32 s12, s0, s11
	s_ashr_i32 s13, s12, 31
	v_lshl_add_u64 v[28:29], s[12:13], 1, v[2:3]
	global_load_ushort v77, v[14:15], off
	global_load_ushort v78, v[16:17], off
	global_load_ushort v79, v[18:19], off
	global_load_ushort v80, v[20:21], off
	global_load_ushort v81, v[22:23], off
	global_load_ushort v82, v[24:25], off
	global_load_ushort v83, v[26:27], off
	global_load_ushort v84, v[28:29], off
	v_mov_b32_e32 v85, s1
	ds_read_b128 v[14:17], v85
	ds_read_b128 v[18:21], v85 offset:16
	ds_read_b128 v[22:25], v85 offset:32
	;; [unrolled: 1-line block ×3, first 2 shown]
	s_waitcnt vmcnt(62) lgkmcnt(3)
	v_fma_mix_f32 v4, v14, v5, v4 op_sel_hi:[0,1,0]
	v_fma_mix_f32 v4, v15, v6, v4 op_sel_hi:[0,1,0]
	s_waitcnt vmcnt(61)
	v_fma_mix_f32 v4, v16, v7, v4 op_sel_hi:[0,1,0]
	s_waitcnt vmcnt(60)
	v_fma_mix_f32 v4, v17, v8, v4 op_sel_hi:[0,1,0]
	s_waitcnt vmcnt(59) lgkmcnt(2)
	v_fma_mix_f32 v4, v18, v9, v4 op_sel_hi:[0,1,0]
	s_waitcnt vmcnt(58)
	v_fma_mix_f32 v4, v19, v10, v4 op_sel_hi:[0,1,0]
	s_waitcnt vmcnt(57)
	;; [unrolled: 2-line block ×3, first 2 shown]
	v_fma_mix_f32 v4, v21, v12, v4 op_sel_hi:[0,1,0]
	s_waitcnt vmcnt(55) lgkmcnt(1)
	v_fma_mix_f32 v4, v22, v13, v4 op_sel_hi:[0,1,0]
	s_waitcnt vmcnt(54)
	v_fma_mix_f32 v4, v23, v30, v4 op_sel_hi:[0,1,0]
	s_waitcnt vmcnt(53)
	v_fma_mix_f32 v4, v24, v31, v4 op_sel_hi:[0,1,0]
	s_waitcnt vmcnt(52)
	v_fma_mix_f32 v4, v25, v32, v4 op_sel_hi:[0,1,0]
	s_waitcnt vmcnt(51) lgkmcnt(0)
	v_fma_mix_f32 v8, v26, v33, v4 op_sel_hi:[0,1,0]
	ds_read_b128 v[4:7], v85 offset:64
	s_waitcnt vmcnt(50)
	v_fma_mix_f32 v8, v27, v34, v8 op_sel_hi:[0,1,0]
	s_waitcnt vmcnt(49)
	v_fma_mix_f32 v8, v28, v35, v8 op_sel_hi:[0,1,0]
	s_waitcnt vmcnt(48)
	v_fma_mix_f32 v12, v29, v36, v8 op_sel_hi:[0,1,0]
	ds_read_b128 v[8:11], v85 offset:80
	s_waitcnt vmcnt(47) lgkmcnt(1)
	v_fma_mix_f32 v4, v4, v37, v12 op_sel_hi:[0,1,0]
	s_waitcnt vmcnt(46)
	v_fma_mix_f32 v4, v5, v38, v4 op_sel_hi:[0,1,0]
	s_waitcnt vmcnt(45)
	v_fma_mix_f32 v4, v6, v39, v4 op_sel_hi:[0,1,0]
	s_waitcnt vmcnt(44)
	v_fma_mix_f32 v4, v7, v40, v4 op_sel_hi:[0,1,0]
	s_waitcnt vmcnt(43) lgkmcnt(0)
	v_fma_mix_f32 v8, v8, v41, v4 op_sel_hi:[0,1,0]
	ds_read_b128 v[4:7], v85 offset:96
	s_waitcnt vmcnt(42)
	v_fma_mix_f32 v8, v9, v42, v8 op_sel_hi:[0,1,0]
	s_waitcnt vmcnt(41)
	v_fma_mix_f32 v8, v10, v43, v8 op_sel_hi:[0,1,0]
	s_waitcnt vmcnt(40)
	v_fma_mix_f32 v12, v11, v44, v8 op_sel_hi:[0,1,0]
	ds_read_b128 v[8:11], v85 offset:112
	;; [unrolled: 18-line block ×6, first 2 shown]
	s_waitcnt vmcnt(7) lgkmcnt(1)
	v_fma_mix_f32 v4, v4, v77, v12 op_sel_hi:[0,1,0]
	s_waitcnt vmcnt(6)
	v_fma_mix_f32 v4, v5, v78, v4 op_sel_hi:[0,1,0]
	s_waitcnt vmcnt(5)
	;; [unrolled: 2-line block ×3, first 2 shown]
	v_fma_mix_f32 v4, v7, v80, v4 op_sel_hi:[0,1,0]
	s_waitcnt vmcnt(3) lgkmcnt(0)
	v_fma_mix_f32 v4, v8, v81, v4 op_sel_hi:[0,1,0]
	s_waitcnt vmcnt(2)
	v_fma_mix_f32 v4, v9, v82, v4 op_sel_hi:[0,1,0]
	s_waitcnt vmcnt(1)
	;; [unrolled: 2-line block ×3, first 2 shown]
	v_fma_mix_f32 v4, v11, v84, v4 op_sel_hi:[0,1,0]
	s_branch .LBB215_16
.LBB215_19:
	v_mov_b32_e32 v2, 0
	ds_read_b32 v2, v2 offset:2048
	s_cmp_lg_u64 s[6:7], 0
	s_cbranch_scc0 .LBB215_24
; %bb.20:
	s_load_dword s6, s[6:7], 0x0
	s_waitcnt lgkmcnt(0)
	v_div_scale_f32 v3, s[0:1], s6, s6, 1.0
	v_rcp_f32_e32 v5, v3
	v_div_scale_f32 v6, vcc, 1.0, s6, 1.0
	v_fma_f32 v7, -v3, v5, 1.0
	v_fmac_f32_e32 v5, v7, v5
	v_mul_f32_e32 v7, v6, v5
	v_fma_f32 v8, -v3, v7, v6
	v_fmac_f32_e32 v7, v8, v5
	v_fma_f32 v3, -v3, v7, v6
	v_div_fmas_f32 v3, v3, v5, v7
	v_div_fixup_f32 v3, v3, s6, 1.0
	s_andn2_b64 vcc, exec, s[34:35]
	s_cbranch_vccnz .LBB215_22
.LBB215_21:
	s_add_u32 s0, s30, s36
	s_addc_u32 s1, s31, s37
	s_load_dword s28, s[0:1], 0x0
	s_mov_b32 s29, 0
.LBB215_22:
	s_waitcnt lgkmcnt(0)
	v_add_f32_e32 v2, 0x358637bd, v2
	v_div_scale_f32 v5, s[0:1], v2, v2, 1.0
	v_rcp_f32_e32 v6, v5
	v_div_scale_f32 v7, vcc, 1.0, v2, 1.0
	s_mul_i32 s0, s3, s29
	v_fma_f32 v8, -v5, v6, 1.0
	v_fmac_f32_e32 v6, v8, v6
	v_mul_f32_e32 v8, v7, v6
	v_fma_f32 v9, -v5, v8, v7
	v_fmac_f32_e32 v8, v9, v6
	v_fma_f32 v5, -v5, v8, v7
	s_mul_hi_u32 s1, s3, s28
	v_div_fmas_f32 v5, v5, v6, v8
	s_add_i32 s1, s1, s0
	s_mul_i32 s0, s3, s28
	v_div_fixup_f32 v2, v5, v2, 1.0
	s_lshl_b64 s[0:1], s[0:1], 7
	v_mul_f32_e32 v2, v4, v2
	s_add_u32 s4, s4, s0
	s_mov_b32 s3, 0
	v_mul_f32_e32 v2, v2, v3
	s_addc_u32 s5, s5, s1
	s_lshl_b64 s[0:1], s[2:3], 7
	s_mov_b32 s2, 0x7f800000
	s_mov_b32 s3, 0x43700000
	v_mov_b32_e32 v3, 0xc3700000
	v_med3_f32 v3, v2, s3, v3
	v_cmp_nlg_f32_e64 vcc, |v2|, s2
	s_add_u32 s0, s4, s0
	s_addc_u32 s1, s5, s1
	v_cndmask_b32_e32 v2, v3, v2, vcc
	v_mov_b32_e32 v3, 0
	v_cvt_pk_fp8_f32 v3, v2, v2
	v_lshl_add_u64 v[0:1], s[0:1], 0, v[0:1]
	global_store_byte v[0:1], v3, off
	s_endpgm
.LBB215_23:
	s_mov_b64 s[6:7], 0
	s_branch .LBB215_2
.LBB215_24:
	v_mov_b32_e32 v3, 1.0
	s_andn2_b64 vcc, exec, s[34:35]
	s_cbranch_vccz .LBB215_21
	s_branch .LBB215_22
	.section	.rodata,"a",@progbits
	.p2align	6, 0x0
	.amdhsa_kernel _Z35paged_attention_ll4mi_reduce_kernelIDF16_hLi128ELi128ELi256ELi8EEvPT0_PKfS3_PKT_PKiS8_iS3_
		.amdhsa_group_segment_fixed_size 2052
		.amdhsa_private_segment_fixed_size 0
		.amdhsa_kernarg_size 320
		.amdhsa_user_sgpr_count 2
		.amdhsa_user_sgpr_dispatch_ptr 0
		.amdhsa_user_sgpr_queue_ptr 0
		.amdhsa_user_sgpr_kernarg_segment_ptr 1
		.amdhsa_user_sgpr_dispatch_id 0
		.amdhsa_user_sgpr_kernarg_preload_length 0
		.amdhsa_user_sgpr_kernarg_preload_offset 0
		.amdhsa_user_sgpr_private_segment_size 0
		.amdhsa_uses_dynamic_stack 0
		.amdhsa_enable_private_segment 0
		.amdhsa_system_sgpr_workgroup_id_x 1
		.amdhsa_system_sgpr_workgroup_id_y 1
		.amdhsa_system_sgpr_workgroup_id_z 0
		.amdhsa_system_sgpr_workgroup_info 0
		.amdhsa_system_vgpr_workitem_id 0
		.amdhsa_next_free_vgpr 92
		.amdhsa_next_free_sgpr 45
		.amdhsa_accum_offset 92
		.amdhsa_reserve_vcc 1
		.amdhsa_float_round_mode_32 0
		.amdhsa_float_round_mode_16_64 0
		.amdhsa_float_denorm_mode_32 3
		.amdhsa_float_denorm_mode_16_64 3
		.amdhsa_dx10_clamp 1
		.amdhsa_ieee_mode 1
		.amdhsa_fp16_overflow 0
		.amdhsa_tg_split 0
		.amdhsa_exception_fp_ieee_invalid_op 0
		.amdhsa_exception_fp_denorm_src 0
		.amdhsa_exception_fp_ieee_div_zero 0
		.amdhsa_exception_fp_ieee_overflow 0
		.amdhsa_exception_fp_ieee_underflow 0
		.amdhsa_exception_fp_ieee_inexact 0
		.amdhsa_exception_int_div_zero 0
	.end_amdhsa_kernel
	.section	.text._Z35paged_attention_ll4mi_reduce_kernelIDF16_hLi128ELi128ELi256ELi8EEvPT0_PKfS3_PKT_PKiS8_iS3_,"axG",@progbits,_Z35paged_attention_ll4mi_reduce_kernelIDF16_hLi128ELi128ELi256ELi8EEvPT0_PKfS3_PKT_PKiS8_iS3_,comdat
.Lfunc_end215:
	.size	_Z35paged_attention_ll4mi_reduce_kernelIDF16_hLi128ELi128ELi256ELi8EEvPT0_PKfS3_PKT_PKiS8_iS3_, .Lfunc_end215-_Z35paged_attention_ll4mi_reduce_kernelIDF16_hLi128ELi128ELi256ELi8EEvPT0_PKfS3_PKT_PKiS8_iS3_
                                        ; -- End function
	.section	.AMDGPU.csdata,"",@progbits
; Kernel info:
; codeLenInByte = 9244
; NumSgprs: 51
; NumVgprs: 92
; NumAgprs: 0
; TotalNumVgprs: 92
; ScratchSize: 0
; MemoryBound: 0
; FloatMode: 240
; IeeeMode: 1
; LDSByteSize: 2052 bytes/workgroup (compile time only)
; SGPRBlocks: 6
; VGPRBlocks: 11
; NumSGPRsForWavesPerEU: 51
; NumVGPRsForWavesPerEU: 92
; AccumOffset: 92
; Occupancy: 5
; WaveLimiterHint : 1
; COMPUTE_PGM_RSRC2:SCRATCH_EN: 0
; COMPUTE_PGM_RSRC2:USER_SGPR: 2
; COMPUTE_PGM_RSRC2:TRAP_HANDLER: 0
; COMPUTE_PGM_RSRC2:TGID_X_EN: 1
; COMPUTE_PGM_RSRC2:TGID_Y_EN: 1
; COMPUTE_PGM_RSRC2:TGID_Z_EN: 0
; COMPUTE_PGM_RSRC2:TIDIG_COMP_CNT: 0
; COMPUTE_PGM_RSRC3_GFX90A:ACCUM_OFFSET: 22
; COMPUTE_PGM_RSRC3_GFX90A:TG_SPLIT: 0
	.section	.text._Z39paged_attention_ll4mi_QKV_mfma16_kernelIDF16_DF16_LN4vllm18Fp8KVCacheDataTypeE0EhLi16ELi128ELi256ELb1ELi1EEvPKT_PKT0_S7_ifPKiS9_S9_iPKfiiiPfSC_PS2_PT2_iSB_SB_,"axG",@progbits,_Z39paged_attention_ll4mi_QKV_mfma16_kernelIDF16_DF16_LN4vllm18Fp8KVCacheDataTypeE0EhLi16ELi128ELi256ELb1ELi1EEvPKT_PKT0_S7_ifPKiS9_S9_iPKfiiiPfSC_PS2_PT2_iSB_SB_,comdat
	.protected	_Z39paged_attention_ll4mi_QKV_mfma16_kernelIDF16_DF16_LN4vllm18Fp8KVCacheDataTypeE0EhLi16ELi128ELi256ELb1ELi1EEvPKT_PKT0_S7_ifPKiS9_S9_iPKfiiiPfSC_PS2_PT2_iSB_SB_ ; -- Begin function _Z39paged_attention_ll4mi_QKV_mfma16_kernelIDF16_DF16_LN4vllm18Fp8KVCacheDataTypeE0EhLi16ELi128ELi256ELb1ELi1EEvPKT_PKT0_S7_ifPKiS9_S9_iPKfiiiPfSC_PS2_PT2_iSB_SB_
	.globl	_Z39paged_attention_ll4mi_QKV_mfma16_kernelIDF16_DF16_LN4vllm18Fp8KVCacheDataTypeE0EhLi16ELi128ELi256ELb1ELi1EEvPKT_PKT0_S7_ifPKiS9_S9_iPKfiiiPfSC_PS2_PT2_iSB_SB_
	.p2align	8
	.type	_Z39paged_attention_ll4mi_QKV_mfma16_kernelIDF16_DF16_LN4vllm18Fp8KVCacheDataTypeE0EhLi16ELi128ELi256ELb1ELi1EEvPKT_PKT0_S7_ifPKiS9_S9_iPKfiiiPfSC_PS2_PT2_iSB_SB_,@function
_Z39paged_attention_ll4mi_QKV_mfma16_kernelIDF16_DF16_LN4vllm18Fp8KVCacheDataTypeE0EhLi16ELi128ELi256ELb1ELi1EEvPKT_PKT0_S7_ifPKiS9_S9_iPKfiiiPfSC_PS2_PT2_iSB_SB_: ; @_Z39paged_attention_ll4mi_QKV_mfma16_kernelIDF16_DF16_LN4vllm18Fp8KVCacheDataTypeE0EhLi16ELi128ELi256ELb1ELi1EEvPKT_PKT0_S7_ifPKiS9_S9_iPKfiiiPfSC_PS2_PT2_iSB_SB_
; %bb.0:
	s_load_dwordx2 s[8:9], s[0:1], 0x30
	s_mov_b32 s28, s3
	s_mov_b64 s[6:7], 0
	s_waitcnt lgkmcnt(0)
	s_cmp_lg_u64 s[8:9], 0
	s_cselect_b64 s[10:11], -1, 0
	s_and_b64 vcc, exec, s[10:11]
	s_cbranch_vccz .LBB216_7
; %bb.1:
	s_add_i32 s12, s2, 1
	s_mov_b32 s13, 0
	s_lshl_b64 s[14:15], s[12:13], 2
	s_add_u32 s14, s8, s14
	s_mov_b32 s3, s13
	s_addc_u32 s15, s9, s15
	s_lshl_b64 s[12:13], s[2:3], 2
	s_add_u32 s12, s8, s12
	s_addc_u32 s13, s9, s13
	s_load_dword s5, s[14:15], 0x0
	s_load_dword s16, s[12:13], 0x0
	s_waitcnt lgkmcnt(0)
	s_sub_i32 s5, s5, s16
	s_cmp_eq_u32 s5, 1
	s_cselect_b64 s[12:13], -1, 0
	s_andn2_b64 vcc, exec, s[6:7]
	s_cbranch_vccnz .LBB216_3
.LBB216_2:
	s_mov_b32 s3, 0
	s_mov_b64 s[12:13], -1
.LBB216_3:
	s_andn2_b64 vcc, exec, s[12:13]
	s_cbranch_vccnz .LBB216_19
; %bb.4:
	s_load_dwordx2 s[6:7], s[0:1], 0x28
	s_lshl_b64 s[12:13], s[2:3], 2
	s_waitcnt lgkmcnt(0)
	s_add_u32 s6, s6, s12
	s_addc_u32 s7, s7, s13
	s_load_dword s29, s[6:7], 0x0
	s_lshl_b32 s18, s28, 8
	s_waitcnt lgkmcnt(0)
	s_cmp_ge_i32 s18, s29
	s_cbranch_scc1 .LBB216_19
; %bb.5:
	s_load_dwordx2 s[6:7], s[0:1], 0x20
	s_load_dword s5, s[0:1], 0x38
	s_add_i32 s14, s29, 15
	s_ashr_i32 s15, s14, 31
	v_and_b32_e32 v1, 0xcf, v0
	s_lshr_b32 s15, s15, 28
	v_add_u32_e32 v1, s18, v1
	s_add_i32 s14, s14, s15
	v_ashrrev_i32_e32 v2, 31, v1
	s_ashr_i32 s19, s14, 4
	v_lshrrev_b32_e32 v4, 28, v2
	s_add_i32 s19, s19, -1
	s_waitcnt lgkmcnt(0)
	s_mul_i32 s14, s2, s5
	s_mov_b32 s15, 0
	v_add_u32_e32 v2, v1, v4
	s_lshl_b64 s[14:15], s[14:15], 2
	v_ashrrev_i32_e32 v2, 4, v2
	v_mov_b32_e32 v5, s19
	v_cmp_gt_i32_e32 vcc, s29, v1
	s_add_u32 s6, s6, s14
	s_addc_u32 s7, s7, s15
	v_cndmask_b32_e32 v2, v5, v2, vcc
	v_ashrrev_i32_e32 v3, 31, v2
	v_lshl_add_u64 v[6:7], v[2:3], 2, s[6:7]
	v_or_b32_e32 v2, 16, v1
	v_add_u32_e32 v3, v2, v4
	v_ashrrev_i32_e32 v3, 4, v3
	v_cmp_gt_i32_e32 vcc, s29, v2
	s_load_dwordx2 s[14:15], s[0:1], 0x8
	s_nop 0
	v_cndmask_b32_e32 v2, v5, v3, vcc
	v_ashrrev_i32_e32 v3, 31, v2
	v_lshl_add_u64 v[8:9], v[2:3], 2, s[6:7]
	v_or_b32_e32 v2, 32, v1
	v_add_u32_e32 v3, v2, v4
	v_ashrrev_i32_e32 v3, 4, v3
	v_cmp_gt_i32_e32 vcc, s29, v2
	v_or_b32_e32 v1, 48, v1
	s_nop 0
	v_cndmask_b32_e32 v2, v5, v3, vcc
	v_ashrrev_i32_e32 v3, 31, v2
	v_lshl_add_u64 v[10:11], v[2:3], 2, s[6:7]
	v_add_u32_e32 v2, v1, v4
	v_ashrrev_i32_e32 v2, 4, v2
	v_cmp_gt_i32_e32 vcc, s29, v1
	s_nop 1
	v_cndmask_b32_e32 v2, v5, v2, vcc
	v_ashrrev_i32_e32 v3, 31, v2
	v_lshl_add_u64 v[12:13], v[2:3], 2, s[6:7]
	global_load_dword v5, v[6:7], off
	global_load_dword v4, v[8:9], off
	;; [unrolled: 1-line block ×4, first 2 shown]
	s_andn2_b64 vcc, exec, s[10:11]
	s_cbranch_vccnz .LBB216_8
; %bb.6:
	s_add_u32 s8, s8, s12
	s_addc_u32 s9, s9, s13
	s_load_dword s5, s[8:9], 0x0
	s_branch .LBB216_9
.LBB216_7:
	s_mov_b64 s[12:13], 0
	s_branch .LBB216_2
.LBB216_8:
	s_mov_b32 s5, s2
.LBB216_9:
	s_load_dwordx2 s[12:13], s[0:1], 0x10
	s_load_dwordx4 s[8:11], s[0:1], 0x48
	v_lshrrev_b32_e32 v87, 6, v0
	v_bfe_u32 v84, v0, 4, 2
	v_and_b32_e32 v85, 15, v0
	v_lshl_or_b32 v1, v87, 2, v84
	v_lshlrev_b32_e32 v6, 3, v85
	v_cmp_eq_u32_e32 vcc, 0, v1
	v_lshlrev_b32_e32 v1, 1, v6
	scratch_store_dword off, v1, off        ; 4-byte Folded Spill
	s_and_saveexec_b64 s[16:17], vcc
	s_cbranch_execz .LBB216_11
; %bb.10:
	scratch_load_dword v1, off, off         ; 4-byte Folded Reload
	s_load_dwordx2 s[20:21], s[0:1], 0x0
	s_waitcnt lgkmcnt(0)
	s_ashr_i32 s11, s8, 31
	s_mul_hi_u32 s22, s5, s8
	s_mul_i32 s11, s5, s11
	s_add_i32 s23, s22, s11
	s_mul_i32 s22, s5, s8
	s_lshl_b64 s[22:23], s[22:23], 1
	s_add_u32 s5, s20, s22
	s_addc_u32 s8, s21, s23
	s_lshl_b32 s20, s4, 7
	s_ashr_i32 s21, s20, 31
	s_lshl_b64 s[20:21], s[20:21], 1
	s_add_u32 s20, s5, s20
	s_addc_u32 s21, s8, s21
	v_and_b32_e32 v10, 3, v0
	v_lshlrev_b32_e32 v11, 9, v85
	v_lshlrev_b32_e32 v10, 9, v10
	s_movk_i32 s5, 0x1800
	v_and_or_b32 v10, v11, s5, v10
	s_waitcnt vmcnt(0)
	global_load_dwordx4 v[6:9], v1, s[20:21]
	s_waitcnt vmcnt(0)
	ds_write_b128 v10, v[6:9]
.LBB216_11:
	s_or_b64 exec, exec, s[16:17]
	s_waitcnt lgkmcnt(0)
	s_mul_i32 s10, s4, s10
	s_mov_b32 s11, 0
	s_lshl_b64 s[10:11], s[10:11], 1
	s_add_u32 s14, s14, s10
	v_lshlrev_b32_e32 v1, 4, v0
	s_addc_u32 s15, s15, s11
	v_and_b32_e32 v82, 0xf0, v1
	v_mov_b32_e32 v83, 0
	v_lshl_add_u64 v[6:7], s[14:15], 0, v[82:83]
	s_waitcnt vmcnt(4)
	v_mad_i64_i32 v[8:9], s[14:15], v5, s9, 0
	s_waitcnt vmcnt(3)
	v_mad_i64_i32 v[4:5], s[14:15], v4, s9, 0
	v_lshl_add_u64 v[8:9], v[8:9], 1, v[6:7]
	v_and_b32_e32 v82, 0x300, v1
	v_lshl_add_u64 v[4:5], v[4:5], 1, v[6:7]
	v_lshl_add_u64 v[8:9], v[8:9], 0, v[82:83]
	;; [unrolled: 1-line block ×3, first 2 shown]
	s_barrier
	global_load_dwordx4 v[78:81], v[8:9], off
	global_load_dwordx4 v[74:77], v[8:9], off offset:1024
	global_load_dwordx4 v[70:73], v[8:9], off offset:2048
	;; [unrolled: 1-line block ×3, first 2 shown]
	global_load_dwordx4 v[66:69], v[4:5], off
	global_load_dwordx4 v[62:65], v[4:5], off offset:1024
	global_load_dwordx4 v[58:61], v[4:5], off offset:2048
	;; [unrolled: 1-line block ×3, first 2 shown]
	s_waitcnt vmcnt(10)
	v_mad_i64_i32 v[4:5], s[14:15], v3, s9, 0
	s_waitcnt vmcnt(9)
	v_mad_i64_i32 v[2:3], s[14:15], v2, s9, 0
	v_lshl_add_u64 v[4:5], v[4:5], 1, v[6:7]
	v_lshl_add_u64 v[2:3], v[2:3], 1, v[6:7]
	v_lshl_add_u64 v[4:5], v[4:5], 0, v[82:83]
	v_lshl_add_u64 v[6:7], v[2:3], 0, v[82:83]
	global_load_dwordx4 v[54:57], v[4:5], off
	global_load_dwordx4 v[30:33], v[4:5], off offset:1024
	global_load_dwordx4 v[26:29], v[4:5], off offset:2048
	global_load_dwordx4 v[22:25], v[4:5], off offset:3072
	global_load_dwordx4 v[10:13], v[6:7], off
	s_nop 0
	global_load_dwordx4 v[2:5], v[6:7], off offset:1024
	global_load_dwordx4 v[42:45], v[6:7], off offset:2048
	;; [unrolled: 1-line block ×3, first 2 shown]
	v_lshlrev_b32_e32 v38, 9, v84
	ds_read_b128 v[50:53], v38
	ds_read_b128 v[6:9], v38 offset:2048
	ds_read_b128 v[46:49], v38 offset:4096
	;; [unrolled: 1-line block ×3, first 2 shown]
	v_and_b32_e32 v88, 63, v0
	v_cmp_eq_u32_e32 vcc, 0, v85
	v_mov_b32_e32 v89, 0
	s_and_saveexec_b64 s[14:15], vcc
	s_cbranch_execz .LBB216_13
; %bb.12:
	s_load_dwordx2 s[16:17], s[0:1], 0x40
	s_ashr_i32 s5, s4, 31
	s_lshl_b64 s[20:21], s[4:5], 2
	s_waitcnt lgkmcnt(0)
	s_add_u32 s16, s16, s20
	s_addc_u32 s17, s17, s21
	s_load_dword s5, s[16:17], 0x0
	s_waitcnt lgkmcnt(0)
	v_mov_b32_e32 v89, s5
.LBB216_13:
	s_or_b64 exec, exec, s[14:15]
	s_waitcnt vmcnt(15) lgkmcnt(3)
	v_mfma_f32_16x16x16_f16 v[90:93], v[78:79], v[50:51], 0
	s_add_u32 s10, s12, s10
	s_addc_u32 s11, s13, s11
	s_mov_b32 s5, 0xff7fffff
	v_mfma_f32_16x16x16_f16 v[78:81], v[80:81], v[52:53], v[90:93]
	s_waitcnt vmcnt(14) lgkmcnt(2)
	v_mfma_f32_16x16x16_f16 v[78:81], v[74:75], v[6:7], v[78:81]
	s_nop 0
	v_lshl_or_b32 v90, v87, 4, v85
	v_lshlrev_b32_e32 v82, 5, v90
	v_mfma_f32_16x16x16_f16 v[74:77], v[76:77], v[8:9], v[78:81]
	s_waitcnt vmcnt(13) lgkmcnt(1)
	v_mfma_f32_16x16x16_f16 v[74:77], v[70:71], v[46:47], v[74:77]
	v_mfma_f32_16x16x16_f16 v[70:73], v[72:73], v[48:49], v[74:77]
	s_waitcnt vmcnt(11)
	v_mfma_f32_16x16x16_f16 v[74:77], v[66:67], v[50:51], 0
	v_mfma_f32_16x16x16_f16 v[66:69], v[68:69], v[52:53], v[74:77]
	s_nop 5
	v_and_or_b32 v74, v0, 48, s18
	s_waitcnt lgkmcnt(0)
	v_mfma_f32_16x16x16_f16 v[70:73], v[14:15], v[38:39], v[70:73]
	v_ashrrev_i32_e32 v14, 4, v74
	v_mov_b32_e32 v75, s19
	v_cmp_gt_i32_e32 vcc, s29, v74
	s_waitcnt vmcnt(10)
	v_mfma_f32_16x16x16_f16 v[66:69], v[62:63], v[6:7], v[66:69]
	v_cndmask_b32_e32 v14, v75, v14, vcc
	v_ashrrev_i32_e32 v15, 31, v14
	v_lshl_add_u64 v[14:15], v[14:15], 2, s[6:7]
	global_load_dword v76, v[14:15], off
	v_or_b32_e32 v14, 64, v74
	v_ashrrev_i32_e32 v15, 4, v14
	v_cmp_gt_i32_e32 vcc, s29, v14
	v_mfma_f32_16x16x16_f16 v[62:65], v[64:65], v[8:9], v[66:69]
	s_nop 0
	v_cndmask_b32_e32 v14, v75, v15, vcc
	v_ashrrev_i32_e32 v15, 31, v14
	v_lshl_add_u64 v[14:15], v[14:15], 2, s[6:7]
	global_load_dword v78, v[14:15], off
	s_waitcnt vmcnt(11)
	v_mfma_f32_16x16x16_f16 v[62:65], v[58:59], v[46:47], v[62:65]
	v_or_b32_e32 v14, 0x80, v74
	v_ashrrev_i32_e32 v15, 4, v14
	v_cmp_gt_i32_e32 vcc, s29, v14
	v_mfma_f32_16x16x16_f16 v[58:61], v[60:61], v[48:49], v[62:65]
	s_nop 0
	v_cndmask_b32_e32 v14, v75, v15, vcc
	v_ashrrev_i32_e32 v15, 31, v14
	s_waitcnt vmcnt(9)
	v_mfma_f32_16x16x16_f16 v[62:65], v[54:55], v[50:51], 0
	v_lshl_add_u64 v[14:15], v[14:15], 2, s[6:7]
	v_mfma_f32_16x16x16_f16 v[54:57], v[56:57], v[52:53], v[62:65]
	s_nop 4
	global_load_dword v62, v[14:15], off
	v_or_b32_e32 v14, 0xc0, v74
	v_ashrrev_i32_e32 v15, 4, v14
	v_cmp_gt_i32_e32 vcc, s29, v14
	s_waitcnt vmcnt(9)
	v_mfma_f32_16x16x16_f16 v[54:57], v[30:31], v[6:7], v[54:57]
	v_cndmask_b32_e32 v14, v75, v15, vcc
	v_ashrrev_i32_e32 v15, 31, v14
	v_lshl_add_u64 v[14:15], v[14:15], 2, s[6:7]
	global_load_dword v74, v[14:15], off
	v_mfma_f32_16x16x16_f16 v[30:33], v[32:33], v[8:9], v[54:57]
	s_load_dword s6, s[0:1], 0x1c
	s_waitcnt vmcnt(3)
	v_mad_i64_i32 v[14:15], s[12:13], v76, s9, 0
	v_mfma_f32_16x16x16_f16 v[30:33], v[26:27], v[46:47], v[30:33]
	v_lshlrev_b64 v[76:77], 1, v[14:15]
	v_mfma_f32_16x16x16_f16 v[64:67], v[16:17], v[40:41], v[70:73]
	v_mfma_f32_16x16x16_f16 v[14:17], v[28:29], v[48:49], v[30:33]
	s_nop 1
	v_lshl_add_u64 v[72:73], s[10:11], 0, v[82:83]
	v_or_b32_e32 v82, 0x800, v82
	v_mfma_f32_16x16x16_f16 v[54:57], v[18:19], v[38:39], v[58:61]
	v_lshl_add_u64 v[18:19], v[72:73], 0, v[76:77]
	global_load_dwordx4 v[30:33], v[18:19], off
	global_load_dwordx4 v[26:29], v[18:19], off offset:16
	s_waitcnt vmcnt(4)
	v_mad_i64_i32 v[18:19], s[12:13], v78, s9, 0
	v_mfma_f32_16x16x16_f16 v[14:17], v[22:23], v[38:39], v[14:17]
	s_waitcnt lgkmcnt(0)
	v_pk_mul_f32 v[78:79], s[6:7], v[66:67] op_sel_hi:[0,1]
	v_mfma_f32_16x16x16_f16 v[68:71], v[20:21], v[40:41], v[54:57]
	s_nop 2
	v_lshlrev_b64 v[54:55], 1, v[18:19]
	v_mfma_f32_16x16x16_f16 v[92:95], v[24:25], v[40:41], v[14:17]
	s_nop 2
	v_lshl_add_u64 v[14:15], v[72:73], 0, v[54:55]
	global_load_dwordx4 v[22:25], v[14:15], off
	global_load_dwordx4 v[18:21], v[14:15], off offset:16
	v_mfma_f32_16x16x16_f16 v[14:17], v[10:11], v[50:51], 0
	s_waitcnt vmcnt(5)
	v_mad_i64_i32 v[10:11], s[12:13], v62, s9, 0
	v_lshlrev_b64 v[50:51], 1, v[10:11]
	v_mfma_f32_16x16x16_f16 v[56:59], v[12:13], v[52:53], v[14:17]
	v_lshl_add_u64 v[10:11], v[72:73], 0, v[50:51]
	s_nop 1
	global_load_dwordx4 v[14:17], v[10:11], off
	s_nop 0
	global_load_dwordx4 v[10:13], v[10:11], off offset:16
	v_mfma_f32_16x16x16_f16 v[60:63], v[2:3], v[6:7], v[56:59]
	s_waitcnt vmcnt(6)
	v_mad_i64_i32 v[2:3], s[8:9], v74, s9, 0
	v_mfma_f32_16x16x16_f16 v[60:63], v[4:5], v[8:9], v[60:63]
	v_lshlrev_b64 v[58:59], 1, v[2:3]
	v_lshl_add_u64 v[2:3], v[72:73], 0, v[58:59]
	global_load_dwordx4 v[6:9], v[2:3], off
	s_nop 0
	global_load_dwordx4 v[2:5], v[2:3], off offset:16
	v_mfma_f32_16x16x16_f16 v[72:75], v[42:43], v[46:47], v[60:63]
	v_mfma_f32_16x16x16_f16 v[44:47], v[44:45], v[48:49], v[72:75]
	s_nop 1
	v_lshl_add_u64 v[62:63], s[10:11], 0, v[82:83]
	v_lshl_add_u64 v[42:43], v[62:63], 0, v[76:77]
	v_pk_mul_f32 v[76:77], s[6:7], v[68:69] op_sel_hi:[0,1]
	v_mfma_f32_16x16x16_f16 v[44:47], v[34:35], v[38:39], v[44:47]
	v_pk_mul_f32 v[60:61], s[6:7], v[64:65] op_sel_hi:[0,1]
	v_pk_mul_f32 v[74:75], s[6:7], v[70:71] op_sel_hi:[0,1]
	;; [unrolled: 1-line block ×3, first 2 shown]
	v_mfma_f32_16x16x16_f16 v[34:37], v[36:37], v[40:41], v[44:47]
	v_pk_mul_f32 v[72:73], s[6:7], v[92:93] op_sel_hi:[0,1]
	v_lshl_add_u64 v[50:51], v[62:63], 0, v[50:51]
	v_lshl_add_u64 v[58:59], v[62:63], 0, v[58:59]
	s_nop 3
	v_pk_mul_f32 v[68:69], s[6:7], v[34:35] op_sel_hi:[0,1]
	v_and_b32_e32 v34, 0xc0, v0
	v_add_u32_e32 v34, s18, v34
	v_lshl_or_b32 v34, v84, 2, v34
	v_or_b32_e32 v35, 1, v34
	v_pk_mul_f32 v[66:67], s[6:7], v[36:37] op_sel_hi:[0,1]
	v_subrev_u32_e32 v36, s29, v35
	v_add_u32_e32 v38, 1, v36
	v_add_u32_e32 v39, 2, v36
	v_cvt_f32_i32_e32 v37, v36
	v_cvt_f32_i32_e32 v38, v38
	;; [unrolled: 1-line block ×3, first 2 shown]
	v_add_u32_e32 v40, 3, v36
	v_fma_f32 v60, v89, v37, v60
	v_fmac_f32_e32 v61, v89, v38
	v_fma_f32 v78, v89, v39, v78
	v_add_u32_e32 v37, 16, v36
	v_add_u32_e32 v38, 17, v36
	v_add_u32_e32 v39, 18, v36
	v_cvt_f32_i32_e32 v40, v40
	v_cvt_f32_i32_e32 v37, v37
	;; [unrolled: 1-line block ×4, first 2 shown]
	v_fmac_f32_e32 v79, v89, v40
	v_add_u32_e32 v40, 19, v36
	v_fma_f32 v76, v89, v37, v76
	v_fmac_f32_e32 v77, v89, v38
	v_fma_f32 v74, v89, v39, v74
	v_add_u32_e32 v37, 32, v36
	v_add_u32_e32 v38, 33, v36
	v_add_u32_e32 v39, 34, v36
	v_cvt_f32_i32_e32 v40, v40
	v_cvt_f32_i32_e32 v37, v37
	;; [unrolled: 1-line block ×4, first 2 shown]
	v_fmac_f32_e32 v75, v89, v40
	v_add_u32_e32 v40, 35, v36
	v_fma_f32 v72, v89, v37, v72
	v_fmac_f32_e32 v73, v89, v38
	v_fma_f32 v70, v89, v39, v70
	v_add_u32_e32 v37, 48, v36
	v_add_u32_e32 v38, 49, v36
	v_add_u32_e32 v39, 50, v36
	v_add_u32_e32 v36, 51, v36
	v_cvt_f32_i32_e32 v36, v36
	v_cvt_f32_i32_e32 v37, v37
	;; [unrolled: 1-line block ×3, first 2 shown]
	v_cmp_gt_i32_e64 s[30:31], s29, v34
	v_fmac_f32_e32 v67, v89, v36
	v_mov_b32_e32 v36, 0xff7fffff
	v_cmp_gt_i32_e64 s[34:35], s29, v35
	v_fma_f32 v68, v89, v37, v68
	v_cndmask_b32_e64 v37, v36, v60, s[30:31]
	v_cndmask_b32_e64 v35, v36, v61, s[34:35]
	v_fmac_f32_e32 v69, v89, v38
	v_max3_f32 v35, v37, s5, v35
	v_or_b32_e32 v37, 2, v34
	v_or_b32_e32 v38, 3, v34
	v_cmp_gt_i32_e64 s[36:37], s29, v37
	v_cmp_gt_i32_e64 s[38:39], s29, v38
	v_cvt_f32_i32_e32 v40, v40
	v_cndmask_b32_e64 v37, v36, v78, s[36:37]
	v_cndmask_b32_e64 v38, v36, v79, s[38:39]
	v_max3_f32 v35, v35, v37, v38
	v_or_b32_e32 v37, 16, v34
	v_or_b32_e32 v38, 17, v34
	v_cmp_gt_i32_e64 s[24:25], s29, v37
	v_cmp_gt_i32_e64 s[26:27], s29, v38
	v_fmac_f32_e32 v71, v89, v40
	v_cndmask_b32_e64 v37, v36, v76, s[24:25]
	v_cndmask_b32_e64 v38, v36, v77, s[26:27]
	v_max3_f32 v35, v35, v37, v38
	v_or_b32_e32 v37, 18, v34
	v_or_b32_e32 v38, 19, v34
	v_cmp_gt_i32_e64 s[20:21], s29, v37
	v_cmp_gt_i32_e64 s[22:23], s29, v38
	v_cvt_f32_i32_e32 v39, v39
	v_cndmask_b32_e64 v37, v36, v74, s[20:21]
	v_cndmask_b32_e64 v38, v36, v75, s[22:23]
	v_max3_f32 v35, v35, v37, v38
	v_or_b32_e32 v37, 32, v34
	v_or_b32_e32 v38, 33, v34
	v_cmp_gt_i32_e64 s[16:17], s29, v37
	v_cmp_gt_i32_e64 s[18:19], s29, v38
	v_fma_f32 v66, v89, v39, v66
	v_cndmask_b32_e64 v37, v36, v72, s[16:17]
	v_cndmask_b32_e64 v38, v36, v73, s[18:19]
	v_max3_f32 v35, v35, v37, v38
	v_or_b32_e32 v37, 34, v34
	v_or_b32_e32 v38, 35, v34
	v_cmp_gt_i32_e64 s[12:13], s29, v37
	v_cmp_gt_i32_e64 s[14:15], s29, v38
	s_nop 0
	v_cndmask_b32_e64 v37, v36, v70, s[12:13]
	v_cndmask_b32_e64 v38, v36, v71, s[14:15]
	v_max3_f32 v35, v35, v37, v38
	v_or_b32_e32 v37, 48, v34
	v_or_b32_e32 v38, 49, v34
	v_cmp_gt_i32_e64 s[8:9], s29, v37
	v_cmp_gt_i32_e64 s[10:11], s29, v38
	s_nop 0
	v_cndmask_b32_e64 v37, v36, v68, s[8:9]
	v_cndmask_b32_e64 v38, v36, v69, s[10:11]
	v_max3_f32 v35, v35, v37, v38
	v_or_b32_e32 v37, 50, v34
	v_or_b32_e32 v34, 51, v34
	v_cmp_gt_i32_e32 vcc, s29, v37
	v_cmp_gt_i32_e64 s[6:7], s29, v34
	global_load_dwordx4 v[46:49], v[42:43], off
	global_load_dwordx4 v[38:41], v[42:43], off offset:16
	v_cndmask_b32_e32 v37, v36, v66, vcc
	v_cndmask_b32_e64 v34, v36, v67, s[6:7]
	v_max3_f32 v52, v35, v37, v34
	v_mbcnt_lo_u32_b32 v34, -1, 0
	v_mbcnt_hi_u32_b32 v53, -1, v34
	v_and_b32_e32 v34, 64, v53
	v_add_u32_e32 v56, 64, v34
	v_xor_b32_e32 v34, 32, v53
	v_cmp_lt_i32_e64 s[40:41], v34, v56
	s_nop 1
	v_cndmask_b32_e64 v34, v53, v34, s[40:41]
	v_lshlrev_b32_e32 v83, 2, v34
	ds_bpermute_b32 v57, v83, v52
	v_lshl_add_u64 v[34:35], v[62:63], 0, v[54:55]
	global_load_dwordx4 v[42:45], v[34:35], off
	s_nop 0
	global_load_dwordx4 v[34:37], v[34:35], off offset:16
	s_waitcnt lgkmcnt(0)
	v_max_f32_e32 v54, v57, v57
	v_max_f32_e32 v64, v52, v54
	v_xor_b32_e32 v52, 16, v53
	v_cmp_lt_i32_e64 s[40:41], v52, v56
	s_nop 1
	v_cndmask_b32_e64 v52, v53, v52, s[40:41]
	v_lshlrev_b32_e32 v89, 2, v52
	ds_bpermute_b32 v65, v89, v64
	global_load_dwordx4 v[54:57], v[50:51], off
	s_nop 0
	global_load_dwordx4 v[50:53], v[50:51], off offset:16
	s_waitcnt lgkmcnt(0)
	v_max_f32_e32 v62, v65, v65
	v_max_f32_e32 v82, v64, v62
	v_sub_f32_e32 v60, v60, v82
	v_mul_f32_e32 v60, 0x3fb8aa3b, v60
	v_exp_f32_e32 v80, v60
	v_sub_f32_e32 v60, v61, v82
	v_mul_f32_e32 v60, 0x3fb8aa3b, v60
	v_exp_f32_e32 v81, v60
	global_load_dwordx4 v[62:65], v[58:59], off
	s_nop 0
	global_load_dwordx4 v[58:61], v[58:59], off offset:16
	v_sub_f32_e32 v78, v78, v82
	v_mul_f32_e32 v78, 0x3fb8aa3b, v78
	v_sub_f32_e32 v79, v79, v82
	v_exp_f32_e32 v78, v78
	v_mul_f32_e32 v79, 0x3fb8aa3b, v79
	v_sub_f32_e32 v76, v76, v82
	v_exp_f32_e32 v79, v79
	v_mul_f32_e32 v76, 0x3fb8aa3b, v76
	v_sub_f32_e32 v77, v77, v82
	v_cndmask_b32_e64 v80, 0, v80, s[30:31]
	v_exp_f32_e32 v76, v76
	v_mul_f32_e32 v77, 0x3fb8aa3b, v77
	v_sub_f32_e32 v74, v74, v82
	v_add_f32_e32 v91, 0, v80
	v_cndmask_b32_e64 v81, 0, v81, s[34:35]
	v_exp_f32_e32 v77, v77
	v_mul_f32_e32 v74, 0x3fb8aa3b, v74
	v_sub_f32_e32 v75, v75, v82
	v_add_f32_e32 v91, v91, v81
	;; [unrolled: 5-line block ×10, first 2 shown]
	v_cndmask_b32_e64 v70, 0, v70, s[12:13]
	v_exp_f32_e32 v66, v66
	v_mul_f32_e32 v67, 0x3fb8aa3b, v67
	v_add_f32_e32 v91, v91, v70
	v_cndmask_b32_e64 v71, 0, v71, s[14:15]
	v_exp_f32_e32 v67, v67
	v_add_f32_e32 v91, v91, v71
	v_cndmask_b32_e64 v68, 0, v68, s[8:9]
	v_add_f32_e32 v91, v91, v68
	v_cndmask_b32_e64 v69, 0, v69, s[10:11]
	v_add_f32_e32 v91, v91, v69
	v_cndmask_b32_e32 v66, 0, v66, vcc
	v_add_f32_e32 v91, v91, v66
	v_cndmask_b32_e64 v67, 0, v67, s[6:7]
	v_add_f32_e32 v91, v91, v67
	ds_bpermute_b32 v83, v83, v91
	v_cmp_lt_u32_e64 s[6:7], 15, v88
	v_cmp_gt_u32_e32 vcc, 16, v88
	s_waitcnt lgkmcnt(0)
	s_barrier
	v_add_f32_e32 v83, v91, v83
	ds_bpermute_b32 v89, v89, v83
	s_waitcnt lgkmcnt(0)
	s_and_saveexec_b64 s[8:9], vcc
	s_cbranch_execz .LBB216_15
; %bb.14:
	v_add_f32_e32 v83, v83, v89
	v_lshlrev_b32_e32 v88, 2, v90
	ds_write2st64_b32 v88, v82, v83 offset1:1
.LBB216_15:
	s_or_b64 exec, exec, s[8:9]
	v_lshlrev_b32_e32 v83, 2, v85
	s_load_dwordx2 s[8:9], s[0:1], 0x94
	s_waitcnt lgkmcnt(0)
	s_barrier
	ds_read2_b32 v[88:89], v83 offset1:16
	ds_read2_b32 v[90:91], v83 offset0:32 offset1:48
	ds_read2_b32 v[92:93], v83 offset0:64 offset1:80
	s_waitcnt lgkmcnt(2)
	v_max3_f32 v82, v88, s5, v89
	s_waitcnt lgkmcnt(1)
	v_max3_f32 v82, v82, v90, v91
	v_sub_f32_e32 v88, v88, v82
	v_mul_f32_e32 v88, 0x3fb8aa3b, v88
	v_exp_f32_e32 v94, v88
	v_sub_f32_e32 v88, v89, v82
	v_mul_f32_e32 v88, 0x3fb8aa3b, v88
	v_exp_f32_e32 v95, v88
	;; [unrolled: 3-line block ×3, first 2 shown]
	ds_read2_b32 v[88:89], v83 offset0:96 offset1:112
	v_sub_f32_e32 v83, v91, v82
	v_mul_f32_e32 v83, 0x3fb8aa3b, v83
	v_exp_f32_e32 v91, v83
	s_waitcnt lgkmcnt(1)
	v_fma_f32 v83, v94, v92, 0
	v_fmac_f32_e32 v83, v95, v93
	s_waitcnt lgkmcnt(0)
	v_fmac_f32_e32 v83, v90, v88
	v_fmac_f32_e32 v83, v91, v89
	v_add_f32_e32 v89, 0x358637bd, v83
	v_div_scale_f32 v92, s[10:11], v89, v89, 1.0
	v_rcp_f32_e32 v93, v92
	v_mov_b32_e32 v88, 0
	s_barrier
	v_fma_f32 v1, -v92, v93, 1.0
	v_fmac_f32_e32 v93, v1, v93
	v_div_scale_f32 v1, vcc, 1.0, v89, 1.0
	v_mul_f32_e32 v86, v1, v93
	v_fma_f32 v84, -v92, v86, v1
	v_fmac_f32_e32 v86, v84, v93
	v_fma_f32 v1, -v92, v86, v1
	v_div_fmas_f32 v1, v1, v93, v86
	v_cmp_eq_u32_e32 vcc, 1, v87
	v_div_fixup_f32 v1, v1, v89, 1.0
	s_nop 0
	v_cndmask_b32_e32 v84, v94, v95, vcc
	v_cmp_eq_u32_e32 vcc, 2, v87
	s_nop 1
	v_cndmask_b32_e32 v84, v84, v90, vcc
	v_cmp_eq_u32_e32 vcc, 3, v87
	s_nop 1
	v_cndmask_b32_e32 v84, v84, v91, vcc
	v_mul_f32_e32 v90, v84, v1
	v_pk_mul_f32 v[78:79], v[90:91], v[78:79] op_sel_hi:[0,1]
	v_cvt_f16_f32_e32 v78, v78
	v_cvt_f16_f32_e32 v79, v79
	v_pk_mul_f32 v[80:81], v[90:91], v[80:81] op_sel_hi:[0,1]
	v_cvt_f16_f32_e32 v1, v80
	v_cvt_f16_f32_e32 v80, v81
	v_pk_mul_f32 v[74:75], v[90:91], v[74:75] op_sel_hi:[0,1]
	v_pk_mul_f32 v[76:77], v[90:91], v[76:77] op_sel_hi:[0,1]
	v_pack_b32_f16 v81, v78, v79
	v_cvt_f16_f32_e32 v76, v76
	v_cvt_f16_f32_e32 v77, v77
	;; [unrolled: 1-line block ×4, first 2 shown]
	v_bfe_u32 v84, v0, 4, 2
	v_pack_b32_f16 v80, v1, v80
	v_lshlrev_b32_e32 v1, 3, v84
	v_lshlrev_b32_e32 v78, 5, v85
	v_lshlrev_b32_e32 v74, 11, v87
	v_pk_mul_f32 v[70:71], v[90:91], v[70:71] op_sel_hi:[0,1]
	v_pk_mul_f32 v[72:73], v[90:91], v[72:73] op_sel_hi:[0,1]
	v_pk_mul_f32 v[66:67], v[90:91], v[66:67] op_sel_hi:[0,1]
	v_pk_mul_f32 v[68:69], v[90:91], v[68:69] op_sel_hi:[0,1]
	v_or3_b32 v74, v74, v78, v1
	v_pack_b32_f16 v76, v76, v77
	v_pack_b32_f16 v77, v79, v75
	v_cvt_f16_f32_e32 v1, v72
	v_cvt_f16_f32_e32 v72, v73
	;; [unrolled: 1-line block ×8, first 2 shown]
	v_pack_b32_f16 v66, v1, v72
	v_pack_b32_f16 v67, v70, v71
	;; [unrolled: 1-line block ×4, first 2 shown]
	v_cmp_eq_u32_e32 vcc, 0, v0
	ds_write2st64_b64 v74, v[80:81], v[76:77] offset1:1
	ds_write2st64_b64 v74, v[66:67], v[68:69] offset0:2 offset1:3
	s_and_saveexec_b64 s[10:11], vcc
	s_cbranch_execz .LBB216_17
; %bb.16:
	s_mul_i32 s3, s3, s9
	s_mul_hi_u32 s5, s2, s9
	s_add_i32 s5, s5, s3
	s_mul_i32 s3, s2, s9
	s_add_u32 s3, s3, s4
	s_addc_u32 s5, s5, 0
	s_load_dwordx4 s[12:15], s[0:1], 0x58
	s_mul_i32 s5, s5, s8
	s_mul_hi_u32 s16, s3, s8
	s_add_i32 s5, s16, s5
	s_mul_i32 s3, s3, s8
	s_add_u32 s16, s3, s28
	s_addc_u32 s17, s5, 0
	s_lshl_b64 s[16:17], s[16:17], 2
	s_waitcnt lgkmcnt(0)
	s_add_u32 s14, s14, s16
	s_addc_u32 s15, s15, s17
	s_add_u32 s12, s12, s16
	s_addc_u32 s13, s13, s17
	global_store_dword v88, v82, s[14:15]
	global_store_dword v88, v83, s[12:13]
.LBB216_17:
	s_or_b64 exec, exec, s[10:11]
	v_lshl_or_b32 v1, v84, 9, v78
	s_waitcnt lgkmcnt(0)
	s_barrier
	ds_read_b128 v[70:73], v1
	ds_read_b128 v[66:69], v1 offset:16
	s_waitcnt vmcnt(15) lgkmcnt(1)
	v_mfma_f32_16x16x16_f16 v[76:79], v[30:31], v[70:71], 0
	v_cmp_gt_u32_e32 vcc, 64, v0
	s_xor_b64 s[6:7], s[6:7], -1
	s_mov_b32 s3, 0
	v_mfma_f32_16x16x16_f16 v[30:33], v[32:33], v[72:73], v[76:79]
	s_and_b64 s[6:7], vcc, s[6:7]
	s_waitcnt vmcnt(14) lgkmcnt(0)
	v_mfma_f32_16x16x16_f16 v[30:33], v[26:27], v[66:67], v[30:33]
	v_mfma_f32_16x16x16_f16 v[26:29], v[28:29], v[68:69], v[30:33]
	s_nop 5
	ds_read_b128 v[30:33], v1 offset:2048
	ds_read_b128 v[76:79], v1 offset:2064
	s_waitcnt vmcnt(13) lgkmcnt(1)
	v_mfma_f32_16x16x16_f16 v[26:29], v[22:23], v[30:31], v[26:29]
	v_mfma_f32_16x16x16_f16 v[22:25], v[24:25], v[32:33], v[26:29]
	s_waitcnt vmcnt(12) lgkmcnt(0)
	v_mfma_f32_16x16x16_f16 v[22:25], v[18:19], v[76:77], v[22:25]
	v_mfma_f32_16x16x16_f16 v[18:21], v[20:21], v[78:79], v[22:25]
	s_nop 5
	ds_read_b128 v[22:25], v1 offset:4096
	ds_read_b128 v[26:29], v1 offset:4112
	s_waitcnt vmcnt(11) lgkmcnt(1)
	v_mfma_f32_16x16x16_f16 v[18:21], v[14:15], v[22:23], v[18:21]
	v_mfma_f32_16x16x16_f16 v[14:17], v[16:17], v[24:25], v[18:21]
	s_waitcnt vmcnt(10) lgkmcnt(0)
	v_mfma_f32_16x16x16_f16 v[14:17], v[10:11], v[26:27], v[14:17]
	v_mfma_f32_16x16x16_f16 v[10:13], v[12:13], v[28:29], v[14:17]
	s_nop 5
	ds_read_b128 v[14:17], v1 offset:6144
	ds_read_b128 v[18:21], v1 offset:6160
	s_waitcnt lgkmcnt(0)
	s_barrier
	s_waitcnt vmcnt(9)
	v_mfma_f32_16x16x16_f16 v[10:13], v[6:7], v[14:15], v[10:13]
	v_mfma_f32_16x16x16_f16 v[6:9], v[8:9], v[16:17], v[10:13]
	s_waitcnt vmcnt(8)
	v_mfma_f32_16x16x16_f16 v[6:9], v[2:3], v[18:19], v[6:9]
	v_mfma_f32_16x16x16_f16 v[2:5], v[4:5], v[20:21], v[6:9]
	;; [unrolled: 3-line block ×3, first 2 shown]
	s_nop 3
	v_cvt_f16_f32_e32 v1, v2
	v_cvt_f16_f32_e32 v10, v3
	;; [unrolled: 1-line block ×3, first 2 shown]
	s_waitcnt vmcnt(6)
	v_mfma_f32_16x16x16_f16 v[6:9], v[38:39], v[66:67], v[6:9]
	v_cvt_f16_f32_e32 v12, v5
	v_mfma_f32_16x16x16_f16 v[6:9], v[40:41], v[68:69], v[6:9]
	s_waitcnt vmcnt(5)
	v_mfma_f32_16x16x16_f16 v[6:9], v[42:43], v[30:31], v[6:9]
	v_mfma_f32_16x16x16_f16 v[6:9], v[44:45], v[32:33], v[6:9]
	s_waitcnt vmcnt(4)
	v_mfma_f32_16x16x16_f16 v[6:9], v[34:35], v[76:77], v[6:9]
	;; [unrolled: 3-line block ×6, first 2 shown]
	v_mfma_f32_16x16x16_f16 v[2:5], v[60:61], v[20:21], v[6:9]
	s_nop 6
	v_cvt_f16_f32_e32 v6, v2
	v_cvt_f16_f32_e32 v7, v3
	;; [unrolled: 1-line block ×4, first 2 shown]
	v_pack_b32_f16 v2, v1, v10
	v_pack_b32_f16 v3, v11, v12
	;; [unrolled: 1-line block ×4, first 2 shown]
	ds_write2st64_b64 v74, v[2:3], v[4:5] offset1:1
	s_waitcnt lgkmcnt(0)
	s_barrier
	s_and_saveexec_b64 s[10:11], s[6:7]
	s_cbranch_execz .LBB216_19
; %bb.18:
	v_lshlrev_b32_e32 v3, 6, v85
	v_lshlrev_b32_e32 v2, 4, v0
	v_lshl_or_b32 v0, v0, 10, v3
	v_lshlrev_b32_e32 v1, 5, v84
	v_and_b32_e32 v2, 16, v2
	v_and_b32_e32 v0, 0x1a00, v0
	v_or3_b32 v0, v0, v1, v2
	ds_read_b128 v[2:5], v0
	scratch_load_dword v0, off, off         ; 4-byte Folded Reload
	s_load_dwordx2 s[0:1], s[0:1], 0x68
	s_mul_i32 s2, s9, s2
	s_lshl_b32 s5, s8, 7
	s_mul_hi_u32 s7, s2, s5
	s_mul_i32 s6, s2, s5
	s_lshl_b64 s[6:7], s[6:7], 1
	s_waitcnt lgkmcnt(0)
	s_add_u32 s6, s0, s6
	s_addc_u32 s7, s1, s7
	s_lshl_b32 s2, s28, 7
	s_lshl_b64 s[0:1], s[2:3], 1
	s_add_u32 s2, s6, s0
	s_addc_u32 s3, s7, s1
	s_mul_hi_u32 s1, s5, s4
	s_mul_i32 s0, s5, s4
	s_lshl_b64 s[0:1], s[0:1], 1
	s_add_u32 s0, s2, s0
	s_addc_u32 s1, s3, s1
	s_waitcnt vmcnt(0)
	global_store_dwordx4 v0, v[2:5], s[0:1]
.LBB216_19:
	s_endpgm
	.section	.rodata,"a",@progbits
	.p2align	6, 0x0
	.amdhsa_kernel _Z39paged_attention_ll4mi_QKV_mfma16_kernelIDF16_DF16_LN4vllm18Fp8KVCacheDataTypeE0EhLi16ELi128ELi256ELb1ELi1EEvPKT_PKT0_S7_ifPKiS9_S9_iPKfiiiPfSC_PS2_PT2_iSB_SB_
		.amdhsa_group_segment_fixed_size 8192
		.amdhsa_private_segment_fixed_size 8
		.amdhsa_kernarg_size 400
		.amdhsa_user_sgpr_count 2
		.amdhsa_user_sgpr_dispatch_ptr 0
		.amdhsa_user_sgpr_queue_ptr 0
		.amdhsa_user_sgpr_kernarg_segment_ptr 1
		.amdhsa_user_sgpr_dispatch_id 0
		.amdhsa_user_sgpr_kernarg_preload_length 0
		.amdhsa_user_sgpr_kernarg_preload_offset 0
		.amdhsa_user_sgpr_private_segment_size 0
		.amdhsa_uses_dynamic_stack 0
		.amdhsa_enable_private_segment 1
		.amdhsa_system_sgpr_workgroup_id_x 1
		.amdhsa_system_sgpr_workgroup_id_y 1
		.amdhsa_system_sgpr_workgroup_id_z 1
		.amdhsa_system_sgpr_workgroup_info 0
		.amdhsa_system_vgpr_workitem_id 0
		.amdhsa_next_free_vgpr 96
		.amdhsa_next_free_sgpr 42
		.amdhsa_accum_offset 96
		.amdhsa_reserve_vcc 1
		.amdhsa_float_round_mode_32 0
		.amdhsa_float_round_mode_16_64 0
		.amdhsa_float_denorm_mode_32 3
		.amdhsa_float_denorm_mode_16_64 3
		.amdhsa_dx10_clamp 1
		.amdhsa_ieee_mode 1
		.amdhsa_fp16_overflow 0
		.amdhsa_tg_split 0
		.amdhsa_exception_fp_ieee_invalid_op 0
		.amdhsa_exception_fp_denorm_src 0
		.amdhsa_exception_fp_ieee_div_zero 0
		.amdhsa_exception_fp_ieee_overflow 0
		.amdhsa_exception_fp_ieee_underflow 0
		.amdhsa_exception_fp_ieee_inexact 0
		.amdhsa_exception_int_div_zero 0
	.end_amdhsa_kernel
	.section	.text._Z39paged_attention_ll4mi_QKV_mfma16_kernelIDF16_DF16_LN4vllm18Fp8KVCacheDataTypeE0EhLi16ELi128ELi256ELb1ELi1EEvPKT_PKT0_S7_ifPKiS9_S9_iPKfiiiPfSC_PS2_PT2_iSB_SB_,"axG",@progbits,_Z39paged_attention_ll4mi_QKV_mfma16_kernelIDF16_DF16_LN4vllm18Fp8KVCacheDataTypeE0EhLi16ELi128ELi256ELb1ELi1EEvPKT_PKT0_S7_ifPKiS9_S9_iPKfiiiPfSC_PS2_PT2_iSB_SB_,comdat
.Lfunc_end216:
	.size	_Z39paged_attention_ll4mi_QKV_mfma16_kernelIDF16_DF16_LN4vllm18Fp8KVCacheDataTypeE0EhLi16ELi128ELi256ELb1ELi1EEvPKT_PKT0_S7_ifPKiS9_S9_iPKfiiiPfSC_PS2_PT2_iSB_SB_, .Lfunc_end216-_Z39paged_attention_ll4mi_QKV_mfma16_kernelIDF16_DF16_LN4vllm18Fp8KVCacheDataTypeE0EhLi16ELi128ELi256ELb1ELi1EEvPKT_PKT0_S7_ifPKiS9_S9_iPKfiiiPfSC_PS2_PT2_iSB_SB_
                                        ; -- End function
	.section	.AMDGPU.csdata,"",@progbits
; Kernel info:
; codeLenInByte = 4588
; NumSgprs: 48
; NumVgprs: 96
; NumAgprs: 0
; TotalNumVgprs: 96
; ScratchSize: 8
; MemoryBound: 0
; FloatMode: 240
; IeeeMode: 1
; LDSByteSize: 8192 bytes/workgroup (compile time only)
; SGPRBlocks: 5
; VGPRBlocks: 11
; NumSGPRsForWavesPerEU: 48
; NumVGPRsForWavesPerEU: 96
; AccumOffset: 96
; Occupancy: 5
; WaveLimiterHint : 1
; COMPUTE_PGM_RSRC2:SCRATCH_EN: 1
; COMPUTE_PGM_RSRC2:USER_SGPR: 2
; COMPUTE_PGM_RSRC2:TRAP_HANDLER: 0
; COMPUTE_PGM_RSRC2:TGID_X_EN: 1
; COMPUTE_PGM_RSRC2:TGID_Y_EN: 1
; COMPUTE_PGM_RSRC2:TGID_Z_EN: 1
; COMPUTE_PGM_RSRC2:TIDIG_COMP_CNT: 0
; COMPUTE_PGM_RSRC3_GFX90A:ACCUM_OFFSET: 23
; COMPUTE_PGM_RSRC3_GFX90A:TG_SPLIT: 0
	.section	.text._Z39paged_attention_ll4mi_QKV_mfma16_kernelIDF16_DF16_LN4vllm18Fp8KVCacheDataTypeE0EhLi16ELi128ELi256ELb1ELi2EEvPKT_PKT0_S7_ifPKiS9_S9_iPKfiiiPfSC_PS2_PT2_iSB_SB_,"axG",@progbits,_Z39paged_attention_ll4mi_QKV_mfma16_kernelIDF16_DF16_LN4vllm18Fp8KVCacheDataTypeE0EhLi16ELi128ELi256ELb1ELi2EEvPKT_PKT0_S7_ifPKiS9_S9_iPKfiiiPfSC_PS2_PT2_iSB_SB_,comdat
	.protected	_Z39paged_attention_ll4mi_QKV_mfma16_kernelIDF16_DF16_LN4vllm18Fp8KVCacheDataTypeE0EhLi16ELi128ELi256ELb1ELi2EEvPKT_PKT0_S7_ifPKiS9_S9_iPKfiiiPfSC_PS2_PT2_iSB_SB_ ; -- Begin function _Z39paged_attention_ll4mi_QKV_mfma16_kernelIDF16_DF16_LN4vllm18Fp8KVCacheDataTypeE0EhLi16ELi128ELi256ELb1ELi2EEvPKT_PKT0_S7_ifPKiS9_S9_iPKfiiiPfSC_PS2_PT2_iSB_SB_
	.globl	_Z39paged_attention_ll4mi_QKV_mfma16_kernelIDF16_DF16_LN4vllm18Fp8KVCacheDataTypeE0EhLi16ELi128ELi256ELb1ELi2EEvPKT_PKT0_S7_ifPKiS9_S9_iPKfiiiPfSC_PS2_PT2_iSB_SB_
	.p2align	8
	.type	_Z39paged_attention_ll4mi_QKV_mfma16_kernelIDF16_DF16_LN4vllm18Fp8KVCacheDataTypeE0EhLi16ELi128ELi256ELb1ELi2EEvPKT_PKT0_S7_ifPKiS9_S9_iPKfiiiPfSC_PS2_PT2_iSB_SB_,@function
_Z39paged_attention_ll4mi_QKV_mfma16_kernelIDF16_DF16_LN4vllm18Fp8KVCacheDataTypeE0EhLi16ELi128ELi256ELb1ELi2EEvPKT_PKT0_S7_ifPKiS9_S9_iPKfiiiPfSC_PS2_PT2_iSB_SB_: ; @_Z39paged_attention_ll4mi_QKV_mfma16_kernelIDF16_DF16_LN4vllm18Fp8KVCacheDataTypeE0EhLi16ELi128ELi256ELb1ELi2EEvPKT_PKT0_S7_ifPKiS9_S9_iPKfiiiPfSC_PS2_PT2_iSB_SB_
; %bb.0:
	s_load_dwordx2 s[8:9], s[0:1], 0x30
	s_mov_b32 s26, s3
	s_mov_b64 s[6:7], 0
	s_waitcnt lgkmcnt(0)
	s_cmp_lg_u64 s[8:9], 0
	s_cselect_b64 s[10:11], -1, 0
	s_and_b64 vcc, exec, s[10:11]
	s_cbranch_vccz .LBB217_7
; %bb.1:
	s_add_i32 s12, s2, 1
	s_mov_b32 s13, 0
	s_lshl_b64 s[14:15], s[12:13], 2
	s_add_u32 s14, s8, s14
	s_mov_b32 s3, s13
	s_addc_u32 s15, s9, s15
	s_lshl_b64 s[12:13], s[2:3], 2
	s_add_u32 s12, s8, s12
	s_addc_u32 s13, s9, s13
	s_load_dword s5, s[14:15], 0x0
	s_load_dword s16, s[12:13], 0x0
	s_waitcnt lgkmcnt(0)
	s_sub_i32 s5, s5, s16
	s_cmp_eq_u32 s5, 1
	s_cselect_b64 s[12:13], -1, 0
	s_andn2_b64 vcc, exec, s[6:7]
	s_cbranch_vccnz .LBB217_3
.LBB217_2:
	s_mov_b32 s3, 0
	s_mov_b64 s[12:13], -1
.LBB217_3:
	s_andn2_b64 vcc, exec, s[12:13]
	s_cbranch_vccnz .LBB217_19
; %bb.4:
	s_load_dwordx2 s[6:7], s[0:1], 0x28
	s_lshl_b64 s[12:13], s[2:3], 2
	s_waitcnt lgkmcnt(0)
	s_add_u32 s6, s6, s12
	s_addc_u32 s7, s7, s13
	s_load_dword s33, s[6:7], 0x0
	s_lshl_b32 s18, s26, 8
	s_waitcnt lgkmcnt(0)
	s_cmp_ge_i32 s18, s33
	s_cbranch_scc1 .LBB217_19
; %bb.5:
	s_load_dwordx2 s[6:7], s[0:1], 0x20
	s_load_dword s5, s[0:1], 0x38
	s_add_i32 s14, s33, 15
	s_ashr_i32 s15, s14, 31
	v_and_b32_e32 v1, 0xcf, v0
	s_lshr_b32 s15, s15, 28
	v_add_u32_e32 v1, s18, v1
	s_add_i32 s14, s14, s15
	v_ashrrev_i32_e32 v2, 31, v1
	s_ashr_i32 s19, s14, 4
	v_lshrrev_b32_e32 v4, 28, v2
	s_add_i32 s19, s19, -1
	s_waitcnt lgkmcnt(0)
	s_mul_i32 s14, s2, s5
	s_mov_b32 s15, 0
	v_add_u32_e32 v2, v1, v4
	s_lshl_b64 s[14:15], s[14:15], 2
	v_ashrrev_i32_e32 v2, 4, v2
	v_mov_b32_e32 v5, s19
	v_cmp_gt_i32_e32 vcc, s33, v1
	s_add_u32 s6, s6, s14
	s_addc_u32 s7, s7, s15
	v_cndmask_b32_e32 v2, v5, v2, vcc
	v_ashrrev_i32_e32 v3, 31, v2
	v_lshl_add_u64 v[6:7], v[2:3], 2, s[6:7]
	v_or_b32_e32 v2, 16, v1
	v_add_u32_e32 v3, v2, v4
	v_ashrrev_i32_e32 v3, 4, v3
	v_cmp_gt_i32_e32 vcc, s33, v2
	s_load_dwordx2 s[14:15], s[0:1], 0x8
	s_nop 0
	v_cndmask_b32_e32 v2, v5, v3, vcc
	v_ashrrev_i32_e32 v3, 31, v2
	v_lshl_add_u64 v[8:9], v[2:3], 2, s[6:7]
	v_or_b32_e32 v2, 32, v1
	v_add_u32_e32 v3, v2, v4
	v_ashrrev_i32_e32 v3, 4, v3
	v_cmp_gt_i32_e32 vcc, s33, v2
	v_or_b32_e32 v1, 48, v1
	s_nop 0
	v_cndmask_b32_e32 v2, v5, v3, vcc
	v_ashrrev_i32_e32 v3, 31, v2
	v_lshl_add_u64 v[10:11], v[2:3], 2, s[6:7]
	v_add_u32_e32 v2, v1, v4
	v_ashrrev_i32_e32 v2, 4, v2
	v_cmp_gt_i32_e32 vcc, s33, v1
	s_nop 1
	v_cndmask_b32_e32 v2, v5, v2, vcc
	v_ashrrev_i32_e32 v3, 31, v2
	v_lshl_add_u64 v[12:13], v[2:3], 2, s[6:7]
	global_load_dword v5, v[6:7], off
	global_load_dword v4, v[8:9], off
	;; [unrolled: 1-line block ×4, first 2 shown]
	s_andn2_b64 vcc, exec, s[10:11]
	s_cbranch_vccnz .LBB217_8
; %bb.6:
	s_add_u32 s8, s8, s12
	s_addc_u32 s9, s9, s13
	s_load_dword s5, s[8:9], 0x0
	s_branch .LBB217_9
.LBB217_7:
	s_mov_b64 s[12:13], 0
	s_branch .LBB217_2
.LBB217_8:
	s_mov_b32 s5, s2
.LBB217_9:
	s_load_dwordx2 s[12:13], s[0:1], 0x10
	s_load_dwordx4 s[8:11], s[0:1], 0x48
	v_lshrrev_b32_e32 v88, 6, v0
	v_bfe_u32 v1, v0, 4, 2
	v_and_b32_e32 v86, 15, v0
	v_lshl_or_b32 v6, v88, 2, v1
	v_lshlrev_b32_e32 v7, 3, v86
	s_lshl_b32 s27, s4, 1
	v_cmp_gt_u32_e32 vcc, 2, v6
	v_lshlrev_b32_e32 v82, 1, v7
	s_and_saveexec_b64 s[16:17], vcc
	s_cbranch_execz .LBB217_11
; %bb.10:
	s_load_dwordx2 s[20:21], s[0:1], 0x0
	s_waitcnt lgkmcnt(0)
	s_ashr_i32 s11, s8, 31
	s_mul_hi_u32 s22, s5, s8
	s_mul_i32 s11, s5, s11
	s_add_i32 s23, s22, s11
	s_mul_i32 s22, s5, s8
	s_lshl_b64 s[22:23], s[22:23], 1
	s_add_u32 s20, s20, s22
	v_add_lshl_u32 v8, v1, s27, 7
	s_addc_u32 s21, s21, s23
	v_ashrrev_i32_e32 v9, 31, v8
	v_lshl_add_u64 v[8:9], v[8:9], 1, s[20:21]
	v_mov_b32_e32 v83, 0
	v_lshl_add_u64 v[8:9], v[8:9], 0, v[82:83]
	global_load_dwordx4 v[8:11], v[8:9], off
	v_and_b32_e32 v7, 3, v0
	v_lshlrev_b32_e32 v12, 9, v86
	v_lshlrev_b32_e32 v6, 5, v6
	;; [unrolled: 1-line block ×3, first 2 shown]
	v_and_b32_e32 v12, 0x1800, v12
	v_or3_b32 v6, v12, v7, v6
	s_waitcnt vmcnt(0)
	ds_write_b128 v6, v[8:11]
.LBB217_11:
	s_or_b64 exec, exec, s[16:17]
	s_waitcnt lgkmcnt(0)
	s_mul_i32 s4, s4, s10
	s_mov_b32 s5, 0
	s_lshl_b64 s[4:5], s[4:5], 1
	s_add_u32 s10, s14, s4
	v_lshlrev_b32_e32 v10, 4, v0
	s_addc_u32 s11, s15, s5
	v_and_b32_e32 v84, 0xf0, v10
	v_mov_b32_e32 v85, 0
	v_lshl_add_u64 v[6:7], s[10:11], 0, v[84:85]
	s_waitcnt vmcnt(3)
	v_mad_i64_i32 v[8:9], s[10:11], v5, s9, 0
	s_waitcnt vmcnt(2)
	v_mad_i64_i32 v[4:5], s[10:11], v4, s9, 0
	v_lshl_add_u64 v[8:9], v[8:9], 1, v[6:7]
	v_and_b32_e32 v84, 0x300, v10
	v_lshl_add_u64 v[4:5], v[4:5], 1, v[6:7]
	v_lshl_add_u64 v[8:9], v[8:9], 0, v[84:85]
	;; [unrolled: 1-line block ×3, first 2 shown]
	s_barrier
	global_load_dwordx4 v[78:81], v[8:9], off
	global_load_dwordx4 v[74:77], v[8:9], off offset:1024
	global_load_dwordx4 v[70:73], v[8:9], off offset:2048
	;; [unrolled: 1-line block ×3, first 2 shown]
	global_load_dwordx4 v[66:69], v[4:5], off
	global_load_dwordx4 v[62:65], v[4:5], off offset:1024
	global_load_dwordx4 v[58:61], v[4:5], off offset:2048
	;; [unrolled: 1-line block ×3, first 2 shown]
	s_waitcnt vmcnt(9)
	v_mad_i64_i32 v[4:5], s[10:11], v3, s9, 0
	s_waitcnt vmcnt(8)
	v_mad_i64_i32 v[2:3], s[10:11], v2, s9, 0
	v_lshl_add_u64 v[4:5], v[4:5], 1, v[6:7]
	v_lshl_add_u64 v[2:3], v[2:3], 1, v[6:7]
	;; [unrolled: 1-line block ×4, first 2 shown]
	global_load_dwordx4 v[54:57], v[4:5], off
	global_load_dwordx4 v[30:33], v[4:5], off offset:1024
	global_load_dwordx4 v[26:29], v[4:5], off offset:2048
	;; [unrolled: 1-line block ×3, first 2 shown]
	global_load_dwordx4 v[6:9], v[14:15], off
	s_nop 0
	global_load_dwordx4 v[2:5], v[14:15], off offset:1024
	global_load_dwordx4 v[42:45], v[14:15], off offset:2048
	global_load_dwordx4 v[34:37], v[14:15], off offset:3072
	v_and_b32_e32 v14, 1, v0
	v_lshlrev_b32_e32 v14, 5, v14
	v_lshl_or_b32 v38, v1, 9, v14
	ds_read_b128 v[14:17], v38
	ds_read_b128 v[50:53], v38 offset:2048
	ds_read_b128 v[46:49], v38 offset:4096
	;; [unrolled: 1-line block ×3, first 2 shown]
	v_cmp_gt_u32_e32 vcc, 2, v86
	v_mov_b32_e32 v89, 0
	s_and_saveexec_b64 s[10:11], vcc
	s_cbranch_execz .LBB217_13
; %bb.12:
	s_load_dwordx2 s[14:15], s[0:1], 0x40
	v_or_b32_e32 v90, s27, v86
	v_ashrrev_i32_e32 v91, 31, v90
	s_waitcnt lgkmcnt(0)
	v_lshl_add_u64 v[90:91], v[90:91], 2, s[14:15]
	global_load_dword v89, v[90:91], off
.LBB217_13:
	s_or_b64 exec, exec, s[10:11]
	s_waitcnt vmcnt(15) lgkmcnt(3)
	v_mfma_f32_16x16x16_f16 v[90:93], v[78:79], v[14:15], 0
	s_add_u32 s4, s12, s4
	s_addc_u32 s5, s13, s5
	s_mov_b32 s40, 0xff7fffff
	v_mfma_f32_16x16x16_f16 v[78:81], v[80:81], v[16:17], v[90:93]
	s_waitcnt vmcnt(14) lgkmcnt(2)
	v_mfma_f32_16x16x16_f16 v[78:81], v[74:75], v[50:51], v[78:81]
	s_nop 0
	v_lshl_or_b32 v90, v88, 4, v86
	v_lshlrev_b32_e32 v84, 5, v90
	v_mfma_f32_16x16x16_f16 v[74:77], v[76:77], v[52:53], v[78:81]
	s_waitcnt vmcnt(13) lgkmcnt(1)
	v_mfma_f32_16x16x16_f16 v[74:77], v[70:71], v[46:47], v[74:77]
	v_mfma_f32_16x16x16_f16 v[70:73], v[72:73], v[48:49], v[74:77]
	s_waitcnt vmcnt(11)
	v_mfma_f32_16x16x16_f16 v[74:77], v[66:67], v[14:15], 0
	v_mfma_f32_16x16x16_f16 v[66:69], v[68:69], v[16:17], v[74:77]
	s_nop 5
	v_and_or_b32 v74, v0, 48, s18
	s_waitcnt lgkmcnt(0)
	v_mfma_f32_16x16x16_f16 v[70:73], v[10:11], v[38:39], v[70:73]
	v_ashrrev_i32_e32 v10, 4, v74
	v_mov_b32_e32 v75, s19
	v_cmp_gt_i32_e32 vcc, s33, v74
	s_waitcnt vmcnt(10)
	v_mfma_f32_16x16x16_f16 v[66:69], v[62:63], v[50:51], v[66:69]
	v_cndmask_b32_e32 v10, v75, v10, vcc
	v_ashrrev_i32_e32 v11, 31, v10
	v_lshl_add_u64 v[10:11], v[10:11], 2, s[6:7]
	global_load_dword v76, v[10:11], off
	v_mfma_f32_16x16x16_f16 v[62:65], v[64:65], v[52:53], v[66:69]
	v_or_b32_e32 v10, 64, v74
	v_ashrrev_i32_e32 v11, 4, v10
	v_cmp_gt_i32_e32 vcc, s33, v10
	s_waitcnt vmcnt(10)
	v_mfma_f32_16x16x16_f16 v[62:65], v[58:59], v[46:47], v[62:65]
	v_cndmask_b32_e32 v10, v75, v11, vcc
	v_ashrrev_i32_e32 v11, 31, v10
	v_lshl_add_u64 v[10:11], v[10:11], 2, s[6:7]
	global_load_dword v77, v[10:11], off
	v_or_b32_e32 v10, 0x80, v74
	v_mfma_f32_16x16x16_f16 v[58:61], v[60:61], v[48:49], v[62:65]
	v_ashrrev_i32_e32 v11, 4, v10
	v_cmp_gt_i32_e32 vcc, s33, v10
	s_waitcnt vmcnt(9)
	v_mfma_f32_16x16x16_f16 v[62:65], v[54:55], v[14:15], 0
	v_cndmask_b32_e32 v10, v75, v11, vcc
	v_ashrrev_i32_e32 v11, 31, v10
	v_lshl_add_u64 v[10:11], v[10:11], 2, s[6:7]
	v_mfma_f32_16x16x16_f16 v[54:57], v[56:57], v[16:17], v[62:65]
	s_nop 2
	global_load_dword v62, v[10:11], off
	v_or_b32_e32 v10, 0xc0, v74
	v_ashrrev_i32_e32 v11, 4, v10
	v_cmp_gt_i32_e32 vcc, s33, v10
	s_waitcnt vmcnt(9)
	v_mfma_f32_16x16x16_f16 v[54:57], v[30:31], v[50:51], v[54:57]
	v_cndmask_b32_e32 v10, v75, v11, vcc
	v_ashrrev_i32_e32 v11, 31, v10
	v_lshl_add_u64 v[10:11], v[10:11], 2, s[6:7]
	global_load_dword v63, v[10:11], off
	v_mfma_f32_16x16x16_f16 v[30:33], v[32:33], v[52:53], v[54:57]
	s_load_dword s6, s[0:1], 0x1c
	s_waitcnt vmcnt(3)
	v_mad_i64_i32 v[10:11], s[10:11], v76, s9, 0
	v_mfma_f32_16x16x16_f16 v[30:33], v[26:27], v[46:47], v[30:33]
	v_mfma_f32_16x16x16_f16 v[64:67], v[12:13], v[40:41], v[70:73]
	s_nop 2
	v_lshlrev_b64 v[72:73], 1, v[10:11]
	v_mfma_f32_16x16x16_f16 v[10:13], v[28:29], v[48:49], v[30:33]
	s_waitcnt lgkmcnt(0)
	s_nop 0
	v_pk_mul_f32 v[78:79], s[6:7], v[66:67] op_sel_hi:[0,1]
	v_mfma_f32_16x16x16_f16 v[54:57], v[18:19], v[38:39], v[58:61]
	s_nop 2
	v_lshl_add_u64 v[60:61], s[4:5], 0, v[84:85]
	v_mfma_f32_16x16x16_f16 v[10:13], v[22:23], v[38:39], v[10:13]
	v_lshl_add_u64 v[18:19], v[60:61], 0, v[72:73]
	global_load_dwordx4 v[30:33], v[18:19], off
	global_load_dwordx4 v[26:29], v[18:19], off offset:16
	s_waitcnt vmcnt(4)
	v_mad_i64_i32 v[18:19], s[10:11], v77, s9, 0
	v_mfma_f32_16x16x16_f16 v[68:71], v[20:21], v[40:41], v[54:57]
	v_or_b32_e32 v84, 0x800, v84
	s_nop 1
	v_lshlrev_b64 v[54:55], 1, v[18:19]
	v_mfma_f32_16x16x16_f16 v[92:95], v[24:25], v[40:41], v[10:13]
	s_nop 1
	v_pk_mul_f32 v[76:77], s[6:7], v[68:69] op_sel_hi:[0,1]
	v_pk_mul_f32 v[74:75], s[6:7], v[70:71] op_sel_hi:[0,1]
	v_lshl_add_u64 v[10:11], v[60:61], 0, v[54:55]
	global_load_dwordx4 v[22:25], v[10:11], off
	global_load_dwordx4 v[18:21], v[10:11], off offset:16
	v_mfma_f32_16x16x16_f16 v[10:13], v[6:7], v[14:15], 0
	s_waitcnt vmcnt(5)
	v_mad_i64_i32 v[6:7], s[10:11], v62, s9, 0
	v_lshlrev_b64 v[56:57], 1, v[6:7]
	v_mfma_f32_16x16x16_f16 v[6:9], v[8:9], v[16:17], v[10:13]
	v_pk_mul_f32 v[70:71], s[6:7], v[94:95] op_sel_hi:[0,1]
	v_mfma_f32_16x16x16_f16 v[6:9], v[2:3], v[50:51], v[6:9]
	s_waitcnt vmcnt(4)
	v_mad_i64_i32 v[2:3], s[8:9], v63, s9, 0
	v_lshlrev_b64 v[58:59], 1, v[2:3]
	v_mfma_f32_16x16x16_f16 v[50:53], v[4:5], v[52:53], v[6:9]
	v_lshl_add_u64 v[10:11], v[60:61], 0, v[56:57]
	v_lshl_add_u64 v[2:3], v[60:61], 0, v[58:59]
	v_pk_mul_f32 v[60:61], s[6:7], v[64:65] op_sel_hi:[0,1]
	v_mfma_f32_16x16x16_f16 v[50:53], v[42:43], v[46:47], v[50:53]
	v_lshl_add_u64 v[62:63], s[4:5], 0, v[84:85]
	v_lshl_add_u64 v[42:43], v[62:63], 0, v[72:73]
	v_pk_mul_f32 v[72:73], s[6:7], v[92:93] op_sel_hi:[0,1]
	v_mfma_f32_16x16x16_f16 v[44:47], v[44:45], v[48:49], v[50:53]
	v_lshl_add_u64 v[58:59], v[62:63], 0, v[58:59]
	global_load_dwordx4 v[14:17], v[10:11], off
	s_nop 0
	global_load_dwordx4 v[10:13], v[10:11], off offset:16
	s_nop 0
	global_load_dwordx4 v[6:9], v[2:3], off
	s_nop 0
	global_load_dwordx4 v[2:5], v[2:3], off offset:16
	v_mfma_f32_16x16x16_f16 v[44:47], v[34:35], v[38:39], v[44:47]
	v_mfma_f32_16x16x16_f16 v[34:37], v[36:37], v[40:41], v[44:47]
	s_nop 6
	v_pk_mul_f32 v[68:69], s[6:7], v[34:35] op_sel_hi:[0,1]
	v_and_b32_e32 v34, 0xc0, v0
	v_add_u32_e32 v34, s18, v34
	v_lshl_or_b32 v34, v1, 2, v34
	v_or_b32_e32 v35, 1, v34
	v_pk_mul_f32 v[66:67], s[6:7], v[36:37] op_sel_hi:[0,1]
	v_subrev_u32_e32 v36, s33, v35
	v_add_u32_e32 v38, 1, v36
	v_add_u32_e32 v39, 2, v36
	v_cvt_f32_i32_e32 v37, v36
	v_cvt_f32_i32_e32 v38, v38
	;; [unrolled: 1-line block ×3, first 2 shown]
	v_add_u32_e32 v40, 3, v36
	v_fma_f32 v60, v89, v37, v60
	v_fmac_f32_e32 v61, v89, v38
	v_fma_f32 v78, v89, v39, v78
	v_add_u32_e32 v37, 16, v36
	v_add_u32_e32 v38, 17, v36
	;; [unrolled: 1-line block ×3, first 2 shown]
	v_cvt_f32_i32_e32 v40, v40
	v_cvt_f32_i32_e32 v37, v37
	;; [unrolled: 1-line block ×4, first 2 shown]
	v_fmac_f32_e32 v79, v89, v40
	v_add_u32_e32 v40, 19, v36
	v_fma_f32 v76, v89, v37, v76
	v_fmac_f32_e32 v77, v89, v38
	v_fma_f32 v74, v89, v39, v74
	v_add_u32_e32 v37, 32, v36
	v_add_u32_e32 v38, 33, v36
	;; [unrolled: 1-line block ×3, first 2 shown]
	v_cvt_f32_i32_e32 v40, v40
	v_cvt_f32_i32_e32 v37, v37
	;; [unrolled: 1-line block ×4, first 2 shown]
	v_fmac_f32_e32 v75, v89, v40
	v_add_u32_e32 v40, 35, v36
	v_fma_f32 v72, v89, v37, v72
	v_fmac_f32_e32 v73, v89, v38
	v_fma_f32 v70, v89, v39, v70
	v_add_u32_e32 v37, 48, v36
	v_add_u32_e32 v38, 49, v36
	;; [unrolled: 1-line block ×4, first 2 shown]
	v_cvt_f32_i32_e32 v36, v36
	v_cvt_f32_i32_e32 v37, v37
	;; [unrolled: 1-line block ×3, first 2 shown]
	v_cmp_gt_i32_e64 s[28:29], s33, v34
	v_fmac_f32_e32 v67, v89, v36
	v_mov_b32_e32 v36, 0xff7fffff
	v_cmp_gt_i32_e64 s[30:31], s33, v35
	v_fma_f32 v68, v89, v37, v68
	v_cndmask_b32_e64 v37, v36, v60, s[28:29]
	v_cndmask_b32_e64 v35, v36, v61, s[30:31]
	v_fmac_f32_e32 v69, v89, v38
	v_max3_f32 v35, v37, s40, v35
	v_or_b32_e32 v37, 2, v34
	v_or_b32_e32 v38, 3, v34
	v_cmp_gt_i32_e64 s[34:35], s33, v37
	v_cmp_gt_i32_e64 s[36:37], s33, v38
	v_cvt_f32_i32_e32 v40, v40
	v_cndmask_b32_e64 v37, v36, v78, s[34:35]
	v_cndmask_b32_e64 v38, v36, v79, s[36:37]
	v_max3_f32 v35, v35, v37, v38
	v_or_b32_e32 v37, 16, v34
	v_or_b32_e32 v38, 17, v34
	v_cmp_gt_i32_e64 s[22:23], s33, v37
	v_cmp_gt_i32_e64 s[24:25], s33, v38
	v_fmac_f32_e32 v71, v89, v40
	v_cndmask_b32_e64 v37, v36, v76, s[22:23]
	v_cndmask_b32_e64 v38, v36, v77, s[24:25]
	v_max3_f32 v35, v35, v37, v38
	v_or_b32_e32 v37, 18, v34
	v_or_b32_e32 v38, 19, v34
	v_cmp_gt_i32_e64 s[18:19], s33, v37
	v_cmp_gt_i32_e64 s[20:21], s33, v38
	v_cvt_f32_i32_e32 v39, v39
	v_cndmask_b32_e64 v37, v36, v74, s[18:19]
	v_cndmask_b32_e64 v38, v36, v75, s[20:21]
	v_max3_f32 v35, v35, v37, v38
	v_or_b32_e32 v37, 32, v34
	v_or_b32_e32 v38, 33, v34
	v_cmp_gt_i32_e64 s[14:15], s33, v37
	v_cmp_gt_i32_e64 s[16:17], s33, v38
	v_fma_f32 v66, v89, v39, v66
	v_cndmask_b32_e64 v37, v36, v72, s[14:15]
	v_cndmask_b32_e64 v38, v36, v73, s[16:17]
	v_max3_f32 v35, v35, v37, v38
	v_or_b32_e32 v37, 34, v34
	v_or_b32_e32 v38, 35, v34
	v_cmp_gt_i32_e64 s[10:11], s33, v37
	v_cmp_gt_i32_e64 s[12:13], s33, v38
	v_and_b32_e32 v1, 63, v0
	v_cndmask_b32_e64 v37, v36, v70, s[10:11]
	v_cndmask_b32_e64 v38, v36, v71, s[12:13]
	v_max3_f32 v35, v35, v37, v38
	v_or_b32_e32 v37, 48, v34
	v_or_b32_e32 v38, 49, v34
	v_cmp_gt_i32_e64 s[6:7], s33, v37
	v_cmp_gt_i32_e64 s[8:9], s33, v38
	s_nop 0
	v_cndmask_b32_e64 v37, v36, v68, s[6:7]
	v_cndmask_b32_e64 v38, v36, v69, s[8:9]
	v_max3_f32 v35, v35, v37, v38
	v_or_b32_e32 v37, 50, v34
	v_or_b32_e32 v34, 51, v34
	v_cmp_gt_i32_e32 vcc, s33, v37
	v_cmp_gt_i32_e64 s[4:5], s33, v34
	global_load_dwordx4 v[46:49], v[42:43], off
	global_load_dwordx4 v[38:41], v[42:43], off offset:16
	v_cndmask_b32_e32 v37, v36, v66, vcc
	v_cndmask_b32_e64 v34, v36, v67, s[4:5]
	v_max3_f32 v50, v35, v37, v34
	v_mbcnt_lo_u32_b32 v34, -1, 0
	v_mbcnt_hi_u32_b32 v51, -1, v34
	v_and_b32_e32 v34, 64, v51
	v_add_u32_e32 v52, 64, v34
	v_xor_b32_e32 v34, 32, v51
	v_cmp_lt_i32_e64 s[38:39], v34, v52
	s_nop 1
	v_cndmask_b32_e64 v34, v51, v34, s[38:39]
	v_lshlrev_b32_e32 v85, 2, v34
	ds_bpermute_b32 v53, v85, v50
	v_lshl_add_u64 v[34:35], v[62:63], 0, v[54:55]
	global_load_dwordx4 v[42:45], v[34:35], off
	s_nop 0
	global_load_dwordx4 v[34:37], v[34:35], off offset:16
	s_waitcnt lgkmcnt(0)
	v_max_f32_e32 v53, v53, v53
	v_max_f32_e32 v64, v50, v53
	v_xor_b32_e32 v50, 16, v51
	v_cmp_lt_i32_e64 s[38:39], v50, v52
	s_nop 1
	v_cndmask_b32_e64 v50, v51, v50, s[38:39]
	v_lshlrev_b32_e32 v89, 2, v50
	ds_bpermute_b32 v65, v89, v64
	v_lshl_add_u64 v[50:51], v[62:63], 0, v[56:57]
	global_load_dwordx4 v[54:57], v[50:51], off
	s_nop 0
	global_load_dwordx4 v[50:53], v[50:51], off offset:16
	s_waitcnt lgkmcnt(0)
	v_max_f32_e32 v62, v65, v65
	v_max_f32_e32 v84, v64, v62
	v_sub_f32_e32 v60, v60, v84
	v_mul_f32_e32 v60, 0x3fb8aa3b, v60
	v_exp_f32_e32 v80, v60
	v_sub_f32_e32 v60, v61, v84
	v_mul_f32_e32 v60, 0x3fb8aa3b, v60
	v_exp_f32_e32 v81, v60
	global_load_dwordx4 v[62:65], v[58:59], off
	s_nop 0
	global_load_dwordx4 v[58:61], v[58:59], off offset:16
	v_sub_f32_e32 v78, v78, v84
	v_mul_f32_e32 v78, 0x3fb8aa3b, v78
	v_sub_f32_e32 v79, v79, v84
	v_exp_f32_e32 v78, v78
	v_mul_f32_e32 v79, 0x3fb8aa3b, v79
	v_sub_f32_e32 v76, v76, v84
	v_exp_f32_e32 v79, v79
	v_mul_f32_e32 v76, 0x3fb8aa3b, v76
	v_sub_f32_e32 v77, v77, v84
	v_cndmask_b32_e64 v80, 0, v80, s[28:29]
	v_exp_f32_e32 v76, v76
	v_mul_f32_e32 v77, 0x3fb8aa3b, v77
	v_sub_f32_e32 v74, v74, v84
	v_add_f32_e32 v91, 0, v80
	v_cndmask_b32_e64 v81, 0, v81, s[30:31]
	v_exp_f32_e32 v77, v77
	v_mul_f32_e32 v74, 0x3fb8aa3b, v74
	v_sub_f32_e32 v75, v75, v84
	v_add_f32_e32 v91, v91, v81
	;; [unrolled: 5-line block ×10, first 2 shown]
	v_cndmask_b32_e64 v70, 0, v70, s[10:11]
	v_exp_f32_e32 v66, v66
	v_mul_f32_e32 v67, 0x3fb8aa3b, v67
	v_add_f32_e32 v91, v91, v70
	v_cndmask_b32_e64 v71, 0, v71, s[12:13]
	v_exp_f32_e32 v67, v67
	v_add_f32_e32 v91, v91, v71
	v_cndmask_b32_e64 v68, 0, v68, s[6:7]
	v_add_f32_e32 v91, v91, v68
	v_cndmask_b32_e64 v69, 0, v69, s[8:9]
	v_add_f32_e32 v91, v91, v69
	v_cndmask_b32_e32 v66, 0, v66, vcc
	v_add_f32_e32 v91, v91, v66
	v_cndmask_b32_e64 v67, 0, v67, s[4:5]
	v_add_f32_e32 v91, v91, v67
	ds_bpermute_b32 v85, v85, v91
	s_load_dword s7, s[0:1], 0x98
	v_cmp_gt_u32_e32 vcc, 16, v1
	s_waitcnt lgkmcnt(0)
	s_barrier
	v_add_f32_e32 v85, v91, v85
	ds_bpermute_b32 v89, v89, v85
	s_waitcnt lgkmcnt(0)
	s_and_saveexec_b64 s[4:5], vcc
	s_cbranch_execz .LBB217_15
; %bb.14:
	v_add_f32_e32 v85, v85, v89
	v_lshlrev_b32_e32 v89, 2, v90
	ds_write2st64_b32 v89, v84, v85 offset1:1
.LBB217_15:
	s_or_b64 exec, exec, s[4:5]
	v_lshlrev_b32_e32 v85, 2, v86
	s_load_dword s6, s[0:1], 0x94
	s_waitcnt lgkmcnt(0)
	s_barrier
	ds_read2_b32 v[90:91], v85 offset1:16
	ds_read2_b32 v[92:93], v85 offset0:32 offset1:48
	ds_read2_b32 v[94:95], v85 offset0:64 offset1:80
	s_lshl_b32 s7, s7, 1
	s_waitcnt lgkmcnt(2)
	v_max3_f32 v84, v90, s40, v91
	s_waitcnt lgkmcnt(1)
	v_max3_f32 v84, v84, v92, v93
	v_sub_f32_e32 v89, v90, v84
	v_sub_f32_e32 v90, v91, v84
	v_mul_f32_e32 v90, 0x3fb8aa3b, v90
	v_mul_f32_e32 v89, 0x3fb8aa3b, v89
	v_exp_f32_e32 v87, v90
	v_sub_f32_e32 v90, v92, v84
	v_exp_f32_e32 v89, v89
	v_mul_f32_e32 v90, 0x3fb8aa3b, v90
	v_exp_f32_e32 v92, v90
	ds_read2_b32 v[90:91], v85 offset0:96 offset1:112
	v_sub_f32_e32 v85, v93, v84
	v_mul_f32_e32 v85, 0x3fb8aa3b, v85
	v_exp_f32_e32 v93, v85
	s_waitcnt lgkmcnt(1)
	v_fma_f32 v85, v89, v94, 0
	v_fmac_f32_e32 v85, v87, v95
	s_waitcnt lgkmcnt(0)
	v_fmac_f32_e32 v85, v92, v90
	v_fmac_f32_e32 v85, v93, v91
	v_add_f32_e32 v90, 0x358637bd, v85
	v_div_scale_f32 v91, s[4:5], v90, v90, 1.0
	v_rcp_f32_e32 v94, v91
	s_barrier
	v_fma_f32 v95, -v91, v94, 1.0
	v_fmac_f32_e32 v94, v95, v94
	v_div_scale_f32 v95, vcc, 1.0, v90, 1.0
	v_mul_f32_e32 v83, v95, v94
	v_fma_f32 v1, -v91, v83, v95
	v_fmac_f32_e32 v83, v1, v94
	v_fma_f32 v1, -v91, v83, v95
	v_div_fmas_f32 v1, v1, v94, v83
	v_cmp_eq_u32_e32 vcc, 1, v88
	v_div_fixup_f32 v1, v1, v90, 1.0
	s_nop 0
	v_cndmask_b32_e32 v83, v89, v87, vcc
	v_cmp_eq_u32_e32 vcc, 2, v88
	s_nop 1
	v_cndmask_b32_e32 v83, v83, v92, vcc
	v_cmp_eq_u32_e32 vcc, 3, v88
	s_nop 1
	v_cndmask_b32_e32 v83, v83, v93, vcc
	v_mul_f32_e32 v90, v83, v1
	v_pk_mul_f32 v[78:79], v[90:91], v[78:79] op_sel_hi:[0,1]
	v_cvt_f16_f32_e32 v78, v78
	v_cvt_f16_f32_e32 v79, v79
	v_pk_mul_f32 v[80:81], v[90:91], v[80:81] op_sel_hi:[0,1]
	v_cvt_f16_f32_e32 v1, v80
	v_cvt_f16_f32_e32 v80, v81
	v_pk_mul_f32 v[74:75], v[90:91], v[74:75] op_sel_hi:[0,1]
	v_pk_mul_f32 v[76:77], v[90:91], v[76:77] op_sel_hi:[0,1]
	v_pack_b32_f16 v81, v78, v79
	v_cvt_f16_f32_e32 v76, v76
	v_cvt_f16_f32_e32 v77, v77
	;; [unrolled: 1-line block ×4, first 2 shown]
	v_bfe_u32 v83, v0, 4, 2
	v_pack_b32_f16 v80, v1, v80
	v_lshlrev_b32_e32 v1, 3, v83
	v_lshlrev_b32_e32 v78, 5, v86
	v_lshlrev_b32_e32 v74, 11, v88
	v_pk_mul_f32 v[70:71], v[90:91], v[70:71] op_sel_hi:[0,1]
	v_pk_mul_f32 v[72:73], v[90:91], v[72:73] op_sel_hi:[0,1]
	;; [unrolled: 1-line block ×4, first 2 shown]
	v_or3_b32 v74, v74, v78, v1
	v_pack_b32_f16 v76, v76, v77
	v_pack_b32_f16 v77, v79, v75
	v_cvt_f16_f32_e32 v1, v72
	v_cvt_f16_f32_e32 v72, v73
	;; [unrolled: 1-line block ×8, first 2 shown]
	v_pack_b32_f16 v66, v1, v72
	v_pack_b32_f16 v67, v70, v71
	;; [unrolled: 1-line block ×4, first 2 shown]
	v_cmp_gt_u32_e32 vcc, 2, v0
	ds_write2st64_b64 v74, v[80:81], v[76:77] offset1:1
	ds_write2st64_b64 v74, v[66:67], v[68:69] offset0:2 offset1:3
	s_and_saveexec_b64 s[4:5], vcc
	s_cbranch_execz .LBB217_17
; %bb.16:
	v_or_b32_e32 v66, s27, v0
	v_mov_b32_e32 v67, 0
	v_mov_b32_e32 v1, s7
	v_mad_u64_u32 v[68:69], s[12:13], s2, v1, v[66:67]
	v_mov_b32_e32 v66, s26
	s_load_dwordx4 s[8:11], s[0:1], 0x58
	s_mul_i32 s3, s3, s7
	v_mad_u64_u32 v[66:67], s[12:13], v68, s6, v[66:67]
	v_add_u32_e32 v1, s3, v69
	v_mov_b32_e32 v68, v67
	v_mad_u64_u32 v[68:69], s[12:13], v1, s6, v[68:69]
	v_mov_b32_e32 v67, v68
	v_lshlrev_b64 v[66:67], 2, v[66:67]
	s_waitcnt lgkmcnt(0)
	v_lshl_add_u64 v[68:69], s[10:11], 0, v[66:67]
	v_lshl_add_u64 v[66:67], s[8:9], 0, v[66:67]
	global_store_dword v[68:69], v84, off
	global_store_dword v[66:67], v85, off
.LBB217_17:
	s_or_b64 exec, exec, s[4:5]
	v_lshl_or_b32 v1, v83, 9, v78
	s_waitcnt lgkmcnt(0)
	s_barrier
	ds_read_b128 v[70:73], v1
	ds_read_b128 v[66:69], v1 offset:16
	s_waitcnt vmcnt(15) lgkmcnt(1)
	v_mfma_f32_16x16x16_f16 v[76:79], v[30:31], v[70:71], 0
	v_cmp_gt_u32_e32 vcc, 64, v0
	s_mov_b32 s3, 0
	v_mfma_f32_16x16x16_f16 v[30:33], v[32:33], v[72:73], v[76:79]
	s_waitcnt vmcnt(14) lgkmcnt(0)
	v_mfma_f32_16x16x16_f16 v[30:33], v[26:27], v[66:67], v[30:33]
	v_mfma_f32_16x16x16_f16 v[26:29], v[28:29], v[68:69], v[30:33]
	s_nop 5
	ds_read_b128 v[30:33], v1 offset:2048
	ds_read_b128 v[76:79], v1 offset:2064
	s_waitcnt vmcnt(13) lgkmcnt(1)
	v_mfma_f32_16x16x16_f16 v[26:29], v[22:23], v[30:31], v[26:29]
	v_mfma_f32_16x16x16_f16 v[22:25], v[24:25], v[32:33], v[26:29]
	s_waitcnt vmcnt(12) lgkmcnt(0)
	v_mfma_f32_16x16x16_f16 v[22:25], v[18:19], v[76:77], v[22:25]
	v_mfma_f32_16x16x16_f16 v[18:21], v[20:21], v[78:79], v[22:25]
	s_nop 5
	ds_read_b128 v[22:25], v1 offset:4096
	ds_read_b128 v[26:29], v1 offset:4112
	s_waitcnt vmcnt(11) lgkmcnt(1)
	v_mfma_f32_16x16x16_f16 v[18:21], v[14:15], v[22:23], v[18:21]
	v_mfma_f32_16x16x16_f16 v[14:17], v[16:17], v[24:25], v[18:21]
	s_waitcnt vmcnt(10) lgkmcnt(0)
	v_mfma_f32_16x16x16_f16 v[14:17], v[10:11], v[26:27], v[14:17]
	v_mfma_f32_16x16x16_f16 v[10:13], v[12:13], v[28:29], v[14:17]
	s_nop 5
	ds_read_b128 v[14:17], v1 offset:6144
	ds_read_b128 v[18:21], v1 offset:6160
	s_waitcnt lgkmcnt(0)
	s_barrier
	s_waitcnt vmcnt(9)
	v_mfma_f32_16x16x16_f16 v[10:13], v[6:7], v[14:15], v[10:13]
	v_mfma_f32_16x16x16_f16 v[6:9], v[8:9], v[16:17], v[10:13]
	s_waitcnt vmcnt(8)
	v_mfma_f32_16x16x16_f16 v[6:9], v[2:3], v[18:19], v[6:9]
	v_mfma_f32_16x16x16_f16 v[2:5], v[4:5], v[20:21], v[6:9]
	;; [unrolled: 3-line block ×3, first 2 shown]
	s_nop 3
	v_cvt_f16_f32_e32 v1, v2
	v_cvt_f16_f32_e32 v10, v3
	;; [unrolled: 1-line block ×3, first 2 shown]
	s_waitcnt vmcnt(6)
	v_mfma_f32_16x16x16_f16 v[6:9], v[38:39], v[66:67], v[6:9]
	v_cvt_f16_f32_e32 v12, v5
	v_mfma_f32_16x16x16_f16 v[6:9], v[40:41], v[68:69], v[6:9]
	s_waitcnt vmcnt(5)
	v_mfma_f32_16x16x16_f16 v[6:9], v[42:43], v[30:31], v[6:9]
	v_mfma_f32_16x16x16_f16 v[6:9], v[44:45], v[32:33], v[6:9]
	s_waitcnt vmcnt(4)
	v_mfma_f32_16x16x16_f16 v[6:9], v[34:35], v[76:77], v[6:9]
	;; [unrolled: 3-line block ×6, first 2 shown]
	v_mfma_f32_16x16x16_f16 v[2:5], v[60:61], v[20:21], v[6:9]
	s_nop 6
	v_cvt_f16_f32_e32 v6, v2
	v_cvt_f16_f32_e32 v7, v3
	;; [unrolled: 1-line block ×4, first 2 shown]
	v_pack_b32_f16 v2, v1, v10
	v_and_b32_e32 v1, 63, v0
	v_cmp_gt_u32_e64 s[4:5], 32, v1
	v_pack_b32_f16 v3, v11, v12
	v_pack_b32_f16 v4, v6, v7
	;; [unrolled: 1-line block ×3, first 2 shown]
	s_and_b64 s[4:5], vcc, s[4:5]
	ds_write2st64_b64 v74, v[2:3], v[4:5] offset1:1
	s_waitcnt lgkmcnt(0)
	s_barrier
	s_and_saveexec_b64 s[8:9], s[4:5]
	s_cbranch_execz .LBB217_19
; %bb.18:
	s_load_dwordx2 s[0:1], s[0:1], 0x68
	s_mul_i32 s2, s7, s2
	s_lshl_b32 s6, s6, 7
	v_lshlrev_b32_e32 v3, 6, v86
	s_mul_hi_u32 s5, s2, s6
	s_mul_i32 s4, s2, s6
	v_lshlrev_b32_e32 v2, 4, v0
	v_lshl_or_b32 v0, v0, 10, v3
	s_lshl_b64 s[4:5], s[4:5], 1
	v_lshlrev_b32_e32 v1, 5, v83
	v_and_b32_e32 v2, 16, v2
	v_and_b32_e32 v0, 0x1a00, v0
	s_waitcnt lgkmcnt(0)
	s_add_u32 s4, s0, s4
	v_or3_b32 v0, v0, v1, v2
	s_addc_u32 s5, s1, s5
	s_lshl_b32 s2, s26, 7
	ds_read_b128 v[2:5], v0
	s_lshl_b64 s[0:1], s[2:3], 1
	s_add_u32 s0, s4, s0
	v_or_b32_e32 v0, s27, v83
	s_addc_u32 s1, s5, s1
	v_mad_u64_u32 v[0:1], s[2:3], s6, v0, 0
	v_lshl_add_u64 v[0:1], v[0:1], 1, s[0:1]
	v_mov_b32_e32 v83, 0
	v_lshl_add_u64 v[0:1], v[0:1], 0, v[82:83]
	s_waitcnt lgkmcnt(0)
	global_store_dwordx4 v[0:1], v[2:5], off
.LBB217_19:
	s_endpgm
	.section	.rodata,"a",@progbits
	.p2align	6, 0x0
	.amdhsa_kernel _Z39paged_attention_ll4mi_QKV_mfma16_kernelIDF16_DF16_LN4vllm18Fp8KVCacheDataTypeE0EhLi16ELi128ELi256ELb1ELi2EEvPKT_PKT0_S7_ifPKiS9_S9_iPKfiiiPfSC_PS2_PT2_iSB_SB_
		.amdhsa_group_segment_fixed_size 8192
		.amdhsa_private_segment_fixed_size 0
		.amdhsa_kernarg_size 400
		.amdhsa_user_sgpr_count 2
		.amdhsa_user_sgpr_dispatch_ptr 0
		.amdhsa_user_sgpr_queue_ptr 0
		.amdhsa_user_sgpr_kernarg_segment_ptr 1
		.amdhsa_user_sgpr_dispatch_id 0
		.amdhsa_user_sgpr_kernarg_preload_length 0
		.amdhsa_user_sgpr_kernarg_preload_offset 0
		.amdhsa_user_sgpr_private_segment_size 0
		.amdhsa_uses_dynamic_stack 0
		.amdhsa_enable_private_segment 0
		.amdhsa_system_sgpr_workgroup_id_x 1
		.amdhsa_system_sgpr_workgroup_id_y 1
		.amdhsa_system_sgpr_workgroup_id_z 1
		.amdhsa_system_sgpr_workgroup_info 0
		.amdhsa_system_vgpr_workitem_id 0
		.amdhsa_next_free_vgpr 96
		.amdhsa_next_free_sgpr 41
		.amdhsa_accum_offset 96
		.amdhsa_reserve_vcc 1
		.amdhsa_float_round_mode_32 0
		.amdhsa_float_round_mode_16_64 0
		.amdhsa_float_denorm_mode_32 3
		.amdhsa_float_denorm_mode_16_64 3
		.amdhsa_dx10_clamp 1
		.amdhsa_ieee_mode 1
		.amdhsa_fp16_overflow 0
		.amdhsa_tg_split 0
		.amdhsa_exception_fp_ieee_invalid_op 0
		.amdhsa_exception_fp_denorm_src 0
		.amdhsa_exception_fp_ieee_div_zero 0
		.amdhsa_exception_fp_ieee_overflow 0
		.amdhsa_exception_fp_ieee_underflow 0
		.amdhsa_exception_fp_ieee_inexact 0
		.amdhsa_exception_int_div_zero 0
	.end_amdhsa_kernel
	.section	.text._Z39paged_attention_ll4mi_QKV_mfma16_kernelIDF16_DF16_LN4vllm18Fp8KVCacheDataTypeE0EhLi16ELi128ELi256ELb1ELi2EEvPKT_PKT0_S7_ifPKiS9_S9_iPKfiiiPfSC_PS2_PT2_iSB_SB_,"axG",@progbits,_Z39paged_attention_ll4mi_QKV_mfma16_kernelIDF16_DF16_LN4vllm18Fp8KVCacheDataTypeE0EhLi16ELi128ELi256ELb1ELi2EEvPKT_PKT0_S7_ifPKiS9_S9_iPKfiiiPfSC_PS2_PT2_iSB_SB_,comdat
.Lfunc_end217:
	.size	_Z39paged_attention_ll4mi_QKV_mfma16_kernelIDF16_DF16_LN4vllm18Fp8KVCacheDataTypeE0EhLi16ELi128ELi256ELb1ELi2EEvPKT_PKT0_S7_ifPKiS9_S9_iPKfiiiPfSC_PS2_PT2_iSB_SB_, .Lfunc_end217-_Z39paged_attention_ll4mi_QKV_mfma16_kernelIDF16_DF16_LN4vllm18Fp8KVCacheDataTypeE0EhLi16ELi128ELi256ELb1ELi2EEvPKT_PKT0_S7_ifPKiS9_S9_iPKfiiiPfSC_PS2_PT2_iSB_SB_
                                        ; -- End function
	.section	.AMDGPU.csdata,"",@progbits
; Kernel info:
; codeLenInByte = 4612
; NumSgprs: 47
; NumVgprs: 96
; NumAgprs: 0
; TotalNumVgprs: 96
; ScratchSize: 0
; MemoryBound: 0
; FloatMode: 240
; IeeeMode: 1
; LDSByteSize: 8192 bytes/workgroup (compile time only)
; SGPRBlocks: 5
; VGPRBlocks: 11
; NumSGPRsForWavesPerEU: 47
; NumVGPRsForWavesPerEU: 96
; AccumOffset: 96
; Occupancy: 5
; WaveLimiterHint : 1
; COMPUTE_PGM_RSRC2:SCRATCH_EN: 0
; COMPUTE_PGM_RSRC2:USER_SGPR: 2
; COMPUTE_PGM_RSRC2:TRAP_HANDLER: 0
; COMPUTE_PGM_RSRC2:TGID_X_EN: 1
; COMPUTE_PGM_RSRC2:TGID_Y_EN: 1
; COMPUTE_PGM_RSRC2:TGID_Z_EN: 1
; COMPUTE_PGM_RSRC2:TIDIG_COMP_CNT: 0
; COMPUTE_PGM_RSRC3_GFX90A:ACCUM_OFFSET: 23
; COMPUTE_PGM_RSRC3_GFX90A:TG_SPLIT: 0
	.section	.text._Z39paged_attention_ll4mi_QKV_mfma16_kernelIDF16_DF16_LN4vllm18Fp8KVCacheDataTypeE0EhLi16ELi128ELi256ELb1ELi3EEvPKT_PKT0_S7_ifPKiS9_S9_iPKfiiiPfSC_PS2_PT2_iSB_SB_,"axG",@progbits,_Z39paged_attention_ll4mi_QKV_mfma16_kernelIDF16_DF16_LN4vllm18Fp8KVCacheDataTypeE0EhLi16ELi128ELi256ELb1ELi3EEvPKT_PKT0_S7_ifPKiS9_S9_iPKfiiiPfSC_PS2_PT2_iSB_SB_,comdat
	.protected	_Z39paged_attention_ll4mi_QKV_mfma16_kernelIDF16_DF16_LN4vllm18Fp8KVCacheDataTypeE0EhLi16ELi128ELi256ELb1ELi3EEvPKT_PKT0_S7_ifPKiS9_S9_iPKfiiiPfSC_PS2_PT2_iSB_SB_ ; -- Begin function _Z39paged_attention_ll4mi_QKV_mfma16_kernelIDF16_DF16_LN4vllm18Fp8KVCacheDataTypeE0EhLi16ELi128ELi256ELb1ELi3EEvPKT_PKT0_S7_ifPKiS9_S9_iPKfiiiPfSC_PS2_PT2_iSB_SB_
	.globl	_Z39paged_attention_ll4mi_QKV_mfma16_kernelIDF16_DF16_LN4vllm18Fp8KVCacheDataTypeE0EhLi16ELi128ELi256ELb1ELi3EEvPKT_PKT0_S7_ifPKiS9_S9_iPKfiiiPfSC_PS2_PT2_iSB_SB_
	.p2align	8
	.type	_Z39paged_attention_ll4mi_QKV_mfma16_kernelIDF16_DF16_LN4vllm18Fp8KVCacheDataTypeE0EhLi16ELi128ELi256ELb1ELi3EEvPKT_PKT0_S7_ifPKiS9_S9_iPKfiiiPfSC_PS2_PT2_iSB_SB_,@function
_Z39paged_attention_ll4mi_QKV_mfma16_kernelIDF16_DF16_LN4vllm18Fp8KVCacheDataTypeE0EhLi16ELi128ELi256ELb1ELi3EEvPKT_PKT0_S7_ifPKiS9_S9_iPKfiiiPfSC_PS2_PT2_iSB_SB_: ; @_Z39paged_attention_ll4mi_QKV_mfma16_kernelIDF16_DF16_LN4vllm18Fp8KVCacheDataTypeE0EhLi16ELi128ELi256ELb1ELi3EEvPKT_PKT0_S7_ifPKiS9_S9_iPKfiiiPfSC_PS2_PT2_iSB_SB_
; %bb.0:
	s_load_dwordx2 s[8:9], s[0:1], 0x30
	s_mov_b32 s26, s3
	s_mov_b64 s[6:7], 0
	s_waitcnt lgkmcnt(0)
	s_cmp_lg_u64 s[8:9], 0
	s_cselect_b64 s[10:11], -1, 0
	s_and_b64 vcc, exec, s[10:11]
	s_cbranch_vccz .LBB218_7
; %bb.1:
	s_add_i32 s12, s2, 1
	s_mov_b32 s13, 0
	s_lshl_b64 s[14:15], s[12:13], 2
	s_add_u32 s14, s8, s14
	s_mov_b32 s3, s13
	s_addc_u32 s15, s9, s15
	s_lshl_b64 s[12:13], s[2:3], 2
	s_add_u32 s12, s8, s12
	s_addc_u32 s13, s9, s13
	s_load_dword s5, s[14:15], 0x0
	s_load_dword s16, s[12:13], 0x0
	s_waitcnt lgkmcnt(0)
	s_sub_i32 s5, s5, s16
	s_cmp_eq_u32 s5, 1
	s_cselect_b64 s[12:13], -1, 0
	s_andn2_b64 vcc, exec, s[6:7]
	s_cbranch_vccnz .LBB218_3
.LBB218_2:
	s_mov_b32 s3, 0
	s_mov_b64 s[12:13], -1
.LBB218_3:
	s_andn2_b64 vcc, exec, s[12:13]
	s_cbranch_vccnz .LBB218_19
; %bb.4:
	s_load_dwordx2 s[6:7], s[0:1], 0x28
	s_lshl_b64 s[12:13], s[2:3], 2
	s_waitcnt lgkmcnt(0)
	s_add_u32 s6, s6, s12
	s_addc_u32 s7, s7, s13
	s_load_dword s27, s[6:7], 0x0
	s_lshl_b32 s18, s26, 8
	s_waitcnt lgkmcnt(0)
	s_cmp_ge_i32 s18, s27
	s_cbranch_scc1 .LBB218_19
; %bb.5:
	s_load_dwordx2 s[6:7], s[0:1], 0x20
	s_load_dword s5, s[0:1], 0x38
	s_add_i32 s14, s27, 15
	s_ashr_i32 s15, s14, 31
	v_and_b32_e32 v1, 0xcf, v0
	s_lshr_b32 s15, s15, 28
	v_add_u32_e32 v1, s18, v1
	s_add_i32 s14, s14, s15
	v_ashrrev_i32_e32 v2, 31, v1
	s_ashr_i32 s19, s14, 4
	v_lshrrev_b32_e32 v4, 28, v2
	s_add_i32 s19, s19, -1
	s_waitcnt lgkmcnt(0)
	s_mul_i32 s14, s2, s5
	s_mov_b32 s15, 0
	v_add_u32_e32 v2, v1, v4
	s_lshl_b64 s[14:15], s[14:15], 2
	v_ashrrev_i32_e32 v2, 4, v2
	v_mov_b32_e32 v5, s19
	v_cmp_gt_i32_e32 vcc, s27, v1
	s_add_u32 s6, s6, s14
	s_addc_u32 s7, s7, s15
	v_cndmask_b32_e32 v2, v5, v2, vcc
	v_ashrrev_i32_e32 v3, 31, v2
	v_lshl_add_u64 v[6:7], v[2:3], 2, s[6:7]
	v_or_b32_e32 v2, 16, v1
	v_add_u32_e32 v3, v2, v4
	v_ashrrev_i32_e32 v3, 4, v3
	v_cmp_gt_i32_e32 vcc, s27, v2
	s_load_dwordx2 s[14:15], s[0:1], 0x8
	s_nop 0
	v_cndmask_b32_e32 v2, v5, v3, vcc
	v_ashrrev_i32_e32 v3, 31, v2
	v_lshl_add_u64 v[8:9], v[2:3], 2, s[6:7]
	v_or_b32_e32 v2, 32, v1
	v_add_u32_e32 v3, v2, v4
	v_ashrrev_i32_e32 v3, 4, v3
	v_cmp_gt_i32_e32 vcc, s27, v2
	v_or_b32_e32 v1, 48, v1
	s_nop 0
	v_cndmask_b32_e32 v2, v5, v3, vcc
	v_ashrrev_i32_e32 v3, 31, v2
	v_lshl_add_u64 v[10:11], v[2:3], 2, s[6:7]
	v_add_u32_e32 v2, v1, v4
	v_ashrrev_i32_e32 v2, 4, v2
	v_cmp_gt_i32_e32 vcc, s27, v1
	s_nop 1
	v_cndmask_b32_e32 v2, v5, v2, vcc
	v_ashrrev_i32_e32 v3, 31, v2
	v_lshl_add_u64 v[12:13], v[2:3], 2, s[6:7]
	global_load_dword v5, v[6:7], off
	global_load_dword v4, v[8:9], off
	;; [unrolled: 1-line block ×4, first 2 shown]
	s_andn2_b64 vcc, exec, s[10:11]
	s_cbranch_vccnz .LBB218_8
; %bb.6:
	s_add_u32 s8, s8, s12
	s_addc_u32 s9, s9, s13
	s_load_dword s5, s[8:9], 0x0
	s_branch .LBB218_9
.LBB218_7:
	s_mov_b64 s[12:13], 0
	s_branch .LBB218_2
.LBB218_8:
	s_mov_b32 s5, s2
.LBB218_9:
	v_bfe_u32 v88, v0, 4, 2
	s_mul_i32 s40, s4, 3
	v_add_u32_e32 v1, s40, v88
	scratch_store_dword off, v1, off offset:8 ; 4-byte Folded Spill
	s_load_dwordx2 s[12:13], s[0:1], 0x10
	s_load_dwordx4 s[8:11], s[0:1], 0x48
	v_lshrrev_b32_e32 v85, 6, v0
	v_and_b32_e32 v84, 15, v0
	v_lshl_or_b32 v6, v85, 2, v88
	v_lshlrev_b32_e32 v7, 3, v84
	v_cmp_gt_u32_e32 vcc, 3, v6
	v_lshlrev_b32_e32 v8, 1, v7
	scratch_store_dwordx2 off, v[8:9], off  ; 8-byte Folded Spill
	s_and_saveexec_b64 s[16:17], vcc
	s_cbranch_execz .LBB218_11
; %bb.10:
	scratch_load_dword v1, off, off offset:8 ; 4-byte Folded Reload
	scratch_load_dwordx2 v[10:11], off, off ; 8-byte Folded Reload
	s_load_dwordx2 s[20:21], s[0:1], 0x0
	s_waitcnt lgkmcnt(0)
	s_ashr_i32 s11, s8, 31
	s_mul_hi_u32 s22, s5, s8
	s_mul_i32 s11, s5, s11
	s_add_i32 s23, s22, s11
	s_mul_i32 s22, s5, s8
	s_lshl_b64 s[22:23], s[22:23], 1
	s_add_u32 s20, s20, s22
	s_addc_u32 s21, s21, s23
	v_mov_b32_e32 v13, 0
	v_and_b32_e32 v7, 3, v0
	v_lshlrev_b32_e32 v6, 5, v6
	v_lshlrev_b32_e32 v7, 9, v7
	s_waitcnt vmcnt(1)
	v_lshlrev_b32_e32 v8, 7, v1
	v_ashrrev_i32_e32 v9, 31, v8
	v_lshl_add_u64 v[8:9], v[8:9], 1, s[20:21]
	s_waitcnt vmcnt(0)
	v_mov_b32_e32 v12, v10
	v_lshl_add_u64 v[8:9], v[8:9], 0, v[12:13]
	scratch_store_dwordx2 off, v[10:11], off ; 8-byte Folded Spill
	global_load_dwordx4 v[8:11], v[8:9], off
	v_lshlrev_b32_e32 v12, 9, v84
	v_and_b32_e32 v12, 0x1800, v12
	v_or3_b32 v6, v12, v7, v6
	s_waitcnt vmcnt(0)
	ds_write_b128 v6, v[8:11]
.LBB218_11:
	s_or_b64 exec, exec, s[16:17]
	s_waitcnt lgkmcnt(0)
	s_mul_i32 s4, s4, s10
	s_mov_b32 s5, 0
	s_lshl_b64 s[4:5], s[4:5], 1
	s_add_u32 s10, s14, s4
	v_lshlrev_b32_e32 v1, 4, v0
	s_addc_u32 s11, s15, s5
	v_and_b32_e32 v86, 0xf0, v1
	v_mov_b32_e32 v87, 0
	v_lshl_add_u64 v[6:7], s[10:11], 0, v[86:87]
	s_waitcnt vmcnt(5)
	v_mad_i64_i32 v[8:9], s[10:11], v5, s9, 0
	s_waitcnt vmcnt(4)
	v_mad_i64_i32 v[4:5], s[10:11], v4, s9, 0
	v_lshl_add_u64 v[8:9], v[8:9], 1, v[6:7]
	v_and_b32_e32 v86, 0x300, v1
	v_lshl_add_u64 v[4:5], v[4:5], 1, v[6:7]
	v_lshl_add_u64 v[8:9], v[8:9], 0, v[86:87]
	;; [unrolled: 1-line block ×3, first 2 shown]
	s_barrier
	global_load_dwordx4 v[78:81], v[8:9], off
	global_load_dwordx4 v[74:77], v[8:9], off offset:1024
	global_load_dwordx4 v[70:73], v[8:9], off offset:2048
	;; [unrolled: 1-line block ×3, first 2 shown]
	global_load_dwordx4 v[66:69], v[4:5], off
	global_load_dwordx4 v[62:65], v[4:5], off offset:1024
	global_load_dwordx4 v[58:61], v[4:5], off offset:2048
	;; [unrolled: 1-line block ×3, first 2 shown]
	s_waitcnt vmcnt(11)
	v_mad_i64_i32 v[4:5], s[10:11], v3, s9, 0
	s_waitcnt vmcnt(10)
	v_mad_i64_i32 v[2:3], s[10:11], v2, s9, 0
	v_lshl_add_u64 v[4:5], v[4:5], 1, v[6:7]
	v_lshl_add_u64 v[2:3], v[2:3], 1, v[6:7]
	;; [unrolled: 1-line block ×4, first 2 shown]
	global_load_dwordx4 v[30:33], v[4:5], off
	global_load_dwordx4 v[26:29], v[4:5], off offset:1024
	global_load_dwordx4 v[22:25], v[4:5], off offset:2048
	;; [unrolled: 1-line block ×3, first 2 shown]
	global_load_dwordx4 v[6:9], v[34:35], off
	s_nop 0
	global_load_dwordx4 v[2:5], v[34:35], off offset:1024
	global_load_dwordx4 v[38:41], v[34:35], off offset:2048
	s_nop 0
	global_load_dwordx4 v[34:37], v[34:35], off offset:3072
	v_mul_lo_u16_e32 v42, 0x56, v84
	v_mov_b32_e32 v43, 3
	v_mul_lo_u16_sdwa v42, v42, v43 dst_sel:DWORD dst_unused:UNUSED_PAD src0_sel:BYTE_1 src1_sel:DWORD
	v_sub_u16_e32 v42, v84, v42
	v_mov_b32_e32 v43, 5
	v_lshlrev_b32_sdwa v42, v43, v42 dst_sel:DWORD dst_unused:UNUSED_PAD src0_sel:DWORD src1_sel:BYTE_0
	v_lshl_add_u32 v42, v88, 9, v42
	ds_read_b128 v[54:57], v42
	ds_read_b128 v[50:53], v42 offset:2048
	ds_read_b128 v[46:49], v42 offset:4096
	;; [unrolled: 1-line block ×3, first 2 shown]
	v_and_b32_e32 v89, 63, v0
	v_cmp_gt_u32_e32 vcc, 3, v84
	v_mov_b32_e32 v90, 0
	s_and_saveexec_b64 s[10:11], vcc
	s_cbranch_execz .LBB218_13
; %bb.12:
	s_load_dwordx2 s[14:15], s[0:1], 0x40
	v_add_u32_e32 v90, s40, v84
	v_ashrrev_i32_e32 v91, 31, v90
	s_waitcnt lgkmcnt(0)
	v_lshl_add_u64 v[90:91], v[90:91], 2, s[14:15]
	global_load_dword v90, v[90:91], off
.LBB218_13:
	s_or_b64 exec, exec, s[10:11]
	s_waitcnt vmcnt(15) lgkmcnt(3)
	v_mfma_f32_16x16x16_f16 v[92:95], v[78:79], v[54:55], 0
	s_add_u32 s4, s12, s4
	v_lshl_or_b32 v91, v85, 4, v84
	s_addc_u32 s5, s13, s5
	v_mfma_f32_16x16x16_f16 v[78:81], v[80:81], v[56:57], v[92:95]
	v_lshlrev_b32_e32 v86, 5, v91
	s_mov_b32 s33, 0xff7fffff
	s_waitcnt vmcnt(14) lgkmcnt(2)
	v_mfma_f32_16x16x16_f16 v[78:81], v[74:75], v[50:51], v[78:81]
	v_mfma_f32_16x16x16_f16 v[74:77], v[76:77], v[52:53], v[78:81]
	s_waitcnt vmcnt(13) lgkmcnt(1)
	v_mfma_f32_16x16x16_f16 v[74:77], v[70:71], v[46:47], v[74:77]
	v_mfma_f32_16x16x16_f16 v[70:73], v[72:73], v[48:49], v[74:77]
	s_waitcnt vmcnt(11)
	v_mfma_f32_16x16x16_f16 v[74:77], v[66:67], v[54:55], 0
	v_mfma_f32_16x16x16_f16 v[66:69], v[68:69], v[56:57], v[74:77]
	s_nop 5
	v_and_or_b32 v74, v0, 48, s18
	s_waitcnt lgkmcnt(0)
	v_mfma_f32_16x16x16_f16 v[70:73], v[10:11], v[42:43], v[70:73]
	v_ashrrev_i32_e32 v10, 4, v74
	v_mov_b32_e32 v75, s19
	v_cmp_gt_i32_e32 vcc, s27, v74
	s_waitcnt vmcnt(10)
	v_mfma_f32_16x16x16_f16 v[66:69], v[62:63], v[50:51], v[66:69]
	v_cndmask_b32_e32 v10, v75, v10, vcc
	v_ashrrev_i32_e32 v11, 31, v10
	v_lshl_add_u64 v[10:11], v[10:11], 2, s[6:7]
	global_load_dword v76, v[10:11], off
	v_mfma_f32_16x16x16_f16 v[62:65], v[64:65], v[52:53], v[66:69]
	v_or_b32_e32 v10, 64, v74
	v_ashrrev_i32_e32 v11, 4, v10
	v_cmp_gt_i32_e32 vcc, s27, v10
	s_waitcnt vmcnt(10)
	v_mfma_f32_16x16x16_f16 v[62:65], v[58:59], v[46:47], v[62:65]
	v_cndmask_b32_e32 v10, v75, v11, vcc
	v_ashrrev_i32_e32 v11, 31, v10
	v_lshl_add_u64 v[10:11], v[10:11], 2, s[6:7]
	global_load_dword v77, v[10:11], off
	v_or_b32_e32 v10, 0x80, v74
	v_mfma_f32_16x16x16_f16 v[58:61], v[60:61], v[48:49], v[62:65]
	v_ashrrev_i32_e32 v11, 4, v10
	v_cmp_gt_i32_e32 vcc, s27, v10
	s_waitcnt vmcnt(9)
	v_mfma_f32_16x16x16_f16 v[62:65], v[30:31], v[54:55], 0
	v_cndmask_b32_e32 v10, v75, v11, vcc
	v_ashrrev_i32_e32 v11, 31, v10
	v_lshl_add_u64 v[10:11], v[10:11], 2, s[6:7]
	v_mfma_f32_16x16x16_f16 v[30:33], v[32:33], v[56:57], v[62:65]
	s_nop 2
	global_load_dword v64, v[10:11], off
	v_or_b32_e32 v10, 0xc0, v74
	v_ashrrev_i32_e32 v11, 4, v10
	v_cmp_gt_i32_e32 vcc, s27, v10
	s_waitcnt vmcnt(9)
	v_mfma_f32_16x16x16_f16 v[30:33], v[26:27], v[50:51], v[30:33]
	v_lshl_add_u64 v[62:63], s[4:5], 0, v[86:87]
	v_cndmask_b32_e32 v10, v75, v11, vcc
	v_ashrrev_i32_e32 v11, 31, v10
	v_lshl_add_u64 v[10:11], v[10:11], 2, s[6:7]
	global_load_dword v65, v[10:11], off
	v_mfma_f32_16x16x16_f16 v[26:29], v[28:29], v[52:53], v[30:33]
	s_load_dword s6, s[0:1], 0x1c
	v_or_b32_e32 v86, 0x800, v86
	s_waitcnt vmcnt(3)
	v_mad_i64_i32 v[10:11], s[10:11], v76, s9, 0
	v_mfma_f32_16x16x16_f16 v[26:29], v[22:23], v[46:47], v[26:29]
	v_lshlrev_b64 v[74:75], 1, v[10:11]
	v_mfma_f32_16x16x16_f16 v[66:69], v[12:13], v[44:45], v[70:73]
	v_mfma_f32_16x16x16_f16 v[10:13], v[24:25], v[48:49], v[26:29]
	v_mfma_f32_16x16x16_f16 v[30:33], v[14:15], v[42:43], v[58:61]
	v_lshl_add_u64 v[14:15], v[62:63], 0, v[74:75]
	s_waitcnt lgkmcnt(0)
	s_nop 2
	v_pk_mul_f32 v[78:79], s[6:7], v[68:69] op_sel_hi:[0,1]
	v_mfma_f32_16x16x16_f16 v[10:13], v[18:19], v[42:43], v[10:13]
	v_mfma_f32_16x16x16_f16 v[70:73], v[16:17], v[44:45], v[30:33]
	s_nop 2
	global_load_dwordx4 v[30:33], v[14:15], off
	global_load_dwordx4 v[26:29], v[14:15], off offset:16
	s_waitcnt vmcnt(4)
	v_mad_i64_i32 v[14:15], s[10:11], v77, s9, 0
	v_lshlrev_b64 v[58:59], 1, v[14:15]
	v_mfma_f32_16x16x16_f16 v[92:95], v[20:21], v[44:45], v[10:13]
	v_pk_mul_f32 v[76:77], s[6:7], v[70:71] op_sel_hi:[0,1]
	s_nop 1
	v_lshl_add_u64 v[10:11], v[62:63], 0, v[58:59]
	global_load_dwordx4 v[22:25], v[10:11], off
	global_load_dwordx4 v[18:21], v[10:11], off offset:16
	v_mfma_f32_16x16x16_f16 v[10:13], v[6:7], v[54:55], 0
	s_waitcnt vmcnt(5)
	v_mad_i64_i32 v[6:7], s[10:11], v64, s9, 0
	v_lshlrev_b64 v[54:55], 1, v[6:7]
	v_mfma_f32_16x16x16_f16 v[6:9], v[8:9], v[56:57], v[10:13]
	v_pk_mul_f32 v[70:71], s[6:7], v[94:95] op_sel_hi:[0,1]
	v_mfma_f32_16x16x16_f16 v[6:9], v[2:3], v[50:51], v[6:9]
	s_waitcnt vmcnt(4)
	v_mad_i64_i32 v[2:3], s[8:9], v65, s9, 0
	v_lshlrev_b64 v[60:61], 1, v[2:3]
	v_mfma_f32_16x16x16_f16 v[50:53], v[4:5], v[52:53], v[6:9]
	v_lshl_add_u64 v[10:11], v[62:63], 0, v[54:55]
	v_lshl_add_u64 v[2:3], v[62:63], 0, v[60:61]
	v_pk_mul_f32 v[62:63], s[6:7], v[66:67] op_sel_hi:[0,1]
	v_mfma_f32_16x16x16_f16 v[50:53], v[38:39], v[46:47], v[50:53]
	v_lshl_add_u64 v[64:65], s[4:5], 0, v[86:87]
	v_lshl_add_u64 v[38:39], v[64:65], 0, v[74:75]
	v_pk_mul_f32 v[74:75], s[6:7], v[72:73] op_sel_hi:[0,1]
	v_mfma_f32_16x16x16_f16 v[46:49], v[40:41], v[48:49], v[50:53]
	v_pk_mul_f32 v[72:73], s[6:7], v[92:93] op_sel_hi:[0,1]
	global_load_dwordx4 v[14:17], v[10:11], off
	s_nop 0
	global_load_dwordx4 v[10:13], v[10:11], off offset:16
	s_nop 0
	global_load_dwordx4 v[6:9], v[2:3], off
	s_nop 0
	global_load_dwordx4 v[2:5], v[2:3], off offset:16
	v_mfma_f32_16x16x16_f16 v[40:43], v[34:35], v[42:43], v[46:49]
	v_mfma_f32_16x16x16_f16 v[34:37], v[36:37], v[44:45], v[40:43]
	s_nop 6
	v_pk_mul_f32 v[68:69], s[6:7], v[34:35] op_sel_hi:[0,1]
	v_and_b32_e32 v34, 0xc0, v0
	v_add_u32_e32 v34, s18, v34
	v_lshl_or_b32 v34, v88, 2, v34
	v_or_b32_e32 v35, 1, v34
	v_pk_mul_f32 v[66:67], s[6:7], v[36:37] op_sel_hi:[0,1]
	v_subrev_u32_e32 v36, s27, v35
	v_add_u32_e32 v40, 1, v36
	v_add_u32_e32 v41, 2, v36
	v_cvt_f32_i32_e32 v37, v36
	v_cvt_f32_i32_e32 v40, v40
	;; [unrolled: 1-line block ×3, first 2 shown]
	v_add_u32_e32 v42, 3, v36
	v_fma_f32 v62, v90, v37, v62
	v_fmac_f32_e32 v63, v90, v40
	v_fma_f32 v78, v90, v41, v78
	v_add_u32_e32 v37, 16, v36
	v_add_u32_e32 v40, 17, v36
	;; [unrolled: 1-line block ×3, first 2 shown]
	v_cvt_f32_i32_e32 v42, v42
	v_cvt_f32_i32_e32 v37, v37
	;; [unrolled: 1-line block ×4, first 2 shown]
	v_fmac_f32_e32 v79, v90, v42
	v_add_u32_e32 v42, 19, v36
	v_fma_f32 v76, v90, v37, v76
	v_fmac_f32_e32 v77, v90, v40
	v_fma_f32 v74, v90, v41, v74
	v_add_u32_e32 v37, 32, v36
	v_add_u32_e32 v40, 33, v36
	;; [unrolled: 1-line block ×3, first 2 shown]
	v_cvt_f32_i32_e32 v42, v42
	v_cvt_f32_i32_e32 v37, v37
	v_cvt_f32_i32_e32 v40, v40
	v_cvt_f32_i32_e32 v41, v41
	v_fmac_f32_e32 v75, v90, v42
	v_add_u32_e32 v42, 35, v36
	v_fma_f32 v72, v90, v37, v72
	v_fmac_f32_e32 v73, v90, v40
	v_fma_f32 v70, v90, v41, v70
	v_add_u32_e32 v37, 48, v36
	v_add_u32_e32 v40, 49, v36
	;; [unrolled: 1-line block ×4, first 2 shown]
	v_cvt_f32_i32_e32 v36, v36
	v_cvt_f32_i32_e32 v37, v37
	;; [unrolled: 1-line block ×3, first 2 shown]
	v_cmp_gt_i32_e64 s[28:29], s27, v34
	v_fmac_f32_e32 v67, v90, v36
	v_mov_b32_e32 v36, 0xff7fffff
	v_cmp_gt_i32_e64 s[30:31], s27, v35
	v_fma_f32 v68, v90, v37, v68
	v_cndmask_b32_e64 v37, v36, v62, s[28:29]
	v_cndmask_b32_e64 v35, v36, v63, s[30:31]
	v_fmac_f32_e32 v69, v90, v40
	v_max3_f32 v35, v37, s33, v35
	v_or_b32_e32 v37, 2, v34
	v_or_b32_e32 v40, 3, v34
	v_cmp_gt_i32_e64 s[34:35], s27, v37
	v_cmp_gt_i32_e64 s[36:37], s27, v40
	v_cvt_f32_i32_e32 v42, v42
	v_cndmask_b32_e64 v37, v36, v78, s[34:35]
	v_cndmask_b32_e64 v40, v36, v79, s[36:37]
	v_max3_f32 v35, v35, v37, v40
	v_or_b32_e32 v37, 16, v34
	v_or_b32_e32 v40, 17, v34
	v_cmp_gt_i32_e64 s[22:23], s27, v37
	v_cmp_gt_i32_e64 s[24:25], s27, v40
	v_fmac_f32_e32 v71, v90, v42
	v_cndmask_b32_e64 v37, v36, v76, s[22:23]
	v_cndmask_b32_e64 v40, v36, v77, s[24:25]
	v_max3_f32 v35, v35, v37, v40
	v_or_b32_e32 v37, 18, v34
	v_or_b32_e32 v40, 19, v34
	v_cmp_gt_i32_e64 s[18:19], s27, v37
	v_cmp_gt_i32_e64 s[20:21], s27, v40
	v_cvt_f32_i32_e32 v41, v41
	v_cndmask_b32_e64 v37, v36, v74, s[18:19]
	v_cndmask_b32_e64 v40, v36, v75, s[20:21]
	v_max3_f32 v35, v35, v37, v40
	v_or_b32_e32 v37, 32, v34
	v_or_b32_e32 v40, 33, v34
	v_cmp_gt_i32_e64 s[14:15], s27, v37
	v_cmp_gt_i32_e64 s[16:17], s27, v40
	v_fma_f32 v66, v90, v41, v66
	v_cndmask_b32_e64 v37, v36, v72, s[14:15]
	v_cndmask_b32_e64 v40, v36, v73, s[16:17]
	v_max3_f32 v35, v35, v37, v40
	v_or_b32_e32 v37, 34, v34
	v_or_b32_e32 v40, 35, v34
	v_cmp_gt_i32_e64 s[10:11], s27, v37
	v_cmp_gt_i32_e64 s[12:13], s27, v40
	s_nop 0
	v_cndmask_b32_e64 v37, v36, v70, s[10:11]
	v_cndmask_b32_e64 v40, v36, v71, s[12:13]
	v_max3_f32 v35, v35, v37, v40
	v_or_b32_e32 v37, 48, v34
	v_or_b32_e32 v40, 49, v34
	v_cmp_gt_i32_e64 s[6:7], s27, v37
	v_cmp_gt_i32_e64 s[8:9], s27, v40
	s_nop 0
	v_cndmask_b32_e64 v37, v36, v68, s[6:7]
	v_cndmask_b32_e64 v40, v36, v69, s[8:9]
	v_max3_f32 v35, v35, v37, v40
	v_or_b32_e32 v37, 50, v34
	v_or_b32_e32 v34, 51, v34
	v_cmp_gt_i32_e32 vcc, s27, v37
	v_cmp_gt_i32_e64 s[4:5], s27, v34
	global_load_dwordx4 v[46:49], v[38:39], off
	s_nop 0
	global_load_dwordx4 v[38:41], v[38:39], off offset:16
	v_cndmask_b32_e32 v37, v36, v66, vcc
	v_cndmask_b32_e64 v34, v36, v67, s[4:5]
	v_max3_f32 v50, v35, v37, v34
	v_mbcnt_lo_u32_b32 v34, -1, 0
	v_mbcnt_hi_u32_b32 v51, -1, v34
	v_and_b32_e32 v34, 64, v51
	v_add_u32_e32 v52, 64, v34
	v_xor_b32_e32 v34, 32, v51
	v_cmp_lt_i32_e64 s[38:39], v34, v52
	s_nop 1
	v_cndmask_b32_e64 v34, v51, v34, s[38:39]
	v_lshlrev_b32_e32 v87, 2, v34
	ds_bpermute_b32 v53, v87, v50
	v_lshl_add_u64 v[34:35], v[64:65], 0, v[58:59]
	v_lshl_add_u64 v[58:59], v[64:65], 0, v[60:61]
	global_load_dwordx4 v[42:45], v[34:35], off
	s_nop 0
	global_load_dwordx4 v[34:37], v[34:35], off offset:16
	s_waitcnt lgkmcnt(0)
	v_max_f32_e32 v53, v53, v53
	v_max_f32_e32 v80, v50, v53
	v_xor_b32_e32 v50, 16, v51
	v_cmp_lt_i32_e64 s[38:39], v50, v52
	s_nop 1
	v_cndmask_b32_e64 v50, v51, v50, s[38:39]
	v_lshlrev_b32_e32 v90, 2, v50
	ds_bpermute_b32 v81, v90, v80
	v_lshl_add_u64 v[50:51], v[64:65], 0, v[54:55]
	global_load_dwordx4 v[54:57], v[50:51], off
	s_nop 0
	global_load_dwordx4 v[50:53], v[50:51], off offset:16
	s_waitcnt lgkmcnt(0)
	v_max_f32_e32 v60, v81, v81
	v_max_f32_e32 v86, v80, v60
	v_sub_f32_e32 v60, v62, v86
	v_mul_f32_e32 v60, 0x3fb8aa3b, v60
	v_exp_f32_e32 v80, v60
	v_sub_f32_e32 v60, v63, v86
	v_mul_f32_e32 v60, 0x3fb8aa3b, v60
	v_exp_f32_e32 v81, v60
	global_load_dwordx4 v[62:65], v[58:59], off
	s_nop 0
	global_load_dwordx4 v[58:61], v[58:59], off offset:16
	v_sub_f32_e32 v78, v78, v86
	v_mul_f32_e32 v78, 0x3fb8aa3b, v78
	v_sub_f32_e32 v79, v79, v86
	v_exp_f32_e32 v78, v78
	v_mul_f32_e32 v79, 0x3fb8aa3b, v79
	v_sub_f32_e32 v76, v76, v86
	v_exp_f32_e32 v79, v79
	v_mul_f32_e32 v76, 0x3fb8aa3b, v76
	v_sub_f32_e32 v77, v77, v86
	v_cndmask_b32_e64 v80, 0, v80, s[28:29]
	v_exp_f32_e32 v76, v76
	v_mul_f32_e32 v77, 0x3fb8aa3b, v77
	v_sub_f32_e32 v74, v74, v86
	v_add_f32_e32 v92, 0, v80
	v_cndmask_b32_e64 v81, 0, v81, s[30:31]
	v_exp_f32_e32 v77, v77
	v_mul_f32_e32 v74, 0x3fb8aa3b, v74
	v_sub_f32_e32 v75, v75, v86
	v_add_f32_e32 v92, v92, v81
	;; [unrolled: 5-line block ×10, first 2 shown]
	v_cndmask_b32_e64 v70, 0, v70, s[10:11]
	v_exp_f32_e32 v66, v66
	v_mul_f32_e32 v67, 0x3fb8aa3b, v67
	v_add_f32_e32 v92, v92, v70
	v_cndmask_b32_e64 v71, 0, v71, s[12:13]
	v_exp_f32_e32 v67, v67
	v_add_f32_e32 v92, v92, v71
	v_cndmask_b32_e64 v68, 0, v68, s[6:7]
	v_add_f32_e32 v92, v92, v68
	v_cndmask_b32_e64 v69, 0, v69, s[8:9]
	v_add_f32_e32 v92, v92, v69
	v_cndmask_b32_e32 v66, 0, v66, vcc
	v_add_f32_e32 v92, v92, v66
	v_cndmask_b32_e64 v67, 0, v67, s[4:5]
	v_add_f32_e32 v92, v92, v67
	ds_bpermute_b32 v87, v87, v92
	s_load_dword s7, s[0:1], 0x98
	v_cmp_gt_u32_e32 vcc, 16, v89
	s_waitcnt lgkmcnt(0)
	s_barrier
	v_add_f32_e32 v87, v92, v87
	ds_bpermute_b32 v90, v90, v87
	s_waitcnt lgkmcnt(0)
	s_and_saveexec_b64 s[4:5], vcc
	s_cbranch_execz .LBB218_15
; %bb.14:
	v_add_f32_e32 v87, v87, v90
	v_lshlrev_b32_e32 v89, 2, v91
	ds_write2st64_b32 v89, v86, v87 offset1:1
.LBB218_15:
	s_or_b64 exec, exec, s[4:5]
	v_lshlrev_b32_e32 v87, 2, v84
	s_load_dword s6, s[0:1], 0x94
	s_waitcnt lgkmcnt(0)
	s_barrier
	ds_read2_b32 v[90:91], v87 offset1:16
	ds_read2_b32 v[92:93], v87 offset0:32 offset1:48
	ds_read2_b32 v[94:95], v87 offset0:64 offset1:80
	s_mul_i32 s7, s7, 3
	s_waitcnt lgkmcnt(2)
	v_max3_f32 v86, v90, s33, v91
	s_waitcnt lgkmcnt(1)
	v_max3_f32 v86, v86, v92, v93
	v_sub_f32_e32 v89, v90, v86
	v_sub_f32_e32 v90, v91, v86
	v_mul_f32_e32 v90, 0x3fb8aa3b, v90
	v_mul_f32_e32 v89, 0x3fb8aa3b, v89
	v_exp_f32_e32 v1, v90
	v_sub_f32_e32 v90, v92, v86
	v_exp_f32_e32 v89, v89
	v_mul_f32_e32 v90, 0x3fb8aa3b, v90
	v_exp_f32_e32 v92, v90
	ds_read2_b32 v[90:91], v87 offset0:96 offset1:112
	v_sub_f32_e32 v87, v93, v86
	v_mul_f32_e32 v87, 0x3fb8aa3b, v87
	v_exp_f32_e32 v93, v87
	s_waitcnt lgkmcnt(1)
	v_fma_f32 v87, v89, v94, 0
	v_fmac_f32_e32 v87, v1, v95
	s_waitcnt lgkmcnt(0)
	v_fmac_f32_e32 v87, v92, v90
	v_fmac_f32_e32 v87, v93, v91
	v_add_f32_e32 v90, 0x358637bd, v87
	v_div_scale_f32 v91, s[4:5], v90, v90, 1.0
	v_rcp_f32_e32 v94, v91
	s_barrier
	v_fma_f32 v95, -v91, v94, 1.0
	v_fmac_f32_e32 v94, v95, v94
	v_div_scale_f32 v95, vcc, 1.0, v90, 1.0
	v_mul_f32_e32 v83, v95, v94
	v_fma_f32 v82, -v91, v83, v95
	v_fmac_f32_e32 v83, v82, v94
	v_fma_f32 v82, -v91, v83, v95
	v_div_fmas_f32 v82, v82, v94, v83
	v_cmp_eq_u32_e32 vcc, 1, v85
	v_div_fixup_f32 v82, v82, v90, 1.0
	s_nop 0
	v_cndmask_b32_e32 v1, v89, v1, vcc
	v_cmp_eq_u32_e32 vcc, 2, v85
	s_nop 1
	v_cndmask_b32_e32 v1, v1, v92, vcc
	v_cmp_eq_u32_e32 vcc, 3, v85
	s_nop 1
	v_cndmask_b32_e32 v1, v1, v93, vcc
	v_mul_f32_e32 v90, v1, v82
	v_pk_mul_f32 v[78:79], v[90:91], v[78:79] op_sel_hi:[0,1]
	v_cvt_f16_f32_e32 v78, v78
	v_cvt_f16_f32_e32 v79, v79
	v_pk_mul_f32 v[80:81], v[90:91], v[80:81] op_sel_hi:[0,1]
	v_cvt_f16_f32_e32 v1, v80
	v_cvt_f16_f32_e32 v80, v81
	v_pk_mul_f32 v[74:75], v[90:91], v[74:75] op_sel_hi:[0,1]
	v_pk_mul_f32 v[76:77], v[90:91], v[76:77] op_sel_hi:[0,1]
	v_pack_b32_f16 v81, v78, v79
	v_cvt_f16_f32_e32 v76, v76
	v_cvt_f16_f32_e32 v77, v77
	;; [unrolled: 1-line block ×4, first 2 shown]
	v_pack_b32_f16 v80, v1, v80
	v_lshlrev_b32_e32 v1, 3, v88
	v_lshlrev_b32_e32 v78, 5, v84
	;; [unrolled: 1-line block ×3, first 2 shown]
	v_pk_mul_f32 v[70:71], v[90:91], v[70:71] op_sel_hi:[0,1]
	v_pk_mul_f32 v[72:73], v[90:91], v[72:73] op_sel_hi:[0,1]
	;; [unrolled: 1-line block ×4, first 2 shown]
	v_or3_b32 v74, v74, v78, v1
	v_pack_b32_f16 v76, v76, v77
	v_pack_b32_f16 v77, v79, v75
	v_cvt_f16_f32_e32 v1, v72
	v_cvt_f16_f32_e32 v72, v73
	;; [unrolled: 1-line block ×8, first 2 shown]
	v_pack_b32_f16 v66, v1, v72
	v_pack_b32_f16 v67, v70, v71
	;; [unrolled: 1-line block ×4, first 2 shown]
	v_cmp_gt_u32_e32 vcc, 3, v0
	ds_write2st64_b64 v74, v[80:81], v[76:77] offset1:1
	ds_write2st64_b64 v74, v[66:67], v[68:69] offset0:2 offset1:3
	s_and_saveexec_b64 s[4:5], vcc
	s_cbranch_execz .LBB218_17
; %bb.16:
	s_mov_b32 s41, 0
	v_mov_b32_e32 v85, 0
	v_lshl_add_u64 v[66:67], s[40:41], 0, v[84:85]
	v_mov_b32_e32 v1, s7
	v_mad_u64_u32 v[66:67], s[12:13], s2, v1, v[66:67]
	s_mul_i32 s3, s3, s7
	v_mov_b32_e32 v68, s26
	v_mov_b32_e32 v69, v85
	s_load_dwordx4 s[8:11], s[0:1], 0x58
	v_add_u32_e32 v1, s3, v67
	v_mad_u64_u32 v[66:67], s[12:13], v66, s6, v[68:69]
	v_mov_b32_e32 v68, v67
	v_mad_u64_u32 v[68:69], s[12:13], v1, s6, v[68:69]
	v_mov_b32_e32 v67, v68
	v_lshlrev_b64 v[66:67], 2, v[66:67]
	s_waitcnt lgkmcnt(0)
	v_lshl_add_u64 v[68:69], s[10:11], 0, v[66:67]
	v_lshl_add_u64 v[66:67], s[8:9], 0, v[66:67]
	global_store_dword v[68:69], v86, off
	global_store_dword v[66:67], v87, off
.LBB218_17:
	s_or_b64 exec, exec, s[4:5]
	v_lshl_or_b32 v1, v88, 9, v78
	s_waitcnt lgkmcnt(0)
	s_barrier
	ds_read_b128 v[70:73], v1
	ds_read_b128 v[66:69], v1 offset:16
	s_waitcnt vmcnt(15) lgkmcnt(1)
	v_mfma_f32_16x16x16_f16 v[76:79], v[30:31], v[70:71], 0
	v_cmp_gt_u32_e32 vcc, 64, v0
	v_cmp_ne_u32_e64 s[4:5], 3, v88
	s_mov_b32 s3, 0
	v_mfma_f32_16x16x16_f16 v[30:33], v[32:33], v[72:73], v[76:79]
	s_and_b64 s[4:5], vcc, s[4:5]
	s_waitcnt vmcnt(14) lgkmcnt(0)
	v_mfma_f32_16x16x16_f16 v[30:33], v[26:27], v[66:67], v[30:33]
	v_mfma_f32_16x16x16_f16 v[26:29], v[28:29], v[68:69], v[30:33]
	s_nop 5
	ds_read_b128 v[30:33], v1 offset:2048
	ds_read_b128 v[76:79], v1 offset:2064
	s_waitcnt vmcnt(13) lgkmcnt(1)
	v_mfma_f32_16x16x16_f16 v[26:29], v[22:23], v[30:31], v[26:29]
	v_mfma_f32_16x16x16_f16 v[22:25], v[24:25], v[32:33], v[26:29]
	s_waitcnt vmcnt(12) lgkmcnt(0)
	v_mfma_f32_16x16x16_f16 v[22:25], v[18:19], v[76:77], v[22:25]
	v_mfma_f32_16x16x16_f16 v[18:21], v[20:21], v[78:79], v[22:25]
	s_nop 5
	ds_read_b128 v[22:25], v1 offset:4096
	ds_read_b128 v[26:29], v1 offset:4112
	s_waitcnt vmcnt(11) lgkmcnt(1)
	v_mfma_f32_16x16x16_f16 v[18:21], v[14:15], v[22:23], v[18:21]
	v_mfma_f32_16x16x16_f16 v[14:17], v[16:17], v[24:25], v[18:21]
	s_waitcnt vmcnt(10) lgkmcnt(0)
	v_mfma_f32_16x16x16_f16 v[14:17], v[10:11], v[26:27], v[14:17]
	v_mfma_f32_16x16x16_f16 v[10:13], v[12:13], v[28:29], v[14:17]
	s_nop 5
	ds_read_b128 v[14:17], v1 offset:6144
	ds_read_b128 v[18:21], v1 offset:6160
	s_waitcnt lgkmcnt(0)
	s_barrier
	s_waitcnt vmcnt(9)
	v_mfma_f32_16x16x16_f16 v[10:13], v[6:7], v[14:15], v[10:13]
	v_mfma_f32_16x16x16_f16 v[6:9], v[8:9], v[16:17], v[10:13]
	s_waitcnt vmcnt(8)
	v_mfma_f32_16x16x16_f16 v[6:9], v[2:3], v[18:19], v[6:9]
	v_mfma_f32_16x16x16_f16 v[2:5], v[4:5], v[20:21], v[6:9]
	;; [unrolled: 3-line block ×3, first 2 shown]
	s_nop 3
	v_cvt_f16_f32_e32 v1, v2
	v_cvt_f16_f32_e32 v10, v3
	v_cvt_f16_f32_e32 v11, v4
	s_waitcnt vmcnt(6)
	v_mfma_f32_16x16x16_f16 v[6:9], v[38:39], v[66:67], v[6:9]
	v_cvt_f16_f32_e32 v12, v5
	v_mfma_f32_16x16x16_f16 v[6:9], v[40:41], v[68:69], v[6:9]
	s_waitcnt vmcnt(5)
	v_mfma_f32_16x16x16_f16 v[6:9], v[42:43], v[30:31], v[6:9]
	v_mfma_f32_16x16x16_f16 v[6:9], v[44:45], v[32:33], v[6:9]
	s_waitcnt vmcnt(4)
	v_mfma_f32_16x16x16_f16 v[6:9], v[34:35], v[76:77], v[6:9]
	;; [unrolled: 3-line block ×6, first 2 shown]
	v_mfma_f32_16x16x16_f16 v[2:5], v[60:61], v[20:21], v[6:9]
	s_nop 6
	v_cvt_f16_f32_e32 v6, v2
	v_cvt_f16_f32_e32 v7, v3
	;; [unrolled: 1-line block ×4, first 2 shown]
	v_pack_b32_f16 v2, v1, v10
	v_pack_b32_f16 v3, v11, v12
	;; [unrolled: 1-line block ×4, first 2 shown]
	ds_write2st64_b64 v74, v[2:3], v[4:5] offset1:1
	s_waitcnt lgkmcnt(0)
	s_barrier
	s_and_saveexec_b64 s[8:9], s[4:5]
	s_cbranch_execz .LBB218_19
; %bb.18:
	v_lshlrev_b32_e32 v3, 6, v84
	v_lshlrev_b32_e32 v2, 4, v0
	v_lshl_or_b32 v0, v0, 10, v3
	v_lshlrev_b32_e32 v1, 5, v88
	v_and_b32_e32 v2, 16, v2
	v_and_b32_e32 v0, 0x1a00, v0
	v_or3_b32 v0, v0, v1, v2
	ds_read_b128 v[2:5], v0
	scratch_load_dword v0, off, off offset:8 ; 4-byte Folded Reload
	scratch_load_dwordx2 v[6:7], off, off   ; 8-byte Folded Reload
	s_load_dwordx2 s[0:1], s[0:1], 0x68
	s_mul_i32 s2, s7, s2
	s_lshl_b32 s6, s6, 7
	s_mul_hi_u32 s5, s2, s6
	s_mul_i32 s4, s2, s6
	s_lshl_b64 s[4:5], s[4:5], 1
	s_waitcnt lgkmcnt(0)
	s_add_u32 s4, s0, s4
	s_addc_u32 s5, s1, s5
	s_lshl_b32 s2, s26, 7
	s_lshl_b64 s[0:1], s[2:3], 1
	s_add_u32 s0, s4, s0
	s_addc_u32 s1, s5, s1
	s_waitcnt vmcnt(0)
	v_mov_b32_e32 v7, 0
	v_mad_u64_u32 v[0:1], s[2:3], s6, v0, 0
	v_lshl_add_u64 v[0:1], v[0:1], 1, s[0:1]
	v_lshl_add_u64 v[0:1], v[0:1], 0, v[6:7]
	global_store_dwordx4 v[0:1], v[2:5], off
.LBB218_19:
	s_endpgm
	.section	.rodata,"a",@progbits
	.p2align	6, 0x0
	.amdhsa_kernel _Z39paged_attention_ll4mi_QKV_mfma16_kernelIDF16_DF16_LN4vllm18Fp8KVCacheDataTypeE0EhLi16ELi128ELi256ELb1ELi3EEvPKT_PKT0_S7_ifPKiS9_S9_iPKfiiiPfSC_PS2_PT2_iSB_SB_
		.amdhsa_group_segment_fixed_size 8192
		.amdhsa_private_segment_fixed_size 16
		.amdhsa_kernarg_size 400
		.amdhsa_user_sgpr_count 2
		.amdhsa_user_sgpr_dispatch_ptr 0
		.amdhsa_user_sgpr_queue_ptr 0
		.amdhsa_user_sgpr_kernarg_segment_ptr 1
		.amdhsa_user_sgpr_dispatch_id 0
		.amdhsa_user_sgpr_kernarg_preload_length 0
		.amdhsa_user_sgpr_kernarg_preload_offset 0
		.amdhsa_user_sgpr_private_segment_size 0
		.amdhsa_uses_dynamic_stack 0
		.amdhsa_enable_private_segment 1
		.amdhsa_system_sgpr_workgroup_id_x 1
		.amdhsa_system_sgpr_workgroup_id_y 1
		.amdhsa_system_sgpr_workgroup_id_z 1
		.amdhsa_system_sgpr_workgroup_info 0
		.amdhsa_system_vgpr_workitem_id 0
		.amdhsa_next_free_vgpr 96
		.amdhsa_next_free_sgpr 42
		.amdhsa_accum_offset 96
		.amdhsa_reserve_vcc 1
		.amdhsa_float_round_mode_32 0
		.amdhsa_float_round_mode_16_64 0
		.amdhsa_float_denorm_mode_32 3
		.amdhsa_float_denorm_mode_16_64 3
		.amdhsa_dx10_clamp 1
		.amdhsa_ieee_mode 1
		.amdhsa_fp16_overflow 0
		.amdhsa_tg_split 0
		.amdhsa_exception_fp_ieee_invalid_op 0
		.amdhsa_exception_fp_denorm_src 0
		.amdhsa_exception_fp_ieee_div_zero 0
		.amdhsa_exception_fp_ieee_overflow 0
		.amdhsa_exception_fp_ieee_underflow 0
		.amdhsa_exception_fp_ieee_inexact 0
		.amdhsa_exception_int_div_zero 0
	.end_amdhsa_kernel
	.section	.text._Z39paged_attention_ll4mi_QKV_mfma16_kernelIDF16_DF16_LN4vllm18Fp8KVCacheDataTypeE0EhLi16ELi128ELi256ELb1ELi3EEvPKT_PKT0_S7_ifPKiS9_S9_iPKfiiiPfSC_PS2_PT2_iSB_SB_,"axG",@progbits,_Z39paged_attention_ll4mi_QKV_mfma16_kernelIDF16_DF16_LN4vllm18Fp8KVCacheDataTypeE0EhLi16ELi128ELi256ELb1ELi3EEvPKT_PKT0_S7_ifPKiS9_S9_iPKfiiiPfSC_PS2_PT2_iSB_SB_,comdat
.Lfunc_end218:
	.size	_Z39paged_attention_ll4mi_QKV_mfma16_kernelIDF16_DF16_LN4vllm18Fp8KVCacheDataTypeE0EhLi16ELi128ELi256ELb1ELi3EEvPKT_PKT0_S7_ifPKiS9_S9_iPKfiiiPfSC_PS2_PT2_iSB_SB_, .Lfunc_end218-_Z39paged_attention_ll4mi_QKV_mfma16_kernelIDF16_DF16_LN4vllm18Fp8KVCacheDataTypeE0EhLi16ELi128ELi256ELb1ELi3EEvPKT_PKT0_S7_ifPKiS9_S9_iPKfiiiPfSC_PS2_PT2_iSB_SB_
                                        ; -- End function
	.section	.AMDGPU.csdata,"",@progbits
; Kernel info:
; codeLenInByte = 4704
; NumSgprs: 48
; NumVgprs: 96
; NumAgprs: 0
; TotalNumVgprs: 96
; ScratchSize: 16
; MemoryBound: 0
; FloatMode: 240
; IeeeMode: 1
; LDSByteSize: 8192 bytes/workgroup (compile time only)
; SGPRBlocks: 5
; VGPRBlocks: 11
; NumSGPRsForWavesPerEU: 48
; NumVGPRsForWavesPerEU: 96
; AccumOffset: 96
; Occupancy: 5
; WaveLimiterHint : 1
; COMPUTE_PGM_RSRC2:SCRATCH_EN: 1
; COMPUTE_PGM_RSRC2:USER_SGPR: 2
; COMPUTE_PGM_RSRC2:TRAP_HANDLER: 0
; COMPUTE_PGM_RSRC2:TGID_X_EN: 1
; COMPUTE_PGM_RSRC2:TGID_Y_EN: 1
; COMPUTE_PGM_RSRC2:TGID_Z_EN: 1
; COMPUTE_PGM_RSRC2:TIDIG_COMP_CNT: 0
; COMPUTE_PGM_RSRC3_GFX90A:ACCUM_OFFSET: 23
; COMPUTE_PGM_RSRC3_GFX90A:TG_SPLIT: 0
	.section	.text._Z39paged_attention_ll4mi_QKV_mfma16_kernelIDF16_DF16_LN4vllm18Fp8KVCacheDataTypeE0EhLi16ELi128ELi256ELb1ELi4EEvPKT_PKT0_S7_ifPKiS9_S9_iPKfiiiPfSC_PS2_PT2_iSB_SB_,"axG",@progbits,_Z39paged_attention_ll4mi_QKV_mfma16_kernelIDF16_DF16_LN4vllm18Fp8KVCacheDataTypeE0EhLi16ELi128ELi256ELb1ELi4EEvPKT_PKT0_S7_ifPKiS9_S9_iPKfiiiPfSC_PS2_PT2_iSB_SB_,comdat
	.protected	_Z39paged_attention_ll4mi_QKV_mfma16_kernelIDF16_DF16_LN4vllm18Fp8KVCacheDataTypeE0EhLi16ELi128ELi256ELb1ELi4EEvPKT_PKT0_S7_ifPKiS9_S9_iPKfiiiPfSC_PS2_PT2_iSB_SB_ ; -- Begin function _Z39paged_attention_ll4mi_QKV_mfma16_kernelIDF16_DF16_LN4vllm18Fp8KVCacheDataTypeE0EhLi16ELi128ELi256ELb1ELi4EEvPKT_PKT0_S7_ifPKiS9_S9_iPKfiiiPfSC_PS2_PT2_iSB_SB_
	.globl	_Z39paged_attention_ll4mi_QKV_mfma16_kernelIDF16_DF16_LN4vllm18Fp8KVCacheDataTypeE0EhLi16ELi128ELi256ELb1ELi4EEvPKT_PKT0_S7_ifPKiS9_S9_iPKfiiiPfSC_PS2_PT2_iSB_SB_
	.p2align	8
	.type	_Z39paged_attention_ll4mi_QKV_mfma16_kernelIDF16_DF16_LN4vllm18Fp8KVCacheDataTypeE0EhLi16ELi128ELi256ELb1ELi4EEvPKT_PKT0_S7_ifPKiS9_S9_iPKfiiiPfSC_PS2_PT2_iSB_SB_,@function
_Z39paged_attention_ll4mi_QKV_mfma16_kernelIDF16_DF16_LN4vllm18Fp8KVCacheDataTypeE0EhLi16ELi128ELi256ELb1ELi4EEvPKT_PKT0_S7_ifPKiS9_S9_iPKfiiiPfSC_PS2_PT2_iSB_SB_: ; @_Z39paged_attention_ll4mi_QKV_mfma16_kernelIDF16_DF16_LN4vllm18Fp8KVCacheDataTypeE0EhLi16ELi128ELi256ELb1ELi4EEvPKT_PKT0_S7_ifPKiS9_S9_iPKfiiiPfSC_PS2_PT2_iSB_SB_
; %bb.0:
	s_load_dwordx2 s[8:9], s[0:1], 0x30
	s_mov_b32 s20, s3
	s_mov_b64 s[6:7], 0
	s_waitcnt lgkmcnt(0)
	s_cmp_lg_u64 s[8:9], 0
	s_cselect_b64 s[10:11], -1, 0
	s_and_b64 vcc, exec, s[10:11]
	s_cbranch_vccz .LBB219_7
; %bb.1:
	s_add_i32 s12, s2, 1
	s_mov_b32 s13, 0
	s_lshl_b64 s[14:15], s[12:13], 2
	s_add_u32 s14, s8, s14
	s_mov_b32 s3, s13
	s_addc_u32 s15, s9, s15
	s_lshl_b64 s[12:13], s[2:3], 2
	s_add_u32 s12, s8, s12
	s_addc_u32 s13, s9, s13
	s_load_dword s5, s[14:15], 0x0
	s_load_dword s16, s[12:13], 0x0
	s_waitcnt lgkmcnt(0)
	s_sub_i32 s5, s5, s16
	s_cmp_eq_u32 s5, 1
	s_cselect_b64 s[12:13], -1, 0
	s_andn2_b64 vcc, exec, s[6:7]
	s_cbranch_vccnz .LBB219_3
.LBB219_2:
	s_mov_b32 s3, 0
	s_mov_b64 s[12:13], -1
.LBB219_3:
	s_andn2_b64 vcc, exec, s[12:13]
	s_cbranch_vccnz .LBB219_19
; %bb.4:
	s_load_dwordx2 s[6:7], s[0:1], 0x28
	s_lshl_b64 s[12:13], s[2:3], 2
	s_waitcnt lgkmcnt(0)
	s_add_u32 s6, s6, s12
	s_addc_u32 s7, s7, s13
	s_load_dword s33, s[6:7], 0x0
	s_lshl_b32 s18, s20, 8
	s_waitcnt lgkmcnt(0)
	s_cmp_ge_i32 s18, s33
	s_cbranch_scc1 .LBB219_19
; %bb.5:
	s_load_dwordx2 s[6:7], s[0:1], 0x20
	s_load_dword s5, s[0:1], 0x38
	s_add_i32 s14, s33, 15
	s_ashr_i32 s15, s14, 31
	v_and_b32_e32 v1, 0xcf, v0
	s_lshr_b32 s15, s15, 28
	v_add_u32_e32 v1, s18, v1
	s_add_i32 s14, s14, s15
	v_ashrrev_i32_e32 v2, 31, v1
	s_ashr_i32 s19, s14, 4
	v_lshrrev_b32_e32 v4, 28, v2
	s_add_i32 s19, s19, -1
	s_waitcnt lgkmcnt(0)
	s_mul_i32 s14, s2, s5
	s_mov_b32 s15, 0
	v_add_u32_e32 v2, v1, v4
	s_lshl_b64 s[14:15], s[14:15], 2
	v_ashrrev_i32_e32 v2, 4, v2
	v_mov_b32_e32 v5, s19
	v_cmp_gt_i32_e32 vcc, s33, v1
	s_add_u32 s6, s6, s14
	s_addc_u32 s7, s7, s15
	v_cndmask_b32_e32 v2, v5, v2, vcc
	v_ashrrev_i32_e32 v3, 31, v2
	v_lshl_add_u64 v[6:7], v[2:3], 2, s[6:7]
	v_or_b32_e32 v2, 16, v1
	v_add_u32_e32 v3, v2, v4
	v_ashrrev_i32_e32 v3, 4, v3
	v_cmp_gt_i32_e32 vcc, s33, v2
	s_load_dwordx2 s[14:15], s[0:1], 0x8
	s_nop 0
	v_cndmask_b32_e32 v2, v5, v3, vcc
	v_ashrrev_i32_e32 v3, 31, v2
	v_lshl_add_u64 v[8:9], v[2:3], 2, s[6:7]
	v_or_b32_e32 v2, 32, v1
	v_add_u32_e32 v3, v2, v4
	v_ashrrev_i32_e32 v3, 4, v3
	v_cmp_gt_i32_e32 vcc, s33, v2
	v_or_b32_e32 v1, 48, v1
	s_nop 0
	v_cndmask_b32_e32 v2, v5, v3, vcc
	v_ashrrev_i32_e32 v3, 31, v2
	v_lshl_add_u64 v[10:11], v[2:3], 2, s[6:7]
	v_add_u32_e32 v2, v1, v4
	v_ashrrev_i32_e32 v2, 4, v2
	v_cmp_gt_i32_e32 vcc, s33, v1
	s_nop 1
	v_cndmask_b32_e32 v2, v5, v2, vcc
	v_ashrrev_i32_e32 v3, 31, v2
	v_lshl_add_u64 v[12:13], v[2:3], 2, s[6:7]
	global_load_dword v5, v[6:7], off
	global_load_dword v4, v[8:9], off
	;; [unrolled: 1-line block ×4, first 2 shown]
	s_andn2_b64 vcc, exec, s[10:11]
	s_cbranch_vccnz .LBB219_8
; %bb.6:
	s_add_u32 s8, s8, s12
	s_addc_u32 s9, s9, s13
	s_load_dword s5, s[8:9], 0x0
	s_branch .LBB219_9
.LBB219_7:
	s_mov_b64 s[12:13], 0
	s_branch .LBB219_2
.LBB219_8:
	s_mov_b32 s5, s2
.LBB219_9:
	v_bfe_u32 v93, v0, 4, 2
	s_lshl_b32 s21, s4, 2
	v_or_b32_e32 v6, s21, v93
	scratch_store_dword off, v6, off        ; 4-byte Folded Spill
	s_load_dwordx2 s[12:13], s[0:1], 0x10
	s_load_dwordx4 s[8:11], s[0:1], 0x48
	v_and_b32_e32 v94, 15, v0
	v_lshlrev_b32_e32 v7, 3, v94
	v_lshrrev_b32_e32 v90, 6, v0
	v_and_b32_e32 v6, 3, v0
	v_cmp_gt_u32_e64 s[22:23], 64, v0
	v_lshlrev_b32_e32 v82, 1, v7
	v_lshlrev_b32_e32 v1, 5, v93
	scratch_store_dword off, v1, off offset:4 ; 4-byte Folded Spill
	s_and_saveexec_b64 s[16:17], s[22:23]
	s_cbranch_execz .LBB219_11
; %bb.10:
	scratch_load_dword v7, off, off         ; 4-byte Folded Reload
	s_load_dwordx2 s[24:25], s[0:1], 0x0
	s_waitcnt lgkmcnt(0)
	s_ashr_i32 s11, s8, 31
	s_mul_hi_u32 s26, s5, s8
	s_mul_i32 s11, s5, s11
	s_add_i32 s27, s26, s11
	s_mul_i32 s26, s5, s8
	s_lshl_b64 s[26:27], s[26:27], 1
	s_add_u32 s24, s24, s26
	s_addc_u32 s25, s25, s27
	v_mov_b32_e32 v83, 0
	v_lshlrev_b32_e32 v1, 5, v93
	v_lshlrev_b32_e32 v13, 9, v94
	;; [unrolled: 1-line block ×3, first 2 shown]
	v_and_b32_e32 v13, 0x1800, v13
	s_waitcnt vmcnt(0)
	v_lshlrev_b32_e32 v8, 7, v7
	v_ashrrev_i32_e32 v9, 31, v8
	v_lshl_add_u64 v[8:9], v[8:9], 1, s[24:25]
	v_lshl_add_u64 v[8:9], v[8:9], 0, v[82:83]
	global_load_dwordx4 v[8:11], v[8:9], off
	v_lshl_or_b32 v7, v90, 7, v1
	v_or3_b32 v7, v13, v12, v7
	s_waitcnt vmcnt(0)
	ds_write_b128 v7, v[8:11]
.LBB219_11:
	s_or_b64 exec, exec, s[16:17]
	s_waitcnt lgkmcnt(0)
	s_mul_i32 s4, s4, s10
	s_mov_b32 s5, 0
	s_lshl_b64 s[4:5], s[4:5], 1
	s_add_u32 s10, s14, s4
	v_lshlrev_b32_e32 v1, 4, v0
	s_addc_u32 s11, s15, s5
	v_and_b32_e32 v84, 0xf0, v1
	v_mov_b32_e32 v85, 0
	v_lshl_add_u64 v[8:9], s[10:11], 0, v[84:85]
	s_waitcnt vmcnt(5)
	v_mad_i64_i32 v[10:11], s[10:11], v5, s9, 0
	s_waitcnt vmcnt(4)
	v_mad_i64_i32 v[4:5], s[10:11], v4, s9, 0
	v_lshl_add_u64 v[10:11], v[10:11], 1, v[8:9]
	v_and_b32_e32 v84, 0x300, v1
	v_lshl_add_u64 v[4:5], v[4:5], 1, v[8:9]
	v_lshl_add_u64 v[10:11], v[10:11], 0, v[84:85]
	;; [unrolled: 1-line block ×3, first 2 shown]
	s_barrier
	global_load_dwordx4 v[78:81], v[10:11], off
	global_load_dwordx4 v[74:77], v[10:11], off offset:1024
	global_load_dwordx4 v[70:73], v[10:11], off offset:2048
	;; [unrolled: 1-line block ×3, first 2 shown]
	global_load_dwordx4 v[66:69], v[4:5], off
	global_load_dwordx4 v[62:65], v[4:5], off offset:1024
	global_load_dwordx4 v[58:61], v[4:5], off offset:2048
	;; [unrolled: 1-line block ×3, first 2 shown]
	s_waitcnt vmcnt(11)
	v_mad_i64_i32 v[4:5], s[10:11], v3, s9, 0
	s_waitcnt vmcnt(10)
	v_mad_i64_i32 v[2:3], s[10:11], v2, s9, 0
	v_lshl_add_u64 v[4:5], v[4:5], 1, v[8:9]
	v_lshl_add_u64 v[2:3], v[2:3], 1, v[8:9]
	;; [unrolled: 1-line block ×4, first 2 shown]
	global_load_dwordx4 v[54:57], v[4:5], off
	global_load_dwordx4 v[30:33], v[4:5], off offset:1024
	global_load_dwordx4 v[26:29], v[4:5], off offset:2048
	;; [unrolled: 1-line block ×3, first 2 shown]
	global_load_dwordx4 v[10:13], v[8:9], off
	s_nop 0
	global_load_dwordx4 v[2:5], v[8:9], off offset:1024
	global_load_dwordx4 v[42:45], v[8:9], off offset:2048
	;; [unrolled: 1-line block ×3, first 2 shown]
	v_lshlrev_b32_e32 v6, 5, v6
	v_lshl_or_b32 v38, v93, 9, v6
	ds_read_b128 v[50:53], v38
	ds_read_b128 v[6:9], v38 offset:2048
	ds_read_b128 v[46:49], v38 offset:4096
	ds_read_b128 v[38:41], v38 offset:6144
	v_and_b32_e32 v1, 63, v0
	v_cmp_gt_u32_e32 vcc, 4, v94
	v_mov_b32_e32 v92, 0
	s_and_saveexec_b64 s[10:11], vcc
	s_cbranch_execz .LBB219_13
; %bb.12:
	s_load_dwordx2 s[14:15], s[0:1], 0x40
	v_or_b32_e32 v86, s21, v94
	v_ashrrev_i32_e32 v87, 31, v86
	s_waitcnt lgkmcnt(0)
	v_lshl_add_u64 v[86:87], v[86:87], 2, s[14:15]
	global_load_dword v92, v[86:87], off
.LBB219_13:
	s_or_b64 exec, exec, s[10:11]
	s_waitcnt vmcnt(15) lgkmcnt(3)
	v_mfma_f32_16x16x16_f16 v[86:89], v[78:79], v[50:51], 0
	s_add_u32 s4, s12, s4
	v_lshl_or_b32 v91, v90, 4, v94
	s_addc_u32 s5, s13, s5
	v_mfma_f32_16x16x16_f16 v[78:81], v[80:81], v[52:53], v[86:89]
	v_lshlrev_b32_e32 v84, 5, v91
	s_mov_b32 s42, 0xff7fffff
	s_waitcnt vmcnt(14) lgkmcnt(2)
	v_mfma_f32_16x16x16_f16 v[78:81], v[74:75], v[6:7], v[78:81]
	v_mfma_f32_16x16x16_f16 v[74:77], v[76:77], v[8:9], v[78:81]
	s_waitcnt vmcnt(13) lgkmcnt(1)
	v_mfma_f32_16x16x16_f16 v[74:77], v[70:71], v[46:47], v[74:77]
	v_mfma_f32_16x16x16_f16 v[70:73], v[72:73], v[48:49], v[74:77]
	s_waitcnt vmcnt(11)
	v_mfma_f32_16x16x16_f16 v[74:77], v[66:67], v[50:51], 0
	v_mfma_f32_16x16x16_f16 v[66:69], v[68:69], v[52:53], v[74:77]
	s_nop 5
	v_and_or_b32 v74, v0, 48, s18
	s_waitcnt lgkmcnt(0)
	v_mfma_f32_16x16x16_f16 v[70:73], v[14:15], v[38:39], v[70:73]
	v_ashrrev_i32_e32 v14, 4, v74
	v_mov_b32_e32 v75, s19
	v_cmp_gt_i32_e32 vcc, s33, v74
	s_waitcnt vmcnt(10)
	v_mfma_f32_16x16x16_f16 v[66:69], v[62:63], v[6:7], v[66:69]
	v_cndmask_b32_e32 v14, v75, v14, vcc
	v_ashrrev_i32_e32 v15, 31, v14
	v_lshl_add_u64 v[14:15], v[14:15], 2, s[6:7]
	global_load_dword v76, v[14:15], off
	v_or_b32_e32 v14, 64, v74
	v_ashrrev_i32_e32 v15, 4, v14
	v_cmp_gt_i32_e32 vcc, s33, v14
	v_mfma_f32_16x16x16_f16 v[62:65], v[64:65], v[8:9], v[66:69]
	s_nop 0
	v_cndmask_b32_e32 v14, v75, v15, vcc
	v_ashrrev_i32_e32 v15, 31, v14
	v_lshl_add_u64 v[14:15], v[14:15], 2, s[6:7]
	global_load_dword v78, v[14:15], off
	s_waitcnt vmcnt(11)
	v_mfma_f32_16x16x16_f16 v[62:65], v[58:59], v[46:47], v[62:65]
	v_or_b32_e32 v14, 0x80, v74
	v_ashrrev_i32_e32 v15, 4, v14
	v_cmp_gt_i32_e32 vcc, s33, v14
	v_mfma_f32_16x16x16_f16 v[58:61], v[60:61], v[48:49], v[62:65]
	s_nop 0
	v_cndmask_b32_e32 v14, v75, v15, vcc
	v_ashrrev_i32_e32 v15, 31, v14
	s_waitcnt vmcnt(9)
	v_mfma_f32_16x16x16_f16 v[62:65], v[54:55], v[50:51], 0
	v_lshl_add_u64 v[14:15], v[14:15], 2, s[6:7]
	v_mfma_f32_16x16x16_f16 v[54:57], v[56:57], v[52:53], v[62:65]
	s_nop 4
	global_load_dword v62, v[14:15], off
	v_or_b32_e32 v14, 0xc0, v74
	v_ashrrev_i32_e32 v15, 4, v14
	v_cmp_gt_i32_e32 vcc, s33, v14
	s_waitcnt vmcnt(9)
	v_mfma_f32_16x16x16_f16 v[54:57], v[30:31], v[6:7], v[54:57]
	v_cndmask_b32_e32 v14, v75, v15, vcc
	v_ashrrev_i32_e32 v15, 31, v14
	v_lshl_add_u64 v[14:15], v[14:15], 2, s[6:7]
	global_load_dword v74, v[14:15], off
	v_mfma_f32_16x16x16_f16 v[30:33], v[32:33], v[8:9], v[54:57]
	s_load_dword s6, s[0:1], 0x1c
	s_waitcnt vmcnt(3)
	v_mad_i64_i32 v[14:15], s[10:11], v76, s9, 0
	v_mfma_f32_16x16x16_f16 v[30:33], v[26:27], v[46:47], v[30:33]
	v_lshlrev_b64 v[76:77], 1, v[14:15]
	v_mfma_f32_16x16x16_f16 v[64:67], v[16:17], v[40:41], v[70:73]
	v_mfma_f32_16x16x16_f16 v[14:17], v[28:29], v[48:49], v[30:33]
	s_nop 1
	v_lshl_add_u64 v[72:73], s[4:5], 0, v[84:85]
	v_or_b32_e32 v84, 0x800, v84
	v_mfma_f32_16x16x16_f16 v[54:57], v[22:23], v[38:39], v[58:61]
	v_lshl_add_u64 v[22:23], v[72:73], 0, v[76:77]
	global_load_dwordx4 v[30:33], v[22:23], off
	global_load_dwordx4 v[26:29], v[22:23], off offset:16
	v_mfma_f32_16x16x16_f16 v[14:17], v[18:19], v[38:39], v[14:17]
	s_waitcnt vmcnt(4)
	v_mad_i64_i32 v[18:19], s[10:11], v78, s9, 0
	v_mfma_f32_16x16x16_f16 v[68:71], v[24:25], v[40:41], v[54:57]
	s_nop 2
	v_lshlrev_b64 v[54:55], 1, v[18:19]
	v_mfma_f32_16x16x16_f16 v[86:89], v[20:21], v[40:41], v[14:17]
	s_nop 2
	v_lshl_add_u64 v[14:15], v[72:73], 0, v[54:55]
	global_load_dwordx4 v[22:25], v[14:15], off
	global_load_dwordx4 v[18:21], v[14:15], off offset:16
	v_mfma_f32_16x16x16_f16 v[14:17], v[10:11], v[50:51], 0
	s_waitcnt vmcnt(5)
	v_mad_i64_i32 v[10:11], s[10:11], v62, s9, 0
	v_lshlrev_b64 v[50:51], 1, v[10:11]
	v_mfma_f32_16x16x16_f16 v[56:59], v[12:13], v[52:53], v[14:17]
	v_lshl_add_u64 v[10:11], v[72:73], 0, v[50:51]
	s_waitcnt lgkmcnt(0)
	v_pk_mul_f32 v[78:79], s[6:7], v[88:89] op_sel_hi:[0,1]
	global_load_dwordx4 v[14:17], v[10:11], off
	s_nop 0
	global_load_dwordx4 v[10:13], v[10:11], off offset:16
	v_mfma_f32_16x16x16_f16 v[60:63], v[2:3], v[6:7], v[56:59]
	s_waitcnt vmcnt(6)
	v_mad_i64_i32 v[2:3], s[8:9], v74, s9, 0
	v_mfma_f32_16x16x16_f16 v[60:63], v[4:5], v[8:9], v[60:63]
	v_lshlrev_b64 v[58:59], 1, v[2:3]
	v_lshl_add_u64 v[2:3], v[72:73], 0, v[58:59]
	global_load_dwordx4 v[6:9], v[2:3], off
	s_nop 0
	global_load_dwordx4 v[2:5], v[2:3], off offset:16
	v_mfma_f32_16x16x16_f16 v[72:75], v[42:43], v[46:47], v[60:63]
	v_mfma_f32_16x16x16_f16 v[44:47], v[44:45], v[48:49], v[72:75]
	s_nop 1
	v_lshl_add_u64 v[62:63], s[4:5], 0, v[84:85]
	v_lshl_add_u64 v[42:43], v[62:63], 0, v[76:77]
	v_pk_mul_f32 v[76:77], s[6:7], v[66:67] op_sel_hi:[0,1]
	v_mfma_f32_16x16x16_f16 v[44:47], v[34:35], v[38:39], v[44:47]
	v_pk_mul_f32 v[60:61], s[6:7], v[64:65] op_sel_hi:[0,1]
	v_pk_mul_f32 v[74:75], s[6:7], v[70:71] op_sel_hi:[0,1]
	;; [unrolled: 1-line block ×3, first 2 shown]
	v_mfma_f32_16x16x16_f16 v[34:37], v[36:37], v[40:41], v[44:47]
	v_pk_mul_f32 v[70:71], s[6:7], v[86:87] op_sel_hi:[0,1]
	v_lshl_add_u64 v[50:51], v[62:63], 0, v[50:51]
	v_lshl_add_u64 v[58:59], v[62:63], 0, v[58:59]
	s_nop 3
	v_pk_mul_f32 v[72:73], s[6:7], v[34:35] op_sel_hi:[0,1]
	v_and_b32_e32 v34, 0xc0, v0
	v_add_u32_e32 v34, s18, v34
	v_lshl_or_b32 v34, v93, 2, v34
	v_or_b32_e32 v35, 1, v34
	v_pk_mul_f32 v[80:81], s[6:7], v[36:37] op_sel_hi:[0,1]
	v_subrev_u32_e32 v36, s33, v35
	v_add_u32_e32 v38, 1, v36
	v_add_u32_e32 v39, 2, v36
	v_cvt_f32_i32_e32 v37, v36
	v_cvt_f32_i32_e32 v38, v38
	v_cvt_f32_i32_e32 v39, v39
	v_add_u32_e32 v40, 3, v36
	v_fma_f32 v60, v92, v37, v60
	v_fmac_f32_e32 v61, v92, v38
	v_fma_f32 v76, v92, v39, v76
	v_add_u32_e32 v37, 16, v36
	v_add_u32_e32 v38, 17, v36
	;; [unrolled: 1-line block ×3, first 2 shown]
	v_cvt_f32_i32_e32 v40, v40
	v_cvt_f32_i32_e32 v37, v37
	;; [unrolled: 1-line block ×4, first 2 shown]
	v_fmac_f32_e32 v77, v92, v40
	v_add_u32_e32 v40, 19, v36
	v_fma_f32 v66, v92, v37, v66
	v_fmac_f32_e32 v67, v92, v38
	v_fma_f32 v74, v92, v39, v74
	v_add_u32_e32 v37, 32, v36
	v_add_u32_e32 v38, 33, v36
	;; [unrolled: 1-line block ×3, first 2 shown]
	v_cvt_f32_i32_e32 v40, v40
	v_cvt_f32_i32_e32 v37, v37
	v_cvt_f32_i32_e32 v38, v38
	v_cvt_f32_i32_e32 v39, v39
	v_fmac_f32_e32 v75, v92, v40
	v_add_u32_e32 v40, 35, v36
	v_fma_f32 v70, v92, v37, v70
	v_fmac_f32_e32 v71, v92, v38
	v_fma_f32 v78, v92, v39, v78
	v_add_u32_e32 v37, 48, v36
	v_add_u32_e32 v38, 49, v36
	;; [unrolled: 1-line block ×4, first 2 shown]
	v_cvt_f32_i32_e32 v36, v36
	v_cvt_f32_i32_e32 v37, v37
	;; [unrolled: 1-line block ×3, first 2 shown]
	v_cmp_gt_i32_e64 s[4:5], s33, v34
	v_fmac_f32_e32 v81, v92, v36
	v_mov_b32_e32 v36, 0xff7fffff
	v_cmp_gt_i32_e64 s[24:25], s33, v35
	v_fma_f32 v72, v92, v37, v72
	v_cndmask_b32_e64 v37, v36, v60, s[4:5]
	v_cndmask_b32_e64 v35, v36, v61, s[24:25]
	v_fmac_f32_e32 v73, v92, v38
	v_max3_f32 v35, v37, s42, v35
	v_or_b32_e32 v37, 2, v34
	v_or_b32_e32 v38, 3, v34
	v_cmp_gt_i32_e64 s[26:27], s33, v37
	v_cmp_gt_i32_e64 s[28:29], s33, v38
	v_cvt_f32_i32_e32 v40, v40
	v_cndmask_b32_e64 v37, v36, v76, s[26:27]
	v_cndmask_b32_e64 v38, v36, v77, s[28:29]
	v_max3_f32 v35, v35, v37, v38
	v_or_b32_e32 v37, 16, v34
	v_or_b32_e32 v38, 17, v34
	v_cmp_gt_i32_e64 s[30:31], s33, v37
	v_cmp_gt_i32_e64 s[34:35], s33, v38
	v_fmac_f32_e32 v79, v92, v40
	v_cndmask_b32_e64 v37, v36, v66, s[30:31]
	v_cndmask_b32_e64 v38, v36, v67, s[34:35]
	v_max3_f32 v35, v35, v37, v38
	v_or_b32_e32 v37, 18, v34
	v_or_b32_e32 v38, 19, v34
	v_cmp_gt_i32_e64 s[36:37], s33, v37
	v_cmp_gt_i32_e64 s[38:39], s33, v38
	v_cvt_f32_i32_e32 v39, v39
	v_cndmask_b32_e64 v37, v36, v74, s[36:37]
	v_cndmask_b32_e64 v38, v36, v75, s[38:39]
	v_max3_f32 v35, v35, v37, v38
	v_or_b32_e32 v37, 32, v34
	v_or_b32_e32 v38, 33, v34
	v_cmp_gt_i32_e64 s[16:17], s33, v37
	v_cmp_gt_i32_e64 s[18:19], s33, v38
	v_fma_f32 v80, v92, v39, v80
	v_cndmask_b32_e64 v37, v36, v70, s[16:17]
	v_cndmask_b32_e64 v38, v36, v71, s[18:19]
	v_max3_f32 v35, v35, v37, v38
	v_or_b32_e32 v37, 34, v34
	v_or_b32_e32 v38, 35, v34
	v_cmp_gt_i32_e64 s[12:13], s33, v37
	v_cmp_gt_i32_e64 s[14:15], s33, v38
	s_nop 0
	v_cndmask_b32_e64 v37, v36, v78, s[12:13]
	v_cndmask_b32_e64 v38, v36, v79, s[14:15]
	v_max3_f32 v35, v35, v37, v38
	v_or_b32_e32 v37, 48, v34
	v_or_b32_e32 v38, 49, v34
	v_cmp_gt_i32_e64 s[8:9], s33, v37
	v_cmp_gt_i32_e64 s[10:11], s33, v38
	s_nop 0
	v_cndmask_b32_e64 v37, v36, v72, s[8:9]
	v_cndmask_b32_e64 v38, v36, v73, s[10:11]
	v_max3_f32 v35, v35, v37, v38
	v_or_b32_e32 v37, 50, v34
	v_or_b32_e32 v34, 51, v34
	v_cmp_gt_i32_e32 vcc, s33, v37
	v_cmp_gt_i32_e64 s[6:7], s33, v34
	global_load_dwordx4 v[46:49], v[42:43], off
	global_load_dwordx4 v[38:41], v[42:43], off offset:16
	v_cndmask_b32_e32 v37, v36, v80, vcc
	v_cndmask_b32_e64 v34, v36, v81, s[6:7]
	v_max3_f32 v52, v35, v37, v34
	v_mbcnt_lo_u32_b32 v34, -1, 0
	v_mbcnt_hi_u32_b32 v53, -1, v34
	v_and_b32_e32 v34, 64, v53
	v_add_u32_e32 v56, 64, v34
	v_xor_b32_e32 v34, 32, v53
	v_cmp_lt_i32_e64 s[40:41], v34, v56
	s_nop 1
	v_cndmask_b32_e64 v34, v53, v34, s[40:41]
	v_lshlrev_b32_e32 v86, 2, v34
	ds_bpermute_b32 v57, v86, v52
	v_lshl_add_u64 v[34:35], v[62:63], 0, v[54:55]
	global_load_dwordx4 v[42:45], v[34:35], off
	s_nop 0
	global_load_dwordx4 v[34:37], v[34:35], off offset:16
	s_waitcnt lgkmcnt(0)
	v_max_f32_e32 v54, v57, v57
	v_max_f32_e32 v64, v52, v54
	v_xor_b32_e32 v52, 16, v53
	v_cmp_lt_i32_e64 s[40:41], v52, v56
	s_nop 1
	v_cndmask_b32_e64 v52, v53, v52, s[40:41]
	v_lshlrev_b32_e32 v85, 2, v52
	ds_bpermute_b32 v65, v85, v64
	global_load_dwordx4 v[54:57], v[50:51], off
	s_nop 0
	global_load_dwordx4 v[50:53], v[50:51], off offset:16
	s_waitcnt lgkmcnt(0)
	v_max_f32_e32 v62, v65, v65
	v_max_f32_e32 v84, v64, v62
	v_sub_f32_e32 v60, v60, v84
	v_mul_f32_e32 v60, 0x3fb8aa3b, v60
	v_exp_f32_e32 v68, v60
	v_sub_f32_e32 v60, v61, v84
	v_mul_f32_e32 v60, 0x3fb8aa3b, v60
	v_exp_f32_e32 v69, v60
	global_load_dwordx4 v[62:65], v[58:59], off
	s_nop 0
	global_load_dwordx4 v[58:61], v[58:59], off offset:16
	v_sub_f32_e32 v76, v76, v84
	v_mul_f32_e32 v76, 0x3fb8aa3b, v76
	v_sub_f32_e32 v77, v77, v84
	v_exp_f32_e32 v76, v76
	v_mul_f32_e32 v77, 0x3fb8aa3b, v77
	v_sub_f32_e32 v66, v66, v84
	v_exp_f32_e32 v77, v77
	v_mul_f32_e32 v66, 0x3fb8aa3b, v66
	v_sub_f32_e32 v67, v67, v84
	v_cndmask_b32_e64 v68, 0, v68, s[4:5]
	v_exp_f32_e32 v66, v66
	v_mul_f32_e32 v67, 0x3fb8aa3b, v67
	v_sub_f32_e32 v74, v74, v84
	v_add_f32_e32 v87, 0, v68
	v_cndmask_b32_e64 v69, 0, v69, s[24:25]
	v_exp_f32_e32 v67, v67
	v_mul_f32_e32 v74, 0x3fb8aa3b, v74
	v_sub_f32_e32 v75, v75, v84
	v_add_f32_e32 v87, v87, v69
	v_cndmask_b32_e64 v76, 0, v76, s[26:27]
	v_exp_f32_e32 v74, v74
	v_mul_f32_e32 v75, 0x3fb8aa3b, v75
	v_sub_f32_e32 v70, v70, v84
	v_add_f32_e32 v87, v87, v76
	v_cndmask_b32_e64 v77, 0, v77, s[28:29]
	v_exp_f32_e32 v75, v75
	v_mul_f32_e32 v70, 0x3fb8aa3b, v70
	v_sub_f32_e32 v71, v71, v84
	v_add_f32_e32 v87, v87, v77
	v_cndmask_b32_e64 v66, 0, v66, s[30:31]
	v_exp_f32_e32 v70, v70
	v_mul_f32_e32 v71, 0x3fb8aa3b, v71
	v_sub_f32_e32 v78, v78, v84
	v_add_f32_e32 v87, v87, v66
	v_cndmask_b32_e64 v67, 0, v67, s[34:35]
	v_exp_f32_e32 v71, v71
	v_mul_f32_e32 v78, 0x3fb8aa3b, v78
	v_sub_f32_e32 v79, v79, v84
	v_add_f32_e32 v87, v87, v67
	v_cndmask_b32_e64 v74, 0, v74, s[36:37]
	v_exp_f32_e32 v78, v78
	v_mul_f32_e32 v79, 0x3fb8aa3b, v79
	v_sub_f32_e32 v72, v72, v84
	v_add_f32_e32 v87, v87, v74
	v_cndmask_b32_e64 v75, 0, v75, s[38:39]
	v_exp_f32_e32 v79, v79
	v_mul_f32_e32 v72, 0x3fb8aa3b, v72
	v_sub_f32_e32 v73, v73, v84
	v_add_f32_e32 v87, v87, v75
	v_cndmask_b32_e64 v70, 0, v70, s[16:17]
	v_exp_f32_e32 v72, v72
	v_mul_f32_e32 v73, 0x3fb8aa3b, v73
	v_sub_f32_e32 v80, v80, v84
	v_add_f32_e32 v87, v87, v70
	v_cndmask_b32_e64 v71, 0, v71, s[18:19]
	v_exp_f32_e32 v73, v73
	v_mul_f32_e32 v80, 0x3fb8aa3b, v80
	v_sub_f32_e32 v81, v81, v84
	v_add_f32_e32 v87, v87, v71
	v_cndmask_b32_e64 v78, 0, v78, s[12:13]
	v_exp_f32_e32 v80, v80
	v_mul_f32_e32 v81, 0x3fb8aa3b, v81
	v_add_f32_e32 v87, v87, v78
	v_cndmask_b32_e64 v79, 0, v79, s[14:15]
	v_exp_f32_e32 v81, v81
	v_add_f32_e32 v87, v87, v79
	v_cndmask_b32_e64 v72, 0, v72, s[8:9]
	v_add_f32_e32 v87, v87, v72
	v_cndmask_b32_e64 v73, 0, v73, s[10:11]
	v_add_f32_e32 v87, v87, v73
	v_cndmask_b32_e32 v80, 0, v80, vcc
	v_add_f32_e32 v87, v87, v80
	v_cndmask_b32_e64 v81, 0, v81, s[6:7]
	v_add_f32_e32 v92, v87, v81
	ds_bpermute_b32 v93, v86, v92
	s_load_dword s7, s[0:1], 0x98
	v_cmp_gt_u32_e32 vcc, 16, v1
	s_waitcnt lgkmcnt(0)
	s_barrier
	v_add_f32_e32 v92, v92, v93
	ds_bpermute_b32 v85, v85, v92
	s_waitcnt lgkmcnt(0)
	s_and_saveexec_b64 s[4:5], vcc
	s_cbranch_execz .LBB219_15
; %bb.14:
	v_add_f32_e32 v85, v92, v85
	v_lshlrev_b32_e32 v86, 2, v91
	ds_write2st64_b32 v86, v84, v85 offset1:1
.LBB219_15:
	s_or_b64 exec, exec, s[4:5]
	v_lshlrev_b32_e32 v85, 2, v94
	s_load_dword s6, s[0:1], 0x94
	s_waitcnt lgkmcnt(0)
	s_barrier
	ds_read2_b32 v[86:87], v85 offset1:16
	ds_read2_b32 v[88:89], v85 offset0:32 offset1:48
	ds_read2_b32 v[92:93], v85 offset0:64 offset1:80
	v_mov_b32_e32 v1, v94
	s_lshl_b32 s7, s7, 2
	s_waitcnt lgkmcnt(2)
	v_max3_f32 v84, v86, s42, v87
	s_waitcnt lgkmcnt(1)
	v_max3_f32 v84, v84, v88, v89
	v_sub_f32_e32 v86, v86, v84
	v_mul_f32_e32 v86, 0x3fb8aa3b, v86
	v_exp_f32_e32 v91, v86
	v_sub_f32_e32 v86, v87, v84
	v_mul_f32_e32 v86, 0x3fb8aa3b, v86
	v_exp_f32_e32 v95, v86
	;; [unrolled: 3-line block ×3, first 2 shown]
	ds_read2_b32 v[86:87], v85 offset0:96 offset1:112
	v_sub_f32_e32 v85, v89, v84
	v_mul_f32_e32 v85, 0x3fb8aa3b, v85
	v_exp_f32_e32 v89, v85
	s_waitcnt lgkmcnt(1)
	v_fma_f32 v85, v91, v92, 0
	v_fmac_f32_e32 v85, v95, v93
	s_waitcnt lgkmcnt(0)
	v_fmac_f32_e32 v85, v88, v86
	v_fmac_f32_e32 v85, v89, v87
	v_add_f32_e32 v86, 0x358637bd, v85
	v_div_scale_f32 v87, s[4:5], v86, v86, 1.0
	v_rcp_f32_e32 v92, v87
	s_barrier
	v_fma_f32 v93, -v87, v92, 1.0
	v_fmac_f32_e32 v92, v93, v92
	v_div_scale_f32 v93, vcc, 1.0, v86, 1.0
	v_mul_f32_e32 v83, v93, v92
	v_fma_f32 v94, -v87, v83, v93
	v_fmac_f32_e32 v83, v94, v92
	v_fma_f32 v87, -v87, v83, v93
	v_div_fmas_f32 v83, v87, v92, v83
	v_cmp_eq_u32_e32 vcc, 1, v90
	v_div_fixup_f32 v83, v83, v86, 1.0
	v_mov_b32_e32 v94, v1
	v_cndmask_b32_e32 v86, v91, v95, vcc
	v_cmp_eq_u32_e32 vcc, 2, v90
	v_bfe_u32 v1, v0, 4, 2
	s_nop 0
	v_cndmask_b32_e32 v86, v86, v88, vcc
	v_cmp_eq_u32_e32 vcc, 3, v90
	s_nop 1
	v_cndmask_b32_e32 v86, v86, v89, vcc
	v_mul_f32_e32 v86, v86, v83
	v_pk_mul_f32 v[76:77], v[86:87], v[76:77] op_sel_hi:[0,1]
	v_cvt_f16_f32_e32 v83, v76
	v_cvt_f16_f32_e32 v77, v77
	v_pk_mul_f32 v[68:69], v[86:87], v[68:69] op_sel_hi:[0,1]
	v_cvt_f16_f32_e32 v68, v68
	v_cvt_f16_f32_e32 v69, v69
	v_pk_mul_f32 v[74:75], v[86:87], v[74:75] op_sel_hi:[0,1]
	v_pk_mul_f32 v[66:67], v[86:87], v[66:67] op_sel_hi:[0,1]
	v_pack_b32_f16 v77, v83, v77
	v_cvt_f16_f32_e32 v66, v66
	v_cvt_f16_f32_e32 v67, v67
	;; [unrolled: 1-line block ×4, first 2 shown]
	v_pack_b32_f16 v76, v68, v69
	v_lshlrev_b32_e32 v69, 3, v1
	v_lshlrev_b32_e32 v68, 5, v94
	;; [unrolled: 1-line block ×3, first 2 shown]
	v_or3_b32 v74, v74, v68, v69
	v_pack_b32_f16 v66, v66, v67
	v_pack_b32_f16 v67, v83, v75
	ds_write2st64_b64 v74, v[76:77], v[66:67] offset1:1
	v_pk_mul_f32 v[66:67], v[86:87], v[78:79] op_sel_hi:[0,1]
	v_pk_mul_f32 v[70:71], v[86:87], v[70:71] op_sel_hi:[0,1]
	v_cvt_f16_f32_e32 v69, v70
	v_cvt_f16_f32_e32 v75, v71
	v_cvt_f16_f32_e32 v76, v66
	v_cvt_f16_f32_e32 v77, v67
	v_pk_mul_f32 v[66:67], v[86:87], v[80:81] op_sel_hi:[0,1]
	v_pk_mul_f32 v[70:71], v[86:87], v[72:73] op_sel_hi:[0,1]
	v_cvt_f16_f32_e32 v70, v70
	v_cvt_f16_f32_e32 v71, v71
	;; [unrolled: 1-line block ×4, first 2 shown]
	v_pack_b32_f16 v66, v69, v75
	v_pack_b32_f16 v67, v76, v77
	;; [unrolled: 1-line block ×4, first 2 shown]
	v_cmp_gt_u32_e32 vcc, 4, v0
	ds_write2st64_b64 v74, v[66:67], v[70:71] offset0:2 offset1:3
	s_and_saveexec_b64 s[4:5], vcc
	s_cbranch_execz .LBB219_17
; %bb.16:
	v_or_b32_e32 v66, s21, v0
	v_mov_b32_e32 v67, 0
	v_mov_b32_e32 v69, s7
	v_mad_u64_u32 v[70:71], s[12:13], s2, v69, v[66:67]
	v_mov_b32_e32 v66, s20
	s_load_dwordx4 s[8:11], s[0:1], 0x58
	s_mul_i32 s3, s3, s7
	v_mad_u64_u32 v[66:67], s[12:13], v70, s6, v[66:67]
	v_add_u32_e32 v69, s3, v71
	v_mov_b32_e32 v70, v67
	v_mad_u64_u32 v[70:71], s[12:13], v69, s6, v[70:71]
	v_mov_b32_e32 v67, v70
	v_lshlrev_b64 v[66:67], 2, v[66:67]
	s_waitcnt lgkmcnt(0)
	v_lshl_add_u64 v[70:71], s[10:11], 0, v[66:67]
	v_lshl_add_u64 v[66:67], s[8:9], 0, v[66:67]
	global_store_dword v[70:71], v84, off
	global_store_dword v[66:67], v85, off
.LBB219_17:
	s_or_b64 exec, exec, s[4:5]
	v_lshl_or_b32 v1, v1, 9, v68
	s_waitcnt lgkmcnt(0)
	s_barrier
	ds_read_b128 v[70:73], v1
	ds_read_b128 v[66:69], v1 offset:16
	s_waitcnt vmcnt(15) lgkmcnt(1)
	v_mfma_f32_16x16x16_f16 v[76:79], v[30:31], v[70:71], 0
	s_mov_b32 s3, 0
	v_mfma_f32_16x16x16_f16 v[30:33], v[32:33], v[72:73], v[76:79]
	s_waitcnt vmcnt(14) lgkmcnt(0)
	v_mfma_f32_16x16x16_f16 v[30:33], v[26:27], v[66:67], v[30:33]
	v_mfma_f32_16x16x16_f16 v[26:29], v[28:29], v[68:69], v[30:33]
	s_nop 5
	ds_read_b128 v[30:33], v1 offset:2048
	ds_read_b128 v[76:79], v1 offset:2064
	s_waitcnt vmcnt(13) lgkmcnt(1)
	v_mfma_f32_16x16x16_f16 v[26:29], v[22:23], v[30:31], v[26:29]
	v_mfma_f32_16x16x16_f16 v[22:25], v[24:25], v[32:33], v[26:29]
	s_waitcnt vmcnt(12) lgkmcnt(0)
	v_mfma_f32_16x16x16_f16 v[22:25], v[18:19], v[76:77], v[22:25]
	v_mfma_f32_16x16x16_f16 v[18:21], v[20:21], v[78:79], v[22:25]
	s_nop 5
	ds_read_b128 v[22:25], v1 offset:4096
	ds_read_b128 v[26:29], v1 offset:4112
	s_waitcnt vmcnt(11) lgkmcnt(1)
	v_mfma_f32_16x16x16_f16 v[18:21], v[14:15], v[22:23], v[18:21]
	v_mfma_f32_16x16x16_f16 v[14:17], v[16:17], v[24:25], v[18:21]
	s_waitcnt vmcnt(10) lgkmcnt(0)
	v_mfma_f32_16x16x16_f16 v[14:17], v[10:11], v[26:27], v[14:17]
	v_mfma_f32_16x16x16_f16 v[10:13], v[12:13], v[28:29], v[14:17]
	s_nop 5
	ds_read_b128 v[14:17], v1 offset:6144
	ds_read_b128 v[18:21], v1 offset:6160
	s_waitcnt lgkmcnt(0)
	s_barrier
	s_waitcnt vmcnt(9)
	v_mfma_f32_16x16x16_f16 v[10:13], v[6:7], v[14:15], v[10:13]
	v_mfma_f32_16x16x16_f16 v[6:9], v[8:9], v[16:17], v[10:13]
	s_waitcnt vmcnt(8)
	v_mfma_f32_16x16x16_f16 v[6:9], v[2:3], v[18:19], v[6:9]
	v_mfma_f32_16x16x16_f16 v[2:5], v[4:5], v[20:21], v[6:9]
	;; [unrolled: 3-line block ×3, first 2 shown]
	s_nop 3
	v_cvt_f16_f32_e32 v1, v2
	v_cvt_f16_f32_e32 v10, v3
	;; [unrolled: 1-line block ×3, first 2 shown]
	s_waitcnt vmcnt(6)
	v_mfma_f32_16x16x16_f16 v[6:9], v[38:39], v[66:67], v[6:9]
	v_cvt_f16_f32_e32 v12, v5
	v_mfma_f32_16x16x16_f16 v[6:9], v[40:41], v[68:69], v[6:9]
	s_waitcnt vmcnt(5)
	v_mfma_f32_16x16x16_f16 v[6:9], v[42:43], v[30:31], v[6:9]
	v_mfma_f32_16x16x16_f16 v[6:9], v[44:45], v[32:33], v[6:9]
	s_waitcnt vmcnt(4)
	v_mfma_f32_16x16x16_f16 v[6:9], v[34:35], v[76:77], v[6:9]
	;; [unrolled: 3-line block ×6, first 2 shown]
	v_mfma_f32_16x16x16_f16 v[2:5], v[60:61], v[20:21], v[6:9]
	s_nop 6
	v_cvt_f16_f32_e32 v6, v2
	v_cvt_f16_f32_e32 v7, v3
	;; [unrolled: 1-line block ×4, first 2 shown]
	v_pack_b32_f16 v2, v1, v10
	v_pack_b32_f16 v3, v11, v12
	;; [unrolled: 1-line block ×4, first 2 shown]
	ds_write2st64_b64 v74, v[2:3], v[4:5] offset1:1
	s_waitcnt lgkmcnt(0)
	s_barrier
	s_and_saveexec_b64 s[4:5], s[22:23]
	s_cbranch_execz .LBB219_19
; %bb.18:
	v_lshlrev_b32_e32 v2, 6, v94
	v_lshlrev_b32_e32 v1, 4, v0
	v_lshl_or_b32 v0, v0, 10, v2
	scratch_load_dword v2, off, off offset:4 ; 4-byte Folded Reload
	scratch_load_dword v4, off, off         ; 4-byte Folded Reload
	s_load_dwordx2 s[0:1], s[0:1], 0x68
	s_lshl_b32 s6, s6, 7
	s_mul_i32 s2, s7, s2
	s_mul_hi_u32 s5, s2, s6
	s_mul_i32 s4, s2, s6
	s_lshl_b64 s[4:5], s[4:5], 1
	v_and_b32_e32 v1, 16, v1
	v_and_b32_e32 v0, 0x1a00, v0
	s_waitcnt lgkmcnt(0)
	s_add_u32 s4, s0, s4
	s_addc_u32 s5, s1, s5
	s_lshl_b32 s2, s20, 7
	s_lshl_b64 s[0:1], s[2:3], 1
	s_add_u32 s0, s4, s0
	s_addc_u32 s1, s5, s1
	v_mov_b32_e32 v83, 0
	s_waitcnt vmcnt(1)
	v_or3_b32 v0, v0, v2, v1
	ds_read_b128 v[0:3], v0
	s_waitcnt vmcnt(0)
	v_mad_u64_u32 v[4:5], s[2:3], s6, v4, 0
	v_lshl_add_u64 v[4:5], v[4:5], 1, s[0:1]
	v_lshl_add_u64 v[4:5], v[4:5], 0, v[82:83]
	s_waitcnt lgkmcnt(0)
	global_store_dwordx4 v[4:5], v[0:3], off
.LBB219_19:
	s_endpgm
	.section	.rodata,"a",@progbits
	.p2align	6, 0x0
	.amdhsa_kernel _Z39paged_attention_ll4mi_QKV_mfma16_kernelIDF16_DF16_LN4vllm18Fp8KVCacheDataTypeE0EhLi16ELi128ELi256ELb1ELi4EEvPKT_PKT0_S7_ifPKiS9_S9_iPKfiiiPfSC_PS2_PT2_iSB_SB_
		.amdhsa_group_segment_fixed_size 8192
		.amdhsa_private_segment_fixed_size 12
		.amdhsa_kernarg_size 400
		.amdhsa_user_sgpr_count 2
		.amdhsa_user_sgpr_dispatch_ptr 0
		.amdhsa_user_sgpr_queue_ptr 0
		.amdhsa_user_sgpr_kernarg_segment_ptr 1
		.amdhsa_user_sgpr_dispatch_id 0
		.amdhsa_user_sgpr_kernarg_preload_length 0
		.amdhsa_user_sgpr_kernarg_preload_offset 0
		.amdhsa_user_sgpr_private_segment_size 0
		.amdhsa_uses_dynamic_stack 0
		.amdhsa_enable_private_segment 1
		.amdhsa_system_sgpr_workgroup_id_x 1
		.amdhsa_system_sgpr_workgroup_id_y 1
		.amdhsa_system_sgpr_workgroup_id_z 1
		.amdhsa_system_sgpr_workgroup_info 0
		.amdhsa_system_vgpr_workitem_id 0
		.amdhsa_next_free_vgpr 96
		.amdhsa_next_free_sgpr 43
		.amdhsa_accum_offset 96
		.amdhsa_reserve_vcc 1
		.amdhsa_float_round_mode_32 0
		.amdhsa_float_round_mode_16_64 0
		.amdhsa_float_denorm_mode_32 3
		.amdhsa_float_denorm_mode_16_64 3
		.amdhsa_dx10_clamp 1
		.amdhsa_ieee_mode 1
		.amdhsa_fp16_overflow 0
		.amdhsa_tg_split 0
		.amdhsa_exception_fp_ieee_invalid_op 0
		.amdhsa_exception_fp_denorm_src 0
		.amdhsa_exception_fp_ieee_div_zero 0
		.amdhsa_exception_fp_ieee_overflow 0
		.amdhsa_exception_fp_ieee_underflow 0
		.amdhsa_exception_fp_ieee_inexact 0
		.amdhsa_exception_int_div_zero 0
	.end_amdhsa_kernel
	.section	.text._Z39paged_attention_ll4mi_QKV_mfma16_kernelIDF16_DF16_LN4vllm18Fp8KVCacheDataTypeE0EhLi16ELi128ELi256ELb1ELi4EEvPKT_PKT0_S7_ifPKiS9_S9_iPKfiiiPfSC_PS2_PT2_iSB_SB_,"axG",@progbits,_Z39paged_attention_ll4mi_QKV_mfma16_kernelIDF16_DF16_LN4vllm18Fp8KVCacheDataTypeE0EhLi16ELi128ELi256ELb1ELi4EEvPKT_PKT0_S7_ifPKiS9_S9_iPKfiiiPfSC_PS2_PT2_iSB_SB_,comdat
.Lfunc_end219:
	.size	_Z39paged_attention_ll4mi_QKV_mfma16_kernelIDF16_DF16_LN4vllm18Fp8KVCacheDataTypeE0EhLi16ELi128ELi256ELb1ELi4EEvPKT_PKT0_S7_ifPKiS9_S9_iPKfiiiPfSC_PS2_PT2_iSB_SB_, .Lfunc_end219-_Z39paged_attention_ll4mi_QKV_mfma16_kernelIDF16_DF16_LN4vllm18Fp8KVCacheDataTypeE0EhLi16ELi128ELi256ELb1ELi4EEvPKT_PKT0_S7_ifPKiS9_S9_iPKfiiiPfSC_PS2_PT2_iSB_SB_
                                        ; -- End function
	.section	.AMDGPU.csdata,"",@progbits
; Kernel info:
; codeLenInByte = 4644
; NumSgprs: 49
; NumVgprs: 96
; NumAgprs: 0
; TotalNumVgprs: 96
; ScratchSize: 12
; MemoryBound: 0
; FloatMode: 240
; IeeeMode: 1
; LDSByteSize: 8192 bytes/workgroup (compile time only)
; SGPRBlocks: 6
; VGPRBlocks: 11
; NumSGPRsForWavesPerEU: 49
; NumVGPRsForWavesPerEU: 96
; AccumOffset: 96
; Occupancy: 5
; WaveLimiterHint : 1
; COMPUTE_PGM_RSRC2:SCRATCH_EN: 1
; COMPUTE_PGM_RSRC2:USER_SGPR: 2
; COMPUTE_PGM_RSRC2:TRAP_HANDLER: 0
; COMPUTE_PGM_RSRC2:TGID_X_EN: 1
; COMPUTE_PGM_RSRC2:TGID_Y_EN: 1
; COMPUTE_PGM_RSRC2:TGID_Z_EN: 1
; COMPUTE_PGM_RSRC2:TIDIG_COMP_CNT: 0
; COMPUTE_PGM_RSRC3_GFX90A:ACCUM_OFFSET: 23
; COMPUTE_PGM_RSRC3_GFX90A:TG_SPLIT: 0
	.section	.text._Z35paged_attention_ll4mi_reduce_kernelIDF16_hLi128ELi128ELi256ELi9EEvPT0_PKfS3_PKT_PKiS8_iS3_,"axG",@progbits,_Z35paged_attention_ll4mi_reduce_kernelIDF16_hLi128ELi128ELi256ELi9EEvPT0_PKfS3_PKT_PKiS8_iS3_,comdat
	.protected	_Z35paged_attention_ll4mi_reduce_kernelIDF16_hLi128ELi128ELi256ELi9EEvPT0_PKfS3_PKT_PKiS8_iS3_ ; -- Begin function _Z35paged_attention_ll4mi_reduce_kernelIDF16_hLi128ELi128ELi256ELi9EEvPT0_PKfS3_PKT_PKiS8_iS3_
	.globl	_Z35paged_attention_ll4mi_reduce_kernelIDF16_hLi128ELi128ELi256ELi9EEvPT0_PKfS3_PKT_PKiS8_iS3_
	.p2align	8
	.type	_Z35paged_attention_ll4mi_reduce_kernelIDF16_hLi128ELi128ELi256ELi9EEvPT0_PKfS3_PKT_PKiS8_iS3_,@function
_Z35paged_attention_ll4mi_reduce_kernelIDF16_hLi128ELi128ELi256ELi9EEvPT0_PKfS3_PKT_PKiS8_iS3_: ; @_Z35paged_attention_ll4mi_reduce_kernelIDF16_hLi128ELi128ELi256ELi9EEvPT0_PKfS3_PKT_PKiS8_iS3_
; %bb.0:
	s_load_dwordx2 s[34:35], s[0:1], 0x28
	s_mov_b32 s22, s3
	s_mov_b64 s[4:5], 0
	s_waitcnt lgkmcnt(0)
	s_cmp_lg_u64 s[34:35], 0
	s_cselect_b64 s[36:37], -1, 0
	s_and_b64 vcc, exec, s[36:37]
	s_cbranch_vccz .LBB220_23
; %bb.1:
	s_add_i32 s6, s22, 1
	s_mov_b32 s7, 0
	s_lshl_b64 s[8:9], s[6:7], 2
	s_add_u32 s8, s34, s8
	s_mov_b32 s23, s7
	s_addc_u32 s9, s35, s9
	s_lshl_b64 s[6:7], s[22:23], 2
	s_add_u32 s6, s34, s6
	s_addc_u32 s7, s35, s7
	s_load_dword s3, s[8:9], 0x0
	s_load_dword s10, s[6:7], 0x0
	s_waitcnt lgkmcnt(0)
	s_sub_i32 s3, s3, s10
	s_cmp_eq_u32 s3, 1
	s_cselect_b64 s[6:7], -1, 0
	s_andn2_b64 vcc, exec, s[4:5]
	s_cbranch_vccnz .LBB220_3
.LBB220_2:
	s_mov_b32 s23, 0
	s_mov_b64 s[6:7], -1
.LBB220_3:
	s_andn2_b64 vcc, exec, s[6:7]
	s_cbranch_vccz .LBB220_5
; %bb.4:
	s_endpgm
.LBB220_5:
	s_load_dwordx4 s[24:27], s[0:1], 0x18
	s_load_dword s8, s[0:1], 0x30
	s_lshl_b64 s[38:39], s[22:23], 2
	v_cmp_lt_u32_e32 vcc, 63, v0
	s_waitcnt lgkmcnt(0)
	s_add_u32 s4, s26, s38
	s_addc_u32 s5, s27, s39
	s_load_dword s46, s[4:5], 0x0
	s_load_dword s3, s[0:1], 0x40
	s_mul_i32 s26, s2, s8
	s_mul_i32 s6, s22, s8
	s_waitcnt lgkmcnt(0)
	s_add_i32 s7, s46, 0xff
	s_ashr_i32 s4, s7, 31
	s_lshr_b32 s4, s4, 24
	s_add_i32 s7, s7, s4
	s_and_saveexec_b64 s[4:5], vcc
	s_xor_b64 s[4:5], exec, s[4:5]
	s_or_saveexec_b64 s[40:41], s[4:5]
	s_ashr_i32 s33, s7, 8
	v_mov_b32_e32 v1, s26
	s_mul_i32 s42, s6, s3
	s_xor_b64 exec, exec, s[40:41]
	s_cbranch_execz .LBB220_9
; %bb.6:
	s_add_i32 s4, s33, -1
	v_or_b32_e32 v3, 64, v0
	v_mov_b32_e32 v1, s4
	v_cmp_gt_u32_e64 s[16:17], s33, v3
	s_load_dwordx4 s[28:31], s[0:1], 0x8
	s_mov_b32 s43, 0
	v_cndmask_b32_e64 v4, v1, v3, s[16:17]
	v_or_b32_e32 v3, 0x80, v0
	v_cmp_gt_u32_e64 s[14:15], s33, v3
	s_lshl_b64 s[44:45], s[42:43], 2
	s_mov_b32 s27, s43
	v_cndmask_b32_e64 v6, v1, v3, s[14:15]
	v_or_b32_e32 v3, 0xc0, v0
	v_cmp_gt_u32_e64 s[12:13], s33, v3
	v_cmp_gt_u32_e64 s[18:19], s33, v0
	s_waitcnt lgkmcnt(0)
	s_add_u32 s20, s30, s44
	v_cndmask_b32_e64 v8, v1, v3, s[12:13]
	v_or_b32_e32 v3, 0x100, v0
	v_cmp_gt_u32_e64 s[10:11], s33, v3
	v_cndmask_b32_e64 v2, v1, v0, s[18:19]
	s_addc_u32 s21, s31, s45
	v_cndmask_b32_e64 v10, v1, v3, s[10:11]
	v_or_b32_e32 v3, 0x140, v0
	v_cmp_gt_u32_e64 s[8:9], s33, v3
	s_lshl_b64 s[30:31], s[26:27], 2
	s_add_u32 s20, s20, s30
	v_cndmask_b32_e64 v12, v1, v3, s[8:9]
	v_or_b32_e32 v3, 0x180, v0
	v_cmp_gt_u32_e64 s[6:7], s33, v3
	s_addc_u32 s21, s21, s31
	v_ashrrev_i32_e32 v5, 31, v4
	v_cndmask_b32_e64 v14, v1, v3, s[6:7]
	v_or_b32_e32 v3, 0x1c0, v0
	v_cmp_gt_u32_e64 s[4:5], s33, v3
	v_ashrrev_i32_e32 v7, 31, v6
	v_ashrrev_i32_e32 v9, 31, v8
	v_cndmask_b32_e64 v16, v1, v3, s[4:5]
	v_or_b32_e32 v3, 0x200, v0
	v_cmp_gt_u32_e32 vcc, s33, v3
	v_ashrrev_i32_e32 v11, 31, v10
	v_ashrrev_i32_e32 v13, 31, v12
	v_cndmask_b32_e32 v18, v1, v3, vcc
	v_ashrrev_i32_e32 v3, 31, v2
	v_lshlrev_b64 v[2:3], 2, v[2:3]
	v_ashrrev_i32_e32 v15, 31, v14
	v_ashrrev_i32_e32 v17, 31, v16
	;; [unrolled: 1-line block ×3, first 2 shown]
	v_lshl_add_u64 v[20:21], s[20:21], 0, v[2:3]
	v_lshlrev_b64 v[4:5], 2, v[4:5]
	v_lshlrev_b64 v[6:7], 2, v[6:7]
	;; [unrolled: 1-line block ×8, first 2 shown]
	v_lshl_add_u64 v[22:23], s[20:21], 0, v[4:5]
	v_lshl_add_u64 v[24:25], s[20:21], 0, v[6:7]
	;; [unrolled: 1-line block ×7, first 2 shown]
	global_load_dword v1, v[20:21], off
	global_load_dword v36, v[22:23], off
	;; [unrolled: 1-line block ×8, first 2 shown]
	v_lshl_add_u64 v[20:21], s[20:21], 0, v[18:19]
	global_load_dword v20, v[20:21], off
	v_mbcnt_lo_u32_b32 v21, -1, 0
	v_mbcnt_hi_u32_b32 v21, -1, v21
	v_and_b32_e32 v22, 64, v21
	v_xor_b32_e32 v23, 32, v21
	v_add_u32_e32 v22, 64, v22
	v_cmp_lt_i32_e64 s[20:21], v23, v22
	v_xor_b32_e32 v24, 16, v21
	v_xor_b32_e32 v25, 8, v21
	v_cndmask_b32_e64 v23, v21, v23, s[20:21]
	s_add_u32 s20, s28, s44
	s_addc_u32 s21, s29, s45
	s_add_u32 s28, s20, s30
	s_addc_u32 s29, s21, s31
	v_lshl_add_u64 v[2:3], s[28:29], 0, v[2:3]
	global_load_dword v27, v[2:3], off
	v_lshlrev_b32_e32 v23, 2, v23
	v_cmp_lt_i32_e64 s[20:21], v24, v22
	v_xor_b32_e32 v26, 4, v21
	v_xor_b32_e32 v28, 2, v21
	v_cndmask_b32_e64 v24, v21, v24, s[20:21]
	v_lshlrev_b32_e32 v24, 2, v24
	v_cmp_lt_i32_e64 s[20:21], v25, v22
	s_mov_b32 s27, 0x3fb8aa3b
	s_waitcnt vmcnt(7)
	v_max3_f32 v2, v1, v36, v37
	s_waitcnt vmcnt(5)
	v_max3_f32 v2, v2, v38, v39
	;; [unrolled: 2-line block ×4, first 2 shown]
	ds_bpermute_b32 v3, v23, v2
	s_waitcnt lgkmcnt(0)
	v_max_f32_e32 v3, v3, v3
	v_max_f32_e32 v29, v2, v3
	ds_bpermute_b32 v30, v24, v29
	v_cndmask_b32_e64 v2, v21, v25, s[20:21]
	v_lshlrev_b32_e32 v25, 2, v2
	v_lshl_add_u64 v[2:3], s[28:29], 0, v[4:5]
	v_cmp_lt_i32_e64 s[20:21], v26, v22
	s_waitcnt lgkmcnt(0)
	v_max_f32_e32 v4, v30, v30
	v_max_f32_e32 v4, v29, v4
	ds_bpermute_b32 v5, v25, v4
	global_load_dword v29, v[2:3], off
	v_cndmask_b32_e64 v2, v21, v26, s[20:21]
	v_lshlrev_b32_e32 v26, 2, v2
	v_cmp_lt_i32_e64 s[20:21], v28, v22
	s_waitcnt lgkmcnt(0)
	v_max_f32_e32 v2, v5, v5
	v_max_f32_e32 v2, v4, v2
	ds_bpermute_b32 v3, v26, v2
	v_cndmask_b32_e64 v5, v21, v28, s[20:21]
	v_lshlrev_b32_e32 v28, 2, v5
	v_xor_b32_e32 v4, 1, v21
	v_cmp_lt_i32_e64 s[20:21], v4, v22
	s_waitcnt lgkmcnt(0)
	v_max_f32_e32 v3, v3, v3
	v_max_f32_e32 v5, v2, v3
	ds_bpermute_b32 v30, v28, v5
	v_lshl_add_u64 v[2:3], s[28:29], 0, v[6:7]
	global_load_dword v31, v[2:3], off
	v_cndmask_b32_e64 v2, v21, v4, s[20:21]
	v_lshlrev_b32_e32 v22, 2, v2
	s_waitcnt lgkmcnt(0)
	v_max_f32_e32 v3, v30, v30
	v_max_f32_e32 v21, v5, v3
	v_lshl_add_u64 v[2:3], s[28:29], 0, v[8:9]
	v_lshl_add_u64 v[8:9], s[28:29], 0, v[14:15]
	global_load_dword v14, v[2:3], off
	ds_bpermute_b32 v30, v22, v21
	v_lshl_add_u64 v[6:7], s[28:29], 0, v[12:13]
	v_lshl_add_u64 v[4:5], s[28:29], 0, v[10:11]
	;; [unrolled: 1-line block ×3, first 2 shown]
	s_waitcnt lgkmcnt(0)
	v_max_f32_e32 v12, v30, v30
	v_max_f32_e32 v12, v21, v12
	v_sub_f32_e32 v1, v1, v12
	v_mul_f32_e32 v13, 0x3fb8aa3b, v1
	v_fma_f32 v2, v1, s27, -v13
	v_rndne_f32_e32 v3, v13
	v_fmac_f32_e32 v2, 0x32a5705f, v1
	v_sub_f32_e32 v13, v13, v3
	v_add_f32_e32 v2, v13, v2
	global_load_dword v16, v[4:5], off
	global_load_dword v17, v[6:7], off
	;; [unrolled: 1-line block ×4, first 2 shown]
	v_exp_f32_e32 v13, v2
	v_cvt_i32_f32_e32 v15, v3
	v_lshl_add_u64 v[2:3], s[28:29], 0, v[18:19]
	global_load_dword v2, v[2:3], off
	v_sub_f32_e32 v5, v36, v12
	v_mul_f32_e32 v6, 0x3fb8aa3b, v5
	v_fma_f32 v7, v5, s27, -v6
	v_rndne_f32_e32 v8, v6
	v_fmac_f32_e32 v7, 0x32a5705f, v5
	v_sub_f32_e32 v6, v6, v8
	v_add_f32_e32 v6, v6, v7
	v_exp_f32_e32 v6, v6
	v_cvt_i32_f32_e32 v7, v8
	s_mov_b32 s28, 0xc2ce8ed0
	v_ldexp_f32 v3, v13, v15
	v_cmp_ngt_f32_e64 s[20:21], s28, v1
	s_mov_b32 s29, 0x42b17218
	v_mov_b32_e32 v4, 0x7f800000
	v_cndmask_b32_e64 v3, 0, v3, s[20:21]
	v_cmp_nlt_f32_e64 s[20:21], s29, v1
	s_nop 1
	v_cndmask_b32_e64 v1, v4, v3, s[20:21]
	v_ldexp_f32 v3, v6, v7
	v_sub_f32_e32 v6, v37, v12
	v_mul_f32_e32 v7, 0x3fb8aa3b, v6
	v_fma_f32 v8, v6, s27, -v7
	v_rndne_f32_e32 v9, v7
	v_fmac_f32_e32 v8, 0x32a5705f, v6
	v_sub_f32_e32 v7, v7, v9
	v_add_f32_e32 v7, v7, v8
	v_exp_f32_e32 v7, v7
	v_cvt_i32_f32_e32 v8, v9
	v_cndmask_b32_e64 v1, 0, v1, s[18:19]
	v_cmp_ngt_f32_e64 s[18:19], s28, v5
	s_waitcnt vmcnt(8)
	v_mul_f32_e32 v1, v27, v1
	v_cndmask_b32_e64 v3, 0, v3, s[18:19]
	v_cmp_nlt_f32_e64 s[18:19], s29, v5
	v_ldexp_f32 v5, v7, v8
	v_sub_f32_e32 v7, v38, v12
	v_mul_f32_e32 v8, 0x3fb8aa3b, v7
	v_fma_f32 v9, v7, s27, -v8
	v_rndne_f32_e32 v10, v8
	v_fmac_f32_e32 v9, 0x32a5705f, v7
	v_sub_f32_e32 v8, v8, v10
	v_add_f32_e32 v8, v8, v9
	v_exp_f32_e32 v8, v8
	v_cvt_i32_f32_e32 v9, v10
	v_cndmask_b32_e64 v3, v4, v3, s[18:19]
	v_cndmask_b32_e64 v3, 0, v3, s[16:17]
	v_cmp_ngt_f32_e64 s[16:17], s28, v6
	s_waitcnt vmcnt(7)
	v_mul_f32_e32 v3, v29, v3
	v_cndmask_b32_e64 v5, 0, v5, s[16:17]
	v_cmp_nlt_f32_e64 s[16:17], s29, v6
	v_ldexp_f32 v6, v8, v9
	v_sub_f32_e32 v8, v39, v12
	v_mul_f32_e32 v9, 0x3fb8aa3b, v8
	v_fma_f32 v10, v8, s27, -v9
	v_rndne_f32_e32 v11, v9
	v_fmac_f32_e32 v10, 0x32a5705f, v8
	v_sub_f32_e32 v9, v9, v11
	v_add_f32_e32 v9, v9, v10
	v_exp_f32_e32 v9, v9
	v_cvt_i32_f32_e32 v10, v11
	v_cndmask_b32_e64 v5, v4, v5, s[16:17]
	v_cndmask_b32_e64 v5, 0, v5, s[14:15]
	v_cmp_ngt_f32_e64 s[14:15], s28, v7
	s_waitcnt vmcnt(6)
	v_mul_f32_e32 v5, v31, v5
	v_cndmask_b32_e64 v6, 0, v6, s[14:15]
	v_cmp_nlt_f32_e64 s[14:15], s29, v7
	v_ldexp_f32 v7, v9, v10
	v_sub_f32_e32 v9, v40, v12
	v_mul_f32_e32 v10, 0x3fb8aa3b, v9
	v_fma_f32 v11, v9, s27, -v10
	v_rndne_f32_e32 v13, v10
	v_fmac_f32_e32 v11, 0x32a5705f, v9
	v_sub_f32_e32 v10, v10, v13
	v_add_f32_e32 v10, v10, v11
	v_exp_f32_e32 v10, v10
	v_cvt_i32_f32_e32 v11, v13
	v_cndmask_b32_e64 v6, v4, v6, s[14:15]
	v_cndmask_b32_e64 v6, 0, v6, s[12:13]
	v_cmp_ngt_f32_e64 s[12:13], s28, v8
	s_waitcnt vmcnt(5)
	v_mul_f32_e32 v6, v14, v6
	v_cndmask_b32_e64 v7, 0, v7, s[12:13]
	v_cmp_nlt_f32_e64 s[12:13], s29, v8
	v_ldexp_f32 v8, v10, v11
	v_sub_f32_e32 v10, v41, v12
	v_mul_f32_e32 v11, 0x3fb8aa3b, v10
	v_fma_f32 v13, v10, s27, -v11
	v_rndne_f32_e32 v14, v11
	v_fmac_f32_e32 v13, 0x32a5705f, v10
	v_sub_f32_e32 v11, v11, v14
	v_add_f32_e32 v11, v11, v13
	v_exp_f32_e32 v11, v11
	v_cvt_i32_f32_e32 v13, v14
	v_cndmask_b32_e64 v7, v4, v7, s[12:13]
	v_cndmask_b32_e64 v7, 0, v7, s[10:11]
	v_cmp_ngt_f32_e64 s[10:11], s28, v9
	s_waitcnt vmcnt(4)
	v_mul_f32_e32 v7, v16, v7
	v_cndmask_b32_e64 v8, 0, v8, s[10:11]
	v_cmp_nlt_f32_e64 s[10:11], s29, v9
	v_ldexp_f32 v9, v11, v13
	v_sub_f32_e32 v11, v42, v12
	v_mul_f32_e32 v13, 0x3fb8aa3b, v11
	v_fma_f32 v14, v11, s27, -v13
	v_rndne_f32_e32 v15, v13
	v_fmac_f32_e32 v14, 0x32a5705f, v11
	v_sub_f32_e32 v13, v13, v15
	v_add_f32_e32 v13, v13, v14
	v_exp_f32_e32 v13, v13
	v_cvt_i32_f32_e32 v14, v15
	v_cndmask_b32_e64 v8, v4, v8, s[10:11]
	v_cndmask_b32_e64 v8, 0, v8, s[8:9]
	v_cmp_ngt_f32_e64 s[8:9], s28, v10
	v_sub_f32_e32 v12, v20, v12
	s_waitcnt vmcnt(3)
	v_mul_f32_e32 v8, v17, v8
	v_cndmask_b32_e64 v9, 0, v9, s[8:9]
	v_cmp_nlt_f32_e64 s[8:9], s29, v10
	v_ldexp_f32 v10, v13, v14
	v_mul_f32_e32 v13, 0x3fb8aa3b, v12
	v_fma_f32 v14, v12, s27, -v13
	v_rndne_f32_e32 v15, v13
	v_fmac_f32_e32 v14, 0x32a5705f, v12
	v_sub_f32_e32 v13, v13, v15
	v_add_f32_e32 v13, v13, v14
	v_cndmask_b32_e64 v9, v4, v9, s[8:9]
	v_exp_f32_e32 v13, v13
	v_cvt_i32_f32_e32 v14, v15
	v_cndmask_b32_e64 v9, 0, v9, s[6:7]
	v_cmp_ngt_f32_e64 s[6:7], s28, v11
	s_nop 1
	v_cndmask_b32_e64 v10, 0, v10, s[6:7]
	v_cmp_nlt_f32_e64 s[6:7], s29, v11
	v_ldexp_f32 v11, v13, v14
	v_lshlrev_b32_e32 v13, 2, v0
	v_cndmask_b32_e64 v10, v4, v10, s[6:7]
	v_cndmask_b32_e64 v10, 0, v10, s[4:5]
	v_cmp_ngt_f32_e64 s[4:5], s28, v12
	ds_write2st64_b32 v13, v1, v3 offset1:1
	ds_write2st64_b32 v13, v5, v6 offset0:2 offset1:3
	v_cndmask_b32_e64 v11, 0, v11, s[4:5]
	v_cmp_nlt_f32_e64 s[4:5], s29, v12
	s_nop 1
	v_cndmask_b32_e64 v4, v4, v11, s[4:5]
	v_add_f32_e32 v11, v1, v3
	v_add_f32_e32 v11, v11, v5
	;; [unrolled: 1-line block ×5, first 2 shown]
	s_waitcnt vmcnt(2)
	v_fmac_f32_e32 v11, v21, v9
	v_cndmask_b32_e32 v4, 0, v4, vcc
	s_waitcnt vmcnt(1)
	v_fmac_f32_e32 v11, v30, v10
	s_waitcnt vmcnt(0)
	v_fmac_f32_e32 v11, v2, v4
	ds_bpermute_b32 v12, v23, v11
	v_mul_f32_e32 v4, v2, v4
	v_cmp_eq_u32_e32 vcc, 0, v0
	v_mul_f32_e32 v9, v21, v9
	v_mul_f32_e32 v10, v30, v10
	s_waitcnt lgkmcnt(0)
	v_add_f32_e32 v11, v11, v12
	ds_bpermute_b32 v12, v24, v11
	ds_write2st64_b32 v13, v7, v8 offset0:4 offset1:5
	ds_write2st64_b32 v13, v9, v10 offset0:6 offset1:7
	ds_write_b32 v13, v4 offset:2048
	s_waitcnt lgkmcnt(3)
	v_add_f32_e32 v11, v11, v12
	ds_bpermute_b32 v12, v25, v11
	s_waitcnt lgkmcnt(0)
	v_add_f32_e32 v11, v11, v12
	ds_bpermute_b32 v12, v26, v11
	;; [unrolled: 3-line block ×4, first 2 shown]
	s_and_saveexec_b64 s[4:5], vcc
	s_cbranch_execz .LBB220_8
; %bb.7:
	s_waitcnt lgkmcnt(0)
	v_add_f32_e32 v1, v1, v2
	v_mov_b32_e32 v2, 0
	ds_write_b32 v2, v1 offset:2304
.LBB220_8:
	s_or_b64 exec, exec, s[4:5]
	v_mov_b32_e32 v1, s26
.LBB220_9:
	s_or_b64 exec, exec, s[40:41]
	s_lshl_b32 s4, s42, 7
	s_mov_b32 s5, 0
	s_lshl_b64 s[4:5], s[4:5], 1
	s_add_u32 s4, s24, s4
	s_addc_u32 s5, s25, s5
	s_lshl_b32 s10, s33, 7
	s_waitcnt lgkmcnt(0)
	v_lshlrev_b32_e32 v2, 7, v1
	v_mov_b32_e32 v1, 0
	s_add_i32 s11, s10, 0xffffff80
	v_mov_b32_e32 v3, v1
	s_cmp_lt_i32 s46, 1
	v_lshl_add_u64 v[2:3], v[2:3], 1, s[4:5]
	s_cselect_b32 s4, s11, 0
	v_lshlrev_b32_e32 v4, 1, v0
	v_mov_b32_e32 v5, v1
	s_ashr_i32 s5, s4, 31
	v_lshl_add_u64 v[2:3], v[2:3], 0, v[4:5]
	s_cmpk_lt_i32 s46, 0x101
	v_lshl_add_u64 v[12:13], s[4:5], 1, v[2:3]
	s_cselect_b32 s4, s11, 0x80
	s_ashr_i32 s5, s4, 31
	s_cmpk_lt_i32 s46, 0x201
	v_lshl_add_u64 v[14:15], s[4:5], 1, v[2:3]
	s_cselect_b32 s4, s11, 0x100
	s_ashr_i32 s5, s4, 31
	;; [unrolled: 4-line block ×8, first 2 shown]
	s_cmpk_lt_i32 s46, 0x901
	global_load_ushort v4, v[12:13], off
	global_load_ushort v5, v[14:15], off
	;; [unrolled: 1-line block ×8, first 2 shown]
	v_lshl_add_u64 v[20:21], s[4:5], 1, v[2:3]
	s_cselect_b32 s4, s11, 0x480
	s_ashr_i32 s5, s4, 31
	s_cmpk_lt_i32 s46, 0xa01
	v_lshl_add_u64 v[22:23], s[4:5], 1, v[2:3]
	s_cselect_b32 s4, s11, 0x500
	s_ashr_i32 s5, s4, 31
	s_cmpk_lt_i32 s46, 0xb01
	;; [unrolled: 4-line block ×6, first 2 shown]
	v_lshl_add_u64 v[32:33], s[4:5], 1, v[2:3]
	s_cselect_b32 s4, s11, 0x780
	s_ashr_i32 s5, s4, 31
	v_lshl_add_u64 v[34:35], s[4:5], 1, v[2:3]
	global_load_ushort v12, v[20:21], off
	global_load_ushort v13, v[22:23], off
	;; [unrolled: 1-line block ×8, first 2 shown]
	s_cmpk_gt_i32 s46, 0x1000
	s_cselect_b64 s[8:9], -1, 0
	s_cmpk_lt_i32 s46, 0x1001
	v_mov_b32_e32 v36, 0
	v_mov_b32_e32 v37, 0
	;; [unrolled: 1-line block ×48, first 2 shown]
	s_barrier
	s_cbranch_scc1 .LBB220_12
; %bb.10:
	s_cmpk_lt_u32 s46, 0x1101
	s_cselect_b32 s4, s11, 0x880
	s_ashr_i32 s5, s4, 31
	s_cmpk_lt_u32 s46, 0x1201
	v_lshl_add_u64 v[30:31], s[4:5], 1, v[2:3]
	s_cselect_b32 s4, s11, 0x900
	s_ashr_i32 s5, s4, 31
	s_cmpk_lt_u32 s46, 0x1301
	v_lshl_add_u64 v[32:33], s[4:5], 1, v[2:3]
	;; [unrolled: 4-line block ×7, first 2 shown]
	s_cselect_b32 s4, s11, 0xc00
	v_add_co_u32_e32 v28, vcc, 0x1000, v2
	s_ashr_i32 s5, s4, 31
	s_nop 0
	v_addc_co_u32_e32 v29, vcc, 0, v3, vcc
	s_cmpk_lt_u32 s46, 0x1901
	global_load_ushort v27, v[28:29], off
	global_load_ushort v26, v[30:31], off
	;; [unrolled: 1-line block ×8, first 2 shown]
	v_lshl_add_u64 v[36:37], s[4:5], 1, v[2:3]
	s_cselect_b32 s4, s11, 0xc80
	s_ashr_i32 s5, s4, 31
	s_cmpk_lt_u32 s46, 0x1a01
	v_lshl_add_u64 v[38:39], s[4:5], 1, v[2:3]
	s_cselect_b32 s4, s11, 0xd00
	s_ashr_i32 s5, s4, 31
	s_cmpk_lt_u32 s46, 0x1b01
	;; [unrolled: 4-line block ×6, first 2 shown]
	v_lshl_add_u64 v[48:49], s[4:5], 1, v[2:3]
	s_cselect_b32 s4, s11, 0xf80
	s_ashr_i32 s5, s4, 31
	v_lshl_add_u64 v[50:51], s[4:5], 1, v[2:3]
	global_load_ushort v35, v[36:37], off
	global_load_ushort v34, v[38:39], off
	;; [unrolled: 1-line block ×8, first 2 shown]
	s_cmpk_lt_u32 s46, 0x2001
	v_mov_b32_e32 v67, 0
	v_mov_b32_e32 v66, 0
	v_mov_b32_e32 v65, 0
	v_mov_b32_e32 v64, 0
	v_mov_b32_e32 v63, 0
	v_mov_b32_e32 v62, 0
	v_mov_b32_e32 v61, 0
	v_mov_b32_e32 v60, 0
	v_mov_b32_e32 v59, 0
	v_mov_b32_e32 v58, 0
	v_mov_b32_e32 v57, 0
	v_mov_b32_e32 v56, 0
	v_mov_b32_e32 v55, 0
	v_mov_b32_e32 v54, 0
	v_mov_b32_e32 v53, 0
	v_mov_b32_e32 v52, 0
	v_mov_b32_e32 v51, 0
	v_mov_b32_e32 v50, 0
	v_mov_b32_e32 v49, 0
	v_mov_b32_e32 v48, 0
	v_mov_b32_e32 v47, 0
	v_mov_b32_e32 v46, 0
	v_mov_b32_e32 v45, 0
	v_mov_b32_e32 v44, 0
	v_mov_b32_e32 v43, 0
	v_mov_b32_e32 v42, 0
	v_mov_b32_e32 v41, 0
	v_mov_b32_e32 v40, 0
	v_mov_b32_e32 v39, 0
	v_mov_b32_e32 v38, 0
	v_mov_b32_e32 v37, 0
	v_mov_b32_e32 v36, 0
	s_cbranch_scc1 .LBB220_12
; %bb.11:
	s_cmpk_lt_u32 s46, 0x2101
	s_cselect_b32 s4, s11, 0x1080
	s_ashr_i32 s5, s4, 31
	s_cmpk_lt_u32 s46, 0x2201
	v_lshl_add_u64 v[38:39], s[4:5], 1, v[2:3]
	s_cselect_b32 s4, s11, 0x1100
	s_ashr_i32 s5, s4, 31
	s_cmpk_lt_u32 s46, 0x2301
	v_lshl_add_u64 v[40:41], s[4:5], 1, v[2:3]
	;; [unrolled: 4-line block ×7, first 2 shown]
	s_cselect_b32 s4, s11, 0x1400
	v_add_co_u32_e32 v36, vcc, 0x2000, v2
	s_ashr_i32 s5, s4, 31
	s_nop 0
	v_addc_co_u32_e32 v37, vcc, 0, v3, vcc
	s_cmpk_lt_u32 s46, 0x2901
	global_load_ushort v52, v[36:37], off
	global_load_ushort v53, v[38:39], off
	;; [unrolled: 1-line block ×8, first 2 shown]
	v_lshl_add_u64 v[36:37], s[4:5], 1, v[2:3]
	s_cselect_b32 s4, s11, 0x1480
	s_ashr_i32 s5, s4, 31
	s_cmpk_lt_u32 s46, 0x2a01
	v_lshl_add_u64 v[38:39], s[4:5], 1, v[2:3]
	s_cselect_b32 s4, s11, 0x1500
	s_ashr_i32 s5, s4, 31
	s_cmpk_lt_u32 s46, 0x2b01
	;; [unrolled: 4-line block ×8, first 2 shown]
	global_load_ushort v68, v[36:37], off
	global_load_ushort v69, v[38:39], off
	;; [unrolled: 1-line block ×8, first 2 shown]
	v_lshl_add_u64 v[36:37], s[4:5], 1, v[2:3]
	s_cselect_b32 s4, s11, 0x1880
	s_ashr_i32 s5, s4, 31
	s_cmpk_lt_u32 s46, 0x3201
	v_lshl_add_u64 v[38:39], s[4:5], 1, v[2:3]
	s_cselect_b32 s4, s11, 0x1900
	s_ashr_i32 s5, s4, 31
	s_cmpk_lt_u32 s46, 0x3301
	;; [unrolled: 4-line block ×8, first 2 shown]
	global_load_ushort v76, v[36:37], off
	global_load_ushort v77, v[38:39], off
	;; [unrolled: 1-line block ×8, first 2 shown]
	v_lshl_add_u64 v[36:37], s[4:5], 1, v[2:3]
	s_cselect_b32 s4, s11, 0x1c80
	s_ashr_i32 s5, s4, 31
	s_cmpk_lt_u32 s46, 0x3a01
	v_lshl_add_u64 v[38:39], s[4:5], 1, v[2:3]
	s_cselect_b32 s4, s11, 0x1d00
	s_ashr_i32 s5, s4, 31
	s_cmpk_lt_u32 s46, 0x3b01
	;; [unrolled: 4-line block ×6, first 2 shown]
	v_lshl_add_u64 v[48:49], s[4:5], 1, v[2:3]
	s_cselect_b32 s4, s11, 0x1f80
	s_ashr_i32 s5, s4, 31
	v_lshl_add_u64 v[50:51], s[4:5], 1, v[2:3]
	global_load_ushort v84, v[36:37], off
	global_load_ushort v85, v[38:39], off
	;; [unrolled: 1-line block ×8, first 2 shown]
	s_waitcnt vmcnt(31)
	v_cvt_f32_f16_e32 v67, v52
	s_waitcnt vmcnt(30)
	v_cvt_f32_f16_e32 v66, v53
	;; [unrolled: 2-line block ×32, first 2 shown]
.LBB220_12:
	ds_read_b128 v[68:71], v1
	s_load_dwordx2 s[4:5], s[0:1], 0x0
	s_load_dwordx2 s[6:7], s[0:1], 0x38
	ds_read_b128 v[72:75], v1 offset:16
	ds_read_b128 v[76:79], v1 offset:32
	;; [unrolled: 1-line block ×3, first 2 shown]
	s_and_b64 vcc, exec, s[8:9]
	s_waitcnt vmcnt(15) lgkmcnt(0)
	v_fma_mix_f32 v4, v68, v4, 0 op_sel_hi:[0,1,0]
	s_waitcnt vmcnt(14)
	v_fma_mix_f32 v4, v69, v5, v4 op_sel_hi:[0,1,0]
	s_waitcnt vmcnt(13)
	;; [unrolled: 2-line block ×15, first 2 shown]
	v_fma_mix_f32 v4, v83, v19, v4 op_sel_hi:[0,1,0]
	s_cbranch_vccz .LBB220_15
; %bb.13:
	ds_read_b128 v[6:9], v1 offset:64
	ds_read_b128 v[10:13], v1 offset:80
	;; [unrolled: 1-line block ×4, first 2 shown]
	s_cmpk_lt_u32 s46, 0x2001
	s_waitcnt lgkmcnt(3)
	v_fma_mix_f32 v4, v6, v27, v4 op_sel_hi:[0,1,0]
	v_fma_mix_f32 v4, v7, v26, v4 op_sel_hi:[0,1,0]
	v_fma_mix_f32 v4, v8, v25, v4 op_sel_hi:[0,1,0]
	v_fma_mix_f32 v4, v9, v24, v4 op_sel_hi:[0,1,0]
	s_waitcnt lgkmcnt(2)
	v_fma_mix_f32 v4, v10, v23, v4 op_sel_hi:[0,1,0]
	v_fma_mix_f32 v4, v11, v22, v4 op_sel_hi:[0,1,0]
	v_fma_mix_f32 v4, v12, v21, v4 op_sel_hi:[0,1,0]
	v_fma_mix_f32 v4, v13, v20, v4 op_sel_hi:[0,1,0]
	;; [unrolled: 5-line block ×4, first 2 shown]
	s_cbranch_scc1 .LBB220_15
; %bb.14:
	v_mov_b32_e32 v5, 0
	ds_read_b128 v[6:9], v5 offset:128
	ds_read_b128 v[10:13], v5 offset:144
	;; [unrolled: 1-line block ×4, first 2 shown]
	s_waitcnt lgkmcnt(3)
	v_fmac_f32_e32 v4, v6, v67
	v_fmac_f32_e32 v4, v7, v66
	v_fmac_f32_e32 v4, v8, v65
	v_fmac_f32_e32 v4, v9, v64
	s_waitcnt lgkmcnt(2)
	v_fmac_f32_e32 v4, v10, v63
	v_fmac_f32_e32 v4, v11, v62
	v_fmac_f32_e32 v4, v12, v61
	v_fmac_f32_e32 v4, v13, v60
	;; [unrolled: 5-line block ×3, first 2 shown]
	ds_read_b128 v[6:9], v5 offset:192
	ds_read_b128 v[10:13], v5 offset:208
	s_waitcnt lgkmcnt(2)
	v_fmac_f32_e32 v4, v18, v55
	v_fmac_f32_e32 v4, v19, v54
	;; [unrolled: 1-line block ×4, first 2 shown]
	s_waitcnt lgkmcnt(1)
	v_fmac_f32_e32 v4, v6, v51
	v_fmac_f32_e32 v4, v7, v50
	;; [unrolled: 1-line block ×4, first 2 shown]
	ds_read_b128 v[6:9], v5 offset:224
	s_waitcnt lgkmcnt(1)
	v_fmac_f32_e32 v4, v10, v47
	v_fmac_f32_e32 v4, v11, v46
	;; [unrolled: 1-line block ×4, first 2 shown]
	ds_read_b128 v[10:13], v5 offset:240
	s_waitcnt lgkmcnt(1)
	v_fmac_f32_e32 v4, v6, v43
	v_fmac_f32_e32 v4, v7, v42
	;; [unrolled: 1-line block ×4, first 2 shown]
	s_waitcnt lgkmcnt(0)
	v_fmac_f32_e32 v4, v10, v39
	v_fmac_f32_e32 v4, v11, v38
	;; [unrolled: 1-line block ×4, first 2 shown]
.LBB220_15:
	s_movk_i32 s0, 0x3f80
	s_movk_i32 s1, 0x100
	s_mov_b32 s8, 64
	s_branch .LBB220_17
.LBB220_16:                             ;   in Loop: Header=BB220_17 Depth=1
	s_addk_i32 s0, 0x2000
	s_addk_i32 s1, 0x100
	s_add_i32 s8, s8, 64
	s_cmp_eq_u32 s0, 0x13f80
	s_cbranch_scc1 .LBB220_19
.LBB220_17:                             ; =>This Inner Loop Header: Depth=1
	s_cmp_le_i32 s33, s8
	s_cbranch_scc1 .LBB220_16
; %bb.18:                               ;   in Loop: Header=BB220_17 Depth=1
	s_add_i32 s9, s0, 0xffffe080
	s_cmp_lt_i32 s9, s10
	s_cselect_b32 s12, s9, s11
	s_ashr_i32 s13, s12, 31
	s_add_i32 s9, s0, 0xffffe100
	s_cmp_lt_i32 s9, s10
	v_lshl_add_u64 v[14:15], s[12:13], 1, v[2:3]
	s_cselect_b32 s12, s9, s11
	s_ashr_i32 s13, s12, 31
	s_add_i32 s9, s0, 0xffffe180
	s_cmp_lt_i32 s9, s10
	v_lshl_add_u64 v[16:17], s[12:13], 1, v[2:3]
	;; [unrolled: 5-line block ×8, first 2 shown]
	s_cselect_b32 s12, s9, s11
	s_ashr_i32 s13, s12, 31
	s_add_i32 s9, s0, 0xffffe500
	s_cmp_lt_i32 s9, s10
	global_load_ushort v5, v[14:15], off
	global_load_ushort v6, v[16:17], off
	global_load_ushort v7, v[18:19], off
	global_load_ushort v8, v[20:21], off
	global_load_ushort v9, v[22:23], off
	global_load_ushort v10, v[24:25], off
	global_load_ushort v11, v[26:27], off
	global_load_ushort v12, v[28:29], off
	v_lshl_add_u64 v[14:15], s[12:13], 1, v[2:3]
	s_cselect_b32 s12, s9, s11
	s_ashr_i32 s13, s12, 31
	s_add_i32 s9, s0, 0xffffe580
	s_cmp_lt_i32 s9, s10
	v_lshl_add_u64 v[16:17], s[12:13], 1, v[2:3]
	s_cselect_b32 s12, s9, s11
	s_ashr_i32 s13, s12, 31
	s_add_i32 s9, s0, 0xffffe600
	s_cmp_lt_i32 s9, s10
	v_lshl_add_u64 v[18:19], s[12:13], 1, v[2:3]
	s_cselect_b32 s12, s9, s11
	s_ashr_i32 s13, s12, 31
	s_add_i32 s9, s0, 0xffffe680
	s_cmp_lt_i32 s9, s10
	v_lshl_add_u64 v[20:21], s[12:13], 1, v[2:3]
	s_cselect_b32 s12, s9, s11
	s_ashr_i32 s13, s12, 31
	s_add_i32 s9, s0, 0xffffe700
	s_cmp_lt_i32 s9, s10
	v_lshl_add_u64 v[22:23], s[12:13], 1, v[2:3]
	s_cselect_b32 s12, s9, s11
	s_ashr_i32 s13, s12, 31
	s_add_i32 s9, s0, 0xffffe780
	s_cmp_lt_i32 s9, s10
	v_lshl_add_u64 v[24:25], s[12:13], 1, v[2:3]
	s_cselect_b32 s12, s9, s11
	s_ashr_i32 s13, s12, 31
	s_add_i32 s9, s0, 0xffffe800
	s_cmp_lt_i32 s9, s10
	v_lshl_add_u64 v[26:27], s[12:13], 1, v[2:3]
	s_cselect_b32 s12, s9, s11
	s_ashr_i32 s13, s12, 31
	s_add_i32 s9, s0, 0xffffe880
	s_cmp_lt_i32 s9, s10
	v_lshl_add_u64 v[28:29], s[12:13], 1, v[2:3]
	s_cselect_b32 s12, s9, s11
	s_ashr_i32 s13, s12, 31
	s_add_i32 s9, s0, 0xffffe900
	s_cmp_lt_i32 s9, s10
	global_load_ushort v13, v[14:15], off
	global_load_ushort v30, v[16:17], off
	global_load_ushort v31, v[18:19], off
	global_load_ushort v32, v[20:21], off
	global_load_ushort v33, v[22:23], off
	global_load_ushort v34, v[24:25], off
	global_load_ushort v35, v[26:27], off
	global_load_ushort v36, v[28:29], off
	v_lshl_add_u64 v[14:15], s[12:13], 1, v[2:3]
	s_cselect_b32 s12, s9, s11
	s_ashr_i32 s13, s12, 31
	s_add_i32 s9, s0, 0xffffe980
	s_cmp_lt_i32 s9, s10
	v_lshl_add_u64 v[16:17], s[12:13], 1, v[2:3]
	s_cselect_b32 s12, s9, s11
	s_ashr_i32 s13, s12, 31
	s_add_i32 s9, s0, 0xffffea00
	s_cmp_lt_i32 s9, s10
	v_lshl_add_u64 v[18:19], s[12:13], 1, v[2:3]
	s_cselect_b32 s12, s9, s11
	s_ashr_i32 s13, s12, 31
	s_add_i32 s9, s0, 0xffffea80
	s_cmp_lt_i32 s9, s10
	v_lshl_add_u64 v[20:21], s[12:13], 1, v[2:3]
	s_cselect_b32 s12, s9, s11
	s_ashr_i32 s13, s12, 31
	s_add_i32 s9, s0, 0xffffeb00
	s_cmp_lt_i32 s9, s10
	v_lshl_add_u64 v[22:23], s[12:13], 1, v[2:3]
	s_cselect_b32 s12, s9, s11
	s_ashr_i32 s13, s12, 31
	s_add_i32 s9, s0, 0xffffeb80
	s_cmp_lt_i32 s9, s10
	v_lshl_add_u64 v[24:25], s[12:13], 1, v[2:3]
	s_cselect_b32 s12, s9, s11
	s_ashr_i32 s13, s12, 31
	s_add_i32 s9, s0, 0xffffec00
	s_cmp_lt_i32 s9, s10
	v_lshl_add_u64 v[26:27], s[12:13], 1, v[2:3]
	s_cselect_b32 s12, s9, s11
	s_ashr_i32 s13, s12, 31
	s_add_i32 s9, s0, 0xffffec80
	s_cmp_lt_i32 s9, s10
	v_lshl_add_u64 v[28:29], s[12:13], 1, v[2:3]
	;; [unrolled: 48-line block ×6, first 2 shown]
	s_cselect_b32 s12, s9, s11
	s_ashr_i32 s13, s12, 31
	s_add_i32 s9, s0, 0xfffffd00
	s_cmp_lt_i32 s9, s10
	global_load_ushort v69, v[14:15], off
	global_load_ushort v70, v[16:17], off
	;; [unrolled: 1-line block ×8, first 2 shown]
	v_lshl_add_u64 v[14:15], s[12:13], 1, v[2:3]
	s_cselect_b32 s12, s9, s11
	s_ashr_i32 s13, s12, 31
	s_add_i32 s9, s0, 0xfffffd80
	s_cmp_lt_i32 s9, s10
	v_lshl_add_u64 v[16:17], s[12:13], 1, v[2:3]
	s_cselect_b32 s12, s9, s11
	s_ashr_i32 s13, s12, 31
	s_add_i32 s9, s0, 0xfffffe00
	s_cmp_lt_i32 s9, s10
	v_lshl_add_u64 v[18:19], s[12:13], 1, v[2:3]
	s_cselect_b32 s12, s9, s11
	s_ashr_i32 s13, s12, 31
	s_add_i32 s9, s0, 0xfffffe80
	s_cmp_lt_i32 s9, s10
	v_lshl_add_u64 v[20:21], s[12:13], 1, v[2:3]
	s_cselect_b32 s12, s9, s11
	s_ashr_i32 s13, s12, 31
	s_add_i32 s9, s0, 0xffffff00
	s_cmp_lt_i32 s9, s10
	v_lshl_add_u64 v[22:23], s[12:13], 1, v[2:3]
	s_cselect_b32 s12, s9, s11
	s_ashr_i32 s13, s12, 31
	s_add_i32 s9, s0, 0xffffff80
	s_cmp_lt_i32 s9, s10
	v_lshl_add_u64 v[24:25], s[12:13], 1, v[2:3]
	s_cselect_b32 s12, s9, s11
	s_ashr_i32 s13, s12, 31
	s_cmp_lt_i32 s0, s10
	v_lshl_add_u64 v[26:27], s[12:13], 1, v[2:3]
	s_cselect_b32 s12, s0, s11
	s_ashr_i32 s13, s12, 31
	v_lshl_add_u64 v[28:29], s[12:13], 1, v[2:3]
	global_load_ushort v77, v[14:15], off
	global_load_ushort v78, v[16:17], off
	;; [unrolled: 1-line block ×8, first 2 shown]
	v_mov_b32_e32 v85, s1
	ds_read_b128 v[14:17], v85
	ds_read_b128 v[18:21], v85 offset:16
	ds_read_b128 v[22:25], v85 offset:32
	;; [unrolled: 1-line block ×3, first 2 shown]
	s_waitcnt vmcnt(62) lgkmcnt(3)
	v_fma_mix_f32 v4, v14, v5, v4 op_sel_hi:[0,1,0]
	v_fma_mix_f32 v4, v15, v6, v4 op_sel_hi:[0,1,0]
	s_waitcnt vmcnt(61)
	v_fma_mix_f32 v4, v16, v7, v4 op_sel_hi:[0,1,0]
	s_waitcnt vmcnt(60)
	v_fma_mix_f32 v4, v17, v8, v4 op_sel_hi:[0,1,0]
	s_waitcnt vmcnt(59) lgkmcnt(2)
	v_fma_mix_f32 v4, v18, v9, v4 op_sel_hi:[0,1,0]
	s_waitcnt vmcnt(58)
	v_fma_mix_f32 v4, v19, v10, v4 op_sel_hi:[0,1,0]
	s_waitcnt vmcnt(57)
	;; [unrolled: 2-line block ×3, first 2 shown]
	v_fma_mix_f32 v4, v21, v12, v4 op_sel_hi:[0,1,0]
	s_waitcnt vmcnt(55) lgkmcnt(1)
	v_fma_mix_f32 v4, v22, v13, v4 op_sel_hi:[0,1,0]
	s_waitcnt vmcnt(54)
	v_fma_mix_f32 v4, v23, v30, v4 op_sel_hi:[0,1,0]
	s_waitcnt vmcnt(53)
	v_fma_mix_f32 v4, v24, v31, v4 op_sel_hi:[0,1,0]
	s_waitcnt vmcnt(52)
	v_fma_mix_f32 v4, v25, v32, v4 op_sel_hi:[0,1,0]
	s_waitcnt vmcnt(51) lgkmcnt(0)
	v_fma_mix_f32 v8, v26, v33, v4 op_sel_hi:[0,1,0]
	ds_read_b128 v[4:7], v85 offset:64
	s_waitcnt vmcnt(50)
	v_fma_mix_f32 v8, v27, v34, v8 op_sel_hi:[0,1,0]
	s_waitcnt vmcnt(49)
	v_fma_mix_f32 v8, v28, v35, v8 op_sel_hi:[0,1,0]
	s_waitcnt vmcnt(48)
	v_fma_mix_f32 v12, v29, v36, v8 op_sel_hi:[0,1,0]
	ds_read_b128 v[8:11], v85 offset:80
	s_waitcnt vmcnt(47) lgkmcnt(1)
	v_fma_mix_f32 v4, v4, v37, v12 op_sel_hi:[0,1,0]
	s_waitcnt vmcnt(46)
	v_fma_mix_f32 v4, v5, v38, v4 op_sel_hi:[0,1,0]
	s_waitcnt vmcnt(45)
	v_fma_mix_f32 v4, v6, v39, v4 op_sel_hi:[0,1,0]
	s_waitcnt vmcnt(44)
	v_fma_mix_f32 v4, v7, v40, v4 op_sel_hi:[0,1,0]
	s_waitcnt vmcnt(43) lgkmcnt(0)
	v_fma_mix_f32 v8, v8, v41, v4 op_sel_hi:[0,1,0]
	ds_read_b128 v[4:7], v85 offset:96
	s_waitcnt vmcnt(42)
	v_fma_mix_f32 v8, v9, v42, v8 op_sel_hi:[0,1,0]
	s_waitcnt vmcnt(41)
	v_fma_mix_f32 v8, v10, v43, v8 op_sel_hi:[0,1,0]
	s_waitcnt vmcnt(40)
	v_fma_mix_f32 v12, v11, v44, v8 op_sel_hi:[0,1,0]
	ds_read_b128 v[8:11], v85 offset:112
	;; [unrolled: 18-line block ×6, first 2 shown]
	s_waitcnt vmcnt(7) lgkmcnt(1)
	v_fma_mix_f32 v4, v4, v77, v12 op_sel_hi:[0,1,0]
	s_waitcnt vmcnt(6)
	v_fma_mix_f32 v4, v5, v78, v4 op_sel_hi:[0,1,0]
	s_waitcnt vmcnt(5)
	;; [unrolled: 2-line block ×3, first 2 shown]
	v_fma_mix_f32 v4, v7, v80, v4 op_sel_hi:[0,1,0]
	s_waitcnt vmcnt(3) lgkmcnt(0)
	v_fma_mix_f32 v4, v8, v81, v4 op_sel_hi:[0,1,0]
	s_waitcnt vmcnt(2)
	v_fma_mix_f32 v4, v9, v82, v4 op_sel_hi:[0,1,0]
	s_waitcnt vmcnt(1)
	;; [unrolled: 2-line block ×3, first 2 shown]
	v_fma_mix_f32 v4, v11, v84, v4 op_sel_hi:[0,1,0]
	s_branch .LBB220_16
.LBB220_19:
	v_mov_b32_e32 v2, 0
	ds_read_b32 v2, v2 offset:2304
	s_cmp_lg_u64 s[6:7], 0
	s_cbranch_scc0 .LBB220_24
; %bb.20:
	s_load_dword s6, s[6:7], 0x0
	s_waitcnt lgkmcnt(0)
	v_div_scale_f32 v3, s[0:1], s6, s6, 1.0
	v_rcp_f32_e32 v5, v3
	v_div_scale_f32 v6, vcc, 1.0, s6, 1.0
	v_fma_f32 v7, -v3, v5, 1.0
	v_fmac_f32_e32 v5, v7, v5
	v_mul_f32_e32 v7, v6, v5
	v_fma_f32 v8, -v3, v7, v6
	v_fmac_f32_e32 v7, v8, v5
	v_fma_f32 v3, -v3, v7, v6
	v_div_fmas_f32 v3, v3, v5, v7
	v_div_fixup_f32 v3, v3, s6, 1.0
	s_andn2_b64 vcc, exec, s[36:37]
	s_cbranch_vccnz .LBB220_22
.LBB220_21:
	s_add_u32 s0, s34, s38
	s_addc_u32 s1, s35, s39
	s_load_dword s22, s[0:1], 0x0
	s_mov_b32 s23, 0
.LBB220_22:
	s_waitcnt lgkmcnt(0)
	v_add_f32_e32 v2, 0x358637bd, v2
	v_div_scale_f32 v5, s[0:1], v2, v2, 1.0
	v_rcp_f32_e32 v6, v5
	v_div_scale_f32 v7, vcc, 1.0, v2, 1.0
	s_mul_i32 s0, s3, s23
	v_fma_f32 v8, -v5, v6, 1.0
	v_fmac_f32_e32 v6, v8, v6
	v_mul_f32_e32 v8, v7, v6
	v_fma_f32 v9, -v5, v8, v7
	v_fmac_f32_e32 v8, v9, v6
	v_fma_f32 v5, -v5, v8, v7
	s_mul_hi_u32 s1, s3, s22
	v_div_fmas_f32 v5, v5, v6, v8
	s_add_i32 s1, s1, s0
	s_mul_i32 s0, s3, s22
	v_div_fixup_f32 v2, v5, v2, 1.0
	s_lshl_b64 s[0:1], s[0:1], 7
	v_mul_f32_e32 v2, v4, v2
	s_add_u32 s4, s4, s0
	s_mov_b32 s3, 0
	v_mul_f32_e32 v2, v2, v3
	s_addc_u32 s5, s5, s1
	s_lshl_b64 s[0:1], s[2:3], 7
	s_mov_b32 s2, 0x7f800000
	s_mov_b32 s3, 0x43700000
	v_mov_b32_e32 v3, 0xc3700000
	v_med3_f32 v3, v2, s3, v3
	v_cmp_nlg_f32_e64 vcc, |v2|, s2
	s_add_u32 s0, s4, s0
	s_addc_u32 s1, s5, s1
	v_cndmask_b32_e32 v2, v3, v2, vcc
	v_mov_b32_e32 v3, 0
	v_cvt_pk_fp8_f32 v3, v2, v2
	v_lshl_add_u64 v[0:1], s[0:1], 0, v[0:1]
	global_store_byte v[0:1], v3, off
	s_endpgm
.LBB220_23:
	s_mov_b64 s[6:7], 0
	s_branch .LBB220_2
.LBB220_24:
	v_mov_b32_e32 v3, 1.0
	s_andn2_b64 vcc, exec, s[36:37]
	s_cbranch_vccz .LBB220_21
	s_branch .LBB220_22
	.section	.rodata,"a",@progbits
	.p2align	6, 0x0
	.amdhsa_kernel _Z35paged_attention_ll4mi_reduce_kernelIDF16_hLi128ELi128ELi256ELi9EEvPT0_PKfS3_PKT_PKiS8_iS3_
		.amdhsa_group_segment_fixed_size 2308
		.amdhsa_private_segment_fixed_size 0
		.amdhsa_kernarg_size 320
		.amdhsa_user_sgpr_count 2
		.amdhsa_user_sgpr_dispatch_ptr 0
		.amdhsa_user_sgpr_queue_ptr 0
		.amdhsa_user_sgpr_kernarg_segment_ptr 1
		.amdhsa_user_sgpr_dispatch_id 0
		.amdhsa_user_sgpr_kernarg_preload_length 0
		.amdhsa_user_sgpr_kernarg_preload_offset 0
		.amdhsa_user_sgpr_private_segment_size 0
		.amdhsa_uses_dynamic_stack 0
		.amdhsa_enable_private_segment 0
		.amdhsa_system_sgpr_workgroup_id_x 1
		.amdhsa_system_sgpr_workgroup_id_y 1
		.amdhsa_system_sgpr_workgroup_id_z 0
		.amdhsa_system_sgpr_workgroup_info 0
		.amdhsa_system_vgpr_workitem_id 0
		.amdhsa_next_free_vgpr 92
		.amdhsa_next_free_sgpr 47
		.amdhsa_accum_offset 92
		.amdhsa_reserve_vcc 1
		.amdhsa_float_round_mode_32 0
		.amdhsa_float_round_mode_16_64 0
		.amdhsa_float_denorm_mode_32 3
		.amdhsa_float_denorm_mode_16_64 3
		.amdhsa_dx10_clamp 1
		.amdhsa_ieee_mode 1
		.amdhsa_fp16_overflow 0
		.amdhsa_tg_split 0
		.amdhsa_exception_fp_ieee_invalid_op 0
		.amdhsa_exception_fp_denorm_src 0
		.amdhsa_exception_fp_ieee_div_zero 0
		.amdhsa_exception_fp_ieee_overflow 0
		.amdhsa_exception_fp_ieee_underflow 0
		.amdhsa_exception_fp_ieee_inexact 0
		.amdhsa_exception_int_div_zero 0
	.end_amdhsa_kernel
	.section	.text._Z35paged_attention_ll4mi_reduce_kernelIDF16_hLi128ELi128ELi256ELi9EEvPT0_PKfS3_PKT_PKiS8_iS3_,"axG",@progbits,_Z35paged_attention_ll4mi_reduce_kernelIDF16_hLi128ELi128ELi256ELi9EEvPT0_PKfS3_PKT_PKiS8_iS3_,comdat
.Lfunc_end220:
	.size	_Z35paged_attention_ll4mi_reduce_kernelIDF16_hLi128ELi128ELi256ELi9EEvPT0_PKfS3_PKT_PKiS8_iS3_, .Lfunc_end220-_Z35paged_attention_ll4mi_reduce_kernelIDF16_hLi128ELi128ELi256ELi9EEvPT0_PKfS3_PKT_PKiS8_iS3_
                                        ; -- End function
	.section	.AMDGPU.csdata,"",@progbits
; Kernel info:
; codeLenInByte = 9404
; NumSgprs: 53
; NumVgprs: 92
; NumAgprs: 0
; TotalNumVgprs: 92
; ScratchSize: 0
; MemoryBound: 0
; FloatMode: 240
; IeeeMode: 1
; LDSByteSize: 2308 bytes/workgroup (compile time only)
; SGPRBlocks: 6
; VGPRBlocks: 11
; NumSGPRsForWavesPerEU: 53
; NumVGPRsForWavesPerEU: 92
; AccumOffset: 92
; Occupancy: 5
; WaveLimiterHint : 1
; COMPUTE_PGM_RSRC2:SCRATCH_EN: 0
; COMPUTE_PGM_RSRC2:USER_SGPR: 2
; COMPUTE_PGM_RSRC2:TRAP_HANDLER: 0
; COMPUTE_PGM_RSRC2:TGID_X_EN: 1
; COMPUTE_PGM_RSRC2:TGID_Y_EN: 1
; COMPUTE_PGM_RSRC2:TGID_Z_EN: 0
; COMPUTE_PGM_RSRC2:TIDIG_COMP_CNT: 0
; COMPUTE_PGM_RSRC3_GFX90A:ACCUM_OFFSET: 22
; COMPUTE_PGM_RSRC3_GFX90A:TG_SPLIT: 0
	.section	.text._Z35paged_attention_ll4mi_reduce_kernelIDF16_hLi128ELi128ELi256ELi10EEvPT0_PKfS3_PKT_PKiS8_iS3_,"axG",@progbits,_Z35paged_attention_ll4mi_reduce_kernelIDF16_hLi128ELi128ELi256ELi10EEvPT0_PKfS3_PKT_PKiS8_iS3_,comdat
	.protected	_Z35paged_attention_ll4mi_reduce_kernelIDF16_hLi128ELi128ELi256ELi10EEvPT0_PKfS3_PKT_PKiS8_iS3_ ; -- Begin function _Z35paged_attention_ll4mi_reduce_kernelIDF16_hLi128ELi128ELi256ELi10EEvPT0_PKfS3_PKT_PKiS8_iS3_
	.globl	_Z35paged_attention_ll4mi_reduce_kernelIDF16_hLi128ELi128ELi256ELi10EEvPT0_PKfS3_PKT_PKiS8_iS3_
	.p2align	8
	.type	_Z35paged_attention_ll4mi_reduce_kernelIDF16_hLi128ELi128ELi256ELi10EEvPT0_PKfS3_PKT_PKiS8_iS3_,@function
_Z35paged_attention_ll4mi_reduce_kernelIDF16_hLi128ELi128ELi256ELi10EEvPT0_PKfS3_PKT_PKiS8_iS3_: ; @_Z35paged_attention_ll4mi_reduce_kernelIDF16_hLi128ELi128ELi256ELi10EEvPT0_PKfS3_PKT_PKiS8_iS3_
; %bb.0:
	s_load_dwordx2 s[36:37], s[0:1], 0x28
	s_mov_b32 s34, s3
	s_mov_b64 s[4:5], 0
	s_waitcnt lgkmcnt(0)
	s_cmp_lg_u64 s[36:37], 0
	s_cselect_b64 s[38:39], -1, 0
	s_and_b64 vcc, exec, s[38:39]
	s_cbranch_vccz .LBB221_23
; %bb.1:
	s_add_i32 s6, s34, 1
	s_mov_b32 s7, 0
	s_lshl_b64 s[8:9], s[6:7], 2
	s_add_u32 s8, s36, s8
	s_mov_b32 s35, s7
	s_addc_u32 s9, s37, s9
	s_lshl_b64 s[6:7], s[34:35], 2
	s_add_u32 s6, s36, s6
	s_addc_u32 s7, s37, s7
	s_load_dword s3, s[8:9], 0x0
	s_load_dword s10, s[6:7], 0x0
	s_waitcnt lgkmcnt(0)
	s_sub_i32 s3, s3, s10
	s_cmp_eq_u32 s3, 1
	s_cselect_b64 s[6:7], -1, 0
	s_andn2_b64 vcc, exec, s[4:5]
	s_cbranch_vccnz .LBB221_3
.LBB221_2:
	s_mov_b32 s35, 0
	s_mov_b64 s[6:7], -1
.LBB221_3:
	s_andn2_b64 vcc, exec, s[6:7]
	s_cbranch_vccz .LBB221_5
; %bb.4:
	s_endpgm
.LBB221_5:
	s_load_dwordx4 s[24:27], s[0:1], 0x18
	s_load_dword s8, s[0:1], 0x30
	s_lshl_b64 s[40:41], s[34:35], 2
	v_cmp_lt_u32_e32 vcc, 63, v0
	s_waitcnt lgkmcnt(0)
	s_add_u32 s4, s26, s40
	s_addc_u32 s5, s27, s41
	s_load_dword s48, s[4:5], 0x0
	s_load_dword s3, s[0:1], 0x40
	s_mul_i32 s26, s2, s8
	s_mul_i32 s6, s34, s8
	s_waitcnt lgkmcnt(0)
	s_add_i32 s7, s48, 0xff
	s_ashr_i32 s4, s7, 31
	s_lshr_b32 s4, s4, 24
	s_add_i32 s7, s7, s4
	s_and_saveexec_b64 s[4:5], vcc
	s_xor_b64 s[4:5], exec, s[4:5]
	s_or_saveexec_b64 s[42:43], s[4:5]
	s_ashr_i32 s33, s7, 8
	v_mov_b32_e32 v1, s26
	s_mul_i32 s44, s6, s3
	s_xor_b64 exec, exec, s[42:43]
	s_cbranch_execz .LBB221_9
; %bb.6:
	s_add_i32 s4, s33, -1
	v_or_b32_e32 v3, 64, v0
	v_mov_b32_e32 v1, s4
	v_cmp_gt_u32_e64 s[18:19], s33, v3
	s_load_dwordx4 s[28:31], s[0:1], 0x8
	s_mov_b32 s45, 0
	v_cndmask_b32_e64 v4, v1, v3, s[18:19]
	v_or_b32_e32 v3, 0x80, v0
	v_cmp_gt_u32_e64 s[16:17], s33, v3
	s_lshl_b64 s[46:47], s[44:45], 2
	s_mov_b32 s27, s45
	v_cndmask_b32_e64 v6, v1, v3, s[16:17]
	v_or_b32_e32 v3, 0xc0, v0
	v_cmp_gt_u32_e64 s[14:15], s33, v3
	v_cmp_gt_u32_e64 s[20:21], s33, v0
	s_waitcnt lgkmcnt(0)
	s_add_u32 s22, s30, s46
	v_cndmask_b32_e64 v8, v1, v3, s[14:15]
	v_or_b32_e32 v3, 0x100, v0
	v_cmp_gt_u32_e64 s[12:13], s33, v3
	v_cndmask_b32_e64 v2, v1, v0, s[20:21]
	s_addc_u32 s23, s31, s47
	v_cndmask_b32_e64 v10, v1, v3, s[12:13]
	v_or_b32_e32 v3, 0x140, v0
	v_cmp_gt_u32_e64 s[10:11], s33, v3
	s_lshl_b64 s[30:31], s[26:27], 2
	s_add_u32 s22, s22, s30
	v_cndmask_b32_e64 v12, v1, v3, s[10:11]
	v_or_b32_e32 v3, 0x180, v0
	v_cmp_gt_u32_e64 s[8:9], s33, v3
	s_addc_u32 s23, s23, s31
	v_ashrrev_i32_e32 v5, 31, v4
	v_cndmask_b32_e64 v14, v1, v3, s[8:9]
	v_or_b32_e32 v3, 0x1c0, v0
	v_cmp_gt_u32_e64 s[6:7], s33, v3
	v_ashrrev_i32_e32 v7, 31, v6
	v_ashrrev_i32_e32 v9, 31, v8
	v_cndmask_b32_e64 v16, v1, v3, s[6:7]
	v_or_b32_e32 v3, 0x200, v0
	v_cmp_gt_u32_e64 s[4:5], s33, v3
	v_ashrrev_i32_e32 v11, 31, v10
	v_ashrrev_i32_e32 v13, 31, v12
	v_cndmask_b32_e64 v18, v1, v3, s[4:5]
	v_or_b32_e32 v3, 0x240, v0
	v_cmp_gt_u32_e32 vcc, s33, v3
	v_ashrrev_i32_e32 v15, 31, v14
	v_ashrrev_i32_e32 v17, 31, v16
	v_cndmask_b32_e32 v20, v1, v3, vcc
	v_ashrrev_i32_e32 v3, 31, v2
	v_lshlrev_b64 v[2:3], 2, v[2:3]
	v_ashrrev_i32_e32 v19, 31, v18
	v_lshl_add_u64 v[22:23], s[22:23], 0, v[2:3]
	v_lshlrev_b64 v[4:5], 2, v[4:5]
	v_lshlrev_b64 v[6:7], 2, v[6:7]
	;; [unrolled: 1-line block ×8, first 2 shown]
	v_ashrrev_i32_e32 v21, 31, v20
	v_lshl_add_u64 v[24:25], s[22:23], 0, v[4:5]
	v_lshl_add_u64 v[26:27], s[22:23], 0, v[6:7]
	;; [unrolled: 1-line block ×7, first 2 shown]
	global_load_dword v1, v[22:23], off
	global_load_dword v38, v[24:25], off
	;; [unrolled: 1-line block ×8, first 2 shown]
	v_lshl_add_u64 v[22:23], s[22:23], 0, v[18:19]
	v_lshlrev_b64 v[20:21], 2, v[20:21]
	v_lshl_add_u64 v[24:25], s[22:23], 0, v[20:21]
	global_load_dword v26, v[22:23], off
	global_load_dword v27, v[24:25], off
	v_mbcnt_lo_u32_b32 v22, -1, 0
	v_mbcnt_hi_u32_b32 v22, -1, v22
	v_and_b32_e32 v23, 64, v22
	v_xor_b32_e32 v24, 32, v22
	v_add_u32_e32 v23, 64, v23
	v_cmp_lt_i32_e64 s[22:23], v24, v23
	v_xor_b32_e32 v25, 16, v22
	v_xor_b32_e32 v30, 8, v22
	v_cndmask_b32_e64 v24, v22, v24, s[22:23]
	v_lshlrev_b32_e32 v24, 2, v24
	v_cmp_lt_i32_e64 s[22:23], v25, v23
	s_mov_b32 s27, 0x3fb8aa3b
	s_waitcnt vmcnt(9)
	v_max_f32_e32 v29, v1, v1
	s_waitcnt vmcnt(8)
	v_max_f32_e32 v28, v38, v38
	v_max_f32_e32 v28, v29, v28
	s_waitcnt vmcnt(6)
	v_max3_f32 v28, v28, v39, v40
	v_cndmask_b32_e64 v25, v22, v25, s[22:23]
	s_waitcnt vmcnt(4)
	v_max3_f32 v28, v28, v41, v42
	v_lshlrev_b32_e32 v25, 2, v25
	s_waitcnt vmcnt(2)
	v_max3_f32 v28, v28, v43, v44
	v_cmp_lt_i32_e64 s[22:23], v30, v23
	s_waitcnt vmcnt(0)
	v_max3_f32 v28, v28, v26, v27
	ds_bpermute_b32 v29, v24, v28
	v_cndmask_b32_e64 v30, v22, v30, s[22:23]
	v_lshlrev_b32_e32 v30, 2, v30
	s_add_u32 s22, s28, s46
	s_addc_u32 s23, s29, s47
	s_waitcnt lgkmcnt(0)
	v_max_f32_e32 v29, v29, v29
	v_max_f32_e32 v28, v28, v29
	ds_bpermute_b32 v29, v25, v28
	s_add_u32 s28, s22, s30
	s_addc_u32 s29, s23, s31
	v_lshl_add_u64 v[2:3], s[28:29], 0, v[2:3]
	global_load_dword v31, v[2:3], off
	s_waitcnt lgkmcnt(0)
	v_max_f32_e32 v29, v29, v29
	v_max_f32_e32 v28, v28, v29
	ds_bpermute_b32 v29, v30, v28
	s_waitcnt lgkmcnt(0)
	v_max_f32_e32 v2, v29, v29
	v_max_f32_e32 v28, v28, v2
	v_xor_b32_e32 v2, 4, v22
	v_cmp_lt_i32_e64 s[22:23], v2, v23
	s_nop 1
	v_cndmask_b32_e64 v2, v22, v2, s[22:23]
	v_lshlrev_b32_e32 v29, 2, v2
	ds_bpermute_b32 v2, v29, v28
	s_waitcnt lgkmcnt(0)
	v_max_f32_e32 v32, v2, v2
	v_lshl_add_u64 v[2:3], s[28:29], 0, v[4:5]
	global_load_dword v33, v[2:3], off
	v_xor_b32_e32 v3, 2, v22
	v_cmp_lt_i32_e64 s[22:23], v3, v23
	v_max_f32_e32 v2, v28, v32
	v_xor_b32_e32 v4, 1, v22
	v_cndmask_b32_e64 v3, v22, v3, s[22:23]
	v_lshlrev_b32_e32 v28, 2, v3
	ds_bpermute_b32 v3, v28, v2
	v_cmp_lt_i32_e64 s[22:23], v4, v23
	s_waitcnt lgkmcnt(0)
	v_max_f32_e32 v3, v3, v3
	v_max_f32_e32 v32, v2, v3
	v_lshl_add_u64 v[2:3], s[28:29], 0, v[6:7]
	global_load_dword v34, v[2:3], off
	v_cndmask_b32_e64 v2, v22, v4, s[22:23]
	v_lshlrev_b32_e32 v22, 2, v2
	v_lshl_add_u64 v[2:3], s[28:29], 0, v[8:9]
	v_lshl_add_u64 v[4:5], s[28:29], 0, v[10:11]
	;; [unrolled: 1-line block ×5, first 2 shown]
	global_load_dword v12, v[2:3], off
	global_load_dword v13, v[4:5], off
	;; [unrolled: 1-line block ×5, first 2 shown]
	ds_bpermute_b32 v23, v22, v32
	v_lshl_add_u64 v[2:3], s[28:29], 0, v[18:19]
	s_waitcnt lgkmcnt(0)
	v_max_f32_e32 v4, v23, v23
	v_max_f32_e32 v6, v32, v4
	v_sub_f32_e32 v1, v1, v6
	v_mul_f32_e32 v4, 0x3fb8aa3b, v1
	v_fma_f32 v5, v1, s27, -v4
	v_rndne_f32_e32 v7, v4
	v_fmac_f32_e32 v5, 0x32a5705f, v1
	v_sub_f32_e32 v4, v4, v7
	v_add_f32_e32 v4, v4, v5
	v_exp_f32_e32 v8, v4
	v_cvt_i32_f32_e32 v7, v7
	v_lshl_add_u64 v[4:5], s[28:29], 0, v[20:21]
	global_load_dword v9, v[2:3], off
	global_load_dword v10, v[4:5], off
	v_sub_f32_e32 v4, v38, v6
	v_mul_f32_e32 v5, 0x3fb8aa3b, v4
	v_ldexp_f32 v2, v8, v7
	v_fma_f32 v7, v4, s27, -v5
	v_rndne_f32_e32 v8, v5
	v_fmac_f32_e32 v7, 0x32a5705f, v4
	v_sub_f32_e32 v5, v5, v8
	v_add_f32_e32 v5, v5, v7
	v_exp_f32_e32 v5, v5
	v_cvt_i32_f32_e32 v7, v8
	s_mov_b32 s28, 0xc2ce8ed0
	v_cmp_ngt_f32_e64 s[22:23], s28, v1
	s_mov_b32 s29, 0x42b17218
	v_mov_b32_e32 v3, 0x7f800000
	v_cndmask_b32_e64 v2, 0, v2, s[22:23]
	v_cmp_nlt_f32_e64 s[22:23], s29, v1
	s_nop 1
	v_cndmask_b32_e64 v1, v3, v2, s[22:23]
	v_ldexp_f32 v2, v5, v7
	v_sub_f32_e32 v5, v39, v6
	v_mul_f32_e32 v7, 0x3fb8aa3b, v5
	v_fma_f32 v8, v5, s27, -v7
	v_rndne_f32_e32 v11, v7
	v_fmac_f32_e32 v8, 0x32a5705f, v5
	v_sub_f32_e32 v7, v7, v11
	v_add_f32_e32 v7, v7, v8
	v_exp_f32_e32 v7, v7
	v_cvt_i32_f32_e32 v8, v11
	v_cndmask_b32_e64 v1, 0, v1, s[20:21]
	v_cmp_ngt_f32_e64 s[20:21], s28, v4
	s_waitcnt vmcnt(9)
	v_mul_f32_e32 v1, v31, v1
	v_cndmask_b32_e64 v2, 0, v2, s[20:21]
	v_cmp_nlt_f32_e64 s[20:21], s29, v4
	v_ldexp_f32 v4, v7, v8
	v_sub_f32_e32 v7, v40, v6
	v_mul_f32_e32 v8, 0x3fb8aa3b, v7
	v_fma_f32 v11, v7, s27, -v8
	v_rndne_f32_e32 v17, v8
	v_fmac_f32_e32 v11, 0x32a5705f, v7
	v_sub_f32_e32 v8, v8, v17
	v_add_f32_e32 v8, v8, v11
	v_exp_f32_e32 v8, v8
	v_cvt_i32_f32_e32 v11, v17
	v_cndmask_b32_e64 v2, v3, v2, s[20:21]
	v_cndmask_b32_e64 v2, 0, v2, s[18:19]
	v_cmp_ngt_f32_e64 s[18:19], s28, v5
	s_waitcnt vmcnt(8)
	v_mul_f32_e32 v2, v33, v2
	v_cndmask_b32_e64 v4, 0, v4, s[18:19]
	v_cmp_nlt_f32_e64 s[18:19], s29, v5
	v_ldexp_f32 v5, v8, v11
	v_sub_f32_e32 v8, v41, v6
	v_mul_f32_e32 v11, 0x3fb8aa3b, v8
	v_fma_f32 v17, v8, s27, -v11
	v_rndne_f32_e32 v18, v11
	v_fmac_f32_e32 v17, 0x32a5705f, v8
	v_sub_f32_e32 v11, v11, v18
	v_add_f32_e32 v11, v11, v17
	v_cndmask_b32_e64 v4, v3, v4, s[18:19]
	v_exp_f32_e32 v11, v11
	v_cvt_i32_f32_e32 v17, v18
	v_cndmask_b32_e64 v4, 0, v4, s[16:17]
	v_cmp_ngt_f32_e64 s[16:17], s28, v7
	s_waitcnt vmcnt(7)
	v_mul_f32_e32 v4, v34, v4
	v_cndmask_b32_e64 v5, 0, v5, s[16:17]
	v_cmp_nlt_f32_e64 s[16:17], s29, v7
	v_ldexp_f32 v7, v11, v17
	v_sub_f32_e32 v11, v42, v6
	v_cndmask_b32_e64 v5, v3, v5, s[16:17]
	v_cndmask_b32_e64 v5, 0, v5, s[14:15]
	s_waitcnt vmcnt(6)
	v_mul_f32_e32 v5, v12, v5
	v_mul_f32_e32 v12, 0x3fb8aa3b, v11
	v_fma_f32 v17, v11, s27, -v12
	v_rndne_f32_e32 v18, v12
	v_fmac_f32_e32 v17, 0x32a5705f, v11
	v_sub_f32_e32 v12, v12, v18
	v_add_f32_e32 v12, v12, v17
	v_exp_f32_e32 v12, v12
	v_cvt_i32_f32_e32 v17, v18
	v_cmp_ngt_f32_e64 s[14:15], s28, v8
	s_nop 1
	v_cndmask_b32_e64 v7, 0, v7, s[14:15]
	v_cmp_nlt_f32_e64 s[14:15], s29, v8
	v_ldexp_f32 v8, v12, v17
	v_sub_f32_e32 v12, v43, v6
	v_cndmask_b32_e64 v7, v3, v7, s[14:15]
	v_cndmask_b32_e64 v7, 0, v7, s[12:13]
	s_waitcnt vmcnt(5)
	v_mul_f32_e32 v7, v13, v7
	v_mul_f32_e32 v13, 0x3fb8aa3b, v12
	v_fma_f32 v17, v12, s27, -v13
	v_rndne_f32_e32 v18, v13
	v_fmac_f32_e32 v17, 0x32a5705f, v12
	v_sub_f32_e32 v13, v13, v18
	v_add_f32_e32 v13, v13, v17
	v_exp_f32_e32 v13, v13
	v_cvt_i32_f32_e32 v17, v18
	v_cmp_ngt_f32_e64 s[12:13], s28, v11
	s_nop 1
	v_cndmask_b32_e64 v8, 0, v8, s[12:13]
	v_cmp_nlt_f32_e64 s[12:13], s29, v11
	v_ldexp_f32 v11, v13, v17
	v_sub_f32_e32 v13, v44, v6
	v_cndmask_b32_e64 v8, v3, v8, s[12:13]
	v_cndmask_b32_e64 v8, 0, v8, s[10:11]
	s_waitcnt vmcnt(4)
	v_mul_f32_e32 v8, v14, v8
	v_mul_f32_e32 v14, 0x3fb8aa3b, v13
	v_fma_f32 v17, v13, s27, -v14
	v_rndne_f32_e32 v18, v14
	v_fmac_f32_e32 v17, 0x32a5705f, v13
	v_sub_f32_e32 v14, v14, v18
	v_add_f32_e32 v14, v14, v17
	v_exp_f32_e32 v14, v14
	v_cvt_i32_f32_e32 v17, v18
	v_cmp_ngt_f32_e64 s[10:11], s28, v12
	s_nop 1
	v_cndmask_b32_e64 v11, 0, v11, s[10:11]
	v_cmp_nlt_f32_e64 s[10:11], s29, v12
	v_ldexp_f32 v12, v14, v17
	v_sub_f32_e32 v14, v26, v6
	v_mul_f32_e32 v17, 0x3fb8aa3b, v14
	v_fma_f32 v18, v14, s27, -v17
	v_rndne_f32_e32 v19, v17
	v_fmac_f32_e32 v18, 0x32a5705f, v14
	v_sub_f32_e32 v17, v17, v19
	v_add_f32_e32 v17, v17, v18
	v_exp_f32_e32 v17, v17
	v_cvt_i32_f32_e32 v18, v19
	v_cndmask_b32_e64 v11, v3, v11, s[10:11]
	v_cndmask_b32_e64 v11, 0, v11, s[8:9]
	v_cmp_ngt_f32_e64 s[8:9], s28, v13
	v_sub_f32_e32 v6, v27, v6
	s_nop 0
	v_cndmask_b32_e64 v12, 0, v12, s[8:9]
	v_cmp_nlt_f32_e64 s[8:9], s29, v13
	v_ldexp_f32 v13, v17, v18
	v_mul_f32_e32 v17, 0x3fb8aa3b, v6
	v_fma_f32 v18, v6, s27, -v17
	v_rndne_f32_e32 v19, v17
	v_fmac_f32_e32 v18, 0x32a5705f, v6
	v_sub_f32_e32 v17, v17, v19
	v_add_f32_e32 v17, v17, v18
	v_cndmask_b32_e64 v12, v3, v12, s[8:9]
	v_exp_f32_e32 v17, v17
	v_cvt_i32_f32_e32 v18, v19
	v_cndmask_b32_e64 v12, 0, v12, s[6:7]
	v_cmp_ngt_f32_e64 s[6:7], s28, v14
	s_nop 1
	v_cndmask_b32_e64 v13, 0, v13, s[6:7]
	v_cmp_nlt_f32_e64 s[6:7], s29, v14
	v_ldexp_f32 v14, v17, v18
	s_nop 0
	v_cndmask_b32_e64 v13, v3, v13, s[6:7]
	v_cndmask_b32_e64 v13, 0, v13, s[4:5]
	v_cmp_ngt_f32_e64 s[4:5], s28, v6
	s_nop 1
	v_cndmask_b32_e64 v14, 0, v14, s[4:5]
	v_cmp_nlt_f32_e64 s[4:5], s29, v6
	v_add_f32_e32 v6, v1, v2
	v_add_f32_e32 v6, v6, v4
	;; [unrolled: 1-line block ×5, first 2 shown]
	s_waitcnt vmcnt(3)
	v_fmac_f32_e32 v6, v15, v11
	v_cndmask_b32_e64 v3, v3, v14, s[4:5]
	s_waitcnt vmcnt(2)
	v_fmac_f32_e32 v6, v16, v12
	v_cndmask_b32_e32 v3, 0, v3, vcc
	s_waitcnt vmcnt(1)
	v_fmac_f32_e32 v6, v9, v13
	s_waitcnt vmcnt(0)
	v_fmac_f32_e32 v6, v10, v3
	ds_bpermute_b32 v14, v24, v6
	v_mul_f32_e32 v9, v9, v13
	v_mul_f32_e32 v3, v10, v3
	v_lshlrev_b32_e32 v10, 2, v0
	ds_write2st64_b32 v10, v1, v2 offset1:1
	ds_write2st64_b32 v10, v4, v5 offset0:2 offset1:3
	s_waitcnt lgkmcnt(2)
	v_add_f32_e32 v6, v6, v14
	ds_bpermute_b32 v14, v25, v6
	v_cmp_eq_u32_e32 vcc, 0, v0
	v_mul_f32_e32 v11, v15, v11
	v_mul_f32_e32 v12, v16, v12
	ds_write2st64_b32 v10, v7, v8 offset0:4 offset1:5
	ds_write2st64_b32 v10, v11, v12 offset0:6 offset1:7
	;; [unrolled: 1-line block ×3, first 2 shown]
	s_waitcnt lgkmcnt(3)
	v_add_f32_e32 v6, v6, v14
	ds_bpermute_b32 v14, v30, v6
	s_waitcnt lgkmcnt(0)
	v_add_f32_e32 v6, v6, v14
	ds_bpermute_b32 v14, v29, v6
	;; [unrolled: 3-line block ×4, first 2 shown]
	s_and_saveexec_b64 s[4:5], vcc
	s_cbranch_execz .LBB221_8
; %bb.7:
	s_waitcnt lgkmcnt(0)
	v_add_f32_e32 v1, v1, v2
	v_mov_b32_e32 v2, 0
	ds_write_b32 v2, v1 offset:2560
.LBB221_8:
	s_or_b64 exec, exec, s[4:5]
	v_mov_b32_e32 v1, s26
.LBB221_9:
	s_or_b64 exec, exec, s[42:43]
	s_lshl_b32 s4, s44, 7
	s_mov_b32 s5, 0
	s_lshl_b64 s[4:5], s[4:5], 1
	s_add_u32 s4, s24, s4
	s_addc_u32 s5, s25, s5
	s_lshl_b32 s10, s33, 7
	s_waitcnt lgkmcnt(0)
	v_lshlrev_b32_e32 v2, 7, v1
	v_mov_b32_e32 v1, 0
	s_add_i32 s11, s10, 0xffffff80
	v_mov_b32_e32 v3, v1
	s_cmp_lt_i32 s48, 1
	v_lshl_add_u64 v[2:3], v[2:3], 1, s[4:5]
	s_cselect_b32 s4, s11, 0
	v_lshlrev_b32_e32 v4, 1, v0
	v_mov_b32_e32 v5, v1
	s_ashr_i32 s5, s4, 31
	v_lshl_add_u64 v[2:3], v[2:3], 0, v[4:5]
	s_cmpk_lt_i32 s48, 0x101
	v_lshl_add_u64 v[12:13], s[4:5], 1, v[2:3]
	s_cselect_b32 s4, s11, 0x80
	s_ashr_i32 s5, s4, 31
	s_cmpk_lt_i32 s48, 0x201
	v_lshl_add_u64 v[14:15], s[4:5], 1, v[2:3]
	s_cselect_b32 s4, s11, 0x100
	s_ashr_i32 s5, s4, 31
	;; [unrolled: 4-line block ×8, first 2 shown]
	s_cmpk_lt_i32 s48, 0x901
	global_load_ushort v4, v[12:13], off
	global_load_ushort v5, v[14:15], off
	;; [unrolled: 1-line block ×8, first 2 shown]
	v_lshl_add_u64 v[20:21], s[4:5], 1, v[2:3]
	s_cselect_b32 s4, s11, 0x480
	s_ashr_i32 s5, s4, 31
	s_cmpk_lt_i32 s48, 0xa01
	v_lshl_add_u64 v[22:23], s[4:5], 1, v[2:3]
	s_cselect_b32 s4, s11, 0x500
	s_ashr_i32 s5, s4, 31
	s_cmpk_lt_i32 s48, 0xb01
	v_lshl_add_u64 v[24:25], s[4:5], 1, v[2:3]
	s_cselect_b32 s4, s11, 0x580
	s_ashr_i32 s5, s4, 31
	s_cmpk_lt_i32 s48, 0xc01
	v_lshl_add_u64 v[26:27], s[4:5], 1, v[2:3]
	s_cselect_b32 s4, s11, 0x600
	s_ashr_i32 s5, s4, 31
	s_cmpk_lt_i32 s48, 0xd01
	v_lshl_add_u64 v[28:29], s[4:5], 1, v[2:3]
	s_cselect_b32 s4, s11, 0x680
	s_ashr_i32 s5, s4, 31
	s_cmpk_lt_i32 s48, 0xe01
	v_lshl_add_u64 v[30:31], s[4:5], 1, v[2:3]
	s_cselect_b32 s4, s11, 0x700
	s_ashr_i32 s5, s4, 31
	s_cmpk_lt_i32 s48, 0xf01
	v_lshl_add_u64 v[32:33], s[4:5], 1, v[2:3]
	s_cselect_b32 s4, s11, 0x780
	s_ashr_i32 s5, s4, 31
	v_lshl_add_u64 v[34:35], s[4:5], 1, v[2:3]
	global_load_ushort v12, v[20:21], off
	global_load_ushort v13, v[22:23], off
	;; [unrolled: 1-line block ×8, first 2 shown]
	s_cmpk_gt_i32 s48, 0x1000
	s_cselect_b64 s[8:9], -1, 0
	s_cmpk_lt_i32 s48, 0x1001
	v_mov_b32_e32 v36, 0
	v_mov_b32_e32 v37, 0
	;; [unrolled: 1-line block ×48, first 2 shown]
	s_barrier
	s_cbranch_scc1 .LBB221_12
; %bb.10:
	s_cmpk_lt_u32 s48, 0x1101
	s_cselect_b32 s4, s11, 0x880
	s_ashr_i32 s5, s4, 31
	s_cmpk_lt_u32 s48, 0x1201
	v_lshl_add_u64 v[30:31], s[4:5], 1, v[2:3]
	s_cselect_b32 s4, s11, 0x900
	s_ashr_i32 s5, s4, 31
	s_cmpk_lt_u32 s48, 0x1301
	v_lshl_add_u64 v[32:33], s[4:5], 1, v[2:3]
	;; [unrolled: 4-line block ×7, first 2 shown]
	s_cselect_b32 s4, s11, 0xc00
	v_add_co_u32_e32 v28, vcc, 0x1000, v2
	s_ashr_i32 s5, s4, 31
	s_nop 0
	v_addc_co_u32_e32 v29, vcc, 0, v3, vcc
	s_cmpk_lt_u32 s48, 0x1901
	global_load_ushort v27, v[28:29], off
	global_load_ushort v26, v[30:31], off
	;; [unrolled: 1-line block ×8, first 2 shown]
	v_lshl_add_u64 v[36:37], s[4:5], 1, v[2:3]
	s_cselect_b32 s4, s11, 0xc80
	s_ashr_i32 s5, s4, 31
	s_cmpk_lt_u32 s48, 0x1a01
	v_lshl_add_u64 v[38:39], s[4:5], 1, v[2:3]
	s_cselect_b32 s4, s11, 0xd00
	s_ashr_i32 s5, s4, 31
	s_cmpk_lt_u32 s48, 0x1b01
	;; [unrolled: 4-line block ×6, first 2 shown]
	v_lshl_add_u64 v[48:49], s[4:5], 1, v[2:3]
	s_cselect_b32 s4, s11, 0xf80
	s_ashr_i32 s5, s4, 31
	v_lshl_add_u64 v[50:51], s[4:5], 1, v[2:3]
	global_load_ushort v35, v[36:37], off
	global_load_ushort v34, v[38:39], off
	;; [unrolled: 1-line block ×8, first 2 shown]
	s_cmpk_lt_u32 s48, 0x2001
	v_mov_b32_e32 v67, 0
	v_mov_b32_e32 v66, 0
	v_mov_b32_e32 v65, 0
	v_mov_b32_e32 v64, 0
	v_mov_b32_e32 v63, 0
	v_mov_b32_e32 v62, 0
	v_mov_b32_e32 v61, 0
	v_mov_b32_e32 v60, 0
	v_mov_b32_e32 v59, 0
	v_mov_b32_e32 v58, 0
	v_mov_b32_e32 v57, 0
	v_mov_b32_e32 v56, 0
	v_mov_b32_e32 v55, 0
	v_mov_b32_e32 v54, 0
	v_mov_b32_e32 v53, 0
	v_mov_b32_e32 v52, 0
	v_mov_b32_e32 v51, 0
	v_mov_b32_e32 v50, 0
	v_mov_b32_e32 v49, 0
	v_mov_b32_e32 v48, 0
	v_mov_b32_e32 v47, 0
	v_mov_b32_e32 v46, 0
	v_mov_b32_e32 v45, 0
	v_mov_b32_e32 v44, 0
	v_mov_b32_e32 v43, 0
	v_mov_b32_e32 v42, 0
	v_mov_b32_e32 v41, 0
	v_mov_b32_e32 v40, 0
	v_mov_b32_e32 v39, 0
	v_mov_b32_e32 v38, 0
	v_mov_b32_e32 v37, 0
	v_mov_b32_e32 v36, 0
	s_cbranch_scc1 .LBB221_12
; %bb.11:
	s_cmpk_lt_u32 s48, 0x2101
	s_cselect_b32 s4, s11, 0x1080
	s_ashr_i32 s5, s4, 31
	s_cmpk_lt_u32 s48, 0x2201
	v_lshl_add_u64 v[38:39], s[4:5], 1, v[2:3]
	s_cselect_b32 s4, s11, 0x1100
	s_ashr_i32 s5, s4, 31
	s_cmpk_lt_u32 s48, 0x2301
	v_lshl_add_u64 v[40:41], s[4:5], 1, v[2:3]
	;; [unrolled: 4-line block ×7, first 2 shown]
	s_cselect_b32 s4, s11, 0x1400
	v_add_co_u32_e32 v36, vcc, 0x2000, v2
	s_ashr_i32 s5, s4, 31
	s_nop 0
	v_addc_co_u32_e32 v37, vcc, 0, v3, vcc
	s_cmpk_lt_u32 s48, 0x2901
	global_load_ushort v52, v[36:37], off
	global_load_ushort v53, v[38:39], off
	;; [unrolled: 1-line block ×8, first 2 shown]
	v_lshl_add_u64 v[36:37], s[4:5], 1, v[2:3]
	s_cselect_b32 s4, s11, 0x1480
	s_ashr_i32 s5, s4, 31
	s_cmpk_lt_u32 s48, 0x2a01
	v_lshl_add_u64 v[38:39], s[4:5], 1, v[2:3]
	s_cselect_b32 s4, s11, 0x1500
	s_ashr_i32 s5, s4, 31
	s_cmpk_lt_u32 s48, 0x2b01
	;; [unrolled: 4-line block ×8, first 2 shown]
	global_load_ushort v68, v[36:37], off
	global_load_ushort v69, v[38:39], off
	;; [unrolled: 1-line block ×8, first 2 shown]
	v_lshl_add_u64 v[36:37], s[4:5], 1, v[2:3]
	s_cselect_b32 s4, s11, 0x1880
	s_ashr_i32 s5, s4, 31
	s_cmpk_lt_u32 s48, 0x3201
	v_lshl_add_u64 v[38:39], s[4:5], 1, v[2:3]
	s_cselect_b32 s4, s11, 0x1900
	s_ashr_i32 s5, s4, 31
	s_cmpk_lt_u32 s48, 0x3301
	;; [unrolled: 4-line block ×8, first 2 shown]
	global_load_ushort v76, v[36:37], off
	global_load_ushort v77, v[38:39], off
	;; [unrolled: 1-line block ×8, first 2 shown]
	v_lshl_add_u64 v[36:37], s[4:5], 1, v[2:3]
	s_cselect_b32 s4, s11, 0x1c80
	s_ashr_i32 s5, s4, 31
	s_cmpk_lt_u32 s48, 0x3a01
	v_lshl_add_u64 v[38:39], s[4:5], 1, v[2:3]
	s_cselect_b32 s4, s11, 0x1d00
	s_ashr_i32 s5, s4, 31
	s_cmpk_lt_u32 s48, 0x3b01
	;; [unrolled: 4-line block ×6, first 2 shown]
	v_lshl_add_u64 v[48:49], s[4:5], 1, v[2:3]
	s_cselect_b32 s4, s11, 0x1f80
	s_ashr_i32 s5, s4, 31
	v_lshl_add_u64 v[50:51], s[4:5], 1, v[2:3]
	global_load_ushort v84, v[36:37], off
	global_load_ushort v85, v[38:39], off
	;; [unrolled: 1-line block ×8, first 2 shown]
	s_waitcnt vmcnt(31)
	v_cvt_f32_f16_e32 v67, v52
	s_waitcnt vmcnt(30)
	v_cvt_f32_f16_e32 v66, v53
	;; [unrolled: 2-line block ×32, first 2 shown]
.LBB221_12:
	ds_read_b128 v[68:71], v1
	s_load_dwordx2 s[4:5], s[0:1], 0x0
	s_load_dwordx2 s[6:7], s[0:1], 0x38
	ds_read_b128 v[72:75], v1 offset:16
	ds_read_b128 v[76:79], v1 offset:32
	ds_read_b128 v[80:83], v1 offset:48
	s_and_b64 vcc, exec, s[8:9]
	s_waitcnt vmcnt(15) lgkmcnt(0)
	v_fma_mix_f32 v4, v68, v4, 0 op_sel_hi:[0,1,0]
	s_waitcnt vmcnt(14)
	v_fma_mix_f32 v4, v69, v5, v4 op_sel_hi:[0,1,0]
	s_waitcnt vmcnt(13)
	;; [unrolled: 2-line block ×15, first 2 shown]
	v_fma_mix_f32 v4, v83, v19, v4 op_sel_hi:[0,1,0]
	s_cbranch_vccz .LBB221_15
; %bb.13:
	ds_read_b128 v[6:9], v1 offset:64
	ds_read_b128 v[10:13], v1 offset:80
	;; [unrolled: 1-line block ×4, first 2 shown]
	s_cmpk_lt_u32 s48, 0x2001
	s_waitcnt lgkmcnt(3)
	v_fma_mix_f32 v4, v6, v27, v4 op_sel_hi:[0,1,0]
	v_fma_mix_f32 v4, v7, v26, v4 op_sel_hi:[0,1,0]
	v_fma_mix_f32 v4, v8, v25, v4 op_sel_hi:[0,1,0]
	v_fma_mix_f32 v4, v9, v24, v4 op_sel_hi:[0,1,0]
	s_waitcnt lgkmcnt(2)
	v_fma_mix_f32 v4, v10, v23, v4 op_sel_hi:[0,1,0]
	v_fma_mix_f32 v4, v11, v22, v4 op_sel_hi:[0,1,0]
	v_fma_mix_f32 v4, v12, v21, v4 op_sel_hi:[0,1,0]
	v_fma_mix_f32 v4, v13, v20, v4 op_sel_hi:[0,1,0]
	;; [unrolled: 5-line block ×4, first 2 shown]
	s_cbranch_scc1 .LBB221_15
; %bb.14:
	v_mov_b32_e32 v5, 0
	ds_read_b128 v[6:9], v5 offset:128
	ds_read_b128 v[10:13], v5 offset:144
	;; [unrolled: 1-line block ×4, first 2 shown]
	s_waitcnt lgkmcnt(3)
	v_fmac_f32_e32 v4, v6, v67
	v_fmac_f32_e32 v4, v7, v66
	v_fmac_f32_e32 v4, v8, v65
	v_fmac_f32_e32 v4, v9, v64
	s_waitcnt lgkmcnt(2)
	v_fmac_f32_e32 v4, v10, v63
	v_fmac_f32_e32 v4, v11, v62
	v_fmac_f32_e32 v4, v12, v61
	v_fmac_f32_e32 v4, v13, v60
	;; [unrolled: 5-line block ×3, first 2 shown]
	ds_read_b128 v[6:9], v5 offset:192
	ds_read_b128 v[10:13], v5 offset:208
	s_waitcnt lgkmcnt(2)
	v_fmac_f32_e32 v4, v18, v55
	v_fmac_f32_e32 v4, v19, v54
	;; [unrolled: 1-line block ×4, first 2 shown]
	s_waitcnt lgkmcnt(1)
	v_fmac_f32_e32 v4, v6, v51
	v_fmac_f32_e32 v4, v7, v50
	;; [unrolled: 1-line block ×4, first 2 shown]
	ds_read_b128 v[6:9], v5 offset:224
	s_waitcnt lgkmcnt(1)
	v_fmac_f32_e32 v4, v10, v47
	v_fmac_f32_e32 v4, v11, v46
	;; [unrolled: 1-line block ×4, first 2 shown]
	ds_read_b128 v[10:13], v5 offset:240
	s_waitcnt lgkmcnt(1)
	v_fmac_f32_e32 v4, v6, v43
	v_fmac_f32_e32 v4, v7, v42
	;; [unrolled: 1-line block ×4, first 2 shown]
	s_waitcnt lgkmcnt(0)
	v_fmac_f32_e32 v4, v10, v39
	v_fmac_f32_e32 v4, v11, v38
	;; [unrolled: 1-line block ×4, first 2 shown]
.LBB221_15:
	s_movk_i32 s0, 0x3f80
	s_movk_i32 s1, 0x100
	s_mov_b32 s8, 64
	s_branch .LBB221_17
.LBB221_16:                             ;   in Loop: Header=BB221_17 Depth=1
	s_addk_i32 s0, 0x2000
	s_addk_i32 s1, 0x100
	s_add_i32 s8, s8, 64
	s_cmp_eq_u32 s0, 0x15f80
	s_cbranch_scc1 .LBB221_19
.LBB221_17:                             ; =>This Inner Loop Header: Depth=1
	s_cmp_le_i32 s33, s8
	s_cbranch_scc1 .LBB221_16
; %bb.18:                               ;   in Loop: Header=BB221_17 Depth=1
	s_add_i32 s9, s0, 0xffffe080
	s_cmp_lt_i32 s9, s10
	s_cselect_b32 s12, s9, s11
	s_ashr_i32 s13, s12, 31
	s_add_i32 s9, s0, 0xffffe100
	s_cmp_lt_i32 s9, s10
	v_lshl_add_u64 v[14:15], s[12:13], 1, v[2:3]
	s_cselect_b32 s12, s9, s11
	s_ashr_i32 s13, s12, 31
	s_add_i32 s9, s0, 0xffffe180
	s_cmp_lt_i32 s9, s10
	v_lshl_add_u64 v[16:17], s[12:13], 1, v[2:3]
	;; [unrolled: 5-line block ×8, first 2 shown]
	s_cselect_b32 s12, s9, s11
	s_ashr_i32 s13, s12, 31
	s_add_i32 s9, s0, 0xffffe500
	s_cmp_lt_i32 s9, s10
	global_load_ushort v5, v[14:15], off
	global_load_ushort v6, v[16:17], off
	global_load_ushort v7, v[18:19], off
	global_load_ushort v8, v[20:21], off
	global_load_ushort v9, v[22:23], off
	global_load_ushort v10, v[24:25], off
	global_load_ushort v11, v[26:27], off
	global_load_ushort v12, v[28:29], off
	v_lshl_add_u64 v[14:15], s[12:13], 1, v[2:3]
	s_cselect_b32 s12, s9, s11
	s_ashr_i32 s13, s12, 31
	s_add_i32 s9, s0, 0xffffe580
	s_cmp_lt_i32 s9, s10
	v_lshl_add_u64 v[16:17], s[12:13], 1, v[2:3]
	s_cselect_b32 s12, s9, s11
	s_ashr_i32 s13, s12, 31
	s_add_i32 s9, s0, 0xffffe600
	s_cmp_lt_i32 s9, s10
	v_lshl_add_u64 v[18:19], s[12:13], 1, v[2:3]
	s_cselect_b32 s12, s9, s11
	s_ashr_i32 s13, s12, 31
	s_add_i32 s9, s0, 0xffffe680
	s_cmp_lt_i32 s9, s10
	v_lshl_add_u64 v[20:21], s[12:13], 1, v[2:3]
	s_cselect_b32 s12, s9, s11
	s_ashr_i32 s13, s12, 31
	s_add_i32 s9, s0, 0xffffe700
	s_cmp_lt_i32 s9, s10
	v_lshl_add_u64 v[22:23], s[12:13], 1, v[2:3]
	s_cselect_b32 s12, s9, s11
	s_ashr_i32 s13, s12, 31
	s_add_i32 s9, s0, 0xffffe780
	s_cmp_lt_i32 s9, s10
	v_lshl_add_u64 v[24:25], s[12:13], 1, v[2:3]
	s_cselect_b32 s12, s9, s11
	s_ashr_i32 s13, s12, 31
	s_add_i32 s9, s0, 0xffffe800
	s_cmp_lt_i32 s9, s10
	v_lshl_add_u64 v[26:27], s[12:13], 1, v[2:3]
	s_cselect_b32 s12, s9, s11
	s_ashr_i32 s13, s12, 31
	s_add_i32 s9, s0, 0xffffe880
	s_cmp_lt_i32 s9, s10
	v_lshl_add_u64 v[28:29], s[12:13], 1, v[2:3]
	s_cselect_b32 s12, s9, s11
	s_ashr_i32 s13, s12, 31
	s_add_i32 s9, s0, 0xffffe900
	s_cmp_lt_i32 s9, s10
	global_load_ushort v13, v[14:15], off
	global_load_ushort v30, v[16:17], off
	global_load_ushort v31, v[18:19], off
	global_load_ushort v32, v[20:21], off
	global_load_ushort v33, v[22:23], off
	global_load_ushort v34, v[24:25], off
	global_load_ushort v35, v[26:27], off
	global_load_ushort v36, v[28:29], off
	v_lshl_add_u64 v[14:15], s[12:13], 1, v[2:3]
	s_cselect_b32 s12, s9, s11
	s_ashr_i32 s13, s12, 31
	s_add_i32 s9, s0, 0xffffe980
	s_cmp_lt_i32 s9, s10
	v_lshl_add_u64 v[16:17], s[12:13], 1, v[2:3]
	s_cselect_b32 s12, s9, s11
	s_ashr_i32 s13, s12, 31
	s_add_i32 s9, s0, 0xffffea00
	s_cmp_lt_i32 s9, s10
	v_lshl_add_u64 v[18:19], s[12:13], 1, v[2:3]
	s_cselect_b32 s12, s9, s11
	s_ashr_i32 s13, s12, 31
	s_add_i32 s9, s0, 0xffffea80
	s_cmp_lt_i32 s9, s10
	v_lshl_add_u64 v[20:21], s[12:13], 1, v[2:3]
	s_cselect_b32 s12, s9, s11
	s_ashr_i32 s13, s12, 31
	s_add_i32 s9, s0, 0xffffeb00
	s_cmp_lt_i32 s9, s10
	v_lshl_add_u64 v[22:23], s[12:13], 1, v[2:3]
	s_cselect_b32 s12, s9, s11
	s_ashr_i32 s13, s12, 31
	s_add_i32 s9, s0, 0xffffeb80
	s_cmp_lt_i32 s9, s10
	v_lshl_add_u64 v[24:25], s[12:13], 1, v[2:3]
	s_cselect_b32 s12, s9, s11
	s_ashr_i32 s13, s12, 31
	s_add_i32 s9, s0, 0xffffec00
	s_cmp_lt_i32 s9, s10
	v_lshl_add_u64 v[26:27], s[12:13], 1, v[2:3]
	s_cselect_b32 s12, s9, s11
	s_ashr_i32 s13, s12, 31
	s_add_i32 s9, s0, 0xffffec80
	s_cmp_lt_i32 s9, s10
	v_lshl_add_u64 v[28:29], s[12:13], 1, v[2:3]
	;; [unrolled: 48-line block ×6, first 2 shown]
	s_cselect_b32 s12, s9, s11
	s_ashr_i32 s13, s12, 31
	s_add_i32 s9, s0, 0xfffffd00
	s_cmp_lt_i32 s9, s10
	global_load_ushort v69, v[14:15], off
	global_load_ushort v70, v[16:17], off
	;; [unrolled: 1-line block ×8, first 2 shown]
	v_lshl_add_u64 v[14:15], s[12:13], 1, v[2:3]
	s_cselect_b32 s12, s9, s11
	s_ashr_i32 s13, s12, 31
	s_add_i32 s9, s0, 0xfffffd80
	s_cmp_lt_i32 s9, s10
	v_lshl_add_u64 v[16:17], s[12:13], 1, v[2:3]
	s_cselect_b32 s12, s9, s11
	s_ashr_i32 s13, s12, 31
	s_add_i32 s9, s0, 0xfffffe00
	s_cmp_lt_i32 s9, s10
	;; [unrolled: 5-line block ×5, first 2 shown]
	v_lshl_add_u64 v[24:25], s[12:13], 1, v[2:3]
	s_cselect_b32 s12, s9, s11
	s_ashr_i32 s13, s12, 31
	s_cmp_lt_i32 s0, s10
	v_lshl_add_u64 v[26:27], s[12:13], 1, v[2:3]
	s_cselect_b32 s12, s0, s11
	s_ashr_i32 s13, s12, 31
	v_lshl_add_u64 v[28:29], s[12:13], 1, v[2:3]
	global_load_ushort v77, v[14:15], off
	global_load_ushort v78, v[16:17], off
	;; [unrolled: 1-line block ×8, first 2 shown]
	v_mov_b32_e32 v85, s1
	ds_read_b128 v[14:17], v85
	ds_read_b128 v[18:21], v85 offset:16
	ds_read_b128 v[22:25], v85 offset:32
	;; [unrolled: 1-line block ×3, first 2 shown]
	s_waitcnt vmcnt(62) lgkmcnt(3)
	v_fma_mix_f32 v4, v14, v5, v4 op_sel_hi:[0,1,0]
	v_fma_mix_f32 v4, v15, v6, v4 op_sel_hi:[0,1,0]
	s_waitcnt vmcnt(61)
	v_fma_mix_f32 v4, v16, v7, v4 op_sel_hi:[0,1,0]
	s_waitcnt vmcnt(60)
	v_fma_mix_f32 v4, v17, v8, v4 op_sel_hi:[0,1,0]
	s_waitcnt vmcnt(59) lgkmcnt(2)
	v_fma_mix_f32 v4, v18, v9, v4 op_sel_hi:[0,1,0]
	s_waitcnt vmcnt(58)
	v_fma_mix_f32 v4, v19, v10, v4 op_sel_hi:[0,1,0]
	s_waitcnt vmcnt(57)
	;; [unrolled: 2-line block ×3, first 2 shown]
	v_fma_mix_f32 v4, v21, v12, v4 op_sel_hi:[0,1,0]
	s_waitcnt vmcnt(55) lgkmcnt(1)
	v_fma_mix_f32 v4, v22, v13, v4 op_sel_hi:[0,1,0]
	s_waitcnt vmcnt(54)
	v_fma_mix_f32 v4, v23, v30, v4 op_sel_hi:[0,1,0]
	s_waitcnt vmcnt(53)
	v_fma_mix_f32 v4, v24, v31, v4 op_sel_hi:[0,1,0]
	s_waitcnt vmcnt(52)
	v_fma_mix_f32 v4, v25, v32, v4 op_sel_hi:[0,1,0]
	s_waitcnt vmcnt(51) lgkmcnt(0)
	v_fma_mix_f32 v8, v26, v33, v4 op_sel_hi:[0,1,0]
	ds_read_b128 v[4:7], v85 offset:64
	s_waitcnt vmcnt(50)
	v_fma_mix_f32 v8, v27, v34, v8 op_sel_hi:[0,1,0]
	s_waitcnt vmcnt(49)
	v_fma_mix_f32 v8, v28, v35, v8 op_sel_hi:[0,1,0]
	s_waitcnt vmcnt(48)
	v_fma_mix_f32 v12, v29, v36, v8 op_sel_hi:[0,1,0]
	ds_read_b128 v[8:11], v85 offset:80
	s_waitcnt vmcnt(47) lgkmcnt(1)
	v_fma_mix_f32 v4, v4, v37, v12 op_sel_hi:[0,1,0]
	s_waitcnt vmcnt(46)
	v_fma_mix_f32 v4, v5, v38, v4 op_sel_hi:[0,1,0]
	s_waitcnt vmcnt(45)
	v_fma_mix_f32 v4, v6, v39, v4 op_sel_hi:[0,1,0]
	s_waitcnt vmcnt(44)
	v_fma_mix_f32 v4, v7, v40, v4 op_sel_hi:[0,1,0]
	s_waitcnt vmcnt(43) lgkmcnt(0)
	v_fma_mix_f32 v8, v8, v41, v4 op_sel_hi:[0,1,0]
	ds_read_b128 v[4:7], v85 offset:96
	s_waitcnt vmcnt(42)
	v_fma_mix_f32 v8, v9, v42, v8 op_sel_hi:[0,1,0]
	s_waitcnt vmcnt(41)
	v_fma_mix_f32 v8, v10, v43, v8 op_sel_hi:[0,1,0]
	s_waitcnt vmcnt(40)
	v_fma_mix_f32 v12, v11, v44, v8 op_sel_hi:[0,1,0]
	ds_read_b128 v[8:11], v85 offset:112
	;; [unrolled: 18-line block ×6, first 2 shown]
	s_waitcnt vmcnt(7) lgkmcnt(1)
	v_fma_mix_f32 v4, v4, v77, v12 op_sel_hi:[0,1,0]
	s_waitcnt vmcnt(6)
	v_fma_mix_f32 v4, v5, v78, v4 op_sel_hi:[0,1,0]
	s_waitcnt vmcnt(5)
	v_fma_mix_f32 v4, v6, v79, v4 op_sel_hi:[0,1,0]
	s_waitcnt vmcnt(4)
	v_fma_mix_f32 v4, v7, v80, v4 op_sel_hi:[0,1,0]
	s_waitcnt vmcnt(3) lgkmcnt(0)
	v_fma_mix_f32 v4, v8, v81, v4 op_sel_hi:[0,1,0]
	s_waitcnt vmcnt(2)
	v_fma_mix_f32 v4, v9, v82, v4 op_sel_hi:[0,1,0]
	s_waitcnt vmcnt(1)
	;; [unrolled: 2-line block ×3, first 2 shown]
	v_fma_mix_f32 v4, v11, v84, v4 op_sel_hi:[0,1,0]
	s_branch .LBB221_16
.LBB221_19:
	v_mov_b32_e32 v2, 0
	ds_read_b32 v2, v2 offset:2560
	s_cmp_lg_u64 s[6:7], 0
	s_cbranch_scc0 .LBB221_24
; %bb.20:
	s_load_dword s6, s[6:7], 0x0
	s_waitcnt lgkmcnt(0)
	v_div_scale_f32 v3, s[0:1], s6, s6, 1.0
	v_rcp_f32_e32 v5, v3
	v_div_scale_f32 v6, vcc, 1.0, s6, 1.0
	v_fma_f32 v7, -v3, v5, 1.0
	v_fmac_f32_e32 v5, v7, v5
	v_mul_f32_e32 v7, v6, v5
	v_fma_f32 v8, -v3, v7, v6
	v_fmac_f32_e32 v7, v8, v5
	v_fma_f32 v3, -v3, v7, v6
	v_div_fmas_f32 v3, v3, v5, v7
	v_div_fixup_f32 v3, v3, s6, 1.0
	s_andn2_b64 vcc, exec, s[38:39]
	s_cbranch_vccnz .LBB221_22
.LBB221_21:
	s_add_u32 s0, s36, s40
	s_addc_u32 s1, s37, s41
	s_load_dword s34, s[0:1], 0x0
	s_mov_b32 s35, 0
.LBB221_22:
	s_waitcnt lgkmcnt(0)
	v_add_f32_e32 v2, 0x358637bd, v2
	v_div_scale_f32 v5, s[0:1], v2, v2, 1.0
	v_rcp_f32_e32 v6, v5
	v_div_scale_f32 v7, vcc, 1.0, v2, 1.0
	s_mul_i32 s0, s3, s35
	v_fma_f32 v8, -v5, v6, 1.0
	v_fmac_f32_e32 v6, v8, v6
	v_mul_f32_e32 v8, v7, v6
	v_fma_f32 v9, -v5, v8, v7
	v_fmac_f32_e32 v8, v9, v6
	v_fma_f32 v5, -v5, v8, v7
	s_mul_hi_u32 s1, s3, s34
	v_div_fmas_f32 v5, v5, v6, v8
	s_add_i32 s1, s1, s0
	s_mul_i32 s0, s3, s34
	v_div_fixup_f32 v2, v5, v2, 1.0
	s_lshl_b64 s[0:1], s[0:1], 7
	v_mul_f32_e32 v2, v4, v2
	s_add_u32 s4, s4, s0
	s_mov_b32 s3, 0
	v_mul_f32_e32 v2, v2, v3
	s_addc_u32 s5, s5, s1
	s_lshl_b64 s[0:1], s[2:3], 7
	s_mov_b32 s2, 0x7f800000
	s_mov_b32 s3, 0x43700000
	v_mov_b32_e32 v3, 0xc3700000
	v_med3_f32 v3, v2, s3, v3
	v_cmp_nlg_f32_e64 vcc, |v2|, s2
	s_add_u32 s0, s4, s0
	s_addc_u32 s1, s5, s1
	v_cndmask_b32_e32 v2, v3, v2, vcc
	v_mov_b32_e32 v3, 0
	v_cvt_pk_fp8_f32 v3, v2, v2
	v_lshl_add_u64 v[0:1], s[0:1], 0, v[0:1]
	global_store_byte v[0:1], v3, off
	s_endpgm
.LBB221_23:
	s_mov_b64 s[6:7], 0
	s_branch .LBB221_2
.LBB221_24:
	v_mov_b32_e32 v3, 1.0
	s_andn2_b64 vcc, exec, s[38:39]
	s_cbranch_vccz .LBB221_21
	s_branch .LBB221_22
	.section	.rodata,"a",@progbits
	.p2align	6, 0x0
	.amdhsa_kernel _Z35paged_attention_ll4mi_reduce_kernelIDF16_hLi128ELi128ELi256ELi10EEvPT0_PKfS3_PKT_PKiS8_iS3_
		.amdhsa_group_segment_fixed_size 2564
		.amdhsa_private_segment_fixed_size 0
		.amdhsa_kernarg_size 320
		.amdhsa_user_sgpr_count 2
		.amdhsa_user_sgpr_dispatch_ptr 0
		.amdhsa_user_sgpr_queue_ptr 0
		.amdhsa_user_sgpr_kernarg_segment_ptr 1
		.amdhsa_user_sgpr_dispatch_id 0
		.amdhsa_user_sgpr_kernarg_preload_length 0
		.amdhsa_user_sgpr_kernarg_preload_offset 0
		.amdhsa_user_sgpr_private_segment_size 0
		.amdhsa_uses_dynamic_stack 0
		.amdhsa_enable_private_segment 0
		.amdhsa_system_sgpr_workgroup_id_x 1
		.amdhsa_system_sgpr_workgroup_id_y 1
		.amdhsa_system_sgpr_workgroup_id_z 0
		.amdhsa_system_sgpr_workgroup_info 0
		.amdhsa_system_vgpr_workitem_id 0
		.amdhsa_next_free_vgpr 92
		.amdhsa_next_free_sgpr 49
		.amdhsa_accum_offset 92
		.amdhsa_reserve_vcc 1
		.amdhsa_float_round_mode_32 0
		.amdhsa_float_round_mode_16_64 0
		.amdhsa_float_denorm_mode_32 3
		.amdhsa_float_denorm_mode_16_64 3
		.amdhsa_dx10_clamp 1
		.amdhsa_ieee_mode 1
		.amdhsa_fp16_overflow 0
		.amdhsa_tg_split 0
		.amdhsa_exception_fp_ieee_invalid_op 0
		.amdhsa_exception_fp_denorm_src 0
		.amdhsa_exception_fp_ieee_div_zero 0
		.amdhsa_exception_fp_ieee_overflow 0
		.amdhsa_exception_fp_ieee_underflow 0
		.amdhsa_exception_fp_ieee_inexact 0
		.amdhsa_exception_int_div_zero 0
	.end_amdhsa_kernel
	.section	.text._Z35paged_attention_ll4mi_reduce_kernelIDF16_hLi128ELi128ELi256ELi10EEvPT0_PKfS3_PKT_PKiS8_iS3_,"axG",@progbits,_Z35paged_attention_ll4mi_reduce_kernelIDF16_hLi128ELi128ELi256ELi10EEvPT0_PKfS3_PKT_PKiS8_iS3_,comdat
.Lfunc_end221:
	.size	_Z35paged_attention_ll4mi_reduce_kernelIDF16_hLi128ELi128ELi256ELi10EEvPT0_PKfS3_PKT_PKiS8_iS3_, .Lfunc_end221-_Z35paged_attention_ll4mi_reduce_kernelIDF16_hLi128ELi128ELi256ELi10EEvPT0_PKfS3_PKT_PKiS8_iS3_
                                        ; -- End function
	.section	.AMDGPU.csdata,"",@progbits
; Kernel info:
; codeLenInByte = 9624
; NumSgprs: 55
; NumVgprs: 92
; NumAgprs: 0
; TotalNumVgprs: 92
; ScratchSize: 0
; MemoryBound: 0
; FloatMode: 240
; IeeeMode: 1
; LDSByteSize: 2564 bytes/workgroup (compile time only)
; SGPRBlocks: 6
; VGPRBlocks: 11
; NumSGPRsForWavesPerEU: 55
; NumVGPRsForWavesPerEU: 92
; AccumOffset: 92
; Occupancy: 5
; WaveLimiterHint : 1
; COMPUTE_PGM_RSRC2:SCRATCH_EN: 0
; COMPUTE_PGM_RSRC2:USER_SGPR: 2
; COMPUTE_PGM_RSRC2:TRAP_HANDLER: 0
; COMPUTE_PGM_RSRC2:TGID_X_EN: 1
; COMPUTE_PGM_RSRC2:TGID_Y_EN: 1
; COMPUTE_PGM_RSRC2:TGID_Z_EN: 0
; COMPUTE_PGM_RSRC2:TIDIG_COMP_CNT: 0
; COMPUTE_PGM_RSRC3_GFX90A:ACCUM_OFFSET: 22
; COMPUTE_PGM_RSRC3_GFX90A:TG_SPLIT: 0
	.section	.text._Z35paged_attention_ll4mi_reduce_kernelIDF16_hLi128ELi128ELi256ELi11EEvPT0_PKfS3_PKT_PKiS8_iS3_,"axG",@progbits,_Z35paged_attention_ll4mi_reduce_kernelIDF16_hLi128ELi128ELi256ELi11EEvPT0_PKfS3_PKT_PKiS8_iS3_,comdat
	.protected	_Z35paged_attention_ll4mi_reduce_kernelIDF16_hLi128ELi128ELi256ELi11EEvPT0_PKfS3_PKT_PKiS8_iS3_ ; -- Begin function _Z35paged_attention_ll4mi_reduce_kernelIDF16_hLi128ELi128ELi256ELi11EEvPT0_PKfS3_PKT_PKiS8_iS3_
	.globl	_Z35paged_attention_ll4mi_reduce_kernelIDF16_hLi128ELi128ELi256ELi11EEvPT0_PKfS3_PKT_PKiS8_iS3_
	.p2align	8
	.type	_Z35paged_attention_ll4mi_reduce_kernelIDF16_hLi128ELi128ELi256ELi11EEvPT0_PKfS3_PKT_PKiS8_iS3_,@function
_Z35paged_attention_ll4mi_reduce_kernelIDF16_hLi128ELi128ELi256ELi11EEvPT0_PKfS3_PKT_PKiS8_iS3_: ; @_Z35paged_attention_ll4mi_reduce_kernelIDF16_hLi128ELi128ELi256ELi11EEvPT0_PKfS3_PKT_PKiS8_iS3_
; %bb.0:
	s_load_dwordx2 s[34:35], s[0:1], 0x28
	s_mov_b32 s26, s3
	s_mov_b64 s[4:5], 0
	s_waitcnt lgkmcnt(0)
	s_cmp_lg_u64 s[34:35], 0
	s_cselect_b64 s[40:41], -1, 0
	s_and_b64 vcc, exec, s[40:41]
	s_cbranch_vccz .LBB222_23
; %bb.1:
	s_add_i32 s6, s26, 1
	s_mov_b32 s7, 0
	s_lshl_b64 s[8:9], s[6:7], 2
	s_add_u32 s8, s34, s8
	s_mov_b32 s27, s7
	s_addc_u32 s9, s35, s9
	s_lshl_b64 s[6:7], s[26:27], 2
	s_add_u32 s6, s34, s6
	s_addc_u32 s7, s35, s7
	s_load_dword s3, s[8:9], 0x0
	s_load_dword s10, s[6:7], 0x0
	s_waitcnt lgkmcnt(0)
	s_sub_i32 s3, s3, s10
	s_cmp_eq_u32 s3, 1
	s_cselect_b64 s[6:7], -1, 0
	s_andn2_b64 vcc, exec, s[4:5]
	s_cbranch_vccnz .LBB222_3
.LBB222_2:
	s_mov_b32 s27, 0
	s_mov_b64 s[6:7], -1
.LBB222_3:
	s_andn2_b64 vcc, exec, s[6:7]
	s_cbranch_vccz .LBB222_5
; %bb.4:
	s_endpgm
.LBB222_5:
	s_load_dwordx4 s[28:31], s[0:1], 0x18
	s_load_dword s8, s[0:1], 0x30
	s_lshl_b64 s[42:43], s[26:27], 2
	v_cmp_lt_u32_e32 vcc, 63, v0
	s_waitcnt lgkmcnt(0)
	s_add_u32 s4, s30, s42
	s_addc_u32 s5, s31, s43
	s_load_dword s50, s[4:5], 0x0
	s_load_dword s3, s[0:1], 0x40
	s_mul_i32 s30, s2, s8
	s_mul_i32 s6, s26, s8
	s_waitcnt lgkmcnt(0)
	s_add_i32 s7, s50, 0xff
	s_ashr_i32 s4, s7, 31
	s_lshr_b32 s4, s4, 24
	s_add_i32 s7, s7, s4
	s_and_saveexec_b64 s[4:5], vcc
	s_xor_b64 s[4:5], exec, s[4:5]
	s_or_saveexec_b64 s[44:45], s[4:5]
	s_ashr_i32 s33, s7, 8
	v_mov_b32_e32 v1, s30
	s_mul_i32 s46, s6, s3
	s_xor_b64 exec, exec, s[44:45]
	s_cbranch_execz .LBB222_9
; %bb.6:
	s_add_i32 s4, s33, -1
	v_or_b32_e32 v3, 64, v0
	v_mov_b32_e32 v1, s4
	v_cmp_gt_u32_e64 s[20:21], s33, v3
	s_load_dwordx4 s[36:39], s[0:1], 0x8
	s_mov_b32 s47, 0
	v_cndmask_b32_e64 v4, v1, v3, s[20:21]
	v_or_b32_e32 v3, 0x80, v0
	v_cmp_gt_u32_e64 s[18:19], s33, v3
	s_lshl_b64 s[48:49], s[46:47], 2
	s_mov_b32 s31, s47
	v_cndmask_b32_e64 v6, v1, v3, s[18:19]
	v_or_b32_e32 v3, 0xc0, v0
	v_cmp_gt_u32_e64 s[16:17], s33, v3
	v_cmp_gt_u32_e64 s[22:23], s33, v0
	s_waitcnt lgkmcnt(0)
	s_add_u32 s24, s38, s48
	v_cndmask_b32_e64 v8, v1, v3, s[16:17]
	v_or_b32_e32 v3, 0x100, v0
	v_cmp_gt_u32_e64 s[14:15], s33, v3
	v_cndmask_b32_e64 v2, v1, v0, s[22:23]
	s_addc_u32 s25, s39, s49
	v_cndmask_b32_e64 v10, v1, v3, s[14:15]
	v_or_b32_e32 v3, 0x140, v0
	v_cmp_gt_u32_e64 s[12:13], s33, v3
	s_lshl_b64 s[38:39], s[30:31], 2
	s_add_u32 s24, s24, s38
	v_cndmask_b32_e64 v12, v1, v3, s[12:13]
	v_or_b32_e32 v3, 0x180, v0
	v_cmp_gt_u32_e64 s[10:11], s33, v3
	v_ashrrev_i32_e32 v9, 31, v8
	v_ashrrev_i32_e32 v11, 31, v10
	v_cndmask_b32_e64 v14, v1, v3, s[10:11]
	v_or_b32_e32 v3, 0x1c0, v0
	v_cmp_gt_u32_e64 s[8:9], s33, v3
	v_ashrrev_i32_e32 v13, 31, v12
	s_addc_u32 s25, s25, s39
	v_cndmask_b32_e64 v16, v1, v3, s[8:9]
	v_or_b32_e32 v3, 0x200, v0
	v_cmp_gt_u32_e64 s[6:7], s33, v3
	v_ashrrev_i32_e32 v5, 31, v4
	v_ashrrev_i32_e32 v7, 31, v6
	v_cndmask_b32_e64 v18, v1, v3, s[6:7]
	v_or_b32_e32 v3, 0x240, v0
	v_cmp_gt_u32_e64 s[4:5], s33, v3
	v_lshlrev_b64 v[8:9], 2, v[8:9]
	v_lshlrev_b64 v[10:11], 2, v[10:11]
	v_cndmask_b32_e64 v20, v1, v3, s[4:5]
	v_or_b32_e32 v3, 0x280, v0
	v_cmp_gt_u32_e32 vcc, s33, v3
	v_lshlrev_b64 v[12:13], 2, v[12:13]
	v_ashrrev_i32_e32 v15, 31, v14
	v_cndmask_b32_e32 v22, v1, v3, vcc
	v_ashrrev_i32_e32 v3, 31, v2
	v_lshlrev_b64 v[2:3], 2, v[2:3]
	v_ashrrev_i32_e32 v17, 31, v16
	v_ashrrev_i32_e32 v19, 31, v18
	v_lshl_add_u64 v[24:25], s[24:25], 0, v[2:3]
	v_lshlrev_b64 v[4:5], 2, v[4:5]
	v_lshlrev_b64 v[6:7], 2, v[6:7]
	v_lshl_add_u64 v[30:31], s[24:25], 0, v[8:9]
	v_lshl_add_u64 v[32:33], s[24:25], 0, v[10:11]
	;; [unrolled: 1-line block ×3, first 2 shown]
	v_lshlrev_b64 v[14:15], 2, v[14:15]
	v_lshlrev_b64 v[16:17], 2, v[16:17]
	;; [unrolled: 1-line block ×3, first 2 shown]
	v_ashrrev_i32_e32 v21, 31, v20
	v_ashrrev_i32_e32 v23, 31, v22
	v_lshl_add_u64 v[26:27], s[24:25], 0, v[4:5]
	v_lshl_add_u64 v[28:29], s[24:25], 0, v[6:7]
	;; [unrolled: 1-line block ×4, first 2 shown]
	global_load_dword v1, v[24:25], off
	global_load_dword v40, v[26:27], off
	;; [unrolled: 1-line block ×3, first 2 shown]
	s_nop 0
	global_load_dword v30, v[30:31], off
	s_nop 0
	global_load_dword v31, v[32:33], off
	s_nop 0
	global_load_dword v32, v[34:35], off
	global_load_dword v33, v[36:37], off
	s_nop 0
	global_load_dword v34, v[38:39], off
	v_lshl_add_u64 v[24:25], s[24:25], 0, v[18:19]
	v_lshlrev_b64 v[20:21], 2, v[20:21]
	v_lshlrev_b64 v[22:23], 2, v[22:23]
	v_lshl_add_u64 v[26:27], s[24:25], 0, v[20:21]
	v_lshl_add_u64 v[28:29], s[24:25], 0, v[22:23]
	global_load_dword v24, v[24:25], off
	s_nop 0
	global_load_dword v25, v[26:27], off
	global_load_dword v35, v[28:29], off
	v_mbcnt_lo_u32_b32 v26, -1, 0
	v_mbcnt_hi_u32_b32 v26, -1, v26
	v_and_b32_e32 v27, 64, v26
	v_add_u32_e32 v27, 64, v27
	v_xor_b32_e32 v29, 32, v26
	v_cmp_lt_i32_e64 s[24:25], v29, v27
	v_xor_b32_e32 v42, 2, v26
	s_mov_b32 s31, 0x3fb8aa3b
	v_cndmask_b32_e64 v29, v26, v29, s[24:25]
	v_lshlrev_b32_e32 v29, 2, v29
	s_waitcnt vmcnt(8)
	v_max3_f32 v28, v1, v40, v41
	s_waitcnt vmcnt(6)
	v_max3_f32 v28, v28, v30, v31
	;; [unrolled: 2-line block ×5, first 2 shown]
	ds_bpermute_b32 v36, v29, v28
	s_waitcnt lgkmcnt(0)
	v_max_f32_e32 v36, v36, v36
	v_max_f32_e32 v28, v28, v36
	v_xor_b32_e32 v36, 16, v26
	v_cmp_lt_i32_e64 s[24:25], v36, v27
	s_nop 1
	v_cndmask_b32_e64 v36, v26, v36, s[24:25]
	v_lshlrev_b32_e32 v36, 2, v36
	ds_bpermute_b32 v37, v36, v28
	s_waitcnt lgkmcnt(0)
	v_max_f32_e32 v37, v37, v37
	v_max_f32_e32 v28, v28, v37
	v_xor_b32_e32 v37, 8, v26
	v_cmp_lt_i32_e64 s[24:25], v37, v27
	s_nop 1
	v_cndmask_b32_e64 v37, v26, v37, s[24:25]
	s_add_u32 s24, s36, s48
	v_lshlrev_b32_e32 v37, 2, v37
	s_addc_u32 s25, s37, s49
	ds_bpermute_b32 v38, v37, v28
	s_add_u32 s36, s24, s38
	s_addc_u32 s37, s25, s39
	v_lshl_add_u64 v[2:3], s[36:37], 0, v[2:3]
	global_load_dword v39, v[2:3], off
	v_xor_b32_e32 v3, 4, v26
	v_cmp_lt_i32_e64 s[24:25], v3, v27
	s_waitcnt lgkmcnt(0)
	v_max_f32_e32 v2, v38, v38
	v_max_f32_e32 v2, v28, v2
	v_cndmask_b32_e64 v3, v26, v3, s[24:25]
	v_lshlrev_b32_e32 v28, 2, v3
	ds_bpermute_b32 v3, v28, v2
	v_cmp_lt_i32_e64 s[24:25], v42, v27
	s_waitcnt lgkmcnt(0)
	v_max_f32_e32 v3, v3, v3
	v_max_f32_e32 v38, v2, v3
	v_lshl_add_u64 v[2:3], s[36:37], 0, v[4:5]
	global_load_dword v43, v[2:3], off
	v_cndmask_b32_e64 v2, v26, v42, s[24:25]
	v_lshlrev_b32_e32 v42, 2, v2
	ds_bpermute_b32 v2, v42, v38
	v_lshl_add_u64 v[4:5], s[36:37], 0, v[10:11]
	v_lshl_add_u64 v[10:11], s[36:37], 0, v[16:17]
	s_waitcnt lgkmcnt(0)
	v_max_f32_e32 v2, v2, v2
	v_max_f32_e32 v38, v38, v2
	v_xor_b32_e32 v2, 1, v26
	v_cmp_lt_i32_e64 s[24:25], v2, v27
	s_nop 1
	v_cndmask_b32_e64 v2, v26, v2, s[24:25]
	v_lshlrev_b32_e32 v26, 2, v2
	v_lshl_add_u64 v[2:3], s[36:37], 0, v[6:7]
	global_load_dword v27, v[2:3], off
	v_lshl_add_u64 v[2:3], s[36:37], 0, v[8:9]
	v_lshl_add_u64 v[6:7], s[36:37], 0, v[12:13]
	;; [unrolled: 1-line block ×3, first 2 shown]
	global_load_dword v12, v[2:3], off
	global_load_dword v13, v[4:5], off
	;; [unrolled: 1-line block ×5, first 2 shown]
	ds_bpermute_b32 v44, v26, v38
	v_lshl_add_u64 v[2:3], s[36:37], 0, v[18:19]
	v_lshl_add_u64 v[4:5], s[36:37], 0, v[20:21]
	;; [unrolled: 1-line block ×3, first 2 shown]
	s_mov_b32 s36, 0xc2ce8ed0
	s_waitcnt lgkmcnt(0)
	v_max_f32_e32 v8, v44, v44
	v_max_f32_e32 v8, v38, v8
	v_sub_f32_e32 v1, v1, v8
	v_mul_f32_e32 v9, 0x3fb8aa3b, v1
	v_fma_f32 v10, v1, s31, -v9
	v_rndne_f32_e32 v11, v9
	v_fmac_f32_e32 v10, 0x32a5705f, v1
	v_sub_f32_e32 v9, v9, v11
	v_add_f32_e32 v9, v9, v10
	v_cvt_i32_f32_e32 v10, v11
	global_load_dword v11, v[2:3], off
	global_load_dword v17, v[4:5], off
	;; [unrolled: 1-line block ×3, first 2 shown]
	v_sub_f32_e32 v4, v40, v8
	v_mul_f32_e32 v5, 0x3fb8aa3b, v4
	v_fma_f32 v6, v4, s31, -v5
	v_rndne_f32_e32 v7, v5
	v_exp_f32_e32 v9, v9
	v_fmac_f32_e32 v6, 0x32a5705f, v4
	v_sub_f32_e32 v5, v5, v7
	v_add_f32_e32 v5, v5, v6
	v_exp_f32_e32 v5, v5
	v_cvt_i32_f32_e32 v6, v7
	v_ldexp_f32 v2, v9, v10
	v_cmp_ngt_f32_e64 s[24:25], s36, v1
	s_mov_b32 s37, 0x42b17218
	v_mov_b32_e32 v3, 0x7f800000
	v_cndmask_b32_e64 v2, 0, v2, s[24:25]
	v_cmp_nlt_f32_e64 s[24:25], s37, v1
	s_nop 1
	v_cndmask_b32_e64 v1, v3, v2, s[24:25]
	v_ldexp_f32 v2, v5, v6
	v_sub_f32_e32 v5, v41, v8
	v_mul_f32_e32 v6, 0x3fb8aa3b, v5
	v_fma_f32 v7, v5, s31, -v6
	v_rndne_f32_e32 v9, v6
	v_fmac_f32_e32 v7, 0x32a5705f, v5
	v_sub_f32_e32 v6, v6, v9
	v_add_f32_e32 v6, v6, v7
	v_exp_f32_e32 v6, v6
	v_cvt_i32_f32_e32 v7, v9
	v_cndmask_b32_e64 v1, 0, v1, s[22:23]
	v_cmp_ngt_f32_e64 s[22:23], s36, v4
	s_waitcnt vmcnt(10)
	v_mul_f32_e32 v1, v39, v1
	v_cndmask_b32_e64 v2, 0, v2, s[22:23]
	v_cmp_nlt_f32_e64 s[22:23], s37, v4
	v_ldexp_f32 v4, v6, v7
	v_sub_f32_e32 v6, v30, v8
	v_mul_f32_e32 v7, 0x3fb8aa3b, v6
	v_fma_f32 v9, v6, s31, -v7
	v_rndne_f32_e32 v10, v7
	v_fmac_f32_e32 v9, 0x32a5705f, v6
	v_sub_f32_e32 v7, v7, v10
	v_add_f32_e32 v7, v7, v9
	v_exp_f32_e32 v7, v7
	v_cvt_i32_f32_e32 v9, v10
	v_cndmask_b32_e64 v2, v3, v2, s[22:23]
	v_cndmask_b32_e64 v2, 0, v2, s[20:21]
	v_cmp_ngt_f32_e64 s[20:21], s36, v5
	s_waitcnt vmcnt(9)
	v_mul_f32_e32 v2, v43, v2
	v_cndmask_b32_e64 v4, 0, v4, s[20:21]
	v_cmp_nlt_f32_e64 s[20:21], s37, v5
	v_ldexp_f32 v5, v7, v9
	v_sub_f32_e32 v7, v31, v8
	v_mul_f32_e32 v9, 0x3fb8aa3b, v7
	v_fma_f32 v10, v7, s31, -v9
	v_rndne_f32_e32 v19, v9
	v_fmac_f32_e32 v10, 0x32a5705f, v7
	v_sub_f32_e32 v9, v9, v19
	v_add_f32_e32 v9, v9, v10
	v_exp_f32_e32 v9, v9
	v_cvt_i32_f32_e32 v10, v19
	v_cndmask_b32_e64 v4, v3, v4, s[20:21]
	v_cndmask_b32_e64 v4, 0, v4, s[18:19]
	v_cmp_ngt_f32_e64 s[18:19], s36, v6
	s_waitcnt vmcnt(8)
	v_mul_f32_e32 v4, v27, v4
	v_cndmask_b32_e64 v5, 0, v5, s[18:19]
	v_cmp_nlt_f32_e64 s[18:19], s37, v6
	v_ldexp_f32 v6, v9, v10
	v_sub_f32_e32 v9, v32, v8
	v_cndmask_b32_e64 v5, v3, v5, s[18:19]
	v_cndmask_b32_e64 v5, 0, v5, s[16:17]
	v_mul_f32_e32 v10, 0x3fb8aa3b, v9
	s_waitcnt vmcnt(7)
	v_mul_f32_e32 v5, v12, v5
	v_fma_f32 v12, v9, s31, -v10
	v_rndne_f32_e32 v19, v10
	v_fmac_f32_e32 v12, 0x32a5705f, v9
	v_sub_f32_e32 v10, v10, v19
	v_add_f32_e32 v10, v10, v12
	v_exp_f32_e32 v10, v10
	v_cvt_i32_f32_e32 v12, v19
	v_cmp_ngt_f32_e64 s[16:17], s36, v7
	s_nop 1
	v_cndmask_b32_e64 v6, 0, v6, s[16:17]
	v_cmp_nlt_f32_e64 s[16:17], s37, v7
	v_ldexp_f32 v7, v10, v12
	v_sub_f32_e32 v10, v33, v8
	v_cndmask_b32_e64 v6, v3, v6, s[16:17]
	v_cndmask_b32_e64 v6, 0, v6, s[14:15]
	v_mul_f32_e32 v12, 0x3fb8aa3b, v10
	s_waitcnt vmcnt(6)
	v_mul_f32_e32 v6, v13, v6
	v_fma_f32 v13, v10, s31, -v12
	v_rndne_f32_e32 v19, v12
	v_fmac_f32_e32 v13, 0x32a5705f, v10
	v_sub_f32_e32 v12, v12, v19
	v_add_f32_e32 v12, v12, v13
	v_exp_f32_e32 v12, v12
	v_cvt_i32_f32_e32 v13, v19
	v_cmp_ngt_f32_e64 s[14:15], s36, v9
	s_nop 1
	;; [unrolled: 18-line block ×4, first 2 shown]
	v_cndmask_b32_e64 v10, 0, v10, s[10:11]
	v_cmp_nlt_f32_e64 s[10:11], s37, v12
	v_ldexp_f32 v12, v14, v15
	v_sub_f32_e32 v14, v25, v8
	v_cndmask_b32_e64 v10, v3, v10, s[10:11]
	v_cndmask_b32_e64 v10, 0, v10, s[8:9]
	v_mul_f32_e32 v15, 0x3fb8aa3b, v14
	s_waitcnt vmcnt(3)
	v_mul_f32_e32 v10, v16, v10
	v_fma_f32 v16, v14, s31, -v15
	v_rndne_f32_e32 v19, v15
	v_fmac_f32_e32 v16, 0x32a5705f, v14
	v_sub_f32_e32 v15, v15, v19
	v_add_f32_e32 v15, v15, v16
	v_cmp_ngt_f32_e64 s[8:9], s36, v13
	v_exp_f32_e32 v15, v15
	v_cvt_i32_f32_e32 v16, v19
	v_cndmask_b32_e64 v12, 0, v12, s[8:9]
	v_cmp_nlt_f32_e64 s[8:9], s37, v13
	v_sub_f32_e32 v8, v35, v8
	v_mul_f32_e32 v13, 0x3fb8aa3b, v8
	v_cndmask_b32_e64 v12, v3, v12, s[8:9]
	v_cndmask_b32_e64 v12, 0, v12, s[6:7]
	s_waitcnt vmcnt(2)
	v_mul_f32_e32 v11, v11, v12
	v_ldexp_f32 v12, v15, v16
	v_fma_f32 v15, v8, s31, -v13
	v_rndne_f32_e32 v16, v13
	v_fmac_f32_e32 v15, 0x32a5705f, v8
	v_sub_f32_e32 v13, v13, v16
	v_add_f32_e32 v13, v13, v15
	v_exp_f32_e32 v13, v13
	v_cvt_i32_f32_e32 v15, v16
	v_cmp_ngt_f32_e64 s[6:7], s36, v14
	v_ldexp_f32 v13, v13, v15
	s_nop 0
	v_cndmask_b32_e64 v12, 0, v12, s[6:7]
	v_cmp_nlt_f32_e64 s[6:7], s37, v14
	v_lshlrev_b32_e32 v14, 2, v0
	ds_write2st64_b32 v14, v1, v2 offset1:1
	ds_write2st64_b32 v14, v4, v5 offset0:2 offset1:3
	ds_write2st64_b32 v14, v6, v7 offset0:4 offset1:5
	v_cndmask_b32_e64 v12, v3, v12, s[6:7]
	v_cndmask_b32_e64 v12, 0, v12, s[4:5]
	v_cmp_ngt_f32_e64 s[4:5], s36, v8
	s_waitcnt vmcnt(1)
	v_mul_f32_e32 v12, v17, v12
	v_cndmask_b32_e64 v13, 0, v13, s[4:5]
	v_cmp_nlt_f32_e64 s[4:5], s37, v8
	v_add_f32_e32 v8, v1, v2
	v_add_f32_e32 v8, v8, v4
	;; [unrolled: 1-line block ×6, first 2 shown]
	v_cndmask_b32_e64 v3, v3, v13, s[4:5]
	v_add_f32_e32 v8, v8, v10
	v_cndmask_b32_e32 v3, 0, v3, vcc
	v_add_f32_e32 v8, v8, v11
	s_waitcnt vmcnt(0)
	v_mul_f32_e32 v3, v18, v3
	v_add_f32_e32 v8, v8, v12
	v_add_f32_e32 v8, v8, v3
	ds_bpermute_b32 v13, v29, v8
	v_cmp_eq_u32_e32 vcc, 0, v0
	ds_write2st64_b32 v14, v9, v10 offset0:6 offset1:7
	ds_write2st64_b32 v14, v11, v12 offset0:8 offset1:9
	ds_write_b32 v14, v3 offset:2560
	s_waitcnt lgkmcnt(3)
	v_add_f32_e32 v8, v8, v13
	ds_bpermute_b32 v13, v36, v8
	s_waitcnt lgkmcnt(0)
	v_add_f32_e32 v8, v8, v13
	ds_bpermute_b32 v13, v37, v8
	;; [unrolled: 3-line block ×5, first 2 shown]
	s_and_saveexec_b64 s[4:5], vcc
	s_cbranch_execz .LBB222_8
; %bb.7:
	s_waitcnt lgkmcnt(0)
	v_add_f32_e32 v1, v1, v2
	v_mov_b32_e32 v2, 0
	ds_write_b32 v2, v1 offset:2816
.LBB222_8:
	s_or_b64 exec, exec, s[4:5]
	v_mov_b32_e32 v1, s30
.LBB222_9:
	s_or_b64 exec, exec, s[44:45]
	s_lshl_b32 s4, s46, 7
	s_mov_b32 s5, 0
	s_lshl_b64 s[4:5], s[4:5], 1
	s_add_u32 s4, s28, s4
	s_addc_u32 s5, s29, s5
	s_lshl_b32 s10, s33, 7
	s_waitcnt lgkmcnt(0)
	v_lshlrev_b32_e32 v2, 7, v1
	v_mov_b32_e32 v1, 0
	s_add_i32 s11, s10, 0xffffff80
	v_mov_b32_e32 v3, v1
	s_cmp_lt_i32 s50, 1
	v_lshl_add_u64 v[2:3], v[2:3], 1, s[4:5]
	s_cselect_b32 s4, s11, 0
	v_lshlrev_b32_e32 v4, 1, v0
	v_mov_b32_e32 v5, v1
	s_ashr_i32 s5, s4, 31
	v_lshl_add_u64 v[2:3], v[2:3], 0, v[4:5]
	s_cmpk_lt_i32 s50, 0x101
	v_lshl_add_u64 v[12:13], s[4:5], 1, v[2:3]
	s_cselect_b32 s4, s11, 0x80
	s_ashr_i32 s5, s4, 31
	s_cmpk_lt_i32 s50, 0x201
	v_lshl_add_u64 v[14:15], s[4:5], 1, v[2:3]
	s_cselect_b32 s4, s11, 0x100
	s_ashr_i32 s5, s4, 31
	;; [unrolled: 4-line block ×8, first 2 shown]
	s_cmpk_lt_i32 s50, 0x901
	global_load_ushort v4, v[12:13], off
	global_load_ushort v5, v[14:15], off
	;; [unrolled: 1-line block ×8, first 2 shown]
	v_lshl_add_u64 v[20:21], s[4:5], 1, v[2:3]
	s_cselect_b32 s4, s11, 0x480
	s_ashr_i32 s5, s4, 31
	s_cmpk_lt_i32 s50, 0xa01
	v_lshl_add_u64 v[22:23], s[4:5], 1, v[2:3]
	s_cselect_b32 s4, s11, 0x500
	s_ashr_i32 s5, s4, 31
	s_cmpk_lt_i32 s50, 0xb01
	;; [unrolled: 4-line block ×6, first 2 shown]
	v_lshl_add_u64 v[32:33], s[4:5], 1, v[2:3]
	s_cselect_b32 s4, s11, 0x780
	s_ashr_i32 s5, s4, 31
	v_lshl_add_u64 v[34:35], s[4:5], 1, v[2:3]
	global_load_ushort v12, v[20:21], off
	global_load_ushort v13, v[22:23], off
	;; [unrolled: 1-line block ×8, first 2 shown]
	s_cmpk_gt_i32 s50, 0x1000
	s_cselect_b64 s[8:9], -1, 0
	s_cmpk_lt_i32 s50, 0x1001
	v_mov_b32_e32 v36, 0
	v_mov_b32_e32 v37, 0
	;; [unrolled: 1-line block ×48, first 2 shown]
	s_barrier
	s_cbranch_scc1 .LBB222_12
; %bb.10:
	s_cmpk_lt_u32 s50, 0x1101
	s_cselect_b32 s4, s11, 0x880
	s_ashr_i32 s5, s4, 31
	s_cmpk_lt_u32 s50, 0x1201
	v_lshl_add_u64 v[30:31], s[4:5], 1, v[2:3]
	s_cselect_b32 s4, s11, 0x900
	s_ashr_i32 s5, s4, 31
	s_cmpk_lt_u32 s50, 0x1301
	v_lshl_add_u64 v[32:33], s[4:5], 1, v[2:3]
	;; [unrolled: 4-line block ×7, first 2 shown]
	s_cselect_b32 s4, s11, 0xc00
	v_add_co_u32_e32 v28, vcc, 0x1000, v2
	s_ashr_i32 s5, s4, 31
	s_nop 0
	v_addc_co_u32_e32 v29, vcc, 0, v3, vcc
	s_cmpk_lt_u32 s50, 0x1901
	global_load_ushort v27, v[28:29], off
	global_load_ushort v26, v[30:31], off
	;; [unrolled: 1-line block ×8, first 2 shown]
	v_lshl_add_u64 v[36:37], s[4:5], 1, v[2:3]
	s_cselect_b32 s4, s11, 0xc80
	s_ashr_i32 s5, s4, 31
	s_cmpk_lt_u32 s50, 0x1a01
	v_lshl_add_u64 v[38:39], s[4:5], 1, v[2:3]
	s_cselect_b32 s4, s11, 0xd00
	s_ashr_i32 s5, s4, 31
	s_cmpk_lt_u32 s50, 0x1b01
	;; [unrolled: 4-line block ×6, first 2 shown]
	v_lshl_add_u64 v[48:49], s[4:5], 1, v[2:3]
	s_cselect_b32 s4, s11, 0xf80
	s_ashr_i32 s5, s4, 31
	v_lshl_add_u64 v[50:51], s[4:5], 1, v[2:3]
	global_load_ushort v35, v[36:37], off
	global_load_ushort v34, v[38:39], off
	;; [unrolled: 1-line block ×8, first 2 shown]
	s_cmpk_lt_u32 s50, 0x2001
	v_mov_b32_e32 v67, 0
	v_mov_b32_e32 v66, 0
	;; [unrolled: 1-line block ×32, first 2 shown]
	s_cbranch_scc1 .LBB222_12
; %bb.11:
	s_cmpk_lt_u32 s50, 0x2101
	s_cselect_b32 s4, s11, 0x1080
	s_ashr_i32 s5, s4, 31
	s_cmpk_lt_u32 s50, 0x2201
	v_lshl_add_u64 v[38:39], s[4:5], 1, v[2:3]
	s_cselect_b32 s4, s11, 0x1100
	s_ashr_i32 s5, s4, 31
	s_cmpk_lt_u32 s50, 0x2301
	v_lshl_add_u64 v[40:41], s[4:5], 1, v[2:3]
	;; [unrolled: 4-line block ×7, first 2 shown]
	s_cselect_b32 s4, s11, 0x1400
	v_add_co_u32_e32 v36, vcc, 0x2000, v2
	s_ashr_i32 s5, s4, 31
	s_nop 0
	v_addc_co_u32_e32 v37, vcc, 0, v3, vcc
	s_cmpk_lt_u32 s50, 0x2901
	global_load_ushort v52, v[36:37], off
	global_load_ushort v53, v[38:39], off
	;; [unrolled: 1-line block ×8, first 2 shown]
	v_lshl_add_u64 v[36:37], s[4:5], 1, v[2:3]
	s_cselect_b32 s4, s11, 0x1480
	s_ashr_i32 s5, s4, 31
	s_cmpk_lt_u32 s50, 0x2a01
	v_lshl_add_u64 v[38:39], s[4:5], 1, v[2:3]
	s_cselect_b32 s4, s11, 0x1500
	s_ashr_i32 s5, s4, 31
	s_cmpk_lt_u32 s50, 0x2b01
	;; [unrolled: 4-line block ×8, first 2 shown]
	global_load_ushort v68, v[36:37], off
	global_load_ushort v69, v[38:39], off
	global_load_ushort v70, v[40:41], off
	global_load_ushort v71, v[42:43], off
	global_load_ushort v72, v[44:45], off
	global_load_ushort v73, v[46:47], off
	global_load_ushort v74, v[48:49], off
	global_load_ushort v75, v[50:51], off
	v_lshl_add_u64 v[36:37], s[4:5], 1, v[2:3]
	s_cselect_b32 s4, s11, 0x1880
	s_ashr_i32 s5, s4, 31
	s_cmpk_lt_u32 s50, 0x3201
	v_lshl_add_u64 v[38:39], s[4:5], 1, v[2:3]
	s_cselect_b32 s4, s11, 0x1900
	s_ashr_i32 s5, s4, 31
	s_cmpk_lt_u32 s50, 0x3301
	;; [unrolled: 4-line block ×8, first 2 shown]
	global_load_ushort v76, v[36:37], off
	global_load_ushort v77, v[38:39], off
	global_load_ushort v78, v[40:41], off
	global_load_ushort v79, v[42:43], off
	global_load_ushort v80, v[44:45], off
	global_load_ushort v81, v[46:47], off
	global_load_ushort v82, v[48:49], off
	global_load_ushort v83, v[50:51], off
	v_lshl_add_u64 v[36:37], s[4:5], 1, v[2:3]
	s_cselect_b32 s4, s11, 0x1c80
	s_ashr_i32 s5, s4, 31
	s_cmpk_lt_u32 s50, 0x3a01
	v_lshl_add_u64 v[38:39], s[4:5], 1, v[2:3]
	s_cselect_b32 s4, s11, 0x1d00
	s_ashr_i32 s5, s4, 31
	s_cmpk_lt_u32 s50, 0x3b01
	;; [unrolled: 4-line block ×6, first 2 shown]
	v_lshl_add_u64 v[48:49], s[4:5], 1, v[2:3]
	s_cselect_b32 s4, s11, 0x1f80
	s_ashr_i32 s5, s4, 31
	v_lshl_add_u64 v[50:51], s[4:5], 1, v[2:3]
	global_load_ushort v84, v[36:37], off
	global_load_ushort v85, v[38:39], off
	;; [unrolled: 1-line block ×8, first 2 shown]
	s_waitcnt vmcnt(31)
	v_cvt_f32_f16_e32 v67, v52
	s_waitcnt vmcnt(30)
	v_cvt_f32_f16_e32 v66, v53
	s_waitcnt vmcnt(29)
	v_cvt_f32_f16_e32 v65, v54
	s_waitcnt vmcnt(28)
	v_cvt_f32_f16_e32 v64, v55
	s_waitcnt vmcnt(27)
	v_cvt_f32_f16_e32 v63, v56
	s_waitcnt vmcnt(26)
	v_cvt_f32_f16_e32 v62, v57
	s_waitcnt vmcnt(25)
	v_cvt_f32_f16_e32 v61, v58
	s_waitcnt vmcnt(24)
	v_cvt_f32_f16_e32 v60, v59
	s_waitcnt vmcnt(23)
	v_cvt_f32_f16_e32 v59, v68
	s_waitcnt vmcnt(22)
	v_cvt_f32_f16_e32 v58, v69
	s_waitcnt vmcnt(21)
	v_cvt_f32_f16_e32 v57, v70
	s_waitcnt vmcnt(20)
	v_cvt_f32_f16_e32 v56, v71
	s_waitcnt vmcnt(19)
	v_cvt_f32_f16_e32 v55, v72
	s_waitcnt vmcnt(18)
	v_cvt_f32_f16_e32 v54, v73
	s_waitcnt vmcnt(17)
	v_cvt_f32_f16_e32 v53, v74
	s_waitcnt vmcnt(16)
	v_cvt_f32_f16_e32 v52, v75
	s_waitcnt vmcnt(15)
	v_cvt_f32_f16_e32 v51, v76
	s_waitcnt vmcnt(14)
	v_cvt_f32_f16_e32 v50, v77
	s_waitcnt vmcnt(13)
	v_cvt_f32_f16_e32 v49, v78
	s_waitcnt vmcnt(12)
	v_cvt_f32_f16_e32 v48, v79
	s_waitcnt vmcnt(11)
	v_cvt_f32_f16_e32 v47, v80
	s_waitcnt vmcnt(10)
	v_cvt_f32_f16_e32 v46, v81
	s_waitcnt vmcnt(9)
	v_cvt_f32_f16_e32 v45, v82
	s_waitcnt vmcnt(8)
	v_cvt_f32_f16_e32 v44, v83
	s_waitcnt vmcnt(7)
	v_cvt_f32_f16_e32 v43, v84
	s_waitcnt vmcnt(6)
	v_cvt_f32_f16_e32 v42, v85
	s_waitcnt vmcnt(5)
	v_cvt_f32_f16_e32 v41, v86
	s_waitcnt vmcnt(4)
	v_cvt_f32_f16_e32 v40, v87
	s_waitcnt vmcnt(3)
	v_cvt_f32_f16_e32 v39, v88
	s_waitcnt vmcnt(2)
	v_cvt_f32_f16_e32 v38, v89
	s_waitcnt vmcnt(1)
	v_cvt_f32_f16_e32 v37, v90
	s_waitcnt vmcnt(0)
	v_cvt_f32_f16_e32 v36, v91
.LBB222_12:
	ds_read_b128 v[68:71], v1
	s_load_dwordx2 s[4:5], s[0:1], 0x0
	s_load_dwordx2 s[6:7], s[0:1], 0x38
	ds_read_b128 v[72:75], v1 offset:16
	ds_read_b128 v[76:79], v1 offset:32
	;; [unrolled: 1-line block ×3, first 2 shown]
	s_and_b64 vcc, exec, s[8:9]
	s_waitcnt vmcnt(15) lgkmcnt(0)
	v_fma_mix_f32 v4, v68, v4, 0 op_sel_hi:[0,1,0]
	s_waitcnt vmcnt(14)
	v_fma_mix_f32 v4, v69, v5, v4 op_sel_hi:[0,1,0]
	s_waitcnt vmcnt(13)
	;; [unrolled: 2-line block ×15, first 2 shown]
	v_fma_mix_f32 v4, v83, v19, v4 op_sel_hi:[0,1,0]
	s_cbranch_vccz .LBB222_15
; %bb.13:
	ds_read_b128 v[6:9], v1 offset:64
	ds_read_b128 v[10:13], v1 offset:80
	ds_read_b128 v[14:17], v1 offset:96
	ds_read_b128 v[68:71], v1 offset:112
	s_cmpk_lt_u32 s50, 0x2001
	s_waitcnt lgkmcnt(3)
	v_fma_mix_f32 v4, v6, v27, v4 op_sel_hi:[0,1,0]
	v_fma_mix_f32 v4, v7, v26, v4 op_sel_hi:[0,1,0]
	v_fma_mix_f32 v4, v8, v25, v4 op_sel_hi:[0,1,0]
	v_fma_mix_f32 v4, v9, v24, v4 op_sel_hi:[0,1,0]
	s_waitcnt lgkmcnt(2)
	v_fma_mix_f32 v4, v10, v23, v4 op_sel_hi:[0,1,0]
	v_fma_mix_f32 v4, v11, v22, v4 op_sel_hi:[0,1,0]
	v_fma_mix_f32 v4, v12, v21, v4 op_sel_hi:[0,1,0]
	v_fma_mix_f32 v4, v13, v20, v4 op_sel_hi:[0,1,0]
	;; [unrolled: 5-line block ×4, first 2 shown]
	s_cbranch_scc1 .LBB222_15
; %bb.14:
	v_mov_b32_e32 v5, 0
	ds_read_b128 v[6:9], v5 offset:128
	ds_read_b128 v[10:13], v5 offset:144
	;; [unrolled: 1-line block ×4, first 2 shown]
	s_waitcnt lgkmcnt(3)
	v_fmac_f32_e32 v4, v6, v67
	v_fmac_f32_e32 v4, v7, v66
	v_fmac_f32_e32 v4, v8, v65
	v_fmac_f32_e32 v4, v9, v64
	s_waitcnt lgkmcnt(2)
	v_fmac_f32_e32 v4, v10, v63
	v_fmac_f32_e32 v4, v11, v62
	v_fmac_f32_e32 v4, v12, v61
	v_fmac_f32_e32 v4, v13, v60
	;; [unrolled: 5-line block ×3, first 2 shown]
	ds_read_b128 v[6:9], v5 offset:192
	ds_read_b128 v[10:13], v5 offset:208
	s_waitcnt lgkmcnt(2)
	v_fmac_f32_e32 v4, v18, v55
	v_fmac_f32_e32 v4, v19, v54
	;; [unrolled: 1-line block ×4, first 2 shown]
	s_waitcnt lgkmcnt(1)
	v_fmac_f32_e32 v4, v6, v51
	v_fmac_f32_e32 v4, v7, v50
	v_fmac_f32_e32 v4, v8, v49
	v_fmac_f32_e32 v4, v9, v48
	ds_read_b128 v[6:9], v5 offset:224
	s_waitcnt lgkmcnt(1)
	v_fmac_f32_e32 v4, v10, v47
	v_fmac_f32_e32 v4, v11, v46
	;; [unrolled: 1-line block ×4, first 2 shown]
	ds_read_b128 v[10:13], v5 offset:240
	s_waitcnt lgkmcnt(1)
	v_fmac_f32_e32 v4, v6, v43
	v_fmac_f32_e32 v4, v7, v42
	v_fmac_f32_e32 v4, v8, v41
	v_fmac_f32_e32 v4, v9, v40
	s_waitcnt lgkmcnt(0)
	v_fmac_f32_e32 v4, v10, v39
	v_fmac_f32_e32 v4, v11, v38
	;; [unrolled: 1-line block ×4, first 2 shown]
.LBB222_15:
	s_movk_i32 s0, 0x3f80
	s_movk_i32 s1, 0x100
	s_mov_b32 s8, 64
	s_branch .LBB222_17
.LBB222_16:                             ;   in Loop: Header=BB222_17 Depth=1
	s_addk_i32 s0, 0x2000
	s_addk_i32 s1, 0x100
	s_add_i32 s8, s8, 64
	s_cmp_eq_u32 s0, 0x17f80
	s_cbranch_scc1 .LBB222_19
.LBB222_17:                             ; =>This Inner Loop Header: Depth=1
	s_cmp_le_i32 s33, s8
	s_cbranch_scc1 .LBB222_16
; %bb.18:                               ;   in Loop: Header=BB222_17 Depth=1
	s_add_i32 s9, s0, 0xffffe080
	s_cmp_lt_i32 s9, s10
	s_cselect_b32 s12, s9, s11
	s_ashr_i32 s13, s12, 31
	s_add_i32 s9, s0, 0xffffe100
	s_cmp_lt_i32 s9, s10
	v_lshl_add_u64 v[14:15], s[12:13], 1, v[2:3]
	s_cselect_b32 s12, s9, s11
	s_ashr_i32 s13, s12, 31
	s_add_i32 s9, s0, 0xffffe180
	s_cmp_lt_i32 s9, s10
	v_lshl_add_u64 v[16:17], s[12:13], 1, v[2:3]
	;; [unrolled: 5-line block ×8, first 2 shown]
	s_cselect_b32 s12, s9, s11
	s_ashr_i32 s13, s12, 31
	s_add_i32 s9, s0, 0xffffe500
	s_cmp_lt_i32 s9, s10
	global_load_ushort v5, v[14:15], off
	global_load_ushort v6, v[16:17], off
	global_load_ushort v7, v[18:19], off
	global_load_ushort v8, v[20:21], off
	global_load_ushort v9, v[22:23], off
	global_load_ushort v10, v[24:25], off
	global_load_ushort v11, v[26:27], off
	global_load_ushort v12, v[28:29], off
	v_lshl_add_u64 v[14:15], s[12:13], 1, v[2:3]
	s_cselect_b32 s12, s9, s11
	s_ashr_i32 s13, s12, 31
	s_add_i32 s9, s0, 0xffffe580
	s_cmp_lt_i32 s9, s10
	v_lshl_add_u64 v[16:17], s[12:13], 1, v[2:3]
	s_cselect_b32 s12, s9, s11
	s_ashr_i32 s13, s12, 31
	s_add_i32 s9, s0, 0xffffe600
	s_cmp_lt_i32 s9, s10
	v_lshl_add_u64 v[18:19], s[12:13], 1, v[2:3]
	s_cselect_b32 s12, s9, s11
	s_ashr_i32 s13, s12, 31
	s_add_i32 s9, s0, 0xffffe680
	s_cmp_lt_i32 s9, s10
	v_lshl_add_u64 v[20:21], s[12:13], 1, v[2:3]
	s_cselect_b32 s12, s9, s11
	s_ashr_i32 s13, s12, 31
	s_add_i32 s9, s0, 0xffffe700
	s_cmp_lt_i32 s9, s10
	v_lshl_add_u64 v[22:23], s[12:13], 1, v[2:3]
	s_cselect_b32 s12, s9, s11
	s_ashr_i32 s13, s12, 31
	s_add_i32 s9, s0, 0xffffe780
	s_cmp_lt_i32 s9, s10
	v_lshl_add_u64 v[24:25], s[12:13], 1, v[2:3]
	s_cselect_b32 s12, s9, s11
	s_ashr_i32 s13, s12, 31
	s_add_i32 s9, s0, 0xffffe800
	s_cmp_lt_i32 s9, s10
	v_lshl_add_u64 v[26:27], s[12:13], 1, v[2:3]
	s_cselect_b32 s12, s9, s11
	s_ashr_i32 s13, s12, 31
	s_add_i32 s9, s0, 0xffffe880
	s_cmp_lt_i32 s9, s10
	v_lshl_add_u64 v[28:29], s[12:13], 1, v[2:3]
	s_cselect_b32 s12, s9, s11
	s_ashr_i32 s13, s12, 31
	s_add_i32 s9, s0, 0xffffe900
	s_cmp_lt_i32 s9, s10
	global_load_ushort v13, v[14:15], off
	global_load_ushort v30, v[16:17], off
	global_load_ushort v31, v[18:19], off
	global_load_ushort v32, v[20:21], off
	global_load_ushort v33, v[22:23], off
	global_load_ushort v34, v[24:25], off
	global_load_ushort v35, v[26:27], off
	global_load_ushort v36, v[28:29], off
	v_lshl_add_u64 v[14:15], s[12:13], 1, v[2:3]
	s_cselect_b32 s12, s9, s11
	s_ashr_i32 s13, s12, 31
	s_add_i32 s9, s0, 0xffffe980
	s_cmp_lt_i32 s9, s10
	v_lshl_add_u64 v[16:17], s[12:13], 1, v[2:3]
	s_cselect_b32 s12, s9, s11
	s_ashr_i32 s13, s12, 31
	s_add_i32 s9, s0, 0xffffea00
	s_cmp_lt_i32 s9, s10
	v_lshl_add_u64 v[18:19], s[12:13], 1, v[2:3]
	s_cselect_b32 s12, s9, s11
	s_ashr_i32 s13, s12, 31
	s_add_i32 s9, s0, 0xffffea80
	s_cmp_lt_i32 s9, s10
	v_lshl_add_u64 v[20:21], s[12:13], 1, v[2:3]
	s_cselect_b32 s12, s9, s11
	s_ashr_i32 s13, s12, 31
	s_add_i32 s9, s0, 0xffffeb00
	s_cmp_lt_i32 s9, s10
	v_lshl_add_u64 v[22:23], s[12:13], 1, v[2:3]
	s_cselect_b32 s12, s9, s11
	s_ashr_i32 s13, s12, 31
	s_add_i32 s9, s0, 0xffffeb80
	s_cmp_lt_i32 s9, s10
	v_lshl_add_u64 v[24:25], s[12:13], 1, v[2:3]
	s_cselect_b32 s12, s9, s11
	s_ashr_i32 s13, s12, 31
	s_add_i32 s9, s0, 0xffffec00
	s_cmp_lt_i32 s9, s10
	v_lshl_add_u64 v[26:27], s[12:13], 1, v[2:3]
	s_cselect_b32 s12, s9, s11
	s_ashr_i32 s13, s12, 31
	s_add_i32 s9, s0, 0xffffec80
	s_cmp_lt_i32 s9, s10
	v_lshl_add_u64 v[28:29], s[12:13], 1, v[2:3]
	;; [unrolled: 48-line block ×6, first 2 shown]
	s_cselect_b32 s12, s9, s11
	s_ashr_i32 s13, s12, 31
	s_add_i32 s9, s0, 0xfffffd00
	s_cmp_lt_i32 s9, s10
	global_load_ushort v69, v[14:15], off
	global_load_ushort v70, v[16:17], off
	;; [unrolled: 1-line block ×8, first 2 shown]
	v_lshl_add_u64 v[14:15], s[12:13], 1, v[2:3]
	s_cselect_b32 s12, s9, s11
	s_ashr_i32 s13, s12, 31
	s_add_i32 s9, s0, 0xfffffd80
	s_cmp_lt_i32 s9, s10
	v_lshl_add_u64 v[16:17], s[12:13], 1, v[2:3]
	s_cselect_b32 s12, s9, s11
	s_ashr_i32 s13, s12, 31
	s_add_i32 s9, s0, 0xfffffe00
	s_cmp_lt_i32 s9, s10
	;; [unrolled: 5-line block ×5, first 2 shown]
	v_lshl_add_u64 v[24:25], s[12:13], 1, v[2:3]
	s_cselect_b32 s12, s9, s11
	s_ashr_i32 s13, s12, 31
	s_cmp_lt_i32 s0, s10
	v_lshl_add_u64 v[26:27], s[12:13], 1, v[2:3]
	s_cselect_b32 s12, s0, s11
	s_ashr_i32 s13, s12, 31
	v_lshl_add_u64 v[28:29], s[12:13], 1, v[2:3]
	global_load_ushort v77, v[14:15], off
	global_load_ushort v78, v[16:17], off
	;; [unrolled: 1-line block ×8, first 2 shown]
	v_mov_b32_e32 v85, s1
	ds_read_b128 v[14:17], v85
	ds_read_b128 v[18:21], v85 offset:16
	ds_read_b128 v[22:25], v85 offset:32
	;; [unrolled: 1-line block ×3, first 2 shown]
	s_waitcnt vmcnt(62) lgkmcnt(3)
	v_fma_mix_f32 v4, v14, v5, v4 op_sel_hi:[0,1,0]
	v_fma_mix_f32 v4, v15, v6, v4 op_sel_hi:[0,1,0]
	s_waitcnt vmcnt(61)
	v_fma_mix_f32 v4, v16, v7, v4 op_sel_hi:[0,1,0]
	s_waitcnt vmcnt(60)
	v_fma_mix_f32 v4, v17, v8, v4 op_sel_hi:[0,1,0]
	s_waitcnt vmcnt(59) lgkmcnt(2)
	v_fma_mix_f32 v4, v18, v9, v4 op_sel_hi:[0,1,0]
	s_waitcnt vmcnt(58)
	v_fma_mix_f32 v4, v19, v10, v4 op_sel_hi:[0,1,0]
	s_waitcnt vmcnt(57)
	v_fma_mix_f32 v4, v20, v11, v4 op_sel_hi:[0,1,0]
	s_waitcnt vmcnt(56)
	v_fma_mix_f32 v4, v21, v12, v4 op_sel_hi:[0,1,0]
	s_waitcnt vmcnt(55) lgkmcnt(1)
	v_fma_mix_f32 v4, v22, v13, v4 op_sel_hi:[0,1,0]
	s_waitcnt vmcnt(54)
	v_fma_mix_f32 v4, v23, v30, v4 op_sel_hi:[0,1,0]
	s_waitcnt vmcnt(53)
	v_fma_mix_f32 v4, v24, v31, v4 op_sel_hi:[0,1,0]
	s_waitcnt vmcnt(52)
	v_fma_mix_f32 v4, v25, v32, v4 op_sel_hi:[0,1,0]
	s_waitcnt vmcnt(51) lgkmcnt(0)
	v_fma_mix_f32 v8, v26, v33, v4 op_sel_hi:[0,1,0]
	ds_read_b128 v[4:7], v85 offset:64
	s_waitcnt vmcnt(50)
	v_fma_mix_f32 v8, v27, v34, v8 op_sel_hi:[0,1,0]
	s_waitcnt vmcnt(49)
	v_fma_mix_f32 v8, v28, v35, v8 op_sel_hi:[0,1,0]
	s_waitcnt vmcnt(48)
	v_fma_mix_f32 v12, v29, v36, v8 op_sel_hi:[0,1,0]
	ds_read_b128 v[8:11], v85 offset:80
	s_waitcnt vmcnt(47) lgkmcnt(1)
	v_fma_mix_f32 v4, v4, v37, v12 op_sel_hi:[0,1,0]
	s_waitcnt vmcnt(46)
	v_fma_mix_f32 v4, v5, v38, v4 op_sel_hi:[0,1,0]
	s_waitcnt vmcnt(45)
	v_fma_mix_f32 v4, v6, v39, v4 op_sel_hi:[0,1,0]
	s_waitcnt vmcnt(44)
	v_fma_mix_f32 v4, v7, v40, v4 op_sel_hi:[0,1,0]
	s_waitcnt vmcnt(43) lgkmcnt(0)
	v_fma_mix_f32 v8, v8, v41, v4 op_sel_hi:[0,1,0]
	ds_read_b128 v[4:7], v85 offset:96
	s_waitcnt vmcnt(42)
	v_fma_mix_f32 v8, v9, v42, v8 op_sel_hi:[0,1,0]
	s_waitcnt vmcnt(41)
	v_fma_mix_f32 v8, v10, v43, v8 op_sel_hi:[0,1,0]
	s_waitcnt vmcnt(40)
	v_fma_mix_f32 v12, v11, v44, v8 op_sel_hi:[0,1,0]
	ds_read_b128 v[8:11], v85 offset:112
	;; [unrolled: 18-line block ×6, first 2 shown]
	s_waitcnt vmcnt(7) lgkmcnt(1)
	v_fma_mix_f32 v4, v4, v77, v12 op_sel_hi:[0,1,0]
	s_waitcnt vmcnt(6)
	v_fma_mix_f32 v4, v5, v78, v4 op_sel_hi:[0,1,0]
	s_waitcnt vmcnt(5)
	;; [unrolled: 2-line block ×3, first 2 shown]
	v_fma_mix_f32 v4, v7, v80, v4 op_sel_hi:[0,1,0]
	s_waitcnt vmcnt(3) lgkmcnt(0)
	v_fma_mix_f32 v4, v8, v81, v4 op_sel_hi:[0,1,0]
	s_waitcnt vmcnt(2)
	v_fma_mix_f32 v4, v9, v82, v4 op_sel_hi:[0,1,0]
	s_waitcnt vmcnt(1)
	;; [unrolled: 2-line block ×3, first 2 shown]
	v_fma_mix_f32 v4, v11, v84, v4 op_sel_hi:[0,1,0]
	s_branch .LBB222_16
.LBB222_19:
	v_mov_b32_e32 v2, 0
	ds_read_b32 v2, v2 offset:2816
	s_cmp_lg_u64 s[6:7], 0
	s_cbranch_scc0 .LBB222_24
; %bb.20:
	s_load_dword s6, s[6:7], 0x0
	s_waitcnt lgkmcnt(0)
	v_div_scale_f32 v3, s[0:1], s6, s6, 1.0
	v_rcp_f32_e32 v5, v3
	v_div_scale_f32 v6, vcc, 1.0, s6, 1.0
	v_fma_f32 v7, -v3, v5, 1.0
	v_fmac_f32_e32 v5, v7, v5
	v_mul_f32_e32 v7, v6, v5
	v_fma_f32 v8, -v3, v7, v6
	v_fmac_f32_e32 v7, v8, v5
	v_fma_f32 v3, -v3, v7, v6
	v_div_fmas_f32 v3, v3, v5, v7
	v_div_fixup_f32 v3, v3, s6, 1.0
	s_andn2_b64 vcc, exec, s[40:41]
	s_cbranch_vccnz .LBB222_22
.LBB222_21:
	s_add_u32 s0, s34, s42
	s_addc_u32 s1, s35, s43
	s_load_dword s26, s[0:1], 0x0
	s_mov_b32 s27, 0
.LBB222_22:
	s_waitcnt lgkmcnt(0)
	v_add_f32_e32 v2, 0x358637bd, v2
	v_div_scale_f32 v5, s[0:1], v2, v2, 1.0
	v_rcp_f32_e32 v6, v5
	v_div_scale_f32 v7, vcc, 1.0, v2, 1.0
	s_mul_i32 s0, s3, s27
	v_fma_f32 v8, -v5, v6, 1.0
	v_fmac_f32_e32 v6, v8, v6
	v_mul_f32_e32 v8, v7, v6
	v_fma_f32 v9, -v5, v8, v7
	v_fmac_f32_e32 v8, v9, v6
	v_fma_f32 v5, -v5, v8, v7
	s_mul_hi_u32 s1, s3, s26
	v_div_fmas_f32 v5, v5, v6, v8
	s_add_i32 s1, s1, s0
	s_mul_i32 s0, s3, s26
	v_div_fixup_f32 v2, v5, v2, 1.0
	s_lshl_b64 s[0:1], s[0:1], 7
	v_mul_f32_e32 v2, v4, v2
	s_add_u32 s4, s4, s0
	s_mov_b32 s3, 0
	v_mul_f32_e32 v2, v2, v3
	s_addc_u32 s5, s5, s1
	s_lshl_b64 s[0:1], s[2:3], 7
	s_mov_b32 s2, 0x7f800000
	s_mov_b32 s3, 0x43700000
	v_mov_b32_e32 v3, 0xc3700000
	v_med3_f32 v3, v2, s3, v3
	v_cmp_nlg_f32_e64 vcc, |v2|, s2
	s_add_u32 s0, s4, s0
	s_addc_u32 s1, s5, s1
	v_cndmask_b32_e32 v2, v3, v2, vcc
	v_mov_b32_e32 v3, 0
	v_cvt_pk_fp8_f32 v3, v2, v2
	v_lshl_add_u64 v[0:1], s[0:1], 0, v[0:1]
	global_store_byte v[0:1], v3, off
	s_endpgm
.LBB222_23:
	s_mov_b64 s[6:7], 0
	s_branch .LBB222_2
.LBB222_24:
	v_mov_b32_e32 v3, 1.0
	s_andn2_b64 vcc, exec, s[40:41]
	s_cbranch_vccz .LBB222_21
	s_branch .LBB222_22
	.section	.rodata,"a",@progbits
	.p2align	6, 0x0
	.amdhsa_kernel _Z35paged_attention_ll4mi_reduce_kernelIDF16_hLi128ELi128ELi256ELi11EEvPT0_PKfS3_PKT_PKiS8_iS3_
		.amdhsa_group_segment_fixed_size 2820
		.amdhsa_private_segment_fixed_size 0
		.amdhsa_kernarg_size 320
		.amdhsa_user_sgpr_count 2
		.amdhsa_user_sgpr_dispatch_ptr 0
		.amdhsa_user_sgpr_queue_ptr 0
		.amdhsa_user_sgpr_kernarg_segment_ptr 1
		.amdhsa_user_sgpr_dispatch_id 0
		.amdhsa_user_sgpr_kernarg_preload_length 0
		.amdhsa_user_sgpr_kernarg_preload_offset 0
		.amdhsa_user_sgpr_private_segment_size 0
		.amdhsa_uses_dynamic_stack 0
		.amdhsa_enable_private_segment 0
		.amdhsa_system_sgpr_workgroup_id_x 1
		.amdhsa_system_sgpr_workgroup_id_y 1
		.amdhsa_system_sgpr_workgroup_id_z 0
		.amdhsa_system_sgpr_workgroup_info 0
		.amdhsa_system_vgpr_workitem_id 0
		.amdhsa_next_free_vgpr 92
		.amdhsa_next_free_sgpr 51
		.amdhsa_accum_offset 92
		.amdhsa_reserve_vcc 1
		.amdhsa_float_round_mode_32 0
		.amdhsa_float_round_mode_16_64 0
		.amdhsa_float_denorm_mode_32 3
		.amdhsa_float_denorm_mode_16_64 3
		.amdhsa_dx10_clamp 1
		.amdhsa_ieee_mode 1
		.amdhsa_fp16_overflow 0
		.amdhsa_tg_split 0
		.amdhsa_exception_fp_ieee_invalid_op 0
		.amdhsa_exception_fp_denorm_src 0
		.amdhsa_exception_fp_ieee_div_zero 0
		.amdhsa_exception_fp_ieee_overflow 0
		.amdhsa_exception_fp_ieee_underflow 0
		.amdhsa_exception_fp_ieee_inexact 0
		.amdhsa_exception_int_div_zero 0
	.end_amdhsa_kernel
	.section	.text._Z35paged_attention_ll4mi_reduce_kernelIDF16_hLi128ELi128ELi256ELi11EEvPT0_PKfS3_PKT_PKiS8_iS3_,"axG",@progbits,_Z35paged_attention_ll4mi_reduce_kernelIDF16_hLi128ELi128ELi256ELi11EEvPT0_PKfS3_PKT_PKiS8_iS3_,comdat
.Lfunc_end222:
	.size	_Z35paged_attention_ll4mi_reduce_kernelIDF16_hLi128ELi128ELi256ELi11EEvPT0_PKfS3_PKT_PKiS8_iS3_, .Lfunc_end222-_Z35paged_attention_ll4mi_reduce_kernelIDF16_hLi128ELi128ELi256ELi11EEvPT0_PKfS3_PKT_PKiS8_iS3_
                                        ; -- End function
	.section	.AMDGPU.csdata,"",@progbits
; Kernel info:
; codeLenInByte = 9820
; NumSgprs: 57
; NumVgprs: 92
; NumAgprs: 0
; TotalNumVgprs: 92
; ScratchSize: 0
; MemoryBound: 0
; FloatMode: 240
; IeeeMode: 1
; LDSByteSize: 2820 bytes/workgroup (compile time only)
; SGPRBlocks: 7
; VGPRBlocks: 11
; NumSGPRsForWavesPerEU: 57
; NumVGPRsForWavesPerEU: 92
; AccumOffset: 92
; Occupancy: 5
; WaveLimiterHint : 1
; COMPUTE_PGM_RSRC2:SCRATCH_EN: 0
; COMPUTE_PGM_RSRC2:USER_SGPR: 2
; COMPUTE_PGM_RSRC2:TRAP_HANDLER: 0
; COMPUTE_PGM_RSRC2:TGID_X_EN: 1
; COMPUTE_PGM_RSRC2:TGID_Y_EN: 1
; COMPUTE_PGM_RSRC2:TGID_Z_EN: 0
; COMPUTE_PGM_RSRC2:TIDIG_COMP_CNT: 0
; COMPUTE_PGM_RSRC3_GFX90A:ACCUM_OFFSET: 22
; COMPUTE_PGM_RSRC3_GFX90A:TG_SPLIT: 0
	.section	.text._Z35paged_attention_ll4mi_reduce_kernelIDF16_hLi128ELi128ELi256ELi12EEvPT0_PKfS3_PKT_PKiS8_iS3_,"axG",@progbits,_Z35paged_attention_ll4mi_reduce_kernelIDF16_hLi128ELi128ELi256ELi12EEvPT0_PKfS3_PKT_PKiS8_iS3_,comdat
	.protected	_Z35paged_attention_ll4mi_reduce_kernelIDF16_hLi128ELi128ELi256ELi12EEvPT0_PKfS3_PKT_PKiS8_iS3_ ; -- Begin function _Z35paged_attention_ll4mi_reduce_kernelIDF16_hLi128ELi128ELi256ELi12EEvPT0_PKfS3_PKT_PKiS8_iS3_
	.globl	_Z35paged_attention_ll4mi_reduce_kernelIDF16_hLi128ELi128ELi256ELi12EEvPT0_PKfS3_PKT_PKiS8_iS3_
	.p2align	8
	.type	_Z35paged_attention_ll4mi_reduce_kernelIDF16_hLi128ELi128ELi256ELi12EEvPT0_PKfS3_PKT_PKiS8_iS3_,@function
_Z35paged_attention_ll4mi_reduce_kernelIDF16_hLi128ELi128ELi256ELi12EEvPT0_PKfS3_PKT_PKiS8_iS3_: ; @_Z35paged_attention_ll4mi_reduce_kernelIDF16_hLi128ELi128ELi256ELi12EEvPT0_PKfS3_PKT_PKiS8_iS3_
; %bb.0:
	s_load_dwordx2 s[40:41], s[0:1], 0x28
	s_mov_b32 s34, s3
	s_mov_b64 s[4:5], 0
	s_waitcnt lgkmcnt(0)
	s_cmp_lg_u64 s[40:41], 0
	s_cselect_b64 s[42:43], -1, 0
	s_and_b64 vcc, exec, s[42:43]
	s_cbranch_vccz .LBB223_23
; %bb.1:
	s_add_i32 s6, s34, 1
	s_mov_b32 s7, 0
	s_lshl_b64 s[8:9], s[6:7], 2
	s_add_u32 s8, s40, s8
	s_mov_b32 s35, s7
	s_addc_u32 s9, s41, s9
	s_lshl_b64 s[6:7], s[34:35], 2
	s_add_u32 s6, s40, s6
	s_addc_u32 s7, s41, s7
	s_load_dword s3, s[8:9], 0x0
	s_load_dword s10, s[6:7], 0x0
	s_waitcnt lgkmcnt(0)
	s_sub_i32 s3, s3, s10
	s_cmp_eq_u32 s3, 1
	s_cselect_b64 s[6:7], -1, 0
	s_andn2_b64 vcc, exec, s[4:5]
	s_cbranch_vccnz .LBB223_3
.LBB223_2:
	s_mov_b32 s35, 0
	s_mov_b64 s[6:7], -1
.LBB223_3:
	s_andn2_b64 vcc, exec, s[6:7]
	s_cbranch_vccz .LBB223_5
; %bb.4:
	s_endpgm
.LBB223_5:
	s_load_dwordx4 s[28:31], s[0:1], 0x18
	s_load_dword s8, s[0:1], 0x30
	s_lshl_b64 s[44:45], s[34:35], 2
	v_cmp_lt_u32_e32 vcc, 63, v0
	s_waitcnt lgkmcnt(0)
	s_add_u32 s4, s30, s44
	s_addc_u32 s5, s31, s45
	s_load_dword s52, s[4:5], 0x0
	s_load_dword s3, s[0:1], 0x40
	s_mul_i32 s30, s2, s8
	s_mul_i32 s6, s34, s8
	s_waitcnt lgkmcnt(0)
	s_add_i32 s7, s52, 0xff
	s_ashr_i32 s4, s7, 31
	s_lshr_b32 s4, s4, 24
	s_add_i32 s7, s7, s4
	s_and_saveexec_b64 s[4:5], vcc
	s_xor_b64 s[4:5], exec, s[4:5]
	s_or_saveexec_b64 s[46:47], s[4:5]
	s_ashr_i32 s33, s7, 8
	v_mov_b32_e32 v1, s30
	s_mul_i32 s48, s6, s3
	s_xor_b64 exec, exec, s[46:47]
	s_cbranch_execz .LBB223_9
; %bb.6:
	s_add_i32 s4, s33, -1
	v_or_b32_e32 v3, 64, v0
	v_mov_b32_e32 v1, s4
	v_cmp_gt_u32_e64 s[22:23], s33, v3
	s_load_dwordx4 s[36:39], s[0:1], 0x8
	s_mov_b32 s49, 0
	v_cndmask_b32_e64 v4, v1, v3, s[22:23]
	v_or_b32_e32 v3, 0x80, v0
	v_cmp_gt_u32_e64 s[20:21], s33, v3
	s_lshl_b64 s[50:51], s[48:49], 2
	s_mov_b32 s31, s49
	v_cndmask_b32_e64 v6, v1, v3, s[20:21]
	v_or_b32_e32 v3, 0xc0, v0
	v_cmp_gt_u32_e64 s[18:19], s33, v3
	v_cmp_gt_u32_e64 s[24:25], s33, v0
	s_waitcnt lgkmcnt(0)
	s_add_u32 s26, s38, s50
	v_cndmask_b32_e64 v8, v1, v3, s[18:19]
	v_or_b32_e32 v3, 0x100, v0
	v_cmp_gt_u32_e64 s[16:17], s33, v3
	v_cndmask_b32_e64 v2, v1, v0, s[24:25]
	s_addc_u32 s27, s39, s51
	v_cndmask_b32_e64 v10, v1, v3, s[16:17]
	v_or_b32_e32 v3, 0x140, v0
	v_cmp_gt_u32_e64 s[14:15], s33, v3
	s_lshl_b64 s[38:39], s[30:31], 2
	s_add_u32 s26, s26, s38
	v_cndmask_b32_e64 v12, v1, v3, s[14:15]
	v_or_b32_e32 v3, 0x180, v0
	v_cmp_gt_u32_e64 s[12:13], s33, v3
	v_ashrrev_i32_e32 v11, 31, v10
	v_ashrrev_i32_e32 v13, 31, v12
	v_cndmask_b32_e64 v14, v1, v3, s[12:13]
	v_or_b32_e32 v3, 0x1c0, v0
	v_cmp_gt_u32_e64 s[10:11], s33, v3
	s_addc_u32 s27, s27, s39
	v_ashrrev_i32_e32 v5, 31, v4
	v_cndmask_b32_e64 v16, v1, v3, s[10:11]
	v_or_b32_e32 v3, 0x200, v0
	v_cmp_gt_u32_e64 s[8:9], s33, v3
	v_ashrrev_i32_e32 v7, 31, v6
	v_ashrrev_i32_e32 v9, 31, v8
	v_cndmask_b32_e64 v18, v1, v3, s[8:9]
	v_or_b32_e32 v3, 0x240, v0
	v_cmp_gt_u32_e64 s[6:7], s33, v3
	v_lshlrev_b64 v[10:11], 2, v[10:11]
	v_lshlrev_b64 v[12:13], 2, v[12:13]
	v_cndmask_b32_e64 v20, v1, v3, s[6:7]
	v_or_b32_e32 v3, 0x280, v0
	v_cmp_gt_u32_e64 s[4:5], s33, v3
	v_ashrrev_i32_e32 v15, 31, v14
	v_ashrrev_i32_e32 v17, 31, v16
	v_cndmask_b32_e64 v22, v1, v3, s[4:5]
	v_or_b32_e32 v3, 0x2c0, v0
	v_cmp_gt_u32_e32 vcc, s33, v3
	v_lshlrev_b64 v[4:5], 2, v[4:5]
	v_lshlrev_b64 v[6:7], 2, v[6:7]
	v_cndmask_b32_e32 v24, v1, v3, vcc
	v_ashrrev_i32_e32 v3, 31, v2
	v_lshlrev_b64 v[2:3], 2, v[2:3]
	v_lshl_add_u64 v[26:27], s[26:27], 0, v[2:3]
	v_lshlrev_b64 v[8:9], 2, v[8:9]
	v_lshl_add_u64 v[34:35], s[26:27], 0, v[10:11]
	v_lshl_add_u64 v[36:37], s[26:27], 0, v[12:13]
	v_lshlrev_b64 v[14:15], 2, v[14:15]
	v_lshlrev_b64 v[16:17], 2, v[16:17]
	v_ashrrev_i32_e32 v19, 31, v18
	v_ashrrev_i32_e32 v21, 31, v20
	v_lshl_add_u64 v[28:29], s[26:27], 0, v[4:5]
	v_lshl_add_u64 v[30:31], s[26:27], 0, v[6:7]
	;; [unrolled: 1-line block ×5, first 2 shown]
	global_load_dword v1, v[26:27], off
	global_load_dword v42, v[28:29], off
	;; [unrolled: 1-line block ×4, first 2 shown]
	s_nop 0
	global_load_dword v34, v[34:35], off
	s_nop 0
	global_load_dword v35, v[36:37], off
	;; [unrolled: 2-line block ×3, first 2 shown]
	global_load_dword v37, v[40:41], off
	v_lshlrev_b64 v[18:19], 2, v[18:19]
	v_lshlrev_b64 v[20:21], 2, v[20:21]
	v_ashrrev_i32_e32 v23, 31, v22
	v_ashrrev_i32_e32 v25, 31, v24
	v_lshl_add_u64 v[26:27], s[26:27], 0, v[18:19]
	v_lshl_add_u64 v[28:29], s[26:27], 0, v[20:21]
	v_lshlrev_b64 v[22:23], 2, v[22:23]
	v_lshlrev_b64 v[24:25], 2, v[24:25]
	v_lshl_add_u64 v[30:31], s[26:27], 0, v[22:23]
	v_lshl_add_u64 v[32:33], s[26:27], 0, v[24:25]
	global_load_dword v26, v[26:27], off
	s_nop 0
	global_load_dword v27, v[28:29], off
	s_nop 0
	global_load_dword v28, v[30:31], off
	global_load_dword v29, v[32:33], off
	s_mov_b32 s31, 0x3fb8aa3b
	s_waitcnt vmcnt(11)
	v_max_f32_e32 v31, v1, v1
	s_waitcnt vmcnt(10)
	v_max_f32_e32 v30, v42, v42
	v_max_f32_e32 v30, v31, v30
	v_mbcnt_lo_u32_b32 v31, -1, 0
	v_mbcnt_hi_u32_b32 v31, -1, v31
	s_waitcnt vmcnt(8)
	v_max3_f32 v30, v30, v43, v44
	v_and_b32_e32 v32, 64, v31
	s_waitcnt vmcnt(6)
	v_max3_f32 v30, v30, v34, v35
	v_add_u32_e32 v32, 64, v32
	v_xor_b32_e32 v33, 32, v31
	s_waitcnt vmcnt(4)
	v_max3_f32 v30, v30, v36, v37
	v_cmp_lt_i32_e64 s[26:27], v33, v32
	s_waitcnt vmcnt(2)
	v_max3_f32 v30, v30, v26, v27
	v_cndmask_b32_e64 v33, v31, v33, s[26:27]
	s_waitcnt vmcnt(0)
	v_max3_f32 v30, v30, v28, v29
	v_lshlrev_b32_e32 v33, 2, v33
	ds_bpermute_b32 v38, v33, v30
	s_waitcnt lgkmcnt(0)
	v_max_f32_e32 v38, v38, v38
	v_max_f32_e32 v30, v30, v38
	v_xor_b32_e32 v38, 16, v31
	v_cmp_lt_i32_e64 s[26:27], v38, v32
	s_nop 1
	v_cndmask_b32_e64 v38, v31, v38, s[26:27]
	v_lshlrev_b32_e32 v38, 2, v38
	ds_bpermute_b32 v39, v38, v30
	s_waitcnt lgkmcnt(0)
	v_max_f32_e32 v39, v39, v39
	v_max_f32_e32 v30, v30, v39
	v_xor_b32_e32 v39, 8, v31
	v_cmp_lt_i32_e64 s[26:27], v39, v32
	s_nop 1
	v_cndmask_b32_e64 v39, v31, v39, s[26:27]
	v_lshlrev_b32_e32 v39, 2, v39
	ds_bpermute_b32 v40, v39, v30
	s_add_u32 s26, s36, s50
	s_addc_u32 s27, s37, s51
	s_add_u32 s36, s26, s38
	s_addc_u32 s37, s27, s39
	s_waitcnt lgkmcnt(0)
	v_max_f32_e32 v40, v40, v40
	v_lshl_add_u64 v[2:3], s[36:37], 0, v[2:3]
	v_max_f32_e32 v30, v30, v40
	global_load_dword v40, v[2:3], off
	v_xor_b32_e32 v2, 4, v31
	v_cmp_lt_i32_e64 s[26:27], v2, v32
	s_nop 1
	v_cndmask_b32_e64 v2, v31, v2, s[26:27]
	v_lshlrev_b32_e32 v41, 2, v2
	ds_bpermute_b32 v2, v41, v30
	s_waitcnt lgkmcnt(0)
	v_max_f32_e32 v2, v2, v2
	v_max_f32_e32 v30, v30, v2
	v_xor_b32_e32 v2, 2, v31
	v_cmp_lt_i32_e64 s[26:27], v2, v32
	s_nop 1
	v_cndmask_b32_e64 v45, v31, v2, s[26:27]
	v_lshl_add_u64 v[2:3], s[36:37], 0, v[4:5]
	v_lshlrev_b32_e32 v45, 2, v45
	global_load_dword v46, v[2:3], off
	ds_bpermute_b32 v2, v45, v30
	v_lshl_add_u64 v[4:5], s[36:37], 0, v[8:9]
	v_lshl_add_u64 v[8:9], s[36:37], 0, v[14:15]
	s_waitcnt lgkmcnt(0)
	v_max_f32_e32 v2, v2, v2
	v_max_f32_e32 v30, v30, v2
	v_xor_b32_e32 v2, 1, v31
	v_cmp_lt_i32_e64 s[26:27], v2, v32
	s_nop 1
	v_cndmask_b32_e64 v2, v31, v2, s[26:27]
	v_lshlrev_b32_e32 v31, 2, v2
	v_lshl_add_u64 v[2:3], s[36:37], 0, v[6:7]
	global_load_dword v47, v[2:3], off
	v_lshl_add_u64 v[2:3], s[36:37], 0, v[10:11]
	v_lshl_add_u64 v[6:7], s[36:37], 0, v[12:13]
	;; [unrolled: 1-line block ×3, first 2 shown]
	global_load_dword v12, v[4:5], off
	global_load_dword v13, v[2:3], off
	;; [unrolled: 1-line block ×5, first 2 shown]
	ds_bpermute_b32 v32, v31, v30
	v_lshl_add_u64 v[2:3], s[36:37], 0, v[18:19]
	v_lshl_add_u64 v[4:5], s[36:37], 0, v[20:21]
	;; [unrolled: 1-line block ×4, first 2 shown]
	s_waitcnt lgkmcnt(0)
	v_max_f32_e32 v10, v32, v32
	v_max_f32_e32 v10, v30, v10
	v_sub_f32_e32 v1, v1, v10
	v_mul_f32_e32 v11, 0x3fb8aa3b, v1
	v_fma_f32 v17, v1, s31, -v11
	v_rndne_f32_e32 v18, v11
	v_fmac_f32_e32 v17, 0x32a5705f, v1
	v_sub_f32_e32 v11, v11, v18
	v_add_f32_e32 v11, v11, v17
	v_cvt_i32_f32_e32 v17, v18
	global_load_dword v18, v[2:3], off
	global_load_dword v19, v[4:5], off
	;; [unrolled: 1-line block ×4, first 2 shown]
	v_sub_f32_e32 v4, v42, v10
	v_mul_f32_e32 v5, 0x3fb8aa3b, v4
	v_fma_f32 v6, v4, s31, -v5
	v_rndne_f32_e32 v7, v5
	v_exp_f32_e32 v11, v11
	v_fmac_f32_e32 v6, 0x32a5705f, v4
	v_sub_f32_e32 v5, v5, v7
	v_add_f32_e32 v5, v5, v6
	v_exp_f32_e32 v5, v5
	v_cvt_i32_f32_e32 v6, v7
	s_mov_b32 s36, 0xc2ce8ed0
	v_ldexp_f32 v2, v11, v17
	v_cmp_ngt_f32_e64 s[26:27], s36, v1
	s_mov_b32 s37, 0x42b17218
	v_mov_b32_e32 v3, 0x7f800000
	v_cndmask_b32_e64 v2, 0, v2, s[26:27]
	v_cmp_nlt_f32_e64 s[26:27], s37, v1
	s_nop 1
	v_cndmask_b32_e64 v1, v3, v2, s[26:27]
	v_ldexp_f32 v2, v5, v6
	v_sub_f32_e32 v5, v43, v10
	v_mul_f32_e32 v6, 0x3fb8aa3b, v5
	v_fma_f32 v7, v5, s31, -v6
	v_rndne_f32_e32 v8, v6
	v_fmac_f32_e32 v7, 0x32a5705f, v5
	v_sub_f32_e32 v6, v6, v8
	v_add_f32_e32 v6, v6, v7
	v_exp_f32_e32 v6, v6
	v_cvt_i32_f32_e32 v7, v8
	v_cndmask_b32_e64 v1, 0, v1, s[24:25]
	v_cmp_ngt_f32_e64 s[24:25], s36, v4
	s_waitcnt vmcnt(11)
	v_mul_f32_e32 v1, v40, v1
	v_cndmask_b32_e64 v2, 0, v2, s[24:25]
	v_cmp_nlt_f32_e64 s[24:25], s37, v4
	v_ldexp_f32 v4, v6, v7
	v_sub_f32_e32 v6, v44, v10
	v_mul_f32_e32 v7, 0x3fb8aa3b, v6
	v_fma_f32 v8, v6, s31, -v7
	v_rndne_f32_e32 v9, v7
	v_fmac_f32_e32 v8, 0x32a5705f, v6
	v_sub_f32_e32 v7, v7, v9
	v_add_f32_e32 v7, v7, v8
	v_exp_f32_e32 v7, v7
	v_cvt_i32_f32_e32 v8, v9
	v_cndmask_b32_e64 v2, v3, v2, s[24:25]
	v_cndmask_b32_e64 v2, 0, v2, s[22:23]
	v_cmp_ngt_f32_e64 s[22:23], s36, v5
	s_waitcnt vmcnt(10)
	v_mul_f32_e32 v2, v46, v2
	v_cndmask_b32_e64 v4, 0, v4, s[22:23]
	v_cmp_nlt_f32_e64 s[22:23], s37, v5
	v_ldexp_f32 v5, v7, v8
	v_sub_f32_e32 v7, v34, v10
	v_mul_f32_e32 v8, 0x3fb8aa3b, v7
	v_fma_f32 v9, v7, s31, -v8
	v_rndne_f32_e32 v11, v8
	v_fmac_f32_e32 v9, 0x32a5705f, v7
	v_sub_f32_e32 v8, v8, v11
	v_add_f32_e32 v8, v8, v9
	v_exp_f32_e32 v8, v8
	v_cvt_i32_f32_e32 v9, v11
	v_cndmask_b32_e64 v4, v3, v4, s[22:23]
	v_cndmask_b32_e64 v4, 0, v4, s[20:21]
	v_cmp_ngt_f32_e64 s[20:21], s36, v6
	s_waitcnt vmcnt(9)
	v_mul_f32_e32 v4, v47, v4
	v_cndmask_b32_e64 v5, 0, v5, s[20:21]
	v_cmp_nlt_f32_e64 s[20:21], s37, v6
	v_ldexp_f32 v6, v8, v9
	v_sub_f32_e32 v8, v35, v10
	v_cndmask_b32_e64 v5, v3, v5, s[20:21]
	v_cndmask_b32_e64 v5, 0, v5, s[18:19]
	v_mul_f32_e32 v9, 0x3fb8aa3b, v8
	s_waitcnt vmcnt(8)
	v_mul_f32_e32 v5, v12, v5
	v_fma_f32 v11, v8, s31, -v9
	v_rndne_f32_e32 v12, v9
	v_fmac_f32_e32 v11, 0x32a5705f, v8
	v_sub_f32_e32 v9, v9, v12
	v_add_f32_e32 v9, v9, v11
	v_exp_f32_e32 v9, v9
	v_cvt_i32_f32_e32 v11, v12
	v_cmp_ngt_f32_e64 s[18:19], s36, v7
	s_nop 1
	v_cndmask_b32_e64 v6, 0, v6, s[18:19]
	v_cmp_nlt_f32_e64 s[18:19], s37, v7
	v_ldexp_f32 v7, v9, v11
	v_sub_f32_e32 v9, v36, v10
	v_cndmask_b32_e64 v6, v3, v6, s[18:19]
	v_cndmask_b32_e64 v6, 0, v6, s[16:17]
	v_mul_f32_e32 v11, 0x3fb8aa3b, v9
	s_waitcnt vmcnt(7)
	v_mul_f32_e32 v6, v13, v6
	v_fma_f32 v12, v9, s31, -v11
	v_rndne_f32_e32 v13, v11
	v_fmac_f32_e32 v12, 0x32a5705f, v9
	v_sub_f32_e32 v11, v11, v13
	v_add_f32_e32 v11, v11, v12
	v_exp_f32_e32 v11, v11
	v_cvt_i32_f32_e32 v12, v13
	v_cmp_ngt_f32_e64 s[16:17], s36, v8
	s_nop 1
	;; [unrolled: 18-line block ×5, first 2 shown]
	v_cndmask_b32_e64 v11, 0, v11, s[10:11]
	v_cmp_nlt_f32_e64 s[10:11], s37, v12
	v_ldexp_f32 v12, v14, v15
	v_sub_f32_e32 v14, v28, v10
	v_mul_f32_e32 v15, 0x3fb8aa3b, v14
	v_fma_f32 v16, v14, s31, -v15
	v_rndne_f32_e32 v17, v15
	v_fmac_f32_e32 v16, 0x32a5705f, v14
	v_sub_f32_e32 v15, v15, v17
	v_add_f32_e32 v15, v15, v16
	v_exp_f32_e32 v15, v15
	v_cvt_i32_f32_e32 v16, v17
	v_cndmask_b32_e64 v11, v3, v11, s[10:11]
	v_cndmask_b32_e64 v11, 0, v11, s[8:9]
	v_cmp_ngt_f32_e64 s[8:9], s36, v13
	v_sub_f32_e32 v10, v29, v10
	s_waitcnt vmcnt(3)
	v_mul_f32_e32 v11, v18, v11
	v_cndmask_b32_e64 v12, 0, v12, s[8:9]
	v_cmp_nlt_f32_e64 s[8:9], s37, v13
	v_ldexp_f32 v13, v15, v16
	v_mul_f32_e32 v15, 0x3fb8aa3b, v10
	v_fma_f32 v16, v10, s31, -v15
	v_rndne_f32_e32 v17, v15
	v_fmac_f32_e32 v16, 0x32a5705f, v10
	v_sub_f32_e32 v15, v15, v17
	v_add_f32_e32 v15, v15, v16
	v_cndmask_b32_e64 v12, v3, v12, s[8:9]
	v_exp_f32_e32 v15, v15
	v_cvt_i32_f32_e32 v16, v17
	v_cndmask_b32_e64 v12, 0, v12, s[6:7]
	v_cmp_ngt_f32_e64 s[6:7], s36, v14
	s_waitcnt vmcnt(2)
	v_mul_f32_e32 v12, v19, v12
	v_cndmask_b32_e64 v13, 0, v13, s[6:7]
	v_cmp_nlt_f32_e64 s[6:7], s37, v14
	v_ldexp_f32 v14, v15, v16
	v_lshlrev_b32_e32 v15, 2, v0
	v_cndmask_b32_e64 v13, v3, v13, s[6:7]
	v_cndmask_b32_e64 v13, 0, v13, s[4:5]
	v_cmp_ngt_f32_e64 s[4:5], s36, v10
	s_waitcnt vmcnt(1)
	v_mul_f32_e32 v13, v20, v13
	ds_write2st64_b32 v15, v1, v2 offset1:1
	ds_write2st64_b32 v15, v4, v5 offset0:2 offset1:3
	ds_write2st64_b32 v15, v6, v7 offset0:4 offset1:5
	v_cndmask_b32_e64 v14, 0, v14, s[4:5]
	v_cmp_nlt_f32_e64 s[4:5], s37, v10
	v_add_f32_e32 v10, v1, v2
	v_add_f32_e32 v10, v10, v4
	v_add_f32_e32 v10, v10, v5
	v_add_f32_e32 v10, v10, v6
	v_add_f32_e32 v10, v10, v7
	v_add_f32_e32 v10, v10, v8
	v_add_f32_e32 v10, v10, v9
	v_add_f32_e32 v10, v10, v11
	v_cndmask_b32_e64 v3, v3, v14, s[4:5]
	v_add_f32_e32 v10, v10, v12
	v_cndmask_b32_e32 v3, 0, v3, vcc
	v_add_f32_e32 v10, v10, v13
	s_waitcnt vmcnt(0)
	v_fmac_f32_e32 v10, v21, v3
	ds_bpermute_b32 v14, v33, v10
	v_cmp_eq_u32_e32 vcc, 0, v0
	v_mul_f32_e32 v3, v21, v3
	ds_write2st64_b32 v15, v8, v9 offset0:6 offset1:7
	ds_write2st64_b32 v15, v11, v12 offset0:8 offset1:9
	;; [unrolled: 1-line block ×3, first 2 shown]
	s_waitcnt lgkmcnt(3)
	v_add_f32_e32 v10, v10, v14
	ds_bpermute_b32 v14, v38, v10
	s_waitcnt lgkmcnt(0)
	v_add_f32_e32 v10, v10, v14
	ds_bpermute_b32 v14, v39, v10
	;; [unrolled: 3-line block ×5, first 2 shown]
	s_and_saveexec_b64 s[4:5], vcc
	s_cbranch_execz .LBB223_8
; %bb.7:
	s_waitcnt lgkmcnt(0)
	v_add_f32_e32 v1, v1, v2
	v_mov_b32_e32 v2, 0
	ds_write_b32 v2, v1 offset:3072
.LBB223_8:
	s_or_b64 exec, exec, s[4:5]
	v_mov_b32_e32 v1, s30
.LBB223_9:
	s_or_b64 exec, exec, s[46:47]
	s_lshl_b32 s4, s48, 7
	s_mov_b32 s5, 0
	s_lshl_b64 s[4:5], s[4:5], 1
	s_add_u32 s4, s28, s4
	s_addc_u32 s5, s29, s5
	s_lshl_b32 s10, s33, 7
	s_waitcnt lgkmcnt(0)
	v_lshlrev_b32_e32 v2, 7, v1
	v_mov_b32_e32 v1, 0
	s_add_i32 s11, s10, 0xffffff80
	v_mov_b32_e32 v3, v1
	s_cmp_lt_i32 s52, 1
	v_lshl_add_u64 v[2:3], v[2:3], 1, s[4:5]
	s_cselect_b32 s4, s11, 0
	v_lshlrev_b32_e32 v4, 1, v0
	v_mov_b32_e32 v5, v1
	s_ashr_i32 s5, s4, 31
	v_lshl_add_u64 v[2:3], v[2:3], 0, v[4:5]
	s_cmpk_lt_i32 s52, 0x101
	v_lshl_add_u64 v[12:13], s[4:5], 1, v[2:3]
	s_cselect_b32 s4, s11, 0x80
	s_ashr_i32 s5, s4, 31
	s_cmpk_lt_i32 s52, 0x201
	v_lshl_add_u64 v[14:15], s[4:5], 1, v[2:3]
	s_cselect_b32 s4, s11, 0x100
	s_ashr_i32 s5, s4, 31
	;; [unrolled: 4-line block ×8, first 2 shown]
	s_cmpk_lt_i32 s52, 0x901
	global_load_ushort v4, v[12:13], off
	global_load_ushort v5, v[14:15], off
	;; [unrolled: 1-line block ×8, first 2 shown]
	v_lshl_add_u64 v[20:21], s[4:5], 1, v[2:3]
	s_cselect_b32 s4, s11, 0x480
	s_ashr_i32 s5, s4, 31
	s_cmpk_lt_i32 s52, 0xa01
	v_lshl_add_u64 v[22:23], s[4:5], 1, v[2:3]
	s_cselect_b32 s4, s11, 0x500
	s_ashr_i32 s5, s4, 31
	s_cmpk_lt_i32 s52, 0xb01
	;; [unrolled: 4-line block ×6, first 2 shown]
	v_lshl_add_u64 v[32:33], s[4:5], 1, v[2:3]
	s_cselect_b32 s4, s11, 0x780
	s_ashr_i32 s5, s4, 31
	v_lshl_add_u64 v[34:35], s[4:5], 1, v[2:3]
	global_load_ushort v12, v[20:21], off
	global_load_ushort v13, v[22:23], off
	;; [unrolled: 1-line block ×8, first 2 shown]
	s_cmpk_gt_i32 s52, 0x1000
	s_cselect_b64 s[8:9], -1, 0
	s_cmpk_lt_i32 s52, 0x1001
	v_mov_b32_e32 v36, 0
	v_mov_b32_e32 v37, 0
	;; [unrolled: 1-line block ×48, first 2 shown]
	s_barrier
	s_cbranch_scc1 .LBB223_12
; %bb.10:
	s_cmpk_lt_u32 s52, 0x1101
	s_cselect_b32 s4, s11, 0x880
	s_ashr_i32 s5, s4, 31
	s_cmpk_lt_u32 s52, 0x1201
	v_lshl_add_u64 v[30:31], s[4:5], 1, v[2:3]
	s_cselect_b32 s4, s11, 0x900
	s_ashr_i32 s5, s4, 31
	s_cmpk_lt_u32 s52, 0x1301
	v_lshl_add_u64 v[32:33], s[4:5], 1, v[2:3]
	;; [unrolled: 4-line block ×7, first 2 shown]
	s_cselect_b32 s4, s11, 0xc00
	v_add_co_u32_e32 v28, vcc, 0x1000, v2
	s_ashr_i32 s5, s4, 31
	s_nop 0
	v_addc_co_u32_e32 v29, vcc, 0, v3, vcc
	s_cmpk_lt_u32 s52, 0x1901
	global_load_ushort v27, v[28:29], off
	global_load_ushort v26, v[30:31], off
	;; [unrolled: 1-line block ×8, first 2 shown]
	v_lshl_add_u64 v[36:37], s[4:5], 1, v[2:3]
	s_cselect_b32 s4, s11, 0xc80
	s_ashr_i32 s5, s4, 31
	s_cmpk_lt_u32 s52, 0x1a01
	v_lshl_add_u64 v[38:39], s[4:5], 1, v[2:3]
	s_cselect_b32 s4, s11, 0xd00
	s_ashr_i32 s5, s4, 31
	s_cmpk_lt_u32 s52, 0x1b01
	;; [unrolled: 4-line block ×6, first 2 shown]
	v_lshl_add_u64 v[48:49], s[4:5], 1, v[2:3]
	s_cselect_b32 s4, s11, 0xf80
	s_ashr_i32 s5, s4, 31
	v_lshl_add_u64 v[50:51], s[4:5], 1, v[2:3]
	global_load_ushort v35, v[36:37], off
	global_load_ushort v34, v[38:39], off
	;; [unrolled: 1-line block ×8, first 2 shown]
	s_cmpk_lt_u32 s52, 0x2001
	v_mov_b32_e32 v67, 0
	v_mov_b32_e32 v66, 0
	;; [unrolled: 1-line block ×32, first 2 shown]
	s_cbranch_scc1 .LBB223_12
; %bb.11:
	s_cmpk_lt_u32 s52, 0x2101
	s_cselect_b32 s4, s11, 0x1080
	s_ashr_i32 s5, s4, 31
	s_cmpk_lt_u32 s52, 0x2201
	v_lshl_add_u64 v[38:39], s[4:5], 1, v[2:3]
	s_cselect_b32 s4, s11, 0x1100
	s_ashr_i32 s5, s4, 31
	s_cmpk_lt_u32 s52, 0x2301
	v_lshl_add_u64 v[40:41], s[4:5], 1, v[2:3]
	;; [unrolled: 4-line block ×7, first 2 shown]
	s_cselect_b32 s4, s11, 0x1400
	v_add_co_u32_e32 v36, vcc, 0x2000, v2
	s_ashr_i32 s5, s4, 31
	s_nop 0
	v_addc_co_u32_e32 v37, vcc, 0, v3, vcc
	s_cmpk_lt_u32 s52, 0x2901
	global_load_ushort v52, v[36:37], off
	global_load_ushort v53, v[38:39], off
	;; [unrolled: 1-line block ×8, first 2 shown]
	v_lshl_add_u64 v[36:37], s[4:5], 1, v[2:3]
	s_cselect_b32 s4, s11, 0x1480
	s_ashr_i32 s5, s4, 31
	s_cmpk_lt_u32 s52, 0x2a01
	v_lshl_add_u64 v[38:39], s[4:5], 1, v[2:3]
	s_cselect_b32 s4, s11, 0x1500
	s_ashr_i32 s5, s4, 31
	s_cmpk_lt_u32 s52, 0x2b01
	;; [unrolled: 4-line block ×8, first 2 shown]
	global_load_ushort v68, v[36:37], off
	global_load_ushort v69, v[38:39], off
	;; [unrolled: 1-line block ×8, first 2 shown]
	v_lshl_add_u64 v[36:37], s[4:5], 1, v[2:3]
	s_cselect_b32 s4, s11, 0x1880
	s_ashr_i32 s5, s4, 31
	s_cmpk_lt_u32 s52, 0x3201
	v_lshl_add_u64 v[38:39], s[4:5], 1, v[2:3]
	s_cselect_b32 s4, s11, 0x1900
	s_ashr_i32 s5, s4, 31
	s_cmpk_lt_u32 s52, 0x3301
	;; [unrolled: 4-line block ×8, first 2 shown]
	global_load_ushort v76, v[36:37], off
	global_load_ushort v77, v[38:39], off
	;; [unrolled: 1-line block ×8, first 2 shown]
	v_lshl_add_u64 v[36:37], s[4:5], 1, v[2:3]
	s_cselect_b32 s4, s11, 0x1c80
	s_ashr_i32 s5, s4, 31
	s_cmpk_lt_u32 s52, 0x3a01
	v_lshl_add_u64 v[38:39], s[4:5], 1, v[2:3]
	s_cselect_b32 s4, s11, 0x1d00
	s_ashr_i32 s5, s4, 31
	s_cmpk_lt_u32 s52, 0x3b01
	;; [unrolled: 4-line block ×6, first 2 shown]
	v_lshl_add_u64 v[48:49], s[4:5], 1, v[2:3]
	s_cselect_b32 s4, s11, 0x1f80
	s_ashr_i32 s5, s4, 31
	v_lshl_add_u64 v[50:51], s[4:5], 1, v[2:3]
	global_load_ushort v84, v[36:37], off
	global_load_ushort v85, v[38:39], off
	;; [unrolled: 1-line block ×8, first 2 shown]
	s_waitcnt vmcnt(31)
	v_cvt_f32_f16_e32 v67, v52
	s_waitcnt vmcnt(30)
	v_cvt_f32_f16_e32 v66, v53
	;; [unrolled: 2-line block ×32, first 2 shown]
.LBB223_12:
	ds_read_b128 v[68:71], v1
	s_load_dwordx2 s[4:5], s[0:1], 0x0
	s_load_dwordx2 s[6:7], s[0:1], 0x38
	ds_read_b128 v[72:75], v1 offset:16
	ds_read_b128 v[76:79], v1 offset:32
	;; [unrolled: 1-line block ×3, first 2 shown]
	s_and_b64 vcc, exec, s[8:9]
	s_waitcnt vmcnt(15) lgkmcnt(0)
	v_fma_mix_f32 v4, v68, v4, 0 op_sel_hi:[0,1,0]
	s_waitcnt vmcnt(14)
	v_fma_mix_f32 v4, v69, v5, v4 op_sel_hi:[0,1,0]
	s_waitcnt vmcnt(13)
	;; [unrolled: 2-line block ×15, first 2 shown]
	v_fma_mix_f32 v4, v83, v19, v4 op_sel_hi:[0,1,0]
	s_cbranch_vccz .LBB223_15
; %bb.13:
	ds_read_b128 v[6:9], v1 offset:64
	ds_read_b128 v[10:13], v1 offset:80
	ds_read_b128 v[14:17], v1 offset:96
	ds_read_b128 v[68:71], v1 offset:112
	s_cmpk_lt_u32 s52, 0x2001
	s_waitcnt lgkmcnt(3)
	v_fma_mix_f32 v4, v6, v27, v4 op_sel_hi:[0,1,0]
	v_fma_mix_f32 v4, v7, v26, v4 op_sel_hi:[0,1,0]
	v_fma_mix_f32 v4, v8, v25, v4 op_sel_hi:[0,1,0]
	v_fma_mix_f32 v4, v9, v24, v4 op_sel_hi:[0,1,0]
	s_waitcnt lgkmcnt(2)
	v_fma_mix_f32 v4, v10, v23, v4 op_sel_hi:[0,1,0]
	v_fma_mix_f32 v4, v11, v22, v4 op_sel_hi:[0,1,0]
	v_fma_mix_f32 v4, v12, v21, v4 op_sel_hi:[0,1,0]
	v_fma_mix_f32 v4, v13, v20, v4 op_sel_hi:[0,1,0]
	;; [unrolled: 5-line block ×4, first 2 shown]
	s_cbranch_scc1 .LBB223_15
; %bb.14:
	v_mov_b32_e32 v5, 0
	ds_read_b128 v[6:9], v5 offset:128
	ds_read_b128 v[10:13], v5 offset:144
	;; [unrolled: 1-line block ×4, first 2 shown]
	s_waitcnt lgkmcnt(3)
	v_fmac_f32_e32 v4, v6, v67
	v_fmac_f32_e32 v4, v7, v66
	v_fmac_f32_e32 v4, v8, v65
	v_fmac_f32_e32 v4, v9, v64
	s_waitcnt lgkmcnt(2)
	v_fmac_f32_e32 v4, v10, v63
	v_fmac_f32_e32 v4, v11, v62
	v_fmac_f32_e32 v4, v12, v61
	v_fmac_f32_e32 v4, v13, v60
	;; [unrolled: 5-line block ×3, first 2 shown]
	ds_read_b128 v[6:9], v5 offset:192
	ds_read_b128 v[10:13], v5 offset:208
	s_waitcnt lgkmcnt(2)
	v_fmac_f32_e32 v4, v18, v55
	v_fmac_f32_e32 v4, v19, v54
	;; [unrolled: 1-line block ×4, first 2 shown]
	s_waitcnt lgkmcnt(1)
	v_fmac_f32_e32 v4, v6, v51
	v_fmac_f32_e32 v4, v7, v50
	;; [unrolled: 1-line block ×4, first 2 shown]
	ds_read_b128 v[6:9], v5 offset:224
	s_waitcnt lgkmcnt(1)
	v_fmac_f32_e32 v4, v10, v47
	v_fmac_f32_e32 v4, v11, v46
	;; [unrolled: 1-line block ×4, first 2 shown]
	ds_read_b128 v[10:13], v5 offset:240
	s_waitcnt lgkmcnt(1)
	v_fmac_f32_e32 v4, v6, v43
	v_fmac_f32_e32 v4, v7, v42
	;; [unrolled: 1-line block ×4, first 2 shown]
	s_waitcnt lgkmcnt(0)
	v_fmac_f32_e32 v4, v10, v39
	v_fmac_f32_e32 v4, v11, v38
	;; [unrolled: 1-line block ×4, first 2 shown]
.LBB223_15:
	s_movk_i32 s0, 0x3f80
	s_movk_i32 s1, 0x100
	s_mov_b32 s8, 64
	s_branch .LBB223_17
.LBB223_16:                             ;   in Loop: Header=BB223_17 Depth=1
	s_addk_i32 s0, 0x2000
	s_addk_i32 s1, 0x100
	s_add_i32 s8, s8, 64
	s_cmp_eq_u32 s0, 0x19f80
	s_cbranch_scc1 .LBB223_19
.LBB223_17:                             ; =>This Inner Loop Header: Depth=1
	s_cmp_le_i32 s33, s8
	s_cbranch_scc1 .LBB223_16
; %bb.18:                               ;   in Loop: Header=BB223_17 Depth=1
	s_add_i32 s9, s0, 0xffffe080
	s_cmp_lt_i32 s9, s10
	s_cselect_b32 s12, s9, s11
	s_ashr_i32 s13, s12, 31
	s_add_i32 s9, s0, 0xffffe100
	s_cmp_lt_i32 s9, s10
	v_lshl_add_u64 v[14:15], s[12:13], 1, v[2:3]
	s_cselect_b32 s12, s9, s11
	s_ashr_i32 s13, s12, 31
	s_add_i32 s9, s0, 0xffffe180
	s_cmp_lt_i32 s9, s10
	v_lshl_add_u64 v[16:17], s[12:13], 1, v[2:3]
	;; [unrolled: 5-line block ×8, first 2 shown]
	s_cselect_b32 s12, s9, s11
	s_ashr_i32 s13, s12, 31
	s_add_i32 s9, s0, 0xffffe500
	s_cmp_lt_i32 s9, s10
	global_load_ushort v5, v[14:15], off
	global_load_ushort v6, v[16:17], off
	global_load_ushort v7, v[18:19], off
	global_load_ushort v8, v[20:21], off
	global_load_ushort v9, v[22:23], off
	global_load_ushort v10, v[24:25], off
	global_load_ushort v11, v[26:27], off
	global_load_ushort v12, v[28:29], off
	v_lshl_add_u64 v[14:15], s[12:13], 1, v[2:3]
	s_cselect_b32 s12, s9, s11
	s_ashr_i32 s13, s12, 31
	s_add_i32 s9, s0, 0xffffe580
	s_cmp_lt_i32 s9, s10
	v_lshl_add_u64 v[16:17], s[12:13], 1, v[2:3]
	s_cselect_b32 s12, s9, s11
	s_ashr_i32 s13, s12, 31
	s_add_i32 s9, s0, 0xffffe600
	s_cmp_lt_i32 s9, s10
	v_lshl_add_u64 v[18:19], s[12:13], 1, v[2:3]
	s_cselect_b32 s12, s9, s11
	s_ashr_i32 s13, s12, 31
	s_add_i32 s9, s0, 0xffffe680
	s_cmp_lt_i32 s9, s10
	v_lshl_add_u64 v[20:21], s[12:13], 1, v[2:3]
	s_cselect_b32 s12, s9, s11
	s_ashr_i32 s13, s12, 31
	s_add_i32 s9, s0, 0xffffe700
	s_cmp_lt_i32 s9, s10
	v_lshl_add_u64 v[22:23], s[12:13], 1, v[2:3]
	s_cselect_b32 s12, s9, s11
	s_ashr_i32 s13, s12, 31
	s_add_i32 s9, s0, 0xffffe780
	s_cmp_lt_i32 s9, s10
	v_lshl_add_u64 v[24:25], s[12:13], 1, v[2:3]
	s_cselect_b32 s12, s9, s11
	s_ashr_i32 s13, s12, 31
	s_add_i32 s9, s0, 0xffffe800
	s_cmp_lt_i32 s9, s10
	v_lshl_add_u64 v[26:27], s[12:13], 1, v[2:3]
	s_cselect_b32 s12, s9, s11
	s_ashr_i32 s13, s12, 31
	s_add_i32 s9, s0, 0xffffe880
	s_cmp_lt_i32 s9, s10
	v_lshl_add_u64 v[28:29], s[12:13], 1, v[2:3]
	s_cselect_b32 s12, s9, s11
	s_ashr_i32 s13, s12, 31
	s_add_i32 s9, s0, 0xffffe900
	s_cmp_lt_i32 s9, s10
	global_load_ushort v13, v[14:15], off
	global_load_ushort v30, v[16:17], off
	global_load_ushort v31, v[18:19], off
	global_load_ushort v32, v[20:21], off
	global_load_ushort v33, v[22:23], off
	global_load_ushort v34, v[24:25], off
	global_load_ushort v35, v[26:27], off
	global_load_ushort v36, v[28:29], off
	v_lshl_add_u64 v[14:15], s[12:13], 1, v[2:3]
	s_cselect_b32 s12, s9, s11
	s_ashr_i32 s13, s12, 31
	s_add_i32 s9, s0, 0xffffe980
	s_cmp_lt_i32 s9, s10
	v_lshl_add_u64 v[16:17], s[12:13], 1, v[2:3]
	s_cselect_b32 s12, s9, s11
	s_ashr_i32 s13, s12, 31
	s_add_i32 s9, s0, 0xffffea00
	s_cmp_lt_i32 s9, s10
	v_lshl_add_u64 v[18:19], s[12:13], 1, v[2:3]
	s_cselect_b32 s12, s9, s11
	s_ashr_i32 s13, s12, 31
	s_add_i32 s9, s0, 0xffffea80
	s_cmp_lt_i32 s9, s10
	v_lshl_add_u64 v[20:21], s[12:13], 1, v[2:3]
	s_cselect_b32 s12, s9, s11
	s_ashr_i32 s13, s12, 31
	s_add_i32 s9, s0, 0xffffeb00
	s_cmp_lt_i32 s9, s10
	v_lshl_add_u64 v[22:23], s[12:13], 1, v[2:3]
	s_cselect_b32 s12, s9, s11
	s_ashr_i32 s13, s12, 31
	s_add_i32 s9, s0, 0xffffeb80
	s_cmp_lt_i32 s9, s10
	v_lshl_add_u64 v[24:25], s[12:13], 1, v[2:3]
	s_cselect_b32 s12, s9, s11
	s_ashr_i32 s13, s12, 31
	s_add_i32 s9, s0, 0xffffec00
	s_cmp_lt_i32 s9, s10
	v_lshl_add_u64 v[26:27], s[12:13], 1, v[2:3]
	s_cselect_b32 s12, s9, s11
	s_ashr_i32 s13, s12, 31
	s_add_i32 s9, s0, 0xffffec80
	s_cmp_lt_i32 s9, s10
	v_lshl_add_u64 v[28:29], s[12:13], 1, v[2:3]
	;; [unrolled: 48-line block ×6, first 2 shown]
	s_cselect_b32 s12, s9, s11
	s_ashr_i32 s13, s12, 31
	s_add_i32 s9, s0, 0xfffffd00
	s_cmp_lt_i32 s9, s10
	global_load_ushort v69, v[14:15], off
	global_load_ushort v70, v[16:17], off
	;; [unrolled: 1-line block ×8, first 2 shown]
	v_lshl_add_u64 v[14:15], s[12:13], 1, v[2:3]
	s_cselect_b32 s12, s9, s11
	s_ashr_i32 s13, s12, 31
	s_add_i32 s9, s0, 0xfffffd80
	s_cmp_lt_i32 s9, s10
	v_lshl_add_u64 v[16:17], s[12:13], 1, v[2:3]
	s_cselect_b32 s12, s9, s11
	s_ashr_i32 s13, s12, 31
	s_add_i32 s9, s0, 0xfffffe00
	s_cmp_lt_i32 s9, s10
	;; [unrolled: 5-line block ×5, first 2 shown]
	v_lshl_add_u64 v[24:25], s[12:13], 1, v[2:3]
	s_cselect_b32 s12, s9, s11
	s_ashr_i32 s13, s12, 31
	s_cmp_lt_i32 s0, s10
	v_lshl_add_u64 v[26:27], s[12:13], 1, v[2:3]
	s_cselect_b32 s12, s0, s11
	s_ashr_i32 s13, s12, 31
	v_lshl_add_u64 v[28:29], s[12:13], 1, v[2:3]
	global_load_ushort v77, v[14:15], off
	global_load_ushort v78, v[16:17], off
	;; [unrolled: 1-line block ×8, first 2 shown]
	v_mov_b32_e32 v85, s1
	ds_read_b128 v[14:17], v85
	ds_read_b128 v[18:21], v85 offset:16
	ds_read_b128 v[22:25], v85 offset:32
	;; [unrolled: 1-line block ×3, first 2 shown]
	s_waitcnt vmcnt(62) lgkmcnt(3)
	v_fma_mix_f32 v4, v14, v5, v4 op_sel_hi:[0,1,0]
	v_fma_mix_f32 v4, v15, v6, v4 op_sel_hi:[0,1,0]
	s_waitcnt vmcnt(61)
	v_fma_mix_f32 v4, v16, v7, v4 op_sel_hi:[0,1,0]
	s_waitcnt vmcnt(60)
	v_fma_mix_f32 v4, v17, v8, v4 op_sel_hi:[0,1,0]
	s_waitcnt vmcnt(59) lgkmcnt(2)
	v_fma_mix_f32 v4, v18, v9, v4 op_sel_hi:[0,1,0]
	s_waitcnt vmcnt(58)
	v_fma_mix_f32 v4, v19, v10, v4 op_sel_hi:[0,1,0]
	s_waitcnt vmcnt(57)
	;; [unrolled: 2-line block ×3, first 2 shown]
	v_fma_mix_f32 v4, v21, v12, v4 op_sel_hi:[0,1,0]
	s_waitcnt vmcnt(55) lgkmcnt(1)
	v_fma_mix_f32 v4, v22, v13, v4 op_sel_hi:[0,1,0]
	s_waitcnt vmcnt(54)
	v_fma_mix_f32 v4, v23, v30, v4 op_sel_hi:[0,1,0]
	s_waitcnt vmcnt(53)
	v_fma_mix_f32 v4, v24, v31, v4 op_sel_hi:[0,1,0]
	s_waitcnt vmcnt(52)
	v_fma_mix_f32 v4, v25, v32, v4 op_sel_hi:[0,1,0]
	s_waitcnt vmcnt(51) lgkmcnt(0)
	v_fma_mix_f32 v8, v26, v33, v4 op_sel_hi:[0,1,0]
	ds_read_b128 v[4:7], v85 offset:64
	s_waitcnt vmcnt(50)
	v_fma_mix_f32 v8, v27, v34, v8 op_sel_hi:[0,1,0]
	s_waitcnt vmcnt(49)
	v_fma_mix_f32 v8, v28, v35, v8 op_sel_hi:[0,1,0]
	s_waitcnt vmcnt(48)
	v_fma_mix_f32 v12, v29, v36, v8 op_sel_hi:[0,1,0]
	ds_read_b128 v[8:11], v85 offset:80
	s_waitcnt vmcnt(47) lgkmcnt(1)
	v_fma_mix_f32 v4, v4, v37, v12 op_sel_hi:[0,1,0]
	s_waitcnt vmcnt(46)
	v_fma_mix_f32 v4, v5, v38, v4 op_sel_hi:[0,1,0]
	s_waitcnt vmcnt(45)
	v_fma_mix_f32 v4, v6, v39, v4 op_sel_hi:[0,1,0]
	s_waitcnt vmcnt(44)
	v_fma_mix_f32 v4, v7, v40, v4 op_sel_hi:[0,1,0]
	s_waitcnt vmcnt(43) lgkmcnt(0)
	v_fma_mix_f32 v8, v8, v41, v4 op_sel_hi:[0,1,0]
	ds_read_b128 v[4:7], v85 offset:96
	s_waitcnt vmcnt(42)
	v_fma_mix_f32 v8, v9, v42, v8 op_sel_hi:[0,1,0]
	s_waitcnt vmcnt(41)
	v_fma_mix_f32 v8, v10, v43, v8 op_sel_hi:[0,1,0]
	s_waitcnt vmcnt(40)
	v_fma_mix_f32 v12, v11, v44, v8 op_sel_hi:[0,1,0]
	ds_read_b128 v[8:11], v85 offset:112
	;; [unrolled: 18-line block ×6, first 2 shown]
	s_waitcnt vmcnt(7) lgkmcnt(1)
	v_fma_mix_f32 v4, v4, v77, v12 op_sel_hi:[0,1,0]
	s_waitcnt vmcnt(6)
	v_fma_mix_f32 v4, v5, v78, v4 op_sel_hi:[0,1,0]
	s_waitcnt vmcnt(5)
	v_fma_mix_f32 v4, v6, v79, v4 op_sel_hi:[0,1,0]
	s_waitcnt vmcnt(4)
	v_fma_mix_f32 v4, v7, v80, v4 op_sel_hi:[0,1,0]
	s_waitcnt vmcnt(3) lgkmcnt(0)
	v_fma_mix_f32 v4, v8, v81, v4 op_sel_hi:[0,1,0]
	s_waitcnt vmcnt(2)
	v_fma_mix_f32 v4, v9, v82, v4 op_sel_hi:[0,1,0]
	s_waitcnt vmcnt(1)
	;; [unrolled: 2-line block ×3, first 2 shown]
	v_fma_mix_f32 v4, v11, v84, v4 op_sel_hi:[0,1,0]
	s_branch .LBB223_16
.LBB223_19:
	v_mov_b32_e32 v2, 0
	ds_read_b32 v2, v2 offset:3072
	s_cmp_lg_u64 s[6:7], 0
	s_cbranch_scc0 .LBB223_24
; %bb.20:
	s_load_dword s6, s[6:7], 0x0
	s_waitcnt lgkmcnt(0)
	v_div_scale_f32 v3, s[0:1], s6, s6, 1.0
	v_rcp_f32_e32 v5, v3
	v_div_scale_f32 v6, vcc, 1.0, s6, 1.0
	v_fma_f32 v7, -v3, v5, 1.0
	v_fmac_f32_e32 v5, v7, v5
	v_mul_f32_e32 v7, v6, v5
	v_fma_f32 v8, -v3, v7, v6
	v_fmac_f32_e32 v7, v8, v5
	v_fma_f32 v3, -v3, v7, v6
	v_div_fmas_f32 v3, v3, v5, v7
	v_div_fixup_f32 v3, v3, s6, 1.0
	s_andn2_b64 vcc, exec, s[42:43]
	s_cbranch_vccnz .LBB223_22
.LBB223_21:
	s_add_u32 s0, s40, s44
	s_addc_u32 s1, s41, s45
	s_load_dword s34, s[0:1], 0x0
	s_mov_b32 s35, 0
.LBB223_22:
	s_waitcnt lgkmcnt(0)
	v_add_f32_e32 v2, 0x358637bd, v2
	v_div_scale_f32 v5, s[0:1], v2, v2, 1.0
	v_rcp_f32_e32 v6, v5
	v_div_scale_f32 v7, vcc, 1.0, v2, 1.0
	s_mul_i32 s0, s3, s35
	v_fma_f32 v8, -v5, v6, 1.0
	v_fmac_f32_e32 v6, v8, v6
	v_mul_f32_e32 v8, v7, v6
	v_fma_f32 v9, -v5, v8, v7
	v_fmac_f32_e32 v8, v9, v6
	v_fma_f32 v5, -v5, v8, v7
	s_mul_hi_u32 s1, s3, s34
	v_div_fmas_f32 v5, v5, v6, v8
	s_add_i32 s1, s1, s0
	s_mul_i32 s0, s3, s34
	v_div_fixup_f32 v2, v5, v2, 1.0
	s_lshl_b64 s[0:1], s[0:1], 7
	v_mul_f32_e32 v2, v4, v2
	s_add_u32 s4, s4, s0
	s_mov_b32 s3, 0
	v_mul_f32_e32 v2, v2, v3
	s_addc_u32 s5, s5, s1
	s_lshl_b64 s[0:1], s[2:3], 7
	s_mov_b32 s2, 0x7f800000
	s_mov_b32 s3, 0x43700000
	v_mov_b32_e32 v3, 0xc3700000
	v_med3_f32 v3, v2, s3, v3
	v_cmp_nlg_f32_e64 vcc, |v2|, s2
	s_add_u32 s0, s4, s0
	s_addc_u32 s1, s5, s1
	v_cndmask_b32_e32 v2, v3, v2, vcc
	v_mov_b32_e32 v3, 0
	v_cvt_pk_fp8_f32 v3, v2, v2
	v_lshl_add_u64 v[0:1], s[0:1], 0, v[0:1]
	global_store_byte v[0:1], v3, off
	s_endpgm
.LBB223_23:
	s_mov_b64 s[6:7], 0
	s_branch .LBB223_2
.LBB223_24:
	v_mov_b32_e32 v3, 1.0
	s_andn2_b64 vcc, exec, s[42:43]
	s_cbranch_vccz .LBB223_21
	s_branch .LBB223_22
	.section	.rodata,"a",@progbits
	.p2align	6, 0x0
	.amdhsa_kernel _Z35paged_attention_ll4mi_reduce_kernelIDF16_hLi128ELi128ELi256ELi12EEvPT0_PKfS3_PKT_PKiS8_iS3_
		.amdhsa_group_segment_fixed_size 3076
		.amdhsa_private_segment_fixed_size 0
		.amdhsa_kernarg_size 320
		.amdhsa_user_sgpr_count 2
		.amdhsa_user_sgpr_dispatch_ptr 0
		.amdhsa_user_sgpr_queue_ptr 0
		.amdhsa_user_sgpr_kernarg_segment_ptr 1
		.amdhsa_user_sgpr_dispatch_id 0
		.amdhsa_user_sgpr_kernarg_preload_length 0
		.amdhsa_user_sgpr_kernarg_preload_offset 0
		.amdhsa_user_sgpr_private_segment_size 0
		.amdhsa_uses_dynamic_stack 0
		.amdhsa_enable_private_segment 0
		.amdhsa_system_sgpr_workgroup_id_x 1
		.amdhsa_system_sgpr_workgroup_id_y 1
		.amdhsa_system_sgpr_workgroup_id_z 0
		.amdhsa_system_sgpr_workgroup_info 0
		.amdhsa_system_vgpr_workitem_id 0
		.amdhsa_next_free_vgpr 92
		.amdhsa_next_free_sgpr 53
		.amdhsa_accum_offset 92
		.amdhsa_reserve_vcc 1
		.amdhsa_float_round_mode_32 0
		.amdhsa_float_round_mode_16_64 0
		.amdhsa_float_denorm_mode_32 3
		.amdhsa_float_denorm_mode_16_64 3
		.amdhsa_dx10_clamp 1
		.amdhsa_ieee_mode 1
		.amdhsa_fp16_overflow 0
		.amdhsa_tg_split 0
		.amdhsa_exception_fp_ieee_invalid_op 0
		.amdhsa_exception_fp_denorm_src 0
		.amdhsa_exception_fp_ieee_div_zero 0
		.amdhsa_exception_fp_ieee_overflow 0
		.amdhsa_exception_fp_ieee_underflow 0
		.amdhsa_exception_fp_ieee_inexact 0
		.amdhsa_exception_int_div_zero 0
	.end_amdhsa_kernel
	.section	.text._Z35paged_attention_ll4mi_reduce_kernelIDF16_hLi128ELi128ELi256ELi12EEvPT0_PKfS3_PKT_PKiS8_iS3_,"axG",@progbits,_Z35paged_attention_ll4mi_reduce_kernelIDF16_hLi128ELi128ELi256ELi12EEvPT0_PKfS3_PKT_PKiS8_iS3_,comdat
.Lfunc_end223:
	.size	_Z35paged_attention_ll4mi_reduce_kernelIDF16_hLi128ELi128ELi256ELi12EEvPT0_PKfS3_PKT_PKiS8_iS3_, .Lfunc_end223-_Z35paged_attention_ll4mi_reduce_kernelIDF16_hLi128ELi128ELi256ELi12EEvPT0_PKfS3_PKT_PKiS8_iS3_
                                        ; -- End function
	.section	.AMDGPU.csdata,"",@progbits
; Kernel info:
; codeLenInByte = 10024
; NumSgprs: 59
; NumVgprs: 92
; NumAgprs: 0
; TotalNumVgprs: 92
; ScratchSize: 0
; MemoryBound: 0
; FloatMode: 240
; IeeeMode: 1
; LDSByteSize: 3076 bytes/workgroup (compile time only)
; SGPRBlocks: 7
; VGPRBlocks: 11
; NumSGPRsForWavesPerEU: 59
; NumVGPRsForWavesPerEU: 92
; AccumOffset: 92
; Occupancy: 5
; WaveLimiterHint : 1
; COMPUTE_PGM_RSRC2:SCRATCH_EN: 0
; COMPUTE_PGM_RSRC2:USER_SGPR: 2
; COMPUTE_PGM_RSRC2:TRAP_HANDLER: 0
; COMPUTE_PGM_RSRC2:TGID_X_EN: 1
; COMPUTE_PGM_RSRC2:TGID_Y_EN: 1
; COMPUTE_PGM_RSRC2:TGID_Z_EN: 0
; COMPUTE_PGM_RSRC2:TIDIG_COMP_CNT: 0
; COMPUTE_PGM_RSRC3_GFX90A:ACCUM_OFFSET: 22
; COMPUTE_PGM_RSRC3_GFX90A:TG_SPLIT: 0
	.section	.text._Z35paged_attention_ll4mi_reduce_kernelIDF16_hLi128ELi128ELi256ELi13EEvPT0_PKfS3_PKT_PKiS8_iS3_,"axG",@progbits,_Z35paged_attention_ll4mi_reduce_kernelIDF16_hLi128ELi128ELi256ELi13EEvPT0_PKfS3_PKT_PKiS8_iS3_,comdat
	.protected	_Z35paged_attention_ll4mi_reduce_kernelIDF16_hLi128ELi128ELi256ELi13EEvPT0_PKfS3_PKT_PKiS8_iS3_ ; -- Begin function _Z35paged_attention_ll4mi_reduce_kernelIDF16_hLi128ELi128ELi256ELi13EEvPT0_PKfS3_PKT_PKiS8_iS3_
	.globl	_Z35paged_attention_ll4mi_reduce_kernelIDF16_hLi128ELi128ELi256ELi13EEvPT0_PKfS3_PKT_PKiS8_iS3_
	.p2align	8
	.type	_Z35paged_attention_ll4mi_reduce_kernelIDF16_hLi128ELi128ELi256ELi13EEvPT0_PKfS3_PKT_PKiS8_iS3_,@function
_Z35paged_attention_ll4mi_reduce_kernelIDF16_hLi128ELi128ELi256ELi13EEvPT0_PKfS3_PKT_PKiS8_iS3_: ; @_Z35paged_attention_ll4mi_reduce_kernelIDF16_hLi128ELi128ELi256ELi13EEvPT0_PKfS3_PKT_PKiS8_iS3_
; %bb.0:
	s_load_dwordx2 s[34:35], s[0:1], 0x28
	s_mov_b32 s30, s3
	s_mov_b64 s[4:5], 0
	s_waitcnt lgkmcnt(0)
	s_cmp_lg_u64 s[34:35], 0
	s_cselect_b64 s[44:45], -1, 0
	s_and_b64 vcc, exec, s[44:45]
	s_cbranch_vccz .LBB224_23
; %bb.1:
	s_add_i32 s6, s30, 1
	s_mov_b32 s7, 0
	s_lshl_b64 s[8:9], s[6:7], 2
	s_add_u32 s8, s34, s8
	s_mov_b32 s31, s7
	s_addc_u32 s9, s35, s9
	s_lshl_b64 s[6:7], s[30:31], 2
	s_add_u32 s6, s34, s6
	s_addc_u32 s7, s35, s7
	s_load_dword s3, s[8:9], 0x0
	s_load_dword s10, s[6:7], 0x0
	s_waitcnt lgkmcnt(0)
	s_sub_i32 s3, s3, s10
	s_cmp_eq_u32 s3, 1
	s_cselect_b64 s[6:7], -1, 0
	s_andn2_b64 vcc, exec, s[4:5]
	s_cbranch_vccnz .LBB224_3
.LBB224_2:
	s_mov_b32 s31, 0
	s_mov_b64 s[6:7], -1
.LBB224_3:
	s_andn2_b64 vcc, exec, s[6:7]
	s_cbranch_vccz .LBB224_5
; %bb.4:
	s_endpgm
.LBB224_5:
	s_load_dwordx4 s[36:39], s[0:1], 0x18
	s_load_dword s8, s[0:1], 0x30
	s_lshl_b64 s[46:47], s[30:31], 2
	v_cmp_lt_u32_e32 vcc, 63, v0
	s_waitcnt lgkmcnt(0)
	s_add_u32 s4, s38, s46
	s_addc_u32 s5, s39, s47
	s_load_dword s54, s[4:5], 0x0
	s_load_dword s3, s[0:1], 0x40
	s_mul_i32 s38, s2, s8
	s_mul_i32 s6, s30, s8
	s_waitcnt lgkmcnt(0)
	s_add_i32 s7, s54, 0xff
	s_ashr_i32 s4, s7, 31
	s_lshr_b32 s4, s4, 24
	s_add_i32 s7, s7, s4
	s_and_saveexec_b64 s[4:5], vcc
	s_xor_b64 s[4:5], exec, s[4:5]
	s_or_saveexec_b64 s[48:49], s[4:5]
	s_ashr_i32 s33, s7, 8
	v_mov_b32_e32 v1, s38
	s_mul_i32 s50, s6, s3
	s_xor_b64 exec, exec, s[48:49]
	s_cbranch_execz .LBB224_9
; %bb.6:
	s_add_i32 s4, s33, -1
	v_or_b32_e32 v3, 64, v0
	v_mov_b32_e32 v1, s4
	v_cmp_gt_u32_e64 s[24:25], s33, v3
	s_load_dwordx4 s[40:43], s[0:1], 0x8
	s_mov_b32 s51, 0
	v_cndmask_b32_e64 v4, v1, v3, s[24:25]
	v_or_b32_e32 v3, 0x80, v0
	v_cmp_gt_u32_e64 s[22:23], s33, v3
	s_lshl_b64 s[52:53], s[50:51], 2
	s_mov_b32 s39, s51
	v_cndmask_b32_e64 v6, v1, v3, s[22:23]
	v_or_b32_e32 v3, 0xc0, v0
	v_cmp_gt_u32_e64 s[20:21], s33, v3
	v_cmp_gt_u32_e64 s[26:27], s33, v0
	s_waitcnt lgkmcnt(0)
	s_add_u32 s28, s42, s52
	v_cndmask_b32_e64 v8, v1, v3, s[20:21]
	v_or_b32_e32 v3, 0x100, v0
	v_cmp_gt_u32_e64 s[18:19], s33, v3
	v_cndmask_b32_e64 v2, v1, v0, s[26:27]
	s_addc_u32 s29, s43, s53
	v_cndmask_b32_e64 v10, v1, v3, s[18:19]
	v_or_b32_e32 v3, 0x140, v0
	v_cmp_gt_u32_e64 s[16:17], s33, v3
	s_lshl_b64 s[42:43], s[38:39], 2
	s_add_u32 s28, s28, s42
	v_cndmask_b32_e64 v12, v1, v3, s[16:17]
	v_or_b32_e32 v3, 0x180, v0
	v_cmp_gt_u32_e64 s[14:15], s33, v3
	v_ashrrev_i32_e32 v13, 31, v12
	s_addc_u32 s29, s29, s43
	v_cndmask_b32_e64 v14, v1, v3, s[14:15]
	v_or_b32_e32 v3, 0x1c0, v0
	v_cmp_gt_u32_e64 s[12:13], s33, v3
	v_ashrrev_i32_e32 v15, 31, v14
	v_ashrrev_i32_e32 v5, 31, v4
	v_cndmask_b32_e64 v16, v1, v3, s[12:13]
	v_or_b32_e32 v3, 0x200, v0
	v_cmp_gt_u32_e64 s[10:11], s33, v3
	v_ashrrev_i32_e32 v7, 31, v6
	v_ashrrev_i32_e32 v9, 31, v8
	v_cndmask_b32_e64 v18, v1, v3, s[10:11]
	v_or_b32_e32 v3, 0x240, v0
	v_cmp_gt_u32_e64 s[8:9], s33, v3
	v_ashrrev_i32_e32 v11, 31, v10
	v_lshlrev_b64 v[12:13], 2, v[12:13]
	v_cndmask_b32_e64 v20, v1, v3, s[8:9]
	v_or_b32_e32 v3, 0x280, v0
	v_cmp_gt_u32_e64 s[6:7], s33, v3
	v_lshlrev_b64 v[14:15], 2, v[14:15]
	v_ashrrev_i32_e32 v17, 31, v16
	v_cndmask_b32_e64 v22, v1, v3, s[6:7]
	v_or_b32_e32 v3, 0x2c0, v0
	v_cmp_gt_u32_e64 s[4:5], s33, v3
	v_lshlrev_b64 v[4:5], 2, v[4:5]
	v_lshlrev_b64 v[6:7], 2, v[6:7]
	v_cndmask_b32_e64 v24, v1, v3, s[4:5]
	v_or_b32_e32 v3, 0x300, v0
	v_cmp_gt_u32_e32 vcc, s33, v3
	v_lshlrev_b64 v[8:9], 2, v[8:9]
	v_lshlrev_b64 v[10:11], 2, v[10:11]
	v_cndmask_b32_e32 v26, v1, v3, vcc
	v_ashrrev_i32_e32 v3, 31, v2
	v_lshlrev_b64 v[2:3], 2, v[2:3]
	v_lshl_add_u64 v[28:29], s[28:29], 0, v[2:3]
	v_lshl_add_u64 v[38:39], s[28:29], 0, v[12:13]
	;; [unrolled: 1-line block ×3, first 2 shown]
	v_lshlrev_b64 v[16:17], 2, v[16:17]
	v_ashrrev_i32_e32 v19, 31, v18
	v_ashrrev_i32_e32 v21, 31, v20
	;; [unrolled: 1-line block ×3, first 2 shown]
	v_lshl_add_u64 v[30:31], s[28:29], 0, v[4:5]
	v_lshl_add_u64 v[32:33], s[28:29], 0, v[6:7]
	v_lshl_add_u64 v[34:35], s[28:29], 0, v[8:9]
	v_lshl_add_u64 v[36:37], s[28:29], 0, v[10:11]
	v_lshl_add_u64 v[42:43], s[28:29], 0, v[16:17]
	global_load_dword v1, v[28:29], off
	global_load_dword v44, v[30:31], off
	;; [unrolled: 1-line block ×5, first 2 shown]
	s_nop 0
	global_load_dword v38, v[38:39], off
	s_nop 0
	global_load_dword v39, v[40:41], off
	;; [unrolled: 2-line block ×3, first 2 shown]
	v_lshlrev_b64 v[18:19], 2, v[18:19]
	v_lshlrev_b64 v[20:21], 2, v[20:21]
	;; [unrolled: 1-line block ×3, first 2 shown]
	v_ashrrev_i32_e32 v25, 31, v24
	v_ashrrev_i32_e32 v27, 31, v26
	v_lshl_add_u64 v[28:29], s[28:29], 0, v[18:19]
	v_lshl_add_u64 v[30:31], s[28:29], 0, v[20:21]
	;; [unrolled: 1-line block ×3, first 2 shown]
	v_lshlrev_b64 v[24:25], 2, v[24:25]
	v_lshlrev_b64 v[26:27], 2, v[26:27]
	v_lshl_add_u64 v[34:35], s[28:29], 0, v[24:25]
	v_lshl_add_u64 v[36:37], s[28:29], 0, v[26:27]
	global_load_dword v28, v[28:29], off
	s_nop 0
	global_load_dword v29, v[30:31], off
	s_nop 0
	global_load_dword v30, v[32:33], off
	global_load_dword v31, v[34:35], off
	s_nop 0
	global_load_dword v32, v[36:37], off
	v_mbcnt_lo_u32_b32 v34, -1, 0
	v_mbcnt_hi_u32_b32 v34, -1, v34
	v_and_b32_e32 v35, 64, v34
	v_add_u32_e32 v35, 64, v35
	v_xor_b32_e32 v36, 32, v34
	v_cmp_lt_i32_e64 s[28:29], v36, v35
	s_mov_b32 s39, 0x3fb8aa3b
	s_waitcnt vmcnt(10)
	v_max3_f32 v33, v1, v44, v45
	v_cndmask_b32_e64 v36, v34, v36, s[28:29]
	s_waitcnt vmcnt(8)
	v_max3_f32 v33, v33, v46, v47
	v_lshlrev_b32_e32 v36, 2, v36
	s_waitcnt vmcnt(6)
	v_max3_f32 v33, v33, v38, v39
	s_waitcnt vmcnt(4)
	v_max3_f32 v33, v33, v40, v28
	;; [unrolled: 2-line block ×4, first 2 shown]
	ds_bpermute_b32 v37, v36, v33
	s_waitcnt lgkmcnt(0)
	v_max_f32_e32 v37, v37, v37
	v_max_f32_e32 v33, v33, v37
	v_xor_b32_e32 v37, 16, v34
	v_cmp_lt_i32_e64 s[28:29], v37, v35
	s_nop 1
	v_cndmask_b32_e64 v37, v34, v37, s[28:29]
	v_lshlrev_b32_e32 v37, 2, v37
	ds_bpermute_b32 v41, v37, v33
	s_waitcnt lgkmcnt(0)
	v_max_f32_e32 v41, v41, v41
	v_max_f32_e32 v33, v33, v41
	v_xor_b32_e32 v41, 8, v34
	v_cmp_lt_i32_e64 s[28:29], v41, v35
	s_nop 1
	v_cndmask_b32_e64 v41, v34, v41, s[28:29]
	v_lshlrev_b32_e32 v41, 2, v41
	ds_bpermute_b32 v42, v41, v33
	s_add_u32 s28, s40, s52
	s_addc_u32 s29, s41, s53
	s_add_u32 s40, s28, s42
	s_addc_u32 s41, s29, s43
	s_waitcnt lgkmcnt(0)
	v_max_f32_e32 v42, v42, v42
	v_max_f32_e32 v33, v33, v42
	v_xor_b32_e32 v42, 4, v34
	v_lshl_add_u64 v[2:3], s[40:41], 0, v[2:3]
	v_cmp_lt_i32_e64 s[28:29], v42, v35
	global_load_dword v43, v[2:3], off
	s_nop 0
	v_cndmask_b32_e64 v2, v34, v42, s[28:29]
	v_lshlrev_b32_e32 v42, 2, v2
	ds_bpermute_b32 v2, v42, v33
	s_waitcnt lgkmcnt(0)
	v_max_f32_e32 v2, v2, v2
	v_max_f32_e32 v33, v33, v2
	v_xor_b32_e32 v2, 2, v34
	v_cmp_lt_i32_e64 s[28:29], v2, v35
	s_nop 1
	v_cndmask_b32_e64 v2, v34, v2, s[28:29]
	v_lshlrev_b32_e32 v48, 2, v2
	ds_bpermute_b32 v49, v48, v33
	v_lshl_add_u64 v[2:3], s[40:41], 0, v[4:5]
	global_load_dword v50, v[2:3], off
	v_lshl_add_u64 v[4:5], s[40:41], 0, v[8:9]
	v_lshl_add_u64 v[8:9], s[40:41], 0, v[12:13]
	s_waitcnt lgkmcnt(0)
	v_max_f32_e32 v2, v49, v49
	v_max_f32_e32 v33, v33, v2
	v_xor_b32_e32 v2, 1, v34
	v_cmp_lt_i32_e64 s[28:29], v2, v35
	s_nop 1
	v_cndmask_b32_e64 v2, v34, v2, s[28:29]
	v_lshlrev_b32_e32 v34, 2, v2
	v_lshl_add_u64 v[2:3], s[40:41], 0, v[6:7]
	global_load_dword v12, v[2:3], off
	v_lshl_add_u64 v[6:7], s[40:41], 0, v[10:11]
	v_lshl_add_u64 v[2:3], s[40:41], 0, v[14:15]
	;; [unrolled: 1-line block ×3, first 2 shown]
	global_load_dword v13, v[4:5], off
	global_load_dword v14, v[6:7], off
	;; [unrolled: 1-line block ×5, first 2 shown]
	ds_bpermute_b32 v35, v34, v33
	v_lshl_add_u64 v[2:3], s[40:41], 0, v[18:19]
	v_lshl_add_u64 v[4:5], s[40:41], 0, v[20:21]
	;; [unrolled: 1-line block ×4, first 2 shown]
	s_waitcnt lgkmcnt(0)
	v_max_f32_e32 v18, v35, v35
	v_max_f32_e32 v18, v33, v18
	v_sub_f32_e32 v1, v1, v18
	v_mul_f32_e32 v19, 0x3fb8aa3b, v1
	v_fma_f32 v20, v1, s39, -v19
	v_rndne_f32_e32 v21, v19
	v_fmac_f32_e32 v20, 0x32a5705f, v1
	v_sub_f32_e32 v19, v19, v21
	v_lshl_add_u64 v[10:11], s[40:41], 0, v[26:27]
	v_add_f32_e32 v19, v19, v20
	v_cvt_i32_f32_e32 v20, v21
	global_load_dword v21, v[2:3], off
	global_load_dword v22, v[4:5], off
	;; [unrolled: 1-line block ×5, first 2 shown]
	v_sub_f32_e32 v4, v44, v18
	v_mul_f32_e32 v5, 0x3fb8aa3b, v4
	v_fma_f32 v6, v4, s39, -v5
	v_rndne_f32_e32 v7, v5
	v_exp_f32_e32 v19, v19
	v_fmac_f32_e32 v6, 0x32a5705f, v4
	v_sub_f32_e32 v5, v5, v7
	v_add_f32_e32 v5, v5, v6
	v_exp_f32_e32 v5, v5
	v_cvt_i32_f32_e32 v6, v7
	s_mov_b32 s40, 0xc2ce8ed0
	v_ldexp_f32 v2, v19, v20
	v_cmp_ngt_f32_e64 s[28:29], s40, v1
	s_mov_b32 s41, 0x42b17218
	v_mov_b32_e32 v3, 0x7f800000
	v_cndmask_b32_e64 v2, 0, v2, s[28:29]
	v_cmp_nlt_f32_e64 s[28:29], s41, v1
	s_nop 1
	v_cndmask_b32_e64 v1, v3, v2, s[28:29]
	v_ldexp_f32 v2, v5, v6
	v_sub_f32_e32 v5, v45, v18
	v_mul_f32_e32 v6, 0x3fb8aa3b, v5
	v_fma_f32 v7, v5, s39, -v6
	v_rndne_f32_e32 v8, v6
	v_fmac_f32_e32 v7, 0x32a5705f, v5
	v_sub_f32_e32 v6, v6, v8
	v_add_f32_e32 v6, v6, v7
	v_exp_f32_e32 v6, v6
	v_cvt_i32_f32_e32 v7, v8
	v_cndmask_b32_e64 v1, 0, v1, s[26:27]
	v_cmp_ngt_f32_e64 s[26:27], s40, v4
	s_waitcnt vmcnt(12)
	v_mul_f32_e32 v1, v43, v1
	v_cndmask_b32_e64 v2, 0, v2, s[26:27]
	v_cmp_nlt_f32_e64 s[26:27], s41, v4
	v_ldexp_f32 v4, v6, v7
	v_sub_f32_e32 v6, v46, v18
	v_mul_f32_e32 v7, 0x3fb8aa3b, v6
	v_fma_f32 v8, v6, s39, -v7
	v_rndne_f32_e32 v9, v7
	v_fmac_f32_e32 v8, 0x32a5705f, v6
	v_sub_f32_e32 v7, v7, v9
	v_add_f32_e32 v7, v7, v8
	v_exp_f32_e32 v7, v7
	v_cvt_i32_f32_e32 v8, v9
	v_cndmask_b32_e64 v2, v3, v2, s[26:27]
	v_cndmask_b32_e64 v2, 0, v2, s[24:25]
	v_cmp_ngt_f32_e64 s[24:25], s40, v5
	s_waitcnt vmcnt(11)
	v_mul_f32_e32 v2, v50, v2
	v_cndmask_b32_e64 v4, 0, v4, s[24:25]
	v_cmp_nlt_f32_e64 s[24:25], s41, v5
	v_ldexp_f32 v5, v7, v8
	v_sub_f32_e32 v7, v47, v18
	v_mul_f32_e32 v8, 0x3fb8aa3b, v7
	v_fma_f32 v9, v7, s39, -v8
	v_rndne_f32_e32 v10, v8
	v_fmac_f32_e32 v9, 0x32a5705f, v7
	v_sub_f32_e32 v8, v8, v10
	v_add_f32_e32 v8, v8, v9
	v_exp_f32_e32 v8, v8
	v_cvt_i32_f32_e32 v9, v10
	v_cndmask_b32_e64 v4, v3, v4, s[24:25]
	;; [unrolled: 17-line block ×9, first 2 shown]
	v_cndmask_b32_e64 v11, 0, v11, s[8:9]
	v_cmp_ngt_f32_e64 s[8:9], s40, v13
	s_waitcnt vmcnt(3)
	v_mul_f32_e32 v11, v22, v11
	v_cndmask_b32_e64 v12, 0, v12, s[8:9]
	v_cmp_nlt_f32_e64 s[8:9], s41, v13
	v_ldexp_f32 v13, v15, v16
	v_sub_f32_e32 v15, v32, v18
	v_mul_f32_e32 v16, 0x3fb8aa3b, v15
	v_fma_f32 v17, v15, s39, -v16
	v_rndne_f32_e32 v18, v16
	v_fmac_f32_e32 v17, 0x32a5705f, v15
	v_sub_f32_e32 v16, v16, v18
	v_add_f32_e32 v16, v16, v17
	v_cndmask_b32_e64 v12, v3, v12, s[8:9]
	v_exp_f32_e32 v16, v16
	v_cvt_i32_f32_e32 v17, v18
	v_cndmask_b32_e64 v12, 0, v12, s[6:7]
	v_cmp_ngt_f32_e64 s[6:7], s40, v14
	s_waitcnt vmcnt(2)
	v_mul_f32_e32 v12, v23, v12
	v_cndmask_b32_e64 v13, 0, v13, s[6:7]
	v_cmp_nlt_f32_e64 s[6:7], s41, v14
	v_ldexp_f32 v14, v16, v17
	v_lshlrev_b32_e32 v16, 2, v0
	v_cndmask_b32_e64 v13, v3, v13, s[6:7]
	v_cndmask_b32_e64 v13, 0, v13, s[4:5]
	v_cmp_ngt_f32_e64 s[4:5], s40, v15
	ds_write2st64_b32 v16, v1, v2 offset1:1
	ds_write2st64_b32 v16, v4, v5 offset0:2 offset1:3
	ds_write2st64_b32 v16, v6, v7 offset0:4 offset1:5
	;; [unrolled: 1-line block ×3, first 2 shown]
	v_cndmask_b32_e64 v14, 0, v14, s[4:5]
	v_cmp_nlt_f32_e64 s[4:5], s41, v15
	s_nop 1
	v_cndmask_b32_e64 v3, v3, v14, s[4:5]
	v_add_f32_e32 v14, v1, v2
	v_add_f32_e32 v14, v14, v4
	v_add_f32_e32 v14, v14, v5
	v_add_f32_e32 v14, v14, v6
	v_add_f32_e32 v14, v14, v7
	v_add_f32_e32 v14, v14, v8
	v_add_f32_e32 v14, v14, v9
	v_add_f32_e32 v14, v14, v10
	v_add_f32_e32 v14, v14, v11
	v_add_f32_e32 v14, v14, v12
	v_cndmask_b32_e32 v3, 0, v3, vcc
	s_waitcnt vmcnt(1)
	v_fmac_f32_e32 v14, v24, v13
	s_waitcnt vmcnt(0)
	v_fmac_f32_e32 v14, v25, v3
	ds_bpermute_b32 v15, v36, v14
	v_cmp_eq_u32_e32 vcc, 0, v0
	v_mul_f32_e32 v13, v24, v13
	v_mul_f32_e32 v3, v25, v3
	ds_write2st64_b32 v16, v10, v11 offset0:8 offset1:9
	ds_write2st64_b32 v16, v12, v13 offset0:10 offset1:11
	ds_write_b32 v16, v3 offset:3072
	s_waitcnt lgkmcnt(3)
	v_add_f32_e32 v14, v14, v15
	ds_bpermute_b32 v15, v37, v14
	s_waitcnt lgkmcnt(0)
	v_add_f32_e32 v14, v14, v15
	ds_bpermute_b32 v15, v41, v14
	;; [unrolled: 3-line block ×5, first 2 shown]
	s_and_saveexec_b64 s[4:5], vcc
	s_cbranch_execz .LBB224_8
; %bb.7:
	s_waitcnt lgkmcnt(0)
	v_add_f32_e32 v1, v1, v2
	v_mov_b32_e32 v2, 0
	ds_write_b32 v2, v1 offset:3328
.LBB224_8:
	s_or_b64 exec, exec, s[4:5]
	v_mov_b32_e32 v1, s38
.LBB224_9:
	s_or_b64 exec, exec, s[48:49]
	s_lshl_b32 s4, s50, 7
	s_mov_b32 s5, 0
	s_lshl_b64 s[4:5], s[4:5], 1
	s_add_u32 s4, s36, s4
	s_addc_u32 s5, s37, s5
	s_lshl_b32 s10, s33, 7
	s_waitcnt lgkmcnt(0)
	v_lshlrev_b32_e32 v2, 7, v1
	v_mov_b32_e32 v1, 0
	s_add_i32 s11, s10, 0xffffff80
	v_mov_b32_e32 v3, v1
	s_cmp_lt_i32 s54, 1
	v_lshl_add_u64 v[2:3], v[2:3], 1, s[4:5]
	s_cselect_b32 s4, s11, 0
	v_lshlrev_b32_e32 v4, 1, v0
	v_mov_b32_e32 v5, v1
	s_ashr_i32 s5, s4, 31
	v_lshl_add_u64 v[2:3], v[2:3], 0, v[4:5]
	s_cmpk_lt_i32 s54, 0x101
	v_lshl_add_u64 v[12:13], s[4:5], 1, v[2:3]
	s_cselect_b32 s4, s11, 0x80
	s_ashr_i32 s5, s4, 31
	s_cmpk_lt_i32 s54, 0x201
	v_lshl_add_u64 v[14:15], s[4:5], 1, v[2:3]
	s_cselect_b32 s4, s11, 0x100
	s_ashr_i32 s5, s4, 31
	;; [unrolled: 4-line block ×8, first 2 shown]
	s_cmpk_lt_i32 s54, 0x901
	global_load_ushort v4, v[12:13], off
	global_load_ushort v5, v[14:15], off
	;; [unrolled: 1-line block ×8, first 2 shown]
	v_lshl_add_u64 v[20:21], s[4:5], 1, v[2:3]
	s_cselect_b32 s4, s11, 0x480
	s_ashr_i32 s5, s4, 31
	s_cmpk_lt_i32 s54, 0xa01
	v_lshl_add_u64 v[22:23], s[4:5], 1, v[2:3]
	s_cselect_b32 s4, s11, 0x500
	s_ashr_i32 s5, s4, 31
	s_cmpk_lt_i32 s54, 0xb01
	;; [unrolled: 4-line block ×6, first 2 shown]
	v_lshl_add_u64 v[32:33], s[4:5], 1, v[2:3]
	s_cselect_b32 s4, s11, 0x780
	s_ashr_i32 s5, s4, 31
	v_lshl_add_u64 v[34:35], s[4:5], 1, v[2:3]
	global_load_ushort v12, v[20:21], off
	global_load_ushort v13, v[22:23], off
	;; [unrolled: 1-line block ×8, first 2 shown]
	s_cmpk_gt_i32 s54, 0x1000
	s_cselect_b64 s[8:9], -1, 0
	s_cmpk_lt_i32 s54, 0x1001
	v_mov_b32_e32 v36, 0
	v_mov_b32_e32 v37, 0
	v_mov_b32_e32 v38, 0
	v_mov_b32_e32 v39, 0
	v_mov_b32_e32 v40, 0
	v_mov_b32_e32 v41, 0
	v_mov_b32_e32 v42, 0
	v_mov_b32_e32 v43, 0
	v_mov_b32_e32 v44, 0
	v_mov_b32_e32 v45, 0
	v_mov_b32_e32 v46, 0
	v_mov_b32_e32 v47, 0
	v_mov_b32_e32 v48, 0
	v_mov_b32_e32 v49, 0
	v_mov_b32_e32 v50, 0
	v_mov_b32_e32 v51, 0
	v_mov_b32_e32 v52, 0
	v_mov_b32_e32 v53, 0
	v_mov_b32_e32 v54, 0
	v_mov_b32_e32 v55, 0
	v_mov_b32_e32 v56, 0
	v_mov_b32_e32 v57, 0
	v_mov_b32_e32 v58, 0
	v_mov_b32_e32 v59, 0
	v_mov_b32_e32 v60, 0
	v_mov_b32_e32 v61, 0
	v_mov_b32_e32 v62, 0
	v_mov_b32_e32 v63, 0
	v_mov_b32_e32 v64, 0
	v_mov_b32_e32 v65, 0
	v_mov_b32_e32 v66, 0
	v_mov_b32_e32 v67, 0
	v_mov_b32_e32 v28, 0
	v_mov_b32_e32 v29, 0
	v_mov_b32_e32 v30, 0
	v_mov_b32_e32 v31, 0
	v_mov_b32_e32 v32, 0
	v_mov_b32_e32 v33, 0
	v_mov_b32_e32 v34, 0
	v_mov_b32_e32 v35, 0
	v_mov_b32_e32 v20, 0
	v_mov_b32_e32 v21, 0
	v_mov_b32_e32 v22, 0
	v_mov_b32_e32 v23, 0
	v_mov_b32_e32 v24, 0
	v_mov_b32_e32 v25, 0
	v_mov_b32_e32 v26, 0
	v_mov_b32_e32 v27, 0
	s_barrier
	s_cbranch_scc1 .LBB224_12
; %bb.10:
	s_cmpk_lt_u32 s54, 0x1101
	s_cselect_b32 s4, s11, 0x880
	s_ashr_i32 s5, s4, 31
	s_cmpk_lt_u32 s54, 0x1201
	v_lshl_add_u64 v[30:31], s[4:5], 1, v[2:3]
	s_cselect_b32 s4, s11, 0x900
	s_ashr_i32 s5, s4, 31
	s_cmpk_lt_u32 s54, 0x1301
	v_lshl_add_u64 v[32:33], s[4:5], 1, v[2:3]
	;; [unrolled: 4-line block ×7, first 2 shown]
	s_cselect_b32 s4, s11, 0xc00
	v_add_co_u32_e32 v28, vcc, 0x1000, v2
	s_ashr_i32 s5, s4, 31
	s_nop 0
	v_addc_co_u32_e32 v29, vcc, 0, v3, vcc
	s_cmpk_lt_u32 s54, 0x1901
	global_load_ushort v27, v[28:29], off
	global_load_ushort v26, v[30:31], off
	;; [unrolled: 1-line block ×8, first 2 shown]
	v_lshl_add_u64 v[36:37], s[4:5], 1, v[2:3]
	s_cselect_b32 s4, s11, 0xc80
	s_ashr_i32 s5, s4, 31
	s_cmpk_lt_u32 s54, 0x1a01
	v_lshl_add_u64 v[38:39], s[4:5], 1, v[2:3]
	s_cselect_b32 s4, s11, 0xd00
	s_ashr_i32 s5, s4, 31
	s_cmpk_lt_u32 s54, 0x1b01
	;; [unrolled: 4-line block ×6, first 2 shown]
	v_lshl_add_u64 v[48:49], s[4:5], 1, v[2:3]
	s_cselect_b32 s4, s11, 0xf80
	s_ashr_i32 s5, s4, 31
	v_lshl_add_u64 v[50:51], s[4:5], 1, v[2:3]
	global_load_ushort v35, v[36:37], off
	global_load_ushort v34, v[38:39], off
	;; [unrolled: 1-line block ×8, first 2 shown]
	s_cmpk_lt_u32 s54, 0x2001
	v_mov_b32_e32 v67, 0
	v_mov_b32_e32 v66, 0
	;; [unrolled: 1-line block ×32, first 2 shown]
	s_cbranch_scc1 .LBB224_12
; %bb.11:
	s_cmpk_lt_u32 s54, 0x2101
	s_cselect_b32 s4, s11, 0x1080
	s_ashr_i32 s5, s4, 31
	s_cmpk_lt_u32 s54, 0x2201
	v_lshl_add_u64 v[38:39], s[4:5], 1, v[2:3]
	s_cselect_b32 s4, s11, 0x1100
	s_ashr_i32 s5, s4, 31
	s_cmpk_lt_u32 s54, 0x2301
	v_lshl_add_u64 v[40:41], s[4:5], 1, v[2:3]
	;; [unrolled: 4-line block ×7, first 2 shown]
	s_cselect_b32 s4, s11, 0x1400
	v_add_co_u32_e32 v36, vcc, 0x2000, v2
	s_ashr_i32 s5, s4, 31
	s_nop 0
	v_addc_co_u32_e32 v37, vcc, 0, v3, vcc
	s_cmpk_lt_u32 s54, 0x2901
	global_load_ushort v52, v[36:37], off
	global_load_ushort v53, v[38:39], off
	;; [unrolled: 1-line block ×8, first 2 shown]
	v_lshl_add_u64 v[36:37], s[4:5], 1, v[2:3]
	s_cselect_b32 s4, s11, 0x1480
	s_ashr_i32 s5, s4, 31
	s_cmpk_lt_u32 s54, 0x2a01
	v_lshl_add_u64 v[38:39], s[4:5], 1, v[2:3]
	s_cselect_b32 s4, s11, 0x1500
	s_ashr_i32 s5, s4, 31
	s_cmpk_lt_u32 s54, 0x2b01
	;; [unrolled: 4-line block ×8, first 2 shown]
	global_load_ushort v68, v[36:37], off
	global_load_ushort v69, v[38:39], off
	;; [unrolled: 1-line block ×8, first 2 shown]
	v_lshl_add_u64 v[36:37], s[4:5], 1, v[2:3]
	s_cselect_b32 s4, s11, 0x1880
	s_ashr_i32 s5, s4, 31
	s_cmpk_lt_u32 s54, 0x3201
	v_lshl_add_u64 v[38:39], s[4:5], 1, v[2:3]
	s_cselect_b32 s4, s11, 0x1900
	s_ashr_i32 s5, s4, 31
	s_cmpk_lt_u32 s54, 0x3301
	;; [unrolled: 4-line block ×8, first 2 shown]
	global_load_ushort v76, v[36:37], off
	global_load_ushort v77, v[38:39], off
	;; [unrolled: 1-line block ×8, first 2 shown]
	v_lshl_add_u64 v[36:37], s[4:5], 1, v[2:3]
	s_cselect_b32 s4, s11, 0x1c80
	s_ashr_i32 s5, s4, 31
	s_cmpk_lt_u32 s54, 0x3a01
	v_lshl_add_u64 v[38:39], s[4:5], 1, v[2:3]
	s_cselect_b32 s4, s11, 0x1d00
	s_ashr_i32 s5, s4, 31
	s_cmpk_lt_u32 s54, 0x3b01
	;; [unrolled: 4-line block ×6, first 2 shown]
	v_lshl_add_u64 v[48:49], s[4:5], 1, v[2:3]
	s_cselect_b32 s4, s11, 0x1f80
	s_ashr_i32 s5, s4, 31
	v_lshl_add_u64 v[50:51], s[4:5], 1, v[2:3]
	global_load_ushort v84, v[36:37], off
	global_load_ushort v85, v[38:39], off
	;; [unrolled: 1-line block ×8, first 2 shown]
	s_waitcnt vmcnt(31)
	v_cvt_f32_f16_e32 v67, v52
	s_waitcnt vmcnt(30)
	v_cvt_f32_f16_e32 v66, v53
	s_waitcnt vmcnt(29)
	v_cvt_f32_f16_e32 v65, v54
	s_waitcnt vmcnt(28)
	v_cvt_f32_f16_e32 v64, v55
	s_waitcnt vmcnt(27)
	v_cvt_f32_f16_e32 v63, v56
	s_waitcnt vmcnt(26)
	v_cvt_f32_f16_e32 v62, v57
	s_waitcnt vmcnt(25)
	v_cvt_f32_f16_e32 v61, v58
	s_waitcnt vmcnt(24)
	v_cvt_f32_f16_e32 v60, v59
	s_waitcnt vmcnt(23)
	v_cvt_f32_f16_e32 v59, v68
	s_waitcnt vmcnt(22)
	v_cvt_f32_f16_e32 v58, v69
	s_waitcnt vmcnt(21)
	v_cvt_f32_f16_e32 v57, v70
	s_waitcnt vmcnt(20)
	v_cvt_f32_f16_e32 v56, v71
	s_waitcnt vmcnt(19)
	v_cvt_f32_f16_e32 v55, v72
	s_waitcnt vmcnt(18)
	v_cvt_f32_f16_e32 v54, v73
	s_waitcnt vmcnt(17)
	v_cvt_f32_f16_e32 v53, v74
	s_waitcnt vmcnt(16)
	v_cvt_f32_f16_e32 v52, v75
	s_waitcnt vmcnt(15)
	v_cvt_f32_f16_e32 v51, v76
	s_waitcnt vmcnt(14)
	v_cvt_f32_f16_e32 v50, v77
	s_waitcnt vmcnt(13)
	v_cvt_f32_f16_e32 v49, v78
	s_waitcnt vmcnt(12)
	v_cvt_f32_f16_e32 v48, v79
	s_waitcnt vmcnt(11)
	v_cvt_f32_f16_e32 v47, v80
	s_waitcnt vmcnt(10)
	v_cvt_f32_f16_e32 v46, v81
	s_waitcnt vmcnt(9)
	v_cvt_f32_f16_e32 v45, v82
	s_waitcnt vmcnt(8)
	v_cvt_f32_f16_e32 v44, v83
	s_waitcnt vmcnt(7)
	v_cvt_f32_f16_e32 v43, v84
	s_waitcnt vmcnt(6)
	v_cvt_f32_f16_e32 v42, v85
	s_waitcnt vmcnt(5)
	v_cvt_f32_f16_e32 v41, v86
	s_waitcnt vmcnt(4)
	v_cvt_f32_f16_e32 v40, v87
	s_waitcnt vmcnt(3)
	v_cvt_f32_f16_e32 v39, v88
	s_waitcnt vmcnt(2)
	v_cvt_f32_f16_e32 v38, v89
	s_waitcnt vmcnt(1)
	v_cvt_f32_f16_e32 v37, v90
	s_waitcnt vmcnt(0)
	v_cvt_f32_f16_e32 v36, v91
.LBB224_12:
	ds_read_b128 v[68:71], v1
	s_load_dwordx2 s[4:5], s[0:1], 0x0
	s_load_dwordx2 s[6:7], s[0:1], 0x38
	ds_read_b128 v[72:75], v1 offset:16
	ds_read_b128 v[76:79], v1 offset:32
	;; [unrolled: 1-line block ×3, first 2 shown]
	s_and_b64 vcc, exec, s[8:9]
	s_waitcnt vmcnt(15) lgkmcnt(0)
	v_fma_mix_f32 v4, v68, v4, 0 op_sel_hi:[0,1,0]
	s_waitcnt vmcnt(14)
	v_fma_mix_f32 v4, v69, v5, v4 op_sel_hi:[0,1,0]
	s_waitcnt vmcnt(13)
	;; [unrolled: 2-line block ×15, first 2 shown]
	v_fma_mix_f32 v4, v83, v19, v4 op_sel_hi:[0,1,0]
	s_cbranch_vccz .LBB224_15
; %bb.13:
	ds_read_b128 v[6:9], v1 offset:64
	ds_read_b128 v[10:13], v1 offset:80
	;; [unrolled: 1-line block ×4, first 2 shown]
	s_cmpk_lt_u32 s54, 0x2001
	s_waitcnt lgkmcnt(3)
	v_fma_mix_f32 v4, v6, v27, v4 op_sel_hi:[0,1,0]
	v_fma_mix_f32 v4, v7, v26, v4 op_sel_hi:[0,1,0]
	v_fma_mix_f32 v4, v8, v25, v4 op_sel_hi:[0,1,0]
	v_fma_mix_f32 v4, v9, v24, v4 op_sel_hi:[0,1,0]
	s_waitcnt lgkmcnt(2)
	v_fma_mix_f32 v4, v10, v23, v4 op_sel_hi:[0,1,0]
	v_fma_mix_f32 v4, v11, v22, v4 op_sel_hi:[0,1,0]
	v_fma_mix_f32 v4, v12, v21, v4 op_sel_hi:[0,1,0]
	v_fma_mix_f32 v4, v13, v20, v4 op_sel_hi:[0,1,0]
	;; [unrolled: 5-line block ×4, first 2 shown]
	s_cbranch_scc1 .LBB224_15
; %bb.14:
	v_mov_b32_e32 v5, 0
	ds_read_b128 v[6:9], v5 offset:128
	ds_read_b128 v[10:13], v5 offset:144
	;; [unrolled: 1-line block ×4, first 2 shown]
	s_waitcnt lgkmcnt(3)
	v_fmac_f32_e32 v4, v6, v67
	v_fmac_f32_e32 v4, v7, v66
	v_fmac_f32_e32 v4, v8, v65
	v_fmac_f32_e32 v4, v9, v64
	s_waitcnt lgkmcnt(2)
	v_fmac_f32_e32 v4, v10, v63
	v_fmac_f32_e32 v4, v11, v62
	v_fmac_f32_e32 v4, v12, v61
	v_fmac_f32_e32 v4, v13, v60
	;; [unrolled: 5-line block ×3, first 2 shown]
	ds_read_b128 v[6:9], v5 offset:192
	ds_read_b128 v[10:13], v5 offset:208
	s_waitcnt lgkmcnt(2)
	v_fmac_f32_e32 v4, v18, v55
	v_fmac_f32_e32 v4, v19, v54
	;; [unrolled: 1-line block ×4, first 2 shown]
	s_waitcnt lgkmcnt(1)
	v_fmac_f32_e32 v4, v6, v51
	v_fmac_f32_e32 v4, v7, v50
	;; [unrolled: 1-line block ×4, first 2 shown]
	ds_read_b128 v[6:9], v5 offset:224
	s_waitcnt lgkmcnt(1)
	v_fmac_f32_e32 v4, v10, v47
	v_fmac_f32_e32 v4, v11, v46
	;; [unrolled: 1-line block ×4, first 2 shown]
	ds_read_b128 v[10:13], v5 offset:240
	s_waitcnt lgkmcnt(1)
	v_fmac_f32_e32 v4, v6, v43
	v_fmac_f32_e32 v4, v7, v42
	;; [unrolled: 1-line block ×4, first 2 shown]
	s_waitcnt lgkmcnt(0)
	v_fmac_f32_e32 v4, v10, v39
	v_fmac_f32_e32 v4, v11, v38
	;; [unrolled: 1-line block ×4, first 2 shown]
.LBB224_15:
	s_movk_i32 s0, 0x3f80
	s_movk_i32 s1, 0x100
	s_mov_b32 s8, 64
	s_branch .LBB224_17
.LBB224_16:                             ;   in Loop: Header=BB224_17 Depth=1
	s_addk_i32 s0, 0x2000
	s_addk_i32 s1, 0x100
	s_add_i32 s8, s8, 64
	s_cmp_eq_u32 s0, 0x1bf80
	s_cbranch_scc1 .LBB224_19
.LBB224_17:                             ; =>This Inner Loop Header: Depth=1
	s_cmp_le_i32 s33, s8
	s_cbranch_scc1 .LBB224_16
; %bb.18:                               ;   in Loop: Header=BB224_17 Depth=1
	s_add_i32 s9, s0, 0xffffe080
	s_cmp_lt_i32 s9, s10
	s_cselect_b32 s12, s9, s11
	s_ashr_i32 s13, s12, 31
	s_add_i32 s9, s0, 0xffffe100
	s_cmp_lt_i32 s9, s10
	v_lshl_add_u64 v[14:15], s[12:13], 1, v[2:3]
	s_cselect_b32 s12, s9, s11
	s_ashr_i32 s13, s12, 31
	s_add_i32 s9, s0, 0xffffe180
	s_cmp_lt_i32 s9, s10
	v_lshl_add_u64 v[16:17], s[12:13], 1, v[2:3]
	;; [unrolled: 5-line block ×8, first 2 shown]
	s_cselect_b32 s12, s9, s11
	s_ashr_i32 s13, s12, 31
	s_add_i32 s9, s0, 0xffffe500
	s_cmp_lt_i32 s9, s10
	global_load_ushort v5, v[14:15], off
	global_load_ushort v6, v[16:17], off
	global_load_ushort v7, v[18:19], off
	global_load_ushort v8, v[20:21], off
	global_load_ushort v9, v[22:23], off
	global_load_ushort v10, v[24:25], off
	global_load_ushort v11, v[26:27], off
	global_load_ushort v12, v[28:29], off
	v_lshl_add_u64 v[14:15], s[12:13], 1, v[2:3]
	s_cselect_b32 s12, s9, s11
	s_ashr_i32 s13, s12, 31
	s_add_i32 s9, s0, 0xffffe580
	s_cmp_lt_i32 s9, s10
	v_lshl_add_u64 v[16:17], s[12:13], 1, v[2:3]
	s_cselect_b32 s12, s9, s11
	s_ashr_i32 s13, s12, 31
	s_add_i32 s9, s0, 0xffffe600
	s_cmp_lt_i32 s9, s10
	v_lshl_add_u64 v[18:19], s[12:13], 1, v[2:3]
	s_cselect_b32 s12, s9, s11
	s_ashr_i32 s13, s12, 31
	s_add_i32 s9, s0, 0xffffe680
	s_cmp_lt_i32 s9, s10
	v_lshl_add_u64 v[20:21], s[12:13], 1, v[2:3]
	s_cselect_b32 s12, s9, s11
	s_ashr_i32 s13, s12, 31
	s_add_i32 s9, s0, 0xffffe700
	s_cmp_lt_i32 s9, s10
	v_lshl_add_u64 v[22:23], s[12:13], 1, v[2:3]
	s_cselect_b32 s12, s9, s11
	s_ashr_i32 s13, s12, 31
	s_add_i32 s9, s0, 0xffffe780
	s_cmp_lt_i32 s9, s10
	v_lshl_add_u64 v[24:25], s[12:13], 1, v[2:3]
	s_cselect_b32 s12, s9, s11
	s_ashr_i32 s13, s12, 31
	s_add_i32 s9, s0, 0xffffe800
	s_cmp_lt_i32 s9, s10
	v_lshl_add_u64 v[26:27], s[12:13], 1, v[2:3]
	s_cselect_b32 s12, s9, s11
	s_ashr_i32 s13, s12, 31
	s_add_i32 s9, s0, 0xffffe880
	s_cmp_lt_i32 s9, s10
	v_lshl_add_u64 v[28:29], s[12:13], 1, v[2:3]
	s_cselect_b32 s12, s9, s11
	s_ashr_i32 s13, s12, 31
	s_add_i32 s9, s0, 0xffffe900
	s_cmp_lt_i32 s9, s10
	global_load_ushort v13, v[14:15], off
	global_load_ushort v30, v[16:17], off
	global_load_ushort v31, v[18:19], off
	global_load_ushort v32, v[20:21], off
	global_load_ushort v33, v[22:23], off
	global_load_ushort v34, v[24:25], off
	global_load_ushort v35, v[26:27], off
	global_load_ushort v36, v[28:29], off
	v_lshl_add_u64 v[14:15], s[12:13], 1, v[2:3]
	s_cselect_b32 s12, s9, s11
	s_ashr_i32 s13, s12, 31
	s_add_i32 s9, s0, 0xffffe980
	s_cmp_lt_i32 s9, s10
	v_lshl_add_u64 v[16:17], s[12:13], 1, v[2:3]
	s_cselect_b32 s12, s9, s11
	s_ashr_i32 s13, s12, 31
	s_add_i32 s9, s0, 0xffffea00
	s_cmp_lt_i32 s9, s10
	v_lshl_add_u64 v[18:19], s[12:13], 1, v[2:3]
	s_cselect_b32 s12, s9, s11
	s_ashr_i32 s13, s12, 31
	s_add_i32 s9, s0, 0xffffea80
	s_cmp_lt_i32 s9, s10
	v_lshl_add_u64 v[20:21], s[12:13], 1, v[2:3]
	s_cselect_b32 s12, s9, s11
	s_ashr_i32 s13, s12, 31
	s_add_i32 s9, s0, 0xffffeb00
	s_cmp_lt_i32 s9, s10
	v_lshl_add_u64 v[22:23], s[12:13], 1, v[2:3]
	s_cselect_b32 s12, s9, s11
	s_ashr_i32 s13, s12, 31
	s_add_i32 s9, s0, 0xffffeb80
	s_cmp_lt_i32 s9, s10
	v_lshl_add_u64 v[24:25], s[12:13], 1, v[2:3]
	s_cselect_b32 s12, s9, s11
	s_ashr_i32 s13, s12, 31
	s_add_i32 s9, s0, 0xffffec00
	s_cmp_lt_i32 s9, s10
	v_lshl_add_u64 v[26:27], s[12:13], 1, v[2:3]
	s_cselect_b32 s12, s9, s11
	s_ashr_i32 s13, s12, 31
	s_add_i32 s9, s0, 0xffffec80
	s_cmp_lt_i32 s9, s10
	v_lshl_add_u64 v[28:29], s[12:13], 1, v[2:3]
	;; [unrolled: 48-line block ×6, first 2 shown]
	s_cselect_b32 s12, s9, s11
	s_ashr_i32 s13, s12, 31
	s_add_i32 s9, s0, 0xfffffd00
	s_cmp_lt_i32 s9, s10
	global_load_ushort v69, v[14:15], off
	global_load_ushort v70, v[16:17], off
	;; [unrolled: 1-line block ×8, first 2 shown]
	v_lshl_add_u64 v[14:15], s[12:13], 1, v[2:3]
	s_cselect_b32 s12, s9, s11
	s_ashr_i32 s13, s12, 31
	s_add_i32 s9, s0, 0xfffffd80
	s_cmp_lt_i32 s9, s10
	v_lshl_add_u64 v[16:17], s[12:13], 1, v[2:3]
	s_cselect_b32 s12, s9, s11
	s_ashr_i32 s13, s12, 31
	s_add_i32 s9, s0, 0xfffffe00
	s_cmp_lt_i32 s9, s10
	;; [unrolled: 5-line block ×5, first 2 shown]
	v_lshl_add_u64 v[24:25], s[12:13], 1, v[2:3]
	s_cselect_b32 s12, s9, s11
	s_ashr_i32 s13, s12, 31
	s_cmp_lt_i32 s0, s10
	v_lshl_add_u64 v[26:27], s[12:13], 1, v[2:3]
	s_cselect_b32 s12, s0, s11
	s_ashr_i32 s13, s12, 31
	v_lshl_add_u64 v[28:29], s[12:13], 1, v[2:3]
	global_load_ushort v77, v[14:15], off
	global_load_ushort v78, v[16:17], off
	;; [unrolled: 1-line block ×8, first 2 shown]
	v_mov_b32_e32 v85, s1
	ds_read_b128 v[14:17], v85
	ds_read_b128 v[18:21], v85 offset:16
	ds_read_b128 v[22:25], v85 offset:32
	;; [unrolled: 1-line block ×3, first 2 shown]
	s_waitcnt vmcnt(62) lgkmcnt(3)
	v_fma_mix_f32 v4, v14, v5, v4 op_sel_hi:[0,1,0]
	v_fma_mix_f32 v4, v15, v6, v4 op_sel_hi:[0,1,0]
	s_waitcnt vmcnt(61)
	v_fma_mix_f32 v4, v16, v7, v4 op_sel_hi:[0,1,0]
	s_waitcnt vmcnt(60)
	v_fma_mix_f32 v4, v17, v8, v4 op_sel_hi:[0,1,0]
	s_waitcnt vmcnt(59) lgkmcnt(2)
	v_fma_mix_f32 v4, v18, v9, v4 op_sel_hi:[0,1,0]
	s_waitcnt vmcnt(58)
	v_fma_mix_f32 v4, v19, v10, v4 op_sel_hi:[0,1,0]
	s_waitcnt vmcnt(57)
	;; [unrolled: 2-line block ×3, first 2 shown]
	v_fma_mix_f32 v4, v21, v12, v4 op_sel_hi:[0,1,0]
	s_waitcnt vmcnt(55) lgkmcnt(1)
	v_fma_mix_f32 v4, v22, v13, v4 op_sel_hi:[0,1,0]
	s_waitcnt vmcnt(54)
	v_fma_mix_f32 v4, v23, v30, v4 op_sel_hi:[0,1,0]
	s_waitcnt vmcnt(53)
	v_fma_mix_f32 v4, v24, v31, v4 op_sel_hi:[0,1,0]
	s_waitcnt vmcnt(52)
	v_fma_mix_f32 v4, v25, v32, v4 op_sel_hi:[0,1,0]
	s_waitcnt vmcnt(51) lgkmcnt(0)
	v_fma_mix_f32 v8, v26, v33, v4 op_sel_hi:[0,1,0]
	ds_read_b128 v[4:7], v85 offset:64
	s_waitcnt vmcnt(50)
	v_fma_mix_f32 v8, v27, v34, v8 op_sel_hi:[0,1,0]
	s_waitcnt vmcnt(49)
	v_fma_mix_f32 v8, v28, v35, v8 op_sel_hi:[0,1,0]
	s_waitcnt vmcnt(48)
	v_fma_mix_f32 v12, v29, v36, v8 op_sel_hi:[0,1,0]
	ds_read_b128 v[8:11], v85 offset:80
	s_waitcnt vmcnt(47) lgkmcnt(1)
	v_fma_mix_f32 v4, v4, v37, v12 op_sel_hi:[0,1,0]
	s_waitcnt vmcnt(46)
	v_fma_mix_f32 v4, v5, v38, v4 op_sel_hi:[0,1,0]
	s_waitcnt vmcnt(45)
	v_fma_mix_f32 v4, v6, v39, v4 op_sel_hi:[0,1,0]
	s_waitcnt vmcnt(44)
	v_fma_mix_f32 v4, v7, v40, v4 op_sel_hi:[0,1,0]
	s_waitcnt vmcnt(43) lgkmcnt(0)
	v_fma_mix_f32 v8, v8, v41, v4 op_sel_hi:[0,1,0]
	ds_read_b128 v[4:7], v85 offset:96
	s_waitcnt vmcnt(42)
	v_fma_mix_f32 v8, v9, v42, v8 op_sel_hi:[0,1,0]
	s_waitcnt vmcnt(41)
	v_fma_mix_f32 v8, v10, v43, v8 op_sel_hi:[0,1,0]
	s_waitcnt vmcnt(40)
	v_fma_mix_f32 v12, v11, v44, v8 op_sel_hi:[0,1,0]
	ds_read_b128 v[8:11], v85 offset:112
	;; [unrolled: 18-line block ×6, first 2 shown]
	s_waitcnt vmcnt(7) lgkmcnt(1)
	v_fma_mix_f32 v4, v4, v77, v12 op_sel_hi:[0,1,0]
	s_waitcnt vmcnt(6)
	v_fma_mix_f32 v4, v5, v78, v4 op_sel_hi:[0,1,0]
	s_waitcnt vmcnt(5)
	;; [unrolled: 2-line block ×3, first 2 shown]
	v_fma_mix_f32 v4, v7, v80, v4 op_sel_hi:[0,1,0]
	s_waitcnt vmcnt(3) lgkmcnt(0)
	v_fma_mix_f32 v4, v8, v81, v4 op_sel_hi:[0,1,0]
	s_waitcnt vmcnt(2)
	v_fma_mix_f32 v4, v9, v82, v4 op_sel_hi:[0,1,0]
	s_waitcnt vmcnt(1)
	;; [unrolled: 2-line block ×3, first 2 shown]
	v_fma_mix_f32 v4, v11, v84, v4 op_sel_hi:[0,1,0]
	s_branch .LBB224_16
.LBB224_19:
	v_mov_b32_e32 v2, 0
	ds_read_b32 v2, v2 offset:3328
	s_cmp_lg_u64 s[6:7], 0
	s_cbranch_scc0 .LBB224_24
; %bb.20:
	s_load_dword s6, s[6:7], 0x0
	s_waitcnt lgkmcnt(0)
	v_div_scale_f32 v3, s[0:1], s6, s6, 1.0
	v_rcp_f32_e32 v5, v3
	v_div_scale_f32 v6, vcc, 1.0, s6, 1.0
	v_fma_f32 v7, -v3, v5, 1.0
	v_fmac_f32_e32 v5, v7, v5
	v_mul_f32_e32 v7, v6, v5
	v_fma_f32 v8, -v3, v7, v6
	v_fmac_f32_e32 v7, v8, v5
	v_fma_f32 v3, -v3, v7, v6
	v_div_fmas_f32 v3, v3, v5, v7
	v_div_fixup_f32 v3, v3, s6, 1.0
	s_andn2_b64 vcc, exec, s[44:45]
	s_cbranch_vccnz .LBB224_22
.LBB224_21:
	s_add_u32 s0, s34, s46
	s_addc_u32 s1, s35, s47
	s_load_dword s30, s[0:1], 0x0
	s_mov_b32 s31, 0
.LBB224_22:
	s_waitcnt lgkmcnt(0)
	v_add_f32_e32 v2, 0x358637bd, v2
	v_div_scale_f32 v5, s[0:1], v2, v2, 1.0
	v_rcp_f32_e32 v6, v5
	v_div_scale_f32 v7, vcc, 1.0, v2, 1.0
	s_mul_i32 s0, s3, s31
	v_fma_f32 v8, -v5, v6, 1.0
	v_fmac_f32_e32 v6, v8, v6
	v_mul_f32_e32 v8, v7, v6
	v_fma_f32 v9, -v5, v8, v7
	v_fmac_f32_e32 v8, v9, v6
	v_fma_f32 v5, -v5, v8, v7
	s_mul_hi_u32 s1, s3, s30
	v_div_fmas_f32 v5, v5, v6, v8
	s_add_i32 s1, s1, s0
	s_mul_i32 s0, s3, s30
	v_div_fixup_f32 v2, v5, v2, 1.0
	s_lshl_b64 s[0:1], s[0:1], 7
	v_mul_f32_e32 v2, v4, v2
	s_add_u32 s4, s4, s0
	s_mov_b32 s3, 0
	v_mul_f32_e32 v2, v2, v3
	s_addc_u32 s5, s5, s1
	s_lshl_b64 s[0:1], s[2:3], 7
	s_mov_b32 s2, 0x7f800000
	s_mov_b32 s3, 0x43700000
	v_mov_b32_e32 v3, 0xc3700000
	v_med3_f32 v3, v2, s3, v3
	v_cmp_nlg_f32_e64 vcc, |v2|, s2
	s_add_u32 s0, s4, s0
	s_addc_u32 s1, s5, s1
	v_cndmask_b32_e32 v2, v3, v2, vcc
	v_mov_b32_e32 v3, 0
	v_cvt_pk_fp8_f32 v3, v2, v2
	v_lshl_add_u64 v[0:1], s[0:1], 0, v[0:1]
	global_store_byte v[0:1], v3, off
	s_endpgm
.LBB224_23:
	s_mov_b64 s[6:7], 0
	s_branch .LBB224_2
.LBB224_24:
	v_mov_b32_e32 v3, 1.0
	s_andn2_b64 vcc, exec, s[44:45]
	s_cbranch_vccz .LBB224_21
	s_branch .LBB224_22
	.section	.rodata,"a",@progbits
	.p2align	6, 0x0
	.amdhsa_kernel _Z35paged_attention_ll4mi_reduce_kernelIDF16_hLi128ELi128ELi256ELi13EEvPT0_PKfS3_PKT_PKiS8_iS3_
		.amdhsa_group_segment_fixed_size 3332
		.amdhsa_private_segment_fixed_size 0
		.amdhsa_kernarg_size 320
		.amdhsa_user_sgpr_count 2
		.amdhsa_user_sgpr_dispatch_ptr 0
		.amdhsa_user_sgpr_queue_ptr 0
		.amdhsa_user_sgpr_kernarg_segment_ptr 1
		.amdhsa_user_sgpr_dispatch_id 0
		.amdhsa_user_sgpr_kernarg_preload_length 0
		.amdhsa_user_sgpr_kernarg_preload_offset 0
		.amdhsa_user_sgpr_private_segment_size 0
		.amdhsa_uses_dynamic_stack 0
		.amdhsa_enable_private_segment 0
		.amdhsa_system_sgpr_workgroup_id_x 1
		.amdhsa_system_sgpr_workgroup_id_y 1
		.amdhsa_system_sgpr_workgroup_id_z 0
		.amdhsa_system_sgpr_workgroup_info 0
		.amdhsa_system_vgpr_workitem_id 0
		.amdhsa_next_free_vgpr 92
		.amdhsa_next_free_sgpr 55
		.amdhsa_accum_offset 92
		.amdhsa_reserve_vcc 1
		.amdhsa_float_round_mode_32 0
		.amdhsa_float_round_mode_16_64 0
		.amdhsa_float_denorm_mode_32 3
		.amdhsa_float_denorm_mode_16_64 3
		.amdhsa_dx10_clamp 1
		.amdhsa_ieee_mode 1
		.amdhsa_fp16_overflow 0
		.amdhsa_tg_split 0
		.amdhsa_exception_fp_ieee_invalid_op 0
		.amdhsa_exception_fp_denorm_src 0
		.amdhsa_exception_fp_ieee_div_zero 0
		.amdhsa_exception_fp_ieee_overflow 0
		.amdhsa_exception_fp_ieee_underflow 0
		.amdhsa_exception_fp_ieee_inexact 0
		.amdhsa_exception_int_div_zero 0
	.end_amdhsa_kernel
	.section	.text._Z35paged_attention_ll4mi_reduce_kernelIDF16_hLi128ELi128ELi256ELi13EEvPT0_PKfS3_PKT_PKiS8_iS3_,"axG",@progbits,_Z35paged_attention_ll4mi_reduce_kernelIDF16_hLi128ELi128ELi256ELi13EEvPT0_PKfS3_PKT_PKiS8_iS3_,comdat
.Lfunc_end224:
	.size	_Z35paged_attention_ll4mi_reduce_kernelIDF16_hLi128ELi128ELi256ELi13EEvPT0_PKfS3_PKT_PKiS8_iS3_, .Lfunc_end224-_Z35paged_attention_ll4mi_reduce_kernelIDF16_hLi128ELi128ELi256ELi13EEvPT0_PKfS3_PKT_PKiS8_iS3_
                                        ; -- End function
	.section	.AMDGPU.csdata,"",@progbits
; Kernel info:
; codeLenInByte = 10188
; NumSgprs: 61
; NumVgprs: 92
; NumAgprs: 0
; TotalNumVgprs: 92
; ScratchSize: 0
; MemoryBound: 0
; FloatMode: 240
; IeeeMode: 1
; LDSByteSize: 3332 bytes/workgroup (compile time only)
; SGPRBlocks: 7
; VGPRBlocks: 11
; NumSGPRsForWavesPerEU: 61
; NumVGPRsForWavesPerEU: 92
; AccumOffset: 92
; Occupancy: 5
; WaveLimiterHint : 1
; COMPUTE_PGM_RSRC2:SCRATCH_EN: 0
; COMPUTE_PGM_RSRC2:USER_SGPR: 2
; COMPUTE_PGM_RSRC2:TRAP_HANDLER: 0
; COMPUTE_PGM_RSRC2:TGID_X_EN: 1
; COMPUTE_PGM_RSRC2:TGID_Y_EN: 1
; COMPUTE_PGM_RSRC2:TGID_Z_EN: 0
; COMPUTE_PGM_RSRC2:TIDIG_COMP_CNT: 0
; COMPUTE_PGM_RSRC3_GFX90A:ACCUM_OFFSET: 22
; COMPUTE_PGM_RSRC3_GFX90A:TG_SPLIT: 0
	.section	.text._Z35paged_attention_ll4mi_reduce_kernelIDF16_hLi128ELi128ELi256ELi14EEvPT0_PKfS3_PKT_PKiS8_iS3_,"axG",@progbits,_Z35paged_attention_ll4mi_reduce_kernelIDF16_hLi128ELi128ELi256ELi14EEvPT0_PKfS3_PKT_PKiS8_iS3_,comdat
	.protected	_Z35paged_attention_ll4mi_reduce_kernelIDF16_hLi128ELi128ELi256ELi14EEvPT0_PKfS3_PKT_PKiS8_iS3_ ; -- Begin function _Z35paged_attention_ll4mi_reduce_kernelIDF16_hLi128ELi128ELi256ELi14EEvPT0_PKfS3_PKT_PKiS8_iS3_
	.globl	_Z35paged_attention_ll4mi_reduce_kernelIDF16_hLi128ELi128ELi256ELi14EEvPT0_PKfS3_PKT_PKiS8_iS3_
	.p2align	8
	.type	_Z35paged_attention_ll4mi_reduce_kernelIDF16_hLi128ELi128ELi256ELi14EEvPT0_PKfS3_PKT_PKiS8_iS3_,@function
_Z35paged_attention_ll4mi_reduce_kernelIDF16_hLi128ELi128ELi256ELi14EEvPT0_PKfS3_PKT_PKiS8_iS3_: ; @_Z35paged_attention_ll4mi_reduce_kernelIDF16_hLi128ELi128ELi256ELi14EEvPT0_PKfS3_PKT_PKiS8_iS3_
; %bb.0:
	s_load_dwordx2 s[44:45], s[0:1], 0x28
	s_mov_b32 s34, s3
	s_mov_b64 s[4:5], 0
	s_waitcnt lgkmcnt(0)
	s_cmp_lg_u64 s[44:45], 0
	s_cselect_b64 s[46:47], -1, 0
	s_and_b64 vcc, exec, s[46:47]
	s_cbranch_vccz .LBB225_23
; %bb.1:
	s_add_i32 s6, s34, 1
	s_mov_b32 s7, 0
	s_lshl_b64 s[8:9], s[6:7], 2
	s_add_u32 s8, s44, s8
	s_mov_b32 s35, s7
	s_addc_u32 s9, s45, s9
	s_lshl_b64 s[6:7], s[34:35], 2
	s_add_u32 s6, s44, s6
	s_addc_u32 s7, s45, s7
	s_load_dword s3, s[8:9], 0x0
	s_load_dword s10, s[6:7], 0x0
	s_waitcnt lgkmcnt(0)
	s_sub_i32 s3, s3, s10
	s_cmp_eq_u32 s3, 1
	s_cselect_b64 s[6:7], -1, 0
	s_andn2_b64 vcc, exec, s[4:5]
	s_cbranch_vccnz .LBB225_3
.LBB225_2:
	s_mov_b32 s35, 0
	s_mov_b64 s[6:7], -1
.LBB225_3:
	s_andn2_b64 vcc, exec, s[6:7]
	s_cbranch_vccz .LBB225_5
; %bb.4:
	s_endpgm
.LBB225_5:
	s_load_dwordx4 s[36:39], s[0:1], 0x18
	s_load_dword s8, s[0:1], 0x30
	s_lshl_b64 s[48:49], s[34:35], 2
	v_cmp_lt_u32_e32 vcc, 63, v0
	s_waitcnt lgkmcnt(0)
	s_add_u32 s4, s38, s48
	s_addc_u32 s5, s39, s49
	s_load_dword s56, s[4:5], 0x0
	s_load_dword s3, s[0:1], 0x40
	s_mul_i32 s38, s2, s8
	s_mul_i32 s6, s34, s8
	s_waitcnt lgkmcnt(0)
	s_add_i32 s7, s56, 0xff
	s_ashr_i32 s4, s7, 31
	s_lshr_b32 s4, s4, 24
	s_add_i32 s7, s7, s4
	s_and_saveexec_b64 s[4:5], vcc
	s_xor_b64 s[4:5], exec, s[4:5]
	s_or_saveexec_b64 s[50:51], s[4:5]
	s_ashr_i32 s33, s7, 8
	v_mov_b32_e32 v1, s38
	s_mul_i32 s52, s6, s3
	s_xor_b64 exec, exec, s[50:51]
	s_cbranch_execz .LBB225_9
; %bb.6:
	s_add_i32 s4, s33, -1
	v_or_b32_e32 v3, 64, v0
	v_mov_b32_e32 v1, s4
	v_cmp_gt_u32_e64 s[26:27], s33, v3
	s_load_dwordx4 s[40:43], s[0:1], 0x8
	s_mov_b32 s53, 0
	v_cndmask_b32_e64 v4, v1, v3, s[26:27]
	v_or_b32_e32 v3, 0x80, v0
	v_cmp_gt_u32_e64 s[24:25], s33, v3
	s_lshl_b64 s[54:55], s[52:53], 2
	s_mov_b32 s39, s53
	v_cndmask_b32_e64 v6, v1, v3, s[24:25]
	v_or_b32_e32 v3, 0xc0, v0
	v_cmp_gt_u32_e64 s[22:23], s33, v3
	v_cmp_gt_u32_e64 s[28:29], s33, v0
	s_waitcnt lgkmcnt(0)
	s_add_u32 s30, s42, s54
	v_cndmask_b32_e64 v8, v1, v3, s[22:23]
	v_or_b32_e32 v3, 0x100, v0
	v_cmp_gt_u32_e64 s[20:21], s33, v3
	v_cndmask_b32_e64 v2, v1, v0, s[28:29]
	s_addc_u32 s31, s43, s55
	v_cndmask_b32_e64 v10, v1, v3, s[20:21]
	v_or_b32_e32 v3, 0x140, v0
	v_cmp_gt_u32_e64 s[18:19], s33, v3
	s_lshl_b64 s[42:43], s[38:39], 2
	s_add_u32 s30, s30, s42
	v_cndmask_b32_e64 v12, v1, v3, s[18:19]
	v_or_b32_e32 v3, 0x180, v0
	v_cmp_gt_u32_e64 s[16:17], s33, v3
	s_addc_u32 s31, s31, s43
	v_ashrrev_i32_e32 v5, 31, v4
	v_cndmask_b32_e64 v14, v1, v3, s[16:17]
	v_or_b32_e32 v3, 0x1c0, v0
	v_cmp_gt_u32_e64 s[14:15], s33, v3
	v_ashrrev_i32_e32 v15, 31, v14
	v_ashrrev_i32_e32 v7, 31, v6
	v_cndmask_b32_e64 v16, v1, v3, s[14:15]
	v_or_b32_e32 v3, 0x200, v0
	v_cmp_gt_u32_e64 s[12:13], s33, v3
	v_ashrrev_i32_e32 v9, 31, v8
	v_ashrrev_i32_e32 v11, 31, v10
	v_cndmask_b32_e64 v18, v1, v3, s[12:13]
	v_or_b32_e32 v3, 0x240, v0
	v_cmp_gt_u32_e64 s[10:11], s33, v3
	v_ashrrev_i32_e32 v13, 31, v12
	v_lshlrev_b64 v[14:15], 2, v[14:15]
	v_cndmask_b32_e64 v20, v1, v3, s[10:11]
	v_or_b32_e32 v3, 0x280, v0
	v_cmp_gt_u32_e64 s[8:9], s33, v3
	v_ashrrev_i32_e32 v17, 31, v16
	v_lshlrev_b64 v[4:5], 2, v[4:5]
	v_cndmask_b32_e64 v22, v1, v3, s[8:9]
	v_or_b32_e32 v3, 0x2c0, v0
	v_cmp_gt_u32_e64 s[6:7], s33, v3
	v_lshlrev_b64 v[6:7], 2, v[6:7]
	v_lshlrev_b64 v[8:9], 2, v[8:9]
	v_cndmask_b32_e64 v24, v1, v3, s[6:7]
	v_or_b32_e32 v3, 0x300, v0
	v_cmp_gt_u32_e64 s[4:5], s33, v3
	v_lshlrev_b64 v[10:11], 2, v[10:11]
	v_lshlrev_b64 v[12:13], 2, v[12:13]
	v_cndmask_b32_e64 v26, v1, v3, s[4:5]
	v_or_b32_e32 v3, 0x340, v0
	v_cmp_gt_u32_e32 vcc, s33, v3
	v_lshl_add_u64 v[42:43], s[30:31], 0, v[14:15]
	v_lshlrev_b64 v[16:17], 2, v[16:17]
	v_cndmask_b32_e32 v28, v1, v3, vcc
	v_ashrrev_i32_e32 v3, 31, v2
	v_lshlrev_b64 v[2:3], 2, v[2:3]
	v_lshl_add_u64 v[30:31], s[30:31], 0, v[2:3]
	v_lshl_add_u64 v[32:33], s[30:31], 0, v[4:5]
	;; [unrolled: 1-line block ×7, first 2 shown]
	global_load_dword v1, v[30:31], off
	global_load_dword v46, v[32:33], off
	;; [unrolled: 1-line block ×6, first 2 shown]
	s_nop 0
	global_load_dword v42, v[42:43], off
	s_nop 0
	global_load_dword v43, v[44:45], off
	v_ashrrev_i32_e32 v19, 31, v18
	v_ashrrev_i32_e32 v21, 31, v20
	;; [unrolled: 1-line block ×3, first 2 shown]
	v_lshlrev_b64 v[18:19], 2, v[18:19]
	v_lshlrev_b64 v[20:21], 2, v[20:21]
	;; [unrolled: 1-line block ×3, first 2 shown]
	v_ashrrev_i32_e32 v25, 31, v24
	v_ashrrev_i32_e32 v27, 31, v26
	;; [unrolled: 1-line block ×3, first 2 shown]
	v_lshl_add_u64 v[30:31], s[30:31], 0, v[18:19]
	v_lshl_add_u64 v[32:33], s[30:31], 0, v[20:21]
	;; [unrolled: 1-line block ×3, first 2 shown]
	v_lshlrev_b64 v[24:25], 2, v[24:25]
	v_lshlrev_b64 v[26:27], 2, v[26:27]
	;; [unrolled: 1-line block ×3, first 2 shown]
	v_lshl_add_u64 v[36:37], s[30:31], 0, v[24:25]
	v_lshl_add_u64 v[38:39], s[30:31], 0, v[26:27]
	;; [unrolled: 1-line block ×3, first 2 shown]
	global_load_dword v30, v[30:31], off
	s_nop 0
	global_load_dword v31, v[32:33], off
	s_nop 0
	global_load_dword v32, v[34:35], off
	global_load_dword v33, v[36:37], off
	s_nop 0
	global_load_dword v34, v[38:39], off
	global_load_dword v35, v[40:41], off
	s_mov_b32 s39, 0x3fb8aa3b
	s_waitcnt vmcnt(13)
	v_max_f32_e32 v37, v1, v1
	s_waitcnt vmcnt(12)
	v_max_f32_e32 v36, v46, v46
	v_max_f32_e32 v36, v37, v36
	v_mbcnt_lo_u32_b32 v37, -1, 0
	s_waitcnt vmcnt(10)
	v_max3_f32 v36, v36, v47, v48
	v_mbcnt_hi_u32_b32 v37, -1, v37
	s_waitcnt vmcnt(8)
	v_max3_f32 v36, v36, v49, v50
	v_and_b32_e32 v38, 64, v37
	s_waitcnt vmcnt(6)
	v_max3_f32 v36, v36, v42, v43
	v_add_u32_e32 v38, 64, v38
	v_xor_b32_e32 v39, 32, v37
	v_cmp_lt_i32_e64 s[30:31], v39, v38
	s_waitcnt vmcnt(4)
	v_max3_f32 v36, v36, v30, v31
	v_cndmask_b32_e64 v39, v37, v39, s[30:31]
	s_waitcnt vmcnt(2)
	v_max3_f32 v36, v36, v32, v33
	v_lshlrev_b32_e32 v39, 2, v39
	s_waitcnt vmcnt(0)
	v_max3_f32 v36, v36, v34, v35
	ds_bpermute_b32 v40, v39, v36
	s_waitcnt lgkmcnt(0)
	v_max_f32_e32 v40, v40, v40
	v_max_f32_e32 v36, v36, v40
	v_xor_b32_e32 v40, 16, v37
	v_cmp_lt_i32_e64 s[30:31], v40, v38
	s_nop 1
	v_cndmask_b32_e64 v40, v37, v40, s[30:31]
	v_lshlrev_b32_e32 v40, 2, v40
	ds_bpermute_b32 v41, v40, v36
	s_waitcnt lgkmcnt(0)
	v_max_f32_e32 v41, v41, v41
	v_max_f32_e32 v36, v36, v41
	v_xor_b32_e32 v41, 8, v37
	v_cmp_lt_i32_e64 s[30:31], v41, v38
	s_nop 1
	v_cndmask_b32_e64 v41, v37, v41, s[30:31]
	v_lshlrev_b32_e32 v41, 2, v41
	ds_bpermute_b32 v44, v41, v36
	s_add_u32 s30, s40, s54
	s_addc_u32 s31, s41, s55
	s_add_u32 s40, s30, s42
	s_addc_u32 s41, s31, s43
	s_waitcnt lgkmcnt(0)
	v_max_f32_e32 v44, v44, v44
	v_max_f32_e32 v36, v36, v44
	v_xor_b32_e32 v44, 4, v37
	v_lshl_add_u64 v[2:3], s[40:41], 0, v[2:3]
	v_cmp_lt_i32_e64 s[30:31], v44, v38
	global_load_dword v45, v[2:3], off
	s_nop 0
	v_cndmask_b32_e64 v2, v37, v44, s[30:31]
	v_lshlrev_b32_e32 v44, 2, v2
	ds_bpermute_b32 v2, v44, v36
	s_waitcnt lgkmcnt(0)
	v_max_f32_e32 v2, v2, v2
	v_max_f32_e32 v36, v36, v2
	v_xor_b32_e32 v2, 2, v37
	v_cmp_lt_i32_e64 s[30:31], v2, v38
	s_nop 1
	v_cndmask_b32_e64 v2, v37, v2, s[30:31]
	v_lshlrev_b32_e32 v51, 2, v2
	ds_bpermute_b32 v52, v51, v36
	v_lshl_add_u64 v[2:3], s[40:41], 0, v[4:5]
	global_load_dword v53, v[2:3], off
	v_lshl_add_u64 v[4:5], s[40:41], 0, v[8:9]
	v_lshl_add_u64 v[8:9], s[40:41], 0, v[12:13]
	s_waitcnt lgkmcnt(0)
	v_max_f32_e32 v2, v52, v52
	v_max_f32_e32 v36, v36, v2
	v_xor_b32_e32 v2, 1, v37
	v_cmp_lt_i32_e64 s[30:31], v2, v38
	v_lshl_add_u64 v[12:13], s[40:41], 0, v[16:17]
	s_nop 0
	v_cndmask_b32_e64 v2, v37, v2, s[30:31]
	v_lshlrev_b32_e32 v37, 2, v2
	v_lshl_add_u64 v[2:3], s[40:41], 0, v[6:7]
	v_lshl_add_u64 v[6:7], s[40:41], 0, v[10:11]
	v_lshl_add_u64 v[10:11], s[40:41], 0, v[14:15]
	global_load_dword v14, v[2:3], off
	global_load_dword v15, v[4:5], off
	;; [unrolled: 1-line block ×6, first 2 shown]
	ds_bpermute_b32 v38, v37, v36
	v_lshl_add_u64 v[2:3], s[40:41], 0, v[18:19]
	v_lshl_add_u64 v[4:5], s[40:41], 0, v[20:21]
	;; [unrolled: 1-line block ×4, first 2 shown]
	s_waitcnt lgkmcnt(0)
	v_max_f32_e32 v18, v38, v38
	v_max_f32_e32 v18, v36, v18
	v_sub_f32_e32 v1, v1, v18
	v_mul_f32_e32 v19, 0x3fb8aa3b, v1
	v_fma_f32 v20, v1, s39, -v19
	v_rndne_f32_e32 v21, v19
	v_fmac_f32_e32 v20, 0x32a5705f, v1
	v_sub_f32_e32 v19, v19, v21
	v_lshl_add_u64 v[10:11], s[40:41], 0, v[26:27]
	v_lshl_add_u64 v[12:13], s[40:41], 0, v[28:29]
	v_add_f32_e32 v19, v19, v20
	v_cvt_i32_f32_e32 v20, v21
	global_load_dword v2, v[2:3], off
	s_nop 0
	global_load_dword v3, v[4:5], off
	global_load_dword v21, v[6:7], off
	;; [unrolled: 1-line block ×5, first 2 shown]
	v_sub_f32_e32 v6, v46, v18
	v_mul_f32_e32 v7, 0x3fb8aa3b, v6
	v_fma_f32 v8, v6, s39, -v7
	v_rndne_f32_e32 v9, v7
	v_exp_f32_e32 v19, v19
	v_fmac_f32_e32 v8, 0x32a5705f, v6
	v_sub_f32_e32 v7, v7, v9
	v_add_f32_e32 v7, v7, v8
	v_exp_f32_e32 v7, v7
	v_cvt_i32_f32_e32 v8, v9
	s_mov_b32 s40, 0xc2ce8ed0
	v_ldexp_f32 v4, v19, v20
	v_cmp_ngt_f32_e64 s[30:31], s40, v1
	s_mov_b32 s41, 0x42b17218
	v_mov_b32_e32 v5, 0x7f800000
	v_cndmask_b32_e64 v4, 0, v4, s[30:31]
	v_cmp_nlt_f32_e64 s[30:31], s41, v1
	s_nop 1
	v_cndmask_b32_e64 v1, v5, v4, s[30:31]
	v_ldexp_f32 v4, v7, v8
	v_sub_f32_e32 v7, v47, v18
	v_mul_f32_e32 v8, 0x3fb8aa3b, v7
	v_fma_f32 v9, v7, s39, -v8
	v_rndne_f32_e32 v10, v8
	v_fmac_f32_e32 v9, 0x32a5705f, v7
	v_sub_f32_e32 v8, v8, v10
	v_add_f32_e32 v8, v8, v9
	v_exp_f32_e32 v8, v8
	v_cvt_i32_f32_e32 v9, v10
	v_cndmask_b32_e64 v1, 0, v1, s[28:29]
	v_cmp_ngt_f32_e64 s[28:29], s40, v6
	s_waitcnt vmcnt(13)
	v_mul_f32_e32 v1, v45, v1
	v_cndmask_b32_e64 v4, 0, v4, s[28:29]
	v_cmp_nlt_f32_e64 s[28:29], s41, v6
	v_ldexp_f32 v6, v8, v9
	v_sub_f32_e32 v8, v48, v18
	v_mul_f32_e32 v9, 0x3fb8aa3b, v8
	v_fma_f32 v10, v8, s39, -v9
	v_rndne_f32_e32 v11, v9
	v_fmac_f32_e32 v10, 0x32a5705f, v8
	v_sub_f32_e32 v9, v9, v11
	v_add_f32_e32 v9, v9, v10
	v_exp_f32_e32 v9, v9
	v_cvt_i32_f32_e32 v10, v11
	v_cndmask_b32_e64 v4, v5, v4, s[28:29]
	v_cndmask_b32_e64 v4, 0, v4, s[26:27]
	v_cmp_ngt_f32_e64 s[26:27], s40, v7
	s_waitcnt vmcnt(12)
	v_mul_f32_e32 v4, v53, v4
	v_cndmask_b32_e64 v6, 0, v6, s[26:27]
	v_cmp_nlt_f32_e64 s[26:27], s41, v7
	v_ldexp_f32 v7, v9, v10
	v_sub_f32_e32 v9, v49, v18
	v_mul_f32_e32 v10, 0x3fb8aa3b, v9
	v_fma_f32 v11, v9, s39, -v10
	v_rndne_f32_e32 v12, v10
	v_fmac_f32_e32 v11, 0x32a5705f, v9
	v_sub_f32_e32 v10, v10, v12
	v_add_f32_e32 v10, v10, v11
	v_exp_f32_e32 v10, v10
	v_cvt_i32_f32_e32 v11, v12
	v_cndmask_b32_e64 v6, v5, v6, s[26:27]
	;; [unrolled: 17-line block ×6, first 2 shown]
	v_cndmask_b32_e64 v10, 0, v10, s[16:17]
	v_cmp_ngt_f32_e64 s[16:17], s40, v12
	s_waitcnt vmcnt(7)
	v_mul_f32_e32 v10, v52, v10
	v_cndmask_b32_e64 v11, 0, v11, s[16:17]
	v_cmp_nlt_f32_e64 s[16:17], s41, v12
	v_ldexp_f32 v12, v14, v15
	v_sub_f32_e32 v14, v31, v18
	v_mul_f32_e32 v15, 0x3fb8aa3b, v14
	v_fma_f32 v16, v14, s39, -v15
	v_rndne_f32_e32 v17, v15
	v_fmac_f32_e32 v16, 0x32a5705f, v14
	v_sub_f32_e32 v15, v15, v17
	v_cndmask_b32_e64 v11, v5, v11, s[16:17]
	v_add_f32_e32 v15, v15, v16
	v_cndmask_b32_e64 v11, 0, v11, s[14:15]
	v_cmp_ngt_f32_e64 s[14:15], s40, v13
	v_exp_f32_e32 v15, v15
	v_cvt_i32_f32_e32 v16, v17
	v_cndmask_b32_e64 v12, 0, v12, s[14:15]
	v_cmp_nlt_f32_e64 s[14:15], s41, v13
	v_sub_f32_e32 v13, v32, v18
	s_waitcnt vmcnt(6)
	v_mul_f32_e32 v11, v54, v11
	v_cndmask_b32_e64 v12, v5, v12, s[14:15]
	v_cndmask_b32_e64 v12, 0, v12, s[12:13]
	s_waitcnt vmcnt(5)
	v_mul_f32_e32 v12, v2, v12
	v_ldexp_f32 v2, v15, v16
	v_mul_f32_e32 v15, 0x3fb8aa3b, v13
	v_fma_f32 v16, v13, s39, -v15
	v_rndne_f32_e32 v17, v15
	v_fmac_f32_e32 v16, 0x32a5705f, v13
	v_sub_f32_e32 v15, v15, v17
	v_add_f32_e32 v15, v15, v16
	v_cmp_ngt_f32_e64 s[12:13], s40, v14
	v_exp_f32_e32 v15, v15
	v_cvt_i32_f32_e32 v16, v17
	v_cndmask_b32_e64 v2, 0, v2, s[12:13]
	v_cmp_nlt_f32_e64 s[12:13], s41, v14
	v_sub_f32_e32 v14, v33, v18
	s_nop 0
	v_cndmask_b32_e64 v2, v5, v2, s[12:13]
	v_cndmask_b32_e64 v2, 0, v2, s[10:11]
	s_waitcnt vmcnt(4)
	v_mul_f32_e32 v3, v3, v2
	v_ldexp_f32 v2, v15, v16
	v_mul_f32_e32 v15, 0x3fb8aa3b, v14
	v_fma_f32 v16, v14, s39, -v15
	v_rndne_f32_e32 v17, v15
	v_fmac_f32_e32 v16, 0x32a5705f, v14
	v_sub_f32_e32 v15, v15, v17
	v_add_f32_e32 v15, v15, v16
	v_cmp_ngt_f32_e64 s[10:11], s40, v13
	v_exp_f32_e32 v15, v15
	v_cvt_i32_f32_e32 v16, v17
	v_cndmask_b32_e64 v2, 0, v2, s[10:11]
	v_cmp_nlt_f32_e64 s[10:11], s41, v13
	s_nop 1
	v_cndmask_b32_e64 v2, v5, v2, s[10:11]
	v_cndmask_b32_e64 v2, 0, v2, s[8:9]
	s_waitcnt vmcnt(3)
	v_mul_f32_e32 v13, v21, v2
	v_ldexp_f32 v2, v15, v16
	v_sub_f32_e32 v15, v34, v18
	v_mul_f32_e32 v16, 0x3fb8aa3b, v15
	v_fma_f32 v17, v15, s39, -v16
	v_rndne_f32_e32 v19, v16
	v_fmac_f32_e32 v17, 0x32a5705f, v15
	v_sub_f32_e32 v16, v16, v19
	v_add_f32_e32 v16, v16, v17
	v_exp_f32_e32 v16, v16
	v_cvt_i32_f32_e32 v17, v19
	v_cmp_ngt_f32_e64 s[8:9], s40, v14
	s_nop 1
	v_cndmask_b32_e64 v2, 0, v2, s[8:9]
	v_cmp_nlt_f32_e64 s[8:9], s41, v14
	v_ldexp_f32 v14, v16, v17
	v_sub_f32_e32 v16, v35, v18
	v_mul_f32_e32 v17, 0x3fb8aa3b, v16
	v_fma_f32 v18, v16, s39, -v17
	v_rndne_f32_e32 v19, v17
	v_fmac_f32_e32 v18, 0x32a5705f, v16
	v_sub_f32_e32 v17, v17, v19
	v_add_f32_e32 v17, v17, v18
	v_cndmask_b32_e64 v2, v5, v2, s[8:9]
	v_exp_f32_e32 v17, v17
	v_cvt_i32_f32_e32 v18, v19
	v_cndmask_b32_e64 v2, 0, v2, s[6:7]
	v_cmp_ngt_f32_e64 s[6:7], s40, v15
	s_nop 1
	v_cndmask_b32_e64 v14, 0, v14, s[6:7]
	v_cmp_nlt_f32_e64 s[6:7], s41, v15
	v_ldexp_f32 v15, v17, v18
	s_waitcnt vmcnt(2)
	v_mul_f32_e32 v17, v22, v2
	v_cndmask_b32_e64 v14, v5, v14, s[6:7]
	v_cndmask_b32_e64 v14, 0, v14, s[4:5]
	v_cmp_ngt_f32_e64 s[4:5], s40, v16
	v_lshlrev_b32_e32 v18, 2, v0
	ds_write2st64_b32 v18, v1, v4 offset1:1
	ds_write2st64_b32 v18, v6, v7 offset0:2 offset1:3
	ds_write2st64_b32 v18, v8, v9 offset0:4 offset1:5
	;; [unrolled: 1-line block ×3, first 2 shown]
	v_cndmask_b32_e64 v15, 0, v15, s[4:5]
	v_cmp_nlt_f32_e64 s[4:5], s41, v16
	s_nop 1
	v_cndmask_b32_e64 v5, v5, v15, s[4:5]
	v_add_f32_e32 v15, v1, v4
	v_add_f32_e32 v15, v15, v6
	;; [unrolled: 1-line block ×10, first 2 shown]
	v_fmac_f32_e32 v15, v22, v2
	v_cndmask_b32_e32 v5, 0, v5, vcc
	s_waitcnt vmcnt(1)
	v_fmac_f32_e32 v15, v23, v14
	s_waitcnt vmcnt(0)
	v_fmac_f32_e32 v15, v24, v5
	ds_bpermute_b32 v16, v39, v15
	v_cmp_eq_u32_e32 vcc, 0, v0
	v_mul_f32_e32 v14, v23, v14
	v_mul_f32_e32 v5, v24, v5
	ds_write2st64_b32 v18, v12, v3 offset0:8 offset1:9
	ds_write2st64_b32 v18, v13, v17 offset0:10 offset1:11
	ds_write2st64_b32 v18, v14, v5 offset0:12 offset1:13
	s_waitcnt lgkmcnt(3)
	v_add_f32_e32 v15, v15, v16
	ds_bpermute_b32 v16, v40, v15
	s_waitcnt lgkmcnt(0)
	v_add_f32_e32 v15, v15, v16
	ds_bpermute_b32 v16, v41, v15
	s_waitcnt lgkmcnt(0)
	v_add_f32_e32 v15, v15, v16
	ds_bpermute_b32 v16, v44, v15
	s_waitcnt lgkmcnt(0)
	v_add_f32_e32 v2, v15, v16
	ds_bpermute_b32 v15, v51, v2
	s_waitcnt lgkmcnt(0)
	v_add_f32_e32 v1, v2, v15
	ds_bpermute_b32 v2, v37, v1
	s_and_saveexec_b64 s[4:5], vcc
	s_cbranch_execz .LBB225_8
; %bb.7:
	s_waitcnt lgkmcnt(0)
	v_add_f32_e32 v1, v1, v2
	v_mov_b32_e32 v2, 0
	ds_write_b32 v2, v1 offset:3584
.LBB225_8:
	s_or_b64 exec, exec, s[4:5]
	v_mov_b32_e32 v1, s38
.LBB225_9:
	s_or_b64 exec, exec, s[50:51]
	s_lshl_b32 s4, s52, 7
	s_mov_b32 s5, 0
	s_lshl_b64 s[4:5], s[4:5], 1
	s_add_u32 s4, s36, s4
	s_addc_u32 s5, s37, s5
	s_lshl_b32 s10, s33, 7
	s_waitcnt lgkmcnt(0)
	v_lshlrev_b32_e32 v2, 7, v1
	v_mov_b32_e32 v1, 0
	s_add_i32 s11, s10, 0xffffff80
	v_mov_b32_e32 v3, v1
	s_cmp_lt_i32 s56, 1
	v_lshl_add_u64 v[2:3], v[2:3], 1, s[4:5]
	s_cselect_b32 s4, s11, 0
	v_lshlrev_b32_e32 v4, 1, v0
	v_mov_b32_e32 v5, v1
	s_ashr_i32 s5, s4, 31
	v_lshl_add_u64 v[2:3], v[2:3], 0, v[4:5]
	s_cmpk_lt_i32 s56, 0x101
	v_lshl_add_u64 v[12:13], s[4:5], 1, v[2:3]
	s_cselect_b32 s4, s11, 0x80
	s_ashr_i32 s5, s4, 31
	s_cmpk_lt_i32 s56, 0x201
	v_lshl_add_u64 v[14:15], s[4:5], 1, v[2:3]
	s_cselect_b32 s4, s11, 0x100
	s_ashr_i32 s5, s4, 31
	;; [unrolled: 4-line block ×8, first 2 shown]
	s_cmpk_lt_i32 s56, 0x901
	global_load_ushort v4, v[12:13], off
	global_load_ushort v5, v[14:15], off
	;; [unrolled: 1-line block ×8, first 2 shown]
	v_lshl_add_u64 v[20:21], s[4:5], 1, v[2:3]
	s_cselect_b32 s4, s11, 0x480
	s_ashr_i32 s5, s4, 31
	s_cmpk_lt_i32 s56, 0xa01
	v_lshl_add_u64 v[22:23], s[4:5], 1, v[2:3]
	s_cselect_b32 s4, s11, 0x500
	s_ashr_i32 s5, s4, 31
	s_cmpk_lt_i32 s56, 0xb01
	;; [unrolled: 4-line block ×6, first 2 shown]
	v_lshl_add_u64 v[32:33], s[4:5], 1, v[2:3]
	s_cselect_b32 s4, s11, 0x780
	s_ashr_i32 s5, s4, 31
	v_lshl_add_u64 v[34:35], s[4:5], 1, v[2:3]
	global_load_ushort v12, v[20:21], off
	global_load_ushort v13, v[22:23], off
	;; [unrolled: 1-line block ×8, first 2 shown]
	s_cmpk_gt_i32 s56, 0x1000
	s_cselect_b64 s[8:9], -1, 0
	s_cmpk_lt_i32 s56, 0x1001
	v_mov_b32_e32 v36, 0
	v_mov_b32_e32 v37, 0
	v_mov_b32_e32 v38, 0
	v_mov_b32_e32 v39, 0
	v_mov_b32_e32 v40, 0
	v_mov_b32_e32 v41, 0
	v_mov_b32_e32 v42, 0
	v_mov_b32_e32 v43, 0
	v_mov_b32_e32 v44, 0
	v_mov_b32_e32 v45, 0
	v_mov_b32_e32 v46, 0
	v_mov_b32_e32 v47, 0
	v_mov_b32_e32 v48, 0
	v_mov_b32_e32 v49, 0
	v_mov_b32_e32 v50, 0
	v_mov_b32_e32 v51, 0
	v_mov_b32_e32 v52, 0
	v_mov_b32_e32 v53, 0
	v_mov_b32_e32 v54, 0
	v_mov_b32_e32 v55, 0
	v_mov_b32_e32 v56, 0
	v_mov_b32_e32 v57, 0
	v_mov_b32_e32 v58, 0
	v_mov_b32_e32 v59, 0
	v_mov_b32_e32 v60, 0
	v_mov_b32_e32 v61, 0
	v_mov_b32_e32 v62, 0
	v_mov_b32_e32 v63, 0
	v_mov_b32_e32 v64, 0
	v_mov_b32_e32 v65, 0
	v_mov_b32_e32 v66, 0
	v_mov_b32_e32 v67, 0
	v_mov_b32_e32 v28, 0
	v_mov_b32_e32 v29, 0
	v_mov_b32_e32 v30, 0
	v_mov_b32_e32 v31, 0
	v_mov_b32_e32 v32, 0
	v_mov_b32_e32 v33, 0
	v_mov_b32_e32 v34, 0
	v_mov_b32_e32 v35, 0
	v_mov_b32_e32 v20, 0
	v_mov_b32_e32 v21, 0
	v_mov_b32_e32 v22, 0
	v_mov_b32_e32 v23, 0
	v_mov_b32_e32 v24, 0
	v_mov_b32_e32 v25, 0
	v_mov_b32_e32 v26, 0
	v_mov_b32_e32 v27, 0
	s_barrier
	s_cbranch_scc1 .LBB225_12
; %bb.10:
	s_cmpk_lt_u32 s56, 0x1101
	s_cselect_b32 s4, s11, 0x880
	s_ashr_i32 s5, s4, 31
	s_cmpk_lt_u32 s56, 0x1201
	v_lshl_add_u64 v[30:31], s[4:5], 1, v[2:3]
	s_cselect_b32 s4, s11, 0x900
	s_ashr_i32 s5, s4, 31
	s_cmpk_lt_u32 s56, 0x1301
	v_lshl_add_u64 v[32:33], s[4:5], 1, v[2:3]
	;; [unrolled: 4-line block ×7, first 2 shown]
	s_cselect_b32 s4, s11, 0xc00
	v_add_co_u32_e32 v28, vcc, 0x1000, v2
	s_ashr_i32 s5, s4, 31
	s_nop 0
	v_addc_co_u32_e32 v29, vcc, 0, v3, vcc
	s_cmpk_lt_u32 s56, 0x1901
	global_load_ushort v27, v[28:29], off
	global_load_ushort v26, v[30:31], off
	;; [unrolled: 1-line block ×8, first 2 shown]
	v_lshl_add_u64 v[36:37], s[4:5], 1, v[2:3]
	s_cselect_b32 s4, s11, 0xc80
	s_ashr_i32 s5, s4, 31
	s_cmpk_lt_u32 s56, 0x1a01
	v_lshl_add_u64 v[38:39], s[4:5], 1, v[2:3]
	s_cselect_b32 s4, s11, 0xd00
	s_ashr_i32 s5, s4, 31
	s_cmpk_lt_u32 s56, 0x1b01
	;; [unrolled: 4-line block ×6, first 2 shown]
	v_lshl_add_u64 v[48:49], s[4:5], 1, v[2:3]
	s_cselect_b32 s4, s11, 0xf80
	s_ashr_i32 s5, s4, 31
	v_lshl_add_u64 v[50:51], s[4:5], 1, v[2:3]
	global_load_ushort v35, v[36:37], off
	global_load_ushort v34, v[38:39], off
	;; [unrolled: 1-line block ×8, first 2 shown]
	s_cmpk_lt_u32 s56, 0x2001
	v_mov_b32_e32 v67, 0
	v_mov_b32_e32 v66, 0
	;; [unrolled: 1-line block ×32, first 2 shown]
	s_cbranch_scc1 .LBB225_12
; %bb.11:
	s_cmpk_lt_u32 s56, 0x2101
	s_cselect_b32 s4, s11, 0x1080
	s_ashr_i32 s5, s4, 31
	s_cmpk_lt_u32 s56, 0x2201
	v_lshl_add_u64 v[38:39], s[4:5], 1, v[2:3]
	s_cselect_b32 s4, s11, 0x1100
	s_ashr_i32 s5, s4, 31
	s_cmpk_lt_u32 s56, 0x2301
	v_lshl_add_u64 v[40:41], s[4:5], 1, v[2:3]
	;; [unrolled: 4-line block ×7, first 2 shown]
	s_cselect_b32 s4, s11, 0x1400
	v_add_co_u32_e32 v36, vcc, 0x2000, v2
	s_ashr_i32 s5, s4, 31
	s_nop 0
	v_addc_co_u32_e32 v37, vcc, 0, v3, vcc
	s_cmpk_lt_u32 s56, 0x2901
	global_load_ushort v52, v[36:37], off
	global_load_ushort v53, v[38:39], off
	;; [unrolled: 1-line block ×8, first 2 shown]
	v_lshl_add_u64 v[36:37], s[4:5], 1, v[2:3]
	s_cselect_b32 s4, s11, 0x1480
	s_ashr_i32 s5, s4, 31
	s_cmpk_lt_u32 s56, 0x2a01
	v_lshl_add_u64 v[38:39], s[4:5], 1, v[2:3]
	s_cselect_b32 s4, s11, 0x1500
	s_ashr_i32 s5, s4, 31
	s_cmpk_lt_u32 s56, 0x2b01
	;; [unrolled: 4-line block ×8, first 2 shown]
	global_load_ushort v68, v[36:37], off
	global_load_ushort v69, v[38:39], off
	;; [unrolled: 1-line block ×8, first 2 shown]
	v_lshl_add_u64 v[36:37], s[4:5], 1, v[2:3]
	s_cselect_b32 s4, s11, 0x1880
	s_ashr_i32 s5, s4, 31
	s_cmpk_lt_u32 s56, 0x3201
	v_lshl_add_u64 v[38:39], s[4:5], 1, v[2:3]
	s_cselect_b32 s4, s11, 0x1900
	s_ashr_i32 s5, s4, 31
	s_cmpk_lt_u32 s56, 0x3301
	;; [unrolled: 4-line block ×8, first 2 shown]
	global_load_ushort v76, v[36:37], off
	global_load_ushort v77, v[38:39], off
	;; [unrolled: 1-line block ×8, first 2 shown]
	v_lshl_add_u64 v[36:37], s[4:5], 1, v[2:3]
	s_cselect_b32 s4, s11, 0x1c80
	s_ashr_i32 s5, s4, 31
	s_cmpk_lt_u32 s56, 0x3a01
	v_lshl_add_u64 v[38:39], s[4:5], 1, v[2:3]
	s_cselect_b32 s4, s11, 0x1d00
	s_ashr_i32 s5, s4, 31
	s_cmpk_lt_u32 s56, 0x3b01
	;; [unrolled: 4-line block ×6, first 2 shown]
	v_lshl_add_u64 v[48:49], s[4:5], 1, v[2:3]
	s_cselect_b32 s4, s11, 0x1f80
	s_ashr_i32 s5, s4, 31
	v_lshl_add_u64 v[50:51], s[4:5], 1, v[2:3]
	global_load_ushort v84, v[36:37], off
	global_load_ushort v85, v[38:39], off
	;; [unrolled: 1-line block ×8, first 2 shown]
	s_waitcnt vmcnt(31)
	v_cvt_f32_f16_e32 v67, v52
	s_waitcnt vmcnt(30)
	v_cvt_f32_f16_e32 v66, v53
	;; [unrolled: 2-line block ×32, first 2 shown]
.LBB225_12:
	ds_read_b128 v[68:71], v1
	s_load_dwordx2 s[4:5], s[0:1], 0x0
	s_load_dwordx2 s[6:7], s[0:1], 0x38
	ds_read_b128 v[72:75], v1 offset:16
	ds_read_b128 v[76:79], v1 offset:32
	;; [unrolled: 1-line block ×3, first 2 shown]
	s_and_b64 vcc, exec, s[8:9]
	s_waitcnt vmcnt(15) lgkmcnt(0)
	v_fma_mix_f32 v4, v68, v4, 0 op_sel_hi:[0,1,0]
	s_waitcnt vmcnt(14)
	v_fma_mix_f32 v4, v69, v5, v4 op_sel_hi:[0,1,0]
	s_waitcnt vmcnt(13)
	;; [unrolled: 2-line block ×15, first 2 shown]
	v_fma_mix_f32 v4, v83, v19, v4 op_sel_hi:[0,1,0]
	s_cbranch_vccz .LBB225_15
; %bb.13:
	ds_read_b128 v[6:9], v1 offset:64
	ds_read_b128 v[10:13], v1 offset:80
	;; [unrolled: 1-line block ×4, first 2 shown]
	s_cmpk_lt_u32 s56, 0x2001
	s_waitcnt lgkmcnt(3)
	v_fma_mix_f32 v4, v6, v27, v4 op_sel_hi:[0,1,0]
	v_fma_mix_f32 v4, v7, v26, v4 op_sel_hi:[0,1,0]
	v_fma_mix_f32 v4, v8, v25, v4 op_sel_hi:[0,1,0]
	v_fma_mix_f32 v4, v9, v24, v4 op_sel_hi:[0,1,0]
	s_waitcnt lgkmcnt(2)
	v_fma_mix_f32 v4, v10, v23, v4 op_sel_hi:[0,1,0]
	v_fma_mix_f32 v4, v11, v22, v4 op_sel_hi:[0,1,0]
	v_fma_mix_f32 v4, v12, v21, v4 op_sel_hi:[0,1,0]
	v_fma_mix_f32 v4, v13, v20, v4 op_sel_hi:[0,1,0]
	;; [unrolled: 5-line block ×4, first 2 shown]
	s_cbranch_scc1 .LBB225_15
; %bb.14:
	v_mov_b32_e32 v5, 0
	ds_read_b128 v[6:9], v5 offset:128
	ds_read_b128 v[10:13], v5 offset:144
	ds_read_b128 v[14:17], v5 offset:160
	ds_read_b128 v[18:21], v5 offset:176
	s_waitcnt lgkmcnt(3)
	v_fmac_f32_e32 v4, v6, v67
	v_fmac_f32_e32 v4, v7, v66
	v_fmac_f32_e32 v4, v8, v65
	v_fmac_f32_e32 v4, v9, v64
	s_waitcnt lgkmcnt(2)
	v_fmac_f32_e32 v4, v10, v63
	v_fmac_f32_e32 v4, v11, v62
	v_fmac_f32_e32 v4, v12, v61
	v_fmac_f32_e32 v4, v13, v60
	;; [unrolled: 5-line block ×3, first 2 shown]
	ds_read_b128 v[6:9], v5 offset:192
	ds_read_b128 v[10:13], v5 offset:208
	s_waitcnt lgkmcnt(2)
	v_fmac_f32_e32 v4, v18, v55
	v_fmac_f32_e32 v4, v19, v54
	;; [unrolled: 1-line block ×4, first 2 shown]
	s_waitcnt lgkmcnt(1)
	v_fmac_f32_e32 v4, v6, v51
	v_fmac_f32_e32 v4, v7, v50
	;; [unrolled: 1-line block ×4, first 2 shown]
	ds_read_b128 v[6:9], v5 offset:224
	s_waitcnt lgkmcnt(1)
	v_fmac_f32_e32 v4, v10, v47
	v_fmac_f32_e32 v4, v11, v46
	;; [unrolled: 1-line block ×4, first 2 shown]
	ds_read_b128 v[10:13], v5 offset:240
	s_waitcnt lgkmcnt(1)
	v_fmac_f32_e32 v4, v6, v43
	v_fmac_f32_e32 v4, v7, v42
	;; [unrolled: 1-line block ×4, first 2 shown]
	s_waitcnt lgkmcnt(0)
	v_fmac_f32_e32 v4, v10, v39
	v_fmac_f32_e32 v4, v11, v38
	;; [unrolled: 1-line block ×4, first 2 shown]
.LBB225_15:
	s_movk_i32 s0, 0x3f80
	s_movk_i32 s1, 0x100
	s_mov_b32 s8, 64
	s_branch .LBB225_17
.LBB225_16:                             ;   in Loop: Header=BB225_17 Depth=1
	s_addk_i32 s0, 0x2000
	s_addk_i32 s1, 0x100
	s_add_i32 s8, s8, 64
	s_cmp_eq_u32 s0, 0x1df80
	s_cbranch_scc1 .LBB225_19
.LBB225_17:                             ; =>This Inner Loop Header: Depth=1
	s_cmp_le_i32 s33, s8
	s_cbranch_scc1 .LBB225_16
; %bb.18:                               ;   in Loop: Header=BB225_17 Depth=1
	s_add_i32 s9, s0, 0xffffe080
	s_cmp_lt_i32 s9, s10
	s_cselect_b32 s12, s9, s11
	s_ashr_i32 s13, s12, 31
	s_add_i32 s9, s0, 0xffffe100
	s_cmp_lt_i32 s9, s10
	v_lshl_add_u64 v[14:15], s[12:13], 1, v[2:3]
	s_cselect_b32 s12, s9, s11
	s_ashr_i32 s13, s12, 31
	s_add_i32 s9, s0, 0xffffe180
	s_cmp_lt_i32 s9, s10
	v_lshl_add_u64 v[16:17], s[12:13], 1, v[2:3]
	;; [unrolled: 5-line block ×8, first 2 shown]
	s_cselect_b32 s12, s9, s11
	s_ashr_i32 s13, s12, 31
	s_add_i32 s9, s0, 0xffffe500
	s_cmp_lt_i32 s9, s10
	global_load_ushort v5, v[14:15], off
	global_load_ushort v6, v[16:17], off
	global_load_ushort v7, v[18:19], off
	global_load_ushort v8, v[20:21], off
	global_load_ushort v9, v[22:23], off
	global_load_ushort v10, v[24:25], off
	global_load_ushort v11, v[26:27], off
	global_load_ushort v12, v[28:29], off
	v_lshl_add_u64 v[14:15], s[12:13], 1, v[2:3]
	s_cselect_b32 s12, s9, s11
	s_ashr_i32 s13, s12, 31
	s_add_i32 s9, s0, 0xffffe580
	s_cmp_lt_i32 s9, s10
	v_lshl_add_u64 v[16:17], s[12:13], 1, v[2:3]
	s_cselect_b32 s12, s9, s11
	s_ashr_i32 s13, s12, 31
	s_add_i32 s9, s0, 0xffffe600
	s_cmp_lt_i32 s9, s10
	v_lshl_add_u64 v[18:19], s[12:13], 1, v[2:3]
	s_cselect_b32 s12, s9, s11
	s_ashr_i32 s13, s12, 31
	s_add_i32 s9, s0, 0xffffe680
	s_cmp_lt_i32 s9, s10
	v_lshl_add_u64 v[20:21], s[12:13], 1, v[2:3]
	s_cselect_b32 s12, s9, s11
	s_ashr_i32 s13, s12, 31
	s_add_i32 s9, s0, 0xffffe700
	s_cmp_lt_i32 s9, s10
	v_lshl_add_u64 v[22:23], s[12:13], 1, v[2:3]
	s_cselect_b32 s12, s9, s11
	s_ashr_i32 s13, s12, 31
	s_add_i32 s9, s0, 0xffffe780
	s_cmp_lt_i32 s9, s10
	v_lshl_add_u64 v[24:25], s[12:13], 1, v[2:3]
	s_cselect_b32 s12, s9, s11
	s_ashr_i32 s13, s12, 31
	s_add_i32 s9, s0, 0xffffe800
	s_cmp_lt_i32 s9, s10
	v_lshl_add_u64 v[26:27], s[12:13], 1, v[2:3]
	s_cselect_b32 s12, s9, s11
	s_ashr_i32 s13, s12, 31
	s_add_i32 s9, s0, 0xffffe880
	s_cmp_lt_i32 s9, s10
	v_lshl_add_u64 v[28:29], s[12:13], 1, v[2:3]
	s_cselect_b32 s12, s9, s11
	s_ashr_i32 s13, s12, 31
	s_add_i32 s9, s0, 0xffffe900
	s_cmp_lt_i32 s9, s10
	global_load_ushort v13, v[14:15], off
	global_load_ushort v30, v[16:17], off
	global_load_ushort v31, v[18:19], off
	global_load_ushort v32, v[20:21], off
	global_load_ushort v33, v[22:23], off
	global_load_ushort v34, v[24:25], off
	global_load_ushort v35, v[26:27], off
	global_load_ushort v36, v[28:29], off
	v_lshl_add_u64 v[14:15], s[12:13], 1, v[2:3]
	s_cselect_b32 s12, s9, s11
	s_ashr_i32 s13, s12, 31
	s_add_i32 s9, s0, 0xffffe980
	s_cmp_lt_i32 s9, s10
	v_lshl_add_u64 v[16:17], s[12:13], 1, v[2:3]
	s_cselect_b32 s12, s9, s11
	s_ashr_i32 s13, s12, 31
	s_add_i32 s9, s0, 0xffffea00
	s_cmp_lt_i32 s9, s10
	v_lshl_add_u64 v[18:19], s[12:13], 1, v[2:3]
	s_cselect_b32 s12, s9, s11
	s_ashr_i32 s13, s12, 31
	s_add_i32 s9, s0, 0xffffea80
	s_cmp_lt_i32 s9, s10
	v_lshl_add_u64 v[20:21], s[12:13], 1, v[2:3]
	s_cselect_b32 s12, s9, s11
	s_ashr_i32 s13, s12, 31
	s_add_i32 s9, s0, 0xffffeb00
	s_cmp_lt_i32 s9, s10
	v_lshl_add_u64 v[22:23], s[12:13], 1, v[2:3]
	s_cselect_b32 s12, s9, s11
	s_ashr_i32 s13, s12, 31
	s_add_i32 s9, s0, 0xffffeb80
	s_cmp_lt_i32 s9, s10
	v_lshl_add_u64 v[24:25], s[12:13], 1, v[2:3]
	s_cselect_b32 s12, s9, s11
	s_ashr_i32 s13, s12, 31
	s_add_i32 s9, s0, 0xffffec00
	s_cmp_lt_i32 s9, s10
	v_lshl_add_u64 v[26:27], s[12:13], 1, v[2:3]
	s_cselect_b32 s12, s9, s11
	s_ashr_i32 s13, s12, 31
	s_add_i32 s9, s0, 0xffffec80
	s_cmp_lt_i32 s9, s10
	v_lshl_add_u64 v[28:29], s[12:13], 1, v[2:3]
	;; [unrolled: 48-line block ×6, first 2 shown]
	s_cselect_b32 s12, s9, s11
	s_ashr_i32 s13, s12, 31
	s_add_i32 s9, s0, 0xfffffd00
	s_cmp_lt_i32 s9, s10
	global_load_ushort v69, v[14:15], off
	global_load_ushort v70, v[16:17], off
	;; [unrolled: 1-line block ×8, first 2 shown]
	v_lshl_add_u64 v[14:15], s[12:13], 1, v[2:3]
	s_cselect_b32 s12, s9, s11
	s_ashr_i32 s13, s12, 31
	s_add_i32 s9, s0, 0xfffffd80
	s_cmp_lt_i32 s9, s10
	v_lshl_add_u64 v[16:17], s[12:13], 1, v[2:3]
	s_cselect_b32 s12, s9, s11
	s_ashr_i32 s13, s12, 31
	s_add_i32 s9, s0, 0xfffffe00
	s_cmp_lt_i32 s9, s10
	;; [unrolled: 5-line block ×5, first 2 shown]
	v_lshl_add_u64 v[24:25], s[12:13], 1, v[2:3]
	s_cselect_b32 s12, s9, s11
	s_ashr_i32 s13, s12, 31
	s_cmp_lt_i32 s0, s10
	v_lshl_add_u64 v[26:27], s[12:13], 1, v[2:3]
	s_cselect_b32 s12, s0, s11
	s_ashr_i32 s13, s12, 31
	v_lshl_add_u64 v[28:29], s[12:13], 1, v[2:3]
	global_load_ushort v77, v[14:15], off
	global_load_ushort v78, v[16:17], off
	;; [unrolled: 1-line block ×8, first 2 shown]
	v_mov_b32_e32 v85, s1
	ds_read_b128 v[14:17], v85
	ds_read_b128 v[18:21], v85 offset:16
	ds_read_b128 v[22:25], v85 offset:32
	;; [unrolled: 1-line block ×3, first 2 shown]
	s_waitcnt vmcnt(62) lgkmcnt(3)
	v_fma_mix_f32 v4, v14, v5, v4 op_sel_hi:[0,1,0]
	v_fma_mix_f32 v4, v15, v6, v4 op_sel_hi:[0,1,0]
	s_waitcnt vmcnt(61)
	v_fma_mix_f32 v4, v16, v7, v4 op_sel_hi:[0,1,0]
	s_waitcnt vmcnt(60)
	v_fma_mix_f32 v4, v17, v8, v4 op_sel_hi:[0,1,0]
	s_waitcnt vmcnt(59) lgkmcnt(2)
	v_fma_mix_f32 v4, v18, v9, v4 op_sel_hi:[0,1,0]
	s_waitcnt vmcnt(58)
	v_fma_mix_f32 v4, v19, v10, v4 op_sel_hi:[0,1,0]
	s_waitcnt vmcnt(57)
	v_fma_mix_f32 v4, v20, v11, v4 op_sel_hi:[0,1,0]
	s_waitcnt vmcnt(56)
	v_fma_mix_f32 v4, v21, v12, v4 op_sel_hi:[0,1,0]
	s_waitcnt vmcnt(55) lgkmcnt(1)
	v_fma_mix_f32 v4, v22, v13, v4 op_sel_hi:[0,1,0]
	s_waitcnt vmcnt(54)
	v_fma_mix_f32 v4, v23, v30, v4 op_sel_hi:[0,1,0]
	s_waitcnt vmcnt(53)
	v_fma_mix_f32 v4, v24, v31, v4 op_sel_hi:[0,1,0]
	s_waitcnt vmcnt(52)
	v_fma_mix_f32 v4, v25, v32, v4 op_sel_hi:[0,1,0]
	s_waitcnt vmcnt(51) lgkmcnt(0)
	v_fma_mix_f32 v8, v26, v33, v4 op_sel_hi:[0,1,0]
	ds_read_b128 v[4:7], v85 offset:64
	s_waitcnt vmcnt(50)
	v_fma_mix_f32 v8, v27, v34, v8 op_sel_hi:[0,1,0]
	s_waitcnt vmcnt(49)
	v_fma_mix_f32 v8, v28, v35, v8 op_sel_hi:[0,1,0]
	s_waitcnt vmcnt(48)
	v_fma_mix_f32 v12, v29, v36, v8 op_sel_hi:[0,1,0]
	ds_read_b128 v[8:11], v85 offset:80
	s_waitcnt vmcnt(47) lgkmcnt(1)
	v_fma_mix_f32 v4, v4, v37, v12 op_sel_hi:[0,1,0]
	s_waitcnt vmcnt(46)
	v_fma_mix_f32 v4, v5, v38, v4 op_sel_hi:[0,1,0]
	s_waitcnt vmcnt(45)
	v_fma_mix_f32 v4, v6, v39, v4 op_sel_hi:[0,1,0]
	s_waitcnt vmcnt(44)
	v_fma_mix_f32 v4, v7, v40, v4 op_sel_hi:[0,1,0]
	s_waitcnt vmcnt(43) lgkmcnt(0)
	v_fma_mix_f32 v8, v8, v41, v4 op_sel_hi:[0,1,0]
	ds_read_b128 v[4:7], v85 offset:96
	s_waitcnt vmcnt(42)
	v_fma_mix_f32 v8, v9, v42, v8 op_sel_hi:[0,1,0]
	s_waitcnt vmcnt(41)
	v_fma_mix_f32 v8, v10, v43, v8 op_sel_hi:[0,1,0]
	s_waitcnt vmcnt(40)
	v_fma_mix_f32 v12, v11, v44, v8 op_sel_hi:[0,1,0]
	ds_read_b128 v[8:11], v85 offset:112
	;; [unrolled: 18-line block ×6, first 2 shown]
	s_waitcnt vmcnt(7) lgkmcnt(1)
	v_fma_mix_f32 v4, v4, v77, v12 op_sel_hi:[0,1,0]
	s_waitcnt vmcnt(6)
	v_fma_mix_f32 v4, v5, v78, v4 op_sel_hi:[0,1,0]
	s_waitcnt vmcnt(5)
	;; [unrolled: 2-line block ×3, first 2 shown]
	v_fma_mix_f32 v4, v7, v80, v4 op_sel_hi:[0,1,0]
	s_waitcnt vmcnt(3) lgkmcnt(0)
	v_fma_mix_f32 v4, v8, v81, v4 op_sel_hi:[0,1,0]
	s_waitcnt vmcnt(2)
	v_fma_mix_f32 v4, v9, v82, v4 op_sel_hi:[0,1,0]
	s_waitcnt vmcnt(1)
	;; [unrolled: 2-line block ×3, first 2 shown]
	v_fma_mix_f32 v4, v11, v84, v4 op_sel_hi:[0,1,0]
	s_branch .LBB225_16
.LBB225_19:
	v_mov_b32_e32 v2, 0
	ds_read_b32 v2, v2 offset:3584
	s_cmp_lg_u64 s[6:7], 0
	s_cbranch_scc0 .LBB225_24
; %bb.20:
	s_load_dword s6, s[6:7], 0x0
	s_waitcnt lgkmcnt(0)
	v_div_scale_f32 v3, s[0:1], s6, s6, 1.0
	v_rcp_f32_e32 v5, v3
	v_div_scale_f32 v6, vcc, 1.0, s6, 1.0
	v_fma_f32 v7, -v3, v5, 1.0
	v_fmac_f32_e32 v5, v7, v5
	v_mul_f32_e32 v7, v6, v5
	v_fma_f32 v8, -v3, v7, v6
	v_fmac_f32_e32 v7, v8, v5
	v_fma_f32 v3, -v3, v7, v6
	v_div_fmas_f32 v3, v3, v5, v7
	v_div_fixup_f32 v3, v3, s6, 1.0
	s_andn2_b64 vcc, exec, s[46:47]
	s_cbranch_vccnz .LBB225_22
.LBB225_21:
	s_add_u32 s0, s44, s48
	s_addc_u32 s1, s45, s49
	s_load_dword s34, s[0:1], 0x0
	s_mov_b32 s35, 0
.LBB225_22:
	s_waitcnt lgkmcnt(0)
	v_add_f32_e32 v2, 0x358637bd, v2
	v_div_scale_f32 v5, s[0:1], v2, v2, 1.0
	v_rcp_f32_e32 v6, v5
	v_div_scale_f32 v7, vcc, 1.0, v2, 1.0
	s_mul_i32 s0, s3, s35
	v_fma_f32 v8, -v5, v6, 1.0
	v_fmac_f32_e32 v6, v8, v6
	v_mul_f32_e32 v8, v7, v6
	v_fma_f32 v9, -v5, v8, v7
	v_fmac_f32_e32 v8, v9, v6
	v_fma_f32 v5, -v5, v8, v7
	s_mul_hi_u32 s1, s3, s34
	v_div_fmas_f32 v5, v5, v6, v8
	s_add_i32 s1, s1, s0
	s_mul_i32 s0, s3, s34
	v_div_fixup_f32 v2, v5, v2, 1.0
	s_lshl_b64 s[0:1], s[0:1], 7
	v_mul_f32_e32 v2, v4, v2
	s_add_u32 s4, s4, s0
	s_mov_b32 s3, 0
	v_mul_f32_e32 v2, v2, v3
	s_addc_u32 s5, s5, s1
	s_lshl_b64 s[0:1], s[2:3], 7
	s_mov_b32 s2, 0x7f800000
	s_mov_b32 s3, 0x43700000
	v_mov_b32_e32 v3, 0xc3700000
	v_med3_f32 v3, v2, s3, v3
	v_cmp_nlg_f32_e64 vcc, |v2|, s2
	s_add_u32 s0, s4, s0
	s_addc_u32 s1, s5, s1
	v_cndmask_b32_e32 v2, v3, v2, vcc
	v_mov_b32_e32 v3, 0
	v_cvt_pk_fp8_f32 v3, v2, v2
	v_lshl_add_u64 v[0:1], s[0:1], 0, v[0:1]
	global_store_byte v[0:1], v3, off
	s_endpgm
.LBB225_23:
	s_mov_b64 s[6:7], 0
	s_branch .LBB225_2
.LBB225_24:
	v_mov_b32_e32 v3, 1.0
	s_andn2_b64 vcc, exec, s[46:47]
	s_cbranch_vccz .LBB225_21
	s_branch .LBB225_22
	.section	.rodata,"a",@progbits
	.p2align	6, 0x0
	.amdhsa_kernel _Z35paged_attention_ll4mi_reduce_kernelIDF16_hLi128ELi128ELi256ELi14EEvPT0_PKfS3_PKT_PKiS8_iS3_
		.amdhsa_group_segment_fixed_size 3588
		.amdhsa_private_segment_fixed_size 0
		.amdhsa_kernarg_size 320
		.amdhsa_user_sgpr_count 2
		.amdhsa_user_sgpr_dispatch_ptr 0
		.amdhsa_user_sgpr_queue_ptr 0
		.amdhsa_user_sgpr_kernarg_segment_ptr 1
		.amdhsa_user_sgpr_dispatch_id 0
		.amdhsa_user_sgpr_kernarg_preload_length 0
		.amdhsa_user_sgpr_kernarg_preload_offset 0
		.amdhsa_user_sgpr_private_segment_size 0
		.amdhsa_uses_dynamic_stack 0
		.amdhsa_enable_private_segment 0
		.amdhsa_system_sgpr_workgroup_id_x 1
		.amdhsa_system_sgpr_workgroup_id_y 1
		.amdhsa_system_sgpr_workgroup_id_z 0
		.amdhsa_system_sgpr_workgroup_info 0
		.amdhsa_system_vgpr_workitem_id 0
		.amdhsa_next_free_vgpr 92
		.amdhsa_next_free_sgpr 57
		.amdhsa_accum_offset 92
		.amdhsa_reserve_vcc 1
		.amdhsa_float_round_mode_32 0
		.amdhsa_float_round_mode_16_64 0
		.amdhsa_float_denorm_mode_32 3
		.amdhsa_float_denorm_mode_16_64 3
		.amdhsa_dx10_clamp 1
		.amdhsa_ieee_mode 1
		.amdhsa_fp16_overflow 0
		.amdhsa_tg_split 0
		.amdhsa_exception_fp_ieee_invalid_op 0
		.amdhsa_exception_fp_denorm_src 0
		.amdhsa_exception_fp_ieee_div_zero 0
		.amdhsa_exception_fp_ieee_overflow 0
		.amdhsa_exception_fp_ieee_underflow 0
		.amdhsa_exception_fp_ieee_inexact 0
		.amdhsa_exception_int_div_zero 0
	.end_amdhsa_kernel
	.section	.text._Z35paged_attention_ll4mi_reduce_kernelIDF16_hLi128ELi128ELi256ELi14EEvPT0_PKfS3_PKT_PKiS8_iS3_,"axG",@progbits,_Z35paged_attention_ll4mi_reduce_kernelIDF16_hLi128ELi128ELi256ELi14EEvPT0_PKfS3_PKT_PKiS8_iS3_,comdat
.Lfunc_end225:
	.size	_Z35paged_attention_ll4mi_reduce_kernelIDF16_hLi128ELi128ELi256ELi14EEvPT0_PKfS3_PKT_PKiS8_iS3_, .Lfunc_end225-_Z35paged_attention_ll4mi_reduce_kernelIDF16_hLi128ELi128ELi256ELi14EEvPT0_PKfS3_PKT_PKiS8_iS3_
                                        ; -- End function
	.section	.AMDGPU.csdata,"",@progbits
; Kernel info:
; codeLenInByte = 10400
; NumSgprs: 63
; NumVgprs: 92
; NumAgprs: 0
; TotalNumVgprs: 92
; ScratchSize: 0
; MemoryBound: 0
; FloatMode: 240
; IeeeMode: 1
; LDSByteSize: 3588 bytes/workgroup (compile time only)
; SGPRBlocks: 7
; VGPRBlocks: 11
; NumSGPRsForWavesPerEU: 63
; NumVGPRsForWavesPerEU: 92
; AccumOffset: 92
; Occupancy: 5
; WaveLimiterHint : 1
; COMPUTE_PGM_RSRC2:SCRATCH_EN: 0
; COMPUTE_PGM_RSRC2:USER_SGPR: 2
; COMPUTE_PGM_RSRC2:TRAP_HANDLER: 0
; COMPUTE_PGM_RSRC2:TGID_X_EN: 1
; COMPUTE_PGM_RSRC2:TGID_Y_EN: 1
; COMPUTE_PGM_RSRC2:TGID_Z_EN: 0
; COMPUTE_PGM_RSRC2:TIDIG_COMP_CNT: 0
; COMPUTE_PGM_RSRC3_GFX90A:ACCUM_OFFSET: 22
; COMPUTE_PGM_RSRC3_GFX90A:TG_SPLIT: 0
	.section	.text._Z35paged_attention_ll4mi_reduce_kernelIDF16_hLi128ELi128ELi256ELi15EEvPT0_PKfS3_PKT_PKiS8_iS3_,"axG",@progbits,_Z35paged_attention_ll4mi_reduce_kernelIDF16_hLi128ELi128ELi256ELi15EEvPT0_PKfS3_PKT_PKiS8_iS3_,comdat
	.protected	_Z35paged_attention_ll4mi_reduce_kernelIDF16_hLi128ELi128ELi256ELi15EEvPT0_PKfS3_PKT_PKiS8_iS3_ ; -- Begin function _Z35paged_attention_ll4mi_reduce_kernelIDF16_hLi128ELi128ELi256ELi15EEvPT0_PKfS3_PKT_PKiS8_iS3_
	.globl	_Z35paged_attention_ll4mi_reduce_kernelIDF16_hLi128ELi128ELi256ELi15EEvPT0_PKfS3_PKT_PKiS8_iS3_
	.p2align	8
	.type	_Z35paged_attention_ll4mi_reduce_kernelIDF16_hLi128ELi128ELi256ELi15EEvPT0_PKfS3_PKT_PKiS8_iS3_,@function
_Z35paged_attention_ll4mi_reduce_kernelIDF16_hLi128ELi128ELi256ELi15EEvPT0_PKfS3_PKT_PKiS8_iS3_: ; @_Z35paged_attention_ll4mi_reduce_kernelIDF16_hLi128ELi128ELi256ELi15EEvPT0_PKfS3_PKT_PKiS8_iS3_
; %bb.0:
	s_load_dwordx2 s[46:47], s[0:1], 0x28
	s_mov_b32 s44, s3
	s_mov_b64 s[4:5], 0
	s_waitcnt lgkmcnt(0)
	s_cmp_lg_u64 s[46:47], 0
	s_cselect_b64 s[48:49], -1, 0
	s_and_b64 vcc, exec, s[48:49]
	s_cbranch_vccz .LBB226_23
; %bb.1:
	s_add_i32 s6, s44, 1
	s_mov_b32 s7, 0
	s_lshl_b64 s[8:9], s[6:7], 2
	s_add_u32 s8, s46, s8
	s_mov_b32 s45, s7
	s_addc_u32 s9, s47, s9
	s_lshl_b64 s[6:7], s[44:45], 2
	s_add_u32 s6, s46, s6
	s_addc_u32 s7, s47, s7
	s_load_dword s3, s[8:9], 0x0
	s_load_dword s10, s[6:7], 0x0
	s_waitcnt lgkmcnt(0)
	s_sub_i32 s3, s3, s10
	s_cmp_eq_u32 s3, 1
	s_cselect_b64 s[6:7], -1, 0
	s_andn2_b64 vcc, exec, s[4:5]
	s_cbranch_vccnz .LBB226_3
.LBB226_2:
	s_mov_b32 s45, 0
	s_mov_b64 s[6:7], -1
.LBB226_3:
	s_andn2_b64 vcc, exec, s[6:7]
	s_cbranch_vccz .LBB226_5
; %bb.4:
	s_endpgm
.LBB226_5:
	s_load_dwordx4 s[36:39], s[0:1], 0x18
	s_load_dword s8, s[0:1], 0x30
	s_lshl_b64 s[50:51], s[44:45], 2
	v_cmp_lt_u32_e32 vcc, 63, v0
	s_waitcnt lgkmcnt(0)
	s_add_u32 s4, s38, s50
	s_addc_u32 s5, s39, s51
	s_load_dword s58, s[4:5], 0x0
	s_load_dword s3, s[0:1], 0x40
	s_mul_i32 s38, s2, s8
	s_mul_i32 s6, s44, s8
	s_waitcnt lgkmcnt(0)
	s_add_i32 s7, s58, 0xff
	s_ashr_i32 s4, s7, 31
	s_lshr_b32 s4, s4, 24
	s_add_i32 s7, s7, s4
	s_and_saveexec_b64 s[4:5], vcc
	s_xor_b64 s[4:5], exec, s[4:5]
	s_or_saveexec_b64 s[52:53], s[4:5]
	s_ashr_i32 s33, s7, 8
	v_mov_b32_e32 v1, s38
	s_mul_i32 s54, s6, s3
	s_xor_b64 exec, exec, s[52:53]
	s_cbranch_execz .LBB226_9
; %bb.6:
	s_add_i32 s4, s33, -1
	v_or_b32_e32 v3, 64, v0
	v_mov_b32_e32 v1, s4
	v_cmp_gt_u32_e64 s[28:29], s33, v3
	s_load_dwordx4 s[40:43], s[0:1], 0x8
	s_mov_b32 s55, 0
	v_cndmask_b32_e64 v4, v1, v3, s[28:29]
	v_or_b32_e32 v3, 0x80, v0
	v_cmp_gt_u32_e64 s[26:27], s33, v3
	s_lshl_b64 s[56:57], s[54:55], 2
	s_mov_b32 s39, s55
	v_cndmask_b32_e64 v6, v1, v3, s[26:27]
	v_or_b32_e32 v3, 0xc0, v0
	v_cmp_gt_u32_e64 s[24:25], s33, v3
	v_cmp_gt_u32_e64 s[30:31], s33, v0
	s_waitcnt lgkmcnt(0)
	s_add_u32 s34, s42, s56
	v_cndmask_b32_e64 v8, v1, v3, s[24:25]
	v_or_b32_e32 v3, 0x100, v0
	v_cmp_gt_u32_e64 s[22:23], s33, v3
	v_cndmask_b32_e64 v2, v1, v0, s[30:31]
	s_addc_u32 s35, s43, s57
	v_cndmask_b32_e64 v10, v1, v3, s[22:23]
	v_or_b32_e32 v3, 0x140, v0
	v_cmp_gt_u32_e64 s[20:21], s33, v3
	s_lshl_b64 s[42:43], s[38:39], 2
	s_add_u32 s34, s34, s42
	v_cndmask_b32_e64 v12, v1, v3, s[20:21]
	v_or_b32_e32 v3, 0x180, v0
	v_cmp_gt_u32_e64 s[18:19], s33, v3
	s_addc_u32 s35, s35, s43
	v_ashrrev_i32_e32 v5, 31, v4
	v_cndmask_b32_e64 v14, v1, v3, s[18:19]
	v_or_b32_e32 v3, 0x1c0, v0
	v_cmp_gt_u32_e64 s[16:17], s33, v3
	v_ashrrev_i32_e32 v7, 31, v6
	v_ashrrev_i32_e32 v9, 31, v8
	v_cndmask_b32_e64 v16, v1, v3, s[16:17]
	v_or_b32_e32 v3, 0x200, v0
	v_cmp_gt_u32_e64 s[14:15], s33, v3
	v_ashrrev_i32_e32 v17, 31, v16
	;; [unrolled: 5-line block ×3, first 2 shown]
	v_ashrrev_i32_e32 v15, 31, v14
	v_cndmask_b32_e64 v20, v1, v3, s[12:13]
	v_or_b32_e32 v3, 0x280, v0
	v_cmp_gt_u32_e64 s[10:11], s33, v3
	v_lshlrev_b64 v[16:17], 2, v[16:17]
	v_lshlrev_b64 v[4:5], 2, v[4:5]
	v_cndmask_b32_e64 v22, v1, v3, s[10:11]
	v_or_b32_e32 v3, 0x2c0, v0
	v_cmp_gt_u32_e64 s[8:9], s33, v3
	v_lshlrev_b64 v[6:7], 2, v[6:7]
	v_lshlrev_b64 v[8:9], 2, v[8:9]
	;; [unrolled: 5-line block ×3, first 2 shown]
	v_cndmask_b32_e64 v26, v1, v3, s[6:7]
	v_or_b32_e32 v3, 0x340, v0
	v_cmp_gt_u32_e64 s[4:5], s33, v3
	v_lshlrev_b64 v[14:15], 2, v[14:15]
	v_lshl_add_u64 v[46:47], s[34:35], 0, v[16:17]
	v_cndmask_b32_e64 v28, v1, v3, s[4:5]
	v_or_b32_e32 v3, 0x380, v0
	v_cmp_gt_u32_e32 vcc, s33, v3
	v_lshl_add_u64 v[34:35], s[34:35], 0, v[4:5]
	v_lshl_add_u64 v[36:37], s[34:35], 0, v[6:7]
	v_cndmask_b32_e32 v30, v1, v3, vcc
	v_ashrrev_i32_e32 v3, 31, v2
	v_lshlrev_b64 v[2:3], 2, v[2:3]
	v_lshl_add_u64 v[32:33], s[34:35], 0, v[2:3]
	v_lshl_add_u64 v[38:39], s[34:35], 0, v[8:9]
	;; [unrolled: 1-line block ×5, first 2 shown]
	global_load_dword v1, v[32:33], off
	global_load_dword v48, v[34:35], off
	;; [unrolled: 1-line block ×7, first 2 shown]
	s_nop 0
	global_load_dword v46, v[46:47], off
	v_ashrrev_i32_e32 v19, 31, v18
	v_ashrrev_i32_e32 v21, 31, v20
	;; [unrolled: 1-line block ×4, first 2 shown]
	v_lshlrev_b64 v[18:19], 2, v[18:19]
	v_lshlrev_b64 v[20:21], 2, v[20:21]
	;; [unrolled: 1-line block ×4, first 2 shown]
	v_ashrrev_i32_e32 v27, 31, v26
	v_ashrrev_i32_e32 v29, 31, v28
	v_ashrrev_i32_e32 v31, 31, v30
	v_lshl_add_u64 v[32:33], s[34:35], 0, v[18:19]
	v_lshl_add_u64 v[34:35], s[34:35], 0, v[20:21]
	;; [unrolled: 1-line block ×4, first 2 shown]
	v_lshlrev_b64 v[26:27], 2, v[26:27]
	v_lshlrev_b64 v[28:29], 2, v[28:29]
	;; [unrolled: 1-line block ×3, first 2 shown]
	v_lshl_add_u64 v[40:41], s[34:35], 0, v[26:27]
	v_lshl_add_u64 v[42:43], s[34:35], 0, v[28:29]
	;; [unrolled: 1-line block ×3, first 2 shown]
	global_load_dword v32, v[32:33], off
	s_nop 0
	global_load_dword v33, v[34:35], off
	s_nop 0
	global_load_dword v34, v[36:37], off
	global_load_dword v35, v[38:39], off
	s_nop 0
	global_load_dword v36, v[40:41], off
	global_load_dword v37, v[42:43], off
	;; [unrolled: 1-line block ×3, first 2 shown]
	v_mbcnt_lo_u32_b32 v40, -1, 0
	v_mbcnt_hi_u32_b32 v40, -1, v40
	v_and_b32_e32 v41, 64, v40
	v_add_u32_e32 v41, 64, v41
	v_xor_b32_e32 v42, 32, v40
	v_cmp_lt_i32_e64 s[34:35], v42, v41
	s_mov_b32 s39, 0x3fb8aa3b
	s_waitcnt vmcnt(12)
	v_max3_f32 v39, v1, v48, v49
	v_cndmask_b32_e64 v42, v40, v42, s[34:35]
	s_waitcnt vmcnt(10)
	v_max3_f32 v39, v39, v50, v51
	v_lshlrev_b32_e32 v42, 2, v42
	s_waitcnt vmcnt(8)
	v_max3_f32 v39, v39, v52, v53
	s_waitcnt vmcnt(6)
	v_max3_f32 v39, v39, v46, v32
	;; [unrolled: 2-line block ×5, first 2 shown]
	ds_bpermute_b32 v43, v42, v39
	s_waitcnt lgkmcnt(0)
	v_max_f32_e32 v43, v43, v43
	v_max_f32_e32 v39, v39, v43
	v_xor_b32_e32 v43, 16, v40
	v_cmp_lt_i32_e64 s[34:35], v43, v41
	s_nop 1
	v_cndmask_b32_e64 v43, v40, v43, s[34:35]
	v_lshlrev_b32_e32 v43, 2, v43
	ds_bpermute_b32 v44, v43, v39
	s_waitcnt lgkmcnt(0)
	v_max_f32_e32 v44, v44, v44
	v_max_f32_e32 v39, v39, v44
	v_xor_b32_e32 v44, 8, v40
	v_cmp_lt_i32_e64 s[34:35], v44, v41
	s_nop 1
	v_cndmask_b32_e64 v44, v40, v44, s[34:35]
	v_lshlrev_b32_e32 v44, 2, v44
	ds_bpermute_b32 v45, v44, v39
	s_waitcnt lgkmcnt(0)
	v_max_f32_e32 v45, v45, v45
	v_max_f32_e32 v39, v39, v45
	v_xor_b32_e32 v45, 4, v40
	v_cmp_lt_i32_e64 s[34:35], v45, v41
	s_nop 1
	v_cndmask_b32_e64 v45, v40, v45, s[34:35]
	s_add_u32 s34, s40, s56
	s_addc_u32 s35, s41, s57
	s_add_u32 s40, s34, s42
	s_addc_u32 s41, s35, s43
	v_lshlrev_b32_e32 v45, 2, v45
	v_lshl_add_u64 v[2:3], s[40:41], 0, v[2:3]
	global_load_dword v47, v[2:3], off
	ds_bpermute_b32 v2, v45, v39
	s_waitcnt lgkmcnt(0)
	v_max_f32_e32 v2, v2, v2
	v_max_f32_e32 v39, v39, v2
	v_xor_b32_e32 v2, 2, v40
	v_cmp_lt_i32_e64 s[34:35], v2, v41
	s_nop 1
	v_cndmask_b32_e64 v2, v40, v2, s[34:35]
	v_lshlrev_b32_e32 v54, 2, v2
	ds_bpermute_b32 v55, v54, v39
	v_lshl_add_u64 v[2:3], s[40:41], 0, v[4:5]
	global_load_dword v56, v[2:3], off
	v_lshl_add_u64 v[4:5], s[40:41], 0, v[8:9]
	v_lshl_add_u64 v[8:9], s[40:41], 0, v[12:13]
	s_waitcnt lgkmcnt(0)
	v_max_f32_e32 v2, v55, v55
	v_max_f32_e32 v39, v39, v2
	v_xor_b32_e32 v2, 1, v40
	v_cmp_lt_i32_e64 s[34:35], v2, v41
	v_lshl_add_u64 v[12:13], s[40:41], 0, v[16:17]
	s_nop 0
	v_cndmask_b32_e64 v2, v40, v2, s[34:35]
	v_lshlrev_b32_e32 v40, 2, v2
	v_lshl_add_u64 v[2:3], s[40:41], 0, v[6:7]
	v_lshl_add_u64 v[6:7], s[40:41], 0, v[10:11]
	;; [unrolled: 1-line block ×3, first 2 shown]
	global_load_dword v16, v[2:3], off
	global_load_dword v17, v[4:5], off
	;; [unrolled: 1-line block ×6, first 2 shown]
	ds_bpermute_b32 v41, v40, v39
	v_lshl_add_u64 v[2:3], s[40:41], 0, v[18:19]
	v_lshl_add_u64 v[4:5], s[40:41], 0, v[20:21]
	v_lshl_add_u64 v[6:7], s[40:41], 0, v[22:23]
	v_lshl_add_u64 v[8:9], s[40:41], 0, v[24:25]
	s_waitcnt lgkmcnt(0)
	v_max_f32_e32 v18, v41, v41
	v_max_f32_e32 v18, v39, v18
	v_sub_f32_e32 v1, v1, v18
	v_lshl_add_u64 v[10:11], s[40:41], 0, v[26:27]
	v_mul_f32_e32 v19, 0x3fb8aa3b, v1
	v_lshl_add_u64 v[12:13], s[40:41], 0, v[28:29]
	v_lshl_add_u64 v[14:15], s[40:41], 0, v[30:31]
	v_fma_f32 v20, v1, s39, -v19
	v_rndne_f32_e32 v21, v19
	global_load_dword v2, v[2:3], off
	s_nop 0
	global_load_dword v3, v[4:5], off
	s_nop 0
	global_load_dword v4, v[6:7], off
	global_load_dword v5, v[8:9], off
	s_nop 0
	global_load_dword v6, v[10:11], off
	global_load_dword v7, v[12:13], off
	;; [unrolled: 1-line block ×3, first 2 shown]
	v_sub_f32_e32 v11, v48, v18
	v_fmac_f32_e32 v20, 0x32a5705f, v1
	v_sub_f32_e32 v19, v19, v21
	v_mul_f32_e32 v12, 0x3fb8aa3b, v11
	v_add_f32_e32 v19, v19, v20
	v_fma_f32 v13, v11, s39, -v12
	v_rndne_f32_e32 v14, v12
	v_exp_f32_e32 v19, v19
	v_cvt_i32_f32_e32 v20, v21
	v_fmac_f32_e32 v13, 0x32a5705f, v11
	v_sub_f32_e32 v12, v12, v14
	v_add_f32_e32 v12, v12, v13
	v_exp_f32_e32 v12, v12
	v_cvt_i32_f32_e32 v13, v14
	s_mov_b32 s40, 0xc2ce8ed0
	v_ldexp_f32 v9, v19, v20
	v_cmp_ngt_f32_e64 s[34:35], s40, v1
	s_mov_b32 s41, 0x42b17218
	v_mov_b32_e32 v10, 0x7f800000
	v_cndmask_b32_e64 v9, 0, v9, s[34:35]
	v_cmp_nlt_f32_e64 s[34:35], s41, v1
	s_nop 1
	v_cndmask_b32_e64 v1, v10, v9, s[34:35]
	v_ldexp_f32 v9, v12, v13
	v_sub_f32_e32 v12, v49, v18
	v_mul_f32_e32 v13, 0x3fb8aa3b, v12
	v_fma_f32 v14, v12, s39, -v13
	v_rndne_f32_e32 v15, v13
	v_fmac_f32_e32 v14, 0x32a5705f, v12
	v_sub_f32_e32 v13, v13, v15
	v_add_f32_e32 v13, v13, v14
	v_exp_f32_e32 v13, v13
	v_cvt_i32_f32_e32 v14, v15
	v_cndmask_b32_e64 v1, 0, v1, s[30:31]
	v_cmp_ngt_f32_e64 s[30:31], s40, v11
	s_waitcnt vmcnt(14)
	v_mul_f32_e32 v1, v47, v1
	v_cndmask_b32_e64 v9, 0, v9, s[30:31]
	v_cmp_nlt_f32_e64 s[30:31], s41, v11
	v_ldexp_f32 v11, v13, v14
	v_sub_f32_e32 v13, v50, v18
	v_mul_f32_e32 v14, 0x3fb8aa3b, v13
	v_fma_f32 v15, v13, s39, -v14
	v_rndne_f32_e32 v19, v14
	v_fmac_f32_e32 v15, 0x32a5705f, v13
	v_sub_f32_e32 v14, v14, v19
	v_add_f32_e32 v14, v14, v15
	v_exp_f32_e32 v14, v14
	v_cvt_i32_f32_e32 v15, v19
	v_cndmask_b32_e64 v9, v10, v9, s[30:31]
	v_cndmask_b32_e64 v9, 0, v9, s[28:29]
	v_cmp_ngt_f32_e64 s[28:29], s40, v12
	s_waitcnt vmcnt(13)
	v_mul_f32_e32 v9, v56, v9
	v_cndmask_b32_e64 v11, 0, v11, s[28:29]
	v_cmp_nlt_f32_e64 s[28:29], s41, v12
	v_ldexp_f32 v12, v14, v15
	v_sub_f32_e32 v14, v51, v18
	v_cndmask_b32_e64 v11, v10, v11, s[28:29]
	v_cndmask_b32_e64 v11, 0, v11, s[26:27]
	v_mul_f32_e32 v15, 0x3fb8aa3b, v14
	s_waitcnt vmcnt(12)
	v_mul_f32_e32 v11, v16, v11
	v_fma_f32 v16, v14, s39, -v15
	v_rndne_f32_e32 v19, v15
	v_fmac_f32_e32 v16, 0x32a5705f, v14
	v_sub_f32_e32 v15, v15, v19
	v_add_f32_e32 v15, v15, v16
	v_exp_f32_e32 v15, v15
	v_cvt_i32_f32_e32 v16, v19
	v_cmp_ngt_f32_e64 s[26:27], s40, v13
	s_nop 1
	v_cndmask_b32_e64 v12, 0, v12, s[26:27]
	v_cmp_nlt_f32_e64 s[26:27], s41, v13
	v_ldexp_f32 v13, v15, v16
	v_sub_f32_e32 v15, v52, v18
	v_cndmask_b32_e64 v12, v10, v12, s[26:27]
	v_cndmask_b32_e64 v12, 0, v12, s[24:25]
	v_mul_f32_e32 v16, 0x3fb8aa3b, v15
	s_waitcnt vmcnt(11)
	v_mul_f32_e32 v12, v17, v12
	v_fma_f32 v17, v15, s39, -v16
	v_rndne_f32_e32 v19, v16
	v_fmac_f32_e32 v17, 0x32a5705f, v15
	v_sub_f32_e32 v16, v16, v19
	v_add_f32_e32 v16, v16, v17
	v_exp_f32_e32 v16, v16
	v_cvt_i32_f32_e32 v17, v19
	v_cmp_ngt_f32_e64 s[24:25], s40, v14
	s_nop 1
	v_cndmask_b32_e64 v13, 0, v13, s[24:25]
	v_cmp_nlt_f32_e64 s[24:25], s41, v14
	v_ldexp_f32 v14, v16, v17
	v_sub_f32_e32 v16, v53, v18
	v_mul_f32_e32 v17, 0x3fb8aa3b, v16
	v_fma_f32 v19, v16, s39, -v17
	v_rndne_f32_e32 v20, v17
	v_fmac_f32_e32 v19, 0x32a5705f, v16
	v_sub_f32_e32 v17, v17, v20
	v_add_f32_e32 v17, v17, v19
	v_exp_f32_e32 v17, v17
	v_cvt_i32_f32_e32 v19, v20
	v_cndmask_b32_e64 v13, v10, v13, s[24:25]
	v_cndmask_b32_e64 v13, 0, v13, s[22:23]
	v_cmp_ngt_f32_e64 s[22:23], s40, v15
	s_waitcnt vmcnt(10)
	v_mul_f32_e32 v13, v55, v13
	v_cndmask_b32_e64 v14, 0, v14, s[22:23]
	v_cmp_nlt_f32_e64 s[22:23], s41, v15
	v_ldexp_f32 v15, v17, v19
	v_sub_f32_e32 v17, v46, v18
	v_mul_f32_e32 v19, 0x3fb8aa3b, v17
	v_fma_f32 v20, v17, s39, -v19
	v_rndne_f32_e32 v21, v19
	v_fmac_f32_e32 v20, 0x32a5705f, v17
	v_sub_f32_e32 v19, v19, v21
	v_add_f32_e32 v19, v19, v20
	v_exp_f32_e32 v19, v19
	v_cvt_i32_f32_e32 v20, v21
	v_cndmask_b32_e64 v14, v10, v14, s[22:23]
	v_cndmask_b32_e64 v14, 0, v14, s[20:21]
	v_cmp_ngt_f32_e64 s[20:21], s40, v16
	s_waitcnt vmcnt(9)
	v_mul_f32_e32 v14, v57, v14
	v_cndmask_b32_e64 v15, 0, v15, s[20:21]
	v_cmp_nlt_f32_e64 s[20:21], s41, v16
	v_ldexp_f32 v16, v19, v20
	v_sub_f32_e32 v19, v32, v18
	v_mul_f32_e32 v20, 0x3fb8aa3b, v19
	v_fma_f32 v21, v19, s39, -v20
	v_rndne_f32_e32 v22, v20
	v_fmac_f32_e32 v21, 0x32a5705f, v19
	v_sub_f32_e32 v20, v20, v22
	v_add_f32_e32 v20, v20, v21
	v_exp_f32_e32 v20, v20
	v_cvt_i32_f32_e32 v21, v22
	v_cndmask_b32_e64 v15, v10, v15, s[20:21]
	v_cndmask_b32_e64 v15, 0, v15, s[18:19]
	v_cmp_ngt_f32_e64 s[18:19], s40, v17
	s_waitcnt vmcnt(8)
	v_mul_f32_e32 v15, v58, v15
	v_cndmask_b32_e64 v16, 0, v16, s[18:19]
	v_cmp_nlt_f32_e64 s[18:19], s41, v17
	v_ldexp_f32 v17, v20, v21
	v_sub_f32_e32 v20, v33, v18
	v_mul_f32_e32 v21, 0x3fb8aa3b, v20
	v_fma_f32 v22, v20, s39, -v21
	v_rndne_f32_e32 v23, v21
	v_fmac_f32_e32 v22, 0x32a5705f, v20
	v_sub_f32_e32 v21, v21, v23
	v_cndmask_b32_e64 v16, v10, v16, s[18:19]
	v_add_f32_e32 v21, v21, v22
	v_cndmask_b32_e64 v16, 0, v16, s[16:17]
	v_cmp_ngt_f32_e64 s[16:17], s40, v19
	v_exp_f32_e32 v21, v21
	v_cvt_i32_f32_e32 v22, v23
	v_cndmask_b32_e64 v17, 0, v17, s[16:17]
	v_cmp_nlt_f32_e64 s[16:17], s41, v19
	v_sub_f32_e32 v19, v34, v18
	s_waitcnt vmcnt(7)
	v_mul_f32_e32 v16, v59, v16
	v_cndmask_b32_e64 v17, v10, v17, s[16:17]
	v_cndmask_b32_e64 v17, 0, v17, s[14:15]
	s_waitcnt vmcnt(6)
	v_mul_f32_e32 v2, v2, v17
	v_ldexp_f32 v17, v21, v22
	v_mul_f32_e32 v21, 0x3fb8aa3b, v19
	v_fma_f32 v22, v19, s39, -v21
	v_rndne_f32_e32 v23, v21
	v_fmac_f32_e32 v22, 0x32a5705f, v19
	v_sub_f32_e32 v21, v21, v23
	v_add_f32_e32 v21, v21, v22
	v_cmp_ngt_f32_e64 s[14:15], s40, v20
	v_exp_f32_e32 v21, v21
	v_cvt_i32_f32_e32 v22, v23
	v_cndmask_b32_e64 v17, 0, v17, s[14:15]
	v_cmp_nlt_f32_e64 s[14:15], s41, v20
	v_sub_f32_e32 v20, v35, v18
	s_nop 0
	v_cndmask_b32_e64 v17, v10, v17, s[14:15]
	v_cndmask_b32_e64 v17, 0, v17, s[12:13]
	s_waitcnt vmcnt(5)
	v_mul_f32_e32 v3, v3, v17
	v_ldexp_f32 v17, v21, v22
	v_mul_f32_e32 v21, 0x3fb8aa3b, v20
	v_fma_f32 v22, v20, s39, -v21
	v_rndne_f32_e32 v23, v21
	v_fmac_f32_e32 v22, 0x32a5705f, v20
	v_sub_f32_e32 v21, v21, v23
	v_add_f32_e32 v21, v21, v22
	v_cmp_ngt_f32_e64 s[12:13], s40, v19
	v_exp_f32_e32 v21, v21
	v_cvt_i32_f32_e32 v22, v23
	v_cndmask_b32_e64 v17, 0, v17, s[12:13]
	v_cmp_nlt_f32_e64 s[12:13], s41, v19
	v_sub_f32_e32 v19, v36, v18
	s_nop 0
	v_cndmask_b32_e64 v17, v10, v17, s[12:13]
	v_cndmask_b32_e64 v17, 0, v17, s[10:11]
	s_waitcnt vmcnt(4)
	v_mul_f32_e32 v4, v4, v17
	v_ldexp_f32 v17, v21, v22
	v_mul_f32_e32 v21, 0x3fb8aa3b, v19
	v_fma_f32 v22, v19, s39, -v21
	v_rndne_f32_e32 v23, v21
	v_fmac_f32_e32 v22, 0x32a5705f, v19
	v_sub_f32_e32 v21, v21, v23
	v_add_f32_e32 v21, v21, v22
	v_exp_f32_e32 v21, v21
	v_cvt_i32_f32_e32 v22, v23
	v_cmp_ngt_f32_e64 s[10:11], s40, v20
	s_nop 1
	v_cndmask_b32_e64 v17, 0, v17, s[10:11]
	v_cmp_nlt_f32_e64 s[10:11], s41, v20
	v_ldexp_f32 v20, v21, v22
	v_sub_f32_e32 v21, v37, v18
	v_mul_f32_e32 v22, 0x3fb8aa3b, v21
	v_fma_f32 v23, v21, s39, -v22
	v_rndne_f32_e32 v24, v22
	v_fmac_f32_e32 v23, 0x32a5705f, v21
	v_sub_f32_e32 v22, v22, v24
	v_add_f32_e32 v22, v22, v23
	v_exp_f32_e32 v22, v22
	v_cvt_i32_f32_e32 v23, v24
	v_cndmask_b32_e64 v17, v10, v17, s[10:11]
	v_cndmask_b32_e64 v17, 0, v17, s[8:9]
	v_cmp_ngt_f32_e64 s[8:9], s40, v19
	v_sub_f32_e32 v18, v38, v18
	s_nop 0
	v_cndmask_b32_e64 v20, 0, v20, s[8:9]
	v_cmp_nlt_f32_e64 s[8:9], s41, v19
	s_nop 1
	v_cndmask_b32_e64 v19, v10, v20, s[8:9]
	v_ldexp_f32 v20, v22, v23
	v_mul_f32_e32 v22, 0x3fb8aa3b, v18
	v_fma_f32 v23, v18, s39, -v22
	v_rndne_f32_e32 v24, v22
	v_fmac_f32_e32 v23, 0x32a5705f, v18
	v_sub_f32_e32 v22, v22, v24
	v_add_f32_e32 v22, v22, v23
	v_exp_f32_e32 v22, v22
	v_cvt_i32_f32_e32 v23, v24
	v_cndmask_b32_e64 v19, 0, v19, s[6:7]
	v_cmp_ngt_f32_e64 s[6:7], s40, v21
	s_nop 1
	v_cndmask_b32_e64 v20, 0, v20, s[6:7]
	v_cmp_nlt_f32_e64 s[6:7], s41, v21
	v_ldexp_f32 v21, v22, v23
	s_nop 0
	v_cndmask_b32_e64 v20, v10, v20, s[6:7]
	v_cndmask_b32_e64 v20, 0, v20, s[4:5]
	v_cmp_ngt_f32_e64 s[4:5], s40, v18
	s_nop 1
	v_cndmask_b32_e64 v21, 0, v21, s[4:5]
	v_cmp_nlt_f32_e64 s[4:5], s41, v18
	v_add_f32_e32 v18, v1, v9
	v_add_f32_e32 v18, v18, v11
	;; [unrolled: 1-line block ×10, first 2 shown]
	s_waitcnt vmcnt(3)
	v_fmac_f32_e32 v18, v5, v17
	v_cndmask_b32_e64 v10, v10, v21, s[4:5]
	s_waitcnt vmcnt(2)
	v_fmac_f32_e32 v18, v6, v19
	v_cndmask_b32_e32 v10, 0, v10, vcc
	s_waitcnt vmcnt(1)
	v_fmac_f32_e32 v18, v7, v20
	s_waitcnt vmcnt(0)
	v_fmac_f32_e32 v18, v8, v10
	ds_bpermute_b32 v21, v42, v18
	v_mul_f32_e32 v5, v5, v17
	v_mul_f32_e32 v8, v8, v10
	v_lshlrev_b32_e32 v10, 2, v0
	ds_write2st64_b32 v10, v1, v9 offset1:1
	s_waitcnt lgkmcnt(1)
	v_add_f32_e32 v18, v18, v21
	ds_bpermute_b32 v21, v43, v18
	ds_write2st64_b32 v10, v11, v12 offset0:2 offset1:3
	ds_write2st64_b32 v10, v13, v14 offset0:4 offset1:5
	;; [unrolled: 1-line block ×4, first 2 shown]
	v_cmp_eq_u32_e32 vcc, 0, v0
	v_mul_f32_e32 v6, v6, v19
	v_mul_f32_e32 v7, v7, v20
	s_waitcnt lgkmcnt(4)
	v_add_f32_e32 v18, v18, v21
	ds_bpermute_b32 v21, v44, v18
	ds_write2st64_b32 v10, v4, v5 offset0:10 offset1:11
	ds_write2st64_b32 v10, v6, v7 offset0:12 offset1:13
	ds_write_b32 v10, v8 offset:3584
	s_waitcnt lgkmcnt(3)
	v_add_f32_e32 v17, v18, v21
	ds_bpermute_b32 v18, v45, v17
	s_waitcnt lgkmcnt(0)
	v_add_f32_e32 v1, v17, v18
	ds_bpermute_b32 v9, v54, v1
	;; [unrolled: 3-line block ×3, first 2 shown]
	s_and_saveexec_b64 s[4:5], vcc
	s_cbranch_execz .LBB226_8
; %bb.7:
	s_waitcnt lgkmcnt(0)
	v_add_f32_e32 v1, v1, v2
	v_mov_b32_e32 v2, 0
	ds_write_b32 v2, v1 offset:3840
.LBB226_8:
	s_or_b64 exec, exec, s[4:5]
	v_mov_b32_e32 v1, s38
.LBB226_9:
	s_or_b64 exec, exec, s[52:53]
	s_lshl_b32 s4, s54, 7
	s_mov_b32 s5, 0
	s_lshl_b64 s[4:5], s[4:5], 1
	s_add_u32 s4, s36, s4
	s_addc_u32 s5, s37, s5
	s_lshl_b32 s10, s33, 7
	s_waitcnt lgkmcnt(0)
	v_lshlrev_b32_e32 v2, 7, v1
	v_mov_b32_e32 v1, 0
	s_add_i32 s11, s10, 0xffffff80
	v_mov_b32_e32 v3, v1
	s_cmp_lt_i32 s58, 1
	v_lshl_add_u64 v[2:3], v[2:3], 1, s[4:5]
	s_cselect_b32 s4, s11, 0
	v_lshlrev_b32_e32 v4, 1, v0
	v_mov_b32_e32 v5, v1
	s_ashr_i32 s5, s4, 31
	v_lshl_add_u64 v[2:3], v[2:3], 0, v[4:5]
	s_cmpk_lt_i32 s58, 0x101
	v_lshl_add_u64 v[12:13], s[4:5], 1, v[2:3]
	s_cselect_b32 s4, s11, 0x80
	s_ashr_i32 s5, s4, 31
	s_cmpk_lt_i32 s58, 0x201
	v_lshl_add_u64 v[14:15], s[4:5], 1, v[2:3]
	s_cselect_b32 s4, s11, 0x100
	s_ashr_i32 s5, s4, 31
	;; [unrolled: 4-line block ×8, first 2 shown]
	s_cmpk_lt_i32 s58, 0x901
	global_load_ushort v4, v[12:13], off
	global_load_ushort v5, v[14:15], off
	;; [unrolled: 1-line block ×8, first 2 shown]
	v_lshl_add_u64 v[20:21], s[4:5], 1, v[2:3]
	s_cselect_b32 s4, s11, 0x480
	s_ashr_i32 s5, s4, 31
	s_cmpk_lt_i32 s58, 0xa01
	v_lshl_add_u64 v[22:23], s[4:5], 1, v[2:3]
	s_cselect_b32 s4, s11, 0x500
	s_ashr_i32 s5, s4, 31
	s_cmpk_lt_i32 s58, 0xb01
	;; [unrolled: 4-line block ×6, first 2 shown]
	v_lshl_add_u64 v[32:33], s[4:5], 1, v[2:3]
	s_cselect_b32 s4, s11, 0x780
	s_ashr_i32 s5, s4, 31
	v_lshl_add_u64 v[34:35], s[4:5], 1, v[2:3]
	global_load_ushort v12, v[20:21], off
	global_load_ushort v13, v[22:23], off
	;; [unrolled: 1-line block ×8, first 2 shown]
	s_cmpk_gt_i32 s58, 0x1000
	s_cselect_b64 s[8:9], -1, 0
	s_cmpk_lt_i32 s58, 0x1001
	v_mov_b32_e32 v36, 0
	v_mov_b32_e32 v37, 0
	;; [unrolled: 1-line block ×48, first 2 shown]
	s_barrier
	s_cbranch_scc1 .LBB226_12
; %bb.10:
	s_cmpk_lt_u32 s58, 0x1101
	s_cselect_b32 s4, s11, 0x880
	s_ashr_i32 s5, s4, 31
	s_cmpk_lt_u32 s58, 0x1201
	v_lshl_add_u64 v[30:31], s[4:5], 1, v[2:3]
	s_cselect_b32 s4, s11, 0x900
	s_ashr_i32 s5, s4, 31
	s_cmpk_lt_u32 s58, 0x1301
	v_lshl_add_u64 v[32:33], s[4:5], 1, v[2:3]
	;; [unrolled: 4-line block ×7, first 2 shown]
	s_cselect_b32 s4, s11, 0xc00
	v_add_co_u32_e32 v28, vcc, 0x1000, v2
	s_ashr_i32 s5, s4, 31
	s_nop 0
	v_addc_co_u32_e32 v29, vcc, 0, v3, vcc
	s_cmpk_lt_u32 s58, 0x1901
	global_load_ushort v27, v[28:29], off
	global_load_ushort v26, v[30:31], off
	;; [unrolled: 1-line block ×8, first 2 shown]
	v_lshl_add_u64 v[36:37], s[4:5], 1, v[2:3]
	s_cselect_b32 s4, s11, 0xc80
	s_ashr_i32 s5, s4, 31
	s_cmpk_lt_u32 s58, 0x1a01
	v_lshl_add_u64 v[38:39], s[4:5], 1, v[2:3]
	s_cselect_b32 s4, s11, 0xd00
	s_ashr_i32 s5, s4, 31
	s_cmpk_lt_u32 s58, 0x1b01
	;; [unrolled: 4-line block ×6, first 2 shown]
	v_lshl_add_u64 v[48:49], s[4:5], 1, v[2:3]
	s_cselect_b32 s4, s11, 0xf80
	s_ashr_i32 s5, s4, 31
	v_lshl_add_u64 v[50:51], s[4:5], 1, v[2:3]
	global_load_ushort v35, v[36:37], off
	global_load_ushort v34, v[38:39], off
	;; [unrolled: 1-line block ×8, first 2 shown]
	s_cmpk_lt_u32 s58, 0x2001
	v_mov_b32_e32 v67, 0
	v_mov_b32_e32 v66, 0
	;; [unrolled: 1-line block ×32, first 2 shown]
	s_cbranch_scc1 .LBB226_12
; %bb.11:
	s_cmpk_lt_u32 s58, 0x2101
	s_cselect_b32 s4, s11, 0x1080
	s_ashr_i32 s5, s4, 31
	s_cmpk_lt_u32 s58, 0x2201
	v_lshl_add_u64 v[38:39], s[4:5], 1, v[2:3]
	s_cselect_b32 s4, s11, 0x1100
	s_ashr_i32 s5, s4, 31
	s_cmpk_lt_u32 s58, 0x2301
	v_lshl_add_u64 v[40:41], s[4:5], 1, v[2:3]
	s_cselect_b32 s4, s11, 0x1180
	s_ashr_i32 s5, s4, 31
	s_cmpk_lt_u32 s58, 0x2401
	v_lshl_add_u64 v[42:43], s[4:5], 1, v[2:3]
	s_cselect_b32 s4, s11, 0x1200
	s_ashr_i32 s5, s4, 31
	s_cmpk_lt_u32 s58, 0x2501
	v_lshl_add_u64 v[44:45], s[4:5], 1, v[2:3]
	s_cselect_b32 s4, s11, 0x1280
	s_ashr_i32 s5, s4, 31
	s_cmpk_lt_u32 s58, 0x2601
	v_lshl_add_u64 v[46:47], s[4:5], 1, v[2:3]
	s_cselect_b32 s4, s11, 0x1300
	s_ashr_i32 s5, s4, 31
	s_cmpk_lt_u32 s58, 0x2701
	v_lshl_add_u64 v[48:49], s[4:5], 1, v[2:3]
	s_cselect_b32 s4, s11, 0x1380
	s_ashr_i32 s5, s4, 31
	s_cmpk_lt_u32 s58, 0x2801
	v_lshl_add_u64 v[50:51], s[4:5], 1, v[2:3]
	s_cselect_b32 s4, s11, 0x1400
	v_add_co_u32_e32 v36, vcc, 0x2000, v2
	s_ashr_i32 s5, s4, 31
	s_nop 0
	v_addc_co_u32_e32 v37, vcc, 0, v3, vcc
	s_cmpk_lt_u32 s58, 0x2901
	global_load_ushort v52, v[36:37], off
	global_load_ushort v53, v[38:39], off
	;; [unrolled: 1-line block ×8, first 2 shown]
	v_lshl_add_u64 v[36:37], s[4:5], 1, v[2:3]
	s_cselect_b32 s4, s11, 0x1480
	s_ashr_i32 s5, s4, 31
	s_cmpk_lt_u32 s58, 0x2a01
	v_lshl_add_u64 v[38:39], s[4:5], 1, v[2:3]
	s_cselect_b32 s4, s11, 0x1500
	s_ashr_i32 s5, s4, 31
	s_cmpk_lt_u32 s58, 0x2b01
	;; [unrolled: 4-line block ×8, first 2 shown]
	global_load_ushort v68, v[36:37], off
	global_load_ushort v69, v[38:39], off
	;; [unrolled: 1-line block ×8, first 2 shown]
	v_lshl_add_u64 v[36:37], s[4:5], 1, v[2:3]
	s_cselect_b32 s4, s11, 0x1880
	s_ashr_i32 s5, s4, 31
	s_cmpk_lt_u32 s58, 0x3201
	v_lshl_add_u64 v[38:39], s[4:5], 1, v[2:3]
	s_cselect_b32 s4, s11, 0x1900
	s_ashr_i32 s5, s4, 31
	s_cmpk_lt_u32 s58, 0x3301
	;; [unrolled: 4-line block ×8, first 2 shown]
	global_load_ushort v76, v[36:37], off
	global_load_ushort v77, v[38:39], off
	global_load_ushort v78, v[40:41], off
	global_load_ushort v79, v[42:43], off
	global_load_ushort v80, v[44:45], off
	global_load_ushort v81, v[46:47], off
	global_load_ushort v82, v[48:49], off
	global_load_ushort v83, v[50:51], off
	v_lshl_add_u64 v[36:37], s[4:5], 1, v[2:3]
	s_cselect_b32 s4, s11, 0x1c80
	s_ashr_i32 s5, s4, 31
	s_cmpk_lt_u32 s58, 0x3a01
	v_lshl_add_u64 v[38:39], s[4:5], 1, v[2:3]
	s_cselect_b32 s4, s11, 0x1d00
	s_ashr_i32 s5, s4, 31
	s_cmpk_lt_u32 s58, 0x3b01
	;; [unrolled: 4-line block ×6, first 2 shown]
	v_lshl_add_u64 v[48:49], s[4:5], 1, v[2:3]
	s_cselect_b32 s4, s11, 0x1f80
	s_ashr_i32 s5, s4, 31
	v_lshl_add_u64 v[50:51], s[4:5], 1, v[2:3]
	global_load_ushort v84, v[36:37], off
	global_load_ushort v85, v[38:39], off
	;; [unrolled: 1-line block ×8, first 2 shown]
	s_waitcnt vmcnt(31)
	v_cvt_f32_f16_e32 v67, v52
	s_waitcnt vmcnt(30)
	v_cvt_f32_f16_e32 v66, v53
	;; [unrolled: 2-line block ×32, first 2 shown]
.LBB226_12:
	ds_read_b128 v[68:71], v1
	s_load_dwordx2 s[4:5], s[0:1], 0x0
	s_load_dwordx2 s[6:7], s[0:1], 0x38
	ds_read_b128 v[72:75], v1 offset:16
	ds_read_b128 v[76:79], v1 offset:32
	;; [unrolled: 1-line block ×3, first 2 shown]
	s_and_b64 vcc, exec, s[8:9]
	s_waitcnt vmcnt(15) lgkmcnt(0)
	v_fma_mix_f32 v4, v68, v4, 0 op_sel_hi:[0,1,0]
	s_waitcnt vmcnt(14)
	v_fma_mix_f32 v4, v69, v5, v4 op_sel_hi:[0,1,0]
	s_waitcnt vmcnt(13)
	v_fma_mix_f32 v4, v70, v6, v4 op_sel_hi:[0,1,0]
	s_waitcnt vmcnt(12)
	v_fma_mix_f32 v4, v71, v7, v4 op_sel_hi:[0,1,0]
	s_waitcnt vmcnt(11)
	v_fma_mix_f32 v4, v72, v8, v4 op_sel_hi:[0,1,0]
	s_waitcnt vmcnt(10)
	v_fma_mix_f32 v4, v73, v9, v4 op_sel_hi:[0,1,0]
	s_waitcnt vmcnt(9)
	v_fma_mix_f32 v4, v74, v10, v4 op_sel_hi:[0,1,0]
	s_waitcnt vmcnt(8)
	v_fma_mix_f32 v4, v75, v11, v4 op_sel_hi:[0,1,0]
	s_waitcnt vmcnt(7)
	v_fma_mix_f32 v4, v76, v12, v4 op_sel_hi:[0,1,0]
	s_waitcnt vmcnt(6)
	v_fma_mix_f32 v4, v77, v13, v4 op_sel_hi:[0,1,0]
	s_waitcnt vmcnt(5)
	v_fma_mix_f32 v4, v78, v14, v4 op_sel_hi:[0,1,0]
	s_waitcnt vmcnt(4)
	v_fma_mix_f32 v4, v79, v15, v4 op_sel_hi:[0,1,0]
	s_waitcnt vmcnt(3)
	v_fma_mix_f32 v4, v80, v16, v4 op_sel_hi:[0,1,0]
	s_waitcnt vmcnt(2)
	v_fma_mix_f32 v4, v81, v17, v4 op_sel_hi:[0,1,0]
	s_waitcnt vmcnt(1)
	v_fma_mix_f32 v4, v82, v18, v4 op_sel_hi:[0,1,0]
	s_waitcnt vmcnt(0)
	v_fma_mix_f32 v4, v83, v19, v4 op_sel_hi:[0,1,0]
	s_cbranch_vccz .LBB226_15
; %bb.13:
	ds_read_b128 v[6:9], v1 offset:64
	ds_read_b128 v[10:13], v1 offset:80
	;; [unrolled: 1-line block ×4, first 2 shown]
	s_cmpk_lt_u32 s58, 0x2001
	s_waitcnt lgkmcnt(3)
	v_fma_mix_f32 v4, v6, v27, v4 op_sel_hi:[0,1,0]
	v_fma_mix_f32 v4, v7, v26, v4 op_sel_hi:[0,1,0]
	v_fma_mix_f32 v4, v8, v25, v4 op_sel_hi:[0,1,0]
	v_fma_mix_f32 v4, v9, v24, v4 op_sel_hi:[0,1,0]
	s_waitcnt lgkmcnt(2)
	v_fma_mix_f32 v4, v10, v23, v4 op_sel_hi:[0,1,0]
	v_fma_mix_f32 v4, v11, v22, v4 op_sel_hi:[0,1,0]
	v_fma_mix_f32 v4, v12, v21, v4 op_sel_hi:[0,1,0]
	v_fma_mix_f32 v4, v13, v20, v4 op_sel_hi:[0,1,0]
	;; [unrolled: 5-line block ×4, first 2 shown]
	s_cbranch_scc1 .LBB226_15
; %bb.14:
	v_mov_b32_e32 v5, 0
	ds_read_b128 v[6:9], v5 offset:128
	ds_read_b128 v[10:13], v5 offset:144
	;; [unrolled: 1-line block ×4, first 2 shown]
	s_waitcnt lgkmcnt(3)
	v_fmac_f32_e32 v4, v6, v67
	v_fmac_f32_e32 v4, v7, v66
	v_fmac_f32_e32 v4, v8, v65
	v_fmac_f32_e32 v4, v9, v64
	s_waitcnt lgkmcnt(2)
	v_fmac_f32_e32 v4, v10, v63
	v_fmac_f32_e32 v4, v11, v62
	v_fmac_f32_e32 v4, v12, v61
	v_fmac_f32_e32 v4, v13, v60
	;; [unrolled: 5-line block ×3, first 2 shown]
	ds_read_b128 v[6:9], v5 offset:192
	ds_read_b128 v[10:13], v5 offset:208
	s_waitcnt lgkmcnt(2)
	v_fmac_f32_e32 v4, v18, v55
	v_fmac_f32_e32 v4, v19, v54
	;; [unrolled: 1-line block ×4, first 2 shown]
	s_waitcnt lgkmcnt(1)
	v_fmac_f32_e32 v4, v6, v51
	v_fmac_f32_e32 v4, v7, v50
	;; [unrolled: 1-line block ×4, first 2 shown]
	ds_read_b128 v[6:9], v5 offset:224
	s_waitcnt lgkmcnt(1)
	v_fmac_f32_e32 v4, v10, v47
	v_fmac_f32_e32 v4, v11, v46
	;; [unrolled: 1-line block ×4, first 2 shown]
	ds_read_b128 v[10:13], v5 offset:240
	s_waitcnt lgkmcnt(1)
	v_fmac_f32_e32 v4, v6, v43
	v_fmac_f32_e32 v4, v7, v42
	;; [unrolled: 1-line block ×4, first 2 shown]
	s_waitcnt lgkmcnt(0)
	v_fmac_f32_e32 v4, v10, v39
	v_fmac_f32_e32 v4, v11, v38
	;; [unrolled: 1-line block ×4, first 2 shown]
.LBB226_15:
	s_movk_i32 s0, 0x3f80
	s_movk_i32 s1, 0x100
	s_mov_b32 s8, 64
	s_branch .LBB226_17
.LBB226_16:                             ;   in Loop: Header=BB226_17 Depth=1
	s_addk_i32 s0, 0x2000
	s_addk_i32 s1, 0x100
	s_add_i32 s8, s8, 64
	s_cmp_eq_u32 s0, 0x1ff80
	s_cbranch_scc1 .LBB226_19
.LBB226_17:                             ; =>This Inner Loop Header: Depth=1
	s_cmp_le_i32 s33, s8
	s_cbranch_scc1 .LBB226_16
; %bb.18:                               ;   in Loop: Header=BB226_17 Depth=1
	s_add_i32 s9, s0, 0xffffe080
	s_cmp_lt_i32 s9, s10
	s_cselect_b32 s12, s9, s11
	s_ashr_i32 s13, s12, 31
	s_add_i32 s9, s0, 0xffffe100
	s_cmp_lt_i32 s9, s10
	v_lshl_add_u64 v[14:15], s[12:13], 1, v[2:3]
	s_cselect_b32 s12, s9, s11
	s_ashr_i32 s13, s12, 31
	s_add_i32 s9, s0, 0xffffe180
	s_cmp_lt_i32 s9, s10
	v_lshl_add_u64 v[16:17], s[12:13], 1, v[2:3]
	;; [unrolled: 5-line block ×8, first 2 shown]
	s_cselect_b32 s12, s9, s11
	s_ashr_i32 s13, s12, 31
	s_add_i32 s9, s0, 0xffffe500
	s_cmp_lt_i32 s9, s10
	global_load_ushort v5, v[14:15], off
	global_load_ushort v6, v[16:17], off
	global_load_ushort v7, v[18:19], off
	global_load_ushort v8, v[20:21], off
	global_load_ushort v9, v[22:23], off
	global_load_ushort v10, v[24:25], off
	global_load_ushort v11, v[26:27], off
	global_load_ushort v12, v[28:29], off
	v_lshl_add_u64 v[14:15], s[12:13], 1, v[2:3]
	s_cselect_b32 s12, s9, s11
	s_ashr_i32 s13, s12, 31
	s_add_i32 s9, s0, 0xffffe580
	s_cmp_lt_i32 s9, s10
	v_lshl_add_u64 v[16:17], s[12:13], 1, v[2:3]
	s_cselect_b32 s12, s9, s11
	s_ashr_i32 s13, s12, 31
	s_add_i32 s9, s0, 0xffffe600
	s_cmp_lt_i32 s9, s10
	v_lshl_add_u64 v[18:19], s[12:13], 1, v[2:3]
	s_cselect_b32 s12, s9, s11
	s_ashr_i32 s13, s12, 31
	s_add_i32 s9, s0, 0xffffe680
	s_cmp_lt_i32 s9, s10
	v_lshl_add_u64 v[20:21], s[12:13], 1, v[2:3]
	s_cselect_b32 s12, s9, s11
	s_ashr_i32 s13, s12, 31
	s_add_i32 s9, s0, 0xffffe700
	s_cmp_lt_i32 s9, s10
	v_lshl_add_u64 v[22:23], s[12:13], 1, v[2:3]
	s_cselect_b32 s12, s9, s11
	s_ashr_i32 s13, s12, 31
	s_add_i32 s9, s0, 0xffffe780
	s_cmp_lt_i32 s9, s10
	v_lshl_add_u64 v[24:25], s[12:13], 1, v[2:3]
	s_cselect_b32 s12, s9, s11
	s_ashr_i32 s13, s12, 31
	s_add_i32 s9, s0, 0xffffe800
	s_cmp_lt_i32 s9, s10
	v_lshl_add_u64 v[26:27], s[12:13], 1, v[2:3]
	s_cselect_b32 s12, s9, s11
	s_ashr_i32 s13, s12, 31
	s_add_i32 s9, s0, 0xffffe880
	s_cmp_lt_i32 s9, s10
	v_lshl_add_u64 v[28:29], s[12:13], 1, v[2:3]
	s_cselect_b32 s12, s9, s11
	s_ashr_i32 s13, s12, 31
	s_add_i32 s9, s0, 0xffffe900
	s_cmp_lt_i32 s9, s10
	global_load_ushort v13, v[14:15], off
	global_load_ushort v30, v[16:17], off
	global_load_ushort v31, v[18:19], off
	global_load_ushort v32, v[20:21], off
	global_load_ushort v33, v[22:23], off
	global_load_ushort v34, v[24:25], off
	global_load_ushort v35, v[26:27], off
	global_load_ushort v36, v[28:29], off
	v_lshl_add_u64 v[14:15], s[12:13], 1, v[2:3]
	s_cselect_b32 s12, s9, s11
	s_ashr_i32 s13, s12, 31
	s_add_i32 s9, s0, 0xffffe980
	s_cmp_lt_i32 s9, s10
	v_lshl_add_u64 v[16:17], s[12:13], 1, v[2:3]
	s_cselect_b32 s12, s9, s11
	s_ashr_i32 s13, s12, 31
	s_add_i32 s9, s0, 0xffffea00
	s_cmp_lt_i32 s9, s10
	v_lshl_add_u64 v[18:19], s[12:13], 1, v[2:3]
	s_cselect_b32 s12, s9, s11
	s_ashr_i32 s13, s12, 31
	s_add_i32 s9, s0, 0xffffea80
	s_cmp_lt_i32 s9, s10
	v_lshl_add_u64 v[20:21], s[12:13], 1, v[2:3]
	s_cselect_b32 s12, s9, s11
	s_ashr_i32 s13, s12, 31
	s_add_i32 s9, s0, 0xffffeb00
	s_cmp_lt_i32 s9, s10
	v_lshl_add_u64 v[22:23], s[12:13], 1, v[2:3]
	s_cselect_b32 s12, s9, s11
	s_ashr_i32 s13, s12, 31
	s_add_i32 s9, s0, 0xffffeb80
	s_cmp_lt_i32 s9, s10
	v_lshl_add_u64 v[24:25], s[12:13], 1, v[2:3]
	s_cselect_b32 s12, s9, s11
	s_ashr_i32 s13, s12, 31
	s_add_i32 s9, s0, 0xffffec00
	s_cmp_lt_i32 s9, s10
	v_lshl_add_u64 v[26:27], s[12:13], 1, v[2:3]
	s_cselect_b32 s12, s9, s11
	s_ashr_i32 s13, s12, 31
	s_add_i32 s9, s0, 0xffffec80
	s_cmp_lt_i32 s9, s10
	v_lshl_add_u64 v[28:29], s[12:13], 1, v[2:3]
	;; [unrolled: 48-line block ×6, first 2 shown]
	s_cselect_b32 s12, s9, s11
	s_ashr_i32 s13, s12, 31
	s_add_i32 s9, s0, 0xfffffd00
	s_cmp_lt_i32 s9, s10
	global_load_ushort v69, v[14:15], off
	global_load_ushort v70, v[16:17], off
	;; [unrolled: 1-line block ×8, first 2 shown]
	v_lshl_add_u64 v[14:15], s[12:13], 1, v[2:3]
	s_cselect_b32 s12, s9, s11
	s_ashr_i32 s13, s12, 31
	s_add_i32 s9, s0, 0xfffffd80
	s_cmp_lt_i32 s9, s10
	v_lshl_add_u64 v[16:17], s[12:13], 1, v[2:3]
	s_cselect_b32 s12, s9, s11
	s_ashr_i32 s13, s12, 31
	s_add_i32 s9, s0, 0xfffffe00
	s_cmp_lt_i32 s9, s10
	;; [unrolled: 5-line block ×5, first 2 shown]
	v_lshl_add_u64 v[24:25], s[12:13], 1, v[2:3]
	s_cselect_b32 s12, s9, s11
	s_ashr_i32 s13, s12, 31
	s_cmp_lt_i32 s0, s10
	v_lshl_add_u64 v[26:27], s[12:13], 1, v[2:3]
	s_cselect_b32 s12, s0, s11
	s_ashr_i32 s13, s12, 31
	v_lshl_add_u64 v[28:29], s[12:13], 1, v[2:3]
	global_load_ushort v77, v[14:15], off
	global_load_ushort v78, v[16:17], off
	global_load_ushort v79, v[18:19], off
	global_load_ushort v80, v[20:21], off
	global_load_ushort v81, v[22:23], off
	global_load_ushort v82, v[24:25], off
	global_load_ushort v83, v[26:27], off
	global_load_ushort v84, v[28:29], off
	v_mov_b32_e32 v85, s1
	ds_read_b128 v[14:17], v85
	ds_read_b128 v[18:21], v85 offset:16
	ds_read_b128 v[22:25], v85 offset:32
	ds_read_b128 v[26:29], v85 offset:48
	s_waitcnt vmcnt(62) lgkmcnt(3)
	v_fma_mix_f32 v4, v14, v5, v4 op_sel_hi:[0,1,0]
	v_fma_mix_f32 v4, v15, v6, v4 op_sel_hi:[0,1,0]
	s_waitcnt vmcnt(61)
	v_fma_mix_f32 v4, v16, v7, v4 op_sel_hi:[0,1,0]
	s_waitcnt vmcnt(60)
	v_fma_mix_f32 v4, v17, v8, v4 op_sel_hi:[0,1,0]
	s_waitcnt vmcnt(59) lgkmcnt(2)
	v_fma_mix_f32 v4, v18, v9, v4 op_sel_hi:[0,1,0]
	s_waitcnt vmcnt(58)
	v_fma_mix_f32 v4, v19, v10, v4 op_sel_hi:[0,1,0]
	s_waitcnt vmcnt(57)
	;; [unrolled: 2-line block ×3, first 2 shown]
	v_fma_mix_f32 v4, v21, v12, v4 op_sel_hi:[0,1,0]
	s_waitcnt vmcnt(55) lgkmcnt(1)
	v_fma_mix_f32 v4, v22, v13, v4 op_sel_hi:[0,1,0]
	s_waitcnt vmcnt(54)
	v_fma_mix_f32 v4, v23, v30, v4 op_sel_hi:[0,1,0]
	s_waitcnt vmcnt(53)
	v_fma_mix_f32 v4, v24, v31, v4 op_sel_hi:[0,1,0]
	s_waitcnt vmcnt(52)
	v_fma_mix_f32 v4, v25, v32, v4 op_sel_hi:[0,1,0]
	s_waitcnt vmcnt(51) lgkmcnt(0)
	v_fma_mix_f32 v8, v26, v33, v4 op_sel_hi:[0,1,0]
	ds_read_b128 v[4:7], v85 offset:64
	s_waitcnt vmcnt(50)
	v_fma_mix_f32 v8, v27, v34, v8 op_sel_hi:[0,1,0]
	s_waitcnt vmcnt(49)
	v_fma_mix_f32 v8, v28, v35, v8 op_sel_hi:[0,1,0]
	s_waitcnt vmcnt(48)
	v_fma_mix_f32 v12, v29, v36, v8 op_sel_hi:[0,1,0]
	ds_read_b128 v[8:11], v85 offset:80
	s_waitcnt vmcnt(47) lgkmcnt(1)
	v_fma_mix_f32 v4, v4, v37, v12 op_sel_hi:[0,1,0]
	s_waitcnt vmcnt(46)
	v_fma_mix_f32 v4, v5, v38, v4 op_sel_hi:[0,1,0]
	s_waitcnt vmcnt(45)
	v_fma_mix_f32 v4, v6, v39, v4 op_sel_hi:[0,1,0]
	s_waitcnt vmcnt(44)
	v_fma_mix_f32 v4, v7, v40, v4 op_sel_hi:[0,1,0]
	s_waitcnt vmcnt(43) lgkmcnt(0)
	v_fma_mix_f32 v8, v8, v41, v4 op_sel_hi:[0,1,0]
	ds_read_b128 v[4:7], v85 offset:96
	s_waitcnt vmcnt(42)
	v_fma_mix_f32 v8, v9, v42, v8 op_sel_hi:[0,1,0]
	s_waitcnt vmcnt(41)
	v_fma_mix_f32 v8, v10, v43, v8 op_sel_hi:[0,1,0]
	s_waitcnt vmcnt(40)
	v_fma_mix_f32 v12, v11, v44, v8 op_sel_hi:[0,1,0]
	ds_read_b128 v[8:11], v85 offset:112
	;; [unrolled: 18-line block ×6, first 2 shown]
	s_waitcnt vmcnt(7) lgkmcnt(1)
	v_fma_mix_f32 v4, v4, v77, v12 op_sel_hi:[0,1,0]
	s_waitcnt vmcnt(6)
	v_fma_mix_f32 v4, v5, v78, v4 op_sel_hi:[0,1,0]
	s_waitcnt vmcnt(5)
	;; [unrolled: 2-line block ×3, first 2 shown]
	v_fma_mix_f32 v4, v7, v80, v4 op_sel_hi:[0,1,0]
	s_waitcnt vmcnt(3) lgkmcnt(0)
	v_fma_mix_f32 v4, v8, v81, v4 op_sel_hi:[0,1,0]
	s_waitcnt vmcnt(2)
	v_fma_mix_f32 v4, v9, v82, v4 op_sel_hi:[0,1,0]
	s_waitcnt vmcnt(1)
	;; [unrolled: 2-line block ×3, first 2 shown]
	v_fma_mix_f32 v4, v11, v84, v4 op_sel_hi:[0,1,0]
	s_branch .LBB226_16
.LBB226_19:
	v_mov_b32_e32 v2, 0
	ds_read_b32 v2, v2 offset:3840
	s_cmp_lg_u64 s[6:7], 0
	s_cbranch_scc0 .LBB226_24
; %bb.20:
	s_load_dword s6, s[6:7], 0x0
	s_waitcnt lgkmcnt(0)
	v_div_scale_f32 v3, s[0:1], s6, s6, 1.0
	v_rcp_f32_e32 v5, v3
	v_div_scale_f32 v6, vcc, 1.0, s6, 1.0
	v_fma_f32 v7, -v3, v5, 1.0
	v_fmac_f32_e32 v5, v7, v5
	v_mul_f32_e32 v7, v6, v5
	v_fma_f32 v8, -v3, v7, v6
	v_fmac_f32_e32 v7, v8, v5
	v_fma_f32 v3, -v3, v7, v6
	v_div_fmas_f32 v3, v3, v5, v7
	v_div_fixup_f32 v3, v3, s6, 1.0
	s_andn2_b64 vcc, exec, s[48:49]
	s_cbranch_vccnz .LBB226_22
.LBB226_21:
	s_add_u32 s0, s46, s50
	s_addc_u32 s1, s47, s51
	s_load_dword s44, s[0:1], 0x0
	s_mov_b32 s45, 0
.LBB226_22:
	s_waitcnt lgkmcnt(0)
	v_add_f32_e32 v2, 0x358637bd, v2
	v_div_scale_f32 v5, s[0:1], v2, v2, 1.0
	v_rcp_f32_e32 v6, v5
	v_div_scale_f32 v7, vcc, 1.0, v2, 1.0
	s_mul_i32 s0, s3, s45
	v_fma_f32 v8, -v5, v6, 1.0
	v_fmac_f32_e32 v6, v8, v6
	v_mul_f32_e32 v8, v7, v6
	v_fma_f32 v9, -v5, v8, v7
	v_fmac_f32_e32 v8, v9, v6
	v_fma_f32 v5, -v5, v8, v7
	s_mul_hi_u32 s1, s3, s44
	v_div_fmas_f32 v5, v5, v6, v8
	s_add_i32 s1, s1, s0
	s_mul_i32 s0, s3, s44
	v_div_fixup_f32 v2, v5, v2, 1.0
	s_lshl_b64 s[0:1], s[0:1], 7
	v_mul_f32_e32 v2, v4, v2
	s_add_u32 s4, s4, s0
	s_mov_b32 s3, 0
	v_mul_f32_e32 v2, v2, v3
	s_addc_u32 s5, s5, s1
	s_lshl_b64 s[0:1], s[2:3], 7
	s_mov_b32 s2, 0x7f800000
	s_mov_b32 s3, 0x43700000
	v_mov_b32_e32 v3, 0xc3700000
	v_med3_f32 v3, v2, s3, v3
	v_cmp_nlg_f32_e64 vcc, |v2|, s2
	s_add_u32 s0, s4, s0
	s_addc_u32 s1, s5, s1
	v_cndmask_b32_e32 v2, v3, v2, vcc
	v_mov_b32_e32 v3, 0
	v_cvt_pk_fp8_f32 v3, v2, v2
	v_lshl_add_u64 v[0:1], s[0:1], 0, v[0:1]
	global_store_byte v[0:1], v3, off
	s_endpgm
.LBB226_23:
	s_mov_b64 s[6:7], 0
	s_branch .LBB226_2
.LBB226_24:
	v_mov_b32_e32 v3, 1.0
	s_andn2_b64 vcc, exec, s[48:49]
	s_cbranch_vccz .LBB226_21
	s_branch .LBB226_22
	.section	.rodata,"a",@progbits
	.p2align	6, 0x0
	.amdhsa_kernel _Z35paged_attention_ll4mi_reduce_kernelIDF16_hLi128ELi128ELi256ELi15EEvPT0_PKfS3_PKT_PKiS8_iS3_
		.amdhsa_group_segment_fixed_size 3844
		.amdhsa_private_segment_fixed_size 0
		.amdhsa_kernarg_size 320
		.amdhsa_user_sgpr_count 2
		.amdhsa_user_sgpr_dispatch_ptr 0
		.amdhsa_user_sgpr_queue_ptr 0
		.amdhsa_user_sgpr_kernarg_segment_ptr 1
		.amdhsa_user_sgpr_dispatch_id 0
		.amdhsa_user_sgpr_kernarg_preload_length 0
		.amdhsa_user_sgpr_kernarg_preload_offset 0
		.amdhsa_user_sgpr_private_segment_size 0
		.amdhsa_uses_dynamic_stack 0
		.amdhsa_enable_private_segment 0
		.amdhsa_system_sgpr_workgroup_id_x 1
		.amdhsa_system_sgpr_workgroup_id_y 1
		.amdhsa_system_sgpr_workgroup_id_z 0
		.amdhsa_system_sgpr_workgroup_info 0
		.amdhsa_system_vgpr_workitem_id 0
		.amdhsa_next_free_vgpr 92
		.amdhsa_next_free_sgpr 59
		.amdhsa_accum_offset 92
		.amdhsa_reserve_vcc 1
		.amdhsa_float_round_mode_32 0
		.amdhsa_float_round_mode_16_64 0
		.amdhsa_float_denorm_mode_32 3
		.amdhsa_float_denorm_mode_16_64 3
		.amdhsa_dx10_clamp 1
		.amdhsa_ieee_mode 1
		.amdhsa_fp16_overflow 0
		.amdhsa_tg_split 0
		.amdhsa_exception_fp_ieee_invalid_op 0
		.amdhsa_exception_fp_denorm_src 0
		.amdhsa_exception_fp_ieee_div_zero 0
		.amdhsa_exception_fp_ieee_overflow 0
		.amdhsa_exception_fp_ieee_underflow 0
		.amdhsa_exception_fp_ieee_inexact 0
		.amdhsa_exception_int_div_zero 0
	.end_amdhsa_kernel
	.section	.text._Z35paged_attention_ll4mi_reduce_kernelIDF16_hLi128ELi128ELi256ELi15EEvPT0_PKfS3_PKT_PKiS8_iS3_,"axG",@progbits,_Z35paged_attention_ll4mi_reduce_kernelIDF16_hLi128ELi128ELi256ELi15EEvPT0_PKfS3_PKT_PKiS8_iS3_,comdat
.Lfunc_end226:
	.size	_Z35paged_attention_ll4mi_reduce_kernelIDF16_hLi128ELi128ELi256ELi15EEvPT0_PKfS3_PKT_PKiS8_iS3_, .Lfunc_end226-_Z35paged_attention_ll4mi_reduce_kernelIDF16_hLi128ELi128ELi256ELi15EEvPT0_PKfS3_PKT_PKiS8_iS3_
                                        ; -- End function
	.section	.AMDGPU.csdata,"",@progbits
; Kernel info:
; codeLenInByte = 10600
; NumSgprs: 65
; NumVgprs: 92
; NumAgprs: 0
; TotalNumVgprs: 92
; ScratchSize: 0
; MemoryBound: 0
; FloatMode: 240
; IeeeMode: 1
; LDSByteSize: 3844 bytes/workgroup (compile time only)
; SGPRBlocks: 8
; VGPRBlocks: 11
; NumSGPRsForWavesPerEU: 65
; NumVGPRsForWavesPerEU: 92
; AccumOffset: 92
; Occupancy: 5
; WaveLimiterHint : 1
; COMPUTE_PGM_RSRC2:SCRATCH_EN: 0
; COMPUTE_PGM_RSRC2:USER_SGPR: 2
; COMPUTE_PGM_RSRC2:TRAP_HANDLER: 0
; COMPUTE_PGM_RSRC2:TGID_X_EN: 1
; COMPUTE_PGM_RSRC2:TGID_Y_EN: 1
; COMPUTE_PGM_RSRC2:TGID_Z_EN: 0
; COMPUTE_PGM_RSRC2:TIDIG_COMP_CNT: 0
; COMPUTE_PGM_RSRC3_GFX90A:ACCUM_OFFSET: 22
; COMPUTE_PGM_RSRC3_GFX90A:TG_SPLIT: 0
	.section	.text._Z35paged_attention_ll4mi_reduce_kernelIDF16_hLi128ELi128ELi256ELi16EEvPT0_PKfS3_PKT_PKiS8_iS3_,"axG",@progbits,_Z35paged_attention_ll4mi_reduce_kernelIDF16_hLi128ELi128ELi256ELi16EEvPT0_PKfS3_PKT_PKiS8_iS3_,comdat
	.protected	_Z35paged_attention_ll4mi_reduce_kernelIDF16_hLi128ELi128ELi256ELi16EEvPT0_PKfS3_PKT_PKiS8_iS3_ ; -- Begin function _Z35paged_attention_ll4mi_reduce_kernelIDF16_hLi128ELi128ELi256ELi16EEvPT0_PKfS3_PKT_PKiS8_iS3_
	.globl	_Z35paged_attention_ll4mi_reduce_kernelIDF16_hLi128ELi128ELi256ELi16EEvPT0_PKfS3_PKT_PKiS8_iS3_
	.p2align	8
	.type	_Z35paged_attention_ll4mi_reduce_kernelIDF16_hLi128ELi128ELi256ELi16EEvPT0_PKfS3_PKT_PKiS8_iS3_,@function
_Z35paged_attention_ll4mi_reduce_kernelIDF16_hLi128ELi128ELi256ELi16EEvPT0_PKfS3_PKT_PKiS8_iS3_: ; @_Z35paged_attention_ll4mi_reduce_kernelIDF16_hLi128ELi128ELi256ELi16EEvPT0_PKfS3_PKT_PKiS8_iS3_
; %bb.0:
	s_load_dwordx2 s[48:49], s[0:1], 0x28
	s_mov_b32 s38, s3
	s_mov_b64 s[4:5], 0
	s_waitcnt lgkmcnt(0)
	s_cmp_lg_u64 s[48:49], 0
	s_cselect_b64 s[50:51], -1, 0
	s_and_b64 vcc, exec, s[50:51]
	s_cbranch_vccz .LBB227_23
; %bb.1:
	s_add_i32 s6, s38, 1
	s_mov_b32 s7, 0
	s_lshl_b64 s[8:9], s[6:7], 2
	s_add_u32 s8, s48, s8
	s_mov_b32 s39, s7
	s_addc_u32 s9, s49, s9
	s_lshl_b64 s[6:7], s[38:39], 2
	s_add_u32 s6, s48, s6
	s_addc_u32 s7, s49, s7
	s_load_dword s3, s[8:9], 0x0
	s_load_dword s10, s[6:7], 0x0
	s_waitcnt lgkmcnt(0)
	s_sub_i32 s3, s3, s10
	s_cmp_eq_u32 s3, 1
	s_cselect_b64 s[6:7], -1, 0
	s_andn2_b64 vcc, exec, s[4:5]
	s_cbranch_vccnz .LBB227_3
.LBB227_2:
	s_mov_b32 s39, 0
	s_mov_b64 s[6:7], -1
.LBB227_3:
	s_andn2_b64 vcc, exec, s[6:7]
	s_cbranch_vccz .LBB227_5
; %bb.4:
	s_endpgm
.LBB227_5:
	s_load_dwordx4 s[40:43], s[0:1], 0x18
	s_load_dword s8, s[0:1], 0x30
	s_lshl_b64 s[52:53], s[38:39], 2
	v_cmp_lt_u32_e32 vcc, 63, v0
	s_waitcnt lgkmcnt(0)
	s_add_u32 s4, s42, s52
	s_addc_u32 s5, s43, s53
	s_load_dword s60, s[4:5], 0x0
	s_load_dword s3, s[0:1], 0x40
	s_mul_i32 s42, s2, s8
	s_mul_i32 s6, s38, s8
	s_waitcnt lgkmcnt(0)
	s_add_i32 s7, s60, 0xff
	s_ashr_i32 s4, s7, 31
	s_lshr_b32 s4, s4, 24
	s_add_i32 s7, s7, s4
	s_and_saveexec_b64 s[4:5], vcc
	s_xor_b64 s[4:5], exec, s[4:5]
	s_or_saveexec_b64 s[54:55], s[4:5]
	s_ashr_i32 s33, s7, 8
	v_mov_b32_e32 v1, s42
	s_mul_i32 s56, s6, s3
	s_xor_b64 exec, exec, s[54:55]
	s_cbranch_execz .LBB227_9
; %bb.6:
	s_add_i32 s4, s33, -1
	v_or_b32_e32 v3, 64, v0
	v_mov_b32_e32 v1, s4
	v_cmp_gt_u32_e64 s[22:23], s33, v3
	s_load_dwordx4 s[44:47], s[0:1], 0x8
	s_mov_b32 s57, 0
	v_cndmask_b32_e64 v4, v1, v3, s[22:23]
	v_or_b32_e32 v3, 0x80, v0
	v_cmp_gt_u32_e64 s[20:21], s33, v3
	s_lshl_b64 s[58:59], s[56:57], 2
	s_mov_b32 s43, s57
	v_cndmask_b32_e64 v6, v1, v3, s[20:21]
	v_or_b32_e32 v3, 0xc0, v0
	v_cmp_gt_u32_e64 s[18:19], s33, v3
	v_cmp_gt_u32_e64 s[24:25], s33, v0
	s_waitcnt lgkmcnt(0)
	s_add_u32 s36, s46, s58
	v_cndmask_b32_e64 v8, v1, v3, s[18:19]
	v_or_b32_e32 v3, 0x100, v0
	v_cmp_gt_u32_e64 s[16:17], s33, v3
	v_cndmask_b32_e64 v2, v1, v0, s[24:25]
	s_addc_u32 s37, s47, s59
	v_cndmask_b32_e64 v10, v1, v3, s[16:17]
	v_or_b32_e32 v3, 0x140, v0
	v_cmp_gt_u32_e64 s[14:15], s33, v3
	s_lshl_b64 s[46:47], s[42:43], 2
	s_add_u32 s36, s36, s46
	v_cndmask_b32_e64 v12, v1, v3, s[14:15]
	v_or_b32_e32 v3, 0x180, v0
	v_cmp_gt_u32_e64 s[10:11], s33, v3
	v_ashrrev_i32_e32 v5, 31, v4
	v_ashrrev_i32_e32 v7, 31, v6
	v_cndmask_b32_e64 v14, v1, v3, s[10:11]
	v_or_b32_e32 v3, 0x1c0, v0
	v_cmp_gt_u32_e64 s[8:9], s33, v3
	v_ashrrev_i32_e32 v9, 31, v8
	s_addc_u32 s37, s37, s47
	v_cndmask_b32_e64 v16, v1, v3, s[8:9]
	v_or_b32_e32 v3, 0x200, v0
	v_cmp_gt_u32_e64 s[6:7], s33, v3
	v_lshlrev_b64 v[20:21], 2, v[4:5]
	v_lshlrev_b64 v[18:19], 2, v[6:7]
	v_cndmask_b32_e64 v24, v1, v3, s[6:7]
	v_or_b32_e32 v3, 0x240, v0
	v_cmp_gt_u32_e64 s[4:5], s33, v3
	v_lshlrev_b64 v[4:5], 2, v[8:9]
	v_ashrrev_i32_e32 v11, 31, v10
	v_cndmask_b32_e64 v26, v1, v3, s[4:5]
	v_or_b32_e32 v3, 0x280, v0
	v_cmp_gt_u32_e32 vcc, s33, v3
	v_ashrrev_i32_e32 v13, 31, v12
	v_ashrrev_i32_e32 v15, 31, v14
	v_cndmask_b32_e32 v28, v1, v3, vcc
	v_or_b32_e32 v3, 0x2c0, v0
	v_cmp_gt_u32_e64 s[34:35], s33, v3
	v_ashrrev_i32_e32 v17, 31, v16
	v_lshl_add_u64 v[42:43], s[36:37], 0, v[20:21]
	v_cndmask_b32_e64 v30, v1, v3, s[34:35]
	v_or_b32_e32 v3, 0x300, v0
	v_cmp_gt_u32_e64 s[30:31], s33, v3
	v_lshl_add_u64 v[44:45], s[36:37], 0, v[18:19]
	v_lshl_add_u64 v[46:47], s[36:37], 0, v[4:5]
	v_cndmask_b32_e64 v32, v1, v3, s[30:31]
	v_or_b32_e32 v3, 0x340, v0
	v_cmp_gt_u32_e64 s[28:29], s33, v3
	v_lshlrev_b64 v[6:7], 2, v[12:13]
	v_lshlrev_b64 v[8:9], 2, v[14:15]
	v_cndmask_b32_e64 v34, v1, v3, s[28:29]
	v_or_b32_e32 v3, 0x380, v0
	v_cmp_gt_u32_e64 s[26:27], s33, v3
	v_lshlrev_b64 v[16:17], 2, v[16:17]
	v_lshl_add_u64 v[12:13], s[36:37], 0, v[6:7]
	v_cndmask_b32_e64 v36, v1, v3, s[26:27]
	v_or_b32_e32 v3, 0x3c0, v0
	v_cmp_gt_u32_e64 s[12:13], s33, v3
	v_lshl_add_u64 v[14:15], s[36:37], 0, v[8:9]
	v_lshl_add_u64 v[52:53], s[36:37], 0, v[16:17]
	v_cndmask_b32_e64 v38, v1, v3, s[12:13]
	v_ashrrev_i32_e32 v3, 31, v2
	v_lshlrev_b64 v[22:23], 2, v[2:3]
	v_lshl_add_u64 v[40:41], s[36:37], 0, v[22:23]
	v_lshlrev_b64 v[2:3], 2, v[10:11]
	v_lshl_add_u64 v[10:11], s[36:37], 0, v[2:3]
	global_load_dword v51, v[40:41], off
	global_load_dword v50, v[42:43], off
	;; [unrolled: 1-line block ×3, first 2 shown]
	s_nop 0
	global_load_dword v47, v[46:47], off
	s_nop 0
	global_load_dword v45, v[10:11], off
	global_load_dword v44, v[12:13], off
	;; [unrolled: 1-line block ×4, first 2 shown]
	v_ashrrev_i32_e32 v25, 31, v24
	v_ashrrev_i32_e32 v27, 31, v26
	;; [unrolled: 1-line block ×3, first 2 shown]
	v_lshlrev_b64 v[24:25], 2, v[24:25]
	v_lshlrev_b64 v[26:27], 2, v[26:27]
	;; [unrolled: 1-line block ×3, first 2 shown]
	v_ashrrev_i32_e32 v31, 31, v30
	v_ashrrev_i32_e32 v33, 31, v32
	v_ashrrev_i32_e32 v35, 31, v34
	v_ashrrev_i32_e32 v37, 31, v36
	v_ashrrev_i32_e32 v39, 31, v38
	v_lshl_add_u64 v[14:15], s[36:37], 0, v[24:25]
	v_lshl_add_u64 v[52:53], s[36:37], 0, v[26:27]
	;; [unrolled: 1-line block ×3, first 2 shown]
	v_lshlrev_b64 v[10:11], 2, v[30:31]
	v_lshlrev_b64 v[58:59], 2, v[32:33]
	v_lshlrev_b64 v[28:29], 2, v[34:35]
	v_lshlrev_b64 v[30:31], 2, v[36:37]
	v_lshlrev_b64 v[32:33], 2, v[38:39]
	v_lshl_add_u64 v[56:57], s[36:37], 0, v[10:11]
	v_lshl_add_u64 v[60:61], s[36:37], 0, v[58:59]
	;; [unrolled: 1-line block ×5, first 2 shown]
	global_load_dword v42, v[14:15], off
	global_load_dword v40, v[52:53], off
	;; [unrolled: 1-line block ×3, first 2 shown]
	s_nop 0
	global_load_dword v55, v[56:57], off
	global_load_dword v54, v[60:61], off
	;; [unrolled: 1-line block ×5, first 2 shown]
	s_mov_b32 s43, 0x3fb8aa3b
	s_waitcnt vmcnt(15)
	v_max_f32_e32 v14, v51, v51
	s_waitcnt vmcnt(14)
	v_max_f32_e32 v1, v50, v50
	v_max_f32_e32 v1, v14, v1
	s_waitcnt vmcnt(12)
	v_max3_f32 v1, v1, v48, v47
	s_waitcnt vmcnt(10)
	v_max3_f32 v1, v1, v45, v44
	;; [unrolled: 2-line block ×7, first 2 shown]
	v_mbcnt_lo_u32_b32 v1, -1, 0
	v_mbcnt_hi_u32_b32 v15, -1, v1
	v_and_b32_e32 v1, 64, v15
	v_add_u32_e32 v39, 64, v1
	v_xor_b32_e32 v1, 32, v15
	v_cmp_lt_i32_e64 s[36:37], v1, v39
	s_nop 1
	v_cndmask_b32_e64 v1, v15, v1, s[36:37]
	v_lshlrev_b32_e32 v1, 2, v1
	ds_bpermute_b32 v34, v1, v14
	s_waitcnt lgkmcnt(0)
	v_max_f32_e32 v34, v34, v34
	v_max_f32_e32 v14, v14, v34
	v_xor_b32_e32 v34, 16, v15
	v_cmp_lt_i32_e64 s[36:37], v34, v39
	s_nop 1
	v_cndmask_b32_e64 v34, v15, v34, s[36:37]
	v_lshlrev_b32_e32 v34, 2, v34
	ds_bpermute_b32 v35, v34, v14
	s_waitcnt lgkmcnt(0)
	v_max_f32_e32 v35, v35, v35
	v_max_f32_e32 v14, v14, v35
	;; [unrolled: 9-line block ×5, first 2 shown]
	v_xor_b32_e32 v14, 1, v15
	v_cmp_lt_i32_e64 s[36:37], v14, v39
	s_nop 1
	v_cndmask_b32_e64 v14, v15, v14, s[36:37]
	v_lshlrev_b32_e32 v39, 2, v14
	ds_bpermute_b32 v56, v39, v49
	s_add_u32 s36, s44, s58
	s_addc_u32 s37, s45, s59
	s_add_u32 s44, s36, s46
	s_addc_u32 s45, s37, s47
	s_waitcnt lgkmcnt(0)
	v_max_f32_e32 v56, v56, v56
	v_max_f32_e32 v49, v49, v56
	v_sub_f32_e32 v55, v55, v49
	v_mul_f32_e32 v56, 0x3fb8aa3b, v55
	v_lshl_add_u64 v[14:15], s[44:45], 0, v[58:59]
	v_fma_f32 v57, v55, s43, -v56
	v_rndne_f32_e32 v58, v56
	v_fmac_f32_e32 v57, 0x32a5705f, v55
	v_sub_f32_e32 v56, v56, v58
	v_add_f32_e32 v56, v56, v57
	v_exp_f32_e32 v56, v56
	v_cvt_i32_f32_e32 v57, v58
	v_lshl_add_u64 v[28:29], s[44:45], 0, v[28:29]
	v_lshl_add_u64 v[10:11], s[44:45], 0, v[10:11]
	;; [unrolled: 1-line block ×4, first 2 shown]
	v_ldexp_f32 v58, v56, v57
	v_lshl_add_u64 v[56:57], s[44:45], 0, v[12:13]
	global_load_dword v12, v[14:15], off
	global_load_dword v13, v[28:29], off
	s_nop 0
	global_load_dword v14, v[30:31], off
	global_load_dword v15, v[32:33], off
	;; [unrolled: 1-line block ×3, first 2 shown]
	s_mov_b32 s47, 0xc2ce8ed0
	global_load_dword v11, v[10:11], off
	s_mov_b32 s46, 0x42b17218
	v_cmp_ngt_f32_e64 s[36:37], s47, v55
	v_mov_b32_e32 v30, 0x7f800000
	v_sub_f32_e32 v10, v54, v49
	v_cndmask_b32_e64 v29, 0, v58, s[36:37]
	v_cmp_nlt_f32_e64 s[36:37], s46, v55
	v_lshl_add_u64 v[4:5], s[44:45], 0, v[4:5]
	v_lshl_add_u64 v[2:3], s[44:45], 0, v[2:3]
	v_cndmask_b32_e64 v29, v30, v29, s[36:37]
	v_cndmask_b32_e64 v29, 0, v29, s[34:35]
	v_cmp_ngt_f32_e64 s[34:35], s47, v10
	s_waitcnt vmcnt(0)
	v_mul_f32_e32 v29, v11, v29
	v_mul_f32_e32 v11, 0x3fb8aa3b, v10
	v_fma_f32 v31, v10, s43, -v11
	v_rndne_f32_e32 v32, v11
	v_fmac_f32_e32 v31, 0x32a5705f, v10
	v_sub_f32_e32 v11, v11, v32
	v_add_f32_e32 v11, v11, v31
	v_exp_f32_e32 v11, v11
	v_cvt_i32_f32_e32 v31, v32
	v_ldexp_f32 v11, v11, v31
	v_cndmask_b32_e64 v11, 0, v11, s[34:35]
	v_cmp_nlt_f32_e64 s[34:35], s46, v10
	s_nop 1
	v_cndmask_b32_e64 v10, v30, v11, s[34:35]
	v_cndmask_b32_e64 v10, 0, v10, s[30:31]
	v_mul_f32_e32 v12, v12, v10
	v_lshl_add_u64 v[10:11], s[44:45], 0, v[22:23]
	global_load_dword v22, v[10:11], off
	v_lshl_add_u64 v[10:11], s[44:45], 0, v[24:25]
	global_load_dword v23, v[10:11], off
	v_lshl_add_u64 v[10:11], s[44:45], 0, v[26:27]
	v_sub_f32_e32 v25, v53, v49
	global_load_dword v24, v[10:11], off
	v_mul_f32_e32 v10, 0x3fb8aa3b, v25
	v_fma_f32 v11, v25, s43, -v10
	v_rndne_f32_e32 v26, v10
	v_fmac_f32_e32 v11, 0x32a5705f, v25
	v_sub_f32_e32 v10, v10, v26
	v_add_f32_e32 v27, v10, v11
	v_lshl_add_u64 v[10:11], s[44:45], 0, v[20:21]
	global_load_dword v20, v[10:11], off
	v_exp_f32_e32 v10, v27
	v_cvt_i32_f32_e32 v11, v26
	v_sub_f32_e32 v26, v52, v49
	v_cmp_ngt_f32_e64 s[30:31], s47, v25
	v_ldexp_f32 v21, v10, v11
	v_mul_f32_e32 v10, 0x3fb8aa3b, v26
	v_fma_f32 v11, v26, s43, -v10
	v_rndne_f32_e32 v27, v10
	v_fmac_f32_e32 v11, 0x32a5705f, v26
	v_sub_f32_e32 v10, v10, v27
	v_add_f32_e32 v31, v10, v11
	v_lshl_add_u64 v[10:11], s[44:45], 0, v[18:19]
	global_load_dword v10, v[10:11], off
	v_exp_f32_e32 v18, v31
	v_cvt_i32_f32_e32 v19, v27
	v_cndmask_b32_e64 v11, 0, v21, s[30:31]
	v_cmp_nlt_f32_e64 s[30:31], s46, v25
	s_nop 1
	v_cndmask_b32_e64 v11, v30, v11, s[30:31]
	v_cndmask_b32_e64 v11, 0, v11, s[28:29]
	v_mul_f32_e32 v11, v13, v11
	v_ldexp_f32 v13, v18, v19
	v_cmp_ngt_f32_e64 s[28:29], s47, v26
	global_load_dword v18, v[4:5], off
	s_nop 0
	v_cndmask_b32_e64 v13, 0, v13, s[28:29]
	v_cmp_nlt_f32_e64 s[28:29], s46, v26
	s_nop 1
	v_cndmask_b32_e64 v13, v30, v13, s[28:29]
	v_cndmask_b32_e64 v13, 0, v13, s[26:27]
	v_mul_f32_e32 v13, v14, v13
	v_sub_f32_e32 v14, v51, v49
	v_mul_f32_e32 v4, 0x3fb8aa3b, v14
	v_fma_f32 v5, v14, s43, -v4
	v_rndne_f32_e32 v19, v4
	v_fmac_f32_e32 v5, 0x32a5705f, v14
	v_sub_f32_e32 v4, v4, v19
	v_add_f32_e32 v21, v4, v5
	v_lshl_add_u64 v[4:5], s[44:45], 0, v[6:7]
	v_lshl_add_u64 v[6:7], s[44:45], 0, v[8:9]
	;; [unrolled: 1-line block ×3, first 2 shown]
	global_load_dword v16, v[2:3], off
	global_load_dword v17, v[4:5], off
	global_load_dword v25, v[6:7], off
	global_load_dword v26, v[8:9], off
	v_sub_f32_e32 v3, v50, v49
	v_mul_f32_e32 v4, 0x3fb8aa3b, v3
	v_fma_f32 v5, v3, s43, -v4
	v_rndne_f32_e32 v6, v4
	v_fmac_f32_e32 v5, 0x32a5705f, v3
	v_sub_f32_e32 v4, v4, v6
	v_add_f32_e32 v4, v4, v5
	v_exp_f32_e32 v4, v4
	v_cvt_i32_f32_e32 v5, v6
	v_exp_f32_e32 v21, v21
	v_cvt_i32_f32_e32 v19, v19
	v_cmp_ngt_f32_e64 s[26:27], s47, v14
	v_ldexp_f32 v4, v4, v5
	v_sub_f32_e32 v5, v48, v49
	v_mul_f32_e32 v6, 0x3fb8aa3b, v5
	v_fma_f32 v7, v5, s43, -v6
	v_rndne_f32_e32 v8, v6
	v_fmac_f32_e32 v7, 0x32a5705f, v5
	v_sub_f32_e32 v6, v6, v8
	v_ldexp_f32 v2, v21, v19
	v_add_f32_e32 v6, v6, v7
	v_cndmask_b32_e64 v2, 0, v2, s[26:27]
	v_cmp_nlt_f32_e64 s[26:27], s46, v14
	v_exp_f32_e32 v6, v6
	v_cvt_i32_f32_e32 v7, v8
	v_cndmask_b32_e64 v2, v30, v2, s[26:27]
	v_cndmask_b32_e64 v2, 0, v2, s[24:25]
	v_cmp_ngt_f32_e64 s[24:25], s47, v3
	s_waitcnt vmcnt(9)
	v_mul_f32_e32 v2, v22, v2
	v_cndmask_b32_e64 v4, 0, v4, s[24:25]
	v_cmp_nlt_f32_e64 s[24:25], s46, v3
	s_nop 1
	v_cndmask_b32_e64 v3, v30, v4, s[24:25]
	v_ldexp_f32 v4, v6, v7
	v_sub_f32_e32 v6, v47, v49
	v_mul_f32_e32 v7, 0x3fb8aa3b, v6
	v_fma_f32 v8, v6, s43, -v7
	v_rndne_f32_e32 v9, v7
	v_fmac_f32_e32 v8, 0x32a5705f, v6
	v_sub_f32_e32 v7, v7, v9
	v_add_f32_e32 v7, v7, v8
	v_exp_f32_e32 v7, v7
	v_cvt_i32_f32_e32 v8, v9
	v_cndmask_b32_e64 v3, 0, v3, s[22:23]
	v_cmp_ngt_f32_e64 s[22:23], s47, v5
	s_waitcnt vmcnt(6)
	v_mul_f32_e32 v3, v20, v3
	v_cndmask_b32_e64 v4, 0, v4, s[22:23]
	v_cmp_nlt_f32_e64 s[22:23], s46, v5
	v_ldexp_f32 v5, v7, v8
	v_sub_f32_e32 v7, v45, v49
	v_cndmask_b32_e64 v4, v30, v4, s[22:23]
	v_cndmask_b32_e64 v4, 0, v4, s[20:21]
	v_mul_f32_e32 v8, 0x3fb8aa3b, v7
	s_waitcnt vmcnt(5)
	v_mul_f32_e32 v4, v10, v4
	v_fma_f32 v9, v7, s43, -v8
	v_rndne_f32_e32 v10, v8
	v_fmac_f32_e32 v9, 0x32a5705f, v7
	v_sub_f32_e32 v8, v8, v10
	v_add_f32_e32 v8, v8, v9
	v_exp_f32_e32 v8, v8
	v_cvt_i32_f32_e32 v9, v10
	v_cmp_ngt_f32_e64 s[20:21], s47, v6
	s_nop 1
	v_cndmask_b32_e64 v5, 0, v5, s[20:21]
	v_cmp_nlt_f32_e64 s[20:21], s46, v6
	v_ldexp_f32 v6, v8, v9
	v_sub_f32_e32 v8, v44, v49
	v_mul_f32_e32 v9, 0x3fb8aa3b, v8
	v_fma_f32 v10, v8, s43, -v9
	v_rndne_f32_e32 v14, v9
	v_fmac_f32_e32 v10, 0x32a5705f, v8
	v_sub_f32_e32 v9, v9, v14
	v_cndmask_b32_e64 v5, v30, v5, s[20:21]
	v_add_f32_e32 v9, v9, v10
	v_cndmask_b32_e64 v5, 0, v5, s[18:19]
	v_cmp_ngt_f32_e64 s[18:19], s47, v7
	v_exp_f32_e32 v9, v9
	v_cvt_i32_f32_e32 v10, v14
	v_cndmask_b32_e64 v6, 0, v6, s[18:19]
	v_cmp_nlt_f32_e64 s[18:19], s46, v7
	v_sub_f32_e32 v7, v43, v49
	s_waitcnt vmcnt(4)
	v_mul_f32_e32 v5, v18, v5
	v_cndmask_b32_e64 v6, v30, v6, s[18:19]
	v_cndmask_b32_e64 v6, 0, v6, s[16:17]
	s_waitcnt vmcnt(3)
	v_mul_f32_e32 v14, v16, v6
	v_ldexp_f32 v6, v9, v10
	v_mul_f32_e32 v9, 0x3fb8aa3b, v7
	v_fma_f32 v10, v7, s43, -v9
	v_rndne_f32_e32 v16, v9
	v_cmp_ngt_f32_e64 s[16:17], s47, v8
	v_fmac_f32_e32 v10, 0x32a5705f, v7
	v_sub_f32_e32 v9, v9, v16
	v_cndmask_b32_e64 v6, 0, v6, s[16:17]
	v_add_f32_e32 v9, v9, v10
	v_cmp_nlt_f32_e64 s[16:17], s46, v8
	v_exp_f32_e32 v9, v9
	v_cvt_i32_f32_e32 v10, v16
	v_cndmask_b32_e64 v6, v30, v6, s[16:17]
	v_cndmask_b32_e64 v6, 0, v6, s[14:15]
	s_waitcnt vmcnt(2)
	v_mul_f32_e32 v16, v17, v6
	v_sub_f32_e32 v17, v46, v49
	v_mul_f32_e32 v18, 0x3fb8aa3b, v17
	v_ldexp_f32 v6, v9, v10
	v_cmp_ngt_f32_e64 s[14:15], s47, v7
	v_fma_f32 v19, v17, s43, -v18
	v_rndne_f32_e32 v20, v18
	v_cndmask_b32_e64 v6, 0, v6, s[14:15]
	v_cmp_nlt_f32_e64 s[14:15], s46, v7
	v_sub_f32_e32 v7, v41, v49
	v_fmac_f32_e32 v19, 0x32a5705f, v17
	v_sub_f32_e32 v18, v18, v20
	v_mul_f32_e32 v8, 0x3fb8aa3b, v7
	v_add_f32_e32 v18, v18, v19
	v_fma_f32 v9, v7, s43, -v8
	v_rndne_f32_e32 v10, v8
	v_exp_f32_e32 v18, v18
	v_cvt_i32_f32_e32 v19, v20
	v_fmac_f32_e32 v9, 0x32a5705f, v7
	v_sub_f32_e32 v8, v8, v10
	v_add_f32_e32 v8, v8, v9
	v_cndmask_b32_e64 v6, v30, v6, s[14:15]
	v_exp_f32_e32 v8, v8
	v_cvt_i32_f32_e32 v9, v10
	v_cndmask_b32_e64 v6, 0, v6, s[10:11]
	v_ldexp_f32 v10, v18, v19
	v_cmp_ngt_f32_e64 s[10:11], s47, v17
	v_ldexp_f32 v8, v8, v9
	v_sub_f32_e32 v9, v42, v49
	v_cndmask_b32_e64 v10, 0, v10, s[10:11]
	v_cmp_nlt_f32_e64 s[10:11], s46, v17
	s_waitcnt vmcnt(1)
	v_mul_f32_e32 v6, v25, v6
	v_lshlrev_b32_e32 v17, 2, v0
	v_cndmask_b32_e64 v10, v30, v10, s[10:11]
	v_cndmask_b32_e64 v10, 0, v10, s[12:13]
	v_mul_f32_e32 v15, v15, v10
	v_mul_f32_e32 v10, 0x3fb8aa3b, v9
	v_cmp_ngt_f32_e64 s[10:11], s47, v7
	v_fma_f32 v18, v9, s43, -v10
	v_rndne_f32_e32 v19, v10
	v_cndmask_b32_e64 v8, 0, v8, s[10:11]
	v_cmp_nlt_f32_e64 s[10:11], s46, v7
	v_fmac_f32_e32 v18, 0x32a5705f, v9
	v_sub_f32_e32 v10, v10, v19
	v_cndmask_b32_e64 v7, v30, v8, s[10:11]
	v_add_f32_e32 v8, v2, v3
	v_add_f32_e32 v10, v10, v18
	;; [unrolled: 1-line block ×3, first 2 shown]
	v_exp_f32_e32 v10, v10
	v_cvt_i32_f32_e32 v18, v19
	v_add_f32_e32 v8, v8, v5
	v_cndmask_b32_e64 v7, 0, v7, s[8:9]
	v_add_f32_e32 v8, v8, v14
	s_waitcnt vmcnt(0)
	v_mul_f32_e32 v7, v26, v7
	v_add_f32_e32 v8, v8, v16
	ds_write2st64_b32 v17, v6, v7 offset0:6 offset1:7
	v_add_f32_e32 v6, v8, v6
	v_ldexp_f32 v8, v10, v18
	v_sub_f32_e32 v10, v40, v49
	v_mul_f32_e32 v18, 0x3fb8aa3b, v10
	v_fma_f32 v19, v10, s43, -v18
	v_rndne_f32_e32 v20, v18
	v_fmac_f32_e32 v19, 0x32a5705f, v10
	v_sub_f32_e32 v18, v18, v20
	v_add_f32_e32 v18, v18, v19
	v_exp_f32_e32 v18, v18
	v_cvt_i32_f32_e32 v19, v20
	v_cmp_ngt_f32_e64 s[8:9], s47, v9
	v_add_f32_e32 v6, v6, v7
	s_nop 0
	v_cndmask_b32_e64 v8, 0, v8, s[8:9]
	v_cmp_nlt_f32_e64 s[8:9], s46, v9
	v_ldexp_f32 v9, v18, v19
	v_sub_f32_e32 v18, v36, v49
	v_mul_f32_e32 v19, 0x3fb8aa3b, v18
	v_fma_f32 v20, v18, s43, -v19
	v_rndne_f32_e32 v21, v19
	v_cndmask_b32_e64 v8, v30, v8, s[8:9]
	v_fmac_f32_e32 v20, 0x32a5705f, v18
	v_sub_f32_e32 v19, v19, v21
	v_cndmask_b32_e64 v8, 0, v8, s[6:7]
	v_cmp_ngt_f32_e64 s[6:7], s47, v10
	v_add_f32_e32 v19, v19, v20
	v_mul_f32_e32 v8, v23, v8
	v_cndmask_b32_e64 v9, 0, v9, s[6:7]
	v_cmp_nlt_f32_e64 s[6:7], s46, v10
	v_exp_f32_e32 v10, v19
	v_cvt_i32_f32_e32 v19, v21
	v_cndmask_b32_e64 v9, v30, v9, s[6:7]
	v_cndmask_b32_e64 v9, 0, v9, s[4:5]
	v_cmp_ngt_f32_e64 s[4:5], s47, v18
	v_ldexp_f32 v7, v10, v19
	v_mul_f32_e32 v9, v24, v9
	v_cndmask_b32_e64 v7, 0, v7, s[4:5]
	v_cmp_nlt_f32_e64 s[4:5], s46, v18
	v_add_f32_e32 v6, v6, v8
	v_add_f32_e32 v6, v6, v9
	v_cndmask_b32_e64 v7, v30, v7, s[4:5]
	v_cndmask_b32_e32 v7, 0, v7, vcc
	v_mul_f32_e32 v10, v28, v7
	v_add_f32_e32 v6, v6, v10
	v_add_f32_e32 v6, v6, v29
	;; [unrolled: 1-line block ×6, first 2 shown]
	ds_bpermute_b32 v1, v1, v6
	ds_write2st64_b32 v17, v2, v3 offset1:1
	ds_write2st64_b32 v17, v4, v5 offset0:2 offset1:3
	ds_write2st64_b32 v17, v14, v16 offset0:4 offset1:5
	;; [unrolled: 1-line block ×3, first 2 shown]
	v_cmp_eq_u32_e32 vcc, 0, v0
	ds_write2st64_b32 v17, v10, v29 offset0:10 offset1:11
	ds_write2st64_b32 v17, v12, v11 offset0:12 offset1:13
	;; [unrolled: 1-line block ×3, first 2 shown]
	s_waitcnt lgkmcnt(7)
	v_add_f32_e32 v1, v6, v1
	ds_bpermute_b32 v6, v34, v1
	s_waitcnt lgkmcnt(0)
	v_add_f32_e32 v1, v1, v6
	ds_bpermute_b32 v6, v35, v1
	;; [unrolled: 3-line block ×5, first 2 shown]
	s_and_saveexec_b64 s[4:5], vcc
	s_cbranch_execz .LBB227_8
; %bb.7:
	s_waitcnt lgkmcnt(0)
	v_add_f32_e32 v1, v1, v2
	v_mov_b32_e32 v2, 0
	ds_write_b32 v2, v1 offset:4096
.LBB227_8:
	s_or_b64 exec, exec, s[4:5]
	v_mov_b32_e32 v1, s42
.LBB227_9:
	s_or_b64 exec, exec, s[54:55]
	s_lshl_b32 s4, s56, 7
	s_mov_b32 s5, 0
	s_lshl_b64 s[4:5], s[4:5], 1
	s_add_u32 s4, s40, s4
	s_addc_u32 s5, s41, s5
	s_lshl_b32 s10, s33, 7
	s_waitcnt lgkmcnt(0)
	v_lshlrev_b32_e32 v2, 7, v1
	v_mov_b32_e32 v1, 0
	s_add_i32 s11, s10, 0xffffff80
	v_mov_b32_e32 v3, v1
	s_cmp_lt_i32 s60, 1
	v_lshl_add_u64 v[2:3], v[2:3], 1, s[4:5]
	s_cselect_b32 s4, s11, 0
	v_lshlrev_b32_e32 v4, 1, v0
	v_mov_b32_e32 v5, v1
	s_ashr_i32 s5, s4, 31
	v_lshl_add_u64 v[2:3], v[2:3], 0, v[4:5]
	s_cmpk_lt_i32 s60, 0x101
	v_lshl_add_u64 v[12:13], s[4:5], 1, v[2:3]
	s_cselect_b32 s4, s11, 0x80
	s_ashr_i32 s5, s4, 31
	s_cmpk_lt_i32 s60, 0x201
	v_lshl_add_u64 v[14:15], s[4:5], 1, v[2:3]
	s_cselect_b32 s4, s11, 0x100
	s_ashr_i32 s5, s4, 31
	;; [unrolled: 4-line block ×8, first 2 shown]
	s_cmpk_lt_i32 s60, 0x901
	global_load_ushort v4, v[12:13], off
	global_load_ushort v5, v[14:15], off
	;; [unrolled: 1-line block ×8, first 2 shown]
	v_lshl_add_u64 v[20:21], s[4:5], 1, v[2:3]
	s_cselect_b32 s4, s11, 0x480
	s_ashr_i32 s5, s4, 31
	s_cmpk_lt_i32 s60, 0xa01
	v_lshl_add_u64 v[22:23], s[4:5], 1, v[2:3]
	s_cselect_b32 s4, s11, 0x500
	s_ashr_i32 s5, s4, 31
	s_cmpk_lt_i32 s60, 0xb01
	v_lshl_add_u64 v[24:25], s[4:5], 1, v[2:3]
	s_cselect_b32 s4, s11, 0x580
	s_ashr_i32 s5, s4, 31
	s_cmpk_lt_i32 s60, 0xc01
	v_lshl_add_u64 v[26:27], s[4:5], 1, v[2:3]
	s_cselect_b32 s4, s11, 0x600
	s_ashr_i32 s5, s4, 31
	s_cmpk_lt_i32 s60, 0xd01
	v_lshl_add_u64 v[28:29], s[4:5], 1, v[2:3]
	s_cselect_b32 s4, s11, 0x680
	s_ashr_i32 s5, s4, 31
	s_cmpk_lt_i32 s60, 0xe01
	v_lshl_add_u64 v[30:31], s[4:5], 1, v[2:3]
	s_cselect_b32 s4, s11, 0x700
	s_ashr_i32 s5, s4, 31
	s_cmpk_lt_i32 s60, 0xf01
	v_lshl_add_u64 v[32:33], s[4:5], 1, v[2:3]
	s_cselect_b32 s4, s11, 0x780
	s_ashr_i32 s5, s4, 31
	v_lshl_add_u64 v[34:35], s[4:5], 1, v[2:3]
	global_load_ushort v12, v[20:21], off
	global_load_ushort v13, v[22:23], off
	;; [unrolled: 1-line block ×8, first 2 shown]
	s_cmpk_gt_i32 s60, 0x1000
	s_cselect_b64 s[8:9], -1, 0
	s_cmpk_lt_i32 s60, 0x1001
	v_mov_b32_e32 v36, 0
	v_mov_b32_e32 v37, 0
	;; [unrolled: 1-line block ×48, first 2 shown]
	s_barrier
	s_cbranch_scc1 .LBB227_12
; %bb.10:
	s_cmpk_lt_u32 s60, 0x1101
	s_cselect_b32 s4, s11, 0x880
	s_ashr_i32 s5, s4, 31
	s_cmpk_lt_u32 s60, 0x1201
	v_lshl_add_u64 v[30:31], s[4:5], 1, v[2:3]
	s_cselect_b32 s4, s11, 0x900
	s_ashr_i32 s5, s4, 31
	s_cmpk_lt_u32 s60, 0x1301
	v_lshl_add_u64 v[32:33], s[4:5], 1, v[2:3]
	;; [unrolled: 4-line block ×7, first 2 shown]
	s_cselect_b32 s4, s11, 0xc00
	v_add_co_u32_e32 v28, vcc, 0x1000, v2
	s_ashr_i32 s5, s4, 31
	s_nop 0
	v_addc_co_u32_e32 v29, vcc, 0, v3, vcc
	s_cmpk_lt_u32 s60, 0x1901
	global_load_ushort v27, v[28:29], off
	global_load_ushort v26, v[30:31], off
	;; [unrolled: 1-line block ×8, first 2 shown]
	v_lshl_add_u64 v[36:37], s[4:5], 1, v[2:3]
	s_cselect_b32 s4, s11, 0xc80
	s_ashr_i32 s5, s4, 31
	s_cmpk_lt_u32 s60, 0x1a01
	v_lshl_add_u64 v[38:39], s[4:5], 1, v[2:3]
	s_cselect_b32 s4, s11, 0xd00
	s_ashr_i32 s5, s4, 31
	s_cmpk_lt_u32 s60, 0x1b01
	;; [unrolled: 4-line block ×6, first 2 shown]
	v_lshl_add_u64 v[48:49], s[4:5], 1, v[2:3]
	s_cselect_b32 s4, s11, 0xf80
	s_ashr_i32 s5, s4, 31
	v_lshl_add_u64 v[50:51], s[4:5], 1, v[2:3]
	global_load_ushort v35, v[36:37], off
	global_load_ushort v34, v[38:39], off
	;; [unrolled: 1-line block ×8, first 2 shown]
	s_cmpk_lt_u32 s60, 0x2001
	v_mov_b32_e32 v67, 0
	v_mov_b32_e32 v66, 0
	;; [unrolled: 1-line block ×32, first 2 shown]
	s_cbranch_scc1 .LBB227_12
; %bb.11:
	s_cmpk_lt_u32 s60, 0x2101
	s_cselect_b32 s4, s11, 0x1080
	s_ashr_i32 s5, s4, 31
	s_cmpk_lt_u32 s60, 0x2201
	v_lshl_add_u64 v[38:39], s[4:5], 1, v[2:3]
	s_cselect_b32 s4, s11, 0x1100
	s_ashr_i32 s5, s4, 31
	s_cmpk_lt_u32 s60, 0x2301
	v_lshl_add_u64 v[40:41], s[4:5], 1, v[2:3]
	;; [unrolled: 4-line block ×7, first 2 shown]
	s_cselect_b32 s4, s11, 0x1400
	v_add_co_u32_e32 v36, vcc, 0x2000, v2
	s_ashr_i32 s5, s4, 31
	s_nop 0
	v_addc_co_u32_e32 v37, vcc, 0, v3, vcc
	s_cmpk_lt_u32 s60, 0x2901
	global_load_ushort v52, v[36:37], off
	global_load_ushort v53, v[38:39], off
	;; [unrolled: 1-line block ×8, first 2 shown]
	v_lshl_add_u64 v[36:37], s[4:5], 1, v[2:3]
	s_cselect_b32 s4, s11, 0x1480
	s_ashr_i32 s5, s4, 31
	s_cmpk_lt_u32 s60, 0x2a01
	v_lshl_add_u64 v[38:39], s[4:5], 1, v[2:3]
	s_cselect_b32 s4, s11, 0x1500
	s_ashr_i32 s5, s4, 31
	s_cmpk_lt_u32 s60, 0x2b01
	v_lshl_add_u64 v[40:41], s[4:5], 1, v[2:3]
	s_cselect_b32 s4, s11, 0x1580
	s_ashr_i32 s5, s4, 31
	s_cmpk_lt_u32 s60, 0x2c01
	v_lshl_add_u64 v[42:43], s[4:5], 1, v[2:3]
	s_cselect_b32 s4, s11, 0x1600
	s_ashr_i32 s5, s4, 31
	s_cmpk_lt_u32 s60, 0x2d01
	v_lshl_add_u64 v[44:45], s[4:5], 1, v[2:3]
	s_cselect_b32 s4, s11, 0x1680
	s_ashr_i32 s5, s4, 31
	s_cmpk_lt_u32 s60, 0x2e01
	v_lshl_add_u64 v[46:47], s[4:5], 1, v[2:3]
	s_cselect_b32 s4, s11, 0x1700
	s_ashr_i32 s5, s4, 31
	s_cmpk_lt_u32 s60, 0x2f01
	v_lshl_add_u64 v[48:49], s[4:5], 1, v[2:3]
	s_cselect_b32 s4, s11, 0x1780
	s_ashr_i32 s5, s4, 31
	s_cmpk_lt_u32 s60, 0x3001
	v_lshl_add_u64 v[50:51], s[4:5], 1, v[2:3]
	s_cselect_b32 s4, s11, 0x1800
	s_ashr_i32 s5, s4, 31
	s_cmpk_lt_u32 s60, 0x3101
	global_load_ushort v68, v[36:37], off
	global_load_ushort v69, v[38:39], off
	;; [unrolled: 1-line block ×8, first 2 shown]
	v_lshl_add_u64 v[36:37], s[4:5], 1, v[2:3]
	s_cselect_b32 s4, s11, 0x1880
	s_ashr_i32 s5, s4, 31
	s_cmpk_lt_u32 s60, 0x3201
	v_lshl_add_u64 v[38:39], s[4:5], 1, v[2:3]
	s_cselect_b32 s4, s11, 0x1900
	s_ashr_i32 s5, s4, 31
	s_cmpk_lt_u32 s60, 0x3301
	;; [unrolled: 4-line block ×8, first 2 shown]
	global_load_ushort v76, v[36:37], off
	global_load_ushort v77, v[38:39], off
	;; [unrolled: 1-line block ×8, first 2 shown]
	v_lshl_add_u64 v[36:37], s[4:5], 1, v[2:3]
	s_cselect_b32 s4, s11, 0x1c80
	s_ashr_i32 s5, s4, 31
	s_cmpk_lt_u32 s60, 0x3a01
	v_lshl_add_u64 v[38:39], s[4:5], 1, v[2:3]
	s_cselect_b32 s4, s11, 0x1d00
	s_ashr_i32 s5, s4, 31
	s_cmpk_lt_u32 s60, 0x3b01
	;; [unrolled: 4-line block ×6, first 2 shown]
	v_lshl_add_u64 v[48:49], s[4:5], 1, v[2:3]
	s_cselect_b32 s4, s11, 0x1f80
	s_ashr_i32 s5, s4, 31
	v_lshl_add_u64 v[50:51], s[4:5], 1, v[2:3]
	global_load_ushort v84, v[36:37], off
	global_load_ushort v85, v[38:39], off
	;; [unrolled: 1-line block ×8, first 2 shown]
	s_waitcnt vmcnt(31)
	v_cvt_f32_f16_e32 v67, v52
	s_waitcnt vmcnt(30)
	v_cvt_f32_f16_e32 v66, v53
	;; [unrolled: 2-line block ×32, first 2 shown]
.LBB227_12:
	ds_read_b128 v[68:71], v1
	s_load_dwordx2 s[4:5], s[0:1], 0x0
	s_load_dwordx2 s[6:7], s[0:1], 0x38
	ds_read_b128 v[72:75], v1 offset:16
	ds_read_b128 v[76:79], v1 offset:32
	;; [unrolled: 1-line block ×3, first 2 shown]
	s_and_b64 vcc, exec, s[8:9]
	s_waitcnt vmcnt(15) lgkmcnt(0)
	v_fma_mix_f32 v4, v68, v4, 0 op_sel_hi:[0,1,0]
	s_waitcnt vmcnt(14)
	v_fma_mix_f32 v4, v69, v5, v4 op_sel_hi:[0,1,0]
	s_waitcnt vmcnt(13)
	;; [unrolled: 2-line block ×15, first 2 shown]
	v_fma_mix_f32 v4, v83, v19, v4 op_sel_hi:[0,1,0]
	s_cbranch_vccz .LBB227_15
; %bb.13:
	ds_read_b128 v[6:9], v1 offset:64
	ds_read_b128 v[10:13], v1 offset:80
	;; [unrolled: 1-line block ×4, first 2 shown]
	s_cmpk_lt_u32 s60, 0x2001
	s_waitcnt lgkmcnt(3)
	v_fma_mix_f32 v4, v6, v27, v4 op_sel_hi:[0,1,0]
	v_fma_mix_f32 v4, v7, v26, v4 op_sel_hi:[0,1,0]
	v_fma_mix_f32 v4, v8, v25, v4 op_sel_hi:[0,1,0]
	v_fma_mix_f32 v4, v9, v24, v4 op_sel_hi:[0,1,0]
	s_waitcnt lgkmcnt(2)
	v_fma_mix_f32 v4, v10, v23, v4 op_sel_hi:[0,1,0]
	v_fma_mix_f32 v4, v11, v22, v4 op_sel_hi:[0,1,0]
	v_fma_mix_f32 v4, v12, v21, v4 op_sel_hi:[0,1,0]
	v_fma_mix_f32 v4, v13, v20, v4 op_sel_hi:[0,1,0]
	;; [unrolled: 5-line block ×4, first 2 shown]
	s_cbranch_scc1 .LBB227_15
; %bb.14:
	v_mov_b32_e32 v5, 0
	ds_read_b128 v[6:9], v5 offset:128
	ds_read_b128 v[10:13], v5 offset:144
	;; [unrolled: 1-line block ×4, first 2 shown]
	s_waitcnt lgkmcnt(3)
	v_fmac_f32_e32 v4, v6, v67
	v_fmac_f32_e32 v4, v7, v66
	v_fmac_f32_e32 v4, v8, v65
	v_fmac_f32_e32 v4, v9, v64
	s_waitcnt lgkmcnt(2)
	v_fmac_f32_e32 v4, v10, v63
	v_fmac_f32_e32 v4, v11, v62
	v_fmac_f32_e32 v4, v12, v61
	v_fmac_f32_e32 v4, v13, v60
	;; [unrolled: 5-line block ×3, first 2 shown]
	ds_read_b128 v[6:9], v5 offset:192
	ds_read_b128 v[10:13], v5 offset:208
	s_waitcnt lgkmcnt(2)
	v_fmac_f32_e32 v4, v18, v55
	v_fmac_f32_e32 v4, v19, v54
	;; [unrolled: 1-line block ×4, first 2 shown]
	s_waitcnt lgkmcnt(1)
	v_fmac_f32_e32 v4, v6, v51
	v_fmac_f32_e32 v4, v7, v50
	;; [unrolled: 1-line block ×4, first 2 shown]
	ds_read_b128 v[6:9], v5 offset:224
	s_waitcnt lgkmcnt(1)
	v_fmac_f32_e32 v4, v10, v47
	v_fmac_f32_e32 v4, v11, v46
	;; [unrolled: 1-line block ×4, first 2 shown]
	ds_read_b128 v[10:13], v5 offset:240
	s_waitcnt lgkmcnt(1)
	v_fmac_f32_e32 v4, v6, v43
	v_fmac_f32_e32 v4, v7, v42
	;; [unrolled: 1-line block ×4, first 2 shown]
	s_waitcnt lgkmcnt(0)
	v_fmac_f32_e32 v4, v10, v39
	v_fmac_f32_e32 v4, v11, v38
	;; [unrolled: 1-line block ×4, first 2 shown]
.LBB227_15:
	s_movk_i32 s0, 0x3f80
	s_movk_i32 s1, 0x100
	s_mov_b32 s8, 64
	s_branch .LBB227_17
.LBB227_16:                             ;   in Loop: Header=BB227_17 Depth=1
	s_addk_i32 s0, 0x2000
	s_addk_i32 s1, 0x100
	s_add_i32 s8, s8, 64
	s_cmp_eq_u32 s0, 0x21f80
	s_cbranch_scc1 .LBB227_19
.LBB227_17:                             ; =>This Inner Loop Header: Depth=1
	s_cmp_le_i32 s33, s8
	s_cbranch_scc1 .LBB227_16
; %bb.18:                               ;   in Loop: Header=BB227_17 Depth=1
	s_add_i32 s9, s0, 0xffffe080
	s_cmp_lt_i32 s9, s10
	s_cselect_b32 s12, s9, s11
	s_ashr_i32 s13, s12, 31
	s_add_i32 s9, s0, 0xffffe100
	s_cmp_lt_i32 s9, s10
	v_lshl_add_u64 v[14:15], s[12:13], 1, v[2:3]
	s_cselect_b32 s12, s9, s11
	s_ashr_i32 s13, s12, 31
	s_add_i32 s9, s0, 0xffffe180
	s_cmp_lt_i32 s9, s10
	v_lshl_add_u64 v[16:17], s[12:13], 1, v[2:3]
	;; [unrolled: 5-line block ×8, first 2 shown]
	s_cselect_b32 s12, s9, s11
	s_ashr_i32 s13, s12, 31
	s_add_i32 s9, s0, 0xffffe500
	s_cmp_lt_i32 s9, s10
	global_load_ushort v5, v[14:15], off
	global_load_ushort v6, v[16:17], off
	global_load_ushort v7, v[18:19], off
	global_load_ushort v8, v[20:21], off
	global_load_ushort v9, v[22:23], off
	global_load_ushort v10, v[24:25], off
	global_load_ushort v11, v[26:27], off
	global_load_ushort v12, v[28:29], off
	v_lshl_add_u64 v[14:15], s[12:13], 1, v[2:3]
	s_cselect_b32 s12, s9, s11
	s_ashr_i32 s13, s12, 31
	s_add_i32 s9, s0, 0xffffe580
	s_cmp_lt_i32 s9, s10
	v_lshl_add_u64 v[16:17], s[12:13], 1, v[2:3]
	s_cselect_b32 s12, s9, s11
	s_ashr_i32 s13, s12, 31
	s_add_i32 s9, s0, 0xffffe600
	s_cmp_lt_i32 s9, s10
	v_lshl_add_u64 v[18:19], s[12:13], 1, v[2:3]
	s_cselect_b32 s12, s9, s11
	s_ashr_i32 s13, s12, 31
	s_add_i32 s9, s0, 0xffffe680
	s_cmp_lt_i32 s9, s10
	v_lshl_add_u64 v[20:21], s[12:13], 1, v[2:3]
	s_cselect_b32 s12, s9, s11
	s_ashr_i32 s13, s12, 31
	s_add_i32 s9, s0, 0xffffe700
	s_cmp_lt_i32 s9, s10
	v_lshl_add_u64 v[22:23], s[12:13], 1, v[2:3]
	s_cselect_b32 s12, s9, s11
	s_ashr_i32 s13, s12, 31
	s_add_i32 s9, s0, 0xffffe780
	s_cmp_lt_i32 s9, s10
	v_lshl_add_u64 v[24:25], s[12:13], 1, v[2:3]
	s_cselect_b32 s12, s9, s11
	s_ashr_i32 s13, s12, 31
	s_add_i32 s9, s0, 0xffffe800
	s_cmp_lt_i32 s9, s10
	v_lshl_add_u64 v[26:27], s[12:13], 1, v[2:3]
	s_cselect_b32 s12, s9, s11
	s_ashr_i32 s13, s12, 31
	s_add_i32 s9, s0, 0xffffe880
	s_cmp_lt_i32 s9, s10
	v_lshl_add_u64 v[28:29], s[12:13], 1, v[2:3]
	s_cselect_b32 s12, s9, s11
	s_ashr_i32 s13, s12, 31
	s_add_i32 s9, s0, 0xffffe900
	s_cmp_lt_i32 s9, s10
	global_load_ushort v13, v[14:15], off
	global_load_ushort v30, v[16:17], off
	global_load_ushort v31, v[18:19], off
	global_load_ushort v32, v[20:21], off
	global_load_ushort v33, v[22:23], off
	global_load_ushort v34, v[24:25], off
	global_load_ushort v35, v[26:27], off
	global_load_ushort v36, v[28:29], off
	v_lshl_add_u64 v[14:15], s[12:13], 1, v[2:3]
	s_cselect_b32 s12, s9, s11
	s_ashr_i32 s13, s12, 31
	s_add_i32 s9, s0, 0xffffe980
	s_cmp_lt_i32 s9, s10
	v_lshl_add_u64 v[16:17], s[12:13], 1, v[2:3]
	s_cselect_b32 s12, s9, s11
	s_ashr_i32 s13, s12, 31
	s_add_i32 s9, s0, 0xffffea00
	s_cmp_lt_i32 s9, s10
	v_lshl_add_u64 v[18:19], s[12:13], 1, v[2:3]
	s_cselect_b32 s12, s9, s11
	s_ashr_i32 s13, s12, 31
	s_add_i32 s9, s0, 0xffffea80
	s_cmp_lt_i32 s9, s10
	v_lshl_add_u64 v[20:21], s[12:13], 1, v[2:3]
	s_cselect_b32 s12, s9, s11
	s_ashr_i32 s13, s12, 31
	s_add_i32 s9, s0, 0xffffeb00
	s_cmp_lt_i32 s9, s10
	v_lshl_add_u64 v[22:23], s[12:13], 1, v[2:3]
	s_cselect_b32 s12, s9, s11
	s_ashr_i32 s13, s12, 31
	s_add_i32 s9, s0, 0xffffeb80
	s_cmp_lt_i32 s9, s10
	v_lshl_add_u64 v[24:25], s[12:13], 1, v[2:3]
	s_cselect_b32 s12, s9, s11
	s_ashr_i32 s13, s12, 31
	s_add_i32 s9, s0, 0xffffec00
	s_cmp_lt_i32 s9, s10
	v_lshl_add_u64 v[26:27], s[12:13], 1, v[2:3]
	s_cselect_b32 s12, s9, s11
	s_ashr_i32 s13, s12, 31
	s_add_i32 s9, s0, 0xffffec80
	s_cmp_lt_i32 s9, s10
	v_lshl_add_u64 v[28:29], s[12:13], 1, v[2:3]
	;; [unrolled: 48-line block ×6, first 2 shown]
	s_cselect_b32 s12, s9, s11
	s_ashr_i32 s13, s12, 31
	s_add_i32 s9, s0, 0xfffffd00
	s_cmp_lt_i32 s9, s10
	global_load_ushort v69, v[14:15], off
	global_load_ushort v70, v[16:17], off
	;; [unrolled: 1-line block ×8, first 2 shown]
	v_lshl_add_u64 v[14:15], s[12:13], 1, v[2:3]
	s_cselect_b32 s12, s9, s11
	s_ashr_i32 s13, s12, 31
	s_add_i32 s9, s0, 0xfffffd80
	s_cmp_lt_i32 s9, s10
	v_lshl_add_u64 v[16:17], s[12:13], 1, v[2:3]
	s_cselect_b32 s12, s9, s11
	s_ashr_i32 s13, s12, 31
	s_add_i32 s9, s0, 0xfffffe00
	s_cmp_lt_i32 s9, s10
	;; [unrolled: 5-line block ×5, first 2 shown]
	v_lshl_add_u64 v[24:25], s[12:13], 1, v[2:3]
	s_cselect_b32 s12, s9, s11
	s_ashr_i32 s13, s12, 31
	s_cmp_lt_i32 s0, s10
	v_lshl_add_u64 v[26:27], s[12:13], 1, v[2:3]
	s_cselect_b32 s12, s0, s11
	s_ashr_i32 s13, s12, 31
	v_lshl_add_u64 v[28:29], s[12:13], 1, v[2:3]
	global_load_ushort v77, v[14:15], off
	global_load_ushort v78, v[16:17], off
	;; [unrolled: 1-line block ×8, first 2 shown]
	v_mov_b32_e32 v85, s1
	ds_read_b128 v[14:17], v85
	ds_read_b128 v[18:21], v85 offset:16
	ds_read_b128 v[22:25], v85 offset:32
	;; [unrolled: 1-line block ×3, first 2 shown]
	s_waitcnt vmcnt(62) lgkmcnt(3)
	v_fma_mix_f32 v4, v14, v5, v4 op_sel_hi:[0,1,0]
	v_fma_mix_f32 v4, v15, v6, v4 op_sel_hi:[0,1,0]
	s_waitcnt vmcnt(61)
	v_fma_mix_f32 v4, v16, v7, v4 op_sel_hi:[0,1,0]
	s_waitcnt vmcnt(60)
	v_fma_mix_f32 v4, v17, v8, v4 op_sel_hi:[0,1,0]
	s_waitcnt vmcnt(59) lgkmcnt(2)
	v_fma_mix_f32 v4, v18, v9, v4 op_sel_hi:[0,1,0]
	s_waitcnt vmcnt(58)
	v_fma_mix_f32 v4, v19, v10, v4 op_sel_hi:[0,1,0]
	s_waitcnt vmcnt(57)
	;; [unrolled: 2-line block ×3, first 2 shown]
	v_fma_mix_f32 v4, v21, v12, v4 op_sel_hi:[0,1,0]
	s_waitcnt vmcnt(55) lgkmcnt(1)
	v_fma_mix_f32 v4, v22, v13, v4 op_sel_hi:[0,1,0]
	s_waitcnt vmcnt(54)
	v_fma_mix_f32 v4, v23, v30, v4 op_sel_hi:[0,1,0]
	s_waitcnt vmcnt(53)
	v_fma_mix_f32 v4, v24, v31, v4 op_sel_hi:[0,1,0]
	s_waitcnt vmcnt(52)
	v_fma_mix_f32 v4, v25, v32, v4 op_sel_hi:[0,1,0]
	s_waitcnt vmcnt(51) lgkmcnt(0)
	v_fma_mix_f32 v8, v26, v33, v4 op_sel_hi:[0,1,0]
	ds_read_b128 v[4:7], v85 offset:64
	s_waitcnt vmcnt(50)
	v_fma_mix_f32 v8, v27, v34, v8 op_sel_hi:[0,1,0]
	s_waitcnt vmcnt(49)
	v_fma_mix_f32 v8, v28, v35, v8 op_sel_hi:[0,1,0]
	s_waitcnt vmcnt(48)
	v_fma_mix_f32 v12, v29, v36, v8 op_sel_hi:[0,1,0]
	ds_read_b128 v[8:11], v85 offset:80
	s_waitcnt vmcnt(47) lgkmcnt(1)
	v_fma_mix_f32 v4, v4, v37, v12 op_sel_hi:[0,1,0]
	s_waitcnt vmcnt(46)
	v_fma_mix_f32 v4, v5, v38, v4 op_sel_hi:[0,1,0]
	s_waitcnt vmcnt(45)
	v_fma_mix_f32 v4, v6, v39, v4 op_sel_hi:[0,1,0]
	s_waitcnt vmcnt(44)
	v_fma_mix_f32 v4, v7, v40, v4 op_sel_hi:[0,1,0]
	s_waitcnt vmcnt(43) lgkmcnt(0)
	v_fma_mix_f32 v8, v8, v41, v4 op_sel_hi:[0,1,0]
	ds_read_b128 v[4:7], v85 offset:96
	s_waitcnt vmcnt(42)
	v_fma_mix_f32 v8, v9, v42, v8 op_sel_hi:[0,1,0]
	s_waitcnt vmcnt(41)
	v_fma_mix_f32 v8, v10, v43, v8 op_sel_hi:[0,1,0]
	s_waitcnt vmcnt(40)
	v_fma_mix_f32 v12, v11, v44, v8 op_sel_hi:[0,1,0]
	ds_read_b128 v[8:11], v85 offset:112
	;; [unrolled: 18-line block ×6, first 2 shown]
	s_waitcnt vmcnt(7) lgkmcnt(1)
	v_fma_mix_f32 v4, v4, v77, v12 op_sel_hi:[0,1,0]
	s_waitcnt vmcnt(6)
	v_fma_mix_f32 v4, v5, v78, v4 op_sel_hi:[0,1,0]
	s_waitcnt vmcnt(5)
	;; [unrolled: 2-line block ×3, first 2 shown]
	v_fma_mix_f32 v4, v7, v80, v4 op_sel_hi:[0,1,0]
	s_waitcnt vmcnt(3) lgkmcnt(0)
	v_fma_mix_f32 v4, v8, v81, v4 op_sel_hi:[0,1,0]
	s_waitcnt vmcnt(2)
	v_fma_mix_f32 v4, v9, v82, v4 op_sel_hi:[0,1,0]
	s_waitcnt vmcnt(1)
	;; [unrolled: 2-line block ×3, first 2 shown]
	v_fma_mix_f32 v4, v11, v84, v4 op_sel_hi:[0,1,0]
	s_branch .LBB227_16
.LBB227_19:
	v_mov_b32_e32 v2, 0
	ds_read_b32 v2, v2 offset:4096
	s_cmp_lg_u64 s[6:7], 0
	s_cbranch_scc0 .LBB227_24
; %bb.20:
	s_load_dword s6, s[6:7], 0x0
	s_waitcnt lgkmcnt(0)
	v_div_scale_f32 v3, s[0:1], s6, s6, 1.0
	v_rcp_f32_e32 v5, v3
	v_div_scale_f32 v6, vcc, 1.0, s6, 1.0
	v_fma_f32 v7, -v3, v5, 1.0
	v_fmac_f32_e32 v5, v7, v5
	v_mul_f32_e32 v7, v6, v5
	v_fma_f32 v8, -v3, v7, v6
	v_fmac_f32_e32 v7, v8, v5
	v_fma_f32 v3, -v3, v7, v6
	v_div_fmas_f32 v3, v3, v5, v7
	v_div_fixup_f32 v3, v3, s6, 1.0
	s_andn2_b64 vcc, exec, s[50:51]
	s_cbranch_vccnz .LBB227_22
.LBB227_21:
	s_add_u32 s0, s48, s52
	s_addc_u32 s1, s49, s53
	s_load_dword s38, s[0:1], 0x0
	s_mov_b32 s39, 0
.LBB227_22:
	s_waitcnt lgkmcnt(0)
	v_add_f32_e32 v2, 0x358637bd, v2
	v_div_scale_f32 v5, s[0:1], v2, v2, 1.0
	v_rcp_f32_e32 v6, v5
	v_div_scale_f32 v7, vcc, 1.0, v2, 1.0
	s_mul_i32 s0, s3, s39
	v_fma_f32 v8, -v5, v6, 1.0
	v_fmac_f32_e32 v6, v8, v6
	v_mul_f32_e32 v8, v7, v6
	v_fma_f32 v9, -v5, v8, v7
	v_fmac_f32_e32 v8, v9, v6
	v_fma_f32 v5, -v5, v8, v7
	s_mul_hi_u32 s1, s3, s38
	v_div_fmas_f32 v5, v5, v6, v8
	s_add_i32 s1, s1, s0
	s_mul_i32 s0, s3, s38
	v_div_fixup_f32 v2, v5, v2, 1.0
	s_lshl_b64 s[0:1], s[0:1], 7
	v_mul_f32_e32 v2, v4, v2
	s_add_u32 s4, s4, s0
	s_mov_b32 s3, 0
	v_mul_f32_e32 v2, v2, v3
	s_addc_u32 s5, s5, s1
	s_lshl_b64 s[0:1], s[2:3], 7
	s_mov_b32 s2, 0x7f800000
	s_mov_b32 s3, 0x43700000
	v_mov_b32_e32 v3, 0xc3700000
	v_med3_f32 v3, v2, s3, v3
	v_cmp_nlg_f32_e64 vcc, |v2|, s2
	s_add_u32 s0, s4, s0
	s_addc_u32 s1, s5, s1
	v_cndmask_b32_e32 v2, v3, v2, vcc
	v_mov_b32_e32 v3, 0
	v_cvt_pk_fp8_f32 v3, v2, v2
	v_lshl_add_u64 v[0:1], s[0:1], 0, v[0:1]
	global_store_byte v[0:1], v3, off
	s_endpgm
.LBB227_23:
	s_mov_b64 s[6:7], 0
	s_branch .LBB227_2
.LBB227_24:
	v_mov_b32_e32 v3, 1.0
	s_andn2_b64 vcc, exec, s[50:51]
	s_cbranch_vccz .LBB227_21
	s_branch .LBB227_22
	.section	.rodata,"a",@progbits
	.p2align	6, 0x0
	.amdhsa_kernel _Z35paged_attention_ll4mi_reduce_kernelIDF16_hLi128ELi128ELi256ELi16EEvPT0_PKfS3_PKT_PKiS8_iS3_
		.amdhsa_group_segment_fixed_size 4100
		.amdhsa_private_segment_fixed_size 0
		.amdhsa_kernarg_size 320
		.amdhsa_user_sgpr_count 2
		.amdhsa_user_sgpr_dispatch_ptr 0
		.amdhsa_user_sgpr_queue_ptr 0
		.amdhsa_user_sgpr_kernarg_segment_ptr 1
		.amdhsa_user_sgpr_dispatch_id 0
		.amdhsa_user_sgpr_kernarg_preload_length 0
		.amdhsa_user_sgpr_kernarg_preload_offset 0
		.amdhsa_user_sgpr_private_segment_size 0
		.amdhsa_uses_dynamic_stack 0
		.amdhsa_enable_private_segment 0
		.amdhsa_system_sgpr_workgroup_id_x 1
		.amdhsa_system_sgpr_workgroup_id_y 1
		.amdhsa_system_sgpr_workgroup_id_z 0
		.amdhsa_system_sgpr_workgroup_info 0
		.amdhsa_system_vgpr_workitem_id 0
		.amdhsa_next_free_vgpr 92
		.amdhsa_next_free_sgpr 61
		.amdhsa_accum_offset 92
		.amdhsa_reserve_vcc 1
		.amdhsa_float_round_mode_32 0
		.amdhsa_float_round_mode_16_64 0
		.amdhsa_float_denorm_mode_32 3
		.amdhsa_float_denorm_mode_16_64 3
		.amdhsa_dx10_clamp 1
		.amdhsa_ieee_mode 1
		.amdhsa_fp16_overflow 0
		.amdhsa_tg_split 0
		.amdhsa_exception_fp_ieee_invalid_op 0
		.amdhsa_exception_fp_denorm_src 0
		.amdhsa_exception_fp_ieee_div_zero 0
		.amdhsa_exception_fp_ieee_overflow 0
		.amdhsa_exception_fp_ieee_underflow 0
		.amdhsa_exception_fp_ieee_inexact 0
		.amdhsa_exception_int_div_zero 0
	.end_amdhsa_kernel
	.section	.text._Z35paged_attention_ll4mi_reduce_kernelIDF16_hLi128ELi128ELi256ELi16EEvPT0_PKfS3_PKT_PKiS8_iS3_,"axG",@progbits,_Z35paged_attention_ll4mi_reduce_kernelIDF16_hLi128ELi128ELi256ELi16EEvPT0_PKfS3_PKT_PKiS8_iS3_,comdat
.Lfunc_end227:
	.size	_Z35paged_attention_ll4mi_reduce_kernelIDF16_hLi128ELi128ELi256ELi16EEvPT0_PKfS3_PKT_PKiS8_iS3_, .Lfunc_end227-_Z35paged_attention_ll4mi_reduce_kernelIDF16_hLi128ELi128ELi256ELi16EEvPT0_PKfS3_PKT_PKiS8_iS3_
                                        ; -- End function
	.section	.AMDGPU.csdata,"",@progbits
; Kernel info:
; codeLenInByte = 10744
; NumSgprs: 67
; NumVgprs: 92
; NumAgprs: 0
; TotalNumVgprs: 92
; ScratchSize: 0
; MemoryBound: 0
; FloatMode: 240
; IeeeMode: 1
; LDSByteSize: 4100 bytes/workgroup (compile time only)
; SGPRBlocks: 8
; VGPRBlocks: 11
; NumSGPRsForWavesPerEU: 67
; NumVGPRsForWavesPerEU: 92
; AccumOffset: 92
; Occupancy: 5
; WaveLimiterHint : 1
; COMPUTE_PGM_RSRC2:SCRATCH_EN: 0
; COMPUTE_PGM_RSRC2:USER_SGPR: 2
; COMPUTE_PGM_RSRC2:TRAP_HANDLER: 0
; COMPUTE_PGM_RSRC2:TGID_X_EN: 1
; COMPUTE_PGM_RSRC2:TGID_Y_EN: 1
; COMPUTE_PGM_RSRC2:TGID_Z_EN: 0
; COMPUTE_PGM_RSRC2:TIDIG_COMP_CNT: 0
; COMPUTE_PGM_RSRC3_GFX90A:ACCUM_OFFSET: 22
; COMPUTE_PGM_RSRC3_GFX90A:TG_SPLIT: 0
	.section	.text._Z38paged_attention_ll4mi_QKV_mfma4_kernelIDF16_DF16_LN4vllm18Fp8KVCacheDataTypeE0EhLi16ELi128ELi256ELb0ELi1EEvPKT_PKT0_S7_ifPKiS9_S9_iPKfiiiPfSC_PS2_PT2_iSB_SB_,"axG",@progbits,_Z38paged_attention_ll4mi_QKV_mfma4_kernelIDF16_DF16_LN4vllm18Fp8KVCacheDataTypeE0EhLi16ELi128ELi256ELb0ELi1EEvPKT_PKT0_S7_ifPKiS9_S9_iPKfiiiPfSC_PS2_PT2_iSB_SB_,comdat
	.protected	_Z38paged_attention_ll4mi_QKV_mfma4_kernelIDF16_DF16_LN4vllm18Fp8KVCacheDataTypeE0EhLi16ELi128ELi256ELb0ELi1EEvPKT_PKT0_S7_ifPKiS9_S9_iPKfiiiPfSC_PS2_PT2_iSB_SB_ ; -- Begin function _Z38paged_attention_ll4mi_QKV_mfma4_kernelIDF16_DF16_LN4vllm18Fp8KVCacheDataTypeE0EhLi16ELi128ELi256ELb0ELi1EEvPKT_PKT0_S7_ifPKiS9_S9_iPKfiiiPfSC_PS2_PT2_iSB_SB_
	.globl	_Z38paged_attention_ll4mi_QKV_mfma4_kernelIDF16_DF16_LN4vllm18Fp8KVCacheDataTypeE0EhLi16ELi128ELi256ELb0ELi1EEvPKT_PKT0_S7_ifPKiS9_S9_iPKfiiiPfSC_PS2_PT2_iSB_SB_
	.p2align	8
	.type	_Z38paged_attention_ll4mi_QKV_mfma4_kernelIDF16_DF16_LN4vllm18Fp8KVCacheDataTypeE0EhLi16ELi128ELi256ELb0ELi1EEvPKT_PKT0_S7_ifPKiS9_S9_iPKfiiiPfSC_PS2_PT2_iSB_SB_,@function
_Z38paged_attention_ll4mi_QKV_mfma4_kernelIDF16_DF16_LN4vllm18Fp8KVCacheDataTypeE0EhLi16ELi128ELi256ELb0ELi1EEvPKT_PKT0_S7_ifPKiS9_S9_iPKfiiiPfSC_PS2_PT2_iSB_SB_: ; @_Z38paged_attention_ll4mi_QKV_mfma4_kernelIDF16_DF16_LN4vllm18Fp8KVCacheDataTypeE0EhLi16ELi128ELi256ELb0ELi1EEvPKT_PKT0_S7_ifPKiS9_S9_iPKfiiiPfSC_PS2_PT2_iSB_SB_
; %bb.0:
	s_load_dwordx2 s[16:17], s[0:1], 0x30
	s_mov_b32 s20, s3
	s_mov_b64 s[6:7], 0
	s_waitcnt lgkmcnt(0)
	s_cmp_lg_u64 s[16:17], 0
	s_cselect_b64 s[18:19], -1, 0
	s_and_b64 vcc, exec, s[18:19]
	s_cbranch_vccz .LBB228_10
; %bb.1:
	s_add_i32 s8, s2, 1
	s_mov_b32 s9, 0
	s_lshl_b64 s[10:11], s[8:9], 2
	s_add_u32 s10, s16, s10
	s_mov_b32 s3, s9
	s_addc_u32 s11, s17, s11
	s_lshl_b64 s[8:9], s[2:3], 2
	s_add_u32 s8, s16, s8
	s_addc_u32 s9, s17, s9
	s_load_dword s5, s[10:11], 0x0
	s_load_dword s12, s[8:9], 0x0
	s_waitcnt lgkmcnt(0)
	s_sub_i32 s5, s5, s12
	s_cmp_eq_u32 s5, 1
	s_cselect_b64 s[8:9], -1, 0
	s_andn2_b64 vcc, exec, s[6:7]
	s_cbranch_vccnz .LBB228_3
.LBB228_2:
	s_mov_b32 s3, 0
	s_mov_b64 s[8:9], -1
.LBB228_3:
	s_andn2_b64 vcc, exec, s[8:9]
	s_cbranch_vccnz .LBB228_25
; %bb.4:
	s_load_dword s5, s[0:1], 0x9c
	s_load_dwordx2 s[6:7], s[0:1], 0x28
	s_add_u32 s24, s0, 0x90
	s_addc_u32 s25, s1, 0
	s_lshl_b64 s[28:29], s[2:3], 2
	s_waitcnt lgkmcnt(0)
	s_and_b32 s5, s5, 0xffff
	s_add_u32 s6, s6, s28
	s_addc_u32 s7, s7, s29
	s_load_dword s3, s[6:7], 0x0
	s_mul_i32 s10, s20, s5
	s_waitcnt lgkmcnt(0)
	s_cmp_ge_i32 s10, s3
	s_cbranch_scc1 .LBB228_25
; %bb.5:
	v_and_b32_e32 v1, 0xc0, v0
	v_add_u32_e32 v2, s10, v1
	v_lshrrev_b32_e32 v70, 6, v0
	v_cmp_le_i32_e64 s[6:7], s3, v2
                                        ; implicit-def: $sgpr21
                                        ; implicit-def: $sgpr11
	s_and_saveexec_b64 s[8:9], s[6:7]
	s_xor_b64 s[8:9], exec, s[8:9]
	s_cbranch_execz .LBB228_7
; %bb.6:
	v_mul_u32_u24_e32 v1, 20, v70
	v_or_b32_e32 v1, 0x1400, v1
	v_mov_b32_e32 v2, 0x1450
	v_mov_b32_e32 v3, 0xff7fffff
	v_mad_u32_u24 v2, v70, 20, v2
	ds_write2_b32 v1, v3, v3 offset1:1
	v_mov_b32_e32 v1, 0
	ds_write2_b32 v2, v1, v1 offset1:1
	v_mov_b32_e32 v2, 0x1408
	s_mov_b32 s11, 0xff7fffff
	s_mov_b32 s21, 0
	v_mad_u32_u24 v2, v70, 20, v2
	v_mov_b32_e32 v4, 0x1458
	v_mad_u32_u24 v4, v70, 20, v4
	ds_write2_b32 v2, v3, v3 offset1:1
	ds_write2_b32 v4, v1, v1 offset1:1
                                        ; implicit-def: $vgpr2
.LBB228_7:
	s_or_saveexec_b64 s[26:27], s[8:9]
	s_load_dwordx2 s[22:23], s[0:1], 0x68
	s_load_dwordx4 s[12:15], s[0:1], 0x58
	s_load_dword s5, s[24:25], 0x4
	v_and_b32_e32 v1, 63, v0
	v_and_b32_e32 v71, 3, v0
	v_mov_b32_e32 v67, s21
	v_mov_b32_e32 v72, s11
	;; [unrolled: 1-line block ×5, first 2 shown]
                                        ; implicit-def: $vgpr43
                                        ; implicit-def: $vgpr27
                                        ; implicit-def: $vgpr3
                                        ; implicit-def: $vgpr7
                                        ; implicit-def: $vgpr11
                                        ; implicit-def: $vgpr15
                                        ; implicit-def: $vgpr19
                                        ; implicit-def: $vgpr23
                                        ; implicit-def: $vgpr59
                                        ; implicit-def: $vgpr63
                                        ; implicit-def: $vgpr31
                                        ; implicit-def: $vgpr35
                                        ; implicit-def: $vgpr39
                                        ; implicit-def: $vgpr47
                                        ; implicit-def: $vgpr51
                                        ; implicit-def: $vgpr55
	s_xor_b64 exec, exec, s[26:27]
	s_cbranch_execz .LBB228_17
; %bb.8:
	s_add_i32 s21, s3, 15
	s_load_dwordx2 s[8:9], s[0:1], 0x20
	s_load_dword s11, s[0:1], 0x38
	s_ashr_i32 s30, s21, 31
	s_lshr_b32 s30, s30, 28
	v_add_u32_e32 v72, s10, v0
	s_add_i32 s21, s21, s30
	v_ashrrev_i32_e32 v3, 31, v72
	s_ashr_i32 s21, s21, 4
	v_lshrrev_b32_e32 v3, 28, v3
	s_add_i32 s21, s21, -1
	v_add_u32_e32 v3, v72, v3
	s_waitcnt lgkmcnt(0)
	s_mul_i32 s30, s2, s11
	s_mov_b32 s31, 0
	v_ashrrev_i32_e32 v3, 4, v3
	v_mov_b32_e32 v4, s21
	v_cmp_gt_i32_e32 vcc, s3, v72
	s_lshl_b64 s[30:31], s[30:31], 2
	s_add_u32 s8, s8, s30
	v_cndmask_b32_e32 v4, v4, v3, vcc
	v_ashrrev_i32_e32 v3, 31, v2
	v_lshrrev_b32_e32 v3, 28, v3
	s_addc_u32 s9, s9, s31
	v_ashrrev_i32_e32 v5, 31, v4
	v_add_u32_e32 v2, v2, v3
	v_lshl_add_u64 v[8:9], v[4:5], 2, s[8:9]
	v_ashrrev_i32_e32 v4, 4, v2
	v_min_i32_e32 v2, s21, v4
	v_ashrrev_i32_e32 v3, 31, v2
	v_lshl_add_u64 v[10:11], v[2:3], 2, s[8:9]
	v_add_u32_e32 v2, 1, v4
	v_min_i32_e32 v2, s21, v2
	v_ashrrev_i32_e32 v3, 31, v2
	v_lshl_add_u64 v[12:13], v[2:3], 2, s[8:9]
	v_add_u32_e32 v2, 2, v4
	v_min_i32_e32 v2, s21, v2
	v_ashrrev_i32_e32 v3, 31, v2
	v_lshl_add_u64 v[14:15], v[2:3], 2, s[8:9]
	v_add_u32_e32 v2, 3, v4
	v_min_i32_e32 v2, s21, v2
	v_ashrrev_i32_e32 v3, 31, v2
	v_lshl_add_u64 v[16:17], v[2:3], 2, s[8:9]
	global_load_dword v2, v[8:9], off
	global_load_dword v4, v[10:11], off
	;; [unrolled: 1-line block ×5, first 2 shown]
	s_load_dwordx4 s[8:11], s[0:1], 0x8
	s_andn2_b64 vcc, exec, s[18:19]
	s_cbranch_vccnz .LBB228_11
; %bb.9:
	s_add_u32 s16, s16, s28
	s_addc_u32 s17, s17, s29
	s_load_dword s21, s[16:17], 0x0
	s_branch .LBB228_12
.LBB228_10:
	s_mov_b64 s[8:9], 0
	s_branch .LBB228_2
.LBB228_11:
	s_mov_b32 s21, s2
.LBB228_12:
	s_load_dwordx4 s[16:19], s[0:1], 0x48
	v_cmp_eq_u32_e32 vcc, 0, v71
	s_mov_b32 s29, 0
	v_mov_b32_e32 v73, 0
	v_mov_b32_e32 v27, 0
	;; [unrolled: 1-line block ×6, first 2 shown]
	s_and_saveexec_b64 s[30:31], vcc
	s_cbranch_execz .LBB228_14
; %bb.13:
	s_load_dwordx2 s[34:35], s[0:1], 0x0
	s_waitcnt lgkmcnt(0)
	s_ashr_i32 s19, s16, 31
	s_mul_hi_u32 s28, s21, s16
	s_mul_i32 s19, s21, s19
	s_add_i32 s37, s28, s19
	s_mul_i32 s36, s21, s16
	s_lshl_b64 s[36:37], s[36:37], 1
	s_add_u32 s16, s34, s36
	s_addc_u32 s19, s35, s37
	s_lshl_b32 s28, s4, 7
	s_lshl_b64 s[34:35], s[28:29], 1
	s_add_u32 s34, s16, s34
	s_addc_u32 s35, s19, s35
	v_lshlrev_b32_e32 v3, 2, v1
	global_load_dwordx4 v[66:69], v3, s[34:35]
	v_mov_b32_e32 v73, 1.0
.LBB228_14:
	s_or_b64 exec, exec, s[30:31]
	s_waitcnt lgkmcnt(0)
	s_mul_i32 s28, s4, s18
	s_lshl_b64 s[18:19], s[28:29], 1
	s_add_u32 s8, s18, s8
	s_waitcnt vmcnt(4)
	v_mad_i64_i32 v[2:3], s[30:31], v2, s17, 0
	s_addc_u32 s9, s19, s9
	v_and_b32_e32 v8, 15, v0
	v_lshl_add_u64 v[2:3], v[2:3], 1, s[8:9]
	v_lshlrev_b32_e32 v26, 4, v8
	v_lshl_add_u64 v[2:3], v[2:3], 0, v[26:27]
	global_load_dwordx4 v[8:11], v[2:3], off
	global_load_dwordx4 v[12:15], v[2:3], off offset:256
	global_load_dwordx4 v[16:19], v[2:3], off offset:512
	;; [unrolled: 1-line block ×15, first 2 shown]
	s_waitcnt vmcnt(19)
	v_mul_hi_i32 v24, v4, s17
	s_waitcnt vmcnt(18)
	v_mul_hi_i32 v26, v5, s17
	;; [unrolled: 2-line block ×4, first 2 shown]
	v_ashrrev_i32_e32 v93, 31, v24
	v_ashrrev_i32_e32 v24, 31, v26
	;; [unrolled: 1-line block ×4, first 2 shown]
	v_mov_b32_e32 v25, v27
	v_mov_b32_e32 v65, v27
	;; [unrolled: 1-line block ×3, first 2 shown]
	v_lshrrev_b32_e32 v24, 29, v24
	v_lshrrev_b32_e32 v64, 29, v26
	;; [unrolled: 1-line block ×3, first 2 shown]
	v_mad_i64_i32 v[2:3], s[8:9], v5, s17, v[24:25]
	v_mad_i64_i32 v[24:25], s[8:9], v6, s17, v[64:65]
	;; [unrolled: 1-line block ×3, first 2 shown]
	s_add_u32 s8, s10, s18
	v_lshrrev_b32_e32 v26, 29, v93
	s_addc_u32 s9, s11, s19
	v_mad_i64_i32 v[4:5], s[10:11], v4, s17, v[26:27]
	v_lshlrev_b64 v[2:3], 1, v[2:3]
	v_lshlrev_b64 v[6:7], 1, v[6:7]
	v_and_b32_e32 v2, -16, v2
	v_and_b32_e32 v6, -16, v6
	v_lshlrev_b32_e32 v26, 5, v1
	v_lshl_add_u64 v[2:3], s[8:9], 0, v[2:3]
	v_lshl_add_u64 v[6:7], s[8:9], 0, v[6:7]
	s_load_dword s0, s[0:1], 0x1c
	v_cmp_eq_u32_e32 vcc, 1, v71
	v_and_b32_e32 v91, -4, v72
	v_lshlrev_b32_e32 v92, 2, v0
	v_cndmask_b32_e64 v88, 0, 1.0, vcc
	v_cmp_eq_u32_e32 vcc, 2, v71
	v_or_b32_e32 v72, 3, v72
	v_cmp_gt_i32_e64 s[10:11], s3, v72
	v_cndmask_b32_e64 v89, 0, 1.0, vcc
	v_cmp_eq_u32_e32 vcc, 3, v71
	s_waitcnt vmcnt(15)
	v_mfma_f32_4x4x4_16b_f16 a[0:3], v[66:67], v[8:9], 0 cbsz:4
	v_lshlrev_b64 v[8:9], 1, v[24:25]
	s_nop 0
	v_mfma_f32_4x4x4_16b_f16 a[0:3], v[68:69], v[10:11], a[0:3] cbsz:4
	v_and_b32_e32 v8, -16, v8
	v_lshl_add_u64 v[8:9], s[8:9], 0, v[8:9]
	s_waitcnt vmcnt(14)
	v_mfma_f32_4x4x4_16b_f16 a[0:3], v[66:67], v[12:13], a[0:3] cbsz:4 abid:1
	v_lshl_add_u64 v[10:11], v[2:3], 0, v[26:27]
	v_cndmask_b32_e64 v90, 0, 1.0, vcc
	v_mfma_f32_4x4x4_16b_f16 a[0:3], v[68:69], v[14:15], a[0:3] cbsz:4 abid:1
	v_cmp_gt_i32_e32 vcc, s3, v91
	s_waitcnt vmcnt(13)
	v_mfma_f32_4x4x4_16b_f16 a[0:3], v[66:67], v[16:17], a[0:3] cbsz:4 abid:2
	s_nop 1
	v_mfma_f32_4x4x4_16b_f16 a[0:3], v[68:69], v[18:19], a[0:3] cbsz:4 abid:2
	v_lshl_add_u64 v[18:19], v[8:9], 0, v[26:27]
	s_waitcnt vmcnt(12)
	v_mfma_f32_4x4x4_16b_f16 a[0:3], v[66:67], v[20:21], a[0:3] cbsz:4 abid:3
	s_nop 1
	v_mfma_f32_4x4x4_16b_f16 a[0:3], v[68:69], v[22:23], a[0:3] cbsz:4 abid:3
	s_waitcnt vmcnt(11)
	s_nop 0
	v_mfma_f32_4x4x4_16b_f16 a[0:3], v[66:67], v[28:29], a[0:3] cbsz:4 abid:4
	v_lshlrev_b64 v[28:29], 1, v[4:5]
	v_and_b32_e32 v28, -16, v28
	v_mfma_f32_4x4x4_16b_f16 a[0:3], v[68:69], v[30:31], a[0:3] cbsz:4 abid:4
	v_lshl_add_u64 v[28:29], s[8:9], 0, v[28:29]
	s_waitcnt vmcnt(10)
	v_mfma_f32_4x4x4_16b_f16 a[0:3], v[66:67], v[32:33], a[0:3] cbsz:4 abid:5
	s_nop 1
	v_mfma_f32_4x4x4_16b_f16 a[0:3], v[68:69], v[34:35], a[0:3] cbsz:4 abid:5
	s_waitcnt vmcnt(9)
	s_nop 0
	v_mfma_f32_4x4x4_16b_f16 a[0:3], v[66:67], v[36:37], a[0:3] cbsz:4 abid:6
	s_nop 1
	v_mfma_f32_4x4x4_16b_f16 a[0:3], v[68:69], v[38:39], a[0:3] cbsz:4 abid:6
	s_waitcnt vmcnt(8)
	s_nop 0
	v_mfma_f32_4x4x4_16b_f16 a[0:3], v[66:67], v[40:41], a[0:3] cbsz:4 abid:7
	s_nop 1
	v_mfma_f32_4x4x4_16b_f16 a[0:3], v[68:69], v[42:43], a[0:3] cbsz:4 abid:7
	v_lshl_add_u64 v[42:43], v[6:7], 0, v[26:27]
	global_load_dwordx4 v[2:5], v[10:11], off
	global_load_dwordx4 v[6:9], v[10:11], off offset:16
	s_waitcnt vmcnt(9)
	v_mfma_f32_4x4x4_16b_f16 a[0:3], v[66:67], v[44:45], a[0:3] cbsz:4 abid:8
	global_load_dwordx4 v[30:33], v[10:11], off offset:2048
	global_load_dwordx4 v[34:37], v[10:11], off offset:2064
	v_mfma_f32_4x4x4_16b_f16 a[0:3], v[68:69], v[46:47], a[0:3] cbsz:4 abid:8
	global_load_dwordx4 v[10:13], v[18:19], off
	global_load_dwordx4 v[14:17], v[18:19], off offset:16
	s_waitcnt vmcnt(12)
	v_mfma_f32_4x4x4_16b_f16 a[0:3], v[66:67], v[48:49], a[0:3] cbsz:4 abid:9
	global_load_dwordx4 v[38:41], v[18:19], off offset:2048
	global_load_dwordx4 v[46:49], v[18:19], off offset:2064
	v_mfma_f32_4x4x4_16b_f16 a[0:3], v[68:69], v[50:51], a[0:3] cbsz:4 abid:9
	global_load_dwordx4 v[18:21], v[42:43], off
	global_load_dwordx4 v[22:25], v[42:43], off offset:16
	s_waitcnt vmcnt(15)
	v_mfma_f32_4x4x4_16b_f16 a[0:3], v[66:67], v[52:53], a[0:3] cbsz:4 abid:10
	s_nop 1
	v_mfma_f32_4x4x4_16b_f16 a[0:3], v[68:69], v[54:55], a[0:3] cbsz:4 abid:10
	s_waitcnt vmcnt(14)
	s_nop 0
	v_mfma_f32_4x4x4_16b_f16 a[0:3], v[66:67], v[56:57], a[0:3] cbsz:4 abid:11
	global_load_dwordx4 v[50:53], v[42:43], off offset:2048
	global_load_dwordx4 v[54:57], v[42:43], off offset:2064
	v_mfma_f32_4x4x4_16b_f16 a[0:3], v[68:69], v[58:59], a[0:3] cbsz:4 abid:11
	s_waitcnt vmcnt(15)
	s_nop 0
	v_mfma_f32_4x4x4_16b_f16 a[0:3], v[66:67], v[60:61], a[0:3] cbsz:4 abid:12
	s_nop 1
	v_mfma_f32_4x4x4_16b_f16 a[0:3], v[68:69], v[62:63], a[0:3] cbsz:4 abid:12
	s_waitcnt vmcnt(14)
	s_nop 0
	v_mfma_f32_4x4x4_16b_f16 a[0:3], v[66:67], v[74:75], a[0:3] cbsz:4 abid:13
	v_lshl_add_u64 v[74:75], v[28:29], 0, v[26:27]
	global_load_dwordx4 v[42:45], v[74:75], off
	global_load_dwordx4 v[26:29], v[74:75], off offset:16
	global_load_dwordx4 v[58:61], v[74:75], off offset:2048
	;; [unrolled: 1-line block ×3, first 2 shown]
	v_mfma_f32_4x4x4_16b_f16 a[0:3], v[68:69], v[76:77], a[0:3] cbsz:4 abid:13
	v_mov_b32_e32 v74, 0xff7fffff
	v_and_or_b32 v75, v92, 48, v71
	s_waitcnt vmcnt(17)
	v_mfma_f32_4x4x4_16b_f16 a[0:3], v[66:67], v[78:79], a[0:3] cbsz:4 abid:14
	s_nop 1
	v_mfma_f32_4x4x4_16b_f16 a[0:3], v[68:69], v[80:81], a[0:3] cbsz:4 abid:14
	s_waitcnt vmcnt(16)
	s_nop 0
	v_mfma_f32_4x4x4_16b_f16 a[0:3], v[66:67], v[82:83], a[0:3] cbsz:4 abid:15
	s_nop 1
	v_mfma_f32_4x4x4_16b_f16 a[0:3], v[68:69], v[84:85], a[0:3] cbsz:4 abid:15
	s_nop 4
	v_accvgpr_read_b32 v67, a1
	v_accvgpr_read_b32 v66, a0
	s_waitcnt lgkmcnt(0)
	v_pk_mul_f32 v[66:67], s[0:1], v[66:67] op_sel_hi:[0,1]
	v_accvgpr_read_b32 v69, a3
	v_accvgpr_read_b32 v68, a2
	v_pk_mul_f32 v[68:69], s[0:1], v[68:69] op_sel_hi:[0,1]
	v_mfma_f32_4x4x1_16b_f32 a[0:3], v66, v73, 0
	v_or_b32_e32 v66, 1, v91
	s_nop 0
	v_mfma_f32_4x4x1_16b_f32 a[0:3], v67, v88, a[0:3]
	v_lshlrev_b32_e32 v73, 2, v75
	v_cmp_gt_i32_e64 s[0:1], s3, v66
	v_mfma_f32_4x4x1_16b_f32 a[0:3], v68, v89, a[0:3]
	v_or_b32_e32 v67, 2, v91
	v_cmp_gt_i32_e64 s[8:9], s3, v67
	v_mfma_f32_4x4x1_16b_f32 a[0:3], v69, v90, a[0:3]
	s_nop 3
	v_accvgpr_read_b32 v68, a0
	v_max_f32_e32 v77, v68, v68
	v_accvgpr_read_b32 v69, a1
	v_max_f32_e32 v77, 0xff7fffff, v77
	v_max_f32_e32 v78, v69, v69
	v_cndmask_b32_e32 v74, v74, v77, vcc
	v_accvgpr_read_b32 v75, a2
	v_max_f32_e32 v77, v74, v78
	v_max_f32_e32 v79, v75, v75
	v_cndmask_b32_e64 v66, v74, v77, s[0:1]
	v_accvgpr_read_b32 v76, a3
	v_max_f32_e32 v74, v66, v79
	v_max_f32_e32 v80, v76, v76
	v_cndmask_b32_e64 v66, v66, v74, s[8:9]
	v_max_f32_e32 v67, v66, v80
	v_cndmask_b32_e64 v66, v66, v67, s[10:11]
	;;#ASMSTART
	v_nop
 v_nop
 v_max_f32_dpp v66, v66, v66 row_ror:4
	;;#ASMEND
	s_nop 0
	;;#ASMSTART
	v_nop
 v_nop
 v_max_f32_dpp v66, v66, v66 row_ror:8
	;;#ASMEND
	ds_bpermute_b32 v66, v73, v66
	s_waitcnt lgkmcnt(0)
	;;#ASMSTART
	v_nop
 v_nop
 v_max_f32_dpp v66, v66, v66 row_ror:4
	;;#ASMEND
	s_nop 0
	;;#ASMSTART
	v_nop
 v_nop
 v_max_f32_dpp v72, v66, v66 row_ror:8
	;;#ASMEND
	s_nop 0
	v_sub_f32_e32 v66, v68, v72
	v_sub_f32_e32 v67, v69, v72
	;; [unrolled: 1-line block ×3, first 2 shown]
	v_mul_f32_e32 v66, 0x3fb8aa3b, v66
	v_mul_f32_e32 v67, 0x3fb8aa3b, v67
	;; [unrolled: 1-line block ×3, first 2 shown]
	v_exp_f32_e32 v66, v66
	v_sub_f32_e32 v69, v76, v72
	v_exp_f32_e32 v67, v67
	v_exp_f32_e32 v74, v68
	v_mul_f32_e32 v69, 0x3fb8aa3b, v69
	v_exp_f32_e32 v75, v69
	v_cndmask_b32_e32 v68, 0, v66, vcc
	v_cndmask_b32_e64 v69, 0, v67, s[0:1]
	v_cndmask_b32_e64 v66, 0, v74, s[8:9]
	v_add_f32_e32 v74, 0, v68
	v_add_f32_e32 v74, v74, v69
	v_cndmask_b32_e64 v67, 0, v75, s[10:11]
	v_add_f32_e32 v74, v74, v66
	v_add_f32_e32 v74, v74, v67
	;;#ASMSTART
	v_nop
 v_nop
 v_add_f32_dpp v74, v74, v74 row_ror:4
	;;#ASMEND
	v_cmp_gt_u32_e32 vcc, 4, v1
	;;#ASMSTART
	v_nop
 v_nop
 v_add_f32_dpp v74, v74, v74 row_ror:8
	;;#ASMEND
	ds_bpermute_b32 v73, v73, v74
	s_waitcnt lgkmcnt(0)
	;;#ASMSTART
	v_nop
 v_nop
 v_add_f32_dpp v73, v73, v73 row_ror:4
	;;#ASMEND
	s_nop 0
	;;#ASMSTART
	v_nop
 v_nop
 v_add_f32_dpp v73, v73, v73 row_ror:8
	;;#ASMEND
	s_and_saveexec_b64 s[0:1], vcc
	s_cbranch_execz .LBB228_16
; %bb.15:
	v_mul_u32_u24_e32 v74, 20, v70
	v_lshl_add_u32 v74, v71, 2, v74
	v_add_u32_e32 v74, 0x1400, v74
	ds_write2_b32 v74, v72, v73 offset1:20
.LBB228_16:
	s_or_b64 exec, exec, s[0:1]
.LBB228_17:
	s_or_b64 exec, exec, s[26:27]
	s_waitcnt lgkmcnt(0)
	s_barrier
	s_load_dword s0, s[24:25], 0x8
	v_lshlrev_b32_e32 v73, 2, v71
	v_add_u32_e32 v74, 0x1400, v73
	ds_read2_b32 v[76:77], v74 offset1:5
	ds_read2_b32 v[78:79], v74 offset0:10 offset1:15
	s_mul_i32 s1, s5, s2
	s_waitcnt lgkmcnt(0)
	s_mul_i32 s0, s1, s0
	s_mov_b32 s1, 0xff7fffff
	v_max3_f32 v73, v76, s1, v77
	v_max3_f32 v73, v73, v78, v79
	v_sub_f32_e32 v75, v76, v73
	v_sub_f32_e32 v76, v77, v73
	v_mul_f32_e32 v76, 0x3fb8aa3b, v76
	ds_read2_b32 v[80:81], v74 offset0:20 offset1:25
	v_mul_f32_e32 v75, 0x3fb8aa3b, v75
	v_exp_f32_e32 v83, v76
	ds_read2_b32 v[76:77], v74 offset0:30 offset1:35
	v_sub_f32_e32 v74, v78, v73
	v_exp_f32_e32 v82, v75
	v_mul_f32_e32 v74, 0x3fb8aa3b, v74
	v_exp_f32_e32 v78, v74
	v_sub_f32_e32 v74, v79, v73
	v_mul_f32_e32 v74, 0x3fb8aa3b, v74
	v_exp_f32_e32 v79, v74
	s_waitcnt lgkmcnt(1)
	v_fma_f32 v74, v82, v80, 0
	v_fmac_f32_e32 v74, v83, v81
	s_waitcnt lgkmcnt(0)
	v_fmac_f32_e32 v74, v78, v76
	v_mov_b32_e32 v75, 0
	v_fmac_f32_e32 v74, v79, v77
	s_mov_b32 s1, 0
	v_cmp_eq_u32_e32 vcc, 0, v71
	s_and_saveexec_b64 s[2:3], vcc
	s_cbranch_execz .LBB228_19
; %bb.18:
	s_lshl_b64 s[8:9], s[0:1], 2
	s_add_u32 s12, s12, s8
	s_mov_b32 s21, s1
	s_addc_u32 s13, s13, s9
	s_lshl_b64 s[10:11], s[20:21], 2
	s_add_u32 s12, s12, s10
	s_addc_u32 s13, s13, s11
	s_add_u32 s8, s14, s8
	s_addc_u32 s9, s15, s9
	;; [unrolled: 2-line block ×3, first 2 shown]
	s_mul_i32 s8, s5, s4
	s_mov_b32 s9, s1
	s_lshl_b64 s[8:9], s[8:9], 2
	s_add_u32 s10, s12, s8
	s_addc_u32 s11, s13, s9
	s_add_u32 s8, s14, s8
	s_addc_u32 s9, s15, s9
	global_store_dword v75, v73, s[8:9]
	global_store_dword v75, v74, s[10:11]
.LBB228_19:
	s_or_b64 exec, exec, s[2:3]
	v_lshlrev_b32_e32 v70, 3, v70
	s_and_saveexec_b64 s[2:3], s[6:7]
	s_xor_b64 s[2:3], exec, s[2:3]
	s_cbranch_execz .LBB228_21
; %bb.20:
	s_mov_b32 s6, 0
	s_mov_b32 s7, s6
	s_waitcnt vmcnt(15)
	v_mad_u32_u24 v4, v1, 40, v70
	v_mov_b64_e32 v[2:3], s[6:7]
	ds_write2st64_b64 v4, v[2:3], v[2:3] offset1:5
                                        ; implicit-def: $vgpr67
                                        ; implicit-def: $vgpr69
                                        ; implicit-def: $vgpr43
                                        ; implicit-def: $vgpr27
                                        ; implicit-def: $vgpr3
                                        ; implicit-def: $vgpr7
                                        ; implicit-def: $vgpr11
                                        ; implicit-def: $vgpr15
                                        ; implicit-def: $vgpr19
                                        ; implicit-def: $vgpr23
                                        ; implicit-def: $vgpr59
                                        ; implicit-def: $vgpr63
                                        ; implicit-def: $vgpr31
                                        ; implicit-def: $vgpr35
                                        ; implicit-def: $vgpr39
                                        ; implicit-def: $vgpr47
                                        ; implicit-def: $vgpr51
                                        ; implicit-def: $vgpr55
                                        ; implicit-def: $vgpr72
                                        ; implicit-def: $vgpr73
                                        ; implicit-def: $vgpr74
                                        ; implicit-def: $vgpr70
.LBB228_21:
	s_andn2_saveexec_b64 s[2:3], s[2:3]
	s_cbranch_execz .LBB228_23
; %bb.22:
	v_add_f32_e32 v71, 0x358637bd, v74
	v_div_scale_f32 v74, s[6:7], v71, v71, 1.0
	v_rcp_f32_e32 v75, v74
	v_sub_f32_e32 v72, v72, v73
	v_mul_f32_e32 v72, 0x3fb8aa3b, v72
	v_exp_f32_e32 v72, v72
	v_fma_f32 v73, -v74, v75, 1.0
	v_fmac_f32_e32 v75, v73, v75
	v_div_scale_f32 v73, vcc, 1.0, v71, 1.0
	v_mul_f32_e32 v76, v73, v75
	v_fma_f32 v77, -v74, v76, v73
	v_fmac_f32_e32 v76, v77, v75
	v_fma_f32 v73, -v74, v76, v73
	v_div_fmas_f32 v73, v73, v75, v76
	v_div_fixup_f32 v71, v73, v71, 1.0
	v_mul_f32_e32 v72, v72, v71
	v_pk_mul_f32 v[66:67], v[66:67], v[72:73] op_sel_hi:[1,0]
	v_pk_mul_f32 v[68:69], v[68:69], v[72:73] op_sel_hi:[1,0]
	v_cvt_f16_f32_e32 v71, v66
	v_cvt_f16_f32_e32 v68, v68
	;; [unrolled: 1-line block ×4, first 2 shown]
	v_pack_b32_f16 v66, v68, v69
	v_pack_b32_f16 v67, v71, v67
	s_waitcnt vmcnt(3)
	s_nop 0
	v_mfma_f32_4x4x4_16b_f16 a[0:3], v[66:67], v[42:43], 0 cbsz:4
	s_nop 1
	v_mfma_f32_4x4x4_16b_f16 a[0:3], v[66:67], v[44:45], a[0:3] cbsz:4 abid:1
	s_waitcnt vmcnt(1)
	v_mfma_f32_4x4x4_16b_f16 a[4:7], v[66:67], v[58:59], 0 cbsz:4
	v_mfma_f32_4x4x4_16b_f16 a[0:3], v[66:67], v[26:27], a[0:3] cbsz:4 abid:2
	s_nop 0
	v_mfma_f32_4x4x4_16b_f16 a[4:7], v[66:67], v[60:61], a[4:7] cbsz:4 abid:1
	v_mfma_f32_4x4x4_16b_f16 a[0:3], v[66:67], v[28:29], a[0:3] cbsz:4 abid:3
	s_waitcnt vmcnt(0)
	v_mfma_f32_4x4x4_16b_f16 a[4:7], v[66:67], v[62:63], a[4:7] cbsz:4 abid:2
	v_mfma_f32_4x4x4_16b_f16 a[0:3], v[66:67], v[2:3], a[0:3] cbsz:4 abid:4
	s_nop 0
	v_mfma_f32_4x4x4_16b_f16 a[4:7], v[66:67], v[64:65], a[4:7] cbsz:4 abid:3
	v_mfma_f32_4x4x4_16b_f16 a[0:3], v[66:67], v[4:5], a[0:3] cbsz:4 abid:5
	s_nop 0
	;; [unrolled: 3-line block ×3, first 2 shown]
	v_mfma_f32_4x4x4_16b_f16 a[4:7], v[66:67], v[32:33], a[4:7] cbsz:4 abid:5
	v_mfma_f32_4x4x4_16b_f16 a[0:3], v[66:67], v[8:9], a[0:3] cbsz:4 abid:7
	v_mad_u32_u24 v9, v1, 40, v70
	v_mfma_f32_4x4x4_16b_f16 a[4:7], v[66:67], v[34:35], a[4:7] cbsz:4 abid:6
	v_mfma_f32_4x4x4_16b_f16 a[0:3], v[66:67], v[10:11], a[0:3] cbsz:4 abid:8
	s_nop 0
	v_mfma_f32_4x4x4_16b_f16 a[4:7], v[66:67], v[36:37], a[4:7] cbsz:4 abid:7
	v_mfma_f32_4x4x4_16b_f16 a[0:3], v[66:67], v[12:13], a[0:3] cbsz:4 abid:9
	s_nop 0
	;; [unrolled: 3-line block ×7, first 2 shown]
	v_mfma_f32_4x4x4_16b_f16 a[0:3], v[66:67], v[24:25], a[0:3] cbsz:4 abid:15
	s_nop 4
	v_accvgpr_read_b32 v2, a0
	v_accvgpr_read_b32 v3, a1
	;; [unrolled: 1-line block ×4, first 2 shown]
	v_mfma_f32_4x4x4_16b_f16 a[0:3], v[66:67], v[52:53], a[4:7] cbsz:4 abid:13
	v_cvt_f16_f32_e32 v2, v2
	v_cvt_f16_f32_e32 v3, v3
	v_mfma_f32_4x4x4_16b_f16 a[0:3], v[66:67], v[54:55], a[0:3] cbsz:4 abid:14
	v_pack_b32_f16 v2, v2, v3
	s_nop 0
	v_mfma_f32_4x4x4_16b_f16 a[0:3], v[66:67], v[56:57], a[0:3] cbsz:4 abid:15
	v_cvt_f16_f32_e32 v3, v4
	v_cvt_f16_f32_e32 v4, v5
	v_pack_b32_f16 v3, v3, v4
	s_nop 1
	v_accvgpr_read_b32 v5, a0
	v_accvgpr_read_b32 v6, a1
	v_accvgpr_read_b32 v7, a2
	v_accvgpr_read_b32 v8, a3
	v_cvt_f16_f32_e32 v5, v5
	v_cvt_f16_f32_e32 v6, v6
	;; [unrolled: 1-line block ×4, first 2 shown]
	v_pack_b32_f16 v4, v5, v6
	v_pack_b32_f16 v5, v7, v8
	ds_write2st64_b64 v9, v[2:3], v[4:5] offset1:5
.LBB228_23:
	s_or_b64 exec, exec, s[2:3]
	v_cmp_gt_u32_e32 vcc, 64, v0
	s_waitcnt lgkmcnt(0)
	s_barrier
	s_and_saveexec_b64 s[2:3], vcc
	s_cbranch_execz .LBB228_25
; %bb.24:
	s_waitcnt vmcnt(15)
	v_mov_b32_e32 v2, 0xa00
	v_mad_u32_u24 v2, v1, 40, v2
	s_waitcnt vmcnt(14)
	v_mov_b32_e32 v6, 0xa10
	ds_read2_b64 v[2:5], v2 offset1:1
	s_waitcnt lgkmcnt(0)
	v_mad_u32_u24 v3, v1, 40, v6
	ds_read2_b64 v[6:9], v3 offset1:1
	v_mul_u32_u24_e32 v1, 40, v1
	s_lshl_b32 s0, s0, 7
	v_pk_add_f16 v2, v2, 0
	s_lshl_b64 s[2:3], s[0:1], 1
	v_pk_add_f16 v2, v2, v4
	s_add_u32 s2, s22, s2
	s_waitcnt lgkmcnt(0)
	v_pk_add_f16 v2, v2, v6
	s_addc_u32 s3, s23, s3
	s_waitcnt vmcnt(11)
	v_pk_add_f16 v10, v2, v8
	ds_read2_b64 v[2:5], v1 offset1:1
	ds_read2_b64 v[6:9], v1 offset0:2 offset1:3
	s_lshl_b32 s0, s20, 7
	s_lshl_b64 s[0:1], s[0:1], 1
	s_add_u32 s0, s2, s0
	s_waitcnt lgkmcnt(1)
	v_pk_add_f16 v2, v2, 0
	s_mul_i32 s4, s4, s5
	v_pk_add_f16 v2, v2, v4
	s_addc_u32 s1, s3, s1
	v_lshl_or_b32 v0, s4, 7, v0
	v_mov_b32_e32 v1, 0
	s_waitcnt lgkmcnt(0)
	v_pk_add_f16 v2, v2, v6
	v_lshl_add_u64 v[0:1], v[0:1], 1, s[0:1]
	v_pk_add_f16 v2, v2, v8
	global_store_short v[0:1], v2, off
	global_store_short v[0:1], v10, off offset:128
.LBB228_25:
	s_endpgm
	.section	.rodata,"a",@progbits
	.p2align	6, 0x0
	.amdhsa_kernel _Z38paged_attention_ll4mi_QKV_mfma4_kernelIDF16_DF16_LN4vllm18Fp8KVCacheDataTypeE0EhLi16ELi128ELi256ELb0ELi1EEvPKT_PKT0_S7_ifPKiS9_S9_iPKfiiiPfSC_PS2_PT2_iSB_SB_
		.amdhsa_group_segment_fixed_size 5280
		.amdhsa_private_segment_fixed_size 0
		.amdhsa_kernarg_size 400
		.amdhsa_user_sgpr_count 2
		.amdhsa_user_sgpr_dispatch_ptr 0
		.amdhsa_user_sgpr_queue_ptr 0
		.amdhsa_user_sgpr_kernarg_segment_ptr 1
		.amdhsa_user_sgpr_dispatch_id 0
		.amdhsa_user_sgpr_kernarg_preload_length 0
		.amdhsa_user_sgpr_kernarg_preload_offset 0
		.amdhsa_user_sgpr_private_segment_size 0
		.amdhsa_uses_dynamic_stack 0
		.amdhsa_enable_private_segment 0
		.amdhsa_system_sgpr_workgroup_id_x 1
		.amdhsa_system_sgpr_workgroup_id_y 1
		.amdhsa_system_sgpr_workgroup_id_z 1
		.amdhsa_system_sgpr_workgroup_info 0
		.amdhsa_system_vgpr_workitem_id 0
		.amdhsa_next_free_vgpr 104
		.amdhsa_next_free_sgpr 38
		.amdhsa_accum_offset 96
		.amdhsa_reserve_vcc 1
		.amdhsa_float_round_mode_32 0
		.amdhsa_float_round_mode_16_64 0
		.amdhsa_float_denorm_mode_32 3
		.amdhsa_float_denorm_mode_16_64 3
		.amdhsa_dx10_clamp 1
		.amdhsa_ieee_mode 1
		.amdhsa_fp16_overflow 0
		.amdhsa_tg_split 0
		.amdhsa_exception_fp_ieee_invalid_op 0
		.amdhsa_exception_fp_denorm_src 0
		.amdhsa_exception_fp_ieee_div_zero 0
		.amdhsa_exception_fp_ieee_overflow 0
		.amdhsa_exception_fp_ieee_underflow 0
		.amdhsa_exception_fp_ieee_inexact 0
		.amdhsa_exception_int_div_zero 0
	.end_amdhsa_kernel
	.section	.text._Z38paged_attention_ll4mi_QKV_mfma4_kernelIDF16_DF16_LN4vllm18Fp8KVCacheDataTypeE0EhLi16ELi128ELi256ELb0ELi1EEvPKT_PKT0_S7_ifPKiS9_S9_iPKfiiiPfSC_PS2_PT2_iSB_SB_,"axG",@progbits,_Z38paged_attention_ll4mi_QKV_mfma4_kernelIDF16_DF16_LN4vllm18Fp8KVCacheDataTypeE0EhLi16ELi128ELi256ELb0ELi1EEvPKT_PKT0_S7_ifPKiS9_S9_iPKfiiiPfSC_PS2_PT2_iSB_SB_,comdat
.Lfunc_end228:
	.size	_Z38paged_attention_ll4mi_QKV_mfma4_kernelIDF16_DF16_LN4vllm18Fp8KVCacheDataTypeE0EhLi16ELi128ELi256ELb0ELi1EEvPKT_PKT0_S7_ifPKiS9_S9_iPKfiiiPfSC_PS2_PT2_iSB_SB_, .Lfunc_end228-_Z38paged_attention_ll4mi_QKV_mfma4_kernelIDF16_DF16_LN4vllm18Fp8KVCacheDataTypeE0EhLi16ELi128ELi256ELb0ELi1EEvPKT_PKT0_S7_ifPKiS9_S9_iPKfiiiPfSC_PS2_PT2_iSB_SB_
                                        ; -- End function
	.section	.AMDGPU.csdata,"",@progbits
; Kernel info:
; codeLenInByte = 3716
; NumSgprs: 44
; NumVgprs: 94
; NumAgprs: 8
; TotalNumVgprs: 104
; ScratchSize: 0
; MemoryBound: 0
; FloatMode: 240
; IeeeMode: 1
; LDSByteSize: 5280 bytes/workgroup (compile time only)
; SGPRBlocks: 5
; VGPRBlocks: 12
; NumSGPRsForWavesPerEU: 44
; NumVGPRsForWavesPerEU: 104
; AccumOffset: 96
; Occupancy: 4
; WaveLimiterHint : 1
; COMPUTE_PGM_RSRC2:SCRATCH_EN: 0
; COMPUTE_PGM_RSRC2:USER_SGPR: 2
; COMPUTE_PGM_RSRC2:TRAP_HANDLER: 0
; COMPUTE_PGM_RSRC2:TGID_X_EN: 1
; COMPUTE_PGM_RSRC2:TGID_Y_EN: 1
; COMPUTE_PGM_RSRC2:TGID_Z_EN: 1
; COMPUTE_PGM_RSRC2:TIDIG_COMP_CNT: 0
; COMPUTE_PGM_RSRC3_GFX90A:ACCUM_OFFSET: 23
; COMPUTE_PGM_RSRC3_GFX90A:TG_SPLIT: 0
	.section	.text._Z38paged_attention_ll4mi_QKV_mfma4_kernelIDF16_DF16_LN4vllm18Fp8KVCacheDataTypeE0EhLi16ELi128ELi256ELb0ELi2EEvPKT_PKT0_S7_ifPKiS9_S9_iPKfiiiPfSC_PS2_PT2_iSB_SB_,"axG",@progbits,_Z38paged_attention_ll4mi_QKV_mfma4_kernelIDF16_DF16_LN4vllm18Fp8KVCacheDataTypeE0EhLi16ELi128ELi256ELb0ELi2EEvPKT_PKT0_S7_ifPKiS9_S9_iPKfiiiPfSC_PS2_PT2_iSB_SB_,comdat
	.protected	_Z38paged_attention_ll4mi_QKV_mfma4_kernelIDF16_DF16_LN4vllm18Fp8KVCacheDataTypeE0EhLi16ELi128ELi256ELb0ELi2EEvPKT_PKT0_S7_ifPKiS9_S9_iPKfiiiPfSC_PS2_PT2_iSB_SB_ ; -- Begin function _Z38paged_attention_ll4mi_QKV_mfma4_kernelIDF16_DF16_LN4vllm18Fp8KVCacheDataTypeE0EhLi16ELi128ELi256ELb0ELi2EEvPKT_PKT0_S7_ifPKiS9_S9_iPKfiiiPfSC_PS2_PT2_iSB_SB_
	.globl	_Z38paged_attention_ll4mi_QKV_mfma4_kernelIDF16_DF16_LN4vllm18Fp8KVCacheDataTypeE0EhLi16ELi128ELi256ELb0ELi2EEvPKT_PKT0_S7_ifPKiS9_S9_iPKfiiiPfSC_PS2_PT2_iSB_SB_
	.p2align	8
	.type	_Z38paged_attention_ll4mi_QKV_mfma4_kernelIDF16_DF16_LN4vllm18Fp8KVCacheDataTypeE0EhLi16ELi128ELi256ELb0ELi2EEvPKT_PKT0_S7_ifPKiS9_S9_iPKfiiiPfSC_PS2_PT2_iSB_SB_,@function
_Z38paged_attention_ll4mi_QKV_mfma4_kernelIDF16_DF16_LN4vllm18Fp8KVCacheDataTypeE0EhLi16ELi128ELi256ELb0ELi2EEvPKT_PKT0_S7_ifPKiS9_S9_iPKfiiiPfSC_PS2_PT2_iSB_SB_: ; @_Z38paged_attention_ll4mi_QKV_mfma4_kernelIDF16_DF16_LN4vllm18Fp8KVCacheDataTypeE0EhLi16ELi128ELi256ELb0ELi2EEvPKT_PKT0_S7_ifPKiS9_S9_iPKfiiiPfSC_PS2_PT2_iSB_SB_
; %bb.0:
	s_load_dwordx2 s[16:17], s[0:1], 0x30
	s_mov_b32 s20, s3
	s_mov_b64 s[6:7], 0
	s_waitcnt lgkmcnt(0)
	s_cmp_lg_u64 s[16:17], 0
	s_cselect_b64 s[18:19], -1, 0
	s_and_b64 vcc, exec, s[18:19]
	s_cbranch_vccz .LBB229_10
; %bb.1:
	s_add_i32 s8, s2, 1
	s_mov_b32 s9, 0
	s_lshl_b64 s[10:11], s[8:9], 2
	s_add_u32 s10, s16, s10
	s_mov_b32 s3, s9
	s_addc_u32 s11, s17, s11
	s_lshl_b64 s[8:9], s[2:3], 2
	s_add_u32 s8, s16, s8
	s_addc_u32 s9, s17, s9
	s_load_dword s5, s[10:11], 0x0
	s_load_dword s12, s[8:9], 0x0
	s_waitcnt lgkmcnt(0)
	s_sub_i32 s5, s5, s12
	s_cmp_eq_u32 s5, 1
	s_cselect_b64 s[8:9], -1, 0
	s_andn2_b64 vcc, exec, s[6:7]
	s_cbranch_vccnz .LBB229_3
.LBB229_2:
	s_mov_b32 s3, 0
	s_mov_b64 s[8:9], -1
.LBB229_3:
	s_andn2_b64 vcc, exec, s[8:9]
	s_cbranch_vccnz .LBB229_25
; %bb.4:
	s_load_dword s5, s[0:1], 0x9c
	s_load_dwordx2 s[6:7], s[0:1], 0x28
	s_add_u32 s24, s0, 0x90
	s_addc_u32 s25, s1, 0
	s_lshl_b64 s[28:29], s[2:3], 2
	s_waitcnt lgkmcnt(0)
	s_and_b32 s5, s5, 0xffff
	s_add_u32 s6, s6, s28
	s_addc_u32 s7, s7, s29
	s_load_dword s3, s[6:7], 0x0
	s_mul_i32 s10, s20, s5
	s_waitcnt lgkmcnt(0)
	s_cmp_ge_i32 s10, s3
	s_cbranch_scc1 .LBB229_25
; %bb.5:
	v_and_b32_e32 v1, 0xc0, v0
	v_add_u32_e32 v2, s10, v1
	v_lshrrev_b32_e32 v70, 6, v0
	v_cmp_le_i32_e64 s[6:7], s3, v2
                                        ; implicit-def: $sgpr21
                                        ; implicit-def: $sgpr11
	s_and_saveexec_b64 s[8:9], s[6:7]
	s_xor_b64 s[8:9], exec, s[8:9]
	s_cbranch_execz .LBB229_7
; %bb.6:
	v_mul_u32_u24_e32 v1, 20, v70
	v_or_b32_e32 v1, 0x1400, v1
	v_mov_b32_e32 v2, 0x1450
	v_mov_b32_e32 v3, 0xff7fffff
	v_mad_u32_u24 v2, v70, 20, v2
	ds_write2_b32 v1, v3, v3 offset1:1
	v_mov_b32_e32 v1, 0
	ds_write2_b32 v2, v1, v1 offset1:1
	v_mov_b32_e32 v2, 0x1408
	s_mov_b32 s11, 0xff7fffff
	s_mov_b32 s21, 0
	v_mad_u32_u24 v2, v70, 20, v2
	v_mov_b32_e32 v4, 0x1458
	v_mad_u32_u24 v4, v70, 20, v4
	ds_write2_b32 v2, v3, v3 offset1:1
	ds_write2_b32 v4, v1, v1 offset1:1
                                        ; implicit-def: $vgpr2
.LBB229_7:
	s_or_saveexec_b64 s[26:27], s[8:9]
	s_load_dwordx2 s[22:23], s[0:1], 0x68
	s_load_dwordx4 s[12:15], s[0:1], 0x58
	s_load_dword s5, s[24:25], 0x4
	v_and_b32_e32 v1, 63, v0
	v_and_b32_e32 v71, 3, v0
	v_mov_b32_e32 v67, s21
	v_mov_b32_e32 v72, s11
	;; [unrolled: 1-line block ×5, first 2 shown]
                                        ; implicit-def: $vgpr43
                                        ; implicit-def: $vgpr27
                                        ; implicit-def: $vgpr3
                                        ; implicit-def: $vgpr7
                                        ; implicit-def: $vgpr11
                                        ; implicit-def: $vgpr15
                                        ; implicit-def: $vgpr19
                                        ; implicit-def: $vgpr23
                                        ; implicit-def: $vgpr59
                                        ; implicit-def: $vgpr63
                                        ; implicit-def: $vgpr31
                                        ; implicit-def: $vgpr35
                                        ; implicit-def: $vgpr39
                                        ; implicit-def: $vgpr47
                                        ; implicit-def: $vgpr51
                                        ; implicit-def: $vgpr55
	s_xor_b64 exec, exec, s[26:27]
	s_cbranch_execz .LBB229_17
; %bb.8:
	s_add_i32 s21, s3, 15
	s_load_dwordx2 s[8:9], s[0:1], 0x20
	s_load_dword s11, s[0:1], 0x38
	s_ashr_i32 s30, s21, 31
	s_lshr_b32 s30, s30, 28
	v_add_u32_e32 v72, s10, v0
	s_add_i32 s21, s21, s30
	v_ashrrev_i32_e32 v3, 31, v72
	s_ashr_i32 s21, s21, 4
	v_lshrrev_b32_e32 v3, 28, v3
	s_add_i32 s21, s21, -1
	v_add_u32_e32 v3, v72, v3
	s_waitcnt lgkmcnt(0)
	s_mul_i32 s30, s2, s11
	s_mov_b32 s31, 0
	v_ashrrev_i32_e32 v3, 4, v3
	v_mov_b32_e32 v4, s21
	v_cmp_gt_i32_e32 vcc, s3, v72
	s_lshl_b64 s[30:31], s[30:31], 2
	s_add_u32 s8, s8, s30
	v_cndmask_b32_e32 v4, v4, v3, vcc
	v_ashrrev_i32_e32 v3, 31, v2
	v_lshrrev_b32_e32 v3, 28, v3
	s_addc_u32 s9, s9, s31
	v_ashrrev_i32_e32 v5, 31, v4
	v_add_u32_e32 v2, v2, v3
	v_lshl_add_u64 v[8:9], v[4:5], 2, s[8:9]
	v_ashrrev_i32_e32 v4, 4, v2
	v_min_i32_e32 v2, s21, v4
	v_ashrrev_i32_e32 v3, 31, v2
	v_lshl_add_u64 v[10:11], v[2:3], 2, s[8:9]
	v_add_u32_e32 v2, 1, v4
	v_min_i32_e32 v2, s21, v2
	v_ashrrev_i32_e32 v3, 31, v2
	v_lshl_add_u64 v[12:13], v[2:3], 2, s[8:9]
	v_add_u32_e32 v2, 2, v4
	;; [unrolled: 4-line block ×3, first 2 shown]
	v_min_i32_e32 v2, s21, v2
	v_ashrrev_i32_e32 v3, 31, v2
	v_lshl_add_u64 v[16:17], v[2:3], 2, s[8:9]
	global_load_dword v2, v[8:9], off
	global_load_dword v4, v[10:11], off
	;; [unrolled: 1-line block ×5, first 2 shown]
	s_load_dwordx4 s[8:11], s[0:1], 0x8
	s_andn2_b64 vcc, exec, s[18:19]
	s_cbranch_vccnz .LBB229_11
; %bb.9:
	s_add_u32 s16, s16, s28
	s_addc_u32 s17, s17, s29
	s_load_dword s21, s[16:17], 0x0
	s_branch .LBB229_12
.LBB229_10:
	s_mov_b64 s[8:9], 0
	s_branch .LBB229_2
.LBB229_11:
	s_mov_b32 s21, s2
.LBB229_12:
	s_load_dwordx4 s[16:19], s[0:1], 0x48
	v_cmp_gt_u32_e32 vcc, 2, v71
	s_mov_b32 s29, 0
	v_mov_b32_e32 v27, 0
	v_mov_b32_e32 v66, 0
	;; [unrolled: 1-line block ×5, first 2 shown]
	s_and_saveexec_b64 s[30:31], vcc
	s_cbranch_execz .LBB229_14
; %bb.13:
	s_load_dwordx2 s[34:35], s[0:1], 0x0
	s_waitcnt lgkmcnt(0)
	s_ashr_i32 s19, s16, 31
	s_mul_hi_u32 s28, s21, s16
	s_mul_i32 s19, s21, s19
	s_add_i32 s37, s28, s19
	s_mul_i32 s36, s21, s16
	s_lshl_b64 s[36:37], s[36:37], 1
	s_add_u32 s16, s34, s36
	s_addc_u32 s19, s35, s37
	s_lshl_b32 s28, s4, 8
	s_lshl_b64 s[34:35], s[28:29], 1
	v_lshlrev_b32_e32 v3, 2, v1
	s_add_u32 s34, s16, s34
	v_and_b32_e32 v3, 0xf0, v3
	s_addc_u32 s35, s19, s35
	v_lshl_or_b32 v3, v71, 8, v3
	global_load_dwordx4 v[66:69], v3, s[34:35]
.LBB229_14:
	s_or_b64 exec, exec, s[30:31]
	s_waitcnt lgkmcnt(0)
	s_mul_i32 s28, s4, s18
	s_lshl_b64 s[18:19], s[28:29], 1
	s_add_u32 s8, s18, s8
	s_waitcnt vmcnt(4)
	v_mad_i64_i32 v[2:3], s[30:31], v2, s17, 0
	s_addc_u32 s9, s19, s9
	v_and_b32_e32 v8, 15, v0
	v_lshl_add_u64 v[2:3], v[2:3], 1, s[8:9]
	v_lshlrev_b32_e32 v26, 4, v8
	v_lshl_add_u64 v[2:3], v[2:3], 0, v[26:27]
	global_load_dwordx4 v[8:11], v[2:3], off
	global_load_dwordx4 v[12:15], v[2:3], off offset:256
	global_load_dwordx4 v[16:19], v[2:3], off offset:512
	;; [unrolled: 1-line block ×15, first 2 shown]
	s_waitcnt vmcnt(19)
	v_mul_hi_i32 v24, v4, s17
	s_waitcnt vmcnt(18)
	v_mul_hi_i32 v26, v5, s17
	;; [unrolled: 2-line block ×4, first 2 shown]
	v_ashrrev_i32_e32 v94, 31, v24
	v_ashrrev_i32_e32 v24, 31, v26
	;; [unrolled: 1-line block ×4, first 2 shown]
	v_mov_b32_e32 v25, v27
	v_mov_b32_e32 v65, v27
	;; [unrolled: 1-line block ×3, first 2 shown]
	v_lshrrev_b32_e32 v24, 29, v24
	v_lshrrev_b32_e32 v64, 29, v26
	;; [unrolled: 1-line block ×3, first 2 shown]
	v_mad_i64_i32 v[2:3], s[8:9], v5, s17, v[24:25]
	v_mad_i64_i32 v[24:25], s[8:9], v6, s17, v[64:65]
	;; [unrolled: 1-line block ×3, first 2 shown]
	s_add_u32 s8, s10, s18
	v_lshrrev_b32_e32 v26, 29, v94
	s_addc_u32 s9, s11, s19
	v_mad_i64_i32 v[4:5], s[10:11], v4, s17, v[26:27]
	v_lshlrev_b64 v[2:3], 1, v[2:3]
	v_lshlrev_b64 v[6:7], 1, v[6:7]
	v_and_b32_e32 v2, -16, v2
	v_and_b32_e32 v6, -16, v6
	v_lshlrev_b32_e32 v26, 5, v1
	v_lshl_add_u64 v[2:3], s[8:9], 0, v[2:3]
	v_lshl_add_u64 v[6:7], s[8:9], 0, v[6:7]
	s_load_dword s0, s[0:1], 0x1c
	v_cmp_eq_u32_e32 vcc, 0, v71
	v_and_b32_e32 v92, -4, v72
	v_mov_b32_e32 v73, 0xff7fffff
	v_cndmask_b32_e64 v88, 0, 1.0, vcc
	v_cmp_eq_u32_e32 vcc, 1, v71
	v_or_b32_e32 v72, 3, v72
	v_cmp_gt_i32_e64 s[10:11], s3, v72
	v_cndmask_b32_e64 v89, 0, 1.0, vcc
	v_cmp_eq_u32_e32 vcc, 2, v71
	v_lshlrev_b32_e32 v93, 2, v0
	s_waitcnt vmcnt(15)
	v_mfma_f32_4x4x4_16b_f16 a[0:3], v[66:67], v[8:9], 0 cbsz:4
	v_lshlrev_b64 v[8:9], 1, v[24:25]
	s_nop 0
	v_mfma_f32_4x4x4_16b_f16 a[0:3], v[68:69], v[10:11], a[0:3] cbsz:4
	v_and_b32_e32 v8, -16, v8
	v_lshl_add_u64 v[8:9], s[8:9], 0, v[8:9]
	s_waitcnt vmcnt(14)
	v_mfma_f32_4x4x4_16b_f16 a[0:3], v[66:67], v[12:13], a[0:3] cbsz:4 abid:1
	v_lshl_add_u64 v[10:11], v[2:3], 0, v[26:27]
	v_cndmask_b32_e64 v90, 0, 1.0, vcc
	v_mfma_f32_4x4x4_16b_f16 a[0:3], v[68:69], v[14:15], a[0:3] cbsz:4 abid:1
	v_cmp_eq_u32_e32 vcc, 3, v71
	s_waitcnt vmcnt(13)
	v_mfma_f32_4x4x4_16b_f16 a[0:3], v[66:67], v[16:17], a[0:3] cbsz:4 abid:2
	v_cndmask_b32_e64 v91, 0, 1.0, vcc
	v_cmp_gt_i32_e32 vcc, s3, v92
	v_mfma_f32_4x4x4_16b_f16 a[0:3], v[68:69], v[18:19], a[0:3] cbsz:4 abid:2
	v_lshl_add_u64 v[18:19], v[8:9], 0, v[26:27]
	s_waitcnt vmcnt(12)
	v_mfma_f32_4x4x4_16b_f16 a[0:3], v[66:67], v[20:21], a[0:3] cbsz:4 abid:3
	s_nop 1
	v_mfma_f32_4x4x4_16b_f16 a[0:3], v[68:69], v[22:23], a[0:3] cbsz:4 abid:3
	s_waitcnt vmcnt(11)
	s_nop 0
	v_mfma_f32_4x4x4_16b_f16 a[0:3], v[66:67], v[28:29], a[0:3] cbsz:4 abid:4
	v_lshlrev_b64 v[28:29], 1, v[4:5]
	v_and_b32_e32 v28, -16, v28
	v_mfma_f32_4x4x4_16b_f16 a[0:3], v[68:69], v[30:31], a[0:3] cbsz:4 abid:4
	v_lshl_add_u64 v[28:29], s[8:9], 0, v[28:29]
	s_waitcnt vmcnt(10)
	v_mfma_f32_4x4x4_16b_f16 a[0:3], v[66:67], v[32:33], a[0:3] cbsz:4 abid:5
	s_nop 1
	v_mfma_f32_4x4x4_16b_f16 a[0:3], v[68:69], v[34:35], a[0:3] cbsz:4 abid:5
	s_waitcnt vmcnt(9)
	s_nop 0
	v_mfma_f32_4x4x4_16b_f16 a[0:3], v[66:67], v[36:37], a[0:3] cbsz:4 abid:6
	s_nop 1
	v_mfma_f32_4x4x4_16b_f16 a[0:3], v[68:69], v[38:39], a[0:3] cbsz:4 abid:6
	s_waitcnt vmcnt(8)
	s_nop 0
	v_mfma_f32_4x4x4_16b_f16 a[0:3], v[66:67], v[40:41], a[0:3] cbsz:4 abid:7
	s_nop 1
	v_mfma_f32_4x4x4_16b_f16 a[0:3], v[68:69], v[42:43], a[0:3] cbsz:4 abid:7
	v_lshl_add_u64 v[42:43], v[6:7], 0, v[26:27]
	global_load_dwordx4 v[2:5], v[10:11], off
	global_load_dwordx4 v[6:9], v[10:11], off offset:16
	s_waitcnt vmcnt(9)
	v_mfma_f32_4x4x4_16b_f16 a[0:3], v[66:67], v[44:45], a[0:3] cbsz:4 abid:8
	global_load_dwordx4 v[30:33], v[10:11], off offset:2048
	global_load_dwordx4 v[34:37], v[10:11], off offset:2064
	v_mfma_f32_4x4x4_16b_f16 a[0:3], v[68:69], v[46:47], a[0:3] cbsz:4 abid:8
	global_load_dwordx4 v[10:13], v[18:19], off
	global_load_dwordx4 v[14:17], v[18:19], off offset:16
	s_waitcnt vmcnt(12)
	v_mfma_f32_4x4x4_16b_f16 a[0:3], v[66:67], v[48:49], a[0:3] cbsz:4 abid:9
	global_load_dwordx4 v[38:41], v[18:19], off offset:2048
	global_load_dwordx4 v[46:49], v[18:19], off offset:2064
	v_mfma_f32_4x4x4_16b_f16 a[0:3], v[68:69], v[50:51], a[0:3] cbsz:4 abid:9
	global_load_dwordx4 v[18:21], v[42:43], off
	global_load_dwordx4 v[22:25], v[42:43], off offset:16
	s_waitcnt vmcnt(15)
	v_mfma_f32_4x4x4_16b_f16 a[0:3], v[66:67], v[52:53], a[0:3] cbsz:4 abid:10
	s_nop 1
	v_mfma_f32_4x4x4_16b_f16 a[0:3], v[68:69], v[54:55], a[0:3] cbsz:4 abid:10
	s_waitcnt vmcnt(14)
	s_nop 0
	v_mfma_f32_4x4x4_16b_f16 a[0:3], v[66:67], v[56:57], a[0:3] cbsz:4 abid:11
	global_load_dwordx4 v[50:53], v[42:43], off offset:2048
	global_load_dwordx4 v[54:57], v[42:43], off offset:2064
	v_mfma_f32_4x4x4_16b_f16 a[0:3], v[68:69], v[58:59], a[0:3] cbsz:4 abid:11
	s_waitcnt vmcnt(15)
	s_nop 0
	v_mfma_f32_4x4x4_16b_f16 a[0:3], v[66:67], v[60:61], a[0:3] cbsz:4 abid:12
	s_nop 1
	v_mfma_f32_4x4x4_16b_f16 a[0:3], v[68:69], v[62:63], a[0:3] cbsz:4 abid:12
	s_waitcnt vmcnt(14)
	s_nop 0
	v_mfma_f32_4x4x4_16b_f16 a[0:3], v[66:67], v[74:75], a[0:3] cbsz:4 abid:13
	v_lshl_add_u64 v[74:75], v[28:29], 0, v[26:27]
	global_load_dwordx4 v[42:45], v[74:75], off
	global_load_dwordx4 v[26:29], v[74:75], off offset:16
	global_load_dwordx4 v[58:61], v[74:75], off offset:2048
	;; [unrolled: 1-line block ×3, first 2 shown]
	v_mfma_f32_4x4x4_16b_f16 a[0:3], v[68:69], v[76:77], a[0:3] cbsz:4 abid:13
	v_and_or_b32 v74, v93, 48, v71
	v_lshlrev_b32_e32 v74, 2, v74
	s_waitcnt vmcnt(17)
	v_mfma_f32_4x4x4_16b_f16 a[0:3], v[66:67], v[78:79], a[0:3] cbsz:4 abid:14
	s_nop 1
	v_mfma_f32_4x4x4_16b_f16 a[0:3], v[68:69], v[80:81], a[0:3] cbsz:4 abid:14
	s_waitcnt vmcnt(16)
	s_nop 0
	v_mfma_f32_4x4x4_16b_f16 a[0:3], v[66:67], v[82:83], a[0:3] cbsz:4 abid:15
	s_nop 1
	v_mfma_f32_4x4x4_16b_f16 a[0:3], v[68:69], v[84:85], a[0:3] cbsz:4 abid:15
	s_nop 4
	v_accvgpr_read_b32 v67, a1
	v_accvgpr_read_b32 v66, a0
	s_waitcnt lgkmcnt(0)
	v_pk_mul_f32 v[66:67], s[0:1], v[66:67] op_sel_hi:[0,1]
	v_accvgpr_read_b32 v69, a3
	v_accvgpr_read_b32 v68, a2
	v_pk_mul_f32 v[68:69], s[0:1], v[68:69] op_sel_hi:[0,1]
	v_mfma_f32_4x4x1_16b_f32 a[0:3], v66, v88, 0
	v_or_b32_e32 v66, 1, v92
	s_nop 0
	v_mfma_f32_4x4x1_16b_f32 a[0:3], v67, v89, a[0:3]
	v_cmp_gt_i32_e64 s[0:1], s3, v66
	v_or_b32_e32 v67, 2, v92
	v_mfma_f32_4x4x1_16b_f32 a[0:3], v68, v90, a[0:3]
	v_cmp_gt_i32_e64 s[8:9], s3, v67
	s_nop 0
	v_mfma_f32_4x4x1_16b_f32 a[0:3], v69, v91, a[0:3]
	s_nop 3
	v_accvgpr_read_b32 v68, a0
	v_max_f32_e32 v77, v68, v68
	v_accvgpr_read_b32 v69, a1
	v_max_f32_e32 v77, 0xff7fffff, v77
	v_max_f32_e32 v78, v69, v69
	v_cndmask_b32_e32 v73, v73, v77, vcc
	v_accvgpr_read_b32 v75, a2
	v_max_f32_e32 v77, v73, v78
	v_max_f32_e32 v79, v75, v75
	v_cndmask_b32_e64 v66, v73, v77, s[0:1]
	v_accvgpr_read_b32 v76, a3
	v_max_f32_e32 v73, v66, v79
	v_max_f32_e32 v80, v76, v76
	v_cndmask_b32_e64 v66, v66, v73, s[8:9]
	v_max_f32_e32 v67, v66, v80
	v_cndmask_b32_e64 v66, v66, v67, s[10:11]
	;;#ASMSTART
	v_nop
 v_nop
 v_max_f32_dpp v66, v66, v66 row_ror:4
	;;#ASMEND
	s_nop 0
	;;#ASMSTART
	v_nop
 v_nop
 v_max_f32_dpp v66, v66, v66 row_ror:8
	;;#ASMEND
	ds_bpermute_b32 v66, v74, v66
	s_waitcnt lgkmcnt(0)
	;;#ASMSTART
	v_nop
 v_nop
 v_max_f32_dpp v66, v66, v66 row_ror:4
	;;#ASMEND
	s_nop 0
	;;#ASMSTART
	v_nop
 v_nop
 v_max_f32_dpp v72, v66, v66 row_ror:8
	;;#ASMEND
	s_nop 0
	v_sub_f32_e32 v66, v68, v72
	v_sub_f32_e32 v67, v69, v72
	;; [unrolled: 1-line block ×3, first 2 shown]
	v_mul_f32_e32 v66, 0x3fb8aa3b, v66
	v_mul_f32_e32 v67, 0x3fb8aa3b, v67
	;; [unrolled: 1-line block ×3, first 2 shown]
	v_exp_f32_e32 v66, v66
	v_sub_f32_e32 v69, v76, v72
	v_exp_f32_e32 v67, v67
	v_exp_f32_e32 v73, v68
	v_mul_f32_e32 v69, 0x3fb8aa3b, v69
	v_exp_f32_e32 v75, v69
	v_cndmask_b32_e32 v68, 0, v66, vcc
	v_cndmask_b32_e64 v69, 0, v67, s[0:1]
	v_cndmask_b32_e64 v66, 0, v73, s[8:9]
	v_add_f32_e32 v73, 0, v68
	v_add_f32_e32 v73, v73, v69
	v_cndmask_b32_e64 v67, 0, v75, s[10:11]
	v_add_f32_e32 v73, v73, v66
	v_add_f32_e32 v73, v73, v67
	;;#ASMSTART
	v_nop
 v_nop
 v_add_f32_dpp v73, v73, v73 row_ror:4
	;;#ASMEND
	v_cmp_gt_u32_e32 vcc, 4, v1
	;;#ASMSTART
	v_nop
 v_nop
 v_add_f32_dpp v73, v73, v73 row_ror:8
	;;#ASMEND
	ds_bpermute_b32 v73, v74, v73
	s_waitcnt lgkmcnt(0)
	;;#ASMSTART
	v_nop
 v_nop
 v_add_f32_dpp v73, v73, v73 row_ror:4
	;;#ASMEND
	s_nop 0
	;;#ASMSTART
	v_nop
 v_nop
 v_add_f32_dpp v73, v73, v73 row_ror:8
	;;#ASMEND
	s_and_saveexec_b64 s[0:1], vcc
	s_cbranch_execz .LBB229_16
; %bb.15:
	v_mul_u32_u24_e32 v74, 20, v70
	v_lshl_add_u32 v74, v71, 2, v74
	v_add_u32_e32 v74, 0x1400, v74
	ds_write2_b32 v74, v72, v73 offset1:20
.LBB229_16:
	s_or_b64 exec, exec, s[0:1]
.LBB229_17:
	s_or_b64 exec, exec, s[26:27]
	s_waitcnt lgkmcnt(0)
	s_barrier
	s_load_dword s0, s[24:25], 0x8
	v_lshlrev_b32_e32 v73, 2, v71
	v_add_u32_e32 v80, 0x1400, v73
	ds_read2_b32 v[74:75], v80 offset1:5
	ds_read2_b32 v[76:77], v80 offset0:10 offset1:15
	s_mul_i32 s1, s2, s5
	s_waitcnt lgkmcnt(0)
	s_mul_i32 s1, s1, s0
	s_lshl_b32 s0, s1, 1
	s_mov_b32 s1, 0xff7fffff
	v_max3_f32 v73, v74, s1, v75
	v_max3_f32 v73, v73, v76, v77
	v_sub_f32_e32 v74, v74, v73
	ds_read2_b32 v[78:79], v80 offset0:20 offset1:25
	v_mul_f32_e32 v74, 0x3fb8aa3b, v74
	v_sub_f32_e32 v75, v75, v73
	v_exp_f32_e32 v74, v74
	v_mul_f32_e32 v75, 0x3fb8aa3b, v75
	v_sub_f32_e32 v76, v76, v73
	v_exp_f32_e32 v75, v75
	ds_read2_b32 v[80:81], v80 offset0:30 offset1:35
	v_mul_f32_e32 v76, 0x3fb8aa3b, v76
	v_sub_f32_e32 v77, v77, v73
	v_exp_f32_e32 v76, v76
	v_mul_f32_e32 v77, 0x3fb8aa3b, v77
	v_exp_f32_e32 v77, v77
	s_waitcnt lgkmcnt(1)
	v_fma_f32 v74, v74, v78, 0
	v_fmac_f32_e32 v74, v75, v79
	s_waitcnt lgkmcnt(0)
	v_fmac_f32_e32 v74, v76, v80
	s_lshl_b32 s4, s4, 1
	v_fmac_f32_e32 v74, v77, v81
	v_cmp_gt_u32_e32 vcc, 2, v71
	s_and_saveexec_b64 s[2:3], vcc
	s_cbranch_execz .LBB229_19
; %bb.18:
	s_mov_b32 s1, 0
	s_lshl_b64 s[8:9], s[0:1], 2
	s_add_u32 s12, s12, s8
	s_mov_b32 s21, s1
	s_addc_u32 s13, s13, s9
	s_lshl_b64 s[10:11], s[20:21], 2
	s_add_u32 s12, s12, s10
	s_addc_u32 s13, s13, s11
	s_add_u32 s1, s14, s8
	s_addc_u32 s9, s15, s9
	v_or_b32_e32 v71, s4, v71
	s_add_u32 s8, s1, s10
	v_mul_lo_u32 v76, s5, v71
	v_mov_b32_e32 v77, 0
	s_addc_u32 s9, s9, s11
	v_lshlrev_b64 v[76:77], 2, v[76:77]
	v_lshl_add_u64 v[78:79], s[12:13], 0, v[76:77]
	v_lshl_add_u64 v[76:77], s[8:9], 0, v[76:77]
	global_store_dword v[76:77], v73, off
	global_store_dword v[78:79], v74, off
.LBB229_19:
	s_or_b64 exec, exec, s[2:3]
	v_lshlrev_b32_e32 v70, 3, v70
	s_and_saveexec_b64 s[2:3], s[6:7]
	s_xor_b64 s[2:3], exec, s[2:3]
	s_cbranch_execz .LBB229_21
; %bb.20:
	s_mov_b32 s6, 0
	s_mov_b32 s7, s6
	s_waitcnt vmcnt(15)
	v_mad_u32_u24 v4, v1, 40, v70
	v_mov_b64_e32 v[2:3], s[6:7]
	ds_write2st64_b64 v4, v[2:3], v[2:3] offset1:5
                                        ; implicit-def: $vgpr67
                                        ; implicit-def: $vgpr69
                                        ; implicit-def: $vgpr43
                                        ; implicit-def: $vgpr27
                                        ; implicit-def: $vgpr3
                                        ; implicit-def: $vgpr7
                                        ; implicit-def: $vgpr11
                                        ; implicit-def: $vgpr15
                                        ; implicit-def: $vgpr19
                                        ; implicit-def: $vgpr23
                                        ; implicit-def: $vgpr59
                                        ; implicit-def: $vgpr63
                                        ; implicit-def: $vgpr31
                                        ; implicit-def: $vgpr35
                                        ; implicit-def: $vgpr39
                                        ; implicit-def: $vgpr47
                                        ; implicit-def: $vgpr51
                                        ; implicit-def: $vgpr55
                                        ; implicit-def: $vgpr72
                                        ; implicit-def: $vgpr73
                                        ; implicit-def: $vgpr74
                                        ; implicit-def: $vgpr70
.LBB229_21:
	s_andn2_saveexec_b64 s[2:3], s[2:3]
	s_cbranch_execz .LBB229_23
; %bb.22:
	v_add_f32_e32 v71, 0x358637bd, v74
	v_div_scale_f32 v74, s[6:7], v71, v71, 1.0
	v_rcp_f32_e32 v75, v74
	v_sub_f32_e32 v72, v72, v73
	v_mul_f32_e32 v72, 0x3fb8aa3b, v72
	v_exp_f32_e32 v72, v72
	v_fma_f32 v73, -v74, v75, 1.0
	v_fmac_f32_e32 v75, v73, v75
	v_div_scale_f32 v73, vcc, 1.0, v71, 1.0
	v_mul_f32_e32 v76, v73, v75
	v_fma_f32 v77, -v74, v76, v73
	v_fmac_f32_e32 v76, v77, v75
	v_fma_f32 v73, -v74, v76, v73
	v_div_fmas_f32 v73, v73, v75, v76
	v_div_fixup_f32 v71, v73, v71, 1.0
	v_mul_f32_e32 v72, v72, v71
	v_pk_mul_f32 v[66:67], v[66:67], v[72:73] op_sel_hi:[1,0]
	v_pk_mul_f32 v[68:69], v[68:69], v[72:73] op_sel_hi:[1,0]
	v_cvt_f16_f32_e32 v71, v66
	v_cvt_f16_f32_e32 v68, v68
	;; [unrolled: 1-line block ×4, first 2 shown]
	v_pack_b32_f16 v66, v68, v69
	v_pack_b32_f16 v67, v71, v67
	s_waitcnt vmcnt(3)
	s_nop 0
	v_mfma_f32_4x4x4_16b_f16 a[0:3], v[66:67], v[42:43], 0 cbsz:4
	s_nop 1
	v_mfma_f32_4x4x4_16b_f16 a[0:3], v[66:67], v[44:45], a[0:3] cbsz:4 abid:1
	s_waitcnt vmcnt(1)
	v_mfma_f32_4x4x4_16b_f16 a[4:7], v[66:67], v[58:59], 0 cbsz:4
	v_mfma_f32_4x4x4_16b_f16 a[0:3], v[66:67], v[26:27], a[0:3] cbsz:4 abid:2
	s_nop 0
	v_mfma_f32_4x4x4_16b_f16 a[4:7], v[66:67], v[60:61], a[4:7] cbsz:4 abid:1
	v_mfma_f32_4x4x4_16b_f16 a[0:3], v[66:67], v[28:29], a[0:3] cbsz:4 abid:3
	s_waitcnt vmcnt(0)
	v_mfma_f32_4x4x4_16b_f16 a[4:7], v[66:67], v[62:63], a[4:7] cbsz:4 abid:2
	v_mfma_f32_4x4x4_16b_f16 a[0:3], v[66:67], v[2:3], a[0:3] cbsz:4 abid:4
	s_nop 0
	v_mfma_f32_4x4x4_16b_f16 a[4:7], v[66:67], v[64:65], a[4:7] cbsz:4 abid:3
	v_mfma_f32_4x4x4_16b_f16 a[0:3], v[66:67], v[4:5], a[0:3] cbsz:4 abid:5
	s_nop 0
	;; [unrolled: 3-line block ×3, first 2 shown]
	v_mfma_f32_4x4x4_16b_f16 a[4:7], v[66:67], v[32:33], a[4:7] cbsz:4 abid:5
	v_mfma_f32_4x4x4_16b_f16 a[0:3], v[66:67], v[8:9], a[0:3] cbsz:4 abid:7
	v_mad_u32_u24 v9, v1, 40, v70
	v_mfma_f32_4x4x4_16b_f16 a[4:7], v[66:67], v[34:35], a[4:7] cbsz:4 abid:6
	v_mfma_f32_4x4x4_16b_f16 a[0:3], v[66:67], v[10:11], a[0:3] cbsz:4 abid:8
	s_nop 0
	v_mfma_f32_4x4x4_16b_f16 a[4:7], v[66:67], v[36:37], a[4:7] cbsz:4 abid:7
	v_mfma_f32_4x4x4_16b_f16 a[0:3], v[66:67], v[12:13], a[0:3] cbsz:4 abid:9
	s_nop 0
	;; [unrolled: 3-line block ×7, first 2 shown]
	v_mfma_f32_4x4x4_16b_f16 a[0:3], v[66:67], v[24:25], a[0:3] cbsz:4 abid:15
	s_nop 4
	v_accvgpr_read_b32 v2, a0
	v_accvgpr_read_b32 v3, a1
	;; [unrolled: 1-line block ×4, first 2 shown]
	v_mfma_f32_4x4x4_16b_f16 a[0:3], v[66:67], v[52:53], a[4:7] cbsz:4 abid:13
	v_cvt_f16_f32_e32 v2, v2
	v_cvt_f16_f32_e32 v3, v3
	v_mfma_f32_4x4x4_16b_f16 a[0:3], v[66:67], v[54:55], a[0:3] cbsz:4 abid:14
	v_pack_b32_f16 v2, v2, v3
	s_nop 0
	v_mfma_f32_4x4x4_16b_f16 a[0:3], v[66:67], v[56:57], a[0:3] cbsz:4 abid:15
	v_cvt_f16_f32_e32 v3, v4
	v_cvt_f16_f32_e32 v4, v5
	v_pack_b32_f16 v3, v3, v4
	s_nop 1
	v_accvgpr_read_b32 v5, a0
	v_accvgpr_read_b32 v6, a1
	;; [unrolled: 1-line block ×4, first 2 shown]
	v_cvt_f16_f32_e32 v5, v5
	v_cvt_f16_f32_e32 v6, v6
	;; [unrolled: 1-line block ×4, first 2 shown]
	v_pack_b32_f16 v4, v5, v6
	v_pack_b32_f16 v5, v7, v8
	ds_write2st64_b64 v9, v[2:3], v[4:5] offset1:5
.LBB229_23:
	s_or_b64 exec, exec, s[2:3]
	v_cmp_gt_u32_e32 vcc, 64, v0
	s_waitcnt lgkmcnt(0)
	s_barrier
	s_and_saveexec_b64 s[2:3], vcc
	s_cbranch_execz .LBB229_25
; %bb.24:
	s_waitcnt vmcnt(14)
	v_mul_u32_u24_e32 v6, 40, v1
	ds_read2_b64 v[2:5], v6 offset1:1
	s_mov_b32 s1, 0
	s_waitcnt lgkmcnt(0)
	v_mov_b32_e32 v3, 0xa00
	s_lshl_b32 s0, s0, 7
	ds_read2_b64 v[6:9], v6 offset0:2 offset1:3
	v_mad_u32_u24 v3, v1, 40, v3
	v_pk_add_f16 v2, v2, 0
	s_lshl_b64 s[2:3], s[0:1], 1
	s_waitcnt lgkmcnt(0)
	v_pk_add_f16 v7, v2, v4
	v_mov_b32_e32 v9, 0xa10
	ds_read2_b64 v[2:5], v3 offset1:1
	s_add_u32 s2, s22, s2
	v_mad_u32_u24 v1, v1, 40, v9
	s_waitcnt vmcnt(11)
	ds_read2_b64 v[10:13], v1 offset1:1
	s_addc_u32 s3, s23, s3
	s_lshl_b32 s0, s20, 7
	s_lshl_b64 s[0:1], s[0:1], 1
	s_add_u32 s0, s2, s0
	v_pk_add_f16 v1, v7, v6
	s_addc_u32 s1, s3, s1
	s_lshl_b32 s2, s5, 7
	v_pk_add_f16 v6, v1, v8
	s_waitcnt lgkmcnt(1)
	v_pk_add_f16 v1, v2, 0
	s_mul_i32 s3, s2, s4
	v_pk_add_f16 v1, v1, v4
	v_or_b32_e32 v2, s3, v0
	v_mov_b32_e32 v3, 0
	s_add_i32 s3, s3, s2
	s_waitcnt lgkmcnt(0)
	v_pk_add_f16 v1, v1, v10
	v_lshl_add_u64 v[4:5], v[2:3], 1, s[0:1]
	v_or_b32_e32 v2, s3, v0
	v_pk_add_f16 v7, v1, v12
	v_lshl_add_u64 v[0:1], v[2:3], 1, s[0:1]
	global_store_short v[4:5], v6, off
	global_store_short_d16_hi v[0:1], v6, off
	global_store_short v[4:5], v7, off offset:128
	global_store_short_d16_hi v[0:1], v7, off offset:128
.LBB229_25:
	s_endpgm
	.section	.rodata,"a",@progbits
	.p2align	6, 0x0
	.amdhsa_kernel _Z38paged_attention_ll4mi_QKV_mfma4_kernelIDF16_DF16_LN4vllm18Fp8KVCacheDataTypeE0EhLi16ELi128ELi256ELb0ELi2EEvPKT_PKT0_S7_ifPKiS9_S9_iPKfiiiPfSC_PS2_PT2_iSB_SB_
		.amdhsa_group_segment_fixed_size 5280
		.amdhsa_private_segment_fixed_size 0
		.amdhsa_kernarg_size 400
		.amdhsa_user_sgpr_count 2
		.amdhsa_user_sgpr_dispatch_ptr 0
		.amdhsa_user_sgpr_queue_ptr 0
		.amdhsa_user_sgpr_kernarg_segment_ptr 1
		.amdhsa_user_sgpr_dispatch_id 0
		.amdhsa_user_sgpr_kernarg_preload_length 0
		.amdhsa_user_sgpr_kernarg_preload_offset 0
		.amdhsa_user_sgpr_private_segment_size 0
		.amdhsa_uses_dynamic_stack 0
		.amdhsa_enable_private_segment 0
		.amdhsa_system_sgpr_workgroup_id_x 1
		.amdhsa_system_sgpr_workgroup_id_y 1
		.amdhsa_system_sgpr_workgroup_id_z 1
		.amdhsa_system_sgpr_workgroup_info 0
		.amdhsa_system_vgpr_workitem_id 0
		.amdhsa_next_free_vgpr 104
		.amdhsa_next_free_sgpr 38
		.amdhsa_accum_offset 96
		.amdhsa_reserve_vcc 1
		.amdhsa_float_round_mode_32 0
		.amdhsa_float_round_mode_16_64 0
		.amdhsa_float_denorm_mode_32 3
		.amdhsa_float_denorm_mode_16_64 3
		.amdhsa_dx10_clamp 1
		.amdhsa_ieee_mode 1
		.amdhsa_fp16_overflow 0
		.amdhsa_tg_split 0
		.amdhsa_exception_fp_ieee_invalid_op 0
		.amdhsa_exception_fp_denorm_src 0
		.amdhsa_exception_fp_ieee_div_zero 0
		.amdhsa_exception_fp_ieee_overflow 0
		.amdhsa_exception_fp_ieee_underflow 0
		.amdhsa_exception_fp_ieee_inexact 0
		.amdhsa_exception_int_div_zero 0
	.end_amdhsa_kernel
	.section	.text._Z38paged_attention_ll4mi_QKV_mfma4_kernelIDF16_DF16_LN4vllm18Fp8KVCacheDataTypeE0EhLi16ELi128ELi256ELb0ELi2EEvPKT_PKT0_S7_ifPKiS9_S9_iPKfiiiPfSC_PS2_PT2_iSB_SB_,"axG",@progbits,_Z38paged_attention_ll4mi_QKV_mfma4_kernelIDF16_DF16_LN4vllm18Fp8KVCacheDataTypeE0EhLi16ELi128ELi256ELb0ELi2EEvPKT_PKT0_S7_ifPKiS9_S9_iPKfiiiPfSC_PS2_PT2_iSB_SB_,comdat
.Lfunc_end229:
	.size	_Z38paged_attention_ll4mi_QKV_mfma4_kernelIDF16_DF16_LN4vllm18Fp8KVCacheDataTypeE0EhLi16ELi128ELi256ELb0ELi2EEvPKT_PKT0_S7_ifPKiS9_S9_iPKfiiiPfSC_PS2_PT2_iSB_SB_, .Lfunc_end229-_Z38paged_attention_ll4mi_QKV_mfma4_kernelIDF16_DF16_LN4vllm18Fp8KVCacheDataTypeE0EhLi16ELi128ELi256ELb0ELi2EEvPKT_PKT0_S7_ifPKiS9_S9_iPKfiiiPfSC_PS2_PT2_iSB_SB_
                                        ; -- End function
	.section	.AMDGPU.csdata,"",@progbits
; Kernel info:
; codeLenInByte = 3784
; NumSgprs: 44
; NumVgprs: 95
; NumAgprs: 8
; TotalNumVgprs: 104
; ScratchSize: 0
; MemoryBound: 0
; FloatMode: 240
; IeeeMode: 1
; LDSByteSize: 5280 bytes/workgroup (compile time only)
; SGPRBlocks: 5
; VGPRBlocks: 12
; NumSGPRsForWavesPerEU: 44
; NumVGPRsForWavesPerEU: 104
; AccumOffset: 96
; Occupancy: 4
; WaveLimiterHint : 1
; COMPUTE_PGM_RSRC2:SCRATCH_EN: 0
; COMPUTE_PGM_RSRC2:USER_SGPR: 2
; COMPUTE_PGM_RSRC2:TRAP_HANDLER: 0
; COMPUTE_PGM_RSRC2:TGID_X_EN: 1
; COMPUTE_PGM_RSRC2:TGID_Y_EN: 1
; COMPUTE_PGM_RSRC2:TGID_Z_EN: 1
; COMPUTE_PGM_RSRC2:TIDIG_COMP_CNT: 0
; COMPUTE_PGM_RSRC3_GFX90A:ACCUM_OFFSET: 23
; COMPUTE_PGM_RSRC3_GFX90A:TG_SPLIT: 0
	.section	.text._Z38paged_attention_ll4mi_QKV_mfma4_kernelIDF16_DF16_LN4vllm18Fp8KVCacheDataTypeE0EhLi16ELi128ELi256ELb0ELi3EEvPKT_PKT0_S7_ifPKiS9_S9_iPKfiiiPfSC_PS2_PT2_iSB_SB_,"axG",@progbits,_Z38paged_attention_ll4mi_QKV_mfma4_kernelIDF16_DF16_LN4vllm18Fp8KVCacheDataTypeE0EhLi16ELi128ELi256ELb0ELi3EEvPKT_PKT0_S7_ifPKiS9_S9_iPKfiiiPfSC_PS2_PT2_iSB_SB_,comdat
	.protected	_Z38paged_attention_ll4mi_QKV_mfma4_kernelIDF16_DF16_LN4vllm18Fp8KVCacheDataTypeE0EhLi16ELi128ELi256ELb0ELi3EEvPKT_PKT0_S7_ifPKiS9_S9_iPKfiiiPfSC_PS2_PT2_iSB_SB_ ; -- Begin function _Z38paged_attention_ll4mi_QKV_mfma4_kernelIDF16_DF16_LN4vllm18Fp8KVCacheDataTypeE0EhLi16ELi128ELi256ELb0ELi3EEvPKT_PKT0_S7_ifPKiS9_S9_iPKfiiiPfSC_PS2_PT2_iSB_SB_
	.globl	_Z38paged_attention_ll4mi_QKV_mfma4_kernelIDF16_DF16_LN4vllm18Fp8KVCacheDataTypeE0EhLi16ELi128ELi256ELb0ELi3EEvPKT_PKT0_S7_ifPKiS9_S9_iPKfiiiPfSC_PS2_PT2_iSB_SB_
	.p2align	8
	.type	_Z38paged_attention_ll4mi_QKV_mfma4_kernelIDF16_DF16_LN4vllm18Fp8KVCacheDataTypeE0EhLi16ELi128ELi256ELb0ELi3EEvPKT_PKT0_S7_ifPKiS9_S9_iPKfiiiPfSC_PS2_PT2_iSB_SB_,@function
_Z38paged_attention_ll4mi_QKV_mfma4_kernelIDF16_DF16_LN4vllm18Fp8KVCacheDataTypeE0EhLi16ELi128ELi256ELb0ELi3EEvPKT_PKT0_S7_ifPKiS9_S9_iPKfiiiPfSC_PS2_PT2_iSB_SB_: ; @_Z38paged_attention_ll4mi_QKV_mfma4_kernelIDF16_DF16_LN4vllm18Fp8KVCacheDataTypeE0EhLi16ELi128ELi256ELb0ELi3EEvPKT_PKT0_S7_ifPKiS9_S9_iPKfiiiPfSC_PS2_PT2_iSB_SB_
; %bb.0:
	s_load_dwordx2 s[16:17], s[0:1], 0x30
	s_mov_b32 s20, s3
	s_mov_b64 s[6:7], 0
	s_waitcnt lgkmcnt(0)
	s_cmp_lg_u64 s[16:17], 0
	s_cselect_b64 s[18:19], -1, 0
	s_and_b64 vcc, exec, s[18:19]
	s_cbranch_vccz .LBB230_10
; %bb.1:
	s_add_i32 s8, s2, 1
	s_mov_b32 s9, 0
	s_lshl_b64 s[10:11], s[8:9], 2
	s_add_u32 s10, s16, s10
	s_mov_b32 s3, s9
	s_addc_u32 s11, s17, s11
	s_lshl_b64 s[8:9], s[2:3], 2
	s_add_u32 s8, s16, s8
	s_addc_u32 s9, s17, s9
	s_load_dword s5, s[10:11], 0x0
	s_load_dword s12, s[8:9], 0x0
	s_waitcnt lgkmcnt(0)
	s_sub_i32 s5, s5, s12
	s_cmp_eq_u32 s5, 1
	s_cselect_b64 s[8:9], -1, 0
	s_andn2_b64 vcc, exec, s[6:7]
	s_cbranch_vccnz .LBB230_3
.LBB230_2:
	s_mov_b32 s3, 0
	s_mov_b64 s[8:9], -1
.LBB230_3:
	s_andn2_b64 vcc, exec, s[8:9]
	s_cbranch_vccnz .LBB230_25
; %bb.4:
	s_load_dword s5, s[0:1], 0x9c
	s_load_dwordx2 s[6:7], s[0:1], 0x28
	s_add_u32 s24, s0, 0x90
	s_addc_u32 s25, s1, 0
	s_lshl_b64 s[28:29], s[2:3], 2
	s_waitcnt lgkmcnt(0)
	s_and_b32 s5, s5, 0xffff
	s_add_u32 s6, s6, s28
	s_addc_u32 s7, s7, s29
	s_load_dword s3, s[6:7], 0x0
	s_mul_i32 s10, s20, s5
	s_waitcnt lgkmcnt(0)
	s_cmp_ge_i32 s10, s3
	s_cbranch_scc1 .LBB230_25
; %bb.5:
	v_and_b32_e32 v1, 0xc0, v0
	v_add_u32_e32 v2, s10, v1
	v_lshrrev_b32_e32 v70, 6, v0
	v_cmp_le_i32_e64 s[6:7], s3, v2
                                        ; implicit-def: $sgpr21
                                        ; implicit-def: $sgpr11
	s_and_saveexec_b64 s[8:9], s[6:7]
	s_xor_b64 s[8:9], exec, s[8:9]
	s_cbranch_execz .LBB230_7
; %bb.6:
	v_mul_u32_u24_e32 v1, 20, v70
	v_or_b32_e32 v1, 0x1400, v1
	v_mov_b32_e32 v2, 0x1450
	v_mov_b32_e32 v3, 0xff7fffff
	v_mad_u32_u24 v2, v70, 20, v2
	ds_write2_b32 v1, v3, v3 offset1:1
	v_mov_b32_e32 v1, 0
	ds_write2_b32 v2, v1, v1 offset1:1
	v_mov_b32_e32 v2, 0x1408
	s_mov_b32 s11, 0xff7fffff
	s_mov_b32 s21, 0
	v_mad_u32_u24 v2, v70, 20, v2
	v_mov_b32_e32 v4, 0x1458
	v_mad_u32_u24 v4, v70, 20, v4
	ds_write2_b32 v2, v3, v3 offset1:1
	ds_write2_b32 v4, v1, v1 offset1:1
                                        ; implicit-def: $vgpr2
.LBB230_7:
	s_or_saveexec_b64 s[26:27], s[8:9]
	s_load_dwordx2 s[22:23], s[0:1], 0x68
	s_load_dwordx4 s[12:15], s[0:1], 0x58
	s_load_dword s5, s[24:25], 0x4
	v_and_b32_e32 v1, 63, v0
	v_and_b32_e32 v71, 3, v0
	v_mov_b32_e32 v67, s21
	v_mov_b32_e32 v72, s11
	;; [unrolled: 1-line block ×5, first 2 shown]
                                        ; implicit-def: $vgpr43
                                        ; implicit-def: $vgpr27
                                        ; implicit-def: $vgpr3
                                        ; implicit-def: $vgpr7
                                        ; implicit-def: $vgpr11
                                        ; implicit-def: $vgpr15
                                        ; implicit-def: $vgpr19
                                        ; implicit-def: $vgpr23
                                        ; implicit-def: $vgpr59
                                        ; implicit-def: $vgpr63
                                        ; implicit-def: $vgpr31
                                        ; implicit-def: $vgpr35
                                        ; implicit-def: $vgpr39
                                        ; implicit-def: $vgpr47
                                        ; implicit-def: $vgpr51
                                        ; implicit-def: $vgpr55
	s_xor_b64 exec, exec, s[26:27]
	s_cbranch_execz .LBB230_17
; %bb.8:
	s_add_i32 s21, s3, 15
	s_load_dwordx2 s[8:9], s[0:1], 0x20
	s_load_dword s11, s[0:1], 0x38
	s_ashr_i32 s30, s21, 31
	s_lshr_b32 s30, s30, 28
	v_add_u32_e32 v72, s10, v0
	s_add_i32 s21, s21, s30
	v_ashrrev_i32_e32 v3, 31, v72
	s_ashr_i32 s21, s21, 4
	v_lshrrev_b32_e32 v3, 28, v3
	s_add_i32 s21, s21, -1
	v_add_u32_e32 v3, v72, v3
	s_waitcnt lgkmcnt(0)
	s_mul_i32 s30, s2, s11
	s_mov_b32 s31, 0
	v_ashrrev_i32_e32 v3, 4, v3
	v_mov_b32_e32 v4, s21
	v_cmp_gt_i32_e32 vcc, s3, v72
	s_lshl_b64 s[30:31], s[30:31], 2
	s_add_u32 s8, s8, s30
	v_cndmask_b32_e32 v4, v4, v3, vcc
	v_ashrrev_i32_e32 v3, 31, v2
	v_lshrrev_b32_e32 v3, 28, v3
	s_addc_u32 s9, s9, s31
	v_ashrrev_i32_e32 v5, 31, v4
	v_add_u32_e32 v2, v2, v3
	v_lshl_add_u64 v[8:9], v[4:5], 2, s[8:9]
	v_ashrrev_i32_e32 v4, 4, v2
	v_min_i32_e32 v2, s21, v4
	v_ashrrev_i32_e32 v3, 31, v2
	v_lshl_add_u64 v[10:11], v[2:3], 2, s[8:9]
	v_add_u32_e32 v2, 1, v4
	v_min_i32_e32 v2, s21, v2
	v_ashrrev_i32_e32 v3, 31, v2
	v_lshl_add_u64 v[12:13], v[2:3], 2, s[8:9]
	v_add_u32_e32 v2, 2, v4
	;; [unrolled: 4-line block ×3, first 2 shown]
	v_min_i32_e32 v2, s21, v2
	v_ashrrev_i32_e32 v3, 31, v2
	v_lshl_add_u64 v[16:17], v[2:3], 2, s[8:9]
	global_load_dword v2, v[8:9], off
	global_load_dword v4, v[10:11], off
	;; [unrolled: 1-line block ×5, first 2 shown]
	s_load_dwordx4 s[8:11], s[0:1], 0x8
	s_andn2_b64 vcc, exec, s[18:19]
	s_cbranch_vccnz .LBB230_11
; %bb.9:
	s_add_u32 s16, s16, s28
	s_addc_u32 s17, s17, s29
	s_load_dword s21, s[16:17], 0x0
	s_branch .LBB230_12
.LBB230_10:
	s_mov_b64 s[8:9], 0
	s_branch .LBB230_2
.LBB230_11:
	s_mov_b32 s21, s2
.LBB230_12:
	s_load_dwordx4 s[16:19], s[0:1], 0x48
	v_cmp_ne_u32_e32 vcc, 3, v71
	s_mov_b32 s29, 0
	v_mov_b32_e32 v73, 1.0
	v_mov_b32_e32 v27, 0
	v_mov_b32_e32 v66, 0
	v_mov_b32_e32 v67, 0
	v_mov_b32_e32 v68, 0
	v_mov_b32_e32 v69, 0
	s_and_saveexec_b64 s[30:31], vcc
	s_cbranch_execz .LBB230_14
; %bb.13:
	s_load_dwordx2 s[34:35], s[0:1], 0x0
	s_waitcnt lgkmcnt(0)
	s_ashr_i32 s19, s16, 31
	s_mul_hi_u32 s28, s21, s16
	s_mul_i32 s19, s21, s19
	s_add_i32 s37, s28, s19
	s_mul_i32 s36, s21, s16
	s_lshl_b64 s[36:37], s[36:37], 1
	s_add_u32 s16, s34, s36
	s_mul_i32 s28, s4, 0x180
	s_addc_u32 s19, s35, s37
	s_lshl_b64 s[34:35], s[28:29], 1
	v_lshlrev_b32_e32 v3, 2, v1
	s_add_u32 s34, s16, s34
	v_and_b32_e32 v3, 0xf0, v3
	s_addc_u32 s35, s19, s35
	v_lshl_or_b32 v3, v71, 8, v3
	global_load_dwordx4 v[66:69], v3, s[34:35]
	v_mov_b32_e32 v73, 0
.LBB230_14:
	s_or_b64 exec, exec, s[30:31]
	s_waitcnt lgkmcnt(0)
	s_mul_i32 s28, s4, s18
	s_lshl_b64 s[18:19], s[28:29], 1
	s_add_u32 s8, s18, s8
	s_waitcnt vmcnt(4)
	v_mad_i64_i32 v[2:3], s[30:31], v2, s17, 0
	s_addc_u32 s9, s19, s9
	v_and_b32_e32 v8, 15, v0
	v_lshl_add_u64 v[2:3], v[2:3], 1, s[8:9]
	v_lshlrev_b32_e32 v26, 4, v8
	v_lshl_add_u64 v[2:3], v[2:3], 0, v[26:27]
	global_load_dwordx4 v[8:11], v[2:3], off
	global_load_dwordx4 v[12:15], v[2:3], off offset:256
	global_load_dwordx4 v[16:19], v[2:3], off offset:512
	;; [unrolled: 1-line block ×15, first 2 shown]
	s_waitcnt vmcnt(19)
	v_mul_hi_i32 v24, v4, s17
	s_waitcnt vmcnt(18)
	v_mul_hi_i32 v26, v5, s17
	;; [unrolled: 2-line block ×4, first 2 shown]
	v_ashrrev_i32_e32 v93, 31, v24
	v_ashrrev_i32_e32 v24, 31, v26
	;; [unrolled: 1-line block ×4, first 2 shown]
	v_mov_b32_e32 v25, v27
	v_mov_b32_e32 v65, v27
	;; [unrolled: 1-line block ×3, first 2 shown]
	v_lshrrev_b32_e32 v24, 29, v24
	v_lshrrev_b32_e32 v64, 29, v26
	;; [unrolled: 1-line block ×3, first 2 shown]
	v_mad_i64_i32 v[2:3], s[8:9], v5, s17, v[24:25]
	v_mad_i64_i32 v[24:25], s[8:9], v6, s17, v[64:65]
	;; [unrolled: 1-line block ×3, first 2 shown]
	s_add_u32 s8, s10, s18
	v_lshrrev_b32_e32 v26, 29, v93
	s_addc_u32 s9, s11, s19
	v_mad_i64_i32 v[4:5], s[10:11], v4, s17, v[26:27]
	v_lshlrev_b64 v[2:3], 1, v[2:3]
	v_lshlrev_b64 v[6:7], 1, v[6:7]
	v_and_b32_e32 v2, -16, v2
	v_and_b32_e32 v6, -16, v6
	v_lshlrev_b32_e32 v26, 5, v1
	v_lshl_add_u64 v[2:3], s[8:9], 0, v[2:3]
	v_lshl_add_u64 v[6:7], s[8:9], 0, v[6:7]
	s_load_dword s0, s[0:1], 0x1c
	v_cmp_eq_u32_e32 vcc, 0, v71
	v_and_b32_e32 v91, -4, v72
	v_or_b32_e32 v72, 3, v72
	v_cndmask_b32_e64 v88, 0, 1.0, vcc
	v_cmp_eq_u32_e32 vcc, 1, v71
	v_cmp_gt_i32_e64 s[10:11], s3, v72
	v_lshlrev_b32_e32 v92, 2, v0
	v_cndmask_b32_e64 v89, 0, 1.0, vcc
	v_cmp_eq_u32_e32 vcc, 2, v71
	s_waitcnt vmcnt(15)
	v_mfma_f32_4x4x4_16b_f16 a[0:3], v[66:67], v[8:9], 0 cbsz:4
	v_lshlrev_b64 v[8:9], 1, v[24:25]
	s_nop 0
	v_mfma_f32_4x4x4_16b_f16 a[0:3], v[68:69], v[10:11], a[0:3] cbsz:4
	v_and_b32_e32 v8, -16, v8
	v_lshl_add_u64 v[8:9], s[8:9], 0, v[8:9]
	s_waitcnt vmcnt(14)
	v_mfma_f32_4x4x4_16b_f16 a[0:3], v[66:67], v[12:13], a[0:3] cbsz:4 abid:1
	v_lshl_add_u64 v[10:11], v[2:3], 0, v[26:27]
	v_cndmask_b32_e64 v90, 0, 1.0, vcc
	v_mfma_f32_4x4x4_16b_f16 a[0:3], v[68:69], v[14:15], a[0:3] cbsz:4 abid:1
	v_cmp_gt_i32_e32 vcc, s3, v91
	s_waitcnt vmcnt(13)
	v_mfma_f32_4x4x4_16b_f16 a[0:3], v[66:67], v[16:17], a[0:3] cbsz:4 abid:2
	s_nop 1
	v_mfma_f32_4x4x4_16b_f16 a[0:3], v[68:69], v[18:19], a[0:3] cbsz:4 abid:2
	v_lshl_add_u64 v[18:19], v[8:9], 0, v[26:27]
	s_waitcnt vmcnt(12)
	v_mfma_f32_4x4x4_16b_f16 a[0:3], v[66:67], v[20:21], a[0:3] cbsz:4 abid:3
	s_nop 1
	v_mfma_f32_4x4x4_16b_f16 a[0:3], v[68:69], v[22:23], a[0:3] cbsz:4 abid:3
	s_waitcnt vmcnt(11)
	s_nop 0
	v_mfma_f32_4x4x4_16b_f16 a[0:3], v[66:67], v[28:29], a[0:3] cbsz:4 abid:4
	v_lshlrev_b64 v[28:29], 1, v[4:5]
	v_and_b32_e32 v28, -16, v28
	v_mfma_f32_4x4x4_16b_f16 a[0:3], v[68:69], v[30:31], a[0:3] cbsz:4 abid:4
	v_lshl_add_u64 v[28:29], s[8:9], 0, v[28:29]
	s_waitcnt vmcnt(10)
	v_mfma_f32_4x4x4_16b_f16 a[0:3], v[66:67], v[32:33], a[0:3] cbsz:4 abid:5
	s_nop 1
	v_mfma_f32_4x4x4_16b_f16 a[0:3], v[68:69], v[34:35], a[0:3] cbsz:4 abid:5
	s_waitcnt vmcnt(9)
	s_nop 0
	v_mfma_f32_4x4x4_16b_f16 a[0:3], v[66:67], v[36:37], a[0:3] cbsz:4 abid:6
	s_nop 1
	v_mfma_f32_4x4x4_16b_f16 a[0:3], v[68:69], v[38:39], a[0:3] cbsz:4 abid:6
	s_waitcnt vmcnt(8)
	s_nop 0
	v_mfma_f32_4x4x4_16b_f16 a[0:3], v[66:67], v[40:41], a[0:3] cbsz:4 abid:7
	s_nop 1
	v_mfma_f32_4x4x4_16b_f16 a[0:3], v[68:69], v[42:43], a[0:3] cbsz:4 abid:7
	v_lshl_add_u64 v[42:43], v[6:7], 0, v[26:27]
	global_load_dwordx4 v[2:5], v[10:11], off
	global_load_dwordx4 v[6:9], v[10:11], off offset:16
	s_waitcnt vmcnt(9)
	v_mfma_f32_4x4x4_16b_f16 a[0:3], v[66:67], v[44:45], a[0:3] cbsz:4 abid:8
	global_load_dwordx4 v[30:33], v[10:11], off offset:2048
	global_load_dwordx4 v[34:37], v[10:11], off offset:2064
	v_mfma_f32_4x4x4_16b_f16 a[0:3], v[68:69], v[46:47], a[0:3] cbsz:4 abid:8
	global_load_dwordx4 v[10:13], v[18:19], off
	global_load_dwordx4 v[14:17], v[18:19], off offset:16
	s_waitcnt vmcnt(12)
	v_mfma_f32_4x4x4_16b_f16 a[0:3], v[66:67], v[48:49], a[0:3] cbsz:4 abid:9
	global_load_dwordx4 v[38:41], v[18:19], off offset:2048
	global_load_dwordx4 v[46:49], v[18:19], off offset:2064
	v_mfma_f32_4x4x4_16b_f16 a[0:3], v[68:69], v[50:51], a[0:3] cbsz:4 abid:9
	global_load_dwordx4 v[18:21], v[42:43], off
	global_load_dwordx4 v[22:25], v[42:43], off offset:16
	s_waitcnt vmcnt(15)
	v_mfma_f32_4x4x4_16b_f16 a[0:3], v[66:67], v[52:53], a[0:3] cbsz:4 abid:10
	s_nop 1
	v_mfma_f32_4x4x4_16b_f16 a[0:3], v[68:69], v[54:55], a[0:3] cbsz:4 abid:10
	s_waitcnt vmcnt(14)
	s_nop 0
	v_mfma_f32_4x4x4_16b_f16 a[0:3], v[66:67], v[56:57], a[0:3] cbsz:4 abid:11
	global_load_dwordx4 v[50:53], v[42:43], off offset:2048
	global_load_dwordx4 v[54:57], v[42:43], off offset:2064
	v_mfma_f32_4x4x4_16b_f16 a[0:3], v[68:69], v[58:59], a[0:3] cbsz:4 abid:11
	s_waitcnt vmcnt(15)
	s_nop 0
	v_mfma_f32_4x4x4_16b_f16 a[0:3], v[66:67], v[60:61], a[0:3] cbsz:4 abid:12
	s_nop 1
	v_mfma_f32_4x4x4_16b_f16 a[0:3], v[68:69], v[62:63], a[0:3] cbsz:4 abid:12
	s_waitcnt vmcnt(14)
	s_nop 0
	v_mfma_f32_4x4x4_16b_f16 a[0:3], v[66:67], v[74:75], a[0:3] cbsz:4 abid:13
	v_lshl_add_u64 v[74:75], v[28:29], 0, v[26:27]
	global_load_dwordx4 v[42:45], v[74:75], off
	global_load_dwordx4 v[26:29], v[74:75], off offset:16
	global_load_dwordx4 v[58:61], v[74:75], off offset:2048
	;; [unrolled: 1-line block ×3, first 2 shown]
	v_mfma_f32_4x4x4_16b_f16 a[0:3], v[68:69], v[76:77], a[0:3] cbsz:4 abid:13
	v_mov_b32_e32 v74, 0xff7fffff
	v_and_or_b32 v75, v92, 48, v71
	s_waitcnt vmcnt(17)
	v_mfma_f32_4x4x4_16b_f16 a[0:3], v[66:67], v[78:79], a[0:3] cbsz:4 abid:14
	v_lshlrev_b32_e32 v75, 2, v75
	s_nop 0
	v_mfma_f32_4x4x4_16b_f16 a[0:3], v[68:69], v[80:81], a[0:3] cbsz:4 abid:14
	s_waitcnt vmcnt(16)
	s_nop 0
	v_mfma_f32_4x4x4_16b_f16 a[0:3], v[66:67], v[82:83], a[0:3] cbsz:4 abid:15
	s_nop 1
	v_mfma_f32_4x4x4_16b_f16 a[0:3], v[68:69], v[84:85], a[0:3] cbsz:4 abid:15
	s_nop 4
	v_accvgpr_read_b32 v67, a1
	v_accvgpr_read_b32 v66, a0
	s_waitcnt lgkmcnt(0)
	v_pk_mul_f32 v[66:67], s[0:1], v[66:67] op_sel_hi:[0,1]
	v_accvgpr_read_b32 v69, a3
	v_accvgpr_read_b32 v68, a2
	v_pk_mul_f32 v[68:69], s[0:1], v[68:69] op_sel_hi:[0,1]
	v_mfma_f32_4x4x1_16b_f32 a[0:3], v66, v88, 0
	v_or_b32_e32 v66, 1, v91
	s_nop 0
	v_mfma_f32_4x4x1_16b_f32 a[0:3], v67, v89, a[0:3]
	v_cmp_gt_i32_e64 s[0:1], s3, v66
	v_or_b32_e32 v67, 2, v91
	v_mfma_f32_4x4x1_16b_f32 a[0:3], v68, v90, a[0:3]
	v_cmp_gt_i32_e64 s[8:9], s3, v67
	s_nop 0
	v_mfma_f32_4x4x1_16b_f32 a[0:3], v69, v73, a[0:3]
	s_nop 3
	v_accvgpr_read_b32 v68, a0
	v_max_f32_e32 v77, v68, v68
	v_accvgpr_read_b32 v69, a1
	v_max_f32_e32 v77, 0xff7fffff, v77
	v_max_f32_e32 v78, v69, v69
	v_cndmask_b32_e32 v74, v74, v77, vcc
	v_accvgpr_read_b32 v73, a2
	v_max_f32_e32 v77, v74, v78
	v_max_f32_e32 v79, v73, v73
	v_cndmask_b32_e64 v66, v74, v77, s[0:1]
	v_accvgpr_read_b32 v76, a3
	v_max_f32_e32 v74, v66, v79
	v_max_f32_e32 v80, v76, v76
	v_cndmask_b32_e64 v66, v66, v74, s[8:9]
	v_max_f32_e32 v67, v66, v80
	v_cndmask_b32_e64 v66, v66, v67, s[10:11]
	;;#ASMSTART
	v_nop
 v_nop
 v_max_f32_dpp v66, v66, v66 row_ror:4
	;;#ASMEND
	s_nop 0
	;;#ASMSTART
	v_nop
 v_nop
 v_max_f32_dpp v66, v66, v66 row_ror:8
	;;#ASMEND
	ds_bpermute_b32 v66, v75, v66
	s_waitcnt lgkmcnt(0)
	;;#ASMSTART
	v_nop
 v_nop
 v_max_f32_dpp v66, v66, v66 row_ror:4
	;;#ASMEND
	s_nop 0
	;;#ASMSTART
	v_nop
 v_nop
 v_max_f32_dpp v72, v66, v66 row_ror:8
	;;#ASMEND
	s_nop 0
	v_sub_f32_e32 v66, v68, v72
	v_sub_f32_e32 v67, v69, v72
	;; [unrolled: 1-line block ×3, first 2 shown]
	v_mul_f32_e32 v66, 0x3fb8aa3b, v66
	v_mul_f32_e32 v67, 0x3fb8aa3b, v67
	;; [unrolled: 1-line block ×3, first 2 shown]
	v_exp_f32_e32 v66, v66
	v_sub_f32_e32 v69, v76, v72
	v_exp_f32_e32 v67, v67
	v_exp_f32_e32 v73, v68
	v_mul_f32_e32 v69, 0x3fb8aa3b, v69
	v_exp_f32_e32 v74, v69
	v_cndmask_b32_e32 v68, 0, v66, vcc
	v_cndmask_b32_e64 v69, 0, v67, s[0:1]
	v_cndmask_b32_e64 v66, 0, v73, s[8:9]
	v_add_f32_e32 v73, 0, v68
	v_add_f32_e32 v73, v73, v69
	v_cndmask_b32_e64 v67, 0, v74, s[10:11]
	v_add_f32_e32 v73, v73, v66
	v_add_f32_e32 v73, v73, v67
	;;#ASMSTART
	v_nop
 v_nop
 v_add_f32_dpp v73, v73, v73 row_ror:4
	;;#ASMEND
	v_cmp_gt_u32_e32 vcc, 4, v1
	;;#ASMSTART
	v_nop
 v_nop
 v_add_f32_dpp v73, v73, v73 row_ror:8
	;;#ASMEND
	ds_bpermute_b32 v73, v75, v73
	s_waitcnt lgkmcnt(0)
	;;#ASMSTART
	v_nop
 v_nop
 v_add_f32_dpp v73, v73, v73 row_ror:4
	;;#ASMEND
	s_nop 0
	;;#ASMSTART
	v_nop
 v_nop
 v_add_f32_dpp v73, v73, v73 row_ror:8
	;;#ASMEND
	s_and_saveexec_b64 s[0:1], vcc
	s_cbranch_execz .LBB230_16
; %bb.15:
	v_mul_u32_u24_e32 v74, 20, v70
	v_lshl_add_u32 v74, v71, 2, v74
	v_add_u32_e32 v74, 0x1400, v74
	ds_write2_b32 v74, v72, v73 offset1:20
.LBB230_16:
	s_or_b64 exec, exec, s[0:1]
.LBB230_17:
	s_or_b64 exec, exec, s[26:27]
	s_waitcnt lgkmcnt(0)
	s_barrier
	s_load_dword s0, s[24:25], 0x8
	v_lshlrev_b32_e32 v73, 2, v71
	v_add_u32_e32 v80, 0x1400, v73
	ds_read2_b32 v[74:75], v80 offset1:5
	ds_read2_b32 v[76:77], v80 offset0:10 offset1:15
	s_mul_i32 s1, s2, s5
	s_waitcnt lgkmcnt(0)
	s_mul_i32 s0, s1, s0
	s_mov_b32 s1, 0xff7fffff
	v_max3_f32 v73, v74, s1, v75
	v_max3_f32 v73, v73, v76, v77
	v_sub_f32_e32 v74, v74, v73
	ds_read2_b32 v[78:79], v80 offset0:20 offset1:25
	v_mul_f32_e32 v74, 0x3fb8aa3b, v74
	v_sub_f32_e32 v75, v75, v73
	v_exp_f32_e32 v74, v74
	v_mul_f32_e32 v75, 0x3fb8aa3b, v75
	v_sub_f32_e32 v76, v76, v73
	v_exp_f32_e32 v75, v75
	ds_read2_b32 v[80:81], v80 offset0:30 offset1:35
	v_mul_f32_e32 v76, 0x3fb8aa3b, v76
	v_sub_f32_e32 v77, v77, v73
	v_exp_f32_e32 v76, v76
	v_mul_f32_e32 v77, 0x3fb8aa3b, v77
	v_exp_f32_e32 v77, v77
	s_waitcnt lgkmcnt(1)
	v_fma_f32 v74, v74, v78, 0
	v_fmac_f32_e32 v74, v75, v79
	s_waitcnt lgkmcnt(0)
	v_fmac_f32_e32 v74, v76, v80
	s_mul_i32 s4, s4, 3
	s_mul_i32 s0, s0, 3
	v_fmac_f32_e32 v74, v77, v81
	v_cmp_ne_u32_e32 vcc, 3, v71
	s_and_saveexec_b64 s[2:3], vcc
	s_cbranch_execz .LBB230_19
; %bb.18:
	s_mov_b32 s1, 0
	s_lshl_b64 s[8:9], s[0:1], 2
	s_add_u32 s12, s12, s8
	s_mov_b32 s21, s1
	s_addc_u32 s13, s13, s9
	s_lshl_b64 s[10:11], s[20:21], 2
	s_add_u32 s12, s12, s10
	s_addc_u32 s13, s13, s11
	s_add_u32 s1, s14, s8
	s_addc_u32 s9, s15, s9
	v_add_u32_e32 v71, s4, v71
	s_add_u32 s8, s1, s10
	v_mul_lo_u32 v76, s5, v71
	v_mov_b32_e32 v77, 0
	s_addc_u32 s9, s9, s11
	v_lshlrev_b64 v[76:77], 2, v[76:77]
	v_lshl_add_u64 v[78:79], s[12:13], 0, v[76:77]
	v_lshl_add_u64 v[76:77], s[8:9], 0, v[76:77]
	global_store_dword v[76:77], v73, off
	global_store_dword v[78:79], v74, off
.LBB230_19:
	s_or_b64 exec, exec, s[2:3]
	v_lshlrev_b32_e32 v70, 3, v70
	s_and_saveexec_b64 s[2:3], s[6:7]
	s_xor_b64 s[2:3], exec, s[2:3]
	s_cbranch_execz .LBB230_21
; %bb.20:
	s_mov_b32 s6, 0
	s_mov_b32 s7, s6
	s_waitcnt vmcnt(15)
	v_mad_u32_u24 v4, v1, 40, v70
	v_mov_b64_e32 v[2:3], s[6:7]
	ds_write2st64_b64 v4, v[2:3], v[2:3] offset1:5
                                        ; implicit-def: $vgpr67
                                        ; implicit-def: $vgpr69
                                        ; implicit-def: $vgpr43
                                        ; implicit-def: $vgpr27
                                        ; implicit-def: $vgpr3
                                        ; implicit-def: $vgpr7
                                        ; implicit-def: $vgpr11
                                        ; implicit-def: $vgpr15
                                        ; implicit-def: $vgpr19
                                        ; implicit-def: $vgpr23
                                        ; implicit-def: $vgpr59
                                        ; implicit-def: $vgpr63
                                        ; implicit-def: $vgpr31
                                        ; implicit-def: $vgpr35
                                        ; implicit-def: $vgpr39
                                        ; implicit-def: $vgpr47
                                        ; implicit-def: $vgpr51
                                        ; implicit-def: $vgpr55
                                        ; implicit-def: $vgpr72
                                        ; implicit-def: $vgpr73
                                        ; implicit-def: $vgpr74
                                        ; implicit-def: $vgpr70
.LBB230_21:
	s_andn2_saveexec_b64 s[2:3], s[2:3]
	s_cbranch_execz .LBB230_23
; %bb.22:
	v_add_f32_e32 v71, 0x358637bd, v74
	v_div_scale_f32 v74, s[6:7], v71, v71, 1.0
	v_rcp_f32_e32 v75, v74
	v_sub_f32_e32 v72, v72, v73
	v_mul_f32_e32 v72, 0x3fb8aa3b, v72
	v_exp_f32_e32 v72, v72
	v_fma_f32 v73, -v74, v75, 1.0
	v_fmac_f32_e32 v75, v73, v75
	v_div_scale_f32 v73, vcc, 1.0, v71, 1.0
	v_mul_f32_e32 v76, v73, v75
	v_fma_f32 v77, -v74, v76, v73
	v_fmac_f32_e32 v76, v77, v75
	v_fma_f32 v73, -v74, v76, v73
	v_div_fmas_f32 v73, v73, v75, v76
	v_div_fixup_f32 v71, v73, v71, 1.0
	v_mul_f32_e32 v72, v72, v71
	v_pk_mul_f32 v[66:67], v[66:67], v[72:73] op_sel_hi:[1,0]
	v_pk_mul_f32 v[68:69], v[68:69], v[72:73] op_sel_hi:[1,0]
	v_cvt_f16_f32_e32 v71, v66
	v_cvt_f16_f32_e32 v68, v68
	v_cvt_f16_f32_e32 v69, v69
	v_cvt_f16_f32_e32 v67, v67
	v_pack_b32_f16 v66, v68, v69
	v_pack_b32_f16 v67, v71, v67
	s_waitcnt vmcnt(3)
	s_nop 0
	v_mfma_f32_4x4x4_16b_f16 a[0:3], v[66:67], v[42:43], 0 cbsz:4
	s_nop 1
	v_mfma_f32_4x4x4_16b_f16 a[0:3], v[66:67], v[44:45], a[0:3] cbsz:4 abid:1
	s_waitcnt vmcnt(1)
	v_mfma_f32_4x4x4_16b_f16 a[4:7], v[66:67], v[58:59], 0 cbsz:4
	v_mfma_f32_4x4x4_16b_f16 a[0:3], v[66:67], v[26:27], a[0:3] cbsz:4 abid:2
	s_nop 0
	v_mfma_f32_4x4x4_16b_f16 a[4:7], v[66:67], v[60:61], a[4:7] cbsz:4 abid:1
	v_mfma_f32_4x4x4_16b_f16 a[0:3], v[66:67], v[28:29], a[0:3] cbsz:4 abid:3
	s_waitcnt vmcnt(0)
	v_mfma_f32_4x4x4_16b_f16 a[4:7], v[66:67], v[62:63], a[4:7] cbsz:4 abid:2
	v_mfma_f32_4x4x4_16b_f16 a[0:3], v[66:67], v[2:3], a[0:3] cbsz:4 abid:4
	s_nop 0
	v_mfma_f32_4x4x4_16b_f16 a[4:7], v[66:67], v[64:65], a[4:7] cbsz:4 abid:3
	v_mfma_f32_4x4x4_16b_f16 a[0:3], v[66:67], v[4:5], a[0:3] cbsz:4 abid:5
	s_nop 0
	;; [unrolled: 3-line block ×3, first 2 shown]
	v_mfma_f32_4x4x4_16b_f16 a[4:7], v[66:67], v[32:33], a[4:7] cbsz:4 abid:5
	v_mfma_f32_4x4x4_16b_f16 a[0:3], v[66:67], v[8:9], a[0:3] cbsz:4 abid:7
	v_mad_u32_u24 v9, v1, 40, v70
	v_mfma_f32_4x4x4_16b_f16 a[4:7], v[66:67], v[34:35], a[4:7] cbsz:4 abid:6
	v_mfma_f32_4x4x4_16b_f16 a[0:3], v[66:67], v[10:11], a[0:3] cbsz:4 abid:8
	s_nop 0
	v_mfma_f32_4x4x4_16b_f16 a[4:7], v[66:67], v[36:37], a[4:7] cbsz:4 abid:7
	v_mfma_f32_4x4x4_16b_f16 a[0:3], v[66:67], v[12:13], a[0:3] cbsz:4 abid:9
	s_nop 0
	;; [unrolled: 3-line block ×7, first 2 shown]
	v_mfma_f32_4x4x4_16b_f16 a[0:3], v[66:67], v[24:25], a[0:3] cbsz:4 abid:15
	s_nop 4
	v_accvgpr_read_b32 v2, a0
	v_accvgpr_read_b32 v3, a1
	;; [unrolled: 1-line block ×4, first 2 shown]
	v_mfma_f32_4x4x4_16b_f16 a[0:3], v[66:67], v[52:53], a[4:7] cbsz:4 abid:13
	v_cvt_f16_f32_e32 v2, v2
	v_cvt_f16_f32_e32 v3, v3
	v_mfma_f32_4x4x4_16b_f16 a[0:3], v[66:67], v[54:55], a[0:3] cbsz:4 abid:14
	v_pack_b32_f16 v2, v2, v3
	s_nop 0
	v_mfma_f32_4x4x4_16b_f16 a[0:3], v[66:67], v[56:57], a[0:3] cbsz:4 abid:15
	v_cvt_f16_f32_e32 v3, v4
	v_cvt_f16_f32_e32 v4, v5
	v_pack_b32_f16 v3, v3, v4
	s_nop 1
	v_accvgpr_read_b32 v5, a0
	v_accvgpr_read_b32 v6, a1
	;; [unrolled: 1-line block ×4, first 2 shown]
	v_cvt_f16_f32_e32 v5, v5
	v_cvt_f16_f32_e32 v6, v6
	;; [unrolled: 1-line block ×4, first 2 shown]
	v_pack_b32_f16 v4, v5, v6
	v_pack_b32_f16 v5, v7, v8
	ds_write2st64_b64 v9, v[2:3], v[4:5] offset1:5
.LBB230_23:
	s_or_b64 exec, exec, s[2:3]
	v_cmp_gt_u32_e32 vcc, 64, v0
	s_waitcnt lgkmcnt(0)
	s_barrier
	s_and_saveexec_b64 s[2:3], vcc
	s_cbranch_execz .LBB230_25
; %bb.24:
	s_waitcnt vmcnt(14)
	v_mul_u32_u24_e32 v6, 40, v1
	ds_read2_b64 v[2:5], v6 offset1:1
	ds_read2_b64 v[6:9], v6 offset0:2 offset1:3
	s_mov_b32 s1, 0
	s_lshl_b32 s0, s0, 7
	s_lshl_b64 s[2:3], s[0:1], 1
	s_waitcnt lgkmcnt(1)
	v_pk_add_f16 v2, v2, 0
	v_pk_add_f16 v3, v3, 0
	;; [unrolled: 1-line block ×4, first 2 shown]
	s_waitcnt lgkmcnt(0)
	v_pk_add_f16 v2, v2, v6
	v_pk_add_f16 v6, v3, v7
	s_waitcnt vmcnt(11)
	v_pk_add_f16 v10, v2, v8
	v_mov_b32_e32 v2, 0xa00
	v_mad_u32_u24 v2, v1, 40, v2
	ds_read2_b64 v[2:5], v2 offset1:1
	v_pk_add_f16 v11, v6, v9
	v_mov_b32_e32 v6, 0xa10
	v_mad_u32_u24 v1, v1, 40, v6
	ds_read2_b64 v[6:9], v1 offset1:1
	s_add_u32 s2, s22, s2
	s_addc_u32 s3, s23, s3
	s_lshl_b32 s0, s20, 7
	s_lshl_b64 s[0:1], s[0:1], 1
	s_waitcnt lgkmcnt(1)
	v_pk_add_f16 v1, v2, 0
	v_pk_add_f16 v2, v3, 0
	s_add_u32 s0, s2, s0
	v_pk_add_f16 v2, v2, v5
	s_addc_u32 s1, s3, s1
	s_lshl_b32 s2, s5, 7
	s_waitcnt lgkmcnt(0)
	v_pk_add_f16 v2, v2, v7
	s_mul_i32 s3, s2, s4
	v_pk_add_f16 v9, v2, v9
	v_or_b32_e32 v2, s3, v0
	v_mov_b32_e32 v3, 0
	s_add_i32 s3, s3, s2
	v_pk_add_f16 v1, v1, v4
	v_lshl_add_u64 v[4:5], v[2:3], 1, s[0:1]
	v_or_b32_e32 v2, s3, v0
	s_add_i32 s3, s3, s2
	v_pk_add_f16 v1, v1, v6
	v_lshl_add_u64 v[6:7], v[2:3], 1, s[0:1]
	v_or_b32_e32 v2, s3, v0
	v_pk_add_f16 v8, v1, v8
	v_lshl_add_u64 v[0:1], v[2:3], 1, s[0:1]
	global_store_short v[4:5], v10, off
	global_store_short_d16_hi v[6:7], v10, off
	global_store_short v[0:1], v11, off
	global_store_short v[4:5], v8, off offset:128
	global_store_short_d16_hi v[6:7], v8, off offset:128
	global_store_short v[0:1], v9, off offset:128
.LBB230_25:
	s_endpgm
	.section	.rodata,"a",@progbits
	.p2align	6, 0x0
	.amdhsa_kernel _Z38paged_attention_ll4mi_QKV_mfma4_kernelIDF16_DF16_LN4vllm18Fp8KVCacheDataTypeE0EhLi16ELi128ELi256ELb0ELi3EEvPKT_PKT0_S7_ifPKiS9_S9_iPKfiiiPfSC_PS2_PT2_iSB_SB_
		.amdhsa_group_segment_fixed_size 5280
		.amdhsa_private_segment_fixed_size 0
		.amdhsa_kernarg_size 400
		.amdhsa_user_sgpr_count 2
		.amdhsa_user_sgpr_dispatch_ptr 0
		.amdhsa_user_sgpr_queue_ptr 0
		.amdhsa_user_sgpr_kernarg_segment_ptr 1
		.amdhsa_user_sgpr_dispatch_id 0
		.amdhsa_user_sgpr_kernarg_preload_length 0
		.amdhsa_user_sgpr_kernarg_preload_offset 0
		.amdhsa_user_sgpr_private_segment_size 0
		.amdhsa_uses_dynamic_stack 0
		.amdhsa_enable_private_segment 0
		.amdhsa_system_sgpr_workgroup_id_x 1
		.amdhsa_system_sgpr_workgroup_id_y 1
		.amdhsa_system_sgpr_workgroup_id_z 1
		.amdhsa_system_sgpr_workgroup_info 0
		.amdhsa_system_vgpr_workitem_id 0
		.amdhsa_next_free_vgpr 104
		.amdhsa_next_free_sgpr 38
		.amdhsa_accum_offset 96
		.amdhsa_reserve_vcc 1
		.amdhsa_float_round_mode_32 0
		.amdhsa_float_round_mode_16_64 0
		.amdhsa_float_denorm_mode_32 3
		.amdhsa_float_denorm_mode_16_64 3
		.amdhsa_dx10_clamp 1
		.amdhsa_ieee_mode 1
		.amdhsa_fp16_overflow 0
		.amdhsa_tg_split 0
		.amdhsa_exception_fp_ieee_invalid_op 0
		.amdhsa_exception_fp_denorm_src 0
		.amdhsa_exception_fp_ieee_div_zero 0
		.amdhsa_exception_fp_ieee_overflow 0
		.amdhsa_exception_fp_ieee_underflow 0
		.amdhsa_exception_fp_ieee_inexact 0
		.amdhsa_exception_int_div_zero 0
	.end_amdhsa_kernel
	.section	.text._Z38paged_attention_ll4mi_QKV_mfma4_kernelIDF16_DF16_LN4vllm18Fp8KVCacheDataTypeE0EhLi16ELi128ELi256ELb0ELi3EEvPKT_PKT0_S7_ifPKiS9_S9_iPKfiiiPfSC_PS2_PT2_iSB_SB_,"axG",@progbits,_Z38paged_attention_ll4mi_QKV_mfma4_kernelIDF16_DF16_LN4vllm18Fp8KVCacheDataTypeE0EhLi16ELi128ELi256ELb0ELi3EEvPKT_PKT0_S7_ifPKiS9_S9_iPKfiiiPfSC_PS2_PT2_iSB_SB_,comdat
.Lfunc_end230:
	.size	_Z38paged_attention_ll4mi_QKV_mfma4_kernelIDF16_DF16_LN4vllm18Fp8KVCacheDataTypeE0EhLi16ELi128ELi256ELb0ELi3EEvPKT_PKT0_S7_ifPKiS9_S9_iPKfiiiPfSC_PS2_PT2_iSB_SB_, .Lfunc_end230-_Z38paged_attention_ll4mi_QKV_mfma4_kernelIDF16_DF16_LN4vllm18Fp8KVCacheDataTypeE0EhLi16ELi128ELi256ELb0ELi3EEvPKT_PKT0_S7_ifPKiS9_S9_iPKfiiiPfSC_PS2_PT2_iSB_SB_
                                        ; -- End function
	.section	.AMDGPU.csdata,"",@progbits
; Kernel info:
; codeLenInByte = 3884
; NumSgprs: 44
; NumVgprs: 94
; NumAgprs: 8
; TotalNumVgprs: 104
; ScratchSize: 0
; MemoryBound: 0
; FloatMode: 240
; IeeeMode: 1
; LDSByteSize: 5280 bytes/workgroup (compile time only)
; SGPRBlocks: 5
; VGPRBlocks: 12
; NumSGPRsForWavesPerEU: 44
; NumVGPRsForWavesPerEU: 104
; AccumOffset: 96
; Occupancy: 4
; WaveLimiterHint : 1
; COMPUTE_PGM_RSRC2:SCRATCH_EN: 0
; COMPUTE_PGM_RSRC2:USER_SGPR: 2
; COMPUTE_PGM_RSRC2:TRAP_HANDLER: 0
; COMPUTE_PGM_RSRC2:TGID_X_EN: 1
; COMPUTE_PGM_RSRC2:TGID_Y_EN: 1
; COMPUTE_PGM_RSRC2:TGID_Z_EN: 1
; COMPUTE_PGM_RSRC2:TIDIG_COMP_CNT: 0
; COMPUTE_PGM_RSRC3_GFX90A:ACCUM_OFFSET: 23
; COMPUTE_PGM_RSRC3_GFX90A:TG_SPLIT: 0
	.section	.text._Z38paged_attention_ll4mi_QKV_mfma4_kernelIDF16_DF16_LN4vllm18Fp8KVCacheDataTypeE0EhLi16ELi128ELi256ELb0ELi4EEvPKT_PKT0_S7_ifPKiS9_S9_iPKfiiiPfSC_PS2_PT2_iSB_SB_,"axG",@progbits,_Z38paged_attention_ll4mi_QKV_mfma4_kernelIDF16_DF16_LN4vllm18Fp8KVCacheDataTypeE0EhLi16ELi128ELi256ELb0ELi4EEvPKT_PKT0_S7_ifPKiS9_S9_iPKfiiiPfSC_PS2_PT2_iSB_SB_,comdat
	.protected	_Z38paged_attention_ll4mi_QKV_mfma4_kernelIDF16_DF16_LN4vllm18Fp8KVCacheDataTypeE0EhLi16ELi128ELi256ELb0ELi4EEvPKT_PKT0_S7_ifPKiS9_S9_iPKfiiiPfSC_PS2_PT2_iSB_SB_ ; -- Begin function _Z38paged_attention_ll4mi_QKV_mfma4_kernelIDF16_DF16_LN4vllm18Fp8KVCacheDataTypeE0EhLi16ELi128ELi256ELb0ELi4EEvPKT_PKT0_S7_ifPKiS9_S9_iPKfiiiPfSC_PS2_PT2_iSB_SB_
	.globl	_Z38paged_attention_ll4mi_QKV_mfma4_kernelIDF16_DF16_LN4vllm18Fp8KVCacheDataTypeE0EhLi16ELi128ELi256ELb0ELi4EEvPKT_PKT0_S7_ifPKiS9_S9_iPKfiiiPfSC_PS2_PT2_iSB_SB_
	.p2align	8
	.type	_Z38paged_attention_ll4mi_QKV_mfma4_kernelIDF16_DF16_LN4vllm18Fp8KVCacheDataTypeE0EhLi16ELi128ELi256ELb0ELi4EEvPKT_PKT0_S7_ifPKiS9_S9_iPKfiiiPfSC_PS2_PT2_iSB_SB_,@function
_Z38paged_attention_ll4mi_QKV_mfma4_kernelIDF16_DF16_LN4vllm18Fp8KVCacheDataTypeE0EhLi16ELi128ELi256ELb0ELi4EEvPKT_PKT0_S7_ifPKiS9_S9_iPKfiiiPfSC_PS2_PT2_iSB_SB_: ; @_Z38paged_attention_ll4mi_QKV_mfma4_kernelIDF16_DF16_LN4vllm18Fp8KVCacheDataTypeE0EhLi16ELi128ELi256ELb0ELi4EEvPKT_PKT0_S7_ifPKiS9_S9_iPKfiiiPfSC_PS2_PT2_iSB_SB_
; %bb.0:
	s_load_dwordx2 s[8:9], s[0:1], 0x30
	s_mov_b32 s20, s3
	s_mov_b64 s[6:7], 0
	s_waitcnt lgkmcnt(0)
	s_cmp_lg_u64 s[8:9], 0
	s_cselect_b64 s[10:11], -1, 0
	s_and_b64 vcc, exec, s[10:11]
	s_cbranch_vccz .LBB231_20
; %bb.1:
	s_add_i32 s12, s2, 1
	s_mov_b32 s13, 0
	s_lshl_b64 s[14:15], s[12:13], 2
	s_add_u32 s14, s8, s14
	s_mov_b32 s3, s13
	s_addc_u32 s15, s9, s15
	s_lshl_b64 s[12:13], s[2:3], 2
	s_add_u32 s12, s8, s12
	s_addc_u32 s13, s9, s13
	s_load_dword s5, s[14:15], 0x0
	s_load_dword s16, s[12:13], 0x0
	s_mov_b64 s[30:31], s[2:3]
	s_waitcnt lgkmcnt(0)
	s_sub_i32 s5, s5, s16
	s_cmp_eq_u32 s5, 1
	s_cselect_b64 s[12:13], -1, 0
	s_andn2_b64 vcc, exec, s[6:7]
	s_cbranch_vccnz .LBB231_3
.LBB231_2:
	s_mov_b32 s3, 0
	s_mov_b64 s[12:13], -1
	s_mov_b64 s[30:31], s[2:3]
.LBB231_3:
	s_andn2_b64 vcc, exec, s[12:13]
	s_cbranch_vccnz .LBB231_19
; %bb.4:
	s_load_dword s3, s[0:1], 0x9c
	s_load_dwordx2 s[6:7], s[0:1], 0x28
	s_add_u32 s24, s0, 0x90
	s_addc_u32 s25, s1, 0
	s_lshl_b64 s[34:35], s[30:31], 2
	s_waitcnt lgkmcnt(0)
	s_and_b32 s5, s3, 0xffff
	s_add_u32 s6, s6, s34
	s_addc_u32 s7, s7, s35
	s_load_dword s3, s[6:7], 0x0
	s_mul_i32 s16, s20, s5
	s_waitcnt lgkmcnt(0)
	s_cmp_ge_i32 s16, s3
	s_cbranch_scc1 .LBB231_19
; %bb.5:
	v_and_b32_e32 v1, 0xc0, v0
	v_add_u32_e32 v2, s16, v1
	v_lshrrev_b32_e32 v70, 6, v0
	v_cmp_le_i32_e64 s[6:7], s3, v2
                                        ; implicit-def: $sgpr18
                                        ; implicit-def: $sgpr17
	s_and_saveexec_b64 s[12:13], s[6:7]
	s_xor_b64 s[12:13], exec, s[12:13]
	s_cbranch_execz .LBB231_7
; %bb.6:
	v_mul_u32_u24_e32 v1, 20, v70
	v_or_b32_e32 v1, 0x1400, v1
	v_mov_b32_e32 v2, 0x1450
	v_mov_b32_e32 v3, 0xff7fffff
	v_mad_u32_u24 v2, v70, 20, v2
	ds_write2_b32 v1, v3, v3 offset1:1
	v_mov_b32_e32 v1, 0
	ds_write2_b32 v2, v1, v1 offset1:1
	v_mov_b32_e32 v2, 0x1408
	s_mov_b32 s17, 0xff7fffff
	s_mov_b32 s18, 0
	v_mad_u32_u24 v2, v70, 20, v2
	v_mov_b32_e32 v4, 0x1458
	v_mad_u32_u24 v4, v70, 20, v4
	ds_write2_b32 v2, v3, v3 offset1:1
	ds_write2_b32 v4, v1, v1 offset1:1
                                        ; implicit-def: $vgpr2
.LBB231_7:
	s_or_saveexec_b64 s[26:27], s[12:13]
	s_load_dwordx2 s[22:23], s[0:1], 0x68
	s_load_dwordx4 s[12:15], s[0:1], 0x58
	s_load_dword s5, s[24:25], 0x4
	v_and_b32_e32 v1, 63, v0
	v_and_b32_e32 v71, 3, v0
	v_mov_b32_e32 v67, s18
	v_mov_b32_e32 v72, s17
	;; [unrolled: 1-line block ×5, first 2 shown]
                                        ; implicit-def: $vgpr43
                                        ; implicit-def: $vgpr27
                                        ; implicit-def: $vgpr3
                                        ; implicit-def: $vgpr7
                                        ; implicit-def: $vgpr11
                                        ; implicit-def: $vgpr15
                                        ; implicit-def: $vgpr19
                                        ; implicit-def: $vgpr23
                                        ; implicit-def: $vgpr59
                                        ; implicit-def: $vgpr63
                                        ; implicit-def: $vgpr31
                                        ; implicit-def: $vgpr35
                                        ; implicit-def: $vgpr39
                                        ; implicit-def: $vgpr47
                                        ; implicit-def: $vgpr51
                                        ; implicit-def: $vgpr55
	s_xor_b64 exec, exec, s[26:27]
	s_cbranch_execz .LBB231_13
; %bb.8:
	s_add_i32 s21, s3, 15
	s_load_dwordx2 s[18:19], s[0:1], 0x20
	s_load_dword s17, s[0:1], 0x38
	s_ashr_i32 s28, s21, 31
	s_lshr_b32 s28, s28, 28
	v_add_u32_e32 v66, s16, v0
	s_add_i32 s21, s21, s28
	v_ashrrev_i32_e32 v3, 31, v66
	s_ashr_i32 s21, s21, 4
	v_lshrrev_b32_e32 v3, 28, v3
	s_add_i32 s21, s21, -1
	v_add_u32_e32 v3, v66, v3
	s_waitcnt lgkmcnt(0)
	s_mul_i32 s36, s2, s17
	s_mov_b32 s37, 0
	v_ashrrev_i32_e32 v3, 4, v3
	v_mov_b32_e32 v4, s21
	v_cmp_gt_i32_e32 vcc, s3, v66
	s_lshl_b64 s[28:29], s[36:37], 2
	s_add_u32 s18, s18, s28
	v_cndmask_b32_e32 v4, v4, v3, vcc
	v_ashrrev_i32_e32 v3, 31, v2
	v_lshrrev_b32_e32 v3, 28, v3
	s_addc_u32 s19, s19, s29
	v_ashrrev_i32_e32 v5, 31, v4
	v_add_u32_e32 v2, v2, v3
	v_lshl_add_u64 v[8:9], v[4:5], 2, s[18:19]
	v_ashrrev_i32_e32 v4, 4, v2
	v_min_i32_e32 v2, s21, v4
	v_ashrrev_i32_e32 v3, 31, v2
	v_lshl_add_u64 v[10:11], v[2:3], 2, s[18:19]
	v_add_u32_e32 v2, 1, v4
	v_min_i32_e32 v2, s21, v2
	v_ashrrev_i32_e32 v3, 31, v2
	v_lshl_add_u64 v[12:13], v[2:3], 2, s[18:19]
	v_add_u32_e32 v2, 2, v4
	;; [unrolled: 4-line block ×3, first 2 shown]
	v_min_i32_e32 v2, s21, v2
	v_ashrrev_i32_e32 v3, 31, v2
	v_lshl_add_u64 v[16:17], v[2:3], 2, s[18:19]
	global_load_dword v2, v[8:9], off
	global_load_dword v4, v[10:11], off
	;; [unrolled: 1-line block ×5, first 2 shown]
	s_load_dwordx4 s[16:19], s[0:1], 0x0
	s_load_dwordx2 s[28:29], s[0:1], 0x10
	s_andn2_b64 vcc, exec, s[10:11]
	s_cbranch_vccnz .LBB231_10
; %bb.9:
	s_add_u32 s8, s8, s34
	s_addc_u32 s9, s9, s35
	s_load_dword s36, s[8:9], 0x0
	s_waitcnt lgkmcnt(0)
	s_mov_b64 s[30:31], s[36:37]
.LBB231_10:
	s_load_dwordx4 s[8:11], s[0:1], 0x48
	v_lshlrev_b32_e32 v3, 2, v1
	v_and_b32_e32 v3, 0xf0, v3
	v_lshl_or_b32 v3, v71, 8, v3
	v_and_b32_e32 v8, 15, v0
	s_waitcnt lgkmcnt(0)
	s_ashr_i32 s11, s8, 31
	s_mul_hi_u32 s21, s30, s8
	s_mul_i32 s31, s31, s8
	s_mul_i32 s34, s30, s8
	;; [unrolled: 1-line block ×3, first 2 shown]
	s_add_i32 s8, s21, s8
	s_add_i32 s35, s8, s31
	s_lshl_b64 s[30:31], s[34:35], 1
	s_add_u32 s8, s16, s30
	s_addc_u32 s11, s17, s31
	s_lshl_b32 s36, s4, 9
	s_lshl_b64 s[16:17], s[36:37], 1
	s_add_u32 s16, s8, s16
	s_addc_u32 s17, s11, s17
	global_load_dwordx4 v[72:75], v3, s[16:17]
	s_mul_i32 s36, s4, s10
	s_waitcnt vmcnt(5)
	v_mad_i64_i32 v[2:3], s[16:17], v2, s9, 0
	s_lshl_b64 s[10:11], s[36:37], 1
	s_add_u32 s16, s10, s18
	s_addc_u32 s17, s11, s19
	v_lshl_add_u64 v[2:3], v[2:3], 1, s[16:17]
	v_lshlrev_b32_e32 v26, 4, v8
	v_mov_b32_e32 v27, 0
	v_lshl_add_u64 v[2:3], v[2:3], 0, v[26:27]
	global_load_dwordx4 v[8:11], v[2:3], off
	global_load_dwordx4 v[12:15], v[2:3], off offset:256
	global_load_dwordx4 v[16:19], v[2:3], off offset:512
	;; [unrolled: 1-line block ×15, first 2 shown]
	s_waitcnt vmcnt(20)
	v_mul_hi_i32 v24, v4, s9
	s_waitcnt vmcnt(19)
	v_mul_hi_i32 v26, v5, s9
	;; [unrolled: 2-line block ×4, first 2 shown]
	v_ashrrev_i32_e32 v94, 31, v24
	v_ashrrev_i32_e32 v24, 31, v26
	;; [unrolled: 1-line block ×4, first 2 shown]
	v_mov_b32_e32 v25, v27
	v_mov_b32_e32 v65, v27
	;; [unrolled: 1-line block ×3, first 2 shown]
	v_lshrrev_b32_e32 v24, 29, v24
	v_lshrrev_b32_e32 v64, 29, v26
	;; [unrolled: 1-line block ×4, first 2 shown]
	v_mad_i64_i32 v[2:3], s[16:17], v5, s9, v[24:25]
	v_mad_i64_i32 v[24:25], s[16:17], v6, s9, v[64:65]
	;; [unrolled: 1-line block ×4, first 2 shown]
	v_lshlrev_b64 v[2:3], 1, v[2:3]
	v_lshlrev_b64 v[6:7], 1, v[6:7]
	s_add_u32 s10, s28, s10
	v_and_b32_e32 v2, -16, v2
	v_and_b32_e32 v6, -16, v6
	s_addc_u32 s11, s29, s11
	v_lshlrev_b32_e32 v26, 5, v1
	v_lshl_add_u64 v[2:3], s[10:11], 0, v[2:3]
	v_lshl_add_u64 v[6:7], s[10:11], 0, v[6:7]
	s_load_dword s0, s[0:1], 0x1c
	v_and_b32_e32 v92, -4, v66
	v_cmp_eq_u32_e32 vcc, 0, v71
	v_lshlrev_b32_e32 v93, 2, v0
	s_waitcnt vmcnt(15)
	v_mfma_f32_4x4x4_16b_f16 a[0:3], v[72:73], v[8:9], 0 cbsz:4
	v_lshlrev_b64 v[8:9], 1, v[24:25]
	s_nop 0
	v_mfma_f32_4x4x4_16b_f16 a[0:3], v[74:75], v[10:11], a[0:3] cbsz:4
	v_and_b32_e32 v8, -16, v8
	v_lshl_add_u64 v[8:9], s[10:11], 0, v[8:9]
	s_waitcnt vmcnt(14)
	v_mfma_f32_4x4x4_16b_f16 a[0:3], v[72:73], v[12:13], a[0:3] cbsz:4 abid:1
	v_lshl_add_u64 v[10:11], v[2:3], 0, v[26:27]
	v_cndmask_b32_e64 v88, 0, 1.0, vcc
	v_mfma_f32_4x4x4_16b_f16 a[0:3], v[74:75], v[14:15], a[0:3] cbsz:4 abid:1
	v_cmp_eq_u32_e32 vcc, 1, v71
	s_waitcnt vmcnt(13)
	v_mfma_f32_4x4x4_16b_f16 a[0:3], v[72:73], v[16:17], a[0:3] cbsz:4 abid:2
	v_cndmask_b32_e64 v89, 0, 1.0, vcc
	v_cmp_eq_u32_e32 vcc, 2, v71
	v_mfma_f32_4x4x4_16b_f16 a[0:3], v[74:75], v[18:19], a[0:3] cbsz:4 abid:2
	v_lshl_add_u64 v[18:19], v[8:9], 0, v[26:27]
	v_cndmask_b32_e64 v90, 0, 1.0, vcc
	s_waitcnt vmcnt(12)
	v_mfma_f32_4x4x4_16b_f16 a[0:3], v[72:73], v[20:21], a[0:3] cbsz:4 abid:3
	v_cmp_eq_u32_e32 vcc, 3, v71
	s_nop 0
	v_mfma_f32_4x4x4_16b_f16 a[0:3], v[74:75], v[22:23], a[0:3] cbsz:4 abid:3
	v_cndmask_b32_e64 v91, 0, 1.0, vcc
	v_cmp_gt_i32_e32 vcc, s3, v92
	s_waitcnt vmcnt(11)
	v_mfma_f32_4x4x4_16b_f16 a[0:3], v[72:73], v[28:29], a[0:3] cbsz:4 abid:4
	v_lshlrev_b64 v[28:29], 1, v[4:5]
	v_and_b32_e32 v28, -16, v28
	v_mfma_f32_4x4x4_16b_f16 a[0:3], v[74:75], v[30:31], a[0:3] cbsz:4 abid:4
	v_lshl_add_u64 v[28:29], s[10:11], 0, v[28:29]
	v_lshl_add_u64 v[68:69], v[28:29], 0, v[26:27]
	s_waitcnt vmcnt(10)
	v_mfma_f32_4x4x4_16b_f16 a[0:3], v[72:73], v[32:33], a[0:3] cbsz:4 abid:5
	s_nop 1
	v_mfma_f32_4x4x4_16b_f16 a[0:3], v[74:75], v[34:35], a[0:3] cbsz:4 abid:5
	s_waitcnt vmcnt(9)
	s_nop 0
	v_mfma_f32_4x4x4_16b_f16 a[0:3], v[72:73], v[36:37], a[0:3] cbsz:4 abid:6
	s_nop 1
	v_mfma_f32_4x4x4_16b_f16 a[0:3], v[74:75], v[38:39], a[0:3] cbsz:4 abid:6
	s_waitcnt vmcnt(8)
	s_nop 0
	v_mfma_f32_4x4x4_16b_f16 a[0:3], v[72:73], v[40:41], a[0:3] cbsz:4 abid:7
	s_nop 1
	v_mfma_f32_4x4x4_16b_f16 a[0:3], v[74:75], v[42:43], a[0:3] cbsz:4 abid:7
	v_lshl_add_u64 v[42:43], v[6:7], 0, v[26:27]
	global_load_dwordx4 v[2:5], v[10:11], off
	global_load_dwordx4 v[6:9], v[10:11], off offset:16
	s_waitcnt vmcnt(9)
	v_mfma_f32_4x4x4_16b_f16 a[0:3], v[72:73], v[44:45], a[0:3] cbsz:4 abid:8
	global_load_dwordx4 v[30:33], v[10:11], off offset:2048
	global_load_dwordx4 v[34:37], v[10:11], off offset:2064
	v_mfma_f32_4x4x4_16b_f16 a[0:3], v[74:75], v[46:47], a[0:3] cbsz:4 abid:8
	global_load_dwordx4 v[10:13], v[18:19], off
	global_load_dwordx4 v[14:17], v[18:19], off offset:16
	s_waitcnt vmcnt(12)
	v_mfma_f32_4x4x4_16b_f16 a[0:3], v[72:73], v[48:49], a[0:3] cbsz:4 abid:9
	global_load_dwordx4 v[38:41], v[18:19], off offset:2048
	global_load_dwordx4 v[46:49], v[18:19], off offset:2064
	v_mfma_f32_4x4x4_16b_f16 a[0:3], v[74:75], v[50:51], a[0:3] cbsz:4 abid:9
	global_load_dwordx4 v[18:21], v[42:43], off
	global_load_dwordx4 v[22:25], v[42:43], off offset:16
	s_waitcnt vmcnt(15)
	v_mfma_f32_4x4x4_16b_f16 a[0:3], v[72:73], v[52:53], a[0:3] cbsz:4 abid:10
	s_nop 1
	v_mfma_f32_4x4x4_16b_f16 a[0:3], v[74:75], v[54:55], a[0:3] cbsz:4 abid:10
	s_waitcnt vmcnt(14)
	s_nop 0
	v_mfma_f32_4x4x4_16b_f16 a[0:3], v[72:73], v[56:57], a[0:3] cbsz:4 abid:11
	global_load_dwordx4 v[50:53], v[42:43], off offset:2048
	global_load_dwordx4 v[54:57], v[42:43], off offset:2064
	v_mfma_f32_4x4x4_16b_f16 a[0:3], v[74:75], v[58:59], a[0:3] cbsz:4 abid:11
	global_load_dwordx4 v[42:45], v[68:69], off
	global_load_dwordx4 v[26:29], v[68:69], off offset:16
	s_waitcnt vmcnt(17)
	v_mfma_f32_4x4x4_16b_f16 a[0:3], v[72:73], v[60:61], a[0:3] cbsz:4 abid:12
	s_nop 1
	v_mfma_f32_4x4x4_16b_f16 a[0:3], v[74:75], v[62:63], a[0:3] cbsz:4 abid:12
	global_load_dwordx4 v[58:61], v[68:69], off offset:2048
	global_load_dwordx4 v[62:65], v[68:69], off offset:2064
	s_waitcnt vmcnt(18)
	v_mfma_f32_4x4x4_16b_f16 a[0:3], v[72:73], v[76:77], a[0:3] cbsz:4 abid:13
	v_mov_b32_e32 v76, 0xff7fffff
	s_nop 0
	v_mfma_f32_4x4x4_16b_f16 a[0:3], v[74:75], v[78:79], a[0:3] cbsz:4 abid:13
	s_waitcnt vmcnt(17)
	s_nop 0
	v_mfma_f32_4x4x4_16b_f16 a[0:3], v[72:73], v[80:81], a[0:3] cbsz:4 abid:14
	s_nop 1
	v_mfma_f32_4x4x4_16b_f16 a[0:3], v[74:75], v[82:83], a[0:3] cbsz:4 abid:14
	s_waitcnt vmcnt(16)
	s_nop 0
	v_mfma_f32_4x4x4_16b_f16 a[0:3], v[72:73], v[84:85], a[0:3] cbsz:4 abid:15
	v_or_b32_e32 v72, 3, v66
	v_cmp_gt_i32_e64 s[10:11], s3, v72
	v_mfma_f32_4x4x4_16b_f16 a[0:3], v[74:75], v[86:87], a[0:3] cbsz:4 abid:15
	v_and_or_b32 v73, v93, 48, v71
	v_lshlrev_b32_e32 v73, 2, v73
	s_nop 2
	v_accvgpr_read_b32 v67, a1
	v_accvgpr_read_b32 v66, a0
	s_waitcnt lgkmcnt(0)
	v_pk_mul_f32 v[66:67], s[0:1], v[66:67] op_sel_hi:[0,1]
	v_accvgpr_read_b32 v69, a3
	v_accvgpr_read_b32 v68, a2
	v_pk_mul_f32 v[68:69], s[0:1], v[68:69] op_sel_hi:[0,1]
	v_mfma_f32_4x4x1_16b_f32 a[0:3], v66, v88, 0
	v_or_b32_e32 v66, 1, v92
	s_nop 0
	v_mfma_f32_4x4x1_16b_f32 a[0:3], v67, v89, a[0:3]
	v_cmp_gt_i32_e64 s[0:1], s3, v66
	v_or_b32_e32 v67, 2, v92
	v_mfma_f32_4x4x1_16b_f32 a[0:3], v68, v90, a[0:3]
	v_cmp_gt_i32_e64 s[8:9], s3, v67
	s_nop 0
	v_mfma_f32_4x4x1_16b_f32 a[0:3], v69, v91, a[0:3]
	s_nop 3
	v_accvgpr_read_b32 v68, a0
	v_max_f32_e32 v77, v68, v68
	v_accvgpr_read_b32 v69, a1
	v_max_f32_e32 v77, 0xff7fffff, v77
	v_max_f32_e32 v78, v69, v69
	v_cndmask_b32_e32 v76, v76, v77, vcc
	v_accvgpr_read_b32 v74, a2
	v_max_f32_e32 v77, v76, v78
	v_max_f32_e32 v79, v74, v74
	v_cndmask_b32_e64 v66, v76, v77, s[0:1]
	v_accvgpr_read_b32 v75, a3
	v_max_f32_e32 v76, v66, v79
	v_max_f32_e32 v80, v75, v75
	v_cndmask_b32_e64 v66, v66, v76, s[8:9]
	v_max_f32_e32 v67, v66, v80
	v_cndmask_b32_e64 v66, v66, v67, s[10:11]
	;;#ASMSTART
	v_nop
 v_nop
 v_max_f32_dpp v66, v66, v66 row_ror:4
	;;#ASMEND
	s_nop 0
	;;#ASMSTART
	v_nop
 v_nop
 v_max_f32_dpp v66, v66, v66 row_ror:8
	;;#ASMEND
	ds_bpermute_b32 v66, v73, v66
	s_waitcnt lgkmcnt(0)
	;;#ASMSTART
	v_nop
 v_nop
 v_max_f32_dpp v66, v66, v66 row_ror:4
	;;#ASMEND
	s_nop 0
	;;#ASMSTART
	v_nop
 v_nop
 v_max_f32_dpp v72, v66, v66 row_ror:8
	;;#ASMEND
	s_nop 0
	v_sub_f32_e32 v66, v68, v72
	v_sub_f32_e32 v67, v69, v72
	;; [unrolled: 1-line block ×3, first 2 shown]
	v_mul_f32_e32 v66, 0x3fb8aa3b, v66
	v_mul_f32_e32 v67, 0x3fb8aa3b, v67
	v_mul_f32_e32 v68, 0x3fb8aa3b, v68
	v_exp_f32_e32 v66, v66
	v_sub_f32_e32 v69, v75, v72
	v_exp_f32_e32 v67, v67
	v_exp_f32_e32 v74, v68
	v_mul_f32_e32 v69, 0x3fb8aa3b, v69
	v_exp_f32_e32 v75, v69
	v_cndmask_b32_e32 v68, 0, v66, vcc
	v_cndmask_b32_e64 v69, 0, v67, s[0:1]
	v_cndmask_b32_e64 v66, 0, v74, s[8:9]
	v_add_f32_e32 v74, 0, v68
	v_add_f32_e32 v74, v74, v69
	v_cndmask_b32_e64 v67, 0, v75, s[10:11]
	v_add_f32_e32 v74, v74, v66
	v_add_f32_e32 v74, v74, v67
	;;#ASMSTART
	v_nop
 v_nop
 v_add_f32_dpp v74, v74, v74 row_ror:4
	;;#ASMEND
	v_cmp_gt_u32_e32 vcc, 4, v1
	;;#ASMSTART
	v_nop
 v_nop
 v_add_f32_dpp v74, v74, v74 row_ror:8
	;;#ASMEND
	ds_bpermute_b32 v73, v73, v74
	s_waitcnt lgkmcnt(0)
	;;#ASMSTART
	v_nop
 v_nop
 v_add_f32_dpp v73, v73, v73 row_ror:4
	;;#ASMEND
	s_nop 0
	;;#ASMSTART
	v_nop
 v_nop
 v_add_f32_dpp v73, v73, v73 row_ror:8
	;;#ASMEND
	s_and_saveexec_b64 s[0:1], vcc
	s_cbranch_execz .LBB231_12
; %bb.11:
	v_mul_u32_u24_e32 v74, 20, v70
	v_lshl_add_u32 v74, v71, 2, v74
	v_add_u32_e32 v74, 0x1400, v74
	ds_write2_b32 v74, v72, v73 offset1:20
.LBB231_12:
	s_or_b64 exec, exec, s[0:1]
.LBB231_13:
	s_or_b64 exec, exec, s[26:27]
	v_lshlrev_b32_e32 v73, 2, v71
	v_add_u32_e32 v80, 0x1400, v73
	s_waitcnt lgkmcnt(0)
	s_barrier
	s_load_dword s0, s[24:25], 0x8
	ds_read2_b32 v[74:75], v80 offset1:5
	ds_read2_b32 v[76:77], v80 offset0:10 offset1:15
	s_mov_b32 s8, 0xff7fffff
	s_mul_i32 s1, s2, s5
	ds_read2_b32 v[78:79], v80 offset0:20 offset1:25
	s_waitcnt lgkmcnt(0)
	v_max3_f32 v73, v74, s8, v75
	v_max3_f32 v73, v73, v76, v77
	s_mul_i32 s1, s1, s0
	v_sub_f32_e32 v74, v74, v73
	s_lshl_b32 s0, s1, 2
	s_mov_b32 s1, 0
	v_mul_f32_e32 v74, 0x3fb8aa3b, v74
	v_sub_f32_e32 v75, v75, v73
	s_lshl_b32 s4, s4, 2
	s_lshl_b64 s[2:3], s[0:1], 2
	v_exp_f32_e32 v74, v74
	v_mul_f32_e32 v75, 0x3fb8aa3b, v75
	v_sub_f32_e32 v76, v76, v73
	s_add_u32 s10, s12, s2
	v_exp_f32_e32 v75, v75
	ds_read2_b32 v[80:81], v80 offset0:30 offset1:35
	v_mul_f32_e32 v76, 0x3fb8aa3b, v76
	v_sub_f32_e32 v77, v77, v73
	s_addc_u32 s11, s13, s3
	v_exp_f32_e32 v76, v76
	v_mul_f32_e32 v77, 0x3fb8aa3b, v77
	s_mov_b32 s21, s1
	s_add_u32 s8, s14, s2
	v_exp_f32_e32 v77, v77
	s_addc_u32 s9, s15, s3
	s_lshl_b64 s[2:3], s[20:21], 2
	v_fma_f32 v74, v74, v78, 0
	s_add_u32 s8, s8, s2
	v_fmac_f32_e32 v74, v75, v79
	s_addc_u32 s9, s9, s3
	s_waitcnt lgkmcnt(0)
	v_fmac_f32_e32 v74, v76, v80
	v_or_b32_e32 v71, s4, v71
	v_fmac_f32_e32 v74, v77, v81
	s_add_u32 s2, s10, s2
	v_mul_lo_u32 v76, s5, v71
	v_mov_b32_e32 v77, 0
	s_addc_u32 s3, s11, s3
	v_lshlrev_b64 v[76:77], 2, v[76:77]
	v_lshl_add_u64 v[78:79], s[8:9], 0, v[76:77]
	v_lshl_add_u64 v[76:77], s[2:3], 0, v[76:77]
	v_lshlrev_b32_e32 v70, 3, v70
	global_store_dword v[78:79], v73, off
	global_store_dword v[76:77], v74, off
	s_and_saveexec_b64 s[2:3], s[6:7]
	s_xor_b64 s[2:3], exec, s[2:3]
	s_cbranch_execz .LBB231_15
; %bb.14:
	s_mov_b32 s6, s1
	s_mov_b32 s7, s1
	s_waitcnt vmcnt(17)
	v_mad_u32_u24 v4, v1, 40, v70
	v_mov_b64_e32 v[2:3], s[6:7]
	ds_write2st64_b64 v4, v[2:3], v[2:3] offset1:5
                                        ; implicit-def: $vgpr67
                                        ; implicit-def: $vgpr69
                                        ; implicit-def: $vgpr43
                                        ; implicit-def: $vgpr27
                                        ; implicit-def: $vgpr3
                                        ; implicit-def: $vgpr7
                                        ; implicit-def: $vgpr11
                                        ; implicit-def: $vgpr15
                                        ; implicit-def: $vgpr19
                                        ; implicit-def: $vgpr23
                                        ; implicit-def: $vgpr59
                                        ; implicit-def: $vgpr63
                                        ; implicit-def: $vgpr31
                                        ; implicit-def: $vgpr35
                                        ; implicit-def: $vgpr39
                                        ; implicit-def: $vgpr47
                                        ; implicit-def: $vgpr51
                                        ; implicit-def: $vgpr55
                                        ; implicit-def: $vgpr72
                                        ; implicit-def: $vgpr73
                                        ; implicit-def: $vgpr74
                                        ; implicit-def: $vgpr70
.LBB231_15:
	s_andn2_saveexec_b64 s[2:3], s[2:3]
	s_cbranch_execz .LBB231_17
; %bb.16:
	v_add_f32_e32 v71, 0x358637bd, v74
	v_div_scale_f32 v74, s[6:7], v71, v71, 1.0
	v_rcp_f32_e32 v75, v74
	v_sub_f32_e32 v72, v72, v73
	v_mul_f32_e32 v72, 0x3fb8aa3b, v72
	v_exp_f32_e32 v72, v72
	v_fma_f32 v73, -v74, v75, 1.0
	v_fmac_f32_e32 v75, v73, v75
	v_div_scale_f32 v73, vcc, 1.0, v71, 1.0
	v_mul_f32_e32 v76, v73, v75
	v_fma_f32 v77, -v74, v76, v73
	v_fmac_f32_e32 v76, v77, v75
	v_fma_f32 v73, -v74, v76, v73
	v_div_fmas_f32 v73, v73, v75, v76
	v_div_fixup_f32 v71, v73, v71, 1.0
	v_mul_f32_e32 v72, v72, v71
	v_pk_mul_f32 v[66:67], v[66:67], v[72:73] op_sel_hi:[1,0]
	v_pk_mul_f32 v[68:69], v[68:69], v[72:73] op_sel_hi:[1,0]
	v_cvt_f16_f32_e32 v71, v66
	v_cvt_f16_f32_e32 v68, v68
	;; [unrolled: 1-line block ×4, first 2 shown]
	v_pack_b32_f16 v66, v68, v69
	v_pack_b32_f16 v67, v71, v67
	s_waitcnt vmcnt(5)
	s_nop 0
	v_mfma_f32_4x4x4_16b_f16 a[0:3], v[66:67], v[42:43], 0 cbsz:4
	s_nop 1
	v_mfma_f32_4x4x4_16b_f16 a[0:3], v[66:67], v[44:45], a[0:3] cbsz:4 abid:1
	s_waitcnt vmcnt(3)
	v_mfma_f32_4x4x4_16b_f16 a[4:7], v[66:67], v[58:59], 0 cbsz:4
	v_mfma_f32_4x4x4_16b_f16 a[0:3], v[66:67], v[26:27], a[0:3] cbsz:4 abid:2
	s_nop 0
	v_mfma_f32_4x4x4_16b_f16 a[4:7], v[66:67], v[60:61], a[4:7] cbsz:4 abid:1
	v_mfma_f32_4x4x4_16b_f16 a[0:3], v[66:67], v[28:29], a[0:3] cbsz:4 abid:3
	s_waitcnt vmcnt(2)
	v_mfma_f32_4x4x4_16b_f16 a[4:7], v[66:67], v[62:63], a[4:7] cbsz:4 abid:2
	v_mfma_f32_4x4x4_16b_f16 a[0:3], v[66:67], v[2:3], a[0:3] cbsz:4 abid:4
	s_nop 0
	v_mfma_f32_4x4x4_16b_f16 a[4:7], v[66:67], v[64:65], a[4:7] cbsz:4 abid:3
	v_mfma_f32_4x4x4_16b_f16 a[0:3], v[66:67], v[4:5], a[0:3] cbsz:4 abid:5
	s_nop 0
	;; [unrolled: 3-line block ×3, first 2 shown]
	v_mfma_f32_4x4x4_16b_f16 a[4:7], v[66:67], v[32:33], a[4:7] cbsz:4 abid:5
	v_mfma_f32_4x4x4_16b_f16 a[0:3], v[66:67], v[8:9], a[0:3] cbsz:4 abid:7
	v_mad_u32_u24 v9, v1, 40, v70
	v_mfma_f32_4x4x4_16b_f16 a[4:7], v[66:67], v[34:35], a[4:7] cbsz:4 abid:6
	v_mfma_f32_4x4x4_16b_f16 a[0:3], v[66:67], v[10:11], a[0:3] cbsz:4 abid:8
	s_nop 0
	v_mfma_f32_4x4x4_16b_f16 a[4:7], v[66:67], v[36:37], a[4:7] cbsz:4 abid:7
	v_mfma_f32_4x4x4_16b_f16 a[0:3], v[66:67], v[12:13], a[0:3] cbsz:4 abid:9
	s_nop 0
	;; [unrolled: 3-line block ×7, first 2 shown]
	v_mfma_f32_4x4x4_16b_f16 a[0:3], v[66:67], v[24:25], a[0:3] cbsz:4 abid:15
	s_nop 4
	v_accvgpr_read_b32 v2, a0
	v_accvgpr_read_b32 v3, a1
	;; [unrolled: 1-line block ×4, first 2 shown]
	v_mfma_f32_4x4x4_16b_f16 a[0:3], v[66:67], v[52:53], a[4:7] cbsz:4 abid:13
	v_cvt_f16_f32_e32 v2, v2
	v_cvt_f16_f32_e32 v3, v3
	v_mfma_f32_4x4x4_16b_f16 a[0:3], v[66:67], v[54:55], a[0:3] cbsz:4 abid:14
	v_pack_b32_f16 v2, v2, v3
	s_nop 0
	v_mfma_f32_4x4x4_16b_f16 a[0:3], v[66:67], v[56:57], a[0:3] cbsz:4 abid:15
	v_cvt_f16_f32_e32 v3, v4
	v_cvt_f16_f32_e32 v4, v5
	v_pack_b32_f16 v3, v3, v4
	s_nop 1
	v_accvgpr_read_b32 v5, a0
	v_accvgpr_read_b32 v6, a1
	;; [unrolled: 1-line block ×4, first 2 shown]
	v_cvt_f16_f32_e32 v5, v5
	v_cvt_f16_f32_e32 v6, v6
	;; [unrolled: 1-line block ×4, first 2 shown]
	v_pack_b32_f16 v4, v5, v6
	v_pack_b32_f16 v5, v7, v8
	ds_write2st64_b64 v9, v[2:3], v[4:5] offset1:5
.LBB231_17:
	s_or_b64 exec, exec, s[2:3]
	v_cmp_gt_u32_e32 vcc, 64, v0
	s_waitcnt lgkmcnt(0)
	s_barrier
	s_and_saveexec_b64 s[2:3], vcc
	s_cbranch_execz .LBB231_19
; %bb.18:
	s_waitcnt vmcnt(16)
	v_mul_u32_u24_e32 v6, 40, v1
	ds_read2_b64 v[2:5], v6 offset1:1
	ds_read2_b64 v[6:9], v6 offset0:2 offset1:3
	s_lshl_b32 s0, s0, 7
	s_lshl_b64 s[2:3], s[0:1], 1
	s_add_u32 s2, s22, s2
	s_waitcnt lgkmcnt(1)
	v_pk_add_f16 v2, v2, 0
	v_pk_add_f16 v3, v3, 0
	;; [unrolled: 1-line block ×4, first 2 shown]
	s_waitcnt lgkmcnt(0)
	v_pk_add_f16 v2, v2, v6
	v_pk_add_f16 v6, v3, v7
	s_waitcnt vmcnt(13)
	v_pk_add_f16 v10, v2, v8
	v_mov_b32_e32 v2, 0xa00
	v_mad_u32_u24 v2, v1, 40, v2
	ds_read2_b64 v[2:5], v2 offset1:1
	v_pk_add_f16 v11, v6, v9
	v_mov_b32_e32 v6, 0xa10
	v_mad_u32_u24 v1, v1, 40, v6
	ds_read2_b64 v[6:9], v1 offset1:1
	s_addc_u32 s3, s23, s3
	s_lshl_b32 s0, s20, 7
	s_lshl_b64 s[0:1], s[0:1], 1
	s_waitcnt lgkmcnt(1)
	v_pk_add_f16 v1, v2, 0
	v_pk_add_f16 v2, v3, 0
	s_add_u32 s0, s2, s0
	v_pk_add_f16 v2, v2, v5
	s_addc_u32 s1, s3, s1
	s_lshl_b32 s2, s5, 7
	s_waitcnt lgkmcnt(0)
	v_pk_add_f16 v2, v2, v7
	s_mul_i32 s3, s2, s4
	v_pk_add_f16 v13, v2, v9
	v_or_b32_e32 v2, s3, v0
	v_mov_b32_e32 v3, 0
	s_add_i32 s3, s3, s2
	v_pk_add_f16 v1, v1, v4
	v_lshl_add_u64 v[4:5], v[2:3], 1, s[0:1]
	v_or_b32_e32 v2, s3, v0
	s_add_i32 s3, s3, s2
	v_pk_add_f16 v1, v1, v6
	v_lshl_add_u64 v[6:7], v[2:3], 1, s[0:1]
	v_or_b32_e32 v2, s3, v0
	;; [unrolled: 4-line block ×3, first 2 shown]
	v_lshl_add_u64 v[0:1], v[2:3], 1, s[0:1]
	global_store_short v[4:5], v10, off
	global_store_short_d16_hi v[6:7], v10, off
	global_store_short v[8:9], v11, off
	global_store_short_d16_hi v[0:1], v11, off
	global_store_short v[4:5], v12, off offset:128
	global_store_short_d16_hi v[6:7], v12, off offset:128
	global_store_short v[8:9], v13, off offset:128
	global_store_short_d16_hi v[0:1], v13, off offset:128
.LBB231_19:
	s_endpgm
.LBB231_20:
	s_mov_b64 s[12:13], 0
                                        ; implicit-def: $sgpr30_sgpr31
	s_branch .LBB231_2
	.section	.rodata,"a",@progbits
	.p2align	6, 0x0
	.amdhsa_kernel _Z38paged_attention_ll4mi_QKV_mfma4_kernelIDF16_DF16_LN4vllm18Fp8KVCacheDataTypeE0EhLi16ELi128ELi256ELb0ELi4EEvPKT_PKT0_S7_ifPKiS9_S9_iPKfiiiPfSC_PS2_PT2_iSB_SB_
		.amdhsa_group_segment_fixed_size 5280
		.amdhsa_private_segment_fixed_size 0
		.amdhsa_kernarg_size 400
		.amdhsa_user_sgpr_count 2
		.amdhsa_user_sgpr_dispatch_ptr 0
		.amdhsa_user_sgpr_queue_ptr 0
		.amdhsa_user_sgpr_kernarg_segment_ptr 1
		.amdhsa_user_sgpr_dispatch_id 0
		.amdhsa_user_sgpr_kernarg_preload_length 0
		.amdhsa_user_sgpr_kernarg_preload_offset 0
		.amdhsa_user_sgpr_private_segment_size 0
		.amdhsa_uses_dynamic_stack 0
		.amdhsa_enable_private_segment 0
		.amdhsa_system_sgpr_workgroup_id_x 1
		.amdhsa_system_sgpr_workgroup_id_y 1
		.amdhsa_system_sgpr_workgroup_id_z 1
		.amdhsa_system_sgpr_workgroup_info 0
		.amdhsa_system_vgpr_workitem_id 0
		.amdhsa_next_free_vgpr 104
		.amdhsa_next_free_sgpr 38
		.amdhsa_accum_offset 96
		.amdhsa_reserve_vcc 1
		.amdhsa_float_round_mode_32 0
		.amdhsa_float_round_mode_16_64 0
		.amdhsa_float_denorm_mode_32 3
		.amdhsa_float_denorm_mode_16_64 3
		.amdhsa_dx10_clamp 1
		.amdhsa_ieee_mode 1
		.amdhsa_fp16_overflow 0
		.amdhsa_tg_split 0
		.amdhsa_exception_fp_ieee_invalid_op 0
		.amdhsa_exception_fp_denorm_src 0
		.amdhsa_exception_fp_ieee_div_zero 0
		.amdhsa_exception_fp_ieee_overflow 0
		.amdhsa_exception_fp_ieee_underflow 0
		.amdhsa_exception_fp_ieee_inexact 0
		.amdhsa_exception_int_div_zero 0
	.end_amdhsa_kernel
	.section	.text._Z38paged_attention_ll4mi_QKV_mfma4_kernelIDF16_DF16_LN4vllm18Fp8KVCacheDataTypeE0EhLi16ELi128ELi256ELb0ELi4EEvPKT_PKT0_S7_ifPKiS9_S9_iPKfiiiPfSC_PS2_PT2_iSB_SB_,"axG",@progbits,_Z38paged_attention_ll4mi_QKV_mfma4_kernelIDF16_DF16_LN4vllm18Fp8KVCacheDataTypeE0EhLi16ELi128ELi256ELb0ELi4EEvPKT_PKT0_S7_ifPKiS9_S9_iPKfiiiPfSC_PS2_PT2_iSB_SB_,comdat
.Lfunc_end231:
	.size	_Z38paged_attention_ll4mi_QKV_mfma4_kernelIDF16_DF16_LN4vllm18Fp8KVCacheDataTypeE0EhLi16ELi128ELi256ELb0ELi4EEvPKT_PKT0_S7_ifPKiS9_S9_iPKfiiiPfSC_PS2_PT2_iSB_SB_, .Lfunc_end231-_Z38paged_attention_ll4mi_QKV_mfma4_kernelIDF16_DF16_LN4vllm18Fp8KVCacheDataTypeE0EhLi16ELi128ELi256ELb0ELi4EEvPKT_PKT0_S7_ifPKiS9_S9_iPKfiiiPfSC_PS2_PT2_iSB_SB_
                                        ; -- End function
	.section	.AMDGPU.csdata,"",@progbits
; Kernel info:
; codeLenInByte = 3856
; NumSgprs: 44
; NumVgprs: 95
; NumAgprs: 8
; TotalNumVgprs: 104
; ScratchSize: 0
; MemoryBound: 0
; FloatMode: 240
; IeeeMode: 1
; LDSByteSize: 5280 bytes/workgroup (compile time only)
; SGPRBlocks: 5
; VGPRBlocks: 12
; NumSGPRsForWavesPerEU: 44
; NumVGPRsForWavesPerEU: 104
; AccumOffset: 96
; Occupancy: 4
; WaveLimiterHint : 1
; COMPUTE_PGM_RSRC2:SCRATCH_EN: 0
; COMPUTE_PGM_RSRC2:USER_SGPR: 2
; COMPUTE_PGM_RSRC2:TRAP_HANDLER: 0
; COMPUTE_PGM_RSRC2:TGID_X_EN: 1
; COMPUTE_PGM_RSRC2:TGID_Y_EN: 1
; COMPUTE_PGM_RSRC2:TGID_Z_EN: 1
; COMPUTE_PGM_RSRC2:TIDIG_COMP_CNT: 0
; COMPUTE_PGM_RSRC3_GFX90A:ACCUM_OFFSET: 23
; COMPUTE_PGM_RSRC3_GFX90A:TG_SPLIT: 0
	.section	.text._Z39paged_attention_ll4mi_QKV_mfma16_kernelIDF16_DF16_LN4vllm18Fp8KVCacheDataTypeE0EhLi16ELi128ELi256ELb0ELi5EEvPKT_PKT0_S7_ifPKiS9_S9_iPKfiiiPfSC_PS2_PT2_iSB_SB_,"axG",@progbits,_Z39paged_attention_ll4mi_QKV_mfma16_kernelIDF16_DF16_LN4vllm18Fp8KVCacheDataTypeE0EhLi16ELi128ELi256ELb0ELi5EEvPKT_PKT0_S7_ifPKiS9_S9_iPKfiiiPfSC_PS2_PT2_iSB_SB_,comdat
	.protected	_Z39paged_attention_ll4mi_QKV_mfma16_kernelIDF16_DF16_LN4vllm18Fp8KVCacheDataTypeE0EhLi16ELi128ELi256ELb0ELi5EEvPKT_PKT0_S7_ifPKiS9_S9_iPKfiiiPfSC_PS2_PT2_iSB_SB_ ; -- Begin function _Z39paged_attention_ll4mi_QKV_mfma16_kernelIDF16_DF16_LN4vllm18Fp8KVCacheDataTypeE0EhLi16ELi128ELi256ELb0ELi5EEvPKT_PKT0_S7_ifPKiS9_S9_iPKfiiiPfSC_PS2_PT2_iSB_SB_
	.globl	_Z39paged_attention_ll4mi_QKV_mfma16_kernelIDF16_DF16_LN4vllm18Fp8KVCacheDataTypeE0EhLi16ELi128ELi256ELb0ELi5EEvPKT_PKT0_S7_ifPKiS9_S9_iPKfiiiPfSC_PS2_PT2_iSB_SB_
	.p2align	8
	.type	_Z39paged_attention_ll4mi_QKV_mfma16_kernelIDF16_DF16_LN4vllm18Fp8KVCacheDataTypeE0EhLi16ELi128ELi256ELb0ELi5EEvPKT_PKT0_S7_ifPKiS9_S9_iPKfiiiPfSC_PS2_PT2_iSB_SB_,@function
_Z39paged_attention_ll4mi_QKV_mfma16_kernelIDF16_DF16_LN4vllm18Fp8KVCacheDataTypeE0EhLi16ELi128ELi256ELb0ELi5EEvPKT_PKT0_S7_ifPKiS9_S9_iPKfiiiPfSC_PS2_PT2_iSB_SB_: ; @_Z39paged_attention_ll4mi_QKV_mfma16_kernelIDF16_DF16_LN4vllm18Fp8KVCacheDataTypeE0EhLi16ELi128ELi256ELb0ELi5EEvPKT_PKT0_S7_ifPKiS9_S9_iPKfiiiPfSC_PS2_PT2_iSB_SB_
; %bb.0:
	s_load_dwordx2 s[8:9], s[0:1], 0x30
	s_mov_b32 s26, s3
	s_mov_b64 s[6:7], 0
	s_waitcnt lgkmcnt(0)
	s_cmp_lg_u64 s[8:9], 0
	s_cselect_b64 s[10:11], -1, 0
	s_and_b64 vcc, exec, s[10:11]
	s_cbranch_vccz .LBB232_7
; %bb.1:
	s_add_i32 s12, s2, 1
	s_mov_b32 s13, 0
	s_lshl_b64 s[14:15], s[12:13], 2
	s_add_u32 s14, s8, s14
	s_mov_b32 s3, s13
	s_addc_u32 s15, s9, s15
	s_lshl_b64 s[12:13], s[2:3], 2
	s_add_u32 s12, s8, s12
	s_addc_u32 s13, s9, s13
	s_load_dword s5, s[14:15], 0x0
	s_load_dword s16, s[12:13], 0x0
	s_waitcnt lgkmcnt(0)
	s_sub_i32 s5, s5, s16
	s_cmp_eq_u32 s5, 1
	s_cselect_b64 s[12:13], -1, 0
	s_andn2_b64 vcc, exec, s[6:7]
	s_cbranch_vccnz .LBB232_3
.LBB232_2:
	s_mov_b32 s3, 0
	s_mov_b64 s[12:13], -1
.LBB232_3:
	s_andn2_b64 vcc, exec, s[12:13]
	s_cbranch_vccnz .LBB232_18
; %bb.4:
	s_load_dwordx2 s[6:7], s[0:1], 0x28
	s_lshl_b64 s[16:17], s[2:3], 2
	s_waitcnt lgkmcnt(0)
	s_add_u32 s6, s6, s16
	s_addc_u32 s7, s7, s17
	s_load_dword s33, s[6:7], 0x0
	s_lshl_b32 s18, s26, 8
	s_waitcnt lgkmcnt(0)
	s_cmp_ge_i32 s18, s33
	s_cbranch_scc1 .LBB232_18
; %bb.5:
	s_load_dwordx2 s[6:7], s[0:1], 0x20
	s_load_dword s5, s[0:1], 0x38
	s_add_i32 s12, s33, 15
	s_ashr_i32 s13, s12, 31
	v_and_b32_e32 v1, 0xcf, v0
	s_lshr_b32 s13, s13, 28
	v_add_u32_e32 v1, s18, v1
	s_add_i32 s12, s12, s13
	v_ashrrev_i32_e32 v2, 31, v1
	s_ashr_i32 s19, s12, 4
	v_lshrrev_b32_e32 v4, 28, v2
	s_add_i32 s19, s19, -1
	s_waitcnt lgkmcnt(0)
	s_mul_i32 s12, s2, s5
	s_mov_b32 s13, 0
	v_add_u32_e32 v2, v1, v4
	s_lshl_b64 s[12:13], s[12:13], 2
	v_ashrrev_i32_e32 v2, 4, v2
	v_mov_b32_e32 v5, s19
	v_cmp_gt_i32_e32 vcc, s33, v1
	s_add_u32 s6, s6, s12
	s_addc_u32 s7, s7, s13
	v_cndmask_b32_e32 v2, v5, v2, vcc
	v_ashrrev_i32_e32 v3, 31, v2
	v_lshl_add_u64 v[6:7], v[2:3], 2, s[6:7]
	v_or_b32_e32 v2, 16, v1
	v_add_u32_e32 v3, v2, v4
	v_ashrrev_i32_e32 v3, 4, v3
	v_cmp_gt_i32_e32 vcc, s33, v2
	s_load_dwordx4 s[12:15], s[0:1], 0x8
	s_nop 0
	v_cndmask_b32_e32 v2, v5, v3, vcc
	v_ashrrev_i32_e32 v3, 31, v2
	v_lshl_add_u64 v[8:9], v[2:3], 2, s[6:7]
	v_or_b32_e32 v2, 32, v1
	v_add_u32_e32 v3, v2, v4
	v_ashrrev_i32_e32 v3, 4, v3
	v_cmp_gt_i32_e32 vcc, s33, v2
	v_or_b32_e32 v1, 48, v1
	s_nop 0
	v_cndmask_b32_e32 v2, v5, v3, vcc
	v_ashrrev_i32_e32 v3, 31, v2
	v_lshl_add_u64 v[10:11], v[2:3], 2, s[6:7]
	v_add_u32_e32 v2, v1, v4
	v_ashrrev_i32_e32 v2, 4, v2
	v_cmp_gt_i32_e32 vcc, s33, v1
	s_nop 1
	v_cndmask_b32_e32 v2, v5, v2, vcc
	v_ashrrev_i32_e32 v3, 31, v2
	v_lshl_add_u64 v[12:13], v[2:3], 2, s[6:7]
	global_load_dword v4, v[6:7], off
	global_load_dword v3, v[8:9], off
	;; [unrolled: 1-line block ×4, first 2 shown]
	s_andn2_b64 vcc, exec, s[10:11]
	s_cbranch_vccnz .LBB232_8
; %bb.6:
	s_add_u32 s8, s8, s16
	s_addc_u32 s9, s9, s17
	s_load_dword s5, s[8:9], 0x0
	s_branch .LBB232_9
.LBB232_7:
	s_mov_b64 s[12:13], 0
	s_branch .LBB232_2
.LBB232_8:
	s_mov_b32 s5, s2
.LBB232_9:
	s_load_dwordx4 s[8:11], s[0:1], 0x48
	v_lshrrev_b32_e32 v77, 6, v0
	v_bfe_u32 v86, v0, 4, 2
	v_and_b32_e32 v76, 15, v0
	v_lshl_or_b32 v1, v77, 2, v86
	v_lshlrev_b32_e32 v5, 3, v76
	v_and_b32_e32 v87, 63, v0
	s_mul_i32 s40, s4, 5
	v_cmp_gt_u32_e32 vcc, 5, v1
	v_lshlrev_b32_e32 v74, 1, v5
	s_and_saveexec_b64 s[16:17], vcc
	s_cbranch_execz .LBB232_11
; %bb.10:
	s_load_dwordx2 s[20:21], s[0:1], 0x0
	s_waitcnt lgkmcnt(0)
	s_ashr_i32 s11, s8, 31
	s_mul_hi_u32 s22, s5, s8
	s_mul_i32 s11, s5, s11
	s_add_i32 s23, s22, s11
	s_mul_i32 s22, s5, s8
	s_lshl_b64 s[22:23], s[22:23], 1
	s_add_u32 s20, s20, s22
	v_add_lshl_u32 v6, v1, s40, 7
	s_addc_u32 s21, s21, s23
	v_ashrrev_i32_e32 v7, 31, v6
	v_lshl_add_u64 v[6:7], v[6:7], 1, s[20:21]
	v_mov_b32_e32 v75, 0
	v_lshl_add_u64 v[6:7], v[6:7], 0, v[74:75]
	global_load_dwordx4 v[6:9], v[6:7], off
	v_and_b32_e32 v5, 3, v0
	v_lshlrev_b32_e32 v10, 9, v76
	v_lshlrev_b32_e32 v1, 5, v1
	;; [unrolled: 1-line block ×3, first 2 shown]
	v_and_b32_e32 v10, 0x1800, v10
	v_or3_b32 v1, v10, v5, v1
	s_waitcnt vmcnt(0)
	ds_write_b128 v1, v[6:9]
.LBB232_11:
	s_or_b64 exec, exec, s[16:17]
	s_waitcnt lgkmcnt(0)
	s_mul_i32 s4, s4, s10
	s_mov_b32 s5, 0
	s_lshl_b64 s[4:5], s[4:5], 1
	s_add_u32 s10, s12, s4
	v_lshlrev_b32_e32 v1, 4, v0
	s_addc_u32 s11, s13, s5
	v_and_b32_e32 v34, 0xf0, v1
	v_mov_b32_e32 v35, 0
	v_lshl_add_u64 v[30:31], s[10:11], 0, v[34:35]
	s_waitcnt vmcnt(3)
	v_mad_i64_i32 v[4:5], s[10:11], v4, s9, 0
	v_lshl_add_u64 v[4:5], v[4:5], 1, v[30:31]
	v_and_b32_e32 v34, 0x300, v1
	v_lshl_add_u64 v[32:33], v[4:5], 0, v[34:35]
	s_load_dword s27, s[0:1], 0x98
	s_load_dword s8, s[0:1], 0x1c
	s_waitcnt lgkmcnt(0)
	s_barrier
	global_load_dwordx4 v[6:9], v[32:33], off
	global_load_dwordx4 v[18:21], v[32:33], off offset:1024
	s_waitcnt vmcnt(4)
	v_mad_i64_i32 v[4:5], s[10:11], v3, s9, 0
	s_waitcnt vmcnt(3)
	v_mad_i64_i32 v[2:3], s[10:11], v2, s9, 0
	v_lshl_add_u64 v[4:5], v[4:5], 1, v[30:31]
	v_lshl_add_u64 v[2:3], v[2:3], 1, v[30:31]
	;; [unrolled: 1-line block ×4, first 2 shown]
	global_load_dwordx4 v[14:17], v[36:37], off
	global_load_dwordx4 v[22:25], v[36:37], off offset:1024
	global_load_dwordx4 v[26:29], v[38:39], off
	global_load_dwordx4 v[46:49], v[38:39], off offset:1024
	v_mul_lo_u16_e32 v2, 52, v76
	v_mov_b32_e32 v3, 5
	v_mul_lo_u16_sdwa v2, v2, v3 dst_sel:DWORD dst_unused:UNUSED_PAD src0_sel:BYTE_1 src1_sel:DWORD
	v_sub_u16_e32 v2, v76, v2
	v_lshlrev_b32_sdwa v2, v3, v2 dst_sel:DWORD dst_unused:UNUSED_PAD src0_sel:DWORD src1_sel:BYTE_0
	v_lshl_add_u32 v41, v86, 9, v2
	ds_read_b128 v[10:13], v41
	ds_read_b128 v[2:5], v41 offset:2048
	global_load_dwordx4 v[54:57], v[32:33], off offset:2048
	global_load_dwordx4 v[62:65], v[36:37], off offset:2048
	v_mov_b32_e32 v70, s19
	s_add_u32 s4, s14, s4
	s_addc_u32 s5, s15, s5
	s_mov_b32 s41, 0xff7fffff
	s_waitcnt vmcnt(7) lgkmcnt(1)
	v_mfma_f32_16x16x16_f16 v[42:45], v[6:7], v[10:11], 0
	v_mfma_f32_16x16x16_f16 v[6:9], v[8:9], v[12:13], v[42:45]
	s_nop 5
	global_load_dwordx4 v[42:45], v[38:39], off offset:2048
	s_waitcnt vmcnt(6)
	v_mfma_f32_16x16x16_f16 v[50:53], v[14:15], v[10:11], 0
	s_waitcnt vmcnt(4)
	v_mfma_f32_16x16x16_f16 v[58:61], v[26:27], v[10:11], 0
	v_mfma_f32_16x16x16_f16 v[14:17], v[16:17], v[12:13], v[50:53]
	;; [unrolled: 1-line block ×3, first 2 shown]
	s_nop 2
	global_load_dwordx4 v[50:53], v[32:33], off offset:3072
	v_mad_i64_i32 v[32:33], s[10:11], v40, s9, 0
	s_waitcnt lgkmcnt(0)
	v_mfma_f32_16x16x16_f16 v[6:9], v[18:19], v[2:3], v[6:9]
	v_and_or_b32 v40, v0, 48, s18
	v_ashrrev_i32_e32 v58, 4, v40
	v_cmp_gt_i32_e32 vcc, s33, v40
	v_mfma_f32_16x16x16_f16 v[14:17], v[22:23], v[2:3], v[14:17]
	v_or_b32_e32 v66, 64, v40
	v_cndmask_b32_e32 v22, v70, v58, vcc
	v_ashrrev_i32_e32 v23, 31, v22
	s_waitcnt vmcnt(4)
	v_mfma_f32_16x16x16_f16 v[26:29], v[46:47], v[2:3], v[26:29]
	v_or_b32_e32 v71, 0x80, v40
	v_or_b32_e32 v72, 0xc0, v40
	v_ashrrev_i32_e32 v40, 4, v66
	v_mfma_f32_16x16x16_f16 v[6:9], v[20:21], v[4:5], v[6:9]
	global_load_dwordx4 v[18:21], v[38:39], off offset:3072
	v_cmp_gt_i32_e32 vcc, s33, v66
	v_lshl_add_u64 v[22:23], v[22:23], 2, s[6:7]
	global_load_dwordx4 v[58:61], v[36:37], off offset:3072
	v_cndmask_b32_e32 v36, v70, v40, vcc
	v_mfma_f32_16x16x16_f16 v[14:17], v[24:25], v[4:5], v[14:17]
	global_load_dword v78, v[22:23], off
	ds_read_b128 v[66:69], v41 offset:4096
	v_ashrrev_i32_e32 v37, 31, v36
	v_mfma_f32_16x16x16_f16 v[22:25], v[48:49], v[4:5], v[26:29]
	v_ashrrev_i32_e32 v73, 4, v71
	v_cmp_gt_i32_e32 vcc, s33, v71
	v_ashrrev_i32_e32 v75, 4, v72
	v_lshl_add_u64 v[26:27], v[32:33], 1, v[30:31]
	v_lshl_add_u64 v[26:27], v[26:27], 0, v[34:35]
	;; [unrolled: 1-line block ×3, first 2 shown]
	global_load_dwordx4 v[46:49], v[26:27], off
	global_load_dword v36, v[28:29], off
	s_waitcnt vmcnt(8) lgkmcnt(0)
	v_mfma_f32_16x16x16_f16 v[6:9], v[54:55], v[66:67], v[6:9]
	v_cndmask_b32_e32 v28, v70, v73, vcc
	v_ashrrev_i32_e32 v29, 31, v28
	v_lshl_add_u64 v[28:29], v[28:29], 2, s[6:7]
	v_mfma_f32_16x16x16_f16 v[6:9], v[56:57], v[68:69], v[6:9]
	global_load_dwordx4 v[54:57], v[26:27], off offset:1024
	v_cmp_gt_i32_e32 vcc, s33, v72
	global_load_dword v82, v[28:29], off
	ds_read_b128 v[38:41], v41 offset:6144
	v_cndmask_b32_e32 v28, v70, v75, vcc
	v_ashrrev_i32_e32 v29, 31, v28
	v_lshl_add_u64 v[28:29], v[28:29], 2, s[6:7]
	global_load_dword v83, v[28:29], off
	s_waitcnt vmcnt(10)
	v_mfma_f32_16x16x16_f16 v[14:17], v[62:63], v[66:67], v[14:17]
	v_lshl_or_b32 v75, v77, 4, v76
	v_lshlrev_b32_e32 v34, 5, v75
	v_lshl_add_u64 v[62:63], s[4:5], 0, v[34:35]
	v_mfma_f32_16x16x16_f16 v[14:17], v[64:65], v[68:69], v[14:17]
	v_or_b32_e32 v34, 0x800, v34
	global_load_dwordx4 v[70:73], v[26:27], off offset:3072
	s_waitcnt vmcnt(10)
	v_mfma_f32_16x16x16_f16 v[22:25], v[42:43], v[66:67], v[22:25]
	v_mfma_f32_16x16x16_f16 v[22:25], v[44:45], v[68:69], v[22:25]
	global_load_dwordx4 v[42:45], v[26:27], off offset:2048
	s_waitcnt vmcnt(10) lgkmcnt(0)
	v_mfma_f32_16x16x16_f16 v[6:9], v[50:51], v[38:39], v[6:9]
	s_waitcnt vmcnt(9)
	v_mfma_f32_16x16x16_f16 v[22:25], v[18:19], v[38:39], v[22:25]
	s_waitcnt vmcnt(7)
	v_mad_i64_i32 v[18:19], s[6:7], v78, s9, 0
	v_lshlrev_b64 v[64:65], 1, v[18:19]
	v_mfma_f32_16x16x16_f16 v[78:81], v[52:53], v[40:41], v[6:9]
	s_nop 2
	v_lshl_add_u64 v[6:7], v[62:63], 0, v[64:65]
	global_load_dwordx4 v[30:33], v[6:7], off
	global_load_dwordx4 v[26:29], v[6:7], off offset:16
	v_mfma_f32_16x16x16_f16 v[92:95], v[20:21], v[40:41], v[22:25]
	s_waitcnt vmcnt(7)
	v_mad_i64_i32 v[6:7], s[6:7], v36, s9, 0
	v_lshlrev_b64 v[36:37], 1, v[6:7]
	v_lshl_add_u64 v[6:7], v[62:63], 0, v[36:37]
	global_load_dwordx4 v[22:25], v[6:7], off
	global_load_dwordx4 v[18:21], v[6:7], off offset:16
	v_mfma_f32_16x16x16_f16 v[6:9], v[46:47], v[10:11], 0
	s_waitcnt vmcnt(7)
	v_mad_i64_i32 v[10:11], s[6:7], v82, s9, 0
	v_mfma_f32_16x16x16_f16 v[6:9], v[48:49], v[12:13], v[6:9]
	v_lshlrev_b64 v[50:51], 1, v[10:11]
	v_lshl_add_u64 v[10:11], v[62:63], 0, v[50:51]
	v_mfma_f32_16x16x16_f16 v[6:9], v[54:55], v[2:3], v[6:9]
	s_waitcnt vmcnt(6)
	v_mad_i64_i32 v[2:3], s[6:7], v83, s9, 0
	v_pk_mul_f32 v[82:83], s[8:9], v[80:81] op_sel_hi:[0,1]
	v_mfma_f32_16x16x16_f16 v[46:49], v[56:57], v[4:5], v[6:9]
	v_pk_mul_f32 v[80:81], s[8:9], v[92:93] op_sel_hi:[0,1]
	v_mfma_f32_16x16x16_f16 v[14:17], v[58:59], v[38:39], v[14:17]
	v_lshlrev_b64 v[58:59], 1, v[2:3]
	v_lshl_add_u64 v[2:3], v[62:63], 0, v[58:59]
	v_lshl_add_u64 v[62:63], s[4:5], 0, v[34:35]
	v_mfma_f32_16x16x16_f16 v[88:91], v[60:61], v[40:41], v[14:17]
	v_pk_mul_f32 v[60:61], s[8:9], v[78:79] op_sel_hi:[0,1]
	v_pk_mul_f32 v[78:79], s[8:9], v[94:95] op_sel_hi:[0,1]
	v_lshl_add_u64 v[34:35], v[62:63], 0, v[64:65]
	s_waitcnt vmcnt(4)
	v_mfma_f32_16x16x16_f16 v[46:49], v[42:43], v[66:67], v[46:49]
	s_nop 1
	v_pk_mul_f32 v[84:85], s[8:9], v[90:91] op_sel_hi:[0,1]
	global_load_dwordx4 v[14:17], v[10:11], off
	s_nop 0
	global_load_dwordx4 v[10:13], v[10:11], off offset:16
	s_nop 0
	global_load_dwordx4 v[6:9], v[2:3], off
	s_nop 0
	global_load_dwordx4 v[2:5], v[2:3], off offset:16
	v_mfma_f32_16x16x16_f16 v[42:45], v[44:45], v[68:69], v[46:49]
	v_lshl_add_u64 v[50:51], v[62:63], 0, v[50:51]
	v_lshl_add_u64 v[58:59], v[62:63], 0, v[58:59]
	v_mfma_f32_16x16x16_f16 v[42:45], v[70:71], v[38:39], v[42:45]
	v_pk_mul_f32 v[70:71], s[8:9], v[88:89] op_sel_hi:[0,1]
	v_mfma_f32_16x16x16_f16 v[38:41], v[72:73], v[40:41], v[42:45]
	s_nop 6
	v_pk_mul_f32 v[72:73], s[8:9], v[38:39] op_sel_hi:[0,1]
	v_and_b32_e32 v38, 0xc0, v0
	v_add_u32_e32 v38, s18, v38
	v_lshl_or_b32 v38, v86, 2, v38
	v_pk_mul_f32 v[66:67], s[8:9], v[40:41] op_sel_hi:[0,1]
	v_or_b32_e32 v41, 1, v38
	v_mov_b32_e32 v39, 0xff7fffff
	v_cmp_gt_i32_e64 s[28:29], s33, v38
	v_cmp_gt_i32_e64 s[30:31], s33, v41
	v_or_b32_e32 v42, 3, v38
	v_cndmask_b32_e64 v40, v39, v60, s[28:29]
	v_cndmask_b32_e64 v41, v39, v61, s[30:31]
	v_max3_f32 v40, v40, s41, v41
	v_or_b32_e32 v41, 2, v38
	v_cmp_gt_i32_e64 s[34:35], s33, v41
	v_cmp_gt_i32_e64 s[36:37], s33, v42
	s_nop 0
	v_cndmask_b32_e64 v41, v39, v82, s[34:35]
	v_cndmask_b32_e64 v42, v39, v83, s[36:37]
	v_max3_f32 v40, v40, v41, v42
	v_or_b32_e32 v41, 16, v38
	v_or_b32_e32 v42, 17, v38
	v_cmp_gt_i32_e64 s[22:23], s33, v41
	v_cmp_gt_i32_e64 s[24:25], s33, v42
	s_nop 0
	v_cndmask_b32_e64 v41, v39, v70, s[22:23]
	v_cndmask_b32_e64 v42, v39, v71, s[24:25]
	v_max3_f32 v40, v40, v41, v42
	v_or_b32_e32 v41, 18, v38
	;; [unrolled: 8-line block ×6, first 2 shown]
	v_or_b32_e32 v38, 51, v38
	v_cmp_gt_i32_e32 vcc, s33, v41
	v_cmp_gt_i32_e64 s[4:5], s33, v38
	s_nop 0
	v_cndmask_b32_e32 v41, v39, v66, vcc
	v_cndmask_b32_e64 v38, v39, v67, s[4:5]
	v_max3_f32 v52, v40, v41, v38
	v_mbcnt_lo_u32_b32 v38, -1, 0
	v_mbcnt_hi_u32_b32 v53, -1, v38
	v_and_b32_e32 v38, 64, v53
	v_add_u32_e32 v54, 64, v38
	v_xor_b32_e32 v38, 32, v53
	v_cmp_lt_i32_e64 s[38:39], v38, v54
	s_nop 1
	v_cndmask_b32_e64 v38, v53, v38, s[38:39]
	v_lshlrev_b32_e32 v89, 2, v38
	ds_bpermute_b32 v55, v89, v52
	global_load_dwordx4 v[46:49], v[34:35], off
	global_load_dwordx4 v[38:41], v[34:35], off offset:16
	v_lshl_add_u64 v[34:35], v[62:63], 0, v[36:37]
	global_load_dwordx4 v[42:45], v[34:35], off
	s_nop 0
	global_load_dwordx4 v[34:37], v[34:35], off offset:16
	s_waitcnt lgkmcnt(0)
	v_max_f32_e32 v55, v55, v55
	v_max_f32_e32 v64, v52, v55
	v_xor_b32_e32 v52, 16, v53
	v_cmp_lt_i32_e64 s[38:39], v52, v54
	s_nop 1
	v_cndmask_b32_e64 v52, v53, v52, s[38:39]
	v_lshlrev_b32_e32 v90, 2, v52
	ds_bpermute_b32 v65, v90, v64
	global_load_dwordx4 v[54:57], v[50:51], off
	s_nop 0
	global_load_dwordx4 v[50:53], v[50:51], off offset:16
	s_waitcnt lgkmcnt(0)
	v_max_f32_e32 v62, v65, v65
	v_max_f32_e32 v88, v64, v62
	v_sub_f32_e32 v60, v60, v88
	v_mul_f32_e32 v60, 0x3fb8aa3b, v60
	v_exp_f32_e32 v68, v60
	v_sub_f32_e32 v60, v61, v88
	v_mul_f32_e32 v60, 0x3fb8aa3b, v60
	v_exp_f32_e32 v69, v60
	global_load_dwordx4 v[62:65], v[58:59], off
	s_nop 0
	global_load_dwordx4 v[58:61], v[58:59], off offset:16
	v_sub_f32_e32 v82, v82, v88
	v_mul_f32_e32 v82, 0x3fb8aa3b, v82
	v_sub_f32_e32 v83, v83, v88
	v_exp_f32_e32 v82, v82
	v_mul_f32_e32 v83, 0x3fb8aa3b, v83
	v_sub_f32_e32 v70, v70, v88
	v_exp_f32_e32 v83, v83
	v_mul_f32_e32 v70, 0x3fb8aa3b, v70
	v_sub_f32_e32 v71, v71, v88
	v_cndmask_b32_e64 v68, 0, v68, s[28:29]
	v_exp_f32_e32 v70, v70
	v_mul_f32_e32 v71, 0x3fb8aa3b, v71
	v_sub_f32_e32 v84, v84, v88
	v_add_f32_e32 v91, 0, v68
	v_cndmask_b32_e64 v69, 0, v69, s[30:31]
	v_exp_f32_e32 v71, v71
	v_mul_f32_e32 v84, 0x3fb8aa3b, v84
	v_sub_f32_e32 v85, v85, v88
	v_add_f32_e32 v91, v91, v69
	;; [unrolled: 5-line block ×10, first 2 shown]
	v_cndmask_b32_e64 v78, 0, v78, s[10:11]
	v_exp_f32_e32 v66, v66
	v_mul_f32_e32 v67, 0x3fb8aa3b, v67
	v_add_f32_e32 v91, v91, v78
	v_cndmask_b32_e64 v79, 0, v79, s[12:13]
	v_exp_f32_e32 v67, v67
	v_add_f32_e32 v91, v91, v79
	v_cndmask_b32_e64 v72, 0, v72, s[6:7]
	v_add_f32_e32 v91, v91, v72
	v_cndmask_b32_e64 v73, 0, v73, s[8:9]
	v_add_f32_e32 v91, v91, v73
	v_cndmask_b32_e32 v66, 0, v66, vcc
	v_add_f32_e32 v91, v91, v66
	v_cndmask_b32_e64 v67, 0, v67, s[4:5]
	v_add_f32_e32 v91, v91, v67
	ds_bpermute_b32 v89, v89, v91
	v_cmp_gt_u32_e64 s[4:5], 16, v87
	s_waitcnt lgkmcnt(0)
	s_barrier
	v_add_f32_e32 v89, v91, v89
	ds_bpermute_b32 v90, v90, v89
	s_and_saveexec_b64 s[6:7], s[4:5]
	s_cbranch_execz .LBB232_13
; %bb.12:
	s_waitcnt lgkmcnt(0)
	v_add_f32_e32 v87, v89, v90
	v_lshlrev_b32_e32 v75, 2, v75
	ds_write2st64_b32 v75, v88, v87 offset1:1
.LBB232_13:
	s_or_b64 exec, exec, s[6:7]
	v_lshlrev_b32_e32 v75, 2, v76
	s_load_dword s8, s[0:1], 0x94
	s_waitcnt lgkmcnt(0)
	s_barrier
	ds_read2_b32 v[88:89], v75 offset1:16
	ds_read2_b32 v[90:91], v75 offset0:32 offset1:48
	ds_read2_b32 v[92:93], v75 offset0:64 offset1:80
	;; [unrolled: 1-line block ×3, first 2 shown]
	s_waitcnt lgkmcnt(0)
	v_max3_f32 v87, v88, s41, v89
	v_max3_f32 v87, v87, v90, v91
	v_sub_f32_e32 v88, v88, v87
	v_mul_f32_e32 v88, 0x3fb8aa3b, v88
	v_exp_f32_e32 v1, v88
	v_sub_f32_e32 v88, v89, v87
	v_mul_f32_e32 v88, 0x3fb8aa3b, v88
	v_exp_f32_e32 v89, v88
	v_sub_f32_e32 v88, v90, v87
	v_mul_f32_e32 v88, 0x3fb8aa3b, v88
	v_sub_f32_e32 v75, v91, v87
	v_exp_f32_e32 v90, v88
	v_mul_f32_e32 v75, 0x3fb8aa3b, v75
	v_exp_f32_e32 v75, v75
	v_fma_f32 v88, v1, v92, 0
	v_fmac_f32_e32 v88, v89, v93
	v_fmac_f32_e32 v88, v90, v94
	;; [unrolled: 1-line block ×3, first 2 shown]
	v_add_f32_e32 v91, 0x358637bd, v88
	v_div_scale_f32 v92, s[6:7], v91, v91, 1.0
	v_rcp_f32_e32 v93, v92
	s_barrier
	s_mul_i32 s9, s27, 5
	v_fma_f32 v94, -v92, v93, 1.0
	v_fmac_f32_e32 v93, v94, v93
	v_div_scale_f32 v94, vcc, 1.0, v91, 1.0
	v_mul_f32_e32 v95, v94, v93
	v_fma_f32 v86, -v92, v95, v94
	v_fmac_f32_e32 v95, v86, v93
	v_fma_f32 v86, -v92, v95, v94
	v_div_fmas_f32 v86, v86, v93, v95
	v_cmp_eq_u32_e32 vcc, 1, v77
	v_div_fixup_f32 v86, v86, v91, 1.0
	s_nop 0
	v_cndmask_b32_e32 v1, v1, v89, vcc
	v_cmp_eq_u32_e32 vcc, 2, v77
	s_nop 1
	v_cndmask_b32_e32 v1, v1, v90, vcc
	v_cmp_eq_u32_e32 vcc, 3, v77
	s_nop 1
	v_cndmask_b32_e32 v1, v1, v75, vcc
	v_mul_f32_e32 v90, v1, v86
	v_pk_mul_f32 v[82:83], v[90:91], v[82:83] op_sel_hi:[0,1]
	v_pk_mul_f32 v[68:69], v[90:91], v[68:69] op_sel_hi:[0,1]
	v_cvt_f16_f32_e32 v1, v68
	v_cvt_f16_f32_e32 v68, v69
	;; [unrolled: 1-line block ×4, first 2 shown]
	v_pk_mul_f32 v[84:85], v[90:91], v[84:85] op_sel_hi:[0,1]
	v_pk_mul_f32 v[70:71], v[90:91], v[70:71] op_sel_hi:[0,1]
	v_bfe_u32 v86, v0, 4, 2
	v_pack_b32_f16 v83, v69, v75
	v_cvt_f16_f32_e32 v69, v70
	v_cvt_f16_f32_e32 v70, v71
	;; [unrolled: 1-line block ×4, first 2 shown]
	v_pack_b32_f16 v82, v1, v68
	v_lshlrev_b32_e32 v1, 3, v86
	v_lshlrev_b32_e32 v68, 5, v76
	;; [unrolled: 1-line block ×3, first 2 shown]
	v_or3_b32 v75, v75, v68, v1
	v_pack_b32_f16 v70, v69, v70
	v_pack_b32_f16 v71, v71, v84
	ds_write2st64_b64 v75, v[82:83], v[70:71] offset1:1
	v_pk_mul_f32 v[70:71], v[90:91], v[78:79] op_sel_hi:[0,1]
	v_pk_mul_f32 v[78:79], v[90:91], v[80:81] op_sel_hi:[0,1]
	v_cvt_f16_f32_e32 v1, v78
	v_cvt_f16_f32_e32 v77, v70
	;; [unrolled: 1-line block ×3, first 2 shown]
	v_pk_mul_f32 v[66:67], v[90:91], v[66:67] op_sel_hi:[0,1]
	v_pk_mul_f32 v[70:71], v[90:91], v[72:73] op_sel_hi:[0,1]
	v_cvt_f16_f32_e32 v69, v79
	v_cvt_f16_f32_e32 v70, v70
	;; [unrolled: 1-line block ×5, first 2 shown]
	v_pack_b32_f16 v66, v1, v69
	v_pack_b32_f16 v67, v77, v78
	;; [unrolled: 1-line block ×4, first 2 shown]
	v_cmp_gt_u32_e32 vcc, 5, v0
	ds_write2st64_b64 v75, v[66:67], v[70:71] offset0:2 offset1:3
	s_and_saveexec_b64 s[6:7], vcc
	s_cbranch_execz .LBB232_15
; %bb.14:
	s_mov_b32 s41, 0
	v_mov_b32_e32 v77, 0
	v_lshl_add_u64 v[66:67], s[40:41], 0, v[76:77]
	v_mov_b32_e32 v1, s9
	v_mad_u64_u32 v[66:67], s[10:11], s2, v1, v[66:67]
	s_mul_i32 s3, s3, s9
	v_mov_b32_e32 v70, s26
	v_mov_b32_e32 v71, v77
	s_load_dwordx4 s[12:15], s[0:1], 0x58
	v_add_u32_e32 v1, s3, v67
	v_mad_u64_u32 v[66:67], s[10:11], v66, s8, v[70:71]
	v_mov_b32_e32 v70, v67
	v_mad_u64_u32 v[70:71], s[10:11], v1, s8, v[70:71]
	v_mov_b32_e32 v67, v70
	v_lshlrev_b64 v[66:67], 2, v[66:67]
	s_waitcnt lgkmcnt(0)
	v_lshl_add_u64 v[70:71], s[14:15], 0, v[66:67]
	v_lshl_add_u64 v[66:67], s[12:13], 0, v[66:67]
	global_store_dword v[70:71], v87, off
	global_store_dword v[66:67], v88, off
.LBB232_15:
	s_or_b64 exec, exec, s[6:7]
	v_lshl_or_b32 v1, v86, 9, v68
	s_waitcnt lgkmcnt(0)
	s_barrier
	ds_read_b128 v[70:73], v1
	ds_read_b128 v[66:69], v1 offset:16
	s_waitcnt vmcnt(15) lgkmcnt(1)
	v_mfma_f32_16x16x16_f16 v[78:81], v[30:31], v[70:71], 0
	s_mov_b32 s3, 0
	v_cmp_gt_u32_e32 vcc, 64, v0
	v_mfma_f32_16x16x16_f16 v[30:33], v[32:33], v[72:73], v[78:81]
	s_waitcnt vmcnt(14) lgkmcnt(0)
	v_mfma_f32_16x16x16_f16 v[30:33], v[26:27], v[66:67], v[30:33]
	v_mfma_f32_16x16x16_f16 v[26:29], v[28:29], v[68:69], v[30:33]
	s_nop 5
	ds_read_b128 v[30:33], v1 offset:2048
	ds_read_b128 v[78:81], v1 offset:2064
	s_waitcnt vmcnt(13) lgkmcnt(1)
	v_mfma_f32_16x16x16_f16 v[26:29], v[22:23], v[30:31], v[26:29]
	v_mfma_f32_16x16x16_f16 v[22:25], v[24:25], v[32:33], v[26:29]
	s_waitcnt vmcnt(12) lgkmcnt(0)
	v_mfma_f32_16x16x16_f16 v[22:25], v[18:19], v[78:79], v[22:25]
	v_mfma_f32_16x16x16_f16 v[18:21], v[20:21], v[80:81], v[22:25]
	s_nop 5
	ds_read_b128 v[22:25], v1 offset:4096
	ds_read_b128 v[26:29], v1 offset:4112
	s_waitcnt vmcnt(11) lgkmcnt(1)
	v_mfma_f32_16x16x16_f16 v[18:21], v[14:15], v[22:23], v[18:21]
	v_mfma_f32_16x16x16_f16 v[14:17], v[16:17], v[24:25], v[18:21]
	s_waitcnt vmcnt(10) lgkmcnt(0)
	v_mfma_f32_16x16x16_f16 v[14:17], v[10:11], v[26:27], v[14:17]
	v_mfma_f32_16x16x16_f16 v[10:13], v[12:13], v[28:29], v[14:17]
	s_nop 5
	ds_read_b128 v[14:17], v1 offset:6144
	ds_read_b128 v[18:21], v1 offset:6160
	s_waitcnt lgkmcnt(0)
	s_barrier
	s_waitcnt vmcnt(9)
	v_mfma_f32_16x16x16_f16 v[10:13], v[6:7], v[14:15], v[10:13]
	v_mfma_f32_16x16x16_f16 v[6:9], v[8:9], v[16:17], v[10:13]
	s_waitcnt vmcnt(8)
	v_mfma_f32_16x16x16_f16 v[6:9], v[2:3], v[18:19], v[6:9]
	v_mfma_f32_16x16x16_f16 v[2:5], v[4:5], v[20:21], v[6:9]
	;; [unrolled: 3-line block ×3, first 2 shown]
	s_nop 3
	v_cvt_f16_f32_e32 v1, v2
	v_cvt_f16_f32_e32 v10, v3
	;; [unrolled: 1-line block ×3, first 2 shown]
	s_waitcnt vmcnt(6)
	v_mfma_f32_16x16x16_f16 v[6:9], v[38:39], v[66:67], v[6:9]
	v_cvt_f16_f32_e32 v12, v5
	v_mfma_f32_16x16x16_f16 v[6:9], v[40:41], v[68:69], v[6:9]
	s_waitcnt vmcnt(5)
	v_mfma_f32_16x16x16_f16 v[6:9], v[42:43], v[30:31], v[6:9]
	v_mfma_f32_16x16x16_f16 v[6:9], v[44:45], v[32:33], v[6:9]
	s_waitcnt vmcnt(4)
	v_mfma_f32_16x16x16_f16 v[6:9], v[34:35], v[78:79], v[6:9]
	;; [unrolled: 3-line block ×6, first 2 shown]
	v_mfma_f32_16x16x16_f16 v[2:5], v[60:61], v[20:21], v[6:9]
	s_nop 6
	v_cvt_f16_f32_e32 v6, v2
	v_cvt_f16_f32_e32 v7, v3
	;; [unrolled: 1-line block ×4, first 2 shown]
	v_pack_b32_f16 v2, v1, v10
	v_pack_b32_f16 v3, v11, v12
	;; [unrolled: 1-line block ×4, first 2 shown]
	ds_write2st64_b64 v75, v[2:3], v[4:5] offset1:1
	s_waitcnt lgkmcnt(0)
	s_barrier
	s_and_saveexec_b64 s[6:7], vcc
	s_cbranch_execz .LBB232_18
; %bb.16:
	s_load_dwordx2 s[6:7], s[0:1], 0x68
	s_lshl_b32 s0, s8, 7
	s_mul_i32 s1, s9, s2
	v_lshlrev_b32_e32 v3, 6, v76
	s_mul_hi_u32 s9, s1, s0
	s_mul_i32 s8, s1, s0
	v_lshlrev_b32_e32 v2, 4, v0
	v_lshl_or_b32 v0, v0, 10, v3
	s_lshl_b64 s[8:9], s[8:9], 1
	v_lshlrev_b32_e32 v1, 5, v86
	v_and_b32_e32 v2, 16, v2
	v_and_b32_e32 v0, 0x1a00, v0
	s_waitcnt lgkmcnt(0)
	s_add_u32 s1, s6, s8
	v_or3_b32 v2, v0, v1, v2
	s_addc_u32 s6, s7, s9
	s_lshl_b32 s2, s26, 7
	s_lshl_b64 s[2:3], s[2:3], 1
	ds_read_b128 v[4:7], v2
	s_add_u32 s2, s1, s2
	s_addc_u32 s3, s6, s3
	v_mov_b32_e32 v75, 0
	v_add_u32_e32 v3, s40, v86
	v_lshl_add_u64 v[0:1], s[2:3], 0, v[74:75]
	v_mad_u64_u32 v[8:9], s[2:3], v3, s0, 0
	v_lshl_add_u64 v[8:9], v[8:9], 1, v[0:1]
	s_waitcnt lgkmcnt(0)
	global_store_dwordx4 v[8:9], v[4:7], off
	s_and_b64 exec, exec, s[4:5]
	s_cbranch_execz .LBB232_18
; %bb.17:
	ds_read_b128 v[2:5], v2 offset:128
	v_add3_u32 v6, s40, v86, 4
	v_mad_u64_u32 v[6:7], s[0:1], v6, s0, 0
	v_lshl_add_u64 v[0:1], v[6:7], 1, v[0:1]
	s_waitcnt lgkmcnt(0)
	global_store_dwordx4 v[0:1], v[2:5], off
.LBB232_18:
	s_endpgm
	.section	.rodata,"a",@progbits
	.p2align	6, 0x0
	.amdhsa_kernel _Z39paged_attention_ll4mi_QKV_mfma16_kernelIDF16_DF16_LN4vllm18Fp8KVCacheDataTypeE0EhLi16ELi128ELi256ELb0ELi5EEvPKT_PKT0_S7_ifPKiS9_S9_iPKfiiiPfSC_PS2_PT2_iSB_SB_
		.amdhsa_group_segment_fixed_size 8192
		.amdhsa_private_segment_fixed_size 0
		.amdhsa_kernarg_size 400
		.amdhsa_user_sgpr_count 2
		.amdhsa_user_sgpr_dispatch_ptr 0
		.amdhsa_user_sgpr_queue_ptr 0
		.amdhsa_user_sgpr_kernarg_segment_ptr 1
		.amdhsa_user_sgpr_dispatch_id 0
		.amdhsa_user_sgpr_kernarg_preload_length 0
		.amdhsa_user_sgpr_kernarg_preload_offset 0
		.amdhsa_user_sgpr_private_segment_size 0
		.amdhsa_uses_dynamic_stack 0
		.amdhsa_enable_private_segment 0
		.amdhsa_system_sgpr_workgroup_id_x 1
		.amdhsa_system_sgpr_workgroup_id_y 1
		.amdhsa_system_sgpr_workgroup_id_z 1
		.amdhsa_system_sgpr_workgroup_info 0
		.amdhsa_system_vgpr_workitem_id 0
		.amdhsa_next_free_vgpr 96
		.amdhsa_next_free_sgpr 42
		.amdhsa_accum_offset 96
		.amdhsa_reserve_vcc 1
		.amdhsa_float_round_mode_32 0
		.amdhsa_float_round_mode_16_64 0
		.amdhsa_float_denorm_mode_32 3
		.amdhsa_float_denorm_mode_16_64 3
		.amdhsa_dx10_clamp 1
		.amdhsa_ieee_mode 1
		.amdhsa_fp16_overflow 0
		.amdhsa_tg_split 0
		.amdhsa_exception_fp_ieee_invalid_op 0
		.amdhsa_exception_fp_denorm_src 0
		.amdhsa_exception_fp_ieee_div_zero 0
		.amdhsa_exception_fp_ieee_overflow 0
		.amdhsa_exception_fp_ieee_underflow 0
		.amdhsa_exception_fp_ieee_inexact 0
		.amdhsa_exception_int_div_zero 0
	.end_amdhsa_kernel
	.section	.text._Z39paged_attention_ll4mi_QKV_mfma16_kernelIDF16_DF16_LN4vllm18Fp8KVCacheDataTypeE0EhLi16ELi128ELi256ELb0ELi5EEvPKT_PKT0_S7_ifPKiS9_S9_iPKfiiiPfSC_PS2_PT2_iSB_SB_,"axG",@progbits,_Z39paged_attention_ll4mi_QKV_mfma16_kernelIDF16_DF16_LN4vllm18Fp8KVCacheDataTypeE0EhLi16ELi128ELi256ELb0ELi5EEvPKT_PKT0_S7_ifPKiS9_S9_iPKfiiiPfSC_PS2_PT2_iSB_SB_,comdat
.Lfunc_end232:
	.size	_Z39paged_attention_ll4mi_QKV_mfma16_kernelIDF16_DF16_LN4vllm18Fp8KVCacheDataTypeE0EhLi16ELi128ELi256ELb0ELi5EEvPKT_PKT0_S7_ifPKiS9_S9_iPKfiiiPfSC_PS2_PT2_iSB_SB_, .Lfunc_end232-_Z39paged_attention_ll4mi_QKV_mfma16_kernelIDF16_DF16_LN4vllm18Fp8KVCacheDataTypeE0EhLi16ELi128ELi256ELb0ELi5EEvPKT_PKT0_S7_ifPKiS9_S9_iPKfiiiPfSC_PS2_PT2_iSB_SB_
                                        ; -- End function
	.section	.AMDGPU.csdata,"",@progbits
; Kernel info:
; codeLenInByte = 4392
; NumSgprs: 48
; NumVgprs: 96
; NumAgprs: 0
; TotalNumVgprs: 96
; ScratchSize: 0
; MemoryBound: 0
; FloatMode: 240
; IeeeMode: 1
; LDSByteSize: 8192 bytes/workgroup (compile time only)
; SGPRBlocks: 5
; VGPRBlocks: 11
; NumSGPRsForWavesPerEU: 48
; NumVGPRsForWavesPerEU: 96
; AccumOffset: 96
; Occupancy: 5
; WaveLimiterHint : 1
; COMPUTE_PGM_RSRC2:SCRATCH_EN: 0
; COMPUTE_PGM_RSRC2:USER_SGPR: 2
; COMPUTE_PGM_RSRC2:TRAP_HANDLER: 0
; COMPUTE_PGM_RSRC2:TGID_X_EN: 1
; COMPUTE_PGM_RSRC2:TGID_Y_EN: 1
; COMPUTE_PGM_RSRC2:TGID_Z_EN: 1
; COMPUTE_PGM_RSRC2:TIDIG_COMP_CNT: 0
; COMPUTE_PGM_RSRC3_GFX90A:ACCUM_OFFSET: 23
; COMPUTE_PGM_RSRC3_GFX90A:TG_SPLIT: 0
	.section	.text._Z39paged_attention_ll4mi_QKV_mfma16_kernelIDF16_DF16_LN4vllm18Fp8KVCacheDataTypeE0EhLi16ELi128ELi256ELb0ELi6EEvPKT_PKT0_S7_ifPKiS9_S9_iPKfiiiPfSC_PS2_PT2_iSB_SB_,"axG",@progbits,_Z39paged_attention_ll4mi_QKV_mfma16_kernelIDF16_DF16_LN4vllm18Fp8KVCacheDataTypeE0EhLi16ELi128ELi256ELb0ELi6EEvPKT_PKT0_S7_ifPKiS9_S9_iPKfiiiPfSC_PS2_PT2_iSB_SB_,comdat
	.protected	_Z39paged_attention_ll4mi_QKV_mfma16_kernelIDF16_DF16_LN4vllm18Fp8KVCacheDataTypeE0EhLi16ELi128ELi256ELb0ELi6EEvPKT_PKT0_S7_ifPKiS9_S9_iPKfiiiPfSC_PS2_PT2_iSB_SB_ ; -- Begin function _Z39paged_attention_ll4mi_QKV_mfma16_kernelIDF16_DF16_LN4vllm18Fp8KVCacheDataTypeE0EhLi16ELi128ELi256ELb0ELi6EEvPKT_PKT0_S7_ifPKiS9_S9_iPKfiiiPfSC_PS2_PT2_iSB_SB_
	.globl	_Z39paged_attention_ll4mi_QKV_mfma16_kernelIDF16_DF16_LN4vllm18Fp8KVCacheDataTypeE0EhLi16ELi128ELi256ELb0ELi6EEvPKT_PKT0_S7_ifPKiS9_S9_iPKfiiiPfSC_PS2_PT2_iSB_SB_
	.p2align	8
	.type	_Z39paged_attention_ll4mi_QKV_mfma16_kernelIDF16_DF16_LN4vllm18Fp8KVCacheDataTypeE0EhLi16ELi128ELi256ELb0ELi6EEvPKT_PKT0_S7_ifPKiS9_S9_iPKfiiiPfSC_PS2_PT2_iSB_SB_,@function
_Z39paged_attention_ll4mi_QKV_mfma16_kernelIDF16_DF16_LN4vllm18Fp8KVCacheDataTypeE0EhLi16ELi128ELi256ELb0ELi6EEvPKT_PKT0_S7_ifPKiS9_S9_iPKfiiiPfSC_PS2_PT2_iSB_SB_: ; @_Z39paged_attention_ll4mi_QKV_mfma16_kernelIDF16_DF16_LN4vllm18Fp8KVCacheDataTypeE0EhLi16ELi128ELi256ELb0ELi6EEvPKT_PKT0_S7_ifPKiS9_S9_iPKfiiiPfSC_PS2_PT2_iSB_SB_
; %bb.0:
	s_load_dwordx2 s[8:9], s[0:1], 0x30
	s_mov_b32 s26, s3
	s_mov_b64 s[6:7], 0
	s_waitcnt lgkmcnt(0)
	s_cmp_lg_u64 s[8:9], 0
	s_cselect_b64 s[10:11], -1, 0
	s_and_b64 vcc, exec, s[10:11]
	s_cbranch_vccz .LBB233_7
; %bb.1:
	s_add_i32 s12, s2, 1
	s_mov_b32 s13, 0
	s_lshl_b64 s[14:15], s[12:13], 2
	s_add_u32 s14, s8, s14
	s_mov_b32 s3, s13
	s_addc_u32 s15, s9, s15
	s_lshl_b64 s[12:13], s[2:3], 2
	s_add_u32 s12, s8, s12
	s_addc_u32 s13, s9, s13
	s_load_dword s5, s[14:15], 0x0
	s_load_dword s16, s[12:13], 0x0
	s_waitcnt lgkmcnt(0)
	s_sub_i32 s5, s5, s16
	s_cmp_eq_u32 s5, 1
	s_cselect_b64 s[12:13], -1, 0
	s_andn2_b64 vcc, exec, s[6:7]
	s_cbranch_vccnz .LBB233_3
.LBB233_2:
	s_mov_b32 s3, 0
	s_mov_b64 s[12:13], -1
.LBB233_3:
	s_andn2_b64 vcc, exec, s[12:13]
	s_cbranch_vccnz .LBB233_18
; %bb.4:
	s_load_dwordx2 s[6:7], s[0:1], 0x28
	s_lshl_b64 s[16:17], s[2:3], 2
	s_waitcnt lgkmcnt(0)
	s_add_u32 s6, s6, s16
	s_addc_u32 s7, s7, s17
	s_load_dword s33, s[6:7], 0x0
	s_lshl_b32 s18, s26, 8
	s_waitcnt lgkmcnt(0)
	s_cmp_ge_i32 s18, s33
	s_cbranch_scc1 .LBB233_18
; %bb.5:
	s_load_dwordx2 s[6:7], s[0:1], 0x20
	s_load_dword s5, s[0:1], 0x38
	s_add_i32 s12, s33, 15
	s_ashr_i32 s13, s12, 31
	v_and_b32_e32 v1, 0xcf, v0
	s_lshr_b32 s13, s13, 28
	v_add_u32_e32 v1, s18, v1
	s_add_i32 s12, s12, s13
	v_ashrrev_i32_e32 v2, 31, v1
	s_ashr_i32 s19, s12, 4
	v_lshrrev_b32_e32 v4, 28, v2
	s_add_i32 s19, s19, -1
	s_waitcnt lgkmcnt(0)
	s_mul_i32 s12, s2, s5
	s_mov_b32 s13, 0
	v_add_u32_e32 v2, v1, v4
	s_lshl_b64 s[12:13], s[12:13], 2
	v_ashrrev_i32_e32 v2, 4, v2
	v_mov_b32_e32 v5, s19
	v_cmp_gt_i32_e32 vcc, s33, v1
	s_add_u32 s6, s6, s12
	s_addc_u32 s7, s7, s13
	v_cndmask_b32_e32 v2, v5, v2, vcc
	v_ashrrev_i32_e32 v3, 31, v2
	v_lshl_add_u64 v[6:7], v[2:3], 2, s[6:7]
	v_or_b32_e32 v2, 16, v1
	v_add_u32_e32 v3, v2, v4
	v_ashrrev_i32_e32 v3, 4, v3
	v_cmp_gt_i32_e32 vcc, s33, v2
	s_load_dwordx4 s[12:15], s[0:1], 0x8
	s_nop 0
	v_cndmask_b32_e32 v2, v5, v3, vcc
	v_ashrrev_i32_e32 v3, 31, v2
	v_lshl_add_u64 v[8:9], v[2:3], 2, s[6:7]
	v_or_b32_e32 v2, 32, v1
	v_add_u32_e32 v3, v2, v4
	v_ashrrev_i32_e32 v3, 4, v3
	v_cmp_gt_i32_e32 vcc, s33, v2
	v_or_b32_e32 v1, 48, v1
	s_nop 0
	v_cndmask_b32_e32 v2, v5, v3, vcc
	v_ashrrev_i32_e32 v3, 31, v2
	v_lshl_add_u64 v[10:11], v[2:3], 2, s[6:7]
	v_add_u32_e32 v2, v1, v4
	v_ashrrev_i32_e32 v2, 4, v2
	v_cmp_gt_i32_e32 vcc, s33, v1
	s_nop 1
	v_cndmask_b32_e32 v2, v5, v2, vcc
	v_ashrrev_i32_e32 v3, 31, v2
	v_lshl_add_u64 v[12:13], v[2:3], 2, s[6:7]
	global_load_dword v4, v[6:7], off
	global_load_dword v3, v[8:9], off
	;; [unrolled: 1-line block ×4, first 2 shown]
	s_andn2_b64 vcc, exec, s[10:11]
	s_cbranch_vccnz .LBB233_8
; %bb.6:
	s_add_u32 s8, s8, s16
	s_addc_u32 s9, s9, s17
	s_load_dword s5, s[8:9], 0x0
	s_branch .LBB233_9
.LBB233_7:
	s_mov_b64 s[12:13], 0
	s_branch .LBB233_2
.LBB233_8:
	s_mov_b32 s5, s2
.LBB233_9:
	s_load_dwordx4 s[8:11], s[0:1], 0x48
	v_lshrrev_b32_e32 v77, 6, v0
	v_bfe_u32 v86, v0, 4, 2
	v_and_b32_e32 v76, 15, v0
	v_lshl_or_b32 v1, v77, 2, v86
	v_lshlrev_b32_e32 v5, 3, v76
	v_and_b32_e32 v87, 63, v0
	s_mul_i32 s40, s4, 6
	v_cmp_gt_u32_e32 vcc, 6, v1
	v_lshlrev_b32_e32 v74, 1, v5
	s_and_saveexec_b64 s[16:17], vcc
	s_cbranch_execz .LBB233_11
; %bb.10:
	s_load_dwordx2 s[20:21], s[0:1], 0x0
	s_waitcnt lgkmcnt(0)
	s_ashr_i32 s11, s8, 31
	s_mul_hi_u32 s22, s5, s8
	s_mul_i32 s11, s5, s11
	s_add_i32 s23, s22, s11
	s_mul_i32 s22, s5, s8
	s_lshl_b64 s[22:23], s[22:23], 1
	s_add_u32 s20, s20, s22
	v_add_lshl_u32 v6, v1, s40, 7
	s_addc_u32 s21, s21, s23
	v_ashrrev_i32_e32 v7, 31, v6
	v_lshl_add_u64 v[6:7], v[6:7], 1, s[20:21]
	v_mov_b32_e32 v75, 0
	v_lshl_add_u64 v[6:7], v[6:7], 0, v[74:75]
	global_load_dwordx4 v[6:9], v[6:7], off
	v_and_b32_e32 v5, 3, v0
	v_lshlrev_b32_e32 v10, 9, v76
	v_lshlrev_b32_e32 v1, 5, v1
	;; [unrolled: 1-line block ×3, first 2 shown]
	v_and_b32_e32 v10, 0x1800, v10
	v_or3_b32 v1, v10, v5, v1
	s_waitcnt vmcnt(0)
	ds_write_b128 v1, v[6:9]
.LBB233_11:
	s_or_b64 exec, exec, s[16:17]
	s_waitcnt lgkmcnt(0)
	s_mul_i32 s4, s4, s10
	s_mov_b32 s5, 0
	s_lshl_b64 s[4:5], s[4:5], 1
	s_add_u32 s10, s12, s4
	v_lshlrev_b32_e32 v1, 4, v0
	s_addc_u32 s11, s13, s5
	v_and_b32_e32 v34, 0xf0, v1
	v_mov_b32_e32 v35, 0
	v_lshl_add_u64 v[30:31], s[10:11], 0, v[34:35]
	s_waitcnt vmcnt(3)
	v_mad_i64_i32 v[4:5], s[10:11], v4, s9, 0
	v_lshl_add_u64 v[4:5], v[4:5], 1, v[30:31]
	v_and_b32_e32 v34, 0x300, v1
	v_lshl_add_u64 v[32:33], v[4:5], 0, v[34:35]
	s_load_dword s27, s[0:1], 0x98
	s_load_dword s8, s[0:1], 0x1c
	s_waitcnt lgkmcnt(0)
	s_barrier
	global_load_dwordx4 v[6:9], v[32:33], off
	global_load_dwordx4 v[18:21], v[32:33], off offset:1024
	s_waitcnt vmcnt(4)
	v_mad_i64_i32 v[4:5], s[10:11], v3, s9, 0
	v_lshl_add_u64 v[4:5], v[4:5], 1, v[30:31]
	v_lshl_add_u64 v[36:37], v[4:5], 0, v[34:35]
	global_load_dwordx4 v[14:17], v[36:37], off
	global_load_dwordx4 v[22:25], v[36:37], off offset:1024
	s_waitcnt vmcnt(5)
	v_mad_i64_i32 v[2:3], s[10:11], v2, s9, 0
	v_lshl_add_u64 v[2:3], v[2:3], 1, v[30:31]
	v_lshl_add_u64 v[38:39], v[2:3], 0, v[34:35]
	global_load_dwordx4 v[26:29], v[38:39], off
	global_load_dwordx4 v[46:49], v[38:39], off offset:1024
	v_mul_lo_u16_e32 v2, 43, v76
	v_mov_b32_e32 v3, 6
	v_mul_lo_u16_sdwa v2, v2, v3 dst_sel:DWORD dst_unused:UNUSED_PAD src0_sel:BYTE_1 src1_sel:DWORD
	v_mov_b32_e32 v4, 5
	v_sub_u16_e32 v2, v76, v2
	v_lshlrev_b32_sdwa v2, v4, v2 dst_sel:DWORD dst_unused:UNUSED_PAD src0_sel:DWORD src1_sel:BYTE_0
	v_lshl_add_u32 v41, v86, 9, v2
	ds_read_b128 v[10:13], v41
	ds_read_b128 v[2:5], v41 offset:2048
	global_load_dwordx4 v[54:57], v[32:33], off offset:2048
	global_load_dwordx4 v[62:65], v[36:37], off offset:2048
	v_mov_b32_e32 v70, s19
	s_add_u32 s4, s14, s4
	s_addc_u32 s5, s15, s5
	s_mov_b32 s41, 0xff7fffff
	s_waitcnt vmcnt(7) lgkmcnt(1)
	v_mfma_f32_16x16x16_f16 v[42:45], v[6:7], v[10:11], 0
	v_mfma_f32_16x16x16_f16 v[6:9], v[8:9], v[12:13], v[42:45]
	s_nop 5
	global_load_dwordx4 v[42:45], v[38:39], off offset:2048
	s_waitcnt vmcnt(6)
	v_mfma_f32_16x16x16_f16 v[50:53], v[14:15], v[10:11], 0
	s_waitcnt vmcnt(4)
	v_mfma_f32_16x16x16_f16 v[58:61], v[26:27], v[10:11], 0
	v_mfma_f32_16x16x16_f16 v[14:17], v[16:17], v[12:13], v[50:53]
	s_nop 3
	global_load_dwordx4 v[50:53], v[32:33], off offset:3072
	v_mfma_f32_16x16x16_f16 v[26:29], v[28:29], v[12:13], v[58:61]
	v_mad_i64_i32 v[32:33], s[10:11], v40, s9, 0
	v_and_or_b32 v40, v0, 48, s18
	s_waitcnt lgkmcnt(0)
	v_mfma_f32_16x16x16_f16 v[14:17], v[22:23], v[2:3], v[14:17]
	v_ashrrev_i32_e32 v58, 4, v40
	v_cmp_gt_i32_e32 vcc, s33, v40
	v_or_b32_e32 v66, 64, v40
	v_mfma_f32_16x16x16_f16 v[6:9], v[18:19], v[2:3], v[6:9]
	v_cndmask_b32_e32 v18, v70, v58, vcc
	global_load_dwordx4 v[58:61], v[36:37], off offset:3072
	v_ashrrev_i32_e32 v22, 4, v66
	s_waitcnt vmcnt(5)
	v_mfma_f32_16x16x16_f16 v[26:29], v[46:47], v[2:3], v[26:29]
	v_ashrrev_i32_e32 v19, 31, v18
	v_cmp_gt_i32_e32 vcc, s33, v66
	v_lshl_add_u64 v[18:19], v[18:19], 2, s[6:7]
	v_mfma_f32_16x16x16_f16 v[14:17], v[24:25], v[4:5], v[14:17]
	v_cndmask_b32_e32 v36, v70, v22, vcc
	global_load_dwordx4 v[22:25], v[38:39], off offset:3072
	global_load_dword v82, v[18:19], off
	v_mfma_f32_16x16x16_f16 v[6:9], v[20:21], v[4:5], v[6:9]
	v_ashrrev_i32_e32 v37, 31, v36
	ds_read_b128 v[66:69], v41 offset:4096
	v_or_b32_e32 v71, 0x80, v40
	v_mfma_f32_16x16x16_f16 v[18:21], v[48:49], v[4:5], v[26:29]
	v_ashrrev_i32_e32 v73, 4, v71
	v_cmp_gt_i32_e32 vcc, s33, v71
	v_or_b32_e32 v72, 0xc0, v40
	v_lshl_add_u64 v[26:27], v[32:33], 1, v[30:31]
	v_lshl_add_u64 v[26:27], v[26:27], 0, v[34:35]
	;; [unrolled: 1-line block ×3, first 2 shown]
	global_load_dwordx4 v[46:49], v[26:27], off
	global_load_dword v36, v[28:29], off
	s_waitcnt vmcnt(8) lgkmcnt(0)
	v_mfma_f32_16x16x16_f16 v[6:9], v[54:55], v[66:67], v[6:9]
	v_cndmask_b32_e32 v28, v70, v73, vcc
	v_ashrrev_i32_e32 v29, 31, v28
	v_ashrrev_i32_e32 v75, 4, v72
	v_mfma_f32_16x16x16_f16 v[6:9], v[56:57], v[68:69], v[6:9]
	global_load_dwordx4 v[54:57], v[26:27], off offset:1024
	v_lshl_add_u64 v[28:29], v[28:29], 2, s[6:7]
	v_cmp_gt_i32_e32 vcc, s33, v72
	global_load_dword v83, v[28:29], off
	s_waitcnt vmcnt(9)
	v_mfma_f32_16x16x16_f16 v[14:17], v[62:63], v[66:67], v[14:17]
	v_cndmask_b32_e32 v28, v70, v75, vcc
	v_ashrrev_i32_e32 v29, 31, v28
	v_lshl_add_u64 v[28:29], v[28:29], 2, s[6:7]
	v_mfma_f32_16x16x16_f16 v[14:17], v[64:65], v[68:69], v[14:17]
	global_load_dword v64, v[28:29], off
	ds_read_b128 v[38:41], v41 offset:6144
	v_lshl_or_b32 v75, v77, 4, v76
	v_lshlrev_b32_e32 v34, 5, v75
	v_lshl_add_u64 v[62:63], s[4:5], 0, v[34:35]
	v_or_b32_e32 v34, 0x800, v34
	s_waitcnt vmcnt(9)
	v_mfma_f32_16x16x16_f16 v[18:21], v[42:43], v[66:67], v[18:21]
	global_load_dwordx4 v[70:73], v[26:27], off offset:3072
	v_mfma_f32_16x16x16_f16 v[18:21], v[44:45], v[68:69], v[18:21]
	global_load_dwordx4 v[42:45], v[26:27], off offset:2048
	s_waitcnt vmcnt(10) lgkmcnt(0)
	v_mfma_f32_16x16x16_f16 v[6:9], v[50:51], v[38:39], v[6:9]
	v_mfma_f32_16x16x16_f16 v[78:81], v[52:53], v[40:41], v[6:9]
	s_waitcnt vmcnt(9)
	v_mfma_f32_16x16x16_f16 v[14:17], v[58:59], v[38:39], v[14:17]
	s_waitcnt vmcnt(7)
	s_nop 2
	v_mad_i64_i32 v[6:7], s[6:7], v82, s9, 0
	v_lshlrev_b64 v[52:53], 1, v[6:7]
	v_lshl_add_u64 v[6:7], v[62:63], 0, v[52:53]
	global_load_dwordx4 v[30:33], v[6:7], off
	global_load_dwordx4 v[26:29], v[6:7], off offset:16
	v_mfma_f32_16x16x16_f16 v[6:9], v[22:23], v[38:39], v[18:21]
	v_mfma_f32_16x16x16_f16 v[88:91], v[60:61], v[40:41], v[14:17]
	v_pk_mul_f32 v[60:61], s[8:9], v[78:79] op_sel_hi:[0,1]
	s_waitcnt vmcnt(7)
	s_nop 0
	v_mad_i64_i32 v[14:15], s[6:7], v36, s9, 0
	v_lshlrev_b64 v[36:37], 1, v[14:15]
	v_mfma_f32_16x16x16_f16 v[92:95], v[24:25], v[40:41], v[6:9]
	s_nop 0
	v_pk_mul_f32 v[84:85], s[8:9], v[90:91] op_sel_hi:[0,1]
	s_nop 0
	v_lshl_add_u64 v[6:7], v[62:63], 0, v[36:37]
	global_load_dwordx4 v[22:25], v[6:7], off
	global_load_dwordx4 v[18:21], v[6:7], off offset:16
	v_mfma_f32_16x16x16_f16 v[6:9], v[46:47], v[10:11], 0
	s_waitcnt vmcnt(7)
	v_mad_i64_i32 v[10:11], s[6:7], v83, s9, 0
	v_pk_mul_f32 v[82:83], s[8:9], v[80:81] op_sel_hi:[0,1]
	v_mfma_f32_16x16x16_f16 v[6:9], v[48:49], v[12:13], v[6:9]
	v_pk_mul_f32 v[80:81], s[8:9], v[92:93] op_sel_hi:[0,1]
	v_pk_mul_f32 v[78:79], s[8:9], v[94:95] op_sel_hi:[0,1]
	v_lshlrev_b64 v[50:51], 1, v[10:11]
	v_mfma_f32_16x16x16_f16 v[6:9], v[54:55], v[2:3], v[6:9]
	s_waitcnt vmcnt(6)
	v_mad_i64_i32 v[2:3], s[6:7], v64, s9, 0
	v_lshlrev_b64 v[58:59], 1, v[2:3]
	v_mfma_f32_16x16x16_f16 v[46:49], v[56:57], v[4:5], v[6:9]
	v_lshl_add_u64 v[10:11], v[62:63], 0, v[50:51]
	v_lshl_add_u64 v[2:3], v[62:63], 0, v[58:59]
	;; [unrolled: 1-line block ×4, first 2 shown]
	global_load_dwordx4 v[14:17], v[10:11], off
	s_nop 0
	global_load_dwordx4 v[10:13], v[10:11], off offset:16
	s_nop 0
	global_load_dwordx4 v[6:9], v[2:3], off
	s_nop 0
	global_load_dwordx4 v[2:5], v[2:3], off offset:16
	v_lshl_add_u64 v[50:51], v[62:63], 0, v[50:51]
	v_lshl_add_u64 v[58:59], v[62:63], 0, v[58:59]
	s_waitcnt vmcnt(8)
	v_mfma_f32_16x16x16_f16 v[46:49], v[42:43], v[66:67], v[46:49]
	v_mfma_f32_16x16x16_f16 v[42:45], v[44:45], v[68:69], v[46:49]
	;; [unrolled: 1-line block ×3, first 2 shown]
	v_pk_mul_f32 v[70:71], s[8:9], v[88:89] op_sel_hi:[0,1]
	v_mfma_f32_16x16x16_f16 v[38:41], v[72:73], v[40:41], v[42:45]
	s_nop 6
	v_pk_mul_f32 v[72:73], s[8:9], v[38:39] op_sel_hi:[0,1]
	v_and_b32_e32 v38, 0xc0, v0
	v_add_u32_e32 v38, s18, v38
	v_lshl_or_b32 v38, v86, 2, v38
	v_pk_mul_f32 v[66:67], s[8:9], v[40:41] op_sel_hi:[0,1]
	v_or_b32_e32 v41, 1, v38
	v_mov_b32_e32 v39, 0xff7fffff
	v_cmp_gt_i32_e64 s[28:29], s33, v38
	v_cmp_gt_i32_e64 s[30:31], s33, v41
	v_or_b32_e32 v42, 3, v38
	v_cndmask_b32_e64 v40, v39, v60, s[28:29]
	v_cndmask_b32_e64 v41, v39, v61, s[30:31]
	v_max3_f32 v40, v40, s41, v41
	v_or_b32_e32 v41, 2, v38
	v_cmp_gt_i32_e64 s[34:35], s33, v41
	v_cmp_gt_i32_e64 s[36:37], s33, v42
	s_nop 0
	v_cndmask_b32_e64 v41, v39, v82, s[34:35]
	v_cndmask_b32_e64 v42, v39, v83, s[36:37]
	v_max3_f32 v40, v40, v41, v42
	v_or_b32_e32 v41, 16, v38
	v_or_b32_e32 v42, 17, v38
	v_cmp_gt_i32_e64 s[22:23], s33, v41
	v_cmp_gt_i32_e64 s[24:25], s33, v42
	s_nop 0
	v_cndmask_b32_e64 v41, v39, v70, s[22:23]
	v_cndmask_b32_e64 v42, v39, v71, s[24:25]
	v_max3_f32 v40, v40, v41, v42
	v_or_b32_e32 v41, 18, v38
	;; [unrolled: 8-line block ×6, first 2 shown]
	v_or_b32_e32 v38, 51, v38
	v_cmp_gt_i32_e32 vcc, s33, v41
	v_cmp_gt_i32_e64 s[4:5], s33, v38
	s_nop 0
	v_cndmask_b32_e32 v41, v39, v66, vcc
	v_cndmask_b32_e64 v38, v39, v67, s[4:5]
	v_max3_f32 v52, v40, v41, v38
	v_mbcnt_lo_u32_b32 v38, -1, 0
	v_mbcnt_hi_u32_b32 v53, -1, v38
	v_and_b32_e32 v38, 64, v53
	v_add_u32_e32 v54, 64, v38
	v_xor_b32_e32 v38, 32, v53
	v_cmp_lt_i32_e64 s[38:39], v38, v54
	s_nop 1
	v_cndmask_b32_e64 v38, v53, v38, s[38:39]
	v_lshlrev_b32_e32 v89, 2, v38
	ds_bpermute_b32 v55, v89, v52
	global_load_dwordx4 v[46:49], v[34:35], off
	global_load_dwordx4 v[38:41], v[34:35], off offset:16
	v_lshl_add_u64 v[34:35], v[62:63], 0, v[36:37]
	global_load_dwordx4 v[42:45], v[34:35], off
	s_nop 0
	global_load_dwordx4 v[34:37], v[34:35], off offset:16
	s_waitcnt lgkmcnt(0)
	v_max_f32_e32 v55, v55, v55
	v_max_f32_e32 v64, v52, v55
	v_xor_b32_e32 v52, 16, v53
	v_cmp_lt_i32_e64 s[38:39], v52, v54
	s_nop 1
	v_cndmask_b32_e64 v52, v53, v52, s[38:39]
	v_lshlrev_b32_e32 v90, 2, v52
	ds_bpermute_b32 v65, v90, v64
	global_load_dwordx4 v[54:57], v[50:51], off
	s_nop 0
	global_load_dwordx4 v[50:53], v[50:51], off offset:16
	s_waitcnt lgkmcnt(0)
	v_max_f32_e32 v62, v65, v65
	v_max_f32_e32 v88, v64, v62
	v_sub_f32_e32 v60, v60, v88
	v_mul_f32_e32 v60, 0x3fb8aa3b, v60
	v_exp_f32_e32 v68, v60
	v_sub_f32_e32 v60, v61, v88
	v_mul_f32_e32 v60, 0x3fb8aa3b, v60
	v_exp_f32_e32 v69, v60
	global_load_dwordx4 v[62:65], v[58:59], off
	s_nop 0
	global_load_dwordx4 v[58:61], v[58:59], off offset:16
	v_sub_f32_e32 v82, v82, v88
	v_mul_f32_e32 v82, 0x3fb8aa3b, v82
	v_sub_f32_e32 v83, v83, v88
	v_exp_f32_e32 v82, v82
	v_mul_f32_e32 v83, 0x3fb8aa3b, v83
	v_sub_f32_e32 v70, v70, v88
	v_exp_f32_e32 v83, v83
	v_mul_f32_e32 v70, 0x3fb8aa3b, v70
	v_sub_f32_e32 v71, v71, v88
	v_cndmask_b32_e64 v68, 0, v68, s[28:29]
	v_exp_f32_e32 v70, v70
	v_mul_f32_e32 v71, 0x3fb8aa3b, v71
	v_sub_f32_e32 v84, v84, v88
	v_add_f32_e32 v91, 0, v68
	v_cndmask_b32_e64 v69, 0, v69, s[30:31]
	v_exp_f32_e32 v71, v71
	v_mul_f32_e32 v84, 0x3fb8aa3b, v84
	v_sub_f32_e32 v85, v85, v88
	v_add_f32_e32 v91, v91, v69
	;; [unrolled: 5-line block ×10, first 2 shown]
	v_cndmask_b32_e64 v78, 0, v78, s[10:11]
	v_exp_f32_e32 v66, v66
	v_mul_f32_e32 v67, 0x3fb8aa3b, v67
	v_add_f32_e32 v91, v91, v78
	v_cndmask_b32_e64 v79, 0, v79, s[12:13]
	v_exp_f32_e32 v67, v67
	v_add_f32_e32 v91, v91, v79
	v_cndmask_b32_e64 v72, 0, v72, s[6:7]
	v_add_f32_e32 v91, v91, v72
	v_cndmask_b32_e64 v73, 0, v73, s[8:9]
	v_add_f32_e32 v91, v91, v73
	v_cndmask_b32_e32 v66, 0, v66, vcc
	v_add_f32_e32 v91, v91, v66
	v_cndmask_b32_e64 v67, 0, v67, s[4:5]
	v_add_f32_e32 v91, v91, v67
	ds_bpermute_b32 v89, v89, v91
	v_cmp_gt_u32_e32 vcc, 16, v87
	s_waitcnt lgkmcnt(0)
	s_barrier
	v_add_f32_e32 v89, v91, v89
	ds_bpermute_b32 v90, v90, v89
	s_and_saveexec_b64 s[4:5], vcc
	s_cbranch_execz .LBB233_13
; %bb.12:
	s_waitcnt lgkmcnt(0)
	v_add_f32_e32 v87, v89, v90
	v_lshlrev_b32_e32 v75, 2, v75
	ds_write2st64_b32 v75, v88, v87 offset1:1
.LBB233_13:
	s_or_b64 exec, exec, s[4:5]
	v_lshlrev_b32_e32 v75, 2, v76
	s_load_dword s6, s[0:1], 0x94
	s_waitcnt lgkmcnt(0)
	s_barrier
	ds_read2_b32 v[88:89], v75 offset1:16
	ds_read2_b32 v[90:91], v75 offset0:32 offset1:48
	ds_read2_b32 v[92:93], v75 offset0:64 offset1:80
	;; [unrolled: 1-line block ×3, first 2 shown]
	s_waitcnt lgkmcnt(0)
	v_max3_f32 v87, v88, s41, v89
	v_max3_f32 v87, v87, v90, v91
	v_sub_f32_e32 v88, v88, v87
	v_mul_f32_e32 v88, 0x3fb8aa3b, v88
	v_exp_f32_e32 v1, v88
	v_sub_f32_e32 v88, v89, v87
	v_mul_f32_e32 v88, 0x3fb8aa3b, v88
	v_exp_f32_e32 v89, v88
	v_sub_f32_e32 v88, v90, v87
	v_mul_f32_e32 v88, 0x3fb8aa3b, v88
	v_sub_f32_e32 v75, v91, v87
	v_exp_f32_e32 v90, v88
	v_mul_f32_e32 v75, 0x3fb8aa3b, v75
	v_exp_f32_e32 v75, v75
	v_fma_f32 v88, v1, v92, 0
	v_fmac_f32_e32 v88, v89, v93
	v_fmac_f32_e32 v88, v90, v94
	;; [unrolled: 1-line block ×3, first 2 shown]
	v_add_f32_e32 v91, 0x358637bd, v88
	v_div_scale_f32 v92, s[4:5], v91, v91, 1.0
	v_rcp_f32_e32 v93, v92
	s_barrier
	s_mul_i32 s7, s27, 6
	v_fma_f32 v94, -v92, v93, 1.0
	v_fmac_f32_e32 v93, v94, v93
	v_div_scale_f32 v94, vcc, 1.0, v91, 1.0
	v_mul_f32_e32 v95, v94, v93
	v_fma_f32 v86, -v92, v95, v94
	v_fmac_f32_e32 v95, v86, v93
	v_fma_f32 v86, -v92, v95, v94
	v_div_fmas_f32 v86, v86, v93, v95
	v_cmp_eq_u32_e32 vcc, 1, v77
	v_div_fixup_f32 v86, v86, v91, 1.0
	s_nop 0
	v_cndmask_b32_e32 v1, v1, v89, vcc
	v_cmp_eq_u32_e32 vcc, 2, v77
	s_nop 1
	v_cndmask_b32_e32 v1, v1, v90, vcc
	v_cmp_eq_u32_e32 vcc, 3, v77
	s_nop 1
	v_cndmask_b32_e32 v1, v1, v75, vcc
	v_mul_f32_e32 v90, v1, v86
	v_pk_mul_f32 v[82:83], v[90:91], v[82:83] op_sel_hi:[0,1]
	v_pk_mul_f32 v[68:69], v[90:91], v[68:69] op_sel_hi:[0,1]
	v_cvt_f16_f32_e32 v1, v68
	v_cvt_f16_f32_e32 v68, v69
	;; [unrolled: 1-line block ×4, first 2 shown]
	v_pk_mul_f32 v[84:85], v[90:91], v[84:85] op_sel_hi:[0,1]
	v_pk_mul_f32 v[70:71], v[90:91], v[70:71] op_sel_hi:[0,1]
	v_bfe_u32 v86, v0, 4, 2
	v_pack_b32_f16 v83, v69, v75
	v_cvt_f16_f32_e32 v69, v70
	v_cvt_f16_f32_e32 v70, v71
	;; [unrolled: 1-line block ×4, first 2 shown]
	v_pack_b32_f16 v82, v1, v68
	v_lshlrev_b32_e32 v1, 3, v86
	v_lshlrev_b32_e32 v68, 5, v76
	;; [unrolled: 1-line block ×3, first 2 shown]
	v_or3_b32 v75, v75, v68, v1
	v_pack_b32_f16 v70, v69, v70
	v_pack_b32_f16 v71, v71, v84
	ds_write2st64_b64 v75, v[82:83], v[70:71] offset1:1
	v_pk_mul_f32 v[70:71], v[90:91], v[78:79] op_sel_hi:[0,1]
	v_pk_mul_f32 v[78:79], v[90:91], v[80:81] op_sel_hi:[0,1]
	v_cvt_f16_f32_e32 v1, v78
	v_cvt_f16_f32_e32 v77, v70
	;; [unrolled: 1-line block ×3, first 2 shown]
	v_pk_mul_f32 v[66:67], v[90:91], v[66:67] op_sel_hi:[0,1]
	v_pk_mul_f32 v[70:71], v[90:91], v[72:73] op_sel_hi:[0,1]
	v_cvt_f16_f32_e32 v69, v79
	v_cvt_f16_f32_e32 v70, v70
	v_cvt_f16_f32_e32 v71, v71
	v_cvt_f16_f32_e32 v72, v66
	v_cvt_f16_f32_e32 v73, v67
	v_pack_b32_f16 v66, v1, v69
	v_pack_b32_f16 v67, v77, v78
	;; [unrolled: 1-line block ×4, first 2 shown]
	v_cmp_gt_u32_e32 vcc, 6, v0
	ds_write2st64_b64 v75, v[66:67], v[70:71] offset0:2 offset1:3
	s_and_saveexec_b64 s[4:5], vcc
	s_cbranch_execz .LBB233_15
; %bb.14:
	s_mov_b32 s41, 0
	v_mov_b32_e32 v77, 0
	v_lshl_add_u64 v[66:67], s[40:41], 0, v[76:77]
	v_mov_b32_e32 v1, s7
	v_mad_u64_u32 v[66:67], s[12:13], s2, v1, v[66:67]
	s_mul_i32 s3, s3, s7
	v_mov_b32_e32 v70, s26
	v_mov_b32_e32 v71, v77
	s_load_dwordx4 s[8:11], s[0:1], 0x58
	v_add_u32_e32 v1, s3, v67
	v_mad_u64_u32 v[66:67], s[12:13], v66, s6, v[70:71]
	v_mov_b32_e32 v70, v67
	v_mad_u64_u32 v[70:71], s[12:13], v1, s6, v[70:71]
	v_mov_b32_e32 v67, v70
	v_lshlrev_b64 v[66:67], 2, v[66:67]
	s_waitcnt lgkmcnt(0)
	v_lshl_add_u64 v[70:71], s[10:11], 0, v[66:67]
	v_lshl_add_u64 v[66:67], s[8:9], 0, v[66:67]
	global_store_dword v[70:71], v87, off
	global_store_dword v[66:67], v88, off
.LBB233_15:
	s_or_b64 exec, exec, s[4:5]
	v_lshl_or_b32 v1, v86, 9, v68
	s_waitcnt lgkmcnt(0)
	s_barrier
	ds_read_b128 v[70:73], v1
	ds_read_b128 v[66:69], v1 offset:16
	s_waitcnt vmcnt(15) lgkmcnt(1)
	v_mfma_f32_16x16x16_f16 v[78:81], v[30:31], v[70:71], 0
	s_mov_b32 s3, 0
	v_cmp_gt_u32_e32 vcc, 64, v0
	v_mfma_f32_16x16x16_f16 v[30:33], v[32:33], v[72:73], v[78:81]
	s_waitcnt vmcnt(14) lgkmcnt(0)
	v_mfma_f32_16x16x16_f16 v[30:33], v[26:27], v[66:67], v[30:33]
	v_mfma_f32_16x16x16_f16 v[26:29], v[28:29], v[68:69], v[30:33]
	s_nop 5
	ds_read_b128 v[30:33], v1 offset:2048
	ds_read_b128 v[78:81], v1 offset:2064
	s_waitcnt vmcnt(13) lgkmcnt(1)
	v_mfma_f32_16x16x16_f16 v[26:29], v[22:23], v[30:31], v[26:29]
	v_mfma_f32_16x16x16_f16 v[22:25], v[24:25], v[32:33], v[26:29]
	s_waitcnt vmcnt(12) lgkmcnt(0)
	v_mfma_f32_16x16x16_f16 v[22:25], v[18:19], v[78:79], v[22:25]
	v_mfma_f32_16x16x16_f16 v[18:21], v[20:21], v[80:81], v[22:25]
	s_nop 5
	ds_read_b128 v[22:25], v1 offset:4096
	ds_read_b128 v[26:29], v1 offset:4112
	s_waitcnt vmcnt(11) lgkmcnt(1)
	v_mfma_f32_16x16x16_f16 v[18:21], v[14:15], v[22:23], v[18:21]
	v_mfma_f32_16x16x16_f16 v[14:17], v[16:17], v[24:25], v[18:21]
	s_waitcnt vmcnt(10) lgkmcnt(0)
	v_mfma_f32_16x16x16_f16 v[14:17], v[10:11], v[26:27], v[14:17]
	v_mfma_f32_16x16x16_f16 v[10:13], v[12:13], v[28:29], v[14:17]
	s_nop 5
	ds_read_b128 v[14:17], v1 offset:6144
	ds_read_b128 v[18:21], v1 offset:6160
	s_waitcnt lgkmcnt(0)
	s_barrier
	s_waitcnt vmcnt(9)
	v_mfma_f32_16x16x16_f16 v[10:13], v[6:7], v[14:15], v[10:13]
	v_mfma_f32_16x16x16_f16 v[6:9], v[8:9], v[16:17], v[10:13]
	s_waitcnt vmcnt(8)
	v_mfma_f32_16x16x16_f16 v[6:9], v[2:3], v[18:19], v[6:9]
	v_mfma_f32_16x16x16_f16 v[2:5], v[4:5], v[20:21], v[6:9]
	;; [unrolled: 3-line block ×3, first 2 shown]
	s_nop 3
	v_cvt_f16_f32_e32 v1, v2
	v_cvt_f16_f32_e32 v10, v3
	;; [unrolled: 1-line block ×3, first 2 shown]
	s_waitcnt vmcnt(6)
	v_mfma_f32_16x16x16_f16 v[6:9], v[38:39], v[66:67], v[6:9]
	v_cvt_f16_f32_e32 v12, v5
	v_mfma_f32_16x16x16_f16 v[6:9], v[40:41], v[68:69], v[6:9]
	s_waitcnt vmcnt(5)
	v_mfma_f32_16x16x16_f16 v[6:9], v[42:43], v[30:31], v[6:9]
	v_mfma_f32_16x16x16_f16 v[6:9], v[44:45], v[32:33], v[6:9]
	s_waitcnt vmcnt(4)
	v_mfma_f32_16x16x16_f16 v[6:9], v[34:35], v[78:79], v[6:9]
	;; [unrolled: 3-line block ×6, first 2 shown]
	v_mfma_f32_16x16x16_f16 v[2:5], v[60:61], v[20:21], v[6:9]
	s_nop 6
	v_cvt_f16_f32_e32 v6, v2
	v_cvt_f16_f32_e32 v7, v3
	;; [unrolled: 1-line block ×4, first 2 shown]
	v_pack_b32_f16 v2, v1, v10
	v_pack_b32_f16 v3, v11, v12
	;; [unrolled: 1-line block ×4, first 2 shown]
	ds_write2st64_b64 v75, v[2:3], v[4:5] offset1:1
	s_waitcnt lgkmcnt(0)
	s_barrier
	s_and_saveexec_b64 s[4:5], vcc
	s_cbranch_execz .LBB233_18
; %bb.16:
	s_load_dwordx2 s[4:5], s[0:1], 0x68
	s_lshl_b32 s0, s6, 7
	s_mul_i32 s1, s7, s2
	v_lshlrev_b32_e32 v4, 6, v76
	s_mul_hi_u32 s7, s1, s0
	s_mul_i32 s6, s1, s0
	v_lshlrev_b32_e32 v3, 4, v0
	v_lshl_or_b32 v0, v0, 10, v4
	s_lshl_b64 s[6:7], s[6:7], 1
	v_lshlrev_b32_e32 v1, 5, v86
	v_and_b32_e32 v3, 16, v3
	v_and_b32_e32 v0, 0x1a00, v0
	s_waitcnt lgkmcnt(0)
	s_add_u32 s1, s4, s6
	v_or3_b32 v3, v0, v1, v3
	s_addc_u32 s4, s5, s7
	s_lshl_b32 s2, s26, 7
	s_lshl_b64 s[2:3], s[2:3], 1
	ds_read_b128 v[4:7], v3
	s_add_u32 s2, s1, s2
	s_addc_u32 s3, s4, s3
	v_mov_b32_e32 v75, 0
	v_add_u32_e32 v8, s40, v86
	v_or_b32_e32 v2, 4, v86
	v_lshl_add_u64 v[0:1], s[2:3], 0, v[74:75]
	v_mad_u64_u32 v[8:9], s[2:3], v8, s0, 0
	v_lshl_add_u64 v[8:9], v[8:9], 1, v[0:1]
	v_cmp_gt_u32_e32 vcc, 6, v2
	s_waitcnt lgkmcnt(0)
	global_store_dwordx4 v[8:9], v[4:7], off
	s_and_b64 exec, exec, vcc
	s_cbranch_execz .LBB233_18
; %bb.17:
	ds_read_b128 v[4:7], v3 offset:128
	v_add_u32_e32 v2, s40, v2
	v_mad_u64_u32 v[2:3], s[0:1], v2, s0, 0
	v_lshl_add_u64 v[0:1], v[2:3], 1, v[0:1]
	s_waitcnt lgkmcnt(0)
	global_store_dwordx4 v[0:1], v[4:7], off
.LBB233_18:
	s_endpgm
	.section	.rodata,"a",@progbits
	.p2align	6, 0x0
	.amdhsa_kernel _Z39paged_attention_ll4mi_QKV_mfma16_kernelIDF16_DF16_LN4vllm18Fp8KVCacheDataTypeE0EhLi16ELi128ELi256ELb0ELi6EEvPKT_PKT0_S7_ifPKiS9_S9_iPKfiiiPfSC_PS2_PT2_iSB_SB_
		.amdhsa_group_segment_fixed_size 8192
		.amdhsa_private_segment_fixed_size 0
		.amdhsa_kernarg_size 400
		.amdhsa_user_sgpr_count 2
		.amdhsa_user_sgpr_dispatch_ptr 0
		.amdhsa_user_sgpr_queue_ptr 0
		.amdhsa_user_sgpr_kernarg_segment_ptr 1
		.amdhsa_user_sgpr_dispatch_id 0
		.amdhsa_user_sgpr_kernarg_preload_length 0
		.amdhsa_user_sgpr_kernarg_preload_offset 0
		.amdhsa_user_sgpr_private_segment_size 0
		.amdhsa_uses_dynamic_stack 0
		.amdhsa_enable_private_segment 0
		.amdhsa_system_sgpr_workgroup_id_x 1
		.amdhsa_system_sgpr_workgroup_id_y 1
		.amdhsa_system_sgpr_workgroup_id_z 1
		.amdhsa_system_sgpr_workgroup_info 0
		.amdhsa_system_vgpr_workitem_id 0
		.amdhsa_next_free_vgpr 96
		.amdhsa_next_free_sgpr 42
		.amdhsa_accum_offset 96
		.amdhsa_reserve_vcc 1
		.amdhsa_float_round_mode_32 0
		.amdhsa_float_round_mode_16_64 0
		.amdhsa_float_denorm_mode_32 3
		.amdhsa_float_denorm_mode_16_64 3
		.amdhsa_dx10_clamp 1
		.amdhsa_ieee_mode 1
		.amdhsa_fp16_overflow 0
		.amdhsa_tg_split 0
		.amdhsa_exception_fp_ieee_invalid_op 0
		.amdhsa_exception_fp_denorm_src 0
		.amdhsa_exception_fp_ieee_div_zero 0
		.amdhsa_exception_fp_ieee_overflow 0
		.amdhsa_exception_fp_ieee_underflow 0
		.amdhsa_exception_fp_ieee_inexact 0
		.amdhsa_exception_int_div_zero 0
	.end_amdhsa_kernel
	.section	.text._Z39paged_attention_ll4mi_QKV_mfma16_kernelIDF16_DF16_LN4vllm18Fp8KVCacheDataTypeE0EhLi16ELi128ELi256ELb0ELi6EEvPKT_PKT0_S7_ifPKiS9_S9_iPKfiiiPfSC_PS2_PT2_iSB_SB_,"axG",@progbits,_Z39paged_attention_ll4mi_QKV_mfma16_kernelIDF16_DF16_LN4vllm18Fp8KVCacheDataTypeE0EhLi16ELi128ELi256ELb0ELi6EEvPKT_PKT0_S7_ifPKiS9_S9_iPKfiiiPfSC_PS2_PT2_iSB_SB_,comdat
.Lfunc_end233:
	.size	_Z39paged_attention_ll4mi_QKV_mfma16_kernelIDF16_DF16_LN4vllm18Fp8KVCacheDataTypeE0EhLi16ELi128ELi256ELb0ELi6EEvPKT_PKT0_S7_ifPKiS9_S9_iPKfiiiPfSC_PS2_PT2_iSB_SB_, .Lfunc_end233-_Z39paged_attention_ll4mi_QKV_mfma16_kernelIDF16_DF16_LN4vllm18Fp8KVCacheDataTypeE0EhLi16ELi128ELi256ELb0ELi6EEvPKT_PKT0_S7_ifPKiS9_S9_iPKfiiiPfSC_PS2_PT2_iSB_SB_
                                        ; -- End function
	.section	.AMDGPU.csdata,"",@progbits
; Kernel info:
; codeLenInByte = 4404
; NumSgprs: 48
; NumVgprs: 96
; NumAgprs: 0
; TotalNumVgprs: 96
; ScratchSize: 0
; MemoryBound: 0
; FloatMode: 240
; IeeeMode: 1
; LDSByteSize: 8192 bytes/workgroup (compile time only)
; SGPRBlocks: 5
; VGPRBlocks: 11
; NumSGPRsForWavesPerEU: 48
; NumVGPRsForWavesPerEU: 96
; AccumOffset: 96
; Occupancy: 5
; WaveLimiterHint : 1
; COMPUTE_PGM_RSRC2:SCRATCH_EN: 0
; COMPUTE_PGM_RSRC2:USER_SGPR: 2
; COMPUTE_PGM_RSRC2:TRAP_HANDLER: 0
; COMPUTE_PGM_RSRC2:TGID_X_EN: 1
; COMPUTE_PGM_RSRC2:TGID_Y_EN: 1
; COMPUTE_PGM_RSRC2:TGID_Z_EN: 1
; COMPUTE_PGM_RSRC2:TIDIG_COMP_CNT: 0
; COMPUTE_PGM_RSRC3_GFX90A:ACCUM_OFFSET: 23
; COMPUTE_PGM_RSRC3_GFX90A:TG_SPLIT: 0
	.section	.text._Z39paged_attention_ll4mi_QKV_mfma16_kernelIDF16_DF16_LN4vllm18Fp8KVCacheDataTypeE0EhLi16ELi128ELi256ELb0ELi7EEvPKT_PKT0_S7_ifPKiS9_S9_iPKfiiiPfSC_PS2_PT2_iSB_SB_,"axG",@progbits,_Z39paged_attention_ll4mi_QKV_mfma16_kernelIDF16_DF16_LN4vllm18Fp8KVCacheDataTypeE0EhLi16ELi128ELi256ELb0ELi7EEvPKT_PKT0_S7_ifPKiS9_S9_iPKfiiiPfSC_PS2_PT2_iSB_SB_,comdat
	.protected	_Z39paged_attention_ll4mi_QKV_mfma16_kernelIDF16_DF16_LN4vllm18Fp8KVCacheDataTypeE0EhLi16ELi128ELi256ELb0ELi7EEvPKT_PKT0_S7_ifPKiS9_S9_iPKfiiiPfSC_PS2_PT2_iSB_SB_ ; -- Begin function _Z39paged_attention_ll4mi_QKV_mfma16_kernelIDF16_DF16_LN4vllm18Fp8KVCacheDataTypeE0EhLi16ELi128ELi256ELb0ELi7EEvPKT_PKT0_S7_ifPKiS9_S9_iPKfiiiPfSC_PS2_PT2_iSB_SB_
	.globl	_Z39paged_attention_ll4mi_QKV_mfma16_kernelIDF16_DF16_LN4vllm18Fp8KVCacheDataTypeE0EhLi16ELi128ELi256ELb0ELi7EEvPKT_PKT0_S7_ifPKiS9_S9_iPKfiiiPfSC_PS2_PT2_iSB_SB_
	.p2align	8
	.type	_Z39paged_attention_ll4mi_QKV_mfma16_kernelIDF16_DF16_LN4vllm18Fp8KVCacheDataTypeE0EhLi16ELi128ELi256ELb0ELi7EEvPKT_PKT0_S7_ifPKiS9_S9_iPKfiiiPfSC_PS2_PT2_iSB_SB_,@function
_Z39paged_attention_ll4mi_QKV_mfma16_kernelIDF16_DF16_LN4vllm18Fp8KVCacheDataTypeE0EhLi16ELi128ELi256ELb0ELi7EEvPKT_PKT0_S7_ifPKiS9_S9_iPKfiiiPfSC_PS2_PT2_iSB_SB_: ; @_Z39paged_attention_ll4mi_QKV_mfma16_kernelIDF16_DF16_LN4vllm18Fp8KVCacheDataTypeE0EhLi16ELi128ELi256ELb0ELi7EEvPKT_PKT0_S7_ifPKiS9_S9_iPKfiiiPfSC_PS2_PT2_iSB_SB_
; %bb.0:
	s_load_dwordx2 s[8:9], s[0:1], 0x30
	s_mov_b32 s26, s3
	s_mov_b64 s[6:7], 0
	s_waitcnt lgkmcnt(0)
	s_cmp_lg_u64 s[8:9], 0
	s_cselect_b64 s[10:11], -1, 0
	s_and_b64 vcc, exec, s[10:11]
	s_cbranch_vccz .LBB234_7
; %bb.1:
	s_add_i32 s12, s2, 1
	s_mov_b32 s13, 0
	s_lshl_b64 s[14:15], s[12:13], 2
	s_add_u32 s14, s8, s14
	s_mov_b32 s3, s13
	s_addc_u32 s15, s9, s15
	s_lshl_b64 s[12:13], s[2:3], 2
	s_add_u32 s12, s8, s12
	s_addc_u32 s13, s9, s13
	s_load_dword s5, s[14:15], 0x0
	s_load_dword s16, s[12:13], 0x0
	s_waitcnt lgkmcnt(0)
	s_sub_i32 s5, s5, s16
	s_cmp_eq_u32 s5, 1
	s_cselect_b64 s[12:13], -1, 0
	s_andn2_b64 vcc, exec, s[6:7]
	s_cbranch_vccnz .LBB234_3
.LBB234_2:
	s_mov_b32 s3, 0
	s_mov_b64 s[12:13], -1
.LBB234_3:
	s_andn2_b64 vcc, exec, s[12:13]
	s_cbranch_vccnz .LBB234_18
; %bb.4:
	s_load_dwordx2 s[6:7], s[0:1], 0x28
	s_lshl_b64 s[16:17], s[2:3], 2
	s_waitcnt lgkmcnt(0)
	s_add_u32 s6, s6, s16
	s_addc_u32 s7, s7, s17
	s_load_dword s33, s[6:7], 0x0
	s_lshl_b32 s18, s26, 8
	s_waitcnt lgkmcnt(0)
	s_cmp_ge_i32 s18, s33
	s_cbranch_scc1 .LBB234_18
; %bb.5:
	s_load_dwordx2 s[6:7], s[0:1], 0x20
	s_load_dword s5, s[0:1], 0x38
	s_add_i32 s12, s33, 15
	s_ashr_i32 s13, s12, 31
	v_and_b32_e32 v1, 0xcf, v0
	s_lshr_b32 s13, s13, 28
	v_add_u32_e32 v1, s18, v1
	s_add_i32 s12, s12, s13
	v_ashrrev_i32_e32 v2, 31, v1
	s_ashr_i32 s19, s12, 4
	v_lshrrev_b32_e32 v4, 28, v2
	s_add_i32 s19, s19, -1
	s_waitcnt lgkmcnt(0)
	s_mul_i32 s12, s2, s5
	s_mov_b32 s13, 0
	v_add_u32_e32 v2, v1, v4
	s_lshl_b64 s[12:13], s[12:13], 2
	v_ashrrev_i32_e32 v2, 4, v2
	v_mov_b32_e32 v5, s19
	v_cmp_gt_i32_e32 vcc, s33, v1
	s_add_u32 s6, s6, s12
	s_addc_u32 s7, s7, s13
	v_cndmask_b32_e32 v2, v5, v2, vcc
	v_ashrrev_i32_e32 v3, 31, v2
	v_lshl_add_u64 v[6:7], v[2:3], 2, s[6:7]
	v_or_b32_e32 v2, 16, v1
	v_add_u32_e32 v3, v2, v4
	v_ashrrev_i32_e32 v3, 4, v3
	v_cmp_gt_i32_e32 vcc, s33, v2
	s_load_dwordx4 s[12:15], s[0:1], 0x8
	s_nop 0
	v_cndmask_b32_e32 v2, v5, v3, vcc
	v_ashrrev_i32_e32 v3, 31, v2
	v_lshl_add_u64 v[8:9], v[2:3], 2, s[6:7]
	v_or_b32_e32 v2, 32, v1
	v_add_u32_e32 v3, v2, v4
	v_ashrrev_i32_e32 v3, 4, v3
	v_cmp_gt_i32_e32 vcc, s33, v2
	v_or_b32_e32 v1, 48, v1
	s_nop 0
	v_cndmask_b32_e32 v2, v5, v3, vcc
	v_ashrrev_i32_e32 v3, 31, v2
	v_lshl_add_u64 v[10:11], v[2:3], 2, s[6:7]
	v_add_u32_e32 v2, v1, v4
	v_ashrrev_i32_e32 v2, 4, v2
	v_cmp_gt_i32_e32 vcc, s33, v1
	s_nop 1
	v_cndmask_b32_e32 v2, v5, v2, vcc
	v_ashrrev_i32_e32 v3, 31, v2
	v_lshl_add_u64 v[12:13], v[2:3], 2, s[6:7]
	global_load_dword v4, v[6:7], off
	global_load_dword v3, v[8:9], off
	;; [unrolled: 1-line block ×4, first 2 shown]
	s_andn2_b64 vcc, exec, s[10:11]
	s_cbranch_vccnz .LBB234_8
; %bb.6:
	s_add_u32 s8, s8, s16
	s_addc_u32 s9, s9, s17
	s_load_dword s5, s[8:9], 0x0
	s_branch .LBB234_9
.LBB234_7:
	s_mov_b64 s[12:13], 0
	s_branch .LBB234_2
.LBB234_8:
	s_mov_b32 s5, s2
.LBB234_9:
	s_load_dwordx4 s[8:11], s[0:1], 0x48
	v_lshrrev_b32_e32 v77, 6, v0
	v_bfe_u32 v86, v0, 4, 2
	v_and_b32_e32 v76, 15, v0
	v_lshl_or_b32 v1, v77, 2, v86
	v_lshlrev_b32_e32 v5, 3, v76
	v_and_b32_e32 v87, 63, v0
	s_mul_i32 s40, s4, 7
	v_cmp_gt_u32_e32 vcc, 7, v1
	v_lshlrev_b32_e32 v74, 1, v5
	s_and_saveexec_b64 s[16:17], vcc
	s_cbranch_execz .LBB234_11
; %bb.10:
	s_load_dwordx2 s[20:21], s[0:1], 0x0
	s_waitcnt lgkmcnt(0)
	s_ashr_i32 s11, s8, 31
	s_mul_hi_u32 s22, s5, s8
	s_mul_i32 s11, s5, s11
	s_add_i32 s23, s22, s11
	s_mul_i32 s22, s5, s8
	s_lshl_b64 s[22:23], s[22:23], 1
	s_add_u32 s20, s20, s22
	v_add_lshl_u32 v6, v1, s40, 7
	s_addc_u32 s21, s21, s23
	v_ashrrev_i32_e32 v7, 31, v6
	v_lshl_add_u64 v[6:7], v[6:7], 1, s[20:21]
	v_mov_b32_e32 v75, 0
	v_lshl_add_u64 v[6:7], v[6:7], 0, v[74:75]
	global_load_dwordx4 v[6:9], v[6:7], off
	v_and_b32_e32 v5, 3, v0
	v_lshlrev_b32_e32 v10, 9, v76
	v_lshlrev_b32_e32 v1, 5, v1
	;; [unrolled: 1-line block ×3, first 2 shown]
	v_and_b32_e32 v10, 0x1800, v10
	v_or3_b32 v1, v10, v5, v1
	s_waitcnt vmcnt(0)
	ds_write_b128 v1, v[6:9]
.LBB234_11:
	s_or_b64 exec, exec, s[16:17]
	s_waitcnt lgkmcnt(0)
	s_mul_i32 s4, s4, s10
	s_mov_b32 s5, 0
	s_lshl_b64 s[4:5], s[4:5], 1
	s_add_u32 s10, s12, s4
	v_lshlrev_b32_e32 v1, 4, v0
	s_addc_u32 s11, s13, s5
	v_and_b32_e32 v34, 0xf0, v1
	v_mov_b32_e32 v35, 0
	v_lshl_add_u64 v[30:31], s[10:11], 0, v[34:35]
	s_waitcnt vmcnt(3)
	v_mad_i64_i32 v[4:5], s[10:11], v4, s9, 0
	v_lshl_add_u64 v[4:5], v[4:5], 1, v[30:31]
	v_and_b32_e32 v34, 0x300, v1
	v_lshl_add_u64 v[32:33], v[4:5], 0, v[34:35]
	s_load_dword s27, s[0:1], 0x98
	s_load_dword s8, s[0:1], 0x1c
	s_waitcnt lgkmcnt(0)
	s_barrier
	global_load_dwordx4 v[6:9], v[32:33], off
	global_load_dwordx4 v[18:21], v[32:33], off offset:1024
	s_waitcnt vmcnt(4)
	v_mad_i64_i32 v[4:5], s[10:11], v3, s9, 0
	v_lshl_add_u64 v[4:5], v[4:5], 1, v[30:31]
	v_lshl_add_u64 v[36:37], v[4:5], 0, v[34:35]
	global_load_dwordx4 v[14:17], v[36:37], off
	global_load_dwordx4 v[22:25], v[36:37], off offset:1024
	s_waitcnt vmcnt(5)
	v_mad_i64_i32 v[2:3], s[10:11], v2, s9, 0
	v_lshl_add_u64 v[2:3], v[2:3], 1, v[30:31]
	v_lshl_add_u64 v[38:39], v[2:3], 0, v[34:35]
	global_load_dwordx4 v[26:29], v[38:39], off
	global_load_dwordx4 v[46:49], v[38:39], off offset:1024
	v_mul_lo_u16_e32 v2, 37, v76
	v_mov_b32_e32 v3, 7
	v_mul_lo_u16_sdwa v2, v2, v3 dst_sel:DWORD dst_unused:UNUSED_PAD src0_sel:BYTE_1 src1_sel:DWORD
	v_mov_b32_e32 v4, 5
	v_sub_u16_e32 v2, v76, v2
	v_lshlrev_b32_sdwa v2, v4, v2 dst_sel:DWORD dst_unused:UNUSED_PAD src0_sel:DWORD src1_sel:BYTE_0
	v_lshl_add_u32 v41, v86, 9, v2
	ds_read_b128 v[10:13], v41
	ds_read_b128 v[2:5], v41 offset:2048
	global_load_dwordx4 v[54:57], v[32:33], off offset:2048
	global_load_dwordx4 v[62:65], v[36:37], off offset:2048
	v_mov_b32_e32 v70, s19
	s_add_u32 s4, s14, s4
	s_addc_u32 s5, s15, s5
	s_mov_b32 s41, 0xff7fffff
	s_waitcnt vmcnt(7) lgkmcnt(1)
	v_mfma_f32_16x16x16_f16 v[42:45], v[6:7], v[10:11], 0
	v_mfma_f32_16x16x16_f16 v[6:9], v[8:9], v[12:13], v[42:45]
	s_nop 5
	global_load_dwordx4 v[42:45], v[38:39], off offset:2048
	s_waitcnt vmcnt(6)
	v_mfma_f32_16x16x16_f16 v[50:53], v[14:15], v[10:11], 0
	s_waitcnt vmcnt(4)
	v_mfma_f32_16x16x16_f16 v[58:61], v[26:27], v[10:11], 0
	v_mfma_f32_16x16x16_f16 v[14:17], v[16:17], v[12:13], v[50:53]
	s_nop 3
	global_load_dwordx4 v[50:53], v[32:33], off offset:3072
	v_mfma_f32_16x16x16_f16 v[26:29], v[28:29], v[12:13], v[58:61]
	v_mad_i64_i32 v[32:33], s[10:11], v40, s9, 0
	v_and_or_b32 v40, v0, 48, s18
	s_waitcnt lgkmcnt(0)
	v_mfma_f32_16x16x16_f16 v[14:17], v[22:23], v[2:3], v[14:17]
	v_ashrrev_i32_e32 v58, 4, v40
	v_cmp_gt_i32_e32 vcc, s33, v40
	v_or_b32_e32 v66, 64, v40
	v_mfma_f32_16x16x16_f16 v[6:9], v[18:19], v[2:3], v[6:9]
	v_cndmask_b32_e32 v18, v70, v58, vcc
	global_load_dwordx4 v[58:61], v[36:37], off offset:3072
	v_ashrrev_i32_e32 v22, 4, v66
	s_waitcnt vmcnt(5)
	v_mfma_f32_16x16x16_f16 v[26:29], v[46:47], v[2:3], v[26:29]
	v_ashrrev_i32_e32 v19, 31, v18
	v_cmp_gt_i32_e32 vcc, s33, v66
	v_lshl_add_u64 v[18:19], v[18:19], 2, s[6:7]
	v_mfma_f32_16x16x16_f16 v[14:17], v[24:25], v[4:5], v[14:17]
	v_cndmask_b32_e32 v36, v70, v22, vcc
	global_load_dwordx4 v[22:25], v[38:39], off offset:3072
	global_load_dword v82, v[18:19], off
	v_mfma_f32_16x16x16_f16 v[6:9], v[20:21], v[4:5], v[6:9]
	v_ashrrev_i32_e32 v37, 31, v36
	ds_read_b128 v[66:69], v41 offset:4096
	v_or_b32_e32 v71, 0x80, v40
	v_mfma_f32_16x16x16_f16 v[18:21], v[48:49], v[4:5], v[26:29]
	v_ashrrev_i32_e32 v73, 4, v71
	v_cmp_gt_i32_e32 vcc, s33, v71
	v_or_b32_e32 v72, 0xc0, v40
	v_lshl_add_u64 v[26:27], v[32:33], 1, v[30:31]
	v_lshl_add_u64 v[26:27], v[26:27], 0, v[34:35]
	;; [unrolled: 1-line block ×3, first 2 shown]
	global_load_dwordx4 v[46:49], v[26:27], off
	global_load_dword v36, v[28:29], off
	s_waitcnt vmcnt(8) lgkmcnt(0)
	v_mfma_f32_16x16x16_f16 v[6:9], v[54:55], v[66:67], v[6:9]
	v_cndmask_b32_e32 v28, v70, v73, vcc
	v_ashrrev_i32_e32 v29, 31, v28
	v_ashrrev_i32_e32 v75, 4, v72
	v_mfma_f32_16x16x16_f16 v[6:9], v[56:57], v[68:69], v[6:9]
	global_load_dwordx4 v[54:57], v[26:27], off offset:1024
	v_lshl_add_u64 v[28:29], v[28:29], 2, s[6:7]
	v_cmp_gt_i32_e32 vcc, s33, v72
	global_load_dword v83, v[28:29], off
	s_waitcnt vmcnt(9)
	v_mfma_f32_16x16x16_f16 v[14:17], v[62:63], v[66:67], v[14:17]
	v_cndmask_b32_e32 v28, v70, v75, vcc
	v_ashrrev_i32_e32 v29, 31, v28
	v_lshl_add_u64 v[28:29], v[28:29], 2, s[6:7]
	v_mfma_f32_16x16x16_f16 v[14:17], v[64:65], v[68:69], v[14:17]
	global_load_dword v64, v[28:29], off
	ds_read_b128 v[38:41], v41 offset:6144
	v_lshl_or_b32 v75, v77, 4, v76
	v_lshlrev_b32_e32 v34, 5, v75
	v_lshl_add_u64 v[62:63], s[4:5], 0, v[34:35]
	v_or_b32_e32 v34, 0x800, v34
	s_waitcnt vmcnt(9)
	v_mfma_f32_16x16x16_f16 v[18:21], v[42:43], v[66:67], v[18:21]
	global_load_dwordx4 v[70:73], v[26:27], off offset:3072
	v_mfma_f32_16x16x16_f16 v[18:21], v[44:45], v[68:69], v[18:21]
	global_load_dwordx4 v[42:45], v[26:27], off offset:2048
	s_waitcnt vmcnt(10) lgkmcnt(0)
	v_mfma_f32_16x16x16_f16 v[6:9], v[50:51], v[38:39], v[6:9]
	v_mfma_f32_16x16x16_f16 v[78:81], v[52:53], v[40:41], v[6:9]
	s_waitcnt vmcnt(9)
	v_mfma_f32_16x16x16_f16 v[14:17], v[58:59], v[38:39], v[14:17]
	s_waitcnt vmcnt(7)
	s_nop 2
	v_mad_i64_i32 v[6:7], s[6:7], v82, s9, 0
	v_lshlrev_b64 v[52:53], 1, v[6:7]
	v_lshl_add_u64 v[6:7], v[62:63], 0, v[52:53]
	global_load_dwordx4 v[30:33], v[6:7], off
	global_load_dwordx4 v[26:29], v[6:7], off offset:16
	v_mfma_f32_16x16x16_f16 v[6:9], v[22:23], v[38:39], v[18:21]
	v_mfma_f32_16x16x16_f16 v[88:91], v[60:61], v[40:41], v[14:17]
	v_pk_mul_f32 v[60:61], s[8:9], v[78:79] op_sel_hi:[0,1]
	s_waitcnt vmcnt(7)
	s_nop 0
	v_mad_i64_i32 v[14:15], s[6:7], v36, s9, 0
	v_lshlrev_b64 v[36:37], 1, v[14:15]
	v_mfma_f32_16x16x16_f16 v[92:95], v[24:25], v[40:41], v[6:9]
	s_nop 0
	v_pk_mul_f32 v[84:85], s[8:9], v[90:91] op_sel_hi:[0,1]
	s_nop 0
	v_lshl_add_u64 v[6:7], v[62:63], 0, v[36:37]
	global_load_dwordx4 v[22:25], v[6:7], off
	global_load_dwordx4 v[18:21], v[6:7], off offset:16
	v_mfma_f32_16x16x16_f16 v[6:9], v[46:47], v[10:11], 0
	s_waitcnt vmcnt(7)
	v_mad_i64_i32 v[10:11], s[6:7], v83, s9, 0
	v_pk_mul_f32 v[82:83], s[8:9], v[80:81] op_sel_hi:[0,1]
	v_mfma_f32_16x16x16_f16 v[6:9], v[48:49], v[12:13], v[6:9]
	v_pk_mul_f32 v[80:81], s[8:9], v[92:93] op_sel_hi:[0,1]
	v_pk_mul_f32 v[78:79], s[8:9], v[94:95] op_sel_hi:[0,1]
	v_lshlrev_b64 v[50:51], 1, v[10:11]
	v_mfma_f32_16x16x16_f16 v[6:9], v[54:55], v[2:3], v[6:9]
	s_waitcnt vmcnt(6)
	v_mad_i64_i32 v[2:3], s[6:7], v64, s9, 0
	v_lshlrev_b64 v[58:59], 1, v[2:3]
	v_mfma_f32_16x16x16_f16 v[46:49], v[56:57], v[4:5], v[6:9]
	v_lshl_add_u64 v[10:11], v[62:63], 0, v[50:51]
	v_lshl_add_u64 v[2:3], v[62:63], 0, v[58:59]
	;; [unrolled: 1-line block ×4, first 2 shown]
	global_load_dwordx4 v[14:17], v[10:11], off
	s_nop 0
	global_load_dwordx4 v[10:13], v[10:11], off offset:16
	s_nop 0
	global_load_dwordx4 v[6:9], v[2:3], off
	s_nop 0
	global_load_dwordx4 v[2:5], v[2:3], off offset:16
	v_lshl_add_u64 v[50:51], v[62:63], 0, v[50:51]
	v_lshl_add_u64 v[58:59], v[62:63], 0, v[58:59]
	s_waitcnt vmcnt(8)
	v_mfma_f32_16x16x16_f16 v[46:49], v[42:43], v[66:67], v[46:49]
	v_mfma_f32_16x16x16_f16 v[42:45], v[44:45], v[68:69], v[46:49]
	;; [unrolled: 1-line block ×3, first 2 shown]
	v_pk_mul_f32 v[70:71], s[8:9], v[88:89] op_sel_hi:[0,1]
	v_mfma_f32_16x16x16_f16 v[38:41], v[72:73], v[40:41], v[42:45]
	s_nop 6
	v_pk_mul_f32 v[72:73], s[8:9], v[38:39] op_sel_hi:[0,1]
	v_and_b32_e32 v38, 0xc0, v0
	v_add_u32_e32 v38, s18, v38
	v_lshl_or_b32 v38, v86, 2, v38
	v_pk_mul_f32 v[66:67], s[8:9], v[40:41] op_sel_hi:[0,1]
	v_or_b32_e32 v41, 1, v38
	v_mov_b32_e32 v39, 0xff7fffff
	v_cmp_gt_i32_e64 s[28:29], s33, v38
	v_cmp_gt_i32_e64 s[30:31], s33, v41
	v_or_b32_e32 v42, 3, v38
	v_cndmask_b32_e64 v40, v39, v60, s[28:29]
	v_cndmask_b32_e64 v41, v39, v61, s[30:31]
	v_max3_f32 v40, v40, s41, v41
	v_or_b32_e32 v41, 2, v38
	v_cmp_gt_i32_e64 s[34:35], s33, v41
	v_cmp_gt_i32_e64 s[36:37], s33, v42
	s_nop 0
	v_cndmask_b32_e64 v41, v39, v82, s[34:35]
	v_cndmask_b32_e64 v42, v39, v83, s[36:37]
	v_max3_f32 v40, v40, v41, v42
	v_or_b32_e32 v41, 16, v38
	v_or_b32_e32 v42, 17, v38
	v_cmp_gt_i32_e64 s[22:23], s33, v41
	v_cmp_gt_i32_e64 s[24:25], s33, v42
	s_nop 0
	v_cndmask_b32_e64 v41, v39, v70, s[22:23]
	v_cndmask_b32_e64 v42, v39, v71, s[24:25]
	v_max3_f32 v40, v40, v41, v42
	v_or_b32_e32 v41, 18, v38
	;; [unrolled: 8-line block ×6, first 2 shown]
	v_or_b32_e32 v38, 51, v38
	v_cmp_gt_i32_e32 vcc, s33, v41
	v_cmp_gt_i32_e64 s[4:5], s33, v38
	s_nop 0
	v_cndmask_b32_e32 v41, v39, v66, vcc
	v_cndmask_b32_e64 v38, v39, v67, s[4:5]
	v_max3_f32 v52, v40, v41, v38
	v_mbcnt_lo_u32_b32 v38, -1, 0
	v_mbcnt_hi_u32_b32 v53, -1, v38
	v_and_b32_e32 v38, 64, v53
	v_add_u32_e32 v54, 64, v38
	v_xor_b32_e32 v38, 32, v53
	v_cmp_lt_i32_e64 s[38:39], v38, v54
	s_nop 1
	v_cndmask_b32_e64 v38, v53, v38, s[38:39]
	v_lshlrev_b32_e32 v89, 2, v38
	ds_bpermute_b32 v55, v89, v52
	global_load_dwordx4 v[46:49], v[34:35], off
	global_load_dwordx4 v[38:41], v[34:35], off offset:16
	v_lshl_add_u64 v[34:35], v[62:63], 0, v[36:37]
	global_load_dwordx4 v[42:45], v[34:35], off
	s_nop 0
	global_load_dwordx4 v[34:37], v[34:35], off offset:16
	s_waitcnt lgkmcnt(0)
	v_max_f32_e32 v55, v55, v55
	v_max_f32_e32 v64, v52, v55
	v_xor_b32_e32 v52, 16, v53
	v_cmp_lt_i32_e64 s[38:39], v52, v54
	s_nop 1
	v_cndmask_b32_e64 v52, v53, v52, s[38:39]
	v_lshlrev_b32_e32 v90, 2, v52
	ds_bpermute_b32 v65, v90, v64
	global_load_dwordx4 v[54:57], v[50:51], off
	s_nop 0
	global_load_dwordx4 v[50:53], v[50:51], off offset:16
	s_waitcnt lgkmcnt(0)
	v_max_f32_e32 v62, v65, v65
	v_max_f32_e32 v88, v64, v62
	v_sub_f32_e32 v60, v60, v88
	v_mul_f32_e32 v60, 0x3fb8aa3b, v60
	v_exp_f32_e32 v68, v60
	v_sub_f32_e32 v60, v61, v88
	v_mul_f32_e32 v60, 0x3fb8aa3b, v60
	v_exp_f32_e32 v69, v60
	global_load_dwordx4 v[62:65], v[58:59], off
	s_nop 0
	global_load_dwordx4 v[58:61], v[58:59], off offset:16
	v_sub_f32_e32 v82, v82, v88
	v_mul_f32_e32 v82, 0x3fb8aa3b, v82
	v_sub_f32_e32 v83, v83, v88
	v_exp_f32_e32 v82, v82
	v_mul_f32_e32 v83, 0x3fb8aa3b, v83
	v_sub_f32_e32 v70, v70, v88
	v_exp_f32_e32 v83, v83
	v_mul_f32_e32 v70, 0x3fb8aa3b, v70
	v_sub_f32_e32 v71, v71, v88
	v_cndmask_b32_e64 v68, 0, v68, s[28:29]
	v_exp_f32_e32 v70, v70
	v_mul_f32_e32 v71, 0x3fb8aa3b, v71
	v_sub_f32_e32 v84, v84, v88
	v_add_f32_e32 v91, 0, v68
	v_cndmask_b32_e64 v69, 0, v69, s[30:31]
	v_exp_f32_e32 v71, v71
	v_mul_f32_e32 v84, 0x3fb8aa3b, v84
	v_sub_f32_e32 v85, v85, v88
	v_add_f32_e32 v91, v91, v69
	;; [unrolled: 5-line block ×10, first 2 shown]
	v_cndmask_b32_e64 v78, 0, v78, s[10:11]
	v_exp_f32_e32 v66, v66
	v_mul_f32_e32 v67, 0x3fb8aa3b, v67
	v_add_f32_e32 v91, v91, v78
	v_cndmask_b32_e64 v79, 0, v79, s[12:13]
	v_exp_f32_e32 v67, v67
	v_add_f32_e32 v91, v91, v79
	v_cndmask_b32_e64 v72, 0, v72, s[6:7]
	v_add_f32_e32 v91, v91, v72
	v_cndmask_b32_e64 v73, 0, v73, s[8:9]
	v_add_f32_e32 v91, v91, v73
	v_cndmask_b32_e32 v66, 0, v66, vcc
	v_add_f32_e32 v91, v91, v66
	v_cndmask_b32_e64 v67, 0, v67, s[4:5]
	v_add_f32_e32 v91, v91, v67
	ds_bpermute_b32 v89, v89, v91
	v_cmp_gt_u32_e32 vcc, 16, v87
	s_waitcnt lgkmcnt(0)
	s_barrier
	v_add_f32_e32 v89, v91, v89
	ds_bpermute_b32 v90, v90, v89
	s_and_saveexec_b64 s[4:5], vcc
	s_cbranch_execz .LBB234_13
; %bb.12:
	s_waitcnt lgkmcnt(0)
	v_add_f32_e32 v87, v89, v90
	v_lshlrev_b32_e32 v75, 2, v75
	ds_write2st64_b32 v75, v88, v87 offset1:1
.LBB234_13:
	s_or_b64 exec, exec, s[4:5]
	v_lshlrev_b32_e32 v75, 2, v76
	s_load_dword s6, s[0:1], 0x94
	s_waitcnt lgkmcnt(0)
	s_barrier
	ds_read2_b32 v[88:89], v75 offset1:16
	ds_read2_b32 v[90:91], v75 offset0:32 offset1:48
	ds_read2_b32 v[92:93], v75 offset0:64 offset1:80
	;; [unrolled: 1-line block ×3, first 2 shown]
	s_waitcnt lgkmcnt(0)
	v_max3_f32 v87, v88, s41, v89
	v_max3_f32 v87, v87, v90, v91
	v_sub_f32_e32 v88, v88, v87
	v_mul_f32_e32 v88, 0x3fb8aa3b, v88
	v_exp_f32_e32 v1, v88
	v_sub_f32_e32 v88, v89, v87
	v_mul_f32_e32 v88, 0x3fb8aa3b, v88
	v_exp_f32_e32 v89, v88
	v_sub_f32_e32 v88, v90, v87
	v_mul_f32_e32 v88, 0x3fb8aa3b, v88
	v_sub_f32_e32 v75, v91, v87
	v_exp_f32_e32 v90, v88
	v_mul_f32_e32 v75, 0x3fb8aa3b, v75
	v_exp_f32_e32 v75, v75
	v_fma_f32 v88, v1, v92, 0
	v_fmac_f32_e32 v88, v89, v93
	v_fmac_f32_e32 v88, v90, v94
	;; [unrolled: 1-line block ×3, first 2 shown]
	v_add_f32_e32 v91, 0x358637bd, v88
	v_div_scale_f32 v92, s[4:5], v91, v91, 1.0
	v_rcp_f32_e32 v93, v92
	s_barrier
	s_mul_i32 s7, s27, 7
	v_fma_f32 v94, -v92, v93, 1.0
	v_fmac_f32_e32 v93, v94, v93
	v_div_scale_f32 v94, vcc, 1.0, v91, 1.0
	v_mul_f32_e32 v95, v94, v93
	v_fma_f32 v86, -v92, v95, v94
	v_fmac_f32_e32 v95, v86, v93
	v_fma_f32 v86, -v92, v95, v94
	v_div_fmas_f32 v86, v86, v93, v95
	v_cmp_eq_u32_e32 vcc, 1, v77
	v_div_fixup_f32 v86, v86, v91, 1.0
	s_nop 0
	v_cndmask_b32_e32 v1, v1, v89, vcc
	v_cmp_eq_u32_e32 vcc, 2, v77
	s_nop 1
	v_cndmask_b32_e32 v1, v1, v90, vcc
	v_cmp_eq_u32_e32 vcc, 3, v77
	s_nop 1
	v_cndmask_b32_e32 v1, v1, v75, vcc
	v_mul_f32_e32 v90, v1, v86
	v_pk_mul_f32 v[82:83], v[90:91], v[82:83] op_sel_hi:[0,1]
	v_pk_mul_f32 v[68:69], v[90:91], v[68:69] op_sel_hi:[0,1]
	v_cvt_f16_f32_e32 v1, v68
	v_cvt_f16_f32_e32 v68, v69
	;; [unrolled: 1-line block ×4, first 2 shown]
	v_pk_mul_f32 v[84:85], v[90:91], v[84:85] op_sel_hi:[0,1]
	v_pk_mul_f32 v[70:71], v[90:91], v[70:71] op_sel_hi:[0,1]
	v_bfe_u32 v86, v0, 4, 2
	v_pack_b32_f16 v83, v69, v75
	v_cvt_f16_f32_e32 v69, v70
	v_cvt_f16_f32_e32 v70, v71
	;; [unrolled: 1-line block ×4, first 2 shown]
	v_pack_b32_f16 v82, v1, v68
	v_lshlrev_b32_e32 v1, 3, v86
	v_lshlrev_b32_e32 v68, 5, v76
	;; [unrolled: 1-line block ×3, first 2 shown]
	v_or3_b32 v75, v75, v68, v1
	v_pack_b32_f16 v70, v69, v70
	v_pack_b32_f16 v71, v71, v84
	ds_write2st64_b64 v75, v[82:83], v[70:71] offset1:1
	v_pk_mul_f32 v[70:71], v[90:91], v[78:79] op_sel_hi:[0,1]
	v_pk_mul_f32 v[78:79], v[90:91], v[80:81] op_sel_hi:[0,1]
	v_cvt_f16_f32_e32 v1, v78
	v_cvt_f16_f32_e32 v77, v70
	;; [unrolled: 1-line block ×3, first 2 shown]
	v_pk_mul_f32 v[66:67], v[90:91], v[66:67] op_sel_hi:[0,1]
	v_pk_mul_f32 v[70:71], v[90:91], v[72:73] op_sel_hi:[0,1]
	v_cvt_f16_f32_e32 v69, v79
	v_cvt_f16_f32_e32 v70, v70
	;; [unrolled: 1-line block ×5, first 2 shown]
	v_pack_b32_f16 v66, v1, v69
	v_pack_b32_f16 v67, v77, v78
	;; [unrolled: 1-line block ×4, first 2 shown]
	v_cmp_gt_u32_e32 vcc, 7, v0
	ds_write2st64_b64 v75, v[66:67], v[70:71] offset0:2 offset1:3
	s_and_saveexec_b64 s[4:5], vcc
	s_cbranch_execz .LBB234_15
; %bb.14:
	s_mov_b32 s41, 0
	v_mov_b32_e32 v77, 0
	v_lshl_add_u64 v[66:67], s[40:41], 0, v[76:77]
	v_mov_b32_e32 v1, s7
	v_mad_u64_u32 v[66:67], s[12:13], s2, v1, v[66:67]
	s_mul_i32 s3, s3, s7
	v_mov_b32_e32 v70, s26
	v_mov_b32_e32 v71, v77
	s_load_dwordx4 s[8:11], s[0:1], 0x58
	v_add_u32_e32 v1, s3, v67
	v_mad_u64_u32 v[66:67], s[12:13], v66, s6, v[70:71]
	v_mov_b32_e32 v70, v67
	v_mad_u64_u32 v[70:71], s[12:13], v1, s6, v[70:71]
	v_mov_b32_e32 v67, v70
	v_lshlrev_b64 v[66:67], 2, v[66:67]
	s_waitcnt lgkmcnt(0)
	v_lshl_add_u64 v[70:71], s[10:11], 0, v[66:67]
	v_lshl_add_u64 v[66:67], s[8:9], 0, v[66:67]
	global_store_dword v[70:71], v87, off
	global_store_dword v[66:67], v88, off
.LBB234_15:
	s_or_b64 exec, exec, s[4:5]
	v_lshl_or_b32 v1, v86, 9, v68
	s_waitcnt lgkmcnt(0)
	s_barrier
	ds_read_b128 v[70:73], v1
	ds_read_b128 v[66:69], v1 offset:16
	s_waitcnt vmcnt(15) lgkmcnt(1)
	v_mfma_f32_16x16x16_f16 v[78:81], v[30:31], v[70:71], 0
	s_mov_b32 s3, 0
	v_cmp_gt_u32_e32 vcc, 64, v0
	v_mfma_f32_16x16x16_f16 v[30:33], v[32:33], v[72:73], v[78:81]
	s_waitcnt vmcnt(14) lgkmcnt(0)
	v_mfma_f32_16x16x16_f16 v[30:33], v[26:27], v[66:67], v[30:33]
	v_mfma_f32_16x16x16_f16 v[26:29], v[28:29], v[68:69], v[30:33]
	s_nop 5
	ds_read_b128 v[30:33], v1 offset:2048
	ds_read_b128 v[78:81], v1 offset:2064
	s_waitcnt vmcnt(13) lgkmcnt(1)
	v_mfma_f32_16x16x16_f16 v[26:29], v[22:23], v[30:31], v[26:29]
	v_mfma_f32_16x16x16_f16 v[22:25], v[24:25], v[32:33], v[26:29]
	s_waitcnt vmcnt(12) lgkmcnt(0)
	v_mfma_f32_16x16x16_f16 v[22:25], v[18:19], v[78:79], v[22:25]
	v_mfma_f32_16x16x16_f16 v[18:21], v[20:21], v[80:81], v[22:25]
	s_nop 5
	ds_read_b128 v[22:25], v1 offset:4096
	ds_read_b128 v[26:29], v1 offset:4112
	s_waitcnt vmcnt(11) lgkmcnt(1)
	v_mfma_f32_16x16x16_f16 v[18:21], v[14:15], v[22:23], v[18:21]
	v_mfma_f32_16x16x16_f16 v[14:17], v[16:17], v[24:25], v[18:21]
	s_waitcnt vmcnt(10) lgkmcnt(0)
	v_mfma_f32_16x16x16_f16 v[14:17], v[10:11], v[26:27], v[14:17]
	v_mfma_f32_16x16x16_f16 v[10:13], v[12:13], v[28:29], v[14:17]
	s_nop 5
	ds_read_b128 v[14:17], v1 offset:6144
	ds_read_b128 v[18:21], v1 offset:6160
	s_waitcnt lgkmcnt(0)
	s_barrier
	s_waitcnt vmcnt(9)
	v_mfma_f32_16x16x16_f16 v[10:13], v[6:7], v[14:15], v[10:13]
	v_mfma_f32_16x16x16_f16 v[6:9], v[8:9], v[16:17], v[10:13]
	s_waitcnt vmcnt(8)
	v_mfma_f32_16x16x16_f16 v[6:9], v[2:3], v[18:19], v[6:9]
	v_mfma_f32_16x16x16_f16 v[2:5], v[4:5], v[20:21], v[6:9]
	;; [unrolled: 3-line block ×3, first 2 shown]
	s_nop 3
	v_cvt_f16_f32_e32 v1, v2
	v_cvt_f16_f32_e32 v10, v3
	;; [unrolled: 1-line block ×3, first 2 shown]
	s_waitcnt vmcnt(6)
	v_mfma_f32_16x16x16_f16 v[6:9], v[38:39], v[66:67], v[6:9]
	v_cvt_f16_f32_e32 v12, v5
	v_mfma_f32_16x16x16_f16 v[6:9], v[40:41], v[68:69], v[6:9]
	s_waitcnt vmcnt(5)
	v_mfma_f32_16x16x16_f16 v[6:9], v[42:43], v[30:31], v[6:9]
	v_mfma_f32_16x16x16_f16 v[6:9], v[44:45], v[32:33], v[6:9]
	s_waitcnt vmcnt(4)
	v_mfma_f32_16x16x16_f16 v[6:9], v[34:35], v[78:79], v[6:9]
	;; [unrolled: 3-line block ×6, first 2 shown]
	v_mfma_f32_16x16x16_f16 v[2:5], v[60:61], v[20:21], v[6:9]
	s_nop 6
	v_cvt_f16_f32_e32 v6, v2
	v_cvt_f16_f32_e32 v7, v3
	;; [unrolled: 1-line block ×4, first 2 shown]
	v_pack_b32_f16 v2, v1, v10
	v_pack_b32_f16 v3, v11, v12
	;; [unrolled: 1-line block ×4, first 2 shown]
	ds_write2st64_b64 v75, v[2:3], v[4:5] offset1:1
	s_waitcnt lgkmcnt(0)
	s_barrier
	s_and_saveexec_b64 s[4:5], vcc
	s_cbranch_execz .LBB234_18
; %bb.16:
	s_load_dwordx2 s[4:5], s[0:1], 0x68
	s_lshl_b32 s0, s6, 7
	s_mul_i32 s1, s7, s2
	v_lshlrev_b32_e32 v3, 6, v76
	s_mul_hi_u32 s7, s1, s0
	s_mul_i32 s6, s1, s0
	v_lshlrev_b32_e32 v2, 4, v0
	v_lshl_or_b32 v0, v0, 10, v3
	s_lshl_b64 s[6:7], s[6:7], 1
	v_lshlrev_b32_e32 v1, 5, v86
	v_and_b32_e32 v2, 16, v2
	v_and_b32_e32 v0, 0x1a00, v0
	s_waitcnt lgkmcnt(0)
	s_add_u32 s1, s4, s6
	v_or3_b32 v2, v0, v1, v2
	s_addc_u32 s4, s5, s7
	s_lshl_b32 s2, s26, 7
	s_lshl_b64 s[2:3], s[2:3], 1
	ds_read_b128 v[4:7], v2
	s_add_u32 s2, s1, s2
	s_addc_u32 s3, s4, s3
	v_mov_b32_e32 v75, 0
	v_add_u32_e32 v3, s40, v86
	v_lshl_add_u64 v[0:1], s[2:3], 0, v[74:75]
	v_mad_u64_u32 v[8:9], s[2:3], v3, s0, 0
	v_lshl_add_u64 v[8:9], v[8:9], 1, v[0:1]
	v_cmp_ne_u32_e32 vcc, 3, v86
	s_waitcnt lgkmcnt(0)
	global_store_dwordx4 v[8:9], v[4:7], off
	s_and_b64 exec, exec, vcc
	s_cbranch_execz .LBB234_18
; %bb.17:
	ds_read_b128 v[2:5], v2 offset:128
	v_add3_u32 v6, s40, v86, 4
	v_mad_u64_u32 v[6:7], s[0:1], v6, s0, 0
	v_lshl_add_u64 v[0:1], v[6:7], 1, v[0:1]
	s_waitcnt lgkmcnt(0)
	global_store_dwordx4 v[0:1], v[2:5], off
.LBB234_18:
	s_endpgm
	.section	.rodata,"a",@progbits
	.p2align	6, 0x0
	.amdhsa_kernel _Z39paged_attention_ll4mi_QKV_mfma16_kernelIDF16_DF16_LN4vllm18Fp8KVCacheDataTypeE0EhLi16ELi128ELi256ELb0ELi7EEvPKT_PKT0_S7_ifPKiS9_S9_iPKfiiiPfSC_PS2_PT2_iSB_SB_
		.amdhsa_group_segment_fixed_size 8192
		.amdhsa_private_segment_fixed_size 0
		.amdhsa_kernarg_size 400
		.amdhsa_user_sgpr_count 2
		.amdhsa_user_sgpr_dispatch_ptr 0
		.amdhsa_user_sgpr_queue_ptr 0
		.amdhsa_user_sgpr_kernarg_segment_ptr 1
		.amdhsa_user_sgpr_dispatch_id 0
		.amdhsa_user_sgpr_kernarg_preload_length 0
		.amdhsa_user_sgpr_kernarg_preload_offset 0
		.amdhsa_user_sgpr_private_segment_size 0
		.amdhsa_uses_dynamic_stack 0
		.amdhsa_enable_private_segment 0
		.amdhsa_system_sgpr_workgroup_id_x 1
		.amdhsa_system_sgpr_workgroup_id_y 1
		.amdhsa_system_sgpr_workgroup_id_z 1
		.amdhsa_system_sgpr_workgroup_info 0
		.amdhsa_system_vgpr_workitem_id 0
		.amdhsa_next_free_vgpr 96
		.amdhsa_next_free_sgpr 42
		.amdhsa_accum_offset 96
		.amdhsa_reserve_vcc 1
		.amdhsa_float_round_mode_32 0
		.amdhsa_float_round_mode_16_64 0
		.amdhsa_float_denorm_mode_32 3
		.amdhsa_float_denorm_mode_16_64 3
		.amdhsa_dx10_clamp 1
		.amdhsa_ieee_mode 1
		.amdhsa_fp16_overflow 0
		.amdhsa_tg_split 0
		.amdhsa_exception_fp_ieee_invalid_op 0
		.amdhsa_exception_fp_denorm_src 0
		.amdhsa_exception_fp_ieee_div_zero 0
		.amdhsa_exception_fp_ieee_overflow 0
		.amdhsa_exception_fp_ieee_underflow 0
		.amdhsa_exception_fp_ieee_inexact 0
		.amdhsa_exception_int_div_zero 0
	.end_amdhsa_kernel
	.section	.text._Z39paged_attention_ll4mi_QKV_mfma16_kernelIDF16_DF16_LN4vllm18Fp8KVCacheDataTypeE0EhLi16ELi128ELi256ELb0ELi7EEvPKT_PKT0_S7_ifPKiS9_S9_iPKfiiiPfSC_PS2_PT2_iSB_SB_,"axG",@progbits,_Z39paged_attention_ll4mi_QKV_mfma16_kernelIDF16_DF16_LN4vllm18Fp8KVCacheDataTypeE0EhLi16ELi128ELi256ELb0ELi7EEvPKT_PKT0_S7_ifPKiS9_S9_iPKfiiiPfSC_PS2_PT2_iSB_SB_,comdat
.Lfunc_end234:
	.size	_Z39paged_attention_ll4mi_QKV_mfma16_kernelIDF16_DF16_LN4vllm18Fp8KVCacheDataTypeE0EhLi16ELi128ELi256ELb0ELi7EEvPKT_PKT0_S7_ifPKiS9_S9_iPKfiiiPfSC_PS2_PT2_iSB_SB_, .Lfunc_end234-_Z39paged_attention_ll4mi_QKV_mfma16_kernelIDF16_DF16_LN4vllm18Fp8KVCacheDataTypeE0EhLi16ELi128ELi256ELb0ELi7EEvPKT_PKT0_S7_ifPKiS9_S9_iPKfiiiPfSC_PS2_PT2_iSB_SB_
                                        ; -- End function
	.section	.AMDGPU.csdata,"",@progbits
; Kernel info:
; codeLenInByte = 4404
; NumSgprs: 48
; NumVgprs: 96
; NumAgprs: 0
; TotalNumVgprs: 96
; ScratchSize: 0
; MemoryBound: 0
; FloatMode: 240
; IeeeMode: 1
; LDSByteSize: 8192 bytes/workgroup (compile time only)
; SGPRBlocks: 5
; VGPRBlocks: 11
; NumSGPRsForWavesPerEU: 48
; NumVGPRsForWavesPerEU: 96
; AccumOffset: 96
; Occupancy: 5
; WaveLimiterHint : 1
; COMPUTE_PGM_RSRC2:SCRATCH_EN: 0
; COMPUTE_PGM_RSRC2:USER_SGPR: 2
; COMPUTE_PGM_RSRC2:TRAP_HANDLER: 0
; COMPUTE_PGM_RSRC2:TGID_X_EN: 1
; COMPUTE_PGM_RSRC2:TGID_Y_EN: 1
; COMPUTE_PGM_RSRC2:TGID_Z_EN: 1
; COMPUTE_PGM_RSRC2:TIDIG_COMP_CNT: 0
; COMPUTE_PGM_RSRC3_GFX90A:ACCUM_OFFSET: 23
; COMPUTE_PGM_RSRC3_GFX90A:TG_SPLIT: 0
	.section	.text._Z39paged_attention_ll4mi_QKV_mfma16_kernelIDF16_DF16_LN4vllm18Fp8KVCacheDataTypeE0EhLi16ELi128ELi256ELb0ELi8EEvPKT_PKT0_S7_ifPKiS9_S9_iPKfiiiPfSC_PS2_PT2_iSB_SB_,"axG",@progbits,_Z39paged_attention_ll4mi_QKV_mfma16_kernelIDF16_DF16_LN4vllm18Fp8KVCacheDataTypeE0EhLi16ELi128ELi256ELb0ELi8EEvPKT_PKT0_S7_ifPKiS9_S9_iPKfiiiPfSC_PS2_PT2_iSB_SB_,comdat
	.protected	_Z39paged_attention_ll4mi_QKV_mfma16_kernelIDF16_DF16_LN4vllm18Fp8KVCacheDataTypeE0EhLi16ELi128ELi256ELb0ELi8EEvPKT_PKT0_S7_ifPKiS9_S9_iPKfiiiPfSC_PS2_PT2_iSB_SB_ ; -- Begin function _Z39paged_attention_ll4mi_QKV_mfma16_kernelIDF16_DF16_LN4vllm18Fp8KVCacheDataTypeE0EhLi16ELi128ELi256ELb0ELi8EEvPKT_PKT0_S7_ifPKiS9_S9_iPKfiiiPfSC_PS2_PT2_iSB_SB_
	.globl	_Z39paged_attention_ll4mi_QKV_mfma16_kernelIDF16_DF16_LN4vllm18Fp8KVCacheDataTypeE0EhLi16ELi128ELi256ELb0ELi8EEvPKT_PKT0_S7_ifPKiS9_S9_iPKfiiiPfSC_PS2_PT2_iSB_SB_
	.p2align	8
	.type	_Z39paged_attention_ll4mi_QKV_mfma16_kernelIDF16_DF16_LN4vllm18Fp8KVCacheDataTypeE0EhLi16ELi128ELi256ELb0ELi8EEvPKT_PKT0_S7_ifPKiS9_S9_iPKfiiiPfSC_PS2_PT2_iSB_SB_,@function
_Z39paged_attention_ll4mi_QKV_mfma16_kernelIDF16_DF16_LN4vllm18Fp8KVCacheDataTypeE0EhLi16ELi128ELi256ELb0ELi8EEvPKT_PKT0_S7_ifPKiS9_S9_iPKfiiiPfSC_PS2_PT2_iSB_SB_: ; @_Z39paged_attention_ll4mi_QKV_mfma16_kernelIDF16_DF16_LN4vllm18Fp8KVCacheDataTypeE0EhLi16ELi128ELi256ELb0ELi8EEvPKT_PKT0_S7_ifPKiS9_S9_iPKfiiiPfSC_PS2_PT2_iSB_SB_
; %bb.0:
	s_load_dwordx2 s[8:9], s[0:1], 0x30
	s_mov_b32 s26, s3
	s_mov_b64 s[6:7], 0
	s_waitcnt lgkmcnt(0)
	s_cmp_lg_u64 s[8:9], 0
	s_cselect_b64 s[10:11], -1, 0
	s_and_b64 vcc, exec, s[10:11]
	s_cbranch_vccz .LBB235_7
; %bb.1:
	s_add_i32 s12, s2, 1
	s_mov_b32 s13, 0
	s_lshl_b64 s[14:15], s[12:13], 2
	s_add_u32 s14, s8, s14
	s_mov_b32 s3, s13
	s_addc_u32 s15, s9, s15
	s_lshl_b64 s[12:13], s[2:3], 2
	s_add_u32 s12, s8, s12
	s_addc_u32 s13, s9, s13
	s_load_dword s5, s[14:15], 0x0
	s_load_dword s16, s[12:13], 0x0
	s_waitcnt lgkmcnt(0)
	s_sub_i32 s5, s5, s16
	s_cmp_eq_u32 s5, 1
	s_cselect_b64 s[12:13], -1, 0
	s_andn2_b64 vcc, exec, s[6:7]
	s_cbranch_vccnz .LBB235_3
.LBB235_2:
	s_mov_b32 s3, 0
	s_mov_b64 s[12:13], -1
.LBB235_3:
	s_andn2_b64 vcc, exec, s[12:13]
	s_cbranch_vccnz .LBB235_17
; %bb.4:
	s_load_dwordx2 s[6:7], s[0:1], 0x28
	s_lshl_b64 s[16:17], s[2:3], 2
	s_waitcnt lgkmcnt(0)
	s_add_u32 s6, s6, s16
	s_addc_u32 s7, s7, s17
	s_load_dword s38, s[6:7], 0x0
	s_lshl_b32 s18, s26, 8
	s_waitcnt lgkmcnt(0)
	s_cmp_ge_i32 s18, s38
	s_cbranch_scc1 .LBB235_17
; %bb.5:
	s_load_dwordx2 s[6:7], s[0:1], 0x20
	s_load_dword s5, s[0:1], 0x38
	s_add_i32 s12, s38, 15
	s_ashr_i32 s13, s12, 31
	v_and_b32_e32 v1, 0xcf, v0
	s_lshr_b32 s13, s13, 28
	v_add_u32_e32 v1, s18, v1
	s_add_i32 s12, s12, s13
	v_ashrrev_i32_e32 v2, 31, v1
	s_ashr_i32 s19, s12, 4
	v_lshrrev_b32_e32 v4, 28, v2
	s_add_i32 s19, s19, -1
	s_waitcnt lgkmcnt(0)
	s_mul_i32 s12, s2, s5
	s_mov_b32 s13, 0
	v_add_u32_e32 v2, v1, v4
	s_lshl_b64 s[12:13], s[12:13], 2
	v_ashrrev_i32_e32 v2, 4, v2
	v_mov_b32_e32 v5, s19
	v_cmp_gt_i32_e32 vcc, s38, v1
	s_add_u32 s6, s6, s12
	s_addc_u32 s7, s7, s13
	v_cndmask_b32_e32 v2, v5, v2, vcc
	v_ashrrev_i32_e32 v3, 31, v2
	v_lshl_add_u64 v[6:7], v[2:3], 2, s[6:7]
	v_or_b32_e32 v2, 16, v1
	v_add_u32_e32 v3, v2, v4
	v_ashrrev_i32_e32 v3, 4, v3
	v_cmp_gt_i32_e32 vcc, s38, v2
	s_load_dwordx4 s[12:15], s[0:1], 0x8
	s_nop 0
	v_cndmask_b32_e32 v2, v5, v3, vcc
	v_ashrrev_i32_e32 v3, 31, v2
	v_lshl_add_u64 v[8:9], v[2:3], 2, s[6:7]
	v_or_b32_e32 v2, 32, v1
	v_add_u32_e32 v3, v2, v4
	v_ashrrev_i32_e32 v3, 4, v3
	v_cmp_gt_i32_e32 vcc, s38, v2
	v_or_b32_e32 v1, 48, v1
	s_nop 0
	v_cndmask_b32_e32 v2, v5, v3, vcc
	v_ashrrev_i32_e32 v3, 31, v2
	v_lshl_add_u64 v[10:11], v[2:3], 2, s[6:7]
	v_add_u32_e32 v2, v1, v4
	v_ashrrev_i32_e32 v2, 4, v2
	v_cmp_gt_i32_e32 vcc, s38, v1
	s_nop 1
	v_cndmask_b32_e32 v2, v5, v2, vcc
	v_ashrrev_i32_e32 v3, 31, v2
	v_lshl_add_u64 v[12:13], v[2:3], 2, s[6:7]
	global_load_dword v4, v[6:7], off
	global_load_dword v3, v[8:9], off
	;; [unrolled: 1-line block ×4, first 2 shown]
	s_andn2_b64 vcc, exec, s[10:11]
	s_cbranch_vccnz .LBB235_8
; %bb.6:
	s_add_u32 s8, s8, s16
	s_addc_u32 s9, s9, s17
	s_load_dword s5, s[8:9], 0x0
	s_branch .LBB235_9
.LBB235_7:
	s_mov_b64 s[12:13], 0
	s_branch .LBB235_2
.LBB235_8:
	s_mov_b32 s5, s2
.LBB235_9:
	s_load_dwordx4 s[8:11], s[0:1], 0x48
	v_and_b32_e32 v84, 15, v0
	v_lshlrev_b32_e32 v5, 3, v84
	s_waitcnt lgkmcnt(0)
	s_movk_i32 s11, 0x80
	v_lshrrev_b32_e32 v85, 6, v0
	v_and_b32_e32 v86, 63, v0
	v_bfe_u32 v1, v0, 4, 2
	s_lshl_b32 s27, s4, 3
	v_cmp_gt_u32_e32 vcc, s11, v0
	v_lshlrev_b32_e32 v74, 1, v5
	s_and_saveexec_b64 s[16:17], vcc
	s_cbranch_execz .LBB235_11
; %bb.10:
	s_load_dwordx2 s[20:21], s[0:1], 0x0
	s_ashr_i32 s11, s8, 31
	s_mul_hi_u32 s22, s5, s8
	s_mul_i32 s11, s5, s11
	s_add_i32 s23, s22, s11
	s_mul_i32 s22, s5, s8
	v_lshl_or_b32 v5, v85, 2, v1
	s_lshl_b64 s[22:23], s[22:23], 1
	s_waitcnt lgkmcnt(0)
	s_add_u32 s20, s20, s22
	v_add_lshl_u32 v6, v5, s27, 7
	s_addc_u32 s21, s21, s23
	v_ashrrev_i32_e32 v7, 31, v6
	v_lshl_add_u64 v[6:7], v[6:7], 1, s[20:21]
	v_mov_b32_e32 v75, 0
	v_lshl_add_u64 v[6:7], v[6:7], 0, v[74:75]
	global_load_dwordx4 v[6:9], v[6:7], off
	v_and_b32_e32 v10, 3, v0
	v_lshlrev_b32_e32 v11, 9, v84
	v_lshlrev_b32_e32 v5, 5, v5
	;; [unrolled: 1-line block ×3, first 2 shown]
	v_and_b32_e32 v11, 0x1800, v11
	v_or3_b32 v5, v11, v10, v5
	s_waitcnt vmcnt(0)
	ds_write_b128 v5, v[6:9]
.LBB235_11:
	s_or_b64 exec, exec, s[16:17]
	s_mul_i32 s4, s4, s10
	s_mov_b32 s5, 0
	s_lshl_b64 s[4:5], s[4:5], 1
	s_add_u32 s10, s12, s4
	v_lshlrev_b32_e32 v6, 4, v0
	s_addc_u32 s11, s13, s5
	v_and_b32_e32 v34, 0xf0, v6
	v_mov_b32_e32 v35, 0
	v_lshl_add_u64 v[30:31], s[10:11], 0, v[34:35]
	s_waitcnt vmcnt(3)
	v_mad_i64_i32 v[4:5], s[10:11], v4, s9, 0
	v_lshl_add_u64 v[4:5], v[4:5], 1, v[30:31]
	v_and_b32_e32 v34, 0x300, v6
	v_lshl_add_u64 v[32:33], v[4:5], 0, v[34:35]
	s_load_dword s33, s[0:1], 0x98
	s_load_dword s8, s[0:1], 0x1c
	s_waitcnt lgkmcnt(0)
	s_barrier
	global_load_dwordx4 v[10:13], v[32:33], off
	global_load_dwordx4 v[22:25], v[32:33], off offset:1024
	s_waitcnt vmcnt(4)
	v_mad_i64_i32 v[4:5], s[10:11], v3, s9, 0
	s_waitcnt vmcnt(3)
	v_mad_i64_i32 v[2:3], s[10:11], v2, s9, 0
	v_lshl_add_u64 v[4:5], v[4:5], 1, v[30:31]
	v_lshl_add_u64 v[2:3], v[2:3], 1, v[30:31]
	;; [unrolled: 1-line block ×4, first 2 shown]
	global_load_dwordx4 v[14:17], v[36:37], off
	global_load_dwordx4 v[18:21], v[36:37], off offset:1024
	global_load_dwordx4 v[26:29], v[38:39], off
	global_load_dwordx4 v[46:49], v[38:39], off offset:1024
	v_and_b32_e32 v2, 7, v0
	v_lshlrev_b32_e32 v2, 5, v2
	v_lshl_or_b32 v41, v1, 9, v2
	ds_read_b128 v[6:9], v41
	ds_read_b128 v[2:5], v41 offset:2048
	global_load_dwordx4 v[54:57], v[32:33], off offset:2048
	v_mov_b32_e32 v76, s19
	global_load_dwordx4 v[62:65], v[36:37], off offset:2048
	v_lshl_or_b32 v87, v85, 4, v84
	s_add_u32 s4, s14, s4
	s_addc_u32 s5, s15, s5
	s_mov_b32 s40, 0xff7fffff
	s_waitcnt vmcnt(7) lgkmcnt(1)
	v_mfma_f32_16x16x16_f16 v[42:45], v[10:11], v[6:7], 0
	v_mfma_f32_16x16x16_f16 v[10:13], v[12:13], v[8:9], v[42:45]
	s_nop 5
	global_load_dwordx4 v[42:45], v[38:39], off offset:2048
	s_waitcnt vmcnt(6)
	v_mfma_f32_16x16x16_f16 v[50:53], v[14:15], v[6:7], 0
	s_waitcnt vmcnt(4)
	v_mfma_f32_16x16x16_f16 v[58:61], v[26:27], v[6:7], 0
	v_mfma_f32_16x16x16_f16 v[14:17], v[16:17], v[8:9], v[50:53]
	v_mfma_f32_16x16x16_f16 v[26:29], v[28:29], v[8:9], v[58:61]
	s_nop 2
	global_load_dwordx4 v[50:53], v[32:33], off offset:3072
	v_mad_i64_i32 v[32:33], s[10:11], v40, s9, 0
	global_load_dwordx4 v[58:61], v[36:37], off offset:3072
	v_and_or_b32 v40, v0, 48, s18
	s_waitcnt lgkmcnt(0)
	v_mfma_f32_16x16x16_f16 v[10:13], v[22:23], v[2:3], v[10:13]
	v_ashrrev_i32_e32 v22, 4, v40
	v_cmp_gt_i32_e32 vcc, s38, v40
	v_or_b32_e32 v77, 64, v40
	v_mfma_f32_16x16x16_f16 v[14:17], v[18:19], v[2:3], v[14:17]
	v_cndmask_b32_e32 v18, v76, v22, vcc
	v_or_b32_e32 v78, 0x80, v40
	v_or_b32_e32 v79, 0xc0, v40
	s_waitcnt vmcnt(5)
	v_mfma_f32_16x16x16_f16 v[26:29], v[46:47], v[2:3], v[26:29]
	v_ashrrev_i32_e32 v40, 4, v77
	v_ashrrev_i32_e32 v19, 31, v18
	v_cmp_gt_i32_e32 vcc, s38, v77
	v_ashrrev_i32_e32 v46, 4, v78
	v_lshl_add_u64 v[18:19], v[18:19], 2, s[6:7]
	v_cndmask_b32_e32 v36, v76, v40, vcc
	v_cmp_gt_i32_e32 vcc, s38, v78
	ds_read_b128 v[66:69], v41 offset:4096
	ds_read_b128 v[70:73], v41 offset:6144
	v_mfma_f32_16x16x16_f16 v[14:17], v[20:21], v[4:5], v[14:17]
	global_load_dword v77, v[18:19], off
	v_ashrrev_i32_e32 v37, 31, v36
	v_mfma_f32_16x16x16_f16 v[18:21], v[48:49], v[4:5], v[26:29]
	s_nop 2
	v_cndmask_b32_e32 v28, v76, v46, vcc
	v_mfma_f32_16x16x16_f16 v[10:13], v[24:25], v[4:5], v[10:13]
	global_load_dwordx4 v[22:25], v[38:39], off offset:3072
	v_ashrrev_i32_e32 v29, 31, v28
	v_lshl_add_u64 v[26:27], v[36:37], 2, s[6:7]
	v_lshl_add_u64 v[28:29], v[28:29], 2, s[6:7]
	global_load_dword v36, v[26:27], off
	global_load_dword v80, v[28:29], off
	v_lshl_add_u64 v[26:27], v[32:33], 1, v[30:31]
	v_lshl_add_u64 v[26:27], v[26:27], 0, v[34:35]
	global_load_dwordx4 v[38:41], v[26:27], off
	global_load_dwordx4 v[46:49], v[26:27], off offset:1024
	s_waitcnt vmcnt(10) lgkmcnt(1)
	v_mfma_f32_16x16x16_f16 v[10:13], v[54:55], v[66:67], v[10:13]
	v_ashrrev_i32_e32 v37, 4, v79
	v_cmp_gt_i32_e32 vcc, s38, v79
	v_lshlrev_b32_e32 v34, 5, v87
	v_mfma_f32_16x16x16_f16 v[10:13], v[56:57], v[68:69], v[10:13]
	v_cndmask_b32_e32 v28, v76, v37, vcc
	v_ashrrev_i32_e32 v29, 31, v28
	v_lshl_add_u64 v[28:29], v[28:29], 2, s[6:7]
	global_load_dword v81, v[28:29], off
	s_waitcnt vmcnt(10)
	v_mfma_f32_16x16x16_f16 v[14:17], v[62:63], v[66:67], v[14:17]
	v_lshl_add_u64 v[62:63], s[4:5], 0, v[34:35]
	v_or_b32_e32 v34, 0x800, v34
	global_load_dwordx4 v[54:57], v[26:27], off offset:3072
	s_waitcnt vmcnt(10)
	v_mfma_f32_16x16x16_f16 v[18:21], v[42:43], v[66:67], v[18:21]
	v_mfma_f32_16x16x16_f16 v[18:21], v[44:45], v[68:69], v[18:21]
	global_load_dwordx4 v[42:45], v[26:27], off offset:2048
	s_waitcnt vmcnt(10) lgkmcnt(0)
	v_mfma_f32_16x16x16_f16 v[10:13], v[50:51], v[70:71], v[10:13]
	s_waitcnt vmcnt(7)
	v_mfma_f32_16x16x16_f16 v[18:21], v[22:23], v[70:71], v[18:21]
	v_mad_i64_i32 v[22:23], s[6:7], v77, s9, 0
	v_mfma_f32_16x16x16_f16 v[76:79], v[52:53], v[72:73], v[10:13]
	s_waitcnt vmcnt(6)
	s_nop 1
	v_mad_i64_i32 v[10:11], s[6:7], v36, s9, 0
	v_mfma_f32_16x16x16_f16 v[14:17], v[64:65], v[68:69], v[14:17]
	v_lshlrev_b64 v[64:65], 1, v[22:23]
	v_lshlrev_b64 v[36:37], 1, v[10:11]
	v_lshl_add_u64 v[12:13], v[62:63], 0, v[64:65]
	v_lshl_add_u64 v[10:11], v[62:63], 0, v[36:37]
	global_load_dwordx4 v[30:33], v[12:13], off
	global_load_dwordx4 v[26:29], v[12:13], off offset:16
	v_mfma_f32_16x16x16_f16 v[92:95], v[24:25], v[72:73], v[18:21]
	global_load_dwordx4 v[22:25], v[10:11], off
	s_nop 1
	global_load_dwordx4 v[18:21], v[10:11], off offset:16
	s_waitcnt vmcnt(8)
	v_mfma_f32_16x16x16_f16 v[10:13], v[38:39], v[6:7], 0
	v_mad_i64_i32 v[6:7], s[6:7], v80, s9, 0
	v_lshlrev_b64 v[50:51], 1, v[6:7]
	v_mfma_f32_16x16x16_f16 v[6:9], v[40:41], v[8:9], v[10:13]
	s_waitcnt vmcnt(7)
	v_mfma_f32_16x16x16_f16 v[6:9], v[46:47], v[2:3], v[6:9]
	s_waitcnt vmcnt(6)
	v_mad_i64_i32 v[2:3], s[6:7], v81, s9, 0
	v_pk_mul_f32 v[80:81], s[8:9], v[78:79] op_sel_hi:[0,1]
	v_mfma_f32_16x16x16_f16 v[38:41], v[48:49], v[4:5], v[6:9]
	v_pk_mul_f32 v[78:79], s[8:9], v[92:93] op_sel_hi:[0,1]
	v_lshl_add_u64 v[10:11], v[62:63], 0, v[50:51]
	s_waitcnt vmcnt(4)
	v_mfma_f32_16x16x16_f16 v[38:41], v[42:43], v[66:67], v[38:41]
	v_mfma_f32_16x16x16_f16 v[38:41], v[44:45], v[68:69], v[38:41]
	;; [unrolled: 1-line block ×4, first 2 shown]
	v_lshlrev_b64 v[58:59], 1, v[2:3]
	v_lshl_add_u64 v[2:3], v[62:63], 0, v[58:59]
	v_lshl_add_u64 v[62:63], s[4:5], 0, v[34:35]
	v_mfma_f32_16x16x16_f16 v[38:41], v[56:57], v[72:73], v[38:41]
	v_lshl_add_u64 v[34:35], v[62:63], 0, v[64:65]
	v_lshl_add_u64 v[50:51], v[62:63], 0, v[50:51]
	;; [unrolled: 1-line block ×3, first 2 shown]
	v_mfma_f32_16x16x16_f16 v[88:91], v[60:61], v[72:73], v[14:17]
	v_pk_mul_f32 v[60:61], s[8:9], v[76:77] op_sel_hi:[0,1]
	s_nop 1
	v_pk_mul_f32 v[72:73], s[8:9], v[38:39] op_sel_hi:[0,1]
	v_and_b32_e32 v38, 0xc0, v0
	v_add_u32_e32 v38, s18, v38
	v_lshl_or_b32 v38, v1, 2, v38
	v_pk_mul_f32 v[66:67], s[8:9], v[40:41] op_sel_hi:[0,1]
	v_or_b32_e32 v41, 1, v38
	v_mov_b32_e32 v39, 0xff7fffff
	v_cmp_gt_i32_e64 s[28:29], s38, v38
	v_cmp_gt_i32_e64 s[30:31], s38, v41
	v_or_b32_e32 v42, 3, v38
	v_cndmask_b32_e64 v40, v39, v60, s[28:29]
	v_cndmask_b32_e64 v41, v39, v61, s[30:31]
	v_max3_f32 v40, v40, s40, v41
	v_or_b32_e32 v41, 2, v38
	v_cmp_gt_i32_e64 s[34:35], s38, v41
	v_cmp_gt_i32_e64 s[36:37], s38, v42
	v_pk_mul_f32 v[70:71], s[8:9], v[88:89] op_sel_hi:[0,1]
	v_cndmask_b32_e64 v41, v39, v80, s[34:35]
	v_cndmask_b32_e64 v42, v39, v81, s[36:37]
	v_max3_f32 v40, v40, v41, v42
	v_or_b32_e32 v41, 16, v38
	v_or_b32_e32 v42, 17, v38
	v_cmp_gt_i32_e64 s[22:23], s38, v41
	v_cmp_gt_i32_e64 s[24:25], s38, v42
	v_pk_mul_f32 v[82:83], s[8:9], v[90:91] op_sel_hi:[0,1]
	v_cndmask_b32_e64 v41, v39, v70, s[22:23]
	v_cndmask_b32_e64 v42, v39, v71, s[24:25]
	v_max3_f32 v40, v40, v41, v42
	v_or_b32_e32 v41, 18, v38
	;; [unrolled: 8-line block ×3, first 2 shown]
	v_or_b32_e32 v42, 33, v38
	v_cmp_gt_i32_e64 s[14:15], s38, v41
	v_cmp_gt_i32_e64 s[16:17], s38, v42
	global_load_dwordx4 v[14:17], v[10:11], off
	s_nop 0
	global_load_dwordx4 v[10:13], v[10:11], off offset:16
	v_cndmask_b32_e64 v41, v39, v78, s[14:15]
	v_cndmask_b32_e64 v42, v39, v79, s[16:17]
	v_max3_f32 v40, v40, v41, v42
	v_or_b32_e32 v41, 34, v38
	v_or_b32_e32 v42, 35, v38
	v_cmp_gt_i32_e64 s[10:11], s38, v41
	v_cmp_gt_i32_e64 s[12:13], s38, v42
	global_load_dwordx4 v[6:9], v[2:3], off
	s_nop 0
	global_load_dwordx4 v[2:5], v[2:3], off offset:16
	v_cndmask_b32_e64 v41, v39, v76, s[10:11]
	v_cndmask_b32_e64 v42, v39, v77, s[12:13]
	v_max3_f32 v40, v40, v41, v42
	v_or_b32_e32 v41, 48, v38
	v_or_b32_e32 v42, 49, v38
	v_cmp_gt_i32_e64 s[6:7], s38, v41
	v_cmp_gt_i32_e64 s[8:9], s38, v42
	s_nop 0
	v_cndmask_b32_e64 v41, v39, v72, s[6:7]
	v_cndmask_b32_e64 v42, v39, v73, s[8:9]
	v_max3_f32 v40, v40, v41, v42
	v_or_b32_e32 v41, 50, v38
	v_or_b32_e32 v38, 51, v38
	v_cmp_gt_i32_e32 vcc, s38, v41
	v_cmp_gt_i32_e64 s[4:5], s38, v38
	s_nop 0
	v_cndmask_b32_e32 v41, v39, v66, vcc
	v_cndmask_b32_e64 v38, v39, v67, s[4:5]
	v_max3_f32 v52, v40, v41, v38
	v_mbcnt_lo_u32_b32 v38, -1, 0
	v_mbcnt_hi_u32_b32 v53, -1, v38
	v_and_b32_e32 v38, 64, v53
	v_add_u32_e32 v54, 64, v38
	v_xor_b32_e32 v38, 32, v53
	v_cmp_lt_i32_e64 s[38:39], v38, v54
	s_nop 1
	v_cndmask_b32_e64 v38, v53, v38, s[38:39]
	v_lshlrev_b32_e32 v89, 2, v38
	ds_bpermute_b32 v55, v89, v52
	global_load_dwordx4 v[46:49], v[34:35], off
	global_load_dwordx4 v[38:41], v[34:35], off offset:16
	v_lshl_add_u64 v[34:35], v[62:63], 0, v[36:37]
	global_load_dwordx4 v[42:45], v[34:35], off
	s_nop 0
	global_load_dwordx4 v[34:37], v[34:35], off offset:16
	s_waitcnt lgkmcnt(0)
	v_max_f32_e32 v55, v55, v55
	v_max_f32_e32 v64, v52, v55
	v_xor_b32_e32 v52, 16, v53
	v_cmp_lt_i32_e64 s[38:39], v52, v54
	s_nop 1
	v_cndmask_b32_e64 v52, v53, v52, s[38:39]
	v_lshlrev_b32_e32 v90, 2, v52
	ds_bpermute_b32 v65, v90, v64
	global_load_dwordx4 v[54:57], v[50:51], off
	s_nop 0
	global_load_dwordx4 v[50:53], v[50:51], off offset:16
	s_waitcnt lgkmcnt(0)
	v_max_f32_e32 v62, v65, v65
	v_max_f32_e32 v88, v64, v62
	v_sub_f32_e32 v60, v60, v88
	v_mul_f32_e32 v60, 0x3fb8aa3b, v60
	v_exp_f32_e32 v68, v60
	v_sub_f32_e32 v60, v61, v88
	v_mul_f32_e32 v60, 0x3fb8aa3b, v60
	v_exp_f32_e32 v69, v60
	global_load_dwordx4 v[62:65], v[58:59], off
	s_nop 0
	global_load_dwordx4 v[58:61], v[58:59], off offset:16
	v_sub_f32_e32 v80, v80, v88
	v_mul_f32_e32 v80, 0x3fb8aa3b, v80
	v_sub_f32_e32 v81, v81, v88
	v_exp_f32_e32 v80, v80
	v_mul_f32_e32 v81, 0x3fb8aa3b, v81
	v_sub_f32_e32 v70, v70, v88
	v_exp_f32_e32 v81, v81
	v_mul_f32_e32 v70, 0x3fb8aa3b, v70
	v_sub_f32_e32 v71, v71, v88
	v_cndmask_b32_e64 v68, 0, v68, s[28:29]
	v_exp_f32_e32 v70, v70
	v_mul_f32_e32 v71, 0x3fb8aa3b, v71
	v_sub_f32_e32 v82, v82, v88
	v_add_f32_e32 v91, 0, v68
	v_cndmask_b32_e64 v69, 0, v69, s[30:31]
	v_exp_f32_e32 v71, v71
	v_mul_f32_e32 v82, 0x3fb8aa3b, v82
	v_sub_f32_e32 v83, v83, v88
	v_add_f32_e32 v91, v91, v69
	;; [unrolled: 5-line block ×10, first 2 shown]
	v_cndmask_b32_e64 v76, 0, v76, s[10:11]
	v_exp_f32_e32 v66, v66
	v_mul_f32_e32 v67, 0x3fb8aa3b, v67
	v_add_f32_e32 v91, v91, v76
	v_cndmask_b32_e64 v77, 0, v77, s[12:13]
	v_exp_f32_e32 v67, v67
	v_add_f32_e32 v91, v91, v77
	v_cndmask_b32_e64 v72, 0, v72, s[6:7]
	v_add_f32_e32 v91, v91, v72
	v_cndmask_b32_e64 v73, 0, v73, s[8:9]
	v_add_f32_e32 v91, v91, v73
	v_cndmask_b32_e32 v66, 0, v66, vcc
	v_add_f32_e32 v91, v91, v66
	v_cndmask_b32_e64 v67, 0, v67, s[4:5]
	v_add_f32_e32 v91, v91, v67
	ds_bpermute_b32 v89, v89, v91
	v_cmp_gt_u32_e32 vcc, 16, v86
	s_waitcnt lgkmcnt(0)
	s_barrier
	v_add_f32_e32 v89, v91, v89
	ds_bpermute_b32 v90, v90, v89
	s_and_saveexec_b64 s[4:5], vcc
	s_cbranch_execz .LBB235_13
; %bb.12:
	s_waitcnt lgkmcnt(0)
	v_add_f32_e32 v86, v89, v90
	v_lshlrev_b32_e32 v87, 2, v87
	ds_write2st64_b32 v87, v88, v86 offset1:1
.LBB235_13:
	s_or_b64 exec, exec, s[4:5]
	v_lshlrev_b32_e32 v87, 2, v84
	s_load_dword s6, s[0:1], 0x94
	s_waitcnt lgkmcnt(0)
	s_barrier
	ds_read2_b32 v[88:89], v87 offset1:16
	ds_read2_b32 v[90:91], v87 offset0:32 offset1:48
	ds_read2_b32 v[92:93], v87 offset0:64 offset1:80
	v_mov_b32_e32 v1, v84
	s_lshl_b32 s7, s33, 3
	s_waitcnt lgkmcnt(2)
	v_max3_f32 v86, v88, s40, v89
	s_waitcnt lgkmcnt(1)
	v_max3_f32 v86, v86, v90, v91
	v_sub_f32_e32 v88, v88, v86
	v_mul_f32_e32 v88, 0x3fb8aa3b, v88
	v_exp_f32_e32 v94, v88
	v_sub_f32_e32 v88, v89, v86
	v_mul_f32_e32 v88, 0x3fb8aa3b, v88
	v_exp_f32_e32 v95, v88
	;; [unrolled: 3-line block ×3, first 2 shown]
	ds_read2_b32 v[88:89], v87 offset0:96 offset1:112
	v_sub_f32_e32 v87, v91, v86
	v_mul_f32_e32 v87, 0x3fb8aa3b, v87
	v_exp_f32_e32 v91, v87
	s_waitcnt lgkmcnt(1)
	v_fma_f32 v87, v94, v92, 0
	v_fmac_f32_e32 v87, v95, v93
	s_waitcnt lgkmcnt(0)
	v_fmac_f32_e32 v87, v90, v88
	v_fmac_f32_e32 v87, v91, v89
	v_add_f32_e32 v88, 0x358637bd, v87
	v_div_scale_f32 v89, s[4:5], v88, v88, 1.0
	v_rcp_f32_e32 v92, v89
	s_barrier
	v_fma_f32 v93, -v89, v92, 1.0
	v_fmac_f32_e32 v92, v93, v92
	v_div_scale_f32 v93, vcc, 1.0, v88, 1.0
	v_mul_f32_e32 v75, v93, v92
	v_fma_f32 v84, -v89, v75, v93
	v_fmac_f32_e32 v75, v84, v92
	v_fma_f32 v84, -v89, v75, v93
	v_div_fmas_f32 v75, v84, v92, v75
	v_cmp_eq_u32_e32 vcc, 1, v85
	v_div_fixup_f32 v75, v75, v88, 1.0
	s_nop 0
	v_cndmask_b32_e32 v84, v94, v95, vcc
	v_cmp_eq_u32_e32 vcc, 2, v85
	s_nop 1
	v_cndmask_b32_e32 v84, v84, v90, vcc
	v_cmp_eq_u32_e32 vcc, 3, v85
	s_nop 1
	v_cndmask_b32_e32 v84, v84, v91, vcc
	v_mul_f32_e32 v88, v84, v75
	v_pk_mul_f32 v[80:81], v[88:89], v[80:81] op_sel_hi:[0,1]
	v_cvt_f16_f32_e32 v75, v80
	v_cvt_f16_f32_e32 v80, v81
	v_pk_mul_f32 v[68:69], v[88:89], v[68:69] op_sel_hi:[0,1]
	v_cvt_f16_f32_e32 v68, v68
	v_cvt_f16_f32_e32 v69, v69
	v_pack_b32_f16 v91, v75, v80
	v_pk_mul_f32 v[80:81], v[88:89], v[82:83] op_sel_hi:[0,1]
	v_pk_mul_f32 v[70:71], v[88:89], v[70:71] op_sel_hi:[0,1]
	v_cvt_f16_f32_e32 v70, v70
	v_cvt_f16_f32_e32 v71, v71
	;; [unrolled: 1-line block ×4, first 2 shown]
	v_mov_b32_e32 v84, v1
	v_bfe_u32 v1, v0, 4, 2
	v_pack_b32_f16 v90, v68, v69
	v_lshlrev_b32_e32 v69, 3, v1
	v_lshlrev_b32_e32 v68, 5, v84
	;; [unrolled: 1-line block ×3, first 2 shown]
	v_or3_b32 v80, v80, v68, v69
	v_pack_b32_f16 v70, v70, v71
	v_pack_b32_f16 v71, v75, v81
	ds_write2st64_b64 v80, v[90:91], v[70:71] offset1:1
	v_pk_mul_f32 v[70:71], v[88:89], v[76:77] op_sel_hi:[0,1]
	v_pk_mul_f32 v[76:77], v[88:89], v[78:79] op_sel_hi:[0,1]
	v_cvt_f16_f32_e32 v69, v76
	v_cvt_f16_f32_e32 v75, v77
	;; [unrolled: 1-line block ×4, first 2 shown]
	v_pk_mul_f32 v[66:67], v[88:89], v[66:67] op_sel_hi:[0,1]
	v_pk_mul_f32 v[70:71], v[88:89], v[72:73] op_sel_hi:[0,1]
	v_cvt_f16_f32_e32 v70, v70
	v_cvt_f16_f32_e32 v71, v71
	;; [unrolled: 1-line block ×4, first 2 shown]
	v_pack_b32_f16 v66, v69, v75
	v_pack_b32_f16 v67, v76, v77
	;; [unrolled: 1-line block ×4, first 2 shown]
	v_cmp_gt_u32_e32 vcc, 8, v0
	ds_write2st64_b64 v80, v[66:67], v[70:71] offset0:2 offset1:3
	s_and_saveexec_b64 s[4:5], vcc
	s_cbranch_execz .LBB235_15
; %bb.14:
	v_or_b32_e32 v66, s27, v0
	v_mov_b32_e32 v67, 0
	v_mov_b32_e32 v69, s7
	v_mad_u64_u32 v[70:71], s[12:13], s2, v69, v[66:67]
	v_mov_b32_e32 v66, s26
	s_load_dwordx4 s[8:11], s[0:1], 0x58
	s_mul_i32 s3, s3, s7
	v_mad_u64_u32 v[66:67], s[12:13], v70, s6, v[66:67]
	v_add_u32_e32 v69, s3, v71
	v_mov_b32_e32 v70, v67
	v_mad_u64_u32 v[70:71], s[12:13], v69, s6, v[70:71]
	v_mov_b32_e32 v67, v70
	v_lshlrev_b64 v[66:67], 2, v[66:67]
	s_waitcnt lgkmcnt(0)
	v_lshl_add_u64 v[70:71], s[10:11], 0, v[66:67]
	v_lshl_add_u64 v[66:67], s[8:9], 0, v[66:67]
	global_store_dword v[70:71], v86, off
	global_store_dword v[66:67], v87, off
.LBB235_15:
	s_or_b64 exec, exec, s[4:5]
	v_lshl_or_b32 v75, v1, 9, v68
	s_waitcnt lgkmcnt(0)
	s_barrier
	ds_read_b128 v[70:73], v75
	ds_read_b128 v[66:69], v75 offset:16
	s_waitcnt vmcnt(15) lgkmcnt(1)
	v_mfma_f32_16x16x16_f16 v[76:79], v[30:31], v[70:71], 0
	s_mov_b32 s3, 0
	v_cmp_gt_u32_e32 vcc, 64, v0
	v_mfma_f32_16x16x16_f16 v[30:33], v[32:33], v[72:73], v[76:79]
	s_waitcnt vmcnt(14) lgkmcnt(0)
	v_mfma_f32_16x16x16_f16 v[30:33], v[26:27], v[66:67], v[30:33]
	v_mfma_f32_16x16x16_f16 v[26:29], v[28:29], v[68:69], v[30:33]
	s_nop 5
	ds_read_b128 v[30:33], v75 offset:2048
	ds_read_b128 v[76:79], v75 offset:2064
	s_waitcnt vmcnt(13) lgkmcnt(1)
	v_mfma_f32_16x16x16_f16 v[26:29], v[22:23], v[30:31], v[26:29]
	v_mfma_f32_16x16x16_f16 v[22:25], v[24:25], v[32:33], v[26:29]
	s_waitcnt vmcnt(12) lgkmcnt(0)
	v_mfma_f32_16x16x16_f16 v[22:25], v[18:19], v[76:77], v[22:25]
	v_mfma_f32_16x16x16_f16 v[18:21], v[20:21], v[78:79], v[22:25]
	s_nop 5
	ds_read_b128 v[22:25], v75 offset:4096
	ds_read_b128 v[26:29], v75 offset:4112
	s_waitcnt vmcnt(11) lgkmcnt(1)
	v_mfma_f32_16x16x16_f16 v[18:21], v[14:15], v[22:23], v[18:21]
	v_mfma_f32_16x16x16_f16 v[14:17], v[16:17], v[24:25], v[18:21]
	s_waitcnt vmcnt(10) lgkmcnt(0)
	v_mfma_f32_16x16x16_f16 v[14:17], v[10:11], v[26:27], v[14:17]
	v_mfma_f32_16x16x16_f16 v[10:13], v[12:13], v[28:29], v[14:17]
	s_nop 5
	ds_read_b128 v[14:17], v75 offset:6144
	ds_read_b128 v[18:21], v75 offset:6160
	s_waitcnt lgkmcnt(0)
	s_barrier
	s_waitcnt vmcnt(9)
	v_mfma_f32_16x16x16_f16 v[10:13], v[6:7], v[14:15], v[10:13]
	v_mfma_f32_16x16x16_f16 v[6:9], v[8:9], v[16:17], v[10:13]
	s_waitcnt vmcnt(8)
	v_mfma_f32_16x16x16_f16 v[6:9], v[2:3], v[18:19], v[6:9]
	v_mfma_f32_16x16x16_f16 v[2:5], v[4:5], v[20:21], v[6:9]
	;; [unrolled: 3-line block ×3, first 2 shown]
	s_nop 3
	v_cvt_f16_f32_e32 v10, v2
	v_cvt_f16_f32_e32 v11, v3
	;; [unrolled: 1-line block ×3, first 2 shown]
	s_waitcnt vmcnt(6)
	v_mfma_f32_16x16x16_f16 v[6:9], v[38:39], v[66:67], v[6:9]
	v_cvt_f16_f32_e32 v13, v5
	v_mfma_f32_16x16x16_f16 v[6:9], v[40:41], v[68:69], v[6:9]
	s_waitcnt vmcnt(5)
	v_mfma_f32_16x16x16_f16 v[6:9], v[42:43], v[30:31], v[6:9]
	v_mfma_f32_16x16x16_f16 v[6:9], v[44:45], v[32:33], v[6:9]
	s_waitcnt vmcnt(4)
	v_mfma_f32_16x16x16_f16 v[6:9], v[34:35], v[76:77], v[6:9]
	;; [unrolled: 3-line block ×6, first 2 shown]
	v_mfma_f32_16x16x16_f16 v[2:5], v[60:61], v[20:21], v[6:9]
	s_nop 6
	v_cvt_f16_f32_e32 v6, v2
	v_cvt_f16_f32_e32 v7, v3
	;; [unrolled: 1-line block ×4, first 2 shown]
	v_pack_b32_f16 v2, v10, v11
	v_pack_b32_f16 v3, v12, v13
	;; [unrolled: 1-line block ×4, first 2 shown]
	ds_write2st64_b64 v80, v[2:3], v[4:5] offset1:1
	s_waitcnt lgkmcnt(0)
	s_barrier
	s_and_saveexec_b64 s[4:5], vcc
	s_cbranch_execz .LBB235_17
; %bb.16:
	s_load_dwordx2 s[0:1], s[0:1], 0x68
	s_lshl_b32 s6, s6, 7
	s_mul_i32 s2, s7, s2
	s_mul_hi_u32 s5, s2, s6
	s_mul_i32 s4, s2, s6
	v_lshlrev_b32_e32 v4, 6, v84
	s_lshl_b64 s[4:5], s[4:5], 1
	v_lshlrev_b32_e32 v3, 4, v0
	v_lshl_or_b32 v0, v0, 10, v4
	s_waitcnt lgkmcnt(0)
	s_add_u32 s4, s0, s4
	v_lshlrev_b32_e32 v2, 5, v1
	v_and_b32_e32 v3, 16, v3
	v_and_b32_e32 v0, 0x1a00, v0
	s_addc_u32 s5, s1, s5
	s_lshl_b32 s2, s26, 7
	v_or3_b32 v0, v0, v2, v3
	s_lshl_b64 s[0:1], s[2:3], 1
	ds_read_b128 v[2:5], v0
	ds_read_b128 v[6:9], v0 offset:128
	s_add_u32 s0, s4, s0
	s_addc_u32 s1, s5, s1
	v_mov_b32_e32 v75, 0
	v_or_b32_e32 v12, s27, v1
	v_lshl_add_u64 v[10:11], s[0:1], 0, v[74:75]
	v_mad_u64_u32 v[0:1], s[0:1], v12, s6, 0
	v_lshl_add_u64 v[0:1], v[0:1], 1, v[10:11]
	s_waitcnt lgkmcnt(1)
	global_store_dwordx4 v[0:1], v[2:5], off
	v_or_b32_e32 v0, 4, v12
	v_mad_u64_u32 v[0:1], s[0:1], v0, s6, 0
	v_lshl_add_u64 v[0:1], v[0:1], 1, v[10:11]
	s_waitcnt lgkmcnt(0)
	global_store_dwordx4 v[0:1], v[6:9], off
.LBB235_17:
	s_endpgm
	.section	.rodata,"a",@progbits
	.p2align	6, 0x0
	.amdhsa_kernel _Z39paged_attention_ll4mi_QKV_mfma16_kernelIDF16_DF16_LN4vllm18Fp8KVCacheDataTypeE0EhLi16ELi128ELi256ELb0ELi8EEvPKT_PKT0_S7_ifPKiS9_S9_iPKfiiiPfSC_PS2_PT2_iSB_SB_
		.amdhsa_group_segment_fixed_size 8192
		.amdhsa_private_segment_fixed_size 0
		.amdhsa_kernarg_size 400
		.amdhsa_user_sgpr_count 2
		.amdhsa_user_sgpr_dispatch_ptr 0
		.amdhsa_user_sgpr_queue_ptr 0
		.amdhsa_user_sgpr_kernarg_segment_ptr 1
		.amdhsa_user_sgpr_dispatch_id 0
		.amdhsa_user_sgpr_kernarg_preload_length 0
		.amdhsa_user_sgpr_kernarg_preload_offset 0
		.amdhsa_user_sgpr_private_segment_size 0
		.amdhsa_uses_dynamic_stack 0
		.amdhsa_enable_private_segment 0
		.amdhsa_system_sgpr_workgroup_id_x 1
		.amdhsa_system_sgpr_workgroup_id_y 1
		.amdhsa_system_sgpr_workgroup_id_z 1
		.amdhsa_system_sgpr_workgroup_info 0
		.amdhsa_system_vgpr_workitem_id 0
		.amdhsa_next_free_vgpr 96
		.amdhsa_next_free_sgpr 41
		.amdhsa_accum_offset 96
		.amdhsa_reserve_vcc 1
		.amdhsa_float_round_mode_32 0
		.amdhsa_float_round_mode_16_64 0
		.amdhsa_float_denorm_mode_32 3
		.amdhsa_float_denorm_mode_16_64 3
		.amdhsa_dx10_clamp 1
		.amdhsa_ieee_mode 1
		.amdhsa_fp16_overflow 0
		.amdhsa_tg_split 0
		.amdhsa_exception_fp_ieee_invalid_op 0
		.amdhsa_exception_fp_denorm_src 0
		.amdhsa_exception_fp_ieee_div_zero 0
		.amdhsa_exception_fp_ieee_overflow 0
		.amdhsa_exception_fp_ieee_underflow 0
		.amdhsa_exception_fp_ieee_inexact 0
		.amdhsa_exception_int_div_zero 0
	.end_amdhsa_kernel
	.section	.text._Z39paged_attention_ll4mi_QKV_mfma16_kernelIDF16_DF16_LN4vllm18Fp8KVCacheDataTypeE0EhLi16ELi128ELi256ELb0ELi8EEvPKT_PKT0_S7_ifPKiS9_S9_iPKfiiiPfSC_PS2_PT2_iSB_SB_,"axG",@progbits,_Z39paged_attention_ll4mi_QKV_mfma16_kernelIDF16_DF16_LN4vllm18Fp8KVCacheDataTypeE0EhLi16ELi128ELi256ELb0ELi8EEvPKT_PKT0_S7_ifPKiS9_S9_iPKfiiiPfSC_PS2_PT2_iSB_SB_,comdat
.Lfunc_end235:
	.size	_Z39paged_attention_ll4mi_QKV_mfma16_kernelIDF16_DF16_LN4vllm18Fp8KVCacheDataTypeE0EhLi16ELi128ELi256ELb0ELi8EEvPKT_PKT0_S7_ifPKiS9_S9_iPKfiiiPfSC_PS2_PT2_iSB_SB_, .Lfunc_end235-_Z39paged_attention_ll4mi_QKV_mfma16_kernelIDF16_DF16_LN4vllm18Fp8KVCacheDataTypeE0EhLi16ELi128ELi256ELb0ELi8EEvPKT_PKT0_S7_ifPKiS9_S9_iPKfiiiPfSC_PS2_PT2_iSB_SB_
                                        ; -- End function
	.section	.AMDGPU.csdata,"",@progbits
; Kernel info:
; codeLenInByte = 4348
; NumSgprs: 47
; NumVgprs: 96
; NumAgprs: 0
; TotalNumVgprs: 96
; ScratchSize: 0
; MemoryBound: 0
; FloatMode: 240
; IeeeMode: 1
; LDSByteSize: 8192 bytes/workgroup (compile time only)
; SGPRBlocks: 5
; VGPRBlocks: 11
; NumSGPRsForWavesPerEU: 47
; NumVGPRsForWavesPerEU: 96
; AccumOffset: 96
; Occupancy: 5
; WaveLimiterHint : 1
; COMPUTE_PGM_RSRC2:SCRATCH_EN: 0
; COMPUTE_PGM_RSRC2:USER_SGPR: 2
; COMPUTE_PGM_RSRC2:TRAP_HANDLER: 0
; COMPUTE_PGM_RSRC2:TGID_X_EN: 1
; COMPUTE_PGM_RSRC2:TGID_Y_EN: 1
; COMPUTE_PGM_RSRC2:TGID_Z_EN: 1
; COMPUTE_PGM_RSRC2:TIDIG_COMP_CNT: 0
; COMPUTE_PGM_RSRC3_GFX90A:ACCUM_OFFSET: 23
; COMPUTE_PGM_RSRC3_GFX90A:TG_SPLIT: 0
	.section	.text._Z39paged_attention_ll4mi_QKV_mfma16_kernelIDF16_DF16_LN4vllm18Fp8KVCacheDataTypeE0EhLi16ELi128ELi256ELb0ELi9EEvPKT_PKT0_S7_ifPKiS9_S9_iPKfiiiPfSC_PS2_PT2_iSB_SB_,"axG",@progbits,_Z39paged_attention_ll4mi_QKV_mfma16_kernelIDF16_DF16_LN4vllm18Fp8KVCacheDataTypeE0EhLi16ELi128ELi256ELb0ELi9EEvPKT_PKT0_S7_ifPKiS9_S9_iPKfiiiPfSC_PS2_PT2_iSB_SB_,comdat
	.protected	_Z39paged_attention_ll4mi_QKV_mfma16_kernelIDF16_DF16_LN4vllm18Fp8KVCacheDataTypeE0EhLi16ELi128ELi256ELb0ELi9EEvPKT_PKT0_S7_ifPKiS9_S9_iPKfiiiPfSC_PS2_PT2_iSB_SB_ ; -- Begin function _Z39paged_attention_ll4mi_QKV_mfma16_kernelIDF16_DF16_LN4vllm18Fp8KVCacheDataTypeE0EhLi16ELi128ELi256ELb0ELi9EEvPKT_PKT0_S7_ifPKiS9_S9_iPKfiiiPfSC_PS2_PT2_iSB_SB_
	.globl	_Z39paged_attention_ll4mi_QKV_mfma16_kernelIDF16_DF16_LN4vllm18Fp8KVCacheDataTypeE0EhLi16ELi128ELi256ELb0ELi9EEvPKT_PKT0_S7_ifPKiS9_S9_iPKfiiiPfSC_PS2_PT2_iSB_SB_
	.p2align	8
	.type	_Z39paged_attention_ll4mi_QKV_mfma16_kernelIDF16_DF16_LN4vllm18Fp8KVCacheDataTypeE0EhLi16ELi128ELi256ELb0ELi9EEvPKT_PKT0_S7_ifPKiS9_S9_iPKfiiiPfSC_PS2_PT2_iSB_SB_,@function
_Z39paged_attention_ll4mi_QKV_mfma16_kernelIDF16_DF16_LN4vllm18Fp8KVCacheDataTypeE0EhLi16ELi128ELi256ELb0ELi9EEvPKT_PKT0_S7_ifPKiS9_S9_iPKfiiiPfSC_PS2_PT2_iSB_SB_: ; @_Z39paged_attention_ll4mi_QKV_mfma16_kernelIDF16_DF16_LN4vllm18Fp8KVCacheDataTypeE0EhLi16ELi128ELi256ELb0ELi9EEvPKT_PKT0_S7_ifPKiS9_S9_iPKfiiiPfSC_PS2_PT2_iSB_SB_
; %bb.0:
	s_load_dwordx2 s[8:9], s[0:1], 0x30
	s_mov_b32 s26, s3
	s_mov_b64 s[6:7], 0
	s_waitcnt lgkmcnt(0)
	s_cmp_lg_u64 s[8:9], 0
	s_cselect_b64 s[10:11], -1, 0
	s_and_b64 vcc, exec, s[10:11]
	s_cbranch_vccz .LBB236_7
; %bb.1:
	s_add_i32 s12, s2, 1
	s_mov_b32 s13, 0
	s_lshl_b64 s[14:15], s[12:13], 2
	s_add_u32 s14, s8, s14
	s_mov_b32 s3, s13
	s_addc_u32 s15, s9, s15
	s_lshl_b64 s[12:13], s[2:3], 2
	s_add_u32 s12, s8, s12
	s_addc_u32 s13, s9, s13
	s_load_dword s5, s[14:15], 0x0
	s_load_dword s16, s[12:13], 0x0
	s_waitcnt lgkmcnt(0)
	s_sub_i32 s5, s5, s16
	s_cmp_eq_u32 s5, 1
	s_cselect_b64 s[12:13], -1, 0
	s_andn2_b64 vcc, exec, s[6:7]
	s_cbranch_vccnz .LBB236_3
.LBB236_2:
	s_mov_b32 s3, 0
	s_mov_b64 s[12:13], -1
.LBB236_3:
	s_andn2_b64 vcc, exec, s[12:13]
	s_cbranch_vccnz .LBB236_18
; %bb.4:
	s_load_dwordx2 s[6:7], s[0:1], 0x28
	s_lshl_b64 s[16:17], s[2:3], 2
	s_waitcnt lgkmcnt(0)
	s_add_u32 s6, s6, s16
	s_addc_u32 s7, s7, s17
	s_load_dword s33, s[6:7], 0x0
	s_lshl_b32 s18, s26, 8
	s_waitcnt lgkmcnt(0)
	s_cmp_ge_i32 s18, s33
	s_cbranch_scc1 .LBB236_18
; %bb.5:
	s_load_dwordx2 s[6:7], s[0:1], 0x20
	s_load_dword s5, s[0:1], 0x38
	s_add_i32 s12, s33, 15
	s_ashr_i32 s13, s12, 31
	v_and_b32_e32 v1, 0xcf, v0
	s_lshr_b32 s13, s13, 28
	v_add_u32_e32 v1, s18, v1
	s_add_i32 s12, s12, s13
	v_ashrrev_i32_e32 v2, 31, v1
	s_ashr_i32 s19, s12, 4
	v_lshrrev_b32_e32 v4, 28, v2
	s_add_i32 s19, s19, -1
	s_waitcnt lgkmcnt(0)
	s_mul_i32 s12, s2, s5
	s_mov_b32 s13, 0
	v_add_u32_e32 v2, v1, v4
	s_lshl_b64 s[12:13], s[12:13], 2
	v_ashrrev_i32_e32 v2, 4, v2
	v_mov_b32_e32 v5, s19
	v_cmp_gt_i32_e32 vcc, s33, v1
	s_add_u32 s6, s6, s12
	s_addc_u32 s7, s7, s13
	v_cndmask_b32_e32 v2, v5, v2, vcc
	v_ashrrev_i32_e32 v3, 31, v2
	v_lshl_add_u64 v[6:7], v[2:3], 2, s[6:7]
	v_or_b32_e32 v2, 16, v1
	v_add_u32_e32 v3, v2, v4
	v_ashrrev_i32_e32 v3, 4, v3
	v_cmp_gt_i32_e32 vcc, s33, v2
	s_load_dwordx4 s[12:15], s[0:1], 0x8
	s_nop 0
	v_cndmask_b32_e32 v2, v5, v3, vcc
	v_ashrrev_i32_e32 v3, 31, v2
	v_lshl_add_u64 v[8:9], v[2:3], 2, s[6:7]
	v_or_b32_e32 v2, 32, v1
	v_add_u32_e32 v3, v2, v4
	v_ashrrev_i32_e32 v3, 4, v3
	v_cmp_gt_i32_e32 vcc, s33, v2
	v_or_b32_e32 v1, 48, v1
	s_nop 0
	v_cndmask_b32_e32 v2, v5, v3, vcc
	v_ashrrev_i32_e32 v3, 31, v2
	v_lshl_add_u64 v[10:11], v[2:3], 2, s[6:7]
	v_add_u32_e32 v2, v1, v4
	v_ashrrev_i32_e32 v2, 4, v2
	v_cmp_gt_i32_e32 vcc, s33, v1
	s_nop 1
	v_cndmask_b32_e32 v2, v5, v2, vcc
	v_ashrrev_i32_e32 v3, 31, v2
	v_lshl_add_u64 v[12:13], v[2:3], 2, s[6:7]
	global_load_dword v4, v[6:7], off
	global_load_dword v3, v[8:9], off
	;; [unrolled: 1-line block ×4, first 2 shown]
	s_andn2_b64 vcc, exec, s[10:11]
	s_cbranch_vccnz .LBB236_8
; %bb.6:
	s_add_u32 s8, s8, s16
	s_addc_u32 s9, s9, s17
	s_load_dword s5, s[8:9], 0x0
	s_branch .LBB236_9
.LBB236_7:
	s_mov_b64 s[12:13], 0
	s_branch .LBB236_2
.LBB236_8:
	s_mov_b32 s5, s2
.LBB236_9:
	s_load_dwordx4 s[8:11], s[0:1], 0x48
	v_lshrrev_b32_e32 v77, 6, v0
	v_bfe_u32 v86, v0, 4, 2
	v_and_b32_e32 v76, 15, v0
	v_lshl_or_b32 v1, v77, 2, v86
	v_lshlrev_b32_e32 v5, 3, v76
	v_and_b32_e32 v87, 63, v0
	s_mul_i32 s40, s4, 9
	v_cmp_gt_u32_e32 vcc, 9, v1
	v_lshlrev_b32_e32 v74, 1, v5
	s_and_saveexec_b64 s[16:17], vcc
	s_cbranch_execz .LBB236_11
; %bb.10:
	s_load_dwordx2 s[20:21], s[0:1], 0x0
	s_waitcnt lgkmcnt(0)
	s_ashr_i32 s11, s8, 31
	s_mul_hi_u32 s22, s5, s8
	s_mul_i32 s11, s5, s11
	s_add_i32 s23, s22, s11
	s_mul_i32 s22, s5, s8
	s_lshl_b64 s[22:23], s[22:23], 1
	s_add_u32 s20, s20, s22
	v_add_lshl_u32 v6, v1, s40, 7
	s_addc_u32 s21, s21, s23
	v_ashrrev_i32_e32 v7, 31, v6
	v_lshl_add_u64 v[6:7], v[6:7], 1, s[20:21]
	v_mov_b32_e32 v75, 0
	v_lshl_add_u64 v[6:7], v[6:7], 0, v[74:75]
	global_load_dwordx4 v[6:9], v[6:7], off
	v_and_b32_e32 v5, 3, v0
	v_lshlrev_b32_e32 v10, 9, v76
	v_lshlrev_b32_e32 v1, 5, v1
	;; [unrolled: 1-line block ×3, first 2 shown]
	v_and_b32_e32 v10, 0x1800, v10
	v_or3_b32 v1, v10, v5, v1
	s_waitcnt vmcnt(0)
	ds_write_b128 v1, v[6:9]
.LBB236_11:
	s_or_b64 exec, exec, s[16:17]
	s_waitcnt lgkmcnt(0)
	s_mul_i32 s4, s4, s10
	s_mov_b32 s5, 0
	s_lshl_b64 s[4:5], s[4:5], 1
	s_add_u32 s10, s12, s4
	v_lshlrev_b32_e32 v1, 4, v0
	s_addc_u32 s11, s13, s5
	v_and_b32_e32 v34, 0xf0, v1
	v_mov_b32_e32 v35, 0
	v_lshl_add_u64 v[30:31], s[10:11], 0, v[34:35]
	s_waitcnt vmcnt(3)
	v_mad_i64_i32 v[4:5], s[10:11], v4, s9, 0
	v_lshl_add_u64 v[4:5], v[4:5], 1, v[30:31]
	v_and_b32_e32 v34, 0x300, v1
	v_lshl_add_u64 v[32:33], v[4:5], 0, v[34:35]
	s_load_dword s27, s[0:1], 0x98
	s_load_dword s8, s[0:1], 0x1c
	s_waitcnt lgkmcnt(0)
	s_barrier
	global_load_dwordx4 v[6:9], v[32:33], off
	global_load_dwordx4 v[18:21], v[32:33], off offset:1024
	s_waitcnt vmcnt(4)
	v_mad_i64_i32 v[4:5], s[10:11], v3, s9, 0
	s_waitcnt vmcnt(3)
	v_mad_i64_i32 v[2:3], s[10:11], v2, s9, 0
	v_lshl_add_u64 v[4:5], v[4:5], 1, v[30:31]
	v_lshl_add_u64 v[2:3], v[2:3], 1, v[30:31]
	;; [unrolled: 1-line block ×4, first 2 shown]
	global_load_dwordx4 v[14:17], v[36:37], off
	global_load_dwordx4 v[22:25], v[36:37], off offset:1024
	global_load_dwordx4 v[26:29], v[38:39], off
	global_load_dwordx4 v[46:49], v[38:39], off offset:1024
	v_add_u32_e32 v2, -9, v76
	v_cmp_gt_u32_e32 vcc, 9, v76
	global_load_dwordx4 v[54:57], v[32:33], off offset:2048
	global_load_dwordx4 v[62:65], v[36:37], off offset:2048
	v_cndmask_b32_e32 v2, v2, v76, vcc
	v_lshlrev_b32_e32 v2, 5, v2
	v_lshl_add_u32 v41, v86, 9, v2
	ds_read_b128 v[10:13], v41
	ds_read_b128 v[2:5], v41 offset:2048
	v_mov_b32_e32 v70, s19
	s_add_u32 s4, s14, s4
	s_addc_u32 s5, s15, s5
	s_mov_b32 s41, 0xff7fffff
	s_waitcnt vmcnt(7) lgkmcnt(1)
	v_mfma_f32_16x16x16_f16 v[42:45], v[6:7], v[10:11], 0
	v_mfma_f32_16x16x16_f16 v[6:9], v[8:9], v[12:13], v[42:45]
	s_nop 5
	global_load_dwordx4 v[42:45], v[38:39], off offset:2048
	s_waitcnt vmcnt(6)
	v_mfma_f32_16x16x16_f16 v[50:53], v[14:15], v[10:11], 0
	s_waitcnt vmcnt(4)
	v_mfma_f32_16x16x16_f16 v[58:61], v[26:27], v[10:11], 0
	v_mfma_f32_16x16x16_f16 v[14:17], v[16:17], v[12:13], v[50:53]
	;; [unrolled: 1-line block ×3, first 2 shown]
	s_nop 2
	global_load_dwordx4 v[50:53], v[32:33], off offset:3072
	v_mad_i64_i32 v[32:33], s[10:11], v40, s9, 0
	s_waitcnt lgkmcnt(0)
	v_mfma_f32_16x16x16_f16 v[6:9], v[18:19], v[2:3], v[6:9]
	v_and_or_b32 v40, v0, 48, s18
	v_ashrrev_i32_e32 v58, 4, v40
	v_cmp_gt_i32_e32 vcc, s33, v40
	v_mfma_f32_16x16x16_f16 v[14:17], v[22:23], v[2:3], v[14:17]
	v_or_b32_e32 v66, 64, v40
	v_cndmask_b32_e32 v22, v70, v58, vcc
	v_ashrrev_i32_e32 v23, 31, v22
	s_waitcnt vmcnt(4)
	v_mfma_f32_16x16x16_f16 v[26:29], v[46:47], v[2:3], v[26:29]
	v_or_b32_e32 v71, 0x80, v40
	v_or_b32_e32 v72, 0xc0, v40
	v_ashrrev_i32_e32 v40, 4, v66
	v_mfma_f32_16x16x16_f16 v[6:9], v[20:21], v[4:5], v[6:9]
	global_load_dwordx4 v[18:21], v[38:39], off offset:3072
	v_cmp_gt_i32_e32 vcc, s33, v66
	v_lshl_add_u64 v[22:23], v[22:23], 2, s[6:7]
	global_load_dwordx4 v[58:61], v[36:37], off offset:3072
	v_cndmask_b32_e32 v36, v70, v40, vcc
	v_mfma_f32_16x16x16_f16 v[14:17], v[24:25], v[4:5], v[14:17]
	global_load_dword v78, v[22:23], off
	ds_read_b128 v[66:69], v41 offset:4096
	v_ashrrev_i32_e32 v37, 31, v36
	v_mfma_f32_16x16x16_f16 v[22:25], v[48:49], v[4:5], v[26:29]
	v_ashrrev_i32_e32 v73, 4, v71
	v_cmp_gt_i32_e32 vcc, s33, v71
	v_ashrrev_i32_e32 v75, 4, v72
	v_lshl_add_u64 v[26:27], v[32:33], 1, v[30:31]
	v_lshl_add_u64 v[26:27], v[26:27], 0, v[34:35]
	;; [unrolled: 1-line block ×3, first 2 shown]
	global_load_dwordx4 v[46:49], v[26:27], off
	global_load_dword v36, v[28:29], off
	s_waitcnt vmcnt(8) lgkmcnt(0)
	v_mfma_f32_16x16x16_f16 v[6:9], v[54:55], v[66:67], v[6:9]
	v_cndmask_b32_e32 v28, v70, v73, vcc
	v_ashrrev_i32_e32 v29, 31, v28
	v_lshl_add_u64 v[28:29], v[28:29], 2, s[6:7]
	v_mfma_f32_16x16x16_f16 v[6:9], v[56:57], v[68:69], v[6:9]
	global_load_dwordx4 v[54:57], v[26:27], off offset:1024
	v_cmp_gt_i32_e32 vcc, s33, v72
	global_load_dword v82, v[28:29], off
	ds_read_b128 v[38:41], v41 offset:6144
	v_cndmask_b32_e32 v28, v70, v75, vcc
	v_ashrrev_i32_e32 v29, 31, v28
	v_lshl_add_u64 v[28:29], v[28:29], 2, s[6:7]
	global_load_dword v83, v[28:29], off
	s_waitcnt vmcnt(10)
	v_mfma_f32_16x16x16_f16 v[14:17], v[62:63], v[66:67], v[14:17]
	v_lshl_or_b32 v75, v77, 4, v76
	v_lshlrev_b32_e32 v34, 5, v75
	v_lshl_add_u64 v[62:63], s[4:5], 0, v[34:35]
	v_mfma_f32_16x16x16_f16 v[14:17], v[64:65], v[68:69], v[14:17]
	v_or_b32_e32 v34, 0x800, v34
	global_load_dwordx4 v[70:73], v[26:27], off offset:3072
	s_waitcnt vmcnt(10)
	v_mfma_f32_16x16x16_f16 v[22:25], v[42:43], v[66:67], v[22:25]
	v_mfma_f32_16x16x16_f16 v[22:25], v[44:45], v[68:69], v[22:25]
	global_load_dwordx4 v[42:45], v[26:27], off offset:2048
	s_waitcnt vmcnt(10) lgkmcnt(0)
	v_mfma_f32_16x16x16_f16 v[6:9], v[50:51], v[38:39], v[6:9]
	s_waitcnt vmcnt(9)
	v_mfma_f32_16x16x16_f16 v[22:25], v[18:19], v[38:39], v[22:25]
	s_waitcnt vmcnt(7)
	v_mad_i64_i32 v[18:19], s[6:7], v78, s9, 0
	v_lshlrev_b64 v[64:65], 1, v[18:19]
	v_mfma_f32_16x16x16_f16 v[78:81], v[52:53], v[40:41], v[6:9]
	s_nop 2
	v_lshl_add_u64 v[6:7], v[62:63], 0, v[64:65]
	global_load_dwordx4 v[30:33], v[6:7], off
	global_load_dwordx4 v[26:29], v[6:7], off offset:16
	v_mfma_f32_16x16x16_f16 v[92:95], v[20:21], v[40:41], v[22:25]
	s_waitcnt vmcnt(7)
	v_mad_i64_i32 v[6:7], s[6:7], v36, s9, 0
	v_lshlrev_b64 v[36:37], 1, v[6:7]
	v_lshl_add_u64 v[6:7], v[62:63], 0, v[36:37]
	global_load_dwordx4 v[22:25], v[6:7], off
	global_load_dwordx4 v[18:21], v[6:7], off offset:16
	v_mfma_f32_16x16x16_f16 v[6:9], v[46:47], v[10:11], 0
	s_waitcnt vmcnt(7)
	v_mad_i64_i32 v[10:11], s[6:7], v82, s9, 0
	v_mfma_f32_16x16x16_f16 v[6:9], v[48:49], v[12:13], v[6:9]
	v_lshlrev_b64 v[50:51], 1, v[10:11]
	v_lshl_add_u64 v[10:11], v[62:63], 0, v[50:51]
	v_mfma_f32_16x16x16_f16 v[6:9], v[54:55], v[2:3], v[6:9]
	s_waitcnt vmcnt(6)
	v_mad_i64_i32 v[2:3], s[6:7], v83, s9, 0
	v_pk_mul_f32 v[82:83], s[8:9], v[80:81] op_sel_hi:[0,1]
	v_mfma_f32_16x16x16_f16 v[46:49], v[56:57], v[4:5], v[6:9]
	v_pk_mul_f32 v[80:81], s[8:9], v[92:93] op_sel_hi:[0,1]
	v_mfma_f32_16x16x16_f16 v[14:17], v[58:59], v[38:39], v[14:17]
	v_lshlrev_b64 v[58:59], 1, v[2:3]
	v_lshl_add_u64 v[2:3], v[62:63], 0, v[58:59]
	v_lshl_add_u64 v[62:63], s[4:5], 0, v[34:35]
	v_mfma_f32_16x16x16_f16 v[88:91], v[60:61], v[40:41], v[14:17]
	v_pk_mul_f32 v[60:61], s[8:9], v[78:79] op_sel_hi:[0,1]
	v_pk_mul_f32 v[78:79], s[8:9], v[94:95] op_sel_hi:[0,1]
	v_lshl_add_u64 v[34:35], v[62:63], 0, v[64:65]
	s_waitcnt vmcnt(4)
	v_mfma_f32_16x16x16_f16 v[46:49], v[42:43], v[66:67], v[46:49]
	s_nop 1
	v_pk_mul_f32 v[84:85], s[8:9], v[90:91] op_sel_hi:[0,1]
	global_load_dwordx4 v[14:17], v[10:11], off
	s_nop 0
	global_load_dwordx4 v[10:13], v[10:11], off offset:16
	s_nop 0
	global_load_dwordx4 v[6:9], v[2:3], off
	s_nop 0
	global_load_dwordx4 v[2:5], v[2:3], off offset:16
	v_mfma_f32_16x16x16_f16 v[42:45], v[44:45], v[68:69], v[46:49]
	v_lshl_add_u64 v[50:51], v[62:63], 0, v[50:51]
	v_lshl_add_u64 v[58:59], v[62:63], 0, v[58:59]
	v_mfma_f32_16x16x16_f16 v[42:45], v[70:71], v[38:39], v[42:45]
	v_pk_mul_f32 v[70:71], s[8:9], v[88:89] op_sel_hi:[0,1]
	v_mfma_f32_16x16x16_f16 v[38:41], v[72:73], v[40:41], v[42:45]
	s_nop 6
	v_pk_mul_f32 v[72:73], s[8:9], v[38:39] op_sel_hi:[0,1]
	v_and_b32_e32 v38, 0xc0, v0
	v_add_u32_e32 v38, s18, v38
	v_lshl_or_b32 v38, v86, 2, v38
	v_pk_mul_f32 v[66:67], s[8:9], v[40:41] op_sel_hi:[0,1]
	v_or_b32_e32 v41, 1, v38
	v_mov_b32_e32 v39, 0xff7fffff
	v_cmp_gt_i32_e64 s[28:29], s33, v38
	v_cmp_gt_i32_e64 s[30:31], s33, v41
	v_or_b32_e32 v42, 3, v38
	v_cndmask_b32_e64 v40, v39, v60, s[28:29]
	v_cndmask_b32_e64 v41, v39, v61, s[30:31]
	v_max3_f32 v40, v40, s41, v41
	v_or_b32_e32 v41, 2, v38
	v_cmp_gt_i32_e64 s[34:35], s33, v41
	v_cmp_gt_i32_e64 s[36:37], s33, v42
	s_nop 0
	v_cndmask_b32_e64 v41, v39, v82, s[34:35]
	v_cndmask_b32_e64 v42, v39, v83, s[36:37]
	v_max3_f32 v40, v40, v41, v42
	v_or_b32_e32 v41, 16, v38
	v_or_b32_e32 v42, 17, v38
	v_cmp_gt_i32_e64 s[22:23], s33, v41
	v_cmp_gt_i32_e64 s[24:25], s33, v42
	s_nop 0
	v_cndmask_b32_e64 v41, v39, v70, s[22:23]
	v_cndmask_b32_e64 v42, v39, v71, s[24:25]
	v_max3_f32 v40, v40, v41, v42
	v_or_b32_e32 v41, 18, v38
	;; [unrolled: 8-line block ×6, first 2 shown]
	v_or_b32_e32 v38, 51, v38
	v_cmp_gt_i32_e32 vcc, s33, v41
	v_cmp_gt_i32_e64 s[4:5], s33, v38
	s_nop 0
	v_cndmask_b32_e32 v41, v39, v66, vcc
	v_cndmask_b32_e64 v38, v39, v67, s[4:5]
	v_max3_f32 v52, v40, v41, v38
	v_mbcnt_lo_u32_b32 v38, -1, 0
	v_mbcnt_hi_u32_b32 v53, -1, v38
	v_and_b32_e32 v38, 64, v53
	v_add_u32_e32 v54, 64, v38
	v_xor_b32_e32 v38, 32, v53
	v_cmp_lt_i32_e64 s[38:39], v38, v54
	s_nop 1
	v_cndmask_b32_e64 v38, v53, v38, s[38:39]
	v_lshlrev_b32_e32 v89, 2, v38
	ds_bpermute_b32 v55, v89, v52
	global_load_dwordx4 v[46:49], v[34:35], off
	global_load_dwordx4 v[38:41], v[34:35], off offset:16
	v_lshl_add_u64 v[34:35], v[62:63], 0, v[36:37]
	global_load_dwordx4 v[42:45], v[34:35], off
	s_nop 0
	global_load_dwordx4 v[34:37], v[34:35], off offset:16
	s_waitcnt lgkmcnt(0)
	v_max_f32_e32 v55, v55, v55
	v_max_f32_e32 v64, v52, v55
	v_xor_b32_e32 v52, 16, v53
	v_cmp_lt_i32_e64 s[38:39], v52, v54
	s_nop 1
	v_cndmask_b32_e64 v52, v53, v52, s[38:39]
	v_lshlrev_b32_e32 v90, 2, v52
	ds_bpermute_b32 v65, v90, v64
	global_load_dwordx4 v[54:57], v[50:51], off
	s_nop 0
	global_load_dwordx4 v[50:53], v[50:51], off offset:16
	s_waitcnt lgkmcnt(0)
	v_max_f32_e32 v62, v65, v65
	v_max_f32_e32 v88, v64, v62
	v_sub_f32_e32 v60, v60, v88
	v_mul_f32_e32 v60, 0x3fb8aa3b, v60
	v_exp_f32_e32 v68, v60
	v_sub_f32_e32 v60, v61, v88
	v_mul_f32_e32 v60, 0x3fb8aa3b, v60
	v_exp_f32_e32 v69, v60
	global_load_dwordx4 v[62:65], v[58:59], off
	s_nop 0
	global_load_dwordx4 v[58:61], v[58:59], off offset:16
	v_sub_f32_e32 v82, v82, v88
	v_mul_f32_e32 v82, 0x3fb8aa3b, v82
	v_sub_f32_e32 v83, v83, v88
	v_exp_f32_e32 v82, v82
	v_mul_f32_e32 v83, 0x3fb8aa3b, v83
	v_sub_f32_e32 v70, v70, v88
	v_exp_f32_e32 v83, v83
	v_mul_f32_e32 v70, 0x3fb8aa3b, v70
	v_sub_f32_e32 v71, v71, v88
	v_cndmask_b32_e64 v68, 0, v68, s[28:29]
	v_exp_f32_e32 v70, v70
	v_mul_f32_e32 v71, 0x3fb8aa3b, v71
	v_sub_f32_e32 v84, v84, v88
	v_add_f32_e32 v91, 0, v68
	v_cndmask_b32_e64 v69, 0, v69, s[30:31]
	v_exp_f32_e32 v71, v71
	v_mul_f32_e32 v84, 0x3fb8aa3b, v84
	v_sub_f32_e32 v85, v85, v88
	v_add_f32_e32 v91, v91, v69
	;; [unrolled: 5-line block ×10, first 2 shown]
	v_cndmask_b32_e64 v78, 0, v78, s[10:11]
	v_exp_f32_e32 v66, v66
	v_mul_f32_e32 v67, 0x3fb8aa3b, v67
	v_add_f32_e32 v91, v91, v78
	v_cndmask_b32_e64 v79, 0, v79, s[12:13]
	v_exp_f32_e32 v67, v67
	v_add_f32_e32 v91, v91, v79
	v_cndmask_b32_e64 v72, 0, v72, s[6:7]
	v_add_f32_e32 v91, v91, v72
	v_cndmask_b32_e64 v73, 0, v73, s[8:9]
	v_add_f32_e32 v91, v91, v73
	v_cndmask_b32_e32 v66, 0, v66, vcc
	v_add_f32_e32 v91, v91, v66
	v_cndmask_b32_e64 v67, 0, v67, s[4:5]
	v_add_f32_e32 v91, v91, v67
	ds_bpermute_b32 v89, v89, v91
	v_cmp_gt_u32_e64 s[4:5], 16, v87
	s_waitcnt lgkmcnt(0)
	s_barrier
	v_add_f32_e32 v89, v91, v89
	ds_bpermute_b32 v90, v90, v89
	s_and_saveexec_b64 s[6:7], s[4:5]
	s_cbranch_execz .LBB236_13
; %bb.12:
	s_waitcnt lgkmcnt(0)
	v_add_f32_e32 v87, v89, v90
	v_lshlrev_b32_e32 v75, 2, v75
	ds_write2st64_b32 v75, v88, v87 offset1:1
.LBB236_13:
	s_or_b64 exec, exec, s[6:7]
	v_lshlrev_b32_e32 v75, 2, v76
	s_load_dword s8, s[0:1], 0x94
	s_waitcnt lgkmcnt(0)
	s_barrier
	ds_read2_b32 v[88:89], v75 offset1:16
	ds_read2_b32 v[90:91], v75 offset0:32 offset1:48
	ds_read2_b32 v[92:93], v75 offset0:64 offset1:80
	;; [unrolled: 1-line block ×3, first 2 shown]
	s_waitcnt lgkmcnt(0)
	v_max3_f32 v87, v88, s41, v89
	v_max3_f32 v87, v87, v90, v91
	v_sub_f32_e32 v88, v88, v87
	v_mul_f32_e32 v88, 0x3fb8aa3b, v88
	v_exp_f32_e32 v1, v88
	v_sub_f32_e32 v88, v89, v87
	v_mul_f32_e32 v88, 0x3fb8aa3b, v88
	v_exp_f32_e32 v89, v88
	v_sub_f32_e32 v88, v90, v87
	v_mul_f32_e32 v88, 0x3fb8aa3b, v88
	v_sub_f32_e32 v75, v91, v87
	v_exp_f32_e32 v90, v88
	v_mul_f32_e32 v75, 0x3fb8aa3b, v75
	v_exp_f32_e32 v75, v75
	v_fma_f32 v88, v1, v92, 0
	v_fmac_f32_e32 v88, v89, v93
	v_fmac_f32_e32 v88, v90, v94
	;; [unrolled: 1-line block ×3, first 2 shown]
	v_add_f32_e32 v91, 0x358637bd, v88
	v_div_scale_f32 v92, s[6:7], v91, v91, 1.0
	v_rcp_f32_e32 v93, v92
	s_barrier
	s_mul_i32 s9, s27, 9
	v_fma_f32 v94, -v92, v93, 1.0
	v_fmac_f32_e32 v93, v94, v93
	v_div_scale_f32 v94, vcc, 1.0, v91, 1.0
	v_mul_f32_e32 v95, v94, v93
	v_fma_f32 v86, -v92, v95, v94
	v_fmac_f32_e32 v95, v86, v93
	v_fma_f32 v86, -v92, v95, v94
	v_div_fmas_f32 v86, v86, v93, v95
	v_cmp_eq_u32_e32 vcc, 1, v77
	v_div_fixup_f32 v86, v86, v91, 1.0
	s_nop 0
	v_cndmask_b32_e32 v1, v1, v89, vcc
	v_cmp_eq_u32_e32 vcc, 2, v77
	s_nop 1
	v_cndmask_b32_e32 v1, v1, v90, vcc
	v_cmp_eq_u32_e32 vcc, 3, v77
	s_nop 1
	v_cndmask_b32_e32 v1, v1, v75, vcc
	v_mul_f32_e32 v90, v1, v86
	v_pk_mul_f32 v[82:83], v[90:91], v[82:83] op_sel_hi:[0,1]
	v_pk_mul_f32 v[68:69], v[90:91], v[68:69] op_sel_hi:[0,1]
	v_cvt_f16_f32_e32 v1, v68
	v_cvt_f16_f32_e32 v68, v69
	;; [unrolled: 1-line block ×4, first 2 shown]
	v_pk_mul_f32 v[84:85], v[90:91], v[84:85] op_sel_hi:[0,1]
	v_pk_mul_f32 v[70:71], v[90:91], v[70:71] op_sel_hi:[0,1]
	v_bfe_u32 v86, v0, 4, 2
	v_pack_b32_f16 v83, v69, v75
	v_cvt_f16_f32_e32 v69, v70
	v_cvt_f16_f32_e32 v70, v71
	;; [unrolled: 1-line block ×4, first 2 shown]
	v_pack_b32_f16 v82, v1, v68
	v_lshlrev_b32_e32 v1, 3, v86
	v_lshlrev_b32_e32 v68, 5, v76
	;; [unrolled: 1-line block ×3, first 2 shown]
	v_or3_b32 v75, v75, v68, v1
	v_pack_b32_f16 v70, v69, v70
	v_pack_b32_f16 v71, v71, v84
	ds_write2st64_b64 v75, v[82:83], v[70:71] offset1:1
	v_pk_mul_f32 v[70:71], v[90:91], v[78:79] op_sel_hi:[0,1]
	v_pk_mul_f32 v[78:79], v[90:91], v[80:81] op_sel_hi:[0,1]
	v_cvt_f16_f32_e32 v1, v78
	v_cvt_f16_f32_e32 v77, v70
	v_cvt_f16_f32_e32 v78, v71
	v_pk_mul_f32 v[66:67], v[90:91], v[66:67] op_sel_hi:[0,1]
	v_pk_mul_f32 v[70:71], v[90:91], v[72:73] op_sel_hi:[0,1]
	v_cvt_f16_f32_e32 v69, v79
	v_cvt_f16_f32_e32 v70, v70
	;; [unrolled: 1-line block ×5, first 2 shown]
	v_pack_b32_f16 v66, v1, v69
	v_pack_b32_f16 v67, v77, v78
	;; [unrolled: 1-line block ×4, first 2 shown]
	v_cmp_gt_u32_e32 vcc, 9, v0
	ds_write2st64_b64 v75, v[66:67], v[70:71] offset0:2 offset1:3
	s_and_saveexec_b64 s[6:7], vcc
	s_cbranch_execz .LBB236_15
; %bb.14:
	s_mov_b32 s41, 0
	v_mov_b32_e32 v77, 0
	v_lshl_add_u64 v[66:67], s[40:41], 0, v[76:77]
	v_mov_b32_e32 v1, s9
	v_mad_u64_u32 v[66:67], s[10:11], s2, v1, v[66:67]
	s_mul_i32 s3, s3, s9
	v_mov_b32_e32 v70, s26
	v_mov_b32_e32 v71, v77
	s_load_dwordx4 s[12:15], s[0:1], 0x58
	v_add_u32_e32 v1, s3, v67
	v_mad_u64_u32 v[66:67], s[10:11], v66, s8, v[70:71]
	v_mov_b32_e32 v70, v67
	v_mad_u64_u32 v[70:71], s[10:11], v1, s8, v[70:71]
	v_mov_b32_e32 v67, v70
	v_lshlrev_b64 v[66:67], 2, v[66:67]
	s_waitcnt lgkmcnt(0)
	v_lshl_add_u64 v[70:71], s[14:15], 0, v[66:67]
	v_lshl_add_u64 v[66:67], s[12:13], 0, v[66:67]
	global_store_dword v[70:71], v87, off
	global_store_dword v[66:67], v88, off
.LBB236_15:
	s_or_b64 exec, exec, s[6:7]
	v_lshl_or_b32 v1, v86, 9, v68
	s_waitcnt lgkmcnt(0)
	s_barrier
	ds_read_b128 v[70:73], v1
	ds_read_b128 v[66:69], v1 offset:16
	s_waitcnt vmcnt(15) lgkmcnt(1)
	v_mfma_f32_16x16x16_f16 v[78:81], v[30:31], v[70:71], 0
	s_mov_b32 s3, 0
	v_cmp_gt_u32_e32 vcc, 64, v0
	v_mfma_f32_16x16x16_f16 v[30:33], v[32:33], v[72:73], v[78:81]
	s_waitcnt vmcnt(14) lgkmcnt(0)
	v_mfma_f32_16x16x16_f16 v[30:33], v[26:27], v[66:67], v[30:33]
	v_mfma_f32_16x16x16_f16 v[26:29], v[28:29], v[68:69], v[30:33]
	s_nop 5
	ds_read_b128 v[30:33], v1 offset:2048
	ds_read_b128 v[78:81], v1 offset:2064
	s_waitcnt vmcnt(13) lgkmcnt(1)
	v_mfma_f32_16x16x16_f16 v[26:29], v[22:23], v[30:31], v[26:29]
	v_mfma_f32_16x16x16_f16 v[22:25], v[24:25], v[32:33], v[26:29]
	s_waitcnt vmcnt(12) lgkmcnt(0)
	v_mfma_f32_16x16x16_f16 v[22:25], v[18:19], v[78:79], v[22:25]
	v_mfma_f32_16x16x16_f16 v[18:21], v[20:21], v[80:81], v[22:25]
	s_nop 5
	ds_read_b128 v[22:25], v1 offset:4096
	ds_read_b128 v[26:29], v1 offset:4112
	s_waitcnt vmcnt(11) lgkmcnt(1)
	v_mfma_f32_16x16x16_f16 v[18:21], v[14:15], v[22:23], v[18:21]
	v_mfma_f32_16x16x16_f16 v[14:17], v[16:17], v[24:25], v[18:21]
	s_waitcnt vmcnt(10) lgkmcnt(0)
	v_mfma_f32_16x16x16_f16 v[14:17], v[10:11], v[26:27], v[14:17]
	v_mfma_f32_16x16x16_f16 v[10:13], v[12:13], v[28:29], v[14:17]
	s_nop 5
	ds_read_b128 v[14:17], v1 offset:6144
	ds_read_b128 v[18:21], v1 offset:6160
	s_waitcnt lgkmcnt(0)
	s_barrier
	s_waitcnt vmcnt(9)
	v_mfma_f32_16x16x16_f16 v[10:13], v[6:7], v[14:15], v[10:13]
	v_mfma_f32_16x16x16_f16 v[6:9], v[8:9], v[16:17], v[10:13]
	s_waitcnt vmcnt(8)
	v_mfma_f32_16x16x16_f16 v[6:9], v[2:3], v[18:19], v[6:9]
	v_mfma_f32_16x16x16_f16 v[2:5], v[4:5], v[20:21], v[6:9]
	;; [unrolled: 3-line block ×3, first 2 shown]
	s_nop 3
	v_cvt_f16_f32_e32 v1, v2
	v_cvt_f16_f32_e32 v10, v3
	;; [unrolled: 1-line block ×3, first 2 shown]
	s_waitcnt vmcnt(6)
	v_mfma_f32_16x16x16_f16 v[6:9], v[38:39], v[66:67], v[6:9]
	v_cvt_f16_f32_e32 v12, v5
	v_mfma_f32_16x16x16_f16 v[6:9], v[40:41], v[68:69], v[6:9]
	s_waitcnt vmcnt(5)
	v_mfma_f32_16x16x16_f16 v[6:9], v[42:43], v[30:31], v[6:9]
	v_mfma_f32_16x16x16_f16 v[6:9], v[44:45], v[32:33], v[6:9]
	s_waitcnt vmcnt(4)
	v_mfma_f32_16x16x16_f16 v[6:9], v[34:35], v[78:79], v[6:9]
	;; [unrolled: 3-line block ×6, first 2 shown]
	v_mfma_f32_16x16x16_f16 v[2:5], v[60:61], v[20:21], v[6:9]
	s_nop 6
	v_cvt_f16_f32_e32 v6, v2
	v_cvt_f16_f32_e32 v7, v3
	;; [unrolled: 1-line block ×4, first 2 shown]
	v_pack_b32_f16 v2, v1, v10
	v_pack_b32_f16 v3, v11, v12
	;; [unrolled: 1-line block ×4, first 2 shown]
	ds_write2st64_b64 v75, v[2:3], v[4:5] offset1:1
	s_waitcnt lgkmcnt(0)
	s_barrier
	s_and_saveexec_b64 s[6:7], vcc
	s_cbranch_execz .LBB236_18
; %bb.16:
	s_load_dwordx2 s[6:7], s[0:1], 0x68
	s_lshl_b32 s0, s8, 7
	s_mul_i32 s1, s9, s2
	v_lshlrev_b32_e32 v3, 6, v76
	s_mul_hi_u32 s9, s1, s0
	s_mul_i32 s8, s1, s0
	v_lshlrev_b32_e32 v2, 4, v0
	v_lshl_or_b32 v0, v0, 10, v3
	s_lshl_b64 s[8:9], s[8:9], 1
	v_lshlrev_b32_e32 v1, 5, v86
	v_and_b32_e32 v2, 16, v2
	v_and_b32_e32 v0, 0x1a00, v0
	s_waitcnt lgkmcnt(0)
	s_add_u32 s1, s6, s8
	v_or3_b32 v2, v0, v1, v2
	s_addc_u32 s6, s7, s9
	s_lshl_b32 s2, s26, 7
	s_lshl_b64 s[2:3], s[2:3], 1
	ds_read_b128 v[4:7], v2 offset:128
	ds_read_b128 v[8:11], v2
	s_add_u32 s2, s1, s2
	s_addc_u32 s3, s6, s3
	v_mov_b32_e32 v75, 0
	v_add_u32_e32 v3, s40, v86
	v_lshl_add_u64 v[0:1], s[2:3], 0, v[74:75]
	v_mad_u64_u32 v[12:13], s[2:3], v3, s0, 0
	v_lshl_add_u64 v[12:13], v[12:13], 1, v[0:1]
	v_add_u32_e32 v3, 4, v3
	s_waitcnt lgkmcnt(0)
	global_store_dwordx4 v[12:13], v[8:11], off
	s_nop 1
	v_mad_u64_u32 v[8:9], s[2:3], v3, s0, 0
	v_lshl_add_u64 v[8:9], v[8:9], 1, v[0:1]
	global_store_dwordx4 v[8:9], v[4:7], off
	s_and_b64 exec, exec, s[4:5]
	s_cbranch_execz .LBB236_18
; %bb.17:
	ds_read_b128 v[2:5], v2 offset:256
	v_add3_u32 v6, s40, v86, 8
	v_mad_u64_u32 v[6:7], s[0:1], v6, s0, 0
	v_lshl_add_u64 v[0:1], v[6:7], 1, v[0:1]
	s_waitcnt lgkmcnt(0)
	global_store_dwordx4 v[0:1], v[2:5], off
.LBB236_18:
	s_endpgm
	.section	.rodata,"a",@progbits
	.p2align	6, 0x0
	.amdhsa_kernel _Z39paged_attention_ll4mi_QKV_mfma16_kernelIDF16_DF16_LN4vllm18Fp8KVCacheDataTypeE0EhLi16ELi128ELi256ELb0ELi9EEvPKT_PKT0_S7_ifPKiS9_S9_iPKfiiiPfSC_PS2_PT2_iSB_SB_
		.amdhsa_group_segment_fixed_size 8192
		.amdhsa_private_segment_fixed_size 0
		.amdhsa_kernarg_size 400
		.amdhsa_user_sgpr_count 2
		.amdhsa_user_sgpr_dispatch_ptr 0
		.amdhsa_user_sgpr_queue_ptr 0
		.amdhsa_user_sgpr_kernarg_segment_ptr 1
		.amdhsa_user_sgpr_dispatch_id 0
		.amdhsa_user_sgpr_kernarg_preload_length 0
		.amdhsa_user_sgpr_kernarg_preload_offset 0
		.amdhsa_user_sgpr_private_segment_size 0
		.amdhsa_uses_dynamic_stack 0
		.amdhsa_enable_private_segment 0
		.amdhsa_system_sgpr_workgroup_id_x 1
		.amdhsa_system_sgpr_workgroup_id_y 1
		.amdhsa_system_sgpr_workgroup_id_z 1
		.amdhsa_system_sgpr_workgroup_info 0
		.amdhsa_system_vgpr_workitem_id 0
		.amdhsa_next_free_vgpr 96
		.amdhsa_next_free_sgpr 42
		.amdhsa_accum_offset 96
		.amdhsa_reserve_vcc 1
		.amdhsa_float_round_mode_32 0
		.amdhsa_float_round_mode_16_64 0
		.amdhsa_float_denorm_mode_32 3
		.amdhsa_float_denorm_mode_16_64 3
		.amdhsa_dx10_clamp 1
		.amdhsa_ieee_mode 1
		.amdhsa_fp16_overflow 0
		.amdhsa_tg_split 0
		.amdhsa_exception_fp_ieee_invalid_op 0
		.amdhsa_exception_fp_denorm_src 0
		.amdhsa_exception_fp_ieee_div_zero 0
		.amdhsa_exception_fp_ieee_overflow 0
		.amdhsa_exception_fp_ieee_underflow 0
		.amdhsa_exception_fp_ieee_inexact 0
		.amdhsa_exception_int_div_zero 0
	.end_amdhsa_kernel
	.section	.text._Z39paged_attention_ll4mi_QKV_mfma16_kernelIDF16_DF16_LN4vllm18Fp8KVCacheDataTypeE0EhLi16ELi128ELi256ELb0ELi9EEvPKT_PKT0_S7_ifPKiS9_S9_iPKfiiiPfSC_PS2_PT2_iSB_SB_,"axG",@progbits,_Z39paged_attention_ll4mi_QKV_mfma16_kernelIDF16_DF16_LN4vllm18Fp8KVCacheDataTypeE0EhLi16ELi128ELi256ELb0ELi9EEvPKT_PKT0_S7_ifPKiS9_S9_iPKfiiiPfSC_PS2_PT2_iSB_SB_,comdat
.Lfunc_end236:
	.size	_Z39paged_attention_ll4mi_QKV_mfma16_kernelIDF16_DF16_LN4vllm18Fp8KVCacheDataTypeE0EhLi16ELi128ELi256ELb0ELi9EEvPKT_PKT0_S7_ifPKiS9_S9_iPKfiiiPfSC_PS2_PT2_iSB_SB_, .Lfunc_end236-_Z39paged_attention_ll4mi_QKV_mfma16_kernelIDF16_DF16_LN4vllm18Fp8KVCacheDataTypeE0EhLi16ELi128ELi256ELb0ELi9EEvPKT_PKT0_S7_ifPKiS9_S9_iPKfiiiPfSC_PS2_PT2_iSB_SB_
                                        ; -- End function
	.section	.AMDGPU.csdata,"",@progbits
; Kernel info:
; codeLenInByte = 4420
; NumSgprs: 48
; NumVgprs: 96
; NumAgprs: 0
; TotalNumVgprs: 96
; ScratchSize: 0
; MemoryBound: 0
; FloatMode: 240
; IeeeMode: 1
; LDSByteSize: 8192 bytes/workgroup (compile time only)
; SGPRBlocks: 5
; VGPRBlocks: 11
; NumSGPRsForWavesPerEU: 48
; NumVGPRsForWavesPerEU: 96
; AccumOffset: 96
; Occupancy: 5
; WaveLimiterHint : 1
; COMPUTE_PGM_RSRC2:SCRATCH_EN: 0
; COMPUTE_PGM_RSRC2:USER_SGPR: 2
; COMPUTE_PGM_RSRC2:TRAP_HANDLER: 0
; COMPUTE_PGM_RSRC2:TGID_X_EN: 1
; COMPUTE_PGM_RSRC2:TGID_Y_EN: 1
; COMPUTE_PGM_RSRC2:TGID_Z_EN: 1
; COMPUTE_PGM_RSRC2:TIDIG_COMP_CNT: 0
; COMPUTE_PGM_RSRC3_GFX90A:ACCUM_OFFSET: 23
; COMPUTE_PGM_RSRC3_GFX90A:TG_SPLIT: 0
	.section	.text._Z39paged_attention_ll4mi_QKV_mfma16_kernelIDF16_DF16_LN4vllm18Fp8KVCacheDataTypeE0EhLi16ELi128ELi256ELb0ELi10EEvPKT_PKT0_S7_ifPKiS9_S9_iPKfiiiPfSC_PS2_PT2_iSB_SB_,"axG",@progbits,_Z39paged_attention_ll4mi_QKV_mfma16_kernelIDF16_DF16_LN4vllm18Fp8KVCacheDataTypeE0EhLi16ELi128ELi256ELb0ELi10EEvPKT_PKT0_S7_ifPKiS9_S9_iPKfiiiPfSC_PS2_PT2_iSB_SB_,comdat
	.protected	_Z39paged_attention_ll4mi_QKV_mfma16_kernelIDF16_DF16_LN4vllm18Fp8KVCacheDataTypeE0EhLi16ELi128ELi256ELb0ELi10EEvPKT_PKT0_S7_ifPKiS9_S9_iPKfiiiPfSC_PS2_PT2_iSB_SB_ ; -- Begin function _Z39paged_attention_ll4mi_QKV_mfma16_kernelIDF16_DF16_LN4vllm18Fp8KVCacheDataTypeE0EhLi16ELi128ELi256ELb0ELi10EEvPKT_PKT0_S7_ifPKiS9_S9_iPKfiiiPfSC_PS2_PT2_iSB_SB_
	.globl	_Z39paged_attention_ll4mi_QKV_mfma16_kernelIDF16_DF16_LN4vllm18Fp8KVCacheDataTypeE0EhLi16ELi128ELi256ELb0ELi10EEvPKT_PKT0_S7_ifPKiS9_S9_iPKfiiiPfSC_PS2_PT2_iSB_SB_
	.p2align	8
	.type	_Z39paged_attention_ll4mi_QKV_mfma16_kernelIDF16_DF16_LN4vllm18Fp8KVCacheDataTypeE0EhLi16ELi128ELi256ELb0ELi10EEvPKT_PKT0_S7_ifPKiS9_S9_iPKfiiiPfSC_PS2_PT2_iSB_SB_,@function
_Z39paged_attention_ll4mi_QKV_mfma16_kernelIDF16_DF16_LN4vllm18Fp8KVCacheDataTypeE0EhLi16ELi128ELi256ELb0ELi10EEvPKT_PKT0_S7_ifPKiS9_S9_iPKfiiiPfSC_PS2_PT2_iSB_SB_: ; @_Z39paged_attention_ll4mi_QKV_mfma16_kernelIDF16_DF16_LN4vllm18Fp8KVCacheDataTypeE0EhLi16ELi128ELi256ELb0ELi10EEvPKT_PKT0_S7_ifPKiS9_S9_iPKfiiiPfSC_PS2_PT2_iSB_SB_
; %bb.0:
	s_load_dwordx2 s[8:9], s[0:1], 0x30
	s_mov_b32 s26, s3
	s_mov_b64 s[6:7], 0
	s_waitcnt lgkmcnt(0)
	s_cmp_lg_u64 s[8:9], 0
	s_cselect_b64 s[10:11], -1, 0
	s_and_b64 vcc, exec, s[10:11]
	s_cbranch_vccz .LBB237_7
; %bb.1:
	s_add_i32 s12, s2, 1
	s_mov_b32 s13, 0
	s_lshl_b64 s[14:15], s[12:13], 2
	s_add_u32 s14, s8, s14
	s_mov_b32 s3, s13
	s_addc_u32 s15, s9, s15
	s_lshl_b64 s[12:13], s[2:3], 2
	s_add_u32 s12, s8, s12
	s_addc_u32 s13, s9, s13
	s_load_dword s5, s[14:15], 0x0
	s_load_dword s16, s[12:13], 0x0
	s_waitcnt lgkmcnt(0)
	s_sub_i32 s5, s5, s16
	s_cmp_eq_u32 s5, 1
	s_cselect_b64 s[12:13], -1, 0
	s_andn2_b64 vcc, exec, s[6:7]
	s_cbranch_vccnz .LBB237_3
.LBB237_2:
	s_mov_b32 s3, 0
	s_mov_b64 s[12:13], -1
.LBB237_3:
	s_andn2_b64 vcc, exec, s[12:13]
	s_cbranch_vccnz .LBB237_18
; %bb.4:
	s_load_dwordx2 s[6:7], s[0:1], 0x28
	s_lshl_b64 s[16:17], s[2:3], 2
	s_waitcnt lgkmcnt(0)
	s_add_u32 s6, s6, s16
	s_addc_u32 s7, s7, s17
	s_load_dword s33, s[6:7], 0x0
	s_lshl_b32 s18, s26, 8
	s_waitcnt lgkmcnt(0)
	s_cmp_ge_i32 s18, s33
	s_cbranch_scc1 .LBB237_18
; %bb.5:
	s_load_dwordx2 s[6:7], s[0:1], 0x20
	s_load_dword s5, s[0:1], 0x38
	s_add_i32 s12, s33, 15
	s_ashr_i32 s13, s12, 31
	v_and_b32_e32 v1, 0xcf, v0
	s_lshr_b32 s13, s13, 28
	v_add_u32_e32 v1, s18, v1
	s_add_i32 s12, s12, s13
	v_ashrrev_i32_e32 v2, 31, v1
	s_ashr_i32 s19, s12, 4
	v_lshrrev_b32_e32 v4, 28, v2
	s_add_i32 s19, s19, -1
	s_waitcnt lgkmcnt(0)
	s_mul_i32 s12, s2, s5
	s_mov_b32 s13, 0
	v_add_u32_e32 v2, v1, v4
	s_lshl_b64 s[12:13], s[12:13], 2
	v_ashrrev_i32_e32 v2, 4, v2
	v_mov_b32_e32 v5, s19
	v_cmp_gt_i32_e32 vcc, s33, v1
	s_add_u32 s6, s6, s12
	s_addc_u32 s7, s7, s13
	v_cndmask_b32_e32 v2, v5, v2, vcc
	v_ashrrev_i32_e32 v3, 31, v2
	v_lshl_add_u64 v[6:7], v[2:3], 2, s[6:7]
	v_or_b32_e32 v2, 16, v1
	v_add_u32_e32 v3, v2, v4
	v_ashrrev_i32_e32 v3, 4, v3
	v_cmp_gt_i32_e32 vcc, s33, v2
	s_load_dwordx4 s[12:15], s[0:1], 0x8
	s_nop 0
	v_cndmask_b32_e32 v2, v5, v3, vcc
	v_ashrrev_i32_e32 v3, 31, v2
	v_lshl_add_u64 v[8:9], v[2:3], 2, s[6:7]
	v_or_b32_e32 v2, 32, v1
	v_add_u32_e32 v3, v2, v4
	v_ashrrev_i32_e32 v3, 4, v3
	v_cmp_gt_i32_e32 vcc, s33, v2
	v_or_b32_e32 v1, 48, v1
	s_nop 0
	v_cndmask_b32_e32 v2, v5, v3, vcc
	v_ashrrev_i32_e32 v3, 31, v2
	v_lshl_add_u64 v[10:11], v[2:3], 2, s[6:7]
	v_add_u32_e32 v2, v1, v4
	v_ashrrev_i32_e32 v2, 4, v2
	v_cmp_gt_i32_e32 vcc, s33, v1
	s_nop 1
	v_cndmask_b32_e32 v2, v5, v2, vcc
	v_ashrrev_i32_e32 v3, 31, v2
	v_lshl_add_u64 v[12:13], v[2:3], 2, s[6:7]
	global_load_dword v4, v[6:7], off
	global_load_dword v3, v[8:9], off
	;; [unrolled: 1-line block ×4, first 2 shown]
	s_andn2_b64 vcc, exec, s[10:11]
	s_cbranch_vccnz .LBB237_8
; %bb.6:
	s_add_u32 s8, s8, s16
	s_addc_u32 s9, s9, s17
	s_load_dword s5, s[8:9], 0x0
	s_branch .LBB237_9
.LBB237_7:
	s_mov_b64 s[12:13], 0
	s_branch .LBB237_2
.LBB237_8:
	s_mov_b32 s5, s2
.LBB237_9:
	s_load_dwordx4 s[8:11], s[0:1], 0x48
	v_lshrrev_b32_e32 v77, 6, v0
	v_bfe_u32 v86, v0, 4, 2
	v_and_b32_e32 v76, 15, v0
	v_lshl_or_b32 v1, v77, 2, v86
	v_lshlrev_b32_e32 v5, 3, v76
	v_and_b32_e32 v87, 63, v0
	s_mul_i32 s40, s4, 10
	v_cmp_gt_u32_e32 vcc, 10, v1
	v_lshlrev_b32_e32 v74, 1, v5
	s_and_saveexec_b64 s[16:17], vcc
	s_cbranch_execz .LBB237_11
; %bb.10:
	s_load_dwordx2 s[20:21], s[0:1], 0x0
	s_waitcnt lgkmcnt(0)
	s_ashr_i32 s11, s8, 31
	s_mul_hi_u32 s22, s5, s8
	s_mul_i32 s11, s5, s11
	s_add_i32 s23, s22, s11
	s_mul_i32 s22, s5, s8
	s_lshl_b64 s[22:23], s[22:23], 1
	s_add_u32 s20, s20, s22
	v_add_lshl_u32 v6, v1, s40, 7
	s_addc_u32 s21, s21, s23
	v_ashrrev_i32_e32 v7, 31, v6
	v_lshl_add_u64 v[6:7], v[6:7], 1, s[20:21]
	v_mov_b32_e32 v75, 0
	v_lshl_add_u64 v[6:7], v[6:7], 0, v[74:75]
	global_load_dwordx4 v[6:9], v[6:7], off
	v_and_b32_e32 v5, 3, v0
	v_lshlrev_b32_e32 v10, 9, v76
	v_lshlrev_b32_e32 v1, 5, v1
	v_lshlrev_b32_e32 v5, 9, v5
	v_and_b32_e32 v10, 0x1800, v10
	v_or3_b32 v1, v10, v5, v1
	s_waitcnt vmcnt(0)
	ds_write_b128 v1, v[6:9]
.LBB237_11:
	s_or_b64 exec, exec, s[16:17]
	s_waitcnt lgkmcnt(0)
	s_mul_i32 s4, s4, s10
	s_mov_b32 s5, 0
	s_lshl_b64 s[4:5], s[4:5], 1
	s_add_u32 s10, s12, s4
	v_lshlrev_b32_e32 v1, 4, v0
	s_addc_u32 s11, s13, s5
	v_and_b32_e32 v34, 0xf0, v1
	v_mov_b32_e32 v35, 0
	v_lshl_add_u64 v[30:31], s[10:11], 0, v[34:35]
	s_waitcnt vmcnt(3)
	v_mad_i64_i32 v[4:5], s[10:11], v4, s9, 0
	v_lshl_add_u64 v[4:5], v[4:5], 1, v[30:31]
	v_and_b32_e32 v34, 0x300, v1
	v_lshl_add_u64 v[32:33], v[4:5], 0, v[34:35]
	s_load_dword s27, s[0:1], 0x98
	s_load_dword s8, s[0:1], 0x1c
	s_waitcnt lgkmcnt(0)
	s_barrier
	global_load_dwordx4 v[6:9], v[32:33], off
	global_load_dwordx4 v[18:21], v[32:33], off offset:1024
	s_waitcnt vmcnt(4)
	v_mad_i64_i32 v[4:5], s[10:11], v3, s9, 0
	s_waitcnt vmcnt(3)
	v_mad_i64_i32 v[2:3], s[10:11], v2, s9, 0
	v_lshl_add_u64 v[4:5], v[4:5], 1, v[30:31]
	v_lshl_add_u64 v[2:3], v[2:3], 1, v[30:31]
	;; [unrolled: 1-line block ×4, first 2 shown]
	global_load_dwordx4 v[14:17], v[36:37], off
	global_load_dwordx4 v[22:25], v[36:37], off offset:1024
	global_load_dwordx4 v[26:29], v[38:39], off
	global_load_dwordx4 v[46:49], v[38:39], off offset:1024
	v_add_u32_e32 v2, -10, v76
	v_cmp_gt_u32_e32 vcc, 10, v76
	global_load_dwordx4 v[54:57], v[32:33], off offset:2048
	global_load_dwordx4 v[62:65], v[36:37], off offset:2048
	v_cndmask_b32_e32 v2, v2, v76, vcc
	v_lshlrev_b32_e32 v2, 5, v2
	v_lshl_add_u32 v41, v86, 9, v2
	ds_read_b128 v[10:13], v41
	ds_read_b128 v[2:5], v41 offset:2048
	v_mov_b32_e32 v70, s19
	s_add_u32 s4, s14, s4
	s_addc_u32 s5, s15, s5
	s_mov_b32 s41, 0xff7fffff
	s_waitcnt vmcnt(7) lgkmcnt(1)
	v_mfma_f32_16x16x16_f16 v[42:45], v[6:7], v[10:11], 0
	v_mfma_f32_16x16x16_f16 v[6:9], v[8:9], v[12:13], v[42:45]
	s_nop 5
	global_load_dwordx4 v[42:45], v[38:39], off offset:2048
	s_waitcnt vmcnt(6)
	v_mfma_f32_16x16x16_f16 v[50:53], v[14:15], v[10:11], 0
	s_waitcnt vmcnt(4)
	v_mfma_f32_16x16x16_f16 v[58:61], v[26:27], v[10:11], 0
	v_mfma_f32_16x16x16_f16 v[14:17], v[16:17], v[12:13], v[50:53]
	;; [unrolled: 1-line block ×3, first 2 shown]
	s_nop 2
	global_load_dwordx4 v[50:53], v[32:33], off offset:3072
	v_mad_i64_i32 v[32:33], s[10:11], v40, s9, 0
	s_waitcnt lgkmcnt(0)
	v_mfma_f32_16x16x16_f16 v[6:9], v[18:19], v[2:3], v[6:9]
	v_and_or_b32 v40, v0, 48, s18
	v_ashrrev_i32_e32 v58, 4, v40
	v_cmp_gt_i32_e32 vcc, s33, v40
	v_mfma_f32_16x16x16_f16 v[14:17], v[22:23], v[2:3], v[14:17]
	v_or_b32_e32 v66, 64, v40
	v_cndmask_b32_e32 v22, v70, v58, vcc
	v_ashrrev_i32_e32 v23, 31, v22
	s_waitcnt vmcnt(4)
	v_mfma_f32_16x16x16_f16 v[26:29], v[46:47], v[2:3], v[26:29]
	v_or_b32_e32 v71, 0x80, v40
	v_or_b32_e32 v72, 0xc0, v40
	v_ashrrev_i32_e32 v40, 4, v66
	v_mfma_f32_16x16x16_f16 v[6:9], v[20:21], v[4:5], v[6:9]
	global_load_dwordx4 v[18:21], v[38:39], off offset:3072
	v_cmp_gt_i32_e32 vcc, s33, v66
	v_lshl_add_u64 v[22:23], v[22:23], 2, s[6:7]
	global_load_dwordx4 v[58:61], v[36:37], off offset:3072
	v_cndmask_b32_e32 v36, v70, v40, vcc
	v_mfma_f32_16x16x16_f16 v[14:17], v[24:25], v[4:5], v[14:17]
	global_load_dword v78, v[22:23], off
	ds_read_b128 v[66:69], v41 offset:4096
	v_ashrrev_i32_e32 v37, 31, v36
	v_mfma_f32_16x16x16_f16 v[22:25], v[48:49], v[4:5], v[26:29]
	v_ashrrev_i32_e32 v73, 4, v71
	v_cmp_gt_i32_e32 vcc, s33, v71
	v_ashrrev_i32_e32 v75, 4, v72
	v_lshl_add_u64 v[26:27], v[32:33], 1, v[30:31]
	v_lshl_add_u64 v[26:27], v[26:27], 0, v[34:35]
	;; [unrolled: 1-line block ×3, first 2 shown]
	global_load_dwordx4 v[46:49], v[26:27], off
	global_load_dword v36, v[28:29], off
	s_waitcnt vmcnt(8) lgkmcnt(0)
	v_mfma_f32_16x16x16_f16 v[6:9], v[54:55], v[66:67], v[6:9]
	v_cndmask_b32_e32 v28, v70, v73, vcc
	v_ashrrev_i32_e32 v29, 31, v28
	v_lshl_add_u64 v[28:29], v[28:29], 2, s[6:7]
	v_mfma_f32_16x16x16_f16 v[6:9], v[56:57], v[68:69], v[6:9]
	global_load_dwordx4 v[54:57], v[26:27], off offset:1024
	v_cmp_gt_i32_e32 vcc, s33, v72
	global_load_dword v82, v[28:29], off
	ds_read_b128 v[38:41], v41 offset:6144
	v_cndmask_b32_e32 v28, v70, v75, vcc
	v_ashrrev_i32_e32 v29, 31, v28
	v_lshl_add_u64 v[28:29], v[28:29], 2, s[6:7]
	global_load_dword v83, v[28:29], off
	s_waitcnt vmcnt(10)
	v_mfma_f32_16x16x16_f16 v[14:17], v[62:63], v[66:67], v[14:17]
	v_lshl_or_b32 v75, v77, 4, v76
	v_lshlrev_b32_e32 v34, 5, v75
	v_lshl_add_u64 v[62:63], s[4:5], 0, v[34:35]
	v_mfma_f32_16x16x16_f16 v[14:17], v[64:65], v[68:69], v[14:17]
	v_or_b32_e32 v34, 0x800, v34
	global_load_dwordx4 v[70:73], v[26:27], off offset:3072
	s_waitcnt vmcnt(10)
	v_mfma_f32_16x16x16_f16 v[22:25], v[42:43], v[66:67], v[22:25]
	v_mfma_f32_16x16x16_f16 v[22:25], v[44:45], v[68:69], v[22:25]
	global_load_dwordx4 v[42:45], v[26:27], off offset:2048
	s_waitcnt vmcnt(10) lgkmcnt(0)
	v_mfma_f32_16x16x16_f16 v[6:9], v[50:51], v[38:39], v[6:9]
	s_waitcnt vmcnt(9)
	v_mfma_f32_16x16x16_f16 v[22:25], v[18:19], v[38:39], v[22:25]
	s_waitcnt vmcnt(7)
	v_mad_i64_i32 v[18:19], s[6:7], v78, s9, 0
	v_lshlrev_b64 v[64:65], 1, v[18:19]
	v_mfma_f32_16x16x16_f16 v[78:81], v[52:53], v[40:41], v[6:9]
	s_nop 2
	v_lshl_add_u64 v[6:7], v[62:63], 0, v[64:65]
	global_load_dwordx4 v[30:33], v[6:7], off
	global_load_dwordx4 v[26:29], v[6:7], off offset:16
	v_mfma_f32_16x16x16_f16 v[92:95], v[20:21], v[40:41], v[22:25]
	s_waitcnt vmcnt(7)
	v_mad_i64_i32 v[6:7], s[6:7], v36, s9, 0
	v_lshlrev_b64 v[36:37], 1, v[6:7]
	v_lshl_add_u64 v[6:7], v[62:63], 0, v[36:37]
	global_load_dwordx4 v[22:25], v[6:7], off
	global_load_dwordx4 v[18:21], v[6:7], off offset:16
	v_mfma_f32_16x16x16_f16 v[6:9], v[46:47], v[10:11], 0
	s_waitcnt vmcnt(7)
	v_mad_i64_i32 v[10:11], s[6:7], v82, s9, 0
	v_mfma_f32_16x16x16_f16 v[6:9], v[48:49], v[12:13], v[6:9]
	v_lshlrev_b64 v[50:51], 1, v[10:11]
	v_lshl_add_u64 v[10:11], v[62:63], 0, v[50:51]
	v_mfma_f32_16x16x16_f16 v[6:9], v[54:55], v[2:3], v[6:9]
	s_waitcnt vmcnt(6)
	v_mad_i64_i32 v[2:3], s[6:7], v83, s9, 0
	v_pk_mul_f32 v[82:83], s[8:9], v[80:81] op_sel_hi:[0,1]
	v_mfma_f32_16x16x16_f16 v[46:49], v[56:57], v[4:5], v[6:9]
	v_pk_mul_f32 v[80:81], s[8:9], v[92:93] op_sel_hi:[0,1]
	v_mfma_f32_16x16x16_f16 v[14:17], v[58:59], v[38:39], v[14:17]
	v_lshlrev_b64 v[58:59], 1, v[2:3]
	v_lshl_add_u64 v[2:3], v[62:63], 0, v[58:59]
	v_lshl_add_u64 v[62:63], s[4:5], 0, v[34:35]
	v_mfma_f32_16x16x16_f16 v[88:91], v[60:61], v[40:41], v[14:17]
	v_pk_mul_f32 v[60:61], s[8:9], v[78:79] op_sel_hi:[0,1]
	v_pk_mul_f32 v[78:79], s[8:9], v[94:95] op_sel_hi:[0,1]
	v_lshl_add_u64 v[34:35], v[62:63], 0, v[64:65]
	s_waitcnt vmcnt(4)
	v_mfma_f32_16x16x16_f16 v[46:49], v[42:43], v[66:67], v[46:49]
	s_nop 1
	v_pk_mul_f32 v[84:85], s[8:9], v[90:91] op_sel_hi:[0,1]
	global_load_dwordx4 v[14:17], v[10:11], off
	s_nop 0
	global_load_dwordx4 v[10:13], v[10:11], off offset:16
	s_nop 0
	global_load_dwordx4 v[6:9], v[2:3], off
	s_nop 0
	global_load_dwordx4 v[2:5], v[2:3], off offset:16
	v_mfma_f32_16x16x16_f16 v[42:45], v[44:45], v[68:69], v[46:49]
	v_lshl_add_u64 v[50:51], v[62:63], 0, v[50:51]
	v_lshl_add_u64 v[58:59], v[62:63], 0, v[58:59]
	v_mfma_f32_16x16x16_f16 v[42:45], v[70:71], v[38:39], v[42:45]
	v_pk_mul_f32 v[70:71], s[8:9], v[88:89] op_sel_hi:[0,1]
	v_mfma_f32_16x16x16_f16 v[38:41], v[72:73], v[40:41], v[42:45]
	s_nop 6
	v_pk_mul_f32 v[72:73], s[8:9], v[38:39] op_sel_hi:[0,1]
	v_and_b32_e32 v38, 0xc0, v0
	v_add_u32_e32 v38, s18, v38
	v_lshl_or_b32 v38, v86, 2, v38
	v_pk_mul_f32 v[66:67], s[8:9], v[40:41] op_sel_hi:[0,1]
	v_or_b32_e32 v41, 1, v38
	v_mov_b32_e32 v39, 0xff7fffff
	v_cmp_gt_i32_e64 s[28:29], s33, v38
	v_cmp_gt_i32_e64 s[30:31], s33, v41
	v_or_b32_e32 v42, 3, v38
	v_cndmask_b32_e64 v40, v39, v60, s[28:29]
	v_cndmask_b32_e64 v41, v39, v61, s[30:31]
	v_max3_f32 v40, v40, s41, v41
	v_or_b32_e32 v41, 2, v38
	v_cmp_gt_i32_e64 s[34:35], s33, v41
	v_cmp_gt_i32_e64 s[36:37], s33, v42
	s_nop 0
	v_cndmask_b32_e64 v41, v39, v82, s[34:35]
	v_cndmask_b32_e64 v42, v39, v83, s[36:37]
	v_max3_f32 v40, v40, v41, v42
	v_or_b32_e32 v41, 16, v38
	v_or_b32_e32 v42, 17, v38
	v_cmp_gt_i32_e64 s[22:23], s33, v41
	v_cmp_gt_i32_e64 s[24:25], s33, v42
	s_nop 0
	v_cndmask_b32_e64 v41, v39, v70, s[22:23]
	v_cndmask_b32_e64 v42, v39, v71, s[24:25]
	v_max3_f32 v40, v40, v41, v42
	v_or_b32_e32 v41, 18, v38
	;; [unrolled: 8-line block ×6, first 2 shown]
	v_or_b32_e32 v38, 51, v38
	v_cmp_gt_i32_e32 vcc, s33, v41
	v_cmp_gt_i32_e64 s[4:5], s33, v38
	s_nop 0
	v_cndmask_b32_e32 v41, v39, v66, vcc
	v_cndmask_b32_e64 v38, v39, v67, s[4:5]
	v_max3_f32 v52, v40, v41, v38
	v_mbcnt_lo_u32_b32 v38, -1, 0
	v_mbcnt_hi_u32_b32 v53, -1, v38
	v_and_b32_e32 v38, 64, v53
	v_add_u32_e32 v54, 64, v38
	v_xor_b32_e32 v38, 32, v53
	v_cmp_lt_i32_e64 s[38:39], v38, v54
	s_nop 1
	v_cndmask_b32_e64 v38, v53, v38, s[38:39]
	v_lshlrev_b32_e32 v89, 2, v38
	ds_bpermute_b32 v55, v89, v52
	global_load_dwordx4 v[46:49], v[34:35], off
	global_load_dwordx4 v[38:41], v[34:35], off offset:16
	v_lshl_add_u64 v[34:35], v[62:63], 0, v[36:37]
	global_load_dwordx4 v[42:45], v[34:35], off
	s_nop 0
	global_load_dwordx4 v[34:37], v[34:35], off offset:16
	s_waitcnt lgkmcnt(0)
	v_max_f32_e32 v55, v55, v55
	v_max_f32_e32 v64, v52, v55
	v_xor_b32_e32 v52, 16, v53
	v_cmp_lt_i32_e64 s[38:39], v52, v54
	s_nop 1
	v_cndmask_b32_e64 v52, v53, v52, s[38:39]
	v_lshlrev_b32_e32 v90, 2, v52
	ds_bpermute_b32 v65, v90, v64
	global_load_dwordx4 v[54:57], v[50:51], off
	s_nop 0
	global_load_dwordx4 v[50:53], v[50:51], off offset:16
	s_waitcnt lgkmcnt(0)
	v_max_f32_e32 v62, v65, v65
	v_max_f32_e32 v88, v64, v62
	v_sub_f32_e32 v60, v60, v88
	v_mul_f32_e32 v60, 0x3fb8aa3b, v60
	v_exp_f32_e32 v68, v60
	v_sub_f32_e32 v60, v61, v88
	v_mul_f32_e32 v60, 0x3fb8aa3b, v60
	v_exp_f32_e32 v69, v60
	global_load_dwordx4 v[62:65], v[58:59], off
	s_nop 0
	global_load_dwordx4 v[58:61], v[58:59], off offset:16
	v_sub_f32_e32 v82, v82, v88
	v_mul_f32_e32 v82, 0x3fb8aa3b, v82
	v_sub_f32_e32 v83, v83, v88
	v_exp_f32_e32 v82, v82
	v_mul_f32_e32 v83, 0x3fb8aa3b, v83
	v_sub_f32_e32 v70, v70, v88
	v_exp_f32_e32 v83, v83
	v_mul_f32_e32 v70, 0x3fb8aa3b, v70
	v_sub_f32_e32 v71, v71, v88
	v_cndmask_b32_e64 v68, 0, v68, s[28:29]
	v_exp_f32_e32 v70, v70
	v_mul_f32_e32 v71, 0x3fb8aa3b, v71
	v_sub_f32_e32 v84, v84, v88
	v_add_f32_e32 v91, 0, v68
	v_cndmask_b32_e64 v69, 0, v69, s[30:31]
	v_exp_f32_e32 v71, v71
	v_mul_f32_e32 v84, 0x3fb8aa3b, v84
	v_sub_f32_e32 v85, v85, v88
	v_add_f32_e32 v91, v91, v69
	;; [unrolled: 5-line block ×10, first 2 shown]
	v_cndmask_b32_e64 v78, 0, v78, s[10:11]
	v_exp_f32_e32 v66, v66
	v_mul_f32_e32 v67, 0x3fb8aa3b, v67
	v_add_f32_e32 v91, v91, v78
	v_cndmask_b32_e64 v79, 0, v79, s[12:13]
	v_exp_f32_e32 v67, v67
	v_add_f32_e32 v91, v91, v79
	v_cndmask_b32_e64 v72, 0, v72, s[6:7]
	v_add_f32_e32 v91, v91, v72
	v_cndmask_b32_e64 v73, 0, v73, s[8:9]
	v_add_f32_e32 v91, v91, v73
	v_cndmask_b32_e32 v66, 0, v66, vcc
	v_add_f32_e32 v91, v91, v66
	v_cndmask_b32_e64 v67, 0, v67, s[4:5]
	v_add_f32_e32 v91, v91, v67
	ds_bpermute_b32 v89, v89, v91
	v_cmp_gt_u32_e32 vcc, 16, v87
	s_waitcnt lgkmcnt(0)
	s_barrier
	v_add_f32_e32 v89, v91, v89
	ds_bpermute_b32 v90, v90, v89
	s_and_saveexec_b64 s[4:5], vcc
	s_cbranch_execz .LBB237_13
; %bb.12:
	s_waitcnt lgkmcnt(0)
	v_add_f32_e32 v87, v89, v90
	v_lshlrev_b32_e32 v75, 2, v75
	ds_write2st64_b32 v75, v88, v87 offset1:1
.LBB237_13:
	s_or_b64 exec, exec, s[4:5]
	v_lshlrev_b32_e32 v75, 2, v76
	s_load_dword s6, s[0:1], 0x94
	s_waitcnt lgkmcnt(0)
	s_barrier
	ds_read2_b32 v[88:89], v75 offset1:16
	ds_read2_b32 v[90:91], v75 offset0:32 offset1:48
	ds_read2_b32 v[92:93], v75 offset0:64 offset1:80
	ds_read2_b32 v[94:95], v75 offset0:96 offset1:112
	s_waitcnt lgkmcnt(0)
	v_max3_f32 v87, v88, s41, v89
	v_max3_f32 v87, v87, v90, v91
	v_sub_f32_e32 v88, v88, v87
	v_mul_f32_e32 v88, 0x3fb8aa3b, v88
	v_exp_f32_e32 v1, v88
	v_sub_f32_e32 v88, v89, v87
	v_mul_f32_e32 v88, 0x3fb8aa3b, v88
	v_exp_f32_e32 v89, v88
	v_sub_f32_e32 v88, v90, v87
	v_mul_f32_e32 v88, 0x3fb8aa3b, v88
	v_sub_f32_e32 v75, v91, v87
	v_exp_f32_e32 v90, v88
	v_mul_f32_e32 v75, 0x3fb8aa3b, v75
	v_exp_f32_e32 v75, v75
	v_fma_f32 v88, v1, v92, 0
	v_fmac_f32_e32 v88, v89, v93
	v_fmac_f32_e32 v88, v90, v94
	;; [unrolled: 1-line block ×3, first 2 shown]
	v_add_f32_e32 v91, 0x358637bd, v88
	v_div_scale_f32 v92, s[4:5], v91, v91, 1.0
	v_rcp_f32_e32 v93, v92
	s_barrier
	s_mul_i32 s7, s27, 10
	v_fma_f32 v94, -v92, v93, 1.0
	v_fmac_f32_e32 v93, v94, v93
	v_div_scale_f32 v94, vcc, 1.0, v91, 1.0
	v_mul_f32_e32 v95, v94, v93
	v_fma_f32 v86, -v92, v95, v94
	v_fmac_f32_e32 v95, v86, v93
	v_fma_f32 v86, -v92, v95, v94
	v_div_fmas_f32 v86, v86, v93, v95
	v_cmp_eq_u32_e32 vcc, 1, v77
	v_div_fixup_f32 v86, v86, v91, 1.0
	s_nop 0
	v_cndmask_b32_e32 v1, v1, v89, vcc
	v_cmp_eq_u32_e32 vcc, 2, v77
	s_nop 1
	v_cndmask_b32_e32 v1, v1, v90, vcc
	v_cmp_eq_u32_e32 vcc, 3, v77
	s_nop 1
	v_cndmask_b32_e32 v1, v1, v75, vcc
	v_mul_f32_e32 v90, v1, v86
	v_pk_mul_f32 v[82:83], v[90:91], v[82:83] op_sel_hi:[0,1]
	v_pk_mul_f32 v[68:69], v[90:91], v[68:69] op_sel_hi:[0,1]
	v_cvt_f16_f32_e32 v1, v68
	v_cvt_f16_f32_e32 v68, v69
	v_cvt_f16_f32_e32 v69, v82
	v_cvt_f16_f32_e32 v75, v83
	v_pk_mul_f32 v[84:85], v[90:91], v[84:85] op_sel_hi:[0,1]
	v_pk_mul_f32 v[70:71], v[90:91], v[70:71] op_sel_hi:[0,1]
	v_bfe_u32 v86, v0, 4, 2
	v_pack_b32_f16 v83, v69, v75
	v_cvt_f16_f32_e32 v69, v70
	v_cvt_f16_f32_e32 v70, v71
	;; [unrolled: 1-line block ×4, first 2 shown]
	v_pack_b32_f16 v82, v1, v68
	v_lshlrev_b32_e32 v1, 3, v86
	v_lshlrev_b32_e32 v68, 5, v76
	;; [unrolled: 1-line block ×3, first 2 shown]
	v_or3_b32 v75, v75, v68, v1
	v_pack_b32_f16 v70, v69, v70
	v_pack_b32_f16 v71, v71, v84
	ds_write2st64_b64 v75, v[82:83], v[70:71] offset1:1
	v_pk_mul_f32 v[70:71], v[90:91], v[78:79] op_sel_hi:[0,1]
	v_pk_mul_f32 v[78:79], v[90:91], v[80:81] op_sel_hi:[0,1]
	v_cvt_f16_f32_e32 v1, v78
	v_cvt_f16_f32_e32 v77, v70
	;; [unrolled: 1-line block ×3, first 2 shown]
	v_pk_mul_f32 v[66:67], v[90:91], v[66:67] op_sel_hi:[0,1]
	v_pk_mul_f32 v[70:71], v[90:91], v[72:73] op_sel_hi:[0,1]
	v_cvt_f16_f32_e32 v69, v79
	v_cvt_f16_f32_e32 v70, v70
	;; [unrolled: 1-line block ×5, first 2 shown]
	v_pack_b32_f16 v66, v1, v69
	v_pack_b32_f16 v67, v77, v78
	;; [unrolled: 1-line block ×4, first 2 shown]
	v_cmp_gt_u32_e32 vcc, 10, v0
	ds_write2st64_b64 v75, v[66:67], v[70:71] offset0:2 offset1:3
	s_and_saveexec_b64 s[4:5], vcc
	s_cbranch_execz .LBB237_15
; %bb.14:
	s_mov_b32 s41, 0
	v_mov_b32_e32 v77, 0
	v_lshl_add_u64 v[66:67], s[40:41], 0, v[76:77]
	v_mov_b32_e32 v1, s7
	v_mad_u64_u32 v[66:67], s[12:13], s2, v1, v[66:67]
	s_mul_i32 s3, s3, s7
	v_mov_b32_e32 v70, s26
	v_mov_b32_e32 v71, v77
	s_load_dwordx4 s[8:11], s[0:1], 0x58
	v_add_u32_e32 v1, s3, v67
	v_mad_u64_u32 v[66:67], s[12:13], v66, s6, v[70:71]
	v_mov_b32_e32 v70, v67
	v_mad_u64_u32 v[70:71], s[12:13], v1, s6, v[70:71]
	v_mov_b32_e32 v67, v70
	v_lshlrev_b64 v[66:67], 2, v[66:67]
	s_waitcnt lgkmcnt(0)
	v_lshl_add_u64 v[70:71], s[10:11], 0, v[66:67]
	v_lshl_add_u64 v[66:67], s[8:9], 0, v[66:67]
	global_store_dword v[70:71], v87, off
	global_store_dword v[66:67], v88, off
.LBB237_15:
	s_or_b64 exec, exec, s[4:5]
	v_lshl_or_b32 v1, v86, 9, v68
	s_waitcnt lgkmcnt(0)
	s_barrier
	ds_read_b128 v[70:73], v1
	ds_read_b128 v[66:69], v1 offset:16
	s_waitcnt vmcnt(15) lgkmcnt(1)
	v_mfma_f32_16x16x16_f16 v[78:81], v[30:31], v[70:71], 0
	s_mov_b32 s3, 0
	v_cmp_gt_u32_e32 vcc, 64, v0
	v_mfma_f32_16x16x16_f16 v[30:33], v[32:33], v[72:73], v[78:81]
	s_waitcnt vmcnt(14) lgkmcnt(0)
	v_mfma_f32_16x16x16_f16 v[30:33], v[26:27], v[66:67], v[30:33]
	v_mfma_f32_16x16x16_f16 v[26:29], v[28:29], v[68:69], v[30:33]
	s_nop 5
	ds_read_b128 v[30:33], v1 offset:2048
	ds_read_b128 v[78:81], v1 offset:2064
	s_waitcnt vmcnt(13) lgkmcnt(1)
	v_mfma_f32_16x16x16_f16 v[26:29], v[22:23], v[30:31], v[26:29]
	v_mfma_f32_16x16x16_f16 v[22:25], v[24:25], v[32:33], v[26:29]
	s_waitcnt vmcnt(12) lgkmcnt(0)
	v_mfma_f32_16x16x16_f16 v[22:25], v[18:19], v[78:79], v[22:25]
	v_mfma_f32_16x16x16_f16 v[18:21], v[20:21], v[80:81], v[22:25]
	s_nop 5
	ds_read_b128 v[22:25], v1 offset:4096
	ds_read_b128 v[26:29], v1 offset:4112
	s_waitcnt vmcnt(11) lgkmcnt(1)
	v_mfma_f32_16x16x16_f16 v[18:21], v[14:15], v[22:23], v[18:21]
	v_mfma_f32_16x16x16_f16 v[14:17], v[16:17], v[24:25], v[18:21]
	s_waitcnt vmcnt(10) lgkmcnt(0)
	v_mfma_f32_16x16x16_f16 v[14:17], v[10:11], v[26:27], v[14:17]
	v_mfma_f32_16x16x16_f16 v[10:13], v[12:13], v[28:29], v[14:17]
	s_nop 5
	ds_read_b128 v[14:17], v1 offset:6144
	ds_read_b128 v[18:21], v1 offset:6160
	s_waitcnt lgkmcnt(0)
	s_barrier
	s_waitcnt vmcnt(9)
	v_mfma_f32_16x16x16_f16 v[10:13], v[6:7], v[14:15], v[10:13]
	v_mfma_f32_16x16x16_f16 v[6:9], v[8:9], v[16:17], v[10:13]
	s_waitcnt vmcnt(8)
	v_mfma_f32_16x16x16_f16 v[6:9], v[2:3], v[18:19], v[6:9]
	v_mfma_f32_16x16x16_f16 v[2:5], v[4:5], v[20:21], v[6:9]
	;; [unrolled: 3-line block ×3, first 2 shown]
	s_nop 3
	v_cvt_f16_f32_e32 v1, v2
	v_cvt_f16_f32_e32 v10, v3
	;; [unrolled: 1-line block ×3, first 2 shown]
	s_waitcnt vmcnt(6)
	v_mfma_f32_16x16x16_f16 v[6:9], v[38:39], v[66:67], v[6:9]
	v_cvt_f16_f32_e32 v12, v5
	v_mfma_f32_16x16x16_f16 v[6:9], v[40:41], v[68:69], v[6:9]
	s_waitcnt vmcnt(5)
	v_mfma_f32_16x16x16_f16 v[6:9], v[42:43], v[30:31], v[6:9]
	v_mfma_f32_16x16x16_f16 v[6:9], v[44:45], v[32:33], v[6:9]
	s_waitcnt vmcnt(4)
	v_mfma_f32_16x16x16_f16 v[6:9], v[34:35], v[78:79], v[6:9]
	;; [unrolled: 3-line block ×6, first 2 shown]
	v_mfma_f32_16x16x16_f16 v[2:5], v[60:61], v[20:21], v[6:9]
	s_nop 6
	v_cvt_f16_f32_e32 v6, v2
	v_cvt_f16_f32_e32 v7, v3
	;; [unrolled: 1-line block ×4, first 2 shown]
	v_pack_b32_f16 v2, v1, v10
	v_pack_b32_f16 v3, v11, v12
	;; [unrolled: 1-line block ×4, first 2 shown]
	ds_write2st64_b64 v75, v[2:3], v[4:5] offset1:1
	s_waitcnt lgkmcnt(0)
	s_barrier
	s_and_saveexec_b64 s[4:5], vcc
	s_cbranch_execz .LBB237_18
; %bb.16:
	s_load_dwordx2 s[4:5], s[0:1], 0x68
	s_lshl_b32 s0, s6, 7
	s_mul_i32 s1, s7, s2
	v_lshlrev_b32_e32 v3, 6, v76
	s_mul_hi_u32 s7, s1, s0
	s_mul_i32 s6, s1, s0
	v_lshlrev_b32_e32 v2, 4, v0
	v_lshl_or_b32 v0, v0, 10, v3
	s_lshl_b64 s[6:7], s[6:7], 1
	v_lshlrev_b32_e32 v1, 5, v86
	v_and_b32_e32 v2, 16, v2
	v_and_b32_e32 v0, 0x1a00, v0
	s_waitcnt lgkmcnt(0)
	s_add_u32 s1, s4, s6
	v_or3_b32 v2, v0, v1, v2
	s_addc_u32 s4, s5, s7
	s_lshl_b32 s2, s26, 7
	s_lshl_b64 s[2:3], s[2:3], 1
	ds_read_b128 v[4:7], v2 offset:128
	ds_read_b128 v[8:11], v2
	s_add_u32 s2, s1, s2
	s_addc_u32 s3, s4, s3
	v_mov_b32_e32 v75, 0
	v_add_u32_e32 v14, s40, v86
	v_lshl_add_u64 v[0:1], s[2:3], 0, v[74:75]
	v_mad_u64_u32 v[12:13], s[2:3], v14, s0, 0
	v_lshl_add_u64 v[12:13], v[12:13], 1, v[0:1]
	s_waitcnt lgkmcnt(0)
	global_store_dwordx4 v[12:13], v[8:11], off
	v_or_b32_e32 v3, 8, v86
	v_cmp_gt_u32_e32 vcc, 10, v3
	v_add_u32_e32 v8, 4, v14
	v_mad_u64_u32 v[8:9], s[2:3], v8, s0, 0
	v_lshl_add_u64 v[8:9], v[8:9], 1, v[0:1]
	global_store_dwordx4 v[8:9], v[4:7], off
	s_and_b64 exec, exec, vcc
	s_cbranch_execz .LBB237_18
; %bb.17:
	ds_read_b128 v[4:7], v2 offset:256
	v_add_u32_e32 v2, s40, v3
	v_mad_u64_u32 v[2:3], s[0:1], v2, s0, 0
	v_lshl_add_u64 v[0:1], v[2:3], 1, v[0:1]
	s_waitcnt lgkmcnt(0)
	global_store_dwordx4 v[0:1], v[4:7], off
.LBB237_18:
	s_endpgm
	.section	.rodata,"a",@progbits
	.p2align	6, 0x0
	.amdhsa_kernel _Z39paged_attention_ll4mi_QKV_mfma16_kernelIDF16_DF16_LN4vllm18Fp8KVCacheDataTypeE0EhLi16ELi128ELi256ELb0ELi10EEvPKT_PKT0_S7_ifPKiS9_S9_iPKfiiiPfSC_PS2_PT2_iSB_SB_
		.amdhsa_group_segment_fixed_size 8192
		.amdhsa_private_segment_fixed_size 0
		.amdhsa_kernarg_size 400
		.amdhsa_user_sgpr_count 2
		.amdhsa_user_sgpr_dispatch_ptr 0
		.amdhsa_user_sgpr_queue_ptr 0
		.amdhsa_user_sgpr_kernarg_segment_ptr 1
		.amdhsa_user_sgpr_dispatch_id 0
		.amdhsa_user_sgpr_kernarg_preload_length 0
		.amdhsa_user_sgpr_kernarg_preload_offset 0
		.amdhsa_user_sgpr_private_segment_size 0
		.amdhsa_uses_dynamic_stack 0
		.amdhsa_enable_private_segment 0
		.amdhsa_system_sgpr_workgroup_id_x 1
		.amdhsa_system_sgpr_workgroup_id_y 1
		.amdhsa_system_sgpr_workgroup_id_z 1
		.amdhsa_system_sgpr_workgroup_info 0
		.amdhsa_system_vgpr_workitem_id 0
		.amdhsa_next_free_vgpr 96
		.amdhsa_next_free_sgpr 42
		.amdhsa_accum_offset 96
		.amdhsa_reserve_vcc 1
		.amdhsa_float_round_mode_32 0
		.amdhsa_float_round_mode_16_64 0
		.amdhsa_float_denorm_mode_32 3
		.amdhsa_float_denorm_mode_16_64 3
		.amdhsa_dx10_clamp 1
		.amdhsa_ieee_mode 1
		.amdhsa_fp16_overflow 0
		.amdhsa_tg_split 0
		.amdhsa_exception_fp_ieee_invalid_op 0
		.amdhsa_exception_fp_denorm_src 0
		.amdhsa_exception_fp_ieee_div_zero 0
		.amdhsa_exception_fp_ieee_overflow 0
		.amdhsa_exception_fp_ieee_underflow 0
		.amdhsa_exception_fp_ieee_inexact 0
		.amdhsa_exception_int_div_zero 0
	.end_amdhsa_kernel
	.section	.text._Z39paged_attention_ll4mi_QKV_mfma16_kernelIDF16_DF16_LN4vllm18Fp8KVCacheDataTypeE0EhLi16ELi128ELi256ELb0ELi10EEvPKT_PKT0_S7_ifPKiS9_S9_iPKfiiiPfSC_PS2_PT2_iSB_SB_,"axG",@progbits,_Z39paged_attention_ll4mi_QKV_mfma16_kernelIDF16_DF16_LN4vllm18Fp8KVCacheDataTypeE0EhLi16ELi128ELi256ELb0ELi10EEvPKT_PKT0_S7_ifPKiS9_S9_iPKfiiiPfSC_PS2_PT2_iSB_SB_,comdat
.Lfunc_end237:
	.size	_Z39paged_attention_ll4mi_QKV_mfma16_kernelIDF16_DF16_LN4vllm18Fp8KVCacheDataTypeE0EhLi16ELi128ELi256ELb0ELi10EEvPKT_PKT0_S7_ifPKiS9_S9_iPKfiiiPfSC_PS2_PT2_iSB_SB_, .Lfunc_end237-_Z39paged_attention_ll4mi_QKV_mfma16_kernelIDF16_DF16_LN4vllm18Fp8KVCacheDataTypeE0EhLi16ELi128ELi256ELb0ELi10EEvPKT_PKT0_S7_ifPKiS9_S9_iPKfiiiPfSC_PS2_PT2_iSB_SB_
                                        ; -- End function
	.section	.AMDGPU.csdata,"",@progbits
; Kernel info:
; codeLenInByte = 4416
; NumSgprs: 48
; NumVgprs: 96
; NumAgprs: 0
; TotalNumVgprs: 96
; ScratchSize: 0
; MemoryBound: 0
; FloatMode: 240
; IeeeMode: 1
; LDSByteSize: 8192 bytes/workgroup (compile time only)
; SGPRBlocks: 5
; VGPRBlocks: 11
; NumSGPRsForWavesPerEU: 48
; NumVGPRsForWavesPerEU: 96
; AccumOffset: 96
; Occupancy: 5
; WaveLimiterHint : 1
; COMPUTE_PGM_RSRC2:SCRATCH_EN: 0
; COMPUTE_PGM_RSRC2:USER_SGPR: 2
; COMPUTE_PGM_RSRC2:TRAP_HANDLER: 0
; COMPUTE_PGM_RSRC2:TGID_X_EN: 1
; COMPUTE_PGM_RSRC2:TGID_Y_EN: 1
; COMPUTE_PGM_RSRC2:TGID_Z_EN: 1
; COMPUTE_PGM_RSRC2:TIDIG_COMP_CNT: 0
; COMPUTE_PGM_RSRC3_GFX90A:ACCUM_OFFSET: 23
; COMPUTE_PGM_RSRC3_GFX90A:TG_SPLIT: 0
	.section	.text._Z39paged_attention_ll4mi_QKV_mfma16_kernelIDF16_DF16_LN4vllm18Fp8KVCacheDataTypeE0EhLi16ELi128ELi256ELb0ELi11EEvPKT_PKT0_S7_ifPKiS9_S9_iPKfiiiPfSC_PS2_PT2_iSB_SB_,"axG",@progbits,_Z39paged_attention_ll4mi_QKV_mfma16_kernelIDF16_DF16_LN4vllm18Fp8KVCacheDataTypeE0EhLi16ELi128ELi256ELb0ELi11EEvPKT_PKT0_S7_ifPKiS9_S9_iPKfiiiPfSC_PS2_PT2_iSB_SB_,comdat
	.protected	_Z39paged_attention_ll4mi_QKV_mfma16_kernelIDF16_DF16_LN4vllm18Fp8KVCacheDataTypeE0EhLi16ELi128ELi256ELb0ELi11EEvPKT_PKT0_S7_ifPKiS9_S9_iPKfiiiPfSC_PS2_PT2_iSB_SB_ ; -- Begin function _Z39paged_attention_ll4mi_QKV_mfma16_kernelIDF16_DF16_LN4vllm18Fp8KVCacheDataTypeE0EhLi16ELi128ELi256ELb0ELi11EEvPKT_PKT0_S7_ifPKiS9_S9_iPKfiiiPfSC_PS2_PT2_iSB_SB_
	.globl	_Z39paged_attention_ll4mi_QKV_mfma16_kernelIDF16_DF16_LN4vllm18Fp8KVCacheDataTypeE0EhLi16ELi128ELi256ELb0ELi11EEvPKT_PKT0_S7_ifPKiS9_S9_iPKfiiiPfSC_PS2_PT2_iSB_SB_
	.p2align	8
	.type	_Z39paged_attention_ll4mi_QKV_mfma16_kernelIDF16_DF16_LN4vllm18Fp8KVCacheDataTypeE0EhLi16ELi128ELi256ELb0ELi11EEvPKT_PKT0_S7_ifPKiS9_S9_iPKfiiiPfSC_PS2_PT2_iSB_SB_,@function
_Z39paged_attention_ll4mi_QKV_mfma16_kernelIDF16_DF16_LN4vllm18Fp8KVCacheDataTypeE0EhLi16ELi128ELi256ELb0ELi11EEvPKT_PKT0_S7_ifPKiS9_S9_iPKfiiiPfSC_PS2_PT2_iSB_SB_: ; @_Z39paged_attention_ll4mi_QKV_mfma16_kernelIDF16_DF16_LN4vllm18Fp8KVCacheDataTypeE0EhLi16ELi128ELi256ELb0ELi11EEvPKT_PKT0_S7_ifPKiS9_S9_iPKfiiiPfSC_PS2_PT2_iSB_SB_
; %bb.0:
	s_load_dwordx2 s[8:9], s[0:1], 0x30
	s_mov_b32 s26, s3
	s_mov_b64 s[6:7], 0
	s_waitcnt lgkmcnt(0)
	s_cmp_lg_u64 s[8:9], 0
	s_cselect_b64 s[10:11], -1, 0
	s_and_b64 vcc, exec, s[10:11]
	s_cbranch_vccz .LBB238_7
; %bb.1:
	s_add_i32 s12, s2, 1
	s_mov_b32 s13, 0
	s_lshl_b64 s[14:15], s[12:13], 2
	s_add_u32 s14, s8, s14
	s_mov_b32 s3, s13
	s_addc_u32 s15, s9, s15
	s_lshl_b64 s[12:13], s[2:3], 2
	s_add_u32 s12, s8, s12
	s_addc_u32 s13, s9, s13
	s_load_dword s5, s[14:15], 0x0
	s_load_dword s16, s[12:13], 0x0
	s_waitcnt lgkmcnt(0)
	s_sub_i32 s5, s5, s16
	s_cmp_eq_u32 s5, 1
	s_cselect_b64 s[12:13], -1, 0
	s_andn2_b64 vcc, exec, s[6:7]
	s_cbranch_vccnz .LBB238_3
.LBB238_2:
	s_mov_b32 s3, 0
	s_mov_b64 s[12:13], -1
.LBB238_3:
	s_andn2_b64 vcc, exec, s[12:13]
	s_cbranch_vccnz .LBB238_18
; %bb.4:
	s_load_dwordx2 s[6:7], s[0:1], 0x28
	s_lshl_b64 s[16:17], s[2:3], 2
	s_waitcnt lgkmcnt(0)
	s_add_u32 s6, s6, s16
	s_addc_u32 s7, s7, s17
	s_load_dword s33, s[6:7], 0x0
	s_lshl_b32 s18, s26, 8
	s_waitcnt lgkmcnt(0)
	s_cmp_ge_i32 s18, s33
	s_cbranch_scc1 .LBB238_18
; %bb.5:
	s_load_dwordx2 s[6:7], s[0:1], 0x20
	s_load_dword s5, s[0:1], 0x38
	s_add_i32 s12, s33, 15
	s_ashr_i32 s13, s12, 31
	v_and_b32_e32 v1, 0xcf, v0
	s_lshr_b32 s13, s13, 28
	v_add_u32_e32 v1, s18, v1
	s_add_i32 s12, s12, s13
	v_ashrrev_i32_e32 v2, 31, v1
	s_ashr_i32 s19, s12, 4
	v_lshrrev_b32_e32 v4, 28, v2
	s_add_i32 s19, s19, -1
	s_waitcnt lgkmcnt(0)
	s_mul_i32 s12, s2, s5
	s_mov_b32 s13, 0
	v_add_u32_e32 v2, v1, v4
	s_lshl_b64 s[12:13], s[12:13], 2
	v_ashrrev_i32_e32 v2, 4, v2
	v_mov_b32_e32 v5, s19
	v_cmp_gt_i32_e32 vcc, s33, v1
	s_add_u32 s6, s6, s12
	s_addc_u32 s7, s7, s13
	v_cndmask_b32_e32 v2, v5, v2, vcc
	v_ashrrev_i32_e32 v3, 31, v2
	v_lshl_add_u64 v[6:7], v[2:3], 2, s[6:7]
	v_or_b32_e32 v2, 16, v1
	v_add_u32_e32 v3, v2, v4
	v_ashrrev_i32_e32 v3, 4, v3
	v_cmp_gt_i32_e32 vcc, s33, v2
	s_load_dwordx4 s[12:15], s[0:1], 0x8
	s_nop 0
	v_cndmask_b32_e32 v2, v5, v3, vcc
	v_ashrrev_i32_e32 v3, 31, v2
	v_lshl_add_u64 v[8:9], v[2:3], 2, s[6:7]
	v_or_b32_e32 v2, 32, v1
	v_add_u32_e32 v3, v2, v4
	v_ashrrev_i32_e32 v3, 4, v3
	v_cmp_gt_i32_e32 vcc, s33, v2
	v_or_b32_e32 v1, 48, v1
	s_nop 0
	v_cndmask_b32_e32 v2, v5, v3, vcc
	v_ashrrev_i32_e32 v3, 31, v2
	v_lshl_add_u64 v[10:11], v[2:3], 2, s[6:7]
	v_add_u32_e32 v2, v1, v4
	v_ashrrev_i32_e32 v2, 4, v2
	v_cmp_gt_i32_e32 vcc, s33, v1
	s_nop 1
	v_cndmask_b32_e32 v2, v5, v2, vcc
	v_ashrrev_i32_e32 v3, 31, v2
	v_lshl_add_u64 v[12:13], v[2:3], 2, s[6:7]
	global_load_dword v4, v[6:7], off
	global_load_dword v3, v[8:9], off
	;; [unrolled: 1-line block ×4, first 2 shown]
	s_andn2_b64 vcc, exec, s[10:11]
	s_cbranch_vccnz .LBB238_8
; %bb.6:
	s_add_u32 s8, s8, s16
	s_addc_u32 s9, s9, s17
	s_load_dword s5, s[8:9], 0x0
	s_branch .LBB238_9
.LBB238_7:
	s_mov_b64 s[12:13], 0
	s_branch .LBB238_2
.LBB238_8:
	s_mov_b32 s5, s2
.LBB238_9:
	s_load_dwordx4 s[8:11], s[0:1], 0x48
	v_lshrrev_b32_e32 v77, 6, v0
	v_bfe_u32 v86, v0, 4, 2
	v_and_b32_e32 v76, 15, v0
	v_lshl_or_b32 v1, v77, 2, v86
	v_lshlrev_b32_e32 v5, 3, v76
	v_and_b32_e32 v87, 63, v0
	s_mul_i32 s40, s4, 11
	v_cmp_gt_u32_e32 vcc, 11, v1
	v_lshlrev_b32_e32 v74, 1, v5
	s_and_saveexec_b64 s[16:17], vcc
	s_cbranch_execz .LBB238_11
; %bb.10:
	s_load_dwordx2 s[20:21], s[0:1], 0x0
	s_waitcnt lgkmcnt(0)
	s_ashr_i32 s11, s8, 31
	s_mul_hi_u32 s22, s5, s8
	s_mul_i32 s11, s5, s11
	s_add_i32 s23, s22, s11
	s_mul_i32 s22, s5, s8
	s_lshl_b64 s[22:23], s[22:23], 1
	s_add_u32 s20, s20, s22
	v_add_lshl_u32 v6, v1, s40, 7
	s_addc_u32 s21, s21, s23
	v_ashrrev_i32_e32 v7, 31, v6
	v_lshl_add_u64 v[6:7], v[6:7], 1, s[20:21]
	v_mov_b32_e32 v75, 0
	v_lshl_add_u64 v[6:7], v[6:7], 0, v[74:75]
	global_load_dwordx4 v[6:9], v[6:7], off
	v_and_b32_e32 v5, 3, v0
	v_lshlrev_b32_e32 v10, 9, v76
	v_lshlrev_b32_e32 v1, 5, v1
	;; [unrolled: 1-line block ×3, first 2 shown]
	v_and_b32_e32 v10, 0x1800, v10
	v_or3_b32 v1, v10, v5, v1
	s_waitcnt vmcnt(0)
	ds_write_b128 v1, v[6:9]
.LBB238_11:
	s_or_b64 exec, exec, s[16:17]
	s_waitcnt lgkmcnt(0)
	s_mul_i32 s4, s4, s10
	s_mov_b32 s5, 0
	s_lshl_b64 s[4:5], s[4:5], 1
	s_add_u32 s10, s12, s4
	v_lshlrev_b32_e32 v1, 4, v0
	s_addc_u32 s11, s13, s5
	v_and_b32_e32 v34, 0xf0, v1
	v_mov_b32_e32 v35, 0
	v_lshl_add_u64 v[30:31], s[10:11], 0, v[34:35]
	s_waitcnt vmcnt(3)
	v_mad_i64_i32 v[4:5], s[10:11], v4, s9, 0
	v_lshl_add_u64 v[4:5], v[4:5], 1, v[30:31]
	v_and_b32_e32 v34, 0x300, v1
	v_lshl_add_u64 v[32:33], v[4:5], 0, v[34:35]
	s_load_dword s27, s[0:1], 0x98
	s_load_dword s8, s[0:1], 0x1c
	s_waitcnt lgkmcnt(0)
	s_barrier
	global_load_dwordx4 v[6:9], v[32:33], off
	global_load_dwordx4 v[18:21], v[32:33], off offset:1024
	s_waitcnt vmcnt(4)
	v_mad_i64_i32 v[4:5], s[10:11], v3, s9, 0
	s_waitcnt vmcnt(3)
	v_mad_i64_i32 v[2:3], s[10:11], v2, s9, 0
	v_lshl_add_u64 v[4:5], v[4:5], 1, v[30:31]
	v_lshl_add_u64 v[2:3], v[2:3], 1, v[30:31]
	v_lshl_add_u64 v[36:37], v[4:5], 0, v[34:35]
	v_lshl_add_u64 v[38:39], v[2:3], 0, v[34:35]
	global_load_dwordx4 v[14:17], v[36:37], off
	global_load_dwordx4 v[22:25], v[36:37], off offset:1024
	global_load_dwordx4 v[26:29], v[38:39], off
	global_load_dwordx4 v[46:49], v[38:39], off offset:1024
	v_add_u32_e32 v2, -11, v76
	v_cmp_gt_u32_e32 vcc, 11, v76
	global_load_dwordx4 v[54:57], v[32:33], off offset:2048
	global_load_dwordx4 v[62:65], v[36:37], off offset:2048
	v_cndmask_b32_e32 v2, v2, v76, vcc
	v_lshlrev_b32_e32 v2, 5, v2
	v_lshl_add_u32 v41, v86, 9, v2
	ds_read_b128 v[10:13], v41
	ds_read_b128 v[2:5], v41 offset:2048
	v_mov_b32_e32 v70, s19
	s_add_u32 s4, s14, s4
	s_addc_u32 s5, s15, s5
	s_mov_b32 s41, 0xff7fffff
	s_waitcnt vmcnt(7) lgkmcnt(1)
	v_mfma_f32_16x16x16_f16 v[42:45], v[6:7], v[10:11], 0
	v_mfma_f32_16x16x16_f16 v[6:9], v[8:9], v[12:13], v[42:45]
	s_nop 5
	global_load_dwordx4 v[42:45], v[38:39], off offset:2048
	s_waitcnt vmcnt(6)
	v_mfma_f32_16x16x16_f16 v[50:53], v[14:15], v[10:11], 0
	s_waitcnt vmcnt(4)
	v_mfma_f32_16x16x16_f16 v[58:61], v[26:27], v[10:11], 0
	v_mfma_f32_16x16x16_f16 v[14:17], v[16:17], v[12:13], v[50:53]
	;; [unrolled: 1-line block ×3, first 2 shown]
	s_nop 2
	global_load_dwordx4 v[50:53], v[32:33], off offset:3072
	v_mad_i64_i32 v[32:33], s[10:11], v40, s9, 0
	s_waitcnt lgkmcnt(0)
	v_mfma_f32_16x16x16_f16 v[6:9], v[18:19], v[2:3], v[6:9]
	v_and_or_b32 v40, v0, 48, s18
	v_ashrrev_i32_e32 v58, 4, v40
	v_cmp_gt_i32_e32 vcc, s33, v40
	v_mfma_f32_16x16x16_f16 v[14:17], v[22:23], v[2:3], v[14:17]
	v_or_b32_e32 v66, 64, v40
	v_cndmask_b32_e32 v22, v70, v58, vcc
	v_ashrrev_i32_e32 v23, 31, v22
	s_waitcnt vmcnt(4)
	v_mfma_f32_16x16x16_f16 v[26:29], v[46:47], v[2:3], v[26:29]
	v_or_b32_e32 v71, 0x80, v40
	v_or_b32_e32 v72, 0xc0, v40
	v_ashrrev_i32_e32 v40, 4, v66
	v_mfma_f32_16x16x16_f16 v[6:9], v[20:21], v[4:5], v[6:9]
	global_load_dwordx4 v[18:21], v[38:39], off offset:3072
	v_cmp_gt_i32_e32 vcc, s33, v66
	v_lshl_add_u64 v[22:23], v[22:23], 2, s[6:7]
	global_load_dwordx4 v[58:61], v[36:37], off offset:3072
	v_cndmask_b32_e32 v36, v70, v40, vcc
	v_mfma_f32_16x16x16_f16 v[14:17], v[24:25], v[4:5], v[14:17]
	global_load_dword v78, v[22:23], off
	ds_read_b128 v[66:69], v41 offset:4096
	v_ashrrev_i32_e32 v37, 31, v36
	v_mfma_f32_16x16x16_f16 v[22:25], v[48:49], v[4:5], v[26:29]
	v_ashrrev_i32_e32 v73, 4, v71
	v_cmp_gt_i32_e32 vcc, s33, v71
	v_ashrrev_i32_e32 v75, 4, v72
	v_lshl_add_u64 v[26:27], v[32:33], 1, v[30:31]
	v_lshl_add_u64 v[26:27], v[26:27], 0, v[34:35]
	;; [unrolled: 1-line block ×3, first 2 shown]
	global_load_dwordx4 v[46:49], v[26:27], off
	global_load_dword v36, v[28:29], off
	s_waitcnt vmcnt(8) lgkmcnt(0)
	v_mfma_f32_16x16x16_f16 v[6:9], v[54:55], v[66:67], v[6:9]
	v_cndmask_b32_e32 v28, v70, v73, vcc
	v_ashrrev_i32_e32 v29, 31, v28
	v_lshl_add_u64 v[28:29], v[28:29], 2, s[6:7]
	v_mfma_f32_16x16x16_f16 v[6:9], v[56:57], v[68:69], v[6:9]
	global_load_dwordx4 v[54:57], v[26:27], off offset:1024
	v_cmp_gt_i32_e32 vcc, s33, v72
	global_load_dword v82, v[28:29], off
	ds_read_b128 v[38:41], v41 offset:6144
	v_cndmask_b32_e32 v28, v70, v75, vcc
	v_ashrrev_i32_e32 v29, 31, v28
	v_lshl_add_u64 v[28:29], v[28:29], 2, s[6:7]
	global_load_dword v83, v[28:29], off
	s_waitcnt vmcnt(10)
	v_mfma_f32_16x16x16_f16 v[14:17], v[62:63], v[66:67], v[14:17]
	v_lshl_or_b32 v75, v77, 4, v76
	v_lshlrev_b32_e32 v34, 5, v75
	v_lshl_add_u64 v[62:63], s[4:5], 0, v[34:35]
	v_mfma_f32_16x16x16_f16 v[14:17], v[64:65], v[68:69], v[14:17]
	v_or_b32_e32 v34, 0x800, v34
	global_load_dwordx4 v[70:73], v[26:27], off offset:3072
	s_waitcnt vmcnt(10)
	v_mfma_f32_16x16x16_f16 v[22:25], v[42:43], v[66:67], v[22:25]
	v_mfma_f32_16x16x16_f16 v[22:25], v[44:45], v[68:69], v[22:25]
	global_load_dwordx4 v[42:45], v[26:27], off offset:2048
	s_waitcnt vmcnt(10) lgkmcnt(0)
	v_mfma_f32_16x16x16_f16 v[6:9], v[50:51], v[38:39], v[6:9]
	s_waitcnt vmcnt(9)
	v_mfma_f32_16x16x16_f16 v[22:25], v[18:19], v[38:39], v[22:25]
	s_waitcnt vmcnt(7)
	v_mad_i64_i32 v[18:19], s[6:7], v78, s9, 0
	v_lshlrev_b64 v[64:65], 1, v[18:19]
	v_mfma_f32_16x16x16_f16 v[78:81], v[52:53], v[40:41], v[6:9]
	s_nop 2
	v_lshl_add_u64 v[6:7], v[62:63], 0, v[64:65]
	global_load_dwordx4 v[30:33], v[6:7], off
	global_load_dwordx4 v[26:29], v[6:7], off offset:16
	v_mfma_f32_16x16x16_f16 v[92:95], v[20:21], v[40:41], v[22:25]
	s_waitcnt vmcnt(7)
	v_mad_i64_i32 v[6:7], s[6:7], v36, s9, 0
	v_lshlrev_b64 v[36:37], 1, v[6:7]
	v_lshl_add_u64 v[6:7], v[62:63], 0, v[36:37]
	global_load_dwordx4 v[22:25], v[6:7], off
	global_load_dwordx4 v[18:21], v[6:7], off offset:16
	v_mfma_f32_16x16x16_f16 v[6:9], v[46:47], v[10:11], 0
	s_waitcnt vmcnt(7)
	v_mad_i64_i32 v[10:11], s[6:7], v82, s9, 0
	v_mfma_f32_16x16x16_f16 v[6:9], v[48:49], v[12:13], v[6:9]
	v_lshlrev_b64 v[50:51], 1, v[10:11]
	v_lshl_add_u64 v[10:11], v[62:63], 0, v[50:51]
	v_mfma_f32_16x16x16_f16 v[6:9], v[54:55], v[2:3], v[6:9]
	s_waitcnt vmcnt(6)
	v_mad_i64_i32 v[2:3], s[6:7], v83, s9, 0
	v_pk_mul_f32 v[82:83], s[8:9], v[80:81] op_sel_hi:[0,1]
	v_mfma_f32_16x16x16_f16 v[46:49], v[56:57], v[4:5], v[6:9]
	v_pk_mul_f32 v[80:81], s[8:9], v[92:93] op_sel_hi:[0,1]
	v_mfma_f32_16x16x16_f16 v[14:17], v[58:59], v[38:39], v[14:17]
	v_lshlrev_b64 v[58:59], 1, v[2:3]
	v_lshl_add_u64 v[2:3], v[62:63], 0, v[58:59]
	v_lshl_add_u64 v[62:63], s[4:5], 0, v[34:35]
	v_mfma_f32_16x16x16_f16 v[88:91], v[60:61], v[40:41], v[14:17]
	v_pk_mul_f32 v[60:61], s[8:9], v[78:79] op_sel_hi:[0,1]
	v_pk_mul_f32 v[78:79], s[8:9], v[94:95] op_sel_hi:[0,1]
	v_lshl_add_u64 v[34:35], v[62:63], 0, v[64:65]
	s_waitcnt vmcnt(4)
	v_mfma_f32_16x16x16_f16 v[46:49], v[42:43], v[66:67], v[46:49]
	s_nop 1
	v_pk_mul_f32 v[84:85], s[8:9], v[90:91] op_sel_hi:[0,1]
	global_load_dwordx4 v[14:17], v[10:11], off
	s_nop 0
	global_load_dwordx4 v[10:13], v[10:11], off offset:16
	s_nop 0
	global_load_dwordx4 v[6:9], v[2:3], off
	s_nop 0
	global_load_dwordx4 v[2:5], v[2:3], off offset:16
	v_mfma_f32_16x16x16_f16 v[42:45], v[44:45], v[68:69], v[46:49]
	v_lshl_add_u64 v[50:51], v[62:63], 0, v[50:51]
	v_lshl_add_u64 v[58:59], v[62:63], 0, v[58:59]
	v_mfma_f32_16x16x16_f16 v[42:45], v[70:71], v[38:39], v[42:45]
	v_pk_mul_f32 v[70:71], s[8:9], v[88:89] op_sel_hi:[0,1]
	v_mfma_f32_16x16x16_f16 v[38:41], v[72:73], v[40:41], v[42:45]
	s_nop 6
	v_pk_mul_f32 v[72:73], s[8:9], v[38:39] op_sel_hi:[0,1]
	v_and_b32_e32 v38, 0xc0, v0
	v_add_u32_e32 v38, s18, v38
	v_lshl_or_b32 v38, v86, 2, v38
	v_pk_mul_f32 v[66:67], s[8:9], v[40:41] op_sel_hi:[0,1]
	v_or_b32_e32 v41, 1, v38
	v_mov_b32_e32 v39, 0xff7fffff
	v_cmp_gt_i32_e64 s[28:29], s33, v38
	v_cmp_gt_i32_e64 s[30:31], s33, v41
	v_or_b32_e32 v42, 3, v38
	v_cndmask_b32_e64 v40, v39, v60, s[28:29]
	v_cndmask_b32_e64 v41, v39, v61, s[30:31]
	v_max3_f32 v40, v40, s41, v41
	v_or_b32_e32 v41, 2, v38
	v_cmp_gt_i32_e64 s[34:35], s33, v41
	v_cmp_gt_i32_e64 s[36:37], s33, v42
	s_nop 0
	v_cndmask_b32_e64 v41, v39, v82, s[34:35]
	v_cndmask_b32_e64 v42, v39, v83, s[36:37]
	v_max3_f32 v40, v40, v41, v42
	v_or_b32_e32 v41, 16, v38
	v_or_b32_e32 v42, 17, v38
	v_cmp_gt_i32_e64 s[22:23], s33, v41
	v_cmp_gt_i32_e64 s[24:25], s33, v42
	s_nop 0
	v_cndmask_b32_e64 v41, v39, v70, s[22:23]
	v_cndmask_b32_e64 v42, v39, v71, s[24:25]
	v_max3_f32 v40, v40, v41, v42
	v_or_b32_e32 v41, 18, v38
	v_or_b32_e32 v42, 19, v38
	v_cmp_gt_i32_e64 s[18:19], s33, v41
	v_cmp_gt_i32_e64 s[20:21], s33, v42
	s_nop 0
	v_cndmask_b32_e64 v41, v39, v84, s[18:19]
	v_cndmask_b32_e64 v42, v39, v85, s[20:21]
	v_max3_f32 v40, v40, v41, v42
	v_or_b32_e32 v41, 32, v38
	v_or_b32_e32 v42, 33, v38
	v_cmp_gt_i32_e64 s[14:15], s33, v41
	v_cmp_gt_i32_e64 s[16:17], s33, v42
	s_nop 0
	v_cndmask_b32_e64 v41, v39, v80, s[14:15]
	v_cndmask_b32_e64 v42, v39, v81, s[16:17]
	v_max3_f32 v40, v40, v41, v42
	v_or_b32_e32 v41, 34, v38
	v_or_b32_e32 v42, 35, v38
	v_cmp_gt_i32_e64 s[10:11], s33, v41
	v_cmp_gt_i32_e64 s[12:13], s33, v42
	s_nop 0
	v_cndmask_b32_e64 v41, v39, v78, s[10:11]
	v_cndmask_b32_e64 v42, v39, v79, s[12:13]
	v_max3_f32 v40, v40, v41, v42
	v_or_b32_e32 v41, 48, v38
	v_or_b32_e32 v42, 49, v38
	v_cmp_gt_i32_e64 s[6:7], s33, v41
	v_cmp_gt_i32_e64 s[8:9], s33, v42
	s_nop 0
	v_cndmask_b32_e64 v41, v39, v72, s[6:7]
	v_cndmask_b32_e64 v42, v39, v73, s[8:9]
	v_max3_f32 v40, v40, v41, v42
	v_or_b32_e32 v41, 50, v38
	v_or_b32_e32 v38, 51, v38
	v_cmp_gt_i32_e32 vcc, s33, v41
	v_cmp_gt_i32_e64 s[4:5], s33, v38
	s_nop 0
	v_cndmask_b32_e32 v41, v39, v66, vcc
	v_cndmask_b32_e64 v38, v39, v67, s[4:5]
	v_max3_f32 v52, v40, v41, v38
	v_mbcnt_lo_u32_b32 v38, -1, 0
	v_mbcnt_hi_u32_b32 v53, -1, v38
	v_and_b32_e32 v38, 64, v53
	v_add_u32_e32 v54, 64, v38
	v_xor_b32_e32 v38, 32, v53
	v_cmp_lt_i32_e64 s[38:39], v38, v54
	s_nop 1
	v_cndmask_b32_e64 v38, v53, v38, s[38:39]
	v_lshlrev_b32_e32 v89, 2, v38
	ds_bpermute_b32 v55, v89, v52
	global_load_dwordx4 v[46:49], v[34:35], off
	global_load_dwordx4 v[38:41], v[34:35], off offset:16
	v_lshl_add_u64 v[34:35], v[62:63], 0, v[36:37]
	global_load_dwordx4 v[42:45], v[34:35], off
	s_nop 0
	global_load_dwordx4 v[34:37], v[34:35], off offset:16
	s_waitcnt lgkmcnt(0)
	v_max_f32_e32 v55, v55, v55
	v_max_f32_e32 v64, v52, v55
	v_xor_b32_e32 v52, 16, v53
	v_cmp_lt_i32_e64 s[38:39], v52, v54
	s_nop 1
	v_cndmask_b32_e64 v52, v53, v52, s[38:39]
	v_lshlrev_b32_e32 v90, 2, v52
	ds_bpermute_b32 v65, v90, v64
	global_load_dwordx4 v[54:57], v[50:51], off
	s_nop 0
	global_load_dwordx4 v[50:53], v[50:51], off offset:16
	s_waitcnt lgkmcnt(0)
	v_max_f32_e32 v62, v65, v65
	v_max_f32_e32 v88, v64, v62
	v_sub_f32_e32 v60, v60, v88
	v_mul_f32_e32 v60, 0x3fb8aa3b, v60
	v_exp_f32_e32 v68, v60
	v_sub_f32_e32 v60, v61, v88
	v_mul_f32_e32 v60, 0x3fb8aa3b, v60
	v_exp_f32_e32 v69, v60
	global_load_dwordx4 v[62:65], v[58:59], off
	s_nop 0
	global_load_dwordx4 v[58:61], v[58:59], off offset:16
	v_sub_f32_e32 v82, v82, v88
	v_mul_f32_e32 v82, 0x3fb8aa3b, v82
	v_sub_f32_e32 v83, v83, v88
	v_exp_f32_e32 v82, v82
	v_mul_f32_e32 v83, 0x3fb8aa3b, v83
	v_sub_f32_e32 v70, v70, v88
	v_exp_f32_e32 v83, v83
	v_mul_f32_e32 v70, 0x3fb8aa3b, v70
	v_sub_f32_e32 v71, v71, v88
	v_cndmask_b32_e64 v68, 0, v68, s[28:29]
	v_exp_f32_e32 v70, v70
	v_mul_f32_e32 v71, 0x3fb8aa3b, v71
	v_sub_f32_e32 v84, v84, v88
	v_add_f32_e32 v91, 0, v68
	v_cndmask_b32_e64 v69, 0, v69, s[30:31]
	v_exp_f32_e32 v71, v71
	v_mul_f32_e32 v84, 0x3fb8aa3b, v84
	v_sub_f32_e32 v85, v85, v88
	v_add_f32_e32 v91, v91, v69
	;; [unrolled: 5-line block ×10, first 2 shown]
	v_cndmask_b32_e64 v78, 0, v78, s[10:11]
	v_exp_f32_e32 v66, v66
	v_mul_f32_e32 v67, 0x3fb8aa3b, v67
	v_add_f32_e32 v91, v91, v78
	v_cndmask_b32_e64 v79, 0, v79, s[12:13]
	v_exp_f32_e32 v67, v67
	v_add_f32_e32 v91, v91, v79
	v_cndmask_b32_e64 v72, 0, v72, s[6:7]
	v_add_f32_e32 v91, v91, v72
	v_cndmask_b32_e64 v73, 0, v73, s[8:9]
	v_add_f32_e32 v91, v91, v73
	v_cndmask_b32_e32 v66, 0, v66, vcc
	v_add_f32_e32 v91, v91, v66
	v_cndmask_b32_e64 v67, 0, v67, s[4:5]
	v_add_f32_e32 v91, v91, v67
	ds_bpermute_b32 v89, v89, v91
	v_cmp_gt_u32_e32 vcc, 16, v87
	s_waitcnt lgkmcnt(0)
	s_barrier
	v_add_f32_e32 v89, v91, v89
	ds_bpermute_b32 v90, v90, v89
	s_and_saveexec_b64 s[4:5], vcc
	s_cbranch_execz .LBB238_13
; %bb.12:
	s_waitcnt lgkmcnt(0)
	v_add_f32_e32 v87, v89, v90
	v_lshlrev_b32_e32 v75, 2, v75
	ds_write2st64_b32 v75, v88, v87 offset1:1
.LBB238_13:
	s_or_b64 exec, exec, s[4:5]
	v_lshlrev_b32_e32 v75, 2, v76
	s_load_dword s6, s[0:1], 0x94
	s_waitcnt lgkmcnt(0)
	s_barrier
	ds_read2_b32 v[88:89], v75 offset1:16
	ds_read2_b32 v[90:91], v75 offset0:32 offset1:48
	ds_read2_b32 v[92:93], v75 offset0:64 offset1:80
	;; [unrolled: 1-line block ×3, first 2 shown]
	s_waitcnt lgkmcnt(0)
	v_max3_f32 v87, v88, s41, v89
	v_max3_f32 v87, v87, v90, v91
	v_sub_f32_e32 v88, v88, v87
	v_mul_f32_e32 v88, 0x3fb8aa3b, v88
	v_exp_f32_e32 v1, v88
	v_sub_f32_e32 v88, v89, v87
	v_mul_f32_e32 v88, 0x3fb8aa3b, v88
	v_exp_f32_e32 v89, v88
	v_sub_f32_e32 v88, v90, v87
	v_mul_f32_e32 v88, 0x3fb8aa3b, v88
	v_sub_f32_e32 v75, v91, v87
	v_exp_f32_e32 v90, v88
	v_mul_f32_e32 v75, 0x3fb8aa3b, v75
	v_exp_f32_e32 v75, v75
	v_fma_f32 v88, v1, v92, 0
	v_fmac_f32_e32 v88, v89, v93
	v_fmac_f32_e32 v88, v90, v94
	;; [unrolled: 1-line block ×3, first 2 shown]
	v_add_f32_e32 v91, 0x358637bd, v88
	v_div_scale_f32 v92, s[4:5], v91, v91, 1.0
	v_rcp_f32_e32 v93, v92
	s_barrier
	s_mul_i32 s7, s27, 11
	v_fma_f32 v94, -v92, v93, 1.0
	v_fmac_f32_e32 v93, v94, v93
	v_div_scale_f32 v94, vcc, 1.0, v91, 1.0
	v_mul_f32_e32 v95, v94, v93
	v_fma_f32 v86, -v92, v95, v94
	v_fmac_f32_e32 v95, v86, v93
	v_fma_f32 v86, -v92, v95, v94
	v_div_fmas_f32 v86, v86, v93, v95
	v_cmp_eq_u32_e32 vcc, 1, v77
	v_div_fixup_f32 v86, v86, v91, 1.0
	s_nop 0
	v_cndmask_b32_e32 v1, v1, v89, vcc
	v_cmp_eq_u32_e32 vcc, 2, v77
	s_nop 1
	v_cndmask_b32_e32 v1, v1, v90, vcc
	v_cmp_eq_u32_e32 vcc, 3, v77
	s_nop 1
	v_cndmask_b32_e32 v1, v1, v75, vcc
	v_mul_f32_e32 v90, v1, v86
	v_pk_mul_f32 v[82:83], v[90:91], v[82:83] op_sel_hi:[0,1]
	v_pk_mul_f32 v[68:69], v[90:91], v[68:69] op_sel_hi:[0,1]
	v_cvt_f16_f32_e32 v1, v68
	v_cvt_f16_f32_e32 v68, v69
	;; [unrolled: 1-line block ×4, first 2 shown]
	v_pk_mul_f32 v[84:85], v[90:91], v[84:85] op_sel_hi:[0,1]
	v_pk_mul_f32 v[70:71], v[90:91], v[70:71] op_sel_hi:[0,1]
	v_bfe_u32 v86, v0, 4, 2
	v_pack_b32_f16 v83, v69, v75
	v_cvt_f16_f32_e32 v69, v70
	v_cvt_f16_f32_e32 v70, v71
	;; [unrolled: 1-line block ×4, first 2 shown]
	v_pack_b32_f16 v82, v1, v68
	v_lshlrev_b32_e32 v1, 3, v86
	v_lshlrev_b32_e32 v68, 5, v76
	v_lshlrev_b32_e32 v75, 11, v77
	v_or3_b32 v75, v75, v68, v1
	v_pack_b32_f16 v70, v69, v70
	v_pack_b32_f16 v71, v71, v84
	ds_write2st64_b64 v75, v[82:83], v[70:71] offset1:1
	v_pk_mul_f32 v[70:71], v[90:91], v[78:79] op_sel_hi:[0,1]
	v_pk_mul_f32 v[78:79], v[90:91], v[80:81] op_sel_hi:[0,1]
	v_cvt_f16_f32_e32 v1, v78
	v_cvt_f16_f32_e32 v77, v70
	;; [unrolled: 1-line block ×3, first 2 shown]
	v_pk_mul_f32 v[66:67], v[90:91], v[66:67] op_sel_hi:[0,1]
	v_pk_mul_f32 v[70:71], v[90:91], v[72:73] op_sel_hi:[0,1]
	v_cvt_f16_f32_e32 v69, v79
	v_cvt_f16_f32_e32 v70, v70
	;; [unrolled: 1-line block ×5, first 2 shown]
	v_pack_b32_f16 v66, v1, v69
	v_pack_b32_f16 v67, v77, v78
	;; [unrolled: 1-line block ×4, first 2 shown]
	v_cmp_gt_u32_e32 vcc, 11, v0
	ds_write2st64_b64 v75, v[66:67], v[70:71] offset0:2 offset1:3
	s_and_saveexec_b64 s[4:5], vcc
	s_cbranch_execz .LBB238_15
; %bb.14:
	s_mov_b32 s41, 0
	v_mov_b32_e32 v77, 0
	v_lshl_add_u64 v[66:67], s[40:41], 0, v[76:77]
	v_mov_b32_e32 v1, s7
	v_mad_u64_u32 v[66:67], s[12:13], s2, v1, v[66:67]
	s_mul_i32 s3, s3, s7
	v_mov_b32_e32 v70, s26
	v_mov_b32_e32 v71, v77
	s_load_dwordx4 s[8:11], s[0:1], 0x58
	v_add_u32_e32 v1, s3, v67
	v_mad_u64_u32 v[66:67], s[12:13], v66, s6, v[70:71]
	v_mov_b32_e32 v70, v67
	v_mad_u64_u32 v[70:71], s[12:13], v1, s6, v[70:71]
	v_mov_b32_e32 v67, v70
	v_lshlrev_b64 v[66:67], 2, v[66:67]
	s_waitcnt lgkmcnt(0)
	v_lshl_add_u64 v[70:71], s[10:11], 0, v[66:67]
	v_lshl_add_u64 v[66:67], s[8:9], 0, v[66:67]
	global_store_dword v[70:71], v87, off
	global_store_dword v[66:67], v88, off
.LBB238_15:
	s_or_b64 exec, exec, s[4:5]
	v_lshl_or_b32 v1, v86, 9, v68
	s_waitcnt lgkmcnt(0)
	s_barrier
	ds_read_b128 v[70:73], v1
	ds_read_b128 v[66:69], v1 offset:16
	s_waitcnt vmcnt(15) lgkmcnt(1)
	v_mfma_f32_16x16x16_f16 v[78:81], v[30:31], v[70:71], 0
	s_mov_b32 s3, 0
	v_cmp_gt_u32_e32 vcc, 64, v0
	v_mfma_f32_16x16x16_f16 v[30:33], v[32:33], v[72:73], v[78:81]
	s_waitcnt vmcnt(14) lgkmcnt(0)
	v_mfma_f32_16x16x16_f16 v[30:33], v[26:27], v[66:67], v[30:33]
	v_mfma_f32_16x16x16_f16 v[26:29], v[28:29], v[68:69], v[30:33]
	s_nop 5
	ds_read_b128 v[30:33], v1 offset:2048
	ds_read_b128 v[78:81], v1 offset:2064
	s_waitcnt vmcnt(13) lgkmcnt(1)
	v_mfma_f32_16x16x16_f16 v[26:29], v[22:23], v[30:31], v[26:29]
	v_mfma_f32_16x16x16_f16 v[22:25], v[24:25], v[32:33], v[26:29]
	s_waitcnt vmcnt(12) lgkmcnt(0)
	v_mfma_f32_16x16x16_f16 v[22:25], v[18:19], v[78:79], v[22:25]
	v_mfma_f32_16x16x16_f16 v[18:21], v[20:21], v[80:81], v[22:25]
	s_nop 5
	ds_read_b128 v[22:25], v1 offset:4096
	ds_read_b128 v[26:29], v1 offset:4112
	s_waitcnt vmcnt(11) lgkmcnt(1)
	v_mfma_f32_16x16x16_f16 v[18:21], v[14:15], v[22:23], v[18:21]
	v_mfma_f32_16x16x16_f16 v[14:17], v[16:17], v[24:25], v[18:21]
	s_waitcnt vmcnt(10) lgkmcnt(0)
	v_mfma_f32_16x16x16_f16 v[14:17], v[10:11], v[26:27], v[14:17]
	v_mfma_f32_16x16x16_f16 v[10:13], v[12:13], v[28:29], v[14:17]
	s_nop 5
	ds_read_b128 v[14:17], v1 offset:6144
	ds_read_b128 v[18:21], v1 offset:6160
	s_waitcnt lgkmcnt(0)
	s_barrier
	s_waitcnt vmcnt(9)
	v_mfma_f32_16x16x16_f16 v[10:13], v[6:7], v[14:15], v[10:13]
	v_mfma_f32_16x16x16_f16 v[6:9], v[8:9], v[16:17], v[10:13]
	s_waitcnt vmcnt(8)
	v_mfma_f32_16x16x16_f16 v[6:9], v[2:3], v[18:19], v[6:9]
	v_mfma_f32_16x16x16_f16 v[2:5], v[4:5], v[20:21], v[6:9]
	;; [unrolled: 3-line block ×3, first 2 shown]
	s_nop 3
	v_cvt_f16_f32_e32 v1, v2
	v_cvt_f16_f32_e32 v10, v3
	;; [unrolled: 1-line block ×3, first 2 shown]
	s_waitcnt vmcnt(6)
	v_mfma_f32_16x16x16_f16 v[6:9], v[38:39], v[66:67], v[6:9]
	v_cvt_f16_f32_e32 v12, v5
	v_mfma_f32_16x16x16_f16 v[6:9], v[40:41], v[68:69], v[6:9]
	s_waitcnt vmcnt(5)
	v_mfma_f32_16x16x16_f16 v[6:9], v[42:43], v[30:31], v[6:9]
	v_mfma_f32_16x16x16_f16 v[6:9], v[44:45], v[32:33], v[6:9]
	s_waitcnt vmcnt(4)
	v_mfma_f32_16x16x16_f16 v[6:9], v[34:35], v[78:79], v[6:9]
	;; [unrolled: 3-line block ×6, first 2 shown]
	v_mfma_f32_16x16x16_f16 v[2:5], v[60:61], v[20:21], v[6:9]
	s_nop 6
	v_cvt_f16_f32_e32 v6, v2
	v_cvt_f16_f32_e32 v7, v3
	;; [unrolled: 1-line block ×4, first 2 shown]
	v_pack_b32_f16 v2, v1, v10
	v_pack_b32_f16 v3, v11, v12
	;; [unrolled: 1-line block ×4, first 2 shown]
	ds_write2st64_b64 v75, v[2:3], v[4:5] offset1:1
	s_waitcnt lgkmcnt(0)
	s_barrier
	s_and_saveexec_b64 s[4:5], vcc
	s_cbranch_execz .LBB238_18
; %bb.16:
	s_load_dwordx2 s[4:5], s[0:1], 0x68
	s_lshl_b32 s0, s6, 7
	s_mul_i32 s1, s7, s2
	v_lshlrev_b32_e32 v3, 6, v76
	s_mul_hi_u32 s7, s1, s0
	s_mul_i32 s6, s1, s0
	v_lshlrev_b32_e32 v2, 4, v0
	v_lshl_or_b32 v0, v0, 10, v3
	s_lshl_b64 s[6:7], s[6:7], 1
	v_lshlrev_b32_e32 v1, 5, v86
	v_and_b32_e32 v2, 16, v2
	v_and_b32_e32 v0, 0x1a00, v0
	s_waitcnt lgkmcnt(0)
	s_add_u32 s1, s4, s6
	v_or3_b32 v2, v0, v1, v2
	s_addc_u32 s4, s5, s7
	s_lshl_b32 s2, s26, 7
	s_lshl_b64 s[2:3], s[2:3], 1
	ds_read_b128 v[4:7], v2 offset:128
	ds_read_b128 v[8:11], v2
	s_add_u32 s2, s1, s2
	s_addc_u32 s3, s4, s3
	v_mov_b32_e32 v75, 0
	v_add_u32_e32 v3, s40, v86
	v_lshl_add_u64 v[0:1], s[2:3], 0, v[74:75]
	v_mad_u64_u32 v[12:13], s[2:3], v3, s0, 0
	v_lshl_add_u64 v[12:13], v[12:13], 1, v[0:1]
	v_add_u32_e32 v3, 4, v3
	s_waitcnt lgkmcnt(0)
	global_store_dwordx4 v[12:13], v[8:11], off
	v_cmp_ne_u32_e32 vcc, 3, v86
	s_nop 0
	v_mad_u64_u32 v[8:9], s[2:3], v3, s0, 0
	v_lshl_add_u64 v[8:9], v[8:9], 1, v[0:1]
	global_store_dwordx4 v[8:9], v[4:7], off
	s_and_b64 exec, exec, vcc
	s_cbranch_execz .LBB238_18
; %bb.17:
	ds_read_b128 v[2:5], v2 offset:256
	v_add3_u32 v6, s40, v86, 8
	v_mad_u64_u32 v[6:7], s[0:1], v6, s0, 0
	v_lshl_add_u64 v[0:1], v[6:7], 1, v[0:1]
	s_waitcnt lgkmcnt(0)
	global_store_dwordx4 v[0:1], v[2:5], off
.LBB238_18:
	s_endpgm
	.section	.rodata,"a",@progbits
	.p2align	6, 0x0
	.amdhsa_kernel _Z39paged_attention_ll4mi_QKV_mfma16_kernelIDF16_DF16_LN4vllm18Fp8KVCacheDataTypeE0EhLi16ELi128ELi256ELb0ELi11EEvPKT_PKT0_S7_ifPKiS9_S9_iPKfiiiPfSC_PS2_PT2_iSB_SB_
		.amdhsa_group_segment_fixed_size 8192
		.amdhsa_private_segment_fixed_size 0
		.amdhsa_kernarg_size 400
		.amdhsa_user_sgpr_count 2
		.amdhsa_user_sgpr_dispatch_ptr 0
		.amdhsa_user_sgpr_queue_ptr 0
		.amdhsa_user_sgpr_kernarg_segment_ptr 1
		.amdhsa_user_sgpr_dispatch_id 0
		.amdhsa_user_sgpr_kernarg_preload_length 0
		.amdhsa_user_sgpr_kernarg_preload_offset 0
		.amdhsa_user_sgpr_private_segment_size 0
		.amdhsa_uses_dynamic_stack 0
		.amdhsa_enable_private_segment 0
		.amdhsa_system_sgpr_workgroup_id_x 1
		.amdhsa_system_sgpr_workgroup_id_y 1
		.amdhsa_system_sgpr_workgroup_id_z 1
		.amdhsa_system_sgpr_workgroup_info 0
		.amdhsa_system_vgpr_workitem_id 0
		.amdhsa_next_free_vgpr 96
		.amdhsa_next_free_sgpr 42
		.amdhsa_accum_offset 96
		.amdhsa_reserve_vcc 1
		.amdhsa_float_round_mode_32 0
		.amdhsa_float_round_mode_16_64 0
		.amdhsa_float_denorm_mode_32 3
		.amdhsa_float_denorm_mode_16_64 3
		.amdhsa_dx10_clamp 1
		.amdhsa_ieee_mode 1
		.amdhsa_fp16_overflow 0
		.amdhsa_tg_split 0
		.amdhsa_exception_fp_ieee_invalid_op 0
		.amdhsa_exception_fp_denorm_src 0
		.amdhsa_exception_fp_ieee_div_zero 0
		.amdhsa_exception_fp_ieee_overflow 0
		.amdhsa_exception_fp_ieee_underflow 0
		.amdhsa_exception_fp_ieee_inexact 0
		.amdhsa_exception_int_div_zero 0
	.end_amdhsa_kernel
	.section	.text._Z39paged_attention_ll4mi_QKV_mfma16_kernelIDF16_DF16_LN4vllm18Fp8KVCacheDataTypeE0EhLi16ELi128ELi256ELb0ELi11EEvPKT_PKT0_S7_ifPKiS9_S9_iPKfiiiPfSC_PS2_PT2_iSB_SB_,"axG",@progbits,_Z39paged_attention_ll4mi_QKV_mfma16_kernelIDF16_DF16_LN4vllm18Fp8KVCacheDataTypeE0EhLi16ELi128ELi256ELb0ELi11EEvPKT_PKT0_S7_ifPKiS9_S9_iPKfiiiPfSC_PS2_PT2_iSB_SB_,comdat
.Lfunc_end238:
	.size	_Z39paged_attention_ll4mi_QKV_mfma16_kernelIDF16_DF16_LN4vllm18Fp8KVCacheDataTypeE0EhLi16ELi128ELi256ELb0ELi11EEvPKT_PKT0_S7_ifPKiS9_S9_iPKfiiiPfSC_PS2_PT2_iSB_SB_, .Lfunc_end238-_Z39paged_attention_ll4mi_QKV_mfma16_kernelIDF16_DF16_LN4vllm18Fp8KVCacheDataTypeE0EhLi16ELi128ELi256ELb0ELi11EEvPKT_PKT0_S7_ifPKiS9_S9_iPKfiiiPfSC_PS2_PT2_iSB_SB_
                                        ; -- End function
	.section	.AMDGPU.csdata,"",@progbits
; Kernel info:
; codeLenInByte = 4420
; NumSgprs: 48
; NumVgprs: 96
; NumAgprs: 0
; TotalNumVgprs: 96
; ScratchSize: 0
; MemoryBound: 0
; FloatMode: 240
; IeeeMode: 1
; LDSByteSize: 8192 bytes/workgroup (compile time only)
; SGPRBlocks: 5
; VGPRBlocks: 11
; NumSGPRsForWavesPerEU: 48
; NumVGPRsForWavesPerEU: 96
; AccumOffset: 96
; Occupancy: 5
; WaveLimiterHint : 1
; COMPUTE_PGM_RSRC2:SCRATCH_EN: 0
; COMPUTE_PGM_RSRC2:USER_SGPR: 2
; COMPUTE_PGM_RSRC2:TRAP_HANDLER: 0
; COMPUTE_PGM_RSRC2:TGID_X_EN: 1
; COMPUTE_PGM_RSRC2:TGID_Y_EN: 1
; COMPUTE_PGM_RSRC2:TGID_Z_EN: 1
; COMPUTE_PGM_RSRC2:TIDIG_COMP_CNT: 0
; COMPUTE_PGM_RSRC3_GFX90A:ACCUM_OFFSET: 23
; COMPUTE_PGM_RSRC3_GFX90A:TG_SPLIT: 0
	.section	.text._Z39paged_attention_ll4mi_QKV_mfma16_kernelIDF16_DF16_LN4vllm18Fp8KVCacheDataTypeE0EhLi16ELi128ELi256ELb0ELi12EEvPKT_PKT0_S7_ifPKiS9_S9_iPKfiiiPfSC_PS2_PT2_iSB_SB_,"axG",@progbits,_Z39paged_attention_ll4mi_QKV_mfma16_kernelIDF16_DF16_LN4vllm18Fp8KVCacheDataTypeE0EhLi16ELi128ELi256ELb0ELi12EEvPKT_PKT0_S7_ifPKiS9_S9_iPKfiiiPfSC_PS2_PT2_iSB_SB_,comdat
	.protected	_Z39paged_attention_ll4mi_QKV_mfma16_kernelIDF16_DF16_LN4vllm18Fp8KVCacheDataTypeE0EhLi16ELi128ELi256ELb0ELi12EEvPKT_PKT0_S7_ifPKiS9_S9_iPKfiiiPfSC_PS2_PT2_iSB_SB_ ; -- Begin function _Z39paged_attention_ll4mi_QKV_mfma16_kernelIDF16_DF16_LN4vllm18Fp8KVCacheDataTypeE0EhLi16ELi128ELi256ELb0ELi12EEvPKT_PKT0_S7_ifPKiS9_S9_iPKfiiiPfSC_PS2_PT2_iSB_SB_
	.globl	_Z39paged_attention_ll4mi_QKV_mfma16_kernelIDF16_DF16_LN4vllm18Fp8KVCacheDataTypeE0EhLi16ELi128ELi256ELb0ELi12EEvPKT_PKT0_S7_ifPKiS9_S9_iPKfiiiPfSC_PS2_PT2_iSB_SB_
	.p2align	8
	.type	_Z39paged_attention_ll4mi_QKV_mfma16_kernelIDF16_DF16_LN4vllm18Fp8KVCacheDataTypeE0EhLi16ELi128ELi256ELb0ELi12EEvPKT_PKT0_S7_ifPKiS9_S9_iPKfiiiPfSC_PS2_PT2_iSB_SB_,@function
_Z39paged_attention_ll4mi_QKV_mfma16_kernelIDF16_DF16_LN4vllm18Fp8KVCacheDataTypeE0EhLi16ELi128ELi256ELb0ELi12EEvPKT_PKT0_S7_ifPKiS9_S9_iPKfiiiPfSC_PS2_PT2_iSB_SB_: ; @_Z39paged_attention_ll4mi_QKV_mfma16_kernelIDF16_DF16_LN4vllm18Fp8KVCacheDataTypeE0EhLi16ELi128ELi256ELb0ELi12EEvPKT_PKT0_S7_ifPKiS9_S9_iPKfiiiPfSC_PS2_PT2_iSB_SB_
; %bb.0:
	s_load_dwordx2 s[8:9], s[0:1], 0x30
	s_mov_b32 s26, s3
	s_mov_b64 s[6:7], 0
	s_waitcnt lgkmcnt(0)
	s_cmp_lg_u64 s[8:9], 0
	s_cselect_b64 s[10:11], -1, 0
	s_and_b64 vcc, exec, s[10:11]
	s_cbranch_vccz .LBB239_7
; %bb.1:
	s_add_i32 s12, s2, 1
	s_mov_b32 s13, 0
	s_lshl_b64 s[14:15], s[12:13], 2
	s_add_u32 s14, s8, s14
	s_mov_b32 s3, s13
	s_addc_u32 s15, s9, s15
	s_lshl_b64 s[12:13], s[2:3], 2
	s_add_u32 s12, s8, s12
	s_addc_u32 s13, s9, s13
	s_load_dword s5, s[14:15], 0x0
	s_load_dword s16, s[12:13], 0x0
	s_waitcnt lgkmcnt(0)
	s_sub_i32 s5, s5, s16
	s_cmp_eq_u32 s5, 1
	s_cselect_b64 s[12:13], -1, 0
	s_andn2_b64 vcc, exec, s[6:7]
	s_cbranch_vccnz .LBB239_3
.LBB239_2:
	s_mov_b32 s3, 0
	s_mov_b64 s[12:13], -1
.LBB239_3:
	s_andn2_b64 vcc, exec, s[12:13]
	s_cbranch_vccnz .LBB239_17
; %bb.4:
	s_load_dwordx2 s[6:7], s[0:1], 0x28
	s_lshl_b64 s[16:17], s[2:3], 2
	s_waitcnt lgkmcnt(0)
	s_add_u32 s6, s6, s16
	s_addc_u32 s7, s7, s17
	s_load_dword s33, s[6:7], 0x0
	s_lshl_b32 s18, s26, 8
	s_waitcnt lgkmcnt(0)
	s_cmp_ge_i32 s18, s33
	s_cbranch_scc1 .LBB239_17
; %bb.5:
	s_load_dwordx2 s[6:7], s[0:1], 0x20
	s_load_dword s5, s[0:1], 0x38
	s_add_i32 s12, s33, 15
	s_ashr_i32 s13, s12, 31
	v_and_b32_e32 v1, 0xcf, v0
	s_lshr_b32 s13, s13, 28
	v_add_u32_e32 v1, s18, v1
	s_add_i32 s12, s12, s13
	v_ashrrev_i32_e32 v2, 31, v1
	s_ashr_i32 s19, s12, 4
	v_lshrrev_b32_e32 v4, 28, v2
	s_add_i32 s19, s19, -1
	s_waitcnt lgkmcnt(0)
	s_mul_i32 s12, s2, s5
	s_mov_b32 s13, 0
	v_add_u32_e32 v2, v1, v4
	s_lshl_b64 s[12:13], s[12:13], 2
	v_ashrrev_i32_e32 v2, 4, v2
	v_mov_b32_e32 v5, s19
	v_cmp_gt_i32_e32 vcc, s33, v1
	s_add_u32 s6, s6, s12
	s_addc_u32 s7, s7, s13
	v_cndmask_b32_e32 v2, v5, v2, vcc
	v_ashrrev_i32_e32 v3, 31, v2
	v_lshl_add_u64 v[6:7], v[2:3], 2, s[6:7]
	v_or_b32_e32 v2, 16, v1
	v_add_u32_e32 v3, v2, v4
	v_ashrrev_i32_e32 v3, 4, v3
	v_cmp_gt_i32_e32 vcc, s33, v2
	s_load_dwordx4 s[12:15], s[0:1], 0x8
	s_nop 0
	v_cndmask_b32_e32 v2, v5, v3, vcc
	v_ashrrev_i32_e32 v3, 31, v2
	v_lshl_add_u64 v[8:9], v[2:3], 2, s[6:7]
	v_or_b32_e32 v2, 32, v1
	v_add_u32_e32 v3, v2, v4
	v_ashrrev_i32_e32 v3, 4, v3
	v_cmp_gt_i32_e32 vcc, s33, v2
	v_or_b32_e32 v1, 48, v1
	s_nop 0
	v_cndmask_b32_e32 v2, v5, v3, vcc
	v_ashrrev_i32_e32 v3, 31, v2
	v_lshl_add_u64 v[10:11], v[2:3], 2, s[6:7]
	v_add_u32_e32 v2, v1, v4
	v_ashrrev_i32_e32 v2, 4, v2
	v_cmp_gt_i32_e32 vcc, s33, v1
	s_nop 1
	v_cndmask_b32_e32 v2, v5, v2, vcc
	v_ashrrev_i32_e32 v3, 31, v2
	v_lshl_add_u64 v[12:13], v[2:3], 2, s[6:7]
	global_load_dword v4, v[6:7], off
	global_load_dword v3, v[8:9], off
	;; [unrolled: 1-line block ×4, first 2 shown]
	s_andn2_b64 vcc, exec, s[10:11]
	s_cbranch_vccnz .LBB239_8
; %bb.6:
	s_add_u32 s8, s8, s16
	s_addc_u32 s9, s9, s17
	s_load_dword s5, s[8:9], 0x0
	s_branch .LBB239_9
.LBB239_7:
	s_mov_b64 s[12:13], 0
	s_branch .LBB239_2
.LBB239_8:
	s_mov_b32 s5, s2
.LBB239_9:
	s_load_dwordx4 s[8:11], s[0:1], 0x48
	v_and_b32_e32 v76, 15, v0
	v_lshlrev_b32_e32 v5, 3, v76
	s_waitcnt lgkmcnt(0)
	s_movk_i32 s11, 0xc0
	v_lshrrev_b32_e32 v77, 6, v0
	v_and_b32_e32 v86, 63, v0
	v_bfe_u32 v1, v0, 4, 2
	s_mul_i32 s40, s4, 12
	v_cmp_gt_u32_e32 vcc, s11, v0
	v_lshlrev_b32_e32 v74, 1, v5
	s_and_saveexec_b64 s[16:17], vcc
	s_cbranch_execz .LBB239_11
; %bb.10:
	s_load_dwordx2 s[20:21], s[0:1], 0x0
	s_ashr_i32 s11, s8, 31
	s_mul_hi_u32 s22, s5, s8
	s_mul_i32 s11, s5, s11
	s_add_i32 s23, s22, s11
	s_mul_i32 s22, s5, s8
	v_lshl_or_b32 v5, v77, 2, v1
	s_lshl_b64 s[22:23], s[22:23], 1
	s_waitcnt lgkmcnt(0)
	s_add_u32 s20, s20, s22
	v_add_lshl_u32 v6, v5, s40, 7
	s_addc_u32 s21, s21, s23
	v_ashrrev_i32_e32 v7, 31, v6
	v_lshl_add_u64 v[6:7], v[6:7], 1, s[20:21]
	v_mov_b32_e32 v75, 0
	v_lshl_add_u64 v[6:7], v[6:7], 0, v[74:75]
	global_load_dwordx4 v[6:9], v[6:7], off
	v_and_b32_e32 v10, 3, v0
	v_lshlrev_b32_e32 v11, 9, v76
	v_lshlrev_b32_e32 v5, 5, v5
	;; [unrolled: 1-line block ×3, first 2 shown]
	v_and_b32_e32 v11, 0x1800, v11
	v_or3_b32 v5, v11, v10, v5
	s_waitcnt vmcnt(0)
	ds_write_b128 v5, v[6:9]
.LBB239_11:
	s_or_b64 exec, exec, s[16:17]
	s_mul_i32 s4, s4, s10
	s_mov_b32 s5, 0
	s_lshl_b64 s[4:5], s[4:5], 1
	s_add_u32 s10, s12, s4
	v_lshlrev_b32_e32 v6, 4, v0
	s_addc_u32 s11, s13, s5
	v_and_b32_e32 v34, 0xf0, v6
	v_mov_b32_e32 v35, 0
	v_lshl_add_u64 v[30:31], s[10:11], 0, v[34:35]
	s_waitcnt vmcnt(3)
	v_mad_i64_i32 v[4:5], s[10:11], v4, s9, 0
	v_lshl_add_u64 v[4:5], v[4:5], 1, v[30:31]
	v_and_b32_e32 v34, 0x300, v6
	v_lshl_add_u64 v[32:33], v[4:5], 0, v[34:35]
	s_load_dword s27, s[0:1], 0x98
	s_load_dword s8, s[0:1], 0x1c
	s_waitcnt lgkmcnt(0)
	s_barrier
	global_load_dwordx4 v[6:9], v[32:33], off
	global_load_dwordx4 v[18:21], v[32:33], off offset:1024
	s_waitcnt vmcnt(4)
	v_mad_i64_i32 v[4:5], s[10:11], v3, s9, 0
	s_waitcnt vmcnt(3)
	v_mad_i64_i32 v[2:3], s[10:11], v2, s9, 0
	v_lshl_add_u64 v[4:5], v[4:5], 1, v[30:31]
	v_lshl_add_u64 v[2:3], v[2:3], 1, v[30:31]
	;; [unrolled: 1-line block ×4, first 2 shown]
	global_load_dwordx4 v[14:17], v[36:37], off
	global_load_dwordx4 v[22:25], v[36:37], off offset:1024
	global_load_dwordx4 v[26:29], v[38:39], off
	global_load_dwordx4 v[46:49], v[38:39], off offset:1024
	v_add_u32_e32 v2, -12, v76
	v_cmp_gt_u32_e32 vcc, 12, v76
	global_load_dwordx4 v[54:57], v[32:33], off offset:2048
	global_load_dwordx4 v[62:65], v[36:37], off offset:2048
	v_cndmask_b32_e32 v2, v2, v76, vcc
	v_lshlrev_b32_e32 v2, 5, v2
	v_lshl_add_u32 v41, v1, 9, v2
	ds_read_b128 v[10:13], v41
	ds_read_b128 v[2:5], v41 offset:2048
	v_mov_b32_e32 v70, s19
	v_lshl_or_b32 v87, v77, 4, v76
	s_add_u32 s4, s14, s4
	s_addc_u32 s5, s15, s5
	s_mov_b32 s41, 0xff7fffff
	s_waitcnt vmcnt(7) lgkmcnt(1)
	v_mfma_f32_16x16x16_f16 v[42:45], v[6:7], v[10:11], 0
	v_mfma_f32_16x16x16_f16 v[6:9], v[8:9], v[12:13], v[42:45]
	s_nop 5
	global_load_dwordx4 v[42:45], v[38:39], off offset:2048
	s_waitcnt vmcnt(6)
	v_mfma_f32_16x16x16_f16 v[50:53], v[14:15], v[10:11], 0
	s_waitcnt vmcnt(4)
	v_mfma_f32_16x16x16_f16 v[58:61], v[26:27], v[10:11], 0
	v_mfma_f32_16x16x16_f16 v[14:17], v[16:17], v[12:13], v[50:53]
	;; [unrolled: 1-line block ×3, first 2 shown]
	s_nop 2
	global_load_dwordx4 v[50:53], v[32:33], off offset:3072
	v_mad_i64_i32 v[32:33], s[10:11], v40, s9, 0
	s_waitcnt lgkmcnt(0)
	v_mfma_f32_16x16x16_f16 v[6:9], v[18:19], v[2:3], v[6:9]
	v_and_or_b32 v40, v0, 48, s18
	v_ashrrev_i32_e32 v58, 4, v40
	v_cmp_gt_i32_e32 vcc, s33, v40
	v_mfma_f32_16x16x16_f16 v[14:17], v[22:23], v[2:3], v[14:17]
	v_or_b32_e32 v66, 64, v40
	v_cndmask_b32_e32 v22, v70, v58, vcc
	v_ashrrev_i32_e32 v23, 31, v22
	s_waitcnt vmcnt(4)
	v_mfma_f32_16x16x16_f16 v[26:29], v[46:47], v[2:3], v[26:29]
	v_or_b32_e32 v71, 0x80, v40
	v_or_b32_e32 v72, 0xc0, v40
	v_ashrrev_i32_e32 v40, 4, v66
	v_mfma_f32_16x16x16_f16 v[6:9], v[20:21], v[4:5], v[6:9]
	global_load_dwordx4 v[18:21], v[38:39], off offset:3072
	v_cmp_gt_i32_e32 vcc, s33, v66
	v_lshl_add_u64 v[22:23], v[22:23], 2, s[6:7]
	global_load_dwordx4 v[58:61], v[36:37], off offset:3072
	v_cndmask_b32_e32 v36, v70, v40, vcc
	v_mfma_f32_16x16x16_f16 v[14:17], v[24:25], v[4:5], v[14:17]
	global_load_dword v79, v[22:23], off
	ds_read_b128 v[66:69], v41 offset:4096
	v_ashrrev_i32_e32 v37, 31, v36
	v_mfma_f32_16x16x16_f16 v[22:25], v[48:49], v[4:5], v[26:29]
	v_ashrrev_i32_e32 v73, 4, v71
	v_cmp_gt_i32_e32 vcc, s33, v71
	v_ashrrev_i32_e32 v78, 4, v72
	v_lshl_add_u64 v[26:27], v[32:33], 1, v[30:31]
	v_lshl_add_u64 v[26:27], v[26:27], 0, v[34:35]
	v_lshl_add_u64 v[28:29], v[36:37], 2, s[6:7]
	global_load_dwordx4 v[46:49], v[26:27], off
	global_load_dword v36, v[28:29], off
	s_waitcnt vmcnt(8) lgkmcnt(0)
	v_mfma_f32_16x16x16_f16 v[6:9], v[54:55], v[66:67], v[6:9]
	v_cndmask_b32_e32 v28, v70, v73, vcc
	v_ashrrev_i32_e32 v29, 31, v28
	v_lshl_add_u64 v[28:29], v[28:29], 2, s[6:7]
	v_mfma_f32_16x16x16_f16 v[6:9], v[56:57], v[68:69], v[6:9]
	global_load_dwordx4 v[54:57], v[26:27], off offset:1024
	v_cmp_gt_i32_e32 vcc, s33, v72
	global_load_dword v82, v[28:29], off
	ds_read_b128 v[38:41], v41 offset:6144
	v_cndmask_b32_e32 v28, v70, v78, vcc
	v_ashrrev_i32_e32 v29, 31, v28
	v_lshl_add_u64 v[28:29], v[28:29], 2, s[6:7]
	global_load_dword v83, v[28:29], off
	s_waitcnt vmcnt(10)
	v_mfma_f32_16x16x16_f16 v[14:17], v[62:63], v[66:67], v[14:17]
	v_lshlrev_b32_e32 v34, 5, v87
	v_lshl_add_u64 v[62:63], s[4:5], 0, v[34:35]
	v_or_b32_e32 v34, 0x800, v34
	v_mfma_f32_16x16x16_f16 v[14:17], v[64:65], v[68:69], v[14:17]
	global_load_dwordx4 v[70:73], v[26:27], off offset:3072
	s_waitcnt vmcnt(10)
	v_mfma_f32_16x16x16_f16 v[22:25], v[42:43], v[66:67], v[22:25]
	v_mfma_f32_16x16x16_f16 v[22:25], v[44:45], v[68:69], v[22:25]
	global_load_dwordx4 v[42:45], v[26:27], off offset:2048
	s_waitcnt vmcnt(10) lgkmcnt(0)
	v_mfma_f32_16x16x16_f16 v[6:9], v[50:51], v[38:39], v[6:9]
	s_waitcnt vmcnt(9)
	v_mfma_f32_16x16x16_f16 v[22:25], v[18:19], v[38:39], v[22:25]
	s_waitcnt vmcnt(7)
	v_mad_i64_i32 v[18:19], s[6:7], v79, s9, 0
	v_lshlrev_b64 v[64:65], 1, v[18:19]
	v_mfma_f32_16x16x16_f16 v[78:81], v[52:53], v[40:41], v[6:9]
	s_nop 2
	v_lshl_add_u64 v[6:7], v[62:63], 0, v[64:65]
	global_load_dwordx4 v[30:33], v[6:7], off
	global_load_dwordx4 v[26:29], v[6:7], off offset:16
	v_mfma_f32_16x16x16_f16 v[92:95], v[20:21], v[40:41], v[22:25]
	s_waitcnt vmcnt(7)
	v_mad_i64_i32 v[6:7], s[6:7], v36, s9, 0
	v_lshlrev_b64 v[36:37], 1, v[6:7]
	v_lshl_add_u64 v[6:7], v[62:63], 0, v[36:37]
	global_load_dwordx4 v[22:25], v[6:7], off
	global_load_dwordx4 v[18:21], v[6:7], off offset:16
	v_mfma_f32_16x16x16_f16 v[6:9], v[46:47], v[10:11], 0
	s_waitcnt vmcnt(7)
	v_mad_i64_i32 v[10:11], s[6:7], v82, s9, 0
	v_mfma_f32_16x16x16_f16 v[6:9], v[48:49], v[12:13], v[6:9]
	v_lshlrev_b64 v[50:51], 1, v[10:11]
	v_lshl_add_u64 v[10:11], v[62:63], 0, v[50:51]
	v_mfma_f32_16x16x16_f16 v[6:9], v[54:55], v[2:3], v[6:9]
	s_waitcnt vmcnt(6)
	v_mad_i64_i32 v[2:3], s[6:7], v83, s9, 0
	v_pk_mul_f32 v[82:83], s[8:9], v[80:81] op_sel_hi:[0,1]
	v_mfma_f32_16x16x16_f16 v[46:49], v[56:57], v[4:5], v[6:9]
	v_pk_mul_f32 v[80:81], s[8:9], v[92:93] op_sel_hi:[0,1]
	v_mfma_f32_16x16x16_f16 v[14:17], v[58:59], v[38:39], v[14:17]
	v_lshlrev_b64 v[58:59], 1, v[2:3]
	v_lshl_add_u64 v[2:3], v[62:63], 0, v[58:59]
	v_lshl_add_u64 v[62:63], s[4:5], 0, v[34:35]
	v_mfma_f32_16x16x16_f16 v[88:91], v[60:61], v[40:41], v[14:17]
	v_pk_mul_f32 v[60:61], s[8:9], v[78:79] op_sel_hi:[0,1]
	v_pk_mul_f32 v[78:79], s[8:9], v[94:95] op_sel_hi:[0,1]
	v_lshl_add_u64 v[34:35], v[62:63], 0, v[64:65]
	s_waitcnt vmcnt(4)
	v_mfma_f32_16x16x16_f16 v[46:49], v[42:43], v[66:67], v[46:49]
	s_nop 1
	v_pk_mul_f32 v[84:85], s[8:9], v[90:91] op_sel_hi:[0,1]
	global_load_dwordx4 v[14:17], v[10:11], off
	s_nop 0
	global_load_dwordx4 v[10:13], v[10:11], off offset:16
	s_nop 0
	global_load_dwordx4 v[6:9], v[2:3], off
	s_nop 0
	global_load_dwordx4 v[2:5], v[2:3], off offset:16
	v_mfma_f32_16x16x16_f16 v[42:45], v[44:45], v[68:69], v[46:49]
	v_lshl_add_u64 v[50:51], v[62:63], 0, v[50:51]
	v_lshl_add_u64 v[58:59], v[62:63], 0, v[58:59]
	v_mfma_f32_16x16x16_f16 v[42:45], v[70:71], v[38:39], v[42:45]
	v_pk_mul_f32 v[70:71], s[8:9], v[88:89] op_sel_hi:[0,1]
	v_mfma_f32_16x16x16_f16 v[38:41], v[72:73], v[40:41], v[42:45]
	s_nop 6
	v_pk_mul_f32 v[72:73], s[8:9], v[38:39] op_sel_hi:[0,1]
	v_and_b32_e32 v38, 0xc0, v0
	v_add_u32_e32 v38, s18, v38
	v_lshl_or_b32 v38, v1, 2, v38
	v_pk_mul_f32 v[66:67], s[8:9], v[40:41] op_sel_hi:[0,1]
	v_or_b32_e32 v41, 1, v38
	v_mov_b32_e32 v39, 0xff7fffff
	v_cmp_gt_i32_e64 s[28:29], s33, v38
	v_cmp_gt_i32_e64 s[30:31], s33, v41
	v_or_b32_e32 v42, 3, v38
	v_cndmask_b32_e64 v40, v39, v60, s[28:29]
	v_cndmask_b32_e64 v41, v39, v61, s[30:31]
	v_max3_f32 v40, v40, s41, v41
	v_or_b32_e32 v41, 2, v38
	v_cmp_gt_i32_e64 s[34:35], s33, v41
	v_cmp_gt_i32_e64 s[36:37], s33, v42
	s_nop 0
	v_cndmask_b32_e64 v41, v39, v82, s[34:35]
	v_cndmask_b32_e64 v42, v39, v83, s[36:37]
	v_max3_f32 v40, v40, v41, v42
	v_or_b32_e32 v41, 16, v38
	v_or_b32_e32 v42, 17, v38
	v_cmp_gt_i32_e64 s[22:23], s33, v41
	v_cmp_gt_i32_e64 s[24:25], s33, v42
	s_nop 0
	v_cndmask_b32_e64 v41, v39, v70, s[22:23]
	v_cndmask_b32_e64 v42, v39, v71, s[24:25]
	v_max3_f32 v40, v40, v41, v42
	v_or_b32_e32 v41, 18, v38
	;; [unrolled: 8-line block ×6, first 2 shown]
	v_or_b32_e32 v38, 51, v38
	v_cmp_gt_i32_e32 vcc, s33, v41
	v_cmp_gt_i32_e64 s[4:5], s33, v38
	s_nop 0
	v_cndmask_b32_e32 v41, v39, v66, vcc
	v_cndmask_b32_e64 v38, v39, v67, s[4:5]
	v_max3_f32 v52, v40, v41, v38
	v_mbcnt_lo_u32_b32 v38, -1, 0
	v_mbcnt_hi_u32_b32 v53, -1, v38
	v_and_b32_e32 v38, 64, v53
	v_add_u32_e32 v54, 64, v38
	v_xor_b32_e32 v38, 32, v53
	v_cmp_lt_i32_e64 s[38:39], v38, v54
	s_nop 1
	v_cndmask_b32_e64 v38, v53, v38, s[38:39]
	v_lshlrev_b32_e32 v89, 2, v38
	ds_bpermute_b32 v55, v89, v52
	global_load_dwordx4 v[46:49], v[34:35], off
	global_load_dwordx4 v[38:41], v[34:35], off offset:16
	v_lshl_add_u64 v[34:35], v[62:63], 0, v[36:37]
	global_load_dwordx4 v[42:45], v[34:35], off
	s_nop 0
	global_load_dwordx4 v[34:37], v[34:35], off offset:16
	s_waitcnt lgkmcnt(0)
	v_max_f32_e32 v55, v55, v55
	v_max_f32_e32 v64, v52, v55
	v_xor_b32_e32 v52, 16, v53
	v_cmp_lt_i32_e64 s[38:39], v52, v54
	s_nop 1
	v_cndmask_b32_e64 v52, v53, v52, s[38:39]
	v_lshlrev_b32_e32 v90, 2, v52
	ds_bpermute_b32 v65, v90, v64
	global_load_dwordx4 v[54:57], v[50:51], off
	s_nop 0
	global_load_dwordx4 v[50:53], v[50:51], off offset:16
	s_waitcnt lgkmcnt(0)
	v_max_f32_e32 v62, v65, v65
	v_max_f32_e32 v88, v64, v62
	v_sub_f32_e32 v60, v60, v88
	v_mul_f32_e32 v60, 0x3fb8aa3b, v60
	v_exp_f32_e32 v68, v60
	v_sub_f32_e32 v60, v61, v88
	v_mul_f32_e32 v60, 0x3fb8aa3b, v60
	v_exp_f32_e32 v69, v60
	global_load_dwordx4 v[62:65], v[58:59], off
	s_nop 0
	global_load_dwordx4 v[58:61], v[58:59], off offset:16
	v_sub_f32_e32 v82, v82, v88
	v_mul_f32_e32 v82, 0x3fb8aa3b, v82
	v_sub_f32_e32 v83, v83, v88
	v_exp_f32_e32 v82, v82
	v_mul_f32_e32 v83, 0x3fb8aa3b, v83
	v_sub_f32_e32 v70, v70, v88
	v_exp_f32_e32 v83, v83
	v_mul_f32_e32 v70, 0x3fb8aa3b, v70
	v_sub_f32_e32 v71, v71, v88
	v_cndmask_b32_e64 v68, 0, v68, s[28:29]
	v_exp_f32_e32 v70, v70
	v_mul_f32_e32 v71, 0x3fb8aa3b, v71
	v_sub_f32_e32 v84, v84, v88
	v_add_f32_e32 v91, 0, v68
	v_cndmask_b32_e64 v69, 0, v69, s[30:31]
	v_exp_f32_e32 v71, v71
	v_mul_f32_e32 v84, 0x3fb8aa3b, v84
	v_sub_f32_e32 v85, v85, v88
	v_add_f32_e32 v91, v91, v69
	;; [unrolled: 5-line block ×10, first 2 shown]
	v_cndmask_b32_e64 v78, 0, v78, s[10:11]
	v_exp_f32_e32 v66, v66
	v_mul_f32_e32 v67, 0x3fb8aa3b, v67
	v_add_f32_e32 v91, v91, v78
	v_cndmask_b32_e64 v79, 0, v79, s[12:13]
	v_exp_f32_e32 v67, v67
	v_add_f32_e32 v91, v91, v79
	v_cndmask_b32_e64 v72, 0, v72, s[6:7]
	v_add_f32_e32 v91, v91, v72
	v_cndmask_b32_e64 v73, 0, v73, s[8:9]
	v_add_f32_e32 v91, v91, v73
	v_cndmask_b32_e32 v66, 0, v66, vcc
	v_add_f32_e32 v91, v91, v66
	v_cndmask_b32_e64 v67, 0, v67, s[4:5]
	v_add_f32_e32 v91, v91, v67
	ds_bpermute_b32 v89, v89, v91
	v_cmp_gt_u32_e32 vcc, 16, v86
	s_waitcnt lgkmcnt(0)
	s_barrier
	v_add_f32_e32 v89, v91, v89
	ds_bpermute_b32 v90, v90, v89
	s_and_saveexec_b64 s[4:5], vcc
	s_cbranch_execz .LBB239_13
; %bb.12:
	s_waitcnt lgkmcnt(0)
	v_add_f32_e32 v86, v89, v90
	v_lshlrev_b32_e32 v87, 2, v87
	ds_write2st64_b32 v87, v88, v86 offset1:1
.LBB239_13:
	s_or_b64 exec, exec, s[4:5]
	v_lshlrev_b32_e32 v87, 2, v76
	s_load_dword s6, s[0:1], 0x94
	s_waitcnt lgkmcnt(0)
	s_barrier
	ds_read2_b32 v[88:89], v87 offset1:16
	ds_read2_b32 v[90:91], v87 offset0:32 offset1:48
	ds_read2_b32 v[92:93], v87 offset0:64 offset1:80
	s_mul_i32 s7, s27, 12
	s_waitcnt lgkmcnt(2)
	v_max3_f32 v86, v88, s41, v89
	s_waitcnt lgkmcnt(1)
	v_max3_f32 v86, v86, v90, v91
	v_sub_f32_e32 v88, v88, v86
	v_mul_f32_e32 v88, 0x3fb8aa3b, v88
	v_exp_f32_e32 v94, v88
	v_sub_f32_e32 v88, v89, v86
	v_mul_f32_e32 v88, 0x3fb8aa3b, v88
	v_exp_f32_e32 v95, v88
	;; [unrolled: 3-line block ×3, first 2 shown]
	ds_read2_b32 v[88:89], v87 offset0:96 offset1:112
	v_sub_f32_e32 v87, v91, v86
	v_mul_f32_e32 v87, 0x3fb8aa3b, v87
	v_exp_f32_e32 v91, v87
	s_waitcnt lgkmcnt(1)
	v_fma_f32 v87, v94, v92, 0
	v_fmac_f32_e32 v87, v95, v93
	s_waitcnt lgkmcnt(0)
	v_fmac_f32_e32 v87, v90, v88
	v_fmac_f32_e32 v87, v91, v89
	v_add_f32_e32 v88, 0x358637bd, v87
	v_div_scale_f32 v89, s[4:5], v88, v88, 1.0
	v_rcp_f32_e32 v92, v89
	s_barrier
	v_fma_f32 v93, -v89, v92, 1.0
	v_fmac_f32_e32 v92, v93, v92
	v_div_scale_f32 v93, vcc, 1.0, v88, 1.0
	v_mul_f32_e32 v75, v93, v92
	v_fma_f32 v1, -v89, v75, v93
	v_fmac_f32_e32 v75, v1, v92
	v_fma_f32 v1, -v89, v75, v93
	v_div_fmas_f32 v1, v1, v92, v75
	v_cmp_eq_u32_e32 vcc, 1, v77
	v_div_fixup_f32 v1, v1, v88, 1.0
	s_nop 0
	v_cndmask_b32_e32 v75, v94, v95, vcc
	v_cmp_eq_u32_e32 vcc, 2, v77
	s_nop 1
	v_cndmask_b32_e32 v75, v75, v90, vcc
	v_cmp_eq_u32_e32 vcc, 3, v77
	v_lshlrev_b32_e32 v77, 11, v77
	s_nop 0
	v_cndmask_b32_e32 v75, v75, v91, vcc
	v_mul_f32_e32 v88, v75, v1
	v_pk_mul_f32 v[82:83], v[88:89], v[82:83] op_sel_hi:[0,1]
	v_pk_mul_f32 v[68:69], v[88:89], v[68:69] op_sel_hi:[0,1]
	v_cvt_f16_f32_e32 v1, v68
	v_cvt_f16_f32_e32 v68, v69
	;; [unrolled: 1-line block ×4, first 2 shown]
	v_bfe_u32 v89, v0, 4, 2
	v_pk_mul_f32 v[82:83], v[88:89], v[84:85] op_sel_hi:[0,1]
	v_pk_mul_f32 v[70:71], v[88:89], v[70:71] op_sel_hi:[0,1]
	v_pack_b32_f16 v91, v69, v75
	v_cvt_f16_f32_e32 v69, v70
	v_cvt_f16_f32_e32 v70, v71
	;; [unrolled: 1-line block ×4, first 2 shown]
	v_pack_b32_f16 v90, v1, v68
	v_lshlrev_b32_e32 v1, 3, v89
	v_lshlrev_b32_e32 v68, 5, v76
	v_or3_b32 v82, v77, v68, v1
	v_pack_b32_f16 v70, v69, v70
	v_pack_b32_f16 v71, v71, v75
	ds_write2st64_b64 v82, v[90:91], v[70:71] offset1:1
	v_pk_mul_f32 v[70:71], v[88:89], v[78:79] op_sel_hi:[0,1]
	v_pk_mul_f32 v[78:79], v[88:89], v[80:81] op_sel_hi:[0,1]
	v_cvt_f16_f32_e32 v75, v70
	v_cvt_f16_f32_e32 v77, v71
	v_pk_mul_f32 v[66:67], v[88:89], v[66:67] op_sel_hi:[0,1]
	v_pk_mul_f32 v[70:71], v[88:89], v[72:73] op_sel_hi:[0,1]
	v_cvt_f16_f32_e32 v1, v78
	v_cvt_f16_f32_e32 v69, v79
	;; [unrolled: 1-line block ×6, first 2 shown]
	v_pack_b32_f16 v66, v1, v69
	v_pack_b32_f16 v67, v75, v77
	v_pack_b32_f16 v70, v70, v71
	v_pack_b32_f16 v71, v72, v73
	v_cmp_gt_u32_e32 vcc, 12, v0
	ds_write2st64_b64 v82, v[66:67], v[70:71] offset0:2 offset1:3
	s_and_saveexec_b64 s[4:5], vcc
	s_cbranch_execz .LBB239_15
; %bb.14:
	s_mov_b32 s41, 0
	v_mov_b32_e32 v77, 0
	v_lshl_add_u64 v[66:67], s[40:41], 0, v[76:77]
	v_mov_b32_e32 v1, s7
	v_mad_u64_u32 v[66:67], s[12:13], s2, v1, v[66:67]
	s_mul_i32 s3, s3, s7
	v_mov_b32_e32 v70, s26
	v_mov_b32_e32 v71, v77
	s_load_dwordx4 s[8:11], s[0:1], 0x58
	v_add_u32_e32 v1, s3, v67
	v_mad_u64_u32 v[66:67], s[12:13], v66, s6, v[70:71]
	v_mov_b32_e32 v70, v67
	v_mad_u64_u32 v[70:71], s[12:13], v1, s6, v[70:71]
	v_mov_b32_e32 v67, v70
	v_lshlrev_b64 v[66:67], 2, v[66:67]
	s_waitcnt lgkmcnt(0)
	v_lshl_add_u64 v[70:71], s[10:11], 0, v[66:67]
	v_lshl_add_u64 v[66:67], s[8:9], 0, v[66:67]
	global_store_dword v[70:71], v86, off
	global_store_dword v[66:67], v87, off
.LBB239_15:
	s_or_b64 exec, exec, s[4:5]
	v_lshl_or_b32 v1, v89, 9, v68
	s_waitcnt lgkmcnt(0)
	s_barrier
	ds_read_b128 v[70:73], v1
	ds_read_b128 v[66:69], v1 offset:16
	s_waitcnt vmcnt(15) lgkmcnt(1)
	v_mfma_f32_16x16x16_f16 v[78:81], v[30:31], v[70:71], 0
	s_mov_b32 s3, 0
	v_cmp_gt_u32_e32 vcc, 64, v0
	v_mfma_f32_16x16x16_f16 v[30:33], v[32:33], v[72:73], v[78:81]
	s_waitcnt vmcnt(14) lgkmcnt(0)
	v_mfma_f32_16x16x16_f16 v[30:33], v[26:27], v[66:67], v[30:33]
	v_mfma_f32_16x16x16_f16 v[26:29], v[28:29], v[68:69], v[30:33]
	s_nop 5
	ds_read_b128 v[30:33], v1 offset:2048
	ds_read_b128 v[78:81], v1 offset:2064
	s_waitcnt vmcnt(13) lgkmcnt(1)
	v_mfma_f32_16x16x16_f16 v[26:29], v[22:23], v[30:31], v[26:29]
	v_mfma_f32_16x16x16_f16 v[22:25], v[24:25], v[32:33], v[26:29]
	s_waitcnt vmcnt(12) lgkmcnt(0)
	v_mfma_f32_16x16x16_f16 v[22:25], v[18:19], v[78:79], v[22:25]
	v_mfma_f32_16x16x16_f16 v[18:21], v[20:21], v[80:81], v[22:25]
	s_nop 5
	ds_read_b128 v[22:25], v1 offset:4096
	ds_read_b128 v[26:29], v1 offset:4112
	s_waitcnt vmcnt(11) lgkmcnt(1)
	v_mfma_f32_16x16x16_f16 v[18:21], v[14:15], v[22:23], v[18:21]
	v_mfma_f32_16x16x16_f16 v[14:17], v[16:17], v[24:25], v[18:21]
	s_waitcnt vmcnt(10) lgkmcnt(0)
	v_mfma_f32_16x16x16_f16 v[14:17], v[10:11], v[26:27], v[14:17]
	v_mfma_f32_16x16x16_f16 v[10:13], v[12:13], v[28:29], v[14:17]
	s_nop 5
	ds_read_b128 v[14:17], v1 offset:6144
	ds_read_b128 v[18:21], v1 offset:6160
	s_waitcnt lgkmcnt(0)
	s_barrier
	s_waitcnt vmcnt(9)
	v_mfma_f32_16x16x16_f16 v[10:13], v[6:7], v[14:15], v[10:13]
	v_mfma_f32_16x16x16_f16 v[6:9], v[8:9], v[16:17], v[10:13]
	s_waitcnt vmcnt(8)
	v_mfma_f32_16x16x16_f16 v[6:9], v[2:3], v[18:19], v[6:9]
	v_mfma_f32_16x16x16_f16 v[2:5], v[4:5], v[20:21], v[6:9]
	;; [unrolled: 3-line block ×3, first 2 shown]
	s_nop 3
	v_cvt_f16_f32_e32 v1, v2
	v_cvt_f16_f32_e32 v10, v3
	;; [unrolled: 1-line block ×3, first 2 shown]
	s_waitcnt vmcnt(6)
	v_mfma_f32_16x16x16_f16 v[6:9], v[38:39], v[66:67], v[6:9]
	v_cvt_f16_f32_e32 v12, v5
	v_mfma_f32_16x16x16_f16 v[6:9], v[40:41], v[68:69], v[6:9]
	s_waitcnt vmcnt(5)
	v_mfma_f32_16x16x16_f16 v[6:9], v[42:43], v[30:31], v[6:9]
	v_mfma_f32_16x16x16_f16 v[6:9], v[44:45], v[32:33], v[6:9]
	s_waitcnt vmcnt(4)
	v_mfma_f32_16x16x16_f16 v[6:9], v[34:35], v[78:79], v[6:9]
	;; [unrolled: 3-line block ×6, first 2 shown]
	v_mfma_f32_16x16x16_f16 v[2:5], v[60:61], v[20:21], v[6:9]
	s_nop 6
	v_cvt_f16_f32_e32 v6, v2
	v_cvt_f16_f32_e32 v7, v3
	;; [unrolled: 1-line block ×4, first 2 shown]
	v_pack_b32_f16 v2, v1, v10
	v_pack_b32_f16 v3, v11, v12
	;; [unrolled: 1-line block ×4, first 2 shown]
	ds_write2st64_b64 v82, v[2:3], v[4:5] offset1:1
	s_waitcnt lgkmcnt(0)
	s_barrier
	s_and_saveexec_b64 s[4:5], vcc
	s_cbranch_execz .LBB239_17
; %bb.16:
	s_load_dwordx2 s[0:1], s[0:1], 0x68
	s_lshl_b32 s6, s6, 7
	s_mul_i32 s2, s7, s2
	s_mul_hi_u32 s5, s2, s6
	s_mul_i32 s4, s2, s6
	s_lshl_b64 s[4:5], s[4:5], 1
	v_lshlrev_b32_e32 v3, 6, v76
	s_waitcnt lgkmcnt(0)
	s_add_u32 s4, s0, s4
	v_lshlrev_b32_e32 v2, 4, v0
	v_lshl_or_b32 v0, v0, 10, v3
	s_addc_u32 s5, s1, s5
	s_lshl_b32 s2, s26, 7
	v_lshlrev_b32_e32 v1, 5, v89
	v_and_b32_e32 v2, 16, v2
	v_and_b32_e32 v0, 0x1a00, v0
	s_lshl_b64 s[0:1], s[2:3], 1
	v_or3_b32 v0, v0, v1, v2
	s_add_u32 s0, s4, s0
	ds_read_b128 v[2:5], v0
	ds_read_b128 v[6:9], v0 offset:128
	ds_read_b128 v[10:13], v0 offset:256
	s_addc_u32 s1, s5, s1
	v_or_b32_e32 v16, s40, v89
	v_mov_b32_e32 v75, 0
	v_lshl_add_u64 v[0:1], s[0:1], 0, v[74:75]
	v_mad_u64_u32 v[14:15], s[0:1], v16, s6, 0
	v_lshl_add_u64 v[14:15], v[14:15], 1, v[0:1]
	s_waitcnt lgkmcnt(2)
	global_store_dwordx4 v[14:15], v[2:5], off
	s_nop 1
	v_add_u32_e32 v2, 4, v16
	v_mad_u64_u32 v[2:3], s[0:1], v2, s6, 0
	v_lshl_add_u64 v[2:3], v[2:3], 1, v[0:1]
	s_waitcnt lgkmcnt(1)
	global_store_dwordx4 v[2:3], v[6:9], off
	v_add_u32_e32 v2, 8, v16
	v_mad_u64_u32 v[2:3], s[0:1], v2, s6, 0
	v_lshl_add_u64 v[0:1], v[2:3], 1, v[0:1]
	s_waitcnt lgkmcnt(0)
	global_store_dwordx4 v[0:1], v[10:13], off
.LBB239_17:
	s_endpgm
	.section	.rodata,"a",@progbits
	.p2align	6, 0x0
	.amdhsa_kernel _Z39paged_attention_ll4mi_QKV_mfma16_kernelIDF16_DF16_LN4vllm18Fp8KVCacheDataTypeE0EhLi16ELi128ELi256ELb0ELi12EEvPKT_PKT0_S7_ifPKiS9_S9_iPKfiiiPfSC_PS2_PT2_iSB_SB_
		.amdhsa_group_segment_fixed_size 8192
		.amdhsa_private_segment_fixed_size 0
		.amdhsa_kernarg_size 400
		.amdhsa_user_sgpr_count 2
		.amdhsa_user_sgpr_dispatch_ptr 0
		.amdhsa_user_sgpr_queue_ptr 0
		.amdhsa_user_sgpr_kernarg_segment_ptr 1
		.amdhsa_user_sgpr_dispatch_id 0
		.amdhsa_user_sgpr_kernarg_preload_length 0
		.amdhsa_user_sgpr_kernarg_preload_offset 0
		.amdhsa_user_sgpr_private_segment_size 0
		.amdhsa_uses_dynamic_stack 0
		.amdhsa_enable_private_segment 0
		.amdhsa_system_sgpr_workgroup_id_x 1
		.amdhsa_system_sgpr_workgroup_id_y 1
		.amdhsa_system_sgpr_workgroup_id_z 1
		.amdhsa_system_sgpr_workgroup_info 0
		.amdhsa_system_vgpr_workitem_id 0
		.amdhsa_next_free_vgpr 96
		.amdhsa_next_free_sgpr 42
		.amdhsa_accum_offset 96
		.amdhsa_reserve_vcc 1
		.amdhsa_float_round_mode_32 0
		.amdhsa_float_round_mode_16_64 0
		.amdhsa_float_denorm_mode_32 3
		.amdhsa_float_denorm_mode_16_64 3
		.amdhsa_dx10_clamp 1
		.amdhsa_ieee_mode 1
		.amdhsa_fp16_overflow 0
		.amdhsa_tg_split 0
		.amdhsa_exception_fp_ieee_invalid_op 0
		.amdhsa_exception_fp_denorm_src 0
		.amdhsa_exception_fp_ieee_div_zero 0
		.amdhsa_exception_fp_ieee_overflow 0
		.amdhsa_exception_fp_ieee_underflow 0
		.amdhsa_exception_fp_ieee_inexact 0
		.amdhsa_exception_int_div_zero 0
	.end_amdhsa_kernel
	.section	.text._Z39paged_attention_ll4mi_QKV_mfma16_kernelIDF16_DF16_LN4vllm18Fp8KVCacheDataTypeE0EhLi16ELi128ELi256ELb0ELi12EEvPKT_PKT0_S7_ifPKiS9_S9_iPKfiiiPfSC_PS2_PT2_iSB_SB_,"axG",@progbits,_Z39paged_attention_ll4mi_QKV_mfma16_kernelIDF16_DF16_LN4vllm18Fp8KVCacheDataTypeE0EhLi16ELi128ELi256ELb0ELi12EEvPKT_PKT0_S7_ifPKiS9_S9_iPKfiiiPfSC_PS2_PT2_iSB_SB_,comdat
.Lfunc_end239:
	.size	_Z39paged_attention_ll4mi_QKV_mfma16_kernelIDF16_DF16_LN4vllm18Fp8KVCacheDataTypeE0EhLi16ELi128ELi256ELb0ELi12EEvPKT_PKT0_S7_ifPKiS9_S9_iPKfiiiPfSC_PS2_PT2_iSB_SB_, .Lfunc_end239-_Z39paged_attention_ll4mi_QKV_mfma16_kernelIDF16_DF16_LN4vllm18Fp8KVCacheDataTypeE0EhLi16ELi128ELi256ELb0ELi12EEvPKT_PKT0_S7_ifPKiS9_S9_iPKfiiiPfSC_PS2_PT2_iSB_SB_
                                        ; -- End function
	.section	.AMDGPU.csdata,"",@progbits
; Kernel info:
; codeLenInByte = 4424
; NumSgprs: 48
; NumVgprs: 96
; NumAgprs: 0
; TotalNumVgprs: 96
; ScratchSize: 0
; MemoryBound: 0
; FloatMode: 240
; IeeeMode: 1
; LDSByteSize: 8192 bytes/workgroup (compile time only)
; SGPRBlocks: 5
; VGPRBlocks: 11
; NumSGPRsForWavesPerEU: 48
; NumVGPRsForWavesPerEU: 96
; AccumOffset: 96
; Occupancy: 5
; WaveLimiterHint : 1
; COMPUTE_PGM_RSRC2:SCRATCH_EN: 0
; COMPUTE_PGM_RSRC2:USER_SGPR: 2
; COMPUTE_PGM_RSRC2:TRAP_HANDLER: 0
; COMPUTE_PGM_RSRC2:TGID_X_EN: 1
; COMPUTE_PGM_RSRC2:TGID_Y_EN: 1
; COMPUTE_PGM_RSRC2:TGID_Z_EN: 1
; COMPUTE_PGM_RSRC2:TIDIG_COMP_CNT: 0
; COMPUTE_PGM_RSRC3_GFX90A:ACCUM_OFFSET: 23
; COMPUTE_PGM_RSRC3_GFX90A:TG_SPLIT: 0
	.section	.text._Z39paged_attention_ll4mi_QKV_mfma16_kernelIDF16_DF16_LN4vllm18Fp8KVCacheDataTypeE0EhLi16ELi128ELi256ELb0ELi13EEvPKT_PKT0_S7_ifPKiS9_S9_iPKfiiiPfSC_PS2_PT2_iSB_SB_,"axG",@progbits,_Z39paged_attention_ll4mi_QKV_mfma16_kernelIDF16_DF16_LN4vllm18Fp8KVCacheDataTypeE0EhLi16ELi128ELi256ELb0ELi13EEvPKT_PKT0_S7_ifPKiS9_S9_iPKfiiiPfSC_PS2_PT2_iSB_SB_,comdat
	.protected	_Z39paged_attention_ll4mi_QKV_mfma16_kernelIDF16_DF16_LN4vllm18Fp8KVCacheDataTypeE0EhLi16ELi128ELi256ELb0ELi13EEvPKT_PKT0_S7_ifPKiS9_S9_iPKfiiiPfSC_PS2_PT2_iSB_SB_ ; -- Begin function _Z39paged_attention_ll4mi_QKV_mfma16_kernelIDF16_DF16_LN4vllm18Fp8KVCacheDataTypeE0EhLi16ELi128ELi256ELb0ELi13EEvPKT_PKT0_S7_ifPKiS9_S9_iPKfiiiPfSC_PS2_PT2_iSB_SB_
	.globl	_Z39paged_attention_ll4mi_QKV_mfma16_kernelIDF16_DF16_LN4vllm18Fp8KVCacheDataTypeE0EhLi16ELi128ELi256ELb0ELi13EEvPKT_PKT0_S7_ifPKiS9_S9_iPKfiiiPfSC_PS2_PT2_iSB_SB_
	.p2align	8
	.type	_Z39paged_attention_ll4mi_QKV_mfma16_kernelIDF16_DF16_LN4vllm18Fp8KVCacheDataTypeE0EhLi16ELi128ELi256ELb0ELi13EEvPKT_PKT0_S7_ifPKiS9_S9_iPKfiiiPfSC_PS2_PT2_iSB_SB_,@function
_Z39paged_attention_ll4mi_QKV_mfma16_kernelIDF16_DF16_LN4vllm18Fp8KVCacheDataTypeE0EhLi16ELi128ELi256ELb0ELi13EEvPKT_PKT0_S7_ifPKiS9_S9_iPKfiiiPfSC_PS2_PT2_iSB_SB_: ; @_Z39paged_attention_ll4mi_QKV_mfma16_kernelIDF16_DF16_LN4vllm18Fp8KVCacheDataTypeE0EhLi16ELi128ELi256ELb0ELi13EEvPKT_PKT0_S7_ifPKiS9_S9_iPKfiiiPfSC_PS2_PT2_iSB_SB_
; %bb.0:
	s_load_dwordx2 s[8:9], s[0:1], 0x30
	s_mov_b32 s26, s3
	s_mov_b64 s[6:7], 0
	s_waitcnt lgkmcnt(0)
	s_cmp_lg_u64 s[8:9], 0
	s_cselect_b64 s[10:11], -1, 0
	s_and_b64 vcc, exec, s[10:11]
	s_cbranch_vccz .LBB240_7
; %bb.1:
	s_add_i32 s12, s2, 1
	s_mov_b32 s13, 0
	s_lshl_b64 s[14:15], s[12:13], 2
	s_add_u32 s14, s8, s14
	s_mov_b32 s3, s13
	s_addc_u32 s15, s9, s15
	s_lshl_b64 s[12:13], s[2:3], 2
	s_add_u32 s12, s8, s12
	s_addc_u32 s13, s9, s13
	s_load_dword s5, s[14:15], 0x0
	s_load_dword s16, s[12:13], 0x0
	s_waitcnt lgkmcnt(0)
	s_sub_i32 s5, s5, s16
	s_cmp_eq_u32 s5, 1
	s_cselect_b64 s[12:13], -1, 0
	s_andn2_b64 vcc, exec, s[6:7]
	s_cbranch_vccnz .LBB240_3
.LBB240_2:
	s_mov_b32 s3, 0
	s_mov_b64 s[12:13], -1
.LBB240_3:
	s_andn2_b64 vcc, exec, s[12:13]
	s_cbranch_vccnz .LBB240_18
; %bb.4:
	s_load_dwordx2 s[6:7], s[0:1], 0x28
	s_lshl_b64 s[16:17], s[2:3], 2
	s_waitcnt lgkmcnt(0)
	s_add_u32 s6, s6, s16
	s_addc_u32 s7, s7, s17
	s_load_dword s33, s[6:7], 0x0
	s_lshl_b32 s18, s26, 8
	s_waitcnt lgkmcnt(0)
	s_cmp_ge_i32 s18, s33
	s_cbranch_scc1 .LBB240_18
; %bb.5:
	s_load_dwordx2 s[6:7], s[0:1], 0x20
	s_load_dword s5, s[0:1], 0x38
	s_add_i32 s12, s33, 15
	s_ashr_i32 s13, s12, 31
	v_and_b32_e32 v1, 0xcf, v0
	s_lshr_b32 s13, s13, 28
	v_add_u32_e32 v1, s18, v1
	s_add_i32 s12, s12, s13
	v_ashrrev_i32_e32 v2, 31, v1
	s_ashr_i32 s19, s12, 4
	v_lshrrev_b32_e32 v4, 28, v2
	s_add_i32 s19, s19, -1
	s_waitcnt lgkmcnt(0)
	s_mul_i32 s12, s2, s5
	s_mov_b32 s13, 0
	v_add_u32_e32 v2, v1, v4
	s_lshl_b64 s[12:13], s[12:13], 2
	v_ashrrev_i32_e32 v2, 4, v2
	v_mov_b32_e32 v5, s19
	v_cmp_gt_i32_e32 vcc, s33, v1
	s_add_u32 s6, s6, s12
	s_addc_u32 s7, s7, s13
	v_cndmask_b32_e32 v2, v5, v2, vcc
	v_ashrrev_i32_e32 v3, 31, v2
	v_lshl_add_u64 v[6:7], v[2:3], 2, s[6:7]
	v_or_b32_e32 v2, 16, v1
	v_add_u32_e32 v3, v2, v4
	v_ashrrev_i32_e32 v3, 4, v3
	v_cmp_gt_i32_e32 vcc, s33, v2
	s_load_dwordx4 s[12:15], s[0:1], 0x8
	s_nop 0
	v_cndmask_b32_e32 v2, v5, v3, vcc
	v_ashrrev_i32_e32 v3, 31, v2
	v_lshl_add_u64 v[8:9], v[2:3], 2, s[6:7]
	v_or_b32_e32 v2, 32, v1
	v_add_u32_e32 v3, v2, v4
	v_ashrrev_i32_e32 v3, 4, v3
	v_cmp_gt_i32_e32 vcc, s33, v2
	v_or_b32_e32 v1, 48, v1
	s_nop 0
	v_cndmask_b32_e32 v2, v5, v3, vcc
	v_ashrrev_i32_e32 v3, 31, v2
	v_lshl_add_u64 v[10:11], v[2:3], 2, s[6:7]
	v_add_u32_e32 v2, v1, v4
	v_ashrrev_i32_e32 v2, 4, v2
	v_cmp_gt_i32_e32 vcc, s33, v1
	s_nop 1
	v_cndmask_b32_e32 v2, v5, v2, vcc
	v_ashrrev_i32_e32 v3, 31, v2
	v_lshl_add_u64 v[12:13], v[2:3], 2, s[6:7]
	global_load_dword v4, v[6:7], off
	global_load_dword v3, v[8:9], off
	;; [unrolled: 1-line block ×4, first 2 shown]
	s_andn2_b64 vcc, exec, s[10:11]
	s_cbranch_vccnz .LBB240_8
; %bb.6:
	s_add_u32 s8, s8, s16
	s_addc_u32 s9, s9, s17
	s_load_dword s5, s[8:9], 0x0
	s_branch .LBB240_9
.LBB240_7:
	s_mov_b64 s[12:13], 0
	s_branch .LBB240_2
.LBB240_8:
	s_mov_b32 s5, s2
.LBB240_9:
	s_load_dwordx4 s[8:11], s[0:1], 0x48
	v_lshrrev_b32_e32 v77, 6, v0
	v_bfe_u32 v86, v0, 4, 2
	v_and_b32_e32 v76, 15, v0
	v_lshl_or_b32 v1, v77, 2, v86
	v_lshlrev_b32_e32 v5, 3, v76
	v_and_b32_e32 v87, 63, v0
	s_mul_i32 s40, s4, 13
	v_cmp_gt_u32_e32 vcc, 13, v1
	v_lshlrev_b32_e32 v74, 1, v5
	s_and_saveexec_b64 s[16:17], vcc
	s_cbranch_execz .LBB240_11
; %bb.10:
	s_load_dwordx2 s[20:21], s[0:1], 0x0
	s_waitcnt lgkmcnt(0)
	s_ashr_i32 s11, s8, 31
	s_mul_hi_u32 s22, s5, s8
	s_mul_i32 s11, s5, s11
	s_add_i32 s23, s22, s11
	s_mul_i32 s22, s5, s8
	s_lshl_b64 s[22:23], s[22:23], 1
	s_add_u32 s20, s20, s22
	v_add_lshl_u32 v6, v1, s40, 7
	s_addc_u32 s21, s21, s23
	v_ashrrev_i32_e32 v7, 31, v6
	v_lshl_add_u64 v[6:7], v[6:7], 1, s[20:21]
	v_mov_b32_e32 v75, 0
	v_lshl_add_u64 v[6:7], v[6:7], 0, v[74:75]
	global_load_dwordx4 v[6:9], v[6:7], off
	v_and_b32_e32 v5, 3, v0
	v_lshlrev_b32_e32 v10, 9, v76
	v_lshlrev_b32_e32 v1, 5, v1
	;; [unrolled: 1-line block ×3, first 2 shown]
	v_and_b32_e32 v10, 0x1800, v10
	v_or3_b32 v1, v10, v5, v1
	s_waitcnt vmcnt(0)
	ds_write_b128 v1, v[6:9]
.LBB240_11:
	s_or_b64 exec, exec, s[16:17]
	s_waitcnt lgkmcnt(0)
	s_mul_i32 s4, s4, s10
	s_mov_b32 s5, 0
	s_lshl_b64 s[4:5], s[4:5], 1
	s_add_u32 s10, s12, s4
	v_lshlrev_b32_e32 v1, 4, v0
	s_addc_u32 s11, s13, s5
	v_and_b32_e32 v34, 0xf0, v1
	v_mov_b32_e32 v35, 0
	v_lshl_add_u64 v[30:31], s[10:11], 0, v[34:35]
	s_waitcnt vmcnt(3)
	v_mad_i64_i32 v[4:5], s[10:11], v4, s9, 0
	v_lshl_add_u64 v[4:5], v[4:5], 1, v[30:31]
	v_and_b32_e32 v34, 0x300, v1
	v_lshl_add_u64 v[32:33], v[4:5], 0, v[34:35]
	s_load_dword s27, s[0:1], 0x98
	s_load_dword s8, s[0:1], 0x1c
	s_waitcnt lgkmcnt(0)
	s_barrier
	global_load_dwordx4 v[6:9], v[32:33], off
	global_load_dwordx4 v[18:21], v[32:33], off offset:1024
	s_waitcnt vmcnt(4)
	v_mad_i64_i32 v[4:5], s[10:11], v3, s9, 0
	s_waitcnt vmcnt(3)
	v_mad_i64_i32 v[2:3], s[10:11], v2, s9, 0
	v_lshl_add_u64 v[4:5], v[4:5], 1, v[30:31]
	v_lshl_add_u64 v[2:3], v[2:3], 1, v[30:31]
	;; [unrolled: 1-line block ×4, first 2 shown]
	global_load_dwordx4 v[14:17], v[36:37], off
	global_load_dwordx4 v[22:25], v[36:37], off offset:1024
	global_load_dwordx4 v[26:29], v[38:39], off
	global_load_dwordx4 v[46:49], v[38:39], off offset:1024
	v_add_u32_e32 v2, -13, v76
	v_cmp_gt_u32_e32 vcc, 13, v76
	global_load_dwordx4 v[54:57], v[32:33], off offset:2048
	global_load_dwordx4 v[62:65], v[36:37], off offset:2048
	v_cndmask_b32_e32 v2, v2, v76, vcc
	v_lshlrev_b32_e32 v2, 5, v2
	v_lshl_add_u32 v41, v86, 9, v2
	ds_read_b128 v[10:13], v41
	ds_read_b128 v[2:5], v41 offset:2048
	v_mov_b32_e32 v70, s19
	s_add_u32 s4, s14, s4
	s_addc_u32 s5, s15, s5
	s_mov_b32 s41, 0xff7fffff
	s_waitcnt vmcnt(7) lgkmcnt(1)
	v_mfma_f32_16x16x16_f16 v[42:45], v[6:7], v[10:11], 0
	v_mfma_f32_16x16x16_f16 v[6:9], v[8:9], v[12:13], v[42:45]
	s_nop 5
	global_load_dwordx4 v[42:45], v[38:39], off offset:2048
	s_waitcnt vmcnt(6)
	v_mfma_f32_16x16x16_f16 v[50:53], v[14:15], v[10:11], 0
	s_waitcnt vmcnt(4)
	v_mfma_f32_16x16x16_f16 v[58:61], v[26:27], v[10:11], 0
	v_mfma_f32_16x16x16_f16 v[14:17], v[16:17], v[12:13], v[50:53]
	;; [unrolled: 1-line block ×3, first 2 shown]
	s_nop 2
	global_load_dwordx4 v[50:53], v[32:33], off offset:3072
	v_mad_i64_i32 v[32:33], s[10:11], v40, s9, 0
	s_waitcnt lgkmcnt(0)
	v_mfma_f32_16x16x16_f16 v[6:9], v[18:19], v[2:3], v[6:9]
	v_and_or_b32 v40, v0, 48, s18
	v_ashrrev_i32_e32 v58, 4, v40
	v_cmp_gt_i32_e32 vcc, s33, v40
	v_mfma_f32_16x16x16_f16 v[14:17], v[22:23], v[2:3], v[14:17]
	v_or_b32_e32 v66, 64, v40
	v_cndmask_b32_e32 v22, v70, v58, vcc
	v_ashrrev_i32_e32 v23, 31, v22
	s_waitcnt vmcnt(4)
	v_mfma_f32_16x16x16_f16 v[26:29], v[46:47], v[2:3], v[26:29]
	v_or_b32_e32 v71, 0x80, v40
	v_or_b32_e32 v72, 0xc0, v40
	v_ashrrev_i32_e32 v40, 4, v66
	v_mfma_f32_16x16x16_f16 v[6:9], v[20:21], v[4:5], v[6:9]
	global_load_dwordx4 v[18:21], v[38:39], off offset:3072
	v_cmp_gt_i32_e32 vcc, s33, v66
	v_lshl_add_u64 v[22:23], v[22:23], 2, s[6:7]
	global_load_dwordx4 v[58:61], v[36:37], off offset:3072
	v_cndmask_b32_e32 v36, v70, v40, vcc
	v_mfma_f32_16x16x16_f16 v[14:17], v[24:25], v[4:5], v[14:17]
	global_load_dword v78, v[22:23], off
	ds_read_b128 v[66:69], v41 offset:4096
	v_ashrrev_i32_e32 v37, 31, v36
	v_mfma_f32_16x16x16_f16 v[22:25], v[48:49], v[4:5], v[26:29]
	v_ashrrev_i32_e32 v73, 4, v71
	v_cmp_gt_i32_e32 vcc, s33, v71
	v_ashrrev_i32_e32 v75, 4, v72
	v_lshl_add_u64 v[26:27], v[32:33], 1, v[30:31]
	v_lshl_add_u64 v[26:27], v[26:27], 0, v[34:35]
	;; [unrolled: 1-line block ×3, first 2 shown]
	global_load_dwordx4 v[46:49], v[26:27], off
	global_load_dword v36, v[28:29], off
	s_waitcnt vmcnt(8) lgkmcnt(0)
	v_mfma_f32_16x16x16_f16 v[6:9], v[54:55], v[66:67], v[6:9]
	v_cndmask_b32_e32 v28, v70, v73, vcc
	v_ashrrev_i32_e32 v29, 31, v28
	v_lshl_add_u64 v[28:29], v[28:29], 2, s[6:7]
	v_mfma_f32_16x16x16_f16 v[6:9], v[56:57], v[68:69], v[6:9]
	global_load_dwordx4 v[54:57], v[26:27], off offset:1024
	v_cmp_gt_i32_e32 vcc, s33, v72
	global_load_dword v82, v[28:29], off
	ds_read_b128 v[38:41], v41 offset:6144
	v_cndmask_b32_e32 v28, v70, v75, vcc
	v_ashrrev_i32_e32 v29, 31, v28
	v_lshl_add_u64 v[28:29], v[28:29], 2, s[6:7]
	global_load_dword v83, v[28:29], off
	s_waitcnt vmcnt(10)
	v_mfma_f32_16x16x16_f16 v[14:17], v[62:63], v[66:67], v[14:17]
	v_lshl_or_b32 v75, v77, 4, v76
	v_lshlrev_b32_e32 v34, 5, v75
	v_lshl_add_u64 v[62:63], s[4:5], 0, v[34:35]
	v_mfma_f32_16x16x16_f16 v[14:17], v[64:65], v[68:69], v[14:17]
	v_or_b32_e32 v34, 0x800, v34
	global_load_dwordx4 v[70:73], v[26:27], off offset:3072
	s_waitcnt vmcnt(10)
	v_mfma_f32_16x16x16_f16 v[22:25], v[42:43], v[66:67], v[22:25]
	v_mfma_f32_16x16x16_f16 v[22:25], v[44:45], v[68:69], v[22:25]
	global_load_dwordx4 v[42:45], v[26:27], off offset:2048
	s_waitcnt vmcnt(10) lgkmcnt(0)
	v_mfma_f32_16x16x16_f16 v[6:9], v[50:51], v[38:39], v[6:9]
	s_waitcnt vmcnt(9)
	v_mfma_f32_16x16x16_f16 v[22:25], v[18:19], v[38:39], v[22:25]
	s_waitcnt vmcnt(7)
	v_mad_i64_i32 v[18:19], s[6:7], v78, s9, 0
	v_lshlrev_b64 v[64:65], 1, v[18:19]
	v_mfma_f32_16x16x16_f16 v[78:81], v[52:53], v[40:41], v[6:9]
	s_nop 2
	v_lshl_add_u64 v[6:7], v[62:63], 0, v[64:65]
	global_load_dwordx4 v[30:33], v[6:7], off
	global_load_dwordx4 v[26:29], v[6:7], off offset:16
	v_mfma_f32_16x16x16_f16 v[92:95], v[20:21], v[40:41], v[22:25]
	s_waitcnt vmcnt(7)
	v_mad_i64_i32 v[6:7], s[6:7], v36, s9, 0
	v_lshlrev_b64 v[36:37], 1, v[6:7]
	v_lshl_add_u64 v[6:7], v[62:63], 0, v[36:37]
	global_load_dwordx4 v[22:25], v[6:7], off
	global_load_dwordx4 v[18:21], v[6:7], off offset:16
	v_mfma_f32_16x16x16_f16 v[6:9], v[46:47], v[10:11], 0
	s_waitcnt vmcnt(7)
	v_mad_i64_i32 v[10:11], s[6:7], v82, s9, 0
	v_mfma_f32_16x16x16_f16 v[6:9], v[48:49], v[12:13], v[6:9]
	v_lshlrev_b64 v[50:51], 1, v[10:11]
	v_lshl_add_u64 v[10:11], v[62:63], 0, v[50:51]
	v_mfma_f32_16x16x16_f16 v[6:9], v[54:55], v[2:3], v[6:9]
	s_waitcnt vmcnt(6)
	v_mad_i64_i32 v[2:3], s[6:7], v83, s9, 0
	v_pk_mul_f32 v[82:83], s[8:9], v[80:81] op_sel_hi:[0,1]
	v_mfma_f32_16x16x16_f16 v[46:49], v[56:57], v[4:5], v[6:9]
	v_pk_mul_f32 v[80:81], s[8:9], v[92:93] op_sel_hi:[0,1]
	v_mfma_f32_16x16x16_f16 v[14:17], v[58:59], v[38:39], v[14:17]
	v_lshlrev_b64 v[58:59], 1, v[2:3]
	v_lshl_add_u64 v[2:3], v[62:63], 0, v[58:59]
	v_lshl_add_u64 v[62:63], s[4:5], 0, v[34:35]
	v_mfma_f32_16x16x16_f16 v[88:91], v[60:61], v[40:41], v[14:17]
	v_pk_mul_f32 v[60:61], s[8:9], v[78:79] op_sel_hi:[0,1]
	v_pk_mul_f32 v[78:79], s[8:9], v[94:95] op_sel_hi:[0,1]
	v_lshl_add_u64 v[34:35], v[62:63], 0, v[64:65]
	s_waitcnt vmcnt(4)
	v_mfma_f32_16x16x16_f16 v[46:49], v[42:43], v[66:67], v[46:49]
	s_nop 1
	v_pk_mul_f32 v[84:85], s[8:9], v[90:91] op_sel_hi:[0,1]
	global_load_dwordx4 v[14:17], v[10:11], off
	s_nop 0
	global_load_dwordx4 v[10:13], v[10:11], off offset:16
	s_nop 0
	global_load_dwordx4 v[6:9], v[2:3], off
	s_nop 0
	global_load_dwordx4 v[2:5], v[2:3], off offset:16
	v_mfma_f32_16x16x16_f16 v[42:45], v[44:45], v[68:69], v[46:49]
	v_lshl_add_u64 v[50:51], v[62:63], 0, v[50:51]
	v_lshl_add_u64 v[58:59], v[62:63], 0, v[58:59]
	v_mfma_f32_16x16x16_f16 v[42:45], v[70:71], v[38:39], v[42:45]
	v_pk_mul_f32 v[70:71], s[8:9], v[88:89] op_sel_hi:[0,1]
	v_mfma_f32_16x16x16_f16 v[38:41], v[72:73], v[40:41], v[42:45]
	s_nop 6
	v_pk_mul_f32 v[72:73], s[8:9], v[38:39] op_sel_hi:[0,1]
	v_and_b32_e32 v38, 0xc0, v0
	v_add_u32_e32 v38, s18, v38
	v_lshl_or_b32 v38, v86, 2, v38
	v_pk_mul_f32 v[66:67], s[8:9], v[40:41] op_sel_hi:[0,1]
	v_or_b32_e32 v41, 1, v38
	v_mov_b32_e32 v39, 0xff7fffff
	v_cmp_gt_i32_e64 s[28:29], s33, v38
	v_cmp_gt_i32_e64 s[30:31], s33, v41
	v_or_b32_e32 v42, 3, v38
	v_cndmask_b32_e64 v40, v39, v60, s[28:29]
	v_cndmask_b32_e64 v41, v39, v61, s[30:31]
	v_max3_f32 v40, v40, s41, v41
	v_or_b32_e32 v41, 2, v38
	v_cmp_gt_i32_e64 s[34:35], s33, v41
	v_cmp_gt_i32_e64 s[36:37], s33, v42
	s_nop 0
	v_cndmask_b32_e64 v41, v39, v82, s[34:35]
	v_cndmask_b32_e64 v42, v39, v83, s[36:37]
	v_max3_f32 v40, v40, v41, v42
	v_or_b32_e32 v41, 16, v38
	v_or_b32_e32 v42, 17, v38
	v_cmp_gt_i32_e64 s[22:23], s33, v41
	v_cmp_gt_i32_e64 s[24:25], s33, v42
	s_nop 0
	v_cndmask_b32_e64 v41, v39, v70, s[22:23]
	v_cndmask_b32_e64 v42, v39, v71, s[24:25]
	v_max3_f32 v40, v40, v41, v42
	v_or_b32_e32 v41, 18, v38
	;; [unrolled: 8-line block ×6, first 2 shown]
	v_or_b32_e32 v38, 51, v38
	v_cmp_gt_i32_e32 vcc, s33, v41
	v_cmp_gt_i32_e64 s[4:5], s33, v38
	s_nop 0
	v_cndmask_b32_e32 v41, v39, v66, vcc
	v_cndmask_b32_e64 v38, v39, v67, s[4:5]
	v_max3_f32 v52, v40, v41, v38
	v_mbcnt_lo_u32_b32 v38, -1, 0
	v_mbcnt_hi_u32_b32 v53, -1, v38
	v_and_b32_e32 v38, 64, v53
	v_add_u32_e32 v54, 64, v38
	v_xor_b32_e32 v38, 32, v53
	v_cmp_lt_i32_e64 s[38:39], v38, v54
	s_nop 1
	v_cndmask_b32_e64 v38, v53, v38, s[38:39]
	v_lshlrev_b32_e32 v89, 2, v38
	ds_bpermute_b32 v55, v89, v52
	global_load_dwordx4 v[46:49], v[34:35], off
	global_load_dwordx4 v[38:41], v[34:35], off offset:16
	v_lshl_add_u64 v[34:35], v[62:63], 0, v[36:37]
	global_load_dwordx4 v[42:45], v[34:35], off
	s_nop 0
	global_load_dwordx4 v[34:37], v[34:35], off offset:16
	s_waitcnt lgkmcnt(0)
	v_max_f32_e32 v55, v55, v55
	v_max_f32_e32 v64, v52, v55
	v_xor_b32_e32 v52, 16, v53
	v_cmp_lt_i32_e64 s[38:39], v52, v54
	s_nop 1
	v_cndmask_b32_e64 v52, v53, v52, s[38:39]
	v_lshlrev_b32_e32 v90, 2, v52
	ds_bpermute_b32 v65, v90, v64
	global_load_dwordx4 v[54:57], v[50:51], off
	s_nop 0
	global_load_dwordx4 v[50:53], v[50:51], off offset:16
	s_waitcnt lgkmcnt(0)
	v_max_f32_e32 v62, v65, v65
	v_max_f32_e32 v88, v64, v62
	v_sub_f32_e32 v60, v60, v88
	v_mul_f32_e32 v60, 0x3fb8aa3b, v60
	v_exp_f32_e32 v68, v60
	v_sub_f32_e32 v60, v61, v88
	v_mul_f32_e32 v60, 0x3fb8aa3b, v60
	v_exp_f32_e32 v69, v60
	global_load_dwordx4 v[62:65], v[58:59], off
	s_nop 0
	global_load_dwordx4 v[58:61], v[58:59], off offset:16
	v_sub_f32_e32 v82, v82, v88
	v_mul_f32_e32 v82, 0x3fb8aa3b, v82
	v_sub_f32_e32 v83, v83, v88
	v_exp_f32_e32 v82, v82
	v_mul_f32_e32 v83, 0x3fb8aa3b, v83
	v_sub_f32_e32 v70, v70, v88
	v_exp_f32_e32 v83, v83
	v_mul_f32_e32 v70, 0x3fb8aa3b, v70
	v_sub_f32_e32 v71, v71, v88
	v_cndmask_b32_e64 v68, 0, v68, s[28:29]
	v_exp_f32_e32 v70, v70
	v_mul_f32_e32 v71, 0x3fb8aa3b, v71
	v_sub_f32_e32 v84, v84, v88
	v_add_f32_e32 v91, 0, v68
	v_cndmask_b32_e64 v69, 0, v69, s[30:31]
	v_exp_f32_e32 v71, v71
	v_mul_f32_e32 v84, 0x3fb8aa3b, v84
	v_sub_f32_e32 v85, v85, v88
	v_add_f32_e32 v91, v91, v69
	;; [unrolled: 5-line block ×10, first 2 shown]
	v_cndmask_b32_e64 v78, 0, v78, s[10:11]
	v_exp_f32_e32 v66, v66
	v_mul_f32_e32 v67, 0x3fb8aa3b, v67
	v_add_f32_e32 v91, v91, v78
	v_cndmask_b32_e64 v79, 0, v79, s[12:13]
	v_exp_f32_e32 v67, v67
	v_add_f32_e32 v91, v91, v79
	v_cndmask_b32_e64 v72, 0, v72, s[6:7]
	v_add_f32_e32 v91, v91, v72
	v_cndmask_b32_e64 v73, 0, v73, s[8:9]
	v_add_f32_e32 v91, v91, v73
	v_cndmask_b32_e32 v66, 0, v66, vcc
	v_add_f32_e32 v91, v91, v66
	v_cndmask_b32_e64 v67, 0, v67, s[4:5]
	v_add_f32_e32 v91, v91, v67
	ds_bpermute_b32 v89, v89, v91
	v_cmp_gt_u32_e64 s[4:5], 16, v87
	s_waitcnt lgkmcnt(0)
	s_barrier
	v_add_f32_e32 v89, v91, v89
	ds_bpermute_b32 v90, v90, v89
	s_and_saveexec_b64 s[6:7], s[4:5]
	s_cbranch_execz .LBB240_13
; %bb.12:
	s_waitcnt lgkmcnt(0)
	v_add_f32_e32 v87, v89, v90
	v_lshlrev_b32_e32 v75, 2, v75
	ds_write2st64_b32 v75, v88, v87 offset1:1
.LBB240_13:
	s_or_b64 exec, exec, s[6:7]
	v_lshlrev_b32_e32 v75, 2, v76
	s_load_dword s8, s[0:1], 0x94
	s_waitcnt lgkmcnt(0)
	s_barrier
	ds_read2_b32 v[88:89], v75 offset1:16
	ds_read2_b32 v[90:91], v75 offset0:32 offset1:48
	ds_read2_b32 v[92:93], v75 offset0:64 offset1:80
	;; [unrolled: 1-line block ×3, first 2 shown]
	s_waitcnt lgkmcnt(0)
	v_max3_f32 v87, v88, s41, v89
	v_max3_f32 v87, v87, v90, v91
	v_sub_f32_e32 v88, v88, v87
	v_mul_f32_e32 v88, 0x3fb8aa3b, v88
	v_exp_f32_e32 v1, v88
	v_sub_f32_e32 v88, v89, v87
	v_mul_f32_e32 v88, 0x3fb8aa3b, v88
	v_exp_f32_e32 v89, v88
	v_sub_f32_e32 v88, v90, v87
	v_mul_f32_e32 v88, 0x3fb8aa3b, v88
	v_sub_f32_e32 v75, v91, v87
	v_exp_f32_e32 v90, v88
	v_mul_f32_e32 v75, 0x3fb8aa3b, v75
	v_exp_f32_e32 v75, v75
	v_fma_f32 v88, v1, v92, 0
	v_fmac_f32_e32 v88, v89, v93
	v_fmac_f32_e32 v88, v90, v94
	;; [unrolled: 1-line block ×3, first 2 shown]
	v_add_f32_e32 v91, 0x358637bd, v88
	v_div_scale_f32 v92, s[6:7], v91, v91, 1.0
	v_rcp_f32_e32 v93, v92
	s_barrier
	s_mul_i32 s9, s27, 13
	v_fma_f32 v94, -v92, v93, 1.0
	v_fmac_f32_e32 v93, v94, v93
	v_div_scale_f32 v94, vcc, 1.0, v91, 1.0
	v_mul_f32_e32 v95, v94, v93
	v_fma_f32 v86, -v92, v95, v94
	v_fmac_f32_e32 v95, v86, v93
	v_fma_f32 v86, -v92, v95, v94
	v_div_fmas_f32 v86, v86, v93, v95
	v_cmp_eq_u32_e32 vcc, 1, v77
	v_div_fixup_f32 v86, v86, v91, 1.0
	s_nop 0
	v_cndmask_b32_e32 v1, v1, v89, vcc
	v_cmp_eq_u32_e32 vcc, 2, v77
	s_nop 1
	v_cndmask_b32_e32 v1, v1, v90, vcc
	v_cmp_eq_u32_e32 vcc, 3, v77
	s_nop 1
	v_cndmask_b32_e32 v1, v1, v75, vcc
	v_mul_f32_e32 v90, v1, v86
	v_pk_mul_f32 v[82:83], v[90:91], v[82:83] op_sel_hi:[0,1]
	v_pk_mul_f32 v[68:69], v[90:91], v[68:69] op_sel_hi:[0,1]
	v_cvt_f16_f32_e32 v1, v68
	v_cvt_f16_f32_e32 v68, v69
	;; [unrolled: 1-line block ×4, first 2 shown]
	v_pk_mul_f32 v[84:85], v[90:91], v[84:85] op_sel_hi:[0,1]
	v_pk_mul_f32 v[70:71], v[90:91], v[70:71] op_sel_hi:[0,1]
	v_bfe_u32 v86, v0, 4, 2
	v_pack_b32_f16 v83, v69, v75
	v_cvt_f16_f32_e32 v69, v70
	v_cvt_f16_f32_e32 v70, v71
	;; [unrolled: 1-line block ×4, first 2 shown]
	v_pack_b32_f16 v82, v1, v68
	v_lshlrev_b32_e32 v1, 3, v86
	v_lshlrev_b32_e32 v68, 5, v76
	v_lshlrev_b32_e32 v75, 11, v77
	v_or3_b32 v75, v75, v68, v1
	v_pack_b32_f16 v70, v69, v70
	v_pack_b32_f16 v71, v71, v84
	ds_write2st64_b64 v75, v[82:83], v[70:71] offset1:1
	v_pk_mul_f32 v[70:71], v[90:91], v[78:79] op_sel_hi:[0,1]
	v_pk_mul_f32 v[78:79], v[90:91], v[80:81] op_sel_hi:[0,1]
	v_cvt_f16_f32_e32 v1, v78
	v_cvt_f16_f32_e32 v77, v70
	;; [unrolled: 1-line block ×3, first 2 shown]
	v_pk_mul_f32 v[66:67], v[90:91], v[66:67] op_sel_hi:[0,1]
	v_pk_mul_f32 v[70:71], v[90:91], v[72:73] op_sel_hi:[0,1]
	v_cvt_f16_f32_e32 v69, v79
	v_cvt_f16_f32_e32 v70, v70
	;; [unrolled: 1-line block ×5, first 2 shown]
	v_pack_b32_f16 v66, v1, v69
	v_pack_b32_f16 v67, v77, v78
	;; [unrolled: 1-line block ×4, first 2 shown]
	v_cmp_gt_u32_e32 vcc, 13, v0
	ds_write2st64_b64 v75, v[66:67], v[70:71] offset0:2 offset1:3
	s_and_saveexec_b64 s[6:7], vcc
	s_cbranch_execz .LBB240_15
; %bb.14:
	s_mov_b32 s41, 0
	v_mov_b32_e32 v77, 0
	v_lshl_add_u64 v[66:67], s[40:41], 0, v[76:77]
	v_mov_b32_e32 v1, s9
	v_mad_u64_u32 v[66:67], s[10:11], s2, v1, v[66:67]
	s_mul_i32 s3, s3, s9
	v_mov_b32_e32 v70, s26
	v_mov_b32_e32 v71, v77
	s_load_dwordx4 s[12:15], s[0:1], 0x58
	v_add_u32_e32 v1, s3, v67
	v_mad_u64_u32 v[66:67], s[10:11], v66, s8, v[70:71]
	v_mov_b32_e32 v70, v67
	v_mad_u64_u32 v[70:71], s[10:11], v1, s8, v[70:71]
	v_mov_b32_e32 v67, v70
	v_lshlrev_b64 v[66:67], 2, v[66:67]
	s_waitcnt lgkmcnt(0)
	v_lshl_add_u64 v[70:71], s[14:15], 0, v[66:67]
	v_lshl_add_u64 v[66:67], s[12:13], 0, v[66:67]
	global_store_dword v[70:71], v87, off
	global_store_dword v[66:67], v88, off
.LBB240_15:
	s_or_b64 exec, exec, s[6:7]
	v_lshl_or_b32 v1, v86, 9, v68
	s_waitcnt lgkmcnt(0)
	s_barrier
	ds_read_b128 v[70:73], v1
	ds_read_b128 v[66:69], v1 offset:16
	s_waitcnt vmcnt(15) lgkmcnt(1)
	v_mfma_f32_16x16x16_f16 v[78:81], v[30:31], v[70:71], 0
	s_mov_b32 s3, 0
	v_cmp_gt_u32_e32 vcc, 64, v0
	v_mfma_f32_16x16x16_f16 v[30:33], v[32:33], v[72:73], v[78:81]
	s_waitcnt vmcnt(14) lgkmcnt(0)
	v_mfma_f32_16x16x16_f16 v[30:33], v[26:27], v[66:67], v[30:33]
	v_mfma_f32_16x16x16_f16 v[26:29], v[28:29], v[68:69], v[30:33]
	s_nop 5
	ds_read_b128 v[30:33], v1 offset:2048
	ds_read_b128 v[78:81], v1 offset:2064
	s_waitcnt vmcnt(13) lgkmcnt(1)
	v_mfma_f32_16x16x16_f16 v[26:29], v[22:23], v[30:31], v[26:29]
	v_mfma_f32_16x16x16_f16 v[22:25], v[24:25], v[32:33], v[26:29]
	s_waitcnt vmcnt(12) lgkmcnt(0)
	v_mfma_f32_16x16x16_f16 v[22:25], v[18:19], v[78:79], v[22:25]
	v_mfma_f32_16x16x16_f16 v[18:21], v[20:21], v[80:81], v[22:25]
	s_nop 5
	ds_read_b128 v[22:25], v1 offset:4096
	ds_read_b128 v[26:29], v1 offset:4112
	s_waitcnt vmcnt(11) lgkmcnt(1)
	v_mfma_f32_16x16x16_f16 v[18:21], v[14:15], v[22:23], v[18:21]
	v_mfma_f32_16x16x16_f16 v[14:17], v[16:17], v[24:25], v[18:21]
	s_waitcnt vmcnt(10) lgkmcnt(0)
	v_mfma_f32_16x16x16_f16 v[14:17], v[10:11], v[26:27], v[14:17]
	v_mfma_f32_16x16x16_f16 v[10:13], v[12:13], v[28:29], v[14:17]
	s_nop 5
	ds_read_b128 v[14:17], v1 offset:6144
	ds_read_b128 v[18:21], v1 offset:6160
	s_waitcnt lgkmcnt(0)
	s_barrier
	s_waitcnt vmcnt(9)
	v_mfma_f32_16x16x16_f16 v[10:13], v[6:7], v[14:15], v[10:13]
	v_mfma_f32_16x16x16_f16 v[6:9], v[8:9], v[16:17], v[10:13]
	s_waitcnt vmcnt(8)
	v_mfma_f32_16x16x16_f16 v[6:9], v[2:3], v[18:19], v[6:9]
	v_mfma_f32_16x16x16_f16 v[2:5], v[4:5], v[20:21], v[6:9]
	;; [unrolled: 3-line block ×3, first 2 shown]
	s_nop 3
	v_cvt_f16_f32_e32 v1, v2
	v_cvt_f16_f32_e32 v10, v3
	;; [unrolled: 1-line block ×3, first 2 shown]
	s_waitcnt vmcnt(6)
	v_mfma_f32_16x16x16_f16 v[6:9], v[38:39], v[66:67], v[6:9]
	v_cvt_f16_f32_e32 v12, v5
	v_mfma_f32_16x16x16_f16 v[6:9], v[40:41], v[68:69], v[6:9]
	s_waitcnt vmcnt(5)
	v_mfma_f32_16x16x16_f16 v[6:9], v[42:43], v[30:31], v[6:9]
	v_mfma_f32_16x16x16_f16 v[6:9], v[44:45], v[32:33], v[6:9]
	s_waitcnt vmcnt(4)
	v_mfma_f32_16x16x16_f16 v[6:9], v[34:35], v[78:79], v[6:9]
	;; [unrolled: 3-line block ×6, first 2 shown]
	v_mfma_f32_16x16x16_f16 v[2:5], v[60:61], v[20:21], v[6:9]
	s_nop 6
	v_cvt_f16_f32_e32 v6, v2
	v_cvt_f16_f32_e32 v7, v3
	;; [unrolled: 1-line block ×4, first 2 shown]
	v_pack_b32_f16 v2, v1, v10
	v_pack_b32_f16 v3, v11, v12
	;; [unrolled: 1-line block ×4, first 2 shown]
	ds_write2st64_b64 v75, v[2:3], v[4:5] offset1:1
	s_waitcnt lgkmcnt(0)
	s_barrier
	s_and_saveexec_b64 s[6:7], vcc
	s_cbranch_execz .LBB240_18
; %bb.16:
	s_load_dwordx2 s[6:7], s[0:1], 0x68
	s_lshl_b32 s0, s8, 7
	s_mul_i32 s1, s9, s2
	v_lshlrev_b32_e32 v3, 6, v76
	s_mul_hi_u32 s9, s1, s0
	s_mul_i32 s8, s1, s0
	v_lshlrev_b32_e32 v2, 4, v0
	v_lshl_or_b32 v0, v0, 10, v3
	s_lshl_b64 s[8:9], s[8:9], 1
	v_lshlrev_b32_e32 v1, 5, v86
	v_and_b32_e32 v2, 16, v2
	v_and_b32_e32 v0, 0x1a00, v0
	s_waitcnt lgkmcnt(0)
	s_add_u32 s1, s6, s8
	v_or3_b32 v2, v0, v1, v2
	s_addc_u32 s6, s7, s9
	s_lshl_b32 s2, s26, 7
	ds_read_b128 v[4:7], v2 offset:256
	s_lshl_b64 s[2:3], s[2:3], 1
	ds_read_b128 v[8:11], v2 offset:128
	ds_read_b128 v[12:15], v2
	s_add_u32 s2, s1, s2
	s_addc_u32 s3, s6, s3
	v_mov_b32_e32 v75, 0
	v_add_u32_e32 v3, s40, v86
	v_lshl_add_u64 v[0:1], s[2:3], 0, v[74:75]
	v_mad_u64_u32 v[16:17], s[2:3], v3, s0, 0
	v_lshl_add_u64 v[16:17], v[16:17], 1, v[0:1]
	s_waitcnt lgkmcnt(0)
	global_store_dwordx4 v[16:17], v[12:15], off
	s_nop 1
	v_add_u32_e32 v12, 4, v3
	v_mad_u64_u32 v[12:13], s[2:3], v12, s0, 0
	v_lshl_add_u64 v[12:13], v[12:13], 1, v[0:1]
	v_add_u32_e32 v3, 8, v3
	global_store_dwordx4 v[12:13], v[8:11], off
	s_nop 1
	v_mad_u64_u32 v[8:9], s[2:3], v3, s0, 0
	v_lshl_add_u64 v[8:9], v[8:9], 1, v[0:1]
	global_store_dwordx4 v[8:9], v[4:7], off
	s_and_b64 exec, exec, s[4:5]
	s_cbranch_execz .LBB240_18
; %bb.17:
	ds_read_b128 v[2:5], v2 offset:384
	v_add3_u32 v6, s40, v86, 12
	v_mad_u64_u32 v[6:7], s[0:1], v6, s0, 0
	v_lshl_add_u64 v[0:1], v[6:7], 1, v[0:1]
	s_waitcnt lgkmcnt(0)
	global_store_dwordx4 v[0:1], v[2:5], off
.LBB240_18:
	s_endpgm
	.section	.rodata,"a",@progbits
	.p2align	6, 0x0
	.amdhsa_kernel _Z39paged_attention_ll4mi_QKV_mfma16_kernelIDF16_DF16_LN4vllm18Fp8KVCacheDataTypeE0EhLi16ELi128ELi256ELb0ELi13EEvPKT_PKT0_S7_ifPKiS9_S9_iPKfiiiPfSC_PS2_PT2_iSB_SB_
		.amdhsa_group_segment_fixed_size 8192
		.amdhsa_private_segment_fixed_size 0
		.amdhsa_kernarg_size 400
		.amdhsa_user_sgpr_count 2
		.amdhsa_user_sgpr_dispatch_ptr 0
		.amdhsa_user_sgpr_queue_ptr 0
		.amdhsa_user_sgpr_kernarg_segment_ptr 1
		.amdhsa_user_sgpr_dispatch_id 0
		.amdhsa_user_sgpr_kernarg_preload_length 0
		.amdhsa_user_sgpr_kernarg_preload_offset 0
		.amdhsa_user_sgpr_private_segment_size 0
		.amdhsa_uses_dynamic_stack 0
		.amdhsa_enable_private_segment 0
		.amdhsa_system_sgpr_workgroup_id_x 1
		.amdhsa_system_sgpr_workgroup_id_y 1
		.amdhsa_system_sgpr_workgroup_id_z 1
		.amdhsa_system_sgpr_workgroup_info 0
		.amdhsa_system_vgpr_workitem_id 0
		.amdhsa_next_free_vgpr 96
		.amdhsa_next_free_sgpr 42
		.amdhsa_accum_offset 96
		.amdhsa_reserve_vcc 1
		.amdhsa_float_round_mode_32 0
		.amdhsa_float_round_mode_16_64 0
		.amdhsa_float_denorm_mode_32 3
		.amdhsa_float_denorm_mode_16_64 3
		.amdhsa_dx10_clamp 1
		.amdhsa_ieee_mode 1
		.amdhsa_fp16_overflow 0
		.amdhsa_tg_split 0
		.amdhsa_exception_fp_ieee_invalid_op 0
		.amdhsa_exception_fp_denorm_src 0
		.amdhsa_exception_fp_ieee_div_zero 0
		.amdhsa_exception_fp_ieee_overflow 0
		.amdhsa_exception_fp_ieee_underflow 0
		.amdhsa_exception_fp_ieee_inexact 0
		.amdhsa_exception_int_div_zero 0
	.end_amdhsa_kernel
	.section	.text._Z39paged_attention_ll4mi_QKV_mfma16_kernelIDF16_DF16_LN4vllm18Fp8KVCacheDataTypeE0EhLi16ELi128ELi256ELb0ELi13EEvPKT_PKT0_S7_ifPKiS9_S9_iPKfiiiPfSC_PS2_PT2_iSB_SB_,"axG",@progbits,_Z39paged_attention_ll4mi_QKV_mfma16_kernelIDF16_DF16_LN4vllm18Fp8KVCacheDataTypeE0EhLi16ELi128ELi256ELb0ELi13EEvPKT_PKT0_S7_ifPKiS9_S9_iPKfiiiPfSC_PS2_PT2_iSB_SB_,comdat
.Lfunc_end240:
	.size	_Z39paged_attention_ll4mi_QKV_mfma16_kernelIDF16_DF16_LN4vllm18Fp8KVCacheDataTypeE0EhLi16ELi128ELi256ELb0ELi13EEvPKT_PKT0_S7_ifPKiS9_S9_iPKfiiiPfSC_PS2_PT2_iSB_SB_, .Lfunc_end240-_Z39paged_attention_ll4mi_QKV_mfma16_kernelIDF16_DF16_LN4vllm18Fp8KVCacheDataTypeE0EhLi16ELi128ELi256ELb0ELi13EEvPKT_PKT0_S7_ifPKiS9_S9_iPKfiiiPfSC_PS2_PT2_iSB_SB_
                                        ; -- End function
	.section	.AMDGPU.csdata,"",@progbits
; Kernel info:
; codeLenInByte = 4460
; NumSgprs: 48
; NumVgprs: 96
; NumAgprs: 0
; TotalNumVgprs: 96
; ScratchSize: 0
; MemoryBound: 0
; FloatMode: 240
; IeeeMode: 1
; LDSByteSize: 8192 bytes/workgroup (compile time only)
; SGPRBlocks: 5
; VGPRBlocks: 11
; NumSGPRsForWavesPerEU: 48
; NumVGPRsForWavesPerEU: 96
; AccumOffset: 96
; Occupancy: 5
; WaveLimiterHint : 1
; COMPUTE_PGM_RSRC2:SCRATCH_EN: 0
; COMPUTE_PGM_RSRC2:USER_SGPR: 2
; COMPUTE_PGM_RSRC2:TRAP_HANDLER: 0
; COMPUTE_PGM_RSRC2:TGID_X_EN: 1
; COMPUTE_PGM_RSRC2:TGID_Y_EN: 1
; COMPUTE_PGM_RSRC2:TGID_Z_EN: 1
; COMPUTE_PGM_RSRC2:TIDIG_COMP_CNT: 0
; COMPUTE_PGM_RSRC3_GFX90A:ACCUM_OFFSET: 23
; COMPUTE_PGM_RSRC3_GFX90A:TG_SPLIT: 0
	.section	.text._Z39paged_attention_ll4mi_QKV_mfma16_kernelIDF16_DF16_LN4vllm18Fp8KVCacheDataTypeE0EhLi16ELi128ELi256ELb0ELi14EEvPKT_PKT0_S7_ifPKiS9_S9_iPKfiiiPfSC_PS2_PT2_iSB_SB_,"axG",@progbits,_Z39paged_attention_ll4mi_QKV_mfma16_kernelIDF16_DF16_LN4vllm18Fp8KVCacheDataTypeE0EhLi16ELi128ELi256ELb0ELi14EEvPKT_PKT0_S7_ifPKiS9_S9_iPKfiiiPfSC_PS2_PT2_iSB_SB_,comdat
	.protected	_Z39paged_attention_ll4mi_QKV_mfma16_kernelIDF16_DF16_LN4vllm18Fp8KVCacheDataTypeE0EhLi16ELi128ELi256ELb0ELi14EEvPKT_PKT0_S7_ifPKiS9_S9_iPKfiiiPfSC_PS2_PT2_iSB_SB_ ; -- Begin function _Z39paged_attention_ll4mi_QKV_mfma16_kernelIDF16_DF16_LN4vllm18Fp8KVCacheDataTypeE0EhLi16ELi128ELi256ELb0ELi14EEvPKT_PKT0_S7_ifPKiS9_S9_iPKfiiiPfSC_PS2_PT2_iSB_SB_
	.globl	_Z39paged_attention_ll4mi_QKV_mfma16_kernelIDF16_DF16_LN4vllm18Fp8KVCacheDataTypeE0EhLi16ELi128ELi256ELb0ELi14EEvPKT_PKT0_S7_ifPKiS9_S9_iPKfiiiPfSC_PS2_PT2_iSB_SB_
	.p2align	8
	.type	_Z39paged_attention_ll4mi_QKV_mfma16_kernelIDF16_DF16_LN4vllm18Fp8KVCacheDataTypeE0EhLi16ELi128ELi256ELb0ELi14EEvPKT_PKT0_S7_ifPKiS9_S9_iPKfiiiPfSC_PS2_PT2_iSB_SB_,@function
_Z39paged_attention_ll4mi_QKV_mfma16_kernelIDF16_DF16_LN4vllm18Fp8KVCacheDataTypeE0EhLi16ELi128ELi256ELb0ELi14EEvPKT_PKT0_S7_ifPKiS9_S9_iPKfiiiPfSC_PS2_PT2_iSB_SB_: ; @_Z39paged_attention_ll4mi_QKV_mfma16_kernelIDF16_DF16_LN4vllm18Fp8KVCacheDataTypeE0EhLi16ELi128ELi256ELb0ELi14EEvPKT_PKT0_S7_ifPKiS9_S9_iPKfiiiPfSC_PS2_PT2_iSB_SB_
; %bb.0:
	s_load_dwordx2 s[8:9], s[0:1], 0x30
	s_mov_b32 s26, s3
	s_mov_b64 s[6:7], 0
	s_waitcnt lgkmcnt(0)
	s_cmp_lg_u64 s[8:9], 0
	s_cselect_b64 s[10:11], -1, 0
	s_and_b64 vcc, exec, s[10:11]
	s_cbranch_vccz .LBB241_7
; %bb.1:
	s_add_i32 s12, s2, 1
	s_mov_b32 s13, 0
	s_lshl_b64 s[14:15], s[12:13], 2
	s_add_u32 s14, s8, s14
	s_mov_b32 s3, s13
	s_addc_u32 s15, s9, s15
	s_lshl_b64 s[12:13], s[2:3], 2
	s_add_u32 s12, s8, s12
	s_addc_u32 s13, s9, s13
	s_load_dword s5, s[14:15], 0x0
	s_load_dword s16, s[12:13], 0x0
	s_waitcnt lgkmcnt(0)
	s_sub_i32 s5, s5, s16
	s_cmp_eq_u32 s5, 1
	s_cselect_b64 s[12:13], -1, 0
	s_andn2_b64 vcc, exec, s[6:7]
	s_cbranch_vccnz .LBB241_3
.LBB241_2:
	s_mov_b32 s3, 0
	s_mov_b64 s[12:13], -1
.LBB241_3:
	s_andn2_b64 vcc, exec, s[12:13]
	s_cbranch_vccnz .LBB241_18
; %bb.4:
	s_load_dwordx2 s[6:7], s[0:1], 0x28
	s_lshl_b64 s[16:17], s[2:3], 2
	s_waitcnt lgkmcnt(0)
	s_add_u32 s6, s6, s16
	s_addc_u32 s7, s7, s17
	s_load_dword s33, s[6:7], 0x0
	s_lshl_b32 s18, s26, 8
	s_waitcnt lgkmcnt(0)
	s_cmp_ge_i32 s18, s33
	s_cbranch_scc1 .LBB241_18
; %bb.5:
	s_load_dwordx2 s[6:7], s[0:1], 0x20
	s_load_dword s5, s[0:1], 0x38
	s_add_i32 s12, s33, 15
	s_ashr_i32 s13, s12, 31
	v_and_b32_e32 v1, 0xcf, v0
	s_lshr_b32 s13, s13, 28
	v_add_u32_e32 v1, s18, v1
	s_add_i32 s12, s12, s13
	v_ashrrev_i32_e32 v2, 31, v1
	s_ashr_i32 s19, s12, 4
	v_lshrrev_b32_e32 v4, 28, v2
	s_add_i32 s19, s19, -1
	s_waitcnt lgkmcnt(0)
	s_mul_i32 s12, s2, s5
	s_mov_b32 s13, 0
	v_add_u32_e32 v2, v1, v4
	s_lshl_b64 s[12:13], s[12:13], 2
	v_ashrrev_i32_e32 v2, 4, v2
	v_mov_b32_e32 v5, s19
	v_cmp_gt_i32_e32 vcc, s33, v1
	s_add_u32 s6, s6, s12
	s_addc_u32 s7, s7, s13
	v_cndmask_b32_e32 v2, v5, v2, vcc
	v_ashrrev_i32_e32 v3, 31, v2
	v_lshl_add_u64 v[6:7], v[2:3], 2, s[6:7]
	v_or_b32_e32 v2, 16, v1
	v_add_u32_e32 v3, v2, v4
	v_ashrrev_i32_e32 v3, 4, v3
	v_cmp_gt_i32_e32 vcc, s33, v2
	s_load_dwordx4 s[12:15], s[0:1], 0x8
	s_nop 0
	v_cndmask_b32_e32 v2, v5, v3, vcc
	v_ashrrev_i32_e32 v3, 31, v2
	v_lshl_add_u64 v[8:9], v[2:3], 2, s[6:7]
	v_or_b32_e32 v2, 32, v1
	v_add_u32_e32 v3, v2, v4
	v_ashrrev_i32_e32 v3, 4, v3
	v_cmp_gt_i32_e32 vcc, s33, v2
	v_or_b32_e32 v1, 48, v1
	s_nop 0
	v_cndmask_b32_e32 v2, v5, v3, vcc
	v_ashrrev_i32_e32 v3, 31, v2
	v_lshl_add_u64 v[10:11], v[2:3], 2, s[6:7]
	v_add_u32_e32 v2, v1, v4
	v_ashrrev_i32_e32 v2, 4, v2
	v_cmp_gt_i32_e32 vcc, s33, v1
	s_nop 1
	v_cndmask_b32_e32 v2, v5, v2, vcc
	v_ashrrev_i32_e32 v3, 31, v2
	v_lshl_add_u64 v[12:13], v[2:3], 2, s[6:7]
	global_load_dword v4, v[6:7], off
	global_load_dword v3, v[8:9], off
	;; [unrolled: 1-line block ×4, first 2 shown]
	s_andn2_b64 vcc, exec, s[10:11]
	s_cbranch_vccnz .LBB241_8
; %bb.6:
	s_add_u32 s8, s8, s16
	s_addc_u32 s9, s9, s17
	s_load_dword s5, s[8:9], 0x0
	s_branch .LBB241_9
.LBB241_7:
	s_mov_b64 s[12:13], 0
	s_branch .LBB241_2
.LBB241_8:
	s_mov_b32 s5, s2
.LBB241_9:
	s_load_dwordx4 s[8:11], s[0:1], 0x48
	v_lshrrev_b32_e32 v77, 6, v0
	v_bfe_u32 v86, v0, 4, 2
	v_and_b32_e32 v76, 15, v0
	v_lshl_or_b32 v1, v77, 2, v86
	v_lshlrev_b32_e32 v5, 3, v76
	v_and_b32_e32 v87, 63, v0
	s_mul_i32 s40, s4, 14
	v_cmp_gt_u32_e32 vcc, 14, v1
	v_lshlrev_b32_e32 v74, 1, v5
	s_and_saveexec_b64 s[16:17], vcc
	s_cbranch_execz .LBB241_11
; %bb.10:
	s_load_dwordx2 s[20:21], s[0:1], 0x0
	s_waitcnt lgkmcnt(0)
	s_ashr_i32 s11, s8, 31
	s_mul_hi_u32 s22, s5, s8
	s_mul_i32 s11, s5, s11
	s_add_i32 s23, s22, s11
	s_mul_i32 s22, s5, s8
	s_lshl_b64 s[22:23], s[22:23], 1
	s_add_u32 s20, s20, s22
	v_add_lshl_u32 v6, v1, s40, 7
	s_addc_u32 s21, s21, s23
	v_ashrrev_i32_e32 v7, 31, v6
	v_lshl_add_u64 v[6:7], v[6:7], 1, s[20:21]
	v_mov_b32_e32 v75, 0
	v_lshl_add_u64 v[6:7], v[6:7], 0, v[74:75]
	global_load_dwordx4 v[6:9], v[6:7], off
	v_and_b32_e32 v5, 3, v0
	v_lshlrev_b32_e32 v10, 9, v76
	v_lshlrev_b32_e32 v1, 5, v1
	;; [unrolled: 1-line block ×3, first 2 shown]
	v_and_b32_e32 v10, 0x1800, v10
	v_or3_b32 v1, v10, v5, v1
	s_waitcnt vmcnt(0)
	ds_write_b128 v1, v[6:9]
.LBB241_11:
	s_or_b64 exec, exec, s[16:17]
	s_waitcnt lgkmcnt(0)
	s_mul_i32 s4, s4, s10
	s_mov_b32 s5, 0
	s_lshl_b64 s[4:5], s[4:5], 1
	s_add_u32 s10, s12, s4
	v_lshlrev_b32_e32 v1, 4, v0
	s_addc_u32 s11, s13, s5
	v_and_b32_e32 v34, 0xf0, v1
	v_mov_b32_e32 v35, 0
	v_lshl_add_u64 v[30:31], s[10:11], 0, v[34:35]
	s_waitcnt vmcnt(3)
	v_mad_i64_i32 v[4:5], s[10:11], v4, s9, 0
	v_lshl_add_u64 v[4:5], v[4:5], 1, v[30:31]
	v_and_b32_e32 v34, 0x300, v1
	v_lshl_add_u64 v[32:33], v[4:5], 0, v[34:35]
	s_load_dword s27, s[0:1], 0x98
	s_load_dword s8, s[0:1], 0x1c
	s_waitcnt lgkmcnt(0)
	s_barrier
	global_load_dwordx4 v[6:9], v[32:33], off
	global_load_dwordx4 v[18:21], v[32:33], off offset:1024
	s_waitcnt vmcnt(4)
	v_mad_i64_i32 v[4:5], s[10:11], v3, s9, 0
	s_waitcnt vmcnt(3)
	v_mad_i64_i32 v[2:3], s[10:11], v2, s9, 0
	v_lshl_add_u64 v[4:5], v[4:5], 1, v[30:31]
	v_lshl_add_u64 v[2:3], v[2:3], 1, v[30:31]
	;; [unrolled: 1-line block ×4, first 2 shown]
	global_load_dwordx4 v[14:17], v[36:37], off
	global_load_dwordx4 v[22:25], v[36:37], off offset:1024
	global_load_dwordx4 v[26:29], v[38:39], off
	global_load_dwordx4 v[46:49], v[38:39], off offset:1024
	v_add_u32_e32 v2, -14, v76
	v_cmp_gt_u32_e32 vcc, 14, v76
	global_load_dwordx4 v[54:57], v[32:33], off offset:2048
	global_load_dwordx4 v[62:65], v[36:37], off offset:2048
	v_cndmask_b32_e32 v2, v2, v76, vcc
	v_lshlrev_b32_e32 v2, 5, v2
	v_lshl_add_u32 v41, v86, 9, v2
	ds_read_b128 v[10:13], v41
	ds_read_b128 v[2:5], v41 offset:2048
	v_mov_b32_e32 v70, s19
	s_add_u32 s4, s14, s4
	s_addc_u32 s5, s15, s5
	s_mov_b32 s41, 0xff7fffff
	s_waitcnt vmcnt(7) lgkmcnt(1)
	v_mfma_f32_16x16x16_f16 v[42:45], v[6:7], v[10:11], 0
	v_mfma_f32_16x16x16_f16 v[6:9], v[8:9], v[12:13], v[42:45]
	s_nop 5
	global_load_dwordx4 v[42:45], v[38:39], off offset:2048
	s_waitcnt vmcnt(6)
	v_mfma_f32_16x16x16_f16 v[50:53], v[14:15], v[10:11], 0
	s_waitcnt vmcnt(4)
	v_mfma_f32_16x16x16_f16 v[58:61], v[26:27], v[10:11], 0
	v_mfma_f32_16x16x16_f16 v[14:17], v[16:17], v[12:13], v[50:53]
	;; [unrolled: 1-line block ×3, first 2 shown]
	s_nop 2
	global_load_dwordx4 v[50:53], v[32:33], off offset:3072
	v_mad_i64_i32 v[32:33], s[10:11], v40, s9, 0
	s_waitcnt lgkmcnt(0)
	v_mfma_f32_16x16x16_f16 v[6:9], v[18:19], v[2:3], v[6:9]
	v_and_or_b32 v40, v0, 48, s18
	v_ashrrev_i32_e32 v58, 4, v40
	v_cmp_gt_i32_e32 vcc, s33, v40
	v_mfma_f32_16x16x16_f16 v[14:17], v[22:23], v[2:3], v[14:17]
	v_or_b32_e32 v66, 64, v40
	v_cndmask_b32_e32 v22, v70, v58, vcc
	v_ashrrev_i32_e32 v23, 31, v22
	s_waitcnt vmcnt(4)
	v_mfma_f32_16x16x16_f16 v[26:29], v[46:47], v[2:3], v[26:29]
	v_or_b32_e32 v71, 0x80, v40
	v_or_b32_e32 v72, 0xc0, v40
	v_ashrrev_i32_e32 v40, 4, v66
	v_mfma_f32_16x16x16_f16 v[6:9], v[20:21], v[4:5], v[6:9]
	global_load_dwordx4 v[18:21], v[38:39], off offset:3072
	v_cmp_gt_i32_e32 vcc, s33, v66
	v_lshl_add_u64 v[22:23], v[22:23], 2, s[6:7]
	global_load_dwordx4 v[58:61], v[36:37], off offset:3072
	v_cndmask_b32_e32 v36, v70, v40, vcc
	v_mfma_f32_16x16x16_f16 v[14:17], v[24:25], v[4:5], v[14:17]
	global_load_dword v78, v[22:23], off
	ds_read_b128 v[66:69], v41 offset:4096
	v_ashrrev_i32_e32 v37, 31, v36
	v_mfma_f32_16x16x16_f16 v[22:25], v[48:49], v[4:5], v[26:29]
	v_ashrrev_i32_e32 v73, 4, v71
	v_cmp_gt_i32_e32 vcc, s33, v71
	v_ashrrev_i32_e32 v75, 4, v72
	v_lshl_add_u64 v[26:27], v[32:33], 1, v[30:31]
	v_lshl_add_u64 v[26:27], v[26:27], 0, v[34:35]
	;; [unrolled: 1-line block ×3, first 2 shown]
	global_load_dwordx4 v[46:49], v[26:27], off
	global_load_dword v36, v[28:29], off
	s_waitcnt vmcnt(8) lgkmcnt(0)
	v_mfma_f32_16x16x16_f16 v[6:9], v[54:55], v[66:67], v[6:9]
	v_cndmask_b32_e32 v28, v70, v73, vcc
	v_ashrrev_i32_e32 v29, 31, v28
	v_lshl_add_u64 v[28:29], v[28:29], 2, s[6:7]
	v_mfma_f32_16x16x16_f16 v[6:9], v[56:57], v[68:69], v[6:9]
	global_load_dwordx4 v[54:57], v[26:27], off offset:1024
	v_cmp_gt_i32_e32 vcc, s33, v72
	global_load_dword v82, v[28:29], off
	ds_read_b128 v[38:41], v41 offset:6144
	v_cndmask_b32_e32 v28, v70, v75, vcc
	v_ashrrev_i32_e32 v29, 31, v28
	v_lshl_add_u64 v[28:29], v[28:29], 2, s[6:7]
	global_load_dword v83, v[28:29], off
	s_waitcnt vmcnt(10)
	v_mfma_f32_16x16x16_f16 v[14:17], v[62:63], v[66:67], v[14:17]
	v_lshl_or_b32 v75, v77, 4, v76
	v_lshlrev_b32_e32 v34, 5, v75
	v_lshl_add_u64 v[62:63], s[4:5], 0, v[34:35]
	v_mfma_f32_16x16x16_f16 v[14:17], v[64:65], v[68:69], v[14:17]
	v_or_b32_e32 v34, 0x800, v34
	global_load_dwordx4 v[70:73], v[26:27], off offset:3072
	s_waitcnt vmcnt(10)
	v_mfma_f32_16x16x16_f16 v[22:25], v[42:43], v[66:67], v[22:25]
	v_mfma_f32_16x16x16_f16 v[22:25], v[44:45], v[68:69], v[22:25]
	global_load_dwordx4 v[42:45], v[26:27], off offset:2048
	s_waitcnt vmcnt(10) lgkmcnt(0)
	v_mfma_f32_16x16x16_f16 v[6:9], v[50:51], v[38:39], v[6:9]
	s_waitcnt vmcnt(9)
	v_mfma_f32_16x16x16_f16 v[22:25], v[18:19], v[38:39], v[22:25]
	s_waitcnt vmcnt(7)
	v_mad_i64_i32 v[18:19], s[6:7], v78, s9, 0
	v_lshlrev_b64 v[64:65], 1, v[18:19]
	v_mfma_f32_16x16x16_f16 v[78:81], v[52:53], v[40:41], v[6:9]
	s_nop 2
	v_lshl_add_u64 v[6:7], v[62:63], 0, v[64:65]
	global_load_dwordx4 v[30:33], v[6:7], off
	global_load_dwordx4 v[26:29], v[6:7], off offset:16
	v_mfma_f32_16x16x16_f16 v[92:95], v[20:21], v[40:41], v[22:25]
	s_waitcnt vmcnt(7)
	v_mad_i64_i32 v[6:7], s[6:7], v36, s9, 0
	v_lshlrev_b64 v[36:37], 1, v[6:7]
	v_lshl_add_u64 v[6:7], v[62:63], 0, v[36:37]
	global_load_dwordx4 v[22:25], v[6:7], off
	global_load_dwordx4 v[18:21], v[6:7], off offset:16
	v_mfma_f32_16x16x16_f16 v[6:9], v[46:47], v[10:11], 0
	s_waitcnt vmcnt(7)
	v_mad_i64_i32 v[10:11], s[6:7], v82, s9, 0
	v_mfma_f32_16x16x16_f16 v[6:9], v[48:49], v[12:13], v[6:9]
	v_lshlrev_b64 v[50:51], 1, v[10:11]
	v_lshl_add_u64 v[10:11], v[62:63], 0, v[50:51]
	v_mfma_f32_16x16x16_f16 v[6:9], v[54:55], v[2:3], v[6:9]
	s_waitcnt vmcnt(6)
	v_mad_i64_i32 v[2:3], s[6:7], v83, s9, 0
	v_pk_mul_f32 v[82:83], s[8:9], v[80:81] op_sel_hi:[0,1]
	v_mfma_f32_16x16x16_f16 v[46:49], v[56:57], v[4:5], v[6:9]
	v_pk_mul_f32 v[80:81], s[8:9], v[92:93] op_sel_hi:[0,1]
	v_mfma_f32_16x16x16_f16 v[14:17], v[58:59], v[38:39], v[14:17]
	v_lshlrev_b64 v[58:59], 1, v[2:3]
	v_lshl_add_u64 v[2:3], v[62:63], 0, v[58:59]
	v_lshl_add_u64 v[62:63], s[4:5], 0, v[34:35]
	v_mfma_f32_16x16x16_f16 v[88:91], v[60:61], v[40:41], v[14:17]
	v_pk_mul_f32 v[60:61], s[8:9], v[78:79] op_sel_hi:[0,1]
	v_pk_mul_f32 v[78:79], s[8:9], v[94:95] op_sel_hi:[0,1]
	v_lshl_add_u64 v[34:35], v[62:63], 0, v[64:65]
	s_waitcnt vmcnt(4)
	v_mfma_f32_16x16x16_f16 v[46:49], v[42:43], v[66:67], v[46:49]
	s_nop 1
	v_pk_mul_f32 v[84:85], s[8:9], v[90:91] op_sel_hi:[0,1]
	global_load_dwordx4 v[14:17], v[10:11], off
	s_nop 0
	global_load_dwordx4 v[10:13], v[10:11], off offset:16
	s_nop 0
	global_load_dwordx4 v[6:9], v[2:3], off
	s_nop 0
	global_load_dwordx4 v[2:5], v[2:3], off offset:16
	v_mfma_f32_16x16x16_f16 v[42:45], v[44:45], v[68:69], v[46:49]
	v_lshl_add_u64 v[50:51], v[62:63], 0, v[50:51]
	v_lshl_add_u64 v[58:59], v[62:63], 0, v[58:59]
	v_mfma_f32_16x16x16_f16 v[42:45], v[70:71], v[38:39], v[42:45]
	v_pk_mul_f32 v[70:71], s[8:9], v[88:89] op_sel_hi:[0,1]
	v_mfma_f32_16x16x16_f16 v[38:41], v[72:73], v[40:41], v[42:45]
	s_nop 6
	v_pk_mul_f32 v[72:73], s[8:9], v[38:39] op_sel_hi:[0,1]
	v_and_b32_e32 v38, 0xc0, v0
	v_add_u32_e32 v38, s18, v38
	v_lshl_or_b32 v38, v86, 2, v38
	v_pk_mul_f32 v[66:67], s[8:9], v[40:41] op_sel_hi:[0,1]
	v_or_b32_e32 v41, 1, v38
	v_mov_b32_e32 v39, 0xff7fffff
	v_cmp_gt_i32_e64 s[28:29], s33, v38
	v_cmp_gt_i32_e64 s[30:31], s33, v41
	v_or_b32_e32 v42, 3, v38
	v_cndmask_b32_e64 v40, v39, v60, s[28:29]
	v_cndmask_b32_e64 v41, v39, v61, s[30:31]
	v_max3_f32 v40, v40, s41, v41
	v_or_b32_e32 v41, 2, v38
	v_cmp_gt_i32_e64 s[34:35], s33, v41
	v_cmp_gt_i32_e64 s[36:37], s33, v42
	s_nop 0
	v_cndmask_b32_e64 v41, v39, v82, s[34:35]
	v_cndmask_b32_e64 v42, v39, v83, s[36:37]
	v_max3_f32 v40, v40, v41, v42
	v_or_b32_e32 v41, 16, v38
	v_or_b32_e32 v42, 17, v38
	v_cmp_gt_i32_e64 s[22:23], s33, v41
	v_cmp_gt_i32_e64 s[24:25], s33, v42
	s_nop 0
	v_cndmask_b32_e64 v41, v39, v70, s[22:23]
	v_cndmask_b32_e64 v42, v39, v71, s[24:25]
	v_max3_f32 v40, v40, v41, v42
	v_or_b32_e32 v41, 18, v38
	v_or_b32_e32 v42, 19, v38
	v_cmp_gt_i32_e64 s[18:19], s33, v41
	v_cmp_gt_i32_e64 s[20:21], s33, v42
	s_nop 0
	v_cndmask_b32_e64 v41, v39, v84, s[18:19]
	v_cndmask_b32_e64 v42, v39, v85, s[20:21]
	v_max3_f32 v40, v40, v41, v42
	v_or_b32_e32 v41, 32, v38
	v_or_b32_e32 v42, 33, v38
	v_cmp_gt_i32_e64 s[14:15], s33, v41
	v_cmp_gt_i32_e64 s[16:17], s33, v42
	s_nop 0
	v_cndmask_b32_e64 v41, v39, v80, s[14:15]
	v_cndmask_b32_e64 v42, v39, v81, s[16:17]
	v_max3_f32 v40, v40, v41, v42
	v_or_b32_e32 v41, 34, v38
	v_or_b32_e32 v42, 35, v38
	v_cmp_gt_i32_e64 s[10:11], s33, v41
	v_cmp_gt_i32_e64 s[12:13], s33, v42
	s_nop 0
	v_cndmask_b32_e64 v41, v39, v78, s[10:11]
	v_cndmask_b32_e64 v42, v39, v79, s[12:13]
	v_max3_f32 v40, v40, v41, v42
	v_or_b32_e32 v41, 48, v38
	v_or_b32_e32 v42, 49, v38
	v_cmp_gt_i32_e64 s[6:7], s33, v41
	v_cmp_gt_i32_e64 s[8:9], s33, v42
	s_nop 0
	v_cndmask_b32_e64 v41, v39, v72, s[6:7]
	v_cndmask_b32_e64 v42, v39, v73, s[8:9]
	v_max3_f32 v40, v40, v41, v42
	v_or_b32_e32 v41, 50, v38
	v_or_b32_e32 v38, 51, v38
	v_cmp_gt_i32_e32 vcc, s33, v41
	v_cmp_gt_i32_e64 s[4:5], s33, v38
	s_nop 0
	v_cndmask_b32_e32 v41, v39, v66, vcc
	v_cndmask_b32_e64 v38, v39, v67, s[4:5]
	v_max3_f32 v52, v40, v41, v38
	v_mbcnt_lo_u32_b32 v38, -1, 0
	v_mbcnt_hi_u32_b32 v53, -1, v38
	v_and_b32_e32 v38, 64, v53
	v_add_u32_e32 v54, 64, v38
	v_xor_b32_e32 v38, 32, v53
	v_cmp_lt_i32_e64 s[38:39], v38, v54
	s_nop 1
	v_cndmask_b32_e64 v38, v53, v38, s[38:39]
	v_lshlrev_b32_e32 v89, 2, v38
	ds_bpermute_b32 v55, v89, v52
	global_load_dwordx4 v[46:49], v[34:35], off
	global_load_dwordx4 v[38:41], v[34:35], off offset:16
	v_lshl_add_u64 v[34:35], v[62:63], 0, v[36:37]
	global_load_dwordx4 v[42:45], v[34:35], off
	s_nop 0
	global_load_dwordx4 v[34:37], v[34:35], off offset:16
	s_waitcnt lgkmcnt(0)
	v_max_f32_e32 v55, v55, v55
	v_max_f32_e32 v64, v52, v55
	v_xor_b32_e32 v52, 16, v53
	v_cmp_lt_i32_e64 s[38:39], v52, v54
	s_nop 1
	v_cndmask_b32_e64 v52, v53, v52, s[38:39]
	v_lshlrev_b32_e32 v90, 2, v52
	ds_bpermute_b32 v65, v90, v64
	global_load_dwordx4 v[54:57], v[50:51], off
	s_nop 0
	global_load_dwordx4 v[50:53], v[50:51], off offset:16
	s_waitcnt lgkmcnt(0)
	v_max_f32_e32 v62, v65, v65
	v_max_f32_e32 v88, v64, v62
	v_sub_f32_e32 v60, v60, v88
	v_mul_f32_e32 v60, 0x3fb8aa3b, v60
	v_exp_f32_e32 v68, v60
	v_sub_f32_e32 v60, v61, v88
	v_mul_f32_e32 v60, 0x3fb8aa3b, v60
	v_exp_f32_e32 v69, v60
	global_load_dwordx4 v[62:65], v[58:59], off
	s_nop 0
	global_load_dwordx4 v[58:61], v[58:59], off offset:16
	v_sub_f32_e32 v82, v82, v88
	v_mul_f32_e32 v82, 0x3fb8aa3b, v82
	v_sub_f32_e32 v83, v83, v88
	v_exp_f32_e32 v82, v82
	v_mul_f32_e32 v83, 0x3fb8aa3b, v83
	v_sub_f32_e32 v70, v70, v88
	v_exp_f32_e32 v83, v83
	v_mul_f32_e32 v70, 0x3fb8aa3b, v70
	v_sub_f32_e32 v71, v71, v88
	v_cndmask_b32_e64 v68, 0, v68, s[28:29]
	v_exp_f32_e32 v70, v70
	v_mul_f32_e32 v71, 0x3fb8aa3b, v71
	v_sub_f32_e32 v84, v84, v88
	v_add_f32_e32 v91, 0, v68
	v_cndmask_b32_e64 v69, 0, v69, s[30:31]
	v_exp_f32_e32 v71, v71
	v_mul_f32_e32 v84, 0x3fb8aa3b, v84
	v_sub_f32_e32 v85, v85, v88
	v_add_f32_e32 v91, v91, v69
	;; [unrolled: 5-line block ×10, first 2 shown]
	v_cndmask_b32_e64 v78, 0, v78, s[10:11]
	v_exp_f32_e32 v66, v66
	v_mul_f32_e32 v67, 0x3fb8aa3b, v67
	v_add_f32_e32 v91, v91, v78
	v_cndmask_b32_e64 v79, 0, v79, s[12:13]
	v_exp_f32_e32 v67, v67
	v_add_f32_e32 v91, v91, v79
	v_cndmask_b32_e64 v72, 0, v72, s[6:7]
	v_add_f32_e32 v91, v91, v72
	v_cndmask_b32_e64 v73, 0, v73, s[8:9]
	v_add_f32_e32 v91, v91, v73
	v_cndmask_b32_e32 v66, 0, v66, vcc
	v_add_f32_e32 v91, v91, v66
	v_cndmask_b32_e64 v67, 0, v67, s[4:5]
	v_add_f32_e32 v91, v91, v67
	ds_bpermute_b32 v89, v89, v91
	v_cmp_gt_u32_e32 vcc, 16, v87
	s_waitcnt lgkmcnt(0)
	s_barrier
	v_add_f32_e32 v89, v91, v89
	ds_bpermute_b32 v90, v90, v89
	s_and_saveexec_b64 s[4:5], vcc
	s_cbranch_execz .LBB241_13
; %bb.12:
	s_waitcnt lgkmcnt(0)
	v_add_f32_e32 v87, v89, v90
	v_lshlrev_b32_e32 v75, 2, v75
	ds_write2st64_b32 v75, v88, v87 offset1:1
.LBB241_13:
	s_or_b64 exec, exec, s[4:5]
	v_lshlrev_b32_e32 v75, 2, v76
	s_load_dword s6, s[0:1], 0x94
	s_waitcnt lgkmcnt(0)
	s_barrier
	ds_read2_b32 v[88:89], v75 offset1:16
	ds_read2_b32 v[90:91], v75 offset0:32 offset1:48
	ds_read2_b32 v[92:93], v75 offset0:64 offset1:80
	;; [unrolled: 1-line block ×3, first 2 shown]
	s_waitcnt lgkmcnt(0)
	v_max3_f32 v87, v88, s41, v89
	v_max3_f32 v87, v87, v90, v91
	v_sub_f32_e32 v88, v88, v87
	v_mul_f32_e32 v88, 0x3fb8aa3b, v88
	v_exp_f32_e32 v1, v88
	v_sub_f32_e32 v88, v89, v87
	v_mul_f32_e32 v88, 0x3fb8aa3b, v88
	v_exp_f32_e32 v89, v88
	v_sub_f32_e32 v88, v90, v87
	v_mul_f32_e32 v88, 0x3fb8aa3b, v88
	v_sub_f32_e32 v75, v91, v87
	v_exp_f32_e32 v90, v88
	v_mul_f32_e32 v75, 0x3fb8aa3b, v75
	v_exp_f32_e32 v75, v75
	v_fma_f32 v88, v1, v92, 0
	v_fmac_f32_e32 v88, v89, v93
	v_fmac_f32_e32 v88, v90, v94
	;; [unrolled: 1-line block ×3, first 2 shown]
	v_add_f32_e32 v91, 0x358637bd, v88
	v_div_scale_f32 v92, s[4:5], v91, v91, 1.0
	v_rcp_f32_e32 v93, v92
	s_barrier
	s_mul_i32 s7, s27, 14
	v_fma_f32 v94, -v92, v93, 1.0
	v_fmac_f32_e32 v93, v94, v93
	v_div_scale_f32 v94, vcc, 1.0, v91, 1.0
	v_mul_f32_e32 v95, v94, v93
	v_fma_f32 v86, -v92, v95, v94
	v_fmac_f32_e32 v95, v86, v93
	v_fma_f32 v86, -v92, v95, v94
	v_div_fmas_f32 v86, v86, v93, v95
	v_cmp_eq_u32_e32 vcc, 1, v77
	v_div_fixup_f32 v86, v86, v91, 1.0
	s_nop 0
	v_cndmask_b32_e32 v1, v1, v89, vcc
	v_cmp_eq_u32_e32 vcc, 2, v77
	s_nop 1
	v_cndmask_b32_e32 v1, v1, v90, vcc
	v_cmp_eq_u32_e32 vcc, 3, v77
	s_nop 1
	v_cndmask_b32_e32 v1, v1, v75, vcc
	v_mul_f32_e32 v90, v1, v86
	v_pk_mul_f32 v[82:83], v[90:91], v[82:83] op_sel_hi:[0,1]
	v_pk_mul_f32 v[68:69], v[90:91], v[68:69] op_sel_hi:[0,1]
	v_cvt_f16_f32_e32 v1, v68
	v_cvt_f16_f32_e32 v68, v69
	;; [unrolled: 1-line block ×4, first 2 shown]
	v_pk_mul_f32 v[84:85], v[90:91], v[84:85] op_sel_hi:[0,1]
	v_pk_mul_f32 v[70:71], v[90:91], v[70:71] op_sel_hi:[0,1]
	v_bfe_u32 v86, v0, 4, 2
	v_pack_b32_f16 v83, v69, v75
	v_cvt_f16_f32_e32 v69, v70
	v_cvt_f16_f32_e32 v70, v71
	;; [unrolled: 1-line block ×4, first 2 shown]
	v_pack_b32_f16 v82, v1, v68
	v_lshlrev_b32_e32 v1, 3, v86
	v_lshlrev_b32_e32 v68, 5, v76
	;; [unrolled: 1-line block ×3, first 2 shown]
	v_or3_b32 v75, v75, v68, v1
	v_pack_b32_f16 v70, v69, v70
	v_pack_b32_f16 v71, v71, v84
	ds_write2st64_b64 v75, v[82:83], v[70:71] offset1:1
	v_pk_mul_f32 v[70:71], v[90:91], v[78:79] op_sel_hi:[0,1]
	v_pk_mul_f32 v[78:79], v[90:91], v[80:81] op_sel_hi:[0,1]
	v_cvt_f16_f32_e32 v1, v78
	v_cvt_f16_f32_e32 v77, v70
	;; [unrolled: 1-line block ×3, first 2 shown]
	v_pk_mul_f32 v[66:67], v[90:91], v[66:67] op_sel_hi:[0,1]
	v_pk_mul_f32 v[70:71], v[90:91], v[72:73] op_sel_hi:[0,1]
	v_cvt_f16_f32_e32 v69, v79
	v_cvt_f16_f32_e32 v70, v70
	v_cvt_f16_f32_e32 v71, v71
	v_cvt_f16_f32_e32 v72, v66
	v_cvt_f16_f32_e32 v73, v67
	v_pack_b32_f16 v66, v1, v69
	v_pack_b32_f16 v67, v77, v78
	;; [unrolled: 1-line block ×4, first 2 shown]
	v_cmp_gt_u32_e32 vcc, 14, v0
	ds_write2st64_b64 v75, v[66:67], v[70:71] offset0:2 offset1:3
	s_and_saveexec_b64 s[4:5], vcc
	s_cbranch_execz .LBB241_15
; %bb.14:
	s_mov_b32 s41, 0
	v_mov_b32_e32 v77, 0
	v_lshl_add_u64 v[66:67], s[40:41], 0, v[76:77]
	v_mov_b32_e32 v1, s7
	v_mad_u64_u32 v[66:67], s[12:13], s2, v1, v[66:67]
	s_mul_i32 s3, s3, s7
	v_mov_b32_e32 v70, s26
	v_mov_b32_e32 v71, v77
	s_load_dwordx4 s[8:11], s[0:1], 0x58
	v_add_u32_e32 v1, s3, v67
	v_mad_u64_u32 v[66:67], s[12:13], v66, s6, v[70:71]
	v_mov_b32_e32 v70, v67
	v_mad_u64_u32 v[70:71], s[12:13], v1, s6, v[70:71]
	v_mov_b32_e32 v67, v70
	v_lshlrev_b64 v[66:67], 2, v[66:67]
	s_waitcnt lgkmcnt(0)
	v_lshl_add_u64 v[70:71], s[10:11], 0, v[66:67]
	v_lshl_add_u64 v[66:67], s[8:9], 0, v[66:67]
	global_store_dword v[70:71], v87, off
	global_store_dword v[66:67], v88, off
.LBB241_15:
	s_or_b64 exec, exec, s[4:5]
	v_lshl_or_b32 v1, v86, 9, v68
	s_waitcnt lgkmcnt(0)
	s_barrier
	ds_read_b128 v[70:73], v1
	ds_read_b128 v[66:69], v1 offset:16
	s_waitcnt vmcnt(15) lgkmcnt(1)
	v_mfma_f32_16x16x16_f16 v[78:81], v[30:31], v[70:71], 0
	s_mov_b32 s3, 0
	v_cmp_gt_u32_e32 vcc, 64, v0
	v_mfma_f32_16x16x16_f16 v[30:33], v[32:33], v[72:73], v[78:81]
	s_waitcnt vmcnt(14) lgkmcnt(0)
	v_mfma_f32_16x16x16_f16 v[30:33], v[26:27], v[66:67], v[30:33]
	v_mfma_f32_16x16x16_f16 v[26:29], v[28:29], v[68:69], v[30:33]
	s_nop 5
	ds_read_b128 v[30:33], v1 offset:2048
	ds_read_b128 v[78:81], v1 offset:2064
	s_waitcnt vmcnt(13) lgkmcnt(1)
	v_mfma_f32_16x16x16_f16 v[26:29], v[22:23], v[30:31], v[26:29]
	v_mfma_f32_16x16x16_f16 v[22:25], v[24:25], v[32:33], v[26:29]
	s_waitcnt vmcnt(12) lgkmcnt(0)
	v_mfma_f32_16x16x16_f16 v[22:25], v[18:19], v[78:79], v[22:25]
	v_mfma_f32_16x16x16_f16 v[18:21], v[20:21], v[80:81], v[22:25]
	s_nop 5
	ds_read_b128 v[22:25], v1 offset:4096
	ds_read_b128 v[26:29], v1 offset:4112
	s_waitcnt vmcnt(11) lgkmcnt(1)
	v_mfma_f32_16x16x16_f16 v[18:21], v[14:15], v[22:23], v[18:21]
	v_mfma_f32_16x16x16_f16 v[14:17], v[16:17], v[24:25], v[18:21]
	s_waitcnt vmcnt(10) lgkmcnt(0)
	v_mfma_f32_16x16x16_f16 v[14:17], v[10:11], v[26:27], v[14:17]
	v_mfma_f32_16x16x16_f16 v[10:13], v[12:13], v[28:29], v[14:17]
	s_nop 5
	ds_read_b128 v[14:17], v1 offset:6144
	ds_read_b128 v[18:21], v1 offset:6160
	s_waitcnt lgkmcnt(0)
	s_barrier
	s_waitcnt vmcnt(9)
	v_mfma_f32_16x16x16_f16 v[10:13], v[6:7], v[14:15], v[10:13]
	v_mfma_f32_16x16x16_f16 v[6:9], v[8:9], v[16:17], v[10:13]
	s_waitcnt vmcnt(8)
	v_mfma_f32_16x16x16_f16 v[6:9], v[2:3], v[18:19], v[6:9]
	v_mfma_f32_16x16x16_f16 v[2:5], v[4:5], v[20:21], v[6:9]
	;; [unrolled: 3-line block ×3, first 2 shown]
	s_nop 3
	v_cvt_f16_f32_e32 v1, v2
	v_cvt_f16_f32_e32 v10, v3
	;; [unrolled: 1-line block ×3, first 2 shown]
	s_waitcnt vmcnt(6)
	v_mfma_f32_16x16x16_f16 v[6:9], v[38:39], v[66:67], v[6:9]
	v_cvt_f16_f32_e32 v12, v5
	v_mfma_f32_16x16x16_f16 v[6:9], v[40:41], v[68:69], v[6:9]
	s_waitcnt vmcnt(5)
	v_mfma_f32_16x16x16_f16 v[6:9], v[42:43], v[30:31], v[6:9]
	v_mfma_f32_16x16x16_f16 v[6:9], v[44:45], v[32:33], v[6:9]
	s_waitcnt vmcnt(4)
	v_mfma_f32_16x16x16_f16 v[6:9], v[34:35], v[78:79], v[6:9]
	;; [unrolled: 3-line block ×6, first 2 shown]
	v_mfma_f32_16x16x16_f16 v[2:5], v[60:61], v[20:21], v[6:9]
	s_nop 6
	v_cvt_f16_f32_e32 v6, v2
	v_cvt_f16_f32_e32 v7, v3
	;; [unrolled: 1-line block ×4, first 2 shown]
	v_pack_b32_f16 v2, v1, v10
	v_pack_b32_f16 v3, v11, v12
	;; [unrolled: 1-line block ×4, first 2 shown]
	ds_write2st64_b64 v75, v[2:3], v[4:5] offset1:1
	s_waitcnt lgkmcnt(0)
	s_barrier
	s_and_saveexec_b64 s[4:5], vcc
	s_cbranch_execz .LBB241_18
; %bb.16:
	s_load_dwordx2 s[4:5], s[0:1], 0x68
	s_lshl_b32 s0, s6, 7
	s_mul_i32 s1, s7, s2
	v_lshlrev_b32_e32 v3, 6, v76
	s_mul_hi_u32 s7, s1, s0
	s_mul_i32 s6, s1, s0
	v_lshlrev_b32_e32 v2, 4, v0
	v_lshl_or_b32 v0, v0, 10, v3
	s_lshl_b64 s[6:7], s[6:7], 1
	v_lshlrev_b32_e32 v1, 5, v86
	v_and_b32_e32 v2, 16, v2
	v_and_b32_e32 v0, 0x1a00, v0
	s_waitcnt lgkmcnt(0)
	s_add_u32 s1, s4, s6
	v_or3_b32 v2, v0, v1, v2
	s_addc_u32 s4, s5, s7
	s_lshl_b32 s2, s26, 7
	ds_read_b128 v[4:7], v2 offset:256
	s_lshl_b64 s[2:3], s[2:3], 1
	ds_read_b128 v[8:11], v2 offset:128
	ds_read_b128 v[12:15], v2
	s_add_u32 s2, s1, s2
	s_addc_u32 s3, s4, s3
	v_mov_b32_e32 v75, 0
	v_add_u32_e32 v18, s40, v86
	v_lshl_add_u64 v[0:1], s[2:3], 0, v[74:75]
	v_mad_u64_u32 v[16:17], s[2:3], v18, s0, 0
	v_lshl_add_u64 v[16:17], v[16:17], 1, v[0:1]
	s_waitcnt lgkmcnt(0)
	global_store_dwordx4 v[16:17], v[12:15], off
	v_or_b32_e32 v3, 12, v86
	v_cmp_gt_u32_e32 vcc, 14, v3
	v_add_u32_e32 v12, 4, v18
	v_mad_u64_u32 v[12:13], s[2:3], v12, s0, 0
	v_lshl_add_u64 v[12:13], v[12:13], 1, v[0:1]
	global_store_dwordx4 v[12:13], v[8:11], off
	s_nop 1
	v_add_u32_e32 v8, 8, v18
	v_mad_u64_u32 v[8:9], s[2:3], v8, s0, 0
	v_lshl_add_u64 v[8:9], v[8:9], 1, v[0:1]
	global_store_dwordx4 v[8:9], v[4:7], off
	s_and_b64 exec, exec, vcc
	s_cbranch_execz .LBB241_18
; %bb.17:
	ds_read_b128 v[4:7], v2 offset:384
	v_add_u32_e32 v2, s40, v3
	v_mad_u64_u32 v[2:3], s[0:1], v2, s0, 0
	v_lshl_add_u64 v[0:1], v[2:3], 1, v[0:1]
	s_waitcnt lgkmcnt(0)
	global_store_dwordx4 v[0:1], v[4:7], off
.LBB241_18:
	s_endpgm
	.section	.rodata,"a",@progbits
	.p2align	6, 0x0
	.amdhsa_kernel _Z39paged_attention_ll4mi_QKV_mfma16_kernelIDF16_DF16_LN4vllm18Fp8KVCacheDataTypeE0EhLi16ELi128ELi256ELb0ELi14EEvPKT_PKT0_S7_ifPKiS9_S9_iPKfiiiPfSC_PS2_PT2_iSB_SB_
		.amdhsa_group_segment_fixed_size 8192
		.amdhsa_private_segment_fixed_size 0
		.amdhsa_kernarg_size 400
		.amdhsa_user_sgpr_count 2
		.amdhsa_user_sgpr_dispatch_ptr 0
		.amdhsa_user_sgpr_queue_ptr 0
		.amdhsa_user_sgpr_kernarg_segment_ptr 1
		.amdhsa_user_sgpr_dispatch_id 0
		.amdhsa_user_sgpr_kernarg_preload_length 0
		.amdhsa_user_sgpr_kernarg_preload_offset 0
		.amdhsa_user_sgpr_private_segment_size 0
		.amdhsa_uses_dynamic_stack 0
		.amdhsa_enable_private_segment 0
		.amdhsa_system_sgpr_workgroup_id_x 1
		.amdhsa_system_sgpr_workgroup_id_y 1
		.amdhsa_system_sgpr_workgroup_id_z 1
		.amdhsa_system_sgpr_workgroup_info 0
		.amdhsa_system_vgpr_workitem_id 0
		.amdhsa_next_free_vgpr 96
		.amdhsa_next_free_sgpr 42
		.amdhsa_accum_offset 96
		.amdhsa_reserve_vcc 1
		.amdhsa_float_round_mode_32 0
		.amdhsa_float_round_mode_16_64 0
		.amdhsa_float_denorm_mode_32 3
		.amdhsa_float_denorm_mode_16_64 3
		.amdhsa_dx10_clamp 1
		.amdhsa_ieee_mode 1
		.amdhsa_fp16_overflow 0
		.amdhsa_tg_split 0
		.amdhsa_exception_fp_ieee_invalid_op 0
		.amdhsa_exception_fp_denorm_src 0
		.amdhsa_exception_fp_ieee_div_zero 0
		.amdhsa_exception_fp_ieee_overflow 0
		.amdhsa_exception_fp_ieee_underflow 0
		.amdhsa_exception_fp_ieee_inexact 0
		.amdhsa_exception_int_div_zero 0
	.end_amdhsa_kernel
	.section	.text._Z39paged_attention_ll4mi_QKV_mfma16_kernelIDF16_DF16_LN4vllm18Fp8KVCacheDataTypeE0EhLi16ELi128ELi256ELb0ELi14EEvPKT_PKT0_S7_ifPKiS9_S9_iPKfiiiPfSC_PS2_PT2_iSB_SB_,"axG",@progbits,_Z39paged_attention_ll4mi_QKV_mfma16_kernelIDF16_DF16_LN4vllm18Fp8KVCacheDataTypeE0EhLi16ELi128ELi256ELb0ELi14EEvPKT_PKT0_S7_ifPKiS9_S9_iPKfiiiPfSC_PS2_PT2_iSB_SB_,comdat
.Lfunc_end241:
	.size	_Z39paged_attention_ll4mi_QKV_mfma16_kernelIDF16_DF16_LN4vllm18Fp8KVCacheDataTypeE0EhLi16ELi128ELi256ELb0ELi14EEvPKT_PKT0_S7_ifPKiS9_S9_iPKfiiiPfSC_PS2_PT2_iSB_SB_, .Lfunc_end241-_Z39paged_attention_ll4mi_QKV_mfma16_kernelIDF16_DF16_LN4vllm18Fp8KVCacheDataTypeE0EhLi16ELi128ELi256ELb0ELi14EEvPKT_PKT0_S7_ifPKiS9_S9_iPKfiiiPfSC_PS2_PT2_iSB_SB_
                                        ; -- End function
	.section	.AMDGPU.csdata,"",@progbits
; Kernel info:
; codeLenInByte = 4456
; NumSgprs: 48
; NumVgprs: 96
; NumAgprs: 0
; TotalNumVgprs: 96
; ScratchSize: 0
; MemoryBound: 0
; FloatMode: 240
; IeeeMode: 1
; LDSByteSize: 8192 bytes/workgroup (compile time only)
; SGPRBlocks: 5
; VGPRBlocks: 11
; NumSGPRsForWavesPerEU: 48
; NumVGPRsForWavesPerEU: 96
; AccumOffset: 96
; Occupancy: 5
; WaveLimiterHint : 1
; COMPUTE_PGM_RSRC2:SCRATCH_EN: 0
; COMPUTE_PGM_RSRC2:USER_SGPR: 2
; COMPUTE_PGM_RSRC2:TRAP_HANDLER: 0
; COMPUTE_PGM_RSRC2:TGID_X_EN: 1
; COMPUTE_PGM_RSRC2:TGID_Y_EN: 1
; COMPUTE_PGM_RSRC2:TGID_Z_EN: 1
; COMPUTE_PGM_RSRC2:TIDIG_COMP_CNT: 0
; COMPUTE_PGM_RSRC3_GFX90A:ACCUM_OFFSET: 23
; COMPUTE_PGM_RSRC3_GFX90A:TG_SPLIT: 0
	.section	.text._Z39paged_attention_ll4mi_QKV_mfma16_kernelIDF16_DF16_LN4vllm18Fp8KVCacheDataTypeE0EhLi16ELi128ELi256ELb0ELi15EEvPKT_PKT0_S7_ifPKiS9_S9_iPKfiiiPfSC_PS2_PT2_iSB_SB_,"axG",@progbits,_Z39paged_attention_ll4mi_QKV_mfma16_kernelIDF16_DF16_LN4vllm18Fp8KVCacheDataTypeE0EhLi16ELi128ELi256ELb0ELi15EEvPKT_PKT0_S7_ifPKiS9_S9_iPKfiiiPfSC_PS2_PT2_iSB_SB_,comdat
	.protected	_Z39paged_attention_ll4mi_QKV_mfma16_kernelIDF16_DF16_LN4vllm18Fp8KVCacheDataTypeE0EhLi16ELi128ELi256ELb0ELi15EEvPKT_PKT0_S7_ifPKiS9_S9_iPKfiiiPfSC_PS2_PT2_iSB_SB_ ; -- Begin function _Z39paged_attention_ll4mi_QKV_mfma16_kernelIDF16_DF16_LN4vllm18Fp8KVCacheDataTypeE0EhLi16ELi128ELi256ELb0ELi15EEvPKT_PKT0_S7_ifPKiS9_S9_iPKfiiiPfSC_PS2_PT2_iSB_SB_
	.globl	_Z39paged_attention_ll4mi_QKV_mfma16_kernelIDF16_DF16_LN4vllm18Fp8KVCacheDataTypeE0EhLi16ELi128ELi256ELb0ELi15EEvPKT_PKT0_S7_ifPKiS9_S9_iPKfiiiPfSC_PS2_PT2_iSB_SB_
	.p2align	8
	.type	_Z39paged_attention_ll4mi_QKV_mfma16_kernelIDF16_DF16_LN4vllm18Fp8KVCacheDataTypeE0EhLi16ELi128ELi256ELb0ELi15EEvPKT_PKT0_S7_ifPKiS9_S9_iPKfiiiPfSC_PS2_PT2_iSB_SB_,@function
_Z39paged_attention_ll4mi_QKV_mfma16_kernelIDF16_DF16_LN4vllm18Fp8KVCacheDataTypeE0EhLi16ELi128ELi256ELb0ELi15EEvPKT_PKT0_S7_ifPKiS9_S9_iPKfiiiPfSC_PS2_PT2_iSB_SB_: ; @_Z39paged_attention_ll4mi_QKV_mfma16_kernelIDF16_DF16_LN4vllm18Fp8KVCacheDataTypeE0EhLi16ELi128ELi256ELb0ELi15EEvPKT_PKT0_S7_ifPKiS9_S9_iPKfiiiPfSC_PS2_PT2_iSB_SB_
; %bb.0:
	s_load_dwordx2 s[8:9], s[0:1], 0x30
	s_mov_b32 s26, s3
	s_mov_b64 s[6:7], 0
	s_waitcnt lgkmcnt(0)
	s_cmp_lg_u64 s[8:9], 0
	s_cselect_b64 s[10:11], -1, 0
	s_and_b64 vcc, exec, s[10:11]
	s_cbranch_vccz .LBB242_7
; %bb.1:
	s_add_i32 s12, s2, 1
	s_mov_b32 s13, 0
	s_lshl_b64 s[14:15], s[12:13], 2
	s_add_u32 s14, s8, s14
	s_mov_b32 s3, s13
	s_addc_u32 s15, s9, s15
	s_lshl_b64 s[12:13], s[2:3], 2
	s_add_u32 s12, s8, s12
	s_addc_u32 s13, s9, s13
	s_load_dword s5, s[14:15], 0x0
	s_load_dword s16, s[12:13], 0x0
	s_waitcnt lgkmcnt(0)
	s_sub_i32 s5, s5, s16
	s_cmp_eq_u32 s5, 1
	s_cselect_b64 s[12:13], -1, 0
	s_andn2_b64 vcc, exec, s[6:7]
	s_cbranch_vccnz .LBB242_3
.LBB242_2:
	s_mov_b32 s3, 0
	s_mov_b64 s[12:13], -1
.LBB242_3:
	s_andn2_b64 vcc, exec, s[12:13]
	s_cbranch_vccnz .LBB242_18
; %bb.4:
	s_load_dwordx2 s[6:7], s[0:1], 0x28
	s_lshl_b64 s[16:17], s[2:3], 2
	s_waitcnt lgkmcnt(0)
	s_add_u32 s6, s6, s16
	s_addc_u32 s7, s7, s17
	s_load_dword s33, s[6:7], 0x0
	s_lshl_b32 s18, s26, 8
	s_waitcnt lgkmcnt(0)
	s_cmp_ge_i32 s18, s33
	s_cbranch_scc1 .LBB242_18
; %bb.5:
	s_load_dwordx2 s[6:7], s[0:1], 0x20
	s_load_dword s5, s[0:1], 0x38
	s_add_i32 s12, s33, 15
	s_ashr_i32 s13, s12, 31
	v_and_b32_e32 v1, 0xcf, v0
	s_lshr_b32 s13, s13, 28
	v_add_u32_e32 v1, s18, v1
	s_add_i32 s12, s12, s13
	v_ashrrev_i32_e32 v2, 31, v1
	s_ashr_i32 s19, s12, 4
	v_lshrrev_b32_e32 v4, 28, v2
	s_add_i32 s19, s19, -1
	s_waitcnt lgkmcnt(0)
	s_mul_i32 s12, s2, s5
	s_mov_b32 s13, 0
	v_add_u32_e32 v2, v1, v4
	s_lshl_b64 s[12:13], s[12:13], 2
	v_ashrrev_i32_e32 v2, 4, v2
	v_mov_b32_e32 v5, s19
	v_cmp_gt_i32_e32 vcc, s33, v1
	s_add_u32 s6, s6, s12
	s_addc_u32 s7, s7, s13
	v_cndmask_b32_e32 v2, v5, v2, vcc
	v_ashrrev_i32_e32 v3, 31, v2
	v_lshl_add_u64 v[6:7], v[2:3], 2, s[6:7]
	v_or_b32_e32 v2, 16, v1
	v_add_u32_e32 v3, v2, v4
	v_ashrrev_i32_e32 v3, 4, v3
	v_cmp_gt_i32_e32 vcc, s33, v2
	s_load_dwordx4 s[12:15], s[0:1], 0x8
	s_nop 0
	v_cndmask_b32_e32 v2, v5, v3, vcc
	v_ashrrev_i32_e32 v3, 31, v2
	v_lshl_add_u64 v[8:9], v[2:3], 2, s[6:7]
	v_or_b32_e32 v2, 32, v1
	v_add_u32_e32 v3, v2, v4
	v_ashrrev_i32_e32 v3, 4, v3
	v_cmp_gt_i32_e32 vcc, s33, v2
	v_or_b32_e32 v1, 48, v1
	s_nop 0
	v_cndmask_b32_e32 v2, v5, v3, vcc
	v_ashrrev_i32_e32 v3, 31, v2
	v_lshl_add_u64 v[10:11], v[2:3], 2, s[6:7]
	v_add_u32_e32 v2, v1, v4
	v_ashrrev_i32_e32 v2, 4, v2
	v_cmp_gt_i32_e32 vcc, s33, v1
	s_nop 1
	v_cndmask_b32_e32 v2, v5, v2, vcc
	v_ashrrev_i32_e32 v3, 31, v2
	v_lshl_add_u64 v[12:13], v[2:3], 2, s[6:7]
	global_load_dword v4, v[6:7], off
	global_load_dword v3, v[8:9], off
	;; [unrolled: 1-line block ×4, first 2 shown]
	s_andn2_b64 vcc, exec, s[10:11]
	s_cbranch_vccnz .LBB242_8
; %bb.6:
	s_add_u32 s8, s8, s16
	s_addc_u32 s9, s9, s17
	s_load_dword s5, s[8:9], 0x0
	s_branch .LBB242_9
.LBB242_7:
	s_mov_b64 s[12:13], 0
	s_branch .LBB242_2
.LBB242_8:
	s_mov_b32 s5, s2
.LBB242_9:
	s_load_dwordx4 s[8:11], s[0:1], 0x48
	v_lshrrev_b32_e32 v77, 6, v0
	v_bfe_u32 v86, v0, 4, 2
	v_and_b32_e32 v76, 15, v0
	v_lshl_or_b32 v1, v77, 2, v86
	v_lshlrev_b32_e32 v5, 3, v76
	v_and_b32_e32 v87, 63, v0
	s_mul_i32 s40, s4, 15
	v_cmp_gt_u32_e32 vcc, 15, v1
	v_lshlrev_b32_e32 v74, 1, v5
	s_and_saveexec_b64 s[16:17], vcc
	s_cbranch_execz .LBB242_11
; %bb.10:
	s_load_dwordx2 s[20:21], s[0:1], 0x0
	s_waitcnt lgkmcnt(0)
	s_ashr_i32 s11, s8, 31
	s_mul_hi_u32 s22, s5, s8
	s_mul_i32 s11, s5, s11
	s_add_i32 s23, s22, s11
	s_mul_i32 s22, s5, s8
	s_lshl_b64 s[22:23], s[22:23], 1
	s_add_u32 s20, s20, s22
	v_add_lshl_u32 v6, v1, s40, 7
	s_addc_u32 s21, s21, s23
	v_ashrrev_i32_e32 v7, 31, v6
	v_lshl_add_u64 v[6:7], v[6:7], 1, s[20:21]
	v_mov_b32_e32 v75, 0
	v_lshl_add_u64 v[6:7], v[6:7], 0, v[74:75]
	global_load_dwordx4 v[6:9], v[6:7], off
	v_and_b32_e32 v5, 3, v0
	v_lshlrev_b32_e32 v10, 9, v76
	v_lshlrev_b32_e32 v1, 5, v1
	v_lshlrev_b32_e32 v5, 9, v5
	v_and_b32_e32 v10, 0x1800, v10
	v_or3_b32 v1, v10, v5, v1
	s_waitcnt vmcnt(0)
	ds_write_b128 v1, v[6:9]
.LBB242_11:
	s_or_b64 exec, exec, s[16:17]
	s_waitcnt lgkmcnt(0)
	s_mov_b32 s5, 0
	s_mul_i32 s4, s4, s10
	s_lshl_b64 s[4:5], s[4:5], 1
	s_add_u32 s10, s12, s4
	v_lshlrev_b32_e32 v1, 4, v0
	v_mov_b32_e32 v35, 0
	s_addc_u32 s11, s13, s5
	v_and_b32_e32 v34, 0xf0, v1
	v_lshl_add_u64 v[30:31], s[10:11], 0, v[34:35]
	s_waitcnt vmcnt(3)
	v_mad_i64_i32 v[4:5], s[10:11], v4, s9, 0
	v_lshl_add_u64 v[4:5], v[4:5], 1, v[30:31]
	v_and_b32_e32 v34, 0x300, v1
	v_lshl_add_u64 v[32:33], v[4:5], 0, v[34:35]
	s_load_dword s27, s[0:1], 0x98
	s_load_dword s8, s[0:1], 0x1c
	s_waitcnt lgkmcnt(0)
	s_barrier
	global_load_dwordx4 v[6:9], v[32:33], off
	global_load_dwordx4 v[22:25], v[32:33], off offset:1024
	s_waitcnt vmcnt(4)
	v_mad_i64_i32 v[4:5], s[10:11], v3, s9, 0
	s_waitcnt vmcnt(3)
	v_mad_i64_i32 v[2:3], s[10:11], v2, s9, 0
	v_lshl_add_u64 v[4:5], v[4:5], 1, v[30:31]
	v_lshl_add_u64 v[2:3], v[2:3], 1, v[30:31]
	;; [unrolled: 1-line block ×4, first 2 shown]
	global_load_dwordx4 v[14:17], v[36:37], off
	global_load_dwordx4 v[18:21], v[36:37], off offset:1024
	global_load_dwordx4 v[26:29], v[38:39], off
	global_load_dwordx4 v[46:49], v[38:39], off offset:1024
	v_cmp_ne_u32_e32 vcc, 15, v76
	global_load_dwordx4 v[54:57], v[32:33], off offset:2048
	v_mov_b32_e32 v75, s19
	v_cndmask_b32_e32 v2, 0, v76, vcc
	v_lshlrev_b32_e32 v2, 5, v2
	v_lshl_or_b32 v41, v86, 9, v2
	ds_read_b128 v[10:13], v41
	ds_read_b128 v[2:5], v41 offset:2048
	global_load_dwordx4 v[62:65], v[36:37], off offset:2048
	s_add_u32 s4, s14, s4
	s_addc_u32 s5, s15, s5
	s_mov_b32 s41, 0xff7fffff
	s_waitcnt vmcnt(7) lgkmcnt(1)
	v_mfma_f32_16x16x16_f16 v[42:45], v[6:7], v[10:11], 0
	v_mfma_f32_16x16x16_f16 v[6:9], v[8:9], v[12:13], v[42:45]
	s_nop 5
	global_load_dwordx4 v[42:45], v[38:39], off offset:2048
	s_waitcnt vmcnt(6)
	v_mfma_f32_16x16x16_f16 v[50:53], v[14:15], v[10:11], 0
	s_waitcnt vmcnt(4)
	v_mfma_f32_16x16x16_f16 v[58:61], v[26:27], v[10:11], 0
	v_mfma_f32_16x16x16_f16 v[14:17], v[16:17], v[12:13], v[50:53]
	;; [unrolled: 1-line block ×3, first 2 shown]
	s_nop 2
	global_load_dwordx4 v[50:53], v[32:33], off offset:3072
	v_mad_i64_i32 v[32:33], s[10:11], v40, s9, 0
	global_load_dwordx4 v[58:61], v[36:37], off offset:3072
	v_and_or_b32 v40, v0, 48, s18
	s_waitcnt lgkmcnt(0)
	v_mfma_f32_16x16x16_f16 v[6:9], v[22:23], v[2:3], v[6:9]
	v_ashrrev_i32_e32 v22, 4, v40
	v_cmp_gt_i32_e32 vcc, s33, v40
	v_or_b32_e32 v78, 64, v40
	v_mfma_f32_16x16x16_f16 v[14:17], v[18:19], v[2:3], v[14:17]
	v_cndmask_b32_e32 v18, v75, v22, vcc
	v_or_b32_e32 v79, 0x80, v40
	v_or_b32_e32 v80, 0xc0, v40
	s_waitcnt vmcnt(5)
	v_mfma_f32_16x16x16_f16 v[26:29], v[46:47], v[2:3], v[26:29]
	v_ashrrev_i32_e32 v40, 4, v78
	v_ashrrev_i32_e32 v19, 31, v18
	v_cmp_gt_i32_e32 vcc, s33, v78
	v_ashrrev_i32_e32 v46, 4, v79
	v_lshl_add_u64 v[18:19], v[18:19], 2, s[6:7]
	v_cndmask_b32_e32 v36, v75, v40, vcc
	v_cmp_gt_i32_e32 vcc, s33, v79
	ds_read_b128 v[66:69], v41 offset:4096
	ds_read_b128 v[70:73], v41 offset:6144
	v_mfma_f32_16x16x16_f16 v[14:17], v[20:21], v[4:5], v[14:17]
	global_load_dword v78, v[18:19], off
	v_ashrrev_i32_e32 v37, 31, v36
	v_mfma_f32_16x16x16_f16 v[18:21], v[48:49], v[4:5], v[26:29]
	s_nop 2
	v_cndmask_b32_e32 v28, v75, v46, vcc
	v_mfma_f32_16x16x16_f16 v[6:9], v[24:25], v[4:5], v[6:9]
	global_load_dwordx4 v[22:25], v[38:39], off offset:3072
	v_ashrrev_i32_e32 v29, 31, v28
	v_lshl_add_u64 v[26:27], v[36:37], 2, s[6:7]
	v_lshl_add_u64 v[28:29], v[28:29], 2, s[6:7]
	global_load_dword v36, v[26:27], off
	global_load_dword v82, v[28:29], off
	v_lshl_add_u64 v[26:27], v[32:33], 1, v[30:31]
	v_lshl_add_u64 v[26:27], v[26:27], 0, v[34:35]
	global_load_dwordx4 v[38:41], v[26:27], off
	global_load_dwordx4 v[46:49], v[26:27], off offset:1024
	s_waitcnt vmcnt(10) lgkmcnt(1)
	v_mfma_f32_16x16x16_f16 v[6:9], v[54:55], v[66:67], v[6:9]
	v_ashrrev_i32_e32 v37, 4, v80
	v_cmp_gt_i32_e32 vcc, s33, v80
	v_mfma_f32_16x16x16_f16 v[6:9], v[56:57], v[68:69], v[6:9]
	s_nop 0
	v_cndmask_b32_e32 v28, v75, v37, vcc
	v_ashrrev_i32_e32 v29, 31, v28
	v_lshl_add_u64 v[28:29], v[28:29], 2, s[6:7]
	global_load_dword v83, v[28:29], off
	s_waitcnt vmcnt(10)
	v_mfma_f32_16x16x16_f16 v[14:17], v[62:63], v[66:67], v[14:17]
	v_lshl_or_b32 v75, v77, 4, v76
	v_lshlrev_b32_e32 v34, 5, v75
	v_lshl_add_u64 v[62:63], s[4:5], 0, v[34:35]
	s_waitcnt vmcnt(9)
	v_mfma_f32_16x16x16_f16 v[18:21], v[42:43], v[66:67], v[18:21]
	global_load_dwordx4 v[54:57], v[26:27], off offset:3072
	v_or_b32_e32 v34, 0x800, v34
	v_mfma_f32_16x16x16_f16 v[18:21], v[44:45], v[68:69], v[18:21]
	global_load_dwordx4 v[42:45], v[26:27], off offset:2048
	s_waitcnt vmcnt(10) lgkmcnt(0)
	v_mfma_f32_16x16x16_f16 v[6:9], v[50:51], v[70:71], v[6:9]
	s_waitcnt vmcnt(7)
	v_mfma_f32_16x16x16_f16 v[18:21], v[22:23], v[70:71], v[18:21]
	v_mad_i64_i32 v[22:23], s[6:7], v78, s9, 0
	v_mfma_f32_16x16x16_f16 v[78:81], v[52:53], v[72:73], v[6:9]
	s_waitcnt vmcnt(6)
	s_nop 1
	v_mad_i64_i32 v[6:7], s[6:7], v36, s9, 0
	v_mfma_f32_16x16x16_f16 v[14:17], v[64:65], v[68:69], v[14:17]
	v_lshlrev_b64 v[64:65], 1, v[22:23]
	v_lshlrev_b64 v[36:37], 1, v[6:7]
	v_lshl_add_u64 v[8:9], v[62:63], 0, v[64:65]
	v_lshl_add_u64 v[6:7], v[62:63], 0, v[36:37]
	global_load_dwordx4 v[30:33], v[8:9], off
	global_load_dwordx4 v[26:29], v[8:9], off offset:16
	v_mfma_f32_16x16x16_f16 v[92:95], v[24:25], v[72:73], v[18:21]
	global_load_dwordx4 v[22:25], v[6:7], off
	s_nop 1
	global_load_dwordx4 v[18:21], v[6:7], off offset:16
	s_waitcnt vmcnt(8)
	v_mfma_f32_16x16x16_f16 v[6:9], v[38:39], v[10:11], 0
	v_mad_i64_i32 v[10:11], s[6:7], v82, s9, 0
	v_lshlrev_b64 v[50:51], 1, v[10:11]
	v_mfma_f32_16x16x16_f16 v[6:9], v[40:41], v[12:13], v[6:9]
	v_lshl_add_u64 v[10:11], v[62:63], 0, v[50:51]
	s_waitcnt vmcnt(7)
	v_mfma_f32_16x16x16_f16 v[6:9], v[46:47], v[2:3], v[6:9]
	s_waitcnt vmcnt(6)
	v_mad_i64_i32 v[2:3], s[6:7], v83, s9, 0
	v_pk_mul_f32 v[82:83], s[8:9], v[80:81] op_sel_hi:[0,1]
	v_mfma_f32_16x16x16_f16 v[38:41], v[48:49], v[4:5], v[6:9]
	v_pk_mul_f32 v[80:81], s[8:9], v[92:93] op_sel_hi:[0,1]
	s_waitcnt vmcnt(4)
	v_mfma_f32_16x16x16_f16 v[38:41], v[42:43], v[66:67], v[38:41]
	v_mfma_f32_16x16x16_f16 v[38:41], v[44:45], v[68:69], v[38:41]
	;; [unrolled: 1-line block ×4, first 2 shown]
	v_lshlrev_b64 v[58:59], 1, v[2:3]
	v_lshl_add_u64 v[2:3], v[62:63], 0, v[58:59]
	v_lshl_add_u64 v[62:63], s[4:5], 0, v[34:35]
	v_mfma_f32_16x16x16_f16 v[38:41], v[56:57], v[72:73], v[38:41]
	v_lshl_add_u64 v[34:35], v[62:63], 0, v[64:65]
	v_lshl_add_u64 v[50:51], v[62:63], 0, v[50:51]
	;; [unrolled: 1-line block ×3, first 2 shown]
	v_mfma_f32_16x16x16_f16 v[88:91], v[60:61], v[72:73], v[14:17]
	v_pk_mul_f32 v[60:61], s[8:9], v[78:79] op_sel_hi:[0,1]
	s_nop 1
	v_pk_mul_f32 v[72:73], s[8:9], v[38:39] op_sel_hi:[0,1]
	v_and_b32_e32 v38, 0xc0, v0
	v_add_u32_e32 v38, s18, v38
	v_lshl_or_b32 v38, v86, 2, v38
	v_pk_mul_f32 v[66:67], s[8:9], v[40:41] op_sel_hi:[0,1]
	v_or_b32_e32 v41, 1, v38
	v_mov_b32_e32 v39, 0xff7fffff
	v_cmp_gt_i32_e64 s[28:29], s33, v38
	v_cmp_gt_i32_e64 s[30:31], s33, v41
	v_or_b32_e32 v42, 3, v38
	v_cndmask_b32_e64 v40, v39, v60, s[28:29]
	v_cndmask_b32_e64 v41, v39, v61, s[30:31]
	v_max3_f32 v40, v40, s41, v41
	v_or_b32_e32 v41, 2, v38
	v_cmp_gt_i32_e64 s[34:35], s33, v41
	v_cmp_gt_i32_e64 s[36:37], s33, v42
	v_pk_mul_f32 v[70:71], s[8:9], v[88:89] op_sel_hi:[0,1]
	v_cndmask_b32_e64 v41, v39, v82, s[34:35]
	v_cndmask_b32_e64 v42, v39, v83, s[36:37]
	v_max3_f32 v40, v40, v41, v42
	v_or_b32_e32 v41, 16, v38
	v_or_b32_e32 v42, 17, v38
	v_cmp_gt_i32_e64 s[22:23], s33, v41
	v_cmp_gt_i32_e64 s[24:25], s33, v42
	v_pk_mul_f32 v[84:85], s[8:9], v[90:91] op_sel_hi:[0,1]
	v_cndmask_b32_e64 v41, v39, v70, s[22:23]
	v_cndmask_b32_e64 v42, v39, v71, s[24:25]
	v_max3_f32 v40, v40, v41, v42
	v_or_b32_e32 v41, 18, v38
	v_or_b32_e32 v42, 19, v38
	v_cmp_gt_i32_e64 s[18:19], s33, v41
	v_cmp_gt_i32_e64 s[20:21], s33, v42
	v_pk_mul_f32 v[78:79], s[8:9], v[94:95] op_sel_hi:[0,1]
	v_cndmask_b32_e64 v41, v39, v84, s[18:19]
	v_cndmask_b32_e64 v42, v39, v85, s[20:21]
	v_max3_f32 v40, v40, v41, v42
	v_or_b32_e32 v41, 32, v38
	v_or_b32_e32 v42, 33, v38
	v_cmp_gt_i32_e64 s[14:15], s33, v41
	v_cmp_gt_i32_e64 s[16:17], s33, v42
	global_load_dwordx4 v[14:17], v[10:11], off
	s_nop 0
	global_load_dwordx4 v[10:13], v[10:11], off offset:16
	v_cndmask_b32_e64 v41, v39, v80, s[14:15]
	v_cndmask_b32_e64 v42, v39, v81, s[16:17]
	v_max3_f32 v40, v40, v41, v42
	v_or_b32_e32 v41, 34, v38
	v_or_b32_e32 v42, 35, v38
	v_cmp_gt_i32_e64 s[10:11], s33, v41
	v_cmp_gt_i32_e64 s[12:13], s33, v42
	global_load_dwordx4 v[6:9], v[2:3], off
	s_nop 0
	global_load_dwordx4 v[2:5], v[2:3], off offset:16
	v_cndmask_b32_e64 v41, v39, v78, s[10:11]
	v_cndmask_b32_e64 v42, v39, v79, s[12:13]
	v_max3_f32 v40, v40, v41, v42
	v_or_b32_e32 v41, 48, v38
	v_or_b32_e32 v42, 49, v38
	v_cmp_gt_i32_e64 s[6:7], s33, v41
	v_cmp_gt_i32_e64 s[8:9], s33, v42
	s_nop 0
	v_cndmask_b32_e64 v41, v39, v72, s[6:7]
	v_cndmask_b32_e64 v42, v39, v73, s[8:9]
	v_max3_f32 v40, v40, v41, v42
	v_or_b32_e32 v41, 50, v38
	v_or_b32_e32 v38, 51, v38
	v_cmp_gt_i32_e32 vcc, s33, v41
	v_cmp_gt_i32_e64 s[4:5], s33, v38
	s_nop 0
	v_cndmask_b32_e32 v41, v39, v66, vcc
	v_cndmask_b32_e64 v38, v39, v67, s[4:5]
	v_max3_f32 v52, v40, v41, v38
	v_mbcnt_lo_u32_b32 v38, -1, 0
	v_mbcnt_hi_u32_b32 v53, -1, v38
	v_and_b32_e32 v38, 64, v53
	v_add_u32_e32 v54, 64, v38
	v_xor_b32_e32 v38, 32, v53
	v_cmp_lt_i32_e64 s[38:39], v38, v54
	s_nop 1
	v_cndmask_b32_e64 v38, v53, v38, s[38:39]
	v_lshlrev_b32_e32 v89, 2, v38
	ds_bpermute_b32 v55, v89, v52
	global_load_dwordx4 v[46:49], v[34:35], off
	global_load_dwordx4 v[38:41], v[34:35], off offset:16
	v_lshl_add_u64 v[34:35], v[62:63], 0, v[36:37]
	global_load_dwordx4 v[42:45], v[34:35], off
	s_nop 0
	global_load_dwordx4 v[34:37], v[34:35], off offset:16
	s_waitcnt lgkmcnt(0)
	v_max_f32_e32 v55, v55, v55
	v_max_f32_e32 v64, v52, v55
	v_xor_b32_e32 v52, 16, v53
	v_cmp_lt_i32_e64 s[38:39], v52, v54
	s_nop 1
	v_cndmask_b32_e64 v52, v53, v52, s[38:39]
	v_lshlrev_b32_e32 v90, 2, v52
	ds_bpermute_b32 v65, v90, v64
	global_load_dwordx4 v[54:57], v[50:51], off
	s_nop 0
	global_load_dwordx4 v[50:53], v[50:51], off offset:16
	s_waitcnt lgkmcnt(0)
	v_max_f32_e32 v62, v65, v65
	v_max_f32_e32 v88, v64, v62
	v_sub_f32_e32 v60, v60, v88
	v_mul_f32_e32 v60, 0x3fb8aa3b, v60
	v_exp_f32_e32 v68, v60
	v_sub_f32_e32 v60, v61, v88
	v_mul_f32_e32 v60, 0x3fb8aa3b, v60
	v_exp_f32_e32 v69, v60
	global_load_dwordx4 v[62:65], v[58:59], off
	s_nop 0
	global_load_dwordx4 v[58:61], v[58:59], off offset:16
	v_sub_f32_e32 v82, v82, v88
	v_mul_f32_e32 v82, 0x3fb8aa3b, v82
	v_sub_f32_e32 v83, v83, v88
	v_exp_f32_e32 v82, v82
	v_mul_f32_e32 v83, 0x3fb8aa3b, v83
	v_sub_f32_e32 v70, v70, v88
	v_exp_f32_e32 v83, v83
	v_mul_f32_e32 v70, 0x3fb8aa3b, v70
	v_sub_f32_e32 v71, v71, v88
	v_cndmask_b32_e64 v68, 0, v68, s[28:29]
	v_exp_f32_e32 v70, v70
	v_mul_f32_e32 v71, 0x3fb8aa3b, v71
	v_sub_f32_e32 v84, v84, v88
	v_add_f32_e32 v91, 0, v68
	v_cndmask_b32_e64 v69, 0, v69, s[30:31]
	v_exp_f32_e32 v71, v71
	v_mul_f32_e32 v84, 0x3fb8aa3b, v84
	v_sub_f32_e32 v85, v85, v88
	v_add_f32_e32 v91, v91, v69
	;; [unrolled: 5-line block ×10, first 2 shown]
	v_cndmask_b32_e64 v78, 0, v78, s[10:11]
	v_exp_f32_e32 v66, v66
	v_mul_f32_e32 v67, 0x3fb8aa3b, v67
	v_add_f32_e32 v91, v91, v78
	v_cndmask_b32_e64 v79, 0, v79, s[12:13]
	v_exp_f32_e32 v67, v67
	v_add_f32_e32 v91, v91, v79
	v_cndmask_b32_e64 v72, 0, v72, s[6:7]
	v_add_f32_e32 v91, v91, v72
	v_cndmask_b32_e64 v73, 0, v73, s[8:9]
	v_add_f32_e32 v91, v91, v73
	v_cndmask_b32_e32 v66, 0, v66, vcc
	v_add_f32_e32 v91, v91, v66
	v_cndmask_b32_e64 v67, 0, v67, s[4:5]
	v_add_f32_e32 v91, v91, v67
	ds_bpermute_b32 v89, v89, v91
	v_cmp_gt_u32_e32 vcc, 16, v87
	s_waitcnt lgkmcnt(0)
	s_barrier
	v_add_f32_e32 v89, v91, v89
	ds_bpermute_b32 v90, v90, v89
	s_and_saveexec_b64 s[4:5], vcc
	s_cbranch_execz .LBB242_13
; %bb.12:
	s_waitcnt lgkmcnt(0)
	v_add_f32_e32 v87, v89, v90
	v_lshlrev_b32_e32 v75, 2, v75
	ds_write2st64_b32 v75, v88, v87 offset1:1
.LBB242_13:
	s_or_b64 exec, exec, s[4:5]
	v_lshlrev_b32_e32 v75, 2, v76
	s_load_dword s6, s[0:1], 0x94
	s_waitcnt lgkmcnt(0)
	s_barrier
	ds_read2_b32 v[88:89], v75 offset1:16
	ds_read2_b32 v[90:91], v75 offset0:32 offset1:48
	ds_read2_b32 v[92:93], v75 offset0:64 offset1:80
	;; [unrolled: 1-line block ×3, first 2 shown]
	s_waitcnt lgkmcnt(0)
	v_max3_f32 v87, v88, s41, v89
	v_max3_f32 v87, v87, v90, v91
	v_sub_f32_e32 v88, v88, v87
	v_mul_f32_e32 v88, 0x3fb8aa3b, v88
	v_exp_f32_e32 v1, v88
	v_sub_f32_e32 v88, v89, v87
	v_mul_f32_e32 v88, 0x3fb8aa3b, v88
	v_exp_f32_e32 v89, v88
	v_sub_f32_e32 v88, v90, v87
	v_mul_f32_e32 v88, 0x3fb8aa3b, v88
	v_sub_f32_e32 v75, v91, v87
	v_exp_f32_e32 v90, v88
	v_mul_f32_e32 v75, 0x3fb8aa3b, v75
	v_exp_f32_e32 v75, v75
	v_fma_f32 v88, v1, v92, 0
	v_fmac_f32_e32 v88, v89, v93
	v_fmac_f32_e32 v88, v90, v94
	;; [unrolled: 1-line block ×3, first 2 shown]
	v_add_f32_e32 v91, 0x358637bd, v88
	v_div_scale_f32 v92, s[4:5], v91, v91, 1.0
	v_rcp_f32_e32 v93, v92
	s_barrier
	s_mul_i32 s7, s27, 15
	v_fma_f32 v94, -v92, v93, 1.0
	v_fmac_f32_e32 v93, v94, v93
	v_div_scale_f32 v94, vcc, 1.0, v91, 1.0
	v_mul_f32_e32 v95, v94, v93
	v_fma_f32 v86, -v92, v95, v94
	v_fmac_f32_e32 v95, v86, v93
	v_fma_f32 v86, -v92, v95, v94
	v_div_fmas_f32 v86, v86, v93, v95
	v_cmp_eq_u32_e32 vcc, 1, v77
	v_div_fixup_f32 v86, v86, v91, 1.0
	s_nop 0
	v_cndmask_b32_e32 v1, v1, v89, vcc
	v_cmp_eq_u32_e32 vcc, 2, v77
	s_nop 1
	v_cndmask_b32_e32 v1, v1, v90, vcc
	v_cmp_eq_u32_e32 vcc, 3, v77
	s_nop 1
	v_cndmask_b32_e32 v1, v1, v75, vcc
	v_mul_f32_e32 v90, v1, v86
	v_pk_mul_f32 v[82:83], v[90:91], v[82:83] op_sel_hi:[0,1]
	v_pk_mul_f32 v[68:69], v[90:91], v[68:69] op_sel_hi:[0,1]
	v_cvt_f16_f32_e32 v1, v68
	v_cvt_f16_f32_e32 v68, v69
	;; [unrolled: 1-line block ×4, first 2 shown]
	v_pk_mul_f32 v[84:85], v[90:91], v[84:85] op_sel_hi:[0,1]
	v_pk_mul_f32 v[70:71], v[90:91], v[70:71] op_sel_hi:[0,1]
	v_bfe_u32 v86, v0, 4, 2
	v_pack_b32_f16 v83, v69, v75
	v_cvt_f16_f32_e32 v69, v70
	v_cvt_f16_f32_e32 v70, v71
	;; [unrolled: 1-line block ×4, first 2 shown]
	v_pack_b32_f16 v82, v1, v68
	v_lshlrev_b32_e32 v1, 3, v86
	v_lshlrev_b32_e32 v68, 5, v76
	;; [unrolled: 1-line block ×3, first 2 shown]
	v_or3_b32 v75, v75, v68, v1
	v_pack_b32_f16 v70, v69, v70
	v_pack_b32_f16 v71, v71, v84
	ds_write2st64_b64 v75, v[82:83], v[70:71] offset1:1
	v_pk_mul_f32 v[70:71], v[90:91], v[78:79] op_sel_hi:[0,1]
	v_pk_mul_f32 v[78:79], v[90:91], v[80:81] op_sel_hi:[0,1]
	v_cvt_f16_f32_e32 v1, v78
	v_cvt_f16_f32_e32 v77, v70
	;; [unrolled: 1-line block ×3, first 2 shown]
	v_pk_mul_f32 v[66:67], v[90:91], v[66:67] op_sel_hi:[0,1]
	v_pk_mul_f32 v[70:71], v[90:91], v[72:73] op_sel_hi:[0,1]
	v_cvt_f16_f32_e32 v69, v79
	v_cvt_f16_f32_e32 v70, v70
	;; [unrolled: 1-line block ×5, first 2 shown]
	v_pack_b32_f16 v66, v1, v69
	v_pack_b32_f16 v67, v77, v78
	;; [unrolled: 1-line block ×4, first 2 shown]
	v_cmp_gt_u32_e32 vcc, 15, v0
	ds_write2st64_b64 v75, v[66:67], v[70:71] offset0:2 offset1:3
	s_and_saveexec_b64 s[4:5], vcc
	s_cbranch_execz .LBB242_15
; %bb.14:
	s_mov_b32 s41, 0
	v_mov_b32_e32 v77, 0
	v_lshl_add_u64 v[66:67], s[40:41], 0, v[76:77]
	v_mov_b32_e32 v1, s7
	v_mad_u64_u32 v[66:67], s[12:13], s2, v1, v[66:67]
	s_mul_i32 s3, s3, s7
	v_mov_b32_e32 v70, s26
	v_mov_b32_e32 v71, v77
	s_load_dwordx4 s[8:11], s[0:1], 0x58
	v_add_u32_e32 v1, s3, v67
	v_mad_u64_u32 v[66:67], s[12:13], v66, s6, v[70:71]
	v_mov_b32_e32 v70, v67
	v_mad_u64_u32 v[70:71], s[12:13], v1, s6, v[70:71]
	v_mov_b32_e32 v67, v70
	v_lshlrev_b64 v[66:67], 2, v[66:67]
	s_waitcnt lgkmcnt(0)
	v_lshl_add_u64 v[70:71], s[10:11], 0, v[66:67]
	v_lshl_add_u64 v[66:67], s[8:9], 0, v[66:67]
	global_store_dword v[70:71], v87, off
	global_store_dword v[66:67], v88, off
.LBB242_15:
	s_or_b64 exec, exec, s[4:5]
	v_lshl_or_b32 v1, v86, 9, v68
	s_waitcnt lgkmcnt(0)
	s_barrier
	ds_read_b128 v[70:73], v1
	ds_read_b128 v[66:69], v1 offset:16
	s_waitcnt vmcnt(15) lgkmcnt(1)
	v_mfma_f32_16x16x16_f16 v[78:81], v[30:31], v[70:71], 0
	s_mov_b32 s3, 0
	v_cmp_gt_u32_e32 vcc, 64, v0
	v_mfma_f32_16x16x16_f16 v[30:33], v[32:33], v[72:73], v[78:81]
	s_waitcnt vmcnt(14) lgkmcnt(0)
	v_mfma_f32_16x16x16_f16 v[30:33], v[26:27], v[66:67], v[30:33]
	v_mfma_f32_16x16x16_f16 v[26:29], v[28:29], v[68:69], v[30:33]
	s_nop 5
	ds_read_b128 v[30:33], v1 offset:2048
	ds_read_b128 v[78:81], v1 offset:2064
	s_waitcnt vmcnt(13) lgkmcnt(1)
	v_mfma_f32_16x16x16_f16 v[26:29], v[22:23], v[30:31], v[26:29]
	v_mfma_f32_16x16x16_f16 v[22:25], v[24:25], v[32:33], v[26:29]
	s_waitcnt vmcnt(12) lgkmcnt(0)
	v_mfma_f32_16x16x16_f16 v[22:25], v[18:19], v[78:79], v[22:25]
	v_mfma_f32_16x16x16_f16 v[18:21], v[20:21], v[80:81], v[22:25]
	s_nop 5
	ds_read_b128 v[22:25], v1 offset:4096
	ds_read_b128 v[26:29], v1 offset:4112
	s_waitcnt vmcnt(11) lgkmcnt(1)
	v_mfma_f32_16x16x16_f16 v[18:21], v[14:15], v[22:23], v[18:21]
	v_mfma_f32_16x16x16_f16 v[14:17], v[16:17], v[24:25], v[18:21]
	s_waitcnt vmcnt(10) lgkmcnt(0)
	v_mfma_f32_16x16x16_f16 v[14:17], v[10:11], v[26:27], v[14:17]
	v_mfma_f32_16x16x16_f16 v[10:13], v[12:13], v[28:29], v[14:17]
	s_nop 5
	ds_read_b128 v[14:17], v1 offset:6144
	ds_read_b128 v[18:21], v1 offset:6160
	s_waitcnt lgkmcnt(0)
	s_barrier
	s_waitcnt vmcnt(9)
	v_mfma_f32_16x16x16_f16 v[10:13], v[6:7], v[14:15], v[10:13]
	v_mfma_f32_16x16x16_f16 v[6:9], v[8:9], v[16:17], v[10:13]
	s_waitcnt vmcnt(8)
	v_mfma_f32_16x16x16_f16 v[6:9], v[2:3], v[18:19], v[6:9]
	v_mfma_f32_16x16x16_f16 v[2:5], v[4:5], v[20:21], v[6:9]
	;; [unrolled: 3-line block ×3, first 2 shown]
	s_nop 3
	v_cvt_f16_f32_e32 v1, v2
	v_cvt_f16_f32_e32 v10, v3
	;; [unrolled: 1-line block ×3, first 2 shown]
	s_waitcnt vmcnt(6)
	v_mfma_f32_16x16x16_f16 v[6:9], v[38:39], v[66:67], v[6:9]
	v_cvt_f16_f32_e32 v12, v5
	v_mfma_f32_16x16x16_f16 v[6:9], v[40:41], v[68:69], v[6:9]
	s_waitcnt vmcnt(5)
	v_mfma_f32_16x16x16_f16 v[6:9], v[42:43], v[30:31], v[6:9]
	v_mfma_f32_16x16x16_f16 v[6:9], v[44:45], v[32:33], v[6:9]
	s_waitcnt vmcnt(4)
	v_mfma_f32_16x16x16_f16 v[6:9], v[34:35], v[78:79], v[6:9]
	;; [unrolled: 3-line block ×6, first 2 shown]
	v_mfma_f32_16x16x16_f16 v[2:5], v[60:61], v[20:21], v[6:9]
	s_nop 6
	v_cvt_f16_f32_e32 v6, v2
	v_cvt_f16_f32_e32 v7, v3
	;; [unrolled: 1-line block ×4, first 2 shown]
	v_pack_b32_f16 v2, v1, v10
	v_pack_b32_f16 v3, v11, v12
	;; [unrolled: 1-line block ×4, first 2 shown]
	ds_write2st64_b64 v75, v[2:3], v[4:5] offset1:1
	s_waitcnt lgkmcnt(0)
	s_barrier
	s_and_saveexec_b64 s[4:5], vcc
	s_cbranch_execz .LBB242_18
; %bb.16:
	s_load_dwordx2 s[4:5], s[0:1], 0x68
	s_lshl_b32 s0, s6, 7
	s_mul_i32 s1, s7, s2
	v_lshlrev_b32_e32 v3, 6, v76
	s_mul_hi_u32 s7, s1, s0
	s_mul_i32 s6, s1, s0
	v_lshlrev_b32_e32 v2, 4, v0
	v_lshl_or_b32 v0, v0, 10, v3
	s_lshl_b64 s[6:7], s[6:7], 1
	v_lshlrev_b32_e32 v1, 5, v86
	v_and_b32_e32 v2, 16, v2
	v_and_b32_e32 v0, 0x1a00, v0
	s_waitcnt lgkmcnt(0)
	s_add_u32 s1, s4, s6
	v_or3_b32 v2, v0, v1, v2
	s_addc_u32 s4, s5, s7
	s_lshl_b32 s2, s26, 7
	ds_read_b128 v[4:7], v2 offset:256
	s_lshl_b64 s[2:3], s[2:3], 1
	ds_read_b128 v[8:11], v2 offset:128
	ds_read_b128 v[12:15], v2
	s_add_u32 s2, s1, s2
	s_addc_u32 s3, s4, s3
	v_mov_b32_e32 v75, 0
	v_add_u32_e32 v3, s40, v86
	v_lshl_add_u64 v[0:1], s[2:3], 0, v[74:75]
	v_mad_u64_u32 v[16:17], s[2:3], v3, s0, 0
	v_lshl_add_u64 v[16:17], v[16:17], 1, v[0:1]
	s_waitcnt lgkmcnt(0)
	global_store_dwordx4 v[16:17], v[12:15], off
	v_cmp_ne_u32_e32 vcc, 3, v86
	s_nop 0
	v_add_u32_e32 v12, 4, v3
	v_mad_u64_u32 v[12:13], s[2:3], v12, s0, 0
	v_lshl_add_u64 v[12:13], v[12:13], 1, v[0:1]
	v_add_u32_e32 v3, 8, v3
	global_store_dwordx4 v[12:13], v[8:11], off
	s_nop 1
	v_mad_u64_u32 v[8:9], s[2:3], v3, s0, 0
	v_lshl_add_u64 v[8:9], v[8:9], 1, v[0:1]
	global_store_dwordx4 v[8:9], v[4:7], off
	s_and_b64 exec, exec, vcc
	s_cbranch_execz .LBB242_18
; %bb.17:
	ds_read_b128 v[2:5], v2 offset:384
	v_add3_u32 v6, s40, v86, 12
	v_mad_u64_u32 v[6:7], s[0:1], v6, s0, 0
	v_lshl_add_u64 v[0:1], v[6:7], 1, v[0:1]
	s_waitcnt lgkmcnt(0)
	global_store_dwordx4 v[0:1], v[2:5], off
.LBB242_18:
	s_endpgm
	.section	.rodata,"a",@progbits
	.p2align	6, 0x0
	.amdhsa_kernel _Z39paged_attention_ll4mi_QKV_mfma16_kernelIDF16_DF16_LN4vllm18Fp8KVCacheDataTypeE0EhLi16ELi128ELi256ELb0ELi15EEvPKT_PKT0_S7_ifPKiS9_S9_iPKfiiiPfSC_PS2_PT2_iSB_SB_
		.amdhsa_group_segment_fixed_size 8192
		.amdhsa_private_segment_fixed_size 0
		.amdhsa_kernarg_size 400
		.amdhsa_user_sgpr_count 2
		.amdhsa_user_sgpr_dispatch_ptr 0
		.amdhsa_user_sgpr_queue_ptr 0
		.amdhsa_user_sgpr_kernarg_segment_ptr 1
		.amdhsa_user_sgpr_dispatch_id 0
		.amdhsa_user_sgpr_kernarg_preload_length 0
		.amdhsa_user_sgpr_kernarg_preload_offset 0
		.amdhsa_user_sgpr_private_segment_size 0
		.amdhsa_uses_dynamic_stack 0
		.amdhsa_enable_private_segment 0
		.amdhsa_system_sgpr_workgroup_id_x 1
		.amdhsa_system_sgpr_workgroup_id_y 1
		.amdhsa_system_sgpr_workgroup_id_z 1
		.amdhsa_system_sgpr_workgroup_info 0
		.amdhsa_system_vgpr_workitem_id 0
		.amdhsa_next_free_vgpr 96
		.amdhsa_next_free_sgpr 42
		.amdhsa_accum_offset 96
		.amdhsa_reserve_vcc 1
		.amdhsa_float_round_mode_32 0
		.amdhsa_float_round_mode_16_64 0
		.amdhsa_float_denorm_mode_32 3
		.amdhsa_float_denorm_mode_16_64 3
		.amdhsa_dx10_clamp 1
		.amdhsa_ieee_mode 1
		.amdhsa_fp16_overflow 0
		.amdhsa_tg_split 0
		.amdhsa_exception_fp_ieee_invalid_op 0
		.amdhsa_exception_fp_denorm_src 0
		.amdhsa_exception_fp_ieee_div_zero 0
		.amdhsa_exception_fp_ieee_overflow 0
		.amdhsa_exception_fp_ieee_underflow 0
		.amdhsa_exception_fp_ieee_inexact 0
		.amdhsa_exception_int_div_zero 0
	.end_amdhsa_kernel
	.section	.text._Z39paged_attention_ll4mi_QKV_mfma16_kernelIDF16_DF16_LN4vllm18Fp8KVCacheDataTypeE0EhLi16ELi128ELi256ELb0ELi15EEvPKT_PKT0_S7_ifPKiS9_S9_iPKfiiiPfSC_PS2_PT2_iSB_SB_,"axG",@progbits,_Z39paged_attention_ll4mi_QKV_mfma16_kernelIDF16_DF16_LN4vllm18Fp8KVCacheDataTypeE0EhLi16ELi128ELi256ELb0ELi15EEvPKT_PKT0_S7_ifPKiS9_S9_iPKfiiiPfSC_PS2_PT2_iSB_SB_,comdat
.Lfunc_end242:
	.size	_Z39paged_attention_ll4mi_QKV_mfma16_kernelIDF16_DF16_LN4vllm18Fp8KVCacheDataTypeE0EhLi16ELi128ELi256ELb0ELi15EEvPKT_PKT0_S7_ifPKiS9_S9_iPKfiiiPfSC_PS2_PT2_iSB_SB_, .Lfunc_end242-_Z39paged_attention_ll4mi_QKV_mfma16_kernelIDF16_DF16_LN4vllm18Fp8KVCacheDataTypeE0EhLi16ELi128ELi256ELb0ELi15EEvPKT_PKT0_S7_ifPKiS9_S9_iPKfiiiPfSC_PS2_PT2_iSB_SB_
                                        ; -- End function
	.section	.AMDGPU.csdata,"",@progbits
; Kernel info:
; codeLenInByte = 4440
; NumSgprs: 48
; NumVgprs: 96
; NumAgprs: 0
; TotalNumVgprs: 96
; ScratchSize: 0
; MemoryBound: 0
; FloatMode: 240
; IeeeMode: 1
; LDSByteSize: 8192 bytes/workgroup (compile time only)
; SGPRBlocks: 5
; VGPRBlocks: 11
; NumSGPRsForWavesPerEU: 48
; NumVGPRsForWavesPerEU: 96
; AccumOffset: 96
; Occupancy: 5
; WaveLimiterHint : 1
; COMPUTE_PGM_RSRC2:SCRATCH_EN: 0
; COMPUTE_PGM_RSRC2:USER_SGPR: 2
; COMPUTE_PGM_RSRC2:TRAP_HANDLER: 0
; COMPUTE_PGM_RSRC2:TGID_X_EN: 1
; COMPUTE_PGM_RSRC2:TGID_Y_EN: 1
; COMPUTE_PGM_RSRC2:TGID_Z_EN: 1
; COMPUTE_PGM_RSRC2:TIDIG_COMP_CNT: 0
; COMPUTE_PGM_RSRC3_GFX90A:ACCUM_OFFSET: 23
; COMPUTE_PGM_RSRC3_GFX90A:TG_SPLIT: 0
	.section	.text._Z39paged_attention_ll4mi_QKV_mfma16_kernelIDF16_DF16_LN4vllm18Fp8KVCacheDataTypeE0EhLi16ELi128ELi256ELb0ELi16EEvPKT_PKT0_S7_ifPKiS9_S9_iPKfiiiPfSC_PS2_PT2_iSB_SB_,"axG",@progbits,_Z39paged_attention_ll4mi_QKV_mfma16_kernelIDF16_DF16_LN4vllm18Fp8KVCacheDataTypeE0EhLi16ELi128ELi256ELb0ELi16EEvPKT_PKT0_S7_ifPKiS9_S9_iPKfiiiPfSC_PS2_PT2_iSB_SB_,comdat
	.protected	_Z39paged_attention_ll4mi_QKV_mfma16_kernelIDF16_DF16_LN4vllm18Fp8KVCacheDataTypeE0EhLi16ELi128ELi256ELb0ELi16EEvPKT_PKT0_S7_ifPKiS9_S9_iPKfiiiPfSC_PS2_PT2_iSB_SB_ ; -- Begin function _Z39paged_attention_ll4mi_QKV_mfma16_kernelIDF16_DF16_LN4vllm18Fp8KVCacheDataTypeE0EhLi16ELi128ELi256ELb0ELi16EEvPKT_PKT0_S7_ifPKiS9_S9_iPKfiiiPfSC_PS2_PT2_iSB_SB_
	.globl	_Z39paged_attention_ll4mi_QKV_mfma16_kernelIDF16_DF16_LN4vllm18Fp8KVCacheDataTypeE0EhLi16ELi128ELi256ELb0ELi16EEvPKT_PKT0_S7_ifPKiS9_S9_iPKfiiiPfSC_PS2_PT2_iSB_SB_
	.p2align	8
	.type	_Z39paged_attention_ll4mi_QKV_mfma16_kernelIDF16_DF16_LN4vllm18Fp8KVCacheDataTypeE0EhLi16ELi128ELi256ELb0ELi16EEvPKT_PKT0_S7_ifPKiS9_S9_iPKfiiiPfSC_PS2_PT2_iSB_SB_,@function
_Z39paged_attention_ll4mi_QKV_mfma16_kernelIDF16_DF16_LN4vllm18Fp8KVCacheDataTypeE0EhLi16ELi128ELi256ELb0ELi16EEvPKT_PKT0_S7_ifPKiS9_S9_iPKfiiiPfSC_PS2_PT2_iSB_SB_: ; @_Z39paged_attention_ll4mi_QKV_mfma16_kernelIDF16_DF16_LN4vllm18Fp8KVCacheDataTypeE0EhLi16ELi128ELi256ELb0ELi16EEvPKT_PKT0_S7_ifPKiS9_S9_iPKfiiiPfSC_PS2_PT2_iSB_SB_
; %bb.0:
	s_load_dwordx2 s[8:9], s[0:1], 0x30
	s_mov_b32 s26, s3
	s_mov_b64 s[6:7], 0
	s_waitcnt lgkmcnt(0)
	s_cmp_lg_u64 s[8:9], 0
	s_cselect_b64 s[10:11], -1, 0
	s_and_b64 vcc, exec, s[10:11]
	s_cbranch_vccz .LBB243_7
; %bb.1:
	s_add_i32 s12, s2, 1
	s_mov_b32 s13, 0
	s_lshl_b64 s[14:15], s[12:13], 2
	s_add_u32 s14, s8, s14
	s_mov_b32 s3, s13
	s_addc_u32 s15, s9, s15
	s_lshl_b64 s[12:13], s[2:3], 2
	s_add_u32 s12, s8, s12
	s_addc_u32 s13, s9, s13
	s_load_dword s5, s[14:15], 0x0
	s_load_dword s16, s[12:13], 0x0
	s_waitcnt lgkmcnt(0)
	s_sub_i32 s5, s5, s16
	s_cmp_eq_u32 s5, 1
	s_cselect_b64 s[12:13], -1, 0
	s_andn2_b64 vcc, exec, s[6:7]
	s_cbranch_vccnz .LBB243_3
.LBB243_2:
	s_mov_b32 s3, 0
	s_mov_b64 s[12:13], -1
.LBB243_3:
	s_andn2_b64 vcc, exec, s[12:13]
	s_cbranch_vccnz .LBB243_17
; %bb.4:
	s_load_dwordx2 s[6:7], s[0:1], 0x28
	s_lshl_b64 s[16:17], s[2:3], 2
	s_waitcnt lgkmcnt(0)
	s_add_u32 s6, s6, s16
	s_addc_u32 s7, s7, s17
	s_load_dword s38, s[6:7], 0x0
	s_lshl_b32 s18, s26, 8
	s_waitcnt lgkmcnt(0)
	s_cmp_ge_i32 s18, s38
	s_cbranch_scc1 .LBB243_17
; %bb.5:
	s_load_dwordx2 s[6:7], s[0:1], 0x20
	s_load_dword s5, s[0:1], 0x38
	s_add_i32 s12, s38, 15
	s_ashr_i32 s13, s12, 31
	v_and_b32_e32 v1, 0xcf, v0
	s_lshr_b32 s13, s13, 28
	v_add_u32_e32 v1, s18, v1
	s_add_i32 s12, s12, s13
	v_ashrrev_i32_e32 v2, 31, v1
	s_ashr_i32 s19, s12, 4
	v_lshrrev_b32_e32 v4, 28, v2
	s_add_i32 s19, s19, -1
	s_waitcnt lgkmcnt(0)
	s_mul_i32 s12, s2, s5
	s_mov_b32 s13, 0
	v_add_u32_e32 v2, v1, v4
	s_lshl_b64 s[12:13], s[12:13], 2
	v_ashrrev_i32_e32 v2, 4, v2
	v_mov_b32_e32 v5, s19
	v_cmp_gt_i32_e32 vcc, s38, v1
	s_add_u32 s6, s6, s12
	s_addc_u32 s7, s7, s13
	v_cndmask_b32_e32 v2, v5, v2, vcc
	v_ashrrev_i32_e32 v3, 31, v2
	v_lshl_add_u64 v[6:7], v[2:3], 2, s[6:7]
	v_or_b32_e32 v2, 16, v1
	v_add_u32_e32 v3, v2, v4
	v_ashrrev_i32_e32 v3, 4, v3
	v_cmp_gt_i32_e32 vcc, s38, v2
	s_load_dwordx4 s[12:15], s[0:1], 0x8
	s_nop 0
	v_cndmask_b32_e32 v2, v5, v3, vcc
	v_ashrrev_i32_e32 v3, 31, v2
	v_lshl_add_u64 v[8:9], v[2:3], 2, s[6:7]
	v_or_b32_e32 v2, 32, v1
	v_add_u32_e32 v3, v2, v4
	v_ashrrev_i32_e32 v3, 4, v3
	v_cmp_gt_i32_e32 vcc, s38, v2
	v_or_b32_e32 v1, 48, v1
	s_nop 0
	v_cndmask_b32_e32 v2, v5, v3, vcc
	v_ashrrev_i32_e32 v3, 31, v2
	v_lshl_add_u64 v[10:11], v[2:3], 2, s[6:7]
	v_add_u32_e32 v2, v1, v4
	v_ashrrev_i32_e32 v2, 4, v2
	v_cmp_gt_i32_e32 vcc, s38, v1
	s_nop 1
	v_cndmask_b32_e32 v2, v5, v2, vcc
	v_ashrrev_i32_e32 v3, 31, v2
	v_lshl_add_u64 v[12:13], v[2:3], 2, s[6:7]
	global_load_dword v4, v[6:7], off
	global_load_dword v3, v[8:9], off
	;; [unrolled: 1-line block ×4, first 2 shown]
	s_andn2_b64 vcc, exec, s[10:11]
	s_cbranch_vccnz .LBB243_8
; %bb.6:
	s_add_u32 s8, s8, s16
	s_addc_u32 s9, s9, s17
	s_load_dword s5, s[8:9], 0x0
	s_branch .LBB243_9
.LBB243_7:
	s_mov_b64 s[12:13], 0
	s_branch .LBB243_2
.LBB243_8:
	s_mov_b32 s5, s2
.LBB243_9:
	s_load_dwordx4 s[8:11], s[0:1], 0x48
	v_and_b32_e32 v84, 15, v0
	v_lshlrev_b32_e32 v5, 3, v84
	s_waitcnt lgkmcnt(0)
	s_movk_i32 s11, 0x100
	v_lshrrev_b32_e32 v86, 6, v0
	v_and_b32_e32 v87, 63, v0
	v_bfe_u32 v1, v0, 4, 2
	s_lshl_b32 s27, s4, 4
	v_cmp_gt_u32_e32 vcc, s11, v0
	v_lshlrev_b32_e32 v94, 1, v5
	s_and_saveexec_b64 s[16:17], vcc
	s_cbranch_execz .LBB243_11
; %bb.10:
	s_load_dwordx2 s[20:21], s[0:1], 0x0
	s_ashr_i32 s11, s8, 31
	s_mul_hi_u32 s22, s5, s8
	s_mul_i32 s11, s5, s11
	s_add_i32 s23, s22, s11
	s_mul_i32 s22, s5, s8
	v_lshl_or_b32 v5, v86, 2, v1
	s_lshl_b64 s[22:23], s[22:23], 1
	s_waitcnt lgkmcnt(0)
	s_add_u32 s20, s20, s22
	v_add_lshl_u32 v6, v5, s27, 7
	s_addc_u32 s21, s21, s23
	v_ashrrev_i32_e32 v7, 31, v6
	v_lshl_add_u64 v[6:7], v[6:7], 1, s[20:21]
	v_mov_b32_e32 v95, 0
	v_lshl_add_u64 v[6:7], v[6:7], 0, v[94:95]
	global_load_dwordx4 v[6:9], v[6:7], off
	v_and_b32_e32 v10, 3, v0
	v_lshlrev_b32_e32 v11, 9, v84
	v_lshlrev_b32_e32 v5, 5, v5
	;; [unrolled: 1-line block ×3, first 2 shown]
	v_and_b32_e32 v11, 0x1800, v11
	v_or3_b32 v5, v11, v10, v5
	s_waitcnt vmcnt(0)
	ds_write_b128 v5, v[6:9]
.LBB243_11:
	s_or_b64 exec, exec, s[16:17]
	s_mul_i32 s4, s4, s10
	s_mov_b32 s5, 0
	s_lshl_b64 s[4:5], s[4:5], 1
	s_add_u32 s10, s12, s4
	v_lshlrev_b32_e32 v6, 4, v0
	s_addc_u32 s11, s13, s5
	v_and_b32_e32 v38, 0xf0, v6
	v_mov_b32_e32 v39, 0
	v_lshl_add_u64 v[30:31], s[10:11], 0, v[38:39]
	s_waitcnt vmcnt(3)
	v_mad_i64_i32 v[4:5], s[10:11], v4, s9, 0
	v_lshl_add_u64 v[4:5], v[4:5], 1, v[30:31]
	v_and_b32_e32 v38, 0x300, v6
	v_lshl_add_u64 v[32:33], v[4:5], 0, v[38:39]
	s_load_dword s33, s[0:1], 0x98
	s_load_dword s8, s[0:1], 0x1c
	s_waitcnt lgkmcnt(0)
	s_barrier
	global_load_dwordx4 v[10:13], v[32:33], off
	global_load_dwordx4 v[22:25], v[32:33], off offset:1024
	s_waitcnt vmcnt(4)
	v_mad_i64_i32 v[4:5], s[10:11], v3, s9, 0
	s_waitcnt vmcnt(3)
	v_mad_i64_i32 v[2:3], s[10:11], v2, s9, 0
	v_lshl_add_u64 v[4:5], v[4:5], 1, v[30:31]
	v_lshl_add_u64 v[2:3], v[2:3], 1, v[30:31]
	;; [unrolled: 1-line block ×4, first 2 shown]
	global_load_dwordx4 v[14:17], v[40:41], off
	global_load_dwordx4 v[18:21], v[40:41], off offset:1024
	global_load_dwordx4 v[26:29], v[42:43], off
	global_load_dwordx4 v[64:67], v[40:41], off offset:2048
	global_load_dwordx4 v[48:51], v[42:43], off offset:1024
	v_lshlrev_b32_e32 v2, 5, v84
	v_lshl_or_b32 v85, v1, 9, v2
	ds_read_b128 v[6:9], v85
	scratch_store_dword off, v2, off        ; 4-byte Folded Spill
	ds_read_b128 v[2:5], v85 offset:2048
	global_load_dwordx4 v[56:59], v[32:33], off offset:2048
	v_mov_b32_e32 v72, s19
	v_lshl_or_b32 v89, v86, 4, v84
	s_add_u32 s4, s14, s4
	s_addc_u32 s5, s15, s5
	s_mov_b32 s40, 0xff7fffff
	s_waitcnt vmcnt(8) lgkmcnt(1)
	v_mfma_f32_16x16x16_f16 v[44:47], v[10:11], v[6:7], 0
	v_mfma_f32_16x16x16_f16 v[10:13], v[12:13], v[8:9], v[44:47]
	s_nop 5
	global_load_dwordx4 v[44:47], v[42:43], off offset:2048
	s_waitcnt vmcnt(7)
	v_mfma_f32_16x16x16_f16 v[52:55], v[14:15], v[6:7], 0
	s_waitcnt vmcnt(5)
	v_mfma_f32_16x16x16_f16 v[60:63], v[26:27], v[6:7], 0
	v_mfma_f32_16x16x16_f16 v[14:17], v[16:17], v[8:9], v[52:55]
	s_nop 3
	global_load_dwordx4 v[52:55], v[32:33], off offset:3072
	v_mfma_f32_16x16x16_f16 v[26:29], v[28:29], v[8:9], v[60:63]
	v_mad_i64_i32 v[32:33], s[10:11], v34, s9, 0
	ds_read_b128 v[68:71], v85 offset:4096
	ds_read_b128 v[34:37], v85 offset:6144
	s_waitcnt lgkmcnt(2)
	v_mfma_f32_16x16x16_f16 v[10:13], v[22:23], v[2:3], v[10:13]
	v_and_or_b32 v60, v0, 48, s18
	v_ashrrev_i32_e32 v22, 4, v60
	v_cmp_gt_i32_e32 vcc, s38, v60
	v_mfma_f32_16x16x16_f16 v[14:17], v[18:19], v[2:3], v[14:17]
	v_or_b32_e32 v73, 64, v60
	v_cndmask_b32_e32 v18, v72, v22, vcc
	v_or_b32_e32 v74, 0x80, v60
	s_waitcnt vmcnt(4)
	v_mfma_f32_16x16x16_f16 v[26:29], v[48:49], v[2:3], v[26:29]
	v_or_b32_e32 v75, 0xc0, v60
	global_load_dwordx4 v[60:63], v[40:41], off offset:3072
	v_ashrrev_i32_e32 v19, 31, v18
	v_mfma_f32_16x16x16_f16 v[10:13], v[24:25], v[4:5], v[10:13]
	global_load_dwordx4 v[22:25], v[42:43], off offset:3072
	v_ashrrev_i32_e32 v40, 4, v73
	v_cmp_gt_i32_e32 vcc, s38, v73
	v_ashrrev_i32_e32 v48, 4, v74
	v_lshl_add_u64 v[18:19], v[18:19], 2, s[6:7]
	v_cndmask_b32_e32 v40, v72, v40, vcc
	v_cmp_gt_i32_e32 vcc, s38, v74
	v_mfma_f32_16x16x16_f16 v[14:17], v[20:21], v[4:5], v[14:17]
	global_load_dword v42, v[18:19], off
	v_ashrrev_i32_e32 v41, 31, v40
	v_mfma_f32_16x16x16_f16 v[18:21], v[50:51], v[4:5], v[26:29]
	s_nop 2
	v_cndmask_b32_e32 v28, v72, v48, vcc
	v_ashrrev_i32_e32 v29, 31, v28
	v_lshl_add_u64 v[26:27], v[40:41], 2, s[6:7]
	v_lshl_add_u64 v[28:29], v[28:29], 2, s[6:7]
	global_load_dword v43, v[26:27], off
	global_load_dword v50, v[28:29], off
	v_lshl_add_u64 v[26:27], v[32:33], 1, v[30:31]
	v_lshl_add_u64 v[26:27], v[26:27], 0, v[38:39]
	global_load_dwordx4 v[76:79], v[26:27], off
	global_load_dwordx4 v[80:83], v[26:27], off offset:1024
	v_ashrrev_i32_e32 v40, 4, v75
	v_cmp_gt_i32_e32 vcc, s38, v75
	s_waitcnt lgkmcnt(1)
	v_mfma_f32_16x16x16_f16 v[14:17], v[64:65], v[68:69], v[14:17]
	v_lshlrev_b32_e32 v38, 5, v89
	v_cndmask_b32_e32 v28, v72, v40, vcc
	v_ashrrev_i32_e32 v29, 31, v28
	v_lshl_add_u64 v[28:29], v[28:29], 2, s[6:7]
	s_waitcnt vmcnt(9)
	v_mfma_f32_16x16x16_f16 v[10:13], v[56:57], v[68:69], v[10:13]
	global_load_dword v56, v[28:29], off
	v_lshl_add_u64 v[40:41], s[4:5], 0, v[38:39]
	v_or_b32_e32 v38, 0x800, v38
	v_mfma_f32_16x16x16_f16 v[14:17], v[66:67], v[70:71], v[14:17]
	global_load_dwordx4 v[64:67], v[26:27], off offset:3072
	s_waitcnt vmcnt(10)
	v_mfma_f32_16x16x16_f16 v[18:21], v[44:45], v[68:69], v[18:21]
	v_mfma_f32_16x16x16_f16 v[18:21], v[46:47], v[70:71], v[18:21]
	global_load_dwordx4 v[44:47], v[26:27], off offset:2048
	v_mfma_f32_16x16x16_f16 v[10:13], v[58:59], v[70:71], v[10:13]
	s_waitcnt vmcnt(10) lgkmcnt(0)
	v_mfma_f32_16x16x16_f16 v[10:13], v[52:53], v[34:35], v[10:13]
	s_waitcnt vmcnt(8)
	v_mfma_f32_16x16x16_f16 v[18:21], v[22:23], v[34:35], v[18:21]
	s_waitcnt vmcnt(7)
	v_mad_i64_i32 v[22:23], s[6:7], v42, s9, 0
	v_mfma_f32_16x16x16_f16 v[52:55], v[54:55], v[36:37], v[10:13]
	v_lshlrev_b64 v[48:49], 1, v[22:23]
	s_nop 1
	v_lshl_add_u64 v[12:13], v[40:41], 0, v[48:49]
	global_load_dwordx4 v[30:33], v[12:13], off
	global_load_dwordx4 v[26:29], v[12:13], off offset:16
	v_mfma_f32_16x16x16_f16 v[72:75], v[24:25], v[36:37], v[18:21]
	s_waitcnt vmcnt(8)
	v_mad_i64_i32 v[10:11], s[6:7], v43, s9, 0
	v_lshlrev_b64 v[42:43], 1, v[10:11]
	v_lshl_add_u64 v[10:11], v[40:41], 0, v[42:43]
	global_load_dwordx4 v[22:25], v[10:11], off
	global_load_dwordx4 v[18:21], v[10:11], off offset:16
	s_waitcnt vmcnt(8)
	v_mfma_f32_16x16x16_f16 v[10:13], v[76:77], v[6:7], 0
	v_mad_i64_i32 v[6:7], s[6:7], v50, s9, 0
	v_lshlrev_b64 v[50:51], 1, v[6:7]
	v_mfma_f32_16x16x16_f16 v[6:9], v[78:79], v[8:9], v[10:13]
	v_mfma_f32_16x16x16_f16 v[14:17], v[60:61], v[34:35], v[14:17]
	s_nop 2
	v_lshl_add_u64 v[10:11], v[40:41], 0, v[50:51]
	s_waitcnt vmcnt(7)
	v_mfma_f32_16x16x16_f16 v[6:9], v[80:81], v[2:3], v[6:9]
	s_waitcnt vmcnt(6)
	v_mad_i64_i32 v[2:3], s[6:7], v56, s9, 0
	v_lshlrev_b64 v[58:59], 1, v[2:3]
	v_mfma_f32_16x16x16_f16 v[90:93], v[62:63], v[36:37], v[14:17]
	v_lshl_add_u64 v[2:3], v[40:41], 0, v[58:59]
	v_pk_mul_f32 v[80:81], s[8:9], v[54:55] op_sel_hi:[0,1]
	s_nop 0
	global_load_dwordx4 v[14:17], v[10:11], off
	s_nop 0
	global_load_dwordx4 v[10:13], v[10:11], off offset:16
	v_mfma_f32_16x16x16_f16 v[60:63], v[82:83], v[4:5], v[6:9]
	v_pk_mul_f32 v[82:83], s[8:9], v[92:93] op_sel_hi:[0,1]
	s_nop 1
	global_load_dwordx4 v[6:9], v[2:3], off
	s_nop 0
	global_load_dwordx4 v[2:5], v[2:3], off offset:16
	s_waitcnt vmcnt(8)
	v_mfma_f32_16x16x16_f16 v[76:79], v[44:45], v[68:69], v[60:63]
	s_nop 2
	v_lshl_add_u64 v[62:63], s[4:5], 0, v[38:39]
	v_pk_mul_f32 v[60:61], s[8:9], v[52:53] op_sel_hi:[0,1]
	v_lshl_add_u64 v[44:45], v[62:63], 0, v[48:49]
	v_mfma_f32_16x16x16_f16 v[38:41], v[46:47], v[70:71], v[76:79]
	v_pk_mul_f32 v[70:71], s[8:9], v[90:91] op_sel_hi:[0,1]
	v_lshl_add_u64 v[50:51], v[62:63], 0, v[50:51]
	v_lshl_add_u64 v[58:59], v[62:63], 0, v[58:59]
	v_mfma_f32_16x16x16_f16 v[38:41], v[64:65], v[34:35], v[38:41]
	v_pk_mul_f32 v[78:79], s[8:9], v[72:73] op_sel_hi:[0,1]
	v_pk_mul_f32 v[76:77], s[8:9], v[74:75] op_sel_hi:[0,1]
	v_mfma_f32_16x16x16_f16 v[34:37], v[66:67], v[36:37], v[38:41]
	s_nop 6
	v_pk_mul_f32 v[72:73], s[8:9], v[34:35] op_sel_hi:[0,1]
	v_and_b32_e32 v34, 0xc0, v0
	v_add_u32_e32 v34, s18, v34
	v_lshl_or_b32 v34, v1, 2, v34
	v_pk_mul_f32 v[66:67], s[8:9], v[36:37] op_sel_hi:[0,1]
	v_or_b32_e32 v37, 1, v34
	v_mov_b32_e32 v35, 0xff7fffff
	v_cmp_gt_i32_e64 s[28:29], s38, v34
	v_cmp_gt_i32_e64 s[30:31], s38, v37
	v_or_b32_e32 v38, 3, v34
	v_cndmask_b32_e64 v36, v35, v60, s[28:29]
	v_cndmask_b32_e64 v37, v35, v61, s[30:31]
	v_max3_f32 v36, v36, s40, v37
	v_or_b32_e32 v37, 2, v34
	v_cmp_gt_i32_e64 s[34:35], s38, v37
	v_cmp_gt_i32_e64 s[36:37], s38, v38
	s_nop 0
	v_cndmask_b32_e64 v37, v35, v80, s[34:35]
	v_cndmask_b32_e64 v38, v35, v81, s[36:37]
	v_max3_f32 v36, v36, v37, v38
	v_or_b32_e32 v37, 16, v34
	v_or_b32_e32 v38, 17, v34
	v_cmp_gt_i32_e64 s[22:23], s38, v37
	v_cmp_gt_i32_e64 s[24:25], s38, v38
	s_nop 0
	v_cndmask_b32_e64 v37, v35, v70, s[22:23]
	v_cndmask_b32_e64 v38, v35, v71, s[24:25]
	v_max3_f32 v36, v36, v37, v38
	v_or_b32_e32 v37, 18, v34
	v_or_b32_e32 v38, 19, v34
	v_cmp_gt_i32_e64 s[18:19], s38, v37
	v_cmp_gt_i32_e64 s[20:21], s38, v38
	s_nop 0
	v_cndmask_b32_e64 v37, v35, v82, s[18:19]
	v_cndmask_b32_e64 v38, v35, v83, s[20:21]
	v_max3_f32 v36, v36, v37, v38
	v_or_b32_e32 v37, 32, v34
	v_or_b32_e32 v38, 33, v34
	v_cmp_gt_i32_e64 s[14:15], s38, v37
	v_cmp_gt_i32_e64 s[16:17], s38, v38
	s_nop 0
	v_cndmask_b32_e64 v37, v35, v78, s[14:15]
	v_cndmask_b32_e64 v38, v35, v79, s[16:17]
	v_max3_f32 v36, v36, v37, v38
	v_or_b32_e32 v37, 34, v34
	v_or_b32_e32 v38, 35, v34
	v_cmp_gt_i32_e64 s[10:11], s38, v37
	v_cmp_gt_i32_e64 s[12:13], s38, v38
	s_nop 0
	v_cndmask_b32_e64 v37, v35, v76, s[10:11]
	v_cndmask_b32_e64 v38, v35, v77, s[12:13]
	v_max3_f32 v36, v36, v37, v38
	v_or_b32_e32 v37, 48, v34
	v_or_b32_e32 v38, 49, v34
	v_cmp_gt_i32_e64 s[6:7], s38, v37
	v_cmp_gt_i32_e64 s[8:9], s38, v38
	s_nop 0
	v_cndmask_b32_e64 v37, v35, v72, s[6:7]
	v_cndmask_b32_e64 v38, v35, v73, s[8:9]
	v_max3_f32 v36, v36, v37, v38
	v_or_b32_e32 v37, 50, v34
	v_or_b32_e32 v34, 51, v34
	v_cmp_gt_i32_e32 vcc, s38, v37
	v_cmp_gt_i32_e64 s[4:5], s38, v34
	global_load_dwordx4 v[46:49], v[44:45], off
	global_load_dwordx4 v[38:41], v[44:45], off offset:16
	v_cndmask_b32_e32 v37, v35, v66, vcc
	v_cndmask_b32_e64 v34, v35, v67, s[4:5]
	v_max3_f32 v52, v36, v37, v34
	v_mbcnt_lo_u32_b32 v34, -1, 0
	v_mbcnt_hi_u32_b32 v53, -1, v34
	v_and_b32_e32 v34, 64, v53
	v_add_u32_e32 v54, 64, v34
	v_xor_b32_e32 v34, 32, v53
	v_cmp_lt_i32_e64 s[38:39], v34, v54
	s_nop 1
	v_cndmask_b32_e64 v34, v53, v34, s[38:39]
	v_lshlrev_b32_e32 v74, 2, v34
	ds_bpermute_b32 v55, v74, v52
	v_lshl_add_u64 v[34:35], v[62:63], 0, v[42:43]
	global_load_dwordx4 v[42:45], v[34:35], off
	s_nop 0
	global_load_dwordx4 v[34:37], v[34:35], off offset:16
	s_waitcnt lgkmcnt(0)
	v_max_f32_e32 v55, v55, v55
	v_max_f32_e32 v64, v52, v55
	v_xor_b32_e32 v52, 16, v53
	v_cmp_lt_i32_e64 s[38:39], v52, v54
	s_nop 1
	v_cndmask_b32_e64 v52, v53, v52, s[38:39]
	v_lshlrev_b32_e32 v75, 2, v52
	ds_bpermute_b32 v65, v75, v64
	global_load_dwordx4 v[54:57], v[50:51], off
	s_nop 0
	global_load_dwordx4 v[50:53], v[50:51], off offset:16
	s_waitcnt lgkmcnt(0)
	v_max_f32_e32 v62, v65, v65
	v_max_f32_e32 v90, v64, v62
	v_sub_f32_e32 v60, v60, v90
	v_mul_f32_e32 v60, 0x3fb8aa3b, v60
	v_exp_f32_e32 v68, v60
	v_sub_f32_e32 v60, v61, v90
	v_mul_f32_e32 v60, 0x3fb8aa3b, v60
	v_exp_f32_e32 v69, v60
	global_load_dwordx4 v[62:65], v[58:59], off
	s_nop 0
	global_load_dwordx4 v[58:61], v[58:59], off offset:16
	v_sub_f32_e32 v80, v80, v90
	v_mul_f32_e32 v80, 0x3fb8aa3b, v80
	v_sub_f32_e32 v81, v81, v90
	v_exp_f32_e32 v80, v80
	v_mul_f32_e32 v81, 0x3fb8aa3b, v81
	v_sub_f32_e32 v70, v70, v90
	v_exp_f32_e32 v81, v81
	v_mul_f32_e32 v70, 0x3fb8aa3b, v70
	v_sub_f32_e32 v71, v71, v90
	v_cndmask_b32_e64 v68, 0, v68, s[28:29]
	v_exp_f32_e32 v70, v70
	v_mul_f32_e32 v71, 0x3fb8aa3b, v71
	v_sub_f32_e32 v82, v82, v90
	v_add_f32_e32 v91, 0, v68
	v_cndmask_b32_e64 v69, 0, v69, s[30:31]
	v_exp_f32_e32 v71, v71
	v_mul_f32_e32 v82, 0x3fb8aa3b, v82
	v_sub_f32_e32 v83, v83, v90
	v_add_f32_e32 v91, v91, v69
	;; [unrolled: 5-line block ×10, first 2 shown]
	v_cndmask_b32_e64 v76, 0, v76, s[10:11]
	v_exp_f32_e32 v66, v66
	v_mul_f32_e32 v67, 0x3fb8aa3b, v67
	v_add_f32_e32 v91, v91, v76
	v_cndmask_b32_e64 v77, 0, v77, s[12:13]
	v_exp_f32_e32 v67, v67
	v_add_f32_e32 v91, v91, v77
	v_cndmask_b32_e64 v72, 0, v72, s[6:7]
	v_add_f32_e32 v91, v91, v72
	v_cndmask_b32_e64 v73, 0, v73, s[8:9]
	v_add_f32_e32 v91, v91, v73
	v_cndmask_b32_e32 v66, 0, v66, vcc
	v_add_f32_e32 v91, v91, v66
	v_cndmask_b32_e64 v67, 0, v67, s[4:5]
	v_add_f32_e32 v91, v91, v67
	ds_bpermute_b32 v74, v74, v91
	v_cmp_gt_u32_e32 vcc, 16, v87
	s_waitcnt lgkmcnt(0)
	s_barrier
	v_add_f32_e32 v91, v91, v74
	ds_bpermute_b32 v92, v75, v91
	s_and_saveexec_b64 s[4:5], vcc
	s_cbranch_execz .LBB243_13
; %bb.12:
	s_waitcnt lgkmcnt(0)
	v_add_f32_e32 v74, v91, v92
	v_lshlrev_b32_e32 v75, 2, v89
	ds_write2st64_b32 v75, v90, v74 offset1:1
.LBB243_13:
	s_or_b64 exec, exec, s[4:5]
	v_lshlrev_b32_e32 v89, 2, v84
	s_load_dword s6, s[0:1], 0x94
	s_waitcnt lgkmcnt(0)
	s_barrier
	ds_read2_b32 v[74:75], v89 offset1:16
	ds_read2_b32 v[90:91], v89 offset0:32 offset1:48
	ds_read2_b32 v[92:93], v89 offset0:64 offset1:80
	s_lshl_b32 s7, s33, 4
	s_waitcnt lgkmcnt(2)
	v_max3_f32 v87, v74, s40, v75
	s_waitcnt lgkmcnt(1)
	v_max3_f32 v87, v87, v90, v91
	v_sub_f32_e32 v74, v74, v87
	v_mul_f32_e32 v74, 0x3fb8aa3b, v74
	v_exp_f32_e32 v95, v74
	v_sub_f32_e32 v74, v75, v87
	v_mul_f32_e32 v74, 0x3fb8aa3b, v74
	v_exp_f32_e32 v1, v74
	;; [unrolled: 3-line block ×3, first 2 shown]
	ds_read2_b32 v[74:75], v89 offset0:96 offset1:112
	v_sub_f32_e32 v89, v91, v87
	v_mul_f32_e32 v89, 0x3fb8aa3b, v89
	v_exp_f32_e32 v91, v89
	s_waitcnt lgkmcnt(1)
	v_fma_f32 v89, v95, v92, 0
	v_fmac_f32_e32 v89, v1, v93
	s_waitcnt lgkmcnt(0)
	v_fmac_f32_e32 v89, v90, v74
	v_fmac_f32_e32 v89, v91, v75
	v_add_f32_e32 v74, 0x358637bd, v89
	v_div_scale_f32 v75, s[4:5], v74, v74, 1.0
	v_rcp_f32_e32 v92, v75
	s_barrier
	v_fma_f32 v93, -v75, v92, 1.0
	v_fmac_f32_e32 v92, v93, v92
	v_div_scale_f32 v93, vcc, 1.0, v74, 1.0
	v_mul_f32_e32 v88, v93, v92
	v_fma_f32 v84, -v75, v88, v93
	v_fmac_f32_e32 v88, v84, v92
	v_fma_f32 v75, -v75, v88, v93
	v_div_fmas_f32 v75, v75, v92, v88
	v_cmp_eq_u32_e32 vcc, 1, v86
	v_div_fixup_f32 v74, v75, v74, 1.0
	v_bfe_u32 v84, v0, 4, 2
	v_cndmask_b32_e32 v1, v95, v1, vcc
	v_cmp_eq_u32_e32 vcc, 2, v86
	s_nop 1
	v_cndmask_b32_e32 v1, v1, v90, vcc
	v_cmp_eq_u32_e32 vcc, 3, v86
	s_nop 1
	v_cndmask_b32_e32 v1, v1, v91, vcc
	v_mul_f32_e32 v74, v1, v74
	v_pk_mul_f32 v[80:81], v[74:75], v[80:81] op_sel_hi:[0,1]
	v_pk_mul_f32 v[68:69], v[74:75], v[68:69] op_sel_hi:[0,1]
	v_cvt_f16_f32_e32 v75, v81
	v_cvt_f16_f32_e32 v1, v68
	;; [unrolled: 1-line block ×4, first 2 shown]
	v_pk_mul_f32 v[80:81], v[74:75], v[82:83] op_sel_hi:[0,1]
	scratch_load_dword v82, off, off        ; 4-byte Folded Reload
	v_pk_mul_f32 v[70:71], v[74:75], v[70:71] op_sel_hi:[0,1]
	v_pack_b32_f16 v69, v69, v75
	v_cvt_f16_f32_e32 v70, v70
	v_cvt_f16_f32_e32 v71, v71
	;; [unrolled: 1-line block ×4, first 2 shown]
	v_pack_b32_f16 v68, v1, v68
	v_lshlrev_b32_e32 v1, 3, v84
	v_lshlrev_b32_e32 v80, 11, v86
	v_pack_b32_f16 v70, v70, v71
	v_pack_b32_f16 v71, v75, v81
	v_cmp_gt_u32_e32 vcc, 16, v0
	s_waitcnt vmcnt(0)
	v_or3_b32 v80, v80, v82, v1
	ds_write2st64_b64 v80, v[68:69], v[70:71] offset1:1
	v_pk_mul_f32 v[68:69], v[74:75], v[76:77] op_sel_hi:[0,1]
	v_pk_mul_f32 v[70:71], v[74:75], v[78:79] op_sel_hi:[0,1]
	v_cvt_f16_f32_e32 v75, v69
	v_cvt_f16_f32_e32 v1, v70
	;; [unrolled: 1-line block ×4, first 2 shown]
	v_pk_mul_f32 v[66:67], v[74:75], v[66:67] op_sel_hi:[0,1]
	v_pk_mul_f32 v[68:69], v[74:75], v[72:73] op_sel_hi:[0,1]
	v_cvt_f16_f32_e32 v68, v68
	v_cvt_f16_f32_e32 v69, v69
	;; [unrolled: 1-line block ×4, first 2 shown]
	v_pack_b32_f16 v66, v1, v70
	v_pack_b32_f16 v67, v71, v75
	;; [unrolled: 1-line block ×4, first 2 shown]
	ds_write2st64_b64 v80, v[66:67], v[68:69] offset0:2 offset1:3
	s_and_saveexec_b64 s[4:5], vcc
	s_cbranch_execz .LBB243_15
; %bb.14:
	v_or_b32_e32 v66, s27, v0
	v_mov_b32_e32 v67, 0
	v_mov_b32_e32 v1, s7
	v_mad_u64_u32 v[68:69], s[12:13], s2, v1, v[66:67]
	v_mov_b32_e32 v66, s26
	s_load_dwordx4 s[8:11], s[0:1], 0x58
	s_mul_i32 s3, s3, s7
	v_mad_u64_u32 v[66:67], s[12:13], v68, s6, v[66:67]
	v_add_u32_e32 v1, s3, v69
	v_mov_b32_e32 v68, v67
	v_mad_u64_u32 v[68:69], s[12:13], v1, s6, v[68:69]
	v_mov_b32_e32 v67, v68
	v_lshlrev_b64 v[66:67], 2, v[66:67]
	s_waitcnt lgkmcnt(0)
	v_lshl_add_u64 v[68:69], s[10:11], 0, v[66:67]
	v_lshl_add_u64 v[66:67], s[8:9], 0, v[66:67]
	global_store_dword v[68:69], v87, off
	global_store_dword v[66:67], v89, off
.LBB243_15:
	s_or_b64 exec, exec, s[4:5]
	s_waitcnt lgkmcnt(0)
	s_barrier
	ds_read_b128 v[70:73], v85
	ds_read_b128 v[66:69], v85 offset:16
	s_waitcnt lgkmcnt(1)
	v_mfma_f32_16x16x16_f16 v[74:77], v[30:31], v[70:71], 0
	s_mov_b32 s3, 0
	v_cmp_gt_u32_e32 vcc, 64, v0
	v_mfma_f32_16x16x16_f16 v[30:33], v[32:33], v[72:73], v[74:77]
	s_waitcnt lgkmcnt(0)
	v_mfma_f32_16x16x16_f16 v[30:33], v[26:27], v[66:67], v[30:33]
	v_mfma_f32_16x16x16_f16 v[26:29], v[28:29], v[68:69], v[30:33]
	s_nop 5
	ds_read_b128 v[30:33], v85 offset:2048
	ds_read_b128 v[74:77], v85 offset:2064
	s_waitcnt lgkmcnt(1)
	v_mfma_f32_16x16x16_f16 v[26:29], v[22:23], v[30:31], v[26:29]
	v_mfma_f32_16x16x16_f16 v[22:25], v[24:25], v[32:33], v[26:29]
	s_waitcnt lgkmcnt(0)
	v_mfma_f32_16x16x16_f16 v[22:25], v[18:19], v[74:75], v[22:25]
	v_mfma_f32_16x16x16_f16 v[18:21], v[20:21], v[76:77], v[22:25]
	s_nop 5
	ds_read_b128 v[22:25], v85 offset:4096
	ds_read_b128 v[26:29], v85 offset:4112
	s_waitcnt lgkmcnt(1)
	v_mfma_f32_16x16x16_f16 v[18:21], v[14:15], v[22:23], v[18:21]
	v_mfma_f32_16x16x16_f16 v[14:17], v[16:17], v[24:25], v[18:21]
	s_waitcnt lgkmcnt(0)
	v_mfma_f32_16x16x16_f16 v[14:17], v[10:11], v[26:27], v[14:17]
	v_mfma_f32_16x16x16_f16 v[10:13], v[12:13], v[28:29], v[14:17]
	s_nop 5
	ds_read_b128 v[14:17], v85 offset:6144
	ds_read_b128 v[18:21], v85 offset:6160
	s_waitcnt lgkmcnt(0)
	s_barrier
	v_mfma_f32_16x16x16_f16 v[10:13], v[6:7], v[14:15], v[10:13]
	v_mfma_f32_16x16x16_f16 v[6:9], v[8:9], v[16:17], v[10:13]
	;; [unrolled: 1-line block ×6, first 2 shown]
	s_nop 4
	v_cvt_f16_f32_e32 v1, v2
	v_cvt_f16_f32_e32 v10, v3
	;; [unrolled: 1-line block ×3, first 2 shown]
	v_mfma_f32_16x16x16_f16 v[6:9], v[38:39], v[66:67], v[6:9]
	v_cvt_f16_f32_e32 v12, v5
	v_mfma_f32_16x16x16_f16 v[6:9], v[40:41], v[68:69], v[6:9]
	v_mfma_f32_16x16x16_f16 v[6:9], v[42:43], v[30:31], v[6:9]
	;; [unrolled: 1-line block ×13, first 2 shown]
	s_nop 6
	v_cvt_f16_f32_e32 v6, v2
	v_cvt_f16_f32_e32 v7, v3
	;; [unrolled: 1-line block ×4, first 2 shown]
	v_pack_b32_f16 v2, v1, v10
	v_pack_b32_f16 v3, v11, v12
	;; [unrolled: 1-line block ×4, first 2 shown]
	ds_write2st64_b64 v80, v[2:3], v[4:5] offset1:1
	s_waitcnt lgkmcnt(0)
	s_barrier
	s_and_saveexec_b64 s[4:5], vcc
	s_cbranch_execz .LBB243_17
; %bb.16:
	s_load_dwordx2 s[0:1], s[0:1], 0x68
	s_lshl_b32 s6, s6, 7
	s_mul_i32 s2, s7, s2
	s_mul_hi_u32 s5, s2, s6
	s_mul_i32 s4, s2, s6
	s_lshl_b64 s[4:5], s[4:5], 1
	v_and_b32_e32 v3, 15, v0
	s_waitcnt lgkmcnt(0)
	s_add_u32 s4, s0, s4
	v_lshlrev_b32_e32 v3, 6, v3
	s_addc_u32 s5, s1, s5
	s_lshl_b32 s2, s26, 7
	v_lshlrev_b32_e32 v2, 4, v0
	v_lshl_or_b32 v0, v0, 10, v3
	s_lshl_b64 s[0:1], s[2:3], 1
	v_lshlrev_b32_e32 v1, 5, v84
	v_and_b32_e32 v2, 16, v2
	v_and_b32_e32 v0, 0x1a00, v0
	s_add_u32 s0, s4, s0
	v_or3_b32 v0, v0, v1, v2
	s_addc_u32 s1, s5, s1
	v_mov_b32_e32 v95, 0
	v_or_b32_e32 v20, s27, v84
	ds_read_b128 v[2:5], v0
	ds_read_b128 v[6:9], v0 offset:128
	ds_read_b128 v[10:13], v0 offset:256
	;; [unrolled: 1-line block ×3, first 2 shown]
	v_lshl_add_u64 v[18:19], s[0:1], 0, v[94:95]
	v_mad_u64_u32 v[0:1], s[0:1], v20, s6, 0
	v_lshl_add_u64 v[0:1], v[0:1], 1, v[18:19]
	s_waitcnt lgkmcnt(3)
	global_store_dwordx4 v[0:1], v[2:5], off
	v_or_b32_e32 v0, 4, v20
	v_mad_u64_u32 v[0:1], s[0:1], v0, s6, 0
	v_lshl_add_u64 v[0:1], v[0:1], 1, v[18:19]
	s_waitcnt lgkmcnt(2)
	global_store_dwordx4 v[0:1], v[6:9], off
	v_or_b32_e32 v0, 8, v20
	;; [unrolled: 5-line block ×3, first 2 shown]
	v_mad_u64_u32 v[0:1], s[0:1], v0, s6, 0
	v_lshl_add_u64 v[0:1], v[0:1], 1, v[18:19]
	s_waitcnt lgkmcnt(0)
	global_store_dwordx4 v[0:1], v[14:17], off
.LBB243_17:
	s_endpgm
	.section	.rodata,"a",@progbits
	.p2align	6, 0x0
	.amdhsa_kernel _Z39paged_attention_ll4mi_QKV_mfma16_kernelIDF16_DF16_LN4vllm18Fp8KVCacheDataTypeE0EhLi16ELi128ELi256ELb0ELi16EEvPKT_PKT0_S7_ifPKiS9_S9_iPKfiiiPfSC_PS2_PT2_iSB_SB_
		.amdhsa_group_segment_fixed_size 8192
		.amdhsa_private_segment_fixed_size 8
		.amdhsa_kernarg_size 400
		.amdhsa_user_sgpr_count 2
		.amdhsa_user_sgpr_dispatch_ptr 0
		.amdhsa_user_sgpr_queue_ptr 0
		.amdhsa_user_sgpr_kernarg_segment_ptr 1
		.amdhsa_user_sgpr_dispatch_id 0
		.amdhsa_user_sgpr_kernarg_preload_length 0
		.amdhsa_user_sgpr_kernarg_preload_offset 0
		.amdhsa_user_sgpr_private_segment_size 0
		.amdhsa_uses_dynamic_stack 0
		.amdhsa_enable_private_segment 1
		.amdhsa_system_sgpr_workgroup_id_x 1
		.amdhsa_system_sgpr_workgroup_id_y 1
		.amdhsa_system_sgpr_workgroup_id_z 1
		.amdhsa_system_sgpr_workgroup_info 0
		.amdhsa_system_vgpr_workitem_id 0
		.amdhsa_next_free_vgpr 96
		.amdhsa_next_free_sgpr 41
		.amdhsa_accum_offset 96
		.amdhsa_reserve_vcc 1
		.amdhsa_float_round_mode_32 0
		.amdhsa_float_round_mode_16_64 0
		.amdhsa_float_denorm_mode_32 3
		.amdhsa_float_denorm_mode_16_64 3
		.amdhsa_dx10_clamp 1
		.amdhsa_ieee_mode 1
		.amdhsa_fp16_overflow 0
		.amdhsa_tg_split 0
		.amdhsa_exception_fp_ieee_invalid_op 0
		.amdhsa_exception_fp_denorm_src 0
		.amdhsa_exception_fp_ieee_div_zero 0
		.amdhsa_exception_fp_ieee_overflow 0
		.amdhsa_exception_fp_ieee_underflow 0
		.amdhsa_exception_fp_ieee_inexact 0
		.amdhsa_exception_int_div_zero 0
	.end_amdhsa_kernel
	.section	.text._Z39paged_attention_ll4mi_QKV_mfma16_kernelIDF16_DF16_LN4vllm18Fp8KVCacheDataTypeE0EhLi16ELi128ELi256ELb0ELi16EEvPKT_PKT0_S7_ifPKiS9_S9_iPKfiiiPfSC_PS2_PT2_iSB_SB_,"axG",@progbits,_Z39paged_attention_ll4mi_QKV_mfma16_kernelIDF16_DF16_LN4vllm18Fp8KVCacheDataTypeE0EhLi16ELi128ELi256ELb0ELi16EEvPKT_PKT0_S7_ifPKiS9_S9_iPKfiiiPfSC_PS2_PT2_iSB_SB_,comdat
.Lfunc_end243:
	.size	_Z39paged_attention_ll4mi_QKV_mfma16_kernelIDF16_DF16_LN4vllm18Fp8KVCacheDataTypeE0EhLi16ELi128ELi256ELb0ELi16EEvPKT_PKT0_S7_ifPKiS9_S9_iPKfiiiPfSC_PS2_PT2_iSB_SB_, .Lfunc_end243-_Z39paged_attention_ll4mi_QKV_mfma16_kernelIDF16_DF16_LN4vllm18Fp8KVCacheDataTypeE0EhLi16ELi128ELi256ELb0ELi16EEvPKT_PKT0_S7_ifPKiS9_S9_iPKfiiiPfSC_PS2_PT2_iSB_SB_
                                        ; -- End function
	.section	.AMDGPU.csdata,"",@progbits
; Kernel info:
; codeLenInByte = 4416
; NumSgprs: 47
; NumVgprs: 96
; NumAgprs: 0
; TotalNumVgprs: 96
; ScratchSize: 8
; MemoryBound: 0
; FloatMode: 240
; IeeeMode: 1
; LDSByteSize: 8192 bytes/workgroup (compile time only)
; SGPRBlocks: 5
; VGPRBlocks: 11
; NumSGPRsForWavesPerEU: 47
; NumVGPRsForWavesPerEU: 96
; AccumOffset: 96
; Occupancy: 5
; WaveLimiterHint : 1
; COMPUTE_PGM_RSRC2:SCRATCH_EN: 1
; COMPUTE_PGM_RSRC2:USER_SGPR: 2
; COMPUTE_PGM_RSRC2:TRAP_HANDLER: 0
; COMPUTE_PGM_RSRC2:TGID_X_EN: 1
; COMPUTE_PGM_RSRC2:TGID_Y_EN: 1
; COMPUTE_PGM_RSRC2:TGID_Z_EN: 1
; COMPUTE_PGM_RSRC2:TIDIG_COMP_CNT: 0
; COMPUTE_PGM_RSRC3_GFX90A:ACCUM_OFFSET: 23
; COMPUTE_PGM_RSRC3_GFX90A:TG_SPLIT: 0
	.section	.text._Z39paged_attention_ll4mi_QKV_mfma16_kernelIDF16_DF16_LN4vllm18Fp8KVCacheDataTypeE0EhLi16ELi128ELi256ELb0ELi1EEvPKT_PKT0_S7_ifPKiS9_S9_iPKfiiiPfSC_PS2_PT2_iSB_SB_,"axG",@progbits,_Z39paged_attention_ll4mi_QKV_mfma16_kernelIDF16_DF16_LN4vllm18Fp8KVCacheDataTypeE0EhLi16ELi128ELi256ELb0ELi1EEvPKT_PKT0_S7_ifPKiS9_S9_iPKfiiiPfSC_PS2_PT2_iSB_SB_,comdat
	.protected	_Z39paged_attention_ll4mi_QKV_mfma16_kernelIDF16_DF16_LN4vllm18Fp8KVCacheDataTypeE0EhLi16ELi128ELi256ELb0ELi1EEvPKT_PKT0_S7_ifPKiS9_S9_iPKfiiiPfSC_PS2_PT2_iSB_SB_ ; -- Begin function _Z39paged_attention_ll4mi_QKV_mfma16_kernelIDF16_DF16_LN4vllm18Fp8KVCacheDataTypeE0EhLi16ELi128ELi256ELb0ELi1EEvPKT_PKT0_S7_ifPKiS9_S9_iPKfiiiPfSC_PS2_PT2_iSB_SB_
	.globl	_Z39paged_attention_ll4mi_QKV_mfma16_kernelIDF16_DF16_LN4vllm18Fp8KVCacheDataTypeE0EhLi16ELi128ELi256ELb0ELi1EEvPKT_PKT0_S7_ifPKiS9_S9_iPKfiiiPfSC_PS2_PT2_iSB_SB_
	.p2align	8
	.type	_Z39paged_attention_ll4mi_QKV_mfma16_kernelIDF16_DF16_LN4vllm18Fp8KVCacheDataTypeE0EhLi16ELi128ELi256ELb0ELi1EEvPKT_PKT0_S7_ifPKiS9_S9_iPKfiiiPfSC_PS2_PT2_iSB_SB_,@function
_Z39paged_attention_ll4mi_QKV_mfma16_kernelIDF16_DF16_LN4vllm18Fp8KVCacheDataTypeE0EhLi16ELi128ELi256ELb0ELi1EEvPKT_PKT0_S7_ifPKiS9_S9_iPKfiiiPfSC_PS2_PT2_iSB_SB_: ; @_Z39paged_attention_ll4mi_QKV_mfma16_kernelIDF16_DF16_LN4vllm18Fp8KVCacheDataTypeE0EhLi16ELi128ELi256ELb0ELi1EEvPKT_PKT0_S7_ifPKiS9_S9_iPKfiiiPfSC_PS2_PT2_iSB_SB_
; %bb.0:
	s_load_dwordx2 s[8:9], s[0:1], 0x30
	s_mov_b32 s5, s3
	s_mov_b64 s[6:7], 0
	s_waitcnt lgkmcnt(0)
	s_cmp_lg_u64 s[8:9], 0
	s_cselect_b64 s[10:11], -1, 0
	s_and_b64 vcc, exec, s[10:11]
	s_cbranch_vccz .LBB244_7
; %bb.1:
	s_add_i32 s12, s2, 1
	s_mov_b32 s13, 0
	s_lshl_b64 s[14:15], s[12:13], 2
	s_add_u32 s14, s8, s14
	s_mov_b32 s3, s13
	s_addc_u32 s15, s9, s15
	s_lshl_b64 s[12:13], s[2:3], 2
	s_add_u32 s12, s8, s12
	s_addc_u32 s13, s9, s13
	s_load_dword s16, s[14:15], 0x0
	s_load_dword s17, s[12:13], 0x0
	s_waitcnt lgkmcnt(0)
	s_sub_i32 s12, s16, s17
	s_cmp_eq_u32 s12, 1
	s_cselect_b64 s[12:13], -1, 0
	s_andn2_b64 vcc, exec, s[6:7]
	s_cbranch_vccnz .LBB244_3
.LBB244_2:
	s_mov_b32 s3, 0
	s_mov_b64 s[12:13], -1
.LBB244_3:
	s_andn2_b64 vcc, exec, s[12:13]
	s_cbranch_vccnz .LBB244_17
; %bb.4:
	s_load_dwordx2 s[6:7], s[0:1], 0x28
	s_lshl_b64 s[16:17], s[2:3], 2
	s_waitcnt lgkmcnt(0)
	s_add_u32 s6, s6, s16
	s_addc_u32 s7, s7, s17
	s_load_dword s26, s[6:7], 0x0
	s_lshl_b32 s18, s5, 8
	s_waitcnt lgkmcnt(0)
	s_cmp_ge_i32 s18, s26
	s_cbranch_scc1 .LBB244_17
; %bb.5:
	s_load_dwordx2 s[6:7], s[0:1], 0x20
	s_load_dword s12, s[0:1], 0x38
	s_add_i32 s13, s26, 15
	s_ashr_i32 s14, s13, 31
	v_and_b32_e32 v1, 0xcf, v0
	s_lshr_b32 s14, s14, 28
	v_add_u32_e32 v1, s18, v1
	s_add_i32 s13, s13, s14
	v_ashrrev_i32_e32 v2, 31, v1
	s_ashr_i32 s19, s13, 4
	v_lshrrev_b32_e32 v4, 28, v2
	s_add_i32 s19, s19, -1
	s_waitcnt lgkmcnt(0)
	s_mul_i32 s12, s2, s12
	s_mov_b32 s13, 0
	v_add_u32_e32 v2, v1, v4
	s_lshl_b64 s[12:13], s[12:13], 2
	v_ashrrev_i32_e32 v2, 4, v2
	v_mov_b32_e32 v5, s19
	v_cmp_gt_i32_e32 vcc, s26, v1
	s_add_u32 s6, s6, s12
	s_addc_u32 s7, s7, s13
	v_cndmask_b32_e32 v2, v5, v2, vcc
	v_ashrrev_i32_e32 v3, 31, v2
	v_lshl_add_u64 v[6:7], v[2:3], 2, s[6:7]
	v_or_b32_e32 v2, 16, v1
	v_add_u32_e32 v3, v2, v4
	v_ashrrev_i32_e32 v3, 4, v3
	v_cmp_gt_i32_e32 vcc, s26, v2
	s_load_dwordx4 s[12:15], s[0:1], 0x8
	s_nop 0
	v_cndmask_b32_e32 v2, v5, v3, vcc
	v_ashrrev_i32_e32 v3, 31, v2
	v_lshl_add_u64 v[8:9], v[2:3], 2, s[6:7]
	v_or_b32_e32 v2, 32, v1
	v_add_u32_e32 v3, v2, v4
	v_ashrrev_i32_e32 v3, 4, v3
	v_cmp_gt_i32_e32 vcc, s26, v2
	v_or_b32_e32 v1, 48, v1
	s_nop 0
	v_cndmask_b32_e32 v2, v5, v3, vcc
	v_ashrrev_i32_e32 v3, 31, v2
	v_lshl_add_u64 v[10:11], v[2:3], 2, s[6:7]
	v_add_u32_e32 v2, v1, v4
	v_ashrrev_i32_e32 v2, 4, v2
	v_cmp_gt_i32_e32 vcc, s26, v1
	s_nop 1
	v_cndmask_b32_e32 v2, v5, v2, vcc
	v_ashrrev_i32_e32 v3, 31, v2
	v_lshl_add_u64 v[12:13], v[2:3], 2, s[6:7]
	global_load_dword v4, v[6:7], off
	global_load_dword v3, v[8:9], off
	;; [unrolled: 1-line block ×4, first 2 shown]
	s_andn2_b64 vcc, exec, s[10:11]
	s_cbranch_vccnz .LBB244_8
; %bb.6:
	s_add_u32 s8, s8, s16
	s_addc_u32 s9, s9, s17
	s_load_dword s20, s[8:9], 0x0
	s_branch .LBB244_9
.LBB244_7:
	s_mov_b64 s[12:13], 0
	s_branch .LBB244_2
.LBB244_8:
	s_mov_b32 s20, s2
.LBB244_9:
	s_load_dwordx4 s[8:11], s[0:1], 0x48
	v_lshrrev_b32_e32 v79, 6, v0
	v_bfe_u32 v84, v0, 4, 2
	v_and_b32_e32 v83, 15, v0
	v_lshl_or_b32 v1, v79, 2, v84
	v_lshlrev_b32_e32 v5, 3, v83
	v_and_b32_e32 v88, 63, v0
	v_cmp_eq_u32_e32 vcc, 0, v1
	v_lshlrev_b32_e32 v1, 1, v5
	scratch_store_dword off, v1, off        ; 4-byte Folded Spill
	s_and_saveexec_b64 s[16:17], vcc
	s_cbranch_execz .LBB244_11
; %bb.10:
	scratch_load_dword v1, off, off         ; 4-byte Folded Reload
	s_load_dwordx2 s[22:23], s[0:1], 0x0
	s_waitcnt lgkmcnt(0)
	s_ashr_i32 s11, s8, 31
	s_mul_hi_u32 s21, s20, s8
	s_mul_i32 s11, s20, s11
	s_add_i32 s21, s21, s11
	s_mul_i32 s20, s20, s8
	s_lshl_b64 s[20:21], s[20:21], 1
	s_add_u32 s8, s22, s20
	s_addc_u32 s11, s23, s21
	s_lshl_b32 s20, s4, 7
	s_ashr_i32 s21, s20, 31
	s_lshl_b64 s[20:21], s[20:21], 1
	s_add_u32 s20, s8, s20
	s_addc_u32 s21, s11, s21
	v_lshlrev_b32_e32 v5, 9, v83
	s_movk_i32 s8, 0x1800
	s_waitcnt vmcnt(0)
	global_load_dwordx4 v[6:9], v1, s[20:21]
	v_and_b32_e32 v1, 3, v0
	v_lshlrev_b32_e32 v1, 9, v1
	v_and_or_b32 v1, v5, s8, v1
	s_waitcnt vmcnt(0)
	ds_write_b128 v1, v[6:9]
.LBB244_11:
	s_or_b64 exec, exec, s[16:17]
	s_waitcnt lgkmcnt(0)
	s_mul_i32 s10, s4, s10
	s_mov_b32 s11, 0
	s_lshl_b64 s[10:11], s[10:11], 1
	s_add_u32 s12, s12, s10
	v_lshlrev_b32_e32 v1, 4, v0
	s_addc_u32 s13, s13, s11
	v_and_b32_e32 v66, 0xf0, v1
	v_mov_b32_e32 v67, 0
	v_lshl_add_u64 v[30:31], s[12:13], 0, v[66:67]
	s_waitcnt vmcnt(4)
	v_mad_i64_i32 v[4:5], s[12:13], v4, s9, 0
	v_lshl_add_u64 v[4:5], v[4:5], 1, v[30:31]
	v_and_b32_e32 v66, 0x300, v1
	v_lshl_add_u64 v[32:33], v[4:5], 0, v[66:67]
	s_waitcnt vmcnt(3)
	v_mad_i64_i32 v[4:5], s[12:13], v3, s9, 0
	s_barrier
	global_load_dwordx4 v[10:13], v[32:33], off
	v_lshl_add_u64 v[4:5], v[4:5], 1, v[30:31]
	v_lshl_add_u64 v[42:43], v[4:5], 0, v[66:67]
	global_load_dwordx4 v[14:17], v[42:43], off
	s_waitcnt vmcnt(4)
	v_mad_i64_i32 v[2:3], s[12:13], v2, s9, 0
	v_lshl_add_u64 v[2:3], v[2:3], 1, v[30:31]
	v_lshl_add_u64 v[44:45], v[2:3], 0, v[66:67]
	global_load_dwordx4 v[26:29], v[44:45], off
	global_load_dwordx4 v[22:25], v[32:33], off offset:1024
	global_load_dwordx4 v[18:21], v[42:43], off offset:1024
	;; [unrolled: 1-line block ×6, first 2 shown]
	v_lshlrev_b32_e32 v35, 9, v84
	ds_read_b128 v[6:9], v35
	ds_read_b128 v[2:5], v35 offset:2048
	v_and_or_b32 v74, v0, 48, s18
	v_mov_b32_e32 v76, s19
	v_or_b32_e32 v75, 64, v74
	v_cmp_gt_i32_e32 vcc, s26, v74
	s_waitcnt vmcnt(10)
	v_mad_i64_i32 v[72:73], s[12:13], v34, s9, 0
	v_or_b32_e32 v77, 0x80, v74
	v_or_b32_e32 v78, 0xc0, v74
	v_lshl_or_b32 v89, v79, 4, v83
	s_add_u32 s10, s14, s10
	v_mov_b32_e32 v95, v79
	s_addc_u32 s11, s15, s11
	v_mov_b32_e32 v1, v84
	s_mov_b32 s33, 0xff7fffff
	s_waitcnt vmcnt(6) lgkmcnt(1)
	v_mfma_f32_16x16x16_f16 v[58:61], v[26:27], v[6:7], 0
	v_mfma_f32_16x16x16_f16 v[36:39], v[10:11], v[6:7], 0
	;; [unrolled: 1-line block ×4, first 2 shown]
	s_nop 4
	ds_read_b128 v[38:41], v35 offset:4096
	ds_read_b128 v[34:37], v35 offset:6144
	v_mfma_f32_16x16x16_f16 v[14:17], v[16:17], v[8:9], v[50:53]
	s_waitcnt vmcnt(5) lgkmcnt(2)
	v_mfma_f32_16x16x16_f16 v[10:13], v[22:23], v[2:3], v[10:13]
	s_nop 0
	global_load_dwordx4 v[50:53], v[32:33], off offset:3072
	v_ashrrev_i32_e32 v22, 4, v75
	v_mfma_f32_16x16x16_f16 v[26:29], v[28:29], v[8:9], v[58:61]
	s_nop 2
	v_ashrrev_i32_e32 v58, 4, v74
	s_waitcnt vmcnt(5)
	v_mfma_f32_16x16x16_f16 v[14:17], v[18:19], v[2:3], v[14:17]
	v_cndmask_b32_e32 v18, v76, v58, vcc
	global_load_dwordx4 v[58:61], v[42:43], off offset:3072
	v_cmp_gt_i32_e32 vcc, s26, v75
	v_ashrrev_i32_e32 v32, 4, v77
	v_mfma_f32_16x16x16_f16 v[10:13], v[24:25], v[4:5], v[10:13]
	v_cndmask_b32_e32 v22, v76, v22, vcc
	v_cmp_gt_i32_e32 vcc, s26, v77
	global_load_dwordx4 v[42:45], v[44:45], off offset:3072
	s_waitcnt vmcnt(5)
	v_mfma_f32_16x16x16_f16 v[26:29], v[46:47], v[2:3], v[26:29]
	v_cndmask_b32_e32 v24, v76, v32, vcc
	v_ashrrev_i32_e32 v19, 31, v18
	v_ashrrev_i32_e32 v25, 31, v24
	v_lshl_add_u64 v[18:19], v[18:19], 2, s[6:7]
	v_ashrrev_i32_e32 v23, 31, v22
	v_lshl_add_u64 v[24:25], v[24:25], 2, s[6:7]
	global_load_dword v33, v[18:19], off
	global_load_dword v81, v[24:25], off
	v_lshl_add_u64 v[18:19], v[22:23], 2, s[6:7]
	v_lshl_add_u64 v[22:23], v[72:73], 1, v[30:31]
	;; [unrolled: 1-line block ×3, first 2 shown]
	v_mfma_f32_16x16x16_f16 v[14:17], v[20:21], v[4:5], v[14:17]
	global_load_dword v80, v[18:19], off
	global_load_dwordx4 v[72:75], v[22:23], off offset:1024
	v_cmp_gt_i32_e32 vcc, s26, v78
	v_mfma_f32_16x16x16_f16 v[18:21], v[48:49], v[4:5], v[26:29]
	global_load_dwordx4 v[46:49], v[22:23], off
	v_lshlrev_b32_e32 v66, 5, v89
	s_waitcnt lgkmcnt(1)
	v_mfma_f32_16x16x16_f16 v[10:13], v[54:55], v[38:39], v[10:13]
	v_ashrrev_i32_e32 v26, 4, v78
	v_cndmask_b32_e32 v24, v76, v26, vcc
	v_ashrrev_i32_e32 v25, 31, v24
	v_mfma_f32_16x16x16_f16 v[10:13], v[56:57], v[40:41], v[10:13]
	global_load_dwordx4 v[54:57], v[22:23], off offset:2048
	v_lshl_add_u64 v[24:25], v[24:25], 2, s[6:7]
	global_load_dword v82, v[24:25], off
	s_waitcnt vmcnt(10)
	v_mfma_f32_16x16x16_f16 v[18:21], v[68:69], v[38:39], v[18:21]
	s_load_dword s6, s[0:1], 0x1c
	v_mfma_f32_16x16x16_f16 v[18:21], v[70:71], v[40:41], v[18:21]
	global_load_dwordx4 v[68:71], v[22:23], off offset:3072
	s_waitcnt vmcnt(7)
	v_mad_i64_i32 v[22:23], s[12:13], v33, s9, 0
	s_waitcnt lgkmcnt(0)
	v_mfma_f32_16x16x16_f16 v[10:13], v[50:51], v[34:35], v[10:13]
	v_mfma_f32_16x16x16_f16 v[14:17], v[62:63], v[38:39], v[14:17]
	v_lshl_add_u64 v[62:63], s[10:11], 0, v[66:67]
	v_or_b32_e32 v66, 0x800, v66
	v_mfma_f32_16x16x16_f16 v[18:21], v[42:43], v[34:35], v[18:21]
	v_mfma_f32_16x16x16_f16 v[76:79], v[52:53], v[36:37], v[10:13]
	s_waitcnt vmcnt(5)
	s_nop 1
	v_mad_i64_i32 v[10:11], s[12:13], v80, s9, 0
	v_mfma_f32_16x16x16_f16 v[14:17], v[64:65], v[40:41], v[14:17]
	v_lshlrev_b64 v[64:65], 1, v[22:23]
	v_lshlrev_b64 v[42:43], 1, v[10:11]
	v_lshl_add_u64 v[12:13], v[62:63], 0, v[64:65]
	v_lshl_add_u64 v[10:11], v[62:63], 0, v[42:43]
	global_load_dwordx4 v[30:33], v[12:13], off
	global_load_dwordx4 v[26:29], v[12:13], off offset:16
	v_mfma_f32_16x16x16_f16 v[84:87], v[44:45], v[36:37], v[18:21]
	global_load_dwordx4 v[22:25], v[10:11], off
	s_nop 1
	global_load_dwordx4 v[18:21], v[10:11], off offset:16
	s_waitcnt vmcnt(7)
	v_mfma_f32_16x16x16_f16 v[10:13], v[46:47], v[6:7], 0
	v_mad_i64_i32 v[6:7], s[12:13], v81, s9, 0
	v_lshlrev_b64 v[50:51], 1, v[6:7]
	v_mfma_f32_16x16x16_f16 v[6:9], v[48:49], v[8:9], v[10:13]
	v_pk_mul_f32 v[80:81], s[6:7], v[78:79] op_sel_hi:[0,1]
	v_pk_mul_f32 v[78:79], s[6:7], v[84:85] op_sel_hi:[0,1]
	v_mfma_f32_16x16x16_f16 v[6:9], v[72:73], v[2:3], v[6:9]
	s_waitcnt vmcnt(5)
	v_mad_i64_i32 v[2:3], s[8:9], v82, s9, 0
	v_lshl_add_u64 v[10:11], v[62:63], 0, v[50:51]
	v_mfma_f32_16x16x16_f16 v[44:47], v[74:75], v[4:5], v[6:9]
	v_mfma_f32_16x16x16_f16 v[44:47], v[54:55], v[38:39], v[44:47]
	v_mfma_f32_16x16x16_f16 v[38:41], v[56:57], v[40:41], v[44:47]
	v_mfma_f32_16x16x16_f16 v[14:17], v[58:59], v[34:35], v[14:17]
	v_lshlrev_b64 v[58:59], 1, v[2:3]
	v_lshl_add_u64 v[2:3], v[62:63], 0, v[58:59]
	v_lshl_add_u64 v[62:63], s[10:11], 0, v[66:67]
	s_waitcnt vmcnt(4)
	v_mfma_f32_16x16x16_f16 v[38:41], v[68:69], v[34:35], v[38:41]
	v_lshl_add_u64 v[52:53], v[62:63], 0, v[64:65]
	v_lshl_add_u64 v[50:51], v[62:63], 0, v[50:51]
	;; [unrolled: 1-line block ×3, first 2 shown]
	v_mfma_f32_16x16x16_f16 v[90:93], v[60:61], v[36:37], v[14:17]
	v_pk_mul_f32 v[60:61], s[6:7], v[76:77] op_sel_hi:[0,1]
	v_pk_mul_f32 v[76:77], s[6:7], v[86:87] op_sel_hi:[0,1]
	s_nop 0
	global_load_dwordx4 v[14:17], v[10:11], off
	s_nop 0
	global_load_dwordx4 v[10:13], v[10:11], off offset:16
	v_mfma_f32_16x16x16_f16 v[34:37], v[70:71], v[36:37], v[38:41]
	v_pk_mul_f32 v[72:73], s[6:7], v[90:91] op_sel_hi:[0,1]
	v_pk_mul_f32 v[82:83], s[6:7], v[92:93] op_sel_hi:[0,1]
	global_load_dwordx4 v[6:9], v[2:3], off
	s_nop 0
	global_load_dwordx4 v[2:5], v[2:3], off offset:16
	s_nop 1
	v_pk_mul_f32 v[74:75], s[6:7], v[34:35] op_sel_hi:[0,1]
	v_and_b32_e32 v34, 0xc0, v0
	v_add_u32_e32 v34, s18, v34
	v_lshl_or_b32 v34, v1, 2, v34
	v_pk_mul_f32 v[68:69], s[6:7], v[36:37] op_sel_hi:[0,1]
	v_or_b32_e32 v37, 1, v34
	v_mov_b32_e32 v35, 0xff7fffff
	v_cmp_gt_i32_e64 s[28:29], s26, v34
	v_cmp_gt_i32_e64 s[30:31], s26, v37
	v_or_b32_e32 v38, 3, v34
	v_cndmask_b32_e64 v36, v35, v60, s[28:29]
	v_cndmask_b32_e64 v37, v35, v61, s[30:31]
	v_max3_f32 v36, v36, s33, v37
	v_or_b32_e32 v37, 2, v34
	v_cmp_gt_i32_e64 s[34:35], s26, v37
	v_cmp_gt_i32_e64 s[36:37], s26, v38
	s_nop 0
	v_cndmask_b32_e64 v37, v35, v80, s[34:35]
	v_cndmask_b32_e64 v38, v35, v81, s[36:37]
	v_max3_f32 v36, v36, v37, v38
	v_or_b32_e32 v37, 16, v34
	v_or_b32_e32 v38, 17, v34
	v_cmp_gt_i32_e64 s[22:23], s26, v37
	v_cmp_gt_i32_e64 s[24:25], s26, v38
	s_nop 0
	v_cndmask_b32_e64 v37, v35, v72, s[22:23]
	v_cndmask_b32_e64 v38, v35, v73, s[24:25]
	v_max3_f32 v36, v36, v37, v38
	v_or_b32_e32 v37, 18, v34
	;; [unrolled: 8-line block ×6, first 2 shown]
	v_or_b32_e32 v34, 51, v34
	v_cmp_gt_i32_e32 vcc, s26, v37
	v_cmp_gt_i32_e64 s[26:27], s26, v34
	global_load_dwordx4 v[46:49], v[52:53], off
	global_load_dwordx4 v[38:41], v[52:53], off offset:16
	v_cndmask_b32_e32 v37, v35, v68, vcc
	v_cndmask_b32_e64 v34, v35, v69, s[26:27]
	v_max3_f32 v54, v36, v37, v34
	v_mbcnt_lo_u32_b32 v34, -1, 0
	v_mbcnt_hi_u32_b32 v55, -1, v34
	v_and_b32_e32 v34, 64, v55
	v_add_u32_e32 v56, 64, v34
	v_xor_b32_e32 v34, 32, v55
	v_cmp_lt_i32_e64 s[38:39], v34, v56
	s_nop 1
	v_cndmask_b32_e64 v34, v55, v34, s[38:39]
	v_lshlrev_b32_e32 v84, 2, v34
	ds_bpermute_b32 v57, v84, v54
	v_lshl_add_u64 v[34:35], v[62:63], 0, v[42:43]
	global_load_dwordx4 v[42:45], v[34:35], off
	s_nop 0
	global_load_dwordx4 v[34:37], v[34:35], off offset:16
	s_waitcnt lgkmcnt(0)
	v_max_f32_e32 v52, v57, v57
	v_max_f32_e32 v64, v54, v52
	v_xor_b32_e32 v52, 16, v55
	v_cmp_lt_i32_e64 s[38:39], v52, v56
	s_nop 1
	v_cndmask_b32_e64 v52, v55, v52, s[38:39]
	v_lshlrev_b32_e32 v85, 2, v52
	ds_bpermute_b32 v65, v85, v64
	global_load_dwordx4 v[54:57], v[50:51], off
	s_nop 0
	global_load_dwordx4 v[50:53], v[50:51], off offset:16
	s_waitcnt lgkmcnt(0)
	v_max_f32_e32 v62, v65, v65
	v_max_f32_e32 v66, v64, v62
	v_sub_f32_e32 v60, v60, v66
	v_mul_f32_e32 v60, 0x3fb8aa3b, v60
	v_exp_f32_e32 v70, v60
	v_sub_f32_e32 v60, v61, v66
	v_mul_f32_e32 v60, 0x3fb8aa3b, v60
	v_exp_f32_e32 v71, v60
	global_load_dwordx4 v[62:65], v[58:59], off
	s_nop 0
	global_load_dwordx4 v[58:61], v[58:59], off offset:16
	v_sub_f32_e32 v80, v80, v66
	v_mul_f32_e32 v80, 0x3fb8aa3b, v80
	v_sub_f32_e32 v81, v81, v66
	v_exp_f32_e32 v80, v80
	v_mul_f32_e32 v81, 0x3fb8aa3b, v81
	v_sub_f32_e32 v72, v72, v66
	v_exp_f32_e32 v81, v81
	v_mul_f32_e32 v72, 0x3fb8aa3b, v72
	v_sub_f32_e32 v73, v73, v66
	v_cndmask_b32_e64 v70, 0, v70, s[28:29]
	v_exp_f32_e32 v72, v72
	v_mul_f32_e32 v73, 0x3fb8aa3b, v73
	v_sub_f32_e32 v82, v82, v66
	v_add_f32_e32 v86, 0, v70
	v_cndmask_b32_e64 v71, 0, v71, s[30:31]
	v_exp_f32_e32 v73, v73
	v_mul_f32_e32 v82, 0x3fb8aa3b, v82
	v_sub_f32_e32 v83, v83, v66
	v_add_f32_e32 v86, v86, v71
	v_cndmask_b32_e64 v80, 0, v80, s[34:35]
	v_exp_f32_e32 v82, v82
	v_mul_f32_e32 v83, 0x3fb8aa3b, v83
	v_sub_f32_e32 v78, v78, v66
	v_add_f32_e32 v86, v86, v80
	v_cndmask_b32_e64 v81, 0, v81, s[36:37]
	v_exp_f32_e32 v83, v83
	v_mul_f32_e32 v78, 0x3fb8aa3b, v78
	v_sub_f32_e32 v79, v79, v66
	v_add_f32_e32 v86, v86, v81
	v_cndmask_b32_e64 v72, 0, v72, s[22:23]
	v_exp_f32_e32 v78, v78
	v_mul_f32_e32 v79, 0x3fb8aa3b, v79
	v_sub_f32_e32 v76, v76, v66
	v_add_f32_e32 v86, v86, v72
	v_cndmask_b32_e64 v73, 0, v73, s[24:25]
	v_exp_f32_e32 v79, v79
	v_mul_f32_e32 v76, 0x3fb8aa3b, v76
	v_sub_f32_e32 v77, v77, v66
	v_add_f32_e32 v86, v86, v73
	v_cndmask_b32_e64 v82, 0, v82, s[18:19]
	v_exp_f32_e32 v76, v76
	v_mul_f32_e32 v77, 0x3fb8aa3b, v77
	v_sub_f32_e32 v74, v74, v66
	v_add_f32_e32 v86, v86, v82
	v_cndmask_b32_e64 v83, 0, v83, s[20:21]
	v_exp_f32_e32 v77, v77
	v_mul_f32_e32 v74, 0x3fb8aa3b, v74
	v_sub_f32_e32 v75, v75, v66
	v_add_f32_e32 v86, v86, v83
	v_cndmask_b32_e64 v78, 0, v78, s[14:15]
	v_exp_f32_e32 v74, v74
	v_mul_f32_e32 v75, 0x3fb8aa3b, v75
	v_sub_f32_e32 v68, v68, v66
	v_add_f32_e32 v86, v86, v78
	v_cndmask_b32_e64 v79, 0, v79, s[16:17]
	v_exp_f32_e32 v75, v75
	v_mul_f32_e32 v68, 0x3fb8aa3b, v68
	v_sub_f32_e32 v69, v69, v66
	v_add_f32_e32 v86, v86, v79
	v_cndmask_b32_e64 v76, 0, v76, s[10:11]
	v_exp_f32_e32 v68, v68
	v_mul_f32_e32 v69, 0x3fb8aa3b, v69
	v_add_f32_e32 v86, v86, v76
	v_cndmask_b32_e64 v77, 0, v77, s[12:13]
	v_exp_f32_e32 v69, v69
	v_add_f32_e32 v86, v86, v77
	v_cndmask_b32_e64 v74, 0, v74, s[6:7]
	v_add_f32_e32 v86, v86, v74
	v_cndmask_b32_e64 v75, 0, v75, s[8:9]
	v_add_f32_e32 v86, v86, v75
	v_cndmask_b32_e32 v68, 0, v68, vcc
	v_add_f32_e32 v86, v86, v68
	v_cndmask_b32_e64 v69, 0, v69, s[26:27]
	v_add_f32_e32 v86, v86, v69
	ds_bpermute_b32 v84, v84, v86
	v_cmp_lt_u32_e64 s[6:7], 15, v88
	v_cmp_gt_u32_e32 vcc, 16, v88
	s_waitcnt lgkmcnt(0)
	s_barrier
	v_add_f32_e32 v90, v86, v84
	ds_bpermute_b32 v91, v85, v90
	s_waitcnt lgkmcnt(0)
	s_and_saveexec_b64 s[8:9], vcc
	s_cbranch_execz .LBB244_13
; %bb.12:
	v_add_f32_e32 v84, v90, v91
	v_lshlrev_b32_e32 v85, 2, v89
	ds_write2st64_b32 v85, v66, v84 offset1:1
.LBB244_13:
	s_or_b64 exec, exec, s[8:9]
	v_and_b32_e32 v94, 15, v0
	v_lshlrev_b32_e32 v66, 2, v94
	s_load_dwordx2 s[8:9], s[0:1], 0x94
	s_waitcnt lgkmcnt(0)
	s_barrier
	ds_read2_b32 v[84:85], v66 offset1:16
	ds_read2_b32 v[86:87], v66 offset0:32 offset1:48
	ds_read2_b32 v[90:91], v66 offset0:64 offset1:80
	s_waitcnt lgkmcnt(2)
	v_max3_f32 v88, v84, s33, v85
	s_waitcnt lgkmcnt(1)
	v_max3_f32 v88, v88, v86, v87
	v_sub_f32_e32 v84, v84, v88
	v_mul_f32_e32 v84, 0x3fb8aa3b, v84
	v_exp_f32_e32 v92, v84
	v_sub_f32_e32 v84, v85, v88
	v_mul_f32_e32 v84, 0x3fb8aa3b, v84
	v_exp_f32_e32 v93, v84
	;; [unrolled: 3-line block ×3, first 2 shown]
	ds_read2_b32 v[84:85], v66 offset0:96 offset1:112
	v_sub_f32_e32 v66, v87, v88
	v_mul_f32_e32 v66, 0x3fb8aa3b, v66
	v_exp_f32_e32 v66, v66
	s_waitcnt lgkmcnt(1)
	v_fma_f32 v89, v92, v90, 0
	v_fmac_f32_e32 v89, v93, v91
	s_waitcnt lgkmcnt(0)
	v_fmac_f32_e32 v89, v86, v84
	v_fmac_f32_e32 v89, v66, v85
	v_add_f32_e32 v84, 0x358637bd, v89
	v_div_scale_f32 v85, s[10:11], v84, v84, 1.0
	v_rcp_f32_e32 v87, v85
	s_barrier
	v_fma_f32 v90, -v85, v87, 1.0
	v_fmac_f32_e32 v87, v90, v87
	v_div_scale_f32 v90, vcc, 1.0, v84, 1.0
	v_mul_f32_e32 v91, v90, v87
	v_fma_f32 v1, -v85, v91, v90
	v_fmac_f32_e32 v91, v1, v87
	v_fma_f32 v1, -v85, v91, v90
	v_div_fmas_f32 v1, v1, v87, v91
	v_cmp_eq_u32_e32 vcc, 1, v95
	v_div_fixup_f32 v1, v1, v84, 1.0
	s_nop 0
	v_cndmask_b32_e32 v84, v92, v93, vcc
	v_cmp_eq_u32_e32 vcc, 2, v95
	s_nop 1
	v_cndmask_b32_e32 v84, v84, v86, vcc
	v_cmp_eq_u32_e32 vcc, 3, v95
	s_nop 1
	v_cndmask_b32_e32 v66, v84, v66, vcc
	v_mul_f32_e32 v84, v66, v1
	v_pk_mul_f32 v[80:81], v[84:85], v[80:81] op_sel_hi:[0,1]
	v_pk_mul_f32 v[70:71], v[84:85], v[70:71] op_sel_hi:[0,1]
	v_cvt_f16_f32_e32 v66, v71
	v_cvt_f16_f32_e32 v71, v80
	;; [unrolled: 1-line block ×3, first 2 shown]
	v_bfe_u32 v85, v0, 4, 2
	v_cvt_f16_f32_e32 v1, v70
	v_pk_mul_f32 v[72:73], v[84:85], v[72:73] op_sel_hi:[0,1]
	v_pack_b32_f16 v71, v71, v80
	v_pk_mul_f32 v[80:81], v[84:85], v[82:83] op_sel_hi:[0,1]
	v_cvt_f16_f32_e32 v72, v72
	v_cvt_f16_f32_e32 v73, v73
	;; [unrolled: 1-line block ×4, first 2 shown]
	v_pack_b32_f16 v70, v1, v66
	v_lshlrev_b32_e32 v1, 3, v85
	v_lshlrev_b32_e32 v66, 5, v94
	;; [unrolled: 1-line block ×3, first 2 shown]
	v_or3_b32 v80, v80, v66, v1
	v_pack_b32_f16 v72, v72, v73
	v_pack_b32_f16 v73, v82, v81
	ds_write2st64_b64 v80, v[70:71], v[72:73] offset1:1
	v_pk_mul_f32 v[70:71], v[84:85], v[76:77] op_sel_hi:[0,1]
	v_pk_mul_f32 v[72:73], v[84:85], v[78:79] op_sel_hi:[0,1]
	v_cvt_f16_f32_e32 v1, v72
	v_cvt_f16_f32_e32 v72, v73
	v_cvt_f16_f32_e32 v73, v70
	v_cvt_f16_f32_e32 v76, v71
	v_pk_mul_f32 v[68:69], v[84:85], v[68:69] op_sel_hi:[0,1]
	v_pk_mul_f32 v[70:71], v[84:85], v[74:75] op_sel_hi:[0,1]
	v_cvt_f16_f32_e32 v70, v70
	v_cvt_f16_f32_e32 v71, v71
	v_cvt_f16_f32_e32 v74, v68
	v_cvt_f16_f32_e32 v75, v69
	v_pack_b32_f16 v68, v1, v72
	v_pack_b32_f16 v69, v73, v76
	;; [unrolled: 1-line block ×4, first 2 shown]
	v_cmp_eq_u32_e32 vcc, 0, v0
	ds_write2st64_b64 v80, v[68:69], v[70:71] offset0:2 offset1:3
	s_and_saveexec_b64 s[10:11], vcc
	s_cbranch_execz .LBB244_15
; %bb.14:
	s_mul_i32 s3, s3, s9
	s_mul_hi_u32 s16, s2, s9
	s_add_i32 s16, s16, s3
	s_mul_i32 s3, s2, s9
	s_add_u32 s3, s3, s4
	s_addc_u32 s16, s16, 0
	s_load_dwordx4 s[12:15], s[0:1], 0x58
	s_mul_i32 s16, s16, s8
	s_mul_hi_u32 s17, s3, s8
	s_add_i32 s17, s17, s16
	s_mul_i32 s3, s3, s8
	s_add_u32 s16, s3, s5
	s_addc_u32 s17, s17, 0
	s_lshl_b64 s[16:17], s[16:17], 2
	s_waitcnt lgkmcnt(0)
	s_add_u32 s14, s14, s16
	s_addc_u32 s15, s15, s17
	s_add_u32 s12, s12, s16
	s_addc_u32 s13, s13, s17
	global_store_dword v67, v88, s[14:15]
	global_store_dword v67, v89, s[12:13]
.LBB244_15:
	s_or_b64 exec, exec, s[10:11]
	v_lshl_or_b32 v1, v85, 9, v66
	s_waitcnt lgkmcnt(0)
	s_barrier
	ds_read_b128 v[70:73], v1
	ds_read_b128 v[66:69], v1 offset:16
	s_waitcnt vmcnt(15) lgkmcnt(1)
	v_mfma_f32_16x16x16_f16 v[74:77], v[30:31], v[70:71], 0
	v_cmp_gt_u32_e32 vcc, 64, v0
	s_xor_b64 s[6:7], s[6:7], -1
	s_mov_b32 s3, 0
	v_mfma_f32_16x16x16_f16 v[30:33], v[32:33], v[72:73], v[74:77]
	s_and_b64 s[6:7], vcc, s[6:7]
	s_waitcnt vmcnt(14) lgkmcnt(0)
	v_mfma_f32_16x16x16_f16 v[30:33], v[26:27], v[66:67], v[30:33]
	v_mfma_f32_16x16x16_f16 v[26:29], v[28:29], v[68:69], v[30:33]
	s_nop 5
	ds_read_b128 v[30:33], v1 offset:2048
	ds_read_b128 v[74:77], v1 offset:2064
	s_waitcnt vmcnt(13) lgkmcnt(1)
	v_mfma_f32_16x16x16_f16 v[26:29], v[22:23], v[30:31], v[26:29]
	v_mfma_f32_16x16x16_f16 v[22:25], v[24:25], v[32:33], v[26:29]
	s_waitcnt vmcnt(12) lgkmcnt(0)
	v_mfma_f32_16x16x16_f16 v[22:25], v[18:19], v[74:75], v[22:25]
	v_mfma_f32_16x16x16_f16 v[18:21], v[20:21], v[76:77], v[22:25]
	s_nop 5
	ds_read_b128 v[22:25], v1 offset:4096
	ds_read_b128 v[26:29], v1 offset:4112
	s_waitcnt vmcnt(11) lgkmcnt(1)
	v_mfma_f32_16x16x16_f16 v[18:21], v[14:15], v[22:23], v[18:21]
	v_mfma_f32_16x16x16_f16 v[14:17], v[16:17], v[24:25], v[18:21]
	s_waitcnt vmcnt(10) lgkmcnt(0)
	v_mfma_f32_16x16x16_f16 v[14:17], v[10:11], v[26:27], v[14:17]
	v_mfma_f32_16x16x16_f16 v[10:13], v[12:13], v[28:29], v[14:17]
	s_nop 5
	ds_read_b128 v[14:17], v1 offset:6144
	ds_read_b128 v[18:21], v1 offset:6160
	s_waitcnt lgkmcnt(0)
	s_barrier
	s_waitcnt vmcnt(9)
	v_mfma_f32_16x16x16_f16 v[10:13], v[6:7], v[14:15], v[10:13]
	v_mfma_f32_16x16x16_f16 v[6:9], v[8:9], v[16:17], v[10:13]
	s_waitcnt vmcnt(8)
	v_mfma_f32_16x16x16_f16 v[6:9], v[2:3], v[18:19], v[6:9]
	v_mfma_f32_16x16x16_f16 v[2:5], v[4:5], v[20:21], v[6:9]
	s_waitcnt vmcnt(7)
	v_mfma_f32_16x16x16_f16 v[6:9], v[46:47], v[70:71], 0
	v_mfma_f32_16x16x16_f16 v[6:9], v[48:49], v[72:73], v[6:9]
	s_nop 3
	v_cvt_f16_f32_e32 v1, v2
	v_cvt_f16_f32_e32 v10, v3
	;; [unrolled: 1-line block ×3, first 2 shown]
	s_waitcnt vmcnt(6)
	v_mfma_f32_16x16x16_f16 v[6:9], v[38:39], v[66:67], v[6:9]
	v_cvt_f16_f32_e32 v12, v5
	v_mfma_f32_16x16x16_f16 v[6:9], v[40:41], v[68:69], v[6:9]
	s_waitcnt vmcnt(5)
	v_mfma_f32_16x16x16_f16 v[6:9], v[42:43], v[30:31], v[6:9]
	v_mfma_f32_16x16x16_f16 v[6:9], v[44:45], v[32:33], v[6:9]
	s_waitcnt vmcnt(4)
	v_mfma_f32_16x16x16_f16 v[6:9], v[34:35], v[74:75], v[6:9]
	;; [unrolled: 3-line block ×6, first 2 shown]
	v_mfma_f32_16x16x16_f16 v[2:5], v[60:61], v[20:21], v[6:9]
	s_nop 6
	v_cvt_f16_f32_e32 v6, v2
	v_cvt_f16_f32_e32 v7, v3
	;; [unrolled: 1-line block ×4, first 2 shown]
	v_pack_b32_f16 v2, v1, v10
	v_pack_b32_f16 v3, v11, v12
	v_pack_b32_f16 v4, v6, v7
	v_pack_b32_f16 v5, v8, v5
	ds_write2st64_b64 v80, v[2:3], v[4:5] offset1:1
	s_waitcnt lgkmcnt(0)
	s_barrier
	s_and_saveexec_b64 s[10:11], s[6:7]
	s_cbranch_execz .LBB244_17
; %bb.16:
	scratch_load_dword v4, off, off         ; 4-byte Folded Reload
	s_load_dwordx2 s[0:1], s[0:1], 0x68
	s_mul_i32 s2, s9, s2
	s_lshl_b32 s8, s8, 7
	v_and_b32_e32 v3, 15, v0
	s_mul_hi_u32 s7, s2, s8
	s_mul_i32 s6, s2, s8
	v_lshlrev_b32_e32 v3, 6, v3
	s_lshl_b64 s[6:7], s[6:7], 1
	v_lshlrev_b32_e32 v2, 4, v0
	v_lshl_or_b32 v0, v0, 10, v3
	s_waitcnt lgkmcnt(0)
	s_add_u32 s6, s0, s6
	v_lshlrev_b32_e32 v1, 5, v85
	v_and_b32_e32 v2, 16, v2
	v_and_b32_e32 v0, 0x1a00, v0
	s_addc_u32 s7, s1, s7
	s_lshl_b32 s2, s5, 7
	v_or3_b32 v0, v0, v1, v2
	s_lshl_b64 s[0:1], s[2:3], 1
	ds_read_b128 v[0:3], v0
	s_add_u32 s2, s6, s0
	s_addc_u32 s3, s7, s1
	s_mul_hi_u32 s1, s8, s4
	s_mul_i32 s0, s8, s4
	s_lshl_b64 s[0:1], s[0:1], 1
	s_add_u32 s0, s2, s0
	s_addc_u32 s1, s3, s1
	s_waitcnt vmcnt(0) lgkmcnt(0)
	global_store_dwordx4 v4, v[0:3], s[0:1]
.LBB244_17:
	s_endpgm
	.section	.rodata,"a",@progbits
	.p2align	6, 0x0
	.amdhsa_kernel _Z39paged_attention_ll4mi_QKV_mfma16_kernelIDF16_DF16_LN4vllm18Fp8KVCacheDataTypeE0EhLi16ELi128ELi256ELb0ELi1EEvPKT_PKT0_S7_ifPKiS9_S9_iPKfiiiPfSC_PS2_PT2_iSB_SB_
		.amdhsa_group_segment_fixed_size 8192
		.amdhsa_private_segment_fixed_size 8
		.amdhsa_kernarg_size 400
		.amdhsa_user_sgpr_count 2
		.amdhsa_user_sgpr_dispatch_ptr 0
		.amdhsa_user_sgpr_queue_ptr 0
		.amdhsa_user_sgpr_kernarg_segment_ptr 1
		.amdhsa_user_sgpr_dispatch_id 0
		.amdhsa_user_sgpr_kernarg_preload_length 0
		.amdhsa_user_sgpr_kernarg_preload_offset 0
		.amdhsa_user_sgpr_private_segment_size 0
		.amdhsa_uses_dynamic_stack 0
		.amdhsa_enable_private_segment 1
		.amdhsa_system_sgpr_workgroup_id_x 1
		.amdhsa_system_sgpr_workgroup_id_y 1
		.amdhsa_system_sgpr_workgroup_id_z 1
		.amdhsa_system_sgpr_workgroup_info 0
		.amdhsa_system_vgpr_workitem_id 0
		.amdhsa_next_free_vgpr 96
		.amdhsa_next_free_sgpr 40
		.amdhsa_accum_offset 96
		.amdhsa_reserve_vcc 1
		.amdhsa_float_round_mode_32 0
		.amdhsa_float_round_mode_16_64 0
		.amdhsa_float_denorm_mode_32 3
		.amdhsa_float_denorm_mode_16_64 3
		.amdhsa_dx10_clamp 1
		.amdhsa_ieee_mode 1
		.amdhsa_fp16_overflow 0
		.amdhsa_tg_split 0
		.amdhsa_exception_fp_ieee_invalid_op 0
		.amdhsa_exception_fp_denorm_src 0
		.amdhsa_exception_fp_ieee_div_zero 0
		.amdhsa_exception_fp_ieee_overflow 0
		.amdhsa_exception_fp_ieee_underflow 0
		.amdhsa_exception_fp_ieee_inexact 0
		.amdhsa_exception_int_div_zero 0
	.end_amdhsa_kernel
	.section	.text._Z39paged_attention_ll4mi_QKV_mfma16_kernelIDF16_DF16_LN4vllm18Fp8KVCacheDataTypeE0EhLi16ELi128ELi256ELb0ELi1EEvPKT_PKT0_S7_ifPKiS9_S9_iPKfiiiPfSC_PS2_PT2_iSB_SB_,"axG",@progbits,_Z39paged_attention_ll4mi_QKV_mfma16_kernelIDF16_DF16_LN4vllm18Fp8KVCacheDataTypeE0EhLi16ELi128ELi256ELb0ELi1EEvPKT_PKT0_S7_ifPKiS9_S9_iPKfiiiPfSC_PS2_PT2_iSB_SB_,comdat
.Lfunc_end244:
	.size	_Z39paged_attention_ll4mi_QKV_mfma16_kernelIDF16_DF16_LN4vllm18Fp8KVCacheDataTypeE0EhLi16ELi128ELi256ELb0ELi1EEvPKT_PKT0_S7_ifPKiS9_S9_iPKfiiiPfSC_PS2_PT2_iSB_SB_, .Lfunc_end244-_Z39paged_attention_ll4mi_QKV_mfma16_kernelIDF16_DF16_LN4vllm18Fp8KVCacheDataTypeE0EhLi16ELi128ELi256ELb0ELi1EEvPKT_PKT0_S7_ifPKiS9_S9_iPKfiiiPfSC_PS2_PT2_iSB_SB_
                                        ; -- End function
	.section	.AMDGPU.csdata,"",@progbits
; Kernel info:
; codeLenInByte = 4292
; NumSgprs: 46
; NumVgprs: 96
; NumAgprs: 0
; TotalNumVgprs: 96
; ScratchSize: 8
; MemoryBound: 0
; FloatMode: 240
; IeeeMode: 1
; LDSByteSize: 8192 bytes/workgroup (compile time only)
; SGPRBlocks: 5
; VGPRBlocks: 11
; NumSGPRsForWavesPerEU: 46
; NumVGPRsForWavesPerEU: 96
; AccumOffset: 96
; Occupancy: 5
; WaveLimiterHint : 1
; COMPUTE_PGM_RSRC2:SCRATCH_EN: 1
; COMPUTE_PGM_RSRC2:USER_SGPR: 2
; COMPUTE_PGM_RSRC2:TRAP_HANDLER: 0
; COMPUTE_PGM_RSRC2:TGID_X_EN: 1
; COMPUTE_PGM_RSRC2:TGID_Y_EN: 1
; COMPUTE_PGM_RSRC2:TGID_Z_EN: 1
; COMPUTE_PGM_RSRC2:TIDIG_COMP_CNT: 0
; COMPUTE_PGM_RSRC3_GFX90A:ACCUM_OFFSET: 23
; COMPUTE_PGM_RSRC3_GFX90A:TG_SPLIT: 0
	.section	.text._Z39paged_attention_ll4mi_QKV_mfma16_kernelIDF16_DF16_LN4vllm18Fp8KVCacheDataTypeE0EhLi16ELi128ELi256ELb0ELi2EEvPKT_PKT0_S7_ifPKiS9_S9_iPKfiiiPfSC_PS2_PT2_iSB_SB_,"axG",@progbits,_Z39paged_attention_ll4mi_QKV_mfma16_kernelIDF16_DF16_LN4vllm18Fp8KVCacheDataTypeE0EhLi16ELi128ELi256ELb0ELi2EEvPKT_PKT0_S7_ifPKiS9_S9_iPKfiiiPfSC_PS2_PT2_iSB_SB_,comdat
	.protected	_Z39paged_attention_ll4mi_QKV_mfma16_kernelIDF16_DF16_LN4vllm18Fp8KVCacheDataTypeE0EhLi16ELi128ELi256ELb0ELi2EEvPKT_PKT0_S7_ifPKiS9_S9_iPKfiiiPfSC_PS2_PT2_iSB_SB_ ; -- Begin function _Z39paged_attention_ll4mi_QKV_mfma16_kernelIDF16_DF16_LN4vllm18Fp8KVCacheDataTypeE0EhLi16ELi128ELi256ELb0ELi2EEvPKT_PKT0_S7_ifPKiS9_S9_iPKfiiiPfSC_PS2_PT2_iSB_SB_
	.globl	_Z39paged_attention_ll4mi_QKV_mfma16_kernelIDF16_DF16_LN4vllm18Fp8KVCacheDataTypeE0EhLi16ELi128ELi256ELb0ELi2EEvPKT_PKT0_S7_ifPKiS9_S9_iPKfiiiPfSC_PS2_PT2_iSB_SB_
	.p2align	8
	.type	_Z39paged_attention_ll4mi_QKV_mfma16_kernelIDF16_DF16_LN4vllm18Fp8KVCacheDataTypeE0EhLi16ELi128ELi256ELb0ELi2EEvPKT_PKT0_S7_ifPKiS9_S9_iPKfiiiPfSC_PS2_PT2_iSB_SB_,@function
_Z39paged_attention_ll4mi_QKV_mfma16_kernelIDF16_DF16_LN4vllm18Fp8KVCacheDataTypeE0EhLi16ELi128ELi256ELb0ELi2EEvPKT_PKT0_S7_ifPKiS9_S9_iPKfiiiPfSC_PS2_PT2_iSB_SB_: ; @_Z39paged_attention_ll4mi_QKV_mfma16_kernelIDF16_DF16_LN4vllm18Fp8KVCacheDataTypeE0EhLi16ELi128ELi256ELb0ELi2EEvPKT_PKT0_S7_ifPKiS9_S9_iPKfiiiPfSC_PS2_PT2_iSB_SB_
; %bb.0:
	s_load_dwordx2 s[8:9], s[0:1], 0x30
	s_mov_b32 s26, s3
	s_mov_b64 s[6:7], 0
	s_waitcnt lgkmcnt(0)
	s_cmp_lg_u64 s[8:9], 0
	s_cselect_b64 s[10:11], -1, 0
	s_and_b64 vcc, exec, s[10:11]
	s_cbranch_vccz .LBB245_7
; %bb.1:
	s_add_i32 s12, s2, 1
	s_mov_b32 s13, 0
	s_lshl_b64 s[14:15], s[12:13], 2
	s_add_u32 s14, s8, s14
	s_mov_b32 s3, s13
	s_addc_u32 s15, s9, s15
	s_lshl_b64 s[12:13], s[2:3], 2
	s_add_u32 s12, s8, s12
	s_addc_u32 s13, s9, s13
	s_load_dword s5, s[14:15], 0x0
	s_load_dword s16, s[12:13], 0x0
	s_waitcnt lgkmcnt(0)
	s_sub_i32 s5, s5, s16
	s_cmp_eq_u32 s5, 1
	s_cselect_b64 s[12:13], -1, 0
	s_andn2_b64 vcc, exec, s[6:7]
	s_cbranch_vccnz .LBB245_3
.LBB245_2:
	s_mov_b32 s3, 0
	s_mov_b64 s[12:13], -1
.LBB245_3:
	s_andn2_b64 vcc, exec, s[12:13]
	s_cbranch_vccnz .LBB245_17
; %bb.4:
	s_load_dwordx2 s[6:7], s[0:1], 0x28
	s_lshl_b64 s[16:17], s[2:3], 2
	s_waitcnt lgkmcnt(0)
	s_add_u32 s6, s6, s16
	s_addc_u32 s7, s7, s17
	s_load_dword s38, s[6:7], 0x0
	s_lshl_b32 s18, s26, 8
	s_waitcnt lgkmcnt(0)
	s_cmp_ge_i32 s18, s38
	s_cbranch_scc1 .LBB245_17
; %bb.5:
	s_load_dwordx2 s[6:7], s[0:1], 0x20
	s_load_dword s5, s[0:1], 0x38
	s_add_i32 s12, s38, 15
	s_ashr_i32 s13, s12, 31
	v_and_b32_e32 v1, 0xcf, v0
	s_lshr_b32 s13, s13, 28
	v_add_u32_e32 v1, s18, v1
	s_add_i32 s12, s12, s13
	v_ashrrev_i32_e32 v2, 31, v1
	s_ashr_i32 s19, s12, 4
	v_lshrrev_b32_e32 v4, 28, v2
	s_add_i32 s19, s19, -1
	s_waitcnt lgkmcnt(0)
	s_mul_i32 s12, s2, s5
	s_mov_b32 s13, 0
	v_add_u32_e32 v2, v1, v4
	s_lshl_b64 s[12:13], s[12:13], 2
	v_ashrrev_i32_e32 v2, 4, v2
	v_mov_b32_e32 v5, s19
	v_cmp_gt_i32_e32 vcc, s38, v1
	s_add_u32 s6, s6, s12
	s_addc_u32 s7, s7, s13
	v_cndmask_b32_e32 v2, v5, v2, vcc
	v_ashrrev_i32_e32 v3, 31, v2
	v_lshl_add_u64 v[6:7], v[2:3], 2, s[6:7]
	v_or_b32_e32 v2, 16, v1
	v_add_u32_e32 v3, v2, v4
	v_ashrrev_i32_e32 v3, 4, v3
	v_cmp_gt_i32_e32 vcc, s38, v2
	s_load_dwordx4 s[12:15], s[0:1], 0x8
	s_nop 0
	v_cndmask_b32_e32 v2, v5, v3, vcc
	v_ashrrev_i32_e32 v3, 31, v2
	v_lshl_add_u64 v[8:9], v[2:3], 2, s[6:7]
	v_or_b32_e32 v2, 32, v1
	v_add_u32_e32 v3, v2, v4
	v_ashrrev_i32_e32 v3, 4, v3
	v_cmp_gt_i32_e32 vcc, s38, v2
	v_or_b32_e32 v1, 48, v1
	s_nop 0
	v_cndmask_b32_e32 v2, v5, v3, vcc
	v_ashrrev_i32_e32 v3, 31, v2
	v_lshl_add_u64 v[10:11], v[2:3], 2, s[6:7]
	v_add_u32_e32 v2, v1, v4
	v_ashrrev_i32_e32 v2, 4, v2
	v_cmp_gt_i32_e32 vcc, s38, v1
	s_nop 1
	v_cndmask_b32_e32 v2, v5, v2, vcc
	v_ashrrev_i32_e32 v3, 31, v2
	v_lshl_add_u64 v[12:13], v[2:3], 2, s[6:7]
	global_load_dword v4, v[6:7], off
	global_load_dword v3, v[8:9], off
	;; [unrolled: 1-line block ×4, first 2 shown]
	s_andn2_b64 vcc, exec, s[10:11]
	s_cbranch_vccnz .LBB245_8
; %bb.6:
	s_add_u32 s8, s8, s16
	s_addc_u32 s9, s9, s17
	s_load_dword s5, s[8:9], 0x0
	s_branch .LBB245_9
.LBB245_7:
	s_mov_b64 s[12:13], 0
	s_branch .LBB245_2
.LBB245_8:
	s_mov_b32 s5, s2
.LBB245_9:
	s_load_dwordx4 s[8:11], s[0:1], 0x48
	v_lshrrev_b32_e32 v86, 6, v0
	v_bfe_u32 v1, v0, 4, 2
	v_and_b32_e32 v84, 15, v0
	v_lshl_or_b32 v5, v86, 2, v1
	v_lshlrev_b32_e32 v6, 3, v84
	s_lshl_b32 s27, s4, 1
	v_cmp_gt_u32_e32 vcc, 2, v5
	v_lshlrev_b32_e32 v74, 1, v6
	s_and_saveexec_b64 s[16:17], vcc
	s_cbranch_execz .LBB245_11
; %bb.10:
	s_load_dwordx2 s[20:21], s[0:1], 0x0
	s_waitcnt lgkmcnt(0)
	s_ashr_i32 s11, s8, 31
	s_mul_hi_u32 s22, s5, s8
	s_mul_i32 s11, s5, s11
	s_add_i32 s23, s22, s11
	s_mul_i32 s22, s5, s8
	s_lshl_b64 s[22:23], s[22:23], 1
	s_add_u32 s20, s20, s22
	v_add_lshl_u32 v6, v1, s27, 7
	s_addc_u32 s21, s21, s23
	v_ashrrev_i32_e32 v7, 31, v6
	v_lshl_add_u64 v[6:7], v[6:7], 1, s[20:21]
	v_mov_b32_e32 v75, 0
	v_lshl_add_u64 v[6:7], v[6:7], 0, v[74:75]
	global_load_dwordx4 v[6:9], v[6:7], off
	v_and_b32_e32 v10, 3, v0
	v_lshlrev_b32_e32 v11, 9, v84
	v_lshlrev_b32_e32 v5, 5, v5
	v_lshlrev_b32_e32 v10, 9, v10
	v_and_b32_e32 v11, 0x1800, v11
	v_or3_b32 v5, v11, v10, v5
	s_waitcnt vmcnt(0)
	ds_write_b128 v5, v[6:9]
.LBB245_11:
	s_or_b64 exec, exec, s[16:17]
	s_waitcnt lgkmcnt(0)
	s_mul_i32 s4, s4, s10
	s_mov_b32 s5, 0
	s_lshl_b64 s[4:5], s[4:5], 1
	s_add_u32 s10, s12, s4
	v_lshlrev_b32_e32 v6, 4, v0
	s_addc_u32 s11, s13, s5
	v_and_b32_e32 v34, 0xf0, v6
	v_mov_b32_e32 v35, 0
	v_lshl_add_u64 v[30:31], s[10:11], 0, v[34:35]
	s_waitcnt vmcnt(3)
	v_mad_i64_i32 v[4:5], s[10:11], v4, s9, 0
	v_lshl_add_u64 v[4:5], v[4:5], 1, v[30:31]
	v_and_b32_e32 v34, 0x300, v6
	v_lshl_add_u64 v[32:33], v[4:5], 0, v[34:35]
	s_load_dword s33, s[0:1], 0x98
	s_load_dword s8, s[0:1], 0x1c
	s_waitcnt lgkmcnt(0)
	s_barrier
	global_load_dwordx4 v[10:13], v[32:33], off
	global_load_dwordx4 v[22:25], v[32:33], off offset:1024
	s_waitcnt vmcnt(4)
	v_mad_i64_i32 v[4:5], s[10:11], v3, s9, 0
	s_waitcnt vmcnt(3)
	v_mad_i64_i32 v[2:3], s[10:11], v2, s9, 0
	v_lshl_add_u64 v[4:5], v[4:5], 1, v[30:31]
	v_lshl_add_u64 v[2:3], v[2:3], 1, v[30:31]
	;; [unrolled: 1-line block ×4, first 2 shown]
	global_load_dwordx4 v[14:17], v[36:37], off
	global_load_dwordx4 v[18:21], v[36:37], off offset:1024
	global_load_dwordx4 v[26:29], v[38:39], off
	global_load_dwordx4 v[46:49], v[38:39], off offset:1024
	v_and_b32_e32 v2, 1, v0
	v_lshlrev_b32_e32 v2, 5, v2
	v_lshl_or_b32 v41, v1, 9, v2
	ds_read_b128 v[6:9], v41
	ds_read_b128 v[2:5], v41 offset:2048
	global_load_dwordx4 v[54:57], v[32:33], off offset:2048
	v_mov_b32_e32 v76, s19
	global_load_dwordx4 v[62:65], v[36:37], off offset:2048
	v_lshl_or_b32 v87, v86, 4, v84
	s_add_u32 s4, s14, s4
	s_addc_u32 s5, s15, s5
	s_mov_b32 s40, 0xff7fffff
	s_waitcnt vmcnt(7) lgkmcnt(1)
	v_mfma_f32_16x16x16_f16 v[42:45], v[10:11], v[6:7], 0
	v_mfma_f32_16x16x16_f16 v[10:13], v[12:13], v[8:9], v[42:45]
	s_nop 5
	global_load_dwordx4 v[42:45], v[38:39], off offset:2048
	s_waitcnt vmcnt(6)
	v_mfma_f32_16x16x16_f16 v[50:53], v[14:15], v[6:7], 0
	s_waitcnt vmcnt(4)
	v_mfma_f32_16x16x16_f16 v[58:61], v[26:27], v[6:7], 0
	v_mfma_f32_16x16x16_f16 v[14:17], v[16:17], v[8:9], v[50:53]
	;; [unrolled: 1-line block ×3, first 2 shown]
	s_nop 2
	global_load_dwordx4 v[50:53], v[32:33], off offset:3072
	v_mad_i64_i32 v[32:33], s[10:11], v40, s9, 0
	global_load_dwordx4 v[58:61], v[36:37], off offset:3072
	v_and_or_b32 v40, v0, 48, s18
	s_waitcnt lgkmcnt(0)
	v_mfma_f32_16x16x16_f16 v[10:13], v[22:23], v[2:3], v[10:13]
	v_ashrrev_i32_e32 v22, 4, v40
	v_cmp_gt_i32_e32 vcc, s38, v40
	v_or_b32_e32 v77, 64, v40
	v_mfma_f32_16x16x16_f16 v[14:17], v[18:19], v[2:3], v[14:17]
	v_cndmask_b32_e32 v18, v76, v22, vcc
	v_or_b32_e32 v78, 0x80, v40
	v_or_b32_e32 v79, 0xc0, v40
	s_waitcnt vmcnt(5)
	v_mfma_f32_16x16x16_f16 v[26:29], v[46:47], v[2:3], v[26:29]
	v_ashrrev_i32_e32 v40, 4, v77
	v_ashrrev_i32_e32 v19, 31, v18
	v_cmp_gt_i32_e32 vcc, s38, v77
	v_ashrrev_i32_e32 v46, 4, v78
	v_lshl_add_u64 v[18:19], v[18:19], 2, s[6:7]
	v_cndmask_b32_e32 v36, v76, v40, vcc
	v_cmp_gt_i32_e32 vcc, s38, v78
	ds_read_b128 v[66:69], v41 offset:4096
	ds_read_b128 v[70:73], v41 offset:6144
	v_mfma_f32_16x16x16_f16 v[14:17], v[20:21], v[4:5], v[14:17]
	global_load_dword v77, v[18:19], off
	v_ashrrev_i32_e32 v37, 31, v36
	v_mfma_f32_16x16x16_f16 v[18:21], v[48:49], v[4:5], v[26:29]
	s_nop 2
	v_cndmask_b32_e32 v28, v76, v46, vcc
	v_mfma_f32_16x16x16_f16 v[10:13], v[24:25], v[4:5], v[10:13]
	global_load_dwordx4 v[22:25], v[38:39], off offset:3072
	v_ashrrev_i32_e32 v29, 31, v28
	v_lshl_add_u64 v[26:27], v[36:37], 2, s[6:7]
	v_lshl_add_u64 v[28:29], v[28:29], 2, s[6:7]
	global_load_dword v36, v[26:27], off
	global_load_dword v80, v[28:29], off
	v_lshl_add_u64 v[26:27], v[32:33], 1, v[30:31]
	v_lshl_add_u64 v[26:27], v[26:27], 0, v[34:35]
	global_load_dwordx4 v[38:41], v[26:27], off
	global_load_dwordx4 v[46:49], v[26:27], off offset:1024
	s_waitcnt vmcnt(10) lgkmcnt(1)
	v_mfma_f32_16x16x16_f16 v[10:13], v[54:55], v[66:67], v[10:13]
	v_ashrrev_i32_e32 v37, 4, v79
	v_cmp_gt_i32_e32 vcc, s38, v79
	v_lshlrev_b32_e32 v34, 5, v87
	v_mfma_f32_16x16x16_f16 v[10:13], v[56:57], v[68:69], v[10:13]
	v_cndmask_b32_e32 v28, v76, v37, vcc
	v_ashrrev_i32_e32 v29, 31, v28
	v_lshl_add_u64 v[28:29], v[28:29], 2, s[6:7]
	global_load_dword v81, v[28:29], off
	s_waitcnt vmcnt(10)
	v_mfma_f32_16x16x16_f16 v[14:17], v[62:63], v[66:67], v[14:17]
	v_lshl_add_u64 v[62:63], s[4:5], 0, v[34:35]
	v_or_b32_e32 v34, 0x800, v34
	global_load_dwordx4 v[54:57], v[26:27], off offset:3072
	s_waitcnt vmcnt(10)
	v_mfma_f32_16x16x16_f16 v[18:21], v[42:43], v[66:67], v[18:21]
	v_mfma_f32_16x16x16_f16 v[18:21], v[44:45], v[68:69], v[18:21]
	global_load_dwordx4 v[42:45], v[26:27], off offset:2048
	s_waitcnt vmcnt(10) lgkmcnt(0)
	v_mfma_f32_16x16x16_f16 v[10:13], v[50:51], v[70:71], v[10:13]
	s_waitcnt vmcnt(7)
	v_mfma_f32_16x16x16_f16 v[18:21], v[22:23], v[70:71], v[18:21]
	v_mad_i64_i32 v[22:23], s[6:7], v77, s9, 0
	v_mfma_f32_16x16x16_f16 v[76:79], v[52:53], v[72:73], v[10:13]
	s_waitcnt vmcnt(6)
	s_nop 1
	v_mad_i64_i32 v[10:11], s[6:7], v36, s9, 0
	v_mfma_f32_16x16x16_f16 v[14:17], v[64:65], v[68:69], v[14:17]
	v_lshlrev_b64 v[64:65], 1, v[22:23]
	v_lshlrev_b64 v[36:37], 1, v[10:11]
	v_lshl_add_u64 v[12:13], v[62:63], 0, v[64:65]
	v_lshl_add_u64 v[10:11], v[62:63], 0, v[36:37]
	global_load_dwordx4 v[30:33], v[12:13], off
	global_load_dwordx4 v[26:29], v[12:13], off offset:16
	v_mfma_f32_16x16x16_f16 v[92:95], v[24:25], v[72:73], v[18:21]
	global_load_dwordx4 v[22:25], v[10:11], off
	s_nop 1
	global_load_dwordx4 v[18:21], v[10:11], off offset:16
	s_waitcnt vmcnt(8)
	v_mfma_f32_16x16x16_f16 v[10:13], v[38:39], v[6:7], 0
	v_mad_i64_i32 v[6:7], s[6:7], v80, s9, 0
	v_lshlrev_b64 v[50:51], 1, v[6:7]
	v_mfma_f32_16x16x16_f16 v[6:9], v[40:41], v[8:9], v[10:13]
	s_waitcnt vmcnt(7)
	v_mfma_f32_16x16x16_f16 v[6:9], v[46:47], v[2:3], v[6:9]
	s_waitcnt vmcnt(6)
	v_mad_i64_i32 v[2:3], s[6:7], v81, s9, 0
	v_pk_mul_f32 v[80:81], s[8:9], v[78:79] op_sel_hi:[0,1]
	v_mfma_f32_16x16x16_f16 v[38:41], v[48:49], v[4:5], v[6:9]
	v_pk_mul_f32 v[78:79], s[8:9], v[92:93] op_sel_hi:[0,1]
	v_lshl_add_u64 v[10:11], v[62:63], 0, v[50:51]
	s_waitcnt vmcnt(4)
	v_mfma_f32_16x16x16_f16 v[38:41], v[42:43], v[66:67], v[38:41]
	v_mfma_f32_16x16x16_f16 v[38:41], v[44:45], v[68:69], v[38:41]
	;; [unrolled: 1-line block ×4, first 2 shown]
	v_lshlrev_b64 v[58:59], 1, v[2:3]
	v_lshl_add_u64 v[2:3], v[62:63], 0, v[58:59]
	v_lshl_add_u64 v[62:63], s[4:5], 0, v[34:35]
	v_mfma_f32_16x16x16_f16 v[38:41], v[56:57], v[72:73], v[38:41]
	v_lshl_add_u64 v[34:35], v[62:63], 0, v[64:65]
	v_lshl_add_u64 v[50:51], v[62:63], 0, v[50:51]
	v_lshl_add_u64 v[58:59], v[62:63], 0, v[58:59]
	v_mfma_f32_16x16x16_f16 v[88:91], v[60:61], v[72:73], v[14:17]
	v_pk_mul_f32 v[60:61], s[8:9], v[76:77] op_sel_hi:[0,1]
	s_nop 1
	v_pk_mul_f32 v[72:73], s[8:9], v[38:39] op_sel_hi:[0,1]
	v_and_b32_e32 v38, 0xc0, v0
	v_add_u32_e32 v38, s18, v38
	v_lshl_or_b32 v38, v1, 2, v38
	v_pk_mul_f32 v[66:67], s[8:9], v[40:41] op_sel_hi:[0,1]
	v_or_b32_e32 v41, 1, v38
	v_mov_b32_e32 v39, 0xff7fffff
	v_cmp_gt_i32_e64 s[28:29], s38, v38
	v_cmp_gt_i32_e64 s[30:31], s38, v41
	v_or_b32_e32 v42, 3, v38
	v_cndmask_b32_e64 v40, v39, v60, s[28:29]
	v_cndmask_b32_e64 v41, v39, v61, s[30:31]
	v_max3_f32 v40, v40, s40, v41
	v_or_b32_e32 v41, 2, v38
	v_cmp_gt_i32_e64 s[34:35], s38, v41
	v_cmp_gt_i32_e64 s[36:37], s38, v42
	v_pk_mul_f32 v[70:71], s[8:9], v[88:89] op_sel_hi:[0,1]
	v_cndmask_b32_e64 v41, v39, v80, s[34:35]
	v_cndmask_b32_e64 v42, v39, v81, s[36:37]
	v_max3_f32 v40, v40, v41, v42
	v_or_b32_e32 v41, 16, v38
	v_or_b32_e32 v42, 17, v38
	v_cmp_gt_i32_e64 s[22:23], s38, v41
	v_cmp_gt_i32_e64 s[24:25], s38, v42
	v_pk_mul_f32 v[82:83], s[8:9], v[90:91] op_sel_hi:[0,1]
	v_cndmask_b32_e64 v41, v39, v70, s[22:23]
	v_cndmask_b32_e64 v42, v39, v71, s[24:25]
	v_max3_f32 v40, v40, v41, v42
	v_or_b32_e32 v41, 18, v38
	v_or_b32_e32 v42, 19, v38
	v_cmp_gt_i32_e64 s[18:19], s38, v41
	v_cmp_gt_i32_e64 s[20:21], s38, v42
	v_pk_mul_f32 v[76:77], s[8:9], v[94:95] op_sel_hi:[0,1]
	v_cndmask_b32_e64 v41, v39, v82, s[18:19]
	v_cndmask_b32_e64 v42, v39, v83, s[20:21]
	v_max3_f32 v40, v40, v41, v42
	v_or_b32_e32 v41, 32, v38
	v_or_b32_e32 v42, 33, v38
	v_cmp_gt_i32_e64 s[14:15], s38, v41
	v_cmp_gt_i32_e64 s[16:17], s38, v42
	global_load_dwordx4 v[14:17], v[10:11], off
	s_nop 0
	global_load_dwordx4 v[10:13], v[10:11], off offset:16
	v_cndmask_b32_e64 v41, v39, v78, s[14:15]
	v_cndmask_b32_e64 v42, v39, v79, s[16:17]
	v_max3_f32 v40, v40, v41, v42
	v_or_b32_e32 v41, 34, v38
	v_or_b32_e32 v42, 35, v38
	v_cmp_gt_i32_e64 s[10:11], s38, v41
	v_cmp_gt_i32_e64 s[12:13], s38, v42
	global_load_dwordx4 v[6:9], v[2:3], off
	s_nop 0
	global_load_dwordx4 v[2:5], v[2:3], off offset:16
	v_cndmask_b32_e64 v41, v39, v76, s[10:11]
	v_cndmask_b32_e64 v42, v39, v77, s[12:13]
	v_max3_f32 v40, v40, v41, v42
	v_or_b32_e32 v41, 48, v38
	v_or_b32_e32 v42, 49, v38
	v_cmp_gt_i32_e64 s[6:7], s38, v41
	v_cmp_gt_i32_e64 s[8:9], s38, v42
	v_and_b32_e32 v1, 63, v0
	v_cndmask_b32_e64 v41, v39, v72, s[6:7]
	v_cndmask_b32_e64 v42, v39, v73, s[8:9]
	v_max3_f32 v40, v40, v41, v42
	v_or_b32_e32 v41, 50, v38
	v_or_b32_e32 v38, 51, v38
	v_cmp_gt_i32_e32 vcc, s38, v41
	v_cmp_gt_i32_e64 s[4:5], s38, v38
	s_nop 0
	v_cndmask_b32_e32 v41, v39, v66, vcc
	v_cndmask_b32_e64 v38, v39, v67, s[4:5]
	v_max3_f32 v52, v40, v41, v38
	v_mbcnt_lo_u32_b32 v38, -1, 0
	v_mbcnt_hi_u32_b32 v53, -1, v38
	v_and_b32_e32 v38, 64, v53
	v_add_u32_e32 v54, 64, v38
	v_xor_b32_e32 v38, 32, v53
	v_cmp_lt_i32_e64 s[38:39], v38, v54
	s_nop 1
	v_cndmask_b32_e64 v38, v53, v38, s[38:39]
	v_lshlrev_b32_e32 v89, 2, v38
	ds_bpermute_b32 v55, v89, v52
	global_load_dwordx4 v[46:49], v[34:35], off
	global_load_dwordx4 v[38:41], v[34:35], off offset:16
	v_lshl_add_u64 v[34:35], v[62:63], 0, v[36:37]
	global_load_dwordx4 v[42:45], v[34:35], off
	s_nop 0
	global_load_dwordx4 v[34:37], v[34:35], off offset:16
	s_waitcnt lgkmcnt(0)
	v_max_f32_e32 v55, v55, v55
	v_max_f32_e32 v64, v52, v55
	v_xor_b32_e32 v52, 16, v53
	v_cmp_lt_i32_e64 s[38:39], v52, v54
	s_nop 1
	v_cndmask_b32_e64 v52, v53, v52, s[38:39]
	v_lshlrev_b32_e32 v90, 2, v52
	ds_bpermute_b32 v65, v90, v64
	global_load_dwordx4 v[54:57], v[50:51], off
	s_nop 0
	global_load_dwordx4 v[50:53], v[50:51], off offset:16
	s_waitcnt lgkmcnt(0)
	v_max_f32_e32 v62, v65, v65
	v_max_f32_e32 v88, v64, v62
	v_sub_f32_e32 v60, v60, v88
	v_mul_f32_e32 v60, 0x3fb8aa3b, v60
	v_exp_f32_e32 v68, v60
	v_sub_f32_e32 v60, v61, v88
	v_mul_f32_e32 v60, 0x3fb8aa3b, v60
	v_exp_f32_e32 v69, v60
	global_load_dwordx4 v[62:65], v[58:59], off
	s_nop 0
	global_load_dwordx4 v[58:61], v[58:59], off offset:16
	v_sub_f32_e32 v80, v80, v88
	v_mul_f32_e32 v80, 0x3fb8aa3b, v80
	v_sub_f32_e32 v81, v81, v88
	v_exp_f32_e32 v80, v80
	v_mul_f32_e32 v81, 0x3fb8aa3b, v81
	v_sub_f32_e32 v70, v70, v88
	v_exp_f32_e32 v81, v81
	v_mul_f32_e32 v70, 0x3fb8aa3b, v70
	v_sub_f32_e32 v71, v71, v88
	v_cndmask_b32_e64 v68, 0, v68, s[28:29]
	v_exp_f32_e32 v70, v70
	v_mul_f32_e32 v71, 0x3fb8aa3b, v71
	v_sub_f32_e32 v82, v82, v88
	v_add_f32_e32 v91, 0, v68
	v_cndmask_b32_e64 v69, 0, v69, s[30:31]
	v_exp_f32_e32 v71, v71
	v_mul_f32_e32 v82, 0x3fb8aa3b, v82
	v_sub_f32_e32 v83, v83, v88
	v_add_f32_e32 v91, v91, v69
	;; [unrolled: 5-line block ×10, first 2 shown]
	v_cndmask_b32_e64 v76, 0, v76, s[10:11]
	v_exp_f32_e32 v66, v66
	v_mul_f32_e32 v67, 0x3fb8aa3b, v67
	v_add_f32_e32 v91, v91, v76
	v_cndmask_b32_e64 v77, 0, v77, s[12:13]
	v_exp_f32_e32 v67, v67
	v_add_f32_e32 v91, v91, v77
	v_cndmask_b32_e64 v72, 0, v72, s[6:7]
	v_add_f32_e32 v91, v91, v72
	v_cndmask_b32_e64 v73, 0, v73, s[8:9]
	v_add_f32_e32 v91, v91, v73
	v_cndmask_b32_e32 v66, 0, v66, vcc
	v_add_f32_e32 v91, v91, v66
	v_cndmask_b32_e64 v67, 0, v67, s[4:5]
	v_add_f32_e32 v91, v91, v67
	ds_bpermute_b32 v89, v89, v91
	v_cmp_gt_u32_e32 vcc, 16, v1
	s_waitcnt lgkmcnt(0)
	s_barrier
	v_add_f32_e32 v89, v91, v89
	ds_bpermute_b32 v90, v90, v89
	s_and_saveexec_b64 s[4:5], vcc
	s_cbranch_execz .LBB245_13
; %bb.12:
	s_waitcnt lgkmcnt(0)
	v_add_f32_e32 v89, v89, v90
	v_lshlrev_b32_e32 v87, 2, v87
	ds_write2st64_b32 v87, v88, v89 offset1:1
.LBB245_13:
	s_or_b64 exec, exec, s[4:5]
	v_lshlrev_b32_e32 v94, 2, v84
	s_load_dword s6, s[0:1], 0x94
	s_waitcnt lgkmcnt(0)
	s_barrier
	ds_read2_b32 v[88:89], v94 offset1:16
	ds_read2_b32 v[90:91], v94 offset0:32 offset1:48
	ds_read2_b32 v[92:93], v94 offset0:64 offset1:80
	;; [unrolled: 1-line block ×3, first 2 shown]
	v_mov_b32_e32 v1, v84
	s_waitcnt lgkmcnt(3)
	v_max3_f32 v87, v88, s40, v89
	s_waitcnt lgkmcnt(2)
	v_max3_f32 v87, v87, v90, v91
	v_sub_f32_e32 v88, v88, v87
	v_mul_f32_e32 v88, 0x3fb8aa3b, v88
	v_exp_f32_e32 v85, v88
	v_sub_f32_e32 v88, v89, v87
	v_mul_f32_e32 v88, 0x3fb8aa3b, v88
	v_exp_f32_e32 v89, v88
	;; [unrolled: 3-line block ×4, first 2 shown]
	s_waitcnt lgkmcnt(1)
	v_fma_f32 v88, v85, v92, 0
	v_fmac_f32_e32 v88, v89, v93
	s_waitcnt lgkmcnt(0)
	v_fmac_f32_e32 v88, v90, v94
	v_fmac_f32_e32 v88, v91, v95
	v_add_f32_e32 v92, 0x358637bd, v88
	v_div_scale_f32 v93, s[4:5], v92, v92, 1.0
	v_rcp_f32_e32 v94, v93
	s_barrier
	v_fma_f32 v95, -v93, v94, 1.0
	v_fmac_f32_e32 v94, v95, v94
	v_div_scale_f32 v95, vcc, 1.0, v92, 1.0
	v_mul_f32_e32 v75, v95, v94
	v_fma_f32 v84, -v93, v75, v95
	v_fmac_f32_e32 v75, v84, v94
	v_fma_f32 v84, -v93, v75, v95
	v_div_fmas_f32 v75, v84, v94, v75
	v_cmp_eq_u32_e32 vcc, 1, v86
	v_div_fixup_f32 v75, v75, v92, 1.0
	s_lshl_b32 s7, s33, 1
	v_cndmask_b32_e32 v84, v85, v89, vcc
	v_cmp_eq_u32_e32 vcc, 2, v86
	s_nop 1
	v_cndmask_b32_e32 v84, v84, v90, vcc
	v_cmp_eq_u32_e32 vcc, 3, v86
	s_nop 1
	v_cndmask_b32_e32 v84, v84, v91, vcc
	v_mul_f32_e32 v90, v84, v75
	v_pk_mul_f32 v[80:81], v[90:91], v[80:81] op_sel_hi:[0,1]
	v_cvt_f16_f32_e32 v75, v80
	v_cvt_f16_f32_e32 v80, v81
	v_pk_mul_f32 v[68:69], v[90:91], v[68:69] op_sel_hi:[0,1]
	v_cvt_f16_f32_e32 v68, v68
	v_cvt_f16_f32_e32 v69, v69
	v_pack_b32_f16 v93, v75, v80
	v_pk_mul_f32 v[80:81], v[90:91], v[82:83] op_sel_hi:[0,1]
	v_pk_mul_f32 v[70:71], v[90:91], v[70:71] op_sel_hi:[0,1]
	v_cvt_f16_f32_e32 v70, v70
	v_cvt_f16_f32_e32 v71, v71
	;; [unrolled: 1-line block ×4, first 2 shown]
	v_mov_b32_e32 v84, v1
	v_bfe_u32 v1, v0, 4, 2
	v_pack_b32_f16 v92, v68, v69
	v_lshlrev_b32_e32 v69, 3, v1
	v_lshlrev_b32_e32 v68, 5, v84
	;; [unrolled: 1-line block ×3, first 2 shown]
	v_or3_b32 v80, v80, v68, v69
	v_pack_b32_f16 v70, v70, v71
	v_pack_b32_f16 v71, v75, v81
	ds_write2st64_b64 v80, v[92:93], v[70:71] offset1:1
	v_pk_mul_f32 v[70:71], v[90:91], v[76:77] op_sel_hi:[0,1]
	v_pk_mul_f32 v[76:77], v[90:91], v[78:79] op_sel_hi:[0,1]
	v_cvt_f16_f32_e32 v69, v76
	v_cvt_f16_f32_e32 v75, v77
	;; [unrolled: 1-line block ×4, first 2 shown]
	v_pk_mul_f32 v[66:67], v[90:91], v[66:67] op_sel_hi:[0,1]
	v_pk_mul_f32 v[70:71], v[90:91], v[72:73] op_sel_hi:[0,1]
	v_cvt_f16_f32_e32 v70, v70
	v_cvt_f16_f32_e32 v71, v71
	;; [unrolled: 1-line block ×4, first 2 shown]
	v_pack_b32_f16 v66, v69, v75
	v_pack_b32_f16 v67, v76, v77
	;; [unrolled: 1-line block ×4, first 2 shown]
	v_cmp_gt_u32_e32 vcc, 2, v0
	ds_write2st64_b64 v80, v[66:67], v[70:71] offset0:2 offset1:3
	s_and_saveexec_b64 s[4:5], vcc
	s_cbranch_execz .LBB245_15
; %bb.14:
	v_or_b32_e32 v66, s27, v0
	v_mov_b32_e32 v67, 0
	v_mov_b32_e32 v69, s7
	v_mad_u64_u32 v[70:71], s[12:13], s2, v69, v[66:67]
	v_mov_b32_e32 v66, s26
	s_load_dwordx4 s[8:11], s[0:1], 0x58
	s_mul_i32 s3, s3, s7
	v_mad_u64_u32 v[66:67], s[12:13], v70, s6, v[66:67]
	v_add_u32_e32 v69, s3, v71
	v_mov_b32_e32 v70, v67
	v_mad_u64_u32 v[70:71], s[12:13], v69, s6, v[70:71]
	v_mov_b32_e32 v67, v70
	v_lshlrev_b64 v[66:67], 2, v[66:67]
	s_waitcnt lgkmcnt(0)
	v_lshl_add_u64 v[70:71], s[10:11], 0, v[66:67]
	v_lshl_add_u64 v[66:67], s[8:9], 0, v[66:67]
	global_store_dword v[70:71], v87, off
	global_store_dword v[66:67], v88, off
.LBB245_15:
	s_or_b64 exec, exec, s[4:5]
	v_lshl_or_b32 v75, v1, 9, v68
	s_waitcnt lgkmcnt(0)
	s_barrier
	ds_read_b128 v[70:73], v75
	ds_read_b128 v[66:69], v75 offset:16
	s_waitcnt vmcnt(15) lgkmcnt(1)
	v_mfma_f32_16x16x16_f16 v[76:79], v[30:31], v[70:71], 0
	v_cmp_gt_u32_e32 vcc, 64, v0
	s_mov_b32 s3, 0
	v_mfma_f32_16x16x16_f16 v[30:33], v[32:33], v[72:73], v[76:79]
	s_waitcnt vmcnt(14) lgkmcnt(0)
	v_mfma_f32_16x16x16_f16 v[30:33], v[26:27], v[66:67], v[30:33]
	v_mfma_f32_16x16x16_f16 v[26:29], v[28:29], v[68:69], v[30:33]
	s_nop 5
	ds_read_b128 v[30:33], v75 offset:2048
	ds_read_b128 v[76:79], v75 offset:2064
	s_waitcnt vmcnt(13) lgkmcnt(1)
	v_mfma_f32_16x16x16_f16 v[26:29], v[22:23], v[30:31], v[26:29]
	v_mfma_f32_16x16x16_f16 v[22:25], v[24:25], v[32:33], v[26:29]
	s_waitcnt vmcnt(12) lgkmcnt(0)
	v_mfma_f32_16x16x16_f16 v[22:25], v[18:19], v[76:77], v[22:25]
	v_mfma_f32_16x16x16_f16 v[18:21], v[20:21], v[78:79], v[22:25]
	s_nop 5
	ds_read_b128 v[22:25], v75 offset:4096
	ds_read_b128 v[26:29], v75 offset:4112
	s_waitcnt vmcnt(11) lgkmcnt(1)
	v_mfma_f32_16x16x16_f16 v[18:21], v[14:15], v[22:23], v[18:21]
	v_mfma_f32_16x16x16_f16 v[14:17], v[16:17], v[24:25], v[18:21]
	s_waitcnt vmcnt(10) lgkmcnt(0)
	v_mfma_f32_16x16x16_f16 v[14:17], v[10:11], v[26:27], v[14:17]
	v_mfma_f32_16x16x16_f16 v[10:13], v[12:13], v[28:29], v[14:17]
	s_nop 5
	ds_read_b128 v[14:17], v75 offset:6144
	ds_read_b128 v[18:21], v75 offset:6160
	s_waitcnt lgkmcnt(0)
	s_barrier
	s_waitcnt vmcnt(9)
	v_mfma_f32_16x16x16_f16 v[10:13], v[6:7], v[14:15], v[10:13]
	v_mfma_f32_16x16x16_f16 v[6:9], v[8:9], v[16:17], v[10:13]
	s_waitcnt vmcnt(8)
	v_mfma_f32_16x16x16_f16 v[6:9], v[2:3], v[18:19], v[6:9]
	v_mfma_f32_16x16x16_f16 v[2:5], v[4:5], v[20:21], v[6:9]
	;; [unrolled: 3-line block ×3, first 2 shown]
	s_nop 3
	v_cvt_f16_f32_e32 v10, v2
	v_cvt_f16_f32_e32 v11, v3
	;; [unrolled: 1-line block ×3, first 2 shown]
	s_waitcnt vmcnt(6)
	v_mfma_f32_16x16x16_f16 v[6:9], v[38:39], v[66:67], v[6:9]
	v_cvt_f16_f32_e32 v13, v5
	v_mfma_f32_16x16x16_f16 v[6:9], v[40:41], v[68:69], v[6:9]
	s_waitcnt vmcnt(5)
	v_mfma_f32_16x16x16_f16 v[6:9], v[42:43], v[30:31], v[6:9]
	v_mfma_f32_16x16x16_f16 v[6:9], v[44:45], v[32:33], v[6:9]
	s_waitcnt vmcnt(4)
	v_mfma_f32_16x16x16_f16 v[6:9], v[34:35], v[76:77], v[6:9]
	;; [unrolled: 3-line block ×6, first 2 shown]
	v_mfma_f32_16x16x16_f16 v[2:5], v[60:61], v[20:21], v[6:9]
	s_nop 6
	v_cvt_f16_f32_e32 v6, v2
	v_cvt_f16_f32_e32 v7, v3
	;; [unrolled: 1-line block ×4, first 2 shown]
	v_pack_b32_f16 v2, v10, v11
	v_pack_b32_f16 v3, v12, v13
	;; [unrolled: 1-line block ×4, first 2 shown]
	ds_write2st64_b64 v80, v[2:3], v[4:5] offset1:1
	v_and_b32_e32 v2, 63, v0
	v_cmp_gt_u32_e64 s[4:5], 32, v2
	s_and_b64 s[4:5], vcc, s[4:5]
	s_waitcnt lgkmcnt(0)
	s_barrier
	s_and_saveexec_b64 s[8:9], s[4:5]
	s_cbranch_execz .LBB245_17
; %bb.16:
	s_load_dwordx2 s[0:1], s[0:1], 0x68
	s_mul_i32 s2, s7, s2
	s_lshl_b32 s6, s6, 7
	v_lshlrev_b32_e32 v4, 6, v84
	s_mul_hi_u32 s5, s2, s6
	s_mul_i32 s4, s2, s6
	v_lshlrev_b32_e32 v3, 4, v0
	v_lshl_or_b32 v0, v0, 10, v4
	s_lshl_b64 s[4:5], s[4:5], 1
	v_lshlrev_b32_e32 v2, 5, v1
	v_and_b32_e32 v3, 16, v3
	v_and_b32_e32 v0, 0x1a00, v0
	s_waitcnt lgkmcnt(0)
	s_add_u32 s4, s0, s4
	v_or3_b32 v0, v0, v2, v3
	s_addc_u32 s5, s1, s5
	s_lshl_b32 s2, s26, 7
	ds_read_b128 v[2:5], v0
	s_lshl_b64 s[0:1], s[2:3], 1
	s_add_u32 s0, s4, s0
	v_or_b32_e32 v0, s27, v1
	s_addc_u32 s1, s5, s1
	v_mad_u64_u32 v[0:1], s[2:3], s6, v0, 0
	v_lshl_add_u64 v[0:1], v[0:1], 1, s[0:1]
	v_mov_b32_e32 v75, 0
	v_lshl_add_u64 v[0:1], v[0:1], 0, v[74:75]
	s_waitcnt lgkmcnt(0)
	global_store_dwordx4 v[0:1], v[2:5], off
.LBB245_17:
	s_endpgm
	.section	.rodata,"a",@progbits
	.p2align	6, 0x0
	.amdhsa_kernel _Z39paged_attention_ll4mi_QKV_mfma16_kernelIDF16_DF16_LN4vllm18Fp8KVCacheDataTypeE0EhLi16ELi128ELi256ELb0ELi2EEvPKT_PKT0_S7_ifPKiS9_S9_iPKfiiiPfSC_PS2_PT2_iSB_SB_
		.amdhsa_group_segment_fixed_size 8192
		.amdhsa_private_segment_fixed_size 0
		.amdhsa_kernarg_size 400
		.amdhsa_user_sgpr_count 2
		.amdhsa_user_sgpr_dispatch_ptr 0
		.amdhsa_user_sgpr_queue_ptr 0
		.amdhsa_user_sgpr_kernarg_segment_ptr 1
		.amdhsa_user_sgpr_dispatch_id 0
		.amdhsa_user_sgpr_kernarg_preload_length 0
		.amdhsa_user_sgpr_kernarg_preload_offset 0
		.amdhsa_user_sgpr_private_segment_size 0
		.amdhsa_uses_dynamic_stack 0
		.amdhsa_enable_private_segment 0
		.amdhsa_system_sgpr_workgroup_id_x 1
		.amdhsa_system_sgpr_workgroup_id_y 1
		.amdhsa_system_sgpr_workgroup_id_z 1
		.amdhsa_system_sgpr_workgroup_info 0
		.amdhsa_system_vgpr_workitem_id 0
		.amdhsa_next_free_vgpr 96
		.amdhsa_next_free_sgpr 41
		.amdhsa_accum_offset 96
		.amdhsa_reserve_vcc 1
		.amdhsa_float_round_mode_32 0
		.amdhsa_float_round_mode_16_64 0
		.amdhsa_float_denorm_mode_32 3
		.amdhsa_float_denorm_mode_16_64 3
		.amdhsa_dx10_clamp 1
		.amdhsa_ieee_mode 1
		.amdhsa_fp16_overflow 0
		.amdhsa_tg_split 0
		.amdhsa_exception_fp_ieee_invalid_op 0
		.amdhsa_exception_fp_denorm_src 0
		.amdhsa_exception_fp_ieee_div_zero 0
		.amdhsa_exception_fp_ieee_overflow 0
		.amdhsa_exception_fp_ieee_underflow 0
		.amdhsa_exception_fp_ieee_inexact 0
		.amdhsa_exception_int_div_zero 0
	.end_amdhsa_kernel
	.section	.text._Z39paged_attention_ll4mi_QKV_mfma16_kernelIDF16_DF16_LN4vllm18Fp8KVCacheDataTypeE0EhLi16ELi128ELi256ELb0ELi2EEvPKT_PKT0_S7_ifPKiS9_S9_iPKfiiiPfSC_PS2_PT2_iSB_SB_,"axG",@progbits,_Z39paged_attention_ll4mi_QKV_mfma16_kernelIDF16_DF16_LN4vllm18Fp8KVCacheDataTypeE0EhLi16ELi128ELi256ELb0ELi2EEvPKT_PKT0_S7_ifPKiS9_S9_iPKfiiiPfSC_PS2_PT2_iSB_SB_,comdat
.Lfunc_end245:
	.size	_Z39paged_attention_ll4mi_QKV_mfma16_kernelIDF16_DF16_LN4vllm18Fp8KVCacheDataTypeE0EhLi16ELi128ELi256ELb0ELi2EEvPKT_PKT0_S7_ifPKiS9_S9_iPKfiiiPfSC_PS2_PT2_iSB_SB_, .Lfunc_end245-_Z39paged_attention_ll4mi_QKV_mfma16_kernelIDF16_DF16_LN4vllm18Fp8KVCacheDataTypeE0EhLi16ELi128ELi256ELb0ELi2EEvPKT_PKT0_S7_ifPKiS9_S9_iPKfiiiPfSC_PS2_PT2_iSB_SB_
                                        ; -- End function
	.section	.AMDGPU.csdata,"",@progbits
; Kernel info:
; codeLenInByte = 4312
; NumSgprs: 47
; NumVgprs: 96
; NumAgprs: 0
; TotalNumVgprs: 96
; ScratchSize: 0
; MemoryBound: 0
; FloatMode: 240
; IeeeMode: 1
; LDSByteSize: 8192 bytes/workgroup (compile time only)
; SGPRBlocks: 5
; VGPRBlocks: 11
; NumSGPRsForWavesPerEU: 47
; NumVGPRsForWavesPerEU: 96
; AccumOffset: 96
; Occupancy: 5
; WaveLimiterHint : 1
; COMPUTE_PGM_RSRC2:SCRATCH_EN: 0
; COMPUTE_PGM_RSRC2:USER_SGPR: 2
; COMPUTE_PGM_RSRC2:TRAP_HANDLER: 0
; COMPUTE_PGM_RSRC2:TGID_X_EN: 1
; COMPUTE_PGM_RSRC2:TGID_Y_EN: 1
; COMPUTE_PGM_RSRC2:TGID_Z_EN: 1
; COMPUTE_PGM_RSRC2:TIDIG_COMP_CNT: 0
; COMPUTE_PGM_RSRC3_GFX90A:ACCUM_OFFSET: 23
; COMPUTE_PGM_RSRC3_GFX90A:TG_SPLIT: 0
	.section	.text._Z39paged_attention_ll4mi_QKV_mfma16_kernelIDF16_DF16_LN4vllm18Fp8KVCacheDataTypeE0EhLi16ELi128ELi256ELb0ELi3EEvPKT_PKT0_S7_ifPKiS9_S9_iPKfiiiPfSC_PS2_PT2_iSB_SB_,"axG",@progbits,_Z39paged_attention_ll4mi_QKV_mfma16_kernelIDF16_DF16_LN4vllm18Fp8KVCacheDataTypeE0EhLi16ELi128ELi256ELb0ELi3EEvPKT_PKT0_S7_ifPKiS9_S9_iPKfiiiPfSC_PS2_PT2_iSB_SB_,comdat
	.protected	_Z39paged_attention_ll4mi_QKV_mfma16_kernelIDF16_DF16_LN4vllm18Fp8KVCacheDataTypeE0EhLi16ELi128ELi256ELb0ELi3EEvPKT_PKT0_S7_ifPKiS9_S9_iPKfiiiPfSC_PS2_PT2_iSB_SB_ ; -- Begin function _Z39paged_attention_ll4mi_QKV_mfma16_kernelIDF16_DF16_LN4vllm18Fp8KVCacheDataTypeE0EhLi16ELi128ELi256ELb0ELi3EEvPKT_PKT0_S7_ifPKiS9_S9_iPKfiiiPfSC_PS2_PT2_iSB_SB_
	.globl	_Z39paged_attention_ll4mi_QKV_mfma16_kernelIDF16_DF16_LN4vllm18Fp8KVCacheDataTypeE0EhLi16ELi128ELi256ELb0ELi3EEvPKT_PKT0_S7_ifPKiS9_S9_iPKfiiiPfSC_PS2_PT2_iSB_SB_
	.p2align	8
	.type	_Z39paged_attention_ll4mi_QKV_mfma16_kernelIDF16_DF16_LN4vllm18Fp8KVCacheDataTypeE0EhLi16ELi128ELi256ELb0ELi3EEvPKT_PKT0_S7_ifPKiS9_S9_iPKfiiiPfSC_PS2_PT2_iSB_SB_,@function
_Z39paged_attention_ll4mi_QKV_mfma16_kernelIDF16_DF16_LN4vllm18Fp8KVCacheDataTypeE0EhLi16ELi128ELi256ELb0ELi3EEvPKT_PKT0_S7_ifPKiS9_S9_iPKfiiiPfSC_PS2_PT2_iSB_SB_: ; @_Z39paged_attention_ll4mi_QKV_mfma16_kernelIDF16_DF16_LN4vllm18Fp8KVCacheDataTypeE0EhLi16ELi128ELi256ELb0ELi3EEvPKT_PKT0_S7_ifPKiS9_S9_iPKfiiiPfSC_PS2_PT2_iSB_SB_
; %bb.0:
	s_load_dwordx2 s[8:9], s[0:1], 0x30
	s_mov_b32 s26, s3
	s_mov_b64 s[6:7], 0
	s_waitcnt lgkmcnt(0)
	s_cmp_lg_u64 s[8:9], 0
	s_cselect_b64 s[10:11], -1, 0
	s_and_b64 vcc, exec, s[10:11]
	s_cbranch_vccz .LBB246_7
; %bb.1:
	s_add_i32 s12, s2, 1
	s_mov_b32 s13, 0
	s_lshl_b64 s[14:15], s[12:13], 2
	s_add_u32 s14, s8, s14
	s_mov_b32 s3, s13
	s_addc_u32 s15, s9, s15
	s_lshl_b64 s[12:13], s[2:3], 2
	s_add_u32 s12, s8, s12
	s_addc_u32 s13, s9, s13
	s_load_dword s5, s[14:15], 0x0
	s_load_dword s16, s[12:13], 0x0
	s_waitcnt lgkmcnt(0)
	s_sub_i32 s5, s5, s16
	s_cmp_eq_u32 s5, 1
	s_cselect_b64 s[12:13], -1, 0
	s_andn2_b64 vcc, exec, s[6:7]
	s_cbranch_vccnz .LBB246_3
.LBB246_2:
	s_mov_b32 s3, 0
	s_mov_b64 s[12:13], -1
.LBB246_3:
	s_andn2_b64 vcc, exec, s[12:13]
	s_cbranch_vccnz .LBB246_17
; %bb.4:
	s_load_dwordx2 s[6:7], s[0:1], 0x28
	s_lshl_b64 s[16:17], s[2:3], 2
	s_waitcnt lgkmcnt(0)
	s_add_u32 s6, s6, s16
	s_addc_u32 s7, s7, s17
	s_load_dword s33, s[6:7], 0x0
	s_lshl_b32 s18, s26, 8
	s_waitcnt lgkmcnt(0)
	s_cmp_ge_i32 s18, s33
	s_cbranch_scc1 .LBB246_17
; %bb.5:
	s_load_dwordx2 s[6:7], s[0:1], 0x20
	s_load_dword s5, s[0:1], 0x38
	s_add_i32 s12, s33, 15
	s_ashr_i32 s13, s12, 31
	v_and_b32_e32 v1, 0xcf, v0
	s_lshr_b32 s13, s13, 28
	v_add_u32_e32 v1, s18, v1
	s_add_i32 s12, s12, s13
	v_ashrrev_i32_e32 v2, 31, v1
	s_ashr_i32 s19, s12, 4
	v_lshrrev_b32_e32 v4, 28, v2
	s_add_i32 s19, s19, -1
	s_waitcnt lgkmcnt(0)
	s_mul_i32 s12, s2, s5
	s_mov_b32 s13, 0
	v_add_u32_e32 v2, v1, v4
	s_lshl_b64 s[12:13], s[12:13], 2
	v_ashrrev_i32_e32 v2, 4, v2
	v_mov_b32_e32 v5, s19
	v_cmp_gt_i32_e32 vcc, s33, v1
	s_add_u32 s6, s6, s12
	s_addc_u32 s7, s7, s13
	v_cndmask_b32_e32 v2, v5, v2, vcc
	v_ashrrev_i32_e32 v3, 31, v2
	v_lshl_add_u64 v[6:7], v[2:3], 2, s[6:7]
	v_or_b32_e32 v2, 16, v1
	v_add_u32_e32 v3, v2, v4
	v_ashrrev_i32_e32 v3, 4, v3
	v_cmp_gt_i32_e32 vcc, s33, v2
	s_load_dwordx4 s[12:15], s[0:1], 0x8
	s_nop 0
	v_cndmask_b32_e32 v2, v5, v3, vcc
	v_ashrrev_i32_e32 v3, 31, v2
	v_lshl_add_u64 v[8:9], v[2:3], 2, s[6:7]
	v_or_b32_e32 v2, 32, v1
	v_add_u32_e32 v3, v2, v4
	v_ashrrev_i32_e32 v3, 4, v3
	v_cmp_gt_i32_e32 vcc, s33, v2
	v_or_b32_e32 v1, 48, v1
	s_nop 0
	v_cndmask_b32_e32 v2, v5, v3, vcc
	v_ashrrev_i32_e32 v3, 31, v2
	v_lshl_add_u64 v[10:11], v[2:3], 2, s[6:7]
	v_add_u32_e32 v2, v1, v4
	v_ashrrev_i32_e32 v2, 4, v2
	v_cmp_gt_i32_e32 vcc, s33, v1
	s_nop 1
	v_cndmask_b32_e32 v2, v5, v2, vcc
	v_ashrrev_i32_e32 v3, 31, v2
	v_lshl_add_u64 v[12:13], v[2:3], 2, s[6:7]
	global_load_dword v4, v[6:7], off
	global_load_dword v3, v[8:9], off
	;; [unrolled: 1-line block ×4, first 2 shown]
	s_andn2_b64 vcc, exec, s[10:11]
	s_cbranch_vccnz .LBB246_8
; %bb.6:
	s_add_u32 s8, s8, s16
	s_addc_u32 s9, s9, s17
	s_load_dword s5, s[8:9], 0x0
	s_branch .LBB246_9
.LBB246_7:
	s_mov_b64 s[12:13], 0
	s_branch .LBB246_2
.LBB246_8:
	s_mov_b32 s5, s2
.LBB246_9:
	s_load_dwordx4 s[8:11], s[0:1], 0x48
	v_bfe_u32 v94, v0, 4, 2
	s_mul_i32 s40, s4, 3
	v_lshrrev_b32_e32 v77, 6, v0
	v_add_u32_e32 v1, s40, v94
	v_and_b32_e32 v76, 15, v0
	v_lshl_or_b32 v5, v77, 2, v94
	scratch_store_dword off, v1, off offset:8 ; 4-byte Folded Spill
	v_lshlrev_b32_e32 v1, 3, v76
	v_and_b32_e32 v74, 63, v0
	v_cmp_gt_u32_e32 vcc, 3, v5
	v_lshlrev_b32_e32 v6, 1, v1
	scratch_store_dwordx2 off, v[6:7], off  ; 8-byte Folded Spill
	s_and_saveexec_b64 s[16:17], vcc
	s_cbranch_execz .LBB246_11
; %bb.10:
	scratch_load_dword v1, off, off offset:8 ; 4-byte Folded Reload
	scratch_load_dwordx2 v[8:9], off, off   ; 8-byte Folded Reload
	s_load_dwordx2 s[20:21], s[0:1], 0x0
	s_waitcnt lgkmcnt(0)
	s_ashr_i32 s11, s8, 31
	s_mul_hi_u32 s22, s5, s8
	s_mul_i32 s11, s5, s11
	s_add_i32 s23, s22, s11
	s_mul_i32 s22, s5, s8
	s_lshl_b64 s[22:23], s[22:23], 1
	s_add_u32 s20, s20, s22
	s_addc_u32 s21, s21, s23
	v_mov_b32_e32 v11, 0
	v_lshlrev_b32_e32 v5, 5, v5
	s_waitcnt vmcnt(1)
	v_lshlrev_b32_e32 v6, 7, v1
	v_ashrrev_i32_e32 v7, 31, v6
	v_lshl_add_u64 v[6:7], v[6:7], 1, s[20:21]
	s_waitcnt vmcnt(0)
	v_mov_b32_e32 v10, v8
	v_lshl_add_u64 v[6:7], v[6:7], 0, v[10:11]
	scratch_store_dwordx2 off, v[8:9], off  ; 8-byte Folded Spill
	global_load_dwordx4 v[6:9], v[6:7], off
	v_and_b32_e32 v1, 3, v0
	v_lshlrev_b32_e32 v10, 9, v76
	v_lshlrev_b32_e32 v1, 9, v1
	v_and_b32_e32 v10, 0x1800, v10
	v_or3_b32 v1, v10, v1, v5
	s_waitcnt vmcnt(0)
	ds_write_b128 v1, v[6:9]
.LBB246_11:
	s_or_b64 exec, exec, s[16:17]
	s_waitcnt lgkmcnt(0)
	s_mul_i32 s4, s4, s10
	s_mov_b32 s5, 0
	s_lshl_b64 s[4:5], s[4:5], 1
	s_add_u32 s10, s12, s4
	v_lshlrev_b32_e32 v1, 4, v0
	s_addc_u32 s11, s13, s5
	v_and_b32_e32 v34, 0xf0, v1
	v_mov_b32_e32 v35, 0
	v_lshl_add_u64 v[30:31], s[10:11], 0, v[34:35]
	s_waitcnt vmcnt(5)
	v_mad_i64_i32 v[4:5], s[10:11], v4, s9, 0
	v_lshl_add_u64 v[4:5], v[4:5], 1, v[30:31]
	v_and_b32_e32 v34, 0x300, v1
	v_lshl_add_u64 v[32:33], v[4:5], 0, v[34:35]
	s_load_dword s27, s[0:1], 0x98
	s_load_dword s8, s[0:1], 0x1c
	s_waitcnt lgkmcnt(0)
	s_barrier
	global_load_dwordx4 v[6:9], v[32:33], off
	global_load_dwordx4 v[18:21], v[32:33], off offset:1024
	s_waitcnt vmcnt(6)
	v_mad_i64_i32 v[4:5], s[10:11], v3, s9, 0
	v_lshl_add_u64 v[4:5], v[4:5], 1, v[30:31]
	v_lshl_add_u64 v[36:37], v[4:5], 0, v[34:35]
	global_load_dwordx4 v[14:17], v[36:37], off
	global_load_dwordx4 v[22:25], v[36:37], off offset:1024
	s_waitcnt vmcnt(7)
	v_mad_i64_i32 v[2:3], s[10:11], v2, s9, 0
	v_lshl_add_u64 v[2:3], v[2:3], 1, v[30:31]
	v_lshl_add_u64 v[38:39], v[2:3], 0, v[34:35]
	global_load_dwordx4 v[26:29], v[38:39], off
	global_load_dwordx4 v[46:49], v[38:39], off offset:1024
	v_mul_lo_u16_e32 v1, 0x56, v76
	v_mov_b32_e32 v2, 3
	v_mul_lo_u16_sdwa v1, v1, v2 dst_sel:DWORD dst_unused:UNUSED_PAD src0_sel:BYTE_1 src1_sel:DWORD
	v_mov_b32_e32 v3, 5
	v_sub_u16_e32 v1, v76, v1
	v_lshlrev_b32_sdwa v1, v3, v1 dst_sel:DWORD dst_unused:UNUSED_PAD src0_sel:DWORD src1_sel:BYTE_0
	v_lshl_add_u32 v41, v94, 9, v1
	ds_read_b128 v[10:13], v41
	ds_read_b128 v[2:5], v41 offset:2048
	global_load_dwordx4 v[54:57], v[32:33], off offset:2048
	global_load_dwordx4 v[62:65], v[36:37], off offset:2048
	v_and_or_b32 v1, v0, 48, s18
	v_mov_b32_e32 v70, s19
	v_cmp_gt_i32_e32 vcc, s33, v1
	v_or_b32_e32 v66, 64, v1
	v_or_b32_e32 v71, 0x80, v1
	;; [unrolled: 1-line block ×3, first 2 shown]
	v_ashrrev_i32_e32 v73, 4, v71
	v_ashrrev_i32_e32 v75, 4, v72
	s_add_u32 s4, s14, s4
	s_addc_u32 s5, s15, s5
	s_mov_b32 s41, 0xff7fffff
	s_waitcnt vmcnt(7) lgkmcnt(1)
	v_mfma_f32_16x16x16_f16 v[42:45], v[6:7], v[10:11], 0
	v_mfma_f32_16x16x16_f16 v[6:9], v[8:9], v[12:13], v[42:45]
	s_nop 5
	global_load_dwordx4 v[42:45], v[38:39], off offset:2048
	s_waitcnt vmcnt(6)
	v_mfma_f32_16x16x16_f16 v[50:53], v[14:15], v[10:11], 0
	s_waitcnt vmcnt(4)
	v_mfma_f32_16x16x16_f16 v[58:61], v[26:27], v[10:11], 0
	v_mfma_f32_16x16x16_f16 v[14:17], v[16:17], v[12:13], v[50:53]
	s_nop 3
	global_load_dwordx4 v[50:53], v[32:33], off offset:3072
	v_mfma_f32_16x16x16_f16 v[26:29], v[28:29], v[12:13], v[58:61]
	v_mad_i64_i32 v[32:33], s[10:11], v40, s9, 0
	v_ashrrev_i32_e32 v40, 4, v1
	s_waitcnt lgkmcnt(0)
	v_mfma_f32_16x16x16_f16 v[14:17], v[22:23], v[2:3], v[14:17]
	global_load_dwordx4 v[58:61], v[36:37], off offset:3072
	v_ashrrev_i32_e32 v1, 4, v66
	v_mfma_f32_16x16x16_f16 v[6:9], v[18:19], v[2:3], v[6:9]
	v_cndmask_b32_e32 v18, v70, v40, vcc
	v_ashrrev_i32_e32 v19, 31, v18
	v_lshl_add_u64 v[18:19], v[18:19], 2, s[6:7]
	s_waitcnt vmcnt(5)
	v_mfma_f32_16x16x16_f16 v[26:29], v[46:47], v[2:3], v[26:29]
	global_load_dword v82, v[18:19], off
	v_cmp_gt_i32_e32 vcc, s33, v66
	ds_read_b128 v[66:69], v41 offset:4096
	v_mfma_f32_16x16x16_f16 v[14:17], v[24:25], v[4:5], v[14:17]
	global_load_dwordx4 v[22:25], v[38:39], off offset:3072
	v_cndmask_b32_e32 v36, v70, v1, vcc
	v_ashrrev_i32_e32 v37, 31, v36
	v_mfma_f32_16x16x16_f16 v[6:9], v[20:21], v[4:5], v[6:9]
	v_cmp_gt_i32_e32 vcc, s33, v71
	ds_read_b128 v[38:41], v41 offset:6144
	v_lshl_or_b32 v1, v77, 4, v76
	v_mfma_f32_16x16x16_f16 v[18:21], v[48:49], v[4:5], v[26:29]
	s_nop 2
	v_lshl_add_u64 v[26:27], v[32:33], 1, v[30:31]
	v_lshl_add_u64 v[26:27], v[26:27], 0, v[34:35]
	v_lshl_add_u64 v[28:29], v[36:37], 2, s[6:7]
	global_load_dwordx4 v[46:49], v[26:27], off
	global_load_dword v36, v[28:29], off
	s_waitcnt vmcnt(8) lgkmcnt(1)
	v_mfma_f32_16x16x16_f16 v[6:9], v[54:55], v[66:67], v[6:9]
	v_cndmask_b32_e32 v28, v70, v73, vcc
	v_ashrrev_i32_e32 v29, 31, v28
	v_lshl_add_u64 v[28:29], v[28:29], 2, s[6:7]
	v_mfma_f32_16x16x16_f16 v[6:9], v[56:57], v[68:69], v[6:9]
	global_load_dwordx4 v[54:57], v[26:27], off offset:1024
	v_cmp_gt_i32_e32 vcc, s33, v72
	global_load_dword v83, v[28:29], off
	s_waitcnt vmcnt(9)
	v_mfma_f32_16x16x16_f16 v[14:17], v[62:63], v[66:67], v[14:17]
	v_cndmask_b32_e32 v28, v70, v75, vcc
	v_ashrrev_i32_e32 v29, 31, v28
	v_lshl_add_u64 v[28:29], v[28:29], 2, s[6:7]
	v_mfma_f32_16x16x16_f16 v[14:17], v[64:65], v[68:69], v[14:17]
	global_load_dword v64, v[28:29], off
	v_lshlrev_b32_e32 v34, 5, v1
	v_lshl_add_u64 v[62:63], s[4:5], 0, v[34:35]
	v_or_b32_e32 v34, 0x800, v34
	s_waitcnt vmcnt(9)
	v_mfma_f32_16x16x16_f16 v[18:21], v[42:43], v[66:67], v[18:21]
	global_load_dwordx4 v[70:73], v[26:27], off offset:3072
	v_mfma_f32_16x16x16_f16 v[18:21], v[44:45], v[68:69], v[18:21]
	global_load_dwordx4 v[42:45], v[26:27], off offset:2048
	s_waitcnt vmcnt(10) lgkmcnt(0)
	v_mfma_f32_16x16x16_f16 v[6:9], v[50:51], v[38:39], v[6:9]
	v_mfma_f32_16x16x16_f16 v[78:81], v[52:53], v[40:41], v[6:9]
	s_waitcnt vmcnt(9)
	v_mfma_f32_16x16x16_f16 v[14:17], v[58:59], v[38:39], v[14:17]
	s_waitcnt vmcnt(8)
	s_nop 2
	v_mad_i64_i32 v[6:7], s[6:7], v82, s9, 0
	v_lshlrev_b64 v[52:53], 1, v[6:7]
	v_lshl_add_u64 v[6:7], v[62:63], 0, v[52:53]
	global_load_dwordx4 v[30:33], v[6:7], off
	global_load_dwordx4 v[26:29], v[6:7], off offset:16
	s_waitcnt vmcnt(9)
	v_mfma_f32_16x16x16_f16 v[6:9], v[22:23], v[38:39], v[18:21]
	v_mfma_f32_16x16x16_f16 v[90:93], v[60:61], v[40:41], v[14:17]
	v_pk_mul_f32 v[60:61], s[8:9], v[78:79] op_sel_hi:[0,1]
	v_mfma_f32_16x16x16_f16 v[86:89], v[24:25], v[40:41], v[6:9]
	s_waitcnt vmcnt(7)
	v_mad_i64_i32 v[14:15], s[6:7], v36, s9, 0
	v_lshlrev_b64 v[36:37], 1, v[14:15]
	s_nop 0
	v_lshl_add_u64 v[6:7], v[62:63], 0, v[36:37]
	global_load_dwordx4 v[22:25], v[6:7], off
	global_load_dwordx4 v[18:21], v[6:7], off offset:16
	v_mfma_f32_16x16x16_f16 v[6:9], v[46:47], v[10:11], 0
	v_pk_mul_f32 v[84:85], s[8:9], v[92:93] op_sel_hi:[0,1]
	v_pk_mul_f32 v[78:79], s[8:9], v[88:89] op_sel_hi:[0,1]
	s_waitcnt vmcnt(7)
	v_mad_i64_i32 v[10:11], s[6:7], v83, s9, 0
	v_mfma_f32_16x16x16_f16 v[6:9], v[48:49], v[12:13], v[6:9]
	v_pk_mul_f32 v[82:83], s[8:9], v[80:81] op_sel_hi:[0,1]
	v_pk_mul_f32 v[80:81], s[8:9], v[86:87] op_sel_hi:[0,1]
	v_lshlrev_b64 v[50:51], 1, v[10:11]
	v_mfma_f32_16x16x16_f16 v[6:9], v[54:55], v[2:3], v[6:9]
	s_waitcnt vmcnt(6)
	v_mad_i64_i32 v[2:3], s[6:7], v64, s9, 0
	v_lshlrev_b64 v[58:59], 1, v[2:3]
	v_mfma_f32_16x16x16_f16 v[46:49], v[56:57], v[4:5], v[6:9]
	v_lshl_add_u64 v[10:11], v[62:63], 0, v[50:51]
	v_lshl_add_u64 v[2:3], v[62:63], 0, v[58:59]
	;; [unrolled: 1-line block ×4, first 2 shown]
	global_load_dwordx4 v[14:17], v[10:11], off
	s_nop 0
	global_load_dwordx4 v[10:13], v[10:11], off offset:16
	s_nop 0
	global_load_dwordx4 v[6:9], v[2:3], off
	s_nop 0
	global_load_dwordx4 v[2:5], v[2:3], off offset:16
	v_lshl_add_u64 v[50:51], v[62:63], 0, v[50:51]
	v_lshl_add_u64 v[58:59], v[62:63], 0, v[58:59]
	s_waitcnt vmcnt(8)
	v_mfma_f32_16x16x16_f16 v[46:49], v[42:43], v[66:67], v[46:49]
	v_mfma_f32_16x16x16_f16 v[42:45], v[44:45], v[68:69], v[46:49]
	;; [unrolled: 1-line block ×3, first 2 shown]
	v_pk_mul_f32 v[70:71], s[8:9], v[90:91] op_sel_hi:[0,1]
	v_mfma_f32_16x16x16_f16 v[38:41], v[72:73], v[40:41], v[42:45]
	s_nop 6
	v_pk_mul_f32 v[72:73], s[8:9], v[38:39] op_sel_hi:[0,1]
	v_and_b32_e32 v38, 0xc0, v0
	v_add_u32_e32 v38, s18, v38
	v_lshl_or_b32 v38, v94, 2, v38
	v_pk_mul_f32 v[66:67], s[8:9], v[40:41] op_sel_hi:[0,1]
	v_or_b32_e32 v41, 1, v38
	v_mov_b32_e32 v39, 0xff7fffff
	v_cmp_gt_i32_e64 s[28:29], s33, v38
	v_cmp_gt_i32_e64 s[30:31], s33, v41
	v_or_b32_e32 v42, 3, v38
	v_cndmask_b32_e64 v40, v39, v60, s[28:29]
	v_cndmask_b32_e64 v41, v39, v61, s[30:31]
	v_max3_f32 v40, v40, s41, v41
	v_or_b32_e32 v41, 2, v38
	v_cmp_gt_i32_e64 s[34:35], s33, v41
	v_cmp_gt_i32_e64 s[36:37], s33, v42
	s_nop 0
	v_cndmask_b32_e64 v41, v39, v82, s[34:35]
	v_cndmask_b32_e64 v42, v39, v83, s[36:37]
	v_max3_f32 v40, v40, v41, v42
	v_or_b32_e32 v41, 16, v38
	v_or_b32_e32 v42, 17, v38
	v_cmp_gt_i32_e64 s[22:23], s33, v41
	v_cmp_gt_i32_e64 s[24:25], s33, v42
	s_nop 0
	v_cndmask_b32_e64 v41, v39, v70, s[22:23]
	v_cndmask_b32_e64 v42, v39, v71, s[24:25]
	v_max3_f32 v40, v40, v41, v42
	v_or_b32_e32 v41, 18, v38
	;; [unrolled: 8-line block ×6, first 2 shown]
	v_or_b32_e32 v38, 51, v38
	v_cmp_gt_i32_e32 vcc, s33, v41
	v_cmp_gt_i32_e64 s[4:5], s33, v38
	s_nop 0
	v_cndmask_b32_e32 v41, v39, v66, vcc
	v_cndmask_b32_e64 v38, v39, v67, s[4:5]
	v_max3_f32 v52, v40, v41, v38
	v_mbcnt_lo_u32_b32 v38, -1, 0
	v_mbcnt_hi_u32_b32 v53, -1, v38
	v_and_b32_e32 v38, 64, v53
	v_add_u32_e32 v54, 64, v38
	v_xor_b32_e32 v38, 32, v53
	v_cmp_lt_i32_e64 s[38:39], v38, v54
	s_nop 1
	v_cndmask_b32_e64 v38, v53, v38, s[38:39]
	v_lshlrev_b32_e32 v75, 2, v38
	ds_bpermute_b32 v55, v75, v52
	global_load_dwordx4 v[46:49], v[34:35], off
	global_load_dwordx4 v[38:41], v[34:35], off offset:16
	v_lshl_add_u64 v[34:35], v[62:63], 0, v[36:37]
	global_load_dwordx4 v[42:45], v[34:35], off
	s_nop 0
	global_load_dwordx4 v[34:37], v[34:35], off offset:16
	s_waitcnt lgkmcnt(0)
	v_max_f32_e32 v55, v55, v55
	v_max_f32_e32 v64, v52, v55
	v_xor_b32_e32 v52, 16, v53
	v_cmp_lt_i32_e64 s[38:39], v52, v54
	s_nop 1
	v_cndmask_b32_e64 v52, v53, v52, s[38:39]
	v_lshlrev_b32_e32 v86, 2, v52
	ds_bpermute_b32 v65, v86, v64
	global_load_dwordx4 v[54:57], v[50:51], off
	s_nop 0
	global_load_dwordx4 v[50:53], v[50:51], off offset:16
	s_waitcnt lgkmcnt(0)
	v_max_f32_e32 v62, v65, v65
	v_max_f32_e32 v89, v64, v62
	v_sub_f32_e32 v60, v60, v89
	v_mul_f32_e32 v60, 0x3fb8aa3b, v60
	v_exp_f32_e32 v68, v60
	v_sub_f32_e32 v60, v61, v89
	v_mul_f32_e32 v60, 0x3fb8aa3b, v60
	v_exp_f32_e32 v69, v60
	global_load_dwordx4 v[62:65], v[58:59], off
	s_nop 0
	global_load_dwordx4 v[58:61], v[58:59], off offset:16
	v_sub_f32_e32 v82, v82, v89
	v_mul_f32_e32 v82, 0x3fb8aa3b, v82
	v_sub_f32_e32 v83, v83, v89
	v_exp_f32_e32 v82, v82
	v_mul_f32_e32 v83, 0x3fb8aa3b, v83
	v_sub_f32_e32 v70, v70, v89
	v_exp_f32_e32 v83, v83
	v_mul_f32_e32 v70, 0x3fb8aa3b, v70
	v_sub_f32_e32 v71, v71, v89
	v_cndmask_b32_e64 v68, 0, v68, s[28:29]
	v_exp_f32_e32 v70, v70
	v_mul_f32_e32 v71, 0x3fb8aa3b, v71
	v_sub_f32_e32 v84, v84, v89
	v_add_f32_e32 v87, 0, v68
	v_cndmask_b32_e64 v69, 0, v69, s[30:31]
	v_exp_f32_e32 v71, v71
	v_mul_f32_e32 v84, 0x3fb8aa3b, v84
	v_sub_f32_e32 v85, v85, v89
	v_add_f32_e32 v87, v87, v69
	;; [unrolled: 5-line block ×10, first 2 shown]
	v_cndmask_b32_e64 v78, 0, v78, s[10:11]
	v_exp_f32_e32 v66, v66
	v_mul_f32_e32 v67, 0x3fb8aa3b, v67
	v_add_f32_e32 v87, v87, v78
	v_cndmask_b32_e64 v79, 0, v79, s[12:13]
	v_exp_f32_e32 v67, v67
	v_add_f32_e32 v87, v87, v79
	v_cndmask_b32_e64 v72, 0, v72, s[6:7]
	v_add_f32_e32 v87, v87, v72
	v_cndmask_b32_e64 v73, 0, v73, s[8:9]
	v_add_f32_e32 v87, v87, v73
	v_cndmask_b32_e32 v66, 0, v66, vcc
	v_add_f32_e32 v87, v87, v66
	v_cndmask_b32_e64 v67, 0, v67, s[4:5]
	v_add_f32_e32 v87, v87, v67
	ds_bpermute_b32 v75, v75, v87
	v_cmp_gt_u32_e32 vcc, 16, v74
	s_waitcnt lgkmcnt(0)
	s_barrier
	v_add_f32_e32 v90, v87, v75
	ds_bpermute_b32 v91, v86, v90
	s_and_saveexec_b64 s[4:5], vcc
	s_cbranch_execz .LBB246_13
; %bb.12:
	s_waitcnt lgkmcnt(0)
	v_add_f32_e32 v74, v90, v91
	v_lshlrev_b32_e32 v1, 2, v1
	ds_write2st64_b32 v1, v89, v74 offset1:1
.LBB246_13:
	s_or_b64 exec, exec, s[4:5]
	v_lshlrev_b32_e32 v1, 2, v76
	s_load_dword s6, s[0:1], 0x94
	s_waitcnt lgkmcnt(0)
	s_barrier
	ds_read2_b32 v[88:89], v1 offset1:16
	ds_read2_b32 v[90:91], v1 offset0:32 offset1:48
	ds_read2_b32 v[92:93], v1 offset0:64 offset1:80
	s_mul_i32 s7, s27, 3
	s_waitcnt lgkmcnt(2)
	v_max3_f32 v74, v88, s41, v89
	s_waitcnt lgkmcnt(1)
	v_max3_f32 v87, v74, v90, v91
	v_sub_f32_e32 v74, v88, v87
	v_mul_f32_e32 v74, 0x3fb8aa3b, v74
	v_exp_f32_e32 v86, v74
	v_sub_f32_e32 v74, v89, v87
	v_mul_f32_e32 v74, 0x3fb8aa3b, v74
	v_exp_f32_e32 v89, v74
	;; [unrolled: 3-line block ×3, first 2 shown]
	ds_read2_b32 v[74:75], v1 offset0:96 offset1:112
	v_sub_f32_e32 v1, v91, v87
	v_mul_f32_e32 v1, 0x3fb8aa3b, v1
	v_exp_f32_e32 v1, v1
	s_waitcnt lgkmcnt(1)
	v_fma_f32 v88, v86, v92, 0
	v_fmac_f32_e32 v88, v89, v93
	s_waitcnt lgkmcnt(0)
	v_fmac_f32_e32 v88, v90, v74
	v_fmac_f32_e32 v88, v1, v75
	v_add_f32_e32 v74, 0x358637bd, v88
	v_div_scale_f32 v75, s[4:5], v74, v74, 1.0
	v_rcp_f32_e32 v91, v75
	s_barrier
	v_fma_f32 v92, -v75, v91, 1.0
	v_fmac_f32_e32 v91, v92, v91
	v_div_scale_f32 v92, vcc, 1.0, v74, 1.0
	v_mul_f32_e32 v93, v92, v91
	v_fma_f32 v95, -v75, v93, v92
	v_fmac_f32_e32 v93, v95, v91
	v_fma_f32 v75, -v75, v93, v92
	v_div_fmas_f32 v75, v75, v91, v93
	v_cmp_eq_u32_e32 vcc, 1, v77
	v_div_fixup_f32 v74, v75, v74, 1.0
	s_nop 0
	v_cndmask_b32_e32 v75, v86, v89, vcc
	v_cmp_eq_u32_e32 vcc, 2, v77
	s_nop 1
	v_cndmask_b32_e32 v75, v75, v90, vcc
	v_cmp_eq_u32_e32 vcc, 3, v77
	v_lshlrev_b32_e32 v77, 11, v77
	s_nop 0
	v_cndmask_b32_e32 v1, v75, v1, vcc
	v_mul_f32_e32 v74, v1, v74
	v_pk_mul_f32 v[82:83], v[74:75], v[82:83] op_sel_hi:[0,1]
	v_pk_mul_f32 v[68:69], v[74:75], v[68:69] op_sel_hi:[0,1]
	v_cvt_f16_f32_e32 v75, v83
	v_cvt_f16_f32_e32 v1, v68
	;; [unrolled: 1-line block ×4, first 2 shown]
	v_pk_mul_f32 v[82:83], v[74:75], v[84:85] op_sel_hi:[0,1]
	v_pk_mul_f32 v[70:71], v[74:75], v[70:71] op_sel_hi:[0,1]
	v_pack_b32_f16 v90, v1, v68
	v_pack_b32_f16 v91, v69, v75
	v_cvt_f16_f32_e32 v69, v70
	v_cvt_f16_f32_e32 v70, v71
	;; [unrolled: 1-line block ×4, first 2 shown]
	v_lshlrev_b32_e32 v1, 3, v94
	v_lshlrev_b32_e32 v68, 5, v76
	v_or3_b32 v82, v77, v68, v1
	v_pack_b32_f16 v70, v69, v70
	v_pack_b32_f16 v71, v71, v75
	ds_write2st64_b64 v82, v[90:91], v[70:71] offset1:1
	v_pk_mul_f32 v[70:71], v[74:75], v[78:79] op_sel_hi:[0,1]
	v_pk_mul_f32 v[78:79], v[74:75], v[80:81] op_sel_hi:[0,1]
	v_cvt_f16_f32_e32 v75, v70
	v_cvt_f16_f32_e32 v77, v71
	;; [unrolled: 1-line block ×4, first 2 shown]
	v_pk_mul_f32 v[66:67], v[74:75], v[66:67] op_sel_hi:[0,1]
	v_pk_mul_f32 v[70:71], v[74:75], v[72:73] op_sel_hi:[0,1]
	v_cvt_f16_f32_e32 v70, v70
	v_cvt_f16_f32_e32 v71, v71
	;; [unrolled: 1-line block ×4, first 2 shown]
	v_pack_b32_f16 v66, v1, v69
	v_pack_b32_f16 v67, v75, v77
	;; [unrolled: 1-line block ×4, first 2 shown]
	v_cmp_gt_u32_e32 vcc, 3, v0
	ds_write2st64_b64 v82, v[66:67], v[70:71] offset0:2 offset1:3
	s_and_saveexec_b64 s[4:5], vcc
	s_cbranch_execz .LBB246_15
; %bb.14:
	s_mov_b32 s41, 0
	v_mov_b32_e32 v77, 0
	v_lshl_add_u64 v[66:67], s[40:41], 0, v[76:77]
	v_mov_b32_e32 v1, s7
	v_mad_u64_u32 v[66:67], s[12:13], s2, v1, v[66:67]
	s_mul_i32 s3, s3, s7
	v_mov_b32_e32 v70, s26
	v_mov_b32_e32 v71, v77
	s_load_dwordx4 s[8:11], s[0:1], 0x58
	v_add_u32_e32 v1, s3, v67
	v_mad_u64_u32 v[66:67], s[12:13], v66, s6, v[70:71]
	v_mov_b32_e32 v70, v67
	v_mad_u64_u32 v[70:71], s[12:13], v1, s6, v[70:71]
	v_mov_b32_e32 v67, v70
	v_lshlrev_b64 v[66:67], 2, v[66:67]
	s_waitcnt lgkmcnt(0)
	v_lshl_add_u64 v[70:71], s[10:11], 0, v[66:67]
	v_lshl_add_u64 v[66:67], s[8:9], 0, v[66:67]
	global_store_dword v[70:71], v87, off
	global_store_dword v[66:67], v88, off
.LBB246_15:
	s_or_b64 exec, exec, s[4:5]
	v_lshl_or_b32 v1, v94, 9, v68
	s_waitcnt lgkmcnt(0)
	s_barrier
	ds_read_b128 v[70:73], v1
	ds_read_b128 v[66:69], v1 offset:16
	s_waitcnt vmcnt(15) lgkmcnt(1)
	v_mfma_f32_16x16x16_f16 v[78:81], v[30:31], v[70:71], 0
	v_cmp_gt_u32_e32 vcc, 64, v0
	v_cmp_ne_u32_e64 s[4:5], 3, v94
	s_mov_b32 s3, 0
	v_mfma_f32_16x16x16_f16 v[30:33], v[32:33], v[72:73], v[78:81]
	s_and_b64 s[4:5], vcc, s[4:5]
	s_waitcnt vmcnt(14) lgkmcnt(0)
	v_mfma_f32_16x16x16_f16 v[30:33], v[26:27], v[66:67], v[30:33]
	v_mfma_f32_16x16x16_f16 v[26:29], v[28:29], v[68:69], v[30:33]
	s_nop 5
	ds_read_b128 v[30:33], v1 offset:2048
	ds_read_b128 v[78:81], v1 offset:2064
	s_waitcnt vmcnt(13) lgkmcnt(1)
	v_mfma_f32_16x16x16_f16 v[26:29], v[22:23], v[30:31], v[26:29]
	v_mfma_f32_16x16x16_f16 v[22:25], v[24:25], v[32:33], v[26:29]
	s_waitcnt vmcnt(12) lgkmcnt(0)
	v_mfma_f32_16x16x16_f16 v[22:25], v[18:19], v[78:79], v[22:25]
	v_mfma_f32_16x16x16_f16 v[18:21], v[20:21], v[80:81], v[22:25]
	s_nop 5
	ds_read_b128 v[22:25], v1 offset:4096
	ds_read_b128 v[26:29], v1 offset:4112
	s_waitcnt vmcnt(11) lgkmcnt(1)
	v_mfma_f32_16x16x16_f16 v[18:21], v[14:15], v[22:23], v[18:21]
	v_mfma_f32_16x16x16_f16 v[14:17], v[16:17], v[24:25], v[18:21]
	s_waitcnt vmcnt(10) lgkmcnt(0)
	v_mfma_f32_16x16x16_f16 v[14:17], v[10:11], v[26:27], v[14:17]
	v_mfma_f32_16x16x16_f16 v[10:13], v[12:13], v[28:29], v[14:17]
	s_nop 5
	ds_read_b128 v[14:17], v1 offset:6144
	ds_read_b128 v[18:21], v1 offset:6160
	s_waitcnt lgkmcnt(0)
	s_barrier
	s_waitcnt vmcnt(9)
	v_mfma_f32_16x16x16_f16 v[10:13], v[6:7], v[14:15], v[10:13]
	v_mfma_f32_16x16x16_f16 v[6:9], v[8:9], v[16:17], v[10:13]
	s_waitcnt vmcnt(8)
	v_mfma_f32_16x16x16_f16 v[6:9], v[2:3], v[18:19], v[6:9]
	v_mfma_f32_16x16x16_f16 v[2:5], v[4:5], v[20:21], v[6:9]
	;; [unrolled: 3-line block ×3, first 2 shown]
	s_nop 3
	v_cvt_f16_f32_e32 v1, v2
	v_cvt_f16_f32_e32 v10, v3
	;; [unrolled: 1-line block ×3, first 2 shown]
	s_waitcnt vmcnt(6)
	v_mfma_f32_16x16x16_f16 v[6:9], v[38:39], v[66:67], v[6:9]
	v_cvt_f16_f32_e32 v12, v5
	v_mfma_f32_16x16x16_f16 v[6:9], v[40:41], v[68:69], v[6:9]
	s_waitcnt vmcnt(5)
	v_mfma_f32_16x16x16_f16 v[6:9], v[42:43], v[30:31], v[6:9]
	v_mfma_f32_16x16x16_f16 v[6:9], v[44:45], v[32:33], v[6:9]
	s_waitcnt vmcnt(4)
	v_mfma_f32_16x16x16_f16 v[6:9], v[34:35], v[78:79], v[6:9]
	;; [unrolled: 3-line block ×6, first 2 shown]
	v_mfma_f32_16x16x16_f16 v[2:5], v[60:61], v[20:21], v[6:9]
	s_nop 6
	v_cvt_f16_f32_e32 v6, v2
	v_cvt_f16_f32_e32 v7, v3
	;; [unrolled: 1-line block ×4, first 2 shown]
	v_pack_b32_f16 v2, v1, v10
	v_pack_b32_f16 v3, v11, v12
	;; [unrolled: 1-line block ×4, first 2 shown]
	ds_write2st64_b64 v82, v[2:3], v[4:5] offset1:1
	s_waitcnt lgkmcnt(0)
	s_barrier
	s_and_saveexec_b64 s[8:9], s[4:5]
	s_cbranch_execz .LBB246_17
; %bb.16:
	scratch_load_dword v4, off, off offset:8 ; 4-byte Folded Reload
	scratch_load_dwordx2 v[6:7], off, off   ; 8-byte Folded Reload
	s_load_dwordx2 s[0:1], s[0:1], 0x68
	s_mul_i32 s2, s7, s2
	s_lshl_b32 s6, s6, 7
	v_lshlrev_b32_e32 v3, 6, v76
	s_mul_hi_u32 s5, s2, s6
	s_mul_i32 s4, s2, s6
	v_lshlrev_b32_e32 v2, 4, v0
	v_lshl_or_b32 v0, v0, 10, v3
	s_lshl_b64 s[4:5], s[4:5], 1
	v_lshlrev_b32_e32 v1, 5, v94
	v_and_b32_e32 v2, 16, v2
	v_and_b32_e32 v0, 0x1a00, v0
	s_waitcnt lgkmcnt(0)
	s_add_u32 s4, s0, s4
	v_or3_b32 v0, v0, v1, v2
	s_addc_u32 s5, s1, s5
	s_lshl_b32 s2, s26, 7
	ds_read_b128 v[0:3], v0
	s_lshl_b64 s[0:1], s[2:3], 1
	s_add_u32 s0, s4, s0
	s_addc_u32 s1, s5, s1
	s_waitcnt vmcnt(0)
	v_mov_b32_e32 v7, 0
	v_mad_u64_u32 v[4:5], s[2:3], s6, v4, 0
	v_lshl_add_u64 v[4:5], v[4:5], 1, s[0:1]
	v_lshl_add_u64 v[4:5], v[4:5], 0, v[6:7]
	s_waitcnt lgkmcnt(0)
	global_store_dwordx4 v[4:5], v[0:3], off
.LBB246_17:
	s_endpgm
	.section	.rodata,"a",@progbits
	.p2align	6, 0x0
	.amdhsa_kernel _Z39paged_attention_ll4mi_QKV_mfma16_kernelIDF16_DF16_LN4vllm18Fp8KVCacheDataTypeE0EhLi16ELi128ELi256ELb0ELi3EEvPKT_PKT0_S7_ifPKiS9_S9_iPKfiiiPfSC_PS2_PT2_iSB_SB_
		.amdhsa_group_segment_fixed_size 8192
		.amdhsa_private_segment_fixed_size 16
		.amdhsa_kernarg_size 400
		.amdhsa_user_sgpr_count 2
		.amdhsa_user_sgpr_dispatch_ptr 0
		.amdhsa_user_sgpr_queue_ptr 0
		.amdhsa_user_sgpr_kernarg_segment_ptr 1
		.amdhsa_user_sgpr_dispatch_id 0
		.amdhsa_user_sgpr_kernarg_preload_length 0
		.amdhsa_user_sgpr_kernarg_preload_offset 0
		.amdhsa_user_sgpr_private_segment_size 0
		.amdhsa_uses_dynamic_stack 0
		.amdhsa_enable_private_segment 1
		.amdhsa_system_sgpr_workgroup_id_x 1
		.amdhsa_system_sgpr_workgroup_id_y 1
		.amdhsa_system_sgpr_workgroup_id_z 1
		.amdhsa_system_sgpr_workgroup_info 0
		.amdhsa_system_vgpr_workitem_id 0
		.amdhsa_next_free_vgpr 96
		.amdhsa_next_free_sgpr 42
		.amdhsa_accum_offset 96
		.amdhsa_reserve_vcc 1
		.amdhsa_float_round_mode_32 0
		.amdhsa_float_round_mode_16_64 0
		.amdhsa_float_denorm_mode_32 3
		.amdhsa_float_denorm_mode_16_64 3
		.amdhsa_dx10_clamp 1
		.amdhsa_ieee_mode 1
		.amdhsa_fp16_overflow 0
		.amdhsa_tg_split 0
		.amdhsa_exception_fp_ieee_invalid_op 0
		.amdhsa_exception_fp_denorm_src 0
		.amdhsa_exception_fp_ieee_div_zero 0
		.amdhsa_exception_fp_ieee_overflow 0
		.amdhsa_exception_fp_ieee_underflow 0
		.amdhsa_exception_fp_ieee_inexact 0
		.amdhsa_exception_int_div_zero 0
	.end_amdhsa_kernel
	.section	.text._Z39paged_attention_ll4mi_QKV_mfma16_kernelIDF16_DF16_LN4vllm18Fp8KVCacheDataTypeE0EhLi16ELi128ELi256ELb0ELi3EEvPKT_PKT0_S7_ifPKiS9_S9_iPKfiiiPfSC_PS2_PT2_iSB_SB_,"axG",@progbits,_Z39paged_attention_ll4mi_QKV_mfma16_kernelIDF16_DF16_LN4vllm18Fp8KVCacheDataTypeE0EhLi16ELi128ELi256ELb0ELi3EEvPKT_PKT0_S7_ifPKiS9_S9_iPKfiiiPfSC_PS2_PT2_iSB_SB_,comdat
.Lfunc_end246:
	.size	_Z39paged_attention_ll4mi_QKV_mfma16_kernelIDF16_DF16_LN4vllm18Fp8KVCacheDataTypeE0EhLi16ELi128ELi256ELb0ELi3EEvPKT_PKT0_S7_ifPKiS9_S9_iPKfiiiPfSC_PS2_PT2_iSB_SB_, .Lfunc_end246-_Z39paged_attention_ll4mi_QKV_mfma16_kernelIDF16_DF16_LN4vllm18Fp8KVCacheDataTypeE0EhLi16ELi128ELi256ELb0ELi3EEvPKT_PKT0_S7_ifPKiS9_S9_iPKfiiiPfSC_PS2_PT2_iSB_SB_
                                        ; -- End function
	.section	.AMDGPU.csdata,"",@progbits
; Kernel info:
; codeLenInByte = 4436
; NumSgprs: 48
; NumVgprs: 96
; NumAgprs: 0
; TotalNumVgprs: 96
; ScratchSize: 16
; MemoryBound: 0
; FloatMode: 240
; IeeeMode: 1
; LDSByteSize: 8192 bytes/workgroup (compile time only)
; SGPRBlocks: 5
; VGPRBlocks: 11
; NumSGPRsForWavesPerEU: 48
; NumVGPRsForWavesPerEU: 96
; AccumOffset: 96
; Occupancy: 5
; WaveLimiterHint : 1
; COMPUTE_PGM_RSRC2:SCRATCH_EN: 1
; COMPUTE_PGM_RSRC2:USER_SGPR: 2
; COMPUTE_PGM_RSRC2:TRAP_HANDLER: 0
; COMPUTE_PGM_RSRC2:TGID_X_EN: 1
; COMPUTE_PGM_RSRC2:TGID_Y_EN: 1
; COMPUTE_PGM_RSRC2:TGID_Z_EN: 1
; COMPUTE_PGM_RSRC2:TIDIG_COMP_CNT: 0
; COMPUTE_PGM_RSRC3_GFX90A:ACCUM_OFFSET: 23
; COMPUTE_PGM_RSRC3_GFX90A:TG_SPLIT: 0
	.section	.text._Z39paged_attention_ll4mi_QKV_mfma16_kernelIDF16_DF16_LN4vllm18Fp8KVCacheDataTypeE0EhLi16ELi128ELi256ELb0ELi4EEvPKT_PKT0_S7_ifPKiS9_S9_iPKfiiiPfSC_PS2_PT2_iSB_SB_,"axG",@progbits,_Z39paged_attention_ll4mi_QKV_mfma16_kernelIDF16_DF16_LN4vllm18Fp8KVCacheDataTypeE0EhLi16ELi128ELi256ELb0ELi4EEvPKT_PKT0_S7_ifPKiS9_S9_iPKfiiiPfSC_PS2_PT2_iSB_SB_,comdat
	.protected	_Z39paged_attention_ll4mi_QKV_mfma16_kernelIDF16_DF16_LN4vllm18Fp8KVCacheDataTypeE0EhLi16ELi128ELi256ELb0ELi4EEvPKT_PKT0_S7_ifPKiS9_S9_iPKfiiiPfSC_PS2_PT2_iSB_SB_ ; -- Begin function _Z39paged_attention_ll4mi_QKV_mfma16_kernelIDF16_DF16_LN4vllm18Fp8KVCacheDataTypeE0EhLi16ELi128ELi256ELb0ELi4EEvPKT_PKT0_S7_ifPKiS9_S9_iPKfiiiPfSC_PS2_PT2_iSB_SB_
	.globl	_Z39paged_attention_ll4mi_QKV_mfma16_kernelIDF16_DF16_LN4vllm18Fp8KVCacheDataTypeE0EhLi16ELi128ELi256ELb0ELi4EEvPKT_PKT0_S7_ifPKiS9_S9_iPKfiiiPfSC_PS2_PT2_iSB_SB_
	.p2align	8
	.type	_Z39paged_attention_ll4mi_QKV_mfma16_kernelIDF16_DF16_LN4vllm18Fp8KVCacheDataTypeE0EhLi16ELi128ELi256ELb0ELi4EEvPKT_PKT0_S7_ifPKiS9_S9_iPKfiiiPfSC_PS2_PT2_iSB_SB_,@function
_Z39paged_attention_ll4mi_QKV_mfma16_kernelIDF16_DF16_LN4vllm18Fp8KVCacheDataTypeE0EhLi16ELi128ELi256ELb0ELi4EEvPKT_PKT0_S7_ifPKiS9_S9_iPKfiiiPfSC_PS2_PT2_iSB_SB_: ; @_Z39paged_attention_ll4mi_QKV_mfma16_kernelIDF16_DF16_LN4vllm18Fp8KVCacheDataTypeE0EhLi16ELi128ELi256ELb0ELi4EEvPKT_PKT0_S7_ifPKiS9_S9_iPKfiiiPfSC_PS2_PT2_iSB_SB_
; %bb.0:
	s_load_dwordx2 s[8:9], s[0:1], 0x30
	s_mov_b32 s28, s3
	s_mov_b64 s[6:7], 0
	s_waitcnt lgkmcnt(0)
	s_cmp_lg_u64 s[8:9], 0
	s_cselect_b64 s[10:11], -1, 0
	s_and_b64 vcc, exec, s[10:11]
	s_cbranch_vccz .LBB247_7
; %bb.1:
	s_add_i32 s12, s2, 1
	s_mov_b32 s13, 0
	s_lshl_b64 s[14:15], s[12:13], 2
	s_add_u32 s14, s8, s14
	s_mov_b32 s3, s13
	s_addc_u32 s15, s9, s15
	s_lshl_b64 s[12:13], s[2:3], 2
	s_add_u32 s12, s8, s12
	s_addc_u32 s13, s9, s13
	s_load_dword s5, s[14:15], 0x0
	s_load_dword s16, s[12:13], 0x0
	s_waitcnt lgkmcnt(0)
	s_sub_i32 s5, s5, s16
	s_cmp_eq_u32 s5, 1
	s_cselect_b64 s[12:13], -1, 0
	s_andn2_b64 vcc, exec, s[6:7]
	s_cbranch_vccnz .LBB247_3
.LBB247_2:
	s_mov_b32 s3, 0
	s_mov_b64 s[12:13], -1
.LBB247_3:
	s_andn2_b64 vcc, exec, s[12:13]
	s_cbranch_vccnz .LBB247_17
; %bb.4:
	s_load_dwordx2 s[6:7], s[0:1], 0x28
	s_lshl_b64 s[16:17], s[2:3], 2
	s_waitcnt lgkmcnt(0)
	s_add_u32 s6, s6, s16
	s_addc_u32 s7, s7, s17
	s_load_dword s40, s[6:7], 0x0
	s_lshl_b32 s18, s28, 8
	s_waitcnt lgkmcnt(0)
	s_cmp_ge_i32 s18, s40
	s_cbranch_scc1 .LBB247_17
; %bb.5:
	s_load_dwordx2 s[6:7], s[0:1], 0x20
	s_load_dword s5, s[0:1], 0x38
	s_add_i32 s12, s40, 15
	s_ashr_i32 s13, s12, 31
	v_and_b32_e32 v1, 0xcf, v0
	s_lshr_b32 s13, s13, 28
	v_add_u32_e32 v1, s18, v1
	s_add_i32 s12, s12, s13
	v_ashrrev_i32_e32 v2, 31, v1
	s_ashr_i32 s19, s12, 4
	v_lshrrev_b32_e32 v4, 28, v2
	s_add_i32 s19, s19, -1
	s_waitcnt lgkmcnt(0)
	s_mul_i32 s12, s2, s5
	s_mov_b32 s13, 0
	v_add_u32_e32 v2, v1, v4
	s_lshl_b64 s[12:13], s[12:13], 2
	v_ashrrev_i32_e32 v2, 4, v2
	v_mov_b32_e32 v5, s19
	v_cmp_gt_i32_e32 vcc, s40, v1
	s_add_u32 s6, s6, s12
	s_addc_u32 s7, s7, s13
	v_cndmask_b32_e32 v2, v5, v2, vcc
	v_ashrrev_i32_e32 v3, 31, v2
	v_lshl_add_u64 v[6:7], v[2:3], 2, s[6:7]
	v_or_b32_e32 v2, 16, v1
	v_add_u32_e32 v3, v2, v4
	v_ashrrev_i32_e32 v3, 4, v3
	v_cmp_gt_i32_e32 vcc, s40, v2
	s_load_dwordx4 s[12:15], s[0:1], 0x8
	s_nop 0
	v_cndmask_b32_e32 v2, v5, v3, vcc
	v_ashrrev_i32_e32 v3, 31, v2
	v_lshl_add_u64 v[8:9], v[2:3], 2, s[6:7]
	v_or_b32_e32 v2, 32, v1
	v_add_u32_e32 v3, v2, v4
	v_ashrrev_i32_e32 v3, 4, v3
	v_cmp_gt_i32_e32 vcc, s40, v2
	v_or_b32_e32 v1, 48, v1
	s_nop 0
	v_cndmask_b32_e32 v2, v5, v3, vcc
	v_ashrrev_i32_e32 v3, 31, v2
	v_lshl_add_u64 v[10:11], v[2:3], 2, s[6:7]
	v_add_u32_e32 v2, v1, v4
	v_ashrrev_i32_e32 v2, 4, v2
	v_cmp_gt_i32_e32 vcc, s40, v1
	s_nop 1
	v_cndmask_b32_e32 v2, v5, v2, vcc
	v_ashrrev_i32_e32 v3, 31, v2
	v_lshl_add_u64 v[12:13], v[2:3], 2, s[6:7]
	global_load_dword v5, v[6:7], off
	global_load_dword v4, v[8:9], off
	;; [unrolled: 1-line block ×4, first 2 shown]
	s_andn2_b64 vcc, exec, s[10:11]
	s_cbranch_vccnz .LBB247_8
; %bb.6:
	s_add_u32 s8, s8, s16
	s_addc_u32 s9, s9, s17
	s_load_dword s5, s[8:9], 0x0
	s_branch .LBB247_9
.LBB247_7:
	s_mov_b64 s[12:13], 0
	s_branch .LBB247_2
.LBB247_8:
	s_mov_b32 s5, s2
.LBB247_9:
	s_load_dwordx4 s[8:11], s[0:1], 0x48
	v_bfe_u32 v86, v0, 4, 2
	s_lshl_b32 s29, s4, 2
	v_and_b32_e32 v94, 15, v0
	v_or_b32_e32 v1, s29, v86
	v_lshlrev_b32_e32 v6, 3, v94
	v_lshrrev_b32_e32 v87, 6, v0
	v_and_b32_e32 v88, 63, v0
	scratch_store_dword off, v1, off offset:8 ; 4-byte Folded Spill
	v_and_b32_e32 v3, 3, v0
	v_cmp_gt_u32_e64 s[30:31], 64, v0
	v_lshlrev_b32_e32 v6, 1, v6
	v_lshlrev_b32_e32 v1, 5, v86
	scratch_store_dwordx2 off, v[6:7], off  ; 8-byte Folded Spill
	scratch_store_dword off, v1, off offset:12 ; 4-byte Folded Spill
	s_and_saveexec_b64 s[16:17], s[30:31]
	s_cbranch_execz .LBB247_11
; %bb.10:
	scratch_load_dword v1, off, off offset:8 ; 4-byte Folded Reload
	scratch_load_dwordx2 v[8:9], off, off   ; 8-byte Folded Reload
	s_load_dwordx2 s[20:21], s[0:1], 0x0
	s_waitcnt lgkmcnt(0)
	s_ashr_i32 s11, s8, 31
	s_mul_hi_u32 s22, s5, s8
	s_mul_i32 s11, s5, s11
	s_add_i32 s23, s22, s11
	s_mul_i32 s22, s5, s8
	s_lshl_b64 s[22:23], s[22:23], 1
	s_add_u32 s20, s20, s22
	s_addc_u32 s21, s21, s23
	v_mov_b32_e32 v11, 0
	v_lshlrev_b32_e32 v12, 9, v94
	v_and_b32_e32 v12, 0x1800, v12
	s_waitcnt vmcnt(1)
	v_lshlrev_b32_e32 v6, 7, v1
	v_ashrrev_i32_e32 v7, 31, v6
	v_lshl_add_u64 v[6:7], v[6:7], 1, s[20:21]
	s_waitcnt vmcnt(0)
	v_mov_b32_e32 v10, v8
	v_lshl_add_u64 v[6:7], v[6:7], 0, v[10:11]
	scratch_store_dwordx2 off, v[8:9], off  ; 8-byte Folded Spill
	global_load_dwordx4 v[6:9], v[6:7], off
	v_lshlrev_b32_e32 v1, 5, v86
	v_lshl_or_b32 v10, v87, 7, v1
	v_lshlrev_b32_e32 v11, 9, v3
	v_or3_b32 v10, v12, v11, v10
	s_waitcnt vmcnt(0)
	ds_write_b128 v10, v[6:9]
.LBB247_11:
	s_or_b64 exec, exec, s[16:17]
	s_waitcnt lgkmcnt(0)
	s_mul_i32 s4, s4, s10
	s_mov_b32 s5, 0
	s_lshl_b64 s[4:5], s[4:5], 1
	s_add_u32 s10, s12, s4
	v_lshlrev_b32_e32 v1, 4, v0
	s_addc_u32 s11, s13, s5
	v_and_b32_e32 v38, 0xf0, v1
	v_mov_b32_e32 v39, 0
	v_lshl_add_u64 v[30:31], s[10:11], 0, v[38:39]
	s_waitcnt vmcnt(6)
	v_mad_i64_i32 v[6:7], s[10:11], v5, s9, 0
	v_lshl_add_u64 v[6:7], v[6:7], 1, v[30:31]
	v_and_b32_e32 v38, 0x300, v1
	v_lshl_add_u64 v[32:33], v[6:7], 0, v[38:39]
	s_load_dword s33, s[0:1], 0x98
	s_load_dword s8, s[0:1], 0x1c
	s_waitcnt lgkmcnt(0)
	s_barrier
	global_load_dwordx4 v[10:13], v[32:33], off
	global_load_dwordx4 v[22:25], v[32:33], off offset:1024
	s_waitcnt vmcnt(7)
	v_mad_i64_i32 v[4:5], s[10:11], v4, s9, 0
	v_lshl_add_u64 v[4:5], v[4:5], 1, v[30:31]
	v_lshl_add_u64 v[40:41], v[4:5], 0, v[38:39]
	s_waitcnt vmcnt(6)
	v_mad_i64_i32 v[4:5], s[10:11], v2, s9, 0
	v_lshl_add_u64 v[4:5], v[4:5], 1, v[30:31]
	v_lshl_add_u64 v[42:43], v[4:5], 0, v[38:39]
	global_load_dwordx4 v[14:17], v[40:41], off
	global_load_dwordx4 v[18:21], v[40:41], off offset:1024
	global_load_dwordx4 v[26:29], v[42:43], off
	global_load_dwordx4 v[64:67], v[40:41], off offset:2048
	global_load_dwordx4 v[48:51], v[42:43], off offset:1024
	v_lshlrev_b32_e32 v2, 5, v3
	v_lshl_or_b32 v35, v86, 9, v2
	ds_read_b128 v[6:9], v35
	ds_read_b128 v[2:5], v35 offset:2048
	global_load_dwordx4 v[56:59], v[32:33], off offset:2048
	v_mov_b32_e32 v72, s19
	v_lshl_or_b32 v89, v87, 4, v94
	s_add_u32 s4, s14, s4
	s_addc_u32 s5, s15, s5
	s_mov_b32 s42, 0xff7fffff
	s_waitcnt vmcnt(7) lgkmcnt(1)
	v_mfma_f32_16x16x16_f16 v[44:47], v[10:11], v[6:7], 0
	v_mfma_f32_16x16x16_f16 v[10:13], v[12:13], v[8:9], v[44:47]
	s_nop 5
	global_load_dwordx4 v[44:47], v[42:43], off offset:2048
	s_waitcnt vmcnt(6)
	v_mfma_f32_16x16x16_f16 v[52:55], v[14:15], v[6:7], 0
	s_waitcnt vmcnt(4)
	v_mfma_f32_16x16x16_f16 v[60:63], v[26:27], v[6:7], 0
	v_mfma_f32_16x16x16_f16 v[14:17], v[16:17], v[8:9], v[52:55]
	s_nop 3
	global_load_dwordx4 v[52:55], v[32:33], off offset:3072
	v_mfma_f32_16x16x16_f16 v[26:29], v[28:29], v[8:9], v[60:63]
	v_mad_i64_i32 v[32:33], s[10:11], v34, s9, 0
	ds_read_b128 v[68:71], v35 offset:4096
	ds_read_b128 v[34:37], v35 offset:6144
	s_waitcnt lgkmcnt(2)
	v_mfma_f32_16x16x16_f16 v[10:13], v[22:23], v[2:3], v[10:13]
	v_and_or_b32 v60, v0, 48, s18
	v_ashrrev_i32_e32 v22, 4, v60
	v_cmp_gt_i32_e32 vcc, s40, v60
	v_mfma_f32_16x16x16_f16 v[14:17], v[18:19], v[2:3], v[14:17]
	v_or_b32_e32 v73, 64, v60
	v_cndmask_b32_e32 v18, v72, v22, vcc
	v_or_b32_e32 v74, 0x80, v60
	s_waitcnt vmcnt(3)
	v_mfma_f32_16x16x16_f16 v[26:29], v[48:49], v[2:3], v[26:29]
	v_or_b32_e32 v75, 0xc0, v60
	global_load_dwordx4 v[60:63], v[40:41], off offset:3072
	v_ashrrev_i32_e32 v19, 31, v18
	v_mfma_f32_16x16x16_f16 v[10:13], v[24:25], v[4:5], v[10:13]
	global_load_dwordx4 v[22:25], v[42:43], off offset:3072
	v_ashrrev_i32_e32 v40, 4, v73
	v_cmp_gt_i32_e32 vcc, s40, v73
	v_ashrrev_i32_e32 v48, 4, v74
	v_lshl_add_u64 v[18:19], v[18:19], 2, s[6:7]
	v_cndmask_b32_e32 v40, v72, v40, vcc
	v_cmp_gt_i32_e32 vcc, s40, v74
	v_mfma_f32_16x16x16_f16 v[14:17], v[20:21], v[4:5], v[14:17]
	global_load_dword v42, v[18:19], off
	v_ashrrev_i32_e32 v41, 31, v40
	v_mfma_f32_16x16x16_f16 v[18:21], v[50:51], v[4:5], v[26:29]
	s_nop 2
	v_cndmask_b32_e32 v28, v72, v48, vcc
	v_ashrrev_i32_e32 v29, 31, v28
	v_lshl_add_u64 v[26:27], v[40:41], 2, s[6:7]
	v_lshl_add_u64 v[28:29], v[28:29], 2, s[6:7]
	global_load_dword v43, v[26:27], off
	global_load_dword v50, v[28:29], off
	v_lshl_add_u64 v[26:27], v[32:33], 1, v[30:31]
	v_lshl_add_u64 v[26:27], v[26:27], 0, v[38:39]
	global_load_dwordx4 v[76:79], v[26:27], off
	global_load_dwordx4 v[80:83], v[26:27], off offset:1024
	v_ashrrev_i32_e32 v40, 4, v75
	v_cmp_gt_i32_e32 vcc, s40, v75
	s_waitcnt lgkmcnt(1)
	v_mfma_f32_16x16x16_f16 v[14:17], v[64:65], v[68:69], v[14:17]
	v_lshlrev_b32_e32 v38, 5, v89
	v_cndmask_b32_e32 v28, v72, v40, vcc
	v_ashrrev_i32_e32 v29, 31, v28
	v_lshl_add_u64 v[28:29], v[28:29], 2, s[6:7]
	s_waitcnt vmcnt(9)
	v_mfma_f32_16x16x16_f16 v[10:13], v[56:57], v[68:69], v[10:13]
	global_load_dword v56, v[28:29], off
	v_lshl_add_u64 v[40:41], s[4:5], 0, v[38:39]
	v_or_b32_e32 v38, 0x800, v38
	v_mfma_f32_16x16x16_f16 v[14:17], v[66:67], v[70:71], v[14:17]
	global_load_dwordx4 v[64:67], v[26:27], off offset:3072
	s_waitcnt vmcnt(10)
	v_mfma_f32_16x16x16_f16 v[18:21], v[44:45], v[68:69], v[18:21]
	v_mfma_f32_16x16x16_f16 v[18:21], v[46:47], v[70:71], v[18:21]
	global_load_dwordx4 v[44:47], v[26:27], off offset:2048
	v_mfma_f32_16x16x16_f16 v[10:13], v[58:59], v[70:71], v[10:13]
	s_waitcnt vmcnt(10) lgkmcnt(0)
	v_mfma_f32_16x16x16_f16 v[10:13], v[52:53], v[34:35], v[10:13]
	s_waitcnt vmcnt(8)
	v_mfma_f32_16x16x16_f16 v[18:21], v[22:23], v[34:35], v[18:21]
	s_waitcnt vmcnt(7)
	v_mad_i64_i32 v[22:23], s[6:7], v42, s9, 0
	v_mfma_f32_16x16x16_f16 v[52:55], v[54:55], v[36:37], v[10:13]
	v_lshlrev_b64 v[48:49], 1, v[22:23]
	s_nop 1
	v_lshl_add_u64 v[12:13], v[40:41], 0, v[48:49]
	global_load_dwordx4 v[30:33], v[12:13], off
	global_load_dwordx4 v[26:29], v[12:13], off offset:16
	v_mfma_f32_16x16x16_f16 v[72:75], v[24:25], v[36:37], v[18:21]
	s_waitcnt vmcnt(8)
	v_mad_i64_i32 v[10:11], s[6:7], v43, s9, 0
	v_lshlrev_b64 v[42:43], 1, v[10:11]
	v_lshl_add_u64 v[10:11], v[40:41], 0, v[42:43]
	global_load_dwordx4 v[22:25], v[10:11], off
	global_load_dwordx4 v[18:21], v[10:11], off offset:16
	s_waitcnt vmcnt(8)
	v_mfma_f32_16x16x16_f16 v[10:13], v[76:77], v[6:7], 0
	v_mad_i64_i32 v[6:7], s[6:7], v50, s9, 0
	v_lshlrev_b64 v[50:51], 1, v[6:7]
	v_mfma_f32_16x16x16_f16 v[6:9], v[78:79], v[8:9], v[10:13]
	v_mfma_f32_16x16x16_f16 v[14:17], v[60:61], v[34:35], v[14:17]
	s_nop 2
	v_lshl_add_u64 v[10:11], v[40:41], 0, v[50:51]
	s_waitcnt vmcnt(7)
	v_mfma_f32_16x16x16_f16 v[6:9], v[80:81], v[2:3], v[6:9]
	s_waitcnt vmcnt(6)
	v_mad_i64_i32 v[2:3], s[6:7], v56, s9, 0
	v_lshlrev_b64 v[58:59], 1, v[2:3]
	v_mfma_f32_16x16x16_f16 v[90:93], v[62:63], v[36:37], v[14:17]
	v_lshl_add_u64 v[2:3], v[40:41], 0, v[58:59]
	v_pk_mul_f32 v[80:81], s[8:9], v[54:55] op_sel_hi:[0,1]
	s_nop 0
	global_load_dwordx4 v[14:17], v[10:11], off
	s_nop 0
	global_load_dwordx4 v[10:13], v[10:11], off offset:16
	v_mfma_f32_16x16x16_f16 v[60:63], v[82:83], v[4:5], v[6:9]
	v_pk_mul_f32 v[82:83], s[8:9], v[92:93] op_sel_hi:[0,1]
	s_nop 1
	global_load_dwordx4 v[6:9], v[2:3], off
	s_nop 0
	global_load_dwordx4 v[2:5], v[2:3], off offset:16
	s_waitcnt vmcnt(8)
	v_mfma_f32_16x16x16_f16 v[76:79], v[44:45], v[68:69], v[60:63]
	s_nop 2
	v_lshl_add_u64 v[62:63], s[4:5], 0, v[38:39]
	v_pk_mul_f32 v[60:61], s[8:9], v[52:53] op_sel_hi:[0,1]
	v_lshl_add_u64 v[44:45], v[62:63], 0, v[48:49]
	v_mfma_f32_16x16x16_f16 v[38:41], v[46:47], v[70:71], v[76:79]
	v_pk_mul_f32 v[70:71], s[8:9], v[90:91] op_sel_hi:[0,1]
	v_lshl_add_u64 v[50:51], v[62:63], 0, v[50:51]
	v_lshl_add_u64 v[58:59], v[62:63], 0, v[58:59]
	v_mfma_f32_16x16x16_f16 v[38:41], v[64:65], v[34:35], v[38:41]
	v_pk_mul_f32 v[78:79], s[8:9], v[72:73] op_sel_hi:[0,1]
	v_pk_mul_f32 v[76:77], s[8:9], v[74:75] op_sel_hi:[0,1]
	v_mfma_f32_16x16x16_f16 v[34:37], v[66:67], v[36:37], v[38:41]
	s_nop 6
	v_pk_mul_f32 v[72:73], s[8:9], v[34:35] op_sel_hi:[0,1]
	v_and_b32_e32 v34, 0xc0, v0
	v_add_u32_e32 v34, s18, v34
	v_lshl_or_b32 v34, v86, 2, v34
	v_pk_mul_f32 v[66:67], s[8:9], v[36:37] op_sel_hi:[0,1]
	v_or_b32_e32 v37, 1, v34
	v_mov_b32_e32 v35, 0xff7fffff
	v_cmp_gt_i32_e64 s[4:5], s40, v34
	v_cmp_gt_i32_e64 s[34:35], s40, v37
	v_or_b32_e32 v38, 3, v34
	v_cndmask_b32_e64 v36, v35, v60, s[4:5]
	v_cndmask_b32_e64 v37, v35, v61, s[34:35]
	v_max3_f32 v36, v36, s42, v37
	v_or_b32_e32 v37, 2, v34
	v_cmp_gt_i32_e64 s[36:37], s40, v37
	v_cmp_gt_i32_e64 s[38:39], s40, v38
	s_nop 0
	v_cndmask_b32_e64 v37, v35, v80, s[36:37]
	v_cndmask_b32_e64 v38, v35, v81, s[38:39]
	v_max3_f32 v36, v36, v37, v38
	v_or_b32_e32 v37, 16, v34
	v_or_b32_e32 v38, 17, v34
	v_cmp_gt_i32_e64 s[24:25], s40, v37
	v_cmp_gt_i32_e64 s[26:27], s40, v38
	s_nop 0
	v_cndmask_b32_e64 v37, v35, v70, s[24:25]
	v_cndmask_b32_e64 v38, v35, v71, s[26:27]
	v_max3_f32 v36, v36, v37, v38
	v_or_b32_e32 v37, 18, v34
	;; [unrolled: 8-line block ×6, first 2 shown]
	v_or_b32_e32 v34, 51, v34
	v_cmp_gt_i32_e32 vcc, s40, v37
	v_cmp_gt_i32_e64 s[6:7], s40, v34
	global_load_dwordx4 v[46:49], v[44:45], off
	global_load_dwordx4 v[38:41], v[44:45], off offset:16
	v_cndmask_b32_e32 v37, v35, v66, vcc
	v_cndmask_b32_e64 v34, v35, v67, s[6:7]
	v_max3_f32 v52, v36, v37, v34
	v_mbcnt_lo_u32_b32 v34, -1, 0
	v_mbcnt_hi_u32_b32 v53, -1, v34
	v_and_b32_e32 v34, 64, v53
	v_add_u32_e32 v54, 64, v34
	v_xor_b32_e32 v34, 32, v53
	v_cmp_lt_i32_e64 s[40:41], v34, v54
	s_nop 1
	v_cndmask_b32_e64 v34, v53, v34, s[40:41]
	v_lshlrev_b32_e32 v74, 2, v34
	ds_bpermute_b32 v55, v74, v52
	v_lshl_add_u64 v[34:35], v[62:63], 0, v[42:43]
	global_load_dwordx4 v[42:45], v[34:35], off
	s_nop 0
	global_load_dwordx4 v[34:37], v[34:35], off offset:16
	s_waitcnt lgkmcnt(0)
	v_max_f32_e32 v55, v55, v55
	v_max_f32_e32 v64, v52, v55
	v_xor_b32_e32 v52, 16, v53
	v_cmp_lt_i32_e64 s[40:41], v52, v54
	s_nop 1
	v_cndmask_b32_e64 v52, v53, v52, s[40:41]
	v_lshlrev_b32_e32 v75, 2, v52
	ds_bpermute_b32 v65, v75, v64
	global_load_dwordx4 v[54:57], v[50:51], off
	s_nop 0
	global_load_dwordx4 v[50:53], v[50:51], off offset:16
	s_waitcnt lgkmcnt(0)
	v_max_f32_e32 v62, v65, v65
	v_max_f32_e32 v90, v64, v62
	v_sub_f32_e32 v60, v60, v90
	v_mul_f32_e32 v60, 0x3fb8aa3b, v60
	v_exp_f32_e32 v68, v60
	v_sub_f32_e32 v60, v61, v90
	v_mul_f32_e32 v60, 0x3fb8aa3b, v60
	v_exp_f32_e32 v69, v60
	global_load_dwordx4 v[62:65], v[58:59], off
	s_nop 0
	global_load_dwordx4 v[58:61], v[58:59], off offset:16
	v_sub_f32_e32 v80, v80, v90
	v_mul_f32_e32 v80, 0x3fb8aa3b, v80
	v_sub_f32_e32 v81, v81, v90
	v_exp_f32_e32 v80, v80
	v_mul_f32_e32 v81, 0x3fb8aa3b, v81
	v_sub_f32_e32 v70, v70, v90
	v_exp_f32_e32 v81, v81
	v_mul_f32_e32 v70, 0x3fb8aa3b, v70
	v_sub_f32_e32 v71, v71, v90
	v_cndmask_b32_e64 v68, 0, v68, s[4:5]
	v_exp_f32_e32 v70, v70
	v_mul_f32_e32 v71, 0x3fb8aa3b, v71
	v_sub_f32_e32 v82, v82, v90
	v_add_f32_e32 v91, 0, v68
	v_cndmask_b32_e64 v69, 0, v69, s[34:35]
	v_exp_f32_e32 v71, v71
	v_mul_f32_e32 v82, 0x3fb8aa3b, v82
	v_sub_f32_e32 v83, v83, v90
	v_add_f32_e32 v91, v91, v69
	;; [unrolled: 5-line block ×10, first 2 shown]
	v_cndmask_b32_e64 v76, 0, v76, s[12:13]
	v_exp_f32_e32 v66, v66
	v_mul_f32_e32 v67, 0x3fb8aa3b, v67
	v_add_f32_e32 v91, v91, v76
	v_cndmask_b32_e64 v77, 0, v77, s[14:15]
	v_exp_f32_e32 v67, v67
	v_add_f32_e32 v91, v91, v77
	v_cndmask_b32_e64 v72, 0, v72, s[8:9]
	v_add_f32_e32 v91, v91, v72
	v_cndmask_b32_e64 v73, 0, v73, s[10:11]
	v_add_f32_e32 v91, v91, v73
	v_cndmask_b32_e32 v66, 0, v66, vcc
	v_add_f32_e32 v91, v91, v66
	v_cndmask_b32_e64 v67, 0, v67, s[6:7]
	v_add_f32_e32 v91, v91, v67
	ds_bpermute_b32 v74, v74, v91
	v_cmp_gt_u32_e32 vcc, 16, v88
	s_waitcnt lgkmcnt(0)
	s_barrier
	v_add_f32_e32 v91, v91, v74
	ds_bpermute_b32 v92, v75, v91
	s_and_saveexec_b64 s[4:5], vcc
	s_cbranch_execz .LBB247_13
; %bb.12:
	s_waitcnt lgkmcnt(0)
	v_add_f32_e32 v74, v91, v92
	v_lshlrev_b32_e32 v75, 2, v89
	ds_write2st64_b32 v75, v90, v74 offset1:1
.LBB247_13:
	s_or_b64 exec, exec, s[4:5]
	v_lshlrev_b32_e32 v89, 2, v94
	s_load_dword s6, s[0:1], 0x94
	s_waitcnt lgkmcnt(0)
	s_barrier
	ds_read2_b32 v[74:75], v89 offset1:16
	ds_read2_b32 v[90:91], v89 offset0:32 offset1:48
	ds_read2_b32 v[92:93], v89 offset0:64 offset1:80
	s_lshl_b32 s7, s33, 2
	s_waitcnt lgkmcnt(2)
	v_max3_f32 v88, v74, s42, v75
	s_waitcnt lgkmcnt(1)
	v_max3_f32 v88, v88, v90, v91
	v_sub_f32_e32 v74, v74, v88
	v_mul_f32_e32 v74, 0x3fb8aa3b, v74
	v_exp_f32_e32 v1, v74
	v_sub_f32_e32 v74, v75, v88
	v_mul_f32_e32 v74, 0x3fb8aa3b, v74
	v_exp_f32_e32 v85, v74
	;; [unrolled: 3-line block ×3, first 2 shown]
	ds_read2_b32 v[74:75], v89 offset0:96 offset1:112
	v_sub_f32_e32 v89, v91, v88
	v_mul_f32_e32 v89, 0x3fb8aa3b, v89
	v_exp_f32_e32 v91, v89
	s_waitcnt lgkmcnt(1)
	v_fma_f32 v89, v1, v92, 0
	v_fmac_f32_e32 v89, v85, v93
	s_waitcnt lgkmcnt(0)
	v_fmac_f32_e32 v89, v90, v74
	v_fmac_f32_e32 v89, v91, v75
	v_add_f32_e32 v74, 0x358637bd, v89
	v_div_scale_f32 v75, s[4:5], v74, v74, 1.0
	v_rcp_f32_e32 v92, v75
	s_barrier
	v_fma_f32 v93, -v75, v92, 1.0
	v_fmac_f32_e32 v92, v93, v92
	v_div_scale_f32 v93, vcc, 1.0, v74, 1.0
	v_mul_f32_e32 v95, v93, v92
	v_fma_f32 v84, -v75, v95, v93
	v_fmac_f32_e32 v95, v84, v92
	v_fma_f32 v75, -v75, v95, v93
	v_div_fmas_f32 v75, v75, v92, v95
	v_cmp_eq_u32_e32 vcc, 1, v87
	v_div_fixup_f32 v74, v75, v74, 1.0
	s_nop 0
	v_cndmask_b32_e32 v1, v1, v85, vcc
	v_cmp_eq_u32_e32 vcc, 2, v87
	s_nop 1
	v_cndmask_b32_e32 v1, v1, v90, vcc
	v_cmp_eq_u32_e32 vcc, 3, v87
	s_nop 1
	v_cndmask_b32_e32 v1, v1, v91, vcc
	v_mul_f32_e32 v74, v1, v74
	v_pk_mul_f32 v[80:81], v[74:75], v[80:81] op_sel_hi:[0,1]
	v_pk_mul_f32 v[68:69], v[74:75], v[68:69] op_sel_hi:[0,1]
	v_cvt_f16_f32_e32 v75, v81
	v_cvt_f16_f32_e32 v1, v68
	;; [unrolled: 1-line block ×4, first 2 shown]
	v_pk_mul_f32 v[80:81], v[74:75], v[82:83] op_sel_hi:[0,1]
	v_pk_mul_f32 v[70:71], v[74:75], v[70:71] op_sel_hi:[0,1]
	v_pack_b32_f16 v90, v1, v68
	v_pack_b32_f16 v91, v69, v75
	v_cvt_f16_f32_e32 v69, v70
	v_cvt_f16_f32_e32 v70, v71
	;; [unrolled: 1-line block ×4, first 2 shown]
	v_lshlrev_b32_e32 v1, 3, v86
	v_lshlrev_b32_e32 v68, 5, v94
	;; [unrolled: 1-line block ×3, first 2 shown]
	v_or3_b32 v80, v80, v68, v1
	v_pack_b32_f16 v70, v69, v70
	v_pack_b32_f16 v71, v71, v75
	ds_write2st64_b64 v80, v[90:91], v[70:71] offset1:1
	v_pk_mul_f32 v[70:71], v[74:75], v[76:77] op_sel_hi:[0,1]
	v_pk_mul_f32 v[76:77], v[74:75], v[78:79] op_sel_hi:[0,1]
	v_cvt_f16_f32_e32 v75, v70
	v_cvt_f16_f32_e32 v1, v76
	v_cvt_f16_f32_e32 v76, v71
	v_cvt_f16_f32_e32 v69, v77
	v_pk_mul_f32 v[66:67], v[74:75], v[66:67] op_sel_hi:[0,1]
	v_pk_mul_f32 v[70:71], v[74:75], v[72:73] op_sel_hi:[0,1]
	v_cvt_f16_f32_e32 v70, v70
	v_cvt_f16_f32_e32 v71, v71
	;; [unrolled: 1-line block ×4, first 2 shown]
	v_pack_b32_f16 v66, v1, v69
	v_pack_b32_f16 v67, v75, v76
	;; [unrolled: 1-line block ×4, first 2 shown]
	v_cmp_gt_u32_e32 vcc, 4, v0
	ds_write2st64_b64 v80, v[66:67], v[70:71] offset0:2 offset1:3
	s_and_saveexec_b64 s[4:5], vcc
	s_cbranch_execz .LBB247_15
; %bb.14:
	v_or_b32_e32 v66, s29, v0
	v_mov_b32_e32 v67, 0
	v_mov_b32_e32 v1, s7
	v_mad_u64_u32 v[70:71], s[12:13], s2, v1, v[66:67]
	v_mov_b32_e32 v66, s28
	s_load_dwordx4 s[8:11], s[0:1], 0x58
	s_mul_i32 s3, s3, s7
	v_mad_u64_u32 v[66:67], s[12:13], v70, s6, v[66:67]
	v_add_u32_e32 v1, s3, v71
	v_mov_b32_e32 v70, v67
	v_mad_u64_u32 v[70:71], s[12:13], v1, s6, v[70:71]
	v_mov_b32_e32 v67, v70
	v_lshlrev_b64 v[66:67], 2, v[66:67]
	s_waitcnt lgkmcnt(0)
	v_lshl_add_u64 v[70:71], s[10:11], 0, v[66:67]
	v_lshl_add_u64 v[66:67], s[8:9], 0, v[66:67]
	global_store_dword v[70:71], v88, off
	global_store_dword v[66:67], v89, off
.LBB247_15:
	s_or_b64 exec, exec, s[4:5]
	v_lshl_or_b32 v1, v86, 9, v68
	s_waitcnt lgkmcnt(0)
	s_barrier
	ds_read_b128 v[70:73], v1
	ds_read_b128 v[66:69], v1 offset:16
	s_waitcnt vmcnt(15) lgkmcnt(1)
	v_mfma_f32_16x16x16_f16 v[74:77], v[30:31], v[70:71], 0
	s_mov_b32 s3, 0
	v_mfma_f32_16x16x16_f16 v[30:33], v[32:33], v[72:73], v[74:77]
	s_waitcnt vmcnt(14) lgkmcnt(0)
	v_mfma_f32_16x16x16_f16 v[30:33], v[26:27], v[66:67], v[30:33]
	v_mfma_f32_16x16x16_f16 v[26:29], v[28:29], v[68:69], v[30:33]
	s_nop 5
	ds_read_b128 v[30:33], v1 offset:2048
	ds_read_b128 v[74:77], v1 offset:2064
	s_waitcnt vmcnt(13) lgkmcnt(1)
	v_mfma_f32_16x16x16_f16 v[26:29], v[22:23], v[30:31], v[26:29]
	v_mfma_f32_16x16x16_f16 v[22:25], v[24:25], v[32:33], v[26:29]
	s_waitcnt vmcnt(12) lgkmcnt(0)
	v_mfma_f32_16x16x16_f16 v[22:25], v[18:19], v[74:75], v[22:25]
	v_mfma_f32_16x16x16_f16 v[18:21], v[20:21], v[76:77], v[22:25]
	s_nop 5
	ds_read_b128 v[22:25], v1 offset:4096
	ds_read_b128 v[26:29], v1 offset:4112
	s_waitcnt vmcnt(11) lgkmcnt(1)
	v_mfma_f32_16x16x16_f16 v[18:21], v[14:15], v[22:23], v[18:21]
	v_mfma_f32_16x16x16_f16 v[14:17], v[16:17], v[24:25], v[18:21]
	s_waitcnt vmcnt(10) lgkmcnt(0)
	v_mfma_f32_16x16x16_f16 v[14:17], v[10:11], v[26:27], v[14:17]
	v_mfma_f32_16x16x16_f16 v[10:13], v[12:13], v[28:29], v[14:17]
	s_nop 5
	ds_read_b128 v[14:17], v1 offset:6144
	ds_read_b128 v[18:21], v1 offset:6160
	s_waitcnt lgkmcnt(0)
	s_barrier
	s_waitcnt vmcnt(9)
	v_mfma_f32_16x16x16_f16 v[10:13], v[6:7], v[14:15], v[10:13]
	v_mfma_f32_16x16x16_f16 v[6:9], v[8:9], v[16:17], v[10:13]
	s_waitcnt vmcnt(8)
	v_mfma_f32_16x16x16_f16 v[6:9], v[2:3], v[18:19], v[6:9]
	v_mfma_f32_16x16x16_f16 v[2:5], v[4:5], v[20:21], v[6:9]
	;; [unrolled: 3-line block ×3, first 2 shown]
	s_nop 3
	v_cvt_f16_f32_e32 v1, v2
	v_cvt_f16_f32_e32 v10, v3
	;; [unrolled: 1-line block ×3, first 2 shown]
	s_waitcnt vmcnt(6)
	v_mfma_f32_16x16x16_f16 v[6:9], v[38:39], v[66:67], v[6:9]
	v_cvt_f16_f32_e32 v12, v5
	v_mfma_f32_16x16x16_f16 v[6:9], v[40:41], v[68:69], v[6:9]
	s_waitcnt vmcnt(5)
	v_mfma_f32_16x16x16_f16 v[6:9], v[42:43], v[30:31], v[6:9]
	v_mfma_f32_16x16x16_f16 v[6:9], v[44:45], v[32:33], v[6:9]
	s_waitcnt vmcnt(4)
	v_mfma_f32_16x16x16_f16 v[6:9], v[34:35], v[74:75], v[6:9]
	;; [unrolled: 3-line block ×6, first 2 shown]
	v_mfma_f32_16x16x16_f16 v[2:5], v[60:61], v[20:21], v[6:9]
	s_nop 6
	v_cvt_f16_f32_e32 v6, v2
	v_cvt_f16_f32_e32 v7, v3
	;; [unrolled: 1-line block ×4, first 2 shown]
	v_pack_b32_f16 v2, v1, v10
	v_pack_b32_f16 v3, v11, v12
	;; [unrolled: 1-line block ×4, first 2 shown]
	ds_write2st64_b64 v80, v[2:3], v[4:5] offset1:1
	s_waitcnt lgkmcnt(0)
	s_barrier
	s_and_saveexec_b64 s[4:5], s[30:31]
	s_cbranch_execz .LBB247_17
; %bb.16:
	v_lshlrev_b32_e32 v2, 6, v94
	v_lshlrev_b32_e32 v1, 4, v0
	v_lshl_or_b32 v0, v0, 10, v2
	scratch_load_dword v2, off, off offset:12 ; 4-byte Folded Reload
	v_and_b32_e32 v1, 16, v1
	v_and_b32_e32 v0, 0x1a00, v0
	s_load_dwordx2 s[0:1], s[0:1], 0x68
	s_lshl_b32 s6, s6, 7
	s_mul_i32 s2, s7, s2
	s_mul_hi_u32 s5, s2, s6
	s_mul_i32 s4, s2, s6
	s_lshl_b64 s[4:5], s[4:5], 1
	s_waitcnt lgkmcnt(0)
	s_add_u32 s4, s0, s4
	s_addc_u32 s5, s1, s5
	s_lshl_b32 s2, s28, 7
	s_lshl_b64 s[0:1], s[2:3], 1
	s_add_u32 s0, s4, s0
	s_addc_u32 s1, s5, s1
	scratch_load_dwordx2 v[6:7], off, off   ; 8-byte Folded Reload
	s_waitcnt vmcnt(0)
	v_mov_b32_e32 v7, 0
	v_or3_b32 v0, v0, v2, v1
	ds_read_b128 v[2:5], v0
	scratch_load_dword v0, off, off offset:8 ; 4-byte Folded Reload
	s_waitcnt vmcnt(0)
	v_mad_u64_u32 v[0:1], s[2:3], s6, v0, 0
	v_lshl_add_u64 v[0:1], v[0:1], 1, s[0:1]
	v_lshl_add_u64 v[0:1], v[0:1], 0, v[6:7]
	s_waitcnt lgkmcnt(0)
	global_store_dwordx4 v[0:1], v[2:5], off
.LBB247_17:
	s_endpgm
	.section	.rodata,"a",@progbits
	.p2align	6, 0x0
	.amdhsa_kernel _Z39paged_attention_ll4mi_QKV_mfma16_kernelIDF16_DF16_LN4vllm18Fp8KVCacheDataTypeE0EhLi16ELi128ELi256ELb0ELi4EEvPKT_PKT0_S7_ifPKiS9_S9_iPKfiiiPfSC_PS2_PT2_iSB_SB_
		.amdhsa_group_segment_fixed_size 8192
		.amdhsa_private_segment_fixed_size 20
		.amdhsa_kernarg_size 400
		.amdhsa_user_sgpr_count 2
		.amdhsa_user_sgpr_dispatch_ptr 0
		.amdhsa_user_sgpr_queue_ptr 0
		.amdhsa_user_sgpr_kernarg_segment_ptr 1
		.amdhsa_user_sgpr_dispatch_id 0
		.amdhsa_user_sgpr_kernarg_preload_length 0
		.amdhsa_user_sgpr_kernarg_preload_offset 0
		.amdhsa_user_sgpr_private_segment_size 0
		.amdhsa_uses_dynamic_stack 0
		.amdhsa_enable_private_segment 1
		.amdhsa_system_sgpr_workgroup_id_x 1
		.amdhsa_system_sgpr_workgroup_id_y 1
		.amdhsa_system_sgpr_workgroup_id_z 1
		.amdhsa_system_sgpr_workgroup_info 0
		.amdhsa_system_vgpr_workitem_id 0
		.amdhsa_next_free_vgpr 96
		.amdhsa_next_free_sgpr 43
		.amdhsa_accum_offset 96
		.amdhsa_reserve_vcc 1
		.amdhsa_float_round_mode_32 0
		.amdhsa_float_round_mode_16_64 0
		.amdhsa_float_denorm_mode_32 3
		.amdhsa_float_denorm_mode_16_64 3
		.amdhsa_dx10_clamp 1
		.amdhsa_ieee_mode 1
		.amdhsa_fp16_overflow 0
		.amdhsa_tg_split 0
		.amdhsa_exception_fp_ieee_invalid_op 0
		.amdhsa_exception_fp_denorm_src 0
		.amdhsa_exception_fp_ieee_div_zero 0
		.amdhsa_exception_fp_ieee_overflow 0
		.amdhsa_exception_fp_ieee_underflow 0
		.amdhsa_exception_fp_ieee_inexact 0
		.amdhsa_exception_int_div_zero 0
	.end_amdhsa_kernel
	.section	.text._Z39paged_attention_ll4mi_QKV_mfma16_kernelIDF16_DF16_LN4vllm18Fp8KVCacheDataTypeE0EhLi16ELi128ELi256ELb0ELi4EEvPKT_PKT0_S7_ifPKiS9_S9_iPKfiiiPfSC_PS2_PT2_iSB_SB_,"axG",@progbits,_Z39paged_attention_ll4mi_QKV_mfma16_kernelIDF16_DF16_LN4vllm18Fp8KVCacheDataTypeE0EhLi16ELi128ELi256ELb0ELi4EEvPKT_PKT0_S7_ifPKiS9_S9_iPKfiiiPfSC_PS2_PT2_iSB_SB_,comdat
.Lfunc_end247:
	.size	_Z39paged_attention_ll4mi_QKV_mfma16_kernelIDF16_DF16_LN4vllm18Fp8KVCacheDataTypeE0EhLi16ELi128ELi256ELb0ELi4EEvPKT_PKT0_S7_ifPKiS9_S9_iPKfiiiPfSC_PS2_PT2_iSB_SB_, .Lfunc_end247-_Z39paged_attention_ll4mi_QKV_mfma16_kernelIDF16_DF16_LN4vllm18Fp8KVCacheDataTypeE0EhLi16ELi128ELi256ELb0ELi4EEvPKT_PKT0_S7_ifPKiS9_S9_iPKfiiiPfSC_PS2_PT2_iSB_SB_
                                        ; -- End function
	.section	.AMDGPU.csdata,"",@progbits
; Kernel info:
; codeLenInByte = 4404
; NumSgprs: 49
; NumVgprs: 96
; NumAgprs: 0
; TotalNumVgprs: 96
; ScratchSize: 20
; MemoryBound: 0
; FloatMode: 240
; IeeeMode: 1
; LDSByteSize: 8192 bytes/workgroup (compile time only)
; SGPRBlocks: 6
; VGPRBlocks: 11
; NumSGPRsForWavesPerEU: 49
; NumVGPRsForWavesPerEU: 96
; AccumOffset: 96
; Occupancy: 5
; WaveLimiterHint : 1
; COMPUTE_PGM_RSRC2:SCRATCH_EN: 1
; COMPUTE_PGM_RSRC2:USER_SGPR: 2
; COMPUTE_PGM_RSRC2:TRAP_HANDLER: 0
; COMPUTE_PGM_RSRC2:TGID_X_EN: 1
; COMPUTE_PGM_RSRC2:TGID_Y_EN: 1
; COMPUTE_PGM_RSRC2:TGID_Z_EN: 1
; COMPUTE_PGM_RSRC2:TIDIG_COMP_CNT: 0
; COMPUTE_PGM_RSRC3_GFX90A:ACCUM_OFFSET: 23
; COMPUTE_PGM_RSRC3_GFX90A:TG_SPLIT: 0
	.section	.text._Z38paged_attention_ll4mi_QKV_mfma4_kernelIDF16_DF16_LN4vllm18Fp8KVCacheDataTypeE0EDF16_Li16ELi128ELi256ELb1ELi1EEvPKT_PKT0_S7_ifPKiS9_S9_iPKfiiiPfSC_PS2_PT2_iSB_SB_,"axG",@progbits,_Z38paged_attention_ll4mi_QKV_mfma4_kernelIDF16_DF16_LN4vllm18Fp8KVCacheDataTypeE0EDF16_Li16ELi128ELi256ELb1ELi1EEvPKT_PKT0_S7_ifPKiS9_S9_iPKfiiiPfSC_PS2_PT2_iSB_SB_,comdat
	.protected	_Z38paged_attention_ll4mi_QKV_mfma4_kernelIDF16_DF16_LN4vllm18Fp8KVCacheDataTypeE0EDF16_Li16ELi128ELi256ELb1ELi1EEvPKT_PKT0_S7_ifPKiS9_S9_iPKfiiiPfSC_PS2_PT2_iSB_SB_ ; -- Begin function _Z38paged_attention_ll4mi_QKV_mfma4_kernelIDF16_DF16_LN4vllm18Fp8KVCacheDataTypeE0EDF16_Li16ELi128ELi256ELb1ELi1EEvPKT_PKT0_S7_ifPKiS9_S9_iPKfiiiPfSC_PS2_PT2_iSB_SB_
	.globl	_Z38paged_attention_ll4mi_QKV_mfma4_kernelIDF16_DF16_LN4vllm18Fp8KVCacheDataTypeE0EDF16_Li16ELi128ELi256ELb1ELi1EEvPKT_PKT0_S7_ifPKiS9_S9_iPKfiiiPfSC_PS2_PT2_iSB_SB_
	.p2align	8
	.type	_Z38paged_attention_ll4mi_QKV_mfma4_kernelIDF16_DF16_LN4vllm18Fp8KVCacheDataTypeE0EDF16_Li16ELi128ELi256ELb1ELi1EEvPKT_PKT0_S7_ifPKiS9_S9_iPKfiiiPfSC_PS2_PT2_iSB_SB_,@function
_Z38paged_attention_ll4mi_QKV_mfma4_kernelIDF16_DF16_LN4vllm18Fp8KVCacheDataTypeE0EDF16_Li16ELi128ELi256ELb1ELi1EEvPKT_PKT0_S7_ifPKiS9_S9_iPKfiiiPfSC_PS2_PT2_iSB_SB_: ; @_Z38paged_attention_ll4mi_QKV_mfma4_kernelIDF16_DF16_LN4vllm18Fp8KVCacheDataTypeE0EDF16_Li16ELi128ELi256ELb1ELi1EEvPKT_PKT0_S7_ifPKiS9_S9_iPKfiiiPfSC_PS2_PT2_iSB_SB_
; %bb.0:
	s_load_dwordx2 s[8:9], s[0:1], 0x30
	s_mov_b32 s16, s3
	s_mov_b64 s[6:7], 0
	s_waitcnt lgkmcnt(0)
	s_cmp_lg_u64 s[8:9], 0
	s_cselect_b64 s[10:11], -1, 0
	s_and_b64 vcc, exec, s[10:11]
	s_cbranch_vccz .LBB248_10
; %bb.1:
	s_add_i32 s12, s2, 1
	s_mov_b32 s13, 0
	s_lshl_b64 s[14:15], s[12:13], 2
	s_add_u32 s14, s8, s14
	s_mov_b32 s3, s13
	s_addc_u32 s15, s9, s15
	s_lshl_b64 s[12:13], s[2:3], 2
	s_add_u32 s12, s8, s12
	s_addc_u32 s13, s9, s13
	s_load_dword s5, s[14:15], 0x0
	s_load_dword s17, s[12:13], 0x0
	s_waitcnt lgkmcnt(0)
	s_sub_i32 s5, s5, s17
	s_cmp_eq_u32 s5, 1
	s_cselect_b64 s[12:13], -1, 0
	s_andn2_b64 vcc, exec, s[6:7]
	s_cbranch_vccnz .LBB248_3
.LBB248_2:
	s_mov_b32 s3, 0
	s_mov_b64 s[12:13], -1
.LBB248_3:
	s_andn2_b64 vcc, exec, s[12:13]
	s_cbranch_vccnz .LBB248_27
; %bb.4:
	s_load_dword s5, s[0:1], 0x9c
	s_load_dwordx2 s[6:7], s[0:1], 0x28
	s_add_u32 s20, s0, 0x90
	s_addc_u32 s21, s1, 0
	s_lshl_b64 s[24:25], s[2:3], 2
	s_waitcnt lgkmcnt(0)
	s_and_b32 s5, s5, 0xffff
	s_add_u32 s6, s6, s24
	s_addc_u32 s7, s7, s25
	s_load_dword s3, s[6:7], 0x0
	s_mul_i32 s5, s16, s5
	s_waitcnt lgkmcnt(0)
	s_cmp_ge_i32 s5, s3
	s_cbranch_scc1 .LBB248_27
; %bb.5:
	v_and_b32_e32 v1, 0xc0, v0
	v_add_u32_e32 v2, s5, v1
	v_lshrrev_b32_e32 v88, 6, v0
	v_cmp_le_i32_e64 s[6:7], s3, v2
                                        ; implicit-def: $sgpr26
                                        ; implicit-def: $sgpr17
	s_and_saveexec_b64 s[12:13], s[6:7]
	s_xor_b64 s[12:13], exec, s[12:13]
	s_cbranch_execz .LBB248_7
; %bb.6:
	v_mul_u32_u24_e32 v1, 20, v88
	v_or_b32_e32 v1, 0x1400, v1
	v_mov_b32_e32 v2, 0x1450
	v_mov_b32_e32 v3, 0xff7fffff
	v_mad_u32_u24 v2, v88, 20, v2
	ds_write2_b32 v1, v3, v3 offset1:1
	v_mov_b32_e32 v1, 0
	ds_write2_b32 v2, v1, v1 offset1:1
	v_mov_b32_e32 v2, 0x1408
	s_mov_b32 s17, 0xff7fffff
	s_mov_b32 s26, 0
	v_mad_u32_u24 v2, v88, 20, v2
	v_mov_b32_e32 v4, 0x1458
	v_mad_u32_u24 v4, v88, 20, v4
	ds_write2_b32 v2, v3, v3 offset1:1
	ds_write2_b32 v4, v1, v1 offset1:1
                                        ; implicit-def: $vgpr2
.LBB248_7:
	s_or_saveexec_b64 s[22:23], s[12:13]
	s_load_dwordx2 s[18:19], s[0:1], 0x68
	s_load_dwordx4 s[12:15], s[0:1], 0x58
	s_load_dword s33, s[20:21], 0x4
	v_and_b32_e32 v1, 63, v0
	v_and_b32_e32 v89, 3, v0
	v_mov_b32_e32 v69, s26
	v_mov_b32_e32 v70, s17
	;; [unrolled: 1-line block ×5, first 2 shown]
                                        ; implicit-def: $vgpr7
                                        ; implicit-def: $vgpr3
                                        ; implicit-def: $vgpr19
                                        ; implicit-def: $vgpr23
                                        ; implicit-def: $vgpr27
                                        ; implicit-def: $vgpr31
                                        ; implicit-def: $vgpr43
                                        ; implicit-def: $vgpr47
                                        ; implicit-def: $vgpr11
                                        ; implicit-def: $vgpr15
                                        ; implicit-def: $vgpr35
                                        ; implicit-def: $vgpr39
                                        ; implicit-def: $vgpr51
                                        ; implicit-def: $vgpr55
                                        ; implicit-def: $vgpr59
                                        ; implicit-def: $vgpr63
	s_xor_b64 exec, exec, s[22:23]
	s_cbranch_execz .LBB248_19
; %bb.8:
	s_add_i32 s28, s3, 15
	s_ashr_i32 s29, s28, 31
	s_lshr_b32 s29, s29, 28
	v_add_u32_e32 v90, s5, v0
	s_add_i32 s28, s28, s29
	v_ashrrev_i32_e32 v3, 31, v90
	s_load_dwordx2 s[26:27], s[0:1], 0x20
	s_load_dword s17, s[0:1], 0x38
	s_ashr_i32 s28, s28, 4
	v_lshrrev_b32_e32 v3, 28, v3
	s_add_i32 s30, s28, -1
	v_add_u32_e32 v3, v90, v3
	v_ashrrev_i32_e32 v3, 4, v3
	v_mov_b32_e32 v4, s30
	v_cmp_gt_i32_e32 vcc, s3, v90
	s_waitcnt lgkmcnt(0)
	s_mul_i32 s28, s2, s17
	s_mov_b32 s29, 0
	v_cndmask_b32_e32 v4, v4, v3, vcc
	v_ashrrev_i32_e32 v3, 31, v2
	v_lshrrev_b32_e32 v3, 28, v3
	v_add_u32_e32 v2, v2, v3
	s_lshl_b64 s[28:29], s[28:29], 2
	v_ashrrev_i32_e32 v12, 4, v2
	s_add_u32 s26, s26, s28
	v_min_i32_e32 v2, s30, v12
	s_addc_u32 s27, s27, s29
	v_ashrrev_i32_e32 v3, 31, v2
	v_lshl_add_u64 v[6:7], v[2:3], 2, s[26:27]
	v_add_u32_e32 v2, 1, v12
	v_min_i32_e32 v2, s30, v2
	v_ashrrev_i32_e32 v3, 31, v2
	v_lshl_add_u64 v[8:9], v[2:3], 2, s[26:27]
	v_add_u32_e32 v2, 2, v12
	v_min_i32_e32 v2, s30, v2
	v_ashrrev_i32_e32 v3, 31, v2
	v_lshl_add_u64 v[10:11], v[2:3], 2, s[26:27]
	v_add_u32_e32 v2, 3, v12
	v_ashrrev_i32_e32 v5, 31, v4
	v_min_i32_e32 v2, s30, v2
	v_lshl_add_u64 v[4:5], v[4:5], 2, s[26:27]
	v_ashrrev_i32_e32 v3, 31, v2
	v_lshl_add_u64 v[12:13], v[2:3], 2, s[26:27]
	global_load_dword v3, v[4:5], off
	global_load_dword v2, v[6:7], off
	;; [unrolled: 1-line block ×5, first 2 shown]
	s_load_dwordx2 s[28:29], s[0:1], 0x8
	s_andn2_b64 vcc, exec, s[10:11]
	s_cbranch_vccnz .LBB248_11
; %bb.9:
	s_add_u32 s8, s8, s24
	s_addc_u32 s9, s9, s25
	s_load_dword s5, s[8:9], 0x0
	s_branch .LBB248_12
.LBB248_10:
	s_mov_b64 s[12:13], 0
	s_branch .LBB248_2
.LBB248_11:
	s_mov_b32 s5, s2
.LBB248_12:
	s_load_dwordx2 s[24:25], s[0:1], 0x10
	s_load_dwordx4 s[8:11], s[0:1], 0x48
	v_cmp_eq_u32_e32 vcc, 0, v89
	s_mov_b32 s27, 0
	v_mov_b32_e32 v87, 0
	v_mov_b32_e32 v58, 0
	;; [unrolled: 1-line block ×5, first 2 shown]
	s_and_saveexec_b64 s[30:31], vcc
	s_cbranch_execz .LBB248_14
; %bb.13:
	s_load_dwordx2 s[34:35], s[0:1], 0x0
	s_waitcnt lgkmcnt(0)
	s_ashr_i32 s11, s8, 31
	s_mul_hi_u32 s17, s5, s8
	s_mul_i32 s11, s5, s11
	s_add_i32 s37, s17, s11
	s_mul_i32 s36, s5, s8
	s_lshl_b64 s[36:37], s[36:37], 1
	s_add_u32 s5, s34, s36
	s_addc_u32 s8, s35, s37
	s_lshl_b32 s26, s4, 7
	s_lshl_b64 s[34:35], s[26:27], 1
	s_add_u32 s34, s5, s34
	s_addc_u32 s35, s8, s35
	v_lshlrev_b32_e32 v4, 2, v1
	global_load_dwordx4 v[58:61], v4, s[34:35]
.LBB248_14:
	s_or_b64 exec, exec, s[30:31]
	s_waitcnt lgkmcnt(0)
	s_mul_i32 s26, s4, s10
	s_lshl_b64 s[10:11], s[26:27], 1
	s_add_u32 s28, s10, s28
	s_waitcnt vmcnt(4)
	v_mad_i64_i32 v[4:5], s[30:31], v3, s9, 0
	s_addc_u32 s29, s11, s29
	v_and_b32_e32 v3, 15, v0
	v_lshl_add_u64 v[4:5], v[4:5], 1, s[28:29]
	v_lshlrev_b32_e32 v86, 4, v3
	v_lshl_add_u64 v[4:5], v[4:5], 0, v[86:87]
	global_load_dwordx4 v[82:85], v[4:5], off
	global_load_dwordx4 v[38:41], v[4:5], off offset:256
	global_load_dwordx4 v[22:25], v[4:5], off offset:512
	;; [unrolled: 1-line block ×15, first 2 shown]
	v_mov_b32_e32 v86, 0
	s_and_saveexec_b64 s[28:29], vcc
	s_cbranch_execz .LBB248_16
; %bb.15:
	s_load_dwordx2 s[30:31], s[0:1], 0x40
	s_mov_b32 s5, s27
	s_lshl_b64 s[26:27], s[4:5], 2
	v_mov_b32_e32 v87, 1.0
	s_waitcnt lgkmcnt(0)
	s_add_u32 s26, s30, s26
	s_addc_u32 s27, s31, s27
	s_load_dword s5, s[26:27], 0x0
	s_waitcnt lgkmcnt(0)
	v_mov_b32_e32 v86, s5
.LBB248_16:
	s_or_b64 exec, exec, s[28:29]
	s_waitcnt vmcnt(15)
	v_mfma_f32_4x4x4_16b_f16 a[0:3], v[58:59], v[82:83], 0 cbsz:4
	v_mul_hi_i32 v3, v2, s9
	v_ashrrev_i32_e32 v3, 31, v3
	v_mfma_f32_4x4x4_16b_f16 a[0:3], v[60:61], v[84:85], a[0:3] cbsz:4
	s_add_u32 s10, s24, s10
	v_lshrrev_b32_e32 v94, 29, v3
	s_waitcnt vmcnt(14)
	v_mfma_f32_4x4x4_16b_f16 a[0:3], v[58:59], v[38:39], a[0:3] cbsz:4 abid:1
	v_mov_b32_e32 v95, 0
	s_addc_u32 s11, s25, s11
	v_mfma_f32_4x4x4_16b_f16 a[0:3], v[60:61], v[40:41], a[0:3] cbsz:4 abid:1
	v_mad_i64_i32 v[2:3], s[24:25], v2, s9, v[94:95]
	s_waitcnt vmcnt(13)
	v_mfma_f32_4x4x4_16b_f16 a[0:3], v[58:59], v[22:23], a[0:3] cbsz:4 abid:2
	v_lshlrev_b64 v[2:3], 1, v[2:3]
	v_and_b32_e32 v2, -16, v2
	v_mfma_f32_4x4x4_16b_f16 a[0:3], v[60:61], v[24:25], a[0:3] cbsz:4 abid:2
	v_lshl_add_u64 v[2:3], s[10:11], 0, v[2:3]
	v_lshlrev_b32_e32 v94, 5, v1
	s_waitcnt vmcnt(12)
	v_mfma_f32_4x4x4_16b_f16 a[0:3], v[58:59], v[18:19], a[0:3] cbsz:4 abid:3
	v_lshl_add_u64 v[96:97], v[2:3], 0, v[94:95]
	global_load_dwordx4 v[6:9], v[96:97], off
	global_load_dwordx4 v[2:5], v[96:97], off offset:16
	global_load_dwordx4 v[10:13], v[96:97], off offset:2048
	;; [unrolled: 1-line block ×3, first 2 shown]
	v_mfma_f32_4x4x4_16b_f16 a[0:3], v[60:61], v[20:21], a[0:3] cbsz:4 abid:3
	v_mul_hi_i32 v96, v93, s9
	v_ashrrev_i32_e32 v82, 31, v96
	s_waitcnt vmcnt(15)
	v_mfma_f32_4x4x4_16b_f16 a[0:3], v[58:59], v[34:35], a[0:3] cbsz:4 abid:4
	v_lshrrev_b32_e32 v82, 29, v82
	v_mov_b32_e32 v83, v95
	v_mfma_f32_4x4x4_16b_f16 a[0:3], v[60:61], v[36:37], a[0:3] cbsz:4 abid:4
	s_load_dword s0, s[0:1], 0x1c
	v_mad_i64_i32 v[38:39], s[24:25], v93, s9, v[82:83]
	s_waitcnt vmcnt(14)
	v_mfma_f32_4x4x4_16b_f16 a[0:3], v[58:59], v[78:79], a[0:3] cbsz:4 abid:5
	v_mul_hi_i32 v78, v92, s9
	v_ashrrev_i32_e32 v78, 31, v78
	v_mfma_f32_4x4x4_16b_f16 a[0:3], v[60:61], v[80:81], a[0:3] cbsz:4 abid:5
	v_lshlrev_b64 v[22:23], 1, v[38:39]
	v_and_b32_e32 v22, -16, v22
	s_waitcnt vmcnt(13)
	v_mfma_f32_4x4x4_16b_f16 a[0:3], v[58:59], v[54:55], a[0:3] cbsz:4 abid:6
	v_lshrrev_b32_e32 v54, 29, v78
	v_mov_b32_e32 v55, v95
	v_mfma_f32_4x4x4_16b_f16 a[0:3], v[60:61], v[56:57], a[0:3] cbsz:4 abid:6
	v_lshl_add_u64 v[18:19], s[10:11], 0, v[22:23]
	v_lshl_add_u64 v[82:83], v[18:19], 0, v[94:95]
	s_waitcnt vmcnt(12)
	v_mfma_f32_4x4x4_16b_f16 a[0:3], v[58:59], v[50:51], a[0:3] cbsz:4 abid:7
	v_mad_i64_i32 v[50:51], s[24:25], v92, s9, v[54:55]
	s_nop 0
	v_mfma_f32_4x4x4_16b_f16 a[0:3], v[60:61], v[52:53], a[0:3] cbsz:4 abid:7
	v_lshlrev_b64 v[50:51], 1, v[50:51]
	v_and_b32_e32 v50, -16, v50
	s_waitcnt vmcnt(11)
	v_mfma_f32_4x4x4_16b_f16 a[0:3], v[58:59], v[30:31], a[0:3] cbsz:4 abid:8
	v_lshl_add_u64 v[30:31], s[10:11], 0, v[50:51]
	v_lshl_add_u64 v[78:79], v[30:31], 0, v[94:95]
	v_mfma_f32_4x4x4_16b_f16 a[0:3], v[60:61], v[32:33], a[0:3] cbsz:4 abid:8
	global_load_dwordx4 v[18:21], v[82:83], off
	global_load_dwordx4 v[22:25], v[82:83], off offset:16
	s_waitcnt vmcnt(12)
	v_mfma_f32_4x4x4_16b_f16 a[0:3], v[58:59], v[26:27], a[0:3] cbsz:4 abid:9
	global_load_dwordx4 v[34:37], v[82:83], off offset:2048
	global_load_dwordx4 v[38:41], v[82:83], off offset:2064
	v_mfma_f32_4x4x4_16b_f16 a[0:3], v[60:61], v[28:29], a[0:3] cbsz:4 abid:9
	global_load_dwordx4 v[26:29], v[78:79], off
	global_load_dwordx4 v[30:33], v[78:79], off offset:16
	s_waitcnt vmcnt(15)
	v_mfma_f32_4x4x4_16b_f16 a[0:3], v[58:59], v[74:75], a[0:3] cbsz:4 abid:10
	v_mul_hi_i32 v74, v91, s9
	global_load_dwordx4 v[50:53], v[78:79], off offset:2048
	global_load_dwordx4 v[54:57], v[78:79], off offset:2064
	v_mfma_f32_4x4x4_16b_f16 a[0:3], v[60:61], v[76:77], a[0:3] cbsz:4 abid:10
	v_cmp_eq_u32_e32 vcc, 1, v89
	s_waitcnt vmcnt(16)
	v_mfma_f32_4x4x4_16b_f16 a[0:3], v[58:59], v[70:71], a[0:3] cbsz:4 abid:11
	v_ashrrev_i32_e32 v70, 31, v74
	v_lshrrev_b32_e32 v70, 29, v70
	v_mfma_f32_4x4x4_16b_f16 a[0:3], v[60:61], v[72:73], a[0:3] cbsz:4 abid:11
	v_mov_b32_e32 v71, v95
	v_mov_b32_e32 v73, 0xff7fffff
	s_waitcnt vmcnt(15)
	v_mfma_f32_4x4x4_16b_f16 a[0:3], v[58:59], v[66:67], a[0:3] cbsz:4 abid:12
	v_mad_i64_i32 v[66:67], s[8:9], v91, s9, v[70:71]
	s_nop 0
	v_mfma_f32_4x4x4_16b_f16 a[0:3], v[60:61], v[68:69], a[0:3] cbsz:4 abid:12
	s_waitcnt vmcnt(14)
	s_nop 0
	v_mfma_f32_4x4x4_16b_f16 a[0:3], v[58:59], v[46:47], a[0:3] cbsz:4 abid:13
	v_lshlrev_b64 v[46:47], 1, v[66:67]
	v_and_b32_e32 v46, -16, v46
	v_mfma_f32_4x4x4_16b_f16 a[0:3], v[60:61], v[48:49], a[0:3] cbsz:4 abid:13
	s_waitcnt vmcnt(13)
	s_nop 0
	v_mfma_f32_4x4x4_16b_f16 a[0:3], v[58:59], v[42:43], a[0:3] cbsz:4 abid:14
	v_lshl_add_u64 v[42:43], s[10:11], 0, v[46:47]
	v_lshl_add_u64 v[66:67], v[42:43], 0, v[94:95]
	v_mfma_f32_4x4x4_16b_f16 a[0:3], v[60:61], v[44:45], a[0:3] cbsz:4 abid:14
	global_load_dwordx4 v[42:45], v[66:67], off
	global_load_dwordx4 v[46:49], v[66:67], off offset:16
	s_waitcnt vmcnt(14)
	v_mfma_f32_4x4x4_16b_f16 a[0:3], v[58:59], v[62:63], a[0:3] cbsz:4 abid:15
	s_nop 1
	v_mfma_f32_4x4x4_16b_f16 a[0:3], v[60:61], v[64:65], a[0:3] cbsz:4 abid:15
	s_nop 4
	v_accvgpr_read_b32 v59, a1
	v_accvgpr_read_b32 v58, a0
	s_waitcnt lgkmcnt(0)
	v_pk_mul_f32 v[68:69], s[0:1], v[58:59] op_sel_hi:[0,1]
	global_load_dwordx4 v[58:61], v[66:67], off offset:2048
	global_load_dwordx4 v[62:65], v[66:67], off offset:2064
	v_accvgpr_read_b32 v67, a3
	v_accvgpr_read_b32 v66, a2
	v_pk_mul_f32 v[66:67], s[0:1], v[66:67] op_sel_hi:[0,1]
	v_mfma_f32_4x4x1_16b_f32 a[0:3], v68, v87, 0
	v_cndmask_b32_e64 v68, 0, 1.0, vcc
	v_cmp_eq_u32_e32 vcc, 2, v89
	s_nop 0
	v_mfma_f32_4x4x1_16b_f32 a[0:3], v69, v68, a[0:3]
	v_cndmask_b32_e64 v68, 0, 1.0, vcc
	v_cmp_eq_u32_e32 vcc, 3, v89
	s_nop 0
	v_mfma_f32_4x4x1_16b_f32 a[0:3], v66, v68, a[0:3]
	v_cndmask_b32_e64 v66, 0, 1.0, vcc
	s_nop 1
	v_mfma_f32_4x4x1_16b_f32 a[0:3], v67, v66, a[0:3]
	v_and_b32_e32 v66, -4, v90
	v_subrev_u32_e32 v67, s3, v66
	v_add_u32_e32 v68, 1, v67
	v_cvt_f32_i32_e32 v68, v68
	v_add_u32_e32 v69, 2, v67
	v_cvt_f32_i32_e32 v69, v69
	v_accvgpr_read_b32 v70, a0
	v_fma_f32 v68, v86, v68, v70
	v_accvgpr_read_b32 v70, a1
	v_fma_f32 v69, v86, v69, v70
	v_add_u32_e32 v70, 3, v67
	v_cvt_f32_i32_e32 v70, v70
	v_accvgpr_read_b32 v71, a2
	v_add_u32_e32 v67, 4, v67
	v_cmp_gt_i32_e32 vcc, s3, v66
	v_fma_f32 v71, v86, v70, v71
	v_max_f32_e32 v70, 0xff7fffff, v68
	v_cvt_f32_i32_e32 v67, v67
	v_cndmask_b32_e32 v70, v73, v70, vcc
	v_or_b32_e32 v73, 1, v66
	v_max_f32_e32 v74, v70, v69
	v_cmp_gt_i32_e64 s[0:1], s3, v73
	v_or_b32_e32 v66, 2, v66
	v_accvgpr_read_b32 v72, a3
	v_cndmask_b32_e64 v70, v70, v74, s[0:1]
	v_max_f32_e32 v73, v70, v71
	v_cmp_gt_i32_e64 s[8:9], s3, v66
	v_fmac_f32_e32 v72, v86, v67
	v_lshlrev_b32_e32 v67, 2, v0
	v_cndmask_b32_e64 v66, v70, v73, s[8:9]
	v_or_b32_e32 v70, 3, v90
	v_max_f32_e32 v73, v66, v72
	v_cmp_gt_i32_e64 s[10:11], s3, v70
	v_and_or_b32 v67, v67, 48, v89
	s_nop 0
	v_cndmask_b32_e64 v66, v66, v73, s[10:11]
	;;#ASMSTART
	v_nop
 v_nop
 v_max_f32_dpp v66, v66, v66 row_ror:4
	;;#ASMEND
	v_lshlrev_b32_e32 v73, 2, v67
	;;#ASMSTART
	v_nop
 v_nop
 v_max_f32_dpp v66, v66, v66 row_ror:8
	;;#ASMEND
	ds_bpermute_b32 v66, v73, v66
	s_waitcnt lgkmcnt(0)
	;;#ASMSTART
	v_nop
 v_nop
 v_max_f32_dpp v66, v66, v66 row_ror:4
	;;#ASMEND
	s_nop 0
	;;#ASMSTART
	v_nop
 v_nop
 v_max_f32_dpp v70, v66, v66 row_ror:8
	;;#ASMEND
	s_nop 0
	v_sub_f32_e32 v66, v68, v70
	v_mul_f32_e32 v66, 0x3fb8aa3b, v66
	v_sub_f32_e32 v67, v69, v70
	v_exp_f32_e32 v66, v66
	v_mul_f32_e32 v67, 0x3fb8aa3b, v67
	v_sub_f32_e32 v69, v71, v70
	v_exp_f32_e32 v67, v67
	;; [unrolled: 3-line block ×3, first 2 shown]
	v_mul_f32_e32 v71, 0x3fb8aa3b, v71
	v_exp_f32_e32 v71, v71
	v_cndmask_b32_e32 v66, 0, v66, vcc
	v_add_f32_e32 v68, 0, v66
	v_cndmask_b32_e64 v67, 0, v67, s[0:1]
	v_add_f32_e32 v72, v68, v67
	v_cndmask_b32_e64 v68, 0, v69, s[8:9]
	;; [unrolled: 2-line block ×3, first 2 shown]
	v_add_f32_e32 v71, v72, v69
	;;#ASMSTART
	v_nop
 v_nop
 v_add_f32_dpp v71, v71, v71 row_ror:4
	;;#ASMEND
	v_cmp_gt_u32_e32 vcc, 4, v1
	;;#ASMSTART
	v_nop
 v_nop
 v_add_f32_dpp v71, v71, v71 row_ror:8
	;;#ASMEND
	ds_bpermute_b32 v71, v73, v71
	s_waitcnt lgkmcnt(0)
	;;#ASMSTART
	v_nop
 v_nop
 v_add_f32_dpp v71, v71, v71 row_ror:4
	;;#ASMEND
	s_nop 0
	;;#ASMSTART
	v_nop
 v_nop
 v_add_f32_dpp v71, v71, v71 row_ror:8
	;;#ASMEND
	s_and_saveexec_b64 s[0:1], vcc
	s_cbranch_execz .LBB248_18
; %bb.17:
	v_mul_u32_u24_e32 v72, 20, v88
	v_lshl_add_u32 v72, v89, 2, v72
	v_add_u32_e32 v72, 0x1400, v72
	ds_write2_b32 v72, v70, v71 offset1:20
.LBB248_18:
	s_or_b64 exec, exec, s[0:1]
.LBB248_19:
	s_or_b64 exec, exec, s[22:23]
	s_waitcnt lgkmcnt(0)
	s_barrier
	s_load_dword s0, s[20:21], 0x8
	v_lshlrev_b32_e32 v71, 2, v89
	v_add_u32_e32 v73, 0x1400, v71
	ds_read2_b32 v[74:75], v73 offset1:5
	ds_read2_b32 v[76:77], v73 offset0:10 offset1:15
	s_mul_i32 s1, s33, s2
	s_waitcnt lgkmcnt(0)
	s_mul_i32 s0, s1, s0
	s_mov_b32 s1, 0xff7fffff
	v_max3_f32 v71, v74, s1, v75
	v_max3_f32 v72, v71, v76, v77
	v_sub_f32_e32 v71, v74, v72
	v_sub_f32_e32 v74, v75, v72
	v_mul_f32_e32 v74, 0x3fb8aa3b, v74
	ds_read2_b32 v[78:79], v73 offset0:20 offset1:25
	v_mul_f32_e32 v71, 0x3fb8aa3b, v71
	v_exp_f32_e32 v81, v74
	ds_read2_b32 v[74:75], v73 offset0:30 offset1:35
	v_sub_f32_e32 v73, v76, v72
	v_exp_f32_e32 v80, v71
	v_mul_f32_e32 v73, 0x3fb8aa3b, v73
	v_exp_f32_e32 v76, v73
	v_sub_f32_e32 v73, v77, v72
	v_mul_f32_e32 v73, 0x3fb8aa3b, v73
	v_exp_f32_e32 v77, v73
	s_waitcnt lgkmcnt(1)
	v_fma_f32 v73, v80, v78, 0
	v_fmac_f32_e32 v73, v81, v79
	s_waitcnt lgkmcnt(0)
	v_fmac_f32_e32 v73, v76, v74
	v_mov_b32_e32 v71, 0
	v_fmac_f32_e32 v73, v77, v75
	s_mov_b32 s1, 0
	v_cmp_eq_u32_e32 vcc, 0, v89
	s_and_saveexec_b64 s[2:3], vcc
	s_cbranch_execz .LBB248_21
; %bb.20:
	s_lshl_b64 s[8:9], s[0:1], 2
	s_add_u32 s5, s12, s8
	s_mov_b32 s17, s1
	s_addc_u32 s12, s13, s9
	s_lshl_b64 s[10:11], s[16:17], 2
	s_add_u32 s5, s5, s10
	s_addc_u32 s12, s12, s11
	s_add_u32 s8, s14, s8
	s_addc_u32 s9, s15, s9
	;; [unrolled: 2-line block ×3, first 2 shown]
	s_mul_i32 s8, s33, s4
	s_mov_b32 s9, s1
	s_lshl_b64 s[8:9], s[8:9], 2
	s_add_u32 s10, s5, s8
	s_addc_u32 s11, s12, s9
	s_add_u32 s8, s13, s8
	s_addc_u32 s9, s14, s9
	global_store_dword v71, v72, s[8:9]
	global_store_dword v71, v73, s[10:11]
.LBB248_21:
	s_or_b64 exec, exec, s[2:3]
	v_lshlrev_b32_e32 v71, 3, v88
	s_and_saveexec_b64 s[2:3], s[6:7]
	s_xor_b64 s[2:3], exec, s[2:3]
	s_cbranch_execz .LBB248_23
; %bb.22:
	s_mov_b32 s6, 0
	s_mov_b32 s7, s6
	s_waitcnt vmcnt(14)
	v_mad_u32_u24 v4, v1, 40, v71
	v_mov_b64_e32 v[2:3], s[6:7]
	ds_write2st64_b64 v4, v[2:3], v[2:3] offset1:5
                                        ; implicit-def: $vgpr69
                                        ; implicit-def: $vgpr67
                                        ; implicit-def: $vgpr7
                                        ; implicit-def: $vgpr3
                                        ; implicit-def: $vgpr19
                                        ; implicit-def: $vgpr23
                                        ; implicit-def: $vgpr27
                                        ; implicit-def: $vgpr31
                                        ; implicit-def: $vgpr43
                                        ; implicit-def: $vgpr47
                                        ; implicit-def: $vgpr11
                                        ; implicit-def: $vgpr15
                                        ; implicit-def: $vgpr35
                                        ; implicit-def: $vgpr39
                                        ; implicit-def: $vgpr51
                                        ; implicit-def: $vgpr55
                                        ; implicit-def: $vgpr59
                                        ; implicit-def: $vgpr63
                                        ; implicit-def: $vgpr70
                                        ; implicit-def: $vgpr72
                                        ; implicit-def: $vgpr73
                                        ; implicit-def: $vgpr71
.LBB248_23:
	s_andn2_saveexec_b64 s[2:3], s[2:3]
	s_cbranch_execz .LBB248_25
; %bb.24:
	v_add_f32_e32 v73, 0x358637bd, v73
	v_div_scale_f32 v74, s[6:7], v73, v73, 1.0
	v_rcp_f32_e32 v75, v74
	v_sub_f32_e32 v70, v70, v72
	v_mul_f32_e32 v70, 0x3fb8aa3b, v70
	v_exp_f32_e32 v70, v70
	v_fma_f32 v72, -v74, v75, 1.0
	v_fmac_f32_e32 v75, v72, v75
	v_div_scale_f32 v72, vcc, 1.0, v73, 1.0
	v_mul_f32_e32 v76, v72, v75
	v_fma_f32 v77, -v74, v76, v72
	v_fmac_f32_e32 v76, v77, v75
	v_fma_f32 v72, -v74, v76, v72
	v_div_fmas_f32 v72, v72, v75, v76
	v_div_fixup_f32 v72, v72, v73, 1.0
	v_mul_f32_e32 v70, v70, v72
	v_pk_mul_f32 v[68:69], v[68:69], v[70:71] op_sel_hi:[1,0]
	v_pk_mul_f32 v[66:67], v[66:67], v[70:71] op_sel_hi:[1,0]
	v_cvt_f16_f32_e32 v68, v68
	v_cvt_f16_f32_e32 v66, v66
	v_cvt_f16_f32_e32 v67, v67
	v_cvt_f16_f32_e32 v69, v69
	v_pack_b32_f16 v66, v66, v67
	v_pack_b32_f16 v67, v68, v69
	s_waitcnt vmcnt(15)
	s_nop 0
	v_mfma_f32_4x4x4_16b_f16 a[0:3], v[66:67], v[6:7], 0 cbsz:4
	s_nop 1
	v_mfma_f32_4x4x4_16b_f16 a[0:3], v[66:67], v[8:9], a[0:3] cbsz:4 abid:1
	v_mad_u32_u24 v9, v1, 40, v71
	s_waitcnt vmcnt(13)
	v_mfma_f32_4x4x4_16b_f16 a[4:7], v[66:67], v[10:11], 0 cbsz:4
	v_mfma_f32_4x4x4_16b_f16 a[0:3], v[66:67], v[2:3], a[0:3] cbsz:4 abid:2
	s_nop 0
	v_mfma_f32_4x4x4_16b_f16 a[4:7], v[66:67], v[12:13], a[4:7] cbsz:4 abid:1
	v_mfma_f32_4x4x4_16b_f16 a[0:3], v[66:67], v[4:5], a[0:3] cbsz:4 abid:3
	s_waitcnt vmcnt(12)
	v_mfma_f32_4x4x4_16b_f16 a[4:7], v[66:67], v[14:15], a[4:7] cbsz:4 abid:2
	s_waitcnt vmcnt(11)
	v_mfma_f32_4x4x4_16b_f16 a[0:3], v[66:67], v[18:19], a[0:3] cbsz:4 abid:4
	v_mfma_f32_4x4x4_16b_f16 a[4:7], v[66:67], v[16:17], a[4:7] cbsz:4 abid:3
	s_nop 0
	v_mfma_f32_4x4x4_16b_f16 a[0:3], v[66:67], v[20:21], a[0:3] cbsz:4 abid:5
	s_waitcnt vmcnt(9)
	v_mfma_f32_4x4x4_16b_f16 a[4:7], v[66:67], v[34:35], a[4:7] cbsz:4 abid:4
	v_mfma_f32_4x4x4_16b_f16 a[0:3], v[66:67], v[22:23], a[0:3] cbsz:4 abid:6
	s_nop 0
	v_mfma_f32_4x4x4_16b_f16 a[4:7], v[66:67], v[36:37], a[4:7] cbsz:4 abid:5
	v_mfma_f32_4x4x4_16b_f16 a[0:3], v[66:67], v[24:25], a[0:3] cbsz:4 abid:7
	s_waitcnt vmcnt(8)
	v_mfma_f32_4x4x4_16b_f16 a[4:7], v[66:67], v[38:39], a[4:7] cbsz:4 abid:6
	s_waitcnt vmcnt(7)
	v_mfma_f32_4x4x4_16b_f16 a[0:3], v[66:67], v[26:27], a[0:3] cbsz:4 abid:8
	v_mfma_f32_4x4x4_16b_f16 a[4:7], v[66:67], v[40:41], a[4:7] cbsz:4 abid:7
	s_nop 0
	v_mfma_f32_4x4x4_16b_f16 a[0:3], v[66:67], v[28:29], a[0:3] cbsz:4 abid:9
	s_waitcnt vmcnt(5)
	v_mfma_f32_4x4x4_16b_f16 a[4:7], v[66:67], v[50:51], a[4:7] cbsz:4 abid:8
	;; [unrolled: 13-line block ×3, first 2 shown]
	v_mfma_f32_4x4x4_16b_f16 a[0:3], v[66:67], v[46:47], a[0:3] cbsz:4 abid:14
	s_nop 1
	v_mfma_f32_4x4x4_16b_f16 a[0:3], v[66:67], v[48:49], a[0:3] cbsz:4 abid:15
	s_nop 4
	v_accvgpr_read_b32 v2, a0
	v_accvgpr_read_b32 v3, a1
	;; [unrolled: 1-line block ×4, first 2 shown]
	v_mfma_f32_4x4x4_16b_f16 a[0:3], v[66:67], v[60:61], a[4:7] cbsz:4 abid:13
	v_cvt_f16_f32_e32 v2, v2
	v_cvt_f16_f32_e32 v3, v3
	s_waitcnt vmcnt(0)
	v_mfma_f32_4x4x4_16b_f16 a[0:3], v[66:67], v[62:63], a[0:3] cbsz:4 abid:14
	v_pack_b32_f16 v2, v2, v3
	s_nop 0
	v_mfma_f32_4x4x4_16b_f16 a[0:3], v[66:67], v[64:65], a[0:3] cbsz:4 abid:15
	v_cvt_f16_f32_e32 v3, v4
	v_cvt_f16_f32_e32 v4, v5
	v_pack_b32_f16 v3, v3, v4
	s_nop 1
	v_accvgpr_read_b32 v5, a0
	v_accvgpr_read_b32 v6, a1
	;; [unrolled: 1-line block ×4, first 2 shown]
	v_cvt_f16_f32_e32 v5, v5
	v_cvt_f16_f32_e32 v6, v6
	v_cvt_f16_f32_e32 v7, v7
	v_cvt_f16_f32_e32 v8, v8
	v_pack_b32_f16 v4, v5, v6
	v_pack_b32_f16 v5, v7, v8
	ds_write2st64_b64 v9, v[2:3], v[4:5] offset1:5
.LBB248_25:
	s_or_b64 exec, exec, s[2:3]
	v_cmp_gt_u32_e32 vcc, 64, v0
	s_waitcnt lgkmcnt(0)
	s_barrier
	s_and_saveexec_b64 s[2:3], vcc
	s_cbranch_execz .LBB248_27
; %bb.26:
	s_waitcnt vmcnt(14)
	v_mov_b32_e32 v2, 0xa00
	v_mad_u32_u24 v2, v1, 40, v2
	v_mov_b32_e32 v6, 0xa10
	ds_read2_b64 v[2:5], v2 offset1:1
	s_waitcnt lgkmcnt(0)
	v_mad_u32_u24 v3, v1, 40, v6
	ds_read2_b64 v[6:9], v3 offset1:1
	v_mul_u32_u24_e32 v1, 40, v1
	s_lshl_b32 s0, s0, 7
	v_pk_add_f16 v2, v2, 0
	s_lshl_b64 s[2:3], s[0:1], 1
	v_pk_add_f16 v2, v2, v4
	s_add_u32 s2, s18, s2
	s_waitcnt lgkmcnt(0)
	v_pk_add_f16 v2, v2, v6
	s_addc_u32 s3, s19, s3
	s_waitcnt vmcnt(13)
	v_pk_add_f16 v10, v2, v8
	ds_read2_b64 v[2:5], v1 offset1:1
	ds_read2_b64 v[6:9], v1 offset0:2 offset1:3
	s_lshl_b32 s0, s16, 7
	s_lshl_b64 s[0:1], s[0:1], 1
	s_add_u32 s0, s2, s0
	s_waitcnt lgkmcnt(1)
	v_pk_add_f16 v2, v2, 0
	s_mul_i32 s2, s4, s33
	v_pk_add_f16 v2, v2, v4
	s_addc_u32 s1, s3, s1
	v_lshl_or_b32 v0, s2, 7, v0
	v_mov_b32_e32 v1, 0
	s_waitcnt lgkmcnt(0)
	v_pk_add_f16 v2, v2, v6
	v_lshl_add_u64 v[0:1], v[0:1], 1, s[0:1]
	v_pk_add_f16 v2, v2, v8
	global_store_short v[0:1], v2, off
	global_store_short v[0:1], v10, off offset:128
.LBB248_27:
	s_endpgm
	.section	.rodata,"a",@progbits
	.p2align	6, 0x0
	.amdhsa_kernel _Z38paged_attention_ll4mi_QKV_mfma4_kernelIDF16_DF16_LN4vllm18Fp8KVCacheDataTypeE0EDF16_Li16ELi128ELi256ELb1ELi1EEvPKT_PKT0_S7_ifPKiS9_S9_iPKfiiiPfSC_PS2_PT2_iSB_SB_
		.amdhsa_group_segment_fixed_size 5280
		.amdhsa_private_segment_fixed_size 0
		.amdhsa_kernarg_size 400
		.amdhsa_user_sgpr_count 2
		.amdhsa_user_sgpr_dispatch_ptr 0
		.amdhsa_user_sgpr_queue_ptr 0
		.amdhsa_user_sgpr_kernarg_segment_ptr 1
		.amdhsa_user_sgpr_dispatch_id 0
		.amdhsa_user_sgpr_kernarg_preload_length 0
		.amdhsa_user_sgpr_kernarg_preload_offset 0
		.amdhsa_user_sgpr_private_segment_size 0
		.amdhsa_uses_dynamic_stack 0
		.amdhsa_enable_private_segment 0
		.amdhsa_system_sgpr_workgroup_id_x 1
		.amdhsa_system_sgpr_workgroup_id_y 1
		.amdhsa_system_sgpr_workgroup_id_z 1
		.amdhsa_system_sgpr_workgroup_info 0
		.amdhsa_system_vgpr_workitem_id 0
		.amdhsa_next_free_vgpr 108
		.amdhsa_next_free_sgpr 38
		.amdhsa_accum_offset 100
		.amdhsa_reserve_vcc 1
		.amdhsa_float_round_mode_32 0
		.amdhsa_float_round_mode_16_64 0
		.amdhsa_float_denorm_mode_32 3
		.amdhsa_float_denorm_mode_16_64 3
		.amdhsa_dx10_clamp 1
		.amdhsa_ieee_mode 1
		.amdhsa_fp16_overflow 0
		.amdhsa_tg_split 0
		.amdhsa_exception_fp_ieee_invalid_op 0
		.amdhsa_exception_fp_denorm_src 0
		.amdhsa_exception_fp_ieee_div_zero 0
		.amdhsa_exception_fp_ieee_overflow 0
		.amdhsa_exception_fp_ieee_underflow 0
		.amdhsa_exception_fp_ieee_inexact 0
		.amdhsa_exception_int_div_zero 0
	.end_amdhsa_kernel
	.section	.text._Z38paged_attention_ll4mi_QKV_mfma4_kernelIDF16_DF16_LN4vllm18Fp8KVCacheDataTypeE0EDF16_Li16ELi128ELi256ELb1ELi1EEvPKT_PKT0_S7_ifPKiS9_S9_iPKfiiiPfSC_PS2_PT2_iSB_SB_,"axG",@progbits,_Z38paged_attention_ll4mi_QKV_mfma4_kernelIDF16_DF16_LN4vllm18Fp8KVCacheDataTypeE0EDF16_Li16ELi128ELi256ELb1ELi1EEvPKT_PKT0_S7_ifPKiS9_S9_iPKfiiiPfSC_PS2_PT2_iSB_SB_,comdat
.Lfunc_end248:
	.size	_Z38paged_attention_ll4mi_QKV_mfma4_kernelIDF16_DF16_LN4vllm18Fp8KVCacheDataTypeE0EDF16_Li16ELi128ELi256ELb1ELi1EEvPKT_PKT0_S7_ifPKiS9_S9_iPKfiiiPfSC_PS2_PT2_iSB_SB_, .Lfunc_end248-_Z38paged_attention_ll4mi_QKV_mfma4_kernelIDF16_DF16_LN4vllm18Fp8KVCacheDataTypeE0EDF16_Li16ELi128ELi256ELb1ELi1EEvPKT_PKT0_S7_ifPKiS9_S9_iPKfiiiPfSC_PS2_PT2_iSB_SB_
                                        ; -- End function
	.section	.AMDGPU.csdata,"",@progbits
; Kernel info:
; codeLenInByte = 3788
; NumSgprs: 44
; NumVgprs: 98
; NumAgprs: 8
; TotalNumVgprs: 108
; ScratchSize: 0
; MemoryBound: 0
; FloatMode: 240
; IeeeMode: 1
; LDSByteSize: 5280 bytes/workgroup (compile time only)
; SGPRBlocks: 5
; VGPRBlocks: 13
; NumSGPRsForWavesPerEU: 44
; NumVGPRsForWavesPerEU: 108
; AccumOffset: 100
; Occupancy: 4
; WaveLimiterHint : 1
; COMPUTE_PGM_RSRC2:SCRATCH_EN: 0
; COMPUTE_PGM_RSRC2:USER_SGPR: 2
; COMPUTE_PGM_RSRC2:TRAP_HANDLER: 0
; COMPUTE_PGM_RSRC2:TGID_X_EN: 1
; COMPUTE_PGM_RSRC2:TGID_Y_EN: 1
; COMPUTE_PGM_RSRC2:TGID_Z_EN: 1
; COMPUTE_PGM_RSRC2:TIDIG_COMP_CNT: 0
; COMPUTE_PGM_RSRC3_GFX90A:ACCUM_OFFSET: 24
; COMPUTE_PGM_RSRC3_GFX90A:TG_SPLIT: 0
	.section	.text._Z38paged_attention_ll4mi_QKV_mfma4_kernelIDF16_DF16_LN4vllm18Fp8KVCacheDataTypeE0EDF16_Li16ELi128ELi256ELb1ELi2EEvPKT_PKT0_S7_ifPKiS9_S9_iPKfiiiPfSC_PS2_PT2_iSB_SB_,"axG",@progbits,_Z38paged_attention_ll4mi_QKV_mfma4_kernelIDF16_DF16_LN4vllm18Fp8KVCacheDataTypeE0EDF16_Li16ELi128ELi256ELb1ELi2EEvPKT_PKT0_S7_ifPKiS9_S9_iPKfiiiPfSC_PS2_PT2_iSB_SB_,comdat
	.protected	_Z38paged_attention_ll4mi_QKV_mfma4_kernelIDF16_DF16_LN4vllm18Fp8KVCacheDataTypeE0EDF16_Li16ELi128ELi256ELb1ELi2EEvPKT_PKT0_S7_ifPKiS9_S9_iPKfiiiPfSC_PS2_PT2_iSB_SB_ ; -- Begin function _Z38paged_attention_ll4mi_QKV_mfma4_kernelIDF16_DF16_LN4vllm18Fp8KVCacheDataTypeE0EDF16_Li16ELi128ELi256ELb1ELi2EEvPKT_PKT0_S7_ifPKiS9_S9_iPKfiiiPfSC_PS2_PT2_iSB_SB_
	.globl	_Z38paged_attention_ll4mi_QKV_mfma4_kernelIDF16_DF16_LN4vllm18Fp8KVCacheDataTypeE0EDF16_Li16ELi128ELi256ELb1ELi2EEvPKT_PKT0_S7_ifPKiS9_S9_iPKfiiiPfSC_PS2_PT2_iSB_SB_
	.p2align	8
	.type	_Z38paged_attention_ll4mi_QKV_mfma4_kernelIDF16_DF16_LN4vllm18Fp8KVCacheDataTypeE0EDF16_Li16ELi128ELi256ELb1ELi2EEvPKT_PKT0_S7_ifPKiS9_S9_iPKfiiiPfSC_PS2_PT2_iSB_SB_,@function
_Z38paged_attention_ll4mi_QKV_mfma4_kernelIDF16_DF16_LN4vllm18Fp8KVCacheDataTypeE0EDF16_Li16ELi128ELi256ELb1ELi2EEvPKT_PKT0_S7_ifPKiS9_S9_iPKfiiiPfSC_PS2_PT2_iSB_SB_: ; @_Z38paged_attention_ll4mi_QKV_mfma4_kernelIDF16_DF16_LN4vllm18Fp8KVCacheDataTypeE0EDF16_Li16ELi128ELi256ELb1ELi2EEvPKT_PKT0_S7_ifPKiS9_S9_iPKfiiiPfSC_PS2_PT2_iSB_SB_
; %bb.0:
	s_load_dwordx2 s[8:9], s[0:1], 0x30
	s_mov_b32 s16, s3
	s_mov_b64 s[6:7], 0
	s_waitcnt lgkmcnt(0)
	s_cmp_lg_u64 s[8:9], 0
	s_cselect_b64 s[10:11], -1, 0
	s_and_b64 vcc, exec, s[10:11]
	s_cbranch_vccz .LBB249_10
; %bb.1:
	s_add_i32 s12, s2, 1
	s_mov_b32 s13, 0
	s_lshl_b64 s[14:15], s[12:13], 2
	s_add_u32 s14, s8, s14
	s_mov_b32 s3, s13
	s_addc_u32 s15, s9, s15
	s_lshl_b64 s[12:13], s[2:3], 2
	s_add_u32 s12, s8, s12
	s_addc_u32 s13, s9, s13
	s_load_dword s5, s[14:15], 0x0
	s_load_dword s17, s[12:13], 0x0
	s_waitcnt lgkmcnt(0)
	s_sub_i32 s5, s5, s17
	s_cmp_eq_u32 s5, 1
	s_cselect_b64 s[12:13], -1, 0
	s_andn2_b64 vcc, exec, s[6:7]
	s_cbranch_vccnz .LBB249_3
.LBB249_2:
	s_mov_b32 s3, 0
	s_mov_b64 s[12:13], -1
.LBB249_3:
	s_andn2_b64 vcc, exec, s[12:13]
	s_cbranch_vccnz .LBB249_27
; %bb.4:
	s_load_dword s5, s[0:1], 0x9c
	s_load_dwordx2 s[6:7], s[0:1], 0x28
	s_add_u32 s20, s0, 0x90
	s_addc_u32 s21, s1, 0
	s_lshl_b64 s[24:25], s[2:3], 2
	s_waitcnt lgkmcnt(0)
	s_and_b32 s5, s5, 0xffff
	s_add_u32 s6, s6, s24
	s_addc_u32 s7, s7, s25
	s_load_dword s3, s[6:7], 0x0
	s_mul_i32 s5, s16, s5
	s_waitcnt lgkmcnt(0)
	s_cmp_ge_i32 s5, s3
	s_cbranch_scc1 .LBB249_27
; %bb.5:
	v_and_b32_e32 v1, 0xc0, v0
	v_add_u32_e32 v2, s5, v1
	v_lshrrev_b32_e32 v88, 6, v0
	v_cmp_le_i32_e64 s[6:7], s3, v2
                                        ; implicit-def: $sgpr26
                                        ; implicit-def: $sgpr17
	s_and_saveexec_b64 s[12:13], s[6:7]
	s_xor_b64 s[12:13], exec, s[12:13]
	s_cbranch_execz .LBB249_7
; %bb.6:
	v_mul_u32_u24_e32 v1, 20, v88
	v_or_b32_e32 v1, 0x1400, v1
	v_mov_b32_e32 v2, 0x1450
	v_mov_b32_e32 v3, 0xff7fffff
	v_mad_u32_u24 v2, v88, 20, v2
	ds_write2_b32 v1, v3, v3 offset1:1
	v_mov_b32_e32 v1, 0
	ds_write2_b32 v2, v1, v1 offset1:1
	v_mov_b32_e32 v2, 0x1408
	s_mov_b32 s17, 0xff7fffff
	s_mov_b32 s26, 0
	v_mad_u32_u24 v2, v88, 20, v2
	v_mov_b32_e32 v4, 0x1458
	v_mad_u32_u24 v4, v88, 20, v4
	ds_write2_b32 v2, v3, v3 offset1:1
	ds_write2_b32 v4, v1, v1 offset1:1
                                        ; implicit-def: $vgpr2
.LBB249_7:
	s_or_saveexec_b64 s[22:23], s[12:13]
	s_load_dwordx2 s[18:19], s[0:1], 0x68
	s_load_dwordx4 s[12:15], s[0:1], 0x58
	s_load_dword s33, s[20:21], 0x4
	v_and_b32_e32 v1, 63, v0
	v_and_b32_e32 v89, 3, v0
	s_lshl_b32 s34, s4, 1
	v_mov_b32_e32 v69, s26
	v_mov_b32_e32 v70, s17
	;; [unrolled: 1-line block ×5, first 2 shown]
                                        ; implicit-def: $vgpr7
                                        ; implicit-def: $vgpr3
                                        ; implicit-def: $vgpr11
                                        ; implicit-def: $vgpr15
                                        ; implicit-def: $vgpr27
                                        ; implicit-def: $vgpr31
                                        ; implicit-def: $vgpr43
                                        ; implicit-def: $vgpr47
                                        ; implicit-def: $vgpr19
                                        ; implicit-def: $vgpr23
                                        ; implicit-def: $vgpr35
                                        ; implicit-def: $vgpr39
                                        ; implicit-def: $vgpr51
                                        ; implicit-def: $vgpr55
                                        ; implicit-def: $vgpr59
                                        ; implicit-def: $vgpr63
	s_xor_b64 exec, exec, s[22:23]
	s_cbranch_execz .LBB249_19
; %bb.8:
	s_add_i32 s28, s3, 15
	s_ashr_i32 s29, s28, 31
	s_lshr_b32 s29, s29, 28
	v_add_u32_e32 v90, s5, v0
	s_add_i32 s28, s28, s29
	v_ashrrev_i32_e32 v3, 31, v90
	s_load_dwordx2 s[26:27], s[0:1], 0x20
	s_load_dword s17, s[0:1], 0x38
	s_ashr_i32 s28, s28, 4
	v_lshrrev_b32_e32 v3, 28, v3
	s_add_i32 s30, s28, -1
	v_add_u32_e32 v3, v90, v3
	v_ashrrev_i32_e32 v3, 4, v3
	v_mov_b32_e32 v4, s30
	v_cmp_gt_i32_e32 vcc, s3, v90
	s_waitcnt lgkmcnt(0)
	s_mul_i32 s28, s2, s17
	s_mov_b32 s29, 0
	v_cndmask_b32_e32 v4, v4, v3, vcc
	v_ashrrev_i32_e32 v3, 31, v2
	v_lshrrev_b32_e32 v3, 28, v3
	v_add_u32_e32 v2, v2, v3
	s_lshl_b64 s[28:29], s[28:29], 2
	v_ashrrev_i32_e32 v12, 4, v2
	s_add_u32 s26, s26, s28
	v_min_i32_e32 v2, s30, v12
	s_addc_u32 s27, s27, s29
	v_ashrrev_i32_e32 v3, 31, v2
	v_lshl_add_u64 v[6:7], v[2:3], 2, s[26:27]
	v_add_u32_e32 v2, 1, v12
	v_min_i32_e32 v2, s30, v2
	v_ashrrev_i32_e32 v3, 31, v2
	v_lshl_add_u64 v[8:9], v[2:3], 2, s[26:27]
	v_add_u32_e32 v2, 2, v12
	v_min_i32_e32 v2, s30, v2
	v_ashrrev_i32_e32 v3, 31, v2
	v_lshl_add_u64 v[10:11], v[2:3], 2, s[26:27]
	v_add_u32_e32 v2, 3, v12
	v_ashrrev_i32_e32 v5, 31, v4
	v_min_i32_e32 v2, s30, v2
	v_lshl_add_u64 v[4:5], v[4:5], 2, s[26:27]
	v_ashrrev_i32_e32 v3, 31, v2
	v_lshl_add_u64 v[12:13], v[2:3], 2, s[26:27]
	global_load_dword v3, v[4:5], off
	global_load_dword v2, v[6:7], off
	;; [unrolled: 1-line block ×5, first 2 shown]
	s_load_dwordx2 s[26:27], s[0:1], 0x8
	s_andn2_b64 vcc, exec, s[10:11]
	s_cbranch_vccnz .LBB249_11
; %bb.9:
	s_add_u32 s8, s8, s24
	s_addc_u32 s9, s9, s25
	s_load_dword s5, s[8:9], 0x0
	s_branch .LBB249_12
.LBB249_10:
	s_mov_b64 s[12:13], 0
	s_branch .LBB249_2
.LBB249_11:
	s_mov_b32 s5, s2
.LBB249_12:
	s_load_dwordx2 s[24:25], s[0:1], 0x10
	s_load_dwordx4 s[8:11], s[0:1], 0x48
	v_cmp_gt_u32_e32 vcc, 2, v89
	s_mov_b32 s29, 0
	v_mov_b32_e32 v63, 0
	v_mov_b32_e32 v64, 0
	;; [unrolled: 1-line block ×5, first 2 shown]
	s_and_saveexec_b64 s[30:31], vcc
	s_cbranch_execz .LBB249_14
; %bb.13:
	s_load_dwordx2 s[36:37], s[0:1], 0x0
	s_waitcnt lgkmcnt(0)
	s_ashr_i32 s11, s8, 31
	s_mul_hi_u32 s17, s5, s8
	s_mul_i32 s11, s5, s11
	s_add_i32 s39, s17, s11
	s_mul_i32 s38, s5, s8
	s_lshl_b64 s[38:39], s[38:39], 1
	s_add_u32 s5, s36, s38
	s_addc_u32 s8, s37, s39
	s_lshl_b32 s28, s4, 8
	s_lshl_b64 s[36:37], s[28:29], 1
	v_lshlrev_b32_e32 v4, 2, v1
	s_add_u32 s36, s5, s36
	v_and_b32_e32 v4, 0xf0, v4
	s_addc_u32 s37, s8, s37
	v_lshl_or_b32 v4, v89, 8, v4
	global_load_dwordx4 v[64:67], v4, s[36:37]
.LBB249_14:
	s_or_b64 exec, exec, s[30:31]
	s_waitcnt lgkmcnt(0)
	s_mul_i32 s28, s4, s10
	s_lshl_b64 s[4:5], s[28:29], 1
	s_add_u32 s10, s4, s26
	s_waitcnt vmcnt(4)
	v_mad_i64_i32 v[4:5], s[30:31], v3, s9, 0
	s_addc_u32 s11, s5, s27
	v_and_b32_e32 v3, 15, v0
	v_lshl_add_u64 v[4:5], v[4:5], 1, s[10:11]
	v_lshlrev_b32_e32 v62, 4, v3
	v_lshl_add_u64 v[4:5], v[4:5], 0, v[62:63]
	global_load_dwordx4 v[84:87], v[4:5], off
	global_load_dwordx4 v[38:41], v[4:5], off offset:256
	global_load_dwordx4 v[34:37], v[4:5], off offset:512
	;; [unrolled: 1-line block ×15, first 2 shown]
	v_mov_b32_e32 v94, 0
	s_and_saveexec_b64 s[10:11], vcc
	s_cbranch_execz .LBB249_16
; %bb.15:
	s_load_dwordx2 s[26:27], s[0:1], 0x40
	v_or_b32_e32 v4, s34, v89
	v_mov_b32_e32 v5, 0
	s_waitcnt lgkmcnt(0)
	v_lshl_add_u64 v[4:5], v[4:5], 2, s[26:27]
	global_load_dword v94, v[4:5], off
.LBB249_16:
	s_or_b64 exec, exec, s[10:11]
	s_waitcnt vmcnt(15)
	v_mfma_f32_4x4x4_16b_f16 a[0:3], v[64:65], v[84:85], 0 cbsz:4
	v_mul_hi_i32 v3, v2, s9
	v_ashrrev_i32_e32 v3, 31, v3
	v_mfma_f32_4x4x4_16b_f16 a[0:3], v[66:67], v[86:87], a[0:3] cbsz:4
	v_mul_hi_i32 v84, v93, s9
	v_lshrrev_b32_e32 v96, 29, v3
	s_waitcnt vmcnt(14)
	v_mfma_f32_4x4x4_16b_f16 a[0:3], v[64:65], v[38:39], a[0:3] cbsz:4 abid:1
	v_mov_b32_e32 v97, 0
	v_ashrrev_i32_e32 v38, 31, v84
	v_mfma_f32_4x4x4_16b_f16 a[0:3], v[66:67], v[40:41], a[0:3] cbsz:4 abid:1
	v_mad_i64_i32 v[2:3], s[10:11], v2, s9, v[96:97]
	s_waitcnt vmcnt(13)
	v_mfma_f32_4x4x4_16b_f16 a[0:3], v[64:65], v[34:35], a[0:3] cbsz:4 abid:2
	v_lshrrev_b32_e32 v96, 29, v38
	v_mad_i64_i32 v[34:35], s[10:11], v93, s9, v[96:97]
	v_mfma_f32_4x4x4_16b_f16 a[0:3], v[66:67], v[36:37], a[0:3] cbsz:4 abid:2
	s_add_u32 s4, s24, s4
	v_lshlrev_b64 v[2:3], 1, v[2:3]
	s_waitcnt vmcnt(12)
	v_mfma_f32_4x4x4_16b_f16 a[0:3], v[64:65], v[14:15], a[0:3] cbsz:4 abid:3
	v_lshlrev_b64 v[34:35], 1, v[34:35]
	s_addc_u32 s5, s25, s5
	v_mfma_f32_4x4x4_16b_f16 a[0:3], v[66:67], v[16:17], a[0:3] cbsz:4 abid:3
	v_and_b32_e32 v2, -16, v2
	v_and_b32_e32 v34, -16, v34
	s_waitcnt vmcnt(11)
	v_mfma_f32_4x4x4_16b_f16 a[0:3], v[64:65], v[10:11], a[0:3] cbsz:4 abid:4
	v_lshl_add_u64 v[2:3], s[4:5], 0, v[2:3]
	v_lshlrev_b32_e32 v62, 5, v1
	v_mfma_f32_4x4x4_16b_f16 a[0:3], v[66:67], v[12:13], a[0:3] cbsz:4 abid:4
	v_lshl_add_u64 v[14:15], s[4:5], 0, v[34:35]
	v_lshl_add_u64 v[98:99], v[2:3], 0, v[62:63]
	s_waitcnt vmcnt(10)
	v_mfma_f32_4x4x4_16b_f16 a[0:3], v[64:65], v[80:81], a[0:3] cbsz:4 abid:5
	v_mul_hi_i32 v80, v92, s9
	v_lshl_add_u64 v[84:85], v[14:15], 0, v[62:63]
	v_mfma_f32_4x4x4_16b_f16 a[0:3], v[66:67], v[82:83], a[0:3] cbsz:4 abid:5
	global_load_dwordx4 v[6:9], v[98:99], off
	global_load_dwordx4 v[2:5], v[98:99], off offset:16
	s_waitcnt vmcnt(11)
	v_mfma_f32_4x4x4_16b_f16 a[0:3], v[64:65], v[54:55], a[0:3] cbsz:4 abid:6
	v_ashrrev_i32_e32 v54, 31, v80
	v_lshrrev_b32_e32 v96, 29, v54
	v_mfma_f32_4x4x4_16b_f16 a[0:3], v[66:67], v[56:57], a[0:3] cbsz:4 abid:6
	global_load_dwordx4 v[18:21], v[98:99], off offset:2048
	global_load_dwordx4 v[22:25], v[98:99], off offset:2064
	s_waitcnt vmcnt(12)
	v_mfma_f32_4x4x4_16b_f16 a[0:3], v[64:65], v[50:51], a[0:3] cbsz:4 abid:7
	v_mad_i64_i32 v[50:51], s[10:11], v92, s9, v[96:97]
	s_nop 0
	v_mfma_f32_4x4x4_16b_f16 a[0:3], v[66:67], v[52:53], a[0:3] cbsz:4 abid:7
	v_lshlrev_b64 v[50:51], 1, v[50:51]
	v_and_b32_e32 v50, -16, v50
	s_waitcnt vmcnt(11)
	v_mfma_f32_4x4x4_16b_f16 a[0:3], v[64:65], v[30:31], a[0:3] cbsz:4 abid:8
	v_lshl_add_u64 v[30:31], s[4:5], 0, v[50:51]
	v_lshl_add_u64 v[80:81], v[30:31], 0, v[62:63]
	v_mfma_f32_4x4x4_16b_f16 a[0:3], v[66:67], v[32:33], a[0:3] cbsz:4 abid:8
	global_load_dwordx4 v[10:13], v[84:85], off
	global_load_dwordx4 v[14:17], v[84:85], off offset:16
	s_waitcnt vmcnt(12)
	v_mfma_f32_4x4x4_16b_f16 a[0:3], v[64:65], v[26:27], a[0:3] cbsz:4 abid:9
	global_load_dwordx4 v[34:37], v[84:85], off offset:2048
	global_load_dwordx4 v[38:41], v[84:85], off offset:2064
	v_mfma_f32_4x4x4_16b_f16 a[0:3], v[66:67], v[28:29], a[0:3] cbsz:4 abid:9
	global_load_dwordx4 v[26:29], v[80:81], off
	global_load_dwordx4 v[30:33], v[80:81], off offset:16
	s_waitcnt vmcnt(15)
	v_mfma_f32_4x4x4_16b_f16 a[0:3], v[64:65], v[76:77], a[0:3] cbsz:4 abid:10
	v_mul_hi_i32 v76, v91, s9
	global_load_dwordx4 v[50:53], v[80:81], off offset:2048
	global_load_dwordx4 v[54:57], v[80:81], off offset:2064
	v_mfma_f32_4x4x4_16b_f16 a[0:3], v[66:67], v[78:79], a[0:3] cbsz:4 abid:10
	s_load_dword s0, s[0:1], 0x1c
	v_cmp_eq_u32_e32 vcc, 0, v89
	s_waitcnt vmcnt(16)
	v_mfma_f32_4x4x4_16b_f16 a[0:3], v[64:65], v[72:73], a[0:3] cbsz:4 abid:11
	v_ashrrev_i32_e32 v72, 31, v76
	v_lshrrev_b32_e32 v96, 29, v72
	v_mfma_f32_4x4x4_16b_f16 a[0:3], v[66:67], v[74:75], a[0:3] cbsz:4 abid:11
	s_waitcnt vmcnt(15)
	s_nop 0
	v_mfma_f32_4x4x4_16b_f16 a[0:3], v[64:65], v[58:59], a[0:3] cbsz:4 abid:12
	v_mad_i64_i32 v[58:59], s[8:9], v91, s9, v[96:97]
	s_nop 0
	v_mfma_f32_4x4x4_16b_f16 a[0:3], v[66:67], v[60:61], a[0:3] cbsz:4 abid:12
	v_lshlrev_b64 v[58:59], 1, v[58:59]
	v_and_b32_e32 v58, -16, v58
	s_waitcnt vmcnt(14)
	v_mfma_f32_4x4x4_16b_f16 a[0:3], v[64:65], v[46:47], a[0:3] cbsz:4 abid:13
	v_lshl_add_u64 v[46:47], s[4:5], 0, v[58:59]
	v_lshl_add_u64 v[72:73], v[46:47], 0, v[62:63]
	v_mfma_f32_4x4x4_16b_f16 a[0:3], v[66:67], v[48:49], a[0:3] cbsz:4 abid:13
	s_waitcnt vmcnt(13)
	s_nop 0
	v_mfma_f32_4x4x4_16b_f16 a[0:3], v[64:65], v[42:43], a[0:3] cbsz:4 abid:14
	s_nop 1
	v_mfma_f32_4x4x4_16b_f16 a[0:3], v[66:67], v[44:45], a[0:3] cbsz:4 abid:14
	global_load_dwordx4 v[42:45], v[72:73], off
	global_load_dwordx4 v[46:49], v[72:73], off offset:16
	s_waitcnt vmcnt(14)
	v_mfma_f32_4x4x4_16b_f16 a[0:3], v[64:65], v[68:69], a[0:3] cbsz:4 abid:15
	global_load_dwordx4 v[58:61], v[72:73], off offset:2048
	global_load_dwordx4 v[62:65], v[72:73], off offset:2064
	v_mfma_f32_4x4x4_16b_f16 a[0:3], v[66:67], v[70:71], a[0:3] cbsz:4 abid:15
	v_cndmask_b32_e64 v70, 0, 1.0, vcc
	v_cmp_eq_u32_e32 vcc, 1, v89
	v_mov_b32_e32 v73, 0xff7fffff
	s_nop 1
	v_accvgpr_read_b32 v69, a1
	v_accvgpr_read_b32 v68, a0
	s_waitcnt lgkmcnt(0)
	v_pk_mul_f32 v[68:69], s[0:1], v[68:69] op_sel_hi:[0,1]
	v_accvgpr_read_b32 v67, a3
	v_accvgpr_read_b32 v66, a2
	v_pk_mul_f32 v[66:67], s[0:1], v[66:67] op_sel_hi:[0,1]
	v_mfma_f32_4x4x1_16b_f32 a[0:3], v68, v70, 0
	v_cndmask_b32_e64 v68, 0, 1.0, vcc
	v_cmp_eq_u32_e32 vcc, 2, v89
	s_nop 0
	v_mfma_f32_4x4x1_16b_f32 a[0:3], v69, v68, a[0:3]
	v_cndmask_b32_e64 v68, 0, 1.0, vcc
	v_cmp_eq_u32_e32 vcc, 3, v89
	s_nop 0
	v_mfma_f32_4x4x1_16b_f32 a[0:3], v66, v68, a[0:3]
	v_cndmask_b32_e64 v66, 0, 1.0, vcc
	s_nop 1
	v_mfma_f32_4x4x1_16b_f32 a[0:3], v67, v66, a[0:3]
	v_and_b32_e32 v66, -4, v90
	v_subrev_u32_e32 v67, s3, v66
	v_add_u32_e32 v68, 1, v67
	v_cvt_f32_i32_e32 v68, v68
	v_add_u32_e32 v69, 2, v67
	v_cvt_f32_i32_e32 v69, v69
	v_accvgpr_read_b32 v70, a0
	v_fma_f32 v68, v94, v68, v70
	v_accvgpr_read_b32 v70, a1
	v_fma_f32 v69, v94, v69, v70
	v_add_u32_e32 v70, 3, v67
	v_cvt_f32_i32_e32 v70, v70
	v_accvgpr_read_b32 v71, a2
	v_add_u32_e32 v67, 4, v67
	v_cmp_gt_i32_e32 vcc, s3, v66
	v_fma_f32 v71, v94, v70, v71
	v_max_f32_e32 v70, 0xff7fffff, v68
	v_cvt_f32_i32_e32 v67, v67
	v_cndmask_b32_e32 v70, v73, v70, vcc
	v_or_b32_e32 v73, 1, v66
	v_max_f32_e32 v74, v70, v69
	v_cmp_gt_i32_e64 s[0:1], s3, v73
	v_or_b32_e32 v66, 2, v66
	v_accvgpr_read_b32 v72, a3
	v_cndmask_b32_e64 v70, v70, v74, s[0:1]
	v_max_f32_e32 v73, v70, v71
	v_cmp_gt_i32_e64 s[4:5], s3, v66
	v_fmac_f32_e32 v72, v94, v67
	v_lshlrev_b32_e32 v67, 2, v0
	v_cndmask_b32_e64 v66, v70, v73, s[4:5]
	v_or_b32_e32 v70, 3, v90
	v_max_f32_e32 v73, v66, v72
	v_cmp_gt_i32_e64 s[8:9], s3, v70
	v_and_or_b32 v67, v67, 48, v89
	s_nop 0
	v_cndmask_b32_e64 v66, v66, v73, s[8:9]
	;;#ASMSTART
	v_nop
 v_nop
 v_max_f32_dpp v66, v66, v66 row_ror:4
	;;#ASMEND
	v_lshlrev_b32_e32 v73, 2, v67
	;;#ASMSTART
	v_nop
 v_nop
 v_max_f32_dpp v66, v66, v66 row_ror:8
	;;#ASMEND
	ds_bpermute_b32 v66, v73, v66
	s_waitcnt lgkmcnt(0)
	;;#ASMSTART
	v_nop
 v_nop
 v_max_f32_dpp v66, v66, v66 row_ror:4
	;;#ASMEND
	s_nop 0
	;;#ASMSTART
	v_nop
 v_nop
 v_max_f32_dpp v70, v66, v66 row_ror:8
	;;#ASMEND
	s_nop 0
	v_sub_f32_e32 v66, v68, v70
	v_mul_f32_e32 v66, 0x3fb8aa3b, v66
	v_sub_f32_e32 v67, v69, v70
	v_exp_f32_e32 v66, v66
	v_mul_f32_e32 v67, 0x3fb8aa3b, v67
	v_sub_f32_e32 v69, v71, v70
	v_exp_f32_e32 v67, v67
	v_mul_f32_e32 v69, 0x3fb8aa3b, v69
	v_sub_f32_e32 v71, v72, v70
	v_exp_f32_e32 v69, v69
	v_mul_f32_e32 v71, 0x3fb8aa3b, v71
	v_exp_f32_e32 v71, v71
	v_cndmask_b32_e32 v66, 0, v66, vcc
	v_add_f32_e32 v68, 0, v66
	v_cndmask_b32_e64 v67, 0, v67, s[0:1]
	v_add_f32_e32 v72, v68, v67
	v_cndmask_b32_e64 v68, 0, v69, s[4:5]
	;; [unrolled: 2-line block ×3, first 2 shown]
	v_add_f32_e32 v71, v72, v69
	;;#ASMSTART
	v_nop
 v_nop
 v_add_f32_dpp v71, v71, v71 row_ror:4
	;;#ASMEND
	v_cmp_gt_u32_e32 vcc, 4, v1
	;;#ASMSTART
	v_nop
 v_nop
 v_add_f32_dpp v71, v71, v71 row_ror:8
	;;#ASMEND
	ds_bpermute_b32 v71, v73, v71
	s_waitcnt lgkmcnt(0)
	;;#ASMSTART
	v_nop
 v_nop
 v_add_f32_dpp v71, v71, v71 row_ror:4
	;;#ASMEND
	s_nop 0
	;;#ASMSTART
	v_nop
 v_nop
 v_add_f32_dpp v71, v71, v71 row_ror:8
	;;#ASMEND
	s_and_saveexec_b64 s[0:1], vcc
	s_cbranch_execz .LBB249_18
; %bb.17:
	v_mul_u32_u24_e32 v72, 20, v88
	v_lshl_add_u32 v72, v89, 2, v72
	v_add_u32_e32 v72, 0x1400, v72
	ds_write2_b32 v72, v70, v71 offset1:20
.LBB249_18:
	s_or_b64 exec, exec, s[0:1]
.LBB249_19:
	s_or_b64 exec, exec, s[22:23]
	s_waitcnt lgkmcnt(0)
	s_barrier
	s_load_dword s0, s[20:21], 0x8
	v_lshlrev_b32_e32 v71, 2, v89
	v_add_u32_e32 v71, 0x1400, v71
	ds_read2_b32 v[74:75], v71 offset1:5
	ds_read2_b32 v[76:77], v71 offset0:10 offset1:15
	s_mul_i32 s1, s2, s33
	s_waitcnt lgkmcnt(0)
	s_mul_i32 s1, s1, s0
	s_lshl_b32 s0, s1, 1
	s_mov_b32 s1, 0xff7fffff
	v_max3_f32 v72, v74, s1, v75
	v_max3_f32 v72, v72, v76, v77
	v_sub_f32_e32 v73, v74, v72
	v_sub_f32_e32 v74, v75, v72
	ds_read2_b32 v[78:79], v71 offset0:20 offset1:25
	v_mul_f32_e32 v73, 0x3fb8aa3b, v73
	v_mul_f32_e32 v74, 0x3fb8aa3b, v74
	v_exp_f32_e32 v73, v73
	v_exp_f32_e32 v80, v74
	ds_read2_b32 v[74:75], v71 offset0:30 offset1:35
	v_sub_f32_e32 v71, v76, v72
	v_mul_f32_e32 v71, 0x3fb8aa3b, v71
	v_sub_f32_e32 v76, v77, v72
	v_exp_f32_e32 v71, v71
	v_mul_f32_e32 v76, 0x3fb8aa3b, v76
	v_exp_f32_e32 v76, v76
	s_waitcnt lgkmcnt(1)
	v_fma_f32 v73, v73, v78, 0
	v_fmac_f32_e32 v73, v80, v79
	s_waitcnt lgkmcnt(0)
	v_fmac_f32_e32 v73, v71, v74
	v_fmac_f32_e32 v73, v76, v75
	v_cmp_gt_u32_e32 vcc, 2, v89
	s_and_saveexec_b64 s[2:3], vcc
	s_cbranch_execz .LBB249_21
; %bb.20:
	s_mov_b32 s1, 0
	s_lshl_b64 s[4:5], s[0:1], 2
	s_add_u32 s10, s12, s4
	s_mov_b32 s17, s1
	s_addc_u32 s11, s13, s5
	s_lshl_b64 s[8:9], s[16:17], 2
	s_add_u32 s10, s10, s8
	s_addc_u32 s11, s11, s9
	s_add_u32 s1, s14, s4
	s_addc_u32 s5, s15, s5
	v_or_b32_e32 v71, s34, v89
	s_add_u32 s4, s1, s8
	v_mul_lo_u32 v74, s33, v71
	v_mov_b32_e32 v75, 0
	s_addc_u32 s5, s5, s9
	v_lshlrev_b64 v[74:75], 2, v[74:75]
	v_lshl_add_u64 v[76:77], s[10:11], 0, v[74:75]
	v_lshl_add_u64 v[74:75], s[4:5], 0, v[74:75]
	global_store_dword v[74:75], v72, off
	global_store_dword v[76:77], v73, off
.LBB249_21:
	s_or_b64 exec, exec, s[2:3]
	v_lshlrev_b32_e32 v71, 3, v88
	s_and_saveexec_b64 s[2:3], s[6:7]
	s_xor_b64 s[2:3], exec, s[2:3]
	s_cbranch_execz .LBB249_23
; %bb.22:
	s_mov_b32 s4, 0
	s_mov_b32 s5, s4
	s_waitcnt vmcnt(14)
	v_mad_u32_u24 v4, v1, 40, v71
	v_mov_b64_e32 v[2:3], s[4:5]
	ds_write2st64_b64 v4, v[2:3], v[2:3] offset1:5
                                        ; implicit-def: $vgpr69
                                        ; implicit-def: $vgpr67
                                        ; implicit-def: $vgpr7
                                        ; implicit-def: $vgpr3
                                        ; implicit-def: $vgpr11
                                        ; implicit-def: $vgpr15
                                        ; implicit-def: $vgpr27
                                        ; implicit-def: $vgpr31
                                        ; implicit-def: $vgpr43
                                        ; implicit-def: $vgpr47
                                        ; implicit-def: $vgpr19
                                        ; implicit-def: $vgpr23
                                        ; implicit-def: $vgpr35
                                        ; implicit-def: $vgpr39
                                        ; implicit-def: $vgpr51
                                        ; implicit-def: $vgpr55
                                        ; implicit-def: $vgpr59
                                        ; implicit-def: $vgpr63
                                        ; implicit-def: $vgpr70
                                        ; implicit-def: $vgpr72
                                        ; implicit-def: $vgpr73
                                        ; implicit-def: $vgpr71
.LBB249_23:
	s_andn2_saveexec_b64 s[2:3], s[2:3]
	s_cbranch_execz .LBB249_25
; %bb.24:
	v_add_f32_e32 v73, 0x358637bd, v73
	v_div_scale_f32 v74, s[4:5], v73, v73, 1.0
	v_rcp_f32_e32 v75, v74
	v_sub_f32_e32 v70, v70, v72
	v_mul_f32_e32 v70, 0x3fb8aa3b, v70
	v_exp_f32_e32 v70, v70
	v_fma_f32 v72, -v74, v75, 1.0
	v_fmac_f32_e32 v75, v72, v75
	v_div_scale_f32 v72, vcc, 1.0, v73, 1.0
	v_mul_f32_e32 v76, v72, v75
	v_fma_f32 v77, -v74, v76, v72
	v_fmac_f32_e32 v76, v77, v75
	v_fma_f32 v72, -v74, v76, v72
	v_div_fmas_f32 v72, v72, v75, v76
	v_div_fixup_f32 v72, v72, v73, 1.0
	v_mul_f32_e32 v70, v70, v72
	v_pk_mul_f32 v[68:69], v[68:69], v[70:71] op_sel_hi:[1,0]
	v_pk_mul_f32 v[66:67], v[66:67], v[70:71] op_sel_hi:[1,0]
	v_cvt_f16_f32_e32 v68, v68
	v_cvt_f16_f32_e32 v66, v66
	;; [unrolled: 1-line block ×4, first 2 shown]
	v_pack_b32_f16 v66, v66, v67
	v_pack_b32_f16 v67, v68, v69
	s_waitcnt vmcnt(15)
	s_nop 0
	v_mfma_f32_4x4x4_16b_f16 a[0:3], v[66:67], v[6:7], 0 cbsz:4
	s_nop 1
	v_mfma_f32_4x4x4_16b_f16 a[0:3], v[66:67], v[8:9], a[0:3] cbsz:4 abid:1
	v_mad_u32_u24 v9, v1, 40, v71
	s_waitcnt vmcnt(13)
	v_mfma_f32_4x4x4_16b_f16 a[4:7], v[66:67], v[18:19], 0 cbsz:4
	v_mfma_f32_4x4x4_16b_f16 a[0:3], v[66:67], v[2:3], a[0:3] cbsz:4 abid:2
	s_nop 0
	v_mfma_f32_4x4x4_16b_f16 a[4:7], v[66:67], v[20:21], a[4:7] cbsz:4 abid:1
	v_mfma_f32_4x4x4_16b_f16 a[0:3], v[66:67], v[4:5], a[0:3] cbsz:4 abid:3
	s_waitcnt vmcnt(12)
	v_mfma_f32_4x4x4_16b_f16 a[4:7], v[66:67], v[22:23], a[4:7] cbsz:4 abid:2
	s_waitcnt vmcnt(11)
	v_mfma_f32_4x4x4_16b_f16 a[0:3], v[66:67], v[10:11], a[0:3] cbsz:4 abid:4
	v_mfma_f32_4x4x4_16b_f16 a[4:7], v[66:67], v[24:25], a[4:7] cbsz:4 abid:3
	s_nop 0
	v_mfma_f32_4x4x4_16b_f16 a[0:3], v[66:67], v[12:13], a[0:3] cbsz:4 abid:5
	s_waitcnt vmcnt(9)
	v_mfma_f32_4x4x4_16b_f16 a[4:7], v[66:67], v[34:35], a[4:7] cbsz:4 abid:4
	v_mfma_f32_4x4x4_16b_f16 a[0:3], v[66:67], v[14:15], a[0:3] cbsz:4 abid:6
	s_nop 0
	v_mfma_f32_4x4x4_16b_f16 a[4:7], v[66:67], v[36:37], a[4:7] cbsz:4 abid:5
	v_mfma_f32_4x4x4_16b_f16 a[0:3], v[66:67], v[16:17], a[0:3] cbsz:4 abid:7
	s_waitcnt vmcnt(8)
	v_mfma_f32_4x4x4_16b_f16 a[4:7], v[66:67], v[38:39], a[4:7] cbsz:4 abid:6
	s_waitcnt vmcnt(7)
	v_mfma_f32_4x4x4_16b_f16 a[0:3], v[66:67], v[26:27], a[0:3] cbsz:4 abid:8
	v_mfma_f32_4x4x4_16b_f16 a[4:7], v[66:67], v[40:41], a[4:7] cbsz:4 abid:7
	s_nop 0
	v_mfma_f32_4x4x4_16b_f16 a[0:3], v[66:67], v[28:29], a[0:3] cbsz:4 abid:9
	s_waitcnt vmcnt(5)
	v_mfma_f32_4x4x4_16b_f16 a[4:7], v[66:67], v[50:51], a[4:7] cbsz:4 abid:8
	;; [unrolled: 13-line block ×3, first 2 shown]
	v_mfma_f32_4x4x4_16b_f16 a[0:3], v[66:67], v[46:47], a[0:3] cbsz:4 abid:14
	s_nop 1
	v_mfma_f32_4x4x4_16b_f16 a[0:3], v[66:67], v[48:49], a[0:3] cbsz:4 abid:15
	s_nop 4
	v_accvgpr_read_b32 v2, a0
	v_accvgpr_read_b32 v3, a1
	;; [unrolled: 1-line block ×4, first 2 shown]
	v_mfma_f32_4x4x4_16b_f16 a[0:3], v[66:67], v[60:61], a[4:7] cbsz:4 abid:13
	v_cvt_f16_f32_e32 v2, v2
	v_cvt_f16_f32_e32 v3, v3
	s_waitcnt vmcnt(0)
	v_mfma_f32_4x4x4_16b_f16 a[0:3], v[66:67], v[62:63], a[0:3] cbsz:4 abid:14
	v_pack_b32_f16 v2, v2, v3
	s_nop 0
	v_mfma_f32_4x4x4_16b_f16 a[0:3], v[66:67], v[64:65], a[0:3] cbsz:4 abid:15
	v_cvt_f16_f32_e32 v3, v4
	v_cvt_f16_f32_e32 v4, v5
	v_pack_b32_f16 v3, v3, v4
	s_nop 1
	v_accvgpr_read_b32 v5, a0
	v_accvgpr_read_b32 v6, a1
	;; [unrolled: 1-line block ×4, first 2 shown]
	v_cvt_f16_f32_e32 v5, v5
	v_cvt_f16_f32_e32 v6, v6
	v_cvt_f16_f32_e32 v7, v7
	v_cvt_f16_f32_e32 v8, v8
	v_pack_b32_f16 v4, v5, v6
	v_pack_b32_f16 v5, v7, v8
	ds_write2st64_b64 v9, v[2:3], v[4:5] offset1:5
.LBB249_25:
	s_or_b64 exec, exec, s[2:3]
	v_cmp_gt_u32_e32 vcc, 64, v0
	s_waitcnt lgkmcnt(0)
	s_barrier
	s_and_saveexec_b64 s[2:3], vcc
	s_cbranch_execz .LBB249_27
; %bb.26:
	s_waitcnt vmcnt(15)
	v_mul_u32_u24_e32 v6, 40, v1
	s_waitcnt vmcnt(14)
	ds_read2_b64 v[2:5], v6 offset1:1
	s_mov_b32 s1, 0
	s_waitcnt lgkmcnt(0)
	v_mov_b32_e32 v3, 0xa00
	s_lshl_b32 s0, s0, 7
	ds_read2_b64 v[6:9], v6 offset0:2 offset1:3
	v_mad_u32_u24 v3, v1, 40, v3
	v_pk_add_f16 v2, v2, 0
	s_lshl_b64 s[2:3], s[0:1], 1
	s_waitcnt lgkmcnt(0)
	v_pk_add_f16 v7, v2, v4
	v_mov_b32_e32 v9, 0xa10
	ds_read2_b64 v[2:5], v3 offset1:1
	s_add_u32 s2, s18, s2
	v_mad_u32_u24 v1, v1, 40, v9
	s_waitcnt vmcnt(11)
	ds_read2_b64 v[10:13], v1 offset1:1
	s_addc_u32 s3, s19, s3
	s_lshl_b32 s0, s16, 7
	s_lshl_b64 s[0:1], s[0:1], 1
	s_add_u32 s0, s2, s0
	v_pk_add_f16 v1, v7, v6
	s_addc_u32 s1, s3, s1
	s_lshl_b32 s2, s33, 7
	v_pk_add_f16 v6, v1, v8
	s_waitcnt lgkmcnt(1)
	v_pk_add_f16 v1, v2, 0
	s_mul_i32 s3, s2, s34
	v_pk_add_f16 v1, v1, v4
	v_or_b32_e32 v2, s3, v0
	v_mov_b32_e32 v3, 0
	s_add_i32 s3, s3, s2
	s_waitcnt lgkmcnt(0)
	v_pk_add_f16 v1, v1, v10
	v_lshl_add_u64 v[4:5], v[2:3], 1, s[0:1]
	v_or_b32_e32 v2, s3, v0
	v_pk_add_f16 v7, v1, v12
	v_lshl_add_u64 v[0:1], v[2:3], 1, s[0:1]
	global_store_short v[4:5], v6, off
	global_store_short_d16_hi v[0:1], v6, off
	global_store_short v[4:5], v7, off offset:128
	global_store_short_d16_hi v[0:1], v7, off offset:128
.LBB249_27:
	s_endpgm
	.section	.rodata,"a",@progbits
	.p2align	6, 0x0
	.amdhsa_kernel _Z38paged_attention_ll4mi_QKV_mfma4_kernelIDF16_DF16_LN4vllm18Fp8KVCacheDataTypeE0EDF16_Li16ELi128ELi256ELb1ELi2EEvPKT_PKT0_S7_ifPKiS9_S9_iPKfiiiPfSC_PS2_PT2_iSB_SB_
		.amdhsa_group_segment_fixed_size 5280
		.amdhsa_private_segment_fixed_size 0
		.amdhsa_kernarg_size 400
		.amdhsa_user_sgpr_count 2
		.amdhsa_user_sgpr_dispatch_ptr 0
		.amdhsa_user_sgpr_queue_ptr 0
		.amdhsa_user_sgpr_kernarg_segment_ptr 1
		.amdhsa_user_sgpr_dispatch_id 0
		.amdhsa_user_sgpr_kernarg_preload_length 0
		.amdhsa_user_sgpr_kernarg_preload_offset 0
		.amdhsa_user_sgpr_private_segment_size 0
		.amdhsa_uses_dynamic_stack 0
		.amdhsa_enable_private_segment 0
		.amdhsa_system_sgpr_workgroup_id_x 1
		.amdhsa_system_sgpr_workgroup_id_y 1
		.amdhsa_system_sgpr_workgroup_id_z 1
		.amdhsa_system_sgpr_workgroup_info 0
		.amdhsa_system_vgpr_workitem_id 0
		.amdhsa_next_free_vgpr 108
		.amdhsa_next_free_sgpr 40
		.amdhsa_accum_offset 100
		.amdhsa_reserve_vcc 1
		.amdhsa_float_round_mode_32 0
		.amdhsa_float_round_mode_16_64 0
		.amdhsa_float_denorm_mode_32 3
		.amdhsa_float_denorm_mode_16_64 3
		.amdhsa_dx10_clamp 1
		.amdhsa_ieee_mode 1
		.amdhsa_fp16_overflow 0
		.amdhsa_tg_split 0
		.amdhsa_exception_fp_ieee_invalid_op 0
		.amdhsa_exception_fp_denorm_src 0
		.amdhsa_exception_fp_ieee_div_zero 0
		.amdhsa_exception_fp_ieee_overflow 0
		.amdhsa_exception_fp_ieee_underflow 0
		.amdhsa_exception_fp_ieee_inexact 0
		.amdhsa_exception_int_div_zero 0
	.end_amdhsa_kernel
	.section	.text._Z38paged_attention_ll4mi_QKV_mfma4_kernelIDF16_DF16_LN4vllm18Fp8KVCacheDataTypeE0EDF16_Li16ELi128ELi256ELb1ELi2EEvPKT_PKT0_S7_ifPKiS9_S9_iPKfiiiPfSC_PS2_PT2_iSB_SB_,"axG",@progbits,_Z38paged_attention_ll4mi_QKV_mfma4_kernelIDF16_DF16_LN4vllm18Fp8KVCacheDataTypeE0EDF16_Li16ELi128ELi256ELb1ELi2EEvPKT_PKT0_S7_ifPKiS9_S9_iPKfiiiPfSC_PS2_PT2_iSB_SB_,comdat
.Lfunc_end249:
	.size	_Z38paged_attention_ll4mi_QKV_mfma4_kernelIDF16_DF16_LN4vllm18Fp8KVCacheDataTypeE0EDF16_Li16ELi128ELi256ELb1ELi2EEvPKT_PKT0_S7_ifPKiS9_S9_iPKfiiiPfSC_PS2_PT2_iSB_SB_, .Lfunc_end249-_Z38paged_attention_ll4mi_QKV_mfma4_kernelIDF16_DF16_LN4vllm18Fp8KVCacheDataTypeE0EDF16_Li16ELi128ELi256ELb1ELi2EEvPKT_PKT0_S7_ifPKiS9_S9_iPKfiiiPfSC_PS2_PT2_iSB_SB_
                                        ; -- End function
	.section	.AMDGPU.csdata,"",@progbits
; Kernel info:
; codeLenInByte = 3848
; NumSgprs: 46
; NumVgprs: 100
; NumAgprs: 8
; TotalNumVgprs: 108
; ScratchSize: 0
; MemoryBound: 0
; FloatMode: 240
; IeeeMode: 1
; LDSByteSize: 5280 bytes/workgroup (compile time only)
; SGPRBlocks: 5
; VGPRBlocks: 13
; NumSGPRsForWavesPerEU: 46
; NumVGPRsForWavesPerEU: 108
; AccumOffset: 100
; Occupancy: 4
; WaveLimiterHint : 1
; COMPUTE_PGM_RSRC2:SCRATCH_EN: 0
; COMPUTE_PGM_RSRC2:USER_SGPR: 2
; COMPUTE_PGM_RSRC2:TRAP_HANDLER: 0
; COMPUTE_PGM_RSRC2:TGID_X_EN: 1
; COMPUTE_PGM_RSRC2:TGID_Y_EN: 1
; COMPUTE_PGM_RSRC2:TGID_Z_EN: 1
; COMPUTE_PGM_RSRC2:TIDIG_COMP_CNT: 0
; COMPUTE_PGM_RSRC3_GFX90A:ACCUM_OFFSET: 24
; COMPUTE_PGM_RSRC3_GFX90A:TG_SPLIT: 0
	.section	.text._Z38paged_attention_ll4mi_QKV_mfma4_kernelIDF16_DF16_LN4vllm18Fp8KVCacheDataTypeE0EDF16_Li16ELi128ELi256ELb1ELi3EEvPKT_PKT0_S7_ifPKiS9_S9_iPKfiiiPfSC_PS2_PT2_iSB_SB_,"axG",@progbits,_Z38paged_attention_ll4mi_QKV_mfma4_kernelIDF16_DF16_LN4vllm18Fp8KVCacheDataTypeE0EDF16_Li16ELi128ELi256ELb1ELi3EEvPKT_PKT0_S7_ifPKiS9_S9_iPKfiiiPfSC_PS2_PT2_iSB_SB_,comdat
	.protected	_Z38paged_attention_ll4mi_QKV_mfma4_kernelIDF16_DF16_LN4vllm18Fp8KVCacheDataTypeE0EDF16_Li16ELi128ELi256ELb1ELi3EEvPKT_PKT0_S7_ifPKiS9_S9_iPKfiiiPfSC_PS2_PT2_iSB_SB_ ; -- Begin function _Z38paged_attention_ll4mi_QKV_mfma4_kernelIDF16_DF16_LN4vllm18Fp8KVCacheDataTypeE0EDF16_Li16ELi128ELi256ELb1ELi3EEvPKT_PKT0_S7_ifPKiS9_S9_iPKfiiiPfSC_PS2_PT2_iSB_SB_
	.globl	_Z38paged_attention_ll4mi_QKV_mfma4_kernelIDF16_DF16_LN4vllm18Fp8KVCacheDataTypeE0EDF16_Li16ELi128ELi256ELb1ELi3EEvPKT_PKT0_S7_ifPKiS9_S9_iPKfiiiPfSC_PS2_PT2_iSB_SB_
	.p2align	8
	.type	_Z38paged_attention_ll4mi_QKV_mfma4_kernelIDF16_DF16_LN4vllm18Fp8KVCacheDataTypeE0EDF16_Li16ELi128ELi256ELb1ELi3EEvPKT_PKT0_S7_ifPKiS9_S9_iPKfiiiPfSC_PS2_PT2_iSB_SB_,@function
_Z38paged_attention_ll4mi_QKV_mfma4_kernelIDF16_DF16_LN4vllm18Fp8KVCacheDataTypeE0EDF16_Li16ELi128ELi256ELb1ELi3EEvPKT_PKT0_S7_ifPKiS9_S9_iPKfiiiPfSC_PS2_PT2_iSB_SB_: ; @_Z38paged_attention_ll4mi_QKV_mfma4_kernelIDF16_DF16_LN4vllm18Fp8KVCacheDataTypeE0EDF16_Li16ELi128ELi256ELb1ELi3EEvPKT_PKT0_S7_ifPKiS9_S9_iPKfiiiPfSC_PS2_PT2_iSB_SB_
; %bb.0:
	s_load_dwordx2 s[8:9], s[0:1], 0x30
	s_mov_b32 s16, s3
	s_mov_b64 s[6:7], 0
	s_waitcnt lgkmcnt(0)
	s_cmp_lg_u64 s[8:9], 0
	s_cselect_b64 s[10:11], -1, 0
	s_and_b64 vcc, exec, s[10:11]
	s_cbranch_vccz .LBB250_10
; %bb.1:
	s_add_i32 s12, s2, 1
	s_mov_b32 s13, 0
	s_lshl_b64 s[14:15], s[12:13], 2
	s_add_u32 s14, s8, s14
	s_mov_b32 s3, s13
	s_addc_u32 s15, s9, s15
	s_lshl_b64 s[12:13], s[2:3], 2
	s_add_u32 s12, s8, s12
	s_addc_u32 s13, s9, s13
	s_load_dword s5, s[14:15], 0x0
	s_load_dword s17, s[12:13], 0x0
	s_waitcnt lgkmcnt(0)
	s_sub_i32 s5, s5, s17
	s_cmp_eq_u32 s5, 1
	s_cselect_b64 s[12:13], -1, 0
	s_andn2_b64 vcc, exec, s[6:7]
	s_cbranch_vccnz .LBB250_3
.LBB250_2:
	s_mov_b32 s3, 0
	s_mov_b64 s[12:13], -1
.LBB250_3:
	s_andn2_b64 vcc, exec, s[12:13]
	s_cbranch_vccnz .LBB250_27
; %bb.4:
	s_load_dword s5, s[0:1], 0x9c
	s_load_dwordx2 s[6:7], s[0:1], 0x28
	s_add_u32 s20, s0, 0x90
	s_addc_u32 s21, s1, 0
	s_lshl_b64 s[24:25], s[2:3], 2
	s_waitcnt lgkmcnt(0)
	s_and_b32 s5, s5, 0xffff
	s_add_u32 s6, s6, s24
	s_addc_u32 s7, s7, s25
	s_load_dword s3, s[6:7], 0x0
	s_mul_i32 s5, s16, s5
	s_waitcnt lgkmcnt(0)
	s_cmp_ge_i32 s5, s3
	s_cbranch_scc1 .LBB250_27
; %bb.5:
	v_and_b32_e32 v1, 0xc0, v0
	v_add_u32_e32 v2, s5, v1
	v_lshrrev_b32_e32 v86, 6, v0
	v_cmp_le_i32_e64 s[6:7], s3, v2
                                        ; implicit-def: $sgpr26
                                        ; implicit-def: $sgpr17
	s_and_saveexec_b64 s[12:13], s[6:7]
	s_xor_b64 s[12:13], exec, s[12:13]
	s_cbranch_execz .LBB250_7
; %bb.6:
	v_mul_u32_u24_e32 v1, 20, v86
	v_or_b32_e32 v1, 0x1400, v1
	v_mov_b32_e32 v2, 0x1450
	v_mov_b32_e32 v3, 0xff7fffff
	v_mad_u32_u24 v2, v86, 20, v2
	ds_write2_b32 v1, v3, v3 offset1:1
	v_mov_b32_e32 v1, 0
	ds_write2_b32 v2, v1, v1 offset1:1
	v_mov_b32_e32 v2, 0x1408
	s_mov_b32 s17, 0xff7fffff
	s_mov_b32 s26, 0
	v_mad_u32_u24 v2, v86, 20, v2
	v_mov_b32_e32 v4, 0x1458
	v_mad_u32_u24 v4, v86, 20, v4
	ds_write2_b32 v2, v3, v3 offset1:1
	ds_write2_b32 v4, v1, v1 offset1:1
                                        ; implicit-def: $vgpr2
.LBB250_7:
	s_or_saveexec_b64 s[22:23], s[12:13]
	s_load_dwordx2 s[18:19], s[0:1], 0x68
	s_load_dwordx4 s[12:15], s[0:1], 0x58
	s_load_dword s33, s[20:21], 0x4
	v_and_b32_e32 v1, 63, v0
	v_and_b32_e32 v87, 3, v0
	s_mul_i32 s34, s4, 3
	v_mov_b32_e32 v69, s26
	v_mov_b32_e32 v70, s17
	v_mov_b32_e32 v68, s26
	v_mov_b32_e32 v67, s26
	v_mov_b32_e32 v66, s26
                                        ; implicit-def: $vgpr7
                                        ; implicit-def: $vgpr3
                                        ; implicit-def: $vgpr11
                                        ; implicit-def: $vgpr15
                                        ; implicit-def: $vgpr27
                                        ; implicit-def: $vgpr31
                                        ; implicit-def: $vgpr43
                                        ; implicit-def: $vgpr47
                                        ; implicit-def: $vgpr19
                                        ; implicit-def: $vgpr23
                                        ; implicit-def: $vgpr35
                                        ; implicit-def: $vgpr39
                                        ; implicit-def: $vgpr51
                                        ; implicit-def: $vgpr55
                                        ; implicit-def: $vgpr59
                                        ; implicit-def: $vgpr63
	s_xor_b64 exec, exec, s[22:23]
	s_cbranch_execz .LBB250_19
; %bb.8:
	s_add_i32 s28, s3, 15
	s_ashr_i32 s29, s28, 31
	s_lshr_b32 s29, s29, 28
	v_add_u32_e32 v88, s5, v0
	s_add_i32 s28, s28, s29
	v_ashrrev_i32_e32 v3, 31, v88
	s_load_dwordx2 s[26:27], s[0:1], 0x20
	s_load_dword s17, s[0:1], 0x38
	s_ashr_i32 s28, s28, 4
	v_lshrrev_b32_e32 v3, 28, v3
	s_add_i32 s30, s28, -1
	v_add_u32_e32 v3, v88, v3
	v_ashrrev_i32_e32 v3, 4, v3
	v_mov_b32_e32 v4, s30
	v_cmp_gt_i32_e32 vcc, s3, v88
	s_waitcnt lgkmcnt(0)
	s_mul_i32 s28, s2, s17
	s_mov_b32 s29, 0
	v_cndmask_b32_e32 v4, v4, v3, vcc
	v_ashrrev_i32_e32 v3, 31, v2
	v_lshrrev_b32_e32 v3, 28, v3
	v_add_u32_e32 v2, v2, v3
	s_lshl_b64 s[28:29], s[28:29], 2
	v_ashrrev_i32_e32 v12, 4, v2
	s_add_u32 s26, s26, s28
	v_min_i32_e32 v2, s30, v12
	s_addc_u32 s27, s27, s29
	v_ashrrev_i32_e32 v3, 31, v2
	v_lshl_add_u64 v[6:7], v[2:3], 2, s[26:27]
	v_add_u32_e32 v2, 1, v12
	v_min_i32_e32 v2, s30, v2
	v_ashrrev_i32_e32 v3, 31, v2
	v_lshl_add_u64 v[8:9], v[2:3], 2, s[26:27]
	v_add_u32_e32 v2, 2, v12
	v_min_i32_e32 v2, s30, v2
	v_ashrrev_i32_e32 v3, 31, v2
	v_lshl_add_u64 v[10:11], v[2:3], 2, s[26:27]
	v_add_u32_e32 v2, 3, v12
	v_ashrrev_i32_e32 v5, 31, v4
	v_min_i32_e32 v2, s30, v2
	v_lshl_add_u64 v[4:5], v[4:5], 2, s[26:27]
	v_ashrrev_i32_e32 v3, 31, v2
	v_lshl_add_u64 v[12:13], v[2:3], 2, s[26:27]
	global_load_dword v3, v[4:5], off
	global_load_dword v2, v[6:7], off
	global_load_dword v91, v[8:9], off
	global_load_dword v90, v[10:11], off
	global_load_dword v89, v[12:13], off
	s_load_dwordx2 s[26:27], s[0:1], 0x8
	s_andn2_b64 vcc, exec, s[10:11]
	s_cbranch_vccnz .LBB250_11
; %bb.9:
	s_add_u32 s8, s8, s24
	s_addc_u32 s9, s9, s25
	s_load_dword s5, s[8:9], 0x0
	s_branch .LBB250_12
.LBB250_10:
	s_mov_b64 s[12:13], 0
	s_branch .LBB250_2
.LBB250_11:
	s_mov_b32 s5, s2
.LBB250_12:
	s_load_dwordx2 s[24:25], s[0:1], 0x10
	s_load_dwordx4 s[8:11], s[0:1], 0x48
	v_cmp_ne_u32_e32 vcc, 3, v87
	s_mov_b32 s29, 0
	v_mov_b32_e32 v83, 0
	v_mov_b32_e32 v58, 0
	;; [unrolled: 1-line block ×5, first 2 shown]
	s_and_saveexec_b64 s[30:31], vcc
	s_cbranch_execz .LBB250_14
; %bb.13:
	s_load_dwordx2 s[36:37], s[0:1], 0x0
	s_waitcnt lgkmcnt(0)
	s_ashr_i32 s11, s8, 31
	s_mul_hi_u32 s17, s5, s8
	s_mul_i32 s11, s5, s11
	s_add_i32 s39, s17, s11
	s_mul_i32 s38, s5, s8
	s_lshl_b64 s[38:39], s[38:39], 1
	s_add_u32 s5, s36, s38
	s_mul_i32 s28, s4, 0x180
	s_addc_u32 s8, s37, s39
	s_lshl_b64 s[36:37], s[28:29], 1
	v_lshlrev_b32_e32 v4, 2, v1
	s_add_u32 s36, s5, s36
	v_and_b32_e32 v4, 0xf0, v4
	s_addc_u32 s37, s8, s37
	v_lshl_or_b32 v4, v87, 8, v4
	global_load_dwordx4 v[58:61], v4, s[36:37]
.LBB250_14:
	s_or_b64 exec, exec, s[30:31]
	s_waitcnt lgkmcnt(0)
	s_mul_i32 s28, s4, s10
	s_lshl_b64 s[4:5], s[28:29], 1
	s_add_u32 s10, s4, s26
	s_waitcnt vmcnt(4)
	v_mad_i64_i32 v[4:5], s[30:31], v3, s9, 0
	s_addc_u32 s11, s5, s27
	v_and_b32_e32 v3, 15, v0
	v_lshl_add_u64 v[4:5], v[4:5], 1, s[10:11]
	v_lshlrev_b32_e32 v82, 4, v3
	v_lshl_add_u64 v[4:5], v[4:5], 0, v[82:83]
	global_load_dwordx4 v[18:21], v[4:5], off
	global_load_dwordx4 v[78:81], v[4:5], off offset:256
	global_load_dwordx4 v[38:41], v[4:5], off offset:512
	;; [unrolled: 1-line block ×15, first 2 shown]
	v_mov_b32_e32 v85, 1.0
	v_mov_b32_e32 v84, 0
	s_and_saveexec_b64 s[10:11], vcc
	s_cbranch_execz .LBB250_16
; %bb.15:
	s_load_dwordx2 s[26:27], s[0:1], 0x40
	v_add_u32_e32 v84, s34, v87
	v_mov_b32_e32 v85, 0
	s_waitcnt lgkmcnt(0)
	v_lshl_add_u64 v[4:5], v[84:85], 2, s[26:27]
	global_load_dword v84, v[4:5], off
.LBB250_16:
	s_or_b64 exec, exec, s[10:11]
	s_waitcnt vmcnt(15)
	v_mfma_f32_4x4x4_16b_f16 a[0:3], v[58:59], v[18:19], 0 cbsz:4
	s_load_dword s0, s[0:1], 0x1c
	v_mul_hi_i32 v3, v2, s9
	v_mfma_f32_4x4x4_16b_f16 a[0:3], v[60:61], v[20:21], a[0:3] cbsz:4
	v_ashrrev_i32_e32 v3, 31, v3
	v_lshrrev_b32_e32 v92, 29, v3
	s_waitcnt vmcnt(14)
	v_mfma_f32_4x4x4_16b_f16 a[0:3], v[58:59], v[78:79], a[0:3] cbsz:4 abid:1
	v_mul_hi_i32 v78, v91, s9
	v_mov_b32_e32 v93, 0
	v_mfma_f32_4x4x4_16b_f16 a[0:3], v[60:61], v[80:81], a[0:3] cbsz:4 abid:1
	v_ashrrev_i32_e32 v78, 31, v78
	v_mad_i64_i32 v[2:3], s[10:11], v2, s9, v[92:93]
	s_waitcnt vmcnt(13)
	v_mfma_f32_4x4x4_16b_f16 a[0:3], v[58:59], v[38:39], a[0:3] cbsz:4 abid:2
	v_lshrrev_b32_e32 v92, 29, v78
	v_mad_i64_i32 v[38:39], s[10:11], v91, s9, v[92:93]
	v_mfma_f32_4x4x4_16b_f16 a[0:3], v[60:61], v[40:41], a[0:3] cbsz:4 abid:2
	v_cmp_eq_u32_e32 vcc, 0, v87
	s_add_u32 s4, s24, s4
	s_waitcnt vmcnt(12)
	v_mfma_f32_4x4x4_16b_f16 a[0:3], v[58:59], v[14:15], a[0:3] cbsz:4 abid:3
	v_lshlrev_b64 v[2:3], 1, v[2:3]
	v_lshlrev_b64 v[14:15], 1, v[38:39]
	v_mfma_f32_4x4x4_16b_f16 a[0:3], v[60:61], v[16:17], a[0:3] cbsz:4 abid:3
	s_addc_u32 s5, s25, s5
	v_and_b32_e32 v2, -16, v2
	s_waitcnt vmcnt(11)
	v_mfma_f32_4x4x4_16b_f16 a[0:3], v[58:59], v[10:11], a[0:3] cbsz:4 abid:4
	v_and_b32_e32 v14, -16, v14
	v_lshl_add_u64 v[2:3], s[4:5], 0, v[2:3]
	v_mfma_f32_4x4x4_16b_f16 a[0:3], v[60:61], v[12:13], a[0:3] cbsz:4 abid:4
	v_lshlrev_b32_e32 v82, 5, v1
	v_lshl_add_u64 v[10:11], s[4:5], 0, v[14:15]
	s_waitcnt vmcnt(10)
	v_mfma_f32_4x4x4_16b_f16 a[0:3], v[58:59], v[34:35], a[0:3] cbsz:4 abid:5
	v_lshl_add_u64 v[94:95], v[2:3], 0, v[82:83]
	v_lshl_add_u64 v[78:79], v[10:11], 0, v[82:83]
	v_mfma_f32_4x4x4_16b_f16 a[0:3], v[60:61], v[36:37], a[0:3] cbsz:4 abid:5
	global_load_dwordx4 v[6:9], v[94:95], off
	global_load_dwordx4 v[2:5], v[94:95], off offset:16
	s_waitcnt vmcnt(11)
	v_mfma_f32_4x4x4_16b_f16 a[0:3], v[58:59], v[74:75], a[0:3] cbsz:4 abid:6
	v_mul_hi_i32 v74, v90, s9
	v_ashrrev_i32_e32 v74, 31, v74
	v_mfma_f32_4x4x4_16b_f16 a[0:3], v[60:61], v[76:77], a[0:3] cbsz:4 abid:6
	v_lshrrev_b32_e32 v92, 29, v74
	global_load_dwordx4 v[18:21], v[94:95], off offset:2048
	global_load_dwordx4 v[22:25], v[94:95], off offset:2064
	s_waitcnt vmcnt(12)
	v_mfma_f32_4x4x4_16b_f16 a[0:3], v[58:59], v[54:55], a[0:3] cbsz:4 abid:7
	v_mad_i64_i32 v[54:55], s[10:11], v90, s9, v[92:93]
	s_nop 0
	v_mfma_f32_4x4x4_16b_f16 a[0:3], v[60:61], v[56:57], a[0:3] cbsz:4 abid:7
	global_load_dwordx4 v[10:13], v[78:79], off
	global_load_dwordx4 v[14:17], v[78:79], off offset:16
	s_waitcnt vmcnt(13)
	v_mfma_f32_4x4x4_16b_f16 a[0:3], v[58:59], v[30:31], a[0:3] cbsz:4 abid:8
	v_lshlrev_b64 v[30:31], 1, v[54:55]
	v_and_b32_e32 v30, -16, v30
	v_mfma_f32_4x4x4_16b_f16 a[0:3], v[60:61], v[32:33], a[0:3] cbsz:4 abid:8
	global_load_dwordx4 v[34:37], v[78:79], off offset:2048
	global_load_dwordx4 v[38:41], v[78:79], off offset:2064
	s_waitcnt vmcnt(14)
	v_mfma_f32_4x4x4_16b_f16 a[0:3], v[58:59], v[26:27], a[0:3] cbsz:4 abid:9
	v_lshl_add_u64 v[26:27], s[4:5], 0, v[30:31]
	v_lshl_add_u64 v[74:75], v[26:27], 0, v[82:83]
	v_mfma_f32_4x4x4_16b_f16 a[0:3], v[60:61], v[28:29], a[0:3] cbsz:4 abid:9
	global_load_dwordx4 v[26:29], v[74:75], off
	global_load_dwordx4 v[30:33], v[74:75], off offset:16
	s_waitcnt vmcnt(15)
	v_mfma_f32_4x4x4_16b_f16 a[0:3], v[58:59], v[50:51], a[0:3] cbsz:4 abid:10
	s_nop 1
	v_mfma_f32_4x4x4_16b_f16 a[0:3], v[60:61], v[52:53], a[0:3] cbsz:4 abid:10
	global_load_dwordx4 v[50:53], v[74:75], off offset:2048
	global_load_dwordx4 v[54:57], v[74:75], off offset:2064
	s_waitcnt vmcnt(16)
	v_mfma_f32_4x4x4_16b_f16 a[0:3], v[58:59], v[70:71], a[0:3] cbsz:4 abid:11
	v_mul_hi_i32 v70, v89, s9
	v_ashrrev_i32_e32 v70, 31, v70
	v_mfma_f32_4x4x4_16b_f16 a[0:3], v[60:61], v[72:73], a[0:3] cbsz:4 abid:11
	v_lshrrev_b32_e32 v92, 29, v70
	v_mov_b32_e32 v73, 0xff7fffff
	s_waitcnt vmcnt(15)
	v_mfma_f32_4x4x4_16b_f16 a[0:3], v[58:59], v[66:67], a[0:3] cbsz:4 abid:12
	v_mad_i64_i32 v[66:67], s[8:9], v89, s9, v[92:93]
	s_nop 0
	v_mfma_f32_4x4x4_16b_f16 a[0:3], v[60:61], v[68:69], a[0:3] cbsz:4 abid:12
	s_waitcnt vmcnt(14)
	s_nop 0
	v_mfma_f32_4x4x4_16b_f16 a[0:3], v[58:59], v[46:47], a[0:3] cbsz:4 abid:13
	v_lshlrev_b64 v[46:47], 1, v[66:67]
	v_and_b32_e32 v46, -16, v46
	v_mfma_f32_4x4x4_16b_f16 a[0:3], v[60:61], v[48:49], a[0:3] cbsz:4 abid:13
	s_waitcnt vmcnt(13)
	s_nop 0
	v_mfma_f32_4x4x4_16b_f16 a[0:3], v[58:59], v[42:43], a[0:3] cbsz:4 abid:14
	v_lshl_add_u64 v[42:43], s[4:5], 0, v[46:47]
	v_lshl_add_u64 v[66:67], v[42:43], 0, v[82:83]
	v_mfma_f32_4x4x4_16b_f16 a[0:3], v[60:61], v[44:45], a[0:3] cbsz:4 abid:14
	global_load_dwordx4 v[42:45], v[66:67], off
	global_load_dwordx4 v[46:49], v[66:67], off offset:16
	s_waitcnt vmcnt(14)
	v_mfma_f32_4x4x4_16b_f16 a[0:3], v[58:59], v[62:63], a[0:3] cbsz:4 abid:15
	s_nop 1
	v_mfma_f32_4x4x4_16b_f16 a[0:3], v[60:61], v[64:65], a[0:3] cbsz:4 abid:15
	s_nop 4
	v_accvgpr_read_b32 v61, a1
	v_accvgpr_read_b32 v60, a0
	s_waitcnt lgkmcnt(0)
	v_pk_mul_f32 v[60:61], s[0:1], v[60:61] op_sel_hi:[0,1]
	v_accvgpr_read_b32 v59, a3
	v_accvgpr_read_b32 v58, a2
	v_pk_mul_f32 v[68:69], s[0:1], v[58:59] op_sel_hi:[0,1]
	v_cndmask_b32_e64 v58, 0, 1.0, vcc
	v_cmp_eq_u32_e32 vcc, 1, v87
	s_nop 0
	v_mfma_f32_4x4x1_16b_f32 a[0:3], v60, v58, 0
	v_cndmask_b32_e64 v58, 0, 1.0, vcc
	v_cmp_eq_u32_e32 vcc, 2, v87
	s_nop 0
	v_mfma_f32_4x4x1_16b_f32 a[0:3], v61, v58, a[0:3]
	v_cndmask_b32_e64 v58, 0, 1.0, vcc
	s_nop 1
	v_mfma_f32_4x4x1_16b_f32 a[0:3], v68, v58, a[0:3]
	global_load_dwordx4 v[58:61], v[66:67], off offset:2048
	global_load_dwordx4 v[62:65], v[66:67], off offset:2064
	v_and_b32_e32 v66, -4, v88
	v_subrev_u32_e32 v67, s3, v66
	v_add_u32_e32 v68, 1, v67
	v_mfma_f32_4x4x1_16b_f32 a[0:3], v69, v85, a[0:3]
	v_cvt_f32_i32_e32 v68, v68
	v_add_u32_e32 v69, 2, v67
	v_cvt_f32_i32_e32 v69, v69
	v_cmp_gt_i32_e32 vcc, s3, v66
	v_accvgpr_read_b32 v70, a0
	v_fma_f32 v68, v84, v68, v70
	v_accvgpr_read_b32 v70, a1
	v_fma_f32 v69, v84, v69, v70
	v_add_u32_e32 v70, 3, v67
	v_cvt_f32_i32_e32 v70, v70
	v_accvgpr_read_b32 v71, a2
	v_add_u32_e32 v67, 4, v67
	v_cvt_f32_i32_e32 v67, v67
	v_fma_f32 v71, v84, v70, v71
	v_max_f32_e32 v70, 0xff7fffff, v68
	v_cndmask_b32_e32 v70, v73, v70, vcc
	v_or_b32_e32 v73, 1, v66
	v_max_f32_e32 v74, v70, v69
	v_cmp_gt_i32_e64 s[0:1], s3, v73
	v_or_b32_e32 v66, 2, v66
	v_accvgpr_read_b32 v72, a3
	v_cndmask_b32_e64 v70, v70, v74, s[0:1]
	v_max_f32_e32 v73, v70, v71
	v_cmp_gt_i32_e64 s[4:5], s3, v66
	v_fmac_f32_e32 v72, v84, v67
	v_lshlrev_b32_e32 v67, 2, v0
	v_cndmask_b32_e64 v66, v70, v73, s[4:5]
	v_or_b32_e32 v70, 3, v88
	v_max_f32_e32 v73, v66, v72
	v_cmp_gt_i32_e64 s[8:9], s3, v70
	v_and_or_b32 v67, v67, 48, v87
	s_nop 0
	v_cndmask_b32_e64 v66, v66, v73, s[8:9]
	;;#ASMSTART
	v_nop
 v_nop
 v_max_f32_dpp v66, v66, v66 row_ror:4
	;;#ASMEND
	v_lshlrev_b32_e32 v73, 2, v67
	;;#ASMSTART
	v_nop
 v_nop
 v_max_f32_dpp v66, v66, v66 row_ror:8
	;;#ASMEND
	ds_bpermute_b32 v66, v73, v66
	s_waitcnt lgkmcnt(0)
	;;#ASMSTART
	v_nop
 v_nop
 v_max_f32_dpp v66, v66, v66 row_ror:4
	;;#ASMEND
	s_nop 0
	;;#ASMSTART
	v_nop
 v_nop
 v_max_f32_dpp v70, v66, v66 row_ror:8
	;;#ASMEND
	s_nop 0
	v_sub_f32_e32 v66, v68, v70
	v_mul_f32_e32 v66, 0x3fb8aa3b, v66
	v_sub_f32_e32 v67, v69, v70
	v_exp_f32_e32 v66, v66
	v_mul_f32_e32 v67, 0x3fb8aa3b, v67
	v_sub_f32_e32 v69, v71, v70
	v_exp_f32_e32 v67, v67
	;; [unrolled: 3-line block ×3, first 2 shown]
	v_mul_f32_e32 v71, 0x3fb8aa3b, v71
	v_exp_f32_e32 v71, v71
	v_cndmask_b32_e32 v66, 0, v66, vcc
	v_add_f32_e32 v68, 0, v66
	v_cndmask_b32_e64 v67, 0, v67, s[0:1]
	v_add_f32_e32 v72, v68, v67
	v_cndmask_b32_e64 v68, 0, v69, s[4:5]
	;; [unrolled: 2-line block ×3, first 2 shown]
	v_add_f32_e32 v71, v72, v69
	;;#ASMSTART
	v_nop
 v_nop
 v_add_f32_dpp v71, v71, v71 row_ror:4
	;;#ASMEND
	v_cmp_gt_u32_e32 vcc, 4, v1
	;;#ASMSTART
	v_nop
 v_nop
 v_add_f32_dpp v71, v71, v71 row_ror:8
	;;#ASMEND
	ds_bpermute_b32 v71, v73, v71
	s_waitcnt lgkmcnt(0)
	;;#ASMSTART
	v_nop
 v_nop
 v_add_f32_dpp v71, v71, v71 row_ror:4
	;;#ASMEND
	s_nop 0
	;;#ASMSTART
	v_nop
 v_nop
 v_add_f32_dpp v71, v71, v71 row_ror:8
	;;#ASMEND
	s_and_saveexec_b64 s[0:1], vcc
	s_cbranch_execz .LBB250_18
; %bb.17:
	v_mul_u32_u24_e32 v72, 20, v86
	v_lshl_add_u32 v72, v87, 2, v72
	v_add_u32_e32 v72, 0x1400, v72
	ds_write2_b32 v72, v70, v71 offset1:20
.LBB250_18:
	s_or_b64 exec, exec, s[0:1]
.LBB250_19:
	s_or_b64 exec, exec, s[22:23]
	s_waitcnt lgkmcnt(0)
	s_barrier
	s_load_dword s0, s[20:21], 0x8
	v_lshlrev_b32_e32 v71, 2, v87
	v_add_u32_e32 v71, 0x1400, v71
	ds_read2_b32 v[74:75], v71 offset1:5
	ds_read2_b32 v[76:77], v71 offset0:10 offset1:15
	s_mul_i32 s1, s2, s33
	s_waitcnt lgkmcnt(0)
	s_mul_i32 s0, s1, s0
	s_mov_b32 s1, 0xff7fffff
	v_max3_f32 v72, v74, s1, v75
	v_max3_f32 v72, v72, v76, v77
	v_sub_f32_e32 v73, v74, v72
	v_sub_f32_e32 v74, v75, v72
	ds_read2_b32 v[78:79], v71 offset0:20 offset1:25
	v_mul_f32_e32 v73, 0x3fb8aa3b, v73
	v_mul_f32_e32 v74, 0x3fb8aa3b, v74
	v_exp_f32_e32 v73, v73
	v_exp_f32_e32 v80, v74
	ds_read2_b32 v[74:75], v71 offset0:30 offset1:35
	v_sub_f32_e32 v71, v76, v72
	v_mul_f32_e32 v71, 0x3fb8aa3b, v71
	v_sub_f32_e32 v76, v77, v72
	v_exp_f32_e32 v71, v71
	v_mul_f32_e32 v76, 0x3fb8aa3b, v76
	v_exp_f32_e32 v76, v76
	s_waitcnt lgkmcnt(1)
	v_fma_f32 v73, v73, v78, 0
	v_fmac_f32_e32 v73, v80, v79
	s_waitcnt lgkmcnt(0)
	v_fmac_f32_e32 v73, v71, v74
	s_mul_i32 s0, s0, 3
	v_fmac_f32_e32 v73, v76, v75
	v_cmp_ne_u32_e32 vcc, 3, v87
	s_and_saveexec_b64 s[2:3], vcc
	s_cbranch_execz .LBB250_21
; %bb.20:
	s_mov_b32 s1, 0
	s_lshl_b64 s[4:5], s[0:1], 2
	s_add_u32 s10, s12, s4
	s_mov_b32 s17, s1
	s_addc_u32 s11, s13, s5
	s_lshl_b64 s[8:9], s[16:17], 2
	s_add_u32 s10, s10, s8
	s_addc_u32 s11, s11, s9
	s_add_u32 s1, s14, s4
	s_addc_u32 s5, s15, s5
	v_add_u32_e32 v71, s34, v87
	s_add_u32 s4, s1, s8
	v_mul_lo_u32 v74, s33, v71
	v_mov_b32_e32 v75, 0
	s_addc_u32 s5, s5, s9
	v_lshlrev_b64 v[74:75], 2, v[74:75]
	v_lshl_add_u64 v[76:77], s[10:11], 0, v[74:75]
	v_lshl_add_u64 v[74:75], s[4:5], 0, v[74:75]
	global_store_dword v[74:75], v72, off
	global_store_dword v[76:77], v73, off
.LBB250_21:
	s_or_b64 exec, exec, s[2:3]
	v_lshlrev_b32_e32 v71, 3, v86
	s_and_saveexec_b64 s[2:3], s[6:7]
	s_xor_b64 s[2:3], exec, s[2:3]
	s_cbranch_execz .LBB250_23
; %bb.22:
	s_mov_b32 s4, 0
	s_mov_b32 s5, s4
	s_waitcnt vmcnt(14)
	v_mad_u32_u24 v4, v1, 40, v71
	v_mov_b64_e32 v[2:3], s[4:5]
	ds_write2st64_b64 v4, v[2:3], v[2:3] offset1:5
                                        ; implicit-def: $vgpr69
                                        ; implicit-def: $vgpr67
                                        ; implicit-def: $vgpr7
                                        ; implicit-def: $vgpr3
                                        ; implicit-def: $vgpr11
                                        ; implicit-def: $vgpr15
                                        ; implicit-def: $vgpr27
                                        ; implicit-def: $vgpr31
                                        ; implicit-def: $vgpr43
                                        ; implicit-def: $vgpr47
                                        ; implicit-def: $vgpr19
                                        ; implicit-def: $vgpr23
                                        ; implicit-def: $vgpr35
                                        ; implicit-def: $vgpr39
                                        ; implicit-def: $vgpr51
                                        ; implicit-def: $vgpr55
                                        ; implicit-def: $vgpr59
                                        ; implicit-def: $vgpr63
                                        ; implicit-def: $vgpr70
                                        ; implicit-def: $vgpr72
                                        ; implicit-def: $vgpr73
                                        ; implicit-def: $vgpr71
.LBB250_23:
	s_andn2_saveexec_b64 s[2:3], s[2:3]
	s_cbranch_execz .LBB250_25
; %bb.24:
	v_add_f32_e32 v73, 0x358637bd, v73
	v_div_scale_f32 v74, s[4:5], v73, v73, 1.0
	v_rcp_f32_e32 v75, v74
	v_sub_f32_e32 v70, v70, v72
	v_mul_f32_e32 v70, 0x3fb8aa3b, v70
	v_exp_f32_e32 v70, v70
	v_fma_f32 v72, -v74, v75, 1.0
	v_fmac_f32_e32 v75, v72, v75
	v_div_scale_f32 v72, vcc, 1.0, v73, 1.0
	v_mul_f32_e32 v76, v72, v75
	v_fma_f32 v77, -v74, v76, v72
	v_fmac_f32_e32 v76, v77, v75
	v_fma_f32 v72, -v74, v76, v72
	v_div_fmas_f32 v72, v72, v75, v76
	v_div_fixup_f32 v72, v72, v73, 1.0
	v_mul_f32_e32 v70, v70, v72
	v_pk_mul_f32 v[68:69], v[68:69], v[70:71] op_sel_hi:[1,0]
	v_pk_mul_f32 v[66:67], v[66:67], v[70:71] op_sel_hi:[1,0]
	v_cvt_f16_f32_e32 v68, v68
	v_cvt_f16_f32_e32 v66, v66
	;; [unrolled: 1-line block ×4, first 2 shown]
	v_pack_b32_f16 v66, v66, v67
	v_pack_b32_f16 v67, v68, v69
	s_waitcnt vmcnt(15)
	s_nop 0
	v_mfma_f32_4x4x4_16b_f16 a[0:3], v[66:67], v[6:7], 0 cbsz:4
	s_nop 1
	v_mfma_f32_4x4x4_16b_f16 a[0:3], v[66:67], v[8:9], a[0:3] cbsz:4 abid:1
	v_mad_u32_u24 v9, v1, 40, v71
	s_waitcnt vmcnt(13)
	v_mfma_f32_4x4x4_16b_f16 a[4:7], v[66:67], v[18:19], 0 cbsz:4
	v_mfma_f32_4x4x4_16b_f16 a[0:3], v[66:67], v[2:3], a[0:3] cbsz:4 abid:2
	s_nop 0
	v_mfma_f32_4x4x4_16b_f16 a[4:7], v[66:67], v[20:21], a[4:7] cbsz:4 abid:1
	v_mfma_f32_4x4x4_16b_f16 a[0:3], v[66:67], v[4:5], a[0:3] cbsz:4 abid:3
	s_waitcnt vmcnt(12)
	v_mfma_f32_4x4x4_16b_f16 a[4:7], v[66:67], v[22:23], a[4:7] cbsz:4 abid:2
	s_waitcnt vmcnt(11)
	v_mfma_f32_4x4x4_16b_f16 a[0:3], v[66:67], v[10:11], a[0:3] cbsz:4 abid:4
	v_mfma_f32_4x4x4_16b_f16 a[4:7], v[66:67], v[24:25], a[4:7] cbsz:4 abid:3
	s_nop 0
	v_mfma_f32_4x4x4_16b_f16 a[0:3], v[66:67], v[12:13], a[0:3] cbsz:4 abid:5
	s_waitcnt vmcnt(9)
	v_mfma_f32_4x4x4_16b_f16 a[4:7], v[66:67], v[34:35], a[4:7] cbsz:4 abid:4
	v_mfma_f32_4x4x4_16b_f16 a[0:3], v[66:67], v[14:15], a[0:3] cbsz:4 abid:6
	s_nop 0
	v_mfma_f32_4x4x4_16b_f16 a[4:7], v[66:67], v[36:37], a[4:7] cbsz:4 abid:5
	v_mfma_f32_4x4x4_16b_f16 a[0:3], v[66:67], v[16:17], a[0:3] cbsz:4 abid:7
	s_waitcnt vmcnt(8)
	v_mfma_f32_4x4x4_16b_f16 a[4:7], v[66:67], v[38:39], a[4:7] cbsz:4 abid:6
	s_waitcnt vmcnt(7)
	v_mfma_f32_4x4x4_16b_f16 a[0:3], v[66:67], v[26:27], a[0:3] cbsz:4 abid:8
	v_mfma_f32_4x4x4_16b_f16 a[4:7], v[66:67], v[40:41], a[4:7] cbsz:4 abid:7
	s_nop 0
	v_mfma_f32_4x4x4_16b_f16 a[0:3], v[66:67], v[28:29], a[0:3] cbsz:4 abid:9
	s_waitcnt vmcnt(5)
	v_mfma_f32_4x4x4_16b_f16 a[4:7], v[66:67], v[50:51], a[4:7] cbsz:4 abid:8
	;; [unrolled: 13-line block ×3, first 2 shown]
	v_mfma_f32_4x4x4_16b_f16 a[0:3], v[66:67], v[46:47], a[0:3] cbsz:4 abid:14
	s_nop 1
	v_mfma_f32_4x4x4_16b_f16 a[0:3], v[66:67], v[48:49], a[0:3] cbsz:4 abid:15
	s_nop 4
	v_accvgpr_read_b32 v2, a0
	v_accvgpr_read_b32 v3, a1
	;; [unrolled: 1-line block ×4, first 2 shown]
	v_mfma_f32_4x4x4_16b_f16 a[0:3], v[66:67], v[60:61], a[4:7] cbsz:4 abid:13
	v_cvt_f16_f32_e32 v2, v2
	v_cvt_f16_f32_e32 v3, v3
	s_waitcnt vmcnt(0)
	v_mfma_f32_4x4x4_16b_f16 a[0:3], v[66:67], v[62:63], a[0:3] cbsz:4 abid:14
	v_pack_b32_f16 v2, v2, v3
	s_nop 0
	v_mfma_f32_4x4x4_16b_f16 a[0:3], v[66:67], v[64:65], a[0:3] cbsz:4 abid:15
	v_cvt_f16_f32_e32 v3, v4
	v_cvt_f16_f32_e32 v4, v5
	v_pack_b32_f16 v3, v3, v4
	s_nop 1
	v_accvgpr_read_b32 v5, a0
	v_accvgpr_read_b32 v6, a1
	;; [unrolled: 1-line block ×4, first 2 shown]
	v_cvt_f16_f32_e32 v5, v5
	v_cvt_f16_f32_e32 v6, v6
	;; [unrolled: 1-line block ×4, first 2 shown]
	v_pack_b32_f16 v4, v5, v6
	v_pack_b32_f16 v5, v7, v8
	ds_write2st64_b64 v9, v[2:3], v[4:5] offset1:5
.LBB250_25:
	s_or_b64 exec, exec, s[2:3]
	v_cmp_gt_u32_e32 vcc, 64, v0
	s_waitcnt lgkmcnt(0)
	s_barrier
	s_and_saveexec_b64 s[2:3], vcc
	s_cbranch_execz .LBB250_27
; %bb.26:
	s_waitcnt vmcnt(15)
	v_mul_u32_u24_e32 v6, 40, v1
	s_waitcnt vmcnt(14)
	ds_read2_b64 v[2:5], v6 offset1:1
	ds_read2_b64 v[6:9], v6 offset0:2 offset1:3
	s_mov_b32 s1, 0
	s_lshl_b32 s0, s0, 7
	s_lshl_b64 s[2:3], s[0:1], 1
	s_waitcnt lgkmcnt(1)
	v_pk_add_f16 v2, v2, 0
	v_pk_add_f16 v3, v3, 0
	;; [unrolled: 1-line block ×4, first 2 shown]
	s_waitcnt lgkmcnt(0)
	v_pk_add_f16 v2, v2, v6
	v_pk_add_f16 v6, v3, v7
	s_waitcnt vmcnt(11)
	v_pk_add_f16 v10, v2, v8
	v_mov_b32_e32 v2, 0xa00
	v_mad_u32_u24 v2, v1, 40, v2
	ds_read2_b64 v[2:5], v2 offset1:1
	v_pk_add_f16 v11, v6, v9
	v_mov_b32_e32 v6, 0xa10
	v_mad_u32_u24 v1, v1, 40, v6
	ds_read2_b64 v[6:9], v1 offset1:1
	s_add_u32 s2, s18, s2
	s_addc_u32 s3, s19, s3
	s_lshl_b32 s0, s16, 7
	s_lshl_b64 s[0:1], s[0:1], 1
	s_waitcnt lgkmcnt(1)
	v_pk_add_f16 v1, v2, 0
	v_pk_add_f16 v2, v3, 0
	s_add_u32 s0, s2, s0
	v_pk_add_f16 v2, v2, v5
	s_addc_u32 s1, s3, s1
	s_lshl_b32 s2, s33, 7
	s_waitcnt lgkmcnt(0)
	v_pk_add_f16 v2, v2, v7
	s_mul_i32 s3, s2, s34
	v_pk_add_f16 v9, v2, v9
	v_or_b32_e32 v2, s3, v0
	v_mov_b32_e32 v3, 0
	s_add_i32 s3, s3, s2
	v_pk_add_f16 v1, v1, v4
	v_lshl_add_u64 v[4:5], v[2:3], 1, s[0:1]
	v_or_b32_e32 v2, s3, v0
	s_add_i32 s3, s3, s2
	v_pk_add_f16 v1, v1, v6
	v_lshl_add_u64 v[6:7], v[2:3], 1, s[0:1]
	v_or_b32_e32 v2, s3, v0
	v_pk_add_f16 v8, v1, v8
	v_lshl_add_u64 v[0:1], v[2:3], 1, s[0:1]
	global_store_short v[4:5], v10, off
	global_store_short_d16_hi v[6:7], v10, off
	global_store_short v[0:1], v11, off
	global_store_short v[4:5], v8, off offset:128
	global_store_short_d16_hi v[6:7], v8, off offset:128
	global_store_short v[0:1], v9, off offset:128
.LBB250_27:
	s_endpgm
	.section	.rodata,"a",@progbits
	.p2align	6, 0x0
	.amdhsa_kernel _Z38paged_attention_ll4mi_QKV_mfma4_kernelIDF16_DF16_LN4vllm18Fp8KVCacheDataTypeE0EDF16_Li16ELi128ELi256ELb1ELi3EEvPKT_PKT0_S7_ifPKiS9_S9_iPKfiiiPfSC_PS2_PT2_iSB_SB_
		.amdhsa_group_segment_fixed_size 5280
		.amdhsa_private_segment_fixed_size 0
		.amdhsa_kernarg_size 400
		.amdhsa_user_sgpr_count 2
		.amdhsa_user_sgpr_dispatch_ptr 0
		.amdhsa_user_sgpr_queue_ptr 0
		.amdhsa_user_sgpr_kernarg_segment_ptr 1
		.amdhsa_user_sgpr_dispatch_id 0
		.amdhsa_user_sgpr_kernarg_preload_length 0
		.amdhsa_user_sgpr_kernarg_preload_offset 0
		.amdhsa_user_sgpr_private_segment_size 0
		.amdhsa_uses_dynamic_stack 0
		.amdhsa_enable_private_segment 0
		.amdhsa_system_sgpr_workgroup_id_x 1
		.amdhsa_system_sgpr_workgroup_id_y 1
		.amdhsa_system_sgpr_workgroup_id_z 1
		.amdhsa_system_sgpr_workgroup_info 0
		.amdhsa_system_vgpr_workitem_id 0
		.amdhsa_next_free_vgpr 104
		.amdhsa_next_free_sgpr 40
		.amdhsa_accum_offset 96
		.amdhsa_reserve_vcc 1
		.amdhsa_float_round_mode_32 0
		.amdhsa_float_round_mode_16_64 0
		.amdhsa_float_denorm_mode_32 3
		.amdhsa_float_denorm_mode_16_64 3
		.amdhsa_dx10_clamp 1
		.amdhsa_ieee_mode 1
		.amdhsa_fp16_overflow 0
		.amdhsa_tg_split 0
		.amdhsa_exception_fp_ieee_invalid_op 0
		.amdhsa_exception_fp_denorm_src 0
		.amdhsa_exception_fp_ieee_div_zero 0
		.amdhsa_exception_fp_ieee_overflow 0
		.amdhsa_exception_fp_ieee_underflow 0
		.amdhsa_exception_fp_ieee_inexact 0
		.amdhsa_exception_int_div_zero 0
	.end_amdhsa_kernel
	.section	.text._Z38paged_attention_ll4mi_QKV_mfma4_kernelIDF16_DF16_LN4vllm18Fp8KVCacheDataTypeE0EDF16_Li16ELi128ELi256ELb1ELi3EEvPKT_PKT0_S7_ifPKiS9_S9_iPKfiiiPfSC_PS2_PT2_iSB_SB_,"axG",@progbits,_Z38paged_attention_ll4mi_QKV_mfma4_kernelIDF16_DF16_LN4vllm18Fp8KVCacheDataTypeE0EDF16_Li16ELi128ELi256ELb1ELi3EEvPKT_PKT0_S7_ifPKiS9_S9_iPKfiiiPfSC_PS2_PT2_iSB_SB_,comdat
.Lfunc_end250:
	.size	_Z38paged_attention_ll4mi_QKV_mfma4_kernelIDF16_DF16_LN4vllm18Fp8KVCacheDataTypeE0EDF16_Li16ELi128ELi256ELb1ELi3EEvPKT_PKT0_S7_ifPKiS9_S9_iPKfiiiPfSC_PS2_PT2_iSB_SB_, .Lfunc_end250-_Z38paged_attention_ll4mi_QKV_mfma4_kernelIDF16_DF16_LN4vllm18Fp8KVCacheDataTypeE0EDF16_Li16ELi128ELi256ELb1ELi3EEvPKT_PKT0_S7_ifPKiS9_S9_iPKfiiiPfSC_PS2_PT2_iSB_SB_
                                        ; -- End function
	.section	.AMDGPU.csdata,"",@progbits
; Kernel info:
; codeLenInByte = 3944
; NumSgprs: 46
; NumVgprs: 96
; NumAgprs: 8
; TotalNumVgprs: 104
; ScratchSize: 0
; MemoryBound: 0
; FloatMode: 240
; IeeeMode: 1
; LDSByteSize: 5280 bytes/workgroup (compile time only)
; SGPRBlocks: 5
; VGPRBlocks: 12
; NumSGPRsForWavesPerEU: 46
; NumVGPRsForWavesPerEU: 104
; AccumOffset: 96
; Occupancy: 4
; WaveLimiterHint : 1
; COMPUTE_PGM_RSRC2:SCRATCH_EN: 0
; COMPUTE_PGM_RSRC2:USER_SGPR: 2
; COMPUTE_PGM_RSRC2:TRAP_HANDLER: 0
; COMPUTE_PGM_RSRC2:TGID_X_EN: 1
; COMPUTE_PGM_RSRC2:TGID_Y_EN: 1
; COMPUTE_PGM_RSRC2:TGID_Z_EN: 1
; COMPUTE_PGM_RSRC2:TIDIG_COMP_CNT: 0
; COMPUTE_PGM_RSRC3_GFX90A:ACCUM_OFFSET: 23
; COMPUTE_PGM_RSRC3_GFX90A:TG_SPLIT: 0
	.section	.text._Z38paged_attention_ll4mi_QKV_mfma4_kernelIDF16_DF16_LN4vllm18Fp8KVCacheDataTypeE0EDF16_Li16ELi128ELi256ELb1ELi4EEvPKT_PKT0_S7_ifPKiS9_S9_iPKfiiiPfSC_PS2_PT2_iSB_SB_,"axG",@progbits,_Z38paged_attention_ll4mi_QKV_mfma4_kernelIDF16_DF16_LN4vllm18Fp8KVCacheDataTypeE0EDF16_Li16ELi128ELi256ELb1ELi4EEvPKT_PKT0_S7_ifPKiS9_S9_iPKfiiiPfSC_PS2_PT2_iSB_SB_,comdat
	.protected	_Z38paged_attention_ll4mi_QKV_mfma4_kernelIDF16_DF16_LN4vllm18Fp8KVCacheDataTypeE0EDF16_Li16ELi128ELi256ELb1ELi4EEvPKT_PKT0_S7_ifPKiS9_S9_iPKfiiiPfSC_PS2_PT2_iSB_SB_ ; -- Begin function _Z38paged_attention_ll4mi_QKV_mfma4_kernelIDF16_DF16_LN4vllm18Fp8KVCacheDataTypeE0EDF16_Li16ELi128ELi256ELb1ELi4EEvPKT_PKT0_S7_ifPKiS9_S9_iPKfiiiPfSC_PS2_PT2_iSB_SB_
	.globl	_Z38paged_attention_ll4mi_QKV_mfma4_kernelIDF16_DF16_LN4vllm18Fp8KVCacheDataTypeE0EDF16_Li16ELi128ELi256ELb1ELi4EEvPKT_PKT0_S7_ifPKiS9_S9_iPKfiiiPfSC_PS2_PT2_iSB_SB_
	.p2align	8
	.type	_Z38paged_attention_ll4mi_QKV_mfma4_kernelIDF16_DF16_LN4vllm18Fp8KVCacheDataTypeE0EDF16_Li16ELi128ELi256ELb1ELi4EEvPKT_PKT0_S7_ifPKiS9_S9_iPKfiiiPfSC_PS2_PT2_iSB_SB_,@function
_Z38paged_attention_ll4mi_QKV_mfma4_kernelIDF16_DF16_LN4vllm18Fp8KVCacheDataTypeE0EDF16_Li16ELi128ELi256ELb1ELi4EEvPKT_PKT0_S7_ifPKiS9_S9_iPKfiiiPfSC_PS2_PT2_iSB_SB_: ; @_Z38paged_attention_ll4mi_QKV_mfma4_kernelIDF16_DF16_LN4vllm18Fp8KVCacheDataTypeE0EDF16_Li16ELi128ELi256ELb1ELi4EEvPKT_PKT0_S7_ifPKiS9_S9_iPKfiiiPfSC_PS2_PT2_iSB_SB_
; %bb.0:
	s_load_dwordx2 s[8:9], s[0:1], 0x30
	s_mov_b32 s20, s3
	s_mov_b64 s[6:7], 0
	s_waitcnt lgkmcnt(0)
	s_cmp_lg_u64 s[8:9], 0
	s_cselect_b64 s[10:11], -1, 0
	s_and_b64 vcc, exec, s[10:11]
	s_cbranch_vccz .LBB251_20
; %bb.1:
	s_add_i32 s12, s2, 1
	s_mov_b32 s13, 0
	s_lshl_b64 s[14:15], s[12:13], 2
	s_add_u32 s14, s8, s14
	s_mov_b32 s3, s13
	s_addc_u32 s15, s9, s15
	s_lshl_b64 s[12:13], s[2:3], 2
	s_add_u32 s12, s8, s12
	s_addc_u32 s13, s9, s13
	s_load_dword s5, s[14:15], 0x0
	s_load_dword s16, s[12:13], 0x0
	s_mov_b64 s[34:35], s[2:3]
	s_waitcnt lgkmcnt(0)
	s_sub_i32 s5, s5, s16
	s_cmp_eq_u32 s5, 1
	s_cselect_b64 s[12:13], -1, 0
	s_andn2_b64 vcc, exec, s[6:7]
	s_cbranch_vccnz .LBB251_3
.LBB251_2:
	s_mov_b32 s3, 0
	s_mov_b64 s[12:13], -1
	s_mov_b64 s[34:35], s[2:3]
.LBB251_3:
	s_andn2_b64 vcc, exec, s[12:13]
	s_cbranch_vccnz .LBB251_19
; %bb.4:
	s_load_dword s3, s[0:1], 0x9c
	s_load_dwordx2 s[6:7], s[0:1], 0x28
	s_add_u32 s24, s0, 0x90
	s_addc_u32 s25, s1, 0
	s_lshl_b64 s[36:37], s[34:35], 2
	s_waitcnt lgkmcnt(0)
	s_and_b32 s5, s3, 0xffff
	s_add_u32 s6, s6, s36
	s_addc_u32 s7, s7, s37
	s_load_dword s3, s[6:7], 0x0
	s_mul_i32 s5, s20, s5
	s_waitcnt lgkmcnt(0)
	s_cmp_ge_i32 s5, s3
	s_cbranch_scc1 .LBB251_19
; %bb.5:
	v_and_b32_e32 v1, 0xc0, v0
	v_and_b32_e32 v73, 3, v0
	s_lshl_b32 s33, s4, 2
	v_add_u32_e32 v2, s5, v1
	v_lshrrev_b32_e32 v72, 6, v0
	v_cmp_le_i32_e64 s[6:7], s3, v2
	v_or_b32_e32 v66, s33, v73
                                        ; implicit-def: $sgpr17
                                        ; implicit-def: $sgpr16
	s_and_saveexec_b64 s[12:13], s[6:7]
	s_xor_b64 s[12:13], exec, s[12:13]
	s_cbranch_execz .LBB251_7
; %bb.6:
	v_mul_u32_u24_e32 v1, 20, v72
	v_or_b32_e32 v1, 0x1400, v1
	v_mov_b32_e32 v2, 0x1450
	v_mov_b32_e32 v3, 0xff7fffff
	v_mad_u32_u24 v2, v72, 20, v2
	ds_write2_b32 v1, v3, v3 offset1:1
	v_mov_b32_e32 v1, 0
	ds_write2_b32 v2, v1, v1 offset1:1
	v_mov_b32_e32 v2, 0x1408
	s_mov_b32 s16, 0xff7fffff
	s_mov_b32 s17, 0
	v_mad_u32_u24 v2, v72, 20, v2
	v_mov_b32_e32 v4, 0x1458
	v_or_b32_e32 v66, s33, v73
	v_mad_u32_u24 v4, v72, 20, v4
	ds_write2_b32 v2, v3, v3 offset1:1
	ds_write2_b32 v4, v1, v1 offset1:1
                                        ; implicit-def: $vgpr2
.LBB251_7:
	s_or_saveexec_b64 s[26:27], s[12:13]
	s_load_dwordx2 s[22:23], s[0:1], 0x68
	s_load_dwordx4 s[12:15], s[0:1], 0x58
	s_load_dword s40, s[24:25], 0x4
	v_and_b32_e32 v1, 63, v0
	v_mov_b32_e32 v71, s17
	v_mov_b32_e32 v67, s16
	;; [unrolled: 1-line block ×5, first 2 shown]
                                        ; implicit-def: $vgpr43
                                        ; implicit-def: $vgpr27
                                        ; implicit-def: $vgpr3
                                        ; implicit-def: $vgpr7
                                        ; implicit-def: $vgpr11
                                        ; implicit-def: $vgpr15
                                        ; implicit-def: $vgpr19
                                        ; implicit-def: $vgpr23
                                        ; implicit-def: $vgpr59
                                        ; implicit-def: $vgpr63
                                        ; implicit-def: $vgpr31
                                        ; implicit-def: $vgpr35
                                        ; implicit-def: $vgpr39
                                        ; implicit-def: $vgpr47
                                        ; implicit-def: $vgpr51
                                        ; implicit-def: $vgpr55
	s_xor_b64 exec, exec, s[26:27]
	s_cbranch_execz .LBB251_13
; %bb.8:
	s_add_i32 s19, s3, 15
	s_load_dwordx2 s[16:17], s[0:1], 0x20
	s_load_dword s18, s[0:1], 0x38
	s_ashr_i32 s21, s19, 31
	s_lshr_b32 s21, s21, 28
	v_add_u32_e32 v68, s5, v0
	s_add_i32 s19, s19, s21
	v_ashrrev_i32_e32 v3, 31, v68
	s_ashr_i32 s19, s19, 4
	v_lshrrev_b32_e32 v3, 28, v3
	s_add_i32 s21, s19, -1
	v_add_u32_e32 v3, v68, v3
	s_waitcnt lgkmcnt(0)
	s_mul_i32 s38, s2, s18
	s_mov_b32 s39, 0
	v_ashrrev_i32_e32 v3, 4, v3
	v_mov_b32_e32 v4, s21
	v_cmp_gt_i32_e32 vcc, s3, v68
	s_lshl_b64 s[18:19], s[38:39], 2
	s_add_u32 s16, s16, s18
	v_cndmask_b32_e32 v4, v4, v3, vcc
	v_ashrrev_i32_e32 v3, 31, v2
	v_lshrrev_b32_e32 v3, 28, v3
	s_addc_u32 s17, s17, s19
	v_ashrrev_i32_e32 v5, 31, v4
	v_add_u32_e32 v2, v2, v3
	v_lshl_add_u64 v[8:9], v[4:5], 2, s[16:17]
	v_ashrrev_i32_e32 v4, 4, v2
	v_min_i32_e32 v2, s21, v4
	v_ashrrev_i32_e32 v3, 31, v2
	v_lshl_add_u64 v[10:11], v[2:3], 2, s[16:17]
	v_add_u32_e32 v2, 1, v4
	v_min_i32_e32 v2, s21, v2
	v_ashrrev_i32_e32 v3, 31, v2
	v_lshl_add_u64 v[12:13], v[2:3], 2, s[16:17]
	v_add_u32_e32 v2, 2, v4
	;; [unrolled: 4-line block ×3, first 2 shown]
	v_min_i32_e32 v2, s21, v2
	v_ashrrev_i32_e32 v3, 31, v2
	v_lshl_add_u64 v[16:17], v[2:3], 2, s[16:17]
	global_load_dword v2, v[8:9], off
	global_load_dword v4, v[10:11], off
	;; [unrolled: 1-line block ×5, first 2 shown]
	s_load_dwordx2 s[30:31], s[0:1], 0x40
	s_load_dwordx4 s[16:19], s[0:1], 0x0
	s_load_dwordx2 s[28:29], s[0:1], 0x10
	s_andn2_b64 vcc, exec, s[10:11]
	s_cbranch_vccnz .LBB251_10
; %bb.9:
	s_add_u32 s8, s8, s36
	s_addc_u32 s9, s9, s37
	s_load_dword s38, s[8:9], 0x0
	s_waitcnt lgkmcnt(0)
	s_mov_b64 s[34:35], s[38:39]
.LBB251_10:
	s_load_dwordx4 s[8:11], s[0:1], 0x48
	v_lshlrev_b32_e32 v3, 2, v1
	v_and_b32_e32 v3, 0xf0, v3
	v_lshl_or_b32 v3, v73, 8, v3
	v_and_b32_e32 v8, 15, v0
	s_waitcnt lgkmcnt(0)
	s_ashr_i32 s5, s8, 31
	s_mul_hi_u32 s11, s34, s8
	s_mul_i32 s5, s34, s5
	s_mul_i32 s21, s35, s8
	s_add_i32 s5, s11, s5
	s_mul_i32 s36, s34, s8
	s_add_i32 s37, s5, s21
	s_lshl_b64 s[34:35], s[36:37], 1
	s_add_u32 s5, s16, s34
	s_addc_u32 s8, s17, s35
	s_lshl_b32 s38, s4, 9
	s_lshl_b64 s[16:17], s[38:39], 1
	s_add_u32 s16, s5, s16
	s_addc_u32 s17, s8, s17
	global_load_dwordx4 v[74:77], v3, s[16:17]
	s_mul_i32 s38, s4, s10
	s_lshl_b64 s[4:5], s[38:39], 1
	s_add_u32 s10, s4, s18
	s_waitcnt vmcnt(5)
	v_mad_i64_i32 v[2:3], s[16:17], v2, s9, 0
	s_addc_u32 s11, s5, s19
	v_lshl_add_u64 v[2:3], v[2:3], 1, s[10:11]
	v_lshlrev_b32_e32 v26, 4, v8
	v_mov_b32_e32 v27, 0
	v_lshl_add_u64 v[2:3], v[2:3], 0, v[26:27]
	global_load_dwordx4 v[8:11], v[2:3], off
	global_load_dwordx4 v[12:15], v[2:3], off offset:256
	global_load_dwordx4 v[16:19], v[2:3], off offset:512
	;; [unrolled: 1-line block ×13, first 2 shown]
	v_mov_b32_e32 v67, v27
	v_lshl_add_u64 v[86:87], v[66:67], 2, s[30:31]
	global_load_dword v99, v[86:87], off
	global_load_dwordx4 v[82:85], v[2:3], off offset:3584
	v_and_b32_e32 v93, -4, v68
	global_load_dwordx4 v[86:89], v[2:3], off offset:3840
	v_lshlrev_b32_e32 v24, 2, v0
	v_subrev_u32_e32 v26, s3, v93
	v_and_or_b32 v95, v24, 48, v73
	v_add_u32_e32 v67, 1, v26
	v_add_u32_e32 v96, 2, v26
	;; [unrolled: 1-line block ×4, first 2 shown]
	s_waitcnt vmcnt(21)
	v_mul_hi_i32 v24, v4, s9
	s_waitcnt vmcnt(20)
	v_mul_hi_i32 v26, v7, s9
	;; [unrolled: 2-line block ×4, first 2 shown]
	v_ashrrev_i32_e32 v100, 31, v24
	v_ashrrev_i32_e32 v2, 31, v26
	;; [unrolled: 1-line block ×4, first 2 shown]
	v_mov_b32_e32 v25, v27
	v_mov_b32_e32 v65, v27
	;; [unrolled: 1-line block ×3, first 2 shown]
	v_lshrrev_b32_e32 v24, 29, v2
	v_lshrrev_b32_e32 v64, 29, v3
	;; [unrolled: 1-line block ×4, first 2 shown]
	v_mad_i64_i32 v[2:3], s[10:11], v7, s9, v[24:25]
	v_mad_i64_i32 v[6:7], s[10:11], v6, s9, v[64:65]
	v_lshlrev_b64 v[2:3], 1, v[2:3]
	v_lshlrev_b64 v[6:7], 1, v[6:7]
	s_add_u32 s4, s28, s4
	v_and_b32_e32 v2, -16, v2
	v_and_b32_e32 v6, -16, v6
	s_addc_u32 s5, s29, s5
	v_lshl_add_u64 v[2:3], s[4:5], 0, v[2:3]
	v_lshl_add_u64 v[6:7], s[4:5], 0, v[6:7]
	s_load_dword s0, s[0:1], 0x1c
	v_cmp_eq_u32_e32 vcc, 0, v73
	v_cvt_f32_i32_e32 v67, v67
	v_mov_b32_e32 v94, 0xff7fffff
	v_cndmask_b32_e64 v69, 0, 1.0, vcc
	v_cmp_eq_u32_e32 vcc, 1, v73
	v_or_b32_e32 v68, 3, v68
	s_waitcnt vmcnt(16)
	v_mfma_f32_4x4x4_16b_f16 a[0:3], v[74:75], v[8:9], 0 cbsz:4
	v_mad_i64_i32 v[8:9], s[10:11], v5, s9, v[70:71]
	s_nop 0
	v_mfma_f32_4x4x4_16b_f16 a[0:3], v[76:77], v[10:11], a[0:3] cbsz:4
	v_mad_i64_i32 v[4:5], s[8:9], v4, s9, v[26:27]
	s_waitcnt vmcnt(15)
	v_mfma_f32_4x4x4_16b_f16 a[0:3], v[74:75], v[12:13], a[0:3] cbsz:4 abid:1
	v_lshlrev_b64 v[8:9], 1, v[8:9]
	v_and_b32_e32 v8, -16, v8
	v_mfma_f32_4x4x4_16b_f16 a[0:3], v[76:77], v[14:15], a[0:3] cbsz:4 abid:1
	v_lshlrev_b32_e32 v26, 5, v1
	v_lshl_add_u64 v[8:9], s[4:5], 0, v[8:9]
	s_waitcnt vmcnt(14)
	v_mfma_f32_4x4x4_16b_f16 a[0:3], v[74:75], v[16:17], a[0:3] cbsz:4 abid:2
	v_lshl_add_u64 v[10:11], v[2:3], 0, v[26:27]
	v_cndmask_b32_e64 v90, 0, 1.0, vcc
	v_mfma_f32_4x4x4_16b_f16 a[0:3], v[76:77], v[18:19], a[0:3] cbsz:4 abid:2
	v_lshl_add_u64 v[18:19], v[6:7], 0, v[26:27]
	v_cmp_eq_u32_e32 vcc, 2, v73
	s_waitcnt vmcnt(13)
	v_mfma_f32_4x4x4_16b_f16 a[0:3], v[74:75], v[20:21], a[0:3] cbsz:4 abid:3
	v_cmp_gt_i32_e64 s[8:9], s3, v68
	v_cndmask_b32_e64 v91, 0, 1.0, vcc
	v_mfma_f32_4x4x4_16b_f16 a[0:3], v[76:77], v[22:23], a[0:3] cbsz:4 abid:3
	v_cmp_eq_u32_e32 vcc, 3, v73
	s_waitcnt vmcnt(12)
	v_mfma_f32_4x4x4_16b_f16 a[0:3], v[74:75], v[28:29], a[0:3] cbsz:4 abid:4
	v_lshlrev_b64 v[28:29], 1, v[4:5]
	v_and_b32_e32 v28, -16, v28
	v_mfma_f32_4x4x4_16b_f16 a[0:3], v[76:77], v[30:31], a[0:3] cbsz:4 abid:4
	v_lshl_add_u64 v[28:29], s[4:5], 0, v[28:29]
	v_lshl_add_u64 v[70:71], v[28:29], 0, v[26:27]
	s_waitcnt vmcnt(11)
	v_mfma_f32_4x4x4_16b_f16 a[0:3], v[74:75], v[32:33], a[0:3] cbsz:4 abid:5
	v_cndmask_b32_e64 v92, 0, 1.0, vcc
	v_cmp_gt_i32_e32 vcc, s3, v93
	v_mfma_f32_4x4x4_16b_f16 a[0:3], v[76:77], v[34:35], a[0:3] cbsz:4 abid:5
	s_waitcnt vmcnt(10)
	s_nop 0
	v_mfma_f32_4x4x4_16b_f16 a[0:3], v[74:75], v[36:37], a[0:3] cbsz:4 abid:6
	s_nop 1
	v_mfma_f32_4x4x4_16b_f16 a[0:3], v[76:77], v[38:39], a[0:3] cbsz:4 abid:6
	s_waitcnt vmcnt(9)
	s_nop 0
	v_mfma_f32_4x4x4_16b_f16 a[0:3], v[74:75], v[40:41], a[0:3] cbsz:4 abid:7
	s_nop 1
	v_mfma_f32_4x4x4_16b_f16 a[0:3], v[76:77], v[42:43], a[0:3] cbsz:4 abid:7
	v_lshl_add_u64 v[42:43], v[8:9], 0, v[26:27]
	global_load_dwordx4 v[2:5], v[10:11], off
	global_load_dwordx4 v[6:9], v[10:11], off offset:16
	s_waitcnt vmcnt(10)
	v_mfma_f32_4x4x4_16b_f16 a[0:3], v[74:75], v[44:45], a[0:3] cbsz:4 abid:8
	global_load_dwordx4 v[30:33], v[10:11], off offset:2048
	global_load_dwordx4 v[34:37], v[10:11], off offset:2064
	v_mfma_f32_4x4x4_16b_f16 a[0:3], v[76:77], v[46:47], a[0:3] cbsz:4 abid:8
	global_load_dwordx4 v[10:13], v[18:19], off
	global_load_dwordx4 v[14:17], v[18:19], off offset:16
	s_waitcnt vmcnt(13)
	v_mfma_f32_4x4x4_16b_f16 a[0:3], v[74:75], v[48:49], a[0:3] cbsz:4 abid:9
	global_load_dwordx4 v[38:41], v[18:19], off offset:2048
	global_load_dwordx4 v[46:49], v[18:19], off offset:2064
	v_mfma_f32_4x4x4_16b_f16 a[0:3], v[76:77], v[50:51], a[0:3] cbsz:4 abid:9
	global_load_dwordx4 v[18:21], v[42:43], off
	global_load_dwordx4 v[22:25], v[42:43], off offset:16
	s_waitcnt vmcnt(16)
	v_mfma_f32_4x4x4_16b_f16 a[0:3], v[74:75], v[52:53], a[0:3] cbsz:4 abid:10
	s_nop 1
	v_mfma_f32_4x4x4_16b_f16 a[0:3], v[76:77], v[54:55], a[0:3] cbsz:4 abid:10
	s_waitcnt vmcnt(15)
	s_nop 0
	v_mfma_f32_4x4x4_16b_f16 a[0:3], v[74:75], v[56:57], a[0:3] cbsz:4 abid:11
	global_load_dwordx4 v[50:53], v[42:43], off offset:2048
	global_load_dwordx4 v[54:57], v[42:43], off offset:2064
	v_mfma_f32_4x4x4_16b_f16 a[0:3], v[76:77], v[58:59], a[0:3] cbsz:4 abid:11
	global_load_dwordx4 v[42:45], v[70:71], off
	global_load_dwordx4 v[26:29], v[70:71], off offset:16
	s_waitcnt vmcnt(18)
	v_mfma_f32_4x4x4_16b_f16 a[0:3], v[74:75], v[60:61], a[0:3] cbsz:4 abid:12
	s_nop 1
	v_mfma_f32_4x4x4_16b_f16 a[0:3], v[76:77], v[62:63], a[0:3] cbsz:4 abid:12
	global_load_dwordx4 v[58:61], v[70:71], off offset:2048
	global_load_dwordx4 v[62:65], v[70:71], off offset:2064
	s_waitcnt vmcnt(19)
	v_mfma_f32_4x4x4_16b_f16 a[0:3], v[74:75], v[78:79], a[0:3] cbsz:4 abid:13
	s_nop 1
	v_mfma_f32_4x4x4_16b_f16 a[0:3], v[76:77], v[80:81], a[0:3] cbsz:4 abid:13
	s_waitcnt vmcnt(17)
	s_nop 0
	v_mfma_f32_4x4x4_16b_f16 a[0:3], v[74:75], v[82:83], a[0:3] cbsz:4 abid:14
	s_nop 1
	v_mfma_f32_4x4x4_16b_f16 a[0:3], v[76:77], v[84:85], a[0:3] cbsz:4 abid:14
	s_waitcnt vmcnt(16)
	s_nop 0
	v_mfma_f32_4x4x4_16b_f16 a[0:3], v[74:75], v[86:87], a[0:3] cbsz:4 abid:15
	s_nop 1
	v_mfma_f32_4x4x4_16b_f16 a[0:3], v[76:77], v[88:89], a[0:3] cbsz:4 abid:15
	s_nop 4
	v_accvgpr_read_b32 v71, a1
	v_accvgpr_read_b32 v70, a0
	s_waitcnt lgkmcnt(0)
	v_pk_mul_f32 v[70:71], s[0:1], v[70:71] op_sel_hi:[0,1]
	v_accvgpr_read_b32 v75, a3
	v_accvgpr_read_b32 v74, a2
	v_pk_mul_f32 v[74:75], s[0:1], v[74:75] op_sel_hi:[0,1]
	v_mfma_f32_4x4x1_16b_f32 a[0:3], v70, v69, 0
	v_cvt_f32_i32_e32 v69, v96
	s_nop 0
	v_mfma_f32_4x4x1_16b_f32 a[0:3], v71, v90, a[0:3]
	v_cvt_f32_i32_e32 v71, v98
	v_cvt_f32_i32_e32 v70, v97
	v_mfma_f32_4x4x1_16b_f32 a[0:3], v74, v91, a[0:3]
	s_nop 1
	v_mfma_f32_4x4x1_16b_f32 a[0:3], v75, v92, a[0:3]
	s_nop 3
	v_accvgpr_read_b32 v74, a0
	v_fma_f32 v74, v99, v67, v74
	v_accvgpr_read_b32 v75, a1
	v_accvgpr_read_b32 v77, a3
	v_max_f32_e32 v67, 0xff7fffff, v74
	v_fma_f32 v69, v99, v69, v75
	v_fmac_f32_e32 v77, v99, v71
	v_cndmask_b32_e32 v67, v94, v67, vcc
	v_or_b32_e32 v71, 1, v93
	v_accvgpr_read_b32 v76, a2
	v_max_f32_e32 v75, v67, v69
	v_cmp_gt_i32_e64 s[0:1], s3, v71
	v_fma_f32 v70, v99, v70, v76
	v_or_b32_e32 v71, 2, v93
	v_cndmask_b32_e64 v67, v67, v75, s[0:1]
	v_max_f32_e32 v75, v67, v70
	v_cmp_gt_i32_e64 s[4:5], s3, v71
	s_nop 1
	v_cndmask_b32_e64 v67, v67, v75, s[4:5]
	v_max_f32_e32 v71, v67, v77
	v_cndmask_b32_e64 v67, v67, v71, s[8:9]
	;;#ASMSTART
	v_nop
 v_nop
 v_max_f32_dpp v67, v67, v67 row_ror:4
	;;#ASMEND
	v_lshlrev_b32_e32 v75, 2, v95
	;;#ASMSTART
	v_nop
 v_nop
 v_max_f32_dpp v67, v67, v67 row_ror:8
	;;#ASMEND
	ds_bpermute_b32 v67, v75, v67
	s_waitcnt lgkmcnt(0)
	;;#ASMSTART
	v_nop
 v_nop
 v_max_f32_dpp v67, v67, v67 row_ror:4
	;;#ASMEND
	s_nop 0
	;;#ASMSTART
	v_nop
 v_nop
 v_max_f32_dpp v67, v67, v67 row_ror:8
	;;#ASMEND
	s_nop 0
	v_sub_f32_e32 v68, v74, v67
	v_mul_f32_e32 v68, 0x3fb8aa3b, v68
	v_sub_f32_e32 v69, v69, v67
	v_exp_f32_e32 v68, v68
	v_mul_f32_e32 v69, 0x3fb8aa3b, v69
	v_sub_f32_e32 v70, v70, v67
	v_exp_f32_e32 v69, v69
	;; [unrolled: 3-line block ×3, first 2 shown]
	v_mul_f32_e32 v74, 0x3fb8aa3b, v74
	v_exp_f32_e32 v74, v74
	v_cndmask_b32_e32 v68, 0, v68, vcc
	v_add_f32_e32 v71, 0, v68
	v_cndmask_b32_e64 v69, 0, v69, s[0:1]
	v_add_f32_e32 v71, v71, v69
	v_cndmask_b32_e64 v70, 0, v70, s[4:5]
	;; [unrolled: 2-line block ×3, first 2 shown]
	v_add_f32_e32 v74, v76, v71
	;;#ASMSTART
	v_nop
 v_nop
 v_add_f32_dpp v74, v74, v74 row_ror:4
	;;#ASMEND
	v_cmp_gt_u32_e32 vcc, 4, v1
	;;#ASMSTART
	v_nop
 v_nop
 v_add_f32_dpp v74, v74, v74 row_ror:8
	;;#ASMEND
	ds_bpermute_b32 v74, v75, v74
	s_waitcnt lgkmcnt(0)
	;;#ASMSTART
	v_nop
 v_nop
 v_add_f32_dpp v74, v74, v74 row_ror:4
	;;#ASMEND
	s_nop 0
	;;#ASMSTART
	v_nop
 v_nop
 v_add_f32_dpp v74, v74, v74 row_ror:8
	;;#ASMEND
	s_and_saveexec_b64 s[0:1], vcc
	s_cbranch_execz .LBB251_12
; %bb.11:
	v_mul_u32_u24_e32 v75, 20, v72
	v_lshl_add_u32 v75, v73, 2, v75
	v_add_u32_e32 v75, 0x1400, v75
	ds_write2_b32 v75, v67, v74 offset1:20
.LBB251_12:
	s_or_b64 exec, exec, s[0:1]
.LBB251_13:
	s_or_b64 exec, exec, s[26:27]
	v_lshlrev_b32_e32 v73, 2, v73
	v_add_u32_e32 v80, 0x1400, v73
	s_waitcnt lgkmcnt(0)
	s_barrier
	s_load_dword s0, s[24:25], 0x8
	ds_read2_b32 v[74:75], v80 offset1:5
	ds_read2_b32 v[76:77], v80 offset0:10 offset1:15
	s_mov_b32 s4, 0xff7fffff
	s_mul_i32 s1, s2, s40
	ds_read2_b32 v[78:79], v80 offset0:20 offset1:25
	s_waitcnt lgkmcnt(0)
	v_max3_f32 v73, v74, s4, v75
	v_max3_f32 v73, v73, v76, v77
	s_mul_i32 s1, s1, s0
	v_sub_f32_e32 v74, v74, v73
	s_lshl_b32 s0, s1, 2
	s_mov_b32 s1, 0
	v_mul_f32_e32 v74, 0x3fb8aa3b, v74
	v_sub_f32_e32 v75, v75, v73
	s_lshl_b64 s[2:3], s[0:1], 2
	v_exp_f32_e32 v74, v74
	v_mul_f32_e32 v75, 0x3fb8aa3b, v75
	v_sub_f32_e32 v76, v76, v73
	s_add_u32 s8, s12, s2
	v_exp_f32_e32 v75, v75
	ds_read2_b32 v[80:81], v80 offset0:30 offset1:35
	v_mul_f32_e32 v76, 0x3fb8aa3b, v76
	v_sub_f32_e32 v77, v77, v73
	s_addc_u32 s9, s13, s3
	v_exp_f32_e32 v76, v76
	v_mul_f32_e32 v77, 0x3fb8aa3b, v77
	s_mov_b32 s21, s1
	s_add_u32 s4, s14, s2
	v_exp_f32_e32 v77, v77
	s_addc_u32 s5, s15, s3
	s_lshl_b64 s[2:3], s[20:21], 2
	v_fma_f32 v74, v74, v78, 0
	s_add_u32 s4, s4, s2
	v_fmac_f32_e32 v74, v75, v79
	s_addc_u32 s5, s5, s3
	s_waitcnt lgkmcnt(0)
	v_fmac_f32_e32 v74, v76, v80
	v_fmac_f32_e32 v74, v77, v81
	s_add_u32 s2, s8, s2
	v_mul_lo_u32 v76, s40, v66
	v_mov_b32_e32 v77, 0
	s_addc_u32 s3, s9, s3
	v_lshlrev_b64 v[76:77], 2, v[76:77]
	v_lshl_add_u64 v[78:79], s[4:5], 0, v[76:77]
	v_lshl_add_u64 v[76:77], s[2:3], 0, v[76:77]
	v_lshlrev_b32_e32 v66, 3, v72
	global_store_dword v[78:79], v73, off
	global_store_dword v[76:77], v74, off
	s_and_saveexec_b64 s[2:3], s[6:7]
	s_xor_b64 s[2:3], exec, s[2:3]
	s_cbranch_execz .LBB251_15
; %bb.14:
	s_mov_b32 s4, s1
	s_mov_b32 s5, s1
	s_waitcnt vmcnt(17)
	v_mad_u32_u24 v4, v1, 40, v66
	v_mov_b64_e32 v[2:3], s[4:5]
	ds_write2st64_b64 v4, v[2:3], v[2:3] offset1:5
                                        ; implicit-def: $vgpr71
                                        ; implicit-def: $vgpr69
                                        ; implicit-def: $vgpr43
                                        ; implicit-def: $vgpr27
                                        ; implicit-def: $vgpr3
                                        ; implicit-def: $vgpr7
                                        ; implicit-def: $vgpr11
                                        ; implicit-def: $vgpr15
                                        ; implicit-def: $vgpr19
                                        ; implicit-def: $vgpr23
                                        ; implicit-def: $vgpr59
                                        ; implicit-def: $vgpr63
                                        ; implicit-def: $vgpr31
                                        ; implicit-def: $vgpr35
                                        ; implicit-def: $vgpr39
                                        ; implicit-def: $vgpr47
                                        ; implicit-def: $vgpr51
                                        ; implicit-def: $vgpr55
                                        ; implicit-def: $vgpr67
                                        ; implicit-def: $vgpr73
                                        ; implicit-def: $vgpr74
                                        ; implicit-def: $vgpr66
.LBB251_15:
	s_andn2_saveexec_b64 s[2:3], s[2:3]
	s_cbranch_execz .LBB251_17
; %bb.16:
	v_add_f32_e32 v72, 0x358637bd, v74
	v_div_scale_f32 v74, s[4:5], v72, v72, 1.0
	v_rcp_f32_e32 v75, v74
	v_sub_f32_e32 v67, v67, v73
	v_mul_f32_e32 v67, 0x3fb8aa3b, v67
	v_exp_f32_e32 v67, v67
	v_fma_f32 v73, -v74, v75, 1.0
	v_fmac_f32_e32 v75, v73, v75
	v_div_scale_f32 v73, vcc, 1.0, v72, 1.0
	v_mul_f32_e32 v76, v73, v75
	v_fma_f32 v77, -v74, v76, v73
	v_fmac_f32_e32 v76, v77, v75
	v_fma_f32 v73, -v74, v76, v73
	v_div_fmas_f32 v73, v73, v75, v76
	v_div_fixup_f32 v72, v73, v72, 1.0
	v_mul_f32_e32 v72, v67, v72
	v_pk_mul_f32 v[70:71], v[70:71], v[72:73] op_sel_hi:[1,0]
	v_pk_mul_f32 v[68:69], v[68:69], v[72:73] op_sel_hi:[1,0]
	s_nop 0
	v_cvt_f16_f32_e32 v67, v68
	v_cvt_f16_f32_e32 v68, v69
	;; [unrolled: 1-line block ×4, first 2 shown]
	v_pack_b32_f16 v68, v67, v68
	v_pack_b32_f16 v69, v69, v70
	s_waitcnt vmcnt(5)
	s_nop 0
	v_mfma_f32_4x4x4_16b_f16 a[0:3], v[68:69], v[42:43], 0 cbsz:4
	s_nop 1
	v_mfma_f32_4x4x4_16b_f16 a[0:3], v[68:69], v[44:45], a[0:3] cbsz:4 abid:1
	s_waitcnt vmcnt(3)
	v_mfma_f32_4x4x4_16b_f16 a[4:7], v[68:69], v[58:59], 0 cbsz:4
	v_mfma_f32_4x4x4_16b_f16 a[0:3], v[68:69], v[26:27], a[0:3] cbsz:4 abid:2
	s_nop 0
	v_mfma_f32_4x4x4_16b_f16 a[4:7], v[68:69], v[60:61], a[4:7] cbsz:4 abid:1
	v_mfma_f32_4x4x4_16b_f16 a[0:3], v[68:69], v[28:29], a[0:3] cbsz:4 abid:3
	s_waitcnt vmcnt(2)
	v_mfma_f32_4x4x4_16b_f16 a[4:7], v[68:69], v[62:63], a[4:7] cbsz:4 abid:2
	v_mfma_f32_4x4x4_16b_f16 a[0:3], v[68:69], v[2:3], a[0:3] cbsz:4 abid:4
	s_nop 0
	v_mfma_f32_4x4x4_16b_f16 a[4:7], v[68:69], v[64:65], a[4:7] cbsz:4 abid:3
	v_mfma_f32_4x4x4_16b_f16 a[0:3], v[68:69], v[4:5], a[0:3] cbsz:4 abid:5
	s_nop 0
	;; [unrolled: 3-line block ×3, first 2 shown]
	v_mfma_f32_4x4x4_16b_f16 a[4:7], v[68:69], v[32:33], a[4:7] cbsz:4 abid:5
	v_mfma_f32_4x4x4_16b_f16 a[0:3], v[68:69], v[8:9], a[0:3] cbsz:4 abid:7
	v_mad_u32_u24 v9, v1, 40, v66
	v_mfma_f32_4x4x4_16b_f16 a[4:7], v[68:69], v[34:35], a[4:7] cbsz:4 abid:6
	v_mfma_f32_4x4x4_16b_f16 a[0:3], v[68:69], v[10:11], a[0:3] cbsz:4 abid:8
	s_nop 0
	v_mfma_f32_4x4x4_16b_f16 a[4:7], v[68:69], v[36:37], a[4:7] cbsz:4 abid:7
	v_mfma_f32_4x4x4_16b_f16 a[0:3], v[68:69], v[12:13], a[0:3] cbsz:4 abid:9
	s_nop 0
	;; [unrolled: 3-line block ×7, first 2 shown]
	v_mfma_f32_4x4x4_16b_f16 a[0:3], v[68:69], v[24:25], a[0:3] cbsz:4 abid:15
	s_nop 4
	v_accvgpr_read_b32 v2, a0
	v_accvgpr_read_b32 v3, a1
	v_accvgpr_read_b32 v4, a2
	v_accvgpr_read_b32 v5, a3
	v_mfma_f32_4x4x4_16b_f16 a[0:3], v[68:69], v[52:53], a[4:7] cbsz:4 abid:13
	v_cvt_f16_f32_e32 v2, v2
	v_cvt_f16_f32_e32 v3, v3
	v_mfma_f32_4x4x4_16b_f16 a[0:3], v[68:69], v[54:55], a[0:3] cbsz:4 abid:14
	v_pack_b32_f16 v2, v2, v3
	s_nop 0
	v_mfma_f32_4x4x4_16b_f16 a[0:3], v[68:69], v[56:57], a[0:3] cbsz:4 abid:15
	v_cvt_f16_f32_e32 v3, v4
	v_cvt_f16_f32_e32 v4, v5
	v_pack_b32_f16 v3, v3, v4
	s_nop 1
	v_accvgpr_read_b32 v5, a0
	v_accvgpr_read_b32 v6, a1
	v_accvgpr_read_b32 v7, a2
	v_accvgpr_read_b32 v8, a3
	v_cvt_f16_f32_e32 v5, v5
	v_cvt_f16_f32_e32 v6, v6
	v_cvt_f16_f32_e32 v7, v7
	v_cvt_f16_f32_e32 v8, v8
	v_pack_b32_f16 v4, v5, v6
	v_pack_b32_f16 v5, v7, v8
	ds_write2st64_b64 v9, v[2:3], v[4:5] offset1:5
.LBB251_17:
	s_or_b64 exec, exec, s[2:3]
	v_cmp_gt_u32_e32 vcc, 64, v0
	s_waitcnt lgkmcnt(0)
	s_barrier
	s_and_saveexec_b64 s[2:3], vcc
	s_cbranch_execz .LBB251_19
; %bb.18:
	s_waitcnt vmcnt(16)
	v_mul_u32_u24_e32 v6, 40, v1
	ds_read2_b64 v[2:5], v6 offset1:1
	ds_read2_b64 v[6:9], v6 offset0:2 offset1:3
	s_lshl_b32 s0, s0, 7
	s_lshl_b64 s[2:3], s[0:1], 1
	s_add_u32 s2, s22, s2
	s_waitcnt lgkmcnt(1)
	v_pk_add_f16 v2, v2, 0
	v_pk_add_f16 v3, v3, 0
	;; [unrolled: 1-line block ×4, first 2 shown]
	s_waitcnt lgkmcnt(0)
	v_pk_add_f16 v2, v2, v6
	v_pk_add_f16 v6, v3, v7
	s_waitcnt vmcnt(13)
	v_pk_add_f16 v10, v2, v8
	v_mov_b32_e32 v2, 0xa00
	v_mad_u32_u24 v2, v1, 40, v2
	ds_read2_b64 v[2:5], v2 offset1:1
	v_pk_add_f16 v11, v6, v9
	v_mov_b32_e32 v6, 0xa10
	v_mad_u32_u24 v1, v1, 40, v6
	ds_read2_b64 v[6:9], v1 offset1:1
	s_addc_u32 s3, s23, s3
	s_lshl_b32 s0, s20, 7
	s_lshl_b64 s[0:1], s[0:1], 1
	s_waitcnt lgkmcnt(1)
	v_pk_add_f16 v1, v2, 0
	v_pk_add_f16 v2, v3, 0
	s_add_u32 s0, s2, s0
	v_pk_add_f16 v2, v2, v5
	s_addc_u32 s1, s3, s1
	s_lshl_b32 s2, s40, 7
	s_waitcnt lgkmcnt(0)
	v_pk_add_f16 v2, v2, v7
	s_mul_i32 s3, s2, s33
	v_pk_add_f16 v13, v2, v9
	v_or_b32_e32 v2, s3, v0
	v_mov_b32_e32 v3, 0
	s_add_i32 s3, s3, s2
	v_pk_add_f16 v1, v1, v4
	v_lshl_add_u64 v[4:5], v[2:3], 1, s[0:1]
	v_or_b32_e32 v2, s3, v0
	s_add_i32 s3, s3, s2
	v_pk_add_f16 v1, v1, v6
	v_lshl_add_u64 v[6:7], v[2:3], 1, s[0:1]
	v_or_b32_e32 v2, s3, v0
	s_add_i32 s3, s3, s2
	v_pk_add_f16 v12, v1, v8
	v_lshl_add_u64 v[8:9], v[2:3], 1, s[0:1]
	v_or_b32_e32 v2, s3, v0
	v_lshl_add_u64 v[0:1], v[2:3], 1, s[0:1]
	global_store_short v[4:5], v10, off
	global_store_short_d16_hi v[6:7], v10, off
	global_store_short v[8:9], v11, off
	global_store_short_d16_hi v[0:1], v11, off
	global_store_short v[4:5], v12, off offset:128
	global_store_short_d16_hi v[6:7], v12, off offset:128
	global_store_short v[8:9], v13, off offset:128
	global_store_short_d16_hi v[0:1], v13, off offset:128
.LBB251_19:
	s_endpgm
.LBB251_20:
	s_mov_b64 s[12:13], 0
                                        ; implicit-def: $sgpr34_sgpr35
	s_branch .LBB251_2
	.section	.rodata,"a",@progbits
	.p2align	6, 0x0
	.amdhsa_kernel _Z38paged_attention_ll4mi_QKV_mfma4_kernelIDF16_DF16_LN4vllm18Fp8KVCacheDataTypeE0EDF16_Li16ELi128ELi256ELb1ELi4EEvPKT_PKT0_S7_ifPKiS9_S9_iPKfiiiPfSC_PS2_PT2_iSB_SB_
		.amdhsa_group_segment_fixed_size 5280
		.amdhsa_private_segment_fixed_size 0
		.amdhsa_kernarg_size 400
		.amdhsa_user_sgpr_count 2
		.amdhsa_user_sgpr_dispatch_ptr 0
		.amdhsa_user_sgpr_queue_ptr 0
		.amdhsa_user_sgpr_kernarg_segment_ptr 1
		.amdhsa_user_sgpr_dispatch_id 0
		.amdhsa_user_sgpr_kernarg_preload_length 0
		.amdhsa_user_sgpr_kernarg_preload_offset 0
		.amdhsa_user_sgpr_private_segment_size 0
		.amdhsa_uses_dynamic_stack 0
		.amdhsa_enable_private_segment 0
		.amdhsa_system_sgpr_workgroup_id_x 1
		.amdhsa_system_sgpr_workgroup_id_y 1
		.amdhsa_system_sgpr_workgroup_id_z 1
		.amdhsa_system_sgpr_workgroup_info 0
		.amdhsa_system_vgpr_workitem_id 0
		.amdhsa_next_free_vgpr 112
		.amdhsa_next_free_sgpr 41
		.amdhsa_accum_offset 104
		.amdhsa_reserve_vcc 1
		.amdhsa_float_round_mode_32 0
		.amdhsa_float_round_mode_16_64 0
		.amdhsa_float_denorm_mode_32 3
		.amdhsa_float_denorm_mode_16_64 3
		.amdhsa_dx10_clamp 1
		.amdhsa_ieee_mode 1
		.amdhsa_fp16_overflow 0
		.amdhsa_tg_split 0
		.amdhsa_exception_fp_ieee_invalid_op 0
		.amdhsa_exception_fp_denorm_src 0
		.amdhsa_exception_fp_ieee_div_zero 0
		.amdhsa_exception_fp_ieee_overflow 0
		.amdhsa_exception_fp_ieee_underflow 0
		.amdhsa_exception_fp_ieee_inexact 0
		.amdhsa_exception_int_div_zero 0
	.end_amdhsa_kernel
	.section	.text._Z38paged_attention_ll4mi_QKV_mfma4_kernelIDF16_DF16_LN4vllm18Fp8KVCacheDataTypeE0EDF16_Li16ELi128ELi256ELb1ELi4EEvPKT_PKT0_S7_ifPKiS9_S9_iPKfiiiPfSC_PS2_PT2_iSB_SB_,"axG",@progbits,_Z38paged_attention_ll4mi_QKV_mfma4_kernelIDF16_DF16_LN4vllm18Fp8KVCacheDataTypeE0EDF16_Li16ELi128ELi256ELb1ELi4EEvPKT_PKT0_S7_ifPKiS9_S9_iPKfiiiPfSC_PS2_PT2_iSB_SB_,comdat
.Lfunc_end251:
	.size	_Z38paged_attention_ll4mi_QKV_mfma4_kernelIDF16_DF16_LN4vllm18Fp8KVCacheDataTypeE0EDF16_Li16ELi128ELi256ELb1ELi4EEvPKT_PKT0_S7_ifPKiS9_S9_iPKfiiiPfSC_PS2_PT2_iSB_SB_, .Lfunc_end251-_Z38paged_attention_ll4mi_QKV_mfma4_kernelIDF16_DF16_LN4vllm18Fp8KVCacheDataTypeE0EDF16_Li16ELi128ELi256ELb1ELi4EEvPKT_PKT0_S7_ifPKiS9_S9_iPKfiiiPfSC_PS2_PT2_iSB_SB_
                                        ; -- End function
	.section	.AMDGPU.csdata,"",@progbits
; Kernel info:
; codeLenInByte = 3936
; NumSgprs: 47
; NumVgprs: 101
; NumAgprs: 8
; TotalNumVgprs: 112
; ScratchSize: 0
; MemoryBound: 0
; FloatMode: 240
; IeeeMode: 1
; LDSByteSize: 5280 bytes/workgroup (compile time only)
; SGPRBlocks: 5
; VGPRBlocks: 13
; NumSGPRsForWavesPerEU: 47
; NumVGPRsForWavesPerEU: 112
; AccumOffset: 104
; Occupancy: 4
; WaveLimiterHint : 1
; COMPUTE_PGM_RSRC2:SCRATCH_EN: 0
; COMPUTE_PGM_RSRC2:USER_SGPR: 2
; COMPUTE_PGM_RSRC2:TRAP_HANDLER: 0
; COMPUTE_PGM_RSRC2:TGID_X_EN: 1
; COMPUTE_PGM_RSRC2:TGID_Y_EN: 1
; COMPUTE_PGM_RSRC2:TGID_Z_EN: 1
; COMPUTE_PGM_RSRC2:TIDIG_COMP_CNT: 0
; COMPUTE_PGM_RSRC3_GFX90A:ACCUM_OFFSET: 25
; COMPUTE_PGM_RSRC3_GFX90A:TG_SPLIT: 0
	.section	.text._Z39paged_attention_ll4mi_QKV_mfma16_kernelIDF16_DF16_LN4vllm18Fp8KVCacheDataTypeE0EDF16_Li16ELi128ELi256ELb1ELi5EEvPKT_PKT0_S7_ifPKiS9_S9_iPKfiiiPfSC_PS2_PT2_iSB_SB_,"axG",@progbits,_Z39paged_attention_ll4mi_QKV_mfma16_kernelIDF16_DF16_LN4vllm18Fp8KVCacheDataTypeE0EDF16_Li16ELi128ELi256ELb1ELi5EEvPKT_PKT0_S7_ifPKiS9_S9_iPKfiiiPfSC_PS2_PT2_iSB_SB_,comdat
	.protected	_Z39paged_attention_ll4mi_QKV_mfma16_kernelIDF16_DF16_LN4vllm18Fp8KVCacheDataTypeE0EDF16_Li16ELi128ELi256ELb1ELi5EEvPKT_PKT0_S7_ifPKiS9_S9_iPKfiiiPfSC_PS2_PT2_iSB_SB_ ; -- Begin function _Z39paged_attention_ll4mi_QKV_mfma16_kernelIDF16_DF16_LN4vllm18Fp8KVCacheDataTypeE0EDF16_Li16ELi128ELi256ELb1ELi5EEvPKT_PKT0_S7_ifPKiS9_S9_iPKfiiiPfSC_PS2_PT2_iSB_SB_
	.globl	_Z39paged_attention_ll4mi_QKV_mfma16_kernelIDF16_DF16_LN4vllm18Fp8KVCacheDataTypeE0EDF16_Li16ELi128ELi256ELb1ELi5EEvPKT_PKT0_S7_ifPKiS9_S9_iPKfiiiPfSC_PS2_PT2_iSB_SB_
	.p2align	8
	.type	_Z39paged_attention_ll4mi_QKV_mfma16_kernelIDF16_DF16_LN4vllm18Fp8KVCacheDataTypeE0EDF16_Li16ELi128ELi256ELb1ELi5EEvPKT_PKT0_S7_ifPKiS9_S9_iPKfiiiPfSC_PS2_PT2_iSB_SB_,@function
_Z39paged_attention_ll4mi_QKV_mfma16_kernelIDF16_DF16_LN4vllm18Fp8KVCacheDataTypeE0EDF16_Li16ELi128ELi256ELb1ELi5EEvPKT_PKT0_S7_ifPKiS9_S9_iPKfiiiPfSC_PS2_PT2_iSB_SB_: ; @_Z39paged_attention_ll4mi_QKV_mfma16_kernelIDF16_DF16_LN4vllm18Fp8KVCacheDataTypeE0EDF16_Li16ELi128ELi256ELb1ELi5EEvPKT_PKT0_S7_ifPKiS9_S9_iPKfiiiPfSC_PS2_PT2_iSB_SB_
; %bb.0:
	s_load_dwordx2 s[8:9], s[0:1], 0x30
	s_mov_b32 s26, s3
	s_mov_b64 s[6:7], 0
	s_waitcnt lgkmcnt(0)
	s_cmp_lg_u64 s[8:9], 0
	s_cselect_b64 s[10:11], -1, 0
	s_and_b64 vcc, exec, s[10:11]
	s_cbranch_vccz .LBB252_7
; %bb.1:
	s_add_i32 s12, s2, 1
	s_mov_b32 s13, 0
	s_lshl_b64 s[14:15], s[12:13], 2
	s_add_u32 s14, s8, s14
	s_mov_b32 s3, s13
	s_addc_u32 s15, s9, s15
	s_lshl_b64 s[12:13], s[2:3], 2
	s_add_u32 s12, s8, s12
	s_addc_u32 s13, s9, s13
	s_load_dword s5, s[14:15], 0x0
	s_load_dword s16, s[12:13], 0x0
	s_waitcnt lgkmcnt(0)
	s_sub_i32 s5, s5, s16
	s_cmp_eq_u32 s5, 1
	s_cselect_b64 s[12:13], -1, 0
	s_andn2_b64 vcc, exec, s[6:7]
	s_cbranch_vccnz .LBB252_3
.LBB252_2:
	s_mov_b32 s3, 0
	s_mov_b64 s[12:13], -1
.LBB252_3:
	s_andn2_b64 vcc, exec, s[12:13]
	s_cbranch_vccnz .LBB252_20
; %bb.4:
	s_load_dwordx2 s[6:7], s[0:1], 0x28
	s_lshl_b64 s[12:13], s[2:3], 2
	s_waitcnt lgkmcnt(0)
	s_add_u32 s6, s6, s12
	s_addc_u32 s7, s7, s13
	s_load_dword s27, s[6:7], 0x0
	s_lshl_b32 s18, s26, 8
	s_waitcnt lgkmcnt(0)
	s_cmp_ge_i32 s18, s27
	s_cbranch_scc1 .LBB252_20
; %bb.5:
	s_load_dwordx2 s[6:7], s[0:1], 0x20
	s_load_dword s5, s[0:1], 0x38
	s_add_i32 s14, s27, 15
	s_ashr_i32 s15, s14, 31
	v_and_b32_e32 v1, 0xcf, v0
	s_lshr_b32 s15, s15, 28
	v_add_u32_e32 v1, s18, v1
	s_add_i32 s14, s14, s15
	v_ashrrev_i32_e32 v2, 31, v1
	s_ashr_i32 s19, s14, 4
	v_lshrrev_b32_e32 v4, 28, v2
	s_add_i32 s19, s19, -1
	s_waitcnt lgkmcnt(0)
	s_mul_i32 s14, s2, s5
	s_mov_b32 s15, 0
	v_add_u32_e32 v2, v1, v4
	s_lshl_b64 s[14:15], s[14:15], 2
	v_ashrrev_i32_e32 v2, 4, v2
	v_mov_b32_e32 v5, s19
	v_cmp_gt_i32_e32 vcc, s27, v1
	s_add_u32 s6, s6, s14
	s_addc_u32 s7, s7, s15
	v_cndmask_b32_e32 v2, v5, v2, vcc
	v_ashrrev_i32_e32 v3, 31, v2
	v_lshl_add_u64 v[6:7], v[2:3], 2, s[6:7]
	v_or_b32_e32 v2, 16, v1
	v_add_u32_e32 v3, v2, v4
	v_ashrrev_i32_e32 v3, 4, v3
	v_cmp_gt_i32_e32 vcc, s27, v2
	s_load_dwordx2 s[14:15], s[0:1], 0x8
	s_nop 0
	v_cndmask_b32_e32 v2, v5, v3, vcc
	v_ashrrev_i32_e32 v3, 31, v2
	v_lshl_add_u64 v[8:9], v[2:3], 2, s[6:7]
	v_or_b32_e32 v2, 32, v1
	v_add_u32_e32 v3, v2, v4
	v_ashrrev_i32_e32 v3, 4, v3
	v_cmp_gt_i32_e32 vcc, s27, v2
	v_or_b32_e32 v1, 48, v1
	s_nop 0
	v_cndmask_b32_e32 v2, v5, v3, vcc
	v_ashrrev_i32_e32 v3, 31, v2
	v_lshl_add_u64 v[10:11], v[2:3], 2, s[6:7]
	v_add_u32_e32 v2, v1, v4
	v_ashrrev_i32_e32 v2, 4, v2
	v_cmp_gt_i32_e32 vcc, s27, v1
	s_nop 1
	v_cndmask_b32_e32 v2, v5, v2, vcc
	v_ashrrev_i32_e32 v3, 31, v2
	v_lshl_add_u64 v[12:13], v[2:3], 2, s[6:7]
	global_load_dword v5, v[6:7], off
	global_load_dword v4, v[8:9], off
	;; [unrolled: 1-line block ×4, first 2 shown]
	s_andn2_b64 vcc, exec, s[10:11]
	s_cbranch_vccnz .LBB252_8
; %bb.6:
	s_add_u32 s8, s8, s12
	s_addc_u32 s9, s9, s13
	s_load_dword s5, s[8:9], 0x0
	s_branch .LBB252_9
.LBB252_7:
	s_mov_b64 s[12:13], 0
	s_branch .LBB252_2
.LBB252_8:
	s_mov_b32 s5, s2
.LBB252_9:
	s_load_dwordx2 s[12:13], s[0:1], 0x10
	s_load_dwordx4 s[8:11], s[0:1], 0x48
	v_lshrrev_b32_e32 v85, 6, v0
	v_bfe_u32 v88, v0, 4, 2
	v_and_b32_e32 v84, 15, v0
	v_lshl_or_b32 v1, v85, 2, v88
	v_lshlrev_b32_e32 v6, 3, v84
	s_mul_i32 s40, s4, 5
	v_cmp_gt_u32_e32 vcc, 5, v1
	v_lshlrev_b32_e32 v82, 1, v6
	s_and_saveexec_b64 s[16:17], vcc
	s_cbranch_execz .LBB252_11
; %bb.10:
	s_load_dwordx2 s[20:21], s[0:1], 0x0
	s_waitcnt lgkmcnt(0)
	s_ashr_i32 s11, s8, 31
	s_mul_hi_u32 s22, s5, s8
	s_mul_i32 s11, s5, s11
	s_add_i32 s23, s22, s11
	s_mul_i32 s22, s5, s8
	s_lshl_b64 s[22:23], s[22:23], 1
	s_add_u32 s20, s20, s22
	v_add_lshl_u32 v6, v1, s40, 7
	s_addc_u32 s21, s21, s23
	v_ashrrev_i32_e32 v7, 31, v6
	v_lshl_add_u64 v[6:7], v[6:7], 1, s[20:21]
	v_mov_b32_e32 v83, 0
	v_lshl_add_u64 v[6:7], v[6:7], 0, v[82:83]
	global_load_dwordx4 v[6:9], v[6:7], off
	v_and_b32_e32 v10, 3, v0
	v_lshlrev_b32_e32 v11, 9, v84
	v_lshlrev_b32_e32 v1, 5, v1
	v_lshlrev_b32_e32 v10, 9, v10
	v_and_b32_e32 v11, 0x1800, v11
	v_or3_b32 v1, v11, v10, v1
	s_waitcnt vmcnt(0)
	ds_write_b128 v1, v[6:9]
.LBB252_11:
	s_or_b64 exec, exec, s[16:17]
	s_waitcnt lgkmcnt(0)
	s_mul_i32 s4, s4, s10
	s_mov_b32 s5, 0
	s_lshl_b64 s[4:5], s[4:5], 1
	s_add_u32 s10, s14, s4
	v_lshlrev_b32_e32 v1, 4, v0
	s_addc_u32 s11, s15, s5
	v_and_b32_e32 v86, 0xf0, v1
	v_mov_b32_e32 v87, 0
	v_lshl_add_u64 v[6:7], s[10:11], 0, v[86:87]
	s_waitcnt vmcnt(3)
	v_mad_i64_i32 v[8:9], s[10:11], v5, s9, 0
	s_waitcnt vmcnt(2)
	v_mad_i64_i32 v[4:5], s[10:11], v4, s9, 0
	v_lshl_add_u64 v[8:9], v[8:9], 1, v[6:7]
	v_and_b32_e32 v86, 0x300, v1
	v_lshl_add_u64 v[4:5], v[4:5], 1, v[6:7]
	v_lshl_add_u64 v[8:9], v[8:9], 0, v[86:87]
	;; [unrolled: 1-line block ×3, first 2 shown]
	s_barrier
	global_load_dwordx4 v[78:81], v[8:9], off
	global_load_dwordx4 v[74:77], v[8:9], off offset:1024
	global_load_dwordx4 v[70:73], v[8:9], off offset:2048
	;; [unrolled: 1-line block ×3, first 2 shown]
	global_load_dwordx4 v[66:69], v[4:5], off
	global_load_dwordx4 v[62:65], v[4:5], off offset:1024
	global_load_dwordx4 v[58:61], v[4:5], off offset:2048
	global_load_dwordx4 v[14:17], v[4:5], off offset:3072
	s_waitcnt vmcnt(9)
	v_mad_i64_i32 v[4:5], s[10:11], v3, s9, 0
	s_waitcnt vmcnt(8)
	v_mad_i64_i32 v[2:3], s[10:11], v2, s9, 0
	v_lshl_add_u64 v[4:5], v[4:5], 1, v[6:7]
	v_lshl_add_u64 v[2:3], v[2:3], 1, v[6:7]
	;; [unrolled: 1-line block ×4, first 2 shown]
	global_load_dwordx4 v[30:33], v[4:5], off
	global_load_dwordx4 v[26:29], v[4:5], off offset:1024
	global_load_dwordx4 v[22:25], v[4:5], off offset:2048
	;; [unrolled: 1-line block ×3, first 2 shown]
	global_load_dwordx4 v[6:9], v[34:35], off
	s_nop 0
	global_load_dwordx4 v[2:5], v[34:35], off offset:1024
	global_load_dwordx4 v[38:41], v[34:35], off offset:2048
	s_nop 0
	global_load_dwordx4 v[34:37], v[34:35], off offset:3072
	v_mul_lo_u16_e32 v42, 52, v84
	v_mov_b32_e32 v43, 5
	v_mul_lo_u16_sdwa v42, v42, v43 dst_sel:DWORD dst_unused:UNUSED_PAD src0_sel:BYTE_1 src1_sel:DWORD
	v_sub_u16_e32 v42, v84, v42
	v_lshlrev_b32_sdwa v42, v43, v42 dst_sel:DWORD dst_unused:UNUSED_PAD src0_sel:DWORD src1_sel:BYTE_0
	v_lshl_add_u32 v42, v88, 9, v42
	ds_read_b128 v[54:57], v42
	ds_read_b128 v[50:53], v42 offset:2048
	ds_read_b128 v[46:49], v42 offset:4096
	;; [unrolled: 1-line block ×3, first 2 shown]
	v_and_b32_e32 v83, 63, v0
	v_cmp_gt_u32_e32 vcc, 5, v84
	v_mov_b32_e32 v89, 0
	s_and_saveexec_b64 s[10:11], vcc
	s_cbranch_execz .LBB252_13
; %bb.12:
	s_load_dwordx2 s[14:15], s[0:1], 0x40
	v_add_u32_e32 v90, s40, v84
	v_ashrrev_i32_e32 v91, 31, v90
	s_waitcnt lgkmcnt(0)
	v_lshl_add_u64 v[90:91], v[90:91], 2, s[14:15]
	global_load_dword v89, v[90:91], off
.LBB252_13:
	s_or_b64 exec, exec, s[10:11]
	s_waitcnt vmcnt(15) lgkmcnt(3)
	v_mfma_f32_16x16x16_f16 v[90:93], v[78:79], v[54:55], 0
	s_add_u32 s4, s12, s4
	s_addc_u32 s5, s13, s5
	s_mov_b32 s33, 0xff7fffff
	v_mfma_f32_16x16x16_f16 v[78:81], v[80:81], v[56:57], v[90:93]
	s_waitcnt vmcnt(14) lgkmcnt(2)
	v_mfma_f32_16x16x16_f16 v[78:81], v[74:75], v[50:51], v[78:81]
	s_nop 0
	v_lshl_or_b32 v90, v85, 4, v84
	v_lshlrev_b32_e32 v86, 5, v90
	v_mfma_f32_16x16x16_f16 v[74:77], v[76:77], v[52:53], v[78:81]
	s_waitcnt vmcnt(13) lgkmcnt(1)
	v_mfma_f32_16x16x16_f16 v[74:77], v[70:71], v[46:47], v[74:77]
	v_mfma_f32_16x16x16_f16 v[70:73], v[72:73], v[48:49], v[74:77]
	s_waitcnt vmcnt(11)
	v_mfma_f32_16x16x16_f16 v[74:77], v[66:67], v[54:55], 0
	v_mfma_f32_16x16x16_f16 v[66:69], v[68:69], v[56:57], v[74:77]
	s_nop 5
	v_and_or_b32 v74, v0, 48, s18
	s_waitcnt lgkmcnt(0)
	v_mfma_f32_16x16x16_f16 v[70:73], v[10:11], v[42:43], v[70:73]
	v_ashrrev_i32_e32 v10, 4, v74
	v_mov_b32_e32 v75, s19
	v_cmp_gt_i32_e32 vcc, s27, v74
	s_waitcnt vmcnt(10)
	v_mfma_f32_16x16x16_f16 v[66:69], v[62:63], v[50:51], v[66:69]
	v_cndmask_b32_e32 v10, v75, v10, vcc
	v_ashrrev_i32_e32 v11, 31, v10
	v_lshl_add_u64 v[10:11], v[10:11], 2, s[6:7]
	global_load_dword v76, v[10:11], off
	v_mfma_f32_16x16x16_f16 v[62:65], v[64:65], v[52:53], v[66:69]
	v_or_b32_e32 v10, 64, v74
	v_ashrrev_i32_e32 v11, 4, v10
	v_cmp_gt_i32_e32 vcc, s27, v10
	s_waitcnt vmcnt(10)
	v_mfma_f32_16x16x16_f16 v[62:65], v[58:59], v[46:47], v[62:65]
	v_cndmask_b32_e32 v10, v75, v11, vcc
	v_ashrrev_i32_e32 v11, 31, v10
	v_lshl_add_u64 v[10:11], v[10:11], 2, s[6:7]
	global_load_dword v77, v[10:11], off
	v_or_b32_e32 v10, 0x80, v74
	v_mfma_f32_16x16x16_f16 v[58:61], v[60:61], v[48:49], v[62:65]
	v_ashrrev_i32_e32 v11, 4, v10
	v_cmp_gt_i32_e32 vcc, s27, v10
	s_waitcnt vmcnt(9)
	v_mfma_f32_16x16x16_f16 v[62:65], v[30:31], v[54:55], 0
	v_cndmask_b32_e32 v10, v75, v11, vcc
	v_ashrrev_i32_e32 v11, 31, v10
	v_lshl_add_u64 v[10:11], v[10:11], 2, s[6:7]
	v_mfma_f32_16x16x16_f16 v[30:33], v[32:33], v[56:57], v[62:65]
	s_nop 2
	global_load_dword v64, v[10:11], off
	v_or_b32_e32 v10, 0xc0, v74
	v_ashrrev_i32_e32 v11, 4, v10
	v_cmp_gt_i32_e32 vcc, s27, v10
	s_waitcnt vmcnt(9)
	v_mfma_f32_16x16x16_f16 v[30:33], v[26:27], v[50:51], v[30:33]
	v_lshl_add_u64 v[62:63], s[4:5], 0, v[86:87]
	v_cndmask_b32_e32 v10, v75, v11, vcc
	v_ashrrev_i32_e32 v11, 31, v10
	v_lshl_add_u64 v[10:11], v[10:11], 2, s[6:7]
	global_load_dword v65, v[10:11], off
	v_mfma_f32_16x16x16_f16 v[26:29], v[28:29], v[52:53], v[30:33]
	s_load_dword s6, s[0:1], 0x1c
	v_or_b32_e32 v86, 0x800, v86
	s_waitcnt vmcnt(3)
	v_mad_i64_i32 v[10:11], s[10:11], v76, s9, 0
	v_mfma_f32_16x16x16_f16 v[26:29], v[22:23], v[46:47], v[26:29]
	v_lshlrev_b64 v[74:75], 1, v[10:11]
	v_mfma_f32_16x16x16_f16 v[66:69], v[12:13], v[44:45], v[70:73]
	v_mfma_f32_16x16x16_f16 v[10:13], v[24:25], v[48:49], v[26:29]
	;; [unrolled: 1-line block ×3, first 2 shown]
	v_lshl_add_u64 v[14:15], v[62:63], 0, v[74:75]
	s_waitcnt lgkmcnt(0)
	s_nop 2
	v_pk_mul_f32 v[78:79], s[6:7], v[68:69] op_sel_hi:[0,1]
	v_mfma_f32_16x16x16_f16 v[10:13], v[18:19], v[42:43], v[10:13]
	v_mfma_f32_16x16x16_f16 v[70:73], v[16:17], v[44:45], v[30:33]
	s_nop 2
	global_load_dwordx4 v[30:33], v[14:15], off
	global_load_dwordx4 v[26:29], v[14:15], off offset:16
	s_waitcnt vmcnt(4)
	v_mad_i64_i32 v[14:15], s[10:11], v77, s9, 0
	v_lshlrev_b64 v[58:59], 1, v[14:15]
	v_mfma_f32_16x16x16_f16 v[92:95], v[20:21], v[44:45], v[10:13]
	v_pk_mul_f32 v[76:77], s[6:7], v[70:71] op_sel_hi:[0,1]
	s_nop 1
	v_lshl_add_u64 v[10:11], v[62:63], 0, v[58:59]
	global_load_dwordx4 v[22:25], v[10:11], off
	global_load_dwordx4 v[18:21], v[10:11], off offset:16
	v_mfma_f32_16x16x16_f16 v[10:13], v[6:7], v[54:55], 0
	s_waitcnt vmcnt(5)
	v_mad_i64_i32 v[6:7], s[10:11], v64, s9, 0
	v_lshlrev_b64 v[54:55], 1, v[6:7]
	v_mfma_f32_16x16x16_f16 v[6:9], v[8:9], v[56:57], v[10:13]
	v_pk_mul_f32 v[70:71], s[6:7], v[94:95] op_sel_hi:[0,1]
	v_mfma_f32_16x16x16_f16 v[6:9], v[2:3], v[50:51], v[6:9]
	s_waitcnt vmcnt(4)
	v_mad_i64_i32 v[2:3], s[8:9], v65, s9, 0
	v_lshlrev_b64 v[60:61], 1, v[2:3]
	v_mfma_f32_16x16x16_f16 v[50:53], v[4:5], v[52:53], v[6:9]
	v_lshl_add_u64 v[10:11], v[62:63], 0, v[54:55]
	v_lshl_add_u64 v[2:3], v[62:63], 0, v[60:61]
	v_pk_mul_f32 v[62:63], s[6:7], v[66:67] op_sel_hi:[0,1]
	v_mfma_f32_16x16x16_f16 v[50:53], v[38:39], v[46:47], v[50:53]
	v_lshl_add_u64 v[64:65], s[4:5], 0, v[86:87]
	v_lshl_add_u64 v[38:39], v[64:65], 0, v[74:75]
	v_pk_mul_f32 v[74:75], s[6:7], v[72:73] op_sel_hi:[0,1]
	v_mfma_f32_16x16x16_f16 v[46:49], v[40:41], v[48:49], v[50:53]
	v_pk_mul_f32 v[72:73], s[6:7], v[92:93] op_sel_hi:[0,1]
	global_load_dwordx4 v[14:17], v[10:11], off
	s_nop 0
	global_load_dwordx4 v[10:13], v[10:11], off offset:16
	s_nop 0
	global_load_dwordx4 v[6:9], v[2:3], off
	s_nop 0
	global_load_dwordx4 v[2:5], v[2:3], off offset:16
	v_mfma_f32_16x16x16_f16 v[40:43], v[34:35], v[42:43], v[46:49]
	v_mfma_f32_16x16x16_f16 v[34:37], v[36:37], v[44:45], v[40:43]
	s_nop 6
	v_pk_mul_f32 v[68:69], s[6:7], v[34:35] op_sel_hi:[0,1]
	v_and_b32_e32 v34, 0xc0, v0
	v_add_u32_e32 v34, s18, v34
	v_lshl_or_b32 v34, v88, 2, v34
	v_or_b32_e32 v35, 1, v34
	v_pk_mul_f32 v[66:67], s[6:7], v[36:37] op_sel_hi:[0,1]
	v_subrev_u32_e32 v36, s27, v35
	v_add_u32_e32 v40, 1, v36
	v_add_u32_e32 v41, 2, v36
	v_cvt_f32_i32_e32 v37, v36
	v_cvt_f32_i32_e32 v40, v40
	;; [unrolled: 1-line block ×3, first 2 shown]
	v_add_u32_e32 v42, 3, v36
	v_fma_f32 v62, v89, v37, v62
	v_fmac_f32_e32 v63, v89, v40
	v_fma_f32 v78, v89, v41, v78
	v_add_u32_e32 v37, 16, v36
	v_add_u32_e32 v40, 17, v36
	;; [unrolled: 1-line block ×3, first 2 shown]
	v_cvt_f32_i32_e32 v42, v42
	v_cvt_f32_i32_e32 v37, v37
	;; [unrolled: 1-line block ×4, first 2 shown]
	v_fmac_f32_e32 v79, v89, v42
	v_add_u32_e32 v42, 19, v36
	v_fma_f32 v76, v89, v37, v76
	v_fmac_f32_e32 v77, v89, v40
	v_fma_f32 v74, v89, v41, v74
	v_add_u32_e32 v37, 32, v36
	v_add_u32_e32 v40, 33, v36
	;; [unrolled: 1-line block ×3, first 2 shown]
	v_cvt_f32_i32_e32 v42, v42
	v_cvt_f32_i32_e32 v37, v37
	;; [unrolled: 1-line block ×4, first 2 shown]
	v_fmac_f32_e32 v75, v89, v42
	v_add_u32_e32 v42, 35, v36
	v_fma_f32 v72, v89, v37, v72
	v_fmac_f32_e32 v73, v89, v40
	v_fma_f32 v70, v89, v41, v70
	v_add_u32_e32 v37, 48, v36
	v_add_u32_e32 v40, 49, v36
	;; [unrolled: 1-line block ×4, first 2 shown]
	v_cvt_f32_i32_e32 v36, v36
	v_cvt_f32_i32_e32 v37, v37
	;; [unrolled: 1-line block ×3, first 2 shown]
	v_cmp_gt_i32_e64 s[28:29], s27, v34
	v_fmac_f32_e32 v67, v89, v36
	v_mov_b32_e32 v36, 0xff7fffff
	v_cmp_gt_i32_e64 s[30:31], s27, v35
	v_fma_f32 v68, v89, v37, v68
	v_cndmask_b32_e64 v37, v36, v62, s[28:29]
	v_cndmask_b32_e64 v35, v36, v63, s[30:31]
	v_fmac_f32_e32 v69, v89, v40
	v_max3_f32 v35, v37, s33, v35
	v_or_b32_e32 v37, 2, v34
	v_or_b32_e32 v40, 3, v34
	v_cmp_gt_i32_e64 s[34:35], s27, v37
	v_cmp_gt_i32_e64 s[36:37], s27, v40
	v_cvt_f32_i32_e32 v42, v42
	v_cndmask_b32_e64 v37, v36, v78, s[34:35]
	v_cndmask_b32_e64 v40, v36, v79, s[36:37]
	v_max3_f32 v35, v35, v37, v40
	v_or_b32_e32 v37, 16, v34
	v_or_b32_e32 v40, 17, v34
	v_cmp_gt_i32_e64 s[22:23], s27, v37
	v_cmp_gt_i32_e64 s[24:25], s27, v40
	v_fmac_f32_e32 v71, v89, v42
	v_cndmask_b32_e64 v37, v36, v76, s[22:23]
	v_cndmask_b32_e64 v40, v36, v77, s[24:25]
	v_max3_f32 v35, v35, v37, v40
	v_or_b32_e32 v37, 18, v34
	v_or_b32_e32 v40, 19, v34
	v_cmp_gt_i32_e64 s[18:19], s27, v37
	v_cmp_gt_i32_e64 s[20:21], s27, v40
	v_cvt_f32_i32_e32 v41, v41
	v_cndmask_b32_e64 v37, v36, v74, s[18:19]
	v_cndmask_b32_e64 v40, v36, v75, s[20:21]
	v_max3_f32 v35, v35, v37, v40
	v_or_b32_e32 v37, 32, v34
	v_or_b32_e32 v40, 33, v34
	v_cmp_gt_i32_e64 s[14:15], s27, v37
	v_cmp_gt_i32_e64 s[16:17], s27, v40
	v_fma_f32 v66, v89, v41, v66
	v_cndmask_b32_e64 v37, v36, v72, s[14:15]
	v_cndmask_b32_e64 v40, v36, v73, s[16:17]
	v_max3_f32 v35, v35, v37, v40
	v_or_b32_e32 v37, 34, v34
	v_or_b32_e32 v40, 35, v34
	v_cmp_gt_i32_e64 s[10:11], s27, v37
	v_cmp_gt_i32_e64 s[12:13], s27, v40
	s_nop 0
	v_cndmask_b32_e64 v37, v36, v70, s[10:11]
	v_cndmask_b32_e64 v40, v36, v71, s[12:13]
	v_max3_f32 v35, v35, v37, v40
	v_or_b32_e32 v37, 48, v34
	v_or_b32_e32 v40, 49, v34
	v_cmp_gt_i32_e64 s[6:7], s27, v37
	v_cmp_gt_i32_e64 s[8:9], s27, v40
	s_nop 0
	v_cndmask_b32_e64 v37, v36, v68, s[6:7]
	v_cndmask_b32_e64 v40, v36, v69, s[8:9]
	v_max3_f32 v35, v35, v37, v40
	v_or_b32_e32 v37, 50, v34
	v_or_b32_e32 v34, 51, v34
	v_cmp_gt_i32_e32 vcc, s27, v37
	v_cmp_gt_i32_e64 s[4:5], s27, v34
	global_load_dwordx4 v[46:49], v[38:39], off
	s_nop 0
	global_load_dwordx4 v[38:41], v[38:39], off offset:16
	v_cndmask_b32_e32 v37, v36, v66, vcc
	v_cndmask_b32_e64 v34, v36, v67, s[4:5]
	v_max3_f32 v50, v35, v37, v34
	v_mbcnt_lo_u32_b32 v34, -1, 0
	v_mbcnt_hi_u32_b32 v51, -1, v34
	v_and_b32_e32 v34, 64, v51
	v_add_u32_e32 v52, 64, v34
	v_xor_b32_e32 v34, 32, v51
	v_cmp_lt_i32_e64 s[38:39], v34, v52
	s_nop 1
	v_cndmask_b32_e64 v34, v51, v34, s[38:39]
	v_lshlrev_b32_e32 v87, 2, v34
	ds_bpermute_b32 v53, v87, v50
	v_lshl_add_u64 v[34:35], v[64:65], 0, v[58:59]
	v_lshl_add_u64 v[58:59], v[64:65], 0, v[60:61]
	global_load_dwordx4 v[42:45], v[34:35], off
	s_nop 0
	global_load_dwordx4 v[34:37], v[34:35], off offset:16
	s_waitcnt lgkmcnt(0)
	v_max_f32_e32 v53, v53, v53
	v_max_f32_e32 v80, v50, v53
	v_xor_b32_e32 v50, 16, v51
	v_cmp_lt_i32_e64 s[38:39], v50, v52
	s_nop 1
	v_cndmask_b32_e64 v50, v51, v50, s[38:39]
	v_lshlrev_b32_e32 v89, 2, v50
	ds_bpermute_b32 v81, v89, v80
	v_lshl_add_u64 v[50:51], v[64:65], 0, v[54:55]
	global_load_dwordx4 v[54:57], v[50:51], off
	s_nop 0
	global_load_dwordx4 v[50:53], v[50:51], off offset:16
	s_waitcnt lgkmcnt(0)
	v_max_f32_e32 v60, v81, v81
	v_max_f32_e32 v86, v80, v60
	v_sub_f32_e32 v60, v62, v86
	v_mul_f32_e32 v60, 0x3fb8aa3b, v60
	v_exp_f32_e32 v80, v60
	v_sub_f32_e32 v60, v63, v86
	v_mul_f32_e32 v60, 0x3fb8aa3b, v60
	v_exp_f32_e32 v81, v60
	global_load_dwordx4 v[62:65], v[58:59], off
	s_nop 0
	global_load_dwordx4 v[58:61], v[58:59], off offset:16
	v_sub_f32_e32 v78, v78, v86
	v_mul_f32_e32 v78, 0x3fb8aa3b, v78
	v_sub_f32_e32 v79, v79, v86
	v_exp_f32_e32 v78, v78
	v_mul_f32_e32 v79, 0x3fb8aa3b, v79
	v_sub_f32_e32 v76, v76, v86
	v_exp_f32_e32 v79, v79
	v_mul_f32_e32 v76, 0x3fb8aa3b, v76
	v_sub_f32_e32 v77, v77, v86
	v_cndmask_b32_e64 v80, 0, v80, s[28:29]
	v_exp_f32_e32 v76, v76
	v_mul_f32_e32 v77, 0x3fb8aa3b, v77
	v_sub_f32_e32 v74, v74, v86
	v_add_f32_e32 v91, 0, v80
	v_cndmask_b32_e64 v81, 0, v81, s[30:31]
	v_exp_f32_e32 v77, v77
	v_mul_f32_e32 v74, 0x3fb8aa3b, v74
	v_sub_f32_e32 v75, v75, v86
	v_add_f32_e32 v91, v91, v81
	v_cndmask_b32_e64 v78, 0, v78, s[34:35]
	v_exp_f32_e32 v74, v74
	v_mul_f32_e32 v75, 0x3fb8aa3b, v75
	v_sub_f32_e32 v72, v72, v86
	v_add_f32_e32 v91, v91, v78
	v_cndmask_b32_e64 v79, 0, v79, s[36:37]
	v_exp_f32_e32 v75, v75
	v_mul_f32_e32 v72, 0x3fb8aa3b, v72
	v_sub_f32_e32 v73, v73, v86
	v_add_f32_e32 v91, v91, v79
	v_cndmask_b32_e64 v76, 0, v76, s[22:23]
	v_exp_f32_e32 v72, v72
	v_mul_f32_e32 v73, 0x3fb8aa3b, v73
	v_sub_f32_e32 v70, v70, v86
	v_add_f32_e32 v91, v91, v76
	v_cndmask_b32_e64 v77, 0, v77, s[24:25]
	v_exp_f32_e32 v73, v73
	v_mul_f32_e32 v70, 0x3fb8aa3b, v70
	v_sub_f32_e32 v71, v71, v86
	v_add_f32_e32 v91, v91, v77
	v_cndmask_b32_e64 v74, 0, v74, s[18:19]
	v_exp_f32_e32 v70, v70
	v_mul_f32_e32 v71, 0x3fb8aa3b, v71
	v_sub_f32_e32 v68, v68, v86
	v_add_f32_e32 v91, v91, v74
	v_cndmask_b32_e64 v75, 0, v75, s[20:21]
	v_exp_f32_e32 v71, v71
	v_mul_f32_e32 v68, 0x3fb8aa3b, v68
	v_sub_f32_e32 v69, v69, v86
	v_add_f32_e32 v91, v91, v75
	v_cndmask_b32_e64 v72, 0, v72, s[14:15]
	v_exp_f32_e32 v68, v68
	v_mul_f32_e32 v69, 0x3fb8aa3b, v69
	v_sub_f32_e32 v66, v66, v86
	v_add_f32_e32 v91, v91, v72
	v_cndmask_b32_e64 v73, 0, v73, s[16:17]
	v_exp_f32_e32 v69, v69
	v_mul_f32_e32 v66, 0x3fb8aa3b, v66
	v_sub_f32_e32 v67, v67, v86
	v_add_f32_e32 v91, v91, v73
	v_cndmask_b32_e64 v70, 0, v70, s[10:11]
	v_exp_f32_e32 v66, v66
	v_mul_f32_e32 v67, 0x3fb8aa3b, v67
	v_add_f32_e32 v91, v91, v70
	v_cndmask_b32_e64 v71, 0, v71, s[12:13]
	v_exp_f32_e32 v67, v67
	v_add_f32_e32 v91, v91, v71
	v_cndmask_b32_e64 v68, 0, v68, s[6:7]
	v_add_f32_e32 v91, v91, v68
	v_cndmask_b32_e64 v69, 0, v69, s[8:9]
	v_add_f32_e32 v91, v91, v69
	v_cndmask_b32_e32 v66, 0, v66, vcc
	v_add_f32_e32 v91, v91, v66
	v_cndmask_b32_e64 v67, 0, v67, s[4:5]
	v_add_f32_e32 v91, v91, v67
	ds_bpermute_b32 v87, v87, v91
	s_load_dword s9, s[0:1], 0x98
	v_cmp_gt_u32_e64 s[4:5], 16, v83
	s_waitcnt lgkmcnt(0)
	s_barrier
	v_add_f32_e32 v87, v91, v87
	ds_bpermute_b32 v89, v89, v87
	s_waitcnt lgkmcnt(0)
	s_and_saveexec_b64 s[6:7], s[4:5]
	s_cbranch_execz .LBB252_15
; %bb.14:
	v_add_f32_e32 v83, v87, v89
	v_lshlrev_b32_e32 v87, 2, v90
	ds_write2st64_b32 v87, v86, v83 offset1:1
.LBB252_15:
	s_or_b64 exec, exec, s[6:7]
	v_lshlrev_b32_e32 v89, 2, v84
	s_load_dword s8, s[0:1], 0x94
	s_waitcnt lgkmcnt(0)
	s_barrier
	ds_read2_b32 v[86:87], v89 offset1:16
	ds_read2_b32 v[90:91], v89 offset0:32 offset1:48
	ds_read2_b32 v[92:93], v89 offset0:64 offset1:80
	;; [unrolled: 1-line block ×3, first 2 shown]
	s_mul_i32 s9, s9, 5
	s_waitcnt lgkmcnt(3)
	v_max3_f32 v83, v86, s33, v87
	s_waitcnt lgkmcnt(2)
	v_max3_f32 v83, v83, v90, v91
	v_sub_f32_e32 v86, v86, v83
	v_mul_f32_e32 v86, 0x3fb8aa3b, v86
	v_exp_f32_e32 v1, v86
	v_sub_f32_e32 v86, v87, v83
	v_mul_f32_e32 v86, 0x3fb8aa3b, v86
	v_exp_f32_e32 v87, v86
	;; [unrolled: 3-line block ×4, first 2 shown]
	s_waitcnt lgkmcnt(1)
	v_fma_f32 v86, v1, v92, 0
	v_fmac_f32_e32 v86, v87, v93
	s_waitcnt lgkmcnt(0)
	v_fmac_f32_e32 v86, v90, v94
	v_fmac_f32_e32 v86, v89, v95
	v_add_f32_e32 v91, 0x358637bd, v86
	v_div_scale_f32 v92, s[6:7], v91, v91, 1.0
	v_rcp_f32_e32 v93, v92
	s_barrier
	v_fma_f32 v94, -v92, v93, 1.0
	v_fmac_f32_e32 v93, v94, v93
	v_div_scale_f32 v94, vcc, 1.0, v91, 1.0
	v_mul_f32_e32 v95, v94, v93
	v_fma_f32 v88, -v92, v95, v94
	v_fmac_f32_e32 v95, v88, v93
	v_fma_f32 v88, -v92, v95, v94
	v_div_fmas_f32 v88, v88, v93, v95
	v_cmp_eq_u32_e32 vcc, 1, v85
	v_div_fixup_f32 v88, v88, v91, 1.0
	s_nop 0
	v_cndmask_b32_e32 v1, v1, v87, vcc
	v_cmp_eq_u32_e32 vcc, 2, v85
	v_bfe_u32 v87, v0, 4, 2
	s_nop 0
	v_cndmask_b32_e32 v1, v1, v90, vcc
	v_cmp_eq_u32_e32 vcc, 3, v85
	s_nop 1
	v_cndmask_b32_e32 v1, v1, v89, vcc
	v_mul_f32_e32 v90, v1, v88
	v_pk_mul_f32 v[78:79], v[90:91], v[78:79] op_sel_hi:[0,1]
	v_cvt_f16_f32_e32 v78, v78
	v_cvt_f16_f32_e32 v79, v79
	v_pk_mul_f32 v[80:81], v[90:91], v[80:81] op_sel_hi:[0,1]
	v_cvt_f16_f32_e32 v1, v80
	v_cvt_f16_f32_e32 v80, v81
	v_pk_mul_f32 v[74:75], v[90:91], v[74:75] op_sel_hi:[0,1]
	v_pk_mul_f32 v[76:77], v[90:91], v[76:77] op_sel_hi:[0,1]
	v_pack_b32_f16 v81, v78, v79
	v_cvt_f16_f32_e32 v76, v76
	v_cvt_f16_f32_e32 v77, v77
	;; [unrolled: 1-line block ×4, first 2 shown]
	v_pack_b32_f16 v80, v1, v80
	v_lshlrev_b32_e32 v1, 3, v87
	v_lshlrev_b32_e32 v78, 5, v84
	;; [unrolled: 1-line block ×3, first 2 shown]
	v_pk_mul_f32 v[70:71], v[90:91], v[70:71] op_sel_hi:[0,1]
	v_pk_mul_f32 v[72:73], v[90:91], v[72:73] op_sel_hi:[0,1]
	;; [unrolled: 1-line block ×4, first 2 shown]
	v_or3_b32 v74, v74, v78, v1
	v_pack_b32_f16 v76, v76, v77
	v_pack_b32_f16 v77, v79, v75
	v_cvt_f16_f32_e32 v1, v72
	v_cvt_f16_f32_e32 v72, v73
	;; [unrolled: 1-line block ×8, first 2 shown]
	v_pack_b32_f16 v66, v1, v72
	v_pack_b32_f16 v67, v70, v71
	;; [unrolled: 1-line block ×4, first 2 shown]
	v_cmp_gt_u32_e32 vcc, 5, v0
	ds_write2st64_b64 v74, v[80:81], v[76:77] offset1:1
	ds_write2st64_b64 v74, v[66:67], v[68:69] offset0:2 offset1:3
	s_and_saveexec_b64 s[6:7], vcc
	s_cbranch_execz .LBB252_17
; %bb.16:
	s_mov_b32 s41, 0
	v_mov_b32_e32 v85, 0
	v_lshl_add_u64 v[66:67], s[40:41], 0, v[84:85]
	v_mov_b32_e32 v1, s9
	v_mad_u64_u32 v[66:67], s[10:11], s2, v1, v[66:67]
	s_mul_i32 s3, s3, s9
	v_mov_b32_e32 v68, s26
	v_mov_b32_e32 v69, v85
	s_load_dwordx4 s[12:15], s[0:1], 0x58
	v_add_u32_e32 v1, s3, v67
	v_mad_u64_u32 v[66:67], s[10:11], v66, s8, v[68:69]
	v_mov_b32_e32 v68, v67
	v_mad_u64_u32 v[68:69], s[10:11], v1, s8, v[68:69]
	v_mov_b32_e32 v67, v68
	v_lshlrev_b64 v[66:67], 2, v[66:67]
	s_waitcnt lgkmcnt(0)
	v_lshl_add_u64 v[68:69], s[14:15], 0, v[66:67]
	v_lshl_add_u64 v[66:67], s[12:13], 0, v[66:67]
	global_store_dword v[68:69], v83, off
	global_store_dword v[66:67], v86, off
.LBB252_17:
	s_or_b64 exec, exec, s[6:7]
	v_lshl_or_b32 v1, v87, 9, v78
	s_waitcnt lgkmcnt(0)
	s_barrier
	ds_read_b128 v[70:73], v1
	ds_read_b128 v[66:69], v1 offset:16
	s_waitcnt vmcnt(15) lgkmcnt(1)
	v_mfma_f32_16x16x16_f16 v[76:79], v[30:31], v[70:71], 0
	s_mov_b32 s3, 0
	v_cmp_gt_u32_e32 vcc, 64, v0
	v_mfma_f32_16x16x16_f16 v[30:33], v[32:33], v[72:73], v[76:79]
	s_waitcnt vmcnt(14) lgkmcnt(0)
	v_mfma_f32_16x16x16_f16 v[30:33], v[26:27], v[66:67], v[30:33]
	v_mfma_f32_16x16x16_f16 v[26:29], v[28:29], v[68:69], v[30:33]
	s_nop 5
	ds_read_b128 v[30:33], v1 offset:2048
	ds_read_b128 v[76:79], v1 offset:2064
	s_waitcnt vmcnt(13) lgkmcnt(1)
	v_mfma_f32_16x16x16_f16 v[26:29], v[22:23], v[30:31], v[26:29]
	v_mfma_f32_16x16x16_f16 v[22:25], v[24:25], v[32:33], v[26:29]
	s_waitcnt vmcnt(12) lgkmcnt(0)
	v_mfma_f32_16x16x16_f16 v[22:25], v[18:19], v[76:77], v[22:25]
	v_mfma_f32_16x16x16_f16 v[18:21], v[20:21], v[78:79], v[22:25]
	s_nop 5
	ds_read_b128 v[22:25], v1 offset:4096
	ds_read_b128 v[26:29], v1 offset:4112
	s_waitcnt vmcnt(11) lgkmcnt(1)
	v_mfma_f32_16x16x16_f16 v[18:21], v[14:15], v[22:23], v[18:21]
	v_mfma_f32_16x16x16_f16 v[14:17], v[16:17], v[24:25], v[18:21]
	s_waitcnt vmcnt(10) lgkmcnt(0)
	v_mfma_f32_16x16x16_f16 v[14:17], v[10:11], v[26:27], v[14:17]
	v_mfma_f32_16x16x16_f16 v[10:13], v[12:13], v[28:29], v[14:17]
	s_nop 5
	ds_read_b128 v[14:17], v1 offset:6144
	ds_read_b128 v[18:21], v1 offset:6160
	s_waitcnt lgkmcnt(0)
	s_barrier
	s_waitcnt vmcnt(9)
	v_mfma_f32_16x16x16_f16 v[10:13], v[6:7], v[14:15], v[10:13]
	v_mfma_f32_16x16x16_f16 v[6:9], v[8:9], v[16:17], v[10:13]
	s_waitcnt vmcnt(8)
	v_mfma_f32_16x16x16_f16 v[6:9], v[2:3], v[18:19], v[6:9]
	v_mfma_f32_16x16x16_f16 v[2:5], v[4:5], v[20:21], v[6:9]
	;; [unrolled: 3-line block ×3, first 2 shown]
	s_nop 3
	v_cvt_f16_f32_e32 v1, v2
	v_cvt_f16_f32_e32 v10, v3
	;; [unrolled: 1-line block ×3, first 2 shown]
	s_waitcnt vmcnt(6)
	v_mfma_f32_16x16x16_f16 v[6:9], v[38:39], v[66:67], v[6:9]
	v_cvt_f16_f32_e32 v12, v5
	v_mfma_f32_16x16x16_f16 v[6:9], v[40:41], v[68:69], v[6:9]
	s_waitcnt vmcnt(5)
	v_mfma_f32_16x16x16_f16 v[6:9], v[42:43], v[30:31], v[6:9]
	v_mfma_f32_16x16x16_f16 v[6:9], v[44:45], v[32:33], v[6:9]
	s_waitcnt vmcnt(4)
	v_mfma_f32_16x16x16_f16 v[6:9], v[34:35], v[76:77], v[6:9]
	;; [unrolled: 3-line block ×6, first 2 shown]
	v_mfma_f32_16x16x16_f16 v[2:5], v[60:61], v[20:21], v[6:9]
	s_nop 6
	v_cvt_f16_f32_e32 v6, v2
	v_cvt_f16_f32_e32 v7, v3
	v_cvt_f16_f32_e32 v8, v4
	v_cvt_f16_f32_e32 v5, v5
	v_pack_b32_f16 v2, v1, v10
	v_pack_b32_f16 v3, v11, v12
	;; [unrolled: 1-line block ×4, first 2 shown]
	ds_write2st64_b64 v74, v[2:3], v[4:5] offset1:1
	s_waitcnt lgkmcnt(0)
	s_barrier
	s_and_saveexec_b64 s[6:7], vcc
	s_cbranch_execz .LBB252_20
; %bb.18:
	s_load_dwordx2 s[6:7], s[0:1], 0x68
	s_lshl_b32 s0, s8, 7
	s_mul_i32 s1, s9, s2
	v_lshlrev_b32_e32 v3, 6, v84
	s_mul_hi_u32 s9, s1, s0
	s_mul_i32 s8, s1, s0
	v_lshlrev_b32_e32 v2, 4, v0
	v_lshl_or_b32 v0, v0, 10, v3
	s_lshl_b64 s[8:9], s[8:9], 1
	v_lshlrev_b32_e32 v1, 5, v87
	v_and_b32_e32 v2, 16, v2
	v_and_b32_e32 v0, 0x1a00, v0
	s_waitcnt lgkmcnt(0)
	s_add_u32 s1, s6, s8
	v_or3_b32 v2, v0, v1, v2
	s_addc_u32 s6, s7, s9
	s_lshl_b32 s2, s26, 7
	s_lshl_b64 s[2:3], s[2:3], 1
	ds_read_b128 v[4:7], v2
	s_add_u32 s2, s1, s2
	s_addc_u32 s3, s6, s3
	v_mov_b32_e32 v83, 0
	v_add_u32_e32 v3, s40, v87
	v_lshl_add_u64 v[0:1], s[2:3], 0, v[82:83]
	v_mad_u64_u32 v[8:9], s[2:3], v3, s0, 0
	v_lshl_add_u64 v[8:9], v[8:9], 1, v[0:1]
	s_waitcnt lgkmcnt(0)
	global_store_dwordx4 v[8:9], v[4:7], off
	s_and_b64 exec, exec, s[4:5]
	s_cbranch_execz .LBB252_20
; %bb.19:
	ds_read_b128 v[2:5], v2 offset:128
	v_add3_u32 v6, s40, v87, 4
	v_mad_u64_u32 v[6:7], s[0:1], v6, s0, 0
	v_lshl_add_u64 v[0:1], v[6:7], 1, v[0:1]
	s_waitcnt lgkmcnt(0)
	global_store_dwordx4 v[0:1], v[2:5], off
.LBB252_20:
	s_endpgm
	.section	.rodata,"a",@progbits
	.p2align	6, 0x0
	.amdhsa_kernel _Z39paged_attention_ll4mi_QKV_mfma16_kernelIDF16_DF16_LN4vllm18Fp8KVCacheDataTypeE0EDF16_Li16ELi128ELi256ELb1ELi5EEvPKT_PKT0_S7_ifPKiS9_S9_iPKfiiiPfSC_PS2_PT2_iSB_SB_
		.amdhsa_group_segment_fixed_size 8192
		.amdhsa_private_segment_fixed_size 0
		.amdhsa_kernarg_size 400
		.amdhsa_user_sgpr_count 2
		.amdhsa_user_sgpr_dispatch_ptr 0
		.amdhsa_user_sgpr_queue_ptr 0
		.amdhsa_user_sgpr_kernarg_segment_ptr 1
		.amdhsa_user_sgpr_dispatch_id 0
		.amdhsa_user_sgpr_kernarg_preload_length 0
		.amdhsa_user_sgpr_kernarg_preload_offset 0
		.amdhsa_user_sgpr_private_segment_size 0
		.amdhsa_uses_dynamic_stack 0
		.amdhsa_enable_private_segment 0
		.amdhsa_system_sgpr_workgroup_id_x 1
		.amdhsa_system_sgpr_workgroup_id_y 1
		.amdhsa_system_sgpr_workgroup_id_z 1
		.amdhsa_system_sgpr_workgroup_info 0
		.amdhsa_system_vgpr_workitem_id 0
		.amdhsa_next_free_vgpr 96
		.amdhsa_next_free_sgpr 42
		.amdhsa_accum_offset 96
		.amdhsa_reserve_vcc 1
		.amdhsa_float_round_mode_32 0
		.amdhsa_float_round_mode_16_64 0
		.amdhsa_float_denorm_mode_32 3
		.amdhsa_float_denorm_mode_16_64 3
		.amdhsa_dx10_clamp 1
		.amdhsa_ieee_mode 1
		.amdhsa_fp16_overflow 0
		.amdhsa_tg_split 0
		.amdhsa_exception_fp_ieee_invalid_op 0
		.amdhsa_exception_fp_denorm_src 0
		.amdhsa_exception_fp_ieee_div_zero 0
		.amdhsa_exception_fp_ieee_overflow 0
		.amdhsa_exception_fp_ieee_underflow 0
		.amdhsa_exception_fp_ieee_inexact 0
		.amdhsa_exception_int_div_zero 0
	.end_amdhsa_kernel
	.section	.text._Z39paged_attention_ll4mi_QKV_mfma16_kernelIDF16_DF16_LN4vllm18Fp8KVCacheDataTypeE0EDF16_Li16ELi128ELi256ELb1ELi5EEvPKT_PKT0_S7_ifPKiS9_S9_iPKfiiiPfSC_PS2_PT2_iSB_SB_,"axG",@progbits,_Z39paged_attention_ll4mi_QKV_mfma16_kernelIDF16_DF16_LN4vllm18Fp8KVCacheDataTypeE0EDF16_Li16ELi128ELi256ELb1ELi5EEvPKT_PKT0_S7_ifPKiS9_S9_iPKfiiiPfSC_PS2_PT2_iSB_SB_,comdat
.Lfunc_end252:
	.size	_Z39paged_attention_ll4mi_QKV_mfma16_kernelIDF16_DF16_LN4vllm18Fp8KVCacheDataTypeE0EDF16_Li16ELi128ELi256ELb1ELi5EEvPKT_PKT0_S7_ifPKiS9_S9_iPKfiiiPfSC_PS2_PT2_iSB_SB_, .Lfunc_end252-_Z39paged_attention_ll4mi_QKV_mfma16_kernelIDF16_DF16_LN4vllm18Fp8KVCacheDataTypeE0EDF16_Li16ELi128ELi256ELb1ELi5EEvPKT_PKT0_S7_ifPKiS9_S9_iPKfiiiPfSC_PS2_PT2_iSB_SB_
                                        ; -- End function
	.section	.AMDGPU.csdata,"",@progbits
; Kernel info:
; codeLenInByte = 4688
; NumSgprs: 48
; NumVgprs: 96
; NumAgprs: 0
; TotalNumVgprs: 96
; ScratchSize: 0
; MemoryBound: 0
; FloatMode: 240
; IeeeMode: 1
; LDSByteSize: 8192 bytes/workgroup (compile time only)
; SGPRBlocks: 5
; VGPRBlocks: 11
; NumSGPRsForWavesPerEU: 48
; NumVGPRsForWavesPerEU: 96
; AccumOffset: 96
; Occupancy: 5
; WaveLimiterHint : 1
; COMPUTE_PGM_RSRC2:SCRATCH_EN: 0
; COMPUTE_PGM_RSRC2:USER_SGPR: 2
; COMPUTE_PGM_RSRC2:TRAP_HANDLER: 0
; COMPUTE_PGM_RSRC2:TGID_X_EN: 1
; COMPUTE_PGM_RSRC2:TGID_Y_EN: 1
; COMPUTE_PGM_RSRC2:TGID_Z_EN: 1
; COMPUTE_PGM_RSRC2:TIDIG_COMP_CNT: 0
; COMPUTE_PGM_RSRC3_GFX90A:ACCUM_OFFSET: 23
; COMPUTE_PGM_RSRC3_GFX90A:TG_SPLIT: 0
	.section	.text._Z39paged_attention_ll4mi_QKV_mfma16_kernelIDF16_DF16_LN4vllm18Fp8KVCacheDataTypeE0EDF16_Li16ELi128ELi256ELb1ELi6EEvPKT_PKT0_S7_ifPKiS9_S9_iPKfiiiPfSC_PS2_PT2_iSB_SB_,"axG",@progbits,_Z39paged_attention_ll4mi_QKV_mfma16_kernelIDF16_DF16_LN4vllm18Fp8KVCacheDataTypeE0EDF16_Li16ELi128ELi256ELb1ELi6EEvPKT_PKT0_S7_ifPKiS9_S9_iPKfiiiPfSC_PS2_PT2_iSB_SB_,comdat
	.protected	_Z39paged_attention_ll4mi_QKV_mfma16_kernelIDF16_DF16_LN4vllm18Fp8KVCacheDataTypeE0EDF16_Li16ELi128ELi256ELb1ELi6EEvPKT_PKT0_S7_ifPKiS9_S9_iPKfiiiPfSC_PS2_PT2_iSB_SB_ ; -- Begin function _Z39paged_attention_ll4mi_QKV_mfma16_kernelIDF16_DF16_LN4vllm18Fp8KVCacheDataTypeE0EDF16_Li16ELi128ELi256ELb1ELi6EEvPKT_PKT0_S7_ifPKiS9_S9_iPKfiiiPfSC_PS2_PT2_iSB_SB_
	.globl	_Z39paged_attention_ll4mi_QKV_mfma16_kernelIDF16_DF16_LN4vllm18Fp8KVCacheDataTypeE0EDF16_Li16ELi128ELi256ELb1ELi6EEvPKT_PKT0_S7_ifPKiS9_S9_iPKfiiiPfSC_PS2_PT2_iSB_SB_
	.p2align	8
	.type	_Z39paged_attention_ll4mi_QKV_mfma16_kernelIDF16_DF16_LN4vllm18Fp8KVCacheDataTypeE0EDF16_Li16ELi128ELi256ELb1ELi6EEvPKT_PKT0_S7_ifPKiS9_S9_iPKfiiiPfSC_PS2_PT2_iSB_SB_,@function
_Z39paged_attention_ll4mi_QKV_mfma16_kernelIDF16_DF16_LN4vllm18Fp8KVCacheDataTypeE0EDF16_Li16ELi128ELi256ELb1ELi6EEvPKT_PKT0_S7_ifPKiS9_S9_iPKfiiiPfSC_PS2_PT2_iSB_SB_: ; @_Z39paged_attention_ll4mi_QKV_mfma16_kernelIDF16_DF16_LN4vllm18Fp8KVCacheDataTypeE0EDF16_Li16ELi128ELi256ELb1ELi6EEvPKT_PKT0_S7_ifPKiS9_S9_iPKfiiiPfSC_PS2_PT2_iSB_SB_
; %bb.0:
	s_load_dwordx2 s[8:9], s[0:1], 0x30
	s_mov_b32 s26, s3
	s_mov_b64 s[6:7], 0
	s_waitcnt lgkmcnt(0)
	s_cmp_lg_u64 s[8:9], 0
	s_cselect_b64 s[10:11], -1, 0
	s_and_b64 vcc, exec, s[10:11]
	s_cbranch_vccz .LBB253_7
; %bb.1:
	s_add_i32 s12, s2, 1
	s_mov_b32 s13, 0
	s_lshl_b64 s[14:15], s[12:13], 2
	s_add_u32 s14, s8, s14
	s_mov_b32 s3, s13
	s_addc_u32 s15, s9, s15
	s_lshl_b64 s[12:13], s[2:3], 2
	s_add_u32 s12, s8, s12
	s_addc_u32 s13, s9, s13
	s_load_dword s5, s[14:15], 0x0
	s_load_dword s16, s[12:13], 0x0
	s_waitcnt lgkmcnt(0)
	s_sub_i32 s5, s5, s16
	s_cmp_eq_u32 s5, 1
	s_cselect_b64 s[12:13], -1, 0
	s_andn2_b64 vcc, exec, s[6:7]
	s_cbranch_vccnz .LBB253_3
.LBB253_2:
	s_mov_b32 s3, 0
	s_mov_b64 s[12:13], -1
.LBB253_3:
	s_andn2_b64 vcc, exec, s[12:13]
	s_cbranch_vccnz .LBB253_20
; %bb.4:
	s_load_dwordx2 s[6:7], s[0:1], 0x28
	s_lshl_b64 s[12:13], s[2:3], 2
	s_waitcnt lgkmcnt(0)
	s_add_u32 s6, s6, s12
	s_addc_u32 s7, s7, s13
	s_load_dword s27, s[6:7], 0x0
	s_lshl_b32 s18, s26, 8
	s_waitcnt lgkmcnt(0)
	s_cmp_ge_i32 s18, s27
	s_cbranch_scc1 .LBB253_20
; %bb.5:
	s_load_dwordx2 s[6:7], s[0:1], 0x20
	s_load_dword s5, s[0:1], 0x38
	s_add_i32 s14, s27, 15
	s_ashr_i32 s15, s14, 31
	v_and_b32_e32 v1, 0xcf, v0
	s_lshr_b32 s15, s15, 28
	v_add_u32_e32 v1, s18, v1
	s_add_i32 s14, s14, s15
	v_ashrrev_i32_e32 v2, 31, v1
	s_ashr_i32 s19, s14, 4
	v_lshrrev_b32_e32 v4, 28, v2
	s_add_i32 s19, s19, -1
	s_waitcnt lgkmcnt(0)
	s_mul_i32 s14, s2, s5
	s_mov_b32 s15, 0
	v_add_u32_e32 v2, v1, v4
	s_lshl_b64 s[14:15], s[14:15], 2
	v_ashrrev_i32_e32 v2, 4, v2
	v_mov_b32_e32 v5, s19
	v_cmp_gt_i32_e32 vcc, s27, v1
	s_add_u32 s6, s6, s14
	s_addc_u32 s7, s7, s15
	v_cndmask_b32_e32 v2, v5, v2, vcc
	v_ashrrev_i32_e32 v3, 31, v2
	v_lshl_add_u64 v[6:7], v[2:3], 2, s[6:7]
	v_or_b32_e32 v2, 16, v1
	v_add_u32_e32 v3, v2, v4
	v_ashrrev_i32_e32 v3, 4, v3
	v_cmp_gt_i32_e32 vcc, s27, v2
	s_load_dwordx2 s[14:15], s[0:1], 0x8
	s_nop 0
	v_cndmask_b32_e32 v2, v5, v3, vcc
	v_ashrrev_i32_e32 v3, 31, v2
	v_lshl_add_u64 v[8:9], v[2:3], 2, s[6:7]
	v_or_b32_e32 v2, 32, v1
	v_add_u32_e32 v3, v2, v4
	v_ashrrev_i32_e32 v3, 4, v3
	v_cmp_gt_i32_e32 vcc, s27, v2
	v_or_b32_e32 v1, 48, v1
	s_nop 0
	v_cndmask_b32_e32 v2, v5, v3, vcc
	v_ashrrev_i32_e32 v3, 31, v2
	v_lshl_add_u64 v[10:11], v[2:3], 2, s[6:7]
	v_add_u32_e32 v2, v1, v4
	v_ashrrev_i32_e32 v2, 4, v2
	v_cmp_gt_i32_e32 vcc, s27, v1
	s_nop 1
	v_cndmask_b32_e32 v2, v5, v2, vcc
	v_ashrrev_i32_e32 v3, 31, v2
	v_lshl_add_u64 v[12:13], v[2:3], 2, s[6:7]
	global_load_dword v5, v[6:7], off
	global_load_dword v4, v[8:9], off
	;; [unrolled: 1-line block ×4, first 2 shown]
	s_andn2_b64 vcc, exec, s[10:11]
	s_cbranch_vccnz .LBB253_8
; %bb.6:
	s_add_u32 s8, s8, s12
	s_addc_u32 s9, s9, s13
	s_load_dword s5, s[8:9], 0x0
	s_branch .LBB253_9
.LBB253_7:
	s_mov_b64 s[12:13], 0
	s_branch .LBB253_2
.LBB253_8:
	s_mov_b32 s5, s2
.LBB253_9:
	s_load_dwordx2 s[12:13], s[0:1], 0x10
	s_load_dwordx4 s[8:11], s[0:1], 0x48
	v_lshrrev_b32_e32 v85, 6, v0
	v_bfe_u32 v88, v0, 4, 2
	v_and_b32_e32 v84, 15, v0
	v_lshl_or_b32 v1, v85, 2, v88
	v_lshlrev_b32_e32 v6, 3, v84
	s_mul_i32 s40, s4, 6
	v_cmp_gt_u32_e32 vcc, 6, v1
	v_lshlrev_b32_e32 v82, 1, v6
	s_and_saveexec_b64 s[16:17], vcc
	s_cbranch_execz .LBB253_11
; %bb.10:
	s_load_dwordx2 s[20:21], s[0:1], 0x0
	s_waitcnt lgkmcnt(0)
	s_ashr_i32 s11, s8, 31
	s_mul_hi_u32 s22, s5, s8
	s_mul_i32 s11, s5, s11
	s_add_i32 s23, s22, s11
	s_mul_i32 s22, s5, s8
	s_lshl_b64 s[22:23], s[22:23], 1
	s_add_u32 s20, s20, s22
	v_add_lshl_u32 v6, v1, s40, 7
	s_addc_u32 s21, s21, s23
	v_ashrrev_i32_e32 v7, 31, v6
	v_lshl_add_u64 v[6:7], v[6:7], 1, s[20:21]
	v_mov_b32_e32 v83, 0
	v_lshl_add_u64 v[6:7], v[6:7], 0, v[82:83]
	global_load_dwordx4 v[6:9], v[6:7], off
	v_and_b32_e32 v10, 3, v0
	v_lshlrev_b32_e32 v11, 9, v84
	v_lshlrev_b32_e32 v1, 5, v1
	;; [unrolled: 1-line block ×3, first 2 shown]
	v_and_b32_e32 v11, 0x1800, v11
	v_or3_b32 v1, v11, v10, v1
	s_waitcnt vmcnt(0)
	ds_write_b128 v1, v[6:9]
.LBB253_11:
	s_or_b64 exec, exec, s[16:17]
	s_waitcnt lgkmcnt(0)
	s_mul_i32 s4, s4, s10
	s_mov_b32 s5, 0
	s_lshl_b64 s[4:5], s[4:5], 1
	s_add_u32 s10, s14, s4
	v_lshlrev_b32_e32 v1, 4, v0
	s_addc_u32 s11, s15, s5
	v_and_b32_e32 v86, 0xf0, v1
	v_mov_b32_e32 v87, 0
	v_lshl_add_u64 v[6:7], s[10:11], 0, v[86:87]
	s_waitcnt vmcnt(3)
	v_mad_i64_i32 v[8:9], s[10:11], v5, s9, 0
	s_waitcnt vmcnt(2)
	v_mad_i64_i32 v[4:5], s[10:11], v4, s9, 0
	v_lshl_add_u64 v[8:9], v[8:9], 1, v[6:7]
	v_and_b32_e32 v86, 0x300, v1
	v_lshl_add_u64 v[4:5], v[4:5], 1, v[6:7]
	v_lshl_add_u64 v[8:9], v[8:9], 0, v[86:87]
	;; [unrolled: 1-line block ×3, first 2 shown]
	s_barrier
	global_load_dwordx4 v[78:81], v[8:9], off
	global_load_dwordx4 v[74:77], v[8:9], off offset:1024
	global_load_dwordx4 v[70:73], v[8:9], off offset:2048
	;; [unrolled: 1-line block ×3, first 2 shown]
	global_load_dwordx4 v[66:69], v[4:5], off
	global_load_dwordx4 v[62:65], v[4:5], off offset:1024
	global_load_dwordx4 v[58:61], v[4:5], off offset:2048
	;; [unrolled: 1-line block ×3, first 2 shown]
	s_waitcnt vmcnt(9)
	v_mad_i64_i32 v[4:5], s[10:11], v3, s9, 0
	s_waitcnt vmcnt(8)
	v_mad_i64_i32 v[2:3], s[10:11], v2, s9, 0
	v_lshl_add_u64 v[4:5], v[4:5], 1, v[6:7]
	v_lshl_add_u64 v[2:3], v[2:3], 1, v[6:7]
	;; [unrolled: 1-line block ×4, first 2 shown]
	global_load_dwordx4 v[30:33], v[4:5], off
	global_load_dwordx4 v[26:29], v[4:5], off offset:1024
	global_load_dwordx4 v[22:25], v[4:5], off offset:2048
	;; [unrolled: 1-line block ×3, first 2 shown]
	global_load_dwordx4 v[6:9], v[34:35], off
	s_nop 0
	global_load_dwordx4 v[2:5], v[34:35], off offset:1024
	global_load_dwordx4 v[38:41], v[34:35], off offset:2048
	s_nop 0
	global_load_dwordx4 v[34:37], v[34:35], off offset:3072
	v_mul_lo_u16_e32 v42, 43, v84
	v_mov_b32_e32 v43, 6
	v_mul_lo_u16_sdwa v42, v42, v43 dst_sel:DWORD dst_unused:UNUSED_PAD src0_sel:BYTE_1 src1_sel:DWORD
	v_sub_u16_e32 v42, v84, v42
	v_mov_b32_e32 v43, 5
	v_lshlrev_b32_sdwa v42, v43, v42 dst_sel:DWORD dst_unused:UNUSED_PAD src0_sel:DWORD src1_sel:BYTE_0
	v_lshl_add_u32 v42, v88, 9, v42
	ds_read_b128 v[54:57], v42
	ds_read_b128 v[50:53], v42 offset:2048
	ds_read_b128 v[46:49], v42 offset:4096
	;; [unrolled: 1-line block ×3, first 2 shown]
	v_and_b32_e32 v83, 63, v0
	v_cmp_gt_u32_e32 vcc, 6, v84
	v_mov_b32_e32 v89, 0
	s_and_saveexec_b64 s[10:11], vcc
	s_cbranch_execz .LBB253_13
; %bb.12:
	s_load_dwordx2 s[14:15], s[0:1], 0x40
	v_add_u32_e32 v90, s40, v84
	v_ashrrev_i32_e32 v91, 31, v90
	s_waitcnt lgkmcnt(0)
	v_lshl_add_u64 v[90:91], v[90:91], 2, s[14:15]
	global_load_dword v89, v[90:91], off
.LBB253_13:
	s_or_b64 exec, exec, s[10:11]
	s_waitcnt vmcnt(15) lgkmcnt(3)
	v_mfma_f32_16x16x16_f16 v[90:93], v[78:79], v[54:55], 0
	s_add_u32 s4, s12, s4
	s_addc_u32 s5, s13, s5
	s_mov_b32 s33, 0xff7fffff
	v_mfma_f32_16x16x16_f16 v[78:81], v[80:81], v[56:57], v[90:93]
	s_waitcnt vmcnt(14) lgkmcnt(2)
	v_mfma_f32_16x16x16_f16 v[78:81], v[74:75], v[50:51], v[78:81]
	s_nop 0
	v_lshl_or_b32 v90, v85, 4, v84
	v_lshlrev_b32_e32 v86, 5, v90
	v_mfma_f32_16x16x16_f16 v[74:77], v[76:77], v[52:53], v[78:81]
	s_waitcnt vmcnt(13) lgkmcnt(1)
	v_mfma_f32_16x16x16_f16 v[74:77], v[70:71], v[46:47], v[74:77]
	v_mfma_f32_16x16x16_f16 v[70:73], v[72:73], v[48:49], v[74:77]
	s_waitcnt vmcnt(11)
	v_mfma_f32_16x16x16_f16 v[74:77], v[66:67], v[54:55], 0
	v_mfma_f32_16x16x16_f16 v[66:69], v[68:69], v[56:57], v[74:77]
	s_nop 5
	v_and_or_b32 v74, v0, 48, s18
	s_waitcnt lgkmcnt(0)
	v_mfma_f32_16x16x16_f16 v[70:73], v[10:11], v[42:43], v[70:73]
	v_ashrrev_i32_e32 v10, 4, v74
	v_mov_b32_e32 v75, s19
	v_cmp_gt_i32_e32 vcc, s27, v74
	s_waitcnt vmcnt(10)
	v_mfma_f32_16x16x16_f16 v[66:69], v[62:63], v[50:51], v[66:69]
	v_cndmask_b32_e32 v10, v75, v10, vcc
	v_ashrrev_i32_e32 v11, 31, v10
	v_lshl_add_u64 v[10:11], v[10:11], 2, s[6:7]
	global_load_dword v76, v[10:11], off
	v_mfma_f32_16x16x16_f16 v[62:65], v[64:65], v[52:53], v[66:69]
	v_or_b32_e32 v10, 64, v74
	v_ashrrev_i32_e32 v11, 4, v10
	v_cmp_gt_i32_e32 vcc, s27, v10
	s_waitcnt vmcnt(10)
	v_mfma_f32_16x16x16_f16 v[62:65], v[58:59], v[46:47], v[62:65]
	v_cndmask_b32_e32 v10, v75, v11, vcc
	v_ashrrev_i32_e32 v11, 31, v10
	v_lshl_add_u64 v[10:11], v[10:11], 2, s[6:7]
	global_load_dword v77, v[10:11], off
	v_or_b32_e32 v10, 0x80, v74
	v_mfma_f32_16x16x16_f16 v[58:61], v[60:61], v[48:49], v[62:65]
	v_ashrrev_i32_e32 v11, 4, v10
	v_cmp_gt_i32_e32 vcc, s27, v10
	s_waitcnt vmcnt(9)
	v_mfma_f32_16x16x16_f16 v[62:65], v[30:31], v[54:55], 0
	v_cndmask_b32_e32 v10, v75, v11, vcc
	v_ashrrev_i32_e32 v11, 31, v10
	v_lshl_add_u64 v[10:11], v[10:11], 2, s[6:7]
	v_mfma_f32_16x16x16_f16 v[30:33], v[32:33], v[56:57], v[62:65]
	s_nop 2
	global_load_dword v64, v[10:11], off
	v_or_b32_e32 v10, 0xc0, v74
	v_ashrrev_i32_e32 v11, 4, v10
	v_cmp_gt_i32_e32 vcc, s27, v10
	s_waitcnt vmcnt(9)
	v_mfma_f32_16x16x16_f16 v[30:33], v[26:27], v[50:51], v[30:33]
	v_lshl_add_u64 v[62:63], s[4:5], 0, v[86:87]
	v_cndmask_b32_e32 v10, v75, v11, vcc
	v_ashrrev_i32_e32 v11, 31, v10
	v_lshl_add_u64 v[10:11], v[10:11], 2, s[6:7]
	global_load_dword v65, v[10:11], off
	v_mfma_f32_16x16x16_f16 v[26:29], v[28:29], v[52:53], v[30:33]
	s_load_dword s6, s[0:1], 0x1c
	v_or_b32_e32 v86, 0x800, v86
	s_waitcnt vmcnt(3)
	v_mad_i64_i32 v[10:11], s[10:11], v76, s9, 0
	v_mfma_f32_16x16x16_f16 v[26:29], v[22:23], v[46:47], v[26:29]
	v_lshlrev_b64 v[74:75], 1, v[10:11]
	v_mfma_f32_16x16x16_f16 v[66:69], v[12:13], v[44:45], v[70:73]
	v_mfma_f32_16x16x16_f16 v[10:13], v[24:25], v[48:49], v[26:29]
	;; [unrolled: 1-line block ×3, first 2 shown]
	v_lshl_add_u64 v[14:15], v[62:63], 0, v[74:75]
	s_waitcnt lgkmcnt(0)
	s_nop 2
	v_pk_mul_f32 v[78:79], s[6:7], v[68:69] op_sel_hi:[0,1]
	v_mfma_f32_16x16x16_f16 v[10:13], v[18:19], v[42:43], v[10:13]
	v_mfma_f32_16x16x16_f16 v[70:73], v[16:17], v[44:45], v[30:33]
	s_nop 2
	global_load_dwordx4 v[30:33], v[14:15], off
	global_load_dwordx4 v[26:29], v[14:15], off offset:16
	s_waitcnt vmcnt(4)
	v_mad_i64_i32 v[14:15], s[10:11], v77, s9, 0
	v_lshlrev_b64 v[58:59], 1, v[14:15]
	v_mfma_f32_16x16x16_f16 v[92:95], v[20:21], v[44:45], v[10:13]
	v_pk_mul_f32 v[76:77], s[6:7], v[70:71] op_sel_hi:[0,1]
	s_nop 1
	v_lshl_add_u64 v[10:11], v[62:63], 0, v[58:59]
	global_load_dwordx4 v[22:25], v[10:11], off
	global_load_dwordx4 v[18:21], v[10:11], off offset:16
	v_mfma_f32_16x16x16_f16 v[10:13], v[6:7], v[54:55], 0
	s_waitcnt vmcnt(5)
	v_mad_i64_i32 v[6:7], s[10:11], v64, s9, 0
	v_lshlrev_b64 v[54:55], 1, v[6:7]
	v_mfma_f32_16x16x16_f16 v[6:9], v[8:9], v[56:57], v[10:13]
	v_pk_mul_f32 v[70:71], s[6:7], v[94:95] op_sel_hi:[0,1]
	v_mfma_f32_16x16x16_f16 v[6:9], v[2:3], v[50:51], v[6:9]
	s_waitcnt vmcnt(4)
	v_mad_i64_i32 v[2:3], s[8:9], v65, s9, 0
	v_lshlrev_b64 v[60:61], 1, v[2:3]
	v_mfma_f32_16x16x16_f16 v[50:53], v[4:5], v[52:53], v[6:9]
	v_lshl_add_u64 v[10:11], v[62:63], 0, v[54:55]
	v_lshl_add_u64 v[2:3], v[62:63], 0, v[60:61]
	v_pk_mul_f32 v[62:63], s[6:7], v[66:67] op_sel_hi:[0,1]
	v_mfma_f32_16x16x16_f16 v[50:53], v[38:39], v[46:47], v[50:53]
	v_lshl_add_u64 v[64:65], s[4:5], 0, v[86:87]
	v_lshl_add_u64 v[38:39], v[64:65], 0, v[74:75]
	v_pk_mul_f32 v[74:75], s[6:7], v[72:73] op_sel_hi:[0,1]
	v_mfma_f32_16x16x16_f16 v[46:49], v[40:41], v[48:49], v[50:53]
	v_pk_mul_f32 v[72:73], s[6:7], v[92:93] op_sel_hi:[0,1]
	global_load_dwordx4 v[14:17], v[10:11], off
	s_nop 0
	global_load_dwordx4 v[10:13], v[10:11], off offset:16
	s_nop 0
	global_load_dwordx4 v[6:9], v[2:3], off
	s_nop 0
	global_load_dwordx4 v[2:5], v[2:3], off offset:16
	v_mfma_f32_16x16x16_f16 v[40:43], v[34:35], v[42:43], v[46:49]
	v_mfma_f32_16x16x16_f16 v[34:37], v[36:37], v[44:45], v[40:43]
	s_nop 6
	v_pk_mul_f32 v[68:69], s[6:7], v[34:35] op_sel_hi:[0,1]
	v_and_b32_e32 v34, 0xc0, v0
	v_add_u32_e32 v34, s18, v34
	v_lshl_or_b32 v34, v88, 2, v34
	v_or_b32_e32 v35, 1, v34
	v_pk_mul_f32 v[66:67], s[6:7], v[36:37] op_sel_hi:[0,1]
	v_subrev_u32_e32 v36, s27, v35
	v_add_u32_e32 v40, 1, v36
	v_add_u32_e32 v41, 2, v36
	v_cvt_f32_i32_e32 v37, v36
	v_cvt_f32_i32_e32 v40, v40
	;; [unrolled: 1-line block ×3, first 2 shown]
	v_add_u32_e32 v42, 3, v36
	v_fma_f32 v62, v89, v37, v62
	v_fmac_f32_e32 v63, v89, v40
	v_fma_f32 v78, v89, v41, v78
	v_add_u32_e32 v37, 16, v36
	v_add_u32_e32 v40, 17, v36
	;; [unrolled: 1-line block ×3, first 2 shown]
	v_cvt_f32_i32_e32 v42, v42
	v_cvt_f32_i32_e32 v37, v37
	;; [unrolled: 1-line block ×4, first 2 shown]
	v_fmac_f32_e32 v79, v89, v42
	v_add_u32_e32 v42, 19, v36
	v_fma_f32 v76, v89, v37, v76
	v_fmac_f32_e32 v77, v89, v40
	v_fma_f32 v74, v89, v41, v74
	v_add_u32_e32 v37, 32, v36
	v_add_u32_e32 v40, 33, v36
	;; [unrolled: 1-line block ×3, first 2 shown]
	v_cvt_f32_i32_e32 v42, v42
	v_cvt_f32_i32_e32 v37, v37
	v_cvt_f32_i32_e32 v40, v40
	v_cvt_f32_i32_e32 v41, v41
	v_fmac_f32_e32 v75, v89, v42
	v_add_u32_e32 v42, 35, v36
	v_fma_f32 v72, v89, v37, v72
	v_fmac_f32_e32 v73, v89, v40
	v_fma_f32 v70, v89, v41, v70
	v_add_u32_e32 v37, 48, v36
	v_add_u32_e32 v40, 49, v36
	;; [unrolled: 1-line block ×4, first 2 shown]
	v_cvt_f32_i32_e32 v36, v36
	v_cvt_f32_i32_e32 v37, v37
	;; [unrolled: 1-line block ×3, first 2 shown]
	v_cmp_gt_i32_e64 s[28:29], s27, v34
	v_fmac_f32_e32 v67, v89, v36
	v_mov_b32_e32 v36, 0xff7fffff
	v_cmp_gt_i32_e64 s[30:31], s27, v35
	v_fma_f32 v68, v89, v37, v68
	v_cndmask_b32_e64 v37, v36, v62, s[28:29]
	v_cndmask_b32_e64 v35, v36, v63, s[30:31]
	v_fmac_f32_e32 v69, v89, v40
	v_max3_f32 v35, v37, s33, v35
	v_or_b32_e32 v37, 2, v34
	v_or_b32_e32 v40, 3, v34
	v_cmp_gt_i32_e64 s[34:35], s27, v37
	v_cmp_gt_i32_e64 s[36:37], s27, v40
	v_cvt_f32_i32_e32 v42, v42
	v_cndmask_b32_e64 v37, v36, v78, s[34:35]
	v_cndmask_b32_e64 v40, v36, v79, s[36:37]
	v_max3_f32 v35, v35, v37, v40
	v_or_b32_e32 v37, 16, v34
	v_or_b32_e32 v40, 17, v34
	v_cmp_gt_i32_e64 s[22:23], s27, v37
	v_cmp_gt_i32_e64 s[24:25], s27, v40
	v_fmac_f32_e32 v71, v89, v42
	v_cndmask_b32_e64 v37, v36, v76, s[22:23]
	v_cndmask_b32_e64 v40, v36, v77, s[24:25]
	v_max3_f32 v35, v35, v37, v40
	v_or_b32_e32 v37, 18, v34
	v_or_b32_e32 v40, 19, v34
	v_cmp_gt_i32_e64 s[18:19], s27, v37
	v_cmp_gt_i32_e64 s[20:21], s27, v40
	v_cvt_f32_i32_e32 v41, v41
	v_cndmask_b32_e64 v37, v36, v74, s[18:19]
	v_cndmask_b32_e64 v40, v36, v75, s[20:21]
	v_max3_f32 v35, v35, v37, v40
	v_or_b32_e32 v37, 32, v34
	v_or_b32_e32 v40, 33, v34
	v_cmp_gt_i32_e64 s[14:15], s27, v37
	v_cmp_gt_i32_e64 s[16:17], s27, v40
	v_fma_f32 v66, v89, v41, v66
	v_cndmask_b32_e64 v37, v36, v72, s[14:15]
	v_cndmask_b32_e64 v40, v36, v73, s[16:17]
	v_max3_f32 v35, v35, v37, v40
	v_or_b32_e32 v37, 34, v34
	v_or_b32_e32 v40, 35, v34
	v_cmp_gt_i32_e64 s[10:11], s27, v37
	v_cmp_gt_i32_e64 s[12:13], s27, v40
	s_nop 0
	v_cndmask_b32_e64 v37, v36, v70, s[10:11]
	v_cndmask_b32_e64 v40, v36, v71, s[12:13]
	v_max3_f32 v35, v35, v37, v40
	v_or_b32_e32 v37, 48, v34
	v_or_b32_e32 v40, 49, v34
	v_cmp_gt_i32_e64 s[6:7], s27, v37
	v_cmp_gt_i32_e64 s[8:9], s27, v40
	s_nop 0
	v_cndmask_b32_e64 v37, v36, v68, s[6:7]
	v_cndmask_b32_e64 v40, v36, v69, s[8:9]
	v_max3_f32 v35, v35, v37, v40
	v_or_b32_e32 v37, 50, v34
	v_or_b32_e32 v34, 51, v34
	v_cmp_gt_i32_e32 vcc, s27, v37
	v_cmp_gt_i32_e64 s[4:5], s27, v34
	global_load_dwordx4 v[46:49], v[38:39], off
	s_nop 0
	global_load_dwordx4 v[38:41], v[38:39], off offset:16
	v_cndmask_b32_e32 v37, v36, v66, vcc
	v_cndmask_b32_e64 v34, v36, v67, s[4:5]
	v_max3_f32 v50, v35, v37, v34
	v_mbcnt_lo_u32_b32 v34, -1, 0
	v_mbcnt_hi_u32_b32 v51, -1, v34
	v_and_b32_e32 v34, 64, v51
	v_add_u32_e32 v52, 64, v34
	v_xor_b32_e32 v34, 32, v51
	v_cmp_lt_i32_e64 s[38:39], v34, v52
	s_nop 1
	v_cndmask_b32_e64 v34, v51, v34, s[38:39]
	v_lshlrev_b32_e32 v87, 2, v34
	ds_bpermute_b32 v53, v87, v50
	v_lshl_add_u64 v[34:35], v[64:65], 0, v[58:59]
	v_lshl_add_u64 v[58:59], v[64:65], 0, v[60:61]
	global_load_dwordx4 v[42:45], v[34:35], off
	s_nop 0
	global_load_dwordx4 v[34:37], v[34:35], off offset:16
	s_waitcnt lgkmcnt(0)
	v_max_f32_e32 v53, v53, v53
	v_max_f32_e32 v80, v50, v53
	v_xor_b32_e32 v50, 16, v51
	v_cmp_lt_i32_e64 s[38:39], v50, v52
	s_nop 1
	v_cndmask_b32_e64 v50, v51, v50, s[38:39]
	v_lshlrev_b32_e32 v89, 2, v50
	ds_bpermute_b32 v81, v89, v80
	v_lshl_add_u64 v[50:51], v[64:65], 0, v[54:55]
	global_load_dwordx4 v[54:57], v[50:51], off
	s_nop 0
	global_load_dwordx4 v[50:53], v[50:51], off offset:16
	s_waitcnt lgkmcnt(0)
	v_max_f32_e32 v60, v81, v81
	v_max_f32_e32 v86, v80, v60
	v_sub_f32_e32 v60, v62, v86
	v_mul_f32_e32 v60, 0x3fb8aa3b, v60
	v_exp_f32_e32 v80, v60
	v_sub_f32_e32 v60, v63, v86
	v_mul_f32_e32 v60, 0x3fb8aa3b, v60
	v_exp_f32_e32 v81, v60
	global_load_dwordx4 v[62:65], v[58:59], off
	s_nop 0
	global_load_dwordx4 v[58:61], v[58:59], off offset:16
	v_sub_f32_e32 v78, v78, v86
	v_mul_f32_e32 v78, 0x3fb8aa3b, v78
	v_sub_f32_e32 v79, v79, v86
	v_exp_f32_e32 v78, v78
	v_mul_f32_e32 v79, 0x3fb8aa3b, v79
	v_sub_f32_e32 v76, v76, v86
	v_exp_f32_e32 v79, v79
	v_mul_f32_e32 v76, 0x3fb8aa3b, v76
	v_sub_f32_e32 v77, v77, v86
	v_cndmask_b32_e64 v80, 0, v80, s[28:29]
	v_exp_f32_e32 v76, v76
	v_mul_f32_e32 v77, 0x3fb8aa3b, v77
	v_sub_f32_e32 v74, v74, v86
	v_add_f32_e32 v91, 0, v80
	v_cndmask_b32_e64 v81, 0, v81, s[30:31]
	v_exp_f32_e32 v77, v77
	v_mul_f32_e32 v74, 0x3fb8aa3b, v74
	v_sub_f32_e32 v75, v75, v86
	v_add_f32_e32 v91, v91, v81
	;; [unrolled: 5-line block ×10, first 2 shown]
	v_cndmask_b32_e64 v70, 0, v70, s[10:11]
	v_exp_f32_e32 v66, v66
	v_mul_f32_e32 v67, 0x3fb8aa3b, v67
	v_add_f32_e32 v91, v91, v70
	v_cndmask_b32_e64 v71, 0, v71, s[12:13]
	v_exp_f32_e32 v67, v67
	v_add_f32_e32 v91, v91, v71
	v_cndmask_b32_e64 v68, 0, v68, s[6:7]
	v_add_f32_e32 v91, v91, v68
	v_cndmask_b32_e64 v69, 0, v69, s[8:9]
	v_add_f32_e32 v91, v91, v69
	v_cndmask_b32_e32 v66, 0, v66, vcc
	v_add_f32_e32 v91, v91, v66
	v_cndmask_b32_e64 v67, 0, v67, s[4:5]
	v_add_f32_e32 v91, v91, v67
	ds_bpermute_b32 v87, v87, v91
	s_load_dword s7, s[0:1], 0x98
	v_cmp_gt_u32_e32 vcc, 16, v83
	s_waitcnt lgkmcnt(0)
	s_barrier
	v_add_f32_e32 v87, v91, v87
	ds_bpermute_b32 v89, v89, v87
	s_waitcnt lgkmcnt(0)
	s_and_saveexec_b64 s[4:5], vcc
	s_cbranch_execz .LBB253_15
; %bb.14:
	v_add_f32_e32 v83, v87, v89
	v_lshlrev_b32_e32 v87, 2, v90
	ds_write2st64_b32 v87, v86, v83 offset1:1
.LBB253_15:
	s_or_b64 exec, exec, s[4:5]
	v_lshlrev_b32_e32 v89, 2, v84
	s_load_dword s6, s[0:1], 0x94
	s_waitcnt lgkmcnt(0)
	s_barrier
	ds_read2_b32 v[86:87], v89 offset1:16
	ds_read2_b32 v[90:91], v89 offset0:32 offset1:48
	ds_read2_b32 v[92:93], v89 offset0:64 offset1:80
	;; [unrolled: 1-line block ×3, first 2 shown]
	s_mul_i32 s7, s7, 6
	s_waitcnt lgkmcnt(3)
	v_max3_f32 v83, v86, s33, v87
	s_waitcnt lgkmcnt(2)
	v_max3_f32 v83, v83, v90, v91
	v_sub_f32_e32 v86, v86, v83
	v_mul_f32_e32 v86, 0x3fb8aa3b, v86
	v_exp_f32_e32 v1, v86
	v_sub_f32_e32 v86, v87, v83
	v_mul_f32_e32 v86, 0x3fb8aa3b, v86
	v_exp_f32_e32 v87, v86
	;; [unrolled: 3-line block ×4, first 2 shown]
	s_waitcnt lgkmcnt(1)
	v_fma_f32 v86, v1, v92, 0
	v_fmac_f32_e32 v86, v87, v93
	s_waitcnt lgkmcnt(0)
	v_fmac_f32_e32 v86, v90, v94
	v_fmac_f32_e32 v86, v89, v95
	v_add_f32_e32 v91, 0x358637bd, v86
	v_div_scale_f32 v92, s[4:5], v91, v91, 1.0
	v_rcp_f32_e32 v93, v92
	s_barrier
	v_fma_f32 v94, -v92, v93, 1.0
	v_fmac_f32_e32 v93, v94, v93
	v_div_scale_f32 v94, vcc, 1.0, v91, 1.0
	v_mul_f32_e32 v95, v94, v93
	v_fma_f32 v88, -v92, v95, v94
	v_fmac_f32_e32 v95, v88, v93
	v_fma_f32 v88, -v92, v95, v94
	v_div_fmas_f32 v88, v88, v93, v95
	v_cmp_eq_u32_e32 vcc, 1, v85
	v_div_fixup_f32 v88, v88, v91, 1.0
	s_nop 0
	v_cndmask_b32_e32 v1, v1, v87, vcc
	v_cmp_eq_u32_e32 vcc, 2, v85
	v_bfe_u32 v87, v0, 4, 2
	s_nop 0
	v_cndmask_b32_e32 v1, v1, v90, vcc
	v_cmp_eq_u32_e32 vcc, 3, v85
	s_nop 1
	v_cndmask_b32_e32 v1, v1, v89, vcc
	v_mul_f32_e32 v90, v1, v88
	v_pk_mul_f32 v[78:79], v[90:91], v[78:79] op_sel_hi:[0,1]
	v_cvt_f16_f32_e32 v78, v78
	v_cvt_f16_f32_e32 v79, v79
	v_pk_mul_f32 v[80:81], v[90:91], v[80:81] op_sel_hi:[0,1]
	v_cvt_f16_f32_e32 v1, v80
	v_cvt_f16_f32_e32 v80, v81
	v_pk_mul_f32 v[74:75], v[90:91], v[74:75] op_sel_hi:[0,1]
	v_pk_mul_f32 v[76:77], v[90:91], v[76:77] op_sel_hi:[0,1]
	v_pack_b32_f16 v81, v78, v79
	v_cvt_f16_f32_e32 v76, v76
	v_cvt_f16_f32_e32 v77, v77
	;; [unrolled: 1-line block ×4, first 2 shown]
	v_pack_b32_f16 v80, v1, v80
	v_lshlrev_b32_e32 v1, 3, v87
	v_lshlrev_b32_e32 v78, 5, v84
	v_lshlrev_b32_e32 v74, 11, v85
	v_pk_mul_f32 v[70:71], v[90:91], v[70:71] op_sel_hi:[0,1]
	v_pk_mul_f32 v[72:73], v[90:91], v[72:73] op_sel_hi:[0,1]
	;; [unrolled: 1-line block ×4, first 2 shown]
	v_or3_b32 v74, v74, v78, v1
	v_pack_b32_f16 v76, v76, v77
	v_pack_b32_f16 v77, v79, v75
	v_cvt_f16_f32_e32 v1, v72
	v_cvt_f16_f32_e32 v72, v73
	;; [unrolled: 1-line block ×8, first 2 shown]
	v_pack_b32_f16 v66, v1, v72
	v_pack_b32_f16 v67, v70, v71
	;; [unrolled: 1-line block ×4, first 2 shown]
	v_cmp_gt_u32_e32 vcc, 6, v0
	ds_write2st64_b64 v74, v[80:81], v[76:77] offset1:1
	ds_write2st64_b64 v74, v[66:67], v[68:69] offset0:2 offset1:3
	s_and_saveexec_b64 s[4:5], vcc
	s_cbranch_execz .LBB253_17
; %bb.16:
	s_mov_b32 s41, 0
	v_mov_b32_e32 v85, 0
	v_lshl_add_u64 v[66:67], s[40:41], 0, v[84:85]
	v_mov_b32_e32 v1, s7
	v_mad_u64_u32 v[66:67], s[12:13], s2, v1, v[66:67]
	s_mul_i32 s3, s3, s7
	v_mov_b32_e32 v68, s26
	v_mov_b32_e32 v69, v85
	s_load_dwordx4 s[8:11], s[0:1], 0x58
	v_add_u32_e32 v1, s3, v67
	v_mad_u64_u32 v[66:67], s[12:13], v66, s6, v[68:69]
	v_mov_b32_e32 v68, v67
	v_mad_u64_u32 v[68:69], s[12:13], v1, s6, v[68:69]
	v_mov_b32_e32 v67, v68
	v_lshlrev_b64 v[66:67], 2, v[66:67]
	s_waitcnt lgkmcnt(0)
	v_lshl_add_u64 v[68:69], s[10:11], 0, v[66:67]
	v_lshl_add_u64 v[66:67], s[8:9], 0, v[66:67]
	global_store_dword v[68:69], v83, off
	global_store_dword v[66:67], v86, off
.LBB253_17:
	s_or_b64 exec, exec, s[4:5]
	v_lshl_or_b32 v1, v87, 9, v78
	s_waitcnt lgkmcnt(0)
	s_barrier
	ds_read_b128 v[70:73], v1
	ds_read_b128 v[66:69], v1 offset:16
	s_waitcnt vmcnt(15) lgkmcnt(1)
	v_mfma_f32_16x16x16_f16 v[76:79], v[30:31], v[70:71], 0
	s_mov_b32 s3, 0
	v_cmp_gt_u32_e32 vcc, 64, v0
	v_mfma_f32_16x16x16_f16 v[30:33], v[32:33], v[72:73], v[76:79]
	s_waitcnt vmcnt(14) lgkmcnt(0)
	v_mfma_f32_16x16x16_f16 v[30:33], v[26:27], v[66:67], v[30:33]
	v_mfma_f32_16x16x16_f16 v[26:29], v[28:29], v[68:69], v[30:33]
	s_nop 5
	ds_read_b128 v[30:33], v1 offset:2048
	ds_read_b128 v[76:79], v1 offset:2064
	s_waitcnt vmcnt(13) lgkmcnt(1)
	v_mfma_f32_16x16x16_f16 v[26:29], v[22:23], v[30:31], v[26:29]
	v_mfma_f32_16x16x16_f16 v[22:25], v[24:25], v[32:33], v[26:29]
	s_waitcnt vmcnt(12) lgkmcnt(0)
	v_mfma_f32_16x16x16_f16 v[22:25], v[18:19], v[76:77], v[22:25]
	v_mfma_f32_16x16x16_f16 v[18:21], v[20:21], v[78:79], v[22:25]
	s_nop 5
	ds_read_b128 v[22:25], v1 offset:4096
	ds_read_b128 v[26:29], v1 offset:4112
	s_waitcnt vmcnt(11) lgkmcnt(1)
	v_mfma_f32_16x16x16_f16 v[18:21], v[14:15], v[22:23], v[18:21]
	v_mfma_f32_16x16x16_f16 v[14:17], v[16:17], v[24:25], v[18:21]
	s_waitcnt vmcnt(10) lgkmcnt(0)
	v_mfma_f32_16x16x16_f16 v[14:17], v[10:11], v[26:27], v[14:17]
	v_mfma_f32_16x16x16_f16 v[10:13], v[12:13], v[28:29], v[14:17]
	s_nop 5
	ds_read_b128 v[14:17], v1 offset:6144
	ds_read_b128 v[18:21], v1 offset:6160
	s_waitcnt lgkmcnt(0)
	s_barrier
	s_waitcnt vmcnt(9)
	v_mfma_f32_16x16x16_f16 v[10:13], v[6:7], v[14:15], v[10:13]
	v_mfma_f32_16x16x16_f16 v[6:9], v[8:9], v[16:17], v[10:13]
	s_waitcnt vmcnt(8)
	v_mfma_f32_16x16x16_f16 v[6:9], v[2:3], v[18:19], v[6:9]
	v_mfma_f32_16x16x16_f16 v[2:5], v[4:5], v[20:21], v[6:9]
	;; [unrolled: 3-line block ×3, first 2 shown]
	s_nop 3
	v_cvt_f16_f32_e32 v1, v2
	v_cvt_f16_f32_e32 v10, v3
	v_cvt_f16_f32_e32 v11, v4
	s_waitcnt vmcnt(6)
	v_mfma_f32_16x16x16_f16 v[6:9], v[38:39], v[66:67], v[6:9]
	v_cvt_f16_f32_e32 v12, v5
	v_mfma_f32_16x16x16_f16 v[6:9], v[40:41], v[68:69], v[6:9]
	s_waitcnt vmcnt(5)
	v_mfma_f32_16x16x16_f16 v[6:9], v[42:43], v[30:31], v[6:9]
	v_mfma_f32_16x16x16_f16 v[6:9], v[44:45], v[32:33], v[6:9]
	s_waitcnt vmcnt(4)
	v_mfma_f32_16x16x16_f16 v[6:9], v[34:35], v[76:77], v[6:9]
	;; [unrolled: 3-line block ×6, first 2 shown]
	v_mfma_f32_16x16x16_f16 v[2:5], v[60:61], v[20:21], v[6:9]
	s_nop 6
	v_cvt_f16_f32_e32 v6, v2
	v_cvt_f16_f32_e32 v7, v3
	;; [unrolled: 1-line block ×4, first 2 shown]
	v_pack_b32_f16 v2, v1, v10
	v_pack_b32_f16 v3, v11, v12
	;; [unrolled: 1-line block ×4, first 2 shown]
	ds_write2st64_b64 v74, v[2:3], v[4:5] offset1:1
	s_waitcnt lgkmcnt(0)
	s_barrier
	s_and_saveexec_b64 s[4:5], vcc
	s_cbranch_execz .LBB253_20
; %bb.18:
	s_load_dwordx2 s[4:5], s[0:1], 0x68
	s_lshl_b32 s0, s6, 7
	s_mul_i32 s1, s7, s2
	v_lshlrev_b32_e32 v4, 6, v84
	s_mul_hi_u32 s7, s1, s0
	s_mul_i32 s6, s1, s0
	v_lshlrev_b32_e32 v3, 4, v0
	v_lshl_or_b32 v0, v0, 10, v4
	s_lshl_b64 s[6:7], s[6:7], 1
	v_lshlrev_b32_e32 v1, 5, v87
	v_and_b32_e32 v3, 16, v3
	v_and_b32_e32 v0, 0x1a00, v0
	s_waitcnt lgkmcnt(0)
	s_add_u32 s1, s4, s6
	v_or3_b32 v3, v0, v1, v3
	s_addc_u32 s4, s5, s7
	s_lshl_b32 s2, s26, 7
	s_lshl_b64 s[2:3], s[2:3], 1
	ds_read_b128 v[4:7], v3
	s_add_u32 s2, s1, s2
	s_addc_u32 s3, s4, s3
	v_mov_b32_e32 v83, 0
	v_add_u32_e32 v8, s40, v87
	v_or_b32_e32 v2, 4, v87
	v_lshl_add_u64 v[0:1], s[2:3], 0, v[82:83]
	v_mad_u64_u32 v[8:9], s[2:3], v8, s0, 0
	v_lshl_add_u64 v[8:9], v[8:9], 1, v[0:1]
	v_cmp_gt_u32_e32 vcc, 6, v2
	s_waitcnt lgkmcnt(0)
	global_store_dwordx4 v[8:9], v[4:7], off
	s_and_b64 exec, exec, vcc
	s_cbranch_execz .LBB253_20
; %bb.19:
	ds_read_b128 v[4:7], v3 offset:128
	v_add_u32_e32 v2, s40, v2
	v_mad_u64_u32 v[2:3], s[0:1], v2, s0, 0
	v_lshl_add_u64 v[0:1], v[2:3], 1, v[0:1]
	s_waitcnt lgkmcnt(0)
	global_store_dwordx4 v[0:1], v[4:7], off
.LBB253_20:
	s_endpgm
	.section	.rodata,"a",@progbits
	.p2align	6, 0x0
	.amdhsa_kernel _Z39paged_attention_ll4mi_QKV_mfma16_kernelIDF16_DF16_LN4vllm18Fp8KVCacheDataTypeE0EDF16_Li16ELi128ELi256ELb1ELi6EEvPKT_PKT0_S7_ifPKiS9_S9_iPKfiiiPfSC_PS2_PT2_iSB_SB_
		.amdhsa_group_segment_fixed_size 8192
		.amdhsa_private_segment_fixed_size 0
		.amdhsa_kernarg_size 400
		.amdhsa_user_sgpr_count 2
		.amdhsa_user_sgpr_dispatch_ptr 0
		.amdhsa_user_sgpr_queue_ptr 0
		.amdhsa_user_sgpr_kernarg_segment_ptr 1
		.amdhsa_user_sgpr_dispatch_id 0
		.amdhsa_user_sgpr_kernarg_preload_length 0
		.amdhsa_user_sgpr_kernarg_preload_offset 0
		.amdhsa_user_sgpr_private_segment_size 0
		.amdhsa_uses_dynamic_stack 0
		.amdhsa_enable_private_segment 0
		.amdhsa_system_sgpr_workgroup_id_x 1
		.amdhsa_system_sgpr_workgroup_id_y 1
		.amdhsa_system_sgpr_workgroup_id_z 1
		.amdhsa_system_sgpr_workgroup_info 0
		.amdhsa_system_vgpr_workitem_id 0
		.amdhsa_next_free_vgpr 96
		.amdhsa_next_free_sgpr 42
		.amdhsa_accum_offset 96
		.amdhsa_reserve_vcc 1
		.amdhsa_float_round_mode_32 0
		.amdhsa_float_round_mode_16_64 0
		.amdhsa_float_denorm_mode_32 3
		.amdhsa_float_denorm_mode_16_64 3
		.amdhsa_dx10_clamp 1
		.amdhsa_ieee_mode 1
		.amdhsa_fp16_overflow 0
		.amdhsa_tg_split 0
		.amdhsa_exception_fp_ieee_invalid_op 0
		.amdhsa_exception_fp_denorm_src 0
		.amdhsa_exception_fp_ieee_div_zero 0
		.amdhsa_exception_fp_ieee_overflow 0
		.amdhsa_exception_fp_ieee_underflow 0
		.amdhsa_exception_fp_ieee_inexact 0
		.amdhsa_exception_int_div_zero 0
	.end_amdhsa_kernel
	.section	.text._Z39paged_attention_ll4mi_QKV_mfma16_kernelIDF16_DF16_LN4vllm18Fp8KVCacheDataTypeE0EDF16_Li16ELi128ELi256ELb1ELi6EEvPKT_PKT0_S7_ifPKiS9_S9_iPKfiiiPfSC_PS2_PT2_iSB_SB_,"axG",@progbits,_Z39paged_attention_ll4mi_QKV_mfma16_kernelIDF16_DF16_LN4vllm18Fp8KVCacheDataTypeE0EDF16_Li16ELi128ELi256ELb1ELi6EEvPKT_PKT0_S7_ifPKiS9_S9_iPKfiiiPfSC_PS2_PT2_iSB_SB_,comdat
.Lfunc_end253:
	.size	_Z39paged_attention_ll4mi_QKV_mfma16_kernelIDF16_DF16_LN4vllm18Fp8KVCacheDataTypeE0EDF16_Li16ELi128ELi256ELb1ELi6EEvPKT_PKT0_S7_ifPKiS9_S9_iPKfiiiPfSC_PS2_PT2_iSB_SB_, .Lfunc_end253-_Z39paged_attention_ll4mi_QKV_mfma16_kernelIDF16_DF16_LN4vllm18Fp8KVCacheDataTypeE0EDF16_Li16ELi128ELi256ELb1ELi6EEvPKT_PKT0_S7_ifPKiS9_S9_iPKfiiiPfSC_PS2_PT2_iSB_SB_
                                        ; -- End function
	.section	.AMDGPU.csdata,"",@progbits
; Kernel info:
; codeLenInByte = 4692
; NumSgprs: 48
; NumVgprs: 96
; NumAgprs: 0
; TotalNumVgprs: 96
; ScratchSize: 0
; MemoryBound: 0
; FloatMode: 240
; IeeeMode: 1
; LDSByteSize: 8192 bytes/workgroup (compile time only)
; SGPRBlocks: 5
; VGPRBlocks: 11
; NumSGPRsForWavesPerEU: 48
; NumVGPRsForWavesPerEU: 96
; AccumOffset: 96
; Occupancy: 5
; WaveLimiterHint : 1
; COMPUTE_PGM_RSRC2:SCRATCH_EN: 0
; COMPUTE_PGM_RSRC2:USER_SGPR: 2
; COMPUTE_PGM_RSRC2:TRAP_HANDLER: 0
; COMPUTE_PGM_RSRC2:TGID_X_EN: 1
; COMPUTE_PGM_RSRC2:TGID_Y_EN: 1
; COMPUTE_PGM_RSRC2:TGID_Z_EN: 1
; COMPUTE_PGM_RSRC2:TIDIG_COMP_CNT: 0
; COMPUTE_PGM_RSRC3_GFX90A:ACCUM_OFFSET: 23
; COMPUTE_PGM_RSRC3_GFX90A:TG_SPLIT: 0
	.section	.text._Z39paged_attention_ll4mi_QKV_mfma16_kernelIDF16_DF16_LN4vllm18Fp8KVCacheDataTypeE0EDF16_Li16ELi128ELi256ELb1ELi7EEvPKT_PKT0_S7_ifPKiS9_S9_iPKfiiiPfSC_PS2_PT2_iSB_SB_,"axG",@progbits,_Z39paged_attention_ll4mi_QKV_mfma16_kernelIDF16_DF16_LN4vllm18Fp8KVCacheDataTypeE0EDF16_Li16ELi128ELi256ELb1ELi7EEvPKT_PKT0_S7_ifPKiS9_S9_iPKfiiiPfSC_PS2_PT2_iSB_SB_,comdat
	.protected	_Z39paged_attention_ll4mi_QKV_mfma16_kernelIDF16_DF16_LN4vllm18Fp8KVCacheDataTypeE0EDF16_Li16ELi128ELi256ELb1ELi7EEvPKT_PKT0_S7_ifPKiS9_S9_iPKfiiiPfSC_PS2_PT2_iSB_SB_ ; -- Begin function _Z39paged_attention_ll4mi_QKV_mfma16_kernelIDF16_DF16_LN4vllm18Fp8KVCacheDataTypeE0EDF16_Li16ELi128ELi256ELb1ELi7EEvPKT_PKT0_S7_ifPKiS9_S9_iPKfiiiPfSC_PS2_PT2_iSB_SB_
	.globl	_Z39paged_attention_ll4mi_QKV_mfma16_kernelIDF16_DF16_LN4vllm18Fp8KVCacheDataTypeE0EDF16_Li16ELi128ELi256ELb1ELi7EEvPKT_PKT0_S7_ifPKiS9_S9_iPKfiiiPfSC_PS2_PT2_iSB_SB_
	.p2align	8
	.type	_Z39paged_attention_ll4mi_QKV_mfma16_kernelIDF16_DF16_LN4vllm18Fp8KVCacheDataTypeE0EDF16_Li16ELi128ELi256ELb1ELi7EEvPKT_PKT0_S7_ifPKiS9_S9_iPKfiiiPfSC_PS2_PT2_iSB_SB_,@function
_Z39paged_attention_ll4mi_QKV_mfma16_kernelIDF16_DF16_LN4vllm18Fp8KVCacheDataTypeE0EDF16_Li16ELi128ELi256ELb1ELi7EEvPKT_PKT0_S7_ifPKiS9_S9_iPKfiiiPfSC_PS2_PT2_iSB_SB_: ; @_Z39paged_attention_ll4mi_QKV_mfma16_kernelIDF16_DF16_LN4vllm18Fp8KVCacheDataTypeE0EDF16_Li16ELi128ELi256ELb1ELi7EEvPKT_PKT0_S7_ifPKiS9_S9_iPKfiiiPfSC_PS2_PT2_iSB_SB_
; %bb.0:
	s_load_dwordx2 s[8:9], s[0:1], 0x30
	s_mov_b32 s26, s3
	s_mov_b64 s[6:7], 0
	s_waitcnt lgkmcnt(0)
	s_cmp_lg_u64 s[8:9], 0
	s_cselect_b64 s[10:11], -1, 0
	s_and_b64 vcc, exec, s[10:11]
	s_cbranch_vccz .LBB254_7
; %bb.1:
	s_add_i32 s12, s2, 1
	s_mov_b32 s13, 0
	s_lshl_b64 s[14:15], s[12:13], 2
	s_add_u32 s14, s8, s14
	s_mov_b32 s3, s13
	s_addc_u32 s15, s9, s15
	s_lshl_b64 s[12:13], s[2:3], 2
	s_add_u32 s12, s8, s12
	s_addc_u32 s13, s9, s13
	s_load_dword s5, s[14:15], 0x0
	s_load_dword s16, s[12:13], 0x0
	s_waitcnt lgkmcnt(0)
	s_sub_i32 s5, s5, s16
	s_cmp_eq_u32 s5, 1
	s_cselect_b64 s[12:13], -1, 0
	s_andn2_b64 vcc, exec, s[6:7]
	s_cbranch_vccnz .LBB254_3
.LBB254_2:
	s_mov_b32 s3, 0
	s_mov_b64 s[12:13], -1
.LBB254_3:
	s_andn2_b64 vcc, exec, s[12:13]
	s_cbranch_vccnz .LBB254_20
; %bb.4:
	s_load_dwordx2 s[6:7], s[0:1], 0x28
	s_lshl_b64 s[12:13], s[2:3], 2
	s_waitcnt lgkmcnt(0)
	s_add_u32 s6, s6, s12
	s_addc_u32 s7, s7, s13
	s_load_dword s27, s[6:7], 0x0
	s_lshl_b32 s18, s26, 8
	s_waitcnt lgkmcnt(0)
	s_cmp_ge_i32 s18, s27
	s_cbranch_scc1 .LBB254_20
; %bb.5:
	s_load_dwordx2 s[6:7], s[0:1], 0x20
	s_load_dword s5, s[0:1], 0x38
	s_add_i32 s14, s27, 15
	s_ashr_i32 s15, s14, 31
	v_and_b32_e32 v1, 0xcf, v0
	s_lshr_b32 s15, s15, 28
	v_add_u32_e32 v1, s18, v1
	s_add_i32 s14, s14, s15
	v_ashrrev_i32_e32 v2, 31, v1
	s_ashr_i32 s19, s14, 4
	v_lshrrev_b32_e32 v4, 28, v2
	s_add_i32 s19, s19, -1
	s_waitcnt lgkmcnt(0)
	s_mul_i32 s14, s2, s5
	s_mov_b32 s15, 0
	v_add_u32_e32 v2, v1, v4
	s_lshl_b64 s[14:15], s[14:15], 2
	v_ashrrev_i32_e32 v2, 4, v2
	v_mov_b32_e32 v5, s19
	v_cmp_gt_i32_e32 vcc, s27, v1
	s_add_u32 s6, s6, s14
	s_addc_u32 s7, s7, s15
	v_cndmask_b32_e32 v2, v5, v2, vcc
	v_ashrrev_i32_e32 v3, 31, v2
	v_lshl_add_u64 v[6:7], v[2:3], 2, s[6:7]
	v_or_b32_e32 v2, 16, v1
	v_add_u32_e32 v3, v2, v4
	v_ashrrev_i32_e32 v3, 4, v3
	v_cmp_gt_i32_e32 vcc, s27, v2
	s_load_dwordx2 s[14:15], s[0:1], 0x8
	s_nop 0
	v_cndmask_b32_e32 v2, v5, v3, vcc
	v_ashrrev_i32_e32 v3, 31, v2
	v_lshl_add_u64 v[8:9], v[2:3], 2, s[6:7]
	v_or_b32_e32 v2, 32, v1
	v_add_u32_e32 v3, v2, v4
	v_ashrrev_i32_e32 v3, 4, v3
	v_cmp_gt_i32_e32 vcc, s27, v2
	v_or_b32_e32 v1, 48, v1
	s_nop 0
	v_cndmask_b32_e32 v2, v5, v3, vcc
	v_ashrrev_i32_e32 v3, 31, v2
	v_lshl_add_u64 v[10:11], v[2:3], 2, s[6:7]
	v_add_u32_e32 v2, v1, v4
	v_ashrrev_i32_e32 v2, 4, v2
	v_cmp_gt_i32_e32 vcc, s27, v1
	s_nop 1
	v_cndmask_b32_e32 v2, v5, v2, vcc
	v_ashrrev_i32_e32 v3, 31, v2
	v_lshl_add_u64 v[12:13], v[2:3], 2, s[6:7]
	global_load_dword v5, v[6:7], off
	global_load_dword v4, v[8:9], off
	;; [unrolled: 1-line block ×4, first 2 shown]
	s_andn2_b64 vcc, exec, s[10:11]
	s_cbranch_vccnz .LBB254_8
; %bb.6:
	s_add_u32 s8, s8, s12
	s_addc_u32 s9, s9, s13
	s_load_dword s5, s[8:9], 0x0
	s_branch .LBB254_9
.LBB254_7:
	s_mov_b64 s[12:13], 0
	s_branch .LBB254_2
.LBB254_8:
	s_mov_b32 s5, s2
.LBB254_9:
	s_load_dwordx2 s[12:13], s[0:1], 0x10
	s_load_dwordx4 s[8:11], s[0:1], 0x48
	v_lshrrev_b32_e32 v85, 6, v0
	v_bfe_u32 v88, v0, 4, 2
	v_and_b32_e32 v84, 15, v0
	v_lshl_or_b32 v1, v85, 2, v88
	v_lshlrev_b32_e32 v6, 3, v84
	s_mul_i32 s40, s4, 7
	v_cmp_gt_u32_e32 vcc, 7, v1
	v_lshlrev_b32_e32 v82, 1, v6
	s_and_saveexec_b64 s[16:17], vcc
	s_cbranch_execz .LBB254_11
; %bb.10:
	s_load_dwordx2 s[20:21], s[0:1], 0x0
	s_waitcnt lgkmcnt(0)
	s_ashr_i32 s11, s8, 31
	s_mul_hi_u32 s22, s5, s8
	s_mul_i32 s11, s5, s11
	s_add_i32 s23, s22, s11
	s_mul_i32 s22, s5, s8
	s_lshl_b64 s[22:23], s[22:23], 1
	s_add_u32 s20, s20, s22
	v_add_lshl_u32 v6, v1, s40, 7
	s_addc_u32 s21, s21, s23
	v_ashrrev_i32_e32 v7, 31, v6
	v_lshl_add_u64 v[6:7], v[6:7], 1, s[20:21]
	v_mov_b32_e32 v83, 0
	v_lshl_add_u64 v[6:7], v[6:7], 0, v[82:83]
	global_load_dwordx4 v[6:9], v[6:7], off
	v_and_b32_e32 v10, 3, v0
	v_lshlrev_b32_e32 v11, 9, v84
	v_lshlrev_b32_e32 v1, 5, v1
	;; [unrolled: 1-line block ×3, first 2 shown]
	v_and_b32_e32 v11, 0x1800, v11
	v_or3_b32 v1, v11, v10, v1
	s_waitcnt vmcnt(0)
	ds_write_b128 v1, v[6:9]
.LBB254_11:
	s_or_b64 exec, exec, s[16:17]
	s_waitcnt lgkmcnt(0)
	s_mul_i32 s4, s4, s10
	s_mov_b32 s5, 0
	s_lshl_b64 s[4:5], s[4:5], 1
	s_add_u32 s10, s14, s4
	v_lshlrev_b32_e32 v1, 4, v0
	s_addc_u32 s11, s15, s5
	v_and_b32_e32 v86, 0xf0, v1
	v_mov_b32_e32 v87, 0
	v_lshl_add_u64 v[6:7], s[10:11], 0, v[86:87]
	s_waitcnt vmcnt(3)
	v_mad_i64_i32 v[8:9], s[10:11], v5, s9, 0
	s_waitcnt vmcnt(2)
	v_mad_i64_i32 v[4:5], s[10:11], v4, s9, 0
	v_lshl_add_u64 v[8:9], v[8:9], 1, v[6:7]
	v_and_b32_e32 v86, 0x300, v1
	v_lshl_add_u64 v[4:5], v[4:5], 1, v[6:7]
	v_lshl_add_u64 v[8:9], v[8:9], 0, v[86:87]
	;; [unrolled: 1-line block ×3, first 2 shown]
	s_barrier
	global_load_dwordx4 v[78:81], v[8:9], off
	global_load_dwordx4 v[74:77], v[8:9], off offset:1024
	global_load_dwordx4 v[70:73], v[8:9], off offset:2048
	;; [unrolled: 1-line block ×3, first 2 shown]
	global_load_dwordx4 v[66:69], v[4:5], off
	global_load_dwordx4 v[62:65], v[4:5], off offset:1024
	global_load_dwordx4 v[58:61], v[4:5], off offset:2048
	;; [unrolled: 1-line block ×3, first 2 shown]
	s_waitcnt vmcnt(9)
	v_mad_i64_i32 v[4:5], s[10:11], v3, s9, 0
	s_waitcnt vmcnt(8)
	v_mad_i64_i32 v[2:3], s[10:11], v2, s9, 0
	v_lshl_add_u64 v[4:5], v[4:5], 1, v[6:7]
	v_lshl_add_u64 v[2:3], v[2:3], 1, v[6:7]
	;; [unrolled: 1-line block ×4, first 2 shown]
	global_load_dwordx4 v[30:33], v[4:5], off
	global_load_dwordx4 v[26:29], v[4:5], off offset:1024
	global_load_dwordx4 v[22:25], v[4:5], off offset:2048
	global_load_dwordx4 v[18:21], v[4:5], off offset:3072
	global_load_dwordx4 v[6:9], v[34:35], off
	s_nop 0
	global_load_dwordx4 v[2:5], v[34:35], off offset:1024
	global_load_dwordx4 v[38:41], v[34:35], off offset:2048
	s_nop 0
	global_load_dwordx4 v[34:37], v[34:35], off offset:3072
	v_mul_lo_u16_e32 v42, 37, v84
	v_mov_b32_e32 v43, 7
	v_mul_lo_u16_sdwa v42, v42, v43 dst_sel:DWORD dst_unused:UNUSED_PAD src0_sel:BYTE_1 src1_sel:DWORD
	v_sub_u16_e32 v42, v84, v42
	v_mov_b32_e32 v43, 5
	v_lshlrev_b32_sdwa v42, v43, v42 dst_sel:DWORD dst_unused:UNUSED_PAD src0_sel:DWORD src1_sel:BYTE_0
	v_lshl_add_u32 v42, v88, 9, v42
	ds_read_b128 v[54:57], v42
	ds_read_b128 v[50:53], v42 offset:2048
	ds_read_b128 v[46:49], v42 offset:4096
	;; [unrolled: 1-line block ×3, first 2 shown]
	v_and_b32_e32 v83, 63, v0
	v_cmp_gt_u32_e32 vcc, 7, v84
	v_mov_b32_e32 v89, 0
	s_and_saveexec_b64 s[10:11], vcc
	s_cbranch_execz .LBB254_13
; %bb.12:
	s_load_dwordx2 s[14:15], s[0:1], 0x40
	v_add_u32_e32 v90, s40, v84
	v_ashrrev_i32_e32 v91, 31, v90
	s_waitcnt lgkmcnt(0)
	v_lshl_add_u64 v[90:91], v[90:91], 2, s[14:15]
	global_load_dword v89, v[90:91], off
.LBB254_13:
	s_or_b64 exec, exec, s[10:11]
	s_waitcnt vmcnt(15) lgkmcnt(3)
	v_mfma_f32_16x16x16_f16 v[90:93], v[78:79], v[54:55], 0
	s_add_u32 s4, s12, s4
	s_addc_u32 s5, s13, s5
	s_mov_b32 s33, 0xff7fffff
	v_mfma_f32_16x16x16_f16 v[78:81], v[80:81], v[56:57], v[90:93]
	s_waitcnt vmcnt(14) lgkmcnt(2)
	v_mfma_f32_16x16x16_f16 v[78:81], v[74:75], v[50:51], v[78:81]
	s_nop 0
	v_lshl_or_b32 v90, v85, 4, v84
	v_lshlrev_b32_e32 v86, 5, v90
	v_mfma_f32_16x16x16_f16 v[74:77], v[76:77], v[52:53], v[78:81]
	s_waitcnt vmcnt(13) lgkmcnt(1)
	v_mfma_f32_16x16x16_f16 v[74:77], v[70:71], v[46:47], v[74:77]
	v_mfma_f32_16x16x16_f16 v[70:73], v[72:73], v[48:49], v[74:77]
	s_waitcnt vmcnt(11)
	v_mfma_f32_16x16x16_f16 v[74:77], v[66:67], v[54:55], 0
	v_mfma_f32_16x16x16_f16 v[66:69], v[68:69], v[56:57], v[74:77]
	s_nop 5
	v_and_or_b32 v74, v0, 48, s18
	s_waitcnt lgkmcnt(0)
	v_mfma_f32_16x16x16_f16 v[70:73], v[10:11], v[42:43], v[70:73]
	v_ashrrev_i32_e32 v10, 4, v74
	v_mov_b32_e32 v75, s19
	v_cmp_gt_i32_e32 vcc, s27, v74
	s_waitcnt vmcnt(10)
	v_mfma_f32_16x16x16_f16 v[66:69], v[62:63], v[50:51], v[66:69]
	v_cndmask_b32_e32 v10, v75, v10, vcc
	v_ashrrev_i32_e32 v11, 31, v10
	v_lshl_add_u64 v[10:11], v[10:11], 2, s[6:7]
	global_load_dword v76, v[10:11], off
	v_mfma_f32_16x16x16_f16 v[62:65], v[64:65], v[52:53], v[66:69]
	v_or_b32_e32 v10, 64, v74
	v_ashrrev_i32_e32 v11, 4, v10
	v_cmp_gt_i32_e32 vcc, s27, v10
	s_waitcnt vmcnt(10)
	v_mfma_f32_16x16x16_f16 v[62:65], v[58:59], v[46:47], v[62:65]
	v_cndmask_b32_e32 v10, v75, v11, vcc
	v_ashrrev_i32_e32 v11, 31, v10
	v_lshl_add_u64 v[10:11], v[10:11], 2, s[6:7]
	global_load_dword v77, v[10:11], off
	v_or_b32_e32 v10, 0x80, v74
	v_mfma_f32_16x16x16_f16 v[58:61], v[60:61], v[48:49], v[62:65]
	v_ashrrev_i32_e32 v11, 4, v10
	v_cmp_gt_i32_e32 vcc, s27, v10
	s_waitcnt vmcnt(9)
	v_mfma_f32_16x16x16_f16 v[62:65], v[30:31], v[54:55], 0
	v_cndmask_b32_e32 v10, v75, v11, vcc
	v_ashrrev_i32_e32 v11, 31, v10
	v_lshl_add_u64 v[10:11], v[10:11], 2, s[6:7]
	v_mfma_f32_16x16x16_f16 v[30:33], v[32:33], v[56:57], v[62:65]
	s_nop 2
	global_load_dword v64, v[10:11], off
	v_or_b32_e32 v10, 0xc0, v74
	v_ashrrev_i32_e32 v11, 4, v10
	v_cmp_gt_i32_e32 vcc, s27, v10
	s_waitcnt vmcnt(9)
	v_mfma_f32_16x16x16_f16 v[30:33], v[26:27], v[50:51], v[30:33]
	v_lshl_add_u64 v[62:63], s[4:5], 0, v[86:87]
	v_cndmask_b32_e32 v10, v75, v11, vcc
	v_ashrrev_i32_e32 v11, 31, v10
	v_lshl_add_u64 v[10:11], v[10:11], 2, s[6:7]
	global_load_dword v65, v[10:11], off
	v_mfma_f32_16x16x16_f16 v[26:29], v[28:29], v[52:53], v[30:33]
	s_load_dword s6, s[0:1], 0x1c
	v_or_b32_e32 v86, 0x800, v86
	s_waitcnt vmcnt(3)
	v_mad_i64_i32 v[10:11], s[10:11], v76, s9, 0
	v_mfma_f32_16x16x16_f16 v[26:29], v[22:23], v[46:47], v[26:29]
	v_lshlrev_b64 v[74:75], 1, v[10:11]
	v_mfma_f32_16x16x16_f16 v[66:69], v[12:13], v[44:45], v[70:73]
	v_mfma_f32_16x16x16_f16 v[10:13], v[24:25], v[48:49], v[26:29]
	;; [unrolled: 1-line block ×3, first 2 shown]
	v_lshl_add_u64 v[14:15], v[62:63], 0, v[74:75]
	s_waitcnt lgkmcnt(0)
	s_nop 2
	v_pk_mul_f32 v[78:79], s[6:7], v[68:69] op_sel_hi:[0,1]
	v_mfma_f32_16x16x16_f16 v[10:13], v[18:19], v[42:43], v[10:13]
	v_mfma_f32_16x16x16_f16 v[70:73], v[16:17], v[44:45], v[30:33]
	s_nop 2
	global_load_dwordx4 v[30:33], v[14:15], off
	global_load_dwordx4 v[26:29], v[14:15], off offset:16
	s_waitcnt vmcnt(4)
	v_mad_i64_i32 v[14:15], s[10:11], v77, s9, 0
	v_lshlrev_b64 v[58:59], 1, v[14:15]
	v_mfma_f32_16x16x16_f16 v[92:95], v[20:21], v[44:45], v[10:13]
	v_pk_mul_f32 v[76:77], s[6:7], v[70:71] op_sel_hi:[0,1]
	s_nop 1
	v_lshl_add_u64 v[10:11], v[62:63], 0, v[58:59]
	global_load_dwordx4 v[22:25], v[10:11], off
	global_load_dwordx4 v[18:21], v[10:11], off offset:16
	v_mfma_f32_16x16x16_f16 v[10:13], v[6:7], v[54:55], 0
	s_waitcnt vmcnt(5)
	v_mad_i64_i32 v[6:7], s[10:11], v64, s9, 0
	v_lshlrev_b64 v[54:55], 1, v[6:7]
	v_mfma_f32_16x16x16_f16 v[6:9], v[8:9], v[56:57], v[10:13]
	v_pk_mul_f32 v[70:71], s[6:7], v[94:95] op_sel_hi:[0,1]
	v_mfma_f32_16x16x16_f16 v[6:9], v[2:3], v[50:51], v[6:9]
	s_waitcnt vmcnt(4)
	v_mad_i64_i32 v[2:3], s[8:9], v65, s9, 0
	v_lshlrev_b64 v[60:61], 1, v[2:3]
	v_mfma_f32_16x16x16_f16 v[50:53], v[4:5], v[52:53], v[6:9]
	v_lshl_add_u64 v[10:11], v[62:63], 0, v[54:55]
	v_lshl_add_u64 v[2:3], v[62:63], 0, v[60:61]
	v_pk_mul_f32 v[62:63], s[6:7], v[66:67] op_sel_hi:[0,1]
	v_mfma_f32_16x16x16_f16 v[50:53], v[38:39], v[46:47], v[50:53]
	v_lshl_add_u64 v[64:65], s[4:5], 0, v[86:87]
	v_lshl_add_u64 v[38:39], v[64:65], 0, v[74:75]
	v_pk_mul_f32 v[74:75], s[6:7], v[72:73] op_sel_hi:[0,1]
	v_mfma_f32_16x16x16_f16 v[46:49], v[40:41], v[48:49], v[50:53]
	v_pk_mul_f32 v[72:73], s[6:7], v[92:93] op_sel_hi:[0,1]
	global_load_dwordx4 v[14:17], v[10:11], off
	s_nop 0
	global_load_dwordx4 v[10:13], v[10:11], off offset:16
	s_nop 0
	global_load_dwordx4 v[6:9], v[2:3], off
	s_nop 0
	global_load_dwordx4 v[2:5], v[2:3], off offset:16
	v_mfma_f32_16x16x16_f16 v[40:43], v[34:35], v[42:43], v[46:49]
	v_mfma_f32_16x16x16_f16 v[34:37], v[36:37], v[44:45], v[40:43]
	s_nop 6
	v_pk_mul_f32 v[68:69], s[6:7], v[34:35] op_sel_hi:[0,1]
	v_and_b32_e32 v34, 0xc0, v0
	v_add_u32_e32 v34, s18, v34
	v_lshl_or_b32 v34, v88, 2, v34
	v_or_b32_e32 v35, 1, v34
	v_pk_mul_f32 v[66:67], s[6:7], v[36:37] op_sel_hi:[0,1]
	v_subrev_u32_e32 v36, s27, v35
	v_add_u32_e32 v40, 1, v36
	v_add_u32_e32 v41, 2, v36
	v_cvt_f32_i32_e32 v37, v36
	v_cvt_f32_i32_e32 v40, v40
	;; [unrolled: 1-line block ×3, first 2 shown]
	v_add_u32_e32 v42, 3, v36
	v_fma_f32 v62, v89, v37, v62
	v_fmac_f32_e32 v63, v89, v40
	v_fma_f32 v78, v89, v41, v78
	v_add_u32_e32 v37, 16, v36
	v_add_u32_e32 v40, 17, v36
	;; [unrolled: 1-line block ×3, first 2 shown]
	v_cvt_f32_i32_e32 v42, v42
	v_cvt_f32_i32_e32 v37, v37
	;; [unrolled: 1-line block ×4, first 2 shown]
	v_fmac_f32_e32 v79, v89, v42
	v_add_u32_e32 v42, 19, v36
	v_fma_f32 v76, v89, v37, v76
	v_fmac_f32_e32 v77, v89, v40
	v_fma_f32 v74, v89, v41, v74
	v_add_u32_e32 v37, 32, v36
	v_add_u32_e32 v40, 33, v36
	;; [unrolled: 1-line block ×3, first 2 shown]
	v_cvt_f32_i32_e32 v42, v42
	v_cvt_f32_i32_e32 v37, v37
	;; [unrolled: 1-line block ×4, first 2 shown]
	v_fmac_f32_e32 v75, v89, v42
	v_add_u32_e32 v42, 35, v36
	v_fma_f32 v72, v89, v37, v72
	v_fmac_f32_e32 v73, v89, v40
	v_fma_f32 v70, v89, v41, v70
	v_add_u32_e32 v37, 48, v36
	v_add_u32_e32 v40, 49, v36
	;; [unrolled: 1-line block ×4, first 2 shown]
	v_cvt_f32_i32_e32 v36, v36
	v_cvt_f32_i32_e32 v37, v37
	;; [unrolled: 1-line block ×3, first 2 shown]
	v_cmp_gt_i32_e64 s[28:29], s27, v34
	v_fmac_f32_e32 v67, v89, v36
	v_mov_b32_e32 v36, 0xff7fffff
	v_cmp_gt_i32_e64 s[30:31], s27, v35
	v_fma_f32 v68, v89, v37, v68
	v_cndmask_b32_e64 v37, v36, v62, s[28:29]
	v_cndmask_b32_e64 v35, v36, v63, s[30:31]
	v_fmac_f32_e32 v69, v89, v40
	v_max3_f32 v35, v37, s33, v35
	v_or_b32_e32 v37, 2, v34
	v_or_b32_e32 v40, 3, v34
	v_cmp_gt_i32_e64 s[34:35], s27, v37
	v_cmp_gt_i32_e64 s[36:37], s27, v40
	v_cvt_f32_i32_e32 v42, v42
	v_cndmask_b32_e64 v37, v36, v78, s[34:35]
	v_cndmask_b32_e64 v40, v36, v79, s[36:37]
	v_max3_f32 v35, v35, v37, v40
	v_or_b32_e32 v37, 16, v34
	v_or_b32_e32 v40, 17, v34
	v_cmp_gt_i32_e64 s[22:23], s27, v37
	v_cmp_gt_i32_e64 s[24:25], s27, v40
	v_fmac_f32_e32 v71, v89, v42
	v_cndmask_b32_e64 v37, v36, v76, s[22:23]
	v_cndmask_b32_e64 v40, v36, v77, s[24:25]
	v_max3_f32 v35, v35, v37, v40
	v_or_b32_e32 v37, 18, v34
	v_or_b32_e32 v40, 19, v34
	v_cmp_gt_i32_e64 s[18:19], s27, v37
	v_cmp_gt_i32_e64 s[20:21], s27, v40
	v_cvt_f32_i32_e32 v41, v41
	v_cndmask_b32_e64 v37, v36, v74, s[18:19]
	v_cndmask_b32_e64 v40, v36, v75, s[20:21]
	v_max3_f32 v35, v35, v37, v40
	v_or_b32_e32 v37, 32, v34
	v_or_b32_e32 v40, 33, v34
	v_cmp_gt_i32_e64 s[14:15], s27, v37
	v_cmp_gt_i32_e64 s[16:17], s27, v40
	v_fma_f32 v66, v89, v41, v66
	v_cndmask_b32_e64 v37, v36, v72, s[14:15]
	v_cndmask_b32_e64 v40, v36, v73, s[16:17]
	v_max3_f32 v35, v35, v37, v40
	v_or_b32_e32 v37, 34, v34
	v_or_b32_e32 v40, 35, v34
	v_cmp_gt_i32_e64 s[10:11], s27, v37
	v_cmp_gt_i32_e64 s[12:13], s27, v40
	s_nop 0
	v_cndmask_b32_e64 v37, v36, v70, s[10:11]
	v_cndmask_b32_e64 v40, v36, v71, s[12:13]
	v_max3_f32 v35, v35, v37, v40
	v_or_b32_e32 v37, 48, v34
	v_or_b32_e32 v40, 49, v34
	v_cmp_gt_i32_e64 s[6:7], s27, v37
	v_cmp_gt_i32_e64 s[8:9], s27, v40
	s_nop 0
	v_cndmask_b32_e64 v37, v36, v68, s[6:7]
	v_cndmask_b32_e64 v40, v36, v69, s[8:9]
	v_max3_f32 v35, v35, v37, v40
	v_or_b32_e32 v37, 50, v34
	v_or_b32_e32 v34, 51, v34
	v_cmp_gt_i32_e32 vcc, s27, v37
	v_cmp_gt_i32_e64 s[4:5], s27, v34
	global_load_dwordx4 v[46:49], v[38:39], off
	s_nop 0
	global_load_dwordx4 v[38:41], v[38:39], off offset:16
	v_cndmask_b32_e32 v37, v36, v66, vcc
	v_cndmask_b32_e64 v34, v36, v67, s[4:5]
	v_max3_f32 v50, v35, v37, v34
	v_mbcnt_lo_u32_b32 v34, -1, 0
	v_mbcnt_hi_u32_b32 v51, -1, v34
	v_and_b32_e32 v34, 64, v51
	v_add_u32_e32 v52, 64, v34
	v_xor_b32_e32 v34, 32, v51
	v_cmp_lt_i32_e64 s[38:39], v34, v52
	s_nop 1
	v_cndmask_b32_e64 v34, v51, v34, s[38:39]
	v_lshlrev_b32_e32 v87, 2, v34
	ds_bpermute_b32 v53, v87, v50
	v_lshl_add_u64 v[34:35], v[64:65], 0, v[58:59]
	v_lshl_add_u64 v[58:59], v[64:65], 0, v[60:61]
	global_load_dwordx4 v[42:45], v[34:35], off
	s_nop 0
	global_load_dwordx4 v[34:37], v[34:35], off offset:16
	s_waitcnt lgkmcnt(0)
	v_max_f32_e32 v53, v53, v53
	v_max_f32_e32 v80, v50, v53
	v_xor_b32_e32 v50, 16, v51
	v_cmp_lt_i32_e64 s[38:39], v50, v52
	s_nop 1
	v_cndmask_b32_e64 v50, v51, v50, s[38:39]
	v_lshlrev_b32_e32 v89, 2, v50
	ds_bpermute_b32 v81, v89, v80
	v_lshl_add_u64 v[50:51], v[64:65], 0, v[54:55]
	global_load_dwordx4 v[54:57], v[50:51], off
	s_nop 0
	global_load_dwordx4 v[50:53], v[50:51], off offset:16
	s_waitcnt lgkmcnt(0)
	v_max_f32_e32 v60, v81, v81
	v_max_f32_e32 v86, v80, v60
	v_sub_f32_e32 v60, v62, v86
	v_mul_f32_e32 v60, 0x3fb8aa3b, v60
	v_exp_f32_e32 v80, v60
	v_sub_f32_e32 v60, v63, v86
	v_mul_f32_e32 v60, 0x3fb8aa3b, v60
	v_exp_f32_e32 v81, v60
	global_load_dwordx4 v[62:65], v[58:59], off
	s_nop 0
	global_load_dwordx4 v[58:61], v[58:59], off offset:16
	v_sub_f32_e32 v78, v78, v86
	v_mul_f32_e32 v78, 0x3fb8aa3b, v78
	v_sub_f32_e32 v79, v79, v86
	v_exp_f32_e32 v78, v78
	v_mul_f32_e32 v79, 0x3fb8aa3b, v79
	v_sub_f32_e32 v76, v76, v86
	v_exp_f32_e32 v79, v79
	v_mul_f32_e32 v76, 0x3fb8aa3b, v76
	v_sub_f32_e32 v77, v77, v86
	v_cndmask_b32_e64 v80, 0, v80, s[28:29]
	v_exp_f32_e32 v76, v76
	v_mul_f32_e32 v77, 0x3fb8aa3b, v77
	v_sub_f32_e32 v74, v74, v86
	v_add_f32_e32 v91, 0, v80
	v_cndmask_b32_e64 v81, 0, v81, s[30:31]
	v_exp_f32_e32 v77, v77
	v_mul_f32_e32 v74, 0x3fb8aa3b, v74
	v_sub_f32_e32 v75, v75, v86
	v_add_f32_e32 v91, v91, v81
	;; [unrolled: 5-line block ×10, first 2 shown]
	v_cndmask_b32_e64 v70, 0, v70, s[10:11]
	v_exp_f32_e32 v66, v66
	v_mul_f32_e32 v67, 0x3fb8aa3b, v67
	v_add_f32_e32 v91, v91, v70
	v_cndmask_b32_e64 v71, 0, v71, s[12:13]
	v_exp_f32_e32 v67, v67
	v_add_f32_e32 v91, v91, v71
	v_cndmask_b32_e64 v68, 0, v68, s[6:7]
	v_add_f32_e32 v91, v91, v68
	v_cndmask_b32_e64 v69, 0, v69, s[8:9]
	v_add_f32_e32 v91, v91, v69
	v_cndmask_b32_e32 v66, 0, v66, vcc
	v_add_f32_e32 v91, v91, v66
	v_cndmask_b32_e64 v67, 0, v67, s[4:5]
	v_add_f32_e32 v91, v91, v67
	ds_bpermute_b32 v87, v87, v91
	s_load_dword s7, s[0:1], 0x98
	v_cmp_gt_u32_e32 vcc, 16, v83
	s_waitcnt lgkmcnt(0)
	s_barrier
	v_add_f32_e32 v87, v91, v87
	ds_bpermute_b32 v89, v89, v87
	s_waitcnt lgkmcnt(0)
	s_and_saveexec_b64 s[4:5], vcc
	s_cbranch_execz .LBB254_15
; %bb.14:
	v_add_f32_e32 v83, v87, v89
	v_lshlrev_b32_e32 v87, 2, v90
	ds_write2st64_b32 v87, v86, v83 offset1:1
.LBB254_15:
	s_or_b64 exec, exec, s[4:5]
	v_lshlrev_b32_e32 v89, 2, v84
	s_load_dword s6, s[0:1], 0x94
	s_waitcnt lgkmcnt(0)
	s_barrier
	ds_read2_b32 v[86:87], v89 offset1:16
	ds_read2_b32 v[90:91], v89 offset0:32 offset1:48
	ds_read2_b32 v[92:93], v89 offset0:64 offset1:80
	ds_read2_b32 v[94:95], v89 offset0:96 offset1:112
	s_mul_i32 s7, s7, 7
	s_waitcnt lgkmcnt(3)
	v_max3_f32 v83, v86, s33, v87
	s_waitcnt lgkmcnt(2)
	v_max3_f32 v83, v83, v90, v91
	v_sub_f32_e32 v86, v86, v83
	v_mul_f32_e32 v86, 0x3fb8aa3b, v86
	v_exp_f32_e32 v1, v86
	v_sub_f32_e32 v86, v87, v83
	v_mul_f32_e32 v86, 0x3fb8aa3b, v86
	v_exp_f32_e32 v87, v86
	;; [unrolled: 3-line block ×4, first 2 shown]
	s_waitcnt lgkmcnt(1)
	v_fma_f32 v86, v1, v92, 0
	v_fmac_f32_e32 v86, v87, v93
	s_waitcnt lgkmcnt(0)
	v_fmac_f32_e32 v86, v90, v94
	v_fmac_f32_e32 v86, v89, v95
	v_add_f32_e32 v91, 0x358637bd, v86
	v_div_scale_f32 v92, s[4:5], v91, v91, 1.0
	v_rcp_f32_e32 v93, v92
	s_barrier
	v_fma_f32 v94, -v92, v93, 1.0
	v_fmac_f32_e32 v93, v94, v93
	v_div_scale_f32 v94, vcc, 1.0, v91, 1.0
	v_mul_f32_e32 v95, v94, v93
	v_fma_f32 v88, -v92, v95, v94
	v_fmac_f32_e32 v95, v88, v93
	v_fma_f32 v88, -v92, v95, v94
	v_div_fmas_f32 v88, v88, v93, v95
	v_cmp_eq_u32_e32 vcc, 1, v85
	v_div_fixup_f32 v88, v88, v91, 1.0
	s_nop 0
	v_cndmask_b32_e32 v1, v1, v87, vcc
	v_cmp_eq_u32_e32 vcc, 2, v85
	v_bfe_u32 v87, v0, 4, 2
	s_nop 0
	v_cndmask_b32_e32 v1, v1, v90, vcc
	v_cmp_eq_u32_e32 vcc, 3, v85
	s_nop 1
	v_cndmask_b32_e32 v1, v1, v89, vcc
	v_mul_f32_e32 v90, v1, v88
	v_pk_mul_f32 v[78:79], v[90:91], v[78:79] op_sel_hi:[0,1]
	v_cvt_f16_f32_e32 v78, v78
	v_cvt_f16_f32_e32 v79, v79
	v_pk_mul_f32 v[80:81], v[90:91], v[80:81] op_sel_hi:[0,1]
	v_cvt_f16_f32_e32 v1, v80
	v_cvt_f16_f32_e32 v80, v81
	v_pk_mul_f32 v[74:75], v[90:91], v[74:75] op_sel_hi:[0,1]
	v_pk_mul_f32 v[76:77], v[90:91], v[76:77] op_sel_hi:[0,1]
	v_pack_b32_f16 v81, v78, v79
	v_cvt_f16_f32_e32 v76, v76
	v_cvt_f16_f32_e32 v77, v77
	;; [unrolled: 1-line block ×4, first 2 shown]
	v_pack_b32_f16 v80, v1, v80
	v_lshlrev_b32_e32 v1, 3, v87
	v_lshlrev_b32_e32 v78, 5, v84
	;; [unrolled: 1-line block ×3, first 2 shown]
	v_pk_mul_f32 v[70:71], v[90:91], v[70:71] op_sel_hi:[0,1]
	v_pk_mul_f32 v[72:73], v[90:91], v[72:73] op_sel_hi:[0,1]
	;; [unrolled: 1-line block ×4, first 2 shown]
	v_or3_b32 v74, v74, v78, v1
	v_pack_b32_f16 v76, v76, v77
	v_pack_b32_f16 v77, v79, v75
	v_cvt_f16_f32_e32 v1, v72
	v_cvt_f16_f32_e32 v72, v73
	;; [unrolled: 1-line block ×8, first 2 shown]
	v_pack_b32_f16 v66, v1, v72
	v_pack_b32_f16 v67, v70, v71
	;; [unrolled: 1-line block ×4, first 2 shown]
	v_cmp_gt_u32_e32 vcc, 7, v0
	ds_write2st64_b64 v74, v[80:81], v[76:77] offset1:1
	ds_write2st64_b64 v74, v[66:67], v[68:69] offset0:2 offset1:3
	s_and_saveexec_b64 s[4:5], vcc
	s_cbranch_execz .LBB254_17
; %bb.16:
	s_mov_b32 s41, 0
	v_mov_b32_e32 v85, 0
	v_lshl_add_u64 v[66:67], s[40:41], 0, v[84:85]
	v_mov_b32_e32 v1, s7
	v_mad_u64_u32 v[66:67], s[12:13], s2, v1, v[66:67]
	s_mul_i32 s3, s3, s7
	v_mov_b32_e32 v68, s26
	v_mov_b32_e32 v69, v85
	s_load_dwordx4 s[8:11], s[0:1], 0x58
	v_add_u32_e32 v1, s3, v67
	v_mad_u64_u32 v[66:67], s[12:13], v66, s6, v[68:69]
	v_mov_b32_e32 v68, v67
	v_mad_u64_u32 v[68:69], s[12:13], v1, s6, v[68:69]
	v_mov_b32_e32 v67, v68
	v_lshlrev_b64 v[66:67], 2, v[66:67]
	s_waitcnt lgkmcnt(0)
	v_lshl_add_u64 v[68:69], s[10:11], 0, v[66:67]
	v_lshl_add_u64 v[66:67], s[8:9], 0, v[66:67]
	global_store_dword v[68:69], v83, off
	global_store_dword v[66:67], v86, off
.LBB254_17:
	s_or_b64 exec, exec, s[4:5]
	v_lshl_or_b32 v1, v87, 9, v78
	s_waitcnt lgkmcnt(0)
	s_barrier
	ds_read_b128 v[70:73], v1
	ds_read_b128 v[66:69], v1 offset:16
	s_waitcnt vmcnt(15) lgkmcnt(1)
	v_mfma_f32_16x16x16_f16 v[76:79], v[30:31], v[70:71], 0
	s_mov_b32 s3, 0
	v_cmp_gt_u32_e32 vcc, 64, v0
	v_mfma_f32_16x16x16_f16 v[30:33], v[32:33], v[72:73], v[76:79]
	s_waitcnt vmcnt(14) lgkmcnt(0)
	v_mfma_f32_16x16x16_f16 v[30:33], v[26:27], v[66:67], v[30:33]
	v_mfma_f32_16x16x16_f16 v[26:29], v[28:29], v[68:69], v[30:33]
	s_nop 5
	ds_read_b128 v[30:33], v1 offset:2048
	ds_read_b128 v[76:79], v1 offset:2064
	s_waitcnt vmcnt(13) lgkmcnt(1)
	v_mfma_f32_16x16x16_f16 v[26:29], v[22:23], v[30:31], v[26:29]
	v_mfma_f32_16x16x16_f16 v[22:25], v[24:25], v[32:33], v[26:29]
	s_waitcnt vmcnt(12) lgkmcnt(0)
	v_mfma_f32_16x16x16_f16 v[22:25], v[18:19], v[76:77], v[22:25]
	v_mfma_f32_16x16x16_f16 v[18:21], v[20:21], v[78:79], v[22:25]
	s_nop 5
	ds_read_b128 v[22:25], v1 offset:4096
	ds_read_b128 v[26:29], v1 offset:4112
	s_waitcnt vmcnt(11) lgkmcnt(1)
	v_mfma_f32_16x16x16_f16 v[18:21], v[14:15], v[22:23], v[18:21]
	v_mfma_f32_16x16x16_f16 v[14:17], v[16:17], v[24:25], v[18:21]
	s_waitcnt vmcnt(10) lgkmcnt(0)
	v_mfma_f32_16x16x16_f16 v[14:17], v[10:11], v[26:27], v[14:17]
	v_mfma_f32_16x16x16_f16 v[10:13], v[12:13], v[28:29], v[14:17]
	s_nop 5
	ds_read_b128 v[14:17], v1 offset:6144
	ds_read_b128 v[18:21], v1 offset:6160
	s_waitcnt lgkmcnt(0)
	s_barrier
	s_waitcnt vmcnt(9)
	v_mfma_f32_16x16x16_f16 v[10:13], v[6:7], v[14:15], v[10:13]
	v_mfma_f32_16x16x16_f16 v[6:9], v[8:9], v[16:17], v[10:13]
	s_waitcnt vmcnt(8)
	v_mfma_f32_16x16x16_f16 v[6:9], v[2:3], v[18:19], v[6:9]
	v_mfma_f32_16x16x16_f16 v[2:5], v[4:5], v[20:21], v[6:9]
	;; [unrolled: 3-line block ×3, first 2 shown]
	s_nop 3
	v_cvt_f16_f32_e32 v1, v2
	v_cvt_f16_f32_e32 v10, v3
	;; [unrolled: 1-line block ×3, first 2 shown]
	s_waitcnt vmcnt(6)
	v_mfma_f32_16x16x16_f16 v[6:9], v[38:39], v[66:67], v[6:9]
	v_cvt_f16_f32_e32 v12, v5
	v_mfma_f32_16x16x16_f16 v[6:9], v[40:41], v[68:69], v[6:9]
	s_waitcnt vmcnt(5)
	v_mfma_f32_16x16x16_f16 v[6:9], v[42:43], v[30:31], v[6:9]
	v_mfma_f32_16x16x16_f16 v[6:9], v[44:45], v[32:33], v[6:9]
	s_waitcnt vmcnt(4)
	v_mfma_f32_16x16x16_f16 v[6:9], v[34:35], v[76:77], v[6:9]
	;; [unrolled: 3-line block ×6, first 2 shown]
	v_mfma_f32_16x16x16_f16 v[2:5], v[60:61], v[20:21], v[6:9]
	s_nop 6
	v_cvt_f16_f32_e32 v6, v2
	v_cvt_f16_f32_e32 v7, v3
	;; [unrolled: 1-line block ×4, first 2 shown]
	v_pack_b32_f16 v2, v1, v10
	v_pack_b32_f16 v3, v11, v12
	;; [unrolled: 1-line block ×4, first 2 shown]
	ds_write2st64_b64 v74, v[2:3], v[4:5] offset1:1
	s_waitcnt lgkmcnt(0)
	s_barrier
	s_and_saveexec_b64 s[4:5], vcc
	s_cbranch_execz .LBB254_20
; %bb.18:
	s_load_dwordx2 s[4:5], s[0:1], 0x68
	s_lshl_b32 s0, s6, 7
	s_mul_i32 s1, s7, s2
	v_lshlrev_b32_e32 v3, 6, v84
	s_mul_hi_u32 s7, s1, s0
	s_mul_i32 s6, s1, s0
	v_lshlrev_b32_e32 v2, 4, v0
	v_lshl_or_b32 v0, v0, 10, v3
	s_lshl_b64 s[6:7], s[6:7], 1
	v_lshlrev_b32_e32 v1, 5, v87
	v_and_b32_e32 v2, 16, v2
	v_and_b32_e32 v0, 0x1a00, v0
	s_waitcnt lgkmcnt(0)
	s_add_u32 s1, s4, s6
	v_or3_b32 v2, v0, v1, v2
	s_addc_u32 s4, s5, s7
	s_lshl_b32 s2, s26, 7
	s_lshl_b64 s[2:3], s[2:3], 1
	ds_read_b128 v[4:7], v2
	s_add_u32 s2, s1, s2
	s_addc_u32 s3, s4, s3
	v_mov_b32_e32 v83, 0
	v_add_u32_e32 v3, s40, v87
	v_lshl_add_u64 v[0:1], s[2:3], 0, v[82:83]
	v_mad_u64_u32 v[8:9], s[2:3], v3, s0, 0
	v_lshl_add_u64 v[8:9], v[8:9], 1, v[0:1]
	v_cmp_ne_u32_e32 vcc, 3, v87
	s_waitcnt lgkmcnt(0)
	global_store_dwordx4 v[8:9], v[4:7], off
	s_and_b64 exec, exec, vcc
	s_cbranch_execz .LBB254_20
; %bb.19:
	ds_read_b128 v[2:5], v2 offset:128
	v_add3_u32 v6, s40, v87, 4
	v_mad_u64_u32 v[6:7], s[0:1], v6, s0, 0
	v_lshl_add_u64 v[0:1], v[6:7], 1, v[0:1]
	s_waitcnt lgkmcnt(0)
	global_store_dwordx4 v[0:1], v[2:5], off
.LBB254_20:
	s_endpgm
	.section	.rodata,"a",@progbits
	.p2align	6, 0x0
	.amdhsa_kernel _Z39paged_attention_ll4mi_QKV_mfma16_kernelIDF16_DF16_LN4vllm18Fp8KVCacheDataTypeE0EDF16_Li16ELi128ELi256ELb1ELi7EEvPKT_PKT0_S7_ifPKiS9_S9_iPKfiiiPfSC_PS2_PT2_iSB_SB_
		.amdhsa_group_segment_fixed_size 8192
		.amdhsa_private_segment_fixed_size 0
		.amdhsa_kernarg_size 400
		.amdhsa_user_sgpr_count 2
		.amdhsa_user_sgpr_dispatch_ptr 0
		.amdhsa_user_sgpr_queue_ptr 0
		.amdhsa_user_sgpr_kernarg_segment_ptr 1
		.amdhsa_user_sgpr_dispatch_id 0
		.amdhsa_user_sgpr_kernarg_preload_length 0
		.amdhsa_user_sgpr_kernarg_preload_offset 0
		.amdhsa_user_sgpr_private_segment_size 0
		.amdhsa_uses_dynamic_stack 0
		.amdhsa_enable_private_segment 0
		.amdhsa_system_sgpr_workgroup_id_x 1
		.amdhsa_system_sgpr_workgroup_id_y 1
		.amdhsa_system_sgpr_workgroup_id_z 1
		.amdhsa_system_sgpr_workgroup_info 0
		.amdhsa_system_vgpr_workitem_id 0
		.amdhsa_next_free_vgpr 96
		.amdhsa_next_free_sgpr 42
		.amdhsa_accum_offset 96
		.amdhsa_reserve_vcc 1
		.amdhsa_float_round_mode_32 0
		.amdhsa_float_round_mode_16_64 0
		.amdhsa_float_denorm_mode_32 3
		.amdhsa_float_denorm_mode_16_64 3
		.amdhsa_dx10_clamp 1
		.amdhsa_ieee_mode 1
		.amdhsa_fp16_overflow 0
		.amdhsa_tg_split 0
		.amdhsa_exception_fp_ieee_invalid_op 0
		.amdhsa_exception_fp_denorm_src 0
		.amdhsa_exception_fp_ieee_div_zero 0
		.amdhsa_exception_fp_ieee_overflow 0
		.amdhsa_exception_fp_ieee_underflow 0
		.amdhsa_exception_fp_ieee_inexact 0
		.amdhsa_exception_int_div_zero 0
	.end_amdhsa_kernel
	.section	.text._Z39paged_attention_ll4mi_QKV_mfma16_kernelIDF16_DF16_LN4vllm18Fp8KVCacheDataTypeE0EDF16_Li16ELi128ELi256ELb1ELi7EEvPKT_PKT0_S7_ifPKiS9_S9_iPKfiiiPfSC_PS2_PT2_iSB_SB_,"axG",@progbits,_Z39paged_attention_ll4mi_QKV_mfma16_kernelIDF16_DF16_LN4vllm18Fp8KVCacheDataTypeE0EDF16_Li16ELi128ELi256ELb1ELi7EEvPKT_PKT0_S7_ifPKiS9_S9_iPKfiiiPfSC_PS2_PT2_iSB_SB_,comdat
.Lfunc_end254:
	.size	_Z39paged_attention_ll4mi_QKV_mfma16_kernelIDF16_DF16_LN4vllm18Fp8KVCacheDataTypeE0EDF16_Li16ELi128ELi256ELb1ELi7EEvPKT_PKT0_S7_ifPKiS9_S9_iPKfiiiPfSC_PS2_PT2_iSB_SB_, .Lfunc_end254-_Z39paged_attention_ll4mi_QKV_mfma16_kernelIDF16_DF16_LN4vllm18Fp8KVCacheDataTypeE0EDF16_Li16ELi128ELi256ELb1ELi7EEvPKT_PKT0_S7_ifPKiS9_S9_iPKfiiiPfSC_PS2_PT2_iSB_SB_
                                        ; -- End function
	.section	.AMDGPU.csdata,"",@progbits
; Kernel info:
; codeLenInByte = 4692
; NumSgprs: 48
; NumVgprs: 96
; NumAgprs: 0
; TotalNumVgprs: 96
; ScratchSize: 0
; MemoryBound: 0
; FloatMode: 240
; IeeeMode: 1
; LDSByteSize: 8192 bytes/workgroup (compile time only)
; SGPRBlocks: 5
; VGPRBlocks: 11
; NumSGPRsForWavesPerEU: 48
; NumVGPRsForWavesPerEU: 96
; AccumOffset: 96
; Occupancy: 5
; WaveLimiterHint : 1
; COMPUTE_PGM_RSRC2:SCRATCH_EN: 0
; COMPUTE_PGM_RSRC2:USER_SGPR: 2
; COMPUTE_PGM_RSRC2:TRAP_HANDLER: 0
; COMPUTE_PGM_RSRC2:TGID_X_EN: 1
; COMPUTE_PGM_RSRC2:TGID_Y_EN: 1
; COMPUTE_PGM_RSRC2:TGID_Z_EN: 1
; COMPUTE_PGM_RSRC2:TIDIG_COMP_CNT: 0
; COMPUTE_PGM_RSRC3_GFX90A:ACCUM_OFFSET: 23
; COMPUTE_PGM_RSRC3_GFX90A:TG_SPLIT: 0
	.section	.text._Z39paged_attention_ll4mi_QKV_mfma16_kernelIDF16_DF16_LN4vllm18Fp8KVCacheDataTypeE0EDF16_Li16ELi128ELi256ELb1ELi8EEvPKT_PKT0_S7_ifPKiS9_S9_iPKfiiiPfSC_PS2_PT2_iSB_SB_,"axG",@progbits,_Z39paged_attention_ll4mi_QKV_mfma16_kernelIDF16_DF16_LN4vllm18Fp8KVCacheDataTypeE0EDF16_Li16ELi128ELi256ELb1ELi8EEvPKT_PKT0_S7_ifPKiS9_S9_iPKfiiiPfSC_PS2_PT2_iSB_SB_,comdat
	.protected	_Z39paged_attention_ll4mi_QKV_mfma16_kernelIDF16_DF16_LN4vllm18Fp8KVCacheDataTypeE0EDF16_Li16ELi128ELi256ELb1ELi8EEvPKT_PKT0_S7_ifPKiS9_S9_iPKfiiiPfSC_PS2_PT2_iSB_SB_ ; -- Begin function _Z39paged_attention_ll4mi_QKV_mfma16_kernelIDF16_DF16_LN4vllm18Fp8KVCacheDataTypeE0EDF16_Li16ELi128ELi256ELb1ELi8EEvPKT_PKT0_S7_ifPKiS9_S9_iPKfiiiPfSC_PS2_PT2_iSB_SB_
	.globl	_Z39paged_attention_ll4mi_QKV_mfma16_kernelIDF16_DF16_LN4vllm18Fp8KVCacheDataTypeE0EDF16_Li16ELi128ELi256ELb1ELi8EEvPKT_PKT0_S7_ifPKiS9_S9_iPKfiiiPfSC_PS2_PT2_iSB_SB_
	.p2align	8
	.type	_Z39paged_attention_ll4mi_QKV_mfma16_kernelIDF16_DF16_LN4vllm18Fp8KVCacheDataTypeE0EDF16_Li16ELi128ELi256ELb1ELi8EEvPKT_PKT0_S7_ifPKiS9_S9_iPKfiiiPfSC_PS2_PT2_iSB_SB_,@function
_Z39paged_attention_ll4mi_QKV_mfma16_kernelIDF16_DF16_LN4vllm18Fp8KVCacheDataTypeE0EDF16_Li16ELi128ELi256ELb1ELi8EEvPKT_PKT0_S7_ifPKiS9_S9_iPKfiiiPfSC_PS2_PT2_iSB_SB_: ; @_Z39paged_attention_ll4mi_QKV_mfma16_kernelIDF16_DF16_LN4vllm18Fp8KVCacheDataTypeE0EDF16_Li16ELi128ELi256ELb1ELi8EEvPKT_PKT0_S7_ifPKiS9_S9_iPKfiiiPfSC_PS2_PT2_iSB_SB_
; %bb.0:
	s_load_dwordx2 s[8:9], s[0:1], 0x30
	s_mov_b32 s26, s3
	s_mov_b64 s[6:7], 0
	s_waitcnt lgkmcnt(0)
	s_cmp_lg_u64 s[8:9], 0
	s_cselect_b64 s[10:11], -1, 0
	s_and_b64 vcc, exec, s[10:11]
	s_cbranch_vccz .LBB255_7
; %bb.1:
	s_add_i32 s12, s2, 1
	s_mov_b32 s13, 0
	s_lshl_b64 s[14:15], s[12:13], 2
	s_add_u32 s14, s8, s14
	s_mov_b32 s3, s13
	s_addc_u32 s15, s9, s15
	s_lshl_b64 s[12:13], s[2:3], 2
	s_add_u32 s12, s8, s12
	s_addc_u32 s13, s9, s13
	s_load_dword s5, s[14:15], 0x0
	s_load_dword s16, s[12:13], 0x0
	s_waitcnt lgkmcnt(0)
	s_sub_i32 s5, s5, s16
	s_cmp_eq_u32 s5, 1
	s_cselect_b64 s[12:13], -1, 0
	s_andn2_b64 vcc, exec, s[6:7]
	s_cbranch_vccnz .LBB255_3
.LBB255_2:
	s_mov_b32 s3, 0
	s_mov_b64 s[12:13], -1
.LBB255_3:
	s_andn2_b64 vcc, exec, s[12:13]
	s_cbranch_vccnz .LBB255_19
; %bb.4:
	s_load_dwordx2 s[6:7], s[0:1], 0x28
	s_lshl_b64 s[12:13], s[2:3], 2
	s_waitcnt lgkmcnt(0)
	s_add_u32 s6, s6, s12
	s_addc_u32 s7, s7, s13
	s_load_dword s33, s[6:7], 0x0
	s_lshl_b32 s18, s26, 8
	s_waitcnt lgkmcnt(0)
	s_cmp_ge_i32 s18, s33
	s_cbranch_scc1 .LBB255_19
; %bb.5:
	s_load_dwordx2 s[6:7], s[0:1], 0x20
	s_load_dword s5, s[0:1], 0x38
	s_add_i32 s14, s33, 15
	s_ashr_i32 s15, s14, 31
	v_and_b32_e32 v1, 0xcf, v0
	s_lshr_b32 s15, s15, 28
	v_add_u32_e32 v1, s18, v1
	s_add_i32 s14, s14, s15
	v_ashrrev_i32_e32 v2, 31, v1
	s_ashr_i32 s19, s14, 4
	v_lshrrev_b32_e32 v4, 28, v2
	s_add_i32 s19, s19, -1
	s_waitcnt lgkmcnt(0)
	s_mul_i32 s14, s2, s5
	s_mov_b32 s15, 0
	v_add_u32_e32 v2, v1, v4
	s_lshl_b64 s[14:15], s[14:15], 2
	v_ashrrev_i32_e32 v2, 4, v2
	v_mov_b32_e32 v5, s19
	v_cmp_gt_i32_e32 vcc, s33, v1
	s_add_u32 s6, s6, s14
	s_addc_u32 s7, s7, s15
	v_cndmask_b32_e32 v2, v5, v2, vcc
	v_ashrrev_i32_e32 v3, 31, v2
	v_lshl_add_u64 v[6:7], v[2:3], 2, s[6:7]
	v_or_b32_e32 v2, 16, v1
	v_add_u32_e32 v3, v2, v4
	v_ashrrev_i32_e32 v3, 4, v3
	v_cmp_gt_i32_e32 vcc, s33, v2
	s_load_dwordx2 s[14:15], s[0:1], 0x8
	s_nop 0
	v_cndmask_b32_e32 v2, v5, v3, vcc
	v_ashrrev_i32_e32 v3, 31, v2
	v_lshl_add_u64 v[8:9], v[2:3], 2, s[6:7]
	v_or_b32_e32 v2, 32, v1
	v_add_u32_e32 v3, v2, v4
	v_ashrrev_i32_e32 v3, 4, v3
	v_cmp_gt_i32_e32 vcc, s33, v2
	v_or_b32_e32 v1, 48, v1
	s_nop 0
	v_cndmask_b32_e32 v2, v5, v3, vcc
	v_ashrrev_i32_e32 v3, 31, v2
	v_lshl_add_u64 v[10:11], v[2:3], 2, s[6:7]
	v_add_u32_e32 v2, v1, v4
	v_ashrrev_i32_e32 v2, 4, v2
	v_cmp_gt_i32_e32 vcc, s33, v1
	s_nop 1
	v_cndmask_b32_e32 v2, v5, v2, vcc
	v_ashrrev_i32_e32 v3, 31, v2
	v_lshl_add_u64 v[12:13], v[2:3], 2, s[6:7]
	global_load_dword v5, v[6:7], off
	global_load_dword v4, v[8:9], off
	;; [unrolled: 1-line block ×4, first 2 shown]
	s_andn2_b64 vcc, exec, s[10:11]
	s_cbranch_vccnz .LBB255_8
; %bb.6:
	s_add_u32 s8, s8, s12
	s_addc_u32 s9, s9, s13
	s_load_dword s5, s[8:9], 0x0
	s_branch .LBB255_9
.LBB255_7:
	s_mov_b64 s[12:13], 0
	s_branch .LBB255_2
.LBB255_8:
	s_mov_b32 s5, s2
.LBB255_9:
	s_load_dwordx2 s[12:13], s[0:1], 0x10
	s_load_dwordx4 s[8:11], s[0:1], 0x48
	v_and_b32_e32 v86, 15, v0
	v_lshlrev_b32_e32 v6, 3, v86
	s_waitcnt lgkmcnt(0)
	s_movk_i32 s11, 0x80
	v_lshrrev_b32_e32 v87, 6, v0
	v_bfe_u32 v1, v0, 4, 2
	s_lshl_b32 s27, s4, 3
	v_cmp_gt_u32_e32 vcc, s11, v0
	v_lshlrev_b32_e32 v82, 1, v6
	s_and_saveexec_b64 s[16:17], vcc
	s_cbranch_execz .LBB255_11
; %bb.10:
	s_load_dwordx2 s[20:21], s[0:1], 0x0
	s_ashr_i32 s11, s8, 31
	s_mul_hi_u32 s22, s5, s8
	s_mul_i32 s11, s5, s11
	s_add_i32 s23, s22, s11
	s_mul_i32 s22, s5, s8
	v_lshl_or_b32 v10, v87, 2, v1
	s_lshl_b64 s[22:23], s[22:23], 1
	s_waitcnt lgkmcnt(0)
	s_add_u32 s20, s20, s22
	v_add_lshl_u32 v6, v10, s27, 7
	s_addc_u32 s21, s21, s23
	v_ashrrev_i32_e32 v7, 31, v6
	v_lshl_add_u64 v[6:7], v[6:7], 1, s[20:21]
	v_mov_b32_e32 v83, 0
	v_lshl_add_u64 v[6:7], v[6:7], 0, v[82:83]
	global_load_dwordx4 v[6:9], v[6:7], off
	v_and_b32_e32 v11, 3, v0
	v_lshlrev_b32_e32 v12, 9, v86
	v_lshlrev_b32_e32 v10, 5, v10
	;; [unrolled: 1-line block ×3, first 2 shown]
	v_and_b32_e32 v12, 0x1800, v12
	v_bfe_u32 v1, v0, 4, 2
	v_or3_b32 v10, v12, v11, v10
	s_waitcnt vmcnt(0)
	ds_write_b128 v10, v[6:9]
.LBB255_11:
	s_or_b64 exec, exec, s[16:17]
	s_mul_i32 s4, s4, s10
	s_mov_b32 s5, 0
	s_lshl_b64 s[4:5], s[4:5], 1
	s_add_u32 s10, s14, s4
	v_lshlrev_b32_e32 v10, 4, v0
	s_addc_u32 s11, s15, s5
	v_and_b32_e32 v84, 0xf0, v10
	v_mov_b32_e32 v85, 0
	v_lshl_add_u64 v[6:7], s[10:11], 0, v[84:85]
	s_waitcnt vmcnt(3)
	v_mad_i64_i32 v[8:9], s[10:11], v5, s9, 0
	s_waitcnt vmcnt(2)
	v_mad_i64_i32 v[4:5], s[10:11], v4, s9, 0
	v_lshl_add_u64 v[8:9], v[8:9], 1, v[6:7]
	v_and_b32_e32 v84, 0x300, v10
	v_lshl_add_u64 v[4:5], v[4:5], 1, v[6:7]
	v_lshl_add_u64 v[8:9], v[8:9], 0, v[84:85]
	;; [unrolled: 1-line block ×3, first 2 shown]
	s_waitcnt lgkmcnt(0)
	s_barrier
	global_load_dwordx4 v[78:81], v[8:9], off
	global_load_dwordx4 v[74:77], v[8:9], off offset:1024
	global_load_dwordx4 v[70:73], v[8:9], off offset:2048
	;; [unrolled: 1-line block ×3, first 2 shown]
	global_load_dwordx4 v[66:69], v[4:5], off
	global_load_dwordx4 v[62:65], v[4:5], off offset:1024
	global_load_dwordx4 v[58:61], v[4:5], off offset:2048
	global_load_dwordx4 v[18:21], v[4:5], off offset:3072
	s_waitcnt vmcnt(9)
	v_mad_i64_i32 v[4:5], s[10:11], v3, s9, 0
	s_waitcnt vmcnt(8)
	v_mad_i64_i32 v[2:3], s[10:11], v2, s9, 0
	v_lshl_add_u64 v[4:5], v[4:5], 1, v[6:7]
	v_lshl_add_u64 v[2:3], v[2:3], 1, v[6:7]
	;; [unrolled: 1-line block ×4, first 2 shown]
	global_load_dwordx4 v[54:57], v[4:5], off
	global_load_dwordx4 v[30:33], v[4:5], off offset:1024
	global_load_dwordx4 v[26:29], v[4:5], off offset:2048
	;; [unrolled: 1-line block ×3, first 2 shown]
	global_load_dwordx4 v[6:9], v[14:15], off
	s_nop 0
	global_load_dwordx4 v[2:5], v[14:15], off offset:1024
	global_load_dwordx4 v[42:45], v[14:15], off offset:2048
	global_load_dwordx4 v[34:37], v[14:15], off offset:3072
	v_and_b32_e32 v14, 7, v0
	v_lshlrev_b32_e32 v14, 5, v14
	v_lshl_or_b32 v38, v1, 9, v14
	ds_read_b128 v[14:17], v38
	ds_read_b128 v[50:53], v38 offset:2048
	ds_read_b128 v[46:49], v38 offset:4096
	;; [unrolled: 1-line block ×3, first 2 shown]
	v_and_b32_e32 v88, 63, v0
	v_cmp_gt_u32_e32 vcc, 8, v86
	v_mov_b32_e32 v89, 0
	s_and_saveexec_b64 s[10:11], vcc
	s_cbranch_execz .LBB255_13
; %bb.12:
	s_load_dwordx2 s[14:15], s[0:1], 0x40
	v_or_b32_e32 v90, s27, v86
	v_ashrrev_i32_e32 v91, 31, v90
	s_waitcnt lgkmcnt(0)
	v_lshl_add_u64 v[90:91], v[90:91], 2, s[14:15]
	global_load_dword v89, v[90:91], off
.LBB255_13:
	s_or_b64 exec, exec, s[10:11]
	s_waitcnt vmcnt(15) lgkmcnt(3)
	v_mfma_f32_16x16x16_f16 v[90:93], v[78:79], v[14:15], 0
	s_add_u32 s4, s12, s4
	s_addc_u32 s5, s13, s5
	s_mov_b32 s40, 0xff7fffff
	v_mfma_f32_16x16x16_f16 v[78:81], v[80:81], v[16:17], v[90:93]
	s_waitcnt vmcnt(14) lgkmcnt(2)
	v_mfma_f32_16x16x16_f16 v[78:81], v[74:75], v[50:51], v[78:81]
	s_nop 0
	v_lshl_or_b32 v90, v87, 4, v86
	v_lshlrev_b32_e32 v84, 5, v90
	v_mfma_f32_16x16x16_f16 v[74:77], v[76:77], v[52:53], v[78:81]
	s_waitcnt vmcnt(13) lgkmcnt(1)
	v_mfma_f32_16x16x16_f16 v[74:77], v[70:71], v[46:47], v[74:77]
	v_mfma_f32_16x16x16_f16 v[70:73], v[72:73], v[48:49], v[74:77]
	s_waitcnt vmcnt(11)
	v_mfma_f32_16x16x16_f16 v[74:77], v[66:67], v[14:15], 0
	v_mfma_f32_16x16x16_f16 v[66:69], v[68:69], v[16:17], v[74:77]
	s_nop 5
	v_and_or_b32 v74, v0, 48, s18
	s_waitcnt lgkmcnt(0)
	v_mfma_f32_16x16x16_f16 v[70:73], v[10:11], v[38:39], v[70:73]
	v_ashrrev_i32_e32 v10, 4, v74
	v_mov_b32_e32 v75, s19
	v_cmp_gt_i32_e32 vcc, s33, v74
	s_waitcnt vmcnt(10)
	v_mfma_f32_16x16x16_f16 v[66:69], v[62:63], v[50:51], v[66:69]
	v_cndmask_b32_e32 v10, v75, v10, vcc
	v_ashrrev_i32_e32 v11, 31, v10
	v_lshl_add_u64 v[10:11], v[10:11], 2, s[6:7]
	global_load_dword v76, v[10:11], off
	v_mfma_f32_16x16x16_f16 v[62:65], v[64:65], v[52:53], v[66:69]
	v_or_b32_e32 v10, 64, v74
	v_ashrrev_i32_e32 v11, 4, v10
	v_cmp_gt_i32_e32 vcc, s33, v10
	s_waitcnt vmcnt(10)
	v_mfma_f32_16x16x16_f16 v[62:65], v[58:59], v[46:47], v[62:65]
	v_cndmask_b32_e32 v10, v75, v11, vcc
	v_ashrrev_i32_e32 v11, 31, v10
	v_lshl_add_u64 v[10:11], v[10:11], 2, s[6:7]
	global_load_dword v77, v[10:11], off
	v_or_b32_e32 v10, 0x80, v74
	v_mfma_f32_16x16x16_f16 v[58:61], v[60:61], v[48:49], v[62:65]
	v_ashrrev_i32_e32 v11, 4, v10
	v_cmp_gt_i32_e32 vcc, s33, v10
	s_waitcnt vmcnt(9)
	v_mfma_f32_16x16x16_f16 v[62:65], v[54:55], v[14:15], 0
	v_cndmask_b32_e32 v10, v75, v11, vcc
	v_ashrrev_i32_e32 v11, 31, v10
	v_lshl_add_u64 v[10:11], v[10:11], 2, s[6:7]
	v_mfma_f32_16x16x16_f16 v[54:57], v[56:57], v[16:17], v[62:65]
	s_nop 2
	global_load_dword v62, v[10:11], off
	v_or_b32_e32 v10, 0xc0, v74
	v_ashrrev_i32_e32 v11, 4, v10
	v_cmp_gt_i32_e32 vcc, s33, v10
	s_waitcnt vmcnt(9)
	v_mfma_f32_16x16x16_f16 v[54:57], v[30:31], v[50:51], v[54:57]
	v_cndmask_b32_e32 v10, v75, v11, vcc
	v_ashrrev_i32_e32 v11, 31, v10
	v_lshl_add_u64 v[10:11], v[10:11], 2, s[6:7]
	global_load_dword v63, v[10:11], off
	v_mfma_f32_16x16x16_f16 v[30:33], v[32:33], v[52:53], v[54:57]
	s_load_dword s6, s[0:1], 0x1c
	s_waitcnt vmcnt(3)
	v_mad_i64_i32 v[10:11], s[10:11], v76, s9, 0
	v_mfma_f32_16x16x16_f16 v[30:33], v[26:27], v[46:47], v[30:33]
	v_mfma_f32_16x16x16_f16 v[64:67], v[12:13], v[40:41], v[70:73]
	s_nop 2
	v_lshlrev_b64 v[72:73], 1, v[10:11]
	v_mfma_f32_16x16x16_f16 v[10:13], v[28:29], v[48:49], v[30:33]
	s_waitcnt lgkmcnt(0)
	s_nop 0
	v_pk_mul_f32 v[78:79], s[6:7], v[66:67] op_sel_hi:[0,1]
	v_mfma_f32_16x16x16_f16 v[54:57], v[18:19], v[38:39], v[58:61]
	s_nop 2
	v_lshl_add_u64 v[60:61], s[4:5], 0, v[84:85]
	v_mfma_f32_16x16x16_f16 v[10:13], v[22:23], v[38:39], v[10:13]
	v_lshl_add_u64 v[18:19], v[60:61], 0, v[72:73]
	global_load_dwordx4 v[30:33], v[18:19], off
	global_load_dwordx4 v[26:29], v[18:19], off offset:16
	s_waitcnt vmcnt(4)
	v_mad_i64_i32 v[18:19], s[10:11], v77, s9, 0
	v_mfma_f32_16x16x16_f16 v[68:71], v[20:21], v[40:41], v[54:57]
	v_or_b32_e32 v84, 0x800, v84
	s_nop 1
	v_lshlrev_b64 v[54:55], 1, v[18:19]
	v_mfma_f32_16x16x16_f16 v[92:95], v[24:25], v[40:41], v[10:13]
	s_nop 1
	v_pk_mul_f32 v[76:77], s[6:7], v[68:69] op_sel_hi:[0,1]
	v_pk_mul_f32 v[74:75], s[6:7], v[70:71] op_sel_hi:[0,1]
	v_lshl_add_u64 v[10:11], v[60:61], 0, v[54:55]
	global_load_dwordx4 v[22:25], v[10:11], off
	global_load_dwordx4 v[18:21], v[10:11], off offset:16
	v_mfma_f32_16x16x16_f16 v[10:13], v[6:7], v[14:15], 0
	s_waitcnt vmcnt(5)
	v_mad_i64_i32 v[6:7], s[10:11], v62, s9, 0
	v_lshlrev_b64 v[56:57], 1, v[6:7]
	v_mfma_f32_16x16x16_f16 v[6:9], v[8:9], v[16:17], v[10:13]
	v_pk_mul_f32 v[70:71], s[6:7], v[94:95] op_sel_hi:[0,1]
	v_mfma_f32_16x16x16_f16 v[6:9], v[2:3], v[50:51], v[6:9]
	s_waitcnt vmcnt(4)
	v_mad_i64_i32 v[2:3], s[8:9], v63, s9, 0
	v_lshlrev_b64 v[58:59], 1, v[2:3]
	v_mfma_f32_16x16x16_f16 v[50:53], v[4:5], v[52:53], v[6:9]
	v_lshl_add_u64 v[10:11], v[60:61], 0, v[56:57]
	v_lshl_add_u64 v[2:3], v[60:61], 0, v[58:59]
	v_pk_mul_f32 v[60:61], s[6:7], v[64:65] op_sel_hi:[0,1]
	v_mfma_f32_16x16x16_f16 v[50:53], v[42:43], v[46:47], v[50:53]
	v_lshl_add_u64 v[62:63], s[4:5], 0, v[84:85]
	v_lshl_add_u64 v[42:43], v[62:63], 0, v[72:73]
	v_pk_mul_f32 v[72:73], s[6:7], v[92:93] op_sel_hi:[0,1]
	v_mfma_f32_16x16x16_f16 v[44:47], v[44:45], v[48:49], v[50:53]
	v_lshl_add_u64 v[58:59], v[62:63], 0, v[58:59]
	global_load_dwordx4 v[14:17], v[10:11], off
	s_nop 0
	global_load_dwordx4 v[10:13], v[10:11], off offset:16
	s_nop 0
	global_load_dwordx4 v[6:9], v[2:3], off
	s_nop 0
	global_load_dwordx4 v[2:5], v[2:3], off offset:16
	v_mfma_f32_16x16x16_f16 v[44:47], v[34:35], v[38:39], v[44:47]
	v_mfma_f32_16x16x16_f16 v[34:37], v[36:37], v[40:41], v[44:47]
	s_nop 6
	v_pk_mul_f32 v[68:69], s[6:7], v[34:35] op_sel_hi:[0,1]
	v_and_b32_e32 v34, 0xc0, v0
	v_add_u32_e32 v34, s18, v34
	v_lshl_or_b32 v34, v1, 2, v34
	v_or_b32_e32 v35, 1, v34
	v_pk_mul_f32 v[66:67], s[6:7], v[36:37] op_sel_hi:[0,1]
	v_subrev_u32_e32 v36, s33, v35
	v_add_u32_e32 v38, 1, v36
	v_add_u32_e32 v39, 2, v36
	v_cvt_f32_i32_e32 v37, v36
	v_cvt_f32_i32_e32 v38, v38
	;; [unrolled: 1-line block ×3, first 2 shown]
	v_add_u32_e32 v40, 3, v36
	v_fma_f32 v60, v89, v37, v60
	v_fmac_f32_e32 v61, v89, v38
	v_fma_f32 v78, v89, v39, v78
	v_add_u32_e32 v37, 16, v36
	v_add_u32_e32 v38, 17, v36
	;; [unrolled: 1-line block ×3, first 2 shown]
	v_cvt_f32_i32_e32 v40, v40
	v_cvt_f32_i32_e32 v37, v37
	;; [unrolled: 1-line block ×4, first 2 shown]
	v_fmac_f32_e32 v79, v89, v40
	v_add_u32_e32 v40, 19, v36
	v_fma_f32 v76, v89, v37, v76
	v_fmac_f32_e32 v77, v89, v38
	v_fma_f32 v74, v89, v39, v74
	v_add_u32_e32 v37, 32, v36
	v_add_u32_e32 v38, 33, v36
	v_add_u32_e32 v39, 34, v36
	v_cvt_f32_i32_e32 v40, v40
	v_cvt_f32_i32_e32 v37, v37
	;; [unrolled: 1-line block ×4, first 2 shown]
	v_fmac_f32_e32 v75, v89, v40
	v_add_u32_e32 v40, 35, v36
	v_fma_f32 v72, v89, v37, v72
	v_fmac_f32_e32 v73, v89, v38
	v_fma_f32 v70, v89, v39, v70
	v_add_u32_e32 v37, 48, v36
	v_add_u32_e32 v38, 49, v36
	;; [unrolled: 1-line block ×4, first 2 shown]
	v_cvt_f32_i32_e32 v36, v36
	v_cvt_f32_i32_e32 v37, v37
	;; [unrolled: 1-line block ×3, first 2 shown]
	v_cmp_gt_i32_e64 s[28:29], s33, v34
	v_fmac_f32_e32 v67, v89, v36
	v_mov_b32_e32 v36, 0xff7fffff
	v_cmp_gt_i32_e64 s[30:31], s33, v35
	v_fma_f32 v68, v89, v37, v68
	v_cndmask_b32_e64 v37, v36, v60, s[28:29]
	v_cndmask_b32_e64 v35, v36, v61, s[30:31]
	v_fmac_f32_e32 v69, v89, v38
	v_max3_f32 v35, v37, s40, v35
	v_or_b32_e32 v37, 2, v34
	v_or_b32_e32 v38, 3, v34
	v_cmp_gt_i32_e64 s[34:35], s33, v37
	v_cmp_gt_i32_e64 s[36:37], s33, v38
	v_cvt_f32_i32_e32 v40, v40
	v_cndmask_b32_e64 v37, v36, v78, s[34:35]
	v_cndmask_b32_e64 v38, v36, v79, s[36:37]
	v_max3_f32 v35, v35, v37, v38
	v_or_b32_e32 v37, 16, v34
	v_or_b32_e32 v38, 17, v34
	v_cmp_gt_i32_e64 s[22:23], s33, v37
	v_cmp_gt_i32_e64 s[24:25], s33, v38
	v_fmac_f32_e32 v71, v89, v40
	v_cndmask_b32_e64 v37, v36, v76, s[22:23]
	v_cndmask_b32_e64 v38, v36, v77, s[24:25]
	v_max3_f32 v35, v35, v37, v38
	v_or_b32_e32 v37, 18, v34
	v_or_b32_e32 v38, 19, v34
	v_cmp_gt_i32_e64 s[18:19], s33, v37
	v_cmp_gt_i32_e64 s[20:21], s33, v38
	v_cvt_f32_i32_e32 v39, v39
	v_cndmask_b32_e64 v37, v36, v74, s[18:19]
	v_cndmask_b32_e64 v38, v36, v75, s[20:21]
	v_max3_f32 v35, v35, v37, v38
	v_or_b32_e32 v37, 32, v34
	v_or_b32_e32 v38, 33, v34
	v_cmp_gt_i32_e64 s[14:15], s33, v37
	v_cmp_gt_i32_e64 s[16:17], s33, v38
	v_fma_f32 v66, v89, v39, v66
	v_cndmask_b32_e64 v37, v36, v72, s[14:15]
	v_cndmask_b32_e64 v38, v36, v73, s[16:17]
	v_max3_f32 v35, v35, v37, v38
	v_or_b32_e32 v37, 34, v34
	v_or_b32_e32 v38, 35, v34
	v_cmp_gt_i32_e64 s[10:11], s33, v37
	v_cmp_gt_i32_e64 s[12:13], s33, v38
	s_nop 0
	v_cndmask_b32_e64 v37, v36, v70, s[10:11]
	v_cndmask_b32_e64 v38, v36, v71, s[12:13]
	v_max3_f32 v35, v35, v37, v38
	v_or_b32_e32 v37, 48, v34
	v_or_b32_e32 v38, 49, v34
	v_cmp_gt_i32_e64 s[6:7], s33, v37
	v_cmp_gt_i32_e64 s[8:9], s33, v38
	s_nop 0
	v_cndmask_b32_e64 v37, v36, v68, s[6:7]
	v_cndmask_b32_e64 v38, v36, v69, s[8:9]
	v_max3_f32 v35, v35, v37, v38
	v_or_b32_e32 v37, 50, v34
	v_or_b32_e32 v34, 51, v34
	v_cmp_gt_i32_e32 vcc, s33, v37
	v_cmp_gt_i32_e64 s[4:5], s33, v34
	global_load_dwordx4 v[46:49], v[42:43], off
	global_load_dwordx4 v[38:41], v[42:43], off offset:16
	v_cndmask_b32_e32 v37, v36, v66, vcc
	v_cndmask_b32_e64 v34, v36, v67, s[4:5]
	v_max3_f32 v50, v35, v37, v34
	v_mbcnt_lo_u32_b32 v34, -1, 0
	v_mbcnt_hi_u32_b32 v51, -1, v34
	v_and_b32_e32 v34, 64, v51
	v_add_u32_e32 v52, 64, v34
	v_xor_b32_e32 v34, 32, v51
	v_cmp_lt_i32_e64 s[38:39], v34, v52
	s_nop 1
	v_cndmask_b32_e64 v34, v51, v34, s[38:39]
	v_lshlrev_b32_e32 v85, 2, v34
	ds_bpermute_b32 v53, v85, v50
	v_lshl_add_u64 v[34:35], v[62:63], 0, v[54:55]
	global_load_dwordx4 v[42:45], v[34:35], off
	s_nop 0
	global_load_dwordx4 v[34:37], v[34:35], off offset:16
	s_waitcnt lgkmcnt(0)
	v_max_f32_e32 v53, v53, v53
	v_max_f32_e32 v64, v50, v53
	v_xor_b32_e32 v50, 16, v51
	v_cmp_lt_i32_e64 s[38:39], v50, v52
	s_nop 1
	v_cndmask_b32_e64 v50, v51, v50, s[38:39]
	v_lshlrev_b32_e32 v89, 2, v50
	ds_bpermute_b32 v65, v89, v64
	v_lshl_add_u64 v[50:51], v[62:63], 0, v[56:57]
	global_load_dwordx4 v[54:57], v[50:51], off
	s_nop 0
	global_load_dwordx4 v[50:53], v[50:51], off offset:16
	s_waitcnt lgkmcnt(0)
	v_max_f32_e32 v62, v65, v65
	v_max_f32_e32 v84, v64, v62
	v_sub_f32_e32 v60, v60, v84
	v_mul_f32_e32 v60, 0x3fb8aa3b, v60
	v_exp_f32_e32 v80, v60
	v_sub_f32_e32 v60, v61, v84
	v_mul_f32_e32 v60, 0x3fb8aa3b, v60
	v_exp_f32_e32 v81, v60
	global_load_dwordx4 v[62:65], v[58:59], off
	s_nop 0
	global_load_dwordx4 v[58:61], v[58:59], off offset:16
	v_sub_f32_e32 v78, v78, v84
	v_mul_f32_e32 v78, 0x3fb8aa3b, v78
	v_sub_f32_e32 v79, v79, v84
	v_exp_f32_e32 v78, v78
	v_mul_f32_e32 v79, 0x3fb8aa3b, v79
	v_sub_f32_e32 v76, v76, v84
	v_exp_f32_e32 v79, v79
	v_mul_f32_e32 v76, 0x3fb8aa3b, v76
	v_sub_f32_e32 v77, v77, v84
	v_cndmask_b32_e64 v80, 0, v80, s[28:29]
	v_exp_f32_e32 v76, v76
	v_mul_f32_e32 v77, 0x3fb8aa3b, v77
	v_sub_f32_e32 v74, v74, v84
	v_add_f32_e32 v91, 0, v80
	v_cndmask_b32_e64 v81, 0, v81, s[30:31]
	v_exp_f32_e32 v77, v77
	v_mul_f32_e32 v74, 0x3fb8aa3b, v74
	v_sub_f32_e32 v75, v75, v84
	v_add_f32_e32 v91, v91, v81
	v_cndmask_b32_e64 v78, 0, v78, s[34:35]
	v_exp_f32_e32 v74, v74
	v_mul_f32_e32 v75, 0x3fb8aa3b, v75
	v_sub_f32_e32 v72, v72, v84
	v_add_f32_e32 v91, v91, v78
	v_cndmask_b32_e64 v79, 0, v79, s[36:37]
	v_exp_f32_e32 v75, v75
	v_mul_f32_e32 v72, 0x3fb8aa3b, v72
	v_sub_f32_e32 v73, v73, v84
	v_add_f32_e32 v91, v91, v79
	v_cndmask_b32_e64 v76, 0, v76, s[22:23]
	v_exp_f32_e32 v72, v72
	v_mul_f32_e32 v73, 0x3fb8aa3b, v73
	v_sub_f32_e32 v70, v70, v84
	v_add_f32_e32 v91, v91, v76
	v_cndmask_b32_e64 v77, 0, v77, s[24:25]
	v_exp_f32_e32 v73, v73
	v_mul_f32_e32 v70, 0x3fb8aa3b, v70
	v_sub_f32_e32 v71, v71, v84
	v_add_f32_e32 v91, v91, v77
	v_cndmask_b32_e64 v74, 0, v74, s[18:19]
	v_exp_f32_e32 v70, v70
	v_mul_f32_e32 v71, 0x3fb8aa3b, v71
	v_sub_f32_e32 v68, v68, v84
	v_add_f32_e32 v91, v91, v74
	v_cndmask_b32_e64 v75, 0, v75, s[20:21]
	v_exp_f32_e32 v71, v71
	v_mul_f32_e32 v68, 0x3fb8aa3b, v68
	v_sub_f32_e32 v69, v69, v84
	v_add_f32_e32 v91, v91, v75
	v_cndmask_b32_e64 v72, 0, v72, s[14:15]
	v_exp_f32_e32 v68, v68
	v_mul_f32_e32 v69, 0x3fb8aa3b, v69
	v_sub_f32_e32 v66, v66, v84
	v_add_f32_e32 v91, v91, v72
	v_cndmask_b32_e64 v73, 0, v73, s[16:17]
	v_exp_f32_e32 v69, v69
	v_mul_f32_e32 v66, 0x3fb8aa3b, v66
	v_sub_f32_e32 v67, v67, v84
	v_add_f32_e32 v91, v91, v73
	v_cndmask_b32_e64 v70, 0, v70, s[10:11]
	v_exp_f32_e32 v66, v66
	v_mul_f32_e32 v67, 0x3fb8aa3b, v67
	v_add_f32_e32 v91, v91, v70
	v_cndmask_b32_e64 v71, 0, v71, s[12:13]
	v_exp_f32_e32 v67, v67
	v_add_f32_e32 v91, v91, v71
	v_cndmask_b32_e64 v68, 0, v68, s[6:7]
	v_add_f32_e32 v91, v91, v68
	v_cndmask_b32_e64 v69, 0, v69, s[8:9]
	v_add_f32_e32 v91, v91, v69
	v_cndmask_b32_e32 v66, 0, v66, vcc
	v_add_f32_e32 v91, v91, v66
	v_cndmask_b32_e64 v67, 0, v67, s[4:5]
	v_add_f32_e32 v91, v91, v67
	ds_bpermute_b32 v85, v85, v91
	s_load_dword s7, s[0:1], 0x98
	v_cmp_gt_u32_e32 vcc, 16, v88
	s_waitcnt lgkmcnt(0)
	s_barrier
	v_add_f32_e32 v85, v91, v85
	ds_bpermute_b32 v89, v89, v85
	s_waitcnt lgkmcnt(0)
	s_and_saveexec_b64 s[4:5], vcc
	s_cbranch_execz .LBB255_15
; %bb.14:
	v_add_f32_e32 v85, v85, v89
	v_lshlrev_b32_e32 v88, 2, v90
	ds_write2st64_b32 v88, v84, v85 offset1:1
.LBB255_15:
	s_or_b64 exec, exec, s[4:5]
	v_lshlrev_b32_e32 v85, 2, v86
	s_load_dword s6, s[0:1], 0x94
	s_waitcnt lgkmcnt(0)
	s_barrier
	ds_read2_b32 v[88:89], v85 offset1:16
	ds_read2_b32 v[90:91], v85 offset0:32 offset1:48
	ds_read2_b32 v[92:93], v85 offset0:64 offset1:80
	s_lshl_b32 s7, s7, 3
	s_waitcnt lgkmcnt(2)
	v_max3_f32 v84, v88, s40, v89
	s_waitcnt lgkmcnt(1)
	v_max3_f32 v84, v84, v90, v91
	v_sub_f32_e32 v88, v88, v84
	v_mul_f32_e32 v88, 0x3fb8aa3b, v88
	v_exp_f32_e32 v94, v88
	v_sub_f32_e32 v88, v89, v84
	v_mul_f32_e32 v88, 0x3fb8aa3b, v88
	v_exp_f32_e32 v95, v88
	v_sub_f32_e32 v88, v90, v84
	v_mul_f32_e32 v88, 0x3fb8aa3b, v88
	v_exp_f32_e32 v90, v88
	ds_read2_b32 v[88:89], v85 offset0:96 offset1:112
	v_sub_f32_e32 v85, v91, v84
	v_mul_f32_e32 v85, 0x3fb8aa3b, v85
	v_exp_f32_e32 v91, v85
	s_waitcnt lgkmcnt(1)
	v_fma_f32 v85, v94, v92, 0
	v_fmac_f32_e32 v85, v95, v93
	s_waitcnt lgkmcnt(0)
	v_fmac_f32_e32 v85, v90, v88
	v_fmac_f32_e32 v85, v91, v89
	v_add_f32_e32 v88, 0x358637bd, v85
	v_div_scale_f32 v89, s[4:5], v88, v88, 1.0
	v_rcp_f32_e32 v92, v89
	s_barrier
	v_fma_f32 v93, -v89, v92, 1.0
	v_fmac_f32_e32 v92, v93, v92
	v_div_scale_f32 v93, vcc, 1.0, v88, 1.0
	v_mul_f32_e32 v83, v93, v92
	v_fma_f32 v1, -v89, v83, v93
	v_fmac_f32_e32 v83, v1, v92
	v_fma_f32 v1, -v89, v83, v93
	v_div_fmas_f32 v1, v1, v92, v83
	v_cmp_eq_u32_e32 vcc, 1, v87
	v_div_fixup_f32 v1, v1, v88, 1.0
	s_nop 0
	v_cndmask_b32_e32 v83, v94, v95, vcc
	v_cmp_eq_u32_e32 vcc, 2, v87
	s_nop 1
	v_cndmask_b32_e32 v83, v83, v90, vcc
	v_cmp_eq_u32_e32 vcc, 3, v87
	s_nop 1
	v_cndmask_b32_e32 v83, v83, v91, vcc
	v_mul_f32_e32 v88, v83, v1
	v_pk_mul_f32 v[78:79], v[88:89], v[78:79] op_sel_hi:[0,1]
	v_cvt_f16_f32_e32 v78, v78
	v_cvt_f16_f32_e32 v79, v79
	v_pk_mul_f32 v[80:81], v[88:89], v[80:81] op_sel_hi:[0,1]
	v_cvt_f16_f32_e32 v1, v80
	v_cvt_f16_f32_e32 v80, v81
	v_pk_mul_f32 v[74:75], v[88:89], v[74:75] op_sel_hi:[0,1]
	v_pk_mul_f32 v[76:77], v[88:89], v[76:77] op_sel_hi:[0,1]
	v_pack_b32_f16 v81, v78, v79
	v_cvt_f16_f32_e32 v76, v76
	v_cvt_f16_f32_e32 v77, v77
	;; [unrolled: 1-line block ×4, first 2 shown]
	v_bfe_u32 v83, v0, 4, 2
	v_pack_b32_f16 v80, v1, v80
	v_lshlrev_b32_e32 v1, 3, v83
	v_lshlrev_b32_e32 v78, 5, v86
	;; [unrolled: 1-line block ×3, first 2 shown]
	v_pk_mul_f32 v[70:71], v[88:89], v[70:71] op_sel_hi:[0,1]
	v_pk_mul_f32 v[72:73], v[88:89], v[72:73] op_sel_hi:[0,1]
	;; [unrolled: 1-line block ×4, first 2 shown]
	v_or3_b32 v74, v74, v78, v1
	v_pack_b32_f16 v76, v76, v77
	v_pack_b32_f16 v77, v79, v75
	v_cvt_f16_f32_e32 v1, v72
	v_cvt_f16_f32_e32 v72, v73
	;; [unrolled: 1-line block ×8, first 2 shown]
	v_pack_b32_f16 v66, v1, v72
	v_pack_b32_f16 v67, v70, v71
	;; [unrolled: 1-line block ×4, first 2 shown]
	v_cmp_gt_u32_e32 vcc, 8, v0
	ds_write2st64_b64 v74, v[80:81], v[76:77] offset1:1
	ds_write2st64_b64 v74, v[66:67], v[68:69] offset0:2 offset1:3
	s_and_saveexec_b64 s[4:5], vcc
	s_cbranch_execz .LBB255_17
; %bb.16:
	v_or_b32_e32 v66, s27, v0
	v_mov_b32_e32 v67, 0
	v_mov_b32_e32 v1, s7
	v_mad_u64_u32 v[68:69], s[12:13], s2, v1, v[66:67]
	v_mov_b32_e32 v66, s26
	s_load_dwordx4 s[8:11], s[0:1], 0x58
	s_mul_i32 s3, s3, s7
	v_mad_u64_u32 v[66:67], s[12:13], v68, s6, v[66:67]
	v_add_u32_e32 v1, s3, v69
	v_mov_b32_e32 v68, v67
	v_mad_u64_u32 v[68:69], s[12:13], v1, s6, v[68:69]
	v_mov_b32_e32 v67, v68
	v_lshlrev_b64 v[66:67], 2, v[66:67]
	s_waitcnt lgkmcnt(0)
	v_lshl_add_u64 v[68:69], s[10:11], 0, v[66:67]
	v_lshl_add_u64 v[66:67], s[8:9], 0, v[66:67]
	global_store_dword v[68:69], v84, off
	global_store_dword v[66:67], v85, off
.LBB255_17:
	s_or_b64 exec, exec, s[4:5]
	v_lshl_or_b32 v1, v83, 9, v78
	s_waitcnt lgkmcnt(0)
	s_barrier
	ds_read_b128 v[70:73], v1
	ds_read_b128 v[66:69], v1 offset:16
	s_waitcnt vmcnt(15) lgkmcnt(1)
	v_mfma_f32_16x16x16_f16 v[76:79], v[30:31], v[70:71], 0
	s_mov_b32 s3, 0
	v_cmp_gt_u32_e32 vcc, 64, v0
	v_mfma_f32_16x16x16_f16 v[30:33], v[32:33], v[72:73], v[76:79]
	s_waitcnt vmcnt(14) lgkmcnt(0)
	v_mfma_f32_16x16x16_f16 v[30:33], v[26:27], v[66:67], v[30:33]
	v_mfma_f32_16x16x16_f16 v[26:29], v[28:29], v[68:69], v[30:33]
	s_nop 5
	ds_read_b128 v[30:33], v1 offset:2048
	ds_read_b128 v[76:79], v1 offset:2064
	s_waitcnt vmcnt(13) lgkmcnt(1)
	v_mfma_f32_16x16x16_f16 v[26:29], v[22:23], v[30:31], v[26:29]
	v_mfma_f32_16x16x16_f16 v[22:25], v[24:25], v[32:33], v[26:29]
	s_waitcnt vmcnt(12) lgkmcnt(0)
	v_mfma_f32_16x16x16_f16 v[22:25], v[18:19], v[76:77], v[22:25]
	v_mfma_f32_16x16x16_f16 v[18:21], v[20:21], v[78:79], v[22:25]
	s_nop 5
	ds_read_b128 v[22:25], v1 offset:4096
	ds_read_b128 v[26:29], v1 offset:4112
	s_waitcnt vmcnt(11) lgkmcnt(1)
	v_mfma_f32_16x16x16_f16 v[18:21], v[14:15], v[22:23], v[18:21]
	v_mfma_f32_16x16x16_f16 v[14:17], v[16:17], v[24:25], v[18:21]
	s_waitcnt vmcnt(10) lgkmcnt(0)
	v_mfma_f32_16x16x16_f16 v[14:17], v[10:11], v[26:27], v[14:17]
	v_mfma_f32_16x16x16_f16 v[10:13], v[12:13], v[28:29], v[14:17]
	s_nop 5
	ds_read_b128 v[14:17], v1 offset:6144
	ds_read_b128 v[18:21], v1 offset:6160
	s_waitcnt lgkmcnt(0)
	s_barrier
	s_waitcnt vmcnt(9)
	v_mfma_f32_16x16x16_f16 v[10:13], v[6:7], v[14:15], v[10:13]
	v_mfma_f32_16x16x16_f16 v[6:9], v[8:9], v[16:17], v[10:13]
	s_waitcnt vmcnt(8)
	v_mfma_f32_16x16x16_f16 v[6:9], v[2:3], v[18:19], v[6:9]
	v_mfma_f32_16x16x16_f16 v[2:5], v[4:5], v[20:21], v[6:9]
	;; [unrolled: 3-line block ×3, first 2 shown]
	s_nop 3
	v_cvt_f16_f32_e32 v1, v2
	v_cvt_f16_f32_e32 v10, v3
	;; [unrolled: 1-line block ×3, first 2 shown]
	s_waitcnt vmcnt(6)
	v_mfma_f32_16x16x16_f16 v[6:9], v[38:39], v[66:67], v[6:9]
	v_cvt_f16_f32_e32 v12, v5
	v_mfma_f32_16x16x16_f16 v[6:9], v[40:41], v[68:69], v[6:9]
	s_waitcnt vmcnt(5)
	v_mfma_f32_16x16x16_f16 v[6:9], v[42:43], v[30:31], v[6:9]
	v_mfma_f32_16x16x16_f16 v[6:9], v[44:45], v[32:33], v[6:9]
	s_waitcnt vmcnt(4)
	v_mfma_f32_16x16x16_f16 v[6:9], v[34:35], v[76:77], v[6:9]
	;; [unrolled: 3-line block ×6, first 2 shown]
	v_mfma_f32_16x16x16_f16 v[2:5], v[60:61], v[20:21], v[6:9]
	s_nop 6
	v_cvt_f16_f32_e32 v6, v2
	v_cvt_f16_f32_e32 v7, v3
	;; [unrolled: 1-line block ×4, first 2 shown]
	v_pack_b32_f16 v2, v1, v10
	v_pack_b32_f16 v3, v11, v12
	;; [unrolled: 1-line block ×4, first 2 shown]
	ds_write2st64_b64 v74, v[2:3], v[4:5] offset1:1
	s_waitcnt lgkmcnt(0)
	s_barrier
	s_and_saveexec_b64 s[4:5], vcc
	s_cbranch_execz .LBB255_19
; %bb.18:
	s_load_dwordx2 s[0:1], s[0:1], 0x68
	s_lshl_b32 s6, s6, 7
	s_mul_i32 s2, s7, s2
	s_mul_hi_u32 s5, s2, s6
	s_mul_i32 s4, s2, s6
	v_lshlrev_b32_e32 v3, 6, v86
	s_lshl_b64 s[4:5], s[4:5], 1
	v_lshlrev_b32_e32 v2, 4, v0
	v_lshl_or_b32 v0, v0, 10, v3
	s_waitcnt lgkmcnt(0)
	s_add_u32 s4, s0, s4
	v_lshlrev_b32_e32 v1, 5, v83
	v_and_b32_e32 v2, 16, v2
	v_and_b32_e32 v0, 0x1a00, v0
	s_addc_u32 s5, s1, s5
	s_lshl_b32 s2, s26, 7
	v_or3_b32 v0, v0, v1, v2
	s_lshl_b64 s[0:1], s[2:3], 1
	ds_read_b128 v[2:5], v0
	ds_read_b128 v[6:9], v0 offset:128
	s_add_u32 s0, s4, s0
	v_mov_b32_e32 v0, v83
	s_addc_u32 s1, s5, s1
	v_mov_b32_e32 v83, 0
	v_or_b32_e32 v12, s27, v0
	v_lshl_add_u64 v[10:11], s[0:1], 0, v[82:83]
	v_mad_u64_u32 v[0:1], s[0:1], v12, s6, 0
	v_lshl_add_u64 v[0:1], v[0:1], 1, v[10:11]
	s_waitcnt lgkmcnt(1)
	global_store_dwordx4 v[0:1], v[2:5], off
	v_or_b32_e32 v0, 4, v12
	v_mad_u64_u32 v[0:1], s[0:1], v0, s6, 0
	v_lshl_add_u64 v[0:1], v[0:1], 1, v[10:11]
	s_waitcnt lgkmcnt(0)
	global_store_dwordx4 v[0:1], v[6:9], off
.LBB255_19:
	s_endpgm
	.section	.rodata,"a",@progbits
	.p2align	6, 0x0
	.amdhsa_kernel _Z39paged_attention_ll4mi_QKV_mfma16_kernelIDF16_DF16_LN4vllm18Fp8KVCacheDataTypeE0EDF16_Li16ELi128ELi256ELb1ELi8EEvPKT_PKT0_S7_ifPKiS9_S9_iPKfiiiPfSC_PS2_PT2_iSB_SB_
		.amdhsa_group_segment_fixed_size 8192
		.amdhsa_private_segment_fixed_size 0
		.amdhsa_kernarg_size 400
		.amdhsa_user_sgpr_count 2
		.amdhsa_user_sgpr_dispatch_ptr 0
		.amdhsa_user_sgpr_queue_ptr 0
		.amdhsa_user_sgpr_kernarg_segment_ptr 1
		.amdhsa_user_sgpr_dispatch_id 0
		.amdhsa_user_sgpr_kernarg_preload_length 0
		.amdhsa_user_sgpr_kernarg_preload_offset 0
		.amdhsa_user_sgpr_private_segment_size 0
		.amdhsa_uses_dynamic_stack 0
		.amdhsa_enable_private_segment 0
		.amdhsa_system_sgpr_workgroup_id_x 1
		.amdhsa_system_sgpr_workgroup_id_y 1
		.amdhsa_system_sgpr_workgroup_id_z 1
		.amdhsa_system_sgpr_workgroup_info 0
		.amdhsa_system_vgpr_workitem_id 0
		.amdhsa_next_free_vgpr 96
		.amdhsa_next_free_sgpr 41
		.amdhsa_accum_offset 96
		.amdhsa_reserve_vcc 1
		.amdhsa_float_round_mode_32 0
		.amdhsa_float_round_mode_16_64 0
		.amdhsa_float_denorm_mode_32 3
		.amdhsa_float_denorm_mode_16_64 3
		.amdhsa_dx10_clamp 1
		.amdhsa_ieee_mode 1
		.amdhsa_fp16_overflow 0
		.amdhsa_tg_split 0
		.amdhsa_exception_fp_ieee_invalid_op 0
		.amdhsa_exception_fp_denorm_src 0
		.amdhsa_exception_fp_ieee_div_zero 0
		.amdhsa_exception_fp_ieee_overflow 0
		.amdhsa_exception_fp_ieee_underflow 0
		.amdhsa_exception_fp_ieee_inexact 0
		.amdhsa_exception_int_div_zero 0
	.end_amdhsa_kernel
	.section	.text._Z39paged_attention_ll4mi_QKV_mfma16_kernelIDF16_DF16_LN4vllm18Fp8KVCacheDataTypeE0EDF16_Li16ELi128ELi256ELb1ELi8EEvPKT_PKT0_S7_ifPKiS9_S9_iPKfiiiPfSC_PS2_PT2_iSB_SB_,"axG",@progbits,_Z39paged_attention_ll4mi_QKV_mfma16_kernelIDF16_DF16_LN4vllm18Fp8KVCacheDataTypeE0EDF16_Li16ELi128ELi256ELb1ELi8EEvPKT_PKT0_S7_ifPKiS9_S9_iPKfiiiPfSC_PS2_PT2_iSB_SB_,comdat
.Lfunc_end255:
	.size	_Z39paged_attention_ll4mi_QKV_mfma16_kernelIDF16_DF16_LN4vllm18Fp8KVCacheDataTypeE0EDF16_Li16ELi128ELi256ELb1ELi8EEvPKT_PKT0_S7_ifPKiS9_S9_iPKfiiiPfSC_PS2_PT2_iSB_SB_, .Lfunc_end255-_Z39paged_attention_ll4mi_QKV_mfma16_kernelIDF16_DF16_LN4vllm18Fp8KVCacheDataTypeE0EDF16_Li16ELi128ELi256ELb1ELi8EEvPKT_PKT0_S7_ifPKiS9_S9_iPKfiiiPfSC_PS2_PT2_iSB_SB_
                                        ; -- End function
	.section	.AMDGPU.csdata,"",@progbits
; Kernel info:
; codeLenInByte = 4660
; NumSgprs: 47
; NumVgprs: 96
; NumAgprs: 0
; TotalNumVgprs: 96
; ScratchSize: 0
; MemoryBound: 0
; FloatMode: 240
; IeeeMode: 1
; LDSByteSize: 8192 bytes/workgroup (compile time only)
; SGPRBlocks: 5
; VGPRBlocks: 11
; NumSGPRsForWavesPerEU: 47
; NumVGPRsForWavesPerEU: 96
; AccumOffset: 96
; Occupancy: 5
; WaveLimiterHint : 1
; COMPUTE_PGM_RSRC2:SCRATCH_EN: 0
; COMPUTE_PGM_RSRC2:USER_SGPR: 2
; COMPUTE_PGM_RSRC2:TRAP_HANDLER: 0
; COMPUTE_PGM_RSRC2:TGID_X_EN: 1
; COMPUTE_PGM_RSRC2:TGID_Y_EN: 1
; COMPUTE_PGM_RSRC2:TGID_Z_EN: 1
; COMPUTE_PGM_RSRC2:TIDIG_COMP_CNT: 0
; COMPUTE_PGM_RSRC3_GFX90A:ACCUM_OFFSET: 23
; COMPUTE_PGM_RSRC3_GFX90A:TG_SPLIT: 0
	.section	.text._Z39paged_attention_ll4mi_QKV_mfma16_kernelIDF16_DF16_LN4vllm18Fp8KVCacheDataTypeE0EDF16_Li16ELi128ELi256ELb1ELi9EEvPKT_PKT0_S7_ifPKiS9_S9_iPKfiiiPfSC_PS2_PT2_iSB_SB_,"axG",@progbits,_Z39paged_attention_ll4mi_QKV_mfma16_kernelIDF16_DF16_LN4vllm18Fp8KVCacheDataTypeE0EDF16_Li16ELi128ELi256ELb1ELi9EEvPKT_PKT0_S7_ifPKiS9_S9_iPKfiiiPfSC_PS2_PT2_iSB_SB_,comdat
	.protected	_Z39paged_attention_ll4mi_QKV_mfma16_kernelIDF16_DF16_LN4vllm18Fp8KVCacheDataTypeE0EDF16_Li16ELi128ELi256ELb1ELi9EEvPKT_PKT0_S7_ifPKiS9_S9_iPKfiiiPfSC_PS2_PT2_iSB_SB_ ; -- Begin function _Z39paged_attention_ll4mi_QKV_mfma16_kernelIDF16_DF16_LN4vllm18Fp8KVCacheDataTypeE0EDF16_Li16ELi128ELi256ELb1ELi9EEvPKT_PKT0_S7_ifPKiS9_S9_iPKfiiiPfSC_PS2_PT2_iSB_SB_
	.globl	_Z39paged_attention_ll4mi_QKV_mfma16_kernelIDF16_DF16_LN4vllm18Fp8KVCacheDataTypeE0EDF16_Li16ELi128ELi256ELb1ELi9EEvPKT_PKT0_S7_ifPKiS9_S9_iPKfiiiPfSC_PS2_PT2_iSB_SB_
	.p2align	8
	.type	_Z39paged_attention_ll4mi_QKV_mfma16_kernelIDF16_DF16_LN4vllm18Fp8KVCacheDataTypeE0EDF16_Li16ELi128ELi256ELb1ELi9EEvPKT_PKT0_S7_ifPKiS9_S9_iPKfiiiPfSC_PS2_PT2_iSB_SB_,@function
_Z39paged_attention_ll4mi_QKV_mfma16_kernelIDF16_DF16_LN4vllm18Fp8KVCacheDataTypeE0EDF16_Li16ELi128ELi256ELb1ELi9EEvPKT_PKT0_S7_ifPKiS9_S9_iPKfiiiPfSC_PS2_PT2_iSB_SB_: ; @_Z39paged_attention_ll4mi_QKV_mfma16_kernelIDF16_DF16_LN4vllm18Fp8KVCacheDataTypeE0EDF16_Li16ELi128ELi256ELb1ELi9EEvPKT_PKT0_S7_ifPKiS9_S9_iPKfiiiPfSC_PS2_PT2_iSB_SB_
; %bb.0:
	s_load_dwordx2 s[8:9], s[0:1], 0x30
	s_mov_b32 s26, s3
	s_mov_b64 s[6:7], 0
	s_waitcnt lgkmcnt(0)
	s_cmp_lg_u64 s[8:9], 0
	s_cselect_b64 s[10:11], -1, 0
	s_and_b64 vcc, exec, s[10:11]
	s_cbranch_vccz .LBB256_7
; %bb.1:
	s_add_i32 s12, s2, 1
	s_mov_b32 s13, 0
	s_lshl_b64 s[14:15], s[12:13], 2
	s_add_u32 s14, s8, s14
	s_mov_b32 s3, s13
	s_addc_u32 s15, s9, s15
	s_lshl_b64 s[12:13], s[2:3], 2
	s_add_u32 s12, s8, s12
	s_addc_u32 s13, s9, s13
	s_load_dword s5, s[14:15], 0x0
	s_load_dword s16, s[12:13], 0x0
	s_waitcnt lgkmcnt(0)
	s_sub_i32 s5, s5, s16
	s_cmp_eq_u32 s5, 1
	s_cselect_b64 s[12:13], -1, 0
	s_andn2_b64 vcc, exec, s[6:7]
	s_cbranch_vccnz .LBB256_3
.LBB256_2:
	s_mov_b32 s3, 0
	s_mov_b64 s[12:13], -1
.LBB256_3:
	s_andn2_b64 vcc, exec, s[12:13]
	s_cbranch_vccnz .LBB256_20
; %bb.4:
	s_load_dwordx2 s[6:7], s[0:1], 0x28
	s_lshl_b64 s[12:13], s[2:3], 2
	s_waitcnt lgkmcnt(0)
	s_add_u32 s6, s6, s12
	s_addc_u32 s7, s7, s13
	s_load_dword s27, s[6:7], 0x0
	s_lshl_b32 s18, s26, 8
	s_waitcnt lgkmcnt(0)
	s_cmp_ge_i32 s18, s27
	s_cbranch_scc1 .LBB256_20
; %bb.5:
	s_load_dwordx2 s[6:7], s[0:1], 0x20
	s_load_dword s5, s[0:1], 0x38
	s_add_i32 s14, s27, 15
	s_ashr_i32 s15, s14, 31
	v_and_b32_e32 v1, 0xcf, v0
	s_lshr_b32 s15, s15, 28
	v_add_u32_e32 v1, s18, v1
	s_add_i32 s14, s14, s15
	v_ashrrev_i32_e32 v2, 31, v1
	s_ashr_i32 s19, s14, 4
	v_lshrrev_b32_e32 v4, 28, v2
	s_add_i32 s19, s19, -1
	s_waitcnt lgkmcnt(0)
	s_mul_i32 s14, s2, s5
	s_mov_b32 s15, 0
	v_add_u32_e32 v2, v1, v4
	s_lshl_b64 s[14:15], s[14:15], 2
	v_ashrrev_i32_e32 v2, 4, v2
	v_mov_b32_e32 v5, s19
	v_cmp_gt_i32_e32 vcc, s27, v1
	s_add_u32 s6, s6, s14
	s_addc_u32 s7, s7, s15
	v_cndmask_b32_e32 v2, v5, v2, vcc
	v_ashrrev_i32_e32 v3, 31, v2
	v_lshl_add_u64 v[6:7], v[2:3], 2, s[6:7]
	v_or_b32_e32 v2, 16, v1
	v_add_u32_e32 v3, v2, v4
	v_ashrrev_i32_e32 v3, 4, v3
	v_cmp_gt_i32_e32 vcc, s27, v2
	s_load_dwordx2 s[14:15], s[0:1], 0x8
	s_nop 0
	v_cndmask_b32_e32 v2, v5, v3, vcc
	v_ashrrev_i32_e32 v3, 31, v2
	v_lshl_add_u64 v[8:9], v[2:3], 2, s[6:7]
	v_or_b32_e32 v2, 32, v1
	v_add_u32_e32 v3, v2, v4
	v_ashrrev_i32_e32 v3, 4, v3
	v_cmp_gt_i32_e32 vcc, s27, v2
	v_or_b32_e32 v1, 48, v1
	s_nop 0
	v_cndmask_b32_e32 v2, v5, v3, vcc
	v_ashrrev_i32_e32 v3, 31, v2
	v_lshl_add_u64 v[10:11], v[2:3], 2, s[6:7]
	v_add_u32_e32 v2, v1, v4
	v_ashrrev_i32_e32 v2, 4, v2
	v_cmp_gt_i32_e32 vcc, s27, v1
	s_nop 1
	v_cndmask_b32_e32 v2, v5, v2, vcc
	v_ashrrev_i32_e32 v3, 31, v2
	v_lshl_add_u64 v[12:13], v[2:3], 2, s[6:7]
	global_load_dword v5, v[6:7], off
	global_load_dword v4, v[8:9], off
	;; [unrolled: 1-line block ×4, first 2 shown]
	s_andn2_b64 vcc, exec, s[10:11]
	s_cbranch_vccnz .LBB256_8
; %bb.6:
	s_add_u32 s8, s8, s12
	s_addc_u32 s9, s9, s13
	s_load_dword s5, s[8:9], 0x0
	s_branch .LBB256_9
.LBB256_7:
	s_mov_b64 s[12:13], 0
	s_branch .LBB256_2
.LBB256_8:
	s_mov_b32 s5, s2
.LBB256_9:
	s_load_dwordx2 s[12:13], s[0:1], 0x10
	s_load_dwordx4 s[8:11], s[0:1], 0x48
	v_lshrrev_b32_e32 v85, 6, v0
	v_bfe_u32 v88, v0, 4, 2
	v_and_b32_e32 v84, 15, v0
	v_lshl_or_b32 v1, v85, 2, v88
	v_lshlrev_b32_e32 v6, 3, v84
	s_mul_i32 s40, s4, 9
	v_cmp_gt_u32_e32 vcc, 9, v1
	v_lshlrev_b32_e32 v82, 1, v6
	s_and_saveexec_b64 s[16:17], vcc
	s_cbranch_execz .LBB256_11
; %bb.10:
	s_load_dwordx2 s[20:21], s[0:1], 0x0
	s_waitcnt lgkmcnt(0)
	s_ashr_i32 s11, s8, 31
	s_mul_hi_u32 s22, s5, s8
	s_mul_i32 s11, s5, s11
	s_add_i32 s23, s22, s11
	s_mul_i32 s22, s5, s8
	s_lshl_b64 s[22:23], s[22:23], 1
	s_add_u32 s20, s20, s22
	v_add_lshl_u32 v6, v1, s40, 7
	s_addc_u32 s21, s21, s23
	v_ashrrev_i32_e32 v7, 31, v6
	v_lshl_add_u64 v[6:7], v[6:7], 1, s[20:21]
	v_mov_b32_e32 v83, 0
	v_lshl_add_u64 v[6:7], v[6:7], 0, v[82:83]
	global_load_dwordx4 v[6:9], v[6:7], off
	v_and_b32_e32 v10, 3, v0
	v_lshlrev_b32_e32 v11, 9, v84
	v_lshlrev_b32_e32 v1, 5, v1
	;; [unrolled: 1-line block ×3, first 2 shown]
	v_and_b32_e32 v11, 0x1800, v11
	v_or3_b32 v1, v11, v10, v1
	s_waitcnt vmcnt(0)
	ds_write_b128 v1, v[6:9]
.LBB256_11:
	s_or_b64 exec, exec, s[16:17]
	s_waitcnt lgkmcnt(0)
	s_mul_i32 s4, s4, s10
	s_mov_b32 s5, 0
	s_lshl_b64 s[4:5], s[4:5], 1
	s_add_u32 s10, s14, s4
	v_lshlrev_b32_e32 v1, 4, v0
	s_addc_u32 s11, s15, s5
	v_and_b32_e32 v86, 0xf0, v1
	v_mov_b32_e32 v87, 0
	v_lshl_add_u64 v[6:7], s[10:11], 0, v[86:87]
	s_waitcnt vmcnt(3)
	v_mad_i64_i32 v[8:9], s[10:11], v5, s9, 0
	s_waitcnt vmcnt(2)
	v_mad_i64_i32 v[4:5], s[10:11], v4, s9, 0
	v_lshl_add_u64 v[8:9], v[8:9], 1, v[6:7]
	v_and_b32_e32 v86, 0x300, v1
	v_lshl_add_u64 v[4:5], v[4:5], 1, v[6:7]
	v_lshl_add_u64 v[8:9], v[8:9], 0, v[86:87]
	;; [unrolled: 1-line block ×3, first 2 shown]
	s_barrier
	global_load_dwordx4 v[78:81], v[8:9], off
	global_load_dwordx4 v[74:77], v[8:9], off offset:1024
	global_load_dwordx4 v[70:73], v[8:9], off offset:2048
	;; [unrolled: 1-line block ×3, first 2 shown]
	global_load_dwordx4 v[66:69], v[4:5], off
	global_load_dwordx4 v[62:65], v[4:5], off offset:1024
	global_load_dwordx4 v[58:61], v[4:5], off offset:2048
	;; [unrolled: 1-line block ×3, first 2 shown]
	s_waitcnt vmcnt(9)
	v_mad_i64_i32 v[4:5], s[10:11], v3, s9, 0
	s_waitcnt vmcnt(8)
	v_mad_i64_i32 v[2:3], s[10:11], v2, s9, 0
	v_lshl_add_u64 v[4:5], v[4:5], 1, v[6:7]
	v_lshl_add_u64 v[2:3], v[2:3], 1, v[6:7]
	;; [unrolled: 1-line block ×4, first 2 shown]
	global_load_dwordx4 v[30:33], v[4:5], off
	global_load_dwordx4 v[26:29], v[4:5], off offset:1024
	global_load_dwordx4 v[22:25], v[4:5], off offset:2048
	;; [unrolled: 1-line block ×3, first 2 shown]
	global_load_dwordx4 v[6:9], v[34:35], off
	s_nop 0
	global_load_dwordx4 v[2:5], v[34:35], off offset:1024
	global_load_dwordx4 v[38:41], v[34:35], off offset:2048
	s_nop 0
	global_load_dwordx4 v[34:37], v[34:35], off offset:3072
	v_add_u32_e32 v42, -9, v84
	v_cmp_gt_u32_e32 vcc, 9, v84
	v_and_b32_e32 v83, 63, v0
	v_mov_b32_e32 v89, 0
	v_cndmask_b32_e32 v42, v42, v84, vcc
	v_lshlrev_b32_e32 v42, 5, v42
	v_lshl_add_u32 v42, v88, 9, v42
	ds_read_b128 v[54:57], v42
	ds_read_b128 v[50:53], v42 offset:2048
	ds_read_b128 v[46:49], v42 offset:4096
	;; [unrolled: 1-line block ×3, first 2 shown]
	s_and_saveexec_b64 s[10:11], vcc
	s_cbranch_execz .LBB256_13
; %bb.12:
	s_load_dwordx2 s[14:15], s[0:1], 0x40
	v_add_u32_e32 v90, s40, v84
	v_ashrrev_i32_e32 v91, 31, v90
	s_waitcnt lgkmcnt(0)
	v_lshl_add_u64 v[90:91], v[90:91], 2, s[14:15]
	global_load_dword v89, v[90:91], off
.LBB256_13:
	s_or_b64 exec, exec, s[10:11]
	s_waitcnt vmcnt(15) lgkmcnt(3)
	v_mfma_f32_16x16x16_f16 v[90:93], v[78:79], v[54:55], 0
	s_add_u32 s4, s12, s4
	s_addc_u32 s5, s13, s5
	s_mov_b32 s33, 0xff7fffff
	v_mfma_f32_16x16x16_f16 v[78:81], v[80:81], v[56:57], v[90:93]
	s_waitcnt vmcnt(14) lgkmcnt(2)
	v_mfma_f32_16x16x16_f16 v[78:81], v[74:75], v[50:51], v[78:81]
	s_nop 0
	v_lshl_or_b32 v90, v85, 4, v84
	v_lshlrev_b32_e32 v86, 5, v90
	v_mfma_f32_16x16x16_f16 v[74:77], v[76:77], v[52:53], v[78:81]
	s_waitcnt vmcnt(13) lgkmcnt(1)
	v_mfma_f32_16x16x16_f16 v[74:77], v[70:71], v[46:47], v[74:77]
	v_mfma_f32_16x16x16_f16 v[70:73], v[72:73], v[48:49], v[74:77]
	s_waitcnt vmcnt(11)
	v_mfma_f32_16x16x16_f16 v[74:77], v[66:67], v[54:55], 0
	v_mfma_f32_16x16x16_f16 v[66:69], v[68:69], v[56:57], v[74:77]
	s_nop 5
	v_and_or_b32 v74, v0, 48, s18
	s_waitcnt lgkmcnt(0)
	v_mfma_f32_16x16x16_f16 v[70:73], v[10:11], v[42:43], v[70:73]
	v_ashrrev_i32_e32 v10, 4, v74
	v_mov_b32_e32 v75, s19
	v_cmp_gt_i32_e32 vcc, s27, v74
	s_waitcnt vmcnt(10)
	v_mfma_f32_16x16x16_f16 v[66:69], v[62:63], v[50:51], v[66:69]
	v_cndmask_b32_e32 v10, v75, v10, vcc
	v_ashrrev_i32_e32 v11, 31, v10
	v_lshl_add_u64 v[10:11], v[10:11], 2, s[6:7]
	global_load_dword v76, v[10:11], off
	v_mfma_f32_16x16x16_f16 v[62:65], v[64:65], v[52:53], v[66:69]
	v_or_b32_e32 v10, 64, v74
	v_ashrrev_i32_e32 v11, 4, v10
	v_cmp_gt_i32_e32 vcc, s27, v10
	s_waitcnt vmcnt(10)
	v_mfma_f32_16x16x16_f16 v[62:65], v[58:59], v[46:47], v[62:65]
	v_cndmask_b32_e32 v10, v75, v11, vcc
	v_ashrrev_i32_e32 v11, 31, v10
	v_lshl_add_u64 v[10:11], v[10:11], 2, s[6:7]
	global_load_dword v77, v[10:11], off
	v_or_b32_e32 v10, 0x80, v74
	v_mfma_f32_16x16x16_f16 v[58:61], v[60:61], v[48:49], v[62:65]
	v_ashrrev_i32_e32 v11, 4, v10
	v_cmp_gt_i32_e32 vcc, s27, v10
	s_waitcnt vmcnt(9)
	v_mfma_f32_16x16x16_f16 v[62:65], v[30:31], v[54:55], 0
	v_cndmask_b32_e32 v10, v75, v11, vcc
	v_ashrrev_i32_e32 v11, 31, v10
	v_lshl_add_u64 v[10:11], v[10:11], 2, s[6:7]
	v_mfma_f32_16x16x16_f16 v[30:33], v[32:33], v[56:57], v[62:65]
	s_nop 2
	global_load_dword v64, v[10:11], off
	v_or_b32_e32 v10, 0xc0, v74
	v_ashrrev_i32_e32 v11, 4, v10
	v_cmp_gt_i32_e32 vcc, s27, v10
	s_waitcnt vmcnt(9)
	v_mfma_f32_16x16x16_f16 v[30:33], v[26:27], v[50:51], v[30:33]
	v_lshl_add_u64 v[62:63], s[4:5], 0, v[86:87]
	v_cndmask_b32_e32 v10, v75, v11, vcc
	v_ashrrev_i32_e32 v11, 31, v10
	v_lshl_add_u64 v[10:11], v[10:11], 2, s[6:7]
	global_load_dword v65, v[10:11], off
	v_mfma_f32_16x16x16_f16 v[26:29], v[28:29], v[52:53], v[30:33]
	s_load_dword s6, s[0:1], 0x1c
	v_or_b32_e32 v86, 0x800, v86
	s_waitcnt vmcnt(3)
	v_mad_i64_i32 v[10:11], s[10:11], v76, s9, 0
	v_mfma_f32_16x16x16_f16 v[26:29], v[22:23], v[46:47], v[26:29]
	v_lshlrev_b64 v[74:75], 1, v[10:11]
	v_mfma_f32_16x16x16_f16 v[66:69], v[12:13], v[44:45], v[70:73]
	v_mfma_f32_16x16x16_f16 v[10:13], v[24:25], v[48:49], v[26:29]
	;; [unrolled: 1-line block ×3, first 2 shown]
	v_lshl_add_u64 v[14:15], v[62:63], 0, v[74:75]
	s_waitcnt lgkmcnt(0)
	s_nop 2
	v_pk_mul_f32 v[78:79], s[6:7], v[68:69] op_sel_hi:[0,1]
	v_mfma_f32_16x16x16_f16 v[10:13], v[18:19], v[42:43], v[10:13]
	v_mfma_f32_16x16x16_f16 v[70:73], v[16:17], v[44:45], v[30:33]
	s_nop 2
	global_load_dwordx4 v[30:33], v[14:15], off
	global_load_dwordx4 v[26:29], v[14:15], off offset:16
	s_waitcnt vmcnt(4)
	v_mad_i64_i32 v[14:15], s[10:11], v77, s9, 0
	v_lshlrev_b64 v[58:59], 1, v[14:15]
	v_mfma_f32_16x16x16_f16 v[92:95], v[20:21], v[44:45], v[10:13]
	v_pk_mul_f32 v[76:77], s[6:7], v[70:71] op_sel_hi:[0,1]
	s_nop 1
	v_lshl_add_u64 v[10:11], v[62:63], 0, v[58:59]
	global_load_dwordx4 v[22:25], v[10:11], off
	global_load_dwordx4 v[18:21], v[10:11], off offset:16
	v_mfma_f32_16x16x16_f16 v[10:13], v[6:7], v[54:55], 0
	s_waitcnt vmcnt(5)
	v_mad_i64_i32 v[6:7], s[10:11], v64, s9, 0
	v_lshlrev_b64 v[54:55], 1, v[6:7]
	v_mfma_f32_16x16x16_f16 v[6:9], v[8:9], v[56:57], v[10:13]
	v_pk_mul_f32 v[70:71], s[6:7], v[94:95] op_sel_hi:[0,1]
	v_mfma_f32_16x16x16_f16 v[6:9], v[2:3], v[50:51], v[6:9]
	s_waitcnt vmcnt(4)
	v_mad_i64_i32 v[2:3], s[8:9], v65, s9, 0
	v_lshlrev_b64 v[60:61], 1, v[2:3]
	v_mfma_f32_16x16x16_f16 v[50:53], v[4:5], v[52:53], v[6:9]
	v_lshl_add_u64 v[10:11], v[62:63], 0, v[54:55]
	v_lshl_add_u64 v[2:3], v[62:63], 0, v[60:61]
	v_pk_mul_f32 v[62:63], s[6:7], v[66:67] op_sel_hi:[0,1]
	v_mfma_f32_16x16x16_f16 v[50:53], v[38:39], v[46:47], v[50:53]
	v_lshl_add_u64 v[64:65], s[4:5], 0, v[86:87]
	v_lshl_add_u64 v[38:39], v[64:65], 0, v[74:75]
	v_pk_mul_f32 v[74:75], s[6:7], v[72:73] op_sel_hi:[0,1]
	v_mfma_f32_16x16x16_f16 v[46:49], v[40:41], v[48:49], v[50:53]
	v_pk_mul_f32 v[72:73], s[6:7], v[92:93] op_sel_hi:[0,1]
	global_load_dwordx4 v[14:17], v[10:11], off
	s_nop 0
	global_load_dwordx4 v[10:13], v[10:11], off offset:16
	s_nop 0
	global_load_dwordx4 v[6:9], v[2:3], off
	s_nop 0
	global_load_dwordx4 v[2:5], v[2:3], off offset:16
	v_mfma_f32_16x16x16_f16 v[40:43], v[34:35], v[42:43], v[46:49]
	v_mfma_f32_16x16x16_f16 v[34:37], v[36:37], v[44:45], v[40:43]
	s_nop 6
	v_pk_mul_f32 v[68:69], s[6:7], v[34:35] op_sel_hi:[0,1]
	v_and_b32_e32 v34, 0xc0, v0
	v_add_u32_e32 v34, s18, v34
	v_lshl_or_b32 v34, v88, 2, v34
	v_or_b32_e32 v35, 1, v34
	v_pk_mul_f32 v[66:67], s[6:7], v[36:37] op_sel_hi:[0,1]
	v_subrev_u32_e32 v36, s27, v35
	v_add_u32_e32 v40, 1, v36
	v_add_u32_e32 v41, 2, v36
	v_cvt_f32_i32_e32 v37, v36
	v_cvt_f32_i32_e32 v40, v40
	;; [unrolled: 1-line block ×3, first 2 shown]
	v_add_u32_e32 v42, 3, v36
	v_fma_f32 v62, v89, v37, v62
	v_fmac_f32_e32 v63, v89, v40
	v_fma_f32 v78, v89, v41, v78
	v_add_u32_e32 v37, 16, v36
	v_add_u32_e32 v40, 17, v36
	;; [unrolled: 1-line block ×3, first 2 shown]
	v_cvt_f32_i32_e32 v42, v42
	v_cvt_f32_i32_e32 v37, v37
	;; [unrolled: 1-line block ×4, first 2 shown]
	v_fmac_f32_e32 v79, v89, v42
	v_add_u32_e32 v42, 19, v36
	v_fma_f32 v76, v89, v37, v76
	v_fmac_f32_e32 v77, v89, v40
	v_fma_f32 v74, v89, v41, v74
	v_add_u32_e32 v37, 32, v36
	v_add_u32_e32 v40, 33, v36
	;; [unrolled: 1-line block ×3, first 2 shown]
	v_cvt_f32_i32_e32 v42, v42
	v_cvt_f32_i32_e32 v37, v37
	;; [unrolled: 1-line block ×4, first 2 shown]
	v_fmac_f32_e32 v75, v89, v42
	v_add_u32_e32 v42, 35, v36
	v_fma_f32 v72, v89, v37, v72
	v_fmac_f32_e32 v73, v89, v40
	v_fma_f32 v70, v89, v41, v70
	v_add_u32_e32 v37, 48, v36
	v_add_u32_e32 v40, 49, v36
	;; [unrolled: 1-line block ×4, first 2 shown]
	v_cvt_f32_i32_e32 v36, v36
	v_cvt_f32_i32_e32 v37, v37
	;; [unrolled: 1-line block ×3, first 2 shown]
	v_cmp_gt_i32_e64 s[28:29], s27, v34
	v_fmac_f32_e32 v67, v89, v36
	v_mov_b32_e32 v36, 0xff7fffff
	v_cmp_gt_i32_e64 s[30:31], s27, v35
	v_fma_f32 v68, v89, v37, v68
	v_cndmask_b32_e64 v37, v36, v62, s[28:29]
	v_cndmask_b32_e64 v35, v36, v63, s[30:31]
	v_fmac_f32_e32 v69, v89, v40
	v_max3_f32 v35, v37, s33, v35
	v_or_b32_e32 v37, 2, v34
	v_or_b32_e32 v40, 3, v34
	v_cmp_gt_i32_e64 s[34:35], s27, v37
	v_cmp_gt_i32_e64 s[36:37], s27, v40
	v_cvt_f32_i32_e32 v42, v42
	v_cndmask_b32_e64 v37, v36, v78, s[34:35]
	v_cndmask_b32_e64 v40, v36, v79, s[36:37]
	v_max3_f32 v35, v35, v37, v40
	v_or_b32_e32 v37, 16, v34
	v_or_b32_e32 v40, 17, v34
	v_cmp_gt_i32_e64 s[22:23], s27, v37
	v_cmp_gt_i32_e64 s[24:25], s27, v40
	v_fmac_f32_e32 v71, v89, v42
	v_cndmask_b32_e64 v37, v36, v76, s[22:23]
	v_cndmask_b32_e64 v40, v36, v77, s[24:25]
	v_max3_f32 v35, v35, v37, v40
	v_or_b32_e32 v37, 18, v34
	v_or_b32_e32 v40, 19, v34
	v_cmp_gt_i32_e64 s[18:19], s27, v37
	v_cmp_gt_i32_e64 s[20:21], s27, v40
	v_cvt_f32_i32_e32 v41, v41
	v_cndmask_b32_e64 v37, v36, v74, s[18:19]
	v_cndmask_b32_e64 v40, v36, v75, s[20:21]
	v_max3_f32 v35, v35, v37, v40
	v_or_b32_e32 v37, 32, v34
	v_or_b32_e32 v40, 33, v34
	v_cmp_gt_i32_e64 s[14:15], s27, v37
	v_cmp_gt_i32_e64 s[16:17], s27, v40
	v_fma_f32 v66, v89, v41, v66
	v_cndmask_b32_e64 v37, v36, v72, s[14:15]
	v_cndmask_b32_e64 v40, v36, v73, s[16:17]
	v_max3_f32 v35, v35, v37, v40
	v_or_b32_e32 v37, 34, v34
	v_or_b32_e32 v40, 35, v34
	v_cmp_gt_i32_e64 s[10:11], s27, v37
	v_cmp_gt_i32_e64 s[12:13], s27, v40
	s_nop 0
	v_cndmask_b32_e64 v37, v36, v70, s[10:11]
	v_cndmask_b32_e64 v40, v36, v71, s[12:13]
	v_max3_f32 v35, v35, v37, v40
	v_or_b32_e32 v37, 48, v34
	v_or_b32_e32 v40, 49, v34
	v_cmp_gt_i32_e64 s[6:7], s27, v37
	v_cmp_gt_i32_e64 s[8:9], s27, v40
	s_nop 0
	v_cndmask_b32_e64 v37, v36, v68, s[6:7]
	v_cndmask_b32_e64 v40, v36, v69, s[8:9]
	v_max3_f32 v35, v35, v37, v40
	v_or_b32_e32 v37, 50, v34
	v_or_b32_e32 v34, 51, v34
	v_cmp_gt_i32_e32 vcc, s27, v37
	v_cmp_gt_i32_e64 s[4:5], s27, v34
	global_load_dwordx4 v[46:49], v[38:39], off
	s_nop 0
	global_load_dwordx4 v[38:41], v[38:39], off offset:16
	v_cndmask_b32_e32 v37, v36, v66, vcc
	v_cndmask_b32_e64 v34, v36, v67, s[4:5]
	v_max3_f32 v50, v35, v37, v34
	v_mbcnt_lo_u32_b32 v34, -1, 0
	v_mbcnt_hi_u32_b32 v51, -1, v34
	v_and_b32_e32 v34, 64, v51
	v_add_u32_e32 v52, 64, v34
	v_xor_b32_e32 v34, 32, v51
	v_cmp_lt_i32_e64 s[38:39], v34, v52
	s_nop 1
	v_cndmask_b32_e64 v34, v51, v34, s[38:39]
	v_lshlrev_b32_e32 v87, 2, v34
	ds_bpermute_b32 v53, v87, v50
	v_lshl_add_u64 v[34:35], v[64:65], 0, v[58:59]
	v_lshl_add_u64 v[58:59], v[64:65], 0, v[60:61]
	global_load_dwordx4 v[42:45], v[34:35], off
	s_nop 0
	global_load_dwordx4 v[34:37], v[34:35], off offset:16
	s_waitcnt lgkmcnt(0)
	v_max_f32_e32 v53, v53, v53
	v_max_f32_e32 v80, v50, v53
	v_xor_b32_e32 v50, 16, v51
	v_cmp_lt_i32_e64 s[38:39], v50, v52
	s_nop 1
	v_cndmask_b32_e64 v50, v51, v50, s[38:39]
	v_lshlrev_b32_e32 v89, 2, v50
	ds_bpermute_b32 v81, v89, v80
	v_lshl_add_u64 v[50:51], v[64:65], 0, v[54:55]
	global_load_dwordx4 v[54:57], v[50:51], off
	s_nop 0
	global_load_dwordx4 v[50:53], v[50:51], off offset:16
	s_waitcnt lgkmcnt(0)
	v_max_f32_e32 v60, v81, v81
	v_max_f32_e32 v86, v80, v60
	v_sub_f32_e32 v60, v62, v86
	v_mul_f32_e32 v60, 0x3fb8aa3b, v60
	v_exp_f32_e32 v80, v60
	v_sub_f32_e32 v60, v63, v86
	v_mul_f32_e32 v60, 0x3fb8aa3b, v60
	v_exp_f32_e32 v81, v60
	global_load_dwordx4 v[62:65], v[58:59], off
	s_nop 0
	global_load_dwordx4 v[58:61], v[58:59], off offset:16
	v_sub_f32_e32 v78, v78, v86
	v_mul_f32_e32 v78, 0x3fb8aa3b, v78
	v_sub_f32_e32 v79, v79, v86
	v_exp_f32_e32 v78, v78
	v_mul_f32_e32 v79, 0x3fb8aa3b, v79
	v_sub_f32_e32 v76, v76, v86
	v_exp_f32_e32 v79, v79
	v_mul_f32_e32 v76, 0x3fb8aa3b, v76
	v_sub_f32_e32 v77, v77, v86
	v_cndmask_b32_e64 v80, 0, v80, s[28:29]
	v_exp_f32_e32 v76, v76
	v_mul_f32_e32 v77, 0x3fb8aa3b, v77
	v_sub_f32_e32 v74, v74, v86
	v_add_f32_e32 v91, 0, v80
	v_cndmask_b32_e64 v81, 0, v81, s[30:31]
	v_exp_f32_e32 v77, v77
	v_mul_f32_e32 v74, 0x3fb8aa3b, v74
	v_sub_f32_e32 v75, v75, v86
	v_add_f32_e32 v91, v91, v81
	;; [unrolled: 5-line block ×10, first 2 shown]
	v_cndmask_b32_e64 v70, 0, v70, s[10:11]
	v_exp_f32_e32 v66, v66
	v_mul_f32_e32 v67, 0x3fb8aa3b, v67
	v_add_f32_e32 v91, v91, v70
	v_cndmask_b32_e64 v71, 0, v71, s[12:13]
	v_exp_f32_e32 v67, v67
	v_add_f32_e32 v91, v91, v71
	v_cndmask_b32_e64 v68, 0, v68, s[6:7]
	v_add_f32_e32 v91, v91, v68
	v_cndmask_b32_e64 v69, 0, v69, s[8:9]
	v_add_f32_e32 v91, v91, v69
	v_cndmask_b32_e32 v66, 0, v66, vcc
	v_add_f32_e32 v91, v91, v66
	v_cndmask_b32_e64 v67, 0, v67, s[4:5]
	v_add_f32_e32 v91, v91, v67
	ds_bpermute_b32 v87, v87, v91
	s_load_dword s9, s[0:1], 0x98
	v_cmp_gt_u32_e64 s[4:5], 16, v83
	s_waitcnt lgkmcnt(0)
	s_barrier
	v_add_f32_e32 v87, v91, v87
	ds_bpermute_b32 v89, v89, v87
	s_waitcnt lgkmcnt(0)
	s_and_saveexec_b64 s[6:7], s[4:5]
	s_cbranch_execz .LBB256_15
; %bb.14:
	v_add_f32_e32 v83, v87, v89
	v_lshlrev_b32_e32 v87, 2, v90
	ds_write2st64_b32 v87, v86, v83 offset1:1
.LBB256_15:
	s_or_b64 exec, exec, s[6:7]
	v_lshlrev_b32_e32 v89, 2, v84
	s_load_dword s8, s[0:1], 0x94
	s_waitcnt lgkmcnt(0)
	s_barrier
	ds_read2_b32 v[86:87], v89 offset1:16
	ds_read2_b32 v[90:91], v89 offset0:32 offset1:48
	ds_read2_b32 v[92:93], v89 offset0:64 offset1:80
	;; [unrolled: 1-line block ×3, first 2 shown]
	s_mul_i32 s9, s9, 9
	s_waitcnt lgkmcnt(3)
	v_max3_f32 v83, v86, s33, v87
	s_waitcnt lgkmcnt(2)
	v_max3_f32 v83, v83, v90, v91
	v_sub_f32_e32 v86, v86, v83
	v_mul_f32_e32 v86, 0x3fb8aa3b, v86
	v_exp_f32_e32 v1, v86
	v_sub_f32_e32 v86, v87, v83
	v_mul_f32_e32 v86, 0x3fb8aa3b, v86
	v_exp_f32_e32 v87, v86
	;; [unrolled: 3-line block ×4, first 2 shown]
	s_waitcnt lgkmcnt(1)
	v_fma_f32 v86, v1, v92, 0
	v_fmac_f32_e32 v86, v87, v93
	s_waitcnt lgkmcnt(0)
	v_fmac_f32_e32 v86, v90, v94
	v_fmac_f32_e32 v86, v89, v95
	v_add_f32_e32 v91, 0x358637bd, v86
	v_div_scale_f32 v92, s[6:7], v91, v91, 1.0
	v_rcp_f32_e32 v93, v92
	s_barrier
	v_fma_f32 v94, -v92, v93, 1.0
	v_fmac_f32_e32 v93, v94, v93
	v_div_scale_f32 v94, vcc, 1.0, v91, 1.0
	v_mul_f32_e32 v95, v94, v93
	v_fma_f32 v88, -v92, v95, v94
	v_fmac_f32_e32 v95, v88, v93
	v_fma_f32 v88, -v92, v95, v94
	v_div_fmas_f32 v88, v88, v93, v95
	v_cmp_eq_u32_e32 vcc, 1, v85
	v_div_fixup_f32 v88, v88, v91, 1.0
	s_nop 0
	v_cndmask_b32_e32 v1, v1, v87, vcc
	v_cmp_eq_u32_e32 vcc, 2, v85
	v_bfe_u32 v87, v0, 4, 2
	s_nop 0
	v_cndmask_b32_e32 v1, v1, v90, vcc
	v_cmp_eq_u32_e32 vcc, 3, v85
	s_nop 1
	v_cndmask_b32_e32 v1, v1, v89, vcc
	v_mul_f32_e32 v90, v1, v88
	v_pk_mul_f32 v[78:79], v[90:91], v[78:79] op_sel_hi:[0,1]
	v_cvt_f16_f32_e32 v78, v78
	v_cvt_f16_f32_e32 v79, v79
	v_pk_mul_f32 v[80:81], v[90:91], v[80:81] op_sel_hi:[0,1]
	v_cvt_f16_f32_e32 v1, v80
	v_cvt_f16_f32_e32 v80, v81
	v_pk_mul_f32 v[74:75], v[90:91], v[74:75] op_sel_hi:[0,1]
	v_pk_mul_f32 v[76:77], v[90:91], v[76:77] op_sel_hi:[0,1]
	v_pack_b32_f16 v81, v78, v79
	v_cvt_f16_f32_e32 v76, v76
	v_cvt_f16_f32_e32 v77, v77
	;; [unrolled: 1-line block ×4, first 2 shown]
	v_pack_b32_f16 v80, v1, v80
	v_lshlrev_b32_e32 v1, 3, v87
	v_lshlrev_b32_e32 v78, 5, v84
	;; [unrolled: 1-line block ×3, first 2 shown]
	v_pk_mul_f32 v[70:71], v[90:91], v[70:71] op_sel_hi:[0,1]
	v_pk_mul_f32 v[72:73], v[90:91], v[72:73] op_sel_hi:[0,1]
	;; [unrolled: 1-line block ×4, first 2 shown]
	v_or3_b32 v74, v74, v78, v1
	v_pack_b32_f16 v76, v76, v77
	v_pack_b32_f16 v77, v79, v75
	v_cvt_f16_f32_e32 v1, v72
	v_cvt_f16_f32_e32 v72, v73
	v_cvt_f16_f32_e32 v70, v70
	v_cvt_f16_f32_e32 v71, v71
	v_cvt_f16_f32_e32 v68, v68
	v_cvt_f16_f32_e32 v69, v69
	v_cvt_f16_f32_e32 v73, v66
	v_cvt_f16_f32_e32 v75, v67
	v_pack_b32_f16 v66, v1, v72
	v_pack_b32_f16 v67, v70, v71
	;; [unrolled: 1-line block ×4, first 2 shown]
	v_cmp_gt_u32_e32 vcc, 9, v0
	ds_write2st64_b64 v74, v[80:81], v[76:77] offset1:1
	ds_write2st64_b64 v74, v[66:67], v[68:69] offset0:2 offset1:3
	s_and_saveexec_b64 s[6:7], vcc
	s_cbranch_execz .LBB256_17
; %bb.16:
	s_mov_b32 s41, 0
	v_mov_b32_e32 v85, 0
	v_lshl_add_u64 v[66:67], s[40:41], 0, v[84:85]
	v_mov_b32_e32 v1, s9
	v_mad_u64_u32 v[66:67], s[10:11], s2, v1, v[66:67]
	s_mul_i32 s3, s3, s9
	v_mov_b32_e32 v68, s26
	v_mov_b32_e32 v69, v85
	s_load_dwordx4 s[12:15], s[0:1], 0x58
	v_add_u32_e32 v1, s3, v67
	v_mad_u64_u32 v[66:67], s[10:11], v66, s8, v[68:69]
	v_mov_b32_e32 v68, v67
	v_mad_u64_u32 v[68:69], s[10:11], v1, s8, v[68:69]
	v_mov_b32_e32 v67, v68
	v_lshlrev_b64 v[66:67], 2, v[66:67]
	s_waitcnt lgkmcnt(0)
	v_lshl_add_u64 v[68:69], s[14:15], 0, v[66:67]
	v_lshl_add_u64 v[66:67], s[12:13], 0, v[66:67]
	global_store_dword v[68:69], v83, off
	global_store_dword v[66:67], v86, off
.LBB256_17:
	s_or_b64 exec, exec, s[6:7]
	v_lshl_or_b32 v1, v87, 9, v78
	s_waitcnt lgkmcnt(0)
	s_barrier
	ds_read_b128 v[70:73], v1
	ds_read_b128 v[66:69], v1 offset:16
	s_waitcnt vmcnt(15) lgkmcnt(1)
	v_mfma_f32_16x16x16_f16 v[76:79], v[30:31], v[70:71], 0
	s_mov_b32 s3, 0
	v_cmp_gt_u32_e32 vcc, 64, v0
	v_mfma_f32_16x16x16_f16 v[30:33], v[32:33], v[72:73], v[76:79]
	s_waitcnt vmcnt(14) lgkmcnt(0)
	v_mfma_f32_16x16x16_f16 v[30:33], v[26:27], v[66:67], v[30:33]
	v_mfma_f32_16x16x16_f16 v[26:29], v[28:29], v[68:69], v[30:33]
	s_nop 5
	ds_read_b128 v[30:33], v1 offset:2048
	ds_read_b128 v[76:79], v1 offset:2064
	s_waitcnt vmcnt(13) lgkmcnt(1)
	v_mfma_f32_16x16x16_f16 v[26:29], v[22:23], v[30:31], v[26:29]
	v_mfma_f32_16x16x16_f16 v[22:25], v[24:25], v[32:33], v[26:29]
	s_waitcnt vmcnt(12) lgkmcnt(0)
	v_mfma_f32_16x16x16_f16 v[22:25], v[18:19], v[76:77], v[22:25]
	v_mfma_f32_16x16x16_f16 v[18:21], v[20:21], v[78:79], v[22:25]
	s_nop 5
	ds_read_b128 v[22:25], v1 offset:4096
	ds_read_b128 v[26:29], v1 offset:4112
	s_waitcnt vmcnt(11) lgkmcnt(1)
	v_mfma_f32_16x16x16_f16 v[18:21], v[14:15], v[22:23], v[18:21]
	v_mfma_f32_16x16x16_f16 v[14:17], v[16:17], v[24:25], v[18:21]
	s_waitcnt vmcnt(10) lgkmcnt(0)
	v_mfma_f32_16x16x16_f16 v[14:17], v[10:11], v[26:27], v[14:17]
	v_mfma_f32_16x16x16_f16 v[10:13], v[12:13], v[28:29], v[14:17]
	s_nop 5
	ds_read_b128 v[14:17], v1 offset:6144
	ds_read_b128 v[18:21], v1 offset:6160
	s_waitcnt lgkmcnt(0)
	s_barrier
	s_waitcnt vmcnt(9)
	v_mfma_f32_16x16x16_f16 v[10:13], v[6:7], v[14:15], v[10:13]
	v_mfma_f32_16x16x16_f16 v[6:9], v[8:9], v[16:17], v[10:13]
	s_waitcnt vmcnt(8)
	v_mfma_f32_16x16x16_f16 v[6:9], v[2:3], v[18:19], v[6:9]
	v_mfma_f32_16x16x16_f16 v[2:5], v[4:5], v[20:21], v[6:9]
	;; [unrolled: 3-line block ×3, first 2 shown]
	s_nop 3
	v_cvt_f16_f32_e32 v1, v2
	v_cvt_f16_f32_e32 v10, v3
	;; [unrolled: 1-line block ×3, first 2 shown]
	s_waitcnt vmcnt(6)
	v_mfma_f32_16x16x16_f16 v[6:9], v[38:39], v[66:67], v[6:9]
	v_cvt_f16_f32_e32 v12, v5
	v_mfma_f32_16x16x16_f16 v[6:9], v[40:41], v[68:69], v[6:9]
	s_waitcnt vmcnt(5)
	v_mfma_f32_16x16x16_f16 v[6:9], v[42:43], v[30:31], v[6:9]
	v_mfma_f32_16x16x16_f16 v[6:9], v[44:45], v[32:33], v[6:9]
	s_waitcnt vmcnt(4)
	v_mfma_f32_16x16x16_f16 v[6:9], v[34:35], v[76:77], v[6:9]
	;; [unrolled: 3-line block ×6, first 2 shown]
	v_mfma_f32_16x16x16_f16 v[2:5], v[60:61], v[20:21], v[6:9]
	s_nop 6
	v_cvt_f16_f32_e32 v6, v2
	v_cvt_f16_f32_e32 v7, v3
	;; [unrolled: 1-line block ×4, first 2 shown]
	v_pack_b32_f16 v2, v1, v10
	v_pack_b32_f16 v3, v11, v12
	;; [unrolled: 1-line block ×4, first 2 shown]
	ds_write2st64_b64 v74, v[2:3], v[4:5] offset1:1
	s_waitcnt lgkmcnt(0)
	s_barrier
	s_and_saveexec_b64 s[6:7], vcc
	s_cbranch_execz .LBB256_20
; %bb.18:
	s_load_dwordx2 s[6:7], s[0:1], 0x68
	s_lshl_b32 s0, s8, 7
	s_mul_i32 s1, s9, s2
	v_lshlrev_b32_e32 v3, 6, v84
	s_mul_hi_u32 s9, s1, s0
	s_mul_i32 s8, s1, s0
	v_lshlrev_b32_e32 v2, 4, v0
	v_lshl_or_b32 v0, v0, 10, v3
	s_lshl_b64 s[8:9], s[8:9], 1
	v_lshlrev_b32_e32 v1, 5, v87
	v_and_b32_e32 v2, 16, v2
	v_and_b32_e32 v0, 0x1a00, v0
	s_waitcnt lgkmcnt(0)
	s_add_u32 s1, s6, s8
	v_or3_b32 v2, v0, v1, v2
	s_addc_u32 s6, s7, s9
	s_lshl_b32 s2, s26, 7
	s_lshl_b64 s[2:3], s[2:3], 1
	ds_read_b128 v[4:7], v2 offset:128
	ds_read_b128 v[8:11], v2
	s_add_u32 s2, s1, s2
	s_addc_u32 s3, s6, s3
	v_mov_b32_e32 v83, 0
	v_add_u32_e32 v3, s40, v87
	v_lshl_add_u64 v[0:1], s[2:3], 0, v[82:83]
	v_mad_u64_u32 v[12:13], s[2:3], v3, s0, 0
	v_lshl_add_u64 v[12:13], v[12:13], 1, v[0:1]
	v_add_u32_e32 v3, 4, v3
	s_waitcnt lgkmcnt(0)
	global_store_dwordx4 v[12:13], v[8:11], off
	s_nop 1
	v_mad_u64_u32 v[8:9], s[2:3], v3, s0, 0
	v_lshl_add_u64 v[8:9], v[8:9], 1, v[0:1]
	global_store_dwordx4 v[8:9], v[4:7], off
	s_and_b64 exec, exec, s[4:5]
	s_cbranch_execz .LBB256_20
; %bb.19:
	ds_read_b128 v[2:5], v2 offset:256
	v_add3_u32 v6, s40, v87, 8
	v_mad_u64_u32 v[6:7], s[0:1], v6, s0, 0
	v_lshl_add_u64 v[0:1], v[6:7], 1, v[0:1]
	s_waitcnt lgkmcnt(0)
	global_store_dwordx4 v[0:1], v[2:5], off
.LBB256_20:
	s_endpgm
	.section	.rodata,"a",@progbits
	.p2align	6, 0x0
	.amdhsa_kernel _Z39paged_attention_ll4mi_QKV_mfma16_kernelIDF16_DF16_LN4vllm18Fp8KVCacheDataTypeE0EDF16_Li16ELi128ELi256ELb1ELi9EEvPKT_PKT0_S7_ifPKiS9_S9_iPKfiiiPfSC_PS2_PT2_iSB_SB_
		.amdhsa_group_segment_fixed_size 8192
		.amdhsa_private_segment_fixed_size 0
		.amdhsa_kernarg_size 400
		.amdhsa_user_sgpr_count 2
		.amdhsa_user_sgpr_dispatch_ptr 0
		.amdhsa_user_sgpr_queue_ptr 0
		.amdhsa_user_sgpr_kernarg_segment_ptr 1
		.amdhsa_user_sgpr_dispatch_id 0
		.amdhsa_user_sgpr_kernarg_preload_length 0
		.amdhsa_user_sgpr_kernarg_preload_offset 0
		.amdhsa_user_sgpr_private_segment_size 0
		.amdhsa_uses_dynamic_stack 0
		.amdhsa_enable_private_segment 0
		.amdhsa_system_sgpr_workgroup_id_x 1
		.amdhsa_system_sgpr_workgroup_id_y 1
		.amdhsa_system_sgpr_workgroup_id_z 1
		.amdhsa_system_sgpr_workgroup_info 0
		.amdhsa_system_vgpr_workitem_id 0
		.amdhsa_next_free_vgpr 96
		.amdhsa_next_free_sgpr 42
		.amdhsa_accum_offset 96
		.amdhsa_reserve_vcc 1
		.amdhsa_float_round_mode_32 0
		.amdhsa_float_round_mode_16_64 0
		.amdhsa_float_denorm_mode_32 3
		.amdhsa_float_denorm_mode_16_64 3
		.amdhsa_dx10_clamp 1
		.amdhsa_ieee_mode 1
		.amdhsa_fp16_overflow 0
		.amdhsa_tg_split 0
		.amdhsa_exception_fp_ieee_invalid_op 0
		.amdhsa_exception_fp_denorm_src 0
		.amdhsa_exception_fp_ieee_div_zero 0
		.amdhsa_exception_fp_ieee_overflow 0
		.amdhsa_exception_fp_ieee_underflow 0
		.amdhsa_exception_fp_ieee_inexact 0
		.amdhsa_exception_int_div_zero 0
	.end_amdhsa_kernel
	.section	.text._Z39paged_attention_ll4mi_QKV_mfma16_kernelIDF16_DF16_LN4vllm18Fp8KVCacheDataTypeE0EDF16_Li16ELi128ELi256ELb1ELi9EEvPKT_PKT0_S7_ifPKiS9_S9_iPKfiiiPfSC_PS2_PT2_iSB_SB_,"axG",@progbits,_Z39paged_attention_ll4mi_QKV_mfma16_kernelIDF16_DF16_LN4vllm18Fp8KVCacheDataTypeE0EDF16_Li16ELi128ELi256ELb1ELi9EEvPKT_PKT0_S7_ifPKiS9_S9_iPKfiiiPfSC_PS2_PT2_iSB_SB_,comdat
.Lfunc_end256:
	.size	_Z39paged_attention_ll4mi_QKV_mfma16_kernelIDF16_DF16_LN4vllm18Fp8KVCacheDataTypeE0EDF16_Li16ELi128ELi256ELb1ELi9EEvPKT_PKT0_S7_ifPKiS9_S9_iPKfiiiPfSC_PS2_PT2_iSB_SB_, .Lfunc_end256-_Z39paged_attention_ll4mi_QKV_mfma16_kernelIDF16_DF16_LN4vllm18Fp8KVCacheDataTypeE0EDF16_Li16ELi128ELi256ELb1ELi9EEvPKT_PKT0_S7_ifPKiS9_S9_iPKfiiiPfSC_PS2_PT2_iSB_SB_
                                        ; -- End function
	.section	.AMDGPU.csdata,"",@progbits
; Kernel info:
; codeLenInByte = 4712
; NumSgprs: 48
; NumVgprs: 96
; NumAgprs: 0
; TotalNumVgprs: 96
; ScratchSize: 0
; MemoryBound: 0
; FloatMode: 240
; IeeeMode: 1
; LDSByteSize: 8192 bytes/workgroup (compile time only)
; SGPRBlocks: 5
; VGPRBlocks: 11
; NumSGPRsForWavesPerEU: 48
; NumVGPRsForWavesPerEU: 96
; AccumOffset: 96
; Occupancy: 5
; WaveLimiterHint : 1
; COMPUTE_PGM_RSRC2:SCRATCH_EN: 0
; COMPUTE_PGM_RSRC2:USER_SGPR: 2
; COMPUTE_PGM_RSRC2:TRAP_HANDLER: 0
; COMPUTE_PGM_RSRC2:TGID_X_EN: 1
; COMPUTE_PGM_RSRC2:TGID_Y_EN: 1
; COMPUTE_PGM_RSRC2:TGID_Z_EN: 1
; COMPUTE_PGM_RSRC2:TIDIG_COMP_CNT: 0
; COMPUTE_PGM_RSRC3_GFX90A:ACCUM_OFFSET: 23
; COMPUTE_PGM_RSRC3_GFX90A:TG_SPLIT: 0
	.section	.text._Z39paged_attention_ll4mi_QKV_mfma16_kernelIDF16_DF16_LN4vllm18Fp8KVCacheDataTypeE0EDF16_Li16ELi128ELi256ELb1ELi10EEvPKT_PKT0_S7_ifPKiS9_S9_iPKfiiiPfSC_PS2_PT2_iSB_SB_,"axG",@progbits,_Z39paged_attention_ll4mi_QKV_mfma16_kernelIDF16_DF16_LN4vllm18Fp8KVCacheDataTypeE0EDF16_Li16ELi128ELi256ELb1ELi10EEvPKT_PKT0_S7_ifPKiS9_S9_iPKfiiiPfSC_PS2_PT2_iSB_SB_,comdat
	.protected	_Z39paged_attention_ll4mi_QKV_mfma16_kernelIDF16_DF16_LN4vllm18Fp8KVCacheDataTypeE0EDF16_Li16ELi128ELi256ELb1ELi10EEvPKT_PKT0_S7_ifPKiS9_S9_iPKfiiiPfSC_PS2_PT2_iSB_SB_ ; -- Begin function _Z39paged_attention_ll4mi_QKV_mfma16_kernelIDF16_DF16_LN4vllm18Fp8KVCacheDataTypeE0EDF16_Li16ELi128ELi256ELb1ELi10EEvPKT_PKT0_S7_ifPKiS9_S9_iPKfiiiPfSC_PS2_PT2_iSB_SB_
	.globl	_Z39paged_attention_ll4mi_QKV_mfma16_kernelIDF16_DF16_LN4vllm18Fp8KVCacheDataTypeE0EDF16_Li16ELi128ELi256ELb1ELi10EEvPKT_PKT0_S7_ifPKiS9_S9_iPKfiiiPfSC_PS2_PT2_iSB_SB_
	.p2align	8
	.type	_Z39paged_attention_ll4mi_QKV_mfma16_kernelIDF16_DF16_LN4vllm18Fp8KVCacheDataTypeE0EDF16_Li16ELi128ELi256ELb1ELi10EEvPKT_PKT0_S7_ifPKiS9_S9_iPKfiiiPfSC_PS2_PT2_iSB_SB_,@function
_Z39paged_attention_ll4mi_QKV_mfma16_kernelIDF16_DF16_LN4vllm18Fp8KVCacheDataTypeE0EDF16_Li16ELi128ELi256ELb1ELi10EEvPKT_PKT0_S7_ifPKiS9_S9_iPKfiiiPfSC_PS2_PT2_iSB_SB_: ; @_Z39paged_attention_ll4mi_QKV_mfma16_kernelIDF16_DF16_LN4vllm18Fp8KVCacheDataTypeE0EDF16_Li16ELi128ELi256ELb1ELi10EEvPKT_PKT0_S7_ifPKiS9_S9_iPKfiiiPfSC_PS2_PT2_iSB_SB_
; %bb.0:
	s_load_dwordx2 s[8:9], s[0:1], 0x30
	s_mov_b32 s26, s3
	s_mov_b64 s[6:7], 0
	s_waitcnt lgkmcnt(0)
	s_cmp_lg_u64 s[8:9], 0
	s_cselect_b64 s[10:11], -1, 0
	s_and_b64 vcc, exec, s[10:11]
	s_cbranch_vccz .LBB257_7
; %bb.1:
	s_add_i32 s12, s2, 1
	s_mov_b32 s13, 0
	s_lshl_b64 s[14:15], s[12:13], 2
	s_add_u32 s14, s8, s14
	s_mov_b32 s3, s13
	s_addc_u32 s15, s9, s15
	s_lshl_b64 s[12:13], s[2:3], 2
	s_add_u32 s12, s8, s12
	s_addc_u32 s13, s9, s13
	s_load_dword s5, s[14:15], 0x0
	s_load_dword s16, s[12:13], 0x0
	s_waitcnt lgkmcnt(0)
	s_sub_i32 s5, s5, s16
	s_cmp_eq_u32 s5, 1
	s_cselect_b64 s[12:13], -1, 0
	s_andn2_b64 vcc, exec, s[6:7]
	s_cbranch_vccnz .LBB257_3
.LBB257_2:
	s_mov_b32 s3, 0
	s_mov_b64 s[12:13], -1
.LBB257_3:
	s_andn2_b64 vcc, exec, s[12:13]
	s_cbranch_vccnz .LBB257_20
; %bb.4:
	s_load_dwordx2 s[6:7], s[0:1], 0x28
	s_lshl_b64 s[12:13], s[2:3], 2
	s_waitcnt lgkmcnt(0)
	s_add_u32 s6, s6, s12
	s_addc_u32 s7, s7, s13
	s_load_dword s27, s[6:7], 0x0
	s_lshl_b32 s18, s26, 8
	s_waitcnt lgkmcnt(0)
	s_cmp_ge_i32 s18, s27
	s_cbranch_scc1 .LBB257_20
; %bb.5:
	s_load_dwordx2 s[6:7], s[0:1], 0x20
	s_load_dword s5, s[0:1], 0x38
	s_add_i32 s14, s27, 15
	s_ashr_i32 s15, s14, 31
	v_and_b32_e32 v1, 0xcf, v0
	s_lshr_b32 s15, s15, 28
	v_add_u32_e32 v1, s18, v1
	s_add_i32 s14, s14, s15
	v_ashrrev_i32_e32 v2, 31, v1
	s_ashr_i32 s19, s14, 4
	v_lshrrev_b32_e32 v4, 28, v2
	s_add_i32 s19, s19, -1
	s_waitcnt lgkmcnt(0)
	s_mul_i32 s14, s2, s5
	s_mov_b32 s15, 0
	v_add_u32_e32 v2, v1, v4
	s_lshl_b64 s[14:15], s[14:15], 2
	v_ashrrev_i32_e32 v2, 4, v2
	v_mov_b32_e32 v5, s19
	v_cmp_gt_i32_e32 vcc, s27, v1
	s_add_u32 s6, s6, s14
	s_addc_u32 s7, s7, s15
	v_cndmask_b32_e32 v2, v5, v2, vcc
	v_ashrrev_i32_e32 v3, 31, v2
	v_lshl_add_u64 v[6:7], v[2:3], 2, s[6:7]
	v_or_b32_e32 v2, 16, v1
	v_add_u32_e32 v3, v2, v4
	v_ashrrev_i32_e32 v3, 4, v3
	v_cmp_gt_i32_e32 vcc, s27, v2
	s_load_dwordx2 s[14:15], s[0:1], 0x8
	s_nop 0
	v_cndmask_b32_e32 v2, v5, v3, vcc
	v_ashrrev_i32_e32 v3, 31, v2
	v_lshl_add_u64 v[8:9], v[2:3], 2, s[6:7]
	v_or_b32_e32 v2, 32, v1
	v_add_u32_e32 v3, v2, v4
	v_ashrrev_i32_e32 v3, 4, v3
	v_cmp_gt_i32_e32 vcc, s27, v2
	v_or_b32_e32 v1, 48, v1
	s_nop 0
	v_cndmask_b32_e32 v2, v5, v3, vcc
	v_ashrrev_i32_e32 v3, 31, v2
	v_lshl_add_u64 v[10:11], v[2:3], 2, s[6:7]
	v_add_u32_e32 v2, v1, v4
	v_ashrrev_i32_e32 v2, 4, v2
	v_cmp_gt_i32_e32 vcc, s27, v1
	s_nop 1
	v_cndmask_b32_e32 v2, v5, v2, vcc
	v_ashrrev_i32_e32 v3, 31, v2
	v_lshl_add_u64 v[12:13], v[2:3], 2, s[6:7]
	global_load_dword v5, v[6:7], off
	global_load_dword v4, v[8:9], off
	global_load_dword v3, v[10:11], off
	global_load_dword v2, v[12:13], off
	s_andn2_b64 vcc, exec, s[10:11]
	s_cbranch_vccnz .LBB257_8
; %bb.6:
	s_add_u32 s8, s8, s12
	s_addc_u32 s9, s9, s13
	s_load_dword s5, s[8:9], 0x0
	s_branch .LBB257_9
.LBB257_7:
	s_mov_b64 s[12:13], 0
	s_branch .LBB257_2
.LBB257_8:
	s_mov_b32 s5, s2
.LBB257_9:
	s_load_dwordx2 s[12:13], s[0:1], 0x10
	s_load_dwordx4 s[8:11], s[0:1], 0x48
	v_lshrrev_b32_e32 v85, 6, v0
	v_bfe_u32 v88, v0, 4, 2
	v_and_b32_e32 v84, 15, v0
	v_lshl_or_b32 v1, v85, 2, v88
	v_lshlrev_b32_e32 v6, 3, v84
	s_mul_i32 s40, s4, 10
	v_cmp_gt_u32_e32 vcc, 10, v1
	v_lshlrev_b32_e32 v82, 1, v6
	s_and_saveexec_b64 s[16:17], vcc
	s_cbranch_execz .LBB257_11
; %bb.10:
	s_load_dwordx2 s[20:21], s[0:1], 0x0
	s_waitcnt lgkmcnt(0)
	s_ashr_i32 s11, s8, 31
	s_mul_hi_u32 s22, s5, s8
	s_mul_i32 s11, s5, s11
	s_add_i32 s23, s22, s11
	s_mul_i32 s22, s5, s8
	s_lshl_b64 s[22:23], s[22:23], 1
	s_add_u32 s20, s20, s22
	v_add_lshl_u32 v6, v1, s40, 7
	s_addc_u32 s21, s21, s23
	v_ashrrev_i32_e32 v7, 31, v6
	v_lshl_add_u64 v[6:7], v[6:7], 1, s[20:21]
	v_mov_b32_e32 v83, 0
	v_lshl_add_u64 v[6:7], v[6:7], 0, v[82:83]
	global_load_dwordx4 v[6:9], v[6:7], off
	v_and_b32_e32 v10, 3, v0
	v_lshlrev_b32_e32 v11, 9, v84
	v_lshlrev_b32_e32 v1, 5, v1
	;; [unrolled: 1-line block ×3, first 2 shown]
	v_and_b32_e32 v11, 0x1800, v11
	v_or3_b32 v1, v11, v10, v1
	s_waitcnt vmcnt(0)
	ds_write_b128 v1, v[6:9]
.LBB257_11:
	s_or_b64 exec, exec, s[16:17]
	s_waitcnt lgkmcnt(0)
	s_mul_i32 s4, s4, s10
	s_mov_b32 s5, 0
	s_lshl_b64 s[4:5], s[4:5], 1
	s_add_u32 s10, s14, s4
	v_lshlrev_b32_e32 v1, 4, v0
	s_addc_u32 s11, s15, s5
	v_and_b32_e32 v86, 0xf0, v1
	v_mov_b32_e32 v87, 0
	v_lshl_add_u64 v[6:7], s[10:11], 0, v[86:87]
	s_waitcnt vmcnt(3)
	v_mad_i64_i32 v[8:9], s[10:11], v5, s9, 0
	s_waitcnt vmcnt(2)
	v_mad_i64_i32 v[4:5], s[10:11], v4, s9, 0
	v_lshl_add_u64 v[8:9], v[8:9], 1, v[6:7]
	v_and_b32_e32 v86, 0x300, v1
	v_lshl_add_u64 v[4:5], v[4:5], 1, v[6:7]
	v_lshl_add_u64 v[8:9], v[8:9], 0, v[86:87]
	;; [unrolled: 1-line block ×3, first 2 shown]
	s_barrier
	global_load_dwordx4 v[78:81], v[8:9], off
	global_load_dwordx4 v[74:77], v[8:9], off offset:1024
	global_load_dwordx4 v[70:73], v[8:9], off offset:2048
	;; [unrolled: 1-line block ×3, first 2 shown]
	global_load_dwordx4 v[66:69], v[4:5], off
	global_load_dwordx4 v[62:65], v[4:5], off offset:1024
	global_load_dwordx4 v[58:61], v[4:5], off offset:2048
	;; [unrolled: 1-line block ×3, first 2 shown]
	s_waitcnt vmcnt(9)
	v_mad_i64_i32 v[4:5], s[10:11], v3, s9, 0
	s_waitcnt vmcnt(8)
	v_mad_i64_i32 v[2:3], s[10:11], v2, s9, 0
	v_lshl_add_u64 v[4:5], v[4:5], 1, v[6:7]
	v_lshl_add_u64 v[2:3], v[2:3], 1, v[6:7]
	;; [unrolled: 1-line block ×4, first 2 shown]
	global_load_dwordx4 v[30:33], v[4:5], off
	global_load_dwordx4 v[26:29], v[4:5], off offset:1024
	global_load_dwordx4 v[22:25], v[4:5], off offset:2048
	;; [unrolled: 1-line block ×3, first 2 shown]
	global_load_dwordx4 v[6:9], v[34:35], off
	s_nop 0
	global_load_dwordx4 v[2:5], v[34:35], off offset:1024
	global_load_dwordx4 v[38:41], v[34:35], off offset:2048
	s_nop 0
	global_load_dwordx4 v[34:37], v[34:35], off offset:3072
	v_add_u32_e32 v42, -10, v84
	v_cmp_gt_u32_e32 vcc, 10, v84
	v_and_b32_e32 v83, 63, v0
	v_mov_b32_e32 v89, 0
	v_cndmask_b32_e32 v42, v42, v84, vcc
	v_lshlrev_b32_e32 v42, 5, v42
	v_lshl_add_u32 v42, v88, 9, v42
	ds_read_b128 v[54:57], v42
	ds_read_b128 v[50:53], v42 offset:2048
	ds_read_b128 v[46:49], v42 offset:4096
	;; [unrolled: 1-line block ×3, first 2 shown]
	s_and_saveexec_b64 s[10:11], vcc
	s_cbranch_execz .LBB257_13
; %bb.12:
	s_load_dwordx2 s[14:15], s[0:1], 0x40
	v_add_u32_e32 v90, s40, v84
	v_ashrrev_i32_e32 v91, 31, v90
	s_waitcnt lgkmcnt(0)
	v_lshl_add_u64 v[90:91], v[90:91], 2, s[14:15]
	global_load_dword v89, v[90:91], off
.LBB257_13:
	s_or_b64 exec, exec, s[10:11]
	s_waitcnt vmcnt(15) lgkmcnt(3)
	v_mfma_f32_16x16x16_f16 v[90:93], v[78:79], v[54:55], 0
	s_add_u32 s4, s12, s4
	s_addc_u32 s5, s13, s5
	s_mov_b32 s33, 0xff7fffff
	v_mfma_f32_16x16x16_f16 v[78:81], v[80:81], v[56:57], v[90:93]
	s_waitcnt vmcnt(14) lgkmcnt(2)
	v_mfma_f32_16x16x16_f16 v[78:81], v[74:75], v[50:51], v[78:81]
	s_nop 0
	v_lshl_or_b32 v90, v85, 4, v84
	v_lshlrev_b32_e32 v86, 5, v90
	v_mfma_f32_16x16x16_f16 v[74:77], v[76:77], v[52:53], v[78:81]
	s_waitcnt vmcnt(13) lgkmcnt(1)
	v_mfma_f32_16x16x16_f16 v[74:77], v[70:71], v[46:47], v[74:77]
	v_mfma_f32_16x16x16_f16 v[70:73], v[72:73], v[48:49], v[74:77]
	s_waitcnt vmcnt(11)
	v_mfma_f32_16x16x16_f16 v[74:77], v[66:67], v[54:55], 0
	v_mfma_f32_16x16x16_f16 v[66:69], v[68:69], v[56:57], v[74:77]
	s_nop 5
	v_and_or_b32 v74, v0, 48, s18
	s_waitcnt lgkmcnt(0)
	v_mfma_f32_16x16x16_f16 v[70:73], v[10:11], v[42:43], v[70:73]
	v_ashrrev_i32_e32 v10, 4, v74
	v_mov_b32_e32 v75, s19
	v_cmp_gt_i32_e32 vcc, s27, v74
	s_waitcnt vmcnt(10)
	v_mfma_f32_16x16x16_f16 v[66:69], v[62:63], v[50:51], v[66:69]
	v_cndmask_b32_e32 v10, v75, v10, vcc
	v_ashrrev_i32_e32 v11, 31, v10
	v_lshl_add_u64 v[10:11], v[10:11], 2, s[6:7]
	global_load_dword v76, v[10:11], off
	v_mfma_f32_16x16x16_f16 v[62:65], v[64:65], v[52:53], v[66:69]
	v_or_b32_e32 v10, 64, v74
	v_ashrrev_i32_e32 v11, 4, v10
	v_cmp_gt_i32_e32 vcc, s27, v10
	s_waitcnt vmcnt(10)
	v_mfma_f32_16x16x16_f16 v[62:65], v[58:59], v[46:47], v[62:65]
	v_cndmask_b32_e32 v10, v75, v11, vcc
	v_ashrrev_i32_e32 v11, 31, v10
	v_lshl_add_u64 v[10:11], v[10:11], 2, s[6:7]
	global_load_dword v77, v[10:11], off
	v_or_b32_e32 v10, 0x80, v74
	v_mfma_f32_16x16x16_f16 v[58:61], v[60:61], v[48:49], v[62:65]
	v_ashrrev_i32_e32 v11, 4, v10
	v_cmp_gt_i32_e32 vcc, s27, v10
	s_waitcnt vmcnt(9)
	v_mfma_f32_16x16x16_f16 v[62:65], v[30:31], v[54:55], 0
	v_cndmask_b32_e32 v10, v75, v11, vcc
	v_ashrrev_i32_e32 v11, 31, v10
	v_lshl_add_u64 v[10:11], v[10:11], 2, s[6:7]
	v_mfma_f32_16x16x16_f16 v[30:33], v[32:33], v[56:57], v[62:65]
	s_nop 2
	global_load_dword v64, v[10:11], off
	v_or_b32_e32 v10, 0xc0, v74
	v_ashrrev_i32_e32 v11, 4, v10
	v_cmp_gt_i32_e32 vcc, s27, v10
	s_waitcnt vmcnt(9)
	v_mfma_f32_16x16x16_f16 v[30:33], v[26:27], v[50:51], v[30:33]
	v_lshl_add_u64 v[62:63], s[4:5], 0, v[86:87]
	v_cndmask_b32_e32 v10, v75, v11, vcc
	v_ashrrev_i32_e32 v11, 31, v10
	v_lshl_add_u64 v[10:11], v[10:11], 2, s[6:7]
	global_load_dword v65, v[10:11], off
	v_mfma_f32_16x16x16_f16 v[26:29], v[28:29], v[52:53], v[30:33]
	s_load_dword s6, s[0:1], 0x1c
	v_or_b32_e32 v86, 0x800, v86
	s_waitcnt vmcnt(3)
	v_mad_i64_i32 v[10:11], s[10:11], v76, s9, 0
	v_mfma_f32_16x16x16_f16 v[26:29], v[22:23], v[46:47], v[26:29]
	v_lshlrev_b64 v[74:75], 1, v[10:11]
	v_mfma_f32_16x16x16_f16 v[66:69], v[12:13], v[44:45], v[70:73]
	v_mfma_f32_16x16x16_f16 v[10:13], v[24:25], v[48:49], v[26:29]
	;; [unrolled: 1-line block ×3, first 2 shown]
	v_lshl_add_u64 v[14:15], v[62:63], 0, v[74:75]
	s_waitcnt lgkmcnt(0)
	s_nop 2
	v_pk_mul_f32 v[78:79], s[6:7], v[68:69] op_sel_hi:[0,1]
	v_mfma_f32_16x16x16_f16 v[10:13], v[18:19], v[42:43], v[10:13]
	v_mfma_f32_16x16x16_f16 v[70:73], v[16:17], v[44:45], v[30:33]
	s_nop 2
	global_load_dwordx4 v[30:33], v[14:15], off
	global_load_dwordx4 v[26:29], v[14:15], off offset:16
	s_waitcnt vmcnt(4)
	v_mad_i64_i32 v[14:15], s[10:11], v77, s9, 0
	v_lshlrev_b64 v[58:59], 1, v[14:15]
	v_mfma_f32_16x16x16_f16 v[92:95], v[20:21], v[44:45], v[10:13]
	v_pk_mul_f32 v[76:77], s[6:7], v[70:71] op_sel_hi:[0,1]
	s_nop 1
	v_lshl_add_u64 v[10:11], v[62:63], 0, v[58:59]
	global_load_dwordx4 v[22:25], v[10:11], off
	global_load_dwordx4 v[18:21], v[10:11], off offset:16
	v_mfma_f32_16x16x16_f16 v[10:13], v[6:7], v[54:55], 0
	s_waitcnt vmcnt(5)
	v_mad_i64_i32 v[6:7], s[10:11], v64, s9, 0
	v_lshlrev_b64 v[54:55], 1, v[6:7]
	v_mfma_f32_16x16x16_f16 v[6:9], v[8:9], v[56:57], v[10:13]
	v_pk_mul_f32 v[70:71], s[6:7], v[94:95] op_sel_hi:[0,1]
	v_mfma_f32_16x16x16_f16 v[6:9], v[2:3], v[50:51], v[6:9]
	s_waitcnt vmcnt(4)
	v_mad_i64_i32 v[2:3], s[8:9], v65, s9, 0
	v_lshlrev_b64 v[60:61], 1, v[2:3]
	v_mfma_f32_16x16x16_f16 v[50:53], v[4:5], v[52:53], v[6:9]
	v_lshl_add_u64 v[10:11], v[62:63], 0, v[54:55]
	v_lshl_add_u64 v[2:3], v[62:63], 0, v[60:61]
	v_pk_mul_f32 v[62:63], s[6:7], v[66:67] op_sel_hi:[0,1]
	v_mfma_f32_16x16x16_f16 v[50:53], v[38:39], v[46:47], v[50:53]
	v_lshl_add_u64 v[64:65], s[4:5], 0, v[86:87]
	v_lshl_add_u64 v[38:39], v[64:65], 0, v[74:75]
	v_pk_mul_f32 v[74:75], s[6:7], v[72:73] op_sel_hi:[0,1]
	v_mfma_f32_16x16x16_f16 v[46:49], v[40:41], v[48:49], v[50:53]
	v_pk_mul_f32 v[72:73], s[6:7], v[92:93] op_sel_hi:[0,1]
	global_load_dwordx4 v[14:17], v[10:11], off
	s_nop 0
	global_load_dwordx4 v[10:13], v[10:11], off offset:16
	s_nop 0
	global_load_dwordx4 v[6:9], v[2:3], off
	s_nop 0
	global_load_dwordx4 v[2:5], v[2:3], off offset:16
	v_mfma_f32_16x16x16_f16 v[40:43], v[34:35], v[42:43], v[46:49]
	v_mfma_f32_16x16x16_f16 v[34:37], v[36:37], v[44:45], v[40:43]
	s_nop 6
	v_pk_mul_f32 v[68:69], s[6:7], v[34:35] op_sel_hi:[0,1]
	v_and_b32_e32 v34, 0xc0, v0
	v_add_u32_e32 v34, s18, v34
	v_lshl_or_b32 v34, v88, 2, v34
	v_or_b32_e32 v35, 1, v34
	v_pk_mul_f32 v[66:67], s[6:7], v[36:37] op_sel_hi:[0,1]
	v_subrev_u32_e32 v36, s27, v35
	v_add_u32_e32 v40, 1, v36
	v_add_u32_e32 v41, 2, v36
	v_cvt_f32_i32_e32 v37, v36
	v_cvt_f32_i32_e32 v40, v40
	;; [unrolled: 1-line block ×3, first 2 shown]
	v_add_u32_e32 v42, 3, v36
	v_fma_f32 v62, v89, v37, v62
	v_fmac_f32_e32 v63, v89, v40
	v_fma_f32 v78, v89, v41, v78
	v_add_u32_e32 v37, 16, v36
	v_add_u32_e32 v40, 17, v36
	;; [unrolled: 1-line block ×3, first 2 shown]
	v_cvt_f32_i32_e32 v42, v42
	v_cvt_f32_i32_e32 v37, v37
	;; [unrolled: 1-line block ×4, first 2 shown]
	v_fmac_f32_e32 v79, v89, v42
	v_add_u32_e32 v42, 19, v36
	v_fma_f32 v76, v89, v37, v76
	v_fmac_f32_e32 v77, v89, v40
	v_fma_f32 v74, v89, v41, v74
	v_add_u32_e32 v37, 32, v36
	v_add_u32_e32 v40, 33, v36
	;; [unrolled: 1-line block ×3, first 2 shown]
	v_cvt_f32_i32_e32 v42, v42
	v_cvt_f32_i32_e32 v37, v37
	;; [unrolled: 1-line block ×4, first 2 shown]
	v_fmac_f32_e32 v75, v89, v42
	v_add_u32_e32 v42, 35, v36
	v_fma_f32 v72, v89, v37, v72
	v_fmac_f32_e32 v73, v89, v40
	v_fma_f32 v70, v89, v41, v70
	v_add_u32_e32 v37, 48, v36
	v_add_u32_e32 v40, 49, v36
	;; [unrolled: 1-line block ×4, first 2 shown]
	v_cvt_f32_i32_e32 v36, v36
	v_cvt_f32_i32_e32 v37, v37
	v_cvt_f32_i32_e32 v40, v40
	v_cmp_gt_i32_e64 s[28:29], s27, v34
	v_fmac_f32_e32 v67, v89, v36
	v_mov_b32_e32 v36, 0xff7fffff
	v_cmp_gt_i32_e64 s[30:31], s27, v35
	v_fma_f32 v68, v89, v37, v68
	v_cndmask_b32_e64 v37, v36, v62, s[28:29]
	v_cndmask_b32_e64 v35, v36, v63, s[30:31]
	v_fmac_f32_e32 v69, v89, v40
	v_max3_f32 v35, v37, s33, v35
	v_or_b32_e32 v37, 2, v34
	v_or_b32_e32 v40, 3, v34
	v_cmp_gt_i32_e64 s[34:35], s27, v37
	v_cmp_gt_i32_e64 s[36:37], s27, v40
	v_cvt_f32_i32_e32 v42, v42
	v_cndmask_b32_e64 v37, v36, v78, s[34:35]
	v_cndmask_b32_e64 v40, v36, v79, s[36:37]
	v_max3_f32 v35, v35, v37, v40
	v_or_b32_e32 v37, 16, v34
	v_or_b32_e32 v40, 17, v34
	v_cmp_gt_i32_e64 s[22:23], s27, v37
	v_cmp_gt_i32_e64 s[24:25], s27, v40
	v_fmac_f32_e32 v71, v89, v42
	v_cndmask_b32_e64 v37, v36, v76, s[22:23]
	v_cndmask_b32_e64 v40, v36, v77, s[24:25]
	v_max3_f32 v35, v35, v37, v40
	v_or_b32_e32 v37, 18, v34
	v_or_b32_e32 v40, 19, v34
	v_cmp_gt_i32_e64 s[18:19], s27, v37
	v_cmp_gt_i32_e64 s[20:21], s27, v40
	v_cvt_f32_i32_e32 v41, v41
	v_cndmask_b32_e64 v37, v36, v74, s[18:19]
	v_cndmask_b32_e64 v40, v36, v75, s[20:21]
	v_max3_f32 v35, v35, v37, v40
	v_or_b32_e32 v37, 32, v34
	v_or_b32_e32 v40, 33, v34
	v_cmp_gt_i32_e64 s[14:15], s27, v37
	v_cmp_gt_i32_e64 s[16:17], s27, v40
	v_fma_f32 v66, v89, v41, v66
	v_cndmask_b32_e64 v37, v36, v72, s[14:15]
	v_cndmask_b32_e64 v40, v36, v73, s[16:17]
	v_max3_f32 v35, v35, v37, v40
	v_or_b32_e32 v37, 34, v34
	v_or_b32_e32 v40, 35, v34
	v_cmp_gt_i32_e64 s[10:11], s27, v37
	v_cmp_gt_i32_e64 s[12:13], s27, v40
	s_nop 0
	v_cndmask_b32_e64 v37, v36, v70, s[10:11]
	v_cndmask_b32_e64 v40, v36, v71, s[12:13]
	v_max3_f32 v35, v35, v37, v40
	v_or_b32_e32 v37, 48, v34
	v_or_b32_e32 v40, 49, v34
	v_cmp_gt_i32_e64 s[6:7], s27, v37
	v_cmp_gt_i32_e64 s[8:9], s27, v40
	s_nop 0
	v_cndmask_b32_e64 v37, v36, v68, s[6:7]
	v_cndmask_b32_e64 v40, v36, v69, s[8:9]
	v_max3_f32 v35, v35, v37, v40
	v_or_b32_e32 v37, 50, v34
	v_or_b32_e32 v34, 51, v34
	v_cmp_gt_i32_e32 vcc, s27, v37
	v_cmp_gt_i32_e64 s[4:5], s27, v34
	global_load_dwordx4 v[46:49], v[38:39], off
	s_nop 0
	global_load_dwordx4 v[38:41], v[38:39], off offset:16
	v_cndmask_b32_e32 v37, v36, v66, vcc
	v_cndmask_b32_e64 v34, v36, v67, s[4:5]
	v_max3_f32 v50, v35, v37, v34
	v_mbcnt_lo_u32_b32 v34, -1, 0
	v_mbcnt_hi_u32_b32 v51, -1, v34
	v_and_b32_e32 v34, 64, v51
	v_add_u32_e32 v52, 64, v34
	v_xor_b32_e32 v34, 32, v51
	v_cmp_lt_i32_e64 s[38:39], v34, v52
	s_nop 1
	v_cndmask_b32_e64 v34, v51, v34, s[38:39]
	v_lshlrev_b32_e32 v87, 2, v34
	ds_bpermute_b32 v53, v87, v50
	v_lshl_add_u64 v[34:35], v[64:65], 0, v[58:59]
	v_lshl_add_u64 v[58:59], v[64:65], 0, v[60:61]
	global_load_dwordx4 v[42:45], v[34:35], off
	s_nop 0
	global_load_dwordx4 v[34:37], v[34:35], off offset:16
	s_waitcnt lgkmcnt(0)
	v_max_f32_e32 v53, v53, v53
	v_max_f32_e32 v80, v50, v53
	v_xor_b32_e32 v50, 16, v51
	v_cmp_lt_i32_e64 s[38:39], v50, v52
	s_nop 1
	v_cndmask_b32_e64 v50, v51, v50, s[38:39]
	v_lshlrev_b32_e32 v89, 2, v50
	ds_bpermute_b32 v81, v89, v80
	v_lshl_add_u64 v[50:51], v[64:65], 0, v[54:55]
	global_load_dwordx4 v[54:57], v[50:51], off
	s_nop 0
	global_load_dwordx4 v[50:53], v[50:51], off offset:16
	s_waitcnt lgkmcnt(0)
	v_max_f32_e32 v60, v81, v81
	v_max_f32_e32 v86, v80, v60
	v_sub_f32_e32 v60, v62, v86
	v_mul_f32_e32 v60, 0x3fb8aa3b, v60
	v_exp_f32_e32 v80, v60
	v_sub_f32_e32 v60, v63, v86
	v_mul_f32_e32 v60, 0x3fb8aa3b, v60
	v_exp_f32_e32 v81, v60
	global_load_dwordx4 v[62:65], v[58:59], off
	s_nop 0
	global_load_dwordx4 v[58:61], v[58:59], off offset:16
	v_sub_f32_e32 v78, v78, v86
	v_mul_f32_e32 v78, 0x3fb8aa3b, v78
	v_sub_f32_e32 v79, v79, v86
	v_exp_f32_e32 v78, v78
	v_mul_f32_e32 v79, 0x3fb8aa3b, v79
	v_sub_f32_e32 v76, v76, v86
	v_exp_f32_e32 v79, v79
	v_mul_f32_e32 v76, 0x3fb8aa3b, v76
	v_sub_f32_e32 v77, v77, v86
	v_cndmask_b32_e64 v80, 0, v80, s[28:29]
	v_exp_f32_e32 v76, v76
	v_mul_f32_e32 v77, 0x3fb8aa3b, v77
	v_sub_f32_e32 v74, v74, v86
	v_add_f32_e32 v91, 0, v80
	v_cndmask_b32_e64 v81, 0, v81, s[30:31]
	v_exp_f32_e32 v77, v77
	v_mul_f32_e32 v74, 0x3fb8aa3b, v74
	v_sub_f32_e32 v75, v75, v86
	v_add_f32_e32 v91, v91, v81
	;; [unrolled: 5-line block ×10, first 2 shown]
	v_cndmask_b32_e64 v70, 0, v70, s[10:11]
	v_exp_f32_e32 v66, v66
	v_mul_f32_e32 v67, 0x3fb8aa3b, v67
	v_add_f32_e32 v91, v91, v70
	v_cndmask_b32_e64 v71, 0, v71, s[12:13]
	v_exp_f32_e32 v67, v67
	v_add_f32_e32 v91, v91, v71
	v_cndmask_b32_e64 v68, 0, v68, s[6:7]
	v_add_f32_e32 v91, v91, v68
	v_cndmask_b32_e64 v69, 0, v69, s[8:9]
	v_add_f32_e32 v91, v91, v69
	v_cndmask_b32_e32 v66, 0, v66, vcc
	v_add_f32_e32 v91, v91, v66
	v_cndmask_b32_e64 v67, 0, v67, s[4:5]
	v_add_f32_e32 v91, v91, v67
	ds_bpermute_b32 v87, v87, v91
	s_load_dword s7, s[0:1], 0x98
	v_cmp_gt_u32_e32 vcc, 16, v83
	s_waitcnt lgkmcnt(0)
	s_barrier
	v_add_f32_e32 v87, v91, v87
	ds_bpermute_b32 v89, v89, v87
	s_waitcnt lgkmcnt(0)
	s_and_saveexec_b64 s[4:5], vcc
	s_cbranch_execz .LBB257_15
; %bb.14:
	v_add_f32_e32 v83, v87, v89
	v_lshlrev_b32_e32 v87, 2, v90
	ds_write2st64_b32 v87, v86, v83 offset1:1
.LBB257_15:
	s_or_b64 exec, exec, s[4:5]
	v_lshlrev_b32_e32 v89, 2, v84
	s_load_dword s6, s[0:1], 0x94
	s_waitcnt lgkmcnt(0)
	s_barrier
	ds_read2_b32 v[86:87], v89 offset1:16
	ds_read2_b32 v[90:91], v89 offset0:32 offset1:48
	ds_read2_b32 v[92:93], v89 offset0:64 offset1:80
	;; [unrolled: 1-line block ×3, first 2 shown]
	s_mul_i32 s7, s7, 10
	s_waitcnt lgkmcnt(3)
	v_max3_f32 v83, v86, s33, v87
	s_waitcnt lgkmcnt(2)
	v_max3_f32 v83, v83, v90, v91
	v_sub_f32_e32 v86, v86, v83
	v_mul_f32_e32 v86, 0x3fb8aa3b, v86
	v_exp_f32_e32 v1, v86
	v_sub_f32_e32 v86, v87, v83
	v_mul_f32_e32 v86, 0x3fb8aa3b, v86
	v_exp_f32_e32 v87, v86
	;; [unrolled: 3-line block ×4, first 2 shown]
	s_waitcnt lgkmcnt(1)
	v_fma_f32 v86, v1, v92, 0
	v_fmac_f32_e32 v86, v87, v93
	s_waitcnt lgkmcnt(0)
	v_fmac_f32_e32 v86, v90, v94
	v_fmac_f32_e32 v86, v89, v95
	v_add_f32_e32 v91, 0x358637bd, v86
	v_div_scale_f32 v92, s[4:5], v91, v91, 1.0
	v_rcp_f32_e32 v93, v92
	s_barrier
	v_fma_f32 v94, -v92, v93, 1.0
	v_fmac_f32_e32 v93, v94, v93
	v_div_scale_f32 v94, vcc, 1.0, v91, 1.0
	v_mul_f32_e32 v95, v94, v93
	v_fma_f32 v88, -v92, v95, v94
	v_fmac_f32_e32 v95, v88, v93
	v_fma_f32 v88, -v92, v95, v94
	v_div_fmas_f32 v88, v88, v93, v95
	v_cmp_eq_u32_e32 vcc, 1, v85
	v_div_fixup_f32 v88, v88, v91, 1.0
	s_nop 0
	v_cndmask_b32_e32 v1, v1, v87, vcc
	v_cmp_eq_u32_e32 vcc, 2, v85
	v_bfe_u32 v87, v0, 4, 2
	s_nop 0
	v_cndmask_b32_e32 v1, v1, v90, vcc
	v_cmp_eq_u32_e32 vcc, 3, v85
	s_nop 1
	v_cndmask_b32_e32 v1, v1, v89, vcc
	v_mul_f32_e32 v90, v1, v88
	v_pk_mul_f32 v[78:79], v[90:91], v[78:79] op_sel_hi:[0,1]
	v_cvt_f16_f32_e32 v78, v78
	v_cvt_f16_f32_e32 v79, v79
	v_pk_mul_f32 v[80:81], v[90:91], v[80:81] op_sel_hi:[0,1]
	v_cvt_f16_f32_e32 v1, v80
	v_cvt_f16_f32_e32 v80, v81
	v_pk_mul_f32 v[74:75], v[90:91], v[74:75] op_sel_hi:[0,1]
	v_pk_mul_f32 v[76:77], v[90:91], v[76:77] op_sel_hi:[0,1]
	v_pack_b32_f16 v81, v78, v79
	v_cvt_f16_f32_e32 v76, v76
	v_cvt_f16_f32_e32 v77, v77
	;; [unrolled: 1-line block ×4, first 2 shown]
	v_pack_b32_f16 v80, v1, v80
	v_lshlrev_b32_e32 v1, 3, v87
	v_lshlrev_b32_e32 v78, 5, v84
	;; [unrolled: 1-line block ×3, first 2 shown]
	v_pk_mul_f32 v[70:71], v[90:91], v[70:71] op_sel_hi:[0,1]
	v_pk_mul_f32 v[72:73], v[90:91], v[72:73] op_sel_hi:[0,1]
	;; [unrolled: 1-line block ×4, first 2 shown]
	v_or3_b32 v74, v74, v78, v1
	v_pack_b32_f16 v76, v76, v77
	v_pack_b32_f16 v77, v79, v75
	v_cvt_f16_f32_e32 v1, v72
	v_cvt_f16_f32_e32 v72, v73
	;; [unrolled: 1-line block ×8, first 2 shown]
	v_pack_b32_f16 v66, v1, v72
	v_pack_b32_f16 v67, v70, v71
	;; [unrolled: 1-line block ×4, first 2 shown]
	v_cmp_gt_u32_e32 vcc, 10, v0
	ds_write2st64_b64 v74, v[80:81], v[76:77] offset1:1
	ds_write2st64_b64 v74, v[66:67], v[68:69] offset0:2 offset1:3
	s_and_saveexec_b64 s[4:5], vcc
	s_cbranch_execz .LBB257_17
; %bb.16:
	s_mov_b32 s41, 0
	v_mov_b32_e32 v85, 0
	v_lshl_add_u64 v[66:67], s[40:41], 0, v[84:85]
	v_mov_b32_e32 v1, s7
	v_mad_u64_u32 v[66:67], s[12:13], s2, v1, v[66:67]
	s_mul_i32 s3, s3, s7
	v_mov_b32_e32 v68, s26
	v_mov_b32_e32 v69, v85
	s_load_dwordx4 s[8:11], s[0:1], 0x58
	v_add_u32_e32 v1, s3, v67
	v_mad_u64_u32 v[66:67], s[12:13], v66, s6, v[68:69]
	v_mov_b32_e32 v68, v67
	v_mad_u64_u32 v[68:69], s[12:13], v1, s6, v[68:69]
	v_mov_b32_e32 v67, v68
	v_lshlrev_b64 v[66:67], 2, v[66:67]
	s_waitcnt lgkmcnt(0)
	v_lshl_add_u64 v[68:69], s[10:11], 0, v[66:67]
	v_lshl_add_u64 v[66:67], s[8:9], 0, v[66:67]
	global_store_dword v[68:69], v83, off
	global_store_dword v[66:67], v86, off
.LBB257_17:
	s_or_b64 exec, exec, s[4:5]
	v_lshl_or_b32 v1, v87, 9, v78
	s_waitcnt lgkmcnt(0)
	s_barrier
	ds_read_b128 v[70:73], v1
	ds_read_b128 v[66:69], v1 offset:16
	s_waitcnt vmcnt(15) lgkmcnt(1)
	v_mfma_f32_16x16x16_f16 v[76:79], v[30:31], v[70:71], 0
	s_mov_b32 s3, 0
	v_cmp_gt_u32_e32 vcc, 64, v0
	v_mfma_f32_16x16x16_f16 v[30:33], v[32:33], v[72:73], v[76:79]
	s_waitcnt vmcnt(14) lgkmcnt(0)
	v_mfma_f32_16x16x16_f16 v[30:33], v[26:27], v[66:67], v[30:33]
	v_mfma_f32_16x16x16_f16 v[26:29], v[28:29], v[68:69], v[30:33]
	s_nop 5
	ds_read_b128 v[30:33], v1 offset:2048
	ds_read_b128 v[76:79], v1 offset:2064
	s_waitcnt vmcnt(13) lgkmcnt(1)
	v_mfma_f32_16x16x16_f16 v[26:29], v[22:23], v[30:31], v[26:29]
	v_mfma_f32_16x16x16_f16 v[22:25], v[24:25], v[32:33], v[26:29]
	s_waitcnt vmcnt(12) lgkmcnt(0)
	v_mfma_f32_16x16x16_f16 v[22:25], v[18:19], v[76:77], v[22:25]
	v_mfma_f32_16x16x16_f16 v[18:21], v[20:21], v[78:79], v[22:25]
	s_nop 5
	ds_read_b128 v[22:25], v1 offset:4096
	ds_read_b128 v[26:29], v1 offset:4112
	s_waitcnt vmcnt(11) lgkmcnt(1)
	v_mfma_f32_16x16x16_f16 v[18:21], v[14:15], v[22:23], v[18:21]
	v_mfma_f32_16x16x16_f16 v[14:17], v[16:17], v[24:25], v[18:21]
	s_waitcnt vmcnt(10) lgkmcnt(0)
	v_mfma_f32_16x16x16_f16 v[14:17], v[10:11], v[26:27], v[14:17]
	v_mfma_f32_16x16x16_f16 v[10:13], v[12:13], v[28:29], v[14:17]
	s_nop 5
	ds_read_b128 v[14:17], v1 offset:6144
	ds_read_b128 v[18:21], v1 offset:6160
	s_waitcnt lgkmcnt(0)
	s_barrier
	s_waitcnt vmcnt(9)
	v_mfma_f32_16x16x16_f16 v[10:13], v[6:7], v[14:15], v[10:13]
	v_mfma_f32_16x16x16_f16 v[6:9], v[8:9], v[16:17], v[10:13]
	s_waitcnt vmcnt(8)
	v_mfma_f32_16x16x16_f16 v[6:9], v[2:3], v[18:19], v[6:9]
	v_mfma_f32_16x16x16_f16 v[2:5], v[4:5], v[20:21], v[6:9]
	s_waitcnt vmcnt(7)
	v_mfma_f32_16x16x16_f16 v[6:9], v[46:47], v[70:71], 0
	v_mfma_f32_16x16x16_f16 v[6:9], v[48:49], v[72:73], v[6:9]
	s_nop 3
	v_cvt_f16_f32_e32 v1, v2
	v_cvt_f16_f32_e32 v10, v3
	;; [unrolled: 1-line block ×3, first 2 shown]
	s_waitcnt vmcnt(6)
	v_mfma_f32_16x16x16_f16 v[6:9], v[38:39], v[66:67], v[6:9]
	v_cvt_f16_f32_e32 v12, v5
	v_mfma_f32_16x16x16_f16 v[6:9], v[40:41], v[68:69], v[6:9]
	s_waitcnt vmcnt(5)
	v_mfma_f32_16x16x16_f16 v[6:9], v[42:43], v[30:31], v[6:9]
	v_mfma_f32_16x16x16_f16 v[6:9], v[44:45], v[32:33], v[6:9]
	s_waitcnt vmcnt(4)
	v_mfma_f32_16x16x16_f16 v[6:9], v[34:35], v[76:77], v[6:9]
	;; [unrolled: 3-line block ×6, first 2 shown]
	v_mfma_f32_16x16x16_f16 v[2:5], v[60:61], v[20:21], v[6:9]
	s_nop 6
	v_cvt_f16_f32_e32 v6, v2
	v_cvt_f16_f32_e32 v7, v3
	;; [unrolled: 1-line block ×4, first 2 shown]
	v_pack_b32_f16 v2, v1, v10
	v_pack_b32_f16 v3, v11, v12
	;; [unrolled: 1-line block ×4, first 2 shown]
	ds_write2st64_b64 v74, v[2:3], v[4:5] offset1:1
	s_waitcnt lgkmcnt(0)
	s_barrier
	s_and_saveexec_b64 s[4:5], vcc
	s_cbranch_execz .LBB257_20
; %bb.18:
	s_load_dwordx2 s[4:5], s[0:1], 0x68
	s_lshl_b32 s0, s6, 7
	s_mul_i32 s1, s7, s2
	v_lshlrev_b32_e32 v3, 6, v84
	s_mul_hi_u32 s7, s1, s0
	s_mul_i32 s6, s1, s0
	v_lshlrev_b32_e32 v2, 4, v0
	v_lshl_or_b32 v0, v0, 10, v3
	s_lshl_b64 s[6:7], s[6:7], 1
	v_lshlrev_b32_e32 v1, 5, v87
	v_and_b32_e32 v2, 16, v2
	v_and_b32_e32 v0, 0x1a00, v0
	s_waitcnt lgkmcnt(0)
	s_add_u32 s1, s4, s6
	v_or3_b32 v2, v0, v1, v2
	s_addc_u32 s4, s5, s7
	s_lshl_b32 s2, s26, 7
	s_lshl_b64 s[2:3], s[2:3], 1
	ds_read_b128 v[4:7], v2 offset:128
	ds_read_b128 v[8:11], v2
	s_add_u32 s2, s1, s2
	s_addc_u32 s3, s4, s3
	v_mov_b32_e32 v83, 0
	v_add_u32_e32 v14, s40, v87
	v_lshl_add_u64 v[0:1], s[2:3], 0, v[82:83]
	v_mad_u64_u32 v[12:13], s[2:3], v14, s0, 0
	v_lshl_add_u64 v[12:13], v[12:13], 1, v[0:1]
	s_waitcnt lgkmcnt(0)
	global_store_dwordx4 v[12:13], v[8:11], off
	v_or_b32_e32 v3, 8, v87
	v_cmp_gt_u32_e32 vcc, 10, v3
	v_add_u32_e32 v8, 4, v14
	v_mad_u64_u32 v[8:9], s[2:3], v8, s0, 0
	v_lshl_add_u64 v[8:9], v[8:9], 1, v[0:1]
	global_store_dwordx4 v[8:9], v[4:7], off
	s_and_b64 exec, exec, vcc
	s_cbranch_execz .LBB257_20
; %bb.19:
	ds_read_b128 v[4:7], v2 offset:256
	v_add_u32_e32 v2, s40, v3
	v_mad_u64_u32 v[2:3], s[0:1], v2, s0, 0
	v_lshl_add_u64 v[0:1], v[2:3], 1, v[0:1]
	s_waitcnt lgkmcnt(0)
	global_store_dwordx4 v[0:1], v[4:7], off
.LBB257_20:
	s_endpgm
	.section	.rodata,"a",@progbits
	.p2align	6, 0x0
	.amdhsa_kernel _Z39paged_attention_ll4mi_QKV_mfma16_kernelIDF16_DF16_LN4vllm18Fp8KVCacheDataTypeE0EDF16_Li16ELi128ELi256ELb1ELi10EEvPKT_PKT0_S7_ifPKiS9_S9_iPKfiiiPfSC_PS2_PT2_iSB_SB_
		.amdhsa_group_segment_fixed_size 8192
		.amdhsa_private_segment_fixed_size 0
		.amdhsa_kernarg_size 400
		.amdhsa_user_sgpr_count 2
		.amdhsa_user_sgpr_dispatch_ptr 0
		.amdhsa_user_sgpr_queue_ptr 0
		.amdhsa_user_sgpr_kernarg_segment_ptr 1
		.amdhsa_user_sgpr_dispatch_id 0
		.amdhsa_user_sgpr_kernarg_preload_length 0
		.amdhsa_user_sgpr_kernarg_preload_offset 0
		.amdhsa_user_sgpr_private_segment_size 0
		.amdhsa_uses_dynamic_stack 0
		.amdhsa_enable_private_segment 0
		.amdhsa_system_sgpr_workgroup_id_x 1
		.amdhsa_system_sgpr_workgroup_id_y 1
		.amdhsa_system_sgpr_workgroup_id_z 1
		.amdhsa_system_sgpr_workgroup_info 0
		.amdhsa_system_vgpr_workitem_id 0
		.amdhsa_next_free_vgpr 96
		.amdhsa_next_free_sgpr 42
		.amdhsa_accum_offset 96
		.amdhsa_reserve_vcc 1
		.amdhsa_float_round_mode_32 0
		.amdhsa_float_round_mode_16_64 0
		.amdhsa_float_denorm_mode_32 3
		.amdhsa_float_denorm_mode_16_64 3
		.amdhsa_dx10_clamp 1
		.amdhsa_ieee_mode 1
		.amdhsa_fp16_overflow 0
		.amdhsa_tg_split 0
		.amdhsa_exception_fp_ieee_invalid_op 0
		.amdhsa_exception_fp_denorm_src 0
		.amdhsa_exception_fp_ieee_div_zero 0
		.amdhsa_exception_fp_ieee_overflow 0
		.amdhsa_exception_fp_ieee_underflow 0
		.amdhsa_exception_fp_ieee_inexact 0
		.amdhsa_exception_int_div_zero 0
	.end_amdhsa_kernel
	.section	.text._Z39paged_attention_ll4mi_QKV_mfma16_kernelIDF16_DF16_LN4vllm18Fp8KVCacheDataTypeE0EDF16_Li16ELi128ELi256ELb1ELi10EEvPKT_PKT0_S7_ifPKiS9_S9_iPKfiiiPfSC_PS2_PT2_iSB_SB_,"axG",@progbits,_Z39paged_attention_ll4mi_QKV_mfma16_kernelIDF16_DF16_LN4vllm18Fp8KVCacheDataTypeE0EDF16_Li16ELi128ELi256ELb1ELi10EEvPKT_PKT0_S7_ifPKiS9_S9_iPKfiiiPfSC_PS2_PT2_iSB_SB_,comdat
.Lfunc_end257:
	.size	_Z39paged_attention_ll4mi_QKV_mfma16_kernelIDF16_DF16_LN4vllm18Fp8KVCacheDataTypeE0EDF16_Li16ELi128ELi256ELb1ELi10EEvPKT_PKT0_S7_ifPKiS9_S9_iPKfiiiPfSC_PS2_PT2_iSB_SB_, .Lfunc_end257-_Z39paged_attention_ll4mi_QKV_mfma16_kernelIDF16_DF16_LN4vllm18Fp8KVCacheDataTypeE0EDF16_Li16ELi128ELi256ELb1ELi10EEvPKT_PKT0_S7_ifPKiS9_S9_iPKfiiiPfSC_PS2_PT2_iSB_SB_
                                        ; -- End function
	.section	.AMDGPU.csdata,"",@progbits
; Kernel info:
; codeLenInByte = 4708
; NumSgprs: 48
; NumVgprs: 96
; NumAgprs: 0
; TotalNumVgprs: 96
; ScratchSize: 0
; MemoryBound: 0
; FloatMode: 240
; IeeeMode: 1
; LDSByteSize: 8192 bytes/workgroup (compile time only)
; SGPRBlocks: 5
; VGPRBlocks: 11
; NumSGPRsForWavesPerEU: 48
; NumVGPRsForWavesPerEU: 96
; AccumOffset: 96
; Occupancy: 5
; WaveLimiterHint : 1
; COMPUTE_PGM_RSRC2:SCRATCH_EN: 0
; COMPUTE_PGM_RSRC2:USER_SGPR: 2
; COMPUTE_PGM_RSRC2:TRAP_HANDLER: 0
; COMPUTE_PGM_RSRC2:TGID_X_EN: 1
; COMPUTE_PGM_RSRC2:TGID_Y_EN: 1
; COMPUTE_PGM_RSRC2:TGID_Z_EN: 1
; COMPUTE_PGM_RSRC2:TIDIG_COMP_CNT: 0
; COMPUTE_PGM_RSRC3_GFX90A:ACCUM_OFFSET: 23
; COMPUTE_PGM_RSRC3_GFX90A:TG_SPLIT: 0
	.section	.text._Z39paged_attention_ll4mi_QKV_mfma16_kernelIDF16_DF16_LN4vllm18Fp8KVCacheDataTypeE0EDF16_Li16ELi128ELi256ELb1ELi11EEvPKT_PKT0_S7_ifPKiS9_S9_iPKfiiiPfSC_PS2_PT2_iSB_SB_,"axG",@progbits,_Z39paged_attention_ll4mi_QKV_mfma16_kernelIDF16_DF16_LN4vllm18Fp8KVCacheDataTypeE0EDF16_Li16ELi128ELi256ELb1ELi11EEvPKT_PKT0_S7_ifPKiS9_S9_iPKfiiiPfSC_PS2_PT2_iSB_SB_,comdat
	.protected	_Z39paged_attention_ll4mi_QKV_mfma16_kernelIDF16_DF16_LN4vllm18Fp8KVCacheDataTypeE0EDF16_Li16ELi128ELi256ELb1ELi11EEvPKT_PKT0_S7_ifPKiS9_S9_iPKfiiiPfSC_PS2_PT2_iSB_SB_ ; -- Begin function _Z39paged_attention_ll4mi_QKV_mfma16_kernelIDF16_DF16_LN4vllm18Fp8KVCacheDataTypeE0EDF16_Li16ELi128ELi256ELb1ELi11EEvPKT_PKT0_S7_ifPKiS9_S9_iPKfiiiPfSC_PS2_PT2_iSB_SB_
	.globl	_Z39paged_attention_ll4mi_QKV_mfma16_kernelIDF16_DF16_LN4vllm18Fp8KVCacheDataTypeE0EDF16_Li16ELi128ELi256ELb1ELi11EEvPKT_PKT0_S7_ifPKiS9_S9_iPKfiiiPfSC_PS2_PT2_iSB_SB_
	.p2align	8
	.type	_Z39paged_attention_ll4mi_QKV_mfma16_kernelIDF16_DF16_LN4vllm18Fp8KVCacheDataTypeE0EDF16_Li16ELi128ELi256ELb1ELi11EEvPKT_PKT0_S7_ifPKiS9_S9_iPKfiiiPfSC_PS2_PT2_iSB_SB_,@function
_Z39paged_attention_ll4mi_QKV_mfma16_kernelIDF16_DF16_LN4vllm18Fp8KVCacheDataTypeE0EDF16_Li16ELi128ELi256ELb1ELi11EEvPKT_PKT0_S7_ifPKiS9_S9_iPKfiiiPfSC_PS2_PT2_iSB_SB_: ; @_Z39paged_attention_ll4mi_QKV_mfma16_kernelIDF16_DF16_LN4vllm18Fp8KVCacheDataTypeE0EDF16_Li16ELi128ELi256ELb1ELi11EEvPKT_PKT0_S7_ifPKiS9_S9_iPKfiiiPfSC_PS2_PT2_iSB_SB_
; %bb.0:
	s_load_dwordx2 s[8:9], s[0:1], 0x30
	s_mov_b32 s26, s3
	s_mov_b64 s[6:7], 0
	s_waitcnt lgkmcnt(0)
	s_cmp_lg_u64 s[8:9], 0
	s_cselect_b64 s[10:11], -1, 0
	s_and_b64 vcc, exec, s[10:11]
	s_cbranch_vccz .LBB258_7
; %bb.1:
	s_add_i32 s12, s2, 1
	s_mov_b32 s13, 0
	s_lshl_b64 s[14:15], s[12:13], 2
	s_add_u32 s14, s8, s14
	s_mov_b32 s3, s13
	s_addc_u32 s15, s9, s15
	s_lshl_b64 s[12:13], s[2:3], 2
	s_add_u32 s12, s8, s12
	s_addc_u32 s13, s9, s13
	s_load_dword s5, s[14:15], 0x0
	s_load_dword s16, s[12:13], 0x0
	s_waitcnt lgkmcnt(0)
	s_sub_i32 s5, s5, s16
	s_cmp_eq_u32 s5, 1
	s_cselect_b64 s[12:13], -1, 0
	s_andn2_b64 vcc, exec, s[6:7]
	s_cbranch_vccnz .LBB258_3
.LBB258_2:
	s_mov_b32 s3, 0
	s_mov_b64 s[12:13], -1
.LBB258_3:
	s_andn2_b64 vcc, exec, s[12:13]
	s_cbranch_vccnz .LBB258_20
; %bb.4:
	s_load_dwordx2 s[6:7], s[0:1], 0x28
	s_lshl_b64 s[12:13], s[2:3], 2
	s_waitcnt lgkmcnt(0)
	s_add_u32 s6, s6, s12
	s_addc_u32 s7, s7, s13
	s_load_dword s27, s[6:7], 0x0
	s_lshl_b32 s18, s26, 8
	s_waitcnt lgkmcnt(0)
	s_cmp_ge_i32 s18, s27
	s_cbranch_scc1 .LBB258_20
; %bb.5:
	s_load_dwordx2 s[6:7], s[0:1], 0x20
	s_load_dword s5, s[0:1], 0x38
	s_add_i32 s14, s27, 15
	s_ashr_i32 s15, s14, 31
	v_and_b32_e32 v1, 0xcf, v0
	s_lshr_b32 s15, s15, 28
	v_add_u32_e32 v1, s18, v1
	s_add_i32 s14, s14, s15
	v_ashrrev_i32_e32 v2, 31, v1
	s_ashr_i32 s19, s14, 4
	v_lshrrev_b32_e32 v4, 28, v2
	s_add_i32 s19, s19, -1
	s_waitcnt lgkmcnt(0)
	s_mul_i32 s14, s2, s5
	s_mov_b32 s15, 0
	v_add_u32_e32 v2, v1, v4
	s_lshl_b64 s[14:15], s[14:15], 2
	v_ashrrev_i32_e32 v2, 4, v2
	v_mov_b32_e32 v5, s19
	v_cmp_gt_i32_e32 vcc, s27, v1
	s_add_u32 s6, s6, s14
	s_addc_u32 s7, s7, s15
	v_cndmask_b32_e32 v2, v5, v2, vcc
	v_ashrrev_i32_e32 v3, 31, v2
	v_lshl_add_u64 v[6:7], v[2:3], 2, s[6:7]
	v_or_b32_e32 v2, 16, v1
	v_add_u32_e32 v3, v2, v4
	v_ashrrev_i32_e32 v3, 4, v3
	v_cmp_gt_i32_e32 vcc, s27, v2
	s_load_dwordx2 s[14:15], s[0:1], 0x8
	s_nop 0
	v_cndmask_b32_e32 v2, v5, v3, vcc
	v_ashrrev_i32_e32 v3, 31, v2
	v_lshl_add_u64 v[8:9], v[2:3], 2, s[6:7]
	v_or_b32_e32 v2, 32, v1
	v_add_u32_e32 v3, v2, v4
	v_ashrrev_i32_e32 v3, 4, v3
	v_cmp_gt_i32_e32 vcc, s27, v2
	v_or_b32_e32 v1, 48, v1
	s_nop 0
	v_cndmask_b32_e32 v2, v5, v3, vcc
	v_ashrrev_i32_e32 v3, 31, v2
	v_lshl_add_u64 v[10:11], v[2:3], 2, s[6:7]
	v_add_u32_e32 v2, v1, v4
	v_ashrrev_i32_e32 v2, 4, v2
	v_cmp_gt_i32_e32 vcc, s27, v1
	s_nop 1
	v_cndmask_b32_e32 v2, v5, v2, vcc
	v_ashrrev_i32_e32 v3, 31, v2
	v_lshl_add_u64 v[12:13], v[2:3], 2, s[6:7]
	global_load_dword v5, v[6:7], off
	global_load_dword v4, v[8:9], off
	;; [unrolled: 1-line block ×4, first 2 shown]
	s_andn2_b64 vcc, exec, s[10:11]
	s_cbranch_vccnz .LBB258_8
; %bb.6:
	s_add_u32 s8, s8, s12
	s_addc_u32 s9, s9, s13
	s_load_dword s5, s[8:9], 0x0
	s_branch .LBB258_9
.LBB258_7:
	s_mov_b64 s[12:13], 0
	s_branch .LBB258_2
.LBB258_8:
	s_mov_b32 s5, s2
.LBB258_9:
	s_load_dwordx2 s[12:13], s[0:1], 0x10
	s_load_dwordx4 s[8:11], s[0:1], 0x48
	v_lshrrev_b32_e32 v85, 6, v0
	v_bfe_u32 v88, v0, 4, 2
	v_and_b32_e32 v84, 15, v0
	v_lshl_or_b32 v1, v85, 2, v88
	v_lshlrev_b32_e32 v6, 3, v84
	s_mul_i32 s40, s4, 11
	v_cmp_gt_u32_e32 vcc, 11, v1
	v_lshlrev_b32_e32 v82, 1, v6
	s_and_saveexec_b64 s[16:17], vcc
	s_cbranch_execz .LBB258_11
; %bb.10:
	s_load_dwordx2 s[20:21], s[0:1], 0x0
	s_waitcnt lgkmcnt(0)
	s_ashr_i32 s11, s8, 31
	s_mul_hi_u32 s22, s5, s8
	s_mul_i32 s11, s5, s11
	s_add_i32 s23, s22, s11
	s_mul_i32 s22, s5, s8
	s_lshl_b64 s[22:23], s[22:23], 1
	s_add_u32 s20, s20, s22
	v_add_lshl_u32 v6, v1, s40, 7
	s_addc_u32 s21, s21, s23
	v_ashrrev_i32_e32 v7, 31, v6
	v_lshl_add_u64 v[6:7], v[6:7], 1, s[20:21]
	v_mov_b32_e32 v83, 0
	v_lshl_add_u64 v[6:7], v[6:7], 0, v[82:83]
	global_load_dwordx4 v[6:9], v[6:7], off
	v_and_b32_e32 v10, 3, v0
	v_lshlrev_b32_e32 v11, 9, v84
	v_lshlrev_b32_e32 v1, 5, v1
	;; [unrolled: 1-line block ×3, first 2 shown]
	v_and_b32_e32 v11, 0x1800, v11
	v_or3_b32 v1, v11, v10, v1
	s_waitcnt vmcnt(0)
	ds_write_b128 v1, v[6:9]
.LBB258_11:
	s_or_b64 exec, exec, s[16:17]
	s_waitcnt lgkmcnt(0)
	s_mul_i32 s4, s4, s10
	s_mov_b32 s5, 0
	s_lshl_b64 s[4:5], s[4:5], 1
	s_add_u32 s10, s14, s4
	v_lshlrev_b32_e32 v1, 4, v0
	s_addc_u32 s11, s15, s5
	v_and_b32_e32 v86, 0xf0, v1
	v_mov_b32_e32 v87, 0
	v_lshl_add_u64 v[6:7], s[10:11], 0, v[86:87]
	s_waitcnt vmcnt(3)
	v_mad_i64_i32 v[8:9], s[10:11], v5, s9, 0
	s_waitcnt vmcnt(2)
	v_mad_i64_i32 v[4:5], s[10:11], v4, s9, 0
	v_lshl_add_u64 v[8:9], v[8:9], 1, v[6:7]
	v_and_b32_e32 v86, 0x300, v1
	v_lshl_add_u64 v[4:5], v[4:5], 1, v[6:7]
	v_lshl_add_u64 v[8:9], v[8:9], 0, v[86:87]
	;; [unrolled: 1-line block ×3, first 2 shown]
	s_barrier
	global_load_dwordx4 v[78:81], v[8:9], off
	global_load_dwordx4 v[74:77], v[8:9], off offset:1024
	global_load_dwordx4 v[70:73], v[8:9], off offset:2048
	;; [unrolled: 1-line block ×3, first 2 shown]
	global_load_dwordx4 v[66:69], v[4:5], off
	global_load_dwordx4 v[62:65], v[4:5], off offset:1024
	global_load_dwordx4 v[58:61], v[4:5], off offset:2048
	;; [unrolled: 1-line block ×3, first 2 shown]
	s_waitcnt vmcnt(9)
	v_mad_i64_i32 v[4:5], s[10:11], v3, s9, 0
	s_waitcnt vmcnt(8)
	v_mad_i64_i32 v[2:3], s[10:11], v2, s9, 0
	v_lshl_add_u64 v[4:5], v[4:5], 1, v[6:7]
	v_lshl_add_u64 v[2:3], v[2:3], 1, v[6:7]
	;; [unrolled: 1-line block ×4, first 2 shown]
	global_load_dwordx4 v[30:33], v[4:5], off
	global_load_dwordx4 v[26:29], v[4:5], off offset:1024
	global_load_dwordx4 v[22:25], v[4:5], off offset:2048
	;; [unrolled: 1-line block ×3, first 2 shown]
	global_load_dwordx4 v[6:9], v[34:35], off
	s_nop 0
	global_load_dwordx4 v[2:5], v[34:35], off offset:1024
	global_load_dwordx4 v[38:41], v[34:35], off offset:2048
	s_nop 0
	global_load_dwordx4 v[34:37], v[34:35], off offset:3072
	v_add_u32_e32 v42, -11, v84
	v_cmp_gt_u32_e32 vcc, 11, v84
	v_and_b32_e32 v83, 63, v0
	v_mov_b32_e32 v89, 0
	v_cndmask_b32_e32 v42, v42, v84, vcc
	v_lshlrev_b32_e32 v42, 5, v42
	v_lshl_add_u32 v42, v88, 9, v42
	ds_read_b128 v[54:57], v42
	ds_read_b128 v[50:53], v42 offset:2048
	ds_read_b128 v[46:49], v42 offset:4096
	;; [unrolled: 1-line block ×3, first 2 shown]
	s_and_saveexec_b64 s[10:11], vcc
	s_cbranch_execz .LBB258_13
; %bb.12:
	s_load_dwordx2 s[14:15], s[0:1], 0x40
	v_add_u32_e32 v90, s40, v84
	v_ashrrev_i32_e32 v91, 31, v90
	s_waitcnt lgkmcnt(0)
	v_lshl_add_u64 v[90:91], v[90:91], 2, s[14:15]
	global_load_dword v89, v[90:91], off
.LBB258_13:
	s_or_b64 exec, exec, s[10:11]
	s_waitcnt vmcnt(15) lgkmcnt(3)
	v_mfma_f32_16x16x16_f16 v[90:93], v[78:79], v[54:55], 0
	s_add_u32 s4, s12, s4
	s_addc_u32 s5, s13, s5
	s_mov_b32 s33, 0xff7fffff
	v_mfma_f32_16x16x16_f16 v[78:81], v[80:81], v[56:57], v[90:93]
	s_waitcnt vmcnt(14) lgkmcnt(2)
	v_mfma_f32_16x16x16_f16 v[78:81], v[74:75], v[50:51], v[78:81]
	s_nop 0
	v_lshl_or_b32 v90, v85, 4, v84
	v_lshlrev_b32_e32 v86, 5, v90
	v_mfma_f32_16x16x16_f16 v[74:77], v[76:77], v[52:53], v[78:81]
	s_waitcnt vmcnt(13) lgkmcnt(1)
	v_mfma_f32_16x16x16_f16 v[74:77], v[70:71], v[46:47], v[74:77]
	v_mfma_f32_16x16x16_f16 v[70:73], v[72:73], v[48:49], v[74:77]
	s_waitcnt vmcnt(11)
	v_mfma_f32_16x16x16_f16 v[74:77], v[66:67], v[54:55], 0
	v_mfma_f32_16x16x16_f16 v[66:69], v[68:69], v[56:57], v[74:77]
	s_nop 5
	v_and_or_b32 v74, v0, 48, s18
	s_waitcnt lgkmcnt(0)
	v_mfma_f32_16x16x16_f16 v[70:73], v[10:11], v[42:43], v[70:73]
	v_ashrrev_i32_e32 v10, 4, v74
	v_mov_b32_e32 v75, s19
	v_cmp_gt_i32_e32 vcc, s27, v74
	s_waitcnt vmcnt(10)
	v_mfma_f32_16x16x16_f16 v[66:69], v[62:63], v[50:51], v[66:69]
	v_cndmask_b32_e32 v10, v75, v10, vcc
	v_ashrrev_i32_e32 v11, 31, v10
	v_lshl_add_u64 v[10:11], v[10:11], 2, s[6:7]
	global_load_dword v76, v[10:11], off
	v_mfma_f32_16x16x16_f16 v[62:65], v[64:65], v[52:53], v[66:69]
	v_or_b32_e32 v10, 64, v74
	v_ashrrev_i32_e32 v11, 4, v10
	v_cmp_gt_i32_e32 vcc, s27, v10
	s_waitcnt vmcnt(10)
	v_mfma_f32_16x16x16_f16 v[62:65], v[58:59], v[46:47], v[62:65]
	v_cndmask_b32_e32 v10, v75, v11, vcc
	v_ashrrev_i32_e32 v11, 31, v10
	v_lshl_add_u64 v[10:11], v[10:11], 2, s[6:7]
	global_load_dword v77, v[10:11], off
	v_or_b32_e32 v10, 0x80, v74
	v_mfma_f32_16x16x16_f16 v[58:61], v[60:61], v[48:49], v[62:65]
	v_ashrrev_i32_e32 v11, 4, v10
	v_cmp_gt_i32_e32 vcc, s27, v10
	s_waitcnt vmcnt(9)
	v_mfma_f32_16x16x16_f16 v[62:65], v[30:31], v[54:55], 0
	v_cndmask_b32_e32 v10, v75, v11, vcc
	v_ashrrev_i32_e32 v11, 31, v10
	v_lshl_add_u64 v[10:11], v[10:11], 2, s[6:7]
	v_mfma_f32_16x16x16_f16 v[30:33], v[32:33], v[56:57], v[62:65]
	s_nop 2
	global_load_dword v64, v[10:11], off
	v_or_b32_e32 v10, 0xc0, v74
	v_ashrrev_i32_e32 v11, 4, v10
	v_cmp_gt_i32_e32 vcc, s27, v10
	s_waitcnt vmcnt(9)
	v_mfma_f32_16x16x16_f16 v[30:33], v[26:27], v[50:51], v[30:33]
	v_lshl_add_u64 v[62:63], s[4:5], 0, v[86:87]
	v_cndmask_b32_e32 v10, v75, v11, vcc
	v_ashrrev_i32_e32 v11, 31, v10
	v_lshl_add_u64 v[10:11], v[10:11], 2, s[6:7]
	global_load_dword v65, v[10:11], off
	v_mfma_f32_16x16x16_f16 v[26:29], v[28:29], v[52:53], v[30:33]
	s_load_dword s6, s[0:1], 0x1c
	v_or_b32_e32 v86, 0x800, v86
	s_waitcnt vmcnt(3)
	v_mad_i64_i32 v[10:11], s[10:11], v76, s9, 0
	v_mfma_f32_16x16x16_f16 v[26:29], v[22:23], v[46:47], v[26:29]
	v_lshlrev_b64 v[74:75], 1, v[10:11]
	v_mfma_f32_16x16x16_f16 v[66:69], v[12:13], v[44:45], v[70:73]
	v_mfma_f32_16x16x16_f16 v[10:13], v[24:25], v[48:49], v[26:29]
	;; [unrolled: 1-line block ×3, first 2 shown]
	v_lshl_add_u64 v[14:15], v[62:63], 0, v[74:75]
	s_waitcnt lgkmcnt(0)
	s_nop 2
	v_pk_mul_f32 v[78:79], s[6:7], v[68:69] op_sel_hi:[0,1]
	v_mfma_f32_16x16x16_f16 v[10:13], v[18:19], v[42:43], v[10:13]
	v_mfma_f32_16x16x16_f16 v[70:73], v[16:17], v[44:45], v[30:33]
	s_nop 2
	global_load_dwordx4 v[30:33], v[14:15], off
	global_load_dwordx4 v[26:29], v[14:15], off offset:16
	s_waitcnt vmcnt(4)
	v_mad_i64_i32 v[14:15], s[10:11], v77, s9, 0
	v_lshlrev_b64 v[58:59], 1, v[14:15]
	v_mfma_f32_16x16x16_f16 v[92:95], v[20:21], v[44:45], v[10:13]
	v_pk_mul_f32 v[76:77], s[6:7], v[70:71] op_sel_hi:[0,1]
	s_nop 1
	v_lshl_add_u64 v[10:11], v[62:63], 0, v[58:59]
	global_load_dwordx4 v[22:25], v[10:11], off
	global_load_dwordx4 v[18:21], v[10:11], off offset:16
	v_mfma_f32_16x16x16_f16 v[10:13], v[6:7], v[54:55], 0
	s_waitcnt vmcnt(5)
	v_mad_i64_i32 v[6:7], s[10:11], v64, s9, 0
	v_lshlrev_b64 v[54:55], 1, v[6:7]
	v_mfma_f32_16x16x16_f16 v[6:9], v[8:9], v[56:57], v[10:13]
	v_pk_mul_f32 v[70:71], s[6:7], v[94:95] op_sel_hi:[0,1]
	v_mfma_f32_16x16x16_f16 v[6:9], v[2:3], v[50:51], v[6:9]
	s_waitcnt vmcnt(4)
	v_mad_i64_i32 v[2:3], s[8:9], v65, s9, 0
	v_lshlrev_b64 v[60:61], 1, v[2:3]
	v_mfma_f32_16x16x16_f16 v[50:53], v[4:5], v[52:53], v[6:9]
	v_lshl_add_u64 v[10:11], v[62:63], 0, v[54:55]
	v_lshl_add_u64 v[2:3], v[62:63], 0, v[60:61]
	v_pk_mul_f32 v[62:63], s[6:7], v[66:67] op_sel_hi:[0,1]
	v_mfma_f32_16x16x16_f16 v[50:53], v[38:39], v[46:47], v[50:53]
	v_lshl_add_u64 v[64:65], s[4:5], 0, v[86:87]
	v_lshl_add_u64 v[38:39], v[64:65], 0, v[74:75]
	v_pk_mul_f32 v[74:75], s[6:7], v[72:73] op_sel_hi:[0,1]
	v_mfma_f32_16x16x16_f16 v[46:49], v[40:41], v[48:49], v[50:53]
	v_pk_mul_f32 v[72:73], s[6:7], v[92:93] op_sel_hi:[0,1]
	global_load_dwordx4 v[14:17], v[10:11], off
	s_nop 0
	global_load_dwordx4 v[10:13], v[10:11], off offset:16
	s_nop 0
	global_load_dwordx4 v[6:9], v[2:3], off
	s_nop 0
	global_load_dwordx4 v[2:5], v[2:3], off offset:16
	v_mfma_f32_16x16x16_f16 v[40:43], v[34:35], v[42:43], v[46:49]
	v_mfma_f32_16x16x16_f16 v[34:37], v[36:37], v[44:45], v[40:43]
	s_nop 6
	v_pk_mul_f32 v[68:69], s[6:7], v[34:35] op_sel_hi:[0,1]
	v_and_b32_e32 v34, 0xc0, v0
	v_add_u32_e32 v34, s18, v34
	v_lshl_or_b32 v34, v88, 2, v34
	v_or_b32_e32 v35, 1, v34
	v_pk_mul_f32 v[66:67], s[6:7], v[36:37] op_sel_hi:[0,1]
	v_subrev_u32_e32 v36, s27, v35
	v_add_u32_e32 v40, 1, v36
	v_add_u32_e32 v41, 2, v36
	v_cvt_f32_i32_e32 v37, v36
	v_cvt_f32_i32_e32 v40, v40
	;; [unrolled: 1-line block ×3, first 2 shown]
	v_add_u32_e32 v42, 3, v36
	v_fma_f32 v62, v89, v37, v62
	v_fmac_f32_e32 v63, v89, v40
	v_fma_f32 v78, v89, v41, v78
	v_add_u32_e32 v37, 16, v36
	v_add_u32_e32 v40, 17, v36
	;; [unrolled: 1-line block ×3, first 2 shown]
	v_cvt_f32_i32_e32 v42, v42
	v_cvt_f32_i32_e32 v37, v37
	;; [unrolled: 1-line block ×4, first 2 shown]
	v_fmac_f32_e32 v79, v89, v42
	v_add_u32_e32 v42, 19, v36
	v_fma_f32 v76, v89, v37, v76
	v_fmac_f32_e32 v77, v89, v40
	v_fma_f32 v74, v89, v41, v74
	v_add_u32_e32 v37, 32, v36
	v_add_u32_e32 v40, 33, v36
	;; [unrolled: 1-line block ×3, first 2 shown]
	v_cvt_f32_i32_e32 v42, v42
	v_cvt_f32_i32_e32 v37, v37
	;; [unrolled: 1-line block ×4, first 2 shown]
	v_fmac_f32_e32 v75, v89, v42
	v_add_u32_e32 v42, 35, v36
	v_fma_f32 v72, v89, v37, v72
	v_fmac_f32_e32 v73, v89, v40
	v_fma_f32 v70, v89, v41, v70
	v_add_u32_e32 v37, 48, v36
	v_add_u32_e32 v40, 49, v36
	;; [unrolled: 1-line block ×4, first 2 shown]
	v_cvt_f32_i32_e32 v36, v36
	v_cvt_f32_i32_e32 v37, v37
	;; [unrolled: 1-line block ×3, first 2 shown]
	v_cmp_gt_i32_e64 s[28:29], s27, v34
	v_fmac_f32_e32 v67, v89, v36
	v_mov_b32_e32 v36, 0xff7fffff
	v_cmp_gt_i32_e64 s[30:31], s27, v35
	v_fma_f32 v68, v89, v37, v68
	v_cndmask_b32_e64 v37, v36, v62, s[28:29]
	v_cndmask_b32_e64 v35, v36, v63, s[30:31]
	v_fmac_f32_e32 v69, v89, v40
	v_max3_f32 v35, v37, s33, v35
	v_or_b32_e32 v37, 2, v34
	v_or_b32_e32 v40, 3, v34
	v_cmp_gt_i32_e64 s[34:35], s27, v37
	v_cmp_gt_i32_e64 s[36:37], s27, v40
	v_cvt_f32_i32_e32 v42, v42
	v_cndmask_b32_e64 v37, v36, v78, s[34:35]
	v_cndmask_b32_e64 v40, v36, v79, s[36:37]
	v_max3_f32 v35, v35, v37, v40
	v_or_b32_e32 v37, 16, v34
	v_or_b32_e32 v40, 17, v34
	v_cmp_gt_i32_e64 s[22:23], s27, v37
	v_cmp_gt_i32_e64 s[24:25], s27, v40
	v_fmac_f32_e32 v71, v89, v42
	v_cndmask_b32_e64 v37, v36, v76, s[22:23]
	v_cndmask_b32_e64 v40, v36, v77, s[24:25]
	v_max3_f32 v35, v35, v37, v40
	v_or_b32_e32 v37, 18, v34
	v_or_b32_e32 v40, 19, v34
	v_cmp_gt_i32_e64 s[18:19], s27, v37
	v_cmp_gt_i32_e64 s[20:21], s27, v40
	v_cvt_f32_i32_e32 v41, v41
	v_cndmask_b32_e64 v37, v36, v74, s[18:19]
	v_cndmask_b32_e64 v40, v36, v75, s[20:21]
	v_max3_f32 v35, v35, v37, v40
	v_or_b32_e32 v37, 32, v34
	v_or_b32_e32 v40, 33, v34
	v_cmp_gt_i32_e64 s[14:15], s27, v37
	v_cmp_gt_i32_e64 s[16:17], s27, v40
	v_fma_f32 v66, v89, v41, v66
	v_cndmask_b32_e64 v37, v36, v72, s[14:15]
	v_cndmask_b32_e64 v40, v36, v73, s[16:17]
	v_max3_f32 v35, v35, v37, v40
	v_or_b32_e32 v37, 34, v34
	v_or_b32_e32 v40, 35, v34
	v_cmp_gt_i32_e64 s[10:11], s27, v37
	v_cmp_gt_i32_e64 s[12:13], s27, v40
	s_nop 0
	v_cndmask_b32_e64 v37, v36, v70, s[10:11]
	v_cndmask_b32_e64 v40, v36, v71, s[12:13]
	v_max3_f32 v35, v35, v37, v40
	v_or_b32_e32 v37, 48, v34
	v_or_b32_e32 v40, 49, v34
	v_cmp_gt_i32_e64 s[6:7], s27, v37
	v_cmp_gt_i32_e64 s[8:9], s27, v40
	s_nop 0
	v_cndmask_b32_e64 v37, v36, v68, s[6:7]
	v_cndmask_b32_e64 v40, v36, v69, s[8:9]
	v_max3_f32 v35, v35, v37, v40
	v_or_b32_e32 v37, 50, v34
	v_or_b32_e32 v34, 51, v34
	v_cmp_gt_i32_e32 vcc, s27, v37
	v_cmp_gt_i32_e64 s[4:5], s27, v34
	global_load_dwordx4 v[46:49], v[38:39], off
	s_nop 0
	global_load_dwordx4 v[38:41], v[38:39], off offset:16
	v_cndmask_b32_e32 v37, v36, v66, vcc
	v_cndmask_b32_e64 v34, v36, v67, s[4:5]
	v_max3_f32 v50, v35, v37, v34
	v_mbcnt_lo_u32_b32 v34, -1, 0
	v_mbcnt_hi_u32_b32 v51, -1, v34
	v_and_b32_e32 v34, 64, v51
	v_add_u32_e32 v52, 64, v34
	v_xor_b32_e32 v34, 32, v51
	v_cmp_lt_i32_e64 s[38:39], v34, v52
	s_nop 1
	v_cndmask_b32_e64 v34, v51, v34, s[38:39]
	v_lshlrev_b32_e32 v87, 2, v34
	ds_bpermute_b32 v53, v87, v50
	v_lshl_add_u64 v[34:35], v[64:65], 0, v[58:59]
	v_lshl_add_u64 v[58:59], v[64:65], 0, v[60:61]
	global_load_dwordx4 v[42:45], v[34:35], off
	s_nop 0
	global_load_dwordx4 v[34:37], v[34:35], off offset:16
	s_waitcnt lgkmcnt(0)
	v_max_f32_e32 v53, v53, v53
	v_max_f32_e32 v80, v50, v53
	v_xor_b32_e32 v50, 16, v51
	v_cmp_lt_i32_e64 s[38:39], v50, v52
	s_nop 1
	v_cndmask_b32_e64 v50, v51, v50, s[38:39]
	v_lshlrev_b32_e32 v89, 2, v50
	ds_bpermute_b32 v81, v89, v80
	v_lshl_add_u64 v[50:51], v[64:65], 0, v[54:55]
	global_load_dwordx4 v[54:57], v[50:51], off
	s_nop 0
	global_load_dwordx4 v[50:53], v[50:51], off offset:16
	s_waitcnt lgkmcnt(0)
	v_max_f32_e32 v60, v81, v81
	v_max_f32_e32 v86, v80, v60
	v_sub_f32_e32 v60, v62, v86
	v_mul_f32_e32 v60, 0x3fb8aa3b, v60
	v_exp_f32_e32 v80, v60
	v_sub_f32_e32 v60, v63, v86
	v_mul_f32_e32 v60, 0x3fb8aa3b, v60
	v_exp_f32_e32 v81, v60
	global_load_dwordx4 v[62:65], v[58:59], off
	s_nop 0
	global_load_dwordx4 v[58:61], v[58:59], off offset:16
	v_sub_f32_e32 v78, v78, v86
	v_mul_f32_e32 v78, 0x3fb8aa3b, v78
	v_sub_f32_e32 v79, v79, v86
	v_exp_f32_e32 v78, v78
	v_mul_f32_e32 v79, 0x3fb8aa3b, v79
	v_sub_f32_e32 v76, v76, v86
	v_exp_f32_e32 v79, v79
	v_mul_f32_e32 v76, 0x3fb8aa3b, v76
	v_sub_f32_e32 v77, v77, v86
	v_cndmask_b32_e64 v80, 0, v80, s[28:29]
	v_exp_f32_e32 v76, v76
	v_mul_f32_e32 v77, 0x3fb8aa3b, v77
	v_sub_f32_e32 v74, v74, v86
	v_add_f32_e32 v91, 0, v80
	v_cndmask_b32_e64 v81, 0, v81, s[30:31]
	v_exp_f32_e32 v77, v77
	v_mul_f32_e32 v74, 0x3fb8aa3b, v74
	v_sub_f32_e32 v75, v75, v86
	v_add_f32_e32 v91, v91, v81
	;; [unrolled: 5-line block ×10, first 2 shown]
	v_cndmask_b32_e64 v70, 0, v70, s[10:11]
	v_exp_f32_e32 v66, v66
	v_mul_f32_e32 v67, 0x3fb8aa3b, v67
	v_add_f32_e32 v91, v91, v70
	v_cndmask_b32_e64 v71, 0, v71, s[12:13]
	v_exp_f32_e32 v67, v67
	v_add_f32_e32 v91, v91, v71
	v_cndmask_b32_e64 v68, 0, v68, s[6:7]
	v_add_f32_e32 v91, v91, v68
	v_cndmask_b32_e64 v69, 0, v69, s[8:9]
	v_add_f32_e32 v91, v91, v69
	v_cndmask_b32_e32 v66, 0, v66, vcc
	v_add_f32_e32 v91, v91, v66
	v_cndmask_b32_e64 v67, 0, v67, s[4:5]
	v_add_f32_e32 v91, v91, v67
	ds_bpermute_b32 v87, v87, v91
	s_load_dword s7, s[0:1], 0x98
	v_cmp_gt_u32_e32 vcc, 16, v83
	s_waitcnt lgkmcnt(0)
	s_barrier
	v_add_f32_e32 v87, v91, v87
	ds_bpermute_b32 v89, v89, v87
	s_waitcnt lgkmcnt(0)
	s_and_saveexec_b64 s[4:5], vcc
	s_cbranch_execz .LBB258_15
; %bb.14:
	v_add_f32_e32 v83, v87, v89
	v_lshlrev_b32_e32 v87, 2, v90
	ds_write2st64_b32 v87, v86, v83 offset1:1
.LBB258_15:
	s_or_b64 exec, exec, s[4:5]
	v_lshlrev_b32_e32 v89, 2, v84
	s_load_dword s6, s[0:1], 0x94
	s_waitcnt lgkmcnt(0)
	s_barrier
	ds_read2_b32 v[86:87], v89 offset1:16
	ds_read2_b32 v[90:91], v89 offset0:32 offset1:48
	ds_read2_b32 v[92:93], v89 offset0:64 offset1:80
	;; [unrolled: 1-line block ×3, first 2 shown]
	s_mul_i32 s7, s7, 11
	s_waitcnt lgkmcnt(3)
	v_max3_f32 v83, v86, s33, v87
	s_waitcnt lgkmcnt(2)
	v_max3_f32 v83, v83, v90, v91
	v_sub_f32_e32 v86, v86, v83
	v_mul_f32_e32 v86, 0x3fb8aa3b, v86
	v_exp_f32_e32 v1, v86
	v_sub_f32_e32 v86, v87, v83
	v_mul_f32_e32 v86, 0x3fb8aa3b, v86
	v_exp_f32_e32 v87, v86
	;; [unrolled: 3-line block ×4, first 2 shown]
	s_waitcnt lgkmcnt(1)
	v_fma_f32 v86, v1, v92, 0
	v_fmac_f32_e32 v86, v87, v93
	s_waitcnt lgkmcnt(0)
	v_fmac_f32_e32 v86, v90, v94
	v_fmac_f32_e32 v86, v89, v95
	v_add_f32_e32 v91, 0x358637bd, v86
	v_div_scale_f32 v92, s[4:5], v91, v91, 1.0
	v_rcp_f32_e32 v93, v92
	s_barrier
	v_fma_f32 v94, -v92, v93, 1.0
	v_fmac_f32_e32 v93, v94, v93
	v_div_scale_f32 v94, vcc, 1.0, v91, 1.0
	v_mul_f32_e32 v95, v94, v93
	v_fma_f32 v88, -v92, v95, v94
	v_fmac_f32_e32 v95, v88, v93
	v_fma_f32 v88, -v92, v95, v94
	v_div_fmas_f32 v88, v88, v93, v95
	v_cmp_eq_u32_e32 vcc, 1, v85
	v_div_fixup_f32 v88, v88, v91, 1.0
	s_nop 0
	v_cndmask_b32_e32 v1, v1, v87, vcc
	v_cmp_eq_u32_e32 vcc, 2, v85
	v_bfe_u32 v87, v0, 4, 2
	s_nop 0
	v_cndmask_b32_e32 v1, v1, v90, vcc
	v_cmp_eq_u32_e32 vcc, 3, v85
	s_nop 1
	v_cndmask_b32_e32 v1, v1, v89, vcc
	v_mul_f32_e32 v90, v1, v88
	v_pk_mul_f32 v[78:79], v[90:91], v[78:79] op_sel_hi:[0,1]
	v_cvt_f16_f32_e32 v78, v78
	v_cvt_f16_f32_e32 v79, v79
	v_pk_mul_f32 v[80:81], v[90:91], v[80:81] op_sel_hi:[0,1]
	v_cvt_f16_f32_e32 v1, v80
	v_cvt_f16_f32_e32 v80, v81
	v_pk_mul_f32 v[74:75], v[90:91], v[74:75] op_sel_hi:[0,1]
	v_pk_mul_f32 v[76:77], v[90:91], v[76:77] op_sel_hi:[0,1]
	v_pack_b32_f16 v81, v78, v79
	v_cvt_f16_f32_e32 v76, v76
	v_cvt_f16_f32_e32 v77, v77
	;; [unrolled: 1-line block ×4, first 2 shown]
	v_pack_b32_f16 v80, v1, v80
	v_lshlrev_b32_e32 v1, 3, v87
	v_lshlrev_b32_e32 v78, 5, v84
	;; [unrolled: 1-line block ×3, first 2 shown]
	v_pk_mul_f32 v[70:71], v[90:91], v[70:71] op_sel_hi:[0,1]
	v_pk_mul_f32 v[72:73], v[90:91], v[72:73] op_sel_hi:[0,1]
	;; [unrolled: 1-line block ×4, first 2 shown]
	v_or3_b32 v74, v74, v78, v1
	v_pack_b32_f16 v76, v76, v77
	v_pack_b32_f16 v77, v79, v75
	v_cvt_f16_f32_e32 v1, v72
	v_cvt_f16_f32_e32 v72, v73
	;; [unrolled: 1-line block ×8, first 2 shown]
	v_pack_b32_f16 v66, v1, v72
	v_pack_b32_f16 v67, v70, v71
	;; [unrolled: 1-line block ×4, first 2 shown]
	v_cmp_gt_u32_e32 vcc, 11, v0
	ds_write2st64_b64 v74, v[80:81], v[76:77] offset1:1
	ds_write2st64_b64 v74, v[66:67], v[68:69] offset0:2 offset1:3
	s_and_saveexec_b64 s[4:5], vcc
	s_cbranch_execz .LBB258_17
; %bb.16:
	s_mov_b32 s41, 0
	v_mov_b32_e32 v85, 0
	v_lshl_add_u64 v[66:67], s[40:41], 0, v[84:85]
	v_mov_b32_e32 v1, s7
	v_mad_u64_u32 v[66:67], s[12:13], s2, v1, v[66:67]
	s_mul_i32 s3, s3, s7
	v_mov_b32_e32 v68, s26
	v_mov_b32_e32 v69, v85
	s_load_dwordx4 s[8:11], s[0:1], 0x58
	v_add_u32_e32 v1, s3, v67
	v_mad_u64_u32 v[66:67], s[12:13], v66, s6, v[68:69]
	v_mov_b32_e32 v68, v67
	v_mad_u64_u32 v[68:69], s[12:13], v1, s6, v[68:69]
	v_mov_b32_e32 v67, v68
	v_lshlrev_b64 v[66:67], 2, v[66:67]
	s_waitcnt lgkmcnt(0)
	v_lshl_add_u64 v[68:69], s[10:11], 0, v[66:67]
	v_lshl_add_u64 v[66:67], s[8:9], 0, v[66:67]
	global_store_dword v[68:69], v83, off
	global_store_dword v[66:67], v86, off
.LBB258_17:
	s_or_b64 exec, exec, s[4:5]
	v_lshl_or_b32 v1, v87, 9, v78
	s_waitcnt lgkmcnt(0)
	s_barrier
	ds_read_b128 v[70:73], v1
	ds_read_b128 v[66:69], v1 offset:16
	s_waitcnt vmcnt(15) lgkmcnt(1)
	v_mfma_f32_16x16x16_f16 v[76:79], v[30:31], v[70:71], 0
	s_mov_b32 s3, 0
	v_cmp_gt_u32_e32 vcc, 64, v0
	v_mfma_f32_16x16x16_f16 v[30:33], v[32:33], v[72:73], v[76:79]
	s_waitcnt vmcnt(14) lgkmcnt(0)
	v_mfma_f32_16x16x16_f16 v[30:33], v[26:27], v[66:67], v[30:33]
	v_mfma_f32_16x16x16_f16 v[26:29], v[28:29], v[68:69], v[30:33]
	s_nop 5
	ds_read_b128 v[30:33], v1 offset:2048
	ds_read_b128 v[76:79], v1 offset:2064
	s_waitcnt vmcnt(13) lgkmcnt(1)
	v_mfma_f32_16x16x16_f16 v[26:29], v[22:23], v[30:31], v[26:29]
	v_mfma_f32_16x16x16_f16 v[22:25], v[24:25], v[32:33], v[26:29]
	s_waitcnt vmcnt(12) lgkmcnt(0)
	v_mfma_f32_16x16x16_f16 v[22:25], v[18:19], v[76:77], v[22:25]
	v_mfma_f32_16x16x16_f16 v[18:21], v[20:21], v[78:79], v[22:25]
	s_nop 5
	ds_read_b128 v[22:25], v1 offset:4096
	ds_read_b128 v[26:29], v1 offset:4112
	s_waitcnt vmcnt(11) lgkmcnt(1)
	v_mfma_f32_16x16x16_f16 v[18:21], v[14:15], v[22:23], v[18:21]
	v_mfma_f32_16x16x16_f16 v[14:17], v[16:17], v[24:25], v[18:21]
	s_waitcnt vmcnt(10) lgkmcnt(0)
	v_mfma_f32_16x16x16_f16 v[14:17], v[10:11], v[26:27], v[14:17]
	v_mfma_f32_16x16x16_f16 v[10:13], v[12:13], v[28:29], v[14:17]
	s_nop 5
	ds_read_b128 v[14:17], v1 offset:6144
	ds_read_b128 v[18:21], v1 offset:6160
	s_waitcnt lgkmcnt(0)
	s_barrier
	s_waitcnt vmcnt(9)
	v_mfma_f32_16x16x16_f16 v[10:13], v[6:7], v[14:15], v[10:13]
	v_mfma_f32_16x16x16_f16 v[6:9], v[8:9], v[16:17], v[10:13]
	s_waitcnt vmcnt(8)
	v_mfma_f32_16x16x16_f16 v[6:9], v[2:3], v[18:19], v[6:9]
	v_mfma_f32_16x16x16_f16 v[2:5], v[4:5], v[20:21], v[6:9]
	;; [unrolled: 3-line block ×3, first 2 shown]
	s_nop 3
	v_cvt_f16_f32_e32 v1, v2
	v_cvt_f16_f32_e32 v10, v3
	;; [unrolled: 1-line block ×3, first 2 shown]
	s_waitcnt vmcnt(6)
	v_mfma_f32_16x16x16_f16 v[6:9], v[38:39], v[66:67], v[6:9]
	v_cvt_f16_f32_e32 v12, v5
	v_mfma_f32_16x16x16_f16 v[6:9], v[40:41], v[68:69], v[6:9]
	s_waitcnt vmcnt(5)
	v_mfma_f32_16x16x16_f16 v[6:9], v[42:43], v[30:31], v[6:9]
	v_mfma_f32_16x16x16_f16 v[6:9], v[44:45], v[32:33], v[6:9]
	s_waitcnt vmcnt(4)
	v_mfma_f32_16x16x16_f16 v[6:9], v[34:35], v[76:77], v[6:9]
	;; [unrolled: 3-line block ×6, first 2 shown]
	v_mfma_f32_16x16x16_f16 v[2:5], v[60:61], v[20:21], v[6:9]
	s_nop 6
	v_cvt_f16_f32_e32 v6, v2
	v_cvt_f16_f32_e32 v7, v3
	;; [unrolled: 1-line block ×4, first 2 shown]
	v_pack_b32_f16 v2, v1, v10
	v_pack_b32_f16 v3, v11, v12
	;; [unrolled: 1-line block ×4, first 2 shown]
	ds_write2st64_b64 v74, v[2:3], v[4:5] offset1:1
	s_waitcnt lgkmcnt(0)
	s_barrier
	s_and_saveexec_b64 s[4:5], vcc
	s_cbranch_execz .LBB258_20
; %bb.18:
	s_load_dwordx2 s[4:5], s[0:1], 0x68
	s_lshl_b32 s0, s6, 7
	s_mul_i32 s1, s7, s2
	v_lshlrev_b32_e32 v3, 6, v84
	s_mul_hi_u32 s7, s1, s0
	s_mul_i32 s6, s1, s0
	v_lshlrev_b32_e32 v2, 4, v0
	v_lshl_or_b32 v0, v0, 10, v3
	s_lshl_b64 s[6:7], s[6:7], 1
	v_lshlrev_b32_e32 v1, 5, v87
	v_and_b32_e32 v2, 16, v2
	v_and_b32_e32 v0, 0x1a00, v0
	s_waitcnt lgkmcnt(0)
	s_add_u32 s1, s4, s6
	v_or3_b32 v2, v0, v1, v2
	s_addc_u32 s4, s5, s7
	s_lshl_b32 s2, s26, 7
	s_lshl_b64 s[2:3], s[2:3], 1
	ds_read_b128 v[4:7], v2 offset:128
	ds_read_b128 v[8:11], v2
	s_add_u32 s2, s1, s2
	s_addc_u32 s3, s4, s3
	v_mov_b32_e32 v83, 0
	v_add_u32_e32 v3, s40, v87
	v_lshl_add_u64 v[0:1], s[2:3], 0, v[82:83]
	v_mad_u64_u32 v[12:13], s[2:3], v3, s0, 0
	v_lshl_add_u64 v[12:13], v[12:13], 1, v[0:1]
	v_add_u32_e32 v3, 4, v3
	s_waitcnt lgkmcnt(0)
	global_store_dwordx4 v[12:13], v[8:11], off
	v_cmp_ne_u32_e32 vcc, 3, v87
	s_nop 0
	v_mad_u64_u32 v[8:9], s[2:3], v3, s0, 0
	v_lshl_add_u64 v[8:9], v[8:9], 1, v[0:1]
	global_store_dwordx4 v[8:9], v[4:7], off
	s_and_b64 exec, exec, vcc
	s_cbranch_execz .LBB258_20
; %bb.19:
	ds_read_b128 v[2:5], v2 offset:256
	v_add3_u32 v6, s40, v87, 8
	v_mad_u64_u32 v[6:7], s[0:1], v6, s0, 0
	v_lshl_add_u64 v[0:1], v[6:7], 1, v[0:1]
	s_waitcnt lgkmcnt(0)
	global_store_dwordx4 v[0:1], v[2:5], off
.LBB258_20:
	s_endpgm
	.section	.rodata,"a",@progbits
	.p2align	6, 0x0
	.amdhsa_kernel _Z39paged_attention_ll4mi_QKV_mfma16_kernelIDF16_DF16_LN4vllm18Fp8KVCacheDataTypeE0EDF16_Li16ELi128ELi256ELb1ELi11EEvPKT_PKT0_S7_ifPKiS9_S9_iPKfiiiPfSC_PS2_PT2_iSB_SB_
		.amdhsa_group_segment_fixed_size 8192
		.amdhsa_private_segment_fixed_size 0
		.amdhsa_kernarg_size 400
		.amdhsa_user_sgpr_count 2
		.amdhsa_user_sgpr_dispatch_ptr 0
		.amdhsa_user_sgpr_queue_ptr 0
		.amdhsa_user_sgpr_kernarg_segment_ptr 1
		.amdhsa_user_sgpr_dispatch_id 0
		.amdhsa_user_sgpr_kernarg_preload_length 0
		.amdhsa_user_sgpr_kernarg_preload_offset 0
		.amdhsa_user_sgpr_private_segment_size 0
		.amdhsa_uses_dynamic_stack 0
		.amdhsa_enable_private_segment 0
		.amdhsa_system_sgpr_workgroup_id_x 1
		.amdhsa_system_sgpr_workgroup_id_y 1
		.amdhsa_system_sgpr_workgroup_id_z 1
		.amdhsa_system_sgpr_workgroup_info 0
		.amdhsa_system_vgpr_workitem_id 0
		.amdhsa_next_free_vgpr 96
		.amdhsa_next_free_sgpr 42
		.amdhsa_accum_offset 96
		.amdhsa_reserve_vcc 1
		.amdhsa_float_round_mode_32 0
		.amdhsa_float_round_mode_16_64 0
		.amdhsa_float_denorm_mode_32 3
		.amdhsa_float_denorm_mode_16_64 3
		.amdhsa_dx10_clamp 1
		.amdhsa_ieee_mode 1
		.amdhsa_fp16_overflow 0
		.amdhsa_tg_split 0
		.amdhsa_exception_fp_ieee_invalid_op 0
		.amdhsa_exception_fp_denorm_src 0
		.amdhsa_exception_fp_ieee_div_zero 0
		.amdhsa_exception_fp_ieee_overflow 0
		.amdhsa_exception_fp_ieee_underflow 0
		.amdhsa_exception_fp_ieee_inexact 0
		.amdhsa_exception_int_div_zero 0
	.end_amdhsa_kernel
	.section	.text._Z39paged_attention_ll4mi_QKV_mfma16_kernelIDF16_DF16_LN4vllm18Fp8KVCacheDataTypeE0EDF16_Li16ELi128ELi256ELb1ELi11EEvPKT_PKT0_S7_ifPKiS9_S9_iPKfiiiPfSC_PS2_PT2_iSB_SB_,"axG",@progbits,_Z39paged_attention_ll4mi_QKV_mfma16_kernelIDF16_DF16_LN4vllm18Fp8KVCacheDataTypeE0EDF16_Li16ELi128ELi256ELb1ELi11EEvPKT_PKT0_S7_ifPKiS9_S9_iPKfiiiPfSC_PS2_PT2_iSB_SB_,comdat
.Lfunc_end258:
	.size	_Z39paged_attention_ll4mi_QKV_mfma16_kernelIDF16_DF16_LN4vllm18Fp8KVCacheDataTypeE0EDF16_Li16ELi128ELi256ELb1ELi11EEvPKT_PKT0_S7_ifPKiS9_S9_iPKfiiiPfSC_PS2_PT2_iSB_SB_, .Lfunc_end258-_Z39paged_attention_ll4mi_QKV_mfma16_kernelIDF16_DF16_LN4vllm18Fp8KVCacheDataTypeE0EDF16_Li16ELi128ELi256ELb1ELi11EEvPKT_PKT0_S7_ifPKiS9_S9_iPKfiiiPfSC_PS2_PT2_iSB_SB_
                                        ; -- End function
	.section	.AMDGPU.csdata,"",@progbits
; Kernel info:
; codeLenInByte = 4712
; NumSgprs: 48
; NumVgprs: 96
; NumAgprs: 0
; TotalNumVgprs: 96
; ScratchSize: 0
; MemoryBound: 0
; FloatMode: 240
; IeeeMode: 1
; LDSByteSize: 8192 bytes/workgroup (compile time only)
; SGPRBlocks: 5
; VGPRBlocks: 11
; NumSGPRsForWavesPerEU: 48
; NumVGPRsForWavesPerEU: 96
; AccumOffset: 96
; Occupancy: 5
; WaveLimiterHint : 1
; COMPUTE_PGM_RSRC2:SCRATCH_EN: 0
; COMPUTE_PGM_RSRC2:USER_SGPR: 2
; COMPUTE_PGM_RSRC2:TRAP_HANDLER: 0
; COMPUTE_PGM_RSRC2:TGID_X_EN: 1
; COMPUTE_PGM_RSRC2:TGID_Y_EN: 1
; COMPUTE_PGM_RSRC2:TGID_Z_EN: 1
; COMPUTE_PGM_RSRC2:TIDIG_COMP_CNT: 0
; COMPUTE_PGM_RSRC3_GFX90A:ACCUM_OFFSET: 23
; COMPUTE_PGM_RSRC3_GFX90A:TG_SPLIT: 0
	.section	.text._Z39paged_attention_ll4mi_QKV_mfma16_kernelIDF16_DF16_LN4vllm18Fp8KVCacheDataTypeE0EDF16_Li16ELi128ELi256ELb1ELi12EEvPKT_PKT0_S7_ifPKiS9_S9_iPKfiiiPfSC_PS2_PT2_iSB_SB_,"axG",@progbits,_Z39paged_attention_ll4mi_QKV_mfma16_kernelIDF16_DF16_LN4vllm18Fp8KVCacheDataTypeE0EDF16_Li16ELi128ELi256ELb1ELi12EEvPKT_PKT0_S7_ifPKiS9_S9_iPKfiiiPfSC_PS2_PT2_iSB_SB_,comdat
	.protected	_Z39paged_attention_ll4mi_QKV_mfma16_kernelIDF16_DF16_LN4vllm18Fp8KVCacheDataTypeE0EDF16_Li16ELi128ELi256ELb1ELi12EEvPKT_PKT0_S7_ifPKiS9_S9_iPKfiiiPfSC_PS2_PT2_iSB_SB_ ; -- Begin function _Z39paged_attention_ll4mi_QKV_mfma16_kernelIDF16_DF16_LN4vllm18Fp8KVCacheDataTypeE0EDF16_Li16ELi128ELi256ELb1ELi12EEvPKT_PKT0_S7_ifPKiS9_S9_iPKfiiiPfSC_PS2_PT2_iSB_SB_
	.globl	_Z39paged_attention_ll4mi_QKV_mfma16_kernelIDF16_DF16_LN4vllm18Fp8KVCacheDataTypeE0EDF16_Li16ELi128ELi256ELb1ELi12EEvPKT_PKT0_S7_ifPKiS9_S9_iPKfiiiPfSC_PS2_PT2_iSB_SB_
	.p2align	8
	.type	_Z39paged_attention_ll4mi_QKV_mfma16_kernelIDF16_DF16_LN4vllm18Fp8KVCacheDataTypeE0EDF16_Li16ELi128ELi256ELb1ELi12EEvPKT_PKT0_S7_ifPKiS9_S9_iPKfiiiPfSC_PS2_PT2_iSB_SB_,@function
_Z39paged_attention_ll4mi_QKV_mfma16_kernelIDF16_DF16_LN4vllm18Fp8KVCacheDataTypeE0EDF16_Li16ELi128ELi256ELb1ELi12EEvPKT_PKT0_S7_ifPKiS9_S9_iPKfiiiPfSC_PS2_PT2_iSB_SB_: ; @_Z39paged_attention_ll4mi_QKV_mfma16_kernelIDF16_DF16_LN4vllm18Fp8KVCacheDataTypeE0EDF16_Li16ELi128ELi256ELb1ELi12EEvPKT_PKT0_S7_ifPKiS9_S9_iPKfiiiPfSC_PS2_PT2_iSB_SB_
; %bb.0:
	s_load_dwordx2 s[8:9], s[0:1], 0x30
	s_mov_b32 s26, s3
	s_mov_b64 s[6:7], 0
	s_waitcnt lgkmcnt(0)
	s_cmp_lg_u64 s[8:9], 0
	s_cselect_b64 s[10:11], -1, 0
	s_and_b64 vcc, exec, s[10:11]
	s_cbranch_vccz .LBB259_7
; %bb.1:
	s_add_i32 s12, s2, 1
	s_mov_b32 s13, 0
	s_lshl_b64 s[14:15], s[12:13], 2
	s_add_u32 s14, s8, s14
	s_mov_b32 s3, s13
	s_addc_u32 s15, s9, s15
	s_lshl_b64 s[12:13], s[2:3], 2
	s_add_u32 s12, s8, s12
	s_addc_u32 s13, s9, s13
	s_load_dword s5, s[14:15], 0x0
	s_load_dword s16, s[12:13], 0x0
	s_waitcnt lgkmcnt(0)
	s_sub_i32 s5, s5, s16
	s_cmp_eq_u32 s5, 1
	s_cselect_b64 s[12:13], -1, 0
	s_andn2_b64 vcc, exec, s[6:7]
	s_cbranch_vccnz .LBB259_3
.LBB259_2:
	s_mov_b32 s3, 0
	s_mov_b64 s[12:13], -1
.LBB259_3:
	s_andn2_b64 vcc, exec, s[12:13]
	s_cbranch_vccnz .LBB259_19
; %bb.4:
	s_load_dwordx2 s[6:7], s[0:1], 0x28
	s_lshl_b64 s[12:13], s[2:3], 2
	s_waitcnt lgkmcnt(0)
	s_add_u32 s6, s6, s12
	s_addc_u32 s7, s7, s13
	s_load_dword s27, s[6:7], 0x0
	s_lshl_b32 s18, s26, 8
	s_waitcnt lgkmcnt(0)
	s_cmp_ge_i32 s18, s27
	s_cbranch_scc1 .LBB259_19
; %bb.5:
	s_load_dwordx2 s[6:7], s[0:1], 0x20
	s_load_dword s5, s[0:1], 0x38
	s_add_i32 s14, s27, 15
	s_ashr_i32 s15, s14, 31
	v_and_b32_e32 v1, 0xcf, v0
	s_lshr_b32 s15, s15, 28
	v_add_u32_e32 v1, s18, v1
	s_add_i32 s14, s14, s15
	v_ashrrev_i32_e32 v2, 31, v1
	s_ashr_i32 s19, s14, 4
	v_lshrrev_b32_e32 v4, 28, v2
	s_add_i32 s19, s19, -1
	s_waitcnt lgkmcnt(0)
	s_mul_i32 s14, s2, s5
	s_mov_b32 s15, 0
	v_add_u32_e32 v2, v1, v4
	s_lshl_b64 s[14:15], s[14:15], 2
	v_ashrrev_i32_e32 v2, 4, v2
	v_mov_b32_e32 v5, s19
	v_cmp_gt_i32_e32 vcc, s27, v1
	s_add_u32 s6, s6, s14
	s_addc_u32 s7, s7, s15
	v_cndmask_b32_e32 v2, v5, v2, vcc
	v_ashrrev_i32_e32 v3, 31, v2
	v_lshl_add_u64 v[6:7], v[2:3], 2, s[6:7]
	v_or_b32_e32 v2, 16, v1
	v_add_u32_e32 v3, v2, v4
	v_ashrrev_i32_e32 v3, 4, v3
	v_cmp_gt_i32_e32 vcc, s27, v2
	s_load_dwordx2 s[14:15], s[0:1], 0x8
	s_nop 0
	v_cndmask_b32_e32 v2, v5, v3, vcc
	v_ashrrev_i32_e32 v3, 31, v2
	v_lshl_add_u64 v[8:9], v[2:3], 2, s[6:7]
	v_or_b32_e32 v2, 32, v1
	v_add_u32_e32 v3, v2, v4
	v_ashrrev_i32_e32 v3, 4, v3
	v_cmp_gt_i32_e32 vcc, s27, v2
	v_or_b32_e32 v1, 48, v1
	s_nop 0
	v_cndmask_b32_e32 v2, v5, v3, vcc
	v_ashrrev_i32_e32 v3, 31, v2
	v_lshl_add_u64 v[10:11], v[2:3], 2, s[6:7]
	v_add_u32_e32 v2, v1, v4
	v_ashrrev_i32_e32 v2, 4, v2
	v_cmp_gt_i32_e32 vcc, s27, v1
	s_nop 1
	v_cndmask_b32_e32 v2, v5, v2, vcc
	v_ashrrev_i32_e32 v3, 31, v2
	v_lshl_add_u64 v[12:13], v[2:3], 2, s[6:7]
	global_load_dword v5, v[6:7], off
	global_load_dword v4, v[8:9], off
	;; [unrolled: 1-line block ×4, first 2 shown]
	s_andn2_b64 vcc, exec, s[10:11]
	s_cbranch_vccnz .LBB259_8
; %bb.6:
	s_add_u32 s8, s8, s12
	s_addc_u32 s9, s9, s13
	s_load_dword s5, s[8:9], 0x0
	s_branch .LBB259_9
.LBB259_7:
	s_mov_b64 s[12:13], 0
	s_branch .LBB259_2
.LBB259_8:
	s_mov_b32 s5, s2
.LBB259_9:
	s_load_dwordx2 s[12:13], s[0:1], 0x10
	s_load_dwordx4 s[8:11], s[0:1], 0x48
	v_and_b32_e32 v84, 15, v0
	v_lshlrev_b32_e32 v6, 3, v84
	s_waitcnt lgkmcnt(0)
	s_movk_i32 s11, 0xc0
	v_lshrrev_b32_e32 v85, 6, v0
	v_bfe_u32 v1, v0, 4, 2
	s_mul_i32 s40, s4, 12
	v_cmp_gt_u32_e32 vcc, s11, v0
	v_lshlrev_b32_e32 v82, 1, v6
	s_and_saveexec_b64 s[16:17], vcc
	s_cbranch_execz .LBB259_11
; %bb.10:
	s_load_dwordx2 s[20:21], s[0:1], 0x0
	s_ashr_i32 s11, s8, 31
	s_mul_hi_u32 s22, s5, s8
	s_mul_i32 s11, s5, s11
	s_add_i32 s23, s22, s11
	s_mul_i32 s22, s5, s8
	v_lshl_or_b32 v10, v85, 2, v1
	s_lshl_b64 s[22:23], s[22:23], 1
	s_waitcnt lgkmcnt(0)
	s_add_u32 s20, s20, s22
	v_add_lshl_u32 v6, v10, s40, 7
	s_addc_u32 s21, s21, s23
	v_ashrrev_i32_e32 v7, 31, v6
	v_lshl_add_u64 v[6:7], v[6:7], 1, s[20:21]
	v_mov_b32_e32 v83, 0
	v_lshl_add_u64 v[6:7], v[6:7], 0, v[82:83]
	global_load_dwordx4 v[6:9], v[6:7], off
	v_and_b32_e32 v11, 3, v0
	v_lshlrev_b32_e32 v12, 9, v84
	v_lshlrev_b32_e32 v10, 5, v10
	v_lshlrev_b32_e32 v11, 9, v11
	v_and_b32_e32 v12, 0x1800, v12
	v_bfe_u32 v1, v0, 4, 2
	v_or3_b32 v10, v12, v11, v10
	s_waitcnt vmcnt(0)
	ds_write_b128 v10, v[6:9]
.LBB259_11:
	s_or_b64 exec, exec, s[16:17]
	s_mul_i32 s4, s4, s10
	s_mov_b32 s5, 0
	s_lshl_b64 s[4:5], s[4:5], 1
	s_add_u32 s10, s14, s4
	v_lshlrev_b32_e32 v10, 4, v0
	s_addc_u32 s11, s15, s5
	v_and_b32_e32 v86, 0xf0, v10
	v_mov_b32_e32 v87, 0
	v_lshl_add_u64 v[6:7], s[10:11], 0, v[86:87]
	s_waitcnt vmcnt(3)
	v_mad_i64_i32 v[8:9], s[10:11], v5, s9, 0
	s_waitcnt vmcnt(2)
	v_mad_i64_i32 v[4:5], s[10:11], v4, s9, 0
	v_lshl_add_u64 v[8:9], v[8:9], 1, v[6:7]
	v_and_b32_e32 v86, 0x300, v10
	v_lshl_add_u64 v[4:5], v[4:5], 1, v[6:7]
	v_lshl_add_u64 v[8:9], v[8:9], 0, v[86:87]
	;; [unrolled: 1-line block ×3, first 2 shown]
	s_waitcnt lgkmcnt(0)
	s_barrier
	global_load_dwordx4 v[78:81], v[8:9], off
	global_load_dwordx4 v[74:77], v[8:9], off offset:1024
	global_load_dwordx4 v[70:73], v[8:9], off offset:2048
	;; [unrolled: 1-line block ×3, first 2 shown]
	global_load_dwordx4 v[66:69], v[4:5], off
	global_load_dwordx4 v[62:65], v[4:5], off offset:1024
	global_load_dwordx4 v[58:61], v[4:5], off offset:2048
	;; [unrolled: 1-line block ×3, first 2 shown]
	s_waitcnt vmcnt(9)
	v_mad_i64_i32 v[4:5], s[10:11], v3, s9, 0
	s_waitcnt vmcnt(8)
	v_mad_i64_i32 v[2:3], s[10:11], v2, s9, 0
	v_lshl_add_u64 v[4:5], v[4:5], 1, v[6:7]
	v_lshl_add_u64 v[2:3], v[2:3], 1, v[6:7]
	;; [unrolled: 1-line block ×4, first 2 shown]
	global_load_dwordx4 v[30:33], v[4:5], off
	global_load_dwordx4 v[26:29], v[4:5], off offset:1024
	global_load_dwordx4 v[22:25], v[4:5], off offset:2048
	;; [unrolled: 1-line block ×3, first 2 shown]
	global_load_dwordx4 v[6:9], v[34:35], off
	s_nop 0
	global_load_dwordx4 v[2:5], v[34:35], off offset:1024
	global_load_dwordx4 v[38:41], v[34:35], off offset:2048
	s_nop 0
	global_load_dwordx4 v[34:37], v[34:35], off offset:3072
	v_add_u32_e32 v42, -12, v84
	v_cmp_gt_u32_e32 vcc, 12, v84
	v_and_b32_e32 v88, 63, v0
	v_mov_b32_e32 v89, 0
	v_cndmask_b32_e32 v42, v42, v84, vcc
	v_lshlrev_b32_e32 v42, 5, v42
	v_lshl_add_u32 v42, v1, 9, v42
	ds_read_b128 v[54:57], v42
	ds_read_b128 v[50:53], v42 offset:2048
	ds_read_b128 v[46:49], v42 offset:4096
	;; [unrolled: 1-line block ×3, first 2 shown]
	s_and_saveexec_b64 s[10:11], vcc
	s_cbranch_execz .LBB259_13
; %bb.12:
	s_load_dwordx2 s[14:15], s[0:1], 0x40
	v_add_u32_e32 v90, s40, v84
	v_ashrrev_i32_e32 v91, 31, v90
	s_waitcnt lgkmcnt(0)
	v_lshl_add_u64 v[90:91], v[90:91], 2, s[14:15]
	global_load_dword v89, v[90:91], off
.LBB259_13:
	s_or_b64 exec, exec, s[10:11]
	s_waitcnt vmcnt(15) lgkmcnt(3)
	v_mfma_f32_16x16x16_f16 v[90:93], v[78:79], v[54:55], 0
	s_add_u32 s4, s12, s4
	s_addc_u32 s5, s13, s5
	s_mov_b32 s33, 0xff7fffff
	v_mfma_f32_16x16x16_f16 v[78:81], v[80:81], v[56:57], v[90:93]
	s_waitcnt vmcnt(14) lgkmcnt(2)
	v_mfma_f32_16x16x16_f16 v[78:81], v[74:75], v[50:51], v[78:81]
	s_nop 0
	v_lshl_or_b32 v90, v85, 4, v84
	v_lshlrev_b32_e32 v86, 5, v90
	v_mfma_f32_16x16x16_f16 v[74:77], v[76:77], v[52:53], v[78:81]
	s_waitcnt vmcnt(13) lgkmcnt(1)
	v_mfma_f32_16x16x16_f16 v[74:77], v[70:71], v[46:47], v[74:77]
	v_mfma_f32_16x16x16_f16 v[70:73], v[72:73], v[48:49], v[74:77]
	s_waitcnt vmcnt(11)
	v_mfma_f32_16x16x16_f16 v[74:77], v[66:67], v[54:55], 0
	v_mfma_f32_16x16x16_f16 v[66:69], v[68:69], v[56:57], v[74:77]
	s_nop 5
	v_and_or_b32 v74, v0, 48, s18
	s_waitcnt lgkmcnt(0)
	v_mfma_f32_16x16x16_f16 v[70:73], v[10:11], v[42:43], v[70:73]
	v_ashrrev_i32_e32 v10, 4, v74
	v_mov_b32_e32 v75, s19
	v_cmp_gt_i32_e32 vcc, s27, v74
	s_waitcnt vmcnt(10)
	v_mfma_f32_16x16x16_f16 v[66:69], v[62:63], v[50:51], v[66:69]
	v_cndmask_b32_e32 v10, v75, v10, vcc
	v_ashrrev_i32_e32 v11, 31, v10
	v_lshl_add_u64 v[10:11], v[10:11], 2, s[6:7]
	global_load_dword v76, v[10:11], off
	v_mfma_f32_16x16x16_f16 v[62:65], v[64:65], v[52:53], v[66:69]
	v_or_b32_e32 v10, 64, v74
	v_ashrrev_i32_e32 v11, 4, v10
	v_cmp_gt_i32_e32 vcc, s27, v10
	s_waitcnt vmcnt(10)
	v_mfma_f32_16x16x16_f16 v[62:65], v[58:59], v[46:47], v[62:65]
	v_cndmask_b32_e32 v10, v75, v11, vcc
	v_ashrrev_i32_e32 v11, 31, v10
	v_lshl_add_u64 v[10:11], v[10:11], 2, s[6:7]
	global_load_dword v77, v[10:11], off
	v_or_b32_e32 v10, 0x80, v74
	v_mfma_f32_16x16x16_f16 v[58:61], v[60:61], v[48:49], v[62:65]
	v_ashrrev_i32_e32 v11, 4, v10
	v_cmp_gt_i32_e32 vcc, s27, v10
	s_waitcnt vmcnt(9)
	v_mfma_f32_16x16x16_f16 v[62:65], v[30:31], v[54:55], 0
	v_cndmask_b32_e32 v10, v75, v11, vcc
	v_ashrrev_i32_e32 v11, 31, v10
	v_lshl_add_u64 v[10:11], v[10:11], 2, s[6:7]
	v_mfma_f32_16x16x16_f16 v[30:33], v[32:33], v[56:57], v[62:65]
	s_nop 2
	global_load_dword v64, v[10:11], off
	v_or_b32_e32 v10, 0xc0, v74
	v_ashrrev_i32_e32 v11, 4, v10
	v_cmp_gt_i32_e32 vcc, s27, v10
	s_waitcnt vmcnt(9)
	v_mfma_f32_16x16x16_f16 v[30:33], v[26:27], v[50:51], v[30:33]
	v_lshl_add_u64 v[62:63], s[4:5], 0, v[86:87]
	v_cndmask_b32_e32 v10, v75, v11, vcc
	v_ashrrev_i32_e32 v11, 31, v10
	v_lshl_add_u64 v[10:11], v[10:11], 2, s[6:7]
	global_load_dword v65, v[10:11], off
	v_mfma_f32_16x16x16_f16 v[26:29], v[28:29], v[52:53], v[30:33]
	s_load_dword s6, s[0:1], 0x1c
	v_or_b32_e32 v86, 0x800, v86
	s_waitcnt vmcnt(3)
	v_mad_i64_i32 v[10:11], s[10:11], v76, s9, 0
	v_mfma_f32_16x16x16_f16 v[26:29], v[22:23], v[46:47], v[26:29]
	v_lshlrev_b64 v[74:75], 1, v[10:11]
	v_mfma_f32_16x16x16_f16 v[66:69], v[12:13], v[44:45], v[70:73]
	v_mfma_f32_16x16x16_f16 v[10:13], v[24:25], v[48:49], v[26:29]
	;; [unrolled: 1-line block ×3, first 2 shown]
	v_lshl_add_u64 v[14:15], v[62:63], 0, v[74:75]
	s_waitcnt lgkmcnt(0)
	s_nop 2
	v_pk_mul_f32 v[78:79], s[6:7], v[68:69] op_sel_hi:[0,1]
	v_mfma_f32_16x16x16_f16 v[10:13], v[18:19], v[42:43], v[10:13]
	v_mfma_f32_16x16x16_f16 v[70:73], v[16:17], v[44:45], v[30:33]
	s_nop 2
	global_load_dwordx4 v[30:33], v[14:15], off
	global_load_dwordx4 v[26:29], v[14:15], off offset:16
	s_waitcnt vmcnt(4)
	v_mad_i64_i32 v[14:15], s[10:11], v77, s9, 0
	v_lshlrev_b64 v[58:59], 1, v[14:15]
	v_mfma_f32_16x16x16_f16 v[92:95], v[20:21], v[44:45], v[10:13]
	v_pk_mul_f32 v[76:77], s[6:7], v[70:71] op_sel_hi:[0,1]
	s_nop 1
	v_lshl_add_u64 v[10:11], v[62:63], 0, v[58:59]
	global_load_dwordx4 v[22:25], v[10:11], off
	global_load_dwordx4 v[18:21], v[10:11], off offset:16
	v_mfma_f32_16x16x16_f16 v[10:13], v[6:7], v[54:55], 0
	s_waitcnt vmcnt(5)
	v_mad_i64_i32 v[6:7], s[10:11], v64, s9, 0
	v_lshlrev_b64 v[54:55], 1, v[6:7]
	v_mfma_f32_16x16x16_f16 v[6:9], v[8:9], v[56:57], v[10:13]
	v_pk_mul_f32 v[70:71], s[6:7], v[94:95] op_sel_hi:[0,1]
	v_mfma_f32_16x16x16_f16 v[6:9], v[2:3], v[50:51], v[6:9]
	s_waitcnt vmcnt(4)
	v_mad_i64_i32 v[2:3], s[8:9], v65, s9, 0
	v_lshlrev_b64 v[60:61], 1, v[2:3]
	v_mfma_f32_16x16x16_f16 v[50:53], v[4:5], v[52:53], v[6:9]
	v_lshl_add_u64 v[10:11], v[62:63], 0, v[54:55]
	v_lshl_add_u64 v[2:3], v[62:63], 0, v[60:61]
	v_pk_mul_f32 v[62:63], s[6:7], v[66:67] op_sel_hi:[0,1]
	v_mfma_f32_16x16x16_f16 v[50:53], v[38:39], v[46:47], v[50:53]
	v_lshl_add_u64 v[64:65], s[4:5], 0, v[86:87]
	v_lshl_add_u64 v[38:39], v[64:65], 0, v[74:75]
	v_pk_mul_f32 v[74:75], s[6:7], v[72:73] op_sel_hi:[0,1]
	v_mfma_f32_16x16x16_f16 v[46:49], v[40:41], v[48:49], v[50:53]
	v_pk_mul_f32 v[72:73], s[6:7], v[92:93] op_sel_hi:[0,1]
	global_load_dwordx4 v[14:17], v[10:11], off
	s_nop 0
	global_load_dwordx4 v[10:13], v[10:11], off offset:16
	s_nop 0
	global_load_dwordx4 v[6:9], v[2:3], off
	s_nop 0
	global_load_dwordx4 v[2:5], v[2:3], off offset:16
	v_mfma_f32_16x16x16_f16 v[40:43], v[34:35], v[42:43], v[46:49]
	v_mfma_f32_16x16x16_f16 v[34:37], v[36:37], v[44:45], v[40:43]
	s_nop 6
	v_pk_mul_f32 v[68:69], s[6:7], v[34:35] op_sel_hi:[0,1]
	v_and_b32_e32 v34, 0xc0, v0
	v_add_u32_e32 v34, s18, v34
	v_lshl_or_b32 v34, v1, 2, v34
	v_or_b32_e32 v35, 1, v34
	v_pk_mul_f32 v[66:67], s[6:7], v[36:37] op_sel_hi:[0,1]
	v_subrev_u32_e32 v36, s27, v35
	v_add_u32_e32 v40, 1, v36
	v_add_u32_e32 v41, 2, v36
	v_cvt_f32_i32_e32 v37, v36
	v_cvt_f32_i32_e32 v40, v40
	;; [unrolled: 1-line block ×3, first 2 shown]
	v_add_u32_e32 v42, 3, v36
	v_fma_f32 v62, v89, v37, v62
	v_fmac_f32_e32 v63, v89, v40
	v_fma_f32 v78, v89, v41, v78
	v_add_u32_e32 v37, 16, v36
	v_add_u32_e32 v40, 17, v36
	;; [unrolled: 1-line block ×3, first 2 shown]
	v_cvt_f32_i32_e32 v42, v42
	v_cvt_f32_i32_e32 v37, v37
	;; [unrolled: 1-line block ×4, first 2 shown]
	v_fmac_f32_e32 v79, v89, v42
	v_add_u32_e32 v42, 19, v36
	v_fma_f32 v76, v89, v37, v76
	v_fmac_f32_e32 v77, v89, v40
	v_fma_f32 v74, v89, v41, v74
	v_add_u32_e32 v37, 32, v36
	v_add_u32_e32 v40, 33, v36
	;; [unrolled: 1-line block ×3, first 2 shown]
	v_cvt_f32_i32_e32 v42, v42
	v_cvt_f32_i32_e32 v37, v37
	;; [unrolled: 1-line block ×4, first 2 shown]
	v_fmac_f32_e32 v75, v89, v42
	v_add_u32_e32 v42, 35, v36
	v_fma_f32 v72, v89, v37, v72
	v_fmac_f32_e32 v73, v89, v40
	v_fma_f32 v70, v89, v41, v70
	v_add_u32_e32 v37, 48, v36
	v_add_u32_e32 v40, 49, v36
	;; [unrolled: 1-line block ×4, first 2 shown]
	v_cvt_f32_i32_e32 v36, v36
	v_cvt_f32_i32_e32 v37, v37
	;; [unrolled: 1-line block ×3, first 2 shown]
	v_cmp_gt_i32_e64 s[28:29], s27, v34
	v_fmac_f32_e32 v67, v89, v36
	v_mov_b32_e32 v36, 0xff7fffff
	v_cmp_gt_i32_e64 s[30:31], s27, v35
	v_fma_f32 v68, v89, v37, v68
	v_cndmask_b32_e64 v37, v36, v62, s[28:29]
	v_cndmask_b32_e64 v35, v36, v63, s[30:31]
	v_fmac_f32_e32 v69, v89, v40
	v_max3_f32 v35, v37, s33, v35
	v_or_b32_e32 v37, 2, v34
	v_or_b32_e32 v40, 3, v34
	v_cmp_gt_i32_e64 s[34:35], s27, v37
	v_cmp_gt_i32_e64 s[36:37], s27, v40
	v_cvt_f32_i32_e32 v42, v42
	v_cndmask_b32_e64 v37, v36, v78, s[34:35]
	v_cndmask_b32_e64 v40, v36, v79, s[36:37]
	v_max3_f32 v35, v35, v37, v40
	v_or_b32_e32 v37, 16, v34
	v_or_b32_e32 v40, 17, v34
	v_cmp_gt_i32_e64 s[22:23], s27, v37
	v_cmp_gt_i32_e64 s[24:25], s27, v40
	v_fmac_f32_e32 v71, v89, v42
	v_cndmask_b32_e64 v37, v36, v76, s[22:23]
	v_cndmask_b32_e64 v40, v36, v77, s[24:25]
	v_max3_f32 v35, v35, v37, v40
	v_or_b32_e32 v37, 18, v34
	v_or_b32_e32 v40, 19, v34
	v_cmp_gt_i32_e64 s[18:19], s27, v37
	v_cmp_gt_i32_e64 s[20:21], s27, v40
	v_cvt_f32_i32_e32 v41, v41
	v_cndmask_b32_e64 v37, v36, v74, s[18:19]
	v_cndmask_b32_e64 v40, v36, v75, s[20:21]
	v_max3_f32 v35, v35, v37, v40
	v_or_b32_e32 v37, 32, v34
	v_or_b32_e32 v40, 33, v34
	v_cmp_gt_i32_e64 s[14:15], s27, v37
	v_cmp_gt_i32_e64 s[16:17], s27, v40
	v_fma_f32 v66, v89, v41, v66
	v_cndmask_b32_e64 v37, v36, v72, s[14:15]
	v_cndmask_b32_e64 v40, v36, v73, s[16:17]
	v_max3_f32 v35, v35, v37, v40
	v_or_b32_e32 v37, 34, v34
	v_or_b32_e32 v40, 35, v34
	v_cmp_gt_i32_e64 s[10:11], s27, v37
	v_cmp_gt_i32_e64 s[12:13], s27, v40
	s_nop 0
	v_cndmask_b32_e64 v37, v36, v70, s[10:11]
	v_cndmask_b32_e64 v40, v36, v71, s[12:13]
	v_max3_f32 v35, v35, v37, v40
	v_or_b32_e32 v37, 48, v34
	v_or_b32_e32 v40, 49, v34
	v_cmp_gt_i32_e64 s[6:7], s27, v37
	v_cmp_gt_i32_e64 s[8:9], s27, v40
	s_nop 0
	v_cndmask_b32_e64 v37, v36, v68, s[6:7]
	v_cndmask_b32_e64 v40, v36, v69, s[8:9]
	v_max3_f32 v35, v35, v37, v40
	v_or_b32_e32 v37, 50, v34
	v_or_b32_e32 v34, 51, v34
	v_cmp_gt_i32_e32 vcc, s27, v37
	v_cmp_gt_i32_e64 s[4:5], s27, v34
	global_load_dwordx4 v[46:49], v[38:39], off
	s_nop 0
	global_load_dwordx4 v[38:41], v[38:39], off offset:16
	v_cndmask_b32_e32 v37, v36, v66, vcc
	v_cndmask_b32_e64 v34, v36, v67, s[4:5]
	v_max3_f32 v50, v35, v37, v34
	v_mbcnt_lo_u32_b32 v34, -1, 0
	v_mbcnt_hi_u32_b32 v51, -1, v34
	v_and_b32_e32 v34, 64, v51
	v_add_u32_e32 v52, 64, v34
	v_xor_b32_e32 v34, 32, v51
	v_cmp_lt_i32_e64 s[38:39], v34, v52
	s_nop 1
	v_cndmask_b32_e64 v34, v51, v34, s[38:39]
	v_lshlrev_b32_e32 v87, 2, v34
	ds_bpermute_b32 v53, v87, v50
	v_lshl_add_u64 v[34:35], v[64:65], 0, v[58:59]
	v_lshl_add_u64 v[58:59], v[64:65], 0, v[60:61]
	global_load_dwordx4 v[42:45], v[34:35], off
	s_nop 0
	global_load_dwordx4 v[34:37], v[34:35], off offset:16
	s_waitcnt lgkmcnt(0)
	v_max_f32_e32 v53, v53, v53
	v_max_f32_e32 v80, v50, v53
	v_xor_b32_e32 v50, 16, v51
	v_cmp_lt_i32_e64 s[38:39], v50, v52
	s_nop 1
	v_cndmask_b32_e64 v50, v51, v50, s[38:39]
	v_lshlrev_b32_e32 v89, 2, v50
	ds_bpermute_b32 v81, v89, v80
	v_lshl_add_u64 v[50:51], v[64:65], 0, v[54:55]
	global_load_dwordx4 v[54:57], v[50:51], off
	s_nop 0
	global_load_dwordx4 v[50:53], v[50:51], off offset:16
	s_waitcnt lgkmcnt(0)
	v_max_f32_e32 v60, v81, v81
	v_max_f32_e32 v86, v80, v60
	v_sub_f32_e32 v60, v62, v86
	v_mul_f32_e32 v60, 0x3fb8aa3b, v60
	v_exp_f32_e32 v80, v60
	v_sub_f32_e32 v60, v63, v86
	v_mul_f32_e32 v60, 0x3fb8aa3b, v60
	v_exp_f32_e32 v81, v60
	global_load_dwordx4 v[62:65], v[58:59], off
	s_nop 0
	global_load_dwordx4 v[58:61], v[58:59], off offset:16
	v_sub_f32_e32 v78, v78, v86
	v_mul_f32_e32 v78, 0x3fb8aa3b, v78
	v_sub_f32_e32 v79, v79, v86
	v_exp_f32_e32 v78, v78
	v_mul_f32_e32 v79, 0x3fb8aa3b, v79
	v_sub_f32_e32 v76, v76, v86
	v_exp_f32_e32 v79, v79
	v_mul_f32_e32 v76, 0x3fb8aa3b, v76
	v_sub_f32_e32 v77, v77, v86
	v_cndmask_b32_e64 v80, 0, v80, s[28:29]
	v_exp_f32_e32 v76, v76
	v_mul_f32_e32 v77, 0x3fb8aa3b, v77
	v_sub_f32_e32 v74, v74, v86
	v_add_f32_e32 v91, 0, v80
	v_cndmask_b32_e64 v81, 0, v81, s[30:31]
	v_exp_f32_e32 v77, v77
	v_mul_f32_e32 v74, 0x3fb8aa3b, v74
	v_sub_f32_e32 v75, v75, v86
	v_add_f32_e32 v91, v91, v81
	;; [unrolled: 5-line block ×10, first 2 shown]
	v_cndmask_b32_e64 v70, 0, v70, s[10:11]
	v_exp_f32_e32 v66, v66
	v_mul_f32_e32 v67, 0x3fb8aa3b, v67
	v_add_f32_e32 v91, v91, v70
	v_cndmask_b32_e64 v71, 0, v71, s[12:13]
	v_exp_f32_e32 v67, v67
	v_add_f32_e32 v91, v91, v71
	v_cndmask_b32_e64 v68, 0, v68, s[6:7]
	v_add_f32_e32 v91, v91, v68
	v_cndmask_b32_e64 v69, 0, v69, s[8:9]
	v_add_f32_e32 v91, v91, v69
	v_cndmask_b32_e32 v66, 0, v66, vcc
	v_add_f32_e32 v91, v91, v66
	v_cndmask_b32_e64 v67, 0, v67, s[4:5]
	v_add_f32_e32 v91, v91, v67
	ds_bpermute_b32 v87, v87, v91
	s_load_dword s7, s[0:1], 0x98
	v_cmp_gt_u32_e32 vcc, 16, v88
	s_waitcnt lgkmcnt(0)
	s_barrier
	v_add_f32_e32 v87, v91, v87
	ds_bpermute_b32 v89, v89, v87
	s_waitcnt lgkmcnt(0)
	s_and_saveexec_b64 s[4:5], vcc
	s_cbranch_execz .LBB259_15
; %bb.14:
	v_add_f32_e32 v87, v87, v89
	v_lshlrev_b32_e32 v88, 2, v90
	ds_write2st64_b32 v88, v86, v87 offset1:1
.LBB259_15:
	s_or_b64 exec, exec, s[4:5]
	v_lshlrev_b32_e32 v87, 2, v84
	s_load_dword s6, s[0:1], 0x94
	s_waitcnt lgkmcnt(0)
	s_barrier
	ds_read2_b32 v[88:89], v87 offset1:16
	ds_read2_b32 v[90:91], v87 offset0:32 offset1:48
	ds_read2_b32 v[92:93], v87 offset0:64 offset1:80
	s_mul_i32 s7, s7, 12
	s_waitcnt lgkmcnt(2)
	v_max3_f32 v86, v88, s33, v89
	s_waitcnt lgkmcnt(1)
	v_max3_f32 v86, v86, v90, v91
	v_sub_f32_e32 v88, v88, v86
	v_mul_f32_e32 v88, 0x3fb8aa3b, v88
	v_exp_f32_e32 v94, v88
	v_sub_f32_e32 v88, v89, v86
	v_mul_f32_e32 v88, 0x3fb8aa3b, v88
	v_exp_f32_e32 v95, v88
	;; [unrolled: 3-line block ×3, first 2 shown]
	ds_read2_b32 v[88:89], v87 offset0:96 offset1:112
	v_sub_f32_e32 v87, v91, v86
	v_mul_f32_e32 v87, 0x3fb8aa3b, v87
	v_exp_f32_e32 v91, v87
	s_waitcnt lgkmcnt(1)
	v_fma_f32 v87, v94, v92, 0
	v_fmac_f32_e32 v87, v95, v93
	s_waitcnt lgkmcnt(0)
	v_fmac_f32_e32 v87, v90, v88
	v_fmac_f32_e32 v87, v91, v89
	v_add_f32_e32 v88, 0x358637bd, v87
	v_div_scale_f32 v89, s[4:5], v88, v88, 1.0
	v_rcp_f32_e32 v92, v89
	s_barrier
	v_fma_f32 v93, -v89, v92, 1.0
	v_fmac_f32_e32 v92, v93, v92
	v_div_scale_f32 v93, vcc, 1.0, v88, 1.0
	v_mul_f32_e32 v83, v93, v92
	v_fma_f32 v1, -v89, v83, v93
	v_fmac_f32_e32 v83, v1, v92
	v_fma_f32 v1, -v89, v83, v93
	v_div_fmas_f32 v1, v1, v92, v83
	v_cmp_eq_u32_e32 vcc, 1, v85
	v_div_fixup_f32 v1, v1, v88, 1.0
	s_nop 0
	v_cndmask_b32_e32 v83, v94, v95, vcc
	v_cmp_eq_u32_e32 vcc, 2, v85
	s_nop 1
	v_cndmask_b32_e32 v83, v83, v90, vcc
	v_cmp_eq_u32_e32 vcc, 3, v85
	s_nop 1
	v_cndmask_b32_e32 v83, v83, v91, vcc
	v_mul_f32_e32 v88, v83, v1
	v_pk_mul_f32 v[78:79], v[88:89], v[78:79] op_sel_hi:[0,1]
	v_cvt_f16_f32_e32 v78, v78
	v_cvt_f16_f32_e32 v79, v79
	v_pk_mul_f32 v[80:81], v[88:89], v[80:81] op_sel_hi:[0,1]
	v_cvt_f16_f32_e32 v1, v80
	v_cvt_f16_f32_e32 v80, v81
	v_pk_mul_f32 v[74:75], v[88:89], v[74:75] op_sel_hi:[0,1]
	v_pk_mul_f32 v[76:77], v[88:89], v[76:77] op_sel_hi:[0,1]
	v_pack_b32_f16 v81, v78, v79
	v_cvt_f16_f32_e32 v76, v76
	v_cvt_f16_f32_e32 v77, v77
	;; [unrolled: 1-line block ×4, first 2 shown]
	v_bfe_u32 v83, v0, 4, 2
	v_pack_b32_f16 v80, v1, v80
	v_lshlrev_b32_e32 v1, 3, v83
	v_lshlrev_b32_e32 v78, 5, v84
	;; [unrolled: 1-line block ×3, first 2 shown]
	v_pk_mul_f32 v[70:71], v[88:89], v[70:71] op_sel_hi:[0,1]
	v_pk_mul_f32 v[72:73], v[88:89], v[72:73] op_sel_hi:[0,1]
	;; [unrolled: 1-line block ×4, first 2 shown]
	v_or3_b32 v74, v74, v78, v1
	v_pack_b32_f16 v76, v76, v77
	v_pack_b32_f16 v77, v79, v75
	v_cvt_f16_f32_e32 v1, v72
	v_cvt_f16_f32_e32 v72, v73
	;; [unrolled: 1-line block ×8, first 2 shown]
	v_pack_b32_f16 v66, v1, v72
	v_pack_b32_f16 v67, v70, v71
	;; [unrolled: 1-line block ×4, first 2 shown]
	v_cmp_gt_u32_e32 vcc, 12, v0
	ds_write2st64_b64 v74, v[80:81], v[76:77] offset1:1
	ds_write2st64_b64 v74, v[66:67], v[68:69] offset0:2 offset1:3
	s_and_saveexec_b64 s[4:5], vcc
	s_cbranch_execz .LBB259_17
; %bb.16:
	s_mov_b32 s41, 0
	v_mov_b32_e32 v85, 0
	v_lshl_add_u64 v[66:67], s[40:41], 0, v[84:85]
	v_mov_b32_e32 v1, s7
	v_mad_u64_u32 v[66:67], s[12:13], s2, v1, v[66:67]
	s_mul_i32 s3, s3, s7
	v_mov_b32_e32 v68, s26
	v_mov_b32_e32 v69, v85
	s_load_dwordx4 s[8:11], s[0:1], 0x58
	v_add_u32_e32 v1, s3, v67
	v_mad_u64_u32 v[66:67], s[12:13], v66, s6, v[68:69]
	v_mov_b32_e32 v68, v67
	v_mad_u64_u32 v[68:69], s[12:13], v1, s6, v[68:69]
	v_mov_b32_e32 v67, v68
	v_lshlrev_b64 v[66:67], 2, v[66:67]
	s_waitcnt lgkmcnt(0)
	v_lshl_add_u64 v[68:69], s[10:11], 0, v[66:67]
	v_lshl_add_u64 v[66:67], s[8:9], 0, v[66:67]
	global_store_dword v[68:69], v86, off
	global_store_dword v[66:67], v87, off
.LBB259_17:
	s_or_b64 exec, exec, s[4:5]
	v_lshl_or_b32 v1, v83, 9, v78
	s_waitcnt lgkmcnt(0)
	s_barrier
	ds_read_b128 v[70:73], v1
	ds_read_b128 v[66:69], v1 offset:16
	s_waitcnt vmcnt(15) lgkmcnt(1)
	v_mfma_f32_16x16x16_f16 v[76:79], v[30:31], v[70:71], 0
	s_mov_b32 s3, 0
	v_cmp_gt_u32_e32 vcc, 64, v0
	v_mfma_f32_16x16x16_f16 v[30:33], v[32:33], v[72:73], v[76:79]
	s_waitcnt vmcnt(14) lgkmcnt(0)
	v_mfma_f32_16x16x16_f16 v[30:33], v[26:27], v[66:67], v[30:33]
	v_mfma_f32_16x16x16_f16 v[26:29], v[28:29], v[68:69], v[30:33]
	s_nop 5
	ds_read_b128 v[30:33], v1 offset:2048
	ds_read_b128 v[76:79], v1 offset:2064
	s_waitcnt vmcnt(13) lgkmcnt(1)
	v_mfma_f32_16x16x16_f16 v[26:29], v[22:23], v[30:31], v[26:29]
	v_mfma_f32_16x16x16_f16 v[22:25], v[24:25], v[32:33], v[26:29]
	s_waitcnt vmcnt(12) lgkmcnt(0)
	v_mfma_f32_16x16x16_f16 v[22:25], v[18:19], v[76:77], v[22:25]
	v_mfma_f32_16x16x16_f16 v[18:21], v[20:21], v[78:79], v[22:25]
	s_nop 5
	ds_read_b128 v[22:25], v1 offset:4096
	ds_read_b128 v[26:29], v1 offset:4112
	s_waitcnt vmcnt(11) lgkmcnt(1)
	v_mfma_f32_16x16x16_f16 v[18:21], v[14:15], v[22:23], v[18:21]
	v_mfma_f32_16x16x16_f16 v[14:17], v[16:17], v[24:25], v[18:21]
	s_waitcnt vmcnt(10) lgkmcnt(0)
	v_mfma_f32_16x16x16_f16 v[14:17], v[10:11], v[26:27], v[14:17]
	v_mfma_f32_16x16x16_f16 v[10:13], v[12:13], v[28:29], v[14:17]
	s_nop 5
	ds_read_b128 v[14:17], v1 offset:6144
	ds_read_b128 v[18:21], v1 offset:6160
	s_waitcnt lgkmcnt(0)
	s_barrier
	s_waitcnt vmcnt(9)
	v_mfma_f32_16x16x16_f16 v[10:13], v[6:7], v[14:15], v[10:13]
	v_mfma_f32_16x16x16_f16 v[6:9], v[8:9], v[16:17], v[10:13]
	s_waitcnt vmcnt(8)
	v_mfma_f32_16x16x16_f16 v[6:9], v[2:3], v[18:19], v[6:9]
	v_mfma_f32_16x16x16_f16 v[2:5], v[4:5], v[20:21], v[6:9]
	;; [unrolled: 3-line block ×3, first 2 shown]
	s_nop 3
	v_cvt_f16_f32_e32 v1, v2
	v_cvt_f16_f32_e32 v10, v3
	v_cvt_f16_f32_e32 v11, v4
	s_waitcnt vmcnt(6)
	v_mfma_f32_16x16x16_f16 v[6:9], v[38:39], v[66:67], v[6:9]
	v_cvt_f16_f32_e32 v12, v5
	v_mfma_f32_16x16x16_f16 v[6:9], v[40:41], v[68:69], v[6:9]
	s_waitcnt vmcnt(5)
	v_mfma_f32_16x16x16_f16 v[6:9], v[42:43], v[30:31], v[6:9]
	v_mfma_f32_16x16x16_f16 v[6:9], v[44:45], v[32:33], v[6:9]
	s_waitcnt vmcnt(4)
	v_mfma_f32_16x16x16_f16 v[6:9], v[34:35], v[76:77], v[6:9]
	;; [unrolled: 3-line block ×6, first 2 shown]
	v_mfma_f32_16x16x16_f16 v[2:5], v[60:61], v[20:21], v[6:9]
	s_nop 6
	v_cvt_f16_f32_e32 v6, v2
	v_cvt_f16_f32_e32 v7, v3
	;; [unrolled: 1-line block ×4, first 2 shown]
	v_pack_b32_f16 v2, v1, v10
	v_pack_b32_f16 v3, v11, v12
	;; [unrolled: 1-line block ×4, first 2 shown]
	ds_write2st64_b64 v74, v[2:3], v[4:5] offset1:1
	s_waitcnt lgkmcnt(0)
	s_barrier
	s_and_saveexec_b64 s[4:5], vcc
	s_cbranch_execz .LBB259_19
; %bb.18:
	s_load_dwordx2 s[0:1], s[0:1], 0x68
	s_lshl_b32 s6, s6, 7
	s_mul_i32 s2, s7, s2
	s_mul_hi_u32 s5, s2, s6
	s_mul_i32 s4, s2, s6
	s_lshl_b64 s[4:5], s[4:5], 1
	v_lshlrev_b32_e32 v3, 6, v84
	s_waitcnt lgkmcnt(0)
	s_add_u32 s4, s0, s4
	v_lshlrev_b32_e32 v2, 4, v0
	v_lshl_or_b32 v0, v0, 10, v3
	s_addc_u32 s5, s1, s5
	s_lshl_b32 s2, s26, 7
	v_lshlrev_b32_e32 v1, 5, v83
	v_and_b32_e32 v2, 16, v2
	v_and_b32_e32 v0, 0x1a00, v0
	s_lshl_b64 s[0:1], s[2:3], 1
	v_or3_b32 v0, v0, v1, v2
	s_add_u32 s0, s4, s0
	ds_read_b128 v[2:5], v0
	ds_read_b128 v[6:9], v0 offset:128
	ds_read_b128 v[10:13], v0 offset:256
	s_addc_u32 s1, s5, s1
	v_or_b32_e32 v16, s40, v83
	v_mov_b32_e32 v83, 0
	v_lshl_add_u64 v[0:1], s[0:1], 0, v[82:83]
	v_mad_u64_u32 v[14:15], s[0:1], v16, s6, 0
	v_lshl_add_u64 v[14:15], v[14:15], 1, v[0:1]
	s_waitcnt lgkmcnt(2)
	global_store_dwordx4 v[14:15], v[2:5], off
	s_nop 1
	v_add_u32_e32 v2, 4, v16
	v_mad_u64_u32 v[2:3], s[0:1], v2, s6, 0
	v_lshl_add_u64 v[2:3], v[2:3], 1, v[0:1]
	s_waitcnt lgkmcnt(1)
	global_store_dwordx4 v[2:3], v[6:9], off
	v_add_u32_e32 v2, 8, v16
	v_mad_u64_u32 v[2:3], s[0:1], v2, s6, 0
	v_lshl_add_u64 v[0:1], v[2:3], 1, v[0:1]
	s_waitcnt lgkmcnt(0)
	global_store_dwordx4 v[0:1], v[10:13], off
.LBB259_19:
	s_endpgm
	.section	.rodata,"a",@progbits
	.p2align	6, 0x0
	.amdhsa_kernel _Z39paged_attention_ll4mi_QKV_mfma16_kernelIDF16_DF16_LN4vllm18Fp8KVCacheDataTypeE0EDF16_Li16ELi128ELi256ELb1ELi12EEvPKT_PKT0_S7_ifPKiS9_S9_iPKfiiiPfSC_PS2_PT2_iSB_SB_
		.amdhsa_group_segment_fixed_size 8192
		.amdhsa_private_segment_fixed_size 0
		.amdhsa_kernarg_size 400
		.amdhsa_user_sgpr_count 2
		.amdhsa_user_sgpr_dispatch_ptr 0
		.amdhsa_user_sgpr_queue_ptr 0
		.amdhsa_user_sgpr_kernarg_segment_ptr 1
		.amdhsa_user_sgpr_dispatch_id 0
		.amdhsa_user_sgpr_kernarg_preload_length 0
		.amdhsa_user_sgpr_kernarg_preload_offset 0
		.amdhsa_user_sgpr_private_segment_size 0
		.amdhsa_uses_dynamic_stack 0
		.amdhsa_enable_private_segment 0
		.amdhsa_system_sgpr_workgroup_id_x 1
		.amdhsa_system_sgpr_workgroup_id_y 1
		.amdhsa_system_sgpr_workgroup_id_z 1
		.amdhsa_system_sgpr_workgroup_info 0
		.amdhsa_system_vgpr_workitem_id 0
		.amdhsa_next_free_vgpr 96
		.amdhsa_next_free_sgpr 42
		.amdhsa_accum_offset 96
		.amdhsa_reserve_vcc 1
		.amdhsa_float_round_mode_32 0
		.amdhsa_float_round_mode_16_64 0
		.amdhsa_float_denorm_mode_32 3
		.amdhsa_float_denorm_mode_16_64 3
		.amdhsa_dx10_clamp 1
		.amdhsa_ieee_mode 1
		.amdhsa_fp16_overflow 0
		.amdhsa_tg_split 0
		.amdhsa_exception_fp_ieee_invalid_op 0
		.amdhsa_exception_fp_denorm_src 0
		.amdhsa_exception_fp_ieee_div_zero 0
		.amdhsa_exception_fp_ieee_overflow 0
		.amdhsa_exception_fp_ieee_underflow 0
		.amdhsa_exception_fp_ieee_inexact 0
		.amdhsa_exception_int_div_zero 0
	.end_amdhsa_kernel
	.section	.text._Z39paged_attention_ll4mi_QKV_mfma16_kernelIDF16_DF16_LN4vllm18Fp8KVCacheDataTypeE0EDF16_Li16ELi128ELi256ELb1ELi12EEvPKT_PKT0_S7_ifPKiS9_S9_iPKfiiiPfSC_PS2_PT2_iSB_SB_,"axG",@progbits,_Z39paged_attention_ll4mi_QKV_mfma16_kernelIDF16_DF16_LN4vllm18Fp8KVCacheDataTypeE0EDF16_Li16ELi128ELi256ELb1ELi12EEvPKT_PKT0_S7_ifPKiS9_S9_iPKfiiiPfSC_PS2_PT2_iSB_SB_,comdat
.Lfunc_end259:
	.size	_Z39paged_attention_ll4mi_QKV_mfma16_kernelIDF16_DF16_LN4vllm18Fp8KVCacheDataTypeE0EDF16_Li16ELi128ELi256ELb1ELi12EEvPKT_PKT0_S7_ifPKiS9_S9_iPKfiiiPfSC_PS2_PT2_iSB_SB_, .Lfunc_end259-_Z39paged_attention_ll4mi_QKV_mfma16_kernelIDF16_DF16_LN4vllm18Fp8KVCacheDataTypeE0EDF16_Li16ELi128ELi256ELb1ELi12EEvPKT_PKT0_S7_ifPKiS9_S9_iPKfiiiPfSC_PS2_PT2_iSB_SB_
                                        ; -- End function
	.section	.AMDGPU.csdata,"",@progbits
; Kernel info:
; codeLenInByte = 4716
; NumSgprs: 48
; NumVgprs: 96
; NumAgprs: 0
; TotalNumVgprs: 96
; ScratchSize: 0
; MemoryBound: 0
; FloatMode: 240
; IeeeMode: 1
; LDSByteSize: 8192 bytes/workgroup (compile time only)
; SGPRBlocks: 5
; VGPRBlocks: 11
; NumSGPRsForWavesPerEU: 48
; NumVGPRsForWavesPerEU: 96
; AccumOffset: 96
; Occupancy: 5
; WaveLimiterHint : 1
; COMPUTE_PGM_RSRC2:SCRATCH_EN: 0
; COMPUTE_PGM_RSRC2:USER_SGPR: 2
; COMPUTE_PGM_RSRC2:TRAP_HANDLER: 0
; COMPUTE_PGM_RSRC2:TGID_X_EN: 1
; COMPUTE_PGM_RSRC2:TGID_Y_EN: 1
; COMPUTE_PGM_RSRC2:TGID_Z_EN: 1
; COMPUTE_PGM_RSRC2:TIDIG_COMP_CNT: 0
; COMPUTE_PGM_RSRC3_GFX90A:ACCUM_OFFSET: 23
; COMPUTE_PGM_RSRC3_GFX90A:TG_SPLIT: 0
	.section	.text._Z39paged_attention_ll4mi_QKV_mfma16_kernelIDF16_DF16_LN4vllm18Fp8KVCacheDataTypeE0EDF16_Li16ELi128ELi256ELb1ELi13EEvPKT_PKT0_S7_ifPKiS9_S9_iPKfiiiPfSC_PS2_PT2_iSB_SB_,"axG",@progbits,_Z39paged_attention_ll4mi_QKV_mfma16_kernelIDF16_DF16_LN4vllm18Fp8KVCacheDataTypeE0EDF16_Li16ELi128ELi256ELb1ELi13EEvPKT_PKT0_S7_ifPKiS9_S9_iPKfiiiPfSC_PS2_PT2_iSB_SB_,comdat
	.protected	_Z39paged_attention_ll4mi_QKV_mfma16_kernelIDF16_DF16_LN4vllm18Fp8KVCacheDataTypeE0EDF16_Li16ELi128ELi256ELb1ELi13EEvPKT_PKT0_S7_ifPKiS9_S9_iPKfiiiPfSC_PS2_PT2_iSB_SB_ ; -- Begin function _Z39paged_attention_ll4mi_QKV_mfma16_kernelIDF16_DF16_LN4vllm18Fp8KVCacheDataTypeE0EDF16_Li16ELi128ELi256ELb1ELi13EEvPKT_PKT0_S7_ifPKiS9_S9_iPKfiiiPfSC_PS2_PT2_iSB_SB_
	.globl	_Z39paged_attention_ll4mi_QKV_mfma16_kernelIDF16_DF16_LN4vllm18Fp8KVCacheDataTypeE0EDF16_Li16ELi128ELi256ELb1ELi13EEvPKT_PKT0_S7_ifPKiS9_S9_iPKfiiiPfSC_PS2_PT2_iSB_SB_
	.p2align	8
	.type	_Z39paged_attention_ll4mi_QKV_mfma16_kernelIDF16_DF16_LN4vllm18Fp8KVCacheDataTypeE0EDF16_Li16ELi128ELi256ELb1ELi13EEvPKT_PKT0_S7_ifPKiS9_S9_iPKfiiiPfSC_PS2_PT2_iSB_SB_,@function
_Z39paged_attention_ll4mi_QKV_mfma16_kernelIDF16_DF16_LN4vllm18Fp8KVCacheDataTypeE0EDF16_Li16ELi128ELi256ELb1ELi13EEvPKT_PKT0_S7_ifPKiS9_S9_iPKfiiiPfSC_PS2_PT2_iSB_SB_: ; @_Z39paged_attention_ll4mi_QKV_mfma16_kernelIDF16_DF16_LN4vllm18Fp8KVCacheDataTypeE0EDF16_Li16ELi128ELi256ELb1ELi13EEvPKT_PKT0_S7_ifPKiS9_S9_iPKfiiiPfSC_PS2_PT2_iSB_SB_
; %bb.0:
	s_load_dwordx2 s[8:9], s[0:1], 0x30
	s_mov_b32 s26, s3
	s_mov_b64 s[6:7], 0
	s_waitcnt lgkmcnt(0)
	s_cmp_lg_u64 s[8:9], 0
	s_cselect_b64 s[10:11], -1, 0
	s_and_b64 vcc, exec, s[10:11]
	s_cbranch_vccz .LBB260_7
; %bb.1:
	s_add_i32 s12, s2, 1
	s_mov_b32 s13, 0
	s_lshl_b64 s[14:15], s[12:13], 2
	s_add_u32 s14, s8, s14
	s_mov_b32 s3, s13
	s_addc_u32 s15, s9, s15
	s_lshl_b64 s[12:13], s[2:3], 2
	s_add_u32 s12, s8, s12
	s_addc_u32 s13, s9, s13
	s_load_dword s5, s[14:15], 0x0
	s_load_dword s16, s[12:13], 0x0
	s_waitcnt lgkmcnt(0)
	s_sub_i32 s5, s5, s16
	s_cmp_eq_u32 s5, 1
	s_cselect_b64 s[12:13], -1, 0
	s_andn2_b64 vcc, exec, s[6:7]
	s_cbranch_vccnz .LBB260_3
.LBB260_2:
	s_mov_b32 s3, 0
	s_mov_b64 s[12:13], -1
.LBB260_3:
	s_andn2_b64 vcc, exec, s[12:13]
	s_cbranch_vccnz .LBB260_20
; %bb.4:
	s_load_dwordx2 s[6:7], s[0:1], 0x28
	s_lshl_b64 s[12:13], s[2:3], 2
	s_waitcnt lgkmcnt(0)
	s_add_u32 s6, s6, s12
	s_addc_u32 s7, s7, s13
	s_load_dword s27, s[6:7], 0x0
	s_lshl_b32 s18, s26, 8
	s_waitcnt lgkmcnt(0)
	s_cmp_ge_i32 s18, s27
	s_cbranch_scc1 .LBB260_20
; %bb.5:
	s_load_dwordx2 s[6:7], s[0:1], 0x20
	s_load_dword s5, s[0:1], 0x38
	s_add_i32 s14, s27, 15
	s_ashr_i32 s15, s14, 31
	v_and_b32_e32 v1, 0xcf, v0
	s_lshr_b32 s15, s15, 28
	v_add_u32_e32 v1, s18, v1
	s_add_i32 s14, s14, s15
	v_ashrrev_i32_e32 v2, 31, v1
	s_ashr_i32 s19, s14, 4
	v_lshrrev_b32_e32 v4, 28, v2
	s_add_i32 s19, s19, -1
	s_waitcnt lgkmcnt(0)
	s_mul_i32 s14, s2, s5
	s_mov_b32 s15, 0
	v_add_u32_e32 v2, v1, v4
	s_lshl_b64 s[14:15], s[14:15], 2
	v_ashrrev_i32_e32 v2, 4, v2
	v_mov_b32_e32 v5, s19
	v_cmp_gt_i32_e32 vcc, s27, v1
	s_add_u32 s6, s6, s14
	s_addc_u32 s7, s7, s15
	v_cndmask_b32_e32 v2, v5, v2, vcc
	v_ashrrev_i32_e32 v3, 31, v2
	v_lshl_add_u64 v[6:7], v[2:3], 2, s[6:7]
	v_or_b32_e32 v2, 16, v1
	v_add_u32_e32 v3, v2, v4
	v_ashrrev_i32_e32 v3, 4, v3
	v_cmp_gt_i32_e32 vcc, s27, v2
	s_load_dwordx2 s[14:15], s[0:1], 0x8
	s_nop 0
	v_cndmask_b32_e32 v2, v5, v3, vcc
	v_ashrrev_i32_e32 v3, 31, v2
	v_lshl_add_u64 v[8:9], v[2:3], 2, s[6:7]
	v_or_b32_e32 v2, 32, v1
	v_add_u32_e32 v3, v2, v4
	v_ashrrev_i32_e32 v3, 4, v3
	v_cmp_gt_i32_e32 vcc, s27, v2
	v_or_b32_e32 v1, 48, v1
	s_nop 0
	v_cndmask_b32_e32 v2, v5, v3, vcc
	v_ashrrev_i32_e32 v3, 31, v2
	v_lshl_add_u64 v[10:11], v[2:3], 2, s[6:7]
	v_add_u32_e32 v2, v1, v4
	v_ashrrev_i32_e32 v2, 4, v2
	v_cmp_gt_i32_e32 vcc, s27, v1
	s_nop 1
	v_cndmask_b32_e32 v2, v5, v2, vcc
	v_ashrrev_i32_e32 v3, 31, v2
	v_lshl_add_u64 v[12:13], v[2:3], 2, s[6:7]
	global_load_dword v5, v[6:7], off
	global_load_dword v4, v[8:9], off
	;; [unrolled: 1-line block ×4, first 2 shown]
	s_andn2_b64 vcc, exec, s[10:11]
	s_cbranch_vccnz .LBB260_8
; %bb.6:
	s_add_u32 s8, s8, s12
	s_addc_u32 s9, s9, s13
	s_load_dword s5, s[8:9], 0x0
	s_branch .LBB260_9
.LBB260_7:
	s_mov_b64 s[12:13], 0
	s_branch .LBB260_2
.LBB260_8:
	s_mov_b32 s5, s2
.LBB260_9:
	s_load_dwordx2 s[12:13], s[0:1], 0x10
	s_load_dwordx4 s[8:11], s[0:1], 0x48
	v_lshrrev_b32_e32 v85, 6, v0
	v_bfe_u32 v88, v0, 4, 2
	v_and_b32_e32 v84, 15, v0
	v_lshl_or_b32 v1, v85, 2, v88
	v_lshlrev_b32_e32 v6, 3, v84
	s_mul_i32 s40, s4, 13
	v_cmp_gt_u32_e32 vcc, 13, v1
	v_lshlrev_b32_e32 v82, 1, v6
	s_and_saveexec_b64 s[16:17], vcc
	s_cbranch_execz .LBB260_11
; %bb.10:
	s_load_dwordx2 s[20:21], s[0:1], 0x0
	s_waitcnt lgkmcnt(0)
	s_ashr_i32 s11, s8, 31
	s_mul_hi_u32 s22, s5, s8
	s_mul_i32 s11, s5, s11
	s_add_i32 s23, s22, s11
	s_mul_i32 s22, s5, s8
	s_lshl_b64 s[22:23], s[22:23], 1
	s_add_u32 s20, s20, s22
	v_add_lshl_u32 v6, v1, s40, 7
	s_addc_u32 s21, s21, s23
	v_ashrrev_i32_e32 v7, 31, v6
	v_lshl_add_u64 v[6:7], v[6:7], 1, s[20:21]
	v_mov_b32_e32 v83, 0
	v_lshl_add_u64 v[6:7], v[6:7], 0, v[82:83]
	global_load_dwordx4 v[6:9], v[6:7], off
	v_and_b32_e32 v10, 3, v0
	v_lshlrev_b32_e32 v11, 9, v84
	v_lshlrev_b32_e32 v1, 5, v1
	v_lshlrev_b32_e32 v10, 9, v10
	v_and_b32_e32 v11, 0x1800, v11
	v_or3_b32 v1, v11, v10, v1
	s_waitcnt vmcnt(0)
	ds_write_b128 v1, v[6:9]
.LBB260_11:
	s_or_b64 exec, exec, s[16:17]
	s_waitcnt lgkmcnt(0)
	s_mul_i32 s4, s4, s10
	s_mov_b32 s5, 0
	s_lshl_b64 s[4:5], s[4:5], 1
	s_add_u32 s10, s14, s4
	v_lshlrev_b32_e32 v1, 4, v0
	s_addc_u32 s11, s15, s5
	v_and_b32_e32 v86, 0xf0, v1
	v_mov_b32_e32 v87, 0
	v_lshl_add_u64 v[6:7], s[10:11], 0, v[86:87]
	s_waitcnt vmcnt(3)
	v_mad_i64_i32 v[8:9], s[10:11], v5, s9, 0
	s_waitcnt vmcnt(2)
	v_mad_i64_i32 v[4:5], s[10:11], v4, s9, 0
	v_lshl_add_u64 v[8:9], v[8:9], 1, v[6:7]
	v_and_b32_e32 v86, 0x300, v1
	v_lshl_add_u64 v[4:5], v[4:5], 1, v[6:7]
	v_lshl_add_u64 v[8:9], v[8:9], 0, v[86:87]
	;; [unrolled: 1-line block ×3, first 2 shown]
	s_barrier
	global_load_dwordx4 v[78:81], v[8:9], off
	global_load_dwordx4 v[74:77], v[8:9], off offset:1024
	global_load_dwordx4 v[70:73], v[8:9], off offset:2048
	;; [unrolled: 1-line block ×3, first 2 shown]
	global_load_dwordx4 v[66:69], v[4:5], off
	global_load_dwordx4 v[62:65], v[4:5], off offset:1024
	global_load_dwordx4 v[58:61], v[4:5], off offset:2048
	;; [unrolled: 1-line block ×3, first 2 shown]
	s_waitcnt vmcnt(9)
	v_mad_i64_i32 v[4:5], s[10:11], v3, s9, 0
	s_waitcnt vmcnt(8)
	v_mad_i64_i32 v[2:3], s[10:11], v2, s9, 0
	v_lshl_add_u64 v[4:5], v[4:5], 1, v[6:7]
	v_lshl_add_u64 v[2:3], v[2:3], 1, v[6:7]
	;; [unrolled: 1-line block ×4, first 2 shown]
	global_load_dwordx4 v[30:33], v[4:5], off
	global_load_dwordx4 v[26:29], v[4:5], off offset:1024
	global_load_dwordx4 v[22:25], v[4:5], off offset:2048
	;; [unrolled: 1-line block ×3, first 2 shown]
	global_load_dwordx4 v[6:9], v[34:35], off
	s_nop 0
	global_load_dwordx4 v[2:5], v[34:35], off offset:1024
	global_load_dwordx4 v[38:41], v[34:35], off offset:2048
	s_nop 0
	global_load_dwordx4 v[34:37], v[34:35], off offset:3072
	v_add_u32_e32 v42, -13, v84
	v_cmp_gt_u32_e32 vcc, 13, v84
	v_and_b32_e32 v83, 63, v0
	v_mov_b32_e32 v89, 0
	v_cndmask_b32_e32 v42, v42, v84, vcc
	v_lshlrev_b32_e32 v42, 5, v42
	v_lshl_add_u32 v42, v88, 9, v42
	ds_read_b128 v[54:57], v42
	ds_read_b128 v[50:53], v42 offset:2048
	ds_read_b128 v[46:49], v42 offset:4096
	;; [unrolled: 1-line block ×3, first 2 shown]
	s_and_saveexec_b64 s[10:11], vcc
	s_cbranch_execz .LBB260_13
; %bb.12:
	s_load_dwordx2 s[14:15], s[0:1], 0x40
	v_add_u32_e32 v90, s40, v84
	v_ashrrev_i32_e32 v91, 31, v90
	s_waitcnt lgkmcnt(0)
	v_lshl_add_u64 v[90:91], v[90:91], 2, s[14:15]
	global_load_dword v89, v[90:91], off
.LBB260_13:
	s_or_b64 exec, exec, s[10:11]
	s_waitcnt vmcnt(15) lgkmcnt(3)
	v_mfma_f32_16x16x16_f16 v[90:93], v[78:79], v[54:55], 0
	s_add_u32 s4, s12, s4
	s_addc_u32 s5, s13, s5
	s_mov_b32 s33, 0xff7fffff
	v_mfma_f32_16x16x16_f16 v[78:81], v[80:81], v[56:57], v[90:93]
	s_waitcnt vmcnt(14) lgkmcnt(2)
	v_mfma_f32_16x16x16_f16 v[78:81], v[74:75], v[50:51], v[78:81]
	s_nop 0
	v_lshl_or_b32 v90, v85, 4, v84
	v_lshlrev_b32_e32 v86, 5, v90
	v_mfma_f32_16x16x16_f16 v[74:77], v[76:77], v[52:53], v[78:81]
	s_waitcnt vmcnt(13) lgkmcnt(1)
	v_mfma_f32_16x16x16_f16 v[74:77], v[70:71], v[46:47], v[74:77]
	v_mfma_f32_16x16x16_f16 v[70:73], v[72:73], v[48:49], v[74:77]
	s_waitcnt vmcnt(11)
	v_mfma_f32_16x16x16_f16 v[74:77], v[66:67], v[54:55], 0
	v_mfma_f32_16x16x16_f16 v[66:69], v[68:69], v[56:57], v[74:77]
	s_nop 5
	v_and_or_b32 v74, v0, 48, s18
	s_waitcnt lgkmcnt(0)
	v_mfma_f32_16x16x16_f16 v[70:73], v[10:11], v[42:43], v[70:73]
	v_ashrrev_i32_e32 v10, 4, v74
	v_mov_b32_e32 v75, s19
	v_cmp_gt_i32_e32 vcc, s27, v74
	s_waitcnt vmcnt(10)
	v_mfma_f32_16x16x16_f16 v[66:69], v[62:63], v[50:51], v[66:69]
	v_cndmask_b32_e32 v10, v75, v10, vcc
	v_ashrrev_i32_e32 v11, 31, v10
	v_lshl_add_u64 v[10:11], v[10:11], 2, s[6:7]
	global_load_dword v76, v[10:11], off
	v_mfma_f32_16x16x16_f16 v[62:65], v[64:65], v[52:53], v[66:69]
	v_or_b32_e32 v10, 64, v74
	v_ashrrev_i32_e32 v11, 4, v10
	v_cmp_gt_i32_e32 vcc, s27, v10
	s_waitcnt vmcnt(10)
	v_mfma_f32_16x16x16_f16 v[62:65], v[58:59], v[46:47], v[62:65]
	v_cndmask_b32_e32 v10, v75, v11, vcc
	v_ashrrev_i32_e32 v11, 31, v10
	v_lshl_add_u64 v[10:11], v[10:11], 2, s[6:7]
	global_load_dword v77, v[10:11], off
	v_or_b32_e32 v10, 0x80, v74
	v_mfma_f32_16x16x16_f16 v[58:61], v[60:61], v[48:49], v[62:65]
	v_ashrrev_i32_e32 v11, 4, v10
	v_cmp_gt_i32_e32 vcc, s27, v10
	s_waitcnt vmcnt(9)
	v_mfma_f32_16x16x16_f16 v[62:65], v[30:31], v[54:55], 0
	v_cndmask_b32_e32 v10, v75, v11, vcc
	v_ashrrev_i32_e32 v11, 31, v10
	v_lshl_add_u64 v[10:11], v[10:11], 2, s[6:7]
	v_mfma_f32_16x16x16_f16 v[30:33], v[32:33], v[56:57], v[62:65]
	s_nop 2
	global_load_dword v64, v[10:11], off
	v_or_b32_e32 v10, 0xc0, v74
	v_ashrrev_i32_e32 v11, 4, v10
	v_cmp_gt_i32_e32 vcc, s27, v10
	s_waitcnt vmcnt(9)
	v_mfma_f32_16x16x16_f16 v[30:33], v[26:27], v[50:51], v[30:33]
	v_lshl_add_u64 v[62:63], s[4:5], 0, v[86:87]
	v_cndmask_b32_e32 v10, v75, v11, vcc
	v_ashrrev_i32_e32 v11, 31, v10
	v_lshl_add_u64 v[10:11], v[10:11], 2, s[6:7]
	global_load_dword v65, v[10:11], off
	v_mfma_f32_16x16x16_f16 v[26:29], v[28:29], v[52:53], v[30:33]
	s_load_dword s6, s[0:1], 0x1c
	v_or_b32_e32 v86, 0x800, v86
	s_waitcnt vmcnt(3)
	v_mad_i64_i32 v[10:11], s[10:11], v76, s9, 0
	v_mfma_f32_16x16x16_f16 v[26:29], v[22:23], v[46:47], v[26:29]
	v_lshlrev_b64 v[74:75], 1, v[10:11]
	v_mfma_f32_16x16x16_f16 v[66:69], v[12:13], v[44:45], v[70:73]
	v_mfma_f32_16x16x16_f16 v[10:13], v[24:25], v[48:49], v[26:29]
	;; [unrolled: 1-line block ×3, first 2 shown]
	v_lshl_add_u64 v[14:15], v[62:63], 0, v[74:75]
	s_waitcnt lgkmcnt(0)
	s_nop 2
	v_pk_mul_f32 v[78:79], s[6:7], v[68:69] op_sel_hi:[0,1]
	v_mfma_f32_16x16x16_f16 v[10:13], v[18:19], v[42:43], v[10:13]
	v_mfma_f32_16x16x16_f16 v[70:73], v[16:17], v[44:45], v[30:33]
	s_nop 2
	global_load_dwordx4 v[30:33], v[14:15], off
	global_load_dwordx4 v[26:29], v[14:15], off offset:16
	s_waitcnt vmcnt(4)
	v_mad_i64_i32 v[14:15], s[10:11], v77, s9, 0
	v_lshlrev_b64 v[58:59], 1, v[14:15]
	v_mfma_f32_16x16x16_f16 v[92:95], v[20:21], v[44:45], v[10:13]
	v_pk_mul_f32 v[76:77], s[6:7], v[70:71] op_sel_hi:[0,1]
	s_nop 1
	v_lshl_add_u64 v[10:11], v[62:63], 0, v[58:59]
	global_load_dwordx4 v[22:25], v[10:11], off
	global_load_dwordx4 v[18:21], v[10:11], off offset:16
	v_mfma_f32_16x16x16_f16 v[10:13], v[6:7], v[54:55], 0
	s_waitcnt vmcnt(5)
	v_mad_i64_i32 v[6:7], s[10:11], v64, s9, 0
	v_lshlrev_b64 v[54:55], 1, v[6:7]
	v_mfma_f32_16x16x16_f16 v[6:9], v[8:9], v[56:57], v[10:13]
	v_pk_mul_f32 v[70:71], s[6:7], v[94:95] op_sel_hi:[0,1]
	v_mfma_f32_16x16x16_f16 v[6:9], v[2:3], v[50:51], v[6:9]
	s_waitcnt vmcnt(4)
	v_mad_i64_i32 v[2:3], s[8:9], v65, s9, 0
	v_lshlrev_b64 v[60:61], 1, v[2:3]
	v_mfma_f32_16x16x16_f16 v[50:53], v[4:5], v[52:53], v[6:9]
	v_lshl_add_u64 v[10:11], v[62:63], 0, v[54:55]
	v_lshl_add_u64 v[2:3], v[62:63], 0, v[60:61]
	v_pk_mul_f32 v[62:63], s[6:7], v[66:67] op_sel_hi:[0,1]
	v_mfma_f32_16x16x16_f16 v[50:53], v[38:39], v[46:47], v[50:53]
	v_lshl_add_u64 v[64:65], s[4:5], 0, v[86:87]
	v_lshl_add_u64 v[38:39], v[64:65], 0, v[74:75]
	v_pk_mul_f32 v[74:75], s[6:7], v[72:73] op_sel_hi:[0,1]
	v_mfma_f32_16x16x16_f16 v[46:49], v[40:41], v[48:49], v[50:53]
	v_pk_mul_f32 v[72:73], s[6:7], v[92:93] op_sel_hi:[0,1]
	global_load_dwordx4 v[14:17], v[10:11], off
	s_nop 0
	global_load_dwordx4 v[10:13], v[10:11], off offset:16
	s_nop 0
	global_load_dwordx4 v[6:9], v[2:3], off
	s_nop 0
	global_load_dwordx4 v[2:5], v[2:3], off offset:16
	v_mfma_f32_16x16x16_f16 v[40:43], v[34:35], v[42:43], v[46:49]
	v_mfma_f32_16x16x16_f16 v[34:37], v[36:37], v[44:45], v[40:43]
	s_nop 6
	v_pk_mul_f32 v[68:69], s[6:7], v[34:35] op_sel_hi:[0,1]
	v_and_b32_e32 v34, 0xc0, v0
	v_add_u32_e32 v34, s18, v34
	v_lshl_or_b32 v34, v88, 2, v34
	v_or_b32_e32 v35, 1, v34
	v_pk_mul_f32 v[66:67], s[6:7], v[36:37] op_sel_hi:[0,1]
	v_subrev_u32_e32 v36, s27, v35
	v_add_u32_e32 v40, 1, v36
	v_add_u32_e32 v41, 2, v36
	v_cvt_f32_i32_e32 v37, v36
	v_cvt_f32_i32_e32 v40, v40
	;; [unrolled: 1-line block ×3, first 2 shown]
	v_add_u32_e32 v42, 3, v36
	v_fma_f32 v62, v89, v37, v62
	v_fmac_f32_e32 v63, v89, v40
	v_fma_f32 v78, v89, v41, v78
	v_add_u32_e32 v37, 16, v36
	v_add_u32_e32 v40, 17, v36
	;; [unrolled: 1-line block ×3, first 2 shown]
	v_cvt_f32_i32_e32 v42, v42
	v_cvt_f32_i32_e32 v37, v37
	;; [unrolled: 1-line block ×4, first 2 shown]
	v_fmac_f32_e32 v79, v89, v42
	v_add_u32_e32 v42, 19, v36
	v_fma_f32 v76, v89, v37, v76
	v_fmac_f32_e32 v77, v89, v40
	v_fma_f32 v74, v89, v41, v74
	v_add_u32_e32 v37, 32, v36
	v_add_u32_e32 v40, 33, v36
	;; [unrolled: 1-line block ×3, first 2 shown]
	v_cvt_f32_i32_e32 v42, v42
	v_cvt_f32_i32_e32 v37, v37
	;; [unrolled: 1-line block ×4, first 2 shown]
	v_fmac_f32_e32 v75, v89, v42
	v_add_u32_e32 v42, 35, v36
	v_fma_f32 v72, v89, v37, v72
	v_fmac_f32_e32 v73, v89, v40
	v_fma_f32 v70, v89, v41, v70
	v_add_u32_e32 v37, 48, v36
	v_add_u32_e32 v40, 49, v36
	;; [unrolled: 1-line block ×4, first 2 shown]
	v_cvt_f32_i32_e32 v36, v36
	v_cvt_f32_i32_e32 v37, v37
	v_cvt_f32_i32_e32 v40, v40
	v_cmp_gt_i32_e64 s[28:29], s27, v34
	v_fmac_f32_e32 v67, v89, v36
	v_mov_b32_e32 v36, 0xff7fffff
	v_cmp_gt_i32_e64 s[30:31], s27, v35
	v_fma_f32 v68, v89, v37, v68
	v_cndmask_b32_e64 v37, v36, v62, s[28:29]
	v_cndmask_b32_e64 v35, v36, v63, s[30:31]
	v_fmac_f32_e32 v69, v89, v40
	v_max3_f32 v35, v37, s33, v35
	v_or_b32_e32 v37, 2, v34
	v_or_b32_e32 v40, 3, v34
	v_cmp_gt_i32_e64 s[34:35], s27, v37
	v_cmp_gt_i32_e64 s[36:37], s27, v40
	v_cvt_f32_i32_e32 v42, v42
	v_cndmask_b32_e64 v37, v36, v78, s[34:35]
	v_cndmask_b32_e64 v40, v36, v79, s[36:37]
	v_max3_f32 v35, v35, v37, v40
	v_or_b32_e32 v37, 16, v34
	v_or_b32_e32 v40, 17, v34
	v_cmp_gt_i32_e64 s[22:23], s27, v37
	v_cmp_gt_i32_e64 s[24:25], s27, v40
	v_fmac_f32_e32 v71, v89, v42
	v_cndmask_b32_e64 v37, v36, v76, s[22:23]
	v_cndmask_b32_e64 v40, v36, v77, s[24:25]
	v_max3_f32 v35, v35, v37, v40
	v_or_b32_e32 v37, 18, v34
	v_or_b32_e32 v40, 19, v34
	v_cmp_gt_i32_e64 s[18:19], s27, v37
	v_cmp_gt_i32_e64 s[20:21], s27, v40
	v_cvt_f32_i32_e32 v41, v41
	v_cndmask_b32_e64 v37, v36, v74, s[18:19]
	v_cndmask_b32_e64 v40, v36, v75, s[20:21]
	v_max3_f32 v35, v35, v37, v40
	v_or_b32_e32 v37, 32, v34
	v_or_b32_e32 v40, 33, v34
	v_cmp_gt_i32_e64 s[14:15], s27, v37
	v_cmp_gt_i32_e64 s[16:17], s27, v40
	v_fma_f32 v66, v89, v41, v66
	v_cndmask_b32_e64 v37, v36, v72, s[14:15]
	v_cndmask_b32_e64 v40, v36, v73, s[16:17]
	v_max3_f32 v35, v35, v37, v40
	v_or_b32_e32 v37, 34, v34
	v_or_b32_e32 v40, 35, v34
	v_cmp_gt_i32_e64 s[10:11], s27, v37
	v_cmp_gt_i32_e64 s[12:13], s27, v40
	s_nop 0
	v_cndmask_b32_e64 v37, v36, v70, s[10:11]
	v_cndmask_b32_e64 v40, v36, v71, s[12:13]
	v_max3_f32 v35, v35, v37, v40
	v_or_b32_e32 v37, 48, v34
	v_or_b32_e32 v40, 49, v34
	v_cmp_gt_i32_e64 s[6:7], s27, v37
	v_cmp_gt_i32_e64 s[8:9], s27, v40
	s_nop 0
	v_cndmask_b32_e64 v37, v36, v68, s[6:7]
	v_cndmask_b32_e64 v40, v36, v69, s[8:9]
	v_max3_f32 v35, v35, v37, v40
	v_or_b32_e32 v37, 50, v34
	v_or_b32_e32 v34, 51, v34
	v_cmp_gt_i32_e32 vcc, s27, v37
	v_cmp_gt_i32_e64 s[4:5], s27, v34
	global_load_dwordx4 v[46:49], v[38:39], off
	s_nop 0
	global_load_dwordx4 v[38:41], v[38:39], off offset:16
	v_cndmask_b32_e32 v37, v36, v66, vcc
	v_cndmask_b32_e64 v34, v36, v67, s[4:5]
	v_max3_f32 v50, v35, v37, v34
	v_mbcnt_lo_u32_b32 v34, -1, 0
	v_mbcnt_hi_u32_b32 v51, -1, v34
	v_and_b32_e32 v34, 64, v51
	v_add_u32_e32 v52, 64, v34
	v_xor_b32_e32 v34, 32, v51
	v_cmp_lt_i32_e64 s[38:39], v34, v52
	s_nop 1
	v_cndmask_b32_e64 v34, v51, v34, s[38:39]
	v_lshlrev_b32_e32 v87, 2, v34
	ds_bpermute_b32 v53, v87, v50
	v_lshl_add_u64 v[34:35], v[64:65], 0, v[58:59]
	v_lshl_add_u64 v[58:59], v[64:65], 0, v[60:61]
	global_load_dwordx4 v[42:45], v[34:35], off
	s_nop 0
	global_load_dwordx4 v[34:37], v[34:35], off offset:16
	s_waitcnt lgkmcnt(0)
	v_max_f32_e32 v53, v53, v53
	v_max_f32_e32 v80, v50, v53
	v_xor_b32_e32 v50, 16, v51
	v_cmp_lt_i32_e64 s[38:39], v50, v52
	s_nop 1
	v_cndmask_b32_e64 v50, v51, v50, s[38:39]
	v_lshlrev_b32_e32 v89, 2, v50
	ds_bpermute_b32 v81, v89, v80
	v_lshl_add_u64 v[50:51], v[64:65], 0, v[54:55]
	global_load_dwordx4 v[54:57], v[50:51], off
	s_nop 0
	global_load_dwordx4 v[50:53], v[50:51], off offset:16
	s_waitcnt lgkmcnt(0)
	v_max_f32_e32 v60, v81, v81
	v_max_f32_e32 v86, v80, v60
	v_sub_f32_e32 v60, v62, v86
	v_mul_f32_e32 v60, 0x3fb8aa3b, v60
	v_exp_f32_e32 v80, v60
	v_sub_f32_e32 v60, v63, v86
	v_mul_f32_e32 v60, 0x3fb8aa3b, v60
	v_exp_f32_e32 v81, v60
	global_load_dwordx4 v[62:65], v[58:59], off
	s_nop 0
	global_load_dwordx4 v[58:61], v[58:59], off offset:16
	v_sub_f32_e32 v78, v78, v86
	v_mul_f32_e32 v78, 0x3fb8aa3b, v78
	v_sub_f32_e32 v79, v79, v86
	v_exp_f32_e32 v78, v78
	v_mul_f32_e32 v79, 0x3fb8aa3b, v79
	v_sub_f32_e32 v76, v76, v86
	v_exp_f32_e32 v79, v79
	v_mul_f32_e32 v76, 0x3fb8aa3b, v76
	v_sub_f32_e32 v77, v77, v86
	v_cndmask_b32_e64 v80, 0, v80, s[28:29]
	v_exp_f32_e32 v76, v76
	v_mul_f32_e32 v77, 0x3fb8aa3b, v77
	v_sub_f32_e32 v74, v74, v86
	v_add_f32_e32 v91, 0, v80
	v_cndmask_b32_e64 v81, 0, v81, s[30:31]
	v_exp_f32_e32 v77, v77
	v_mul_f32_e32 v74, 0x3fb8aa3b, v74
	v_sub_f32_e32 v75, v75, v86
	v_add_f32_e32 v91, v91, v81
	;; [unrolled: 5-line block ×10, first 2 shown]
	v_cndmask_b32_e64 v70, 0, v70, s[10:11]
	v_exp_f32_e32 v66, v66
	v_mul_f32_e32 v67, 0x3fb8aa3b, v67
	v_add_f32_e32 v91, v91, v70
	v_cndmask_b32_e64 v71, 0, v71, s[12:13]
	v_exp_f32_e32 v67, v67
	v_add_f32_e32 v91, v91, v71
	v_cndmask_b32_e64 v68, 0, v68, s[6:7]
	v_add_f32_e32 v91, v91, v68
	v_cndmask_b32_e64 v69, 0, v69, s[8:9]
	v_add_f32_e32 v91, v91, v69
	v_cndmask_b32_e32 v66, 0, v66, vcc
	v_add_f32_e32 v91, v91, v66
	v_cndmask_b32_e64 v67, 0, v67, s[4:5]
	v_add_f32_e32 v91, v91, v67
	ds_bpermute_b32 v87, v87, v91
	s_load_dword s9, s[0:1], 0x98
	v_cmp_gt_u32_e64 s[4:5], 16, v83
	s_waitcnt lgkmcnt(0)
	s_barrier
	v_add_f32_e32 v87, v91, v87
	ds_bpermute_b32 v89, v89, v87
	s_waitcnt lgkmcnt(0)
	s_and_saveexec_b64 s[6:7], s[4:5]
	s_cbranch_execz .LBB260_15
; %bb.14:
	v_add_f32_e32 v83, v87, v89
	v_lshlrev_b32_e32 v87, 2, v90
	ds_write2st64_b32 v87, v86, v83 offset1:1
.LBB260_15:
	s_or_b64 exec, exec, s[6:7]
	v_lshlrev_b32_e32 v89, 2, v84
	s_load_dword s8, s[0:1], 0x94
	s_waitcnt lgkmcnt(0)
	s_barrier
	ds_read2_b32 v[86:87], v89 offset1:16
	ds_read2_b32 v[90:91], v89 offset0:32 offset1:48
	ds_read2_b32 v[92:93], v89 offset0:64 offset1:80
	;; [unrolled: 1-line block ×3, first 2 shown]
	s_mul_i32 s9, s9, 13
	s_waitcnt lgkmcnt(3)
	v_max3_f32 v83, v86, s33, v87
	s_waitcnt lgkmcnt(2)
	v_max3_f32 v83, v83, v90, v91
	v_sub_f32_e32 v86, v86, v83
	v_mul_f32_e32 v86, 0x3fb8aa3b, v86
	v_exp_f32_e32 v1, v86
	v_sub_f32_e32 v86, v87, v83
	v_mul_f32_e32 v86, 0x3fb8aa3b, v86
	v_exp_f32_e32 v87, v86
	;; [unrolled: 3-line block ×4, first 2 shown]
	s_waitcnt lgkmcnt(1)
	v_fma_f32 v86, v1, v92, 0
	v_fmac_f32_e32 v86, v87, v93
	s_waitcnt lgkmcnt(0)
	v_fmac_f32_e32 v86, v90, v94
	v_fmac_f32_e32 v86, v89, v95
	v_add_f32_e32 v91, 0x358637bd, v86
	v_div_scale_f32 v92, s[6:7], v91, v91, 1.0
	v_rcp_f32_e32 v93, v92
	s_barrier
	v_fma_f32 v94, -v92, v93, 1.0
	v_fmac_f32_e32 v93, v94, v93
	v_div_scale_f32 v94, vcc, 1.0, v91, 1.0
	v_mul_f32_e32 v95, v94, v93
	v_fma_f32 v88, -v92, v95, v94
	v_fmac_f32_e32 v95, v88, v93
	v_fma_f32 v88, -v92, v95, v94
	v_div_fmas_f32 v88, v88, v93, v95
	v_cmp_eq_u32_e32 vcc, 1, v85
	v_div_fixup_f32 v88, v88, v91, 1.0
	s_nop 0
	v_cndmask_b32_e32 v1, v1, v87, vcc
	v_cmp_eq_u32_e32 vcc, 2, v85
	v_bfe_u32 v87, v0, 4, 2
	s_nop 0
	v_cndmask_b32_e32 v1, v1, v90, vcc
	v_cmp_eq_u32_e32 vcc, 3, v85
	s_nop 1
	v_cndmask_b32_e32 v1, v1, v89, vcc
	v_mul_f32_e32 v90, v1, v88
	v_pk_mul_f32 v[78:79], v[90:91], v[78:79] op_sel_hi:[0,1]
	v_cvt_f16_f32_e32 v78, v78
	v_cvt_f16_f32_e32 v79, v79
	v_pk_mul_f32 v[80:81], v[90:91], v[80:81] op_sel_hi:[0,1]
	v_cvt_f16_f32_e32 v1, v80
	v_cvt_f16_f32_e32 v80, v81
	v_pk_mul_f32 v[74:75], v[90:91], v[74:75] op_sel_hi:[0,1]
	v_pk_mul_f32 v[76:77], v[90:91], v[76:77] op_sel_hi:[0,1]
	v_pack_b32_f16 v81, v78, v79
	v_cvt_f16_f32_e32 v76, v76
	v_cvt_f16_f32_e32 v77, v77
	;; [unrolled: 1-line block ×4, first 2 shown]
	v_pack_b32_f16 v80, v1, v80
	v_lshlrev_b32_e32 v1, 3, v87
	v_lshlrev_b32_e32 v78, 5, v84
	;; [unrolled: 1-line block ×3, first 2 shown]
	v_pk_mul_f32 v[70:71], v[90:91], v[70:71] op_sel_hi:[0,1]
	v_pk_mul_f32 v[72:73], v[90:91], v[72:73] op_sel_hi:[0,1]
	;; [unrolled: 1-line block ×4, first 2 shown]
	v_or3_b32 v74, v74, v78, v1
	v_pack_b32_f16 v76, v76, v77
	v_pack_b32_f16 v77, v79, v75
	v_cvt_f16_f32_e32 v1, v72
	v_cvt_f16_f32_e32 v72, v73
	;; [unrolled: 1-line block ×8, first 2 shown]
	v_pack_b32_f16 v66, v1, v72
	v_pack_b32_f16 v67, v70, v71
	;; [unrolled: 1-line block ×4, first 2 shown]
	v_cmp_gt_u32_e32 vcc, 13, v0
	ds_write2st64_b64 v74, v[80:81], v[76:77] offset1:1
	ds_write2st64_b64 v74, v[66:67], v[68:69] offset0:2 offset1:3
	s_and_saveexec_b64 s[6:7], vcc
	s_cbranch_execz .LBB260_17
; %bb.16:
	s_mov_b32 s41, 0
	v_mov_b32_e32 v85, 0
	v_lshl_add_u64 v[66:67], s[40:41], 0, v[84:85]
	v_mov_b32_e32 v1, s9
	v_mad_u64_u32 v[66:67], s[10:11], s2, v1, v[66:67]
	s_mul_i32 s3, s3, s9
	v_mov_b32_e32 v68, s26
	v_mov_b32_e32 v69, v85
	s_load_dwordx4 s[12:15], s[0:1], 0x58
	v_add_u32_e32 v1, s3, v67
	v_mad_u64_u32 v[66:67], s[10:11], v66, s8, v[68:69]
	v_mov_b32_e32 v68, v67
	v_mad_u64_u32 v[68:69], s[10:11], v1, s8, v[68:69]
	v_mov_b32_e32 v67, v68
	v_lshlrev_b64 v[66:67], 2, v[66:67]
	s_waitcnt lgkmcnt(0)
	v_lshl_add_u64 v[68:69], s[14:15], 0, v[66:67]
	v_lshl_add_u64 v[66:67], s[12:13], 0, v[66:67]
	global_store_dword v[68:69], v83, off
	global_store_dword v[66:67], v86, off
.LBB260_17:
	s_or_b64 exec, exec, s[6:7]
	v_lshl_or_b32 v1, v87, 9, v78
	s_waitcnt lgkmcnt(0)
	s_barrier
	ds_read_b128 v[70:73], v1
	ds_read_b128 v[66:69], v1 offset:16
	s_waitcnt vmcnt(15) lgkmcnt(1)
	v_mfma_f32_16x16x16_f16 v[76:79], v[30:31], v[70:71], 0
	s_mov_b32 s3, 0
	v_cmp_gt_u32_e32 vcc, 64, v0
	v_mfma_f32_16x16x16_f16 v[30:33], v[32:33], v[72:73], v[76:79]
	s_waitcnt vmcnt(14) lgkmcnt(0)
	v_mfma_f32_16x16x16_f16 v[30:33], v[26:27], v[66:67], v[30:33]
	v_mfma_f32_16x16x16_f16 v[26:29], v[28:29], v[68:69], v[30:33]
	s_nop 5
	ds_read_b128 v[30:33], v1 offset:2048
	ds_read_b128 v[76:79], v1 offset:2064
	s_waitcnt vmcnt(13) lgkmcnt(1)
	v_mfma_f32_16x16x16_f16 v[26:29], v[22:23], v[30:31], v[26:29]
	v_mfma_f32_16x16x16_f16 v[22:25], v[24:25], v[32:33], v[26:29]
	s_waitcnt vmcnt(12) lgkmcnt(0)
	v_mfma_f32_16x16x16_f16 v[22:25], v[18:19], v[76:77], v[22:25]
	v_mfma_f32_16x16x16_f16 v[18:21], v[20:21], v[78:79], v[22:25]
	s_nop 5
	ds_read_b128 v[22:25], v1 offset:4096
	ds_read_b128 v[26:29], v1 offset:4112
	s_waitcnt vmcnt(11) lgkmcnt(1)
	v_mfma_f32_16x16x16_f16 v[18:21], v[14:15], v[22:23], v[18:21]
	v_mfma_f32_16x16x16_f16 v[14:17], v[16:17], v[24:25], v[18:21]
	s_waitcnt vmcnt(10) lgkmcnt(0)
	v_mfma_f32_16x16x16_f16 v[14:17], v[10:11], v[26:27], v[14:17]
	v_mfma_f32_16x16x16_f16 v[10:13], v[12:13], v[28:29], v[14:17]
	s_nop 5
	ds_read_b128 v[14:17], v1 offset:6144
	ds_read_b128 v[18:21], v1 offset:6160
	s_waitcnt lgkmcnt(0)
	s_barrier
	s_waitcnt vmcnt(9)
	v_mfma_f32_16x16x16_f16 v[10:13], v[6:7], v[14:15], v[10:13]
	v_mfma_f32_16x16x16_f16 v[6:9], v[8:9], v[16:17], v[10:13]
	s_waitcnt vmcnt(8)
	v_mfma_f32_16x16x16_f16 v[6:9], v[2:3], v[18:19], v[6:9]
	v_mfma_f32_16x16x16_f16 v[2:5], v[4:5], v[20:21], v[6:9]
	s_waitcnt vmcnt(7)
	v_mfma_f32_16x16x16_f16 v[6:9], v[46:47], v[70:71], 0
	v_mfma_f32_16x16x16_f16 v[6:9], v[48:49], v[72:73], v[6:9]
	s_nop 3
	v_cvt_f16_f32_e32 v1, v2
	v_cvt_f16_f32_e32 v10, v3
	v_cvt_f16_f32_e32 v11, v4
	s_waitcnt vmcnt(6)
	v_mfma_f32_16x16x16_f16 v[6:9], v[38:39], v[66:67], v[6:9]
	v_cvt_f16_f32_e32 v12, v5
	v_mfma_f32_16x16x16_f16 v[6:9], v[40:41], v[68:69], v[6:9]
	s_waitcnt vmcnt(5)
	v_mfma_f32_16x16x16_f16 v[6:9], v[42:43], v[30:31], v[6:9]
	v_mfma_f32_16x16x16_f16 v[6:9], v[44:45], v[32:33], v[6:9]
	s_waitcnt vmcnt(4)
	v_mfma_f32_16x16x16_f16 v[6:9], v[34:35], v[76:77], v[6:9]
	;; [unrolled: 3-line block ×6, first 2 shown]
	v_mfma_f32_16x16x16_f16 v[2:5], v[60:61], v[20:21], v[6:9]
	s_nop 6
	v_cvt_f16_f32_e32 v6, v2
	v_cvt_f16_f32_e32 v7, v3
	;; [unrolled: 1-line block ×4, first 2 shown]
	v_pack_b32_f16 v2, v1, v10
	v_pack_b32_f16 v3, v11, v12
	;; [unrolled: 1-line block ×4, first 2 shown]
	ds_write2st64_b64 v74, v[2:3], v[4:5] offset1:1
	s_waitcnt lgkmcnt(0)
	s_barrier
	s_and_saveexec_b64 s[6:7], vcc
	s_cbranch_execz .LBB260_20
; %bb.18:
	s_load_dwordx2 s[6:7], s[0:1], 0x68
	s_lshl_b32 s0, s8, 7
	s_mul_i32 s1, s9, s2
	v_lshlrev_b32_e32 v3, 6, v84
	s_mul_hi_u32 s9, s1, s0
	s_mul_i32 s8, s1, s0
	v_lshlrev_b32_e32 v2, 4, v0
	v_lshl_or_b32 v0, v0, 10, v3
	s_lshl_b64 s[8:9], s[8:9], 1
	v_lshlrev_b32_e32 v1, 5, v87
	v_and_b32_e32 v2, 16, v2
	v_and_b32_e32 v0, 0x1a00, v0
	s_waitcnt lgkmcnt(0)
	s_add_u32 s1, s6, s8
	v_or3_b32 v2, v0, v1, v2
	s_addc_u32 s6, s7, s9
	s_lshl_b32 s2, s26, 7
	ds_read_b128 v[4:7], v2 offset:256
	s_lshl_b64 s[2:3], s[2:3], 1
	ds_read_b128 v[8:11], v2 offset:128
	ds_read_b128 v[12:15], v2
	s_add_u32 s2, s1, s2
	s_addc_u32 s3, s6, s3
	v_mov_b32_e32 v83, 0
	v_add_u32_e32 v3, s40, v87
	v_lshl_add_u64 v[0:1], s[2:3], 0, v[82:83]
	v_mad_u64_u32 v[16:17], s[2:3], v3, s0, 0
	v_lshl_add_u64 v[16:17], v[16:17], 1, v[0:1]
	s_waitcnt lgkmcnt(0)
	global_store_dwordx4 v[16:17], v[12:15], off
	s_nop 1
	v_add_u32_e32 v12, 4, v3
	v_mad_u64_u32 v[12:13], s[2:3], v12, s0, 0
	v_lshl_add_u64 v[12:13], v[12:13], 1, v[0:1]
	v_add_u32_e32 v3, 8, v3
	global_store_dwordx4 v[12:13], v[8:11], off
	s_nop 1
	v_mad_u64_u32 v[8:9], s[2:3], v3, s0, 0
	v_lshl_add_u64 v[8:9], v[8:9], 1, v[0:1]
	global_store_dwordx4 v[8:9], v[4:7], off
	s_and_b64 exec, exec, s[4:5]
	s_cbranch_execz .LBB260_20
; %bb.19:
	ds_read_b128 v[2:5], v2 offset:384
	v_add3_u32 v6, s40, v87, 12
	v_mad_u64_u32 v[6:7], s[0:1], v6, s0, 0
	v_lshl_add_u64 v[0:1], v[6:7], 1, v[0:1]
	s_waitcnt lgkmcnt(0)
	global_store_dwordx4 v[0:1], v[2:5], off
.LBB260_20:
	s_endpgm
	.section	.rodata,"a",@progbits
	.p2align	6, 0x0
	.amdhsa_kernel _Z39paged_attention_ll4mi_QKV_mfma16_kernelIDF16_DF16_LN4vllm18Fp8KVCacheDataTypeE0EDF16_Li16ELi128ELi256ELb1ELi13EEvPKT_PKT0_S7_ifPKiS9_S9_iPKfiiiPfSC_PS2_PT2_iSB_SB_
		.amdhsa_group_segment_fixed_size 8192
		.amdhsa_private_segment_fixed_size 0
		.amdhsa_kernarg_size 400
		.amdhsa_user_sgpr_count 2
		.amdhsa_user_sgpr_dispatch_ptr 0
		.amdhsa_user_sgpr_queue_ptr 0
		.amdhsa_user_sgpr_kernarg_segment_ptr 1
		.amdhsa_user_sgpr_dispatch_id 0
		.amdhsa_user_sgpr_kernarg_preload_length 0
		.amdhsa_user_sgpr_kernarg_preload_offset 0
		.amdhsa_user_sgpr_private_segment_size 0
		.amdhsa_uses_dynamic_stack 0
		.amdhsa_enable_private_segment 0
		.amdhsa_system_sgpr_workgroup_id_x 1
		.amdhsa_system_sgpr_workgroup_id_y 1
		.amdhsa_system_sgpr_workgroup_id_z 1
		.amdhsa_system_sgpr_workgroup_info 0
		.amdhsa_system_vgpr_workitem_id 0
		.amdhsa_next_free_vgpr 96
		.amdhsa_next_free_sgpr 42
		.amdhsa_accum_offset 96
		.amdhsa_reserve_vcc 1
		.amdhsa_float_round_mode_32 0
		.amdhsa_float_round_mode_16_64 0
		.amdhsa_float_denorm_mode_32 3
		.amdhsa_float_denorm_mode_16_64 3
		.amdhsa_dx10_clamp 1
		.amdhsa_ieee_mode 1
		.amdhsa_fp16_overflow 0
		.amdhsa_tg_split 0
		.amdhsa_exception_fp_ieee_invalid_op 0
		.amdhsa_exception_fp_denorm_src 0
		.amdhsa_exception_fp_ieee_div_zero 0
		.amdhsa_exception_fp_ieee_overflow 0
		.amdhsa_exception_fp_ieee_underflow 0
		.amdhsa_exception_fp_ieee_inexact 0
		.amdhsa_exception_int_div_zero 0
	.end_amdhsa_kernel
	.section	.text._Z39paged_attention_ll4mi_QKV_mfma16_kernelIDF16_DF16_LN4vllm18Fp8KVCacheDataTypeE0EDF16_Li16ELi128ELi256ELb1ELi13EEvPKT_PKT0_S7_ifPKiS9_S9_iPKfiiiPfSC_PS2_PT2_iSB_SB_,"axG",@progbits,_Z39paged_attention_ll4mi_QKV_mfma16_kernelIDF16_DF16_LN4vllm18Fp8KVCacheDataTypeE0EDF16_Li16ELi128ELi256ELb1ELi13EEvPKT_PKT0_S7_ifPKiS9_S9_iPKfiiiPfSC_PS2_PT2_iSB_SB_,comdat
.Lfunc_end260:
	.size	_Z39paged_attention_ll4mi_QKV_mfma16_kernelIDF16_DF16_LN4vllm18Fp8KVCacheDataTypeE0EDF16_Li16ELi128ELi256ELb1ELi13EEvPKT_PKT0_S7_ifPKiS9_S9_iPKfiiiPfSC_PS2_PT2_iSB_SB_, .Lfunc_end260-_Z39paged_attention_ll4mi_QKV_mfma16_kernelIDF16_DF16_LN4vllm18Fp8KVCacheDataTypeE0EDF16_Li16ELi128ELi256ELb1ELi13EEvPKT_PKT0_S7_ifPKiS9_S9_iPKfiiiPfSC_PS2_PT2_iSB_SB_
                                        ; -- End function
	.section	.AMDGPU.csdata,"",@progbits
; Kernel info:
; codeLenInByte = 4752
; NumSgprs: 48
; NumVgprs: 96
; NumAgprs: 0
; TotalNumVgprs: 96
; ScratchSize: 0
; MemoryBound: 0
; FloatMode: 240
; IeeeMode: 1
; LDSByteSize: 8192 bytes/workgroup (compile time only)
; SGPRBlocks: 5
; VGPRBlocks: 11
; NumSGPRsForWavesPerEU: 48
; NumVGPRsForWavesPerEU: 96
; AccumOffset: 96
; Occupancy: 5
; WaveLimiterHint : 1
; COMPUTE_PGM_RSRC2:SCRATCH_EN: 0
; COMPUTE_PGM_RSRC2:USER_SGPR: 2
; COMPUTE_PGM_RSRC2:TRAP_HANDLER: 0
; COMPUTE_PGM_RSRC2:TGID_X_EN: 1
; COMPUTE_PGM_RSRC2:TGID_Y_EN: 1
; COMPUTE_PGM_RSRC2:TGID_Z_EN: 1
; COMPUTE_PGM_RSRC2:TIDIG_COMP_CNT: 0
; COMPUTE_PGM_RSRC3_GFX90A:ACCUM_OFFSET: 23
; COMPUTE_PGM_RSRC3_GFX90A:TG_SPLIT: 0
	.section	.text._Z39paged_attention_ll4mi_QKV_mfma16_kernelIDF16_DF16_LN4vllm18Fp8KVCacheDataTypeE0EDF16_Li16ELi128ELi256ELb1ELi14EEvPKT_PKT0_S7_ifPKiS9_S9_iPKfiiiPfSC_PS2_PT2_iSB_SB_,"axG",@progbits,_Z39paged_attention_ll4mi_QKV_mfma16_kernelIDF16_DF16_LN4vllm18Fp8KVCacheDataTypeE0EDF16_Li16ELi128ELi256ELb1ELi14EEvPKT_PKT0_S7_ifPKiS9_S9_iPKfiiiPfSC_PS2_PT2_iSB_SB_,comdat
	.protected	_Z39paged_attention_ll4mi_QKV_mfma16_kernelIDF16_DF16_LN4vllm18Fp8KVCacheDataTypeE0EDF16_Li16ELi128ELi256ELb1ELi14EEvPKT_PKT0_S7_ifPKiS9_S9_iPKfiiiPfSC_PS2_PT2_iSB_SB_ ; -- Begin function _Z39paged_attention_ll4mi_QKV_mfma16_kernelIDF16_DF16_LN4vllm18Fp8KVCacheDataTypeE0EDF16_Li16ELi128ELi256ELb1ELi14EEvPKT_PKT0_S7_ifPKiS9_S9_iPKfiiiPfSC_PS2_PT2_iSB_SB_
	.globl	_Z39paged_attention_ll4mi_QKV_mfma16_kernelIDF16_DF16_LN4vllm18Fp8KVCacheDataTypeE0EDF16_Li16ELi128ELi256ELb1ELi14EEvPKT_PKT0_S7_ifPKiS9_S9_iPKfiiiPfSC_PS2_PT2_iSB_SB_
	.p2align	8
	.type	_Z39paged_attention_ll4mi_QKV_mfma16_kernelIDF16_DF16_LN4vllm18Fp8KVCacheDataTypeE0EDF16_Li16ELi128ELi256ELb1ELi14EEvPKT_PKT0_S7_ifPKiS9_S9_iPKfiiiPfSC_PS2_PT2_iSB_SB_,@function
_Z39paged_attention_ll4mi_QKV_mfma16_kernelIDF16_DF16_LN4vllm18Fp8KVCacheDataTypeE0EDF16_Li16ELi128ELi256ELb1ELi14EEvPKT_PKT0_S7_ifPKiS9_S9_iPKfiiiPfSC_PS2_PT2_iSB_SB_: ; @_Z39paged_attention_ll4mi_QKV_mfma16_kernelIDF16_DF16_LN4vllm18Fp8KVCacheDataTypeE0EDF16_Li16ELi128ELi256ELb1ELi14EEvPKT_PKT0_S7_ifPKiS9_S9_iPKfiiiPfSC_PS2_PT2_iSB_SB_
; %bb.0:
	s_load_dwordx2 s[8:9], s[0:1], 0x30
	s_mov_b32 s26, s3
	s_mov_b64 s[6:7], 0
	s_waitcnt lgkmcnt(0)
	s_cmp_lg_u64 s[8:9], 0
	s_cselect_b64 s[10:11], -1, 0
	s_and_b64 vcc, exec, s[10:11]
	s_cbranch_vccz .LBB261_7
; %bb.1:
	s_add_i32 s12, s2, 1
	s_mov_b32 s13, 0
	s_lshl_b64 s[14:15], s[12:13], 2
	s_add_u32 s14, s8, s14
	s_mov_b32 s3, s13
	s_addc_u32 s15, s9, s15
	s_lshl_b64 s[12:13], s[2:3], 2
	s_add_u32 s12, s8, s12
	s_addc_u32 s13, s9, s13
	s_load_dword s5, s[14:15], 0x0
	s_load_dword s16, s[12:13], 0x0
	s_waitcnt lgkmcnt(0)
	s_sub_i32 s5, s5, s16
	s_cmp_eq_u32 s5, 1
	s_cselect_b64 s[12:13], -1, 0
	s_andn2_b64 vcc, exec, s[6:7]
	s_cbranch_vccnz .LBB261_3
.LBB261_2:
	s_mov_b32 s3, 0
	s_mov_b64 s[12:13], -1
.LBB261_3:
	s_andn2_b64 vcc, exec, s[12:13]
	s_cbranch_vccnz .LBB261_20
; %bb.4:
	s_load_dwordx2 s[6:7], s[0:1], 0x28
	s_lshl_b64 s[12:13], s[2:3], 2
	s_waitcnt lgkmcnt(0)
	s_add_u32 s6, s6, s12
	s_addc_u32 s7, s7, s13
	s_load_dword s27, s[6:7], 0x0
	s_lshl_b32 s18, s26, 8
	s_waitcnt lgkmcnt(0)
	s_cmp_ge_i32 s18, s27
	s_cbranch_scc1 .LBB261_20
; %bb.5:
	s_load_dwordx2 s[6:7], s[0:1], 0x20
	s_load_dword s5, s[0:1], 0x38
	s_add_i32 s14, s27, 15
	s_ashr_i32 s15, s14, 31
	v_and_b32_e32 v1, 0xcf, v0
	s_lshr_b32 s15, s15, 28
	v_add_u32_e32 v1, s18, v1
	s_add_i32 s14, s14, s15
	v_ashrrev_i32_e32 v2, 31, v1
	s_ashr_i32 s19, s14, 4
	v_lshrrev_b32_e32 v4, 28, v2
	s_add_i32 s19, s19, -1
	s_waitcnt lgkmcnt(0)
	s_mul_i32 s14, s2, s5
	s_mov_b32 s15, 0
	v_add_u32_e32 v2, v1, v4
	s_lshl_b64 s[14:15], s[14:15], 2
	v_ashrrev_i32_e32 v2, 4, v2
	v_mov_b32_e32 v5, s19
	v_cmp_gt_i32_e32 vcc, s27, v1
	s_add_u32 s6, s6, s14
	s_addc_u32 s7, s7, s15
	v_cndmask_b32_e32 v2, v5, v2, vcc
	v_ashrrev_i32_e32 v3, 31, v2
	v_lshl_add_u64 v[6:7], v[2:3], 2, s[6:7]
	v_or_b32_e32 v2, 16, v1
	v_add_u32_e32 v3, v2, v4
	v_ashrrev_i32_e32 v3, 4, v3
	v_cmp_gt_i32_e32 vcc, s27, v2
	s_load_dwordx2 s[14:15], s[0:1], 0x8
	s_nop 0
	v_cndmask_b32_e32 v2, v5, v3, vcc
	v_ashrrev_i32_e32 v3, 31, v2
	v_lshl_add_u64 v[8:9], v[2:3], 2, s[6:7]
	v_or_b32_e32 v2, 32, v1
	v_add_u32_e32 v3, v2, v4
	v_ashrrev_i32_e32 v3, 4, v3
	v_cmp_gt_i32_e32 vcc, s27, v2
	v_or_b32_e32 v1, 48, v1
	s_nop 0
	v_cndmask_b32_e32 v2, v5, v3, vcc
	v_ashrrev_i32_e32 v3, 31, v2
	v_lshl_add_u64 v[10:11], v[2:3], 2, s[6:7]
	v_add_u32_e32 v2, v1, v4
	v_ashrrev_i32_e32 v2, 4, v2
	v_cmp_gt_i32_e32 vcc, s27, v1
	s_nop 1
	v_cndmask_b32_e32 v2, v5, v2, vcc
	v_ashrrev_i32_e32 v3, 31, v2
	v_lshl_add_u64 v[12:13], v[2:3], 2, s[6:7]
	global_load_dword v5, v[6:7], off
	global_load_dword v4, v[8:9], off
	;; [unrolled: 1-line block ×4, first 2 shown]
	s_andn2_b64 vcc, exec, s[10:11]
	s_cbranch_vccnz .LBB261_8
; %bb.6:
	s_add_u32 s8, s8, s12
	s_addc_u32 s9, s9, s13
	s_load_dword s5, s[8:9], 0x0
	s_branch .LBB261_9
.LBB261_7:
	s_mov_b64 s[12:13], 0
	s_branch .LBB261_2
.LBB261_8:
	s_mov_b32 s5, s2
.LBB261_9:
	s_load_dwordx2 s[12:13], s[0:1], 0x10
	s_load_dwordx4 s[8:11], s[0:1], 0x48
	v_lshrrev_b32_e32 v85, 6, v0
	v_bfe_u32 v88, v0, 4, 2
	v_and_b32_e32 v84, 15, v0
	v_lshl_or_b32 v1, v85, 2, v88
	v_lshlrev_b32_e32 v6, 3, v84
	s_mul_i32 s40, s4, 14
	v_cmp_gt_u32_e32 vcc, 14, v1
	v_lshlrev_b32_e32 v82, 1, v6
	s_and_saveexec_b64 s[16:17], vcc
	s_cbranch_execz .LBB261_11
; %bb.10:
	s_load_dwordx2 s[20:21], s[0:1], 0x0
	s_waitcnt lgkmcnt(0)
	s_ashr_i32 s11, s8, 31
	s_mul_hi_u32 s22, s5, s8
	s_mul_i32 s11, s5, s11
	s_add_i32 s23, s22, s11
	s_mul_i32 s22, s5, s8
	s_lshl_b64 s[22:23], s[22:23], 1
	s_add_u32 s20, s20, s22
	v_add_lshl_u32 v6, v1, s40, 7
	s_addc_u32 s21, s21, s23
	v_ashrrev_i32_e32 v7, 31, v6
	v_lshl_add_u64 v[6:7], v[6:7], 1, s[20:21]
	v_mov_b32_e32 v83, 0
	v_lshl_add_u64 v[6:7], v[6:7], 0, v[82:83]
	global_load_dwordx4 v[6:9], v[6:7], off
	v_and_b32_e32 v10, 3, v0
	v_lshlrev_b32_e32 v11, 9, v84
	v_lshlrev_b32_e32 v1, 5, v1
	;; [unrolled: 1-line block ×3, first 2 shown]
	v_and_b32_e32 v11, 0x1800, v11
	v_or3_b32 v1, v11, v10, v1
	s_waitcnt vmcnt(0)
	ds_write_b128 v1, v[6:9]
.LBB261_11:
	s_or_b64 exec, exec, s[16:17]
	s_waitcnt lgkmcnt(0)
	s_mul_i32 s4, s4, s10
	s_mov_b32 s5, 0
	s_lshl_b64 s[4:5], s[4:5], 1
	s_add_u32 s10, s14, s4
	v_lshlrev_b32_e32 v1, 4, v0
	s_addc_u32 s11, s15, s5
	v_and_b32_e32 v86, 0xf0, v1
	v_mov_b32_e32 v87, 0
	v_lshl_add_u64 v[6:7], s[10:11], 0, v[86:87]
	s_waitcnt vmcnt(3)
	v_mad_i64_i32 v[8:9], s[10:11], v5, s9, 0
	s_waitcnt vmcnt(2)
	v_mad_i64_i32 v[4:5], s[10:11], v4, s9, 0
	v_lshl_add_u64 v[8:9], v[8:9], 1, v[6:7]
	v_and_b32_e32 v86, 0x300, v1
	v_lshl_add_u64 v[4:5], v[4:5], 1, v[6:7]
	v_lshl_add_u64 v[8:9], v[8:9], 0, v[86:87]
	;; [unrolled: 1-line block ×3, first 2 shown]
	s_barrier
	global_load_dwordx4 v[78:81], v[8:9], off
	global_load_dwordx4 v[74:77], v[8:9], off offset:1024
	global_load_dwordx4 v[70:73], v[8:9], off offset:2048
	;; [unrolled: 1-line block ×3, first 2 shown]
	global_load_dwordx4 v[66:69], v[4:5], off
	global_load_dwordx4 v[62:65], v[4:5], off offset:1024
	global_load_dwordx4 v[58:61], v[4:5], off offset:2048
	;; [unrolled: 1-line block ×3, first 2 shown]
	s_waitcnt vmcnt(9)
	v_mad_i64_i32 v[4:5], s[10:11], v3, s9, 0
	s_waitcnt vmcnt(8)
	v_mad_i64_i32 v[2:3], s[10:11], v2, s9, 0
	v_lshl_add_u64 v[4:5], v[4:5], 1, v[6:7]
	v_lshl_add_u64 v[2:3], v[2:3], 1, v[6:7]
	v_lshl_add_u64 v[4:5], v[4:5], 0, v[86:87]
	v_lshl_add_u64 v[34:35], v[2:3], 0, v[86:87]
	global_load_dwordx4 v[30:33], v[4:5], off
	global_load_dwordx4 v[26:29], v[4:5], off offset:1024
	global_load_dwordx4 v[22:25], v[4:5], off offset:2048
	global_load_dwordx4 v[18:21], v[4:5], off offset:3072
	global_load_dwordx4 v[6:9], v[34:35], off
	s_nop 0
	global_load_dwordx4 v[2:5], v[34:35], off offset:1024
	global_load_dwordx4 v[38:41], v[34:35], off offset:2048
	s_nop 0
	global_load_dwordx4 v[34:37], v[34:35], off offset:3072
	v_add_u32_e32 v42, -14, v84
	v_cmp_gt_u32_e32 vcc, 14, v84
	v_and_b32_e32 v83, 63, v0
	v_mov_b32_e32 v89, 0
	v_cndmask_b32_e32 v42, v42, v84, vcc
	v_lshlrev_b32_e32 v42, 5, v42
	v_lshl_add_u32 v42, v88, 9, v42
	ds_read_b128 v[54:57], v42
	ds_read_b128 v[50:53], v42 offset:2048
	ds_read_b128 v[46:49], v42 offset:4096
	;; [unrolled: 1-line block ×3, first 2 shown]
	s_and_saveexec_b64 s[10:11], vcc
	s_cbranch_execz .LBB261_13
; %bb.12:
	s_load_dwordx2 s[14:15], s[0:1], 0x40
	v_add_u32_e32 v90, s40, v84
	v_ashrrev_i32_e32 v91, 31, v90
	s_waitcnt lgkmcnt(0)
	v_lshl_add_u64 v[90:91], v[90:91], 2, s[14:15]
	global_load_dword v89, v[90:91], off
.LBB261_13:
	s_or_b64 exec, exec, s[10:11]
	s_waitcnt vmcnt(15) lgkmcnt(3)
	v_mfma_f32_16x16x16_f16 v[90:93], v[78:79], v[54:55], 0
	s_add_u32 s4, s12, s4
	s_addc_u32 s5, s13, s5
	s_mov_b32 s33, 0xff7fffff
	v_mfma_f32_16x16x16_f16 v[78:81], v[80:81], v[56:57], v[90:93]
	s_waitcnt vmcnt(14) lgkmcnt(2)
	v_mfma_f32_16x16x16_f16 v[78:81], v[74:75], v[50:51], v[78:81]
	s_nop 0
	v_lshl_or_b32 v90, v85, 4, v84
	v_lshlrev_b32_e32 v86, 5, v90
	v_mfma_f32_16x16x16_f16 v[74:77], v[76:77], v[52:53], v[78:81]
	s_waitcnt vmcnt(13) lgkmcnt(1)
	v_mfma_f32_16x16x16_f16 v[74:77], v[70:71], v[46:47], v[74:77]
	v_mfma_f32_16x16x16_f16 v[70:73], v[72:73], v[48:49], v[74:77]
	s_waitcnt vmcnt(11)
	v_mfma_f32_16x16x16_f16 v[74:77], v[66:67], v[54:55], 0
	v_mfma_f32_16x16x16_f16 v[66:69], v[68:69], v[56:57], v[74:77]
	s_nop 5
	v_and_or_b32 v74, v0, 48, s18
	s_waitcnt lgkmcnt(0)
	v_mfma_f32_16x16x16_f16 v[70:73], v[10:11], v[42:43], v[70:73]
	v_ashrrev_i32_e32 v10, 4, v74
	v_mov_b32_e32 v75, s19
	v_cmp_gt_i32_e32 vcc, s27, v74
	s_waitcnt vmcnt(10)
	v_mfma_f32_16x16x16_f16 v[66:69], v[62:63], v[50:51], v[66:69]
	v_cndmask_b32_e32 v10, v75, v10, vcc
	v_ashrrev_i32_e32 v11, 31, v10
	v_lshl_add_u64 v[10:11], v[10:11], 2, s[6:7]
	global_load_dword v76, v[10:11], off
	v_mfma_f32_16x16x16_f16 v[62:65], v[64:65], v[52:53], v[66:69]
	v_or_b32_e32 v10, 64, v74
	v_ashrrev_i32_e32 v11, 4, v10
	v_cmp_gt_i32_e32 vcc, s27, v10
	s_waitcnt vmcnt(10)
	v_mfma_f32_16x16x16_f16 v[62:65], v[58:59], v[46:47], v[62:65]
	v_cndmask_b32_e32 v10, v75, v11, vcc
	v_ashrrev_i32_e32 v11, 31, v10
	v_lshl_add_u64 v[10:11], v[10:11], 2, s[6:7]
	global_load_dword v77, v[10:11], off
	v_or_b32_e32 v10, 0x80, v74
	v_mfma_f32_16x16x16_f16 v[58:61], v[60:61], v[48:49], v[62:65]
	v_ashrrev_i32_e32 v11, 4, v10
	v_cmp_gt_i32_e32 vcc, s27, v10
	s_waitcnt vmcnt(9)
	v_mfma_f32_16x16x16_f16 v[62:65], v[30:31], v[54:55], 0
	v_cndmask_b32_e32 v10, v75, v11, vcc
	v_ashrrev_i32_e32 v11, 31, v10
	v_lshl_add_u64 v[10:11], v[10:11], 2, s[6:7]
	v_mfma_f32_16x16x16_f16 v[30:33], v[32:33], v[56:57], v[62:65]
	s_nop 2
	global_load_dword v64, v[10:11], off
	v_or_b32_e32 v10, 0xc0, v74
	v_ashrrev_i32_e32 v11, 4, v10
	v_cmp_gt_i32_e32 vcc, s27, v10
	s_waitcnt vmcnt(9)
	v_mfma_f32_16x16x16_f16 v[30:33], v[26:27], v[50:51], v[30:33]
	v_lshl_add_u64 v[62:63], s[4:5], 0, v[86:87]
	v_cndmask_b32_e32 v10, v75, v11, vcc
	v_ashrrev_i32_e32 v11, 31, v10
	v_lshl_add_u64 v[10:11], v[10:11], 2, s[6:7]
	global_load_dword v65, v[10:11], off
	v_mfma_f32_16x16x16_f16 v[26:29], v[28:29], v[52:53], v[30:33]
	s_load_dword s6, s[0:1], 0x1c
	v_or_b32_e32 v86, 0x800, v86
	s_waitcnt vmcnt(3)
	v_mad_i64_i32 v[10:11], s[10:11], v76, s9, 0
	v_mfma_f32_16x16x16_f16 v[26:29], v[22:23], v[46:47], v[26:29]
	v_lshlrev_b64 v[74:75], 1, v[10:11]
	v_mfma_f32_16x16x16_f16 v[66:69], v[12:13], v[44:45], v[70:73]
	v_mfma_f32_16x16x16_f16 v[10:13], v[24:25], v[48:49], v[26:29]
	;; [unrolled: 1-line block ×3, first 2 shown]
	v_lshl_add_u64 v[14:15], v[62:63], 0, v[74:75]
	s_waitcnt lgkmcnt(0)
	s_nop 2
	v_pk_mul_f32 v[78:79], s[6:7], v[68:69] op_sel_hi:[0,1]
	v_mfma_f32_16x16x16_f16 v[10:13], v[18:19], v[42:43], v[10:13]
	v_mfma_f32_16x16x16_f16 v[70:73], v[16:17], v[44:45], v[30:33]
	s_nop 2
	global_load_dwordx4 v[30:33], v[14:15], off
	global_load_dwordx4 v[26:29], v[14:15], off offset:16
	s_waitcnt vmcnt(4)
	v_mad_i64_i32 v[14:15], s[10:11], v77, s9, 0
	v_lshlrev_b64 v[58:59], 1, v[14:15]
	v_mfma_f32_16x16x16_f16 v[92:95], v[20:21], v[44:45], v[10:13]
	v_pk_mul_f32 v[76:77], s[6:7], v[70:71] op_sel_hi:[0,1]
	s_nop 1
	v_lshl_add_u64 v[10:11], v[62:63], 0, v[58:59]
	global_load_dwordx4 v[22:25], v[10:11], off
	global_load_dwordx4 v[18:21], v[10:11], off offset:16
	v_mfma_f32_16x16x16_f16 v[10:13], v[6:7], v[54:55], 0
	s_waitcnt vmcnt(5)
	v_mad_i64_i32 v[6:7], s[10:11], v64, s9, 0
	v_lshlrev_b64 v[54:55], 1, v[6:7]
	v_mfma_f32_16x16x16_f16 v[6:9], v[8:9], v[56:57], v[10:13]
	v_pk_mul_f32 v[70:71], s[6:7], v[94:95] op_sel_hi:[0,1]
	v_mfma_f32_16x16x16_f16 v[6:9], v[2:3], v[50:51], v[6:9]
	s_waitcnt vmcnt(4)
	v_mad_i64_i32 v[2:3], s[8:9], v65, s9, 0
	v_lshlrev_b64 v[60:61], 1, v[2:3]
	v_mfma_f32_16x16x16_f16 v[50:53], v[4:5], v[52:53], v[6:9]
	v_lshl_add_u64 v[10:11], v[62:63], 0, v[54:55]
	v_lshl_add_u64 v[2:3], v[62:63], 0, v[60:61]
	v_pk_mul_f32 v[62:63], s[6:7], v[66:67] op_sel_hi:[0,1]
	v_mfma_f32_16x16x16_f16 v[50:53], v[38:39], v[46:47], v[50:53]
	v_lshl_add_u64 v[64:65], s[4:5], 0, v[86:87]
	v_lshl_add_u64 v[38:39], v[64:65], 0, v[74:75]
	v_pk_mul_f32 v[74:75], s[6:7], v[72:73] op_sel_hi:[0,1]
	v_mfma_f32_16x16x16_f16 v[46:49], v[40:41], v[48:49], v[50:53]
	v_pk_mul_f32 v[72:73], s[6:7], v[92:93] op_sel_hi:[0,1]
	global_load_dwordx4 v[14:17], v[10:11], off
	s_nop 0
	global_load_dwordx4 v[10:13], v[10:11], off offset:16
	s_nop 0
	global_load_dwordx4 v[6:9], v[2:3], off
	s_nop 0
	global_load_dwordx4 v[2:5], v[2:3], off offset:16
	v_mfma_f32_16x16x16_f16 v[40:43], v[34:35], v[42:43], v[46:49]
	v_mfma_f32_16x16x16_f16 v[34:37], v[36:37], v[44:45], v[40:43]
	s_nop 6
	v_pk_mul_f32 v[68:69], s[6:7], v[34:35] op_sel_hi:[0,1]
	v_and_b32_e32 v34, 0xc0, v0
	v_add_u32_e32 v34, s18, v34
	v_lshl_or_b32 v34, v88, 2, v34
	v_or_b32_e32 v35, 1, v34
	v_pk_mul_f32 v[66:67], s[6:7], v[36:37] op_sel_hi:[0,1]
	v_subrev_u32_e32 v36, s27, v35
	v_add_u32_e32 v40, 1, v36
	v_add_u32_e32 v41, 2, v36
	v_cvt_f32_i32_e32 v37, v36
	v_cvt_f32_i32_e32 v40, v40
	;; [unrolled: 1-line block ×3, first 2 shown]
	v_add_u32_e32 v42, 3, v36
	v_fma_f32 v62, v89, v37, v62
	v_fmac_f32_e32 v63, v89, v40
	v_fma_f32 v78, v89, v41, v78
	v_add_u32_e32 v37, 16, v36
	v_add_u32_e32 v40, 17, v36
	;; [unrolled: 1-line block ×3, first 2 shown]
	v_cvt_f32_i32_e32 v42, v42
	v_cvt_f32_i32_e32 v37, v37
	;; [unrolled: 1-line block ×4, first 2 shown]
	v_fmac_f32_e32 v79, v89, v42
	v_add_u32_e32 v42, 19, v36
	v_fma_f32 v76, v89, v37, v76
	v_fmac_f32_e32 v77, v89, v40
	v_fma_f32 v74, v89, v41, v74
	v_add_u32_e32 v37, 32, v36
	v_add_u32_e32 v40, 33, v36
	;; [unrolled: 1-line block ×3, first 2 shown]
	v_cvt_f32_i32_e32 v42, v42
	v_cvt_f32_i32_e32 v37, v37
	;; [unrolled: 1-line block ×4, first 2 shown]
	v_fmac_f32_e32 v75, v89, v42
	v_add_u32_e32 v42, 35, v36
	v_fma_f32 v72, v89, v37, v72
	v_fmac_f32_e32 v73, v89, v40
	v_fma_f32 v70, v89, v41, v70
	v_add_u32_e32 v37, 48, v36
	v_add_u32_e32 v40, 49, v36
	;; [unrolled: 1-line block ×4, first 2 shown]
	v_cvt_f32_i32_e32 v36, v36
	v_cvt_f32_i32_e32 v37, v37
	v_cvt_f32_i32_e32 v40, v40
	v_cmp_gt_i32_e64 s[28:29], s27, v34
	v_fmac_f32_e32 v67, v89, v36
	v_mov_b32_e32 v36, 0xff7fffff
	v_cmp_gt_i32_e64 s[30:31], s27, v35
	v_fma_f32 v68, v89, v37, v68
	v_cndmask_b32_e64 v37, v36, v62, s[28:29]
	v_cndmask_b32_e64 v35, v36, v63, s[30:31]
	v_fmac_f32_e32 v69, v89, v40
	v_max3_f32 v35, v37, s33, v35
	v_or_b32_e32 v37, 2, v34
	v_or_b32_e32 v40, 3, v34
	v_cmp_gt_i32_e64 s[34:35], s27, v37
	v_cmp_gt_i32_e64 s[36:37], s27, v40
	v_cvt_f32_i32_e32 v42, v42
	v_cndmask_b32_e64 v37, v36, v78, s[34:35]
	v_cndmask_b32_e64 v40, v36, v79, s[36:37]
	v_max3_f32 v35, v35, v37, v40
	v_or_b32_e32 v37, 16, v34
	v_or_b32_e32 v40, 17, v34
	v_cmp_gt_i32_e64 s[22:23], s27, v37
	v_cmp_gt_i32_e64 s[24:25], s27, v40
	v_fmac_f32_e32 v71, v89, v42
	v_cndmask_b32_e64 v37, v36, v76, s[22:23]
	v_cndmask_b32_e64 v40, v36, v77, s[24:25]
	v_max3_f32 v35, v35, v37, v40
	v_or_b32_e32 v37, 18, v34
	v_or_b32_e32 v40, 19, v34
	v_cmp_gt_i32_e64 s[18:19], s27, v37
	v_cmp_gt_i32_e64 s[20:21], s27, v40
	v_cvt_f32_i32_e32 v41, v41
	v_cndmask_b32_e64 v37, v36, v74, s[18:19]
	v_cndmask_b32_e64 v40, v36, v75, s[20:21]
	v_max3_f32 v35, v35, v37, v40
	v_or_b32_e32 v37, 32, v34
	v_or_b32_e32 v40, 33, v34
	v_cmp_gt_i32_e64 s[14:15], s27, v37
	v_cmp_gt_i32_e64 s[16:17], s27, v40
	v_fma_f32 v66, v89, v41, v66
	v_cndmask_b32_e64 v37, v36, v72, s[14:15]
	v_cndmask_b32_e64 v40, v36, v73, s[16:17]
	v_max3_f32 v35, v35, v37, v40
	v_or_b32_e32 v37, 34, v34
	v_or_b32_e32 v40, 35, v34
	v_cmp_gt_i32_e64 s[10:11], s27, v37
	v_cmp_gt_i32_e64 s[12:13], s27, v40
	s_nop 0
	v_cndmask_b32_e64 v37, v36, v70, s[10:11]
	v_cndmask_b32_e64 v40, v36, v71, s[12:13]
	v_max3_f32 v35, v35, v37, v40
	v_or_b32_e32 v37, 48, v34
	v_or_b32_e32 v40, 49, v34
	v_cmp_gt_i32_e64 s[6:7], s27, v37
	v_cmp_gt_i32_e64 s[8:9], s27, v40
	s_nop 0
	v_cndmask_b32_e64 v37, v36, v68, s[6:7]
	v_cndmask_b32_e64 v40, v36, v69, s[8:9]
	v_max3_f32 v35, v35, v37, v40
	v_or_b32_e32 v37, 50, v34
	v_or_b32_e32 v34, 51, v34
	v_cmp_gt_i32_e32 vcc, s27, v37
	v_cmp_gt_i32_e64 s[4:5], s27, v34
	global_load_dwordx4 v[46:49], v[38:39], off
	s_nop 0
	global_load_dwordx4 v[38:41], v[38:39], off offset:16
	v_cndmask_b32_e32 v37, v36, v66, vcc
	v_cndmask_b32_e64 v34, v36, v67, s[4:5]
	v_max3_f32 v50, v35, v37, v34
	v_mbcnt_lo_u32_b32 v34, -1, 0
	v_mbcnt_hi_u32_b32 v51, -1, v34
	v_and_b32_e32 v34, 64, v51
	v_add_u32_e32 v52, 64, v34
	v_xor_b32_e32 v34, 32, v51
	v_cmp_lt_i32_e64 s[38:39], v34, v52
	s_nop 1
	v_cndmask_b32_e64 v34, v51, v34, s[38:39]
	v_lshlrev_b32_e32 v87, 2, v34
	ds_bpermute_b32 v53, v87, v50
	v_lshl_add_u64 v[34:35], v[64:65], 0, v[58:59]
	v_lshl_add_u64 v[58:59], v[64:65], 0, v[60:61]
	global_load_dwordx4 v[42:45], v[34:35], off
	s_nop 0
	global_load_dwordx4 v[34:37], v[34:35], off offset:16
	s_waitcnt lgkmcnt(0)
	v_max_f32_e32 v53, v53, v53
	v_max_f32_e32 v80, v50, v53
	v_xor_b32_e32 v50, 16, v51
	v_cmp_lt_i32_e64 s[38:39], v50, v52
	s_nop 1
	v_cndmask_b32_e64 v50, v51, v50, s[38:39]
	v_lshlrev_b32_e32 v89, 2, v50
	ds_bpermute_b32 v81, v89, v80
	v_lshl_add_u64 v[50:51], v[64:65], 0, v[54:55]
	global_load_dwordx4 v[54:57], v[50:51], off
	s_nop 0
	global_load_dwordx4 v[50:53], v[50:51], off offset:16
	s_waitcnt lgkmcnt(0)
	v_max_f32_e32 v60, v81, v81
	v_max_f32_e32 v86, v80, v60
	v_sub_f32_e32 v60, v62, v86
	v_mul_f32_e32 v60, 0x3fb8aa3b, v60
	v_exp_f32_e32 v80, v60
	v_sub_f32_e32 v60, v63, v86
	v_mul_f32_e32 v60, 0x3fb8aa3b, v60
	v_exp_f32_e32 v81, v60
	global_load_dwordx4 v[62:65], v[58:59], off
	s_nop 0
	global_load_dwordx4 v[58:61], v[58:59], off offset:16
	v_sub_f32_e32 v78, v78, v86
	v_mul_f32_e32 v78, 0x3fb8aa3b, v78
	v_sub_f32_e32 v79, v79, v86
	v_exp_f32_e32 v78, v78
	v_mul_f32_e32 v79, 0x3fb8aa3b, v79
	v_sub_f32_e32 v76, v76, v86
	v_exp_f32_e32 v79, v79
	v_mul_f32_e32 v76, 0x3fb8aa3b, v76
	v_sub_f32_e32 v77, v77, v86
	v_cndmask_b32_e64 v80, 0, v80, s[28:29]
	v_exp_f32_e32 v76, v76
	v_mul_f32_e32 v77, 0x3fb8aa3b, v77
	v_sub_f32_e32 v74, v74, v86
	v_add_f32_e32 v91, 0, v80
	v_cndmask_b32_e64 v81, 0, v81, s[30:31]
	v_exp_f32_e32 v77, v77
	v_mul_f32_e32 v74, 0x3fb8aa3b, v74
	v_sub_f32_e32 v75, v75, v86
	v_add_f32_e32 v91, v91, v81
	;; [unrolled: 5-line block ×10, first 2 shown]
	v_cndmask_b32_e64 v70, 0, v70, s[10:11]
	v_exp_f32_e32 v66, v66
	v_mul_f32_e32 v67, 0x3fb8aa3b, v67
	v_add_f32_e32 v91, v91, v70
	v_cndmask_b32_e64 v71, 0, v71, s[12:13]
	v_exp_f32_e32 v67, v67
	v_add_f32_e32 v91, v91, v71
	v_cndmask_b32_e64 v68, 0, v68, s[6:7]
	v_add_f32_e32 v91, v91, v68
	v_cndmask_b32_e64 v69, 0, v69, s[8:9]
	v_add_f32_e32 v91, v91, v69
	v_cndmask_b32_e32 v66, 0, v66, vcc
	v_add_f32_e32 v91, v91, v66
	v_cndmask_b32_e64 v67, 0, v67, s[4:5]
	v_add_f32_e32 v91, v91, v67
	ds_bpermute_b32 v87, v87, v91
	s_load_dword s7, s[0:1], 0x98
	v_cmp_gt_u32_e32 vcc, 16, v83
	s_waitcnt lgkmcnt(0)
	s_barrier
	v_add_f32_e32 v87, v91, v87
	ds_bpermute_b32 v89, v89, v87
	s_waitcnt lgkmcnt(0)
	s_and_saveexec_b64 s[4:5], vcc
	s_cbranch_execz .LBB261_15
; %bb.14:
	v_add_f32_e32 v83, v87, v89
	v_lshlrev_b32_e32 v87, 2, v90
	ds_write2st64_b32 v87, v86, v83 offset1:1
.LBB261_15:
	s_or_b64 exec, exec, s[4:5]
	v_lshlrev_b32_e32 v89, 2, v84
	s_load_dword s6, s[0:1], 0x94
	s_waitcnt lgkmcnt(0)
	s_barrier
	ds_read2_b32 v[86:87], v89 offset1:16
	ds_read2_b32 v[90:91], v89 offset0:32 offset1:48
	ds_read2_b32 v[92:93], v89 offset0:64 offset1:80
	;; [unrolled: 1-line block ×3, first 2 shown]
	s_mul_i32 s7, s7, 14
	s_waitcnt lgkmcnt(3)
	v_max3_f32 v83, v86, s33, v87
	s_waitcnt lgkmcnt(2)
	v_max3_f32 v83, v83, v90, v91
	v_sub_f32_e32 v86, v86, v83
	v_mul_f32_e32 v86, 0x3fb8aa3b, v86
	v_exp_f32_e32 v1, v86
	v_sub_f32_e32 v86, v87, v83
	v_mul_f32_e32 v86, 0x3fb8aa3b, v86
	v_exp_f32_e32 v87, v86
	;; [unrolled: 3-line block ×4, first 2 shown]
	s_waitcnt lgkmcnt(1)
	v_fma_f32 v86, v1, v92, 0
	v_fmac_f32_e32 v86, v87, v93
	s_waitcnt lgkmcnt(0)
	v_fmac_f32_e32 v86, v90, v94
	v_fmac_f32_e32 v86, v89, v95
	v_add_f32_e32 v91, 0x358637bd, v86
	v_div_scale_f32 v92, s[4:5], v91, v91, 1.0
	v_rcp_f32_e32 v93, v92
	s_barrier
	v_fma_f32 v94, -v92, v93, 1.0
	v_fmac_f32_e32 v93, v94, v93
	v_div_scale_f32 v94, vcc, 1.0, v91, 1.0
	v_mul_f32_e32 v95, v94, v93
	v_fma_f32 v88, -v92, v95, v94
	v_fmac_f32_e32 v95, v88, v93
	v_fma_f32 v88, -v92, v95, v94
	v_div_fmas_f32 v88, v88, v93, v95
	v_cmp_eq_u32_e32 vcc, 1, v85
	v_div_fixup_f32 v88, v88, v91, 1.0
	s_nop 0
	v_cndmask_b32_e32 v1, v1, v87, vcc
	v_cmp_eq_u32_e32 vcc, 2, v85
	v_bfe_u32 v87, v0, 4, 2
	s_nop 0
	v_cndmask_b32_e32 v1, v1, v90, vcc
	v_cmp_eq_u32_e32 vcc, 3, v85
	s_nop 1
	v_cndmask_b32_e32 v1, v1, v89, vcc
	v_mul_f32_e32 v90, v1, v88
	v_pk_mul_f32 v[78:79], v[90:91], v[78:79] op_sel_hi:[0,1]
	v_cvt_f16_f32_e32 v78, v78
	v_cvt_f16_f32_e32 v79, v79
	v_pk_mul_f32 v[80:81], v[90:91], v[80:81] op_sel_hi:[0,1]
	v_cvt_f16_f32_e32 v1, v80
	v_cvt_f16_f32_e32 v80, v81
	v_pk_mul_f32 v[74:75], v[90:91], v[74:75] op_sel_hi:[0,1]
	v_pk_mul_f32 v[76:77], v[90:91], v[76:77] op_sel_hi:[0,1]
	v_pack_b32_f16 v81, v78, v79
	v_cvt_f16_f32_e32 v76, v76
	v_cvt_f16_f32_e32 v77, v77
	v_cvt_f16_f32_e32 v79, v74
	v_cvt_f16_f32_e32 v75, v75
	v_pack_b32_f16 v80, v1, v80
	v_lshlrev_b32_e32 v1, 3, v87
	v_lshlrev_b32_e32 v78, 5, v84
	;; [unrolled: 1-line block ×3, first 2 shown]
	v_pk_mul_f32 v[70:71], v[90:91], v[70:71] op_sel_hi:[0,1]
	v_pk_mul_f32 v[72:73], v[90:91], v[72:73] op_sel_hi:[0,1]
	;; [unrolled: 1-line block ×4, first 2 shown]
	v_or3_b32 v74, v74, v78, v1
	v_pack_b32_f16 v76, v76, v77
	v_pack_b32_f16 v77, v79, v75
	v_cvt_f16_f32_e32 v1, v72
	v_cvt_f16_f32_e32 v72, v73
	;; [unrolled: 1-line block ×8, first 2 shown]
	v_pack_b32_f16 v66, v1, v72
	v_pack_b32_f16 v67, v70, v71
	;; [unrolled: 1-line block ×4, first 2 shown]
	v_cmp_gt_u32_e32 vcc, 14, v0
	ds_write2st64_b64 v74, v[80:81], v[76:77] offset1:1
	ds_write2st64_b64 v74, v[66:67], v[68:69] offset0:2 offset1:3
	s_and_saveexec_b64 s[4:5], vcc
	s_cbranch_execz .LBB261_17
; %bb.16:
	s_mov_b32 s41, 0
	v_mov_b32_e32 v85, 0
	v_lshl_add_u64 v[66:67], s[40:41], 0, v[84:85]
	v_mov_b32_e32 v1, s7
	v_mad_u64_u32 v[66:67], s[12:13], s2, v1, v[66:67]
	s_mul_i32 s3, s3, s7
	v_mov_b32_e32 v68, s26
	v_mov_b32_e32 v69, v85
	s_load_dwordx4 s[8:11], s[0:1], 0x58
	v_add_u32_e32 v1, s3, v67
	v_mad_u64_u32 v[66:67], s[12:13], v66, s6, v[68:69]
	v_mov_b32_e32 v68, v67
	v_mad_u64_u32 v[68:69], s[12:13], v1, s6, v[68:69]
	v_mov_b32_e32 v67, v68
	v_lshlrev_b64 v[66:67], 2, v[66:67]
	s_waitcnt lgkmcnt(0)
	v_lshl_add_u64 v[68:69], s[10:11], 0, v[66:67]
	v_lshl_add_u64 v[66:67], s[8:9], 0, v[66:67]
	global_store_dword v[68:69], v83, off
	global_store_dword v[66:67], v86, off
.LBB261_17:
	s_or_b64 exec, exec, s[4:5]
	v_lshl_or_b32 v1, v87, 9, v78
	s_waitcnt lgkmcnt(0)
	s_barrier
	ds_read_b128 v[70:73], v1
	ds_read_b128 v[66:69], v1 offset:16
	s_waitcnt vmcnt(15) lgkmcnt(1)
	v_mfma_f32_16x16x16_f16 v[76:79], v[30:31], v[70:71], 0
	s_mov_b32 s3, 0
	v_cmp_gt_u32_e32 vcc, 64, v0
	v_mfma_f32_16x16x16_f16 v[30:33], v[32:33], v[72:73], v[76:79]
	s_waitcnt vmcnt(14) lgkmcnt(0)
	v_mfma_f32_16x16x16_f16 v[30:33], v[26:27], v[66:67], v[30:33]
	v_mfma_f32_16x16x16_f16 v[26:29], v[28:29], v[68:69], v[30:33]
	s_nop 5
	ds_read_b128 v[30:33], v1 offset:2048
	ds_read_b128 v[76:79], v1 offset:2064
	s_waitcnt vmcnt(13) lgkmcnt(1)
	v_mfma_f32_16x16x16_f16 v[26:29], v[22:23], v[30:31], v[26:29]
	v_mfma_f32_16x16x16_f16 v[22:25], v[24:25], v[32:33], v[26:29]
	s_waitcnt vmcnt(12) lgkmcnt(0)
	v_mfma_f32_16x16x16_f16 v[22:25], v[18:19], v[76:77], v[22:25]
	v_mfma_f32_16x16x16_f16 v[18:21], v[20:21], v[78:79], v[22:25]
	s_nop 5
	ds_read_b128 v[22:25], v1 offset:4096
	ds_read_b128 v[26:29], v1 offset:4112
	s_waitcnt vmcnt(11) lgkmcnt(1)
	v_mfma_f32_16x16x16_f16 v[18:21], v[14:15], v[22:23], v[18:21]
	v_mfma_f32_16x16x16_f16 v[14:17], v[16:17], v[24:25], v[18:21]
	s_waitcnt vmcnt(10) lgkmcnt(0)
	v_mfma_f32_16x16x16_f16 v[14:17], v[10:11], v[26:27], v[14:17]
	v_mfma_f32_16x16x16_f16 v[10:13], v[12:13], v[28:29], v[14:17]
	s_nop 5
	ds_read_b128 v[14:17], v1 offset:6144
	ds_read_b128 v[18:21], v1 offset:6160
	s_waitcnt lgkmcnt(0)
	s_barrier
	s_waitcnt vmcnt(9)
	v_mfma_f32_16x16x16_f16 v[10:13], v[6:7], v[14:15], v[10:13]
	v_mfma_f32_16x16x16_f16 v[6:9], v[8:9], v[16:17], v[10:13]
	s_waitcnt vmcnt(8)
	v_mfma_f32_16x16x16_f16 v[6:9], v[2:3], v[18:19], v[6:9]
	v_mfma_f32_16x16x16_f16 v[2:5], v[4:5], v[20:21], v[6:9]
	;; [unrolled: 3-line block ×3, first 2 shown]
	s_nop 3
	v_cvt_f16_f32_e32 v1, v2
	v_cvt_f16_f32_e32 v10, v3
	;; [unrolled: 1-line block ×3, first 2 shown]
	s_waitcnt vmcnt(6)
	v_mfma_f32_16x16x16_f16 v[6:9], v[38:39], v[66:67], v[6:9]
	v_cvt_f16_f32_e32 v12, v5
	v_mfma_f32_16x16x16_f16 v[6:9], v[40:41], v[68:69], v[6:9]
	s_waitcnt vmcnt(5)
	v_mfma_f32_16x16x16_f16 v[6:9], v[42:43], v[30:31], v[6:9]
	v_mfma_f32_16x16x16_f16 v[6:9], v[44:45], v[32:33], v[6:9]
	s_waitcnt vmcnt(4)
	v_mfma_f32_16x16x16_f16 v[6:9], v[34:35], v[76:77], v[6:9]
	;; [unrolled: 3-line block ×6, first 2 shown]
	v_mfma_f32_16x16x16_f16 v[2:5], v[60:61], v[20:21], v[6:9]
	s_nop 6
	v_cvt_f16_f32_e32 v6, v2
	v_cvt_f16_f32_e32 v7, v3
	;; [unrolled: 1-line block ×4, first 2 shown]
	v_pack_b32_f16 v2, v1, v10
	v_pack_b32_f16 v3, v11, v12
	;; [unrolled: 1-line block ×4, first 2 shown]
	ds_write2st64_b64 v74, v[2:3], v[4:5] offset1:1
	s_waitcnt lgkmcnt(0)
	s_barrier
	s_and_saveexec_b64 s[4:5], vcc
	s_cbranch_execz .LBB261_20
; %bb.18:
	s_load_dwordx2 s[4:5], s[0:1], 0x68
	s_lshl_b32 s0, s6, 7
	s_mul_i32 s1, s7, s2
	v_lshlrev_b32_e32 v3, 6, v84
	s_mul_hi_u32 s7, s1, s0
	s_mul_i32 s6, s1, s0
	v_lshlrev_b32_e32 v2, 4, v0
	v_lshl_or_b32 v0, v0, 10, v3
	s_lshl_b64 s[6:7], s[6:7], 1
	v_lshlrev_b32_e32 v1, 5, v87
	v_and_b32_e32 v2, 16, v2
	v_and_b32_e32 v0, 0x1a00, v0
	s_waitcnt lgkmcnt(0)
	s_add_u32 s1, s4, s6
	v_or3_b32 v2, v0, v1, v2
	s_addc_u32 s4, s5, s7
	s_lshl_b32 s2, s26, 7
	ds_read_b128 v[4:7], v2 offset:256
	s_lshl_b64 s[2:3], s[2:3], 1
	ds_read_b128 v[8:11], v2 offset:128
	ds_read_b128 v[12:15], v2
	s_add_u32 s2, s1, s2
	s_addc_u32 s3, s4, s3
	v_mov_b32_e32 v83, 0
	v_add_u32_e32 v18, s40, v87
	v_lshl_add_u64 v[0:1], s[2:3], 0, v[82:83]
	v_mad_u64_u32 v[16:17], s[2:3], v18, s0, 0
	v_lshl_add_u64 v[16:17], v[16:17], 1, v[0:1]
	s_waitcnt lgkmcnt(0)
	global_store_dwordx4 v[16:17], v[12:15], off
	v_or_b32_e32 v3, 12, v87
	v_cmp_gt_u32_e32 vcc, 14, v3
	v_add_u32_e32 v12, 4, v18
	v_mad_u64_u32 v[12:13], s[2:3], v12, s0, 0
	v_lshl_add_u64 v[12:13], v[12:13], 1, v[0:1]
	global_store_dwordx4 v[12:13], v[8:11], off
	s_nop 1
	v_add_u32_e32 v8, 8, v18
	v_mad_u64_u32 v[8:9], s[2:3], v8, s0, 0
	v_lshl_add_u64 v[8:9], v[8:9], 1, v[0:1]
	global_store_dwordx4 v[8:9], v[4:7], off
	s_and_b64 exec, exec, vcc
	s_cbranch_execz .LBB261_20
; %bb.19:
	ds_read_b128 v[4:7], v2 offset:384
	v_add_u32_e32 v2, s40, v3
	v_mad_u64_u32 v[2:3], s[0:1], v2, s0, 0
	v_lshl_add_u64 v[0:1], v[2:3], 1, v[0:1]
	s_waitcnt lgkmcnt(0)
	global_store_dwordx4 v[0:1], v[4:7], off
.LBB261_20:
	s_endpgm
	.section	.rodata,"a",@progbits
	.p2align	6, 0x0
	.amdhsa_kernel _Z39paged_attention_ll4mi_QKV_mfma16_kernelIDF16_DF16_LN4vllm18Fp8KVCacheDataTypeE0EDF16_Li16ELi128ELi256ELb1ELi14EEvPKT_PKT0_S7_ifPKiS9_S9_iPKfiiiPfSC_PS2_PT2_iSB_SB_
		.amdhsa_group_segment_fixed_size 8192
		.amdhsa_private_segment_fixed_size 0
		.amdhsa_kernarg_size 400
		.amdhsa_user_sgpr_count 2
		.amdhsa_user_sgpr_dispatch_ptr 0
		.amdhsa_user_sgpr_queue_ptr 0
		.amdhsa_user_sgpr_kernarg_segment_ptr 1
		.amdhsa_user_sgpr_dispatch_id 0
		.amdhsa_user_sgpr_kernarg_preload_length 0
		.amdhsa_user_sgpr_kernarg_preload_offset 0
		.amdhsa_user_sgpr_private_segment_size 0
		.amdhsa_uses_dynamic_stack 0
		.amdhsa_enable_private_segment 0
		.amdhsa_system_sgpr_workgroup_id_x 1
		.amdhsa_system_sgpr_workgroup_id_y 1
		.amdhsa_system_sgpr_workgroup_id_z 1
		.amdhsa_system_sgpr_workgroup_info 0
		.amdhsa_system_vgpr_workitem_id 0
		.amdhsa_next_free_vgpr 96
		.amdhsa_next_free_sgpr 42
		.amdhsa_accum_offset 96
		.amdhsa_reserve_vcc 1
		.amdhsa_float_round_mode_32 0
		.amdhsa_float_round_mode_16_64 0
		.amdhsa_float_denorm_mode_32 3
		.amdhsa_float_denorm_mode_16_64 3
		.amdhsa_dx10_clamp 1
		.amdhsa_ieee_mode 1
		.amdhsa_fp16_overflow 0
		.amdhsa_tg_split 0
		.amdhsa_exception_fp_ieee_invalid_op 0
		.amdhsa_exception_fp_denorm_src 0
		.amdhsa_exception_fp_ieee_div_zero 0
		.amdhsa_exception_fp_ieee_overflow 0
		.amdhsa_exception_fp_ieee_underflow 0
		.amdhsa_exception_fp_ieee_inexact 0
		.amdhsa_exception_int_div_zero 0
	.end_amdhsa_kernel
	.section	.text._Z39paged_attention_ll4mi_QKV_mfma16_kernelIDF16_DF16_LN4vllm18Fp8KVCacheDataTypeE0EDF16_Li16ELi128ELi256ELb1ELi14EEvPKT_PKT0_S7_ifPKiS9_S9_iPKfiiiPfSC_PS2_PT2_iSB_SB_,"axG",@progbits,_Z39paged_attention_ll4mi_QKV_mfma16_kernelIDF16_DF16_LN4vllm18Fp8KVCacheDataTypeE0EDF16_Li16ELi128ELi256ELb1ELi14EEvPKT_PKT0_S7_ifPKiS9_S9_iPKfiiiPfSC_PS2_PT2_iSB_SB_,comdat
.Lfunc_end261:
	.size	_Z39paged_attention_ll4mi_QKV_mfma16_kernelIDF16_DF16_LN4vllm18Fp8KVCacheDataTypeE0EDF16_Li16ELi128ELi256ELb1ELi14EEvPKT_PKT0_S7_ifPKiS9_S9_iPKfiiiPfSC_PS2_PT2_iSB_SB_, .Lfunc_end261-_Z39paged_attention_ll4mi_QKV_mfma16_kernelIDF16_DF16_LN4vllm18Fp8KVCacheDataTypeE0EDF16_Li16ELi128ELi256ELb1ELi14EEvPKT_PKT0_S7_ifPKiS9_S9_iPKfiiiPfSC_PS2_PT2_iSB_SB_
                                        ; -- End function
	.section	.AMDGPU.csdata,"",@progbits
; Kernel info:
; codeLenInByte = 4748
; NumSgprs: 48
; NumVgprs: 96
; NumAgprs: 0
; TotalNumVgprs: 96
; ScratchSize: 0
; MemoryBound: 0
; FloatMode: 240
; IeeeMode: 1
; LDSByteSize: 8192 bytes/workgroup (compile time only)
; SGPRBlocks: 5
; VGPRBlocks: 11
; NumSGPRsForWavesPerEU: 48
; NumVGPRsForWavesPerEU: 96
; AccumOffset: 96
; Occupancy: 5
; WaveLimiterHint : 1
; COMPUTE_PGM_RSRC2:SCRATCH_EN: 0
; COMPUTE_PGM_RSRC2:USER_SGPR: 2
; COMPUTE_PGM_RSRC2:TRAP_HANDLER: 0
; COMPUTE_PGM_RSRC2:TGID_X_EN: 1
; COMPUTE_PGM_RSRC2:TGID_Y_EN: 1
; COMPUTE_PGM_RSRC2:TGID_Z_EN: 1
; COMPUTE_PGM_RSRC2:TIDIG_COMP_CNT: 0
; COMPUTE_PGM_RSRC3_GFX90A:ACCUM_OFFSET: 23
; COMPUTE_PGM_RSRC3_GFX90A:TG_SPLIT: 0
	.section	.text._Z39paged_attention_ll4mi_QKV_mfma16_kernelIDF16_DF16_LN4vllm18Fp8KVCacheDataTypeE0EDF16_Li16ELi128ELi256ELb1ELi15EEvPKT_PKT0_S7_ifPKiS9_S9_iPKfiiiPfSC_PS2_PT2_iSB_SB_,"axG",@progbits,_Z39paged_attention_ll4mi_QKV_mfma16_kernelIDF16_DF16_LN4vllm18Fp8KVCacheDataTypeE0EDF16_Li16ELi128ELi256ELb1ELi15EEvPKT_PKT0_S7_ifPKiS9_S9_iPKfiiiPfSC_PS2_PT2_iSB_SB_,comdat
	.protected	_Z39paged_attention_ll4mi_QKV_mfma16_kernelIDF16_DF16_LN4vllm18Fp8KVCacheDataTypeE0EDF16_Li16ELi128ELi256ELb1ELi15EEvPKT_PKT0_S7_ifPKiS9_S9_iPKfiiiPfSC_PS2_PT2_iSB_SB_ ; -- Begin function _Z39paged_attention_ll4mi_QKV_mfma16_kernelIDF16_DF16_LN4vllm18Fp8KVCacheDataTypeE0EDF16_Li16ELi128ELi256ELb1ELi15EEvPKT_PKT0_S7_ifPKiS9_S9_iPKfiiiPfSC_PS2_PT2_iSB_SB_
	.globl	_Z39paged_attention_ll4mi_QKV_mfma16_kernelIDF16_DF16_LN4vllm18Fp8KVCacheDataTypeE0EDF16_Li16ELi128ELi256ELb1ELi15EEvPKT_PKT0_S7_ifPKiS9_S9_iPKfiiiPfSC_PS2_PT2_iSB_SB_
	.p2align	8
	.type	_Z39paged_attention_ll4mi_QKV_mfma16_kernelIDF16_DF16_LN4vllm18Fp8KVCacheDataTypeE0EDF16_Li16ELi128ELi256ELb1ELi15EEvPKT_PKT0_S7_ifPKiS9_S9_iPKfiiiPfSC_PS2_PT2_iSB_SB_,@function
_Z39paged_attention_ll4mi_QKV_mfma16_kernelIDF16_DF16_LN4vllm18Fp8KVCacheDataTypeE0EDF16_Li16ELi128ELi256ELb1ELi15EEvPKT_PKT0_S7_ifPKiS9_S9_iPKfiiiPfSC_PS2_PT2_iSB_SB_: ; @_Z39paged_attention_ll4mi_QKV_mfma16_kernelIDF16_DF16_LN4vllm18Fp8KVCacheDataTypeE0EDF16_Li16ELi128ELi256ELb1ELi15EEvPKT_PKT0_S7_ifPKiS9_S9_iPKfiiiPfSC_PS2_PT2_iSB_SB_
; %bb.0:
	s_load_dwordx2 s[8:9], s[0:1], 0x30
	s_mov_b32 s26, s3
	s_mov_b64 s[6:7], 0
	s_waitcnt lgkmcnt(0)
	s_cmp_lg_u64 s[8:9], 0
	s_cselect_b64 s[10:11], -1, 0
	s_and_b64 vcc, exec, s[10:11]
	s_cbranch_vccz .LBB262_7
; %bb.1:
	s_add_i32 s12, s2, 1
	s_mov_b32 s13, 0
	s_lshl_b64 s[14:15], s[12:13], 2
	s_add_u32 s14, s8, s14
	s_mov_b32 s3, s13
	s_addc_u32 s15, s9, s15
	s_lshl_b64 s[12:13], s[2:3], 2
	s_add_u32 s12, s8, s12
	s_addc_u32 s13, s9, s13
	s_load_dword s5, s[14:15], 0x0
	s_load_dword s16, s[12:13], 0x0
	s_waitcnt lgkmcnt(0)
	s_sub_i32 s5, s5, s16
	s_cmp_eq_u32 s5, 1
	s_cselect_b64 s[12:13], -1, 0
	s_andn2_b64 vcc, exec, s[6:7]
	s_cbranch_vccnz .LBB262_3
.LBB262_2:
	s_mov_b32 s3, 0
	s_mov_b64 s[12:13], -1
.LBB262_3:
	s_andn2_b64 vcc, exec, s[12:13]
	s_cbranch_vccnz .LBB262_20
; %bb.4:
	s_load_dwordx2 s[6:7], s[0:1], 0x28
	s_lshl_b64 s[12:13], s[2:3], 2
	s_waitcnt lgkmcnt(0)
	s_add_u32 s6, s6, s12
	s_addc_u32 s7, s7, s13
	s_load_dword s27, s[6:7], 0x0
	s_lshl_b32 s18, s26, 8
	s_waitcnt lgkmcnt(0)
	s_cmp_ge_i32 s18, s27
	s_cbranch_scc1 .LBB262_20
; %bb.5:
	s_load_dwordx2 s[6:7], s[0:1], 0x20
	s_load_dword s5, s[0:1], 0x38
	s_add_i32 s14, s27, 15
	s_ashr_i32 s15, s14, 31
	v_and_b32_e32 v1, 0xcf, v0
	s_lshr_b32 s15, s15, 28
	v_add_u32_e32 v1, s18, v1
	s_add_i32 s14, s14, s15
	v_ashrrev_i32_e32 v2, 31, v1
	s_ashr_i32 s19, s14, 4
	v_lshrrev_b32_e32 v4, 28, v2
	s_add_i32 s19, s19, -1
	s_waitcnt lgkmcnt(0)
	s_mul_i32 s14, s2, s5
	s_mov_b32 s15, 0
	v_add_u32_e32 v2, v1, v4
	s_lshl_b64 s[14:15], s[14:15], 2
	v_ashrrev_i32_e32 v2, 4, v2
	v_mov_b32_e32 v5, s19
	v_cmp_gt_i32_e32 vcc, s27, v1
	s_add_u32 s6, s6, s14
	s_addc_u32 s7, s7, s15
	v_cndmask_b32_e32 v2, v5, v2, vcc
	v_ashrrev_i32_e32 v3, 31, v2
	v_lshl_add_u64 v[6:7], v[2:3], 2, s[6:7]
	v_or_b32_e32 v2, 16, v1
	v_add_u32_e32 v3, v2, v4
	v_ashrrev_i32_e32 v3, 4, v3
	v_cmp_gt_i32_e32 vcc, s27, v2
	s_load_dwordx2 s[14:15], s[0:1], 0x8
	s_nop 0
	v_cndmask_b32_e32 v2, v5, v3, vcc
	v_ashrrev_i32_e32 v3, 31, v2
	v_lshl_add_u64 v[8:9], v[2:3], 2, s[6:7]
	v_or_b32_e32 v2, 32, v1
	v_add_u32_e32 v3, v2, v4
	v_ashrrev_i32_e32 v3, 4, v3
	v_cmp_gt_i32_e32 vcc, s27, v2
	v_or_b32_e32 v1, 48, v1
	s_nop 0
	v_cndmask_b32_e32 v2, v5, v3, vcc
	v_ashrrev_i32_e32 v3, 31, v2
	v_lshl_add_u64 v[10:11], v[2:3], 2, s[6:7]
	v_add_u32_e32 v2, v1, v4
	v_ashrrev_i32_e32 v2, 4, v2
	v_cmp_gt_i32_e32 vcc, s27, v1
	s_nop 1
	v_cndmask_b32_e32 v2, v5, v2, vcc
	v_ashrrev_i32_e32 v3, 31, v2
	v_lshl_add_u64 v[12:13], v[2:3], 2, s[6:7]
	global_load_dword v5, v[6:7], off
	global_load_dword v4, v[8:9], off
	;; [unrolled: 1-line block ×4, first 2 shown]
	s_andn2_b64 vcc, exec, s[10:11]
	s_cbranch_vccnz .LBB262_8
; %bb.6:
	s_add_u32 s8, s8, s12
	s_addc_u32 s9, s9, s13
	s_load_dword s5, s[8:9], 0x0
	s_branch .LBB262_9
.LBB262_7:
	s_mov_b64 s[12:13], 0
	s_branch .LBB262_2
.LBB262_8:
	s_mov_b32 s5, s2
.LBB262_9:
	s_load_dwordx2 s[12:13], s[0:1], 0x10
	s_load_dwordx4 s[8:11], s[0:1], 0x48
	v_lshrrev_b32_e32 v85, 6, v0
	v_bfe_u32 v88, v0, 4, 2
	v_and_b32_e32 v84, 15, v0
	v_lshl_or_b32 v1, v85, 2, v88
	v_lshlrev_b32_e32 v6, 3, v84
	s_mul_i32 s40, s4, 15
	v_cmp_gt_u32_e32 vcc, 15, v1
	v_lshlrev_b32_e32 v82, 1, v6
	s_and_saveexec_b64 s[16:17], vcc
	s_cbranch_execz .LBB262_11
; %bb.10:
	s_load_dwordx2 s[20:21], s[0:1], 0x0
	s_waitcnt lgkmcnt(0)
	s_ashr_i32 s11, s8, 31
	s_mul_hi_u32 s22, s5, s8
	s_mul_i32 s11, s5, s11
	s_add_i32 s23, s22, s11
	s_mul_i32 s22, s5, s8
	s_lshl_b64 s[22:23], s[22:23], 1
	s_add_u32 s20, s20, s22
	v_add_lshl_u32 v6, v1, s40, 7
	s_addc_u32 s21, s21, s23
	v_ashrrev_i32_e32 v7, 31, v6
	v_lshl_add_u64 v[6:7], v[6:7], 1, s[20:21]
	v_mov_b32_e32 v83, 0
	v_lshl_add_u64 v[6:7], v[6:7], 0, v[82:83]
	global_load_dwordx4 v[6:9], v[6:7], off
	v_and_b32_e32 v10, 3, v0
	v_lshlrev_b32_e32 v11, 9, v84
	v_lshlrev_b32_e32 v1, 5, v1
	;; [unrolled: 1-line block ×3, first 2 shown]
	v_and_b32_e32 v11, 0x1800, v11
	v_or3_b32 v1, v11, v10, v1
	s_waitcnt vmcnt(0)
	ds_write_b128 v1, v[6:9]
.LBB262_11:
	s_or_b64 exec, exec, s[16:17]
	s_waitcnt lgkmcnt(0)
	s_mov_b32 s5, 0
	s_mul_i32 s4, s4, s10
	s_lshl_b64 s[4:5], s[4:5], 1
	s_add_u32 s10, s14, s4
	v_lshlrev_b32_e32 v1, 4, v0
	v_mov_b32_e32 v87, 0
	s_addc_u32 s11, s15, s5
	v_and_b32_e32 v86, 0xf0, v1
	v_lshl_add_u64 v[6:7], s[10:11], 0, v[86:87]
	s_waitcnt vmcnt(3)
	v_mad_i64_i32 v[8:9], s[10:11], v5, s9, 0
	s_waitcnt vmcnt(2)
	v_mad_i64_i32 v[4:5], s[10:11], v4, s9, 0
	v_lshl_add_u64 v[8:9], v[8:9], 1, v[6:7]
	v_and_b32_e32 v86, 0x300, v1
	v_lshl_add_u64 v[4:5], v[4:5], 1, v[6:7]
	v_lshl_add_u64 v[8:9], v[8:9], 0, v[86:87]
	;; [unrolled: 1-line block ×3, first 2 shown]
	s_barrier
	global_load_dwordx4 v[78:81], v[8:9], off
	global_load_dwordx4 v[74:77], v[8:9], off offset:1024
	global_load_dwordx4 v[70:73], v[8:9], off offset:2048
	;; [unrolled: 1-line block ×3, first 2 shown]
	global_load_dwordx4 v[66:69], v[4:5], off
	global_load_dwordx4 v[62:65], v[4:5], off offset:1024
	global_load_dwordx4 v[58:61], v[4:5], off offset:2048
	;; [unrolled: 1-line block ×3, first 2 shown]
	s_waitcnt vmcnt(9)
	v_mad_i64_i32 v[4:5], s[10:11], v3, s9, 0
	s_waitcnt vmcnt(8)
	v_mad_i64_i32 v[2:3], s[10:11], v2, s9, 0
	v_lshl_add_u64 v[4:5], v[4:5], 1, v[6:7]
	v_lshl_add_u64 v[2:3], v[2:3], 1, v[6:7]
	;; [unrolled: 1-line block ×4, first 2 shown]
	global_load_dwordx4 v[30:33], v[4:5], off
	global_load_dwordx4 v[26:29], v[4:5], off offset:1024
	global_load_dwordx4 v[22:25], v[4:5], off offset:2048
	;; [unrolled: 1-line block ×3, first 2 shown]
	global_load_dwordx4 v[6:9], v[34:35], off
	s_nop 0
	global_load_dwordx4 v[2:5], v[34:35], off offset:1024
	global_load_dwordx4 v[38:41], v[34:35], off offset:2048
	s_nop 0
	global_load_dwordx4 v[34:37], v[34:35], off offset:3072
	v_cmp_ne_u32_e32 vcc, 15, v84
	v_and_b32_e32 v83, 63, v0
	v_mov_b32_e32 v89, 0
	v_cndmask_b32_e32 v42, 0, v84, vcc
	v_lshlrev_b32_e32 v42, 5, v42
	v_lshl_or_b32 v42, v88, 9, v42
	ds_read_b128 v[54:57], v42
	ds_read_b128 v[50:53], v42 offset:2048
	ds_read_b128 v[46:49], v42 offset:4096
	;; [unrolled: 1-line block ×3, first 2 shown]
	s_and_saveexec_b64 s[10:11], vcc
	s_cbranch_execz .LBB262_13
; %bb.12:
	s_load_dwordx2 s[14:15], s[0:1], 0x40
	v_add_u32_e32 v90, s40, v84
	v_ashrrev_i32_e32 v91, 31, v90
	s_waitcnt lgkmcnt(0)
	v_lshl_add_u64 v[90:91], v[90:91], 2, s[14:15]
	global_load_dword v89, v[90:91], off
.LBB262_13:
	s_or_b64 exec, exec, s[10:11]
	s_waitcnt vmcnt(15) lgkmcnt(3)
	v_mfma_f32_16x16x16_f16 v[90:93], v[78:79], v[54:55], 0
	s_add_u32 s4, s12, s4
	s_addc_u32 s5, s13, s5
	s_mov_b32 s33, 0xff7fffff
	v_mfma_f32_16x16x16_f16 v[78:81], v[80:81], v[56:57], v[90:93]
	s_waitcnt vmcnt(14) lgkmcnt(2)
	v_mfma_f32_16x16x16_f16 v[78:81], v[74:75], v[50:51], v[78:81]
	s_nop 0
	v_lshl_or_b32 v90, v85, 4, v84
	v_lshlrev_b32_e32 v86, 5, v90
	v_mfma_f32_16x16x16_f16 v[74:77], v[76:77], v[52:53], v[78:81]
	s_waitcnt vmcnt(13) lgkmcnt(1)
	v_mfma_f32_16x16x16_f16 v[74:77], v[70:71], v[46:47], v[74:77]
	v_mfma_f32_16x16x16_f16 v[70:73], v[72:73], v[48:49], v[74:77]
	s_waitcnt vmcnt(11)
	v_mfma_f32_16x16x16_f16 v[74:77], v[66:67], v[54:55], 0
	v_mfma_f32_16x16x16_f16 v[66:69], v[68:69], v[56:57], v[74:77]
	s_nop 5
	v_and_or_b32 v74, v0, 48, s18
	s_waitcnt lgkmcnt(0)
	v_mfma_f32_16x16x16_f16 v[70:73], v[10:11], v[42:43], v[70:73]
	v_ashrrev_i32_e32 v10, 4, v74
	v_mov_b32_e32 v75, s19
	v_cmp_gt_i32_e32 vcc, s27, v74
	s_waitcnt vmcnt(10)
	v_mfma_f32_16x16x16_f16 v[66:69], v[62:63], v[50:51], v[66:69]
	v_cndmask_b32_e32 v10, v75, v10, vcc
	v_ashrrev_i32_e32 v11, 31, v10
	v_lshl_add_u64 v[10:11], v[10:11], 2, s[6:7]
	global_load_dword v76, v[10:11], off
	v_mfma_f32_16x16x16_f16 v[62:65], v[64:65], v[52:53], v[66:69]
	v_or_b32_e32 v10, 64, v74
	v_ashrrev_i32_e32 v11, 4, v10
	v_cmp_gt_i32_e32 vcc, s27, v10
	s_waitcnt vmcnt(10)
	v_mfma_f32_16x16x16_f16 v[62:65], v[58:59], v[46:47], v[62:65]
	v_cndmask_b32_e32 v10, v75, v11, vcc
	v_ashrrev_i32_e32 v11, 31, v10
	v_lshl_add_u64 v[10:11], v[10:11], 2, s[6:7]
	global_load_dword v77, v[10:11], off
	v_or_b32_e32 v10, 0x80, v74
	v_mfma_f32_16x16x16_f16 v[58:61], v[60:61], v[48:49], v[62:65]
	v_ashrrev_i32_e32 v11, 4, v10
	v_cmp_gt_i32_e32 vcc, s27, v10
	s_waitcnt vmcnt(9)
	v_mfma_f32_16x16x16_f16 v[62:65], v[30:31], v[54:55], 0
	v_cndmask_b32_e32 v10, v75, v11, vcc
	v_ashrrev_i32_e32 v11, 31, v10
	v_lshl_add_u64 v[10:11], v[10:11], 2, s[6:7]
	v_mfma_f32_16x16x16_f16 v[30:33], v[32:33], v[56:57], v[62:65]
	s_nop 2
	global_load_dword v64, v[10:11], off
	v_or_b32_e32 v10, 0xc0, v74
	v_ashrrev_i32_e32 v11, 4, v10
	v_cmp_gt_i32_e32 vcc, s27, v10
	s_waitcnt vmcnt(9)
	v_mfma_f32_16x16x16_f16 v[30:33], v[26:27], v[50:51], v[30:33]
	v_lshl_add_u64 v[62:63], s[4:5], 0, v[86:87]
	v_cndmask_b32_e32 v10, v75, v11, vcc
	v_ashrrev_i32_e32 v11, 31, v10
	v_lshl_add_u64 v[10:11], v[10:11], 2, s[6:7]
	global_load_dword v65, v[10:11], off
	v_mfma_f32_16x16x16_f16 v[26:29], v[28:29], v[52:53], v[30:33]
	s_load_dword s6, s[0:1], 0x1c
	v_or_b32_e32 v86, 0x800, v86
	s_waitcnt vmcnt(3)
	v_mad_i64_i32 v[10:11], s[10:11], v76, s9, 0
	v_mfma_f32_16x16x16_f16 v[26:29], v[22:23], v[46:47], v[26:29]
	v_lshlrev_b64 v[74:75], 1, v[10:11]
	v_mfma_f32_16x16x16_f16 v[66:69], v[12:13], v[44:45], v[70:73]
	v_mfma_f32_16x16x16_f16 v[10:13], v[24:25], v[48:49], v[26:29]
	;; [unrolled: 1-line block ×3, first 2 shown]
	v_lshl_add_u64 v[14:15], v[62:63], 0, v[74:75]
	s_waitcnt lgkmcnt(0)
	s_nop 2
	v_pk_mul_f32 v[78:79], s[6:7], v[68:69] op_sel_hi:[0,1]
	v_mfma_f32_16x16x16_f16 v[10:13], v[18:19], v[42:43], v[10:13]
	v_mfma_f32_16x16x16_f16 v[70:73], v[16:17], v[44:45], v[30:33]
	s_nop 2
	global_load_dwordx4 v[30:33], v[14:15], off
	global_load_dwordx4 v[26:29], v[14:15], off offset:16
	s_waitcnt vmcnt(4)
	v_mad_i64_i32 v[14:15], s[10:11], v77, s9, 0
	v_lshlrev_b64 v[58:59], 1, v[14:15]
	v_mfma_f32_16x16x16_f16 v[92:95], v[20:21], v[44:45], v[10:13]
	v_pk_mul_f32 v[76:77], s[6:7], v[70:71] op_sel_hi:[0,1]
	s_nop 1
	v_lshl_add_u64 v[10:11], v[62:63], 0, v[58:59]
	global_load_dwordx4 v[22:25], v[10:11], off
	global_load_dwordx4 v[18:21], v[10:11], off offset:16
	v_mfma_f32_16x16x16_f16 v[10:13], v[6:7], v[54:55], 0
	s_waitcnt vmcnt(5)
	v_mad_i64_i32 v[6:7], s[10:11], v64, s9, 0
	v_lshlrev_b64 v[54:55], 1, v[6:7]
	v_mfma_f32_16x16x16_f16 v[6:9], v[8:9], v[56:57], v[10:13]
	v_pk_mul_f32 v[70:71], s[6:7], v[94:95] op_sel_hi:[0,1]
	v_mfma_f32_16x16x16_f16 v[6:9], v[2:3], v[50:51], v[6:9]
	s_waitcnt vmcnt(4)
	v_mad_i64_i32 v[2:3], s[8:9], v65, s9, 0
	v_lshlrev_b64 v[60:61], 1, v[2:3]
	v_mfma_f32_16x16x16_f16 v[50:53], v[4:5], v[52:53], v[6:9]
	v_lshl_add_u64 v[10:11], v[62:63], 0, v[54:55]
	v_lshl_add_u64 v[2:3], v[62:63], 0, v[60:61]
	v_pk_mul_f32 v[62:63], s[6:7], v[66:67] op_sel_hi:[0,1]
	v_mfma_f32_16x16x16_f16 v[50:53], v[38:39], v[46:47], v[50:53]
	v_lshl_add_u64 v[64:65], s[4:5], 0, v[86:87]
	v_lshl_add_u64 v[38:39], v[64:65], 0, v[74:75]
	v_pk_mul_f32 v[74:75], s[6:7], v[72:73] op_sel_hi:[0,1]
	v_mfma_f32_16x16x16_f16 v[46:49], v[40:41], v[48:49], v[50:53]
	v_pk_mul_f32 v[72:73], s[6:7], v[92:93] op_sel_hi:[0,1]
	global_load_dwordx4 v[14:17], v[10:11], off
	s_nop 0
	global_load_dwordx4 v[10:13], v[10:11], off offset:16
	s_nop 0
	global_load_dwordx4 v[6:9], v[2:3], off
	s_nop 0
	global_load_dwordx4 v[2:5], v[2:3], off offset:16
	v_mfma_f32_16x16x16_f16 v[40:43], v[34:35], v[42:43], v[46:49]
	v_mfma_f32_16x16x16_f16 v[34:37], v[36:37], v[44:45], v[40:43]
	s_nop 6
	v_pk_mul_f32 v[68:69], s[6:7], v[34:35] op_sel_hi:[0,1]
	v_and_b32_e32 v34, 0xc0, v0
	v_add_u32_e32 v34, s18, v34
	v_lshl_or_b32 v34, v88, 2, v34
	v_or_b32_e32 v35, 1, v34
	v_pk_mul_f32 v[66:67], s[6:7], v[36:37] op_sel_hi:[0,1]
	v_subrev_u32_e32 v36, s27, v35
	v_add_u32_e32 v40, 1, v36
	v_add_u32_e32 v41, 2, v36
	v_cvt_f32_i32_e32 v37, v36
	v_cvt_f32_i32_e32 v40, v40
	;; [unrolled: 1-line block ×3, first 2 shown]
	v_add_u32_e32 v42, 3, v36
	v_fma_f32 v62, v89, v37, v62
	v_fmac_f32_e32 v63, v89, v40
	v_fma_f32 v78, v89, v41, v78
	v_add_u32_e32 v37, 16, v36
	v_add_u32_e32 v40, 17, v36
	;; [unrolled: 1-line block ×3, first 2 shown]
	v_cvt_f32_i32_e32 v42, v42
	v_cvt_f32_i32_e32 v37, v37
	;; [unrolled: 1-line block ×4, first 2 shown]
	v_fmac_f32_e32 v79, v89, v42
	v_add_u32_e32 v42, 19, v36
	v_fma_f32 v76, v89, v37, v76
	v_fmac_f32_e32 v77, v89, v40
	v_fma_f32 v74, v89, v41, v74
	v_add_u32_e32 v37, 32, v36
	v_add_u32_e32 v40, 33, v36
	;; [unrolled: 1-line block ×3, first 2 shown]
	v_cvt_f32_i32_e32 v42, v42
	v_cvt_f32_i32_e32 v37, v37
	;; [unrolled: 1-line block ×4, first 2 shown]
	v_fmac_f32_e32 v75, v89, v42
	v_add_u32_e32 v42, 35, v36
	v_fma_f32 v72, v89, v37, v72
	v_fmac_f32_e32 v73, v89, v40
	v_fma_f32 v70, v89, v41, v70
	v_add_u32_e32 v37, 48, v36
	v_add_u32_e32 v40, 49, v36
	;; [unrolled: 1-line block ×4, first 2 shown]
	v_cvt_f32_i32_e32 v36, v36
	v_cvt_f32_i32_e32 v37, v37
	v_cvt_f32_i32_e32 v40, v40
	v_cmp_gt_i32_e64 s[28:29], s27, v34
	v_fmac_f32_e32 v67, v89, v36
	v_mov_b32_e32 v36, 0xff7fffff
	v_cmp_gt_i32_e64 s[30:31], s27, v35
	v_fma_f32 v68, v89, v37, v68
	v_cndmask_b32_e64 v37, v36, v62, s[28:29]
	v_cndmask_b32_e64 v35, v36, v63, s[30:31]
	v_fmac_f32_e32 v69, v89, v40
	v_max3_f32 v35, v37, s33, v35
	v_or_b32_e32 v37, 2, v34
	v_or_b32_e32 v40, 3, v34
	v_cmp_gt_i32_e64 s[34:35], s27, v37
	v_cmp_gt_i32_e64 s[36:37], s27, v40
	v_cvt_f32_i32_e32 v42, v42
	v_cndmask_b32_e64 v37, v36, v78, s[34:35]
	v_cndmask_b32_e64 v40, v36, v79, s[36:37]
	v_max3_f32 v35, v35, v37, v40
	v_or_b32_e32 v37, 16, v34
	v_or_b32_e32 v40, 17, v34
	v_cmp_gt_i32_e64 s[22:23], s27, v37
	v_cmp_gt_i32_e64 s[24:25], s27, v40
	v_fmac_f32_e32 v71, v89, v42
	v_cndmask_b32_e64 v37, v36, v76, s[22:23]
	v_cndmask_b32_e64 v40, v36, v77, s[24:25]
	v_max3_f32 v35, v35, v37, v40
	v_or_b32_e32 v37, 18, v34
	v_or_b32_e32 v40, 19, v34
	v_cmp_gt_i32_e64 s[18:19], s27, v37
	v_cmp_gt_i32_e64 s[20:21], s27, v40
	v_cvt_f32_i32_e32 v41, v41
	v_cndmask_b32_e64 v37, v36, v74, s[18:19]
	v_cndmask_b32_e64 v40, v36, v75, s[20:21]
	v_max3_f32 v35, v35, v37, v40
	v_or_b32_e32 v37, 32, v34
	v_or_b32_e32 v40, 33, v34
	v_cmp_gt_i32_e64 s[14:15], s27, v37
	v_cmp_gt_i32_e64 s[16:17], s27, v40
	v_fma_f32 v66, v89, v41, v66
	v_cndmask_b32_e64 v37, v36, v72, s[14:15]
	v_cndmask_b32_e64 v40, v36, v73, s[16:17]
	v_max3_f32 v35, v35, v37, v40
	v_or_b32_e32 v37, 34, v34
	v_or_b32_e32 v40, 35, v34
	v_cmp_gt_i32_e64 s[10:11], s27, v37
	v_cmp_gt_i32_e64 s[12:13], s27, v40
	s_nop 0
	v_cndmask_b32_e64 v37, v36, v70, s[10:11]
	v_cndmask_b32_e64 v40, v36, v71, s[12:13]
	v_max3_f32 v35, v35, v37, v40
	v_or_b32_e32 v37, 48, v34
	v_or_b32_e32 v40, 49, v34
	v_cmp_gt_i32_e64 s[6:7], s27, v37
	v_cmp_gt_i32_e64 s[8:9], s27, v40
	s_nop 0
	v_cndmask_b32_e64 v37, v36, v68, s[6:7]
	v_cndmask_b32_e64 v40, v36, v69, s[8:9]
	v_max3_f32 v35, v35, v37, v40
	v_or_b32_e32 v37, 50, v34
	v_or_b32_e32 v34, 51, v34
	v_cmp_gt_i32_e32 vcc, s27, v37
	v_cmp_gt_i32_e64 s[4:5], s27, v34
	global_load_dwordx4 v[46:49], v[38:39], off
	s_nop 0
	global_load_dwordx4 v[38:41], v[38:39], off offset:16
	v_cndmask_b32_e32 v37, v36, v66, vcc
	v_cndmask_b32_e64 v34, v36, v67, s[4:5]
	v_max3_f32 v50, v35, v37, v34
	v_mbcnt_lo_u32_b32 v34, -1, 0
	v_mbcnt_hi_u32_b32 v51, -1, v34
	v_and_b32_e32 v34, 64, v51
	v_add_u32_e32 v52, 64, v34
	v_xor_b32_e32 v34, 32, v51
	v_cmp_lt_i32_e64 s[38:39], v34, v52
	s_nop 1
	v_cndmask_b32_e64 v34, v51, v34, s[38:39]
	v_lshlrev_b32_e32 v87, 2, v34
	ds_bpermute_b32 v53, v87, v50
	v_lshl_add_u64 v[34:35], v[64:65], 0, v[58:59]
	v_lshl_add_u64 v[58:59], v[64:65], 0, v[60:61]
	global_load_dwordx4 v[42:45], v[34:35], off
	s_nop 0
	global_load_dwordx4 v[34:37], v[34:35], off offset:16
	s_waitcnt lgkmcnt(0)
	v_max_f32_e32 v53, v53, v53
	v_max_f32_e32 v80, v50, v53
	v_xor_b32_e32 v50, 16, v51
	v_cmp_lt_i32_e64 s[38:39], v50, v52
	s_nop 1
	v_cndmask_b32_e64 v50, v51, v50, s[38:39]
	v_lshlrev_b32_e32 v89, 2, v50
	ds_bpermute_b32 v81, v89, v80
	v_lshl_add_u64 v[50:51], v[64:65], 0, v[54:55]
	global_load_dwordx4 v[54:57], v[50:51], off
	s_nop 0
	global_load_dwordx4 v[50:53], v[50:51], off offset:16
	s_waitcnt lgkmcnt(0)
	v_max_f32_e32 v60, v81, v81
	v_max_f32_e32 v86, v80, v60
	v_sub_f32_e32 v60, v62, v86
	v_mul_f32_e32 v60, 0x3fb8aa3b, v60
	v_exp_f32_e32 v80, v60
	v_sub_f32_e32 v60, v63, v86
	v_mul_f32_e32 v60, 0x3fb8aa3b, v60
	v_exp_f32_e32 v81, v60
	global_load_dwordx4 v[62:65], v[58:59], off
	s_nop 0
	global_load_dwordx4 v[58:61], v[58:59], off offset:16
	v_sub_f32_e32 v78, v78, v86
	v_mul_f32_e32 v78, 0x3fb8aa3b, v78
	v_sub_f32_e32 v79, v79, v86
	v_exp_f32_e32 v78, v78
	v_mul_f32_e32 v79, 0x3fb8aa3b, v79
	v_sub_f32_e32 v76, v76, v86
	v_exp_f32_e32 v79, v79
	v_mul_f32_e32 v76, 0x3fb8aa3b, v76
	v_sub_f32_e32 v77, v77, v86
	v_cndmask_b32_e64 v80, 0, v80, s[28:29]
	v_exp_f32_e32 v76, v76
	v_mul_f32_e32 v77, 0x3fb8aa3b, v77
	v_sub_f32_e32 v74, v74, v86
	v_add_f32_e32 v91, 0, v80
	v_cndmask_b32_e64 v81, 0, v81, s[30:31]
	v_exp_f32_e32 v77, v77
	v_mul_f32_e32 v74, 0x3fb8aa3b, v74
	v_sub_f32_e32 v75, v75, v86
	v_add_f32_e32 v91, v91, v81
	;; [unrolled: 5-line block ×10, first 2 shown]
	v_cndmask_b32_e64 v70, 0, v70, s[10:11]
	v_exp_f32_e32 v66, v66
	v_mul_f32_e32 v67, 0x3fb8aa3b, v67
	v_add_f32_e32 v91, v91, v70
	v_cndmask_b32_e64 v71, 0, v71, s[12:13]
	v_exp_f32_e32 v67, v67
	v_add_f32_e32 v91, v91, v71
	v_cndmask_b32_e64 v68, 0, v68, s[6:7]
	v_add_f32_e32 v91, v91, v68
	v_cndmask_b32_e64 v69, 0, v69, s[8:9]
	v_add_f32_e32 v91, v91, v69
	v_cndmask_b32_e32 v66, 0, v66, vcc
	v_add_f32_e32 v91, v91, v66
	v_cndmask_b32_e64 v67, 0, v67, s[4:5]
	v_add_f32_e32 v91, v91, v67
	ds_bpermute_b32 v87, v87, v91
	s_load_dword s7, s[0:1], 0x98
	v_cmp_gt_u32_e32 vcc, 16, v83
	s_waitcnt lgkmcnt(0)
	s_barrier
	v_add_f32_e32 v87, v91, v87
	ds_bpermute_b32 v89, v89, v87
	s_waitcnt lgkmcnt(0)
	s_and_saveexec_b64 s[4:5], vcc
	s_cbranch_execz .LBB262_15
; %bb.14:
	v_add_f32_e32 v83, v87, v89
	v_lshlrev_b32_e32 v87, 2, v90
	ds_write2st64_b32 v87, v86, v83 offset1:1
.LBB262_15:
	s_or_b64 exec, exec, s[4:5]
	v_lshlrev_b32_e32 v89, 2, v84
	s_load_dword s6, s[0:1], 0x94
	s_waitcnt lgkmcnt(0)
	s_barrier
	ds_read2_b32 v[86:87], v89 offset1:16
	ds_read2_b32 v[90:91], v89 offset0:32 offset1:48
	ds_read2_b32 v[92:93], v89 offset0:64 offset1:80
	;; [unrolled: 1-line block ×3, first 2 shown]
	s_mul_i32 s7, s7, 15
	s_waitcnt lgkmcnt(3)
	v_max3_f32 v83, v86, s33, v87
	s_waitcnt lgkmcnt(2)
	v_max3_f32 v83, v83, v90, v91
	v_sub_f32_e32 v86, v86, v83
	v_mul_f32_e32 v86, 0x3fb8aa3b, v86
	v_exp_f32_e32 v1, v86
	v_sub_f32_e32 v86, v87, v83
	v_mul_f32_e32 v86, 0x3fb8aa3b, v86
	v_exp_f32_e32 v87, v86
	;; [unrolled: 3-line block ×4, first 2 shown]
	s_waitcnt lgkmcnt(1)
	v_fma_f32 v86, v1, v92, 0
	v_fmac_f32_e32 v86, v87, v93
	s_waitcnt lgkmcnt(0)
	v_fmac_f32_e32 v86, v90, v94
	v_fmac_f32_e32 v86, v89, v95
	v_add_f32_e32 v91, 0x358637bd, v86
	v_div_scale_f32 v92, s[4:5], v91, v91, 1.0
	v_rcp_f32_e32 v93, v92
	s_barrier
	v_fma_f32 v94, -v92, v93, 1.0
	v_fmac_f32_e32 v93, v94, v93
	v_div_scale_f32 v94, vcc, 1.0, v91, 1.0
	v_mul_f32_e32 v95, v94, v93
	v_fma_f32 v88, -v92, v95, v94
	v_fmac_f32_e32 v95, v88, v93
	v_fma_f32 v88, -v92, v95, v94
	v_div_fmas_f32 v88, v88, v93, v95
	v_cmp_eq_u32_e32 vcc, 1, v85
	v_div_fixup_f32 v88, v88, v91, 1.0
	s_nop 0
	v_cndmask_b32_e32 v1, v1, v87, vcc
	v_cmp_eq_u32_e32 vcc, 2, v85
	v_bfe_u32 v87, v0, 4, 2
	s_nop 0
	v_cndmask_b32_e32 v1, v1, v90, vcc
	v_cmp_eq_u32_e32 vcc, 3, v85
	s_nop 1
	v_cndmask_b32_e32 v1, v1, v89, vcc
	v_mul_f32_e32 v90, v1, v88
	v_pk_mul_f32 v[78:79], v[90:91], v[78:79] op_sel_hi:[0,1]
	v_cvt_f16_f32_e32 v78, v78
	v_cvt_f16_f32_e32 v79, v79
	v_pk_mul_f32 v[80:81], v[90:91], v[80:81] op_sel_hi:[0,1]
	v_cvt_f16_f32_e32 v1, v80
	v_cvt_f16_f32_e32 v80, v81
	v_pk_mul_f32 v[74:75], v[90:91], v[74:75] op_sel_hi:[0,1]
	v_pk_mul_f32 v[76:77], v[90:91], v[76:77] op_sel_hi:[0,1]
	v_pack_b32_f16 v81, v78, v79
	v_cvt_f16_f32_e32 v76, v76
	v_cvt_f16_f32_e32 v77, v77
	;; [unrolled: 1-line block ×4, first 2 shown]
	v_pack_b32_f16 v80, v1, v80
	v_lshlrev_b32_e32 v1, 3, v87
	v_lshlrev_b32_e32 v78, 5, v84
	;; [unrolled: 1-line block ×3, first 2 shown]
	v_pk_mul_f32 v[70:71], v[90:91], v[70:71] op_sel_hi:[0,1]
	v_pk_mul_f32 v[72:73], v[90:91], v[72:73] op_sel_hi:[0,1]
	;; [unrolled: 1-line block ×4, first 2 shown]
	v_or3_b32 v74, v74, v78, v1
	v_pack_b32_f16 v76, v76, v77
	v_pack_b32_f16 v77, v79, v75
	v_cvt_f16_f32_e32 v1, v72
	v_cvt_f16_f32_e32 v72, v73
	;; [unrolled: 1-line block ×8, first 2 shown]
	v_pack_b32_f16 v66, v1, v72
	v_pack_b32_f16 v67, v70, v71
	;; [unrolled: 1-line block ×4, first 2 shown]
	v_cmp_gt_u32_e32 vcc, 15, v0
	ds_write2st64_b64 v74, v[80:81], v[76:77] offset1:1
	ds_write2st64_b64 v74, v[66:67], v[68:69] offset0:2 offset1:3
	s_and_saveexec_b64 s[4:5], vcc
	s_cbranch_execz .LBB262_17
; %bb.16:
	s_mov_b32 s41, 0
	v_mov_b32_e32 v85, 0
	v_lshl_add_u64 v[66:67], s[40:41], 0, v[84:85]
	v_mov_b32_e32 v1, s7
	v_mad_u64_u32 v[66:67], s[12:13], s2, v1, v[66:67]
	s_mul_i32 s3, s3, s7
	v_mov_b32_e32 v68, s26
	v_mov_b32_e32 v69, v85
	s_load_dwordx4 s[8:11], s[0:1], 0x58
	v_add_u32_e32 v1, s3, v67
	v_mad_u64_u32 v[66:67], s[12:13], v66, s6, v[68:69]
	v_mov_b32_e32 v68, v67
	v_mad_u64_u32 v[68:69], s[12:13], v1, s6, v[68:69]
	v_mov_b32_e32 v67, v68
	v_lshlrev_b64 v[66:67], 2, v[66:67]
	s_waitcnt lgkmcnt(0)
	v_lshl_add_u64 v[68:69], s[10:11], 0, v[66:67]
	v_lshl_add_u64 v[66:67], s[8:9], 0, v[66:67]
	global_store_dword v[68:69], v83, off
	global_store_dword v[66:67], v86, off
.LBB262_17:
	s_or_b64 exec, exec, s[4:5]
	v_lshl_or_b32 v1, v87, 9, v78
	s_waitcnt lgkmcnt(0)
	s_barrier
	ds_read_b128 v[70:73], v1
	ds_read_b128 v[66:69], v1 offset:16
	s_waitcnt vmcnt(15) lgkmcnt(1)
	v_mfma_f32_16x16x16_f16 v[76:79], v[30:31], v[70:71], 0
	s_mov_b32 s3, 0
	v_cmp_gt_u32_e32 vcc, 64, v0
	v_mfma_f32_16x16x16_f16 v[30:33], v[32:33], v[72:73], v[76:79]
	s_waitcnt vmcnt(14) lgkmcnt(0)
	v_mfma_f32_16x16x16_f16 v[30:33], v[26:27], v[66:67], v[30:33]
	v_mfma_f32_16x16x16_f16 v[26:29], v[28:29], v[68:69], v[30:33]
	s_nop 5
	ds_read_b128 v[30:33], v1 offset:2048
	ds_read_b128 v[76:79], v1 offset:2064
	s_waitcnt vmcnt(13) lgkmcnt(1)
	v_mfma_f32_16x16x16_f16 v[26:29], v[22:23], v[30:31], v[26:29]
	v_mfma_f32_16x16x16_f16 v[22:25], v[24:25], v[32:33], v[26:29]
	s_waitcnt vmcnt(12) lgkmcnt(0)
	v_mfma_f32_16x16x16_f16 v[22:25], v[18:19], v[76:77], v[22:25]
	v_mfma_f32_16x16x16_f16 v[18:21], v[20:21], v[78:79], v[22:25]
	s_nop 5
	ds_read_b128 v[22:25], v1 offset:4096
	ds_read_b128 v[26:29], v1 offset:4112
	s_waitcnt vmcnt(11) lgkmcnt(1)
	v_mfma_f32_16x16x16_f16 v[18:21], v[14:15], v[22:23], v[18:21]
	v_mfma_f32_16x16x16_f16 v[14:17], v[16:17], v[24:25], v[18:21]
	s_waitcnt vmcnt(10) lgkmcnt(0)
	v_mfma_f32_16x16x16_f16 v[14:17], v[10:11], v[26:27], v[14:17]
	v_mfma_f32_16x16x16_f16 v[10:13], v[12:13], v[28:29], v[14:17]
	s_nop 5
	ds_read_b128 v[14:17], v1 offset:6144
	ds_read_b128 v[18:21], v1 offset:6160
	s_waitcnt lgkmcnt(0)
	s_barrier
	s_waitcnt vmcnt(9)
	v_mfma_f32_16x16x16_f16 v[10:13], v[6:7], v[14:15], v[10:13]
	v_mfma_f32_16x16x16_f16 v[6:9], v[8:9], v[16:17], v[10:13]
	s_waitcnt vmcnt(8)
	v_mfma_f32_16x16x16_f16 v[6:9], v[2:3], v[18:19], v[6:9]
	v_mfma_f32_16x16x16_f16 v[2:5], v[4:5], v[20:21], v[6:9]
	;; [unrolled: 3-line block ×3, first 2 shown]
	s_nop 3
	v_cvt_f16_f32_e32 v1, v2
	v_cvt_f16_f32_e32 v10, v3
	;; [unrolled: 1-line block ×3, first 2 shown]
	s_waitcnt vmcnt(6)
	v_mfma_f32_16x16x16_f16 v[6:9], v[38:39], v[66:67], v[6:9]
	v_cvt_f16_f32_e32 v12, v5
	v_mfma_f32_16x16x16_f16 v[6:9], v[40:41], v[68:69], v[6:9]
	s_waitcnt vmcnt(5)
	v_mfma_f32_16x16x16_f16 v[6:9], v[42:43], v[30:31], v[6:9]
	v_mfma_f32_16x16x16_f16 v[6:9], v[44:45], v[32:33], v[6:9]
	s_waitcnt vmcnt(4)
	v_mfma_f32_16x16x16_f16 v[6:9], v[34:35], v[76:77], v[6:9]
	v_mfma_f32_16x16x16_f16 v[6:9], v[36:37], v[78:79], v[6:9]
	s_waitcnt vmcnt(3)
	v_mfma_f32_16x16x16_f16 v[6:9], v[54:55], v[22:23], v[6:9]
	v_mfma_f32_16x16x16_f16 v[6:9], v[56:57], v[24:25], v[6:9]
	s_waitcnt vmcnt(2)
	v_mfma_f32_16x16x16_f16 v[6:9], v[50:51], v[26:27], v[6:9]
	v_mfma_f32_16x16x16_f16 v[6:9], v[52:53], v[28:29], v[6:9]
	s_waitcnt vmcnt(1)
	v_mfma_f32_16x16x16_f16 v[6:9], v[62:63], v[14:15], v[6:9]
	v_mfma_f32_16x16x16_f16 v[6:9], v[64:65], v[16:17], v[6:9]
	s_waitcnt vmcnt(0)
	v_mfma_f32_16x16x16_f16 v[6:9], v[58:59], v[18:19], v[6:9]
	v_mfma_f32_16x16x16_f16 v[2:5], v[60:61], v[20:21], v[6:9]
	s_nop 6
	v_cvt_f16_f32_e32 v6, v2
	v_cvt_f16_f32_e32 v7, v3
	;; [unrolled: 1-line block ×4, first 2 shown]
	v_pack_b32_f16 v2, v1, v10
	v_pack_b32_f16 v3, v11, v12
	;; [unrolled: 1-line block ×4, first 2 shown]
	ds_write2st64_b64 v74, v[2:3], v[4:5] offset1:1
	s_waitcnt lgkmcnt(0)
	s_barrier
	s_and_saveexec_b64 s[4:5], vcc
	s_cbranch_execz .LBB262_20
; %bb.18:
	s_load_dwordx2 s[4:5], s[0:1], 0x68
	s_lshl_b32 s0, s6, 7
	s_mul_i32 s1, s7, s2
	v_lshlrev_b32_e32 v3, 6, v84
	s_mul_hi_u32 s7, s1, s0
	s_mul_i32 s6, s1, s0
	v_lshlrev_b32_e32 v2, 4, v0
	v_lshl_or_b32 v0, v0, 10, v3
	s_lshl_b64 s[6:7], s[6:7], 1
	v_lshlrev_b32_e32 v1, 5, v87
	v_and_b32_e32 v2, 16, v2
	v_and_b32_e32 v0, 0x1a00, v0
	s_waitcnt lgkmcnt(0)
	s_add_u32 s1, s4, s6
	v_or3_b32 v2, v0, v1, v2
	s_addc_u32 s4, s5, s7
	s_lshl_b32 s2, s26, 7
	ds_read_b128 v[4:7], v2 offset:256
	s_lshl_b64 s[2:3], s[2:3], 1
	ds_read_b128 v[8:11], v2 offset:128
	ds_read_b128 v[12:15], v2
	s_add_u32 s2, s1, s2
	s_addc_u32 s3, s4, s3
	v_mov_b32_e32 v83, 0
	v_add_u32_e32 v3, s40, v87
	v_lshl_add_u64 v[0:1], s[2:3], 0, v[82:83]
	v_mad_u64_u32 v[16:17], s[2:3], v3, s0, 0
	v_lshl_add_u64 v[16:17], v[16:17], 1, v[0:1]
	s_waitcnt lgkmcnt(0)
	global_store_dwordx4 v[16:17], v[12:15], off
	v_cmp_ne_u32_e32 vcc, 3, v87
	s_nop 0
	v_add_u32_e32 v12, 4, v3
	v_mad_u64_u32 v[12:13], s[2:3], v12, s0, 0
	v_lshl_add_u64 v[12:13], v[12:13], 1, v[0:1]
	v_add_u32_e32 v3, 8, v3
	global_store_dwordx4 v[12:13], v[8:11], off
	s_nop 1
	v_mad_u64_u32 v[8:9], s[2:3], v3, s0, 0
	v_lshl_add_u64 v[8:9], v[8:9], 1, v[0:1]
	global_store_dwordx4 v[8:9], v[4:7], off
	s_and_b64 exec, exec, vcc
	s_cbranch_execz .LBB262_20
; %bb.19:
	ds_read_b128 v[2:5], v2 offset:384
	v_add3_u32 v6, s40, v87, 12
	v_mad_u64_u32 v[6:7], s[0:1], v6, s0, 0
	v_lshl_add_u64 v[0:1], v[6:7], 1, v[0:1]
	s_waitcnt lgkmcnt(0)
	global_store_dwordx4 v[0:1], v[2:5], off
.LBB262_20:
	s_endpgm
	.section	.rodata,"a",@progbits
	.p2align	6, 0x0
	.amdhsa_kernel _Z39paged_attention_ll4mi_QKV_mfma16_kernelIDF16_DF16_LN4vllm18Fp8KVCacheDataTypeE0EDF16_Li16ELi128ELi256ELb1ELi15EEvPKT_PKT0_S7_ifPKiS9_S9_iPKfiiiPfSC_PS2_PT2_iSB_SB_
		.amdhsa_group_segment_fixed_size 8192
		.amdhsa_private_segment_fixed_size 0
		.amdhsa_kernarg_size 400
		.amdhsa_user_sgpr_count 2
		.amdhsa_user_sgpr_dispatch_ptr 0
		.amdhsa_user_sgpr_queue_ptr 0
		.amdhsa_user_sgpr_kernarg_segment_ptr 1
		.amdhsa_user_sgpr_dispatch_id 0
		.amdhsa_user_sgpr_kernarg_preload_length 0
		.amdhsa_user_sgpr_kernarg_preload_offset 0
		.amdhsa_user_sgpr_private_segment_size 0
		.amdhsa_uses_dynamic_stack 0
		.amdhsa_enable_private_segment 0
		.amdhsa_system_sgpr_workgroup_id_x 1
		.amdhsa_system_sgpr_workgroup_id_y 1
		.amdhsa_system_sgpr_workgroup_id_z 1
		.amdhsa_system_sgpr_workgroup_info 0
		.amdhsa_system_vgpr_workitem_id 0
		.amdhsa_next_free_vgpr 96
		.amdhsa_next_free_sgpr 42
		.amdhsa_accum_offset 96
		.amdhsa_reserve_vcc 1
		.amdhsa_float_round_mode_32 0
		.amdhsa_float_round_mode_16_64 0
		.amdhsa_float_denorm_mode_32 3
		.amdhsa_float_denorm_mode_16_64 3
		.amdhsa_dx10_clamp 1
		.amdhsa_ieee_mode 1
		.amdhsa_fp16_overflow 0
		.amdhsa_tg_split 0
		.amdhsa_exception_fp_ieee_invalid_op 0
		.amdhsa_exception_fp_denorm_src 0
		.amdhsa_exception_fp_ieee_div_zero 0
		.amdhsa_exception_fp_ieee_overflow 0
		.amdhsa_exception_fp_ieee_underflow 0
		.amdhsa_exception_fp_ieee_inexact 0
		.amdhsa_exception_int_div_zero 0
	.end_amdhsa_kernel
	.section	.text._Z39paged_attention_ll4mi_QKV_mfma16_kernelIDF16_DF16_LN4vllm18Fp8KVCacheDataTypeE0EDF16_Li16ELi128ELi256ELb1ELi15EEvPKT_PKT0_S7_ifPKiS9_S9_iPKfiiiPfSC_PS2_PT2_iSB_SB_,"axG",@progbits,_Z39paged_attention_ll4mi_QKV_mfma16_kernelIDF16_DF16_LN4vllm18Fp8KVCacheDataTypeE0EDF16_Li16ELi128ELi256ELb1ELi15EEvPKT_PKT0_S7_ifPKiS9_S9_iPKfiiiPfSC_PS2_PT2_iSB_SB_,comdat
.Lfunc_end262:
	.size	_Z39paged_attention_ll4mi_QKV_mfma16_kernelIDF16_DF16_LN4vllm18Fp8KVCacheDataTypeE0EDF16_Li16ELi128ELi256ELb1ELi15EEvPKT_PKT0_S7_ifPKiS9_S9_iPKfiiiPfSC_PS2_PT2_iSB_SB_, .Lfunc_end262-_Z39paged_attention_ll4mi_QKV_mfma16_kernelIDF16_DF16_LN4vllm18Fp8KVCacheDataTypeE0EDF16_Li16ELi128ELi256ELb1ELi15EEvPKT_PKT0_S7_ifPKiS9_S9_iPKfiiiPfSC_PS2_PT2_iSB_SB_
                                        ; -- End function
	.section	.AMDGPU.csdata,"",@progbits
; Kernel info:
; codeLenInByte = 4748
; NumSgprs: 48
; NumVgprs: 96
; NumAgprs: 0
; TotalNumVgprs: 96
; ScratchSize: 0
; MemoryBound: 0
; FloatMode: 240
; IeeeMode: 1
; LDSByteSize: 8192 bytes/workgroup (compile time only)
; SGPRBlocks: 5
; VGPRBlocks: 11
; NumSGPRsForWavesPerEU: 48
; NumVGPRsForWavesPerEU: 96
; AccumOffset: 96
; Occupancy: 5
; WaveLimiterHint : 1
; COMPUTE_PGM_RSRC2:SCRATCH_EN: 0
; COMPUTE_PGM_RSRC2:USER_SGPR: 2
; COMPUTE_PGM_RSRC2:TRAP_HANDLER: 0
; COMPUTE_PGM_RSRC2:TGID_X_EN: 1
; COMPUTE_PGM_RSRC2:TGID_Y_EN: 1
; COMPUTE_PGM_RSRC2:TGID_Z_EN: 1
; COMPUTE_PGM_RSRC2:TIDIG_COMP_CNT: 0
; COMPUTE_PGM_RSRC3_GFX90A:ACCUM_OFFSET: 23
; COMPUTE_PGM_RSRC3_GFX90A:TG_SPLIT: 0
	.section	.text._Z39paged_attention_ll4mi_QKV_mfma16_kernelIDF16_DF16_LN4vllm18Fp8KVCacheDataTypeE0EDF16_Li16ELi128ELi256ELb1ELi16EEvPKT_PKT0_S7_ifPKiS9_S9_iPKfiiiPfSC_PS2_PT2_iSB_SB_,"axG",@progbits,_Z39paged_attention_ll4mi_QKV_mfma16_kernelIDF16_DF16_LN4vllm18Fp8KVCacheDataTypeE0EDF16_Li16ELi128ELi256ELb1ELi16EEvPKT_PKT0_S7_ifPKiS9_S9_iPKfiiiPfSC_PS2_PT2_iSB_SB_,comdat
	.protected	_Z39paged_attention_ll4mi_QKV_mfma16_kernelIDF16_DF16_LN4vllm18Fp8KVCacheDataTypeE0EDF16_Li16ELi128ELi256ELb1ELi16EEvPKT_PKT0_S7_ifPKiS9_S9_iPKfiiiPfSC_PS2_PT2_iSB_SB_ ; -- Begin function _Z39paged_attention_ll4mi_QKV_mfma16_kernelIDF16_DF16_LN4vllm18Fp8KVCacheDataTypeE0EDF16_Li16ELi128ELi256ELb1ELi16EEvPKT_PKT0_S7_ifPKiS9_S9_iPKfiiiPfSC_PS2_PT2_iSB_SB_
	.globl	_Z39paged_attention_ll4mi_QKV_mfma16_kernelIDF16_DF16_LN4vllm18Fp8KVCacheDataTypeE0EDF16_Li16ELi128ELi256ELb1ELi16EEvPKT_PKT0_S7_ifPKiS9_S9_iPKfiiiPfSC_PS2_PT2_iSB_SB_
	.p2align	8
	.type	_Z39paged_attention_ll4mi_QKV_mfma16_kernelIDF16_DF16_LN4vllm18Fp8KVCacheDataTypeE0EDF16_Li16ELi128ELi256ELb1ELi16EEvPKT_PKT0_S7_ifPKiS9_S9_iPKfiiiPfSC_PS2_PT2_iSB_SB_,@function
_Z39paged_attention_ll4mi_QKV_mfma16_kernelIDF16_DF16_LN4vllm18Fp8KVCacheDataTypeE0EDF16_Li16ELi128ELi256ELb1ELi16EEvPKT_PKT0_S7_ifPKiS9_S9_iPKfiiiPfSC_PS2_PT2_iSB_SB_: ; @_Z39paged_attention_ll4mi_QKV_mfma16_kernelIDF16_DF16_LN4vllm18Fp8KVCacheDataTypeE0EDF16_Li16ELi128ELi256ELb1ELi16EEvPKT_PKT0_S7_ifPKiS9_S9_iPKfiiiPfSC_PS2_PT2_iSB_SB_
; %bb.0:
	s_load_dwordx2 s[8:9], s[0:1], 0x30
	s_mov_b32 s26, s3
	s_mov_b64 s[6:7], 0
	s_waitcnt lgkmcnt(0)
	s_cmp_lg_u64 s[8:9], 0
	s_cselect_b64 s[10:11], -1, 0
	s_and_b64 vcc, exec, s[10:11]
	s_cbranch_vccz .LBB263_7
; %bb.1:
	s_add_i32 s12, s2, 1
	s_mov_b32 s13, 0
	s_lshl_b64 s[14:15], s[12:13], 2
	s_add_u32 s14, s8, s14
	s_mov_b32 s3, s13
	s_addc_u32 s15, s9, s15
	s_lshl_b64 s[12:13], s[2:3], 2
	s_add_u32 s12, s8, s12
	s_addc_u32 s13, s9, s13
	s_load_dword s5, s[14:15], 0x0
	s_load_dword s16, s[12:13], 0x0
	s_waitcnt lgkmcnt(0)
	s_sub_i32 s5, s5, s16
	s_cmp_eq_u32 s5, 1
	s_cselect_b64 s[12:13], -1, 0
	s_andn2_b64 vcc, exec, s[6:7]
	s_cbranch_vccnz .LBB263_3
.LBB263_2:
	s_mov_b32 s3, 0
	s_mov_b64 s[12:13], -1
.LBB263_3:
	s_andn2_b64 vcc, exec, s[12:13]
	s_cbranch_vccnz .LBB263_17
; %bb.4:
	s_load_dwordx2 s[6:7], s[0:1], 0x28
	s_lshl_b64 s[18:19], s[2:3], 2
	s_waitcnt lgkmcnt(0)
	s_add_u32 s6, s6, s18
	s_addc_u32 s7, s7, s19
	s_load_dword s38, s[6:7], 0x0
	s_lshl_b32 s20, s26, 8
	s_waitcnt lgkmcnt(0)
	s_cmp_ge_i32 s20, s38
	s_cbranch_scc1 .LBB263_17
; %bb.5:
	s_load_dwordx2 s[6:7], s[0:1], 0x20
	s_load_dword s5, s[0:1], 0x38
	s_add_i32 s12, s38, 15
	s_ashr_i32 s13, s12, 31
	v_and_b32_e32 v1, 0xcf, v0
	s_lshr_b32 s13, s13, 28
	v_add_u32_e32 v1, s20, v1
	s_add_i32 s12, s12, s13
	v_ashrrev_i32_e32 v2, 31, v1
	s_ashr_i32 s21, s12, 4
	v_lshrrev_b32_e32 v4, 28, v2
	s_add_i32 s21, s21, -1
	s_waitcnt lgkmcnt(0)
	s_mul_i32 s12, s2, s5
	s_mov_b32 s13, 0
	v_add_u32_e32 v2, v1, v4
	s_lshl_b64 s[12:13], s[12:13], 2
	v_ashrrev_i32_e32 v2, 4, v2
	v_mov_b32_e32 v5, s21
	v_cmp_gt_i32_e32 vcc, s38, v1
	s_add_u32 s6, s6, s12
	s_addc_u32 s7, s7, s13
	v_cndmask_b32_e32 v2, v5, v2, vcc
	v_ashrrev_i32_e32 v3, 31, v2
	v_lshl_add_u64 v[6:7], v[2:3], 2, s[6:7]
	v_or_b32_e32 v2, 16, v1
	v_add_u32_e32 v3, v2, v4
	v_ashrrev_i32_e32 v3, 4, v3
	v_cmp_gt_i32_e32 vcc, s38, v2
	s_nop 1
	v_cndmask_b32_e32 v2, v5, v3, vcc
	v_ashrrev_i32_e32 v3, 31, v2
	v_lshl_add_u64 v[8:9], v[2:3], 2, s[6:7]
	v_or_b32_e32 v2, 32, v1
	v_add_u32_e32 v3, v2, v4
	v_ashrrev_i32_e32 v3, 4, v3
	v_cmp_gt_i32_e32 vcc, s38, v2
	v_or_b32_e32 v1, 48, v1
	s_nop 0
	v_cndmask_b32_e32 v2, v5, v3, vcc
	v_ashrrev_i32_e32 v3, 31, v2
	v_lshl_add_u64 v[10:11], v[2:3], 2, s[6:7]
	v_add_u32_e32 v2, v1, v4
	v_ashrrev_i32_e32 v2, 4, v2
	v_cmp_gt_i32_e32 vcc, s38, v1
	s_nop 1
	v_cndmask_b32_e32 v2, v5, v2, vcc
	v_ashrrev_i32_e32 v3, 31, v2
	v_lshl_add_u64 v[12:13], v[2:3], 2, s[6:7]
	global_load_dword v4, v[6:7], off
	global_load_dword v3, v[8:9], off
	;; [unrolled: 1-line block ×4, first 2 shown]
	s_load_dwordx2 s[16:17], s[0:1], 0x40
	s_load_dwordx4 s[12:15], s[0:1], 0x8
	s_andn2_b64 vcc, exec, s[10:11]
	s_cbranch_vccnz .LBB263_8
; %bb.6:
	s_add_u32 s8, s8, s18
	s_addc_u32 s9, s9, s19
	s_load_dword s5, s[8:9], 0x0
	s_branch .LBB263_9
.LBB263_7:
	s_mov_b64 s[12:13], 0
	s_branch .LBB263_2
.LBB263_8:
	s_mov_b32 s5, s2
.LBB263_9:
	s_load_dwordx4 s[8:11], s[0:1], 0x48
	v_and_b32_e32 v84, 15, v0
	v_lshlrev_b32_e32 v5, 3, v84
	s_waitcnt lgkmcnt(0)
	s_movk_i32 s11, 0x100
	v_lshrrev_b32_e32 v1, 6, v0
	v_bfe_u32 v86, v0, 4, 2
	s_lshl_b32 s27, s4, 4
	v_cmp_gt_u32_e32 vcc, s11, v0
	v_lshlrev_b32_e32 v6, 1, v5
	scratch_store_dwordx2 off, v[6:7], off  ; 8-byte Folded Spill
	s_and_saveexec_b64 s[18:19], vcc
	s_cbranch_execz .LBB263_11
; %bb.10:
	scratch_load_dwordx2 v[8:9], off, off   ; 8-byte Folded Reload
	s_load_dwordx2 s[22:23], s[0:1], 0x0
	s_ashr_i32 s11, s8, 31
	s_mul_hi_u32 s24, s5, s8
	s_mul_i32 s11, s5, s11
	s_add_i32 s25, s24, s11
	s_mul_i32 s24, s5, s8
	v_lshl_or_b32 v5, v1, 2, v86
	s_lshl_b64 s[24:25], s[24:25], 1
	s_waitcnt lgkmcnt(0)
	s_add_u32 s22, s22, s24
	v_add_lshl_u32 v6, v5, s27, 7
	s_addc_u32 s23, s23, s25
	v_ashrrev_i32_e32 v7, 31, v6
	v_lshl_add_u64 v[6:7], v[6:7], 1, s[22:23]
	v_mov_b32_e32 v11, 0
	v_lshlrev_b32_e32 v5, 5, v5
	s_waitcnt vmcnt(0)
	v_mov_b32_e32 v10, v8
	v_lshl_add_u64 v[6:7], v[6:7], 0, v[10:11]
	scratch_store_dwordx2 off, v[8:9], off  ; 8-byte Folded Spill
	global_load_dwordx4 v[6:9], v[6:7], off
	v_and_b32_e32 v10, 3, v0
	v_lshlrev_b32_e32 v11, 9, v84
	v_lshlrev_b32_e32 v10, 9, v10
	v_and_b32_e32 v11, 0x1800, v11
	v_or3_b32 v5, v11, v10, v5
	s_waitcnt vmcnt(0)
	ds_write_b128 v5, v[6:9]
.LBB263_11:
	s_or_b64 exec, exec, s[18:19]
	s_mul_i32 s4, s4, s10
	s_mov_b32 s5, 0
	s_lshl_b64 s[4:5], s[4:5], 1
	s_add_u32 s10, s12, s4
	v_lshlrev_b32_e32 v6, 4, v0
	s_addc_u32 s11, s13, s5
	v_and_b32_e32 v38, 0xf0, v6
	v_mov_b32_e32 v39, 0
	v_lshl_add_u64 v[40:41], s[10:11], 0, v[38:39]
	s_waitcnt vmcnt(4)
	v_mad_i64_i32 v[4:5], s[10:11], v4, s9, 0
	v_lshl_add_u64 v[4:5], v[4:5], 1, v[40:41]
	v_and_b32_e32 v38, 0x300, v6
	v_lshl_add_u64 v[34:35], v[4:5], 0, v[38:39]
	s_waitcnt vmcnt(3)
	v_mad_i64_i32 v[4:5], s[10:11], v3, s9, 0
	s_load_dword s33, s[0:1], 0x98
	s_load_dword s8, s[0:1], 0x1c
	s_waitcnt lgkmcnt(0)
	s_barrier
	global_load_dwordx4 v[10:13], v[34:35], off
	v_lshl_add_u64 v[4:5], v[4:5], 1, v[40:41]
	v_lshl_add_u64 v[42:43], v[4:5], 0, v[38:39]
	global_load_dwordx4 v[14:17], v[42:43], off
	s_waitcnt vmcnt(4)
	v_mad_i64_i32 v[2:3], s[10:11], v2, s9, 0
	v_lshl_add_u64 v[2:3], v[2:3], 1, v[40:41]
	v_lshl_add_u64 v[44:45], v[2:3], 0, v[38:39]
	global_load_dwordx4 v[30:33], v[44:45], off
	global_load_dwordx4 v[22:25], v[34:35], off offset:1024
	global_load_dwordx4 v[18:21], v[42:43], off offset:1024
	;; [unrolled: 1-line block ×3, first 2 shown]
	v_lshlrev_b32_e32 v2, 5, v84
	scratch_store_dword off, v2, off offset:8 ; 4-byte Folded Spill
	v_lshl_or_b32 v87, v86, 9, v2
	ds_read_b128 v[6:9], v87
	ds_read_b128 v[2:5], v87 offset:2048
	global_load_dwordx4 v[50:53], v[34:35], off offset:2048
	global_load_dwordx4 v[58:61], v[42:43], off offset:2048
	;; [unrolled: 1-line block ×4, first 2 shown]
	v_and_or_b32 v74, v0, 48, s20
	v_mov_b32_e32 v75, s21
	v_cmp_gt_i32_e32 vcc, s38, v74
	s_waitcnt vmcnt(12)
	v_mad_i64_i32 v[76:77], s[10:11], v36, s9, 0
	v_or_b32_e32 v78, 64, v74
	v_or_b32_e32 v79, 0x80, v74
	;; [unrolled: 1-line block ×3, first 2 shown]
	v_ashrrev_i32_e32 v81, 4, v80
	s_add_u32 s4, s14, s4
	s_addc_u32 s5, s15, s5
	s_mov_b32 s40, 0xff7fffff
	s_waitcnt vmcnt(8) lgkmcnt(1)
	v_mfma_f32_16x16x16_f16 v[62:65], v[30:31], v[6:7], 0
	v_mfma_f32_16x16x16_f16 v[46:49], v[10:11], v[6:7], 0
	;; [unrolled: 1-line block ×4, first 2 shown]
	s_nop 4
	ds_read_b128 v[46:49], v87 offset:4096
	ds_read_b128 v[34:37], v87 offset:6144
	v_mfma_f32_16x16x16_f16 v[14:17], v[16:17], v[8:9], v[54:57]
	s_nop 2
	v_ashrrev_i32_e32 v54, 4, v74
	v_mfma_f32_16x16x16_f16 v[30:33], v[32:33], v[8:9], v[62:65]
	v_ashrrev_i32_e32 v74, 4, v79
	s_waitcnt vmcnt(7) lgkmcnt(2)
	v_mfma_f32_16x16x16_f16 v[10:13], v[22:23], v[2:3], v[10:13]
	v_cndmask_b32_e32 v22, v75, v54, vcc
	global_load_dwordx4 v[54:57], v[42:43], off offset:3072
	v_ashrrev_i32_e32 v23, 31, v22
	global_load_dwordx4 v[42:45], v[44:45], off offset:3072
	v_ashrrev_i32_e32 v62, 4, v78
	s_waitcnt vmcnt(8)
	v_mfma_f32_16x16x16_f16 v[14:17], v[18:19], v[2:3], v[14:17]
	v_lshl_add_u64 v[18:19], v[22:23], 2, s[6:7]
	v_cmp_gt_i32_e32 vcc, s38, v78
	v_lshl_add_u64 v[22:23], v[76:77], 1, v[40:41]
	s_waitcnt vmcnt(7)
	v_mfma_f32_16x16x16_f16 v[30:33], v[26:27], v[2:3], v[30:33]
	global_load_dword v26, v[18:19], off
	v_cndmask_b32_e32 v18, v75, v62, vcc
	v_ashrrev_i32_e32 v19, 31, v18
	v_lshl_add_u64 v[22:23], v[22:23], 0, v[38:39]
	v_lshl_add_u64 v[18:19], v[18:19], 2, s[6:7]
	global_load_dwordx4 v[62:65], v[22:23], off
	global_load_dword v88, v[18:19], off
	v_mfma_f32_16x16x16_f16 v[10:13], v[24:25], v[4:5], v[10:13]
	v_cmp_gt_i32_e32 vcc, s38, v79
	global_load_dwordx4 v[76:79], v[22:23], off offset:1024
	global_load_dwordx4 v[92:95], v[22:23], off offset:3072
	v_cndmask_b32_e32 v24, v75, v74, vcc
	v_ashrrev_i32_e32 v25, 31, v24
	v_lshl_add_u64 v[24:25], v[24:25], 2, s[6:7]
	s_waitcnt vmcnt(10) lgkmcnt(1)
	v_mfma_f32_16x16x16_f16 v[10:13], v[50:51], v[46:47], v[10:13]
	global_load_dword v50, v[24:25], off
	v_cmp_gt_i32_e32 vcc, s38, v80
	v_mfma_f32_16x16x16_f16 v[14:17], v[20:21], v[4:5], v[14:17]
	s_nop 0
	v_cndmask_b32_e32 v24, v75, v81, vcc
	global_load_dwordx4 v[80:83], v[22:23], off offset:2048
	v_ashrrev_i32_e32 v25, 31, v24
	v_lshl_add_u64 v[24:25], v[24:25], 2, s[6:7]
	v_mfma_f32_16x16x16_f16 v[18:21], v[28:29], v[4:5], v[30:33]
	s_waitcnt vmcnt(11)
	v_mfma_f32_16x16x16_f16 v[14:17], v[58:59], v[46:47], v[14:17]
	global_load_dword v58, v[24:25], off
	s_waitcnt vmcnt(11)
	v_mfma_f32_16x16x16_f16 v[18:21], v[66:67], v[46:47], v[18:21]
	v_or_b32_e32 v66, s27, v84
	v_ashrrev_i32_e32 v67, 31, v66
	v_lshl_add_u64 v[22:23], v[66:67], 2, s[16:17]
	global_load_dword v74, v[22:23], off
	v_mfma_f32_16x16x16_f16 v[10:13], v[52:53], v[48:49], v[10:13]
	v_lshl_or_b32 v67, v1, 4, v84
	v_lshlrev_b32_e32 v38, 5, v67
	v_lshl_add_u64 v[40:41], s[4:5], 0, v[38:39]
	v_mfma_f32_16x16x16_f16 v[14:17], v[60:61], v[48:49], v[14:17]
	v_or_b32_e32 v38, 0x800, v38
	s_waitcnt vmcnt(8)
	v_mad_i64_i32 v[22:23], s[6:7], v26, s9, 0
	v_mfma_f32_16x16x16_f16 v[18:21], v[68:69], v[48:49], v[18:21]
	v_lshlrev_b64 v[84:85], 1, v[22:23]
	s_waitcnt lgkmcnt(0)
	v_mfma_f32_16x16x16_f16 v[10:13], v[70:71], v[34:35], v[10:13]
	v_mfma_f32_16x16x16_f16 v[14:17], v[54:55], v[34:35], v[14:17]
	;; [unrolled: 1-line block ×4, first 2 shown]
	s_nop 3
	v_lshl_add_u64 v[10:11], v[40:41], 0, v[84:85]
	global_load_dwordx4 v[30:33], v[10:11], off
	global_load_dwordx4 v[26:29], v[10:11], off offset:16
	s_waitcnt vmcnt(8)
	v_mad_i64_i32 v[10:11], s[6:7], v88, s9, 0
	v_lshlrev_b64 v[42:43], 1, v[10:11]
	v_lshl_add_u64 v[10:11], v[40:41], 0, v[42:43]
	v_mfma_f32_16x16x16_f16 v[88:91], v[44:45], v[36:37], v[18:21]
	global_load_dwordx4 v[22:25], v[10:11], off
	s_nop 1
	global_load_dwordx4 v[18:21], v[10:11], off offset:16
	v_mfma_f32_16x16x16_f16 v[10:13], v[62:63], v[6:7], 0
	s_waitcnt vmcnt(7)
	v_mad_i64_i32 v[6:7], s[6:7], v50, s9, 0
	v_lshlrev_b64 v[50:51], 1, v[6:7]
	v_mfma_f32_16x16x16_f16 v[6:9], v[64:65], v[8:9], v[10:13]
	v_pk_mul_f32 v[72:73], s[8:9], v[90:91] op_sel_hi:[0,1]
	v_mfma_f32_16x16x16_f16 v[6:9], v[76:77], v[2:3], v[6:9]
	s_waitcnt vmcnt(5)
	v_mad_i64_i32 v[2:3], s[6:7], v58, s9, 0
	v_lshlrev_b64 v[58:59], 1, v[2:3]
	v_mfma_f32_16x16x16_f16 v[60:63], v[78:79], v[4:5], v[6:9]
	v_lshl_add_u64 v[10:11], v[40:41], 0, v[50:51]
	v_lshl_add_u64 v[2:3], v[40:41], 0, v[58:59]
	v_pk_mul_f32 v[76:77], s[8:9], v[88:89] op_sel_hi:[0,1]
	v_mfma_f32_16x16x16_f16 v[44:47], v[80:81], v[46:47], v[60:63]
	v_mfma_f32_16x16x16_f16 v[44:47], v[82:83], v[48:49], v[44:47]
	v_pk_mul_f32 v[82:83], s[8:9], v[54:55] op_sel_hi:[0,1]
	s_nop 0
	v_pk_mul_f32 v[60:61], s[8:9], v[52:53] op_sel_hi:[0,1]
	v_lshl_add_u64 v[62:63], s[4:5], 0, v[38:39]
	v_mfma_f32_16x16x16_f16 v[44:47], v[92:93], v[34:35], v[44:47]
	v_lshl_add_u64 v[38:39], v[62:63], 0, v[84:85]
	v_lshl_add_u64 v[50:51], v[62:63], 0, v[50:51]
	;; [unrolled: 1-line block ×3, first 2 shown]
	v_mfma_f32_16x16x16_f16 v[68:71], v[56:57], v[36:37], v[14:17]
	s_nop 2
	global_load_dwordx4 v[14:17], v[10:11], off
	s_nop 0
	global_load_dwordx4 v[10:13], v[10:11], off offset:16
	s_nop 0
	global_load_dwordx4 v[6:9], v[2:3], off
	s_nop 0
	global_load_dwordx4 v[2:5], v[2:3], off offset:16
	v_pk_mul_f32 v[78:79], s[8:9], v[70:71] op_sel_hi:[0,1]
	v_mfma_f32_16x16x16_f16 v[34:37], v[94:95], v[36:37], v[44:47]
	v_pk_mul_f32 v[80:81], s[8:9], v[68:69] op_sel_hi:[0,1]
	s_nop 5
	v_pk_mul_f32 v[70:71], s[8:9], v[34:35] op_sel_hi:[0,1]
	v_and_b32_e32 v34, 0xc0, v0
	v_add_u32_e32 v34, s20, v34
	v_lshl_or_b32 v34, v86, 2, v34
	v_or_b32_e32 v35, 1, v34
	v_pk_mul_f32 v[68:69], s[8:9], v[36:37] op_sel_hi:[0,1]
	v_subrev_u32_e32 v36, s38, v35
	v_add_u32_e32 v40, 1, v36
	v_add_u32_e32 v41, 2, v36
	v_cvt_f32_i32_e32 v37, v36
	v_cvt_f32_i32_e32 v40, v40
	;; [unrolled: 1-line block ×3, first 2 shown]
	v_add_u32_e32 v44, 3, v36
	s_waitcnt vmcnt(8)
	v_fma_f32 v60, v74, v37, v60
	v_fmac_f32_e32 v61, v74, v40
	v_fma_f32 v75, v74, v41, v82
	v_add_u32_e32 v37, 16, v36
	v_add_u32_e32 v40, 17, v36
	;; [unrolled: 1-line block ×3, first 2 shown]
	v_cvt_f32_i32_e32 v44, v44
	v_cvt_f32_i32_e32 v37, v37
	;; [unrolled: 1-line block ×4, first 2 shown]
	v_fmac_f32_e32 v83, v74, v44
	v_add_u32_e32 v44, 19, v36
	v_fma_f32 v80, v74, v37, v80
	v_fmac_f32_e32 v81, v74, v40
	v_fma_f32 v78, v74, v41, v78
	v_add_u32_e32 v37, 32, v36
	v_add_u32_e32 v40, 33, v36
	v_add_u32_e32 v41, 34, v36
	v_cvt_f32_i32_e32 v44, v44
	v_cvt_f32_i32_e32 v37, v37
	;; [unrolled: 1-line block ×4, first 2 shown]
	v_fmac_f32_e32 v79, v74, v44
	v_add_u32_e32 v44, 35, v36
	v_fma_f32 v76, v74, v37, v76
	v_fmac_f32_e32 v77, v74, v40
	v_fma_f32 v72, v74, v41, v72
	v_add_u32_e32 v37, 48, v36
	v_add_u32_e32 v40, 49, v36
	;; [unrolled: 1-line block ×4, first 2 shown]
	v_cvt_f32_i32_e32 v36, v36
	v_cvt_f32_i32_e32 v37, v37
	;; [unrolled: 1-line block ×3, first 2 shown]
	v_cmp_gt_i32_e64 s[28:29], s38, v34
	v_fmac_f32_e32 v69, v74, v36
	v_mov_b32_e32 v36, 0xff7fffff
	v_cmp_gt_i32_e64 s[30:31], s38, v35
	v_fma_f32 v70, v74, v37, v70
	v_cndmask_b32_e64 v37, v36, v60, s[28:29]
	v_cndmask_b32_e64 v35, v36, v61, s[30:31]
	v_fmac_f32_e32 v71, v74, v40
	v_max3_f32 v35, v37, s40, v35
	v_or_b32_e32 v37, 2, v34
	v_or_b32_e32 v40, 3, v34
	v_cmp_gt_i32_e64 s[34:35], s38, v37
	v_cmp_gt_i32_e64 s[36:37], s38, v40
	v_cvt_f32_i32_e32 v44, v44
	v_cndmask_b32_e64 v37, v36, v75, s[34:35]
	v_cndmask_b32_e64 v40, v36, v83, s[36:37]
	v_max3_f32 v35, v35, v37, v40
	v_or_b32_e32 v37, 16, v34
	v_or_b32_e32 v40, 17, v34
	v_cmp_gt_i32_e64 s[22:23], s38, v37
	v_cmp_gt_i32_e64 s[24:25], s38, v40
	v_fmac_f32_e32 v73, v74, v44
	v_cndmask_b32_e64 v37, v36, v80, s[22:23]
	v_cndmask_b32_e64 v40, v36, v81, s[24:25]
	v_max3_f32 v35, v35, v37, v40
	v_or_b32_e32 v37, 18, v34
	v_or_b32_e32 v40, 19, v34
	v_cmp_gt_i32_e64 s[18:19], s38, v37
	v_cmp_gt_i32_e64 s[20:21], s38, v40
	v_cvt_f32_i32_e32 v41, v41
	v_cndmask_b32_e64 v37, v36, v78, s[18:19]
	v_cndmask_b32_e64 v40, v36, v79, s[20:21]
	v_max3_f32 v35, v35, v37, v40
	v_or_b32_e32 v37, 32, v34
	v_or_b32_e32 v40, 33, v34
	v_cmp_gt_i32_e64 s[14:15], s38, v37
	v_cmp_gt_i32_e64 s[16:17], s38, v40
	v_fma_f32 v68, v74, v41, v68
	v_cndmask_b32_e64 v37, v36, v76, s[14:15]
	v_cndmask_b32_e64 v40, v36, v77, s[16:17]
	v_max3_f32 v35, v35, v37, v40
	v_or_b32_e32 v37, 34, v34
	v_or_b32_e32 v40, 35, v34
	v_cmp_gt_i32_e64 s[10:11], s38, v37
	v_cmp_gt_i32_e64 s[12:13], s38, v40
	s_nop 0
	v_cndmask_b32_e64 v37, v36, v72, s[10:11]
	v_cndmask_b32_e64 v40, v36, v73, s[12:13]
	v_max3_f32 v35, v35, v37, v40
	v_or_b32_e32 v37, 48, v34
	v_or_b32_e32 v40, 49, v34
	v_cmp_gt_i32_e64 s[6:7], s38, v37
	v_cmp_gt_i32_e64 s[8:9], s38, v40
	s_nop 0
	v_cndmask_b32_e64 v37, v36, v70, s[6:7]
	v_cndmask_b32_e64 v40, v36, v71, s[8:9]
	v_max3_f32 v35, v35, v37, v40
	v_or_b32_e32 v37, 50, v34
	v_or_b32_e32 v34, 51, v34
	v_cmp_gt_i32_e32 vcc, s38, v37
	v_cmp_gt_i32_e64 s[4:5], s38, v34
	global_load_dwordx4 v[46:49], v[38:39], off
	s_nop 0
	global_load_dwordx4 v[38:41], v[38:39], off offset:16
	v_cndmask_b32_e32 v37, v36, v68, vcc
	v_cndmask_b32_e64 v34, v36, v69, s[4:5]
	v_max3_f32 v52, v35, v37, v34
	v_mbcnt_lo_u32_b32 v34, -1, 0
	v_mbcnt_hi_u32_b32 v53, -1, v34
	v_and_b32_e32 v34, 64, v53
	v_add_u32_e32 v54, 64, v34
	v_xor_b32_e32 v34, 32, v53
	v_cmp_lt_i32_e64 s[38:39], v34, v54
	s_nop 1
	v_cndmask_b32_e64 v34, v53, v34, s[38:39]
	v_lshlrev_b32_e32 v74, 2, v34
	ds_bpermute_b32 v55, v74, v52
	v_lshl_add_u64 v[34:35], v[62:63], 0, v[42:43]
	global_load_dwordx4 v[42:45], v[34:35], off
	s_nop 0
	global_load_dwordx4 v[34:37], v[34:35], off offset:16
	s_waitcnt lgkmcnt(0)
	v_max_f32_e32 v55, v55, v55
	v_max_f32_e32 v64, v52, v55
	v_xor_b32_e32 v52, 16, v53
	v_cmp_lt_i32_e64 s[38:39], v52, v54
	s_nop 1
	v_cndmask_b32_e64 v52, v53, v52, s[38:39]
	v_lshlrev_b32_e32 v88, 2, v52
	ds_bpermute_b32 v65, v88, v64
	global_load_dwordx4 v[54:57], v[50:51], off
	s_nop 0
	global_load_dwordx4 v[50:53], v[50:51], off offset:16
	s_waitcnt lgkmcnt(0)
	v_max_f32_e32 v62, v65, v65
	v_max_f32_e32 v91, v64, v62
	v_sub_f32_e32 v60, v60, v91
	v_mul_f32_e32 v60, 0x3fb8aa3b, v60
	v_exp_f32_e32 v82, v60
	v_sub_f32_e32 v60, v61, v91
	v_mul_f32_e32 v60, 0x3fb8aa3b, v60
	v_exp_f32_e32 v85, v60
	global_load_dwordx4 v[62:65], v[58:59], off
	s_nop 0
	global_load_dwordx4 v[58:61], v[58:59], off offset:16
	v_sub_f32_e32 v75, v75, v91
	v_mul_f32_e32 v75, 0x3fb8aa3b, v75
	v_sub_f32_e32 v83, v83, v91
	v_exp_f32_e32 v75, v75
	v_mul_f32_e32 v83, 0x3fb8aa3b, v83
	v_sub_f32_e32 v80, v80, v91
	v_exp_f32_e32 v83, v83
	v_mul_f32_e32 v80, 0x3fb8aa3b, v80
	v_sub_f32_e32 v81, v81, v91
	v_cndmask_b32_e64 v84, 0, v82, s[28:29]
	v_exp_f32_e32 v80, v80
	v_mul_f32_e32 v81, 0x3fb8aa3b, v81
	v_sub_f32_e32 v78, v78, v91
	v_add_f32_e32 v82, 0, v84
	v_cndmask_b32_e64 v85, 0, v85, s[30:31]
	v_exp_f32_e32 v81, v81
	v_mul_f32_e32 v78, 0x3fb8aa3b, v78
	v_sub_f32_e32 v79, v79, v91
	v_add_f32_e32 v89, v82, v85
	;; [unrolled: 5-line block ×10, first 2 shown]
	v_cndmask_b32_e64 v72, 0, v72, s[10:11]
	v_exp_f32_e32 v68, v68
	v_mul_f32_e32 v69, 0x3fb8aa3b, v69
	v_add_f32_e32 v75, v75, v72
	v_cndmask_b32_e64 v73, 0, v73, s[12:13]
	v_exp_f32_e32 v69, v69
	v_add_f32_e32 v75, v75, v73
	v_cndmask_b32_e64 v70, 0, v70, s[6:7]
	v_add_f32_e32 v75, v75, v70
	v_cndmask_b32_e64 v71, 0, v71, s[8:9]
	v_add_f32_e32 v75, v75, v71
	v_cndmask_b32_e32 v68, 0, v68, vcc
	v_add_f32_e32 v75, v75, v68
	v_cndmask_b32_e64 v69, 0, v69, s[4:5]
	v_add_f32_e32 v75, v75, v69
	ds_bpermute_b32 v74, v74, v75
	s_waitcnt lgkmcnt(0)
	s_barrier
	v_add_f32_e32 v92, v75, v74
	ds_bpermute_b32 v93, v88, v92
	v_and_b32_e32 v74, 63, v0
	v_cmp_gt_u32_e32 vcc, 16, v74
	s_and_saveexec_b64 s[4:5], vcc
	s_cbranch_execz .LBB263_13
; %bb.12:
	s_waitcnt lgkmcnt(0)
	v_add_f32_e32 v74, v92, v93
	v_lshlrev_b32_e32 v67, 2, v67
	ds_write2st64_b32 v67, v91, v74 offset1:1
.LBB263_13:
	s_or_b64 exec, exec, s[4:5]
	v_and_b32_e32 v67, 15, v0
	v_lshlrev_b32_e32 v67, 2, v67
	s_load_dword s6, s[0:1], 0x94
	s_waitcnt lgkmcnt(0)
	s_barrier
	ds_read2_b32 v[90:91], v67 offset1:16
	ds_read2_b32 v[92:93], v67 offset0:32 offset1:48
	ds_read2_b32 v[94:95], v67 offset0:64 offset1:80
	s_lshl_b32 s7, s33, 4
	s_waitcnt lgkmcnt(2)
	v_max3_f32 v74, v90, s40, v91
	s_waitcnt lgkmcnt(1)
	v_max3_f32 v89, v74, v92, v93
	v_sub_f32_e32 v74, v90, v89
	v_mul_f32_e32 v74, 0x3fb8aa3b, v74
	v_exp_f32_e32 v88, v74
	v_sub_f32_e32 v74, v91, v89
	v_mul_f32_e32 v74, 0x3fb8aa3b, v74
	v_exp_f32_e32 v90, v74
	;; [unrolled: 3-line block ×3, first 2 shown]
	ds_read2_b32 v[74:75], v67 offset0:96 offset1:112
	v_sub_f32_e32 v67, v93, v89
	v_mul_f32_e32 v67, 0x3fb8aa3b, v67
	v_exp_f32_e32 v67, v67
	s_waitcnt lgkmcnt(1)
	v_fma_f32 v91, v88, v94, 0
	v_fmac_f32_e32 v91, v90, v95
	s_waitcnt lgkmcnt(0)
	v_fmac_f32_e32 v91, v92, v74
	v_fmac_f32_e32 v91, v67, v75
	v_add_f32_e32 v74, 0x358637bd, v91
	v_div_scale_f32 v75, s[4:5], v74, v74, 1.0
	v_rcp_f32_e32 v93, v75
	s_barrier
	v_fma_f32 v94, -v75, v93, 1.0
	v_fmac_f32_e32 v93, v94, v93
	v_div_scale_f32 v94, vcc, 1.0, v74, 1.0
	v_mul_f32_e32 v95, v94, v93
	v_fma_f32 v86, -v75, v95, v94
	v_fmac_f32_e32 v95, v86, v93
	v_fma_f32 v75, -v75, v95, v94
	v_div_fmas_f32 v75, v75, v93, v95
	v_cmp_eq_u32_e32 vcc, 1, v1
	v_div_fixup_f32 v74, v75, v74, 1.0
	s_nop 0
	v_cndmask_b32_e32 v75, v88, v90, vcc
	v_cmp_eq_u32_e32 vcc, 2, v1
	s_nop 1
	v_cndmask_b32_e32 v75, v75, v92, vcc
	v_cmp_eq_u32_e32 vcc, 3, v1
	v_lshlrev_b32_e32 v1, 11, v1
	s_nop 0
	v_cndmask_b32_e32 v67, v75, v67, vcc
	v_mul_f32_e32 v74, v67, v74
	v_pk_mul_f32 v[84:85], v[74:75], v[84:85] op_sel_hi:[0,1]
	v_pk_mul_f32 v[82:83], v[74:75], v[82:83] op_sel_hi:[0,1]
	v_cvt_f16_f32_e32 v75, v85
	v_cvt_f16_f32_e32 v67, v84
	;; [unrolled: 1-line block ×4, first 2 shown]
	v_pk_mul_f32 v[78:79], v[74:75], v[78:79] op_sel_hi:[0,1]
	v_pk_mul_f32 v[80:81], v[74:75], v[80:81] op_sel_hi:[0,1]
	v_pack_b32_f16 v82, v67, v75
	v_cvt_f16_f32_e32 v75, v80
	v_cvt_f16_f32_e32 v80, v81
	;; [unrolled: 1-line block ×3, first 2 shown]
	scratch_load_dword v78, off, off offset:8 ; 4-byte Folded Reload
	v_pack_b32_f16 v83, v84, v83
	v_bfe_u32 v84, v0, 4, 2
	v_lshlrev_b32_e32 v67, 3, v84
	v_pk_mul_f32 v[72:73], v[74:75], v[72:73] op_sel_hi:[0,1]
	v_pk_mul_f32 v[76:77], v[74:75], v[76:77] op_sel_hi:[0,1]
	;; [unrolled: 1-line block ×4, first 2 shown]
	v_cvt_f16_f32_e32 v79, v79
	v_pack_b32_f16 v80, v75, v80
	v_cvt_f16_f32_e32 v72, v72
	v_cvt_f16_f32_e32 v73, v73
	;; [unrolled: 1-line block ×6, first 2 shown]
	v_pack_b32_f16 v81, v81, v79
	v_pack_b32_f16 v69, v72, v73
	v_pack_b32_f16 v70, v70, v71
	v_pack_b32_f16 v71, v74, v75
	v_cmp_gt_u32_e32 vcc, 16, v0
	s_waitcnt vmcnt(0)
	v_or3_b32 v78, v1, v78, v67
	v_cvt_f16_f32_e32 v1, v76
	v_cvt_f16_f32_e32 v67, v77
	ds_write2st64_b64 v78, v[82:83], v[80:81] offset1:1
	v_pack_b32_f16 v68, v1, v67
	ds_write2st64_b64 v78, v[68:69], v[70:71] offset0:2 offset1:3
	s_and_saveexec_b64 s[4:5], vcc
	s_cbranch_execz .LBB263_15
; %bb.14:
	v_mov_b32_e32 v67, 0
	v_mov_b32_e32 v1, s7
	v_mad_u64_u32 v[68:69], s[12:13], s2, v1, v[66:67]
	v_mov_b32_e32 v66, s26
	s_load_dwordx4 s[8:11], s[0:1], 0x58
	s_mul_i32 s3, s3, s7
	v_mad_u64_u32 v[66:67], s[12:13], v68, s6, v[66:67]
	v_add_u32_e32 v1, s3, v69
	v_mov_b32_e32 v68, v67
	v_mad_u64_u32 v[68:69], s[12:13], v1, s6, v[68:69]
	v_mov_b32_e32 v67, v68
	v_lshlrev_b64 v[66:67], 2, v[66:67]
	s_waitcnt lgkmcnt(0)
	v_lshl_add_u64 v[68:69], s[10:11], 0, v[66:67]
	v_lshl_add_u64 v[66:67], s[8:9], 0, v[66:67]
	global_store_dword v[68:69], v89, off
	global_store_dword v[66:67], v91, off
.LBB263_15:
	s_or_b64 exec, exec, s[4:5]
	s_waitcnt lgkmcnt(0)
	s_barrier
	ds_read_b128 v[70:73], v87
	ds_read_b128 v[66:69], v87 offset:16
	s_waitcnt lgkmcnt(1)
	v_mfma_f32_16x16x16_f16 v[80:83], v[30:31], v[70:71], 0
	s_mov_b32 s3, 0
	v_cmp_gt_u32_e32 vcc, 64, v0
	v_mfma_f32_16x16x16_f16 v[30:33], v[32:33], v[72:73], v[80:83]
	s_waitcnt lgkmcnt(0)
	v_mfma_f32_16x16x16_f16 v[30:33], v[26:27], v[66:67], v[30:33]
	v_mfma_f32_16x16x16_f16 v[26:29], v[28:29], v[68:69], v[30:33]
	s_nop 5
	ds_read_b128 v[30:33], v87 offset:2048
	ds_read_b128 v[80:83], v87 offset:2064
	s_waitcnt lgkmcnt(1)
	v_mfma_f32_16x16x16_f16 v[26:29], v[22:23], v[30:31], v[26:29]
	v_mfma_f32_16x16x16_f16 v[22:25], v[24:25], v[32:33], v[26:29]
	s_waitcnt lgkmcnt(0)
	v_mfma_f32_16x16x16_f16 v[22:25], v[18:19], v[80:81], v[22:25]
	v_mfma_f32_16x16x16_f16 v[18:21], v[20:21], v[82:83], v[22:25]
	s_nop 5
	ds_read_b128 v[22:25], v87 offset:4096
	ds_read_b128 v[26:29], v87 offset:4112
	s_waitcnt lgkmcnt(1)
	v_mfma_f32_16x16x16_f16 v[18:21], v[14:15], v[22:23], v[18:21]
	v_mfma_f32_16x16x16_f16 v[14:17], v[16:17], v[24:25], v[18:21]
	s_waitcnt lgkmcnt(0)
	v_mfma_f32_16x16x16_f16 v[14:17], v[10:11], v[26:27], v[14:17]
	v_mfma_f32_16x16x16_f16 v[10:13], v[12:13], v[28:29], v[14:17]
	s_nop 5
	ds_read_b128 v[14:17], v87 offset:6144
	ds_read_b128 v[18:21], v87 offset:6160
	s_waitcnt lgkmcnt(0)
	s_barrier
	v_mfma_f32_16x16x16_f16 v[10:13], v[6:7], v[14:15], v[10:13]
	v_mfma_f32_16x16x16_f16 v[6:9], v[8:9], v[16:17], v[10:13]
	;; [unrolled: 1-line block ×6, first 2 shown]
	s_nop 4
	v_cvt_f16_f32_e32 v1, v2
	v_cvt_f16_f32_e32 v10, v3
	v_cvt_f16_f32_e32 v11, v4
	v_mfma_f32_16x16x16_f16 v[6:9], v[38:39], v[66:67], v[6:9]
	v_cvt_f16_f32_e32 v12, v5
	v_mfma_f32_16x16x16_f16 v[6:9], v[40:41], v[68:69], v[6:9]
	v_mfma_f32_16x16x16_f16 v[6:9], v[42:43], v[30:31], v[6:9]
	;; [unrolled: 1-line block ×13, first 2 shown]
	s_nop 6
	v_cvt_f16_f32_e32 v6, v2
	v_cvt_f16_f32_e32 v7, v3
	;; [unrolled: 1-line block ×4, first 2 shown]
	v_pack_b32_f16 v2, v1, v10
	v_pack_b32_f16 v3, v11, v12
	;; [unrolled: 1-line block ×4, first 2 shown]
	ds_write2st64_b64 v78, v[2:3], v[4:5] offset1:1
	s_waitcnt lgkmcnt(0)
	s_barrier
	s_and_saveexec_b64 s[4:5], vcc
	s_cbranch_execz .LBB263_17
; %bb.16:
	v_and_b32_e32 v3, 15, v0
	v_lshlrev_b32_e32 v3, 6, v3
	v_lshlrev_b32_e32 v2, 4, v0
	v_lshl_or_b32 v0, v0, 10, v3
	v_lshlrev_b32_e32 v1, 5, v84
	v_and_b32_e32 v2, 16, v2
	v_and_b32_e32 v0, 0x1a00, v0
	v_or3_b32 v12, v0, v1, v2
	ds_read_b128 v[0:3], v12
	ds_read_b128 v[4:7], v12 offset:128
	ds_read_b128 v[8:11], v12 offset:256
	;; [unrolled: 1-line block ×3, first 2 shown]
	scratch_load_dwordx2 v[16:17], off, off ; 8-byte Folded Reload
	s_load_dwordx2 s[0:1], s[0:1], 0x68
	s_lshl_b32 s6, s6, 7
	s_mul_i32 s2, s7, s2
	s_mul_hi_u32 s5, s2, s6
	s_mul_i32 s4, s2, s6
	s_lshl_b64 s[4:5], s[4:5], 1
	s_waitcnt lgkmcnt(0)
	s_add_u32 s4, s0, s4
	s_addc_u32 s5, s1, s5
	s_lshl_b32 s2, s26, 7
	s_lshl_b64 s[0:1], s[2:3], 1
	s_add_u32 s0, s4, s0
	s_addc_u32 s1, s5, s1
	s_waitcnt vmcnt(0)
	v_mov_b32_e32 v17, 0
	v_or_b32_e32 v20, s27, v84
	v_lshl_add_u64 v[16:17], s[0:1], 0, v[16:17]
	v_mad_u64_u32 v[18:19], s[0:1], v20, s6, 0
	v_lshl_add_u64 v[18:19], v[18:19], 1, v[16:17]
	global_store_dwordx4 v[18:19], v[0:3], off
	s_nop 1
	v_or_b32_e32 v0, 4, v20
	v_mad_u64_u32 v[0:1], s[0:1], v0, s6, 0
	v_lshl_add_u64 v[0:1], v[0:1], 1, v[16:17]
	global_store_dwordx4 v[0:1], v[4:7], off
	v_or_b32_e32 v0, 8, v20
	v_mad_u64_u32 v[0:1], s[0:1], v0, s6, 0
	v_lshl_add_u64 v[0:1], v[0:1], 1, v[16:17]
	global_store_dwordx4 v[0:1], v[8:11], off
	;; [unrolled: 4-line block ×3, first 2 shown]
.LBB263_17:
	s_endpgm
	.section	.rodata,"a",@progbits
	.p2align	6, 0x0
	.amdhsa_kernel _Z39paged_attention_ll4mi_QKV_mfma16_kernelIDF16_DF16_LN4vllm18Fp8KVCacheDataTypeE0EDF16_Li16ELi128ELi256ELb1ELi16EEvPKT_PKT0_S7_ifPKiS9_S9_iPKfiiiPfSC_PS2_PT2_iSB_SB_
		.amdhsa_group_segment_fixed_size 8192
		.amdhsa_private_segment_fixed_size 16
		.amdhsa_kernarg_size 400
		.amdhsa_user_sgpr_count 2
		.amdhsa_user_sgpr_dispatch_ptr 0
		.amdhsa_user_sgpr_queue_ptr 0
		.amdhsa_user_sgpr_kernarg_segment_ptr 1
		.amdhsa_user_sgpr_dispatch_id 0
		.amdhsa_user_sgpr_kernarg_preload_length 0
		.amdhsa_user_sgpr_kernarg_preload_offset 0
		.amdhsa_user_sgpr_private_segment_size 0
		.amdhsa_uses_dynamic_stack 0
		.amdhsa_enable_private_segment 1
		.amdhsa_system_sgpr_workgroup_id_x 1
		.amdhsa_system_sgpr_workgroup_id_y 1
		.amdhsa_system_sgpr_workgroup_id_z 1
		.amdhsa_system_sgpr_workgroup_info 0
		.amdhsa_system_vgpr_workitem_id 0
		.amdhsa_next_free_vgpr 96
		.amdhsa_next_free_sgpr 41
		.amdhsa_accum_offset 96
		.amdhsa_reserve_vcc 1
		.amdhsa_float_round_mode_32 0
		.amdhsa_float_round_mode_16_64 0
		.amdhsa_float_denorm_mode_32 3
		.amdhsa_float_denorm_mode_16_64 3
		.amdhsa_dx10_clamp 1
		.amdhsa_ieee_mode 1
		.amdhsa_fp16_overflow 0
		.amdhsa_tg_split 0
		.amdhsa_exception_fp_ieee_invalid_op 0
		.amdhsa_exception_fp_denorm_src 0
		.amdhsa_exception_fp_ieee_div_zero 0
		.amdhsa_exception_fp_ieee_overflow 0
		.amdhsa_exception_fp_ieee_underflow 0
		.amdhsa_exception_fp_ieee_inexact 0
		.amdhsa_exception_int_div_zero 0
	.end_amdhsa_kernel
	.section	.text._Z39paged_attention_ll4mi_QKV_mfma16_kernelIDF16_DF16_LN4vllm18Fp8KVCacheDataTypeE0EDF16_Li16ELi128ELi256ELb1ELi16EEvPKT_PKT0_S7_ifPKiS9_S9_iPKfiiiPfSC_PS2_PT2_iSB_SB_,"axG",@progbits,_Z39paged_attention_ll4mi_QKV_mfma16_kernelIDF16_DF16_LN4vllm18Fp8KVCacheDataTypeE0EDF16_Li16ELi128ELi256ELb1ELi16EEvPKT_PKT0_S7_ifPKiS9_S9_iPKfiiiPfSC_PS2_PT2_iSB_SB_,comdat
.Lfunc_end263:
	.size	_Z39paged_attention_ll4mi_QKV_mfma16_kernelIDF16_DF16_LN4vllm18Fp8KVCacheDataTypeE0EDF16_Li16ELi128ELi256ELb1ELi16EEvPKT_PKT0_S7_ifPKiS9_S9_iPKfiiiPfSC_PS2_PT2_iSB_SB_, .Lfunc_end263-_Z39paged_attention_ll4mi_QKV_mfma16_kernelIDF16_DF16_LN4vllm18Fp8KVCacheDataTypeE0EDF16_Li16ELi128ELi256ELb1ELi16EEvPKT_PKT0_S7_ifPKiS9_S9_iPKfiiiPfSC_PS2_PT2_iSB_SB_
                                        ; -- End function
	.section	.AMDGPU.csdata,"",@progbits
; Kernel info:
; codeLenInByte = 4688
; NumSgprs: 47
; NumVgprs: 96
; NumAgprs: 0
; TotalNumVgprs: 96
; ScratchSize: 16
; MemoryBound: 0
; FloatMode: 240
; IeeeMode: 1
; LDSByteSize: 8192 bytes/workgroup (compile time only)
; SGPRBlocks: 5
; VGPRBlocks: 11
; NumSGPRsForWavesPerEU: 47
; NumVGPRsForWavesPerEU: 96
; AccumOffset: 96
; Occupancy: 5
; WaveLimiterHint : 1
; COMPUTE_PGM_RSRC2:SCRATCH_EN: 1
; COMPUTE_PGM_RSRC2:USER_SGPR: 2
; COMPUTE_PGM_RSRC2:TRAP_HANDLER: 0
; COMPUTE_PGM_RSRC2:TGID_X_EN: 1
; COMPUTE_PGM_RSRC2:TGID_Y_EN: 1
; COMPUTE_PGM_RSRC2:TGID_Z_EN: 1
; COMPUTE_PGM_RSRC2:TIDIG_COMP_CNT: 0
; COMPUTE_PGM_RSRC3_GFX90A:ACCUM_OFFSET: 23
; COMPUTE_PGM_RSRC3_GFX90A:TG_SPLIT: 0
	.section	.text._Z35paged_attention_ll4mi_reduce_kernelIDF16_DF16_Li128ELi128ELi256ELi1EEvPT0_PKfS3_PKT_PKiS8_iS3_,"axG",@progbits,_Z35paged_attention_ll4mi_reduce_kernelIDF16_DF16_Li128ELi128ELi256ELi1EEvPT0_PKfS3_PKT_PKiS8_iS3_,comdat
	.protected	_Z35paged_attention_ll4mi_reduce_kernelIDF16_DF16_Li128ELi128ELi256ELi1EEvPT0_PKfS3_PKT_PKiS8_iS3_ ; -- Begin function _Z35paged_attention_ll4mi_reduce_kernelIDF16_DF16_Li128ELi128ELi256ELi1EEvPT0_PKfS3_PKT_PKiS8_iS3_
	.globl	_Z35paged_attention_ll4mi_reduce_kernelIDF16_DF16_Li128ELi128ELi256ELi1EEvPT0_PKfS3_PKT_PKiS8_iS3_
	.p2align	8
	.type	_Z35paged_attention_ll4mi_reduce_kernelIDF16_DF16_Li128ELi128ELi256ELi1EEvPT0_PKfS3_PKT_PKiS8_iS3_,@function
_Z35paged_attention_ll4mi_reduce_kernelIDF16_DF16_Li128ELi128ELi256ELi1EEvPT0_PKfS3_PKT_PKiS8_iS3_: ; @_Z35paged_attention_ll4mi_reduce_kernelIDF16_DF16_Li128ELi128ELi256ELi1EEvPT0_PKfS3_PKT_PKiS8_iS3_
; %bb.0:
	s_load_dwordx2 s[14:15], s[0:1], 0x28
	s_mov_b32 s12, s3
	s_mov_b64 s[4:5], 0
	s_waitcnt lgkmcnt(0)
	s_cmp_lg_u64 s[14:15], 0
	s_cselect_b64 s[16:17], -1, 0
	s_and_b64 vcc, exec, s[16:17]
	s_cbranch_vccz .LBB264_19
; %bb.1:
	s_add_i32 s6, s12, 1
	s_mov_b32 s7, 0
	s_lshl_b64 s[8:9], s[6:7], 2
	s_add_u32 s8, s14, s8
	s_mov_b32 s13, s7
	s_addc_u32 s9, s15, s9
	s_lshl_b64 s[6:7], s[12:13], 2
	s_add_u32 s6, s14, s6
	s_addc_u32 s7, s15, s7
	s_load_dword s3, s[8:9], 0x0
	s_load_dword s10, s[6:7], 0x0
	s_waitcnt lgkmcnt(0)
	s_sub_i32 s3, s3, s10
	s_cmp_eq_u32 s3, 1
	s_cselect_b64 s[6:7], -1, 0
	s_andn2_b64 vcc, exec, s[4:5]
	s_cbranch_vccnz .LBB264_3
.LBB264_2:
	s_mov_b32 s13, 0
	s_mov_b64 s[6:7], -1
.LBB264_3:
	s_andn2_b64 vcc, exec, s[6:7]
	s_cbranch_vccz .LBB264_5
; %bb.4:
	s_endpgm
.LBB264_5:
	s_load_dwordx4 s[8:11], s[0:1], 0x18
	s_load_dword s20, s[0:1], 0x30
	s_lshl_b64 s[18:19], s[12:13], 2
	v_cmp_lt_u32_e32 vcc, 63, v0
	s_waitcnt lgkmcnt(0)
	s_add_u32 s4, s10, s18
	s_addc_u32 s5, s11, s19
	s_load_dword s24, s[4:5], 0x0
	s_load_dword s3, s[0:1], 0x40
	s_mul_i32 s10, s2, s20
	s_mul_i32 s6, s12, s20
	s_waitcnt lgkmcnt(0)
	s_add_i32 s7, s24, 0xff
	s_ashr_i32 s4, s7, 31
	s_lshr_b32 s4, s4, 24
	s_add_i32 s7, s7, s4
	s_and_saveexec_b64 s[4:5], vcc
	s_xor_b64 s[4:5], exec, s[4:5]
	s_or_saveexec_b64 s[20:21], s[4:5]
	s_ashr_i32 s25, s7, 8
	v_mov_b32_e32 v1, s10
	s_mul_i32 s22, s6, s3
	s_xor_b64 exec, exec, s[20:21]
	s_cbranch_execz .LBB264_9
; %bb.6:
	s_load_dwordx4 s[4:7], s[0:1], 0x8
	s_mov_b32 s23, 0
	s_lshl_b64 s[26:27], s[22:23], 2
	s_mov_b32 s11, s23
	v_cmp_gt_u32_e32 vcc, s25, v0
	s_waitcnt lgkmcnt(0)
	s_add_u32 s23, s6, s26
	s_addc_u32 s29, s7, s27
	s_lshl_b64 s[6:7], s[10:11], 2
	s_add_u32 s28, s23, s6
	s_addc_u32 s29, s29, s7
	s_add_i32 s11, s25, -1
	v_mov_b32_e32 v1, s11
	v_cndmask_b32_e32 v2, v1, v0, vcc
	v_ashrrev_i32_e32 v3, 31, v2
	v_lshlrev_b64 v[2:3], 2, v[2:3]
	v_lshl_add_u64 v[4:5], s[28:29], 0, v[2:3]
	global_load_dword v1, v[4:5], off
	s_add_u32 s4, s4, s26
	s_addc_u32 s5, s5, s27
	s_add_u32 s4, s4, s6
	s_addc_u32 s5, s5, s7
	v_lshl_add_u64 v[2:3], s[4:5], 0, v[2:3]
	global_load_dword v2, v[2:3], off
	v_mbcnt_lo_u32_b32 v3, -1, 0
	v_mbcnt_hi_u32_b32 v3, -1, v3
	v_and_b32_e32 v4, 64, v3
	v_xor_b32_e32 v5, 32, v3
	v_add_u32_e32 v4, 64, v4
	v_cmp_lt_i32_e64 s[4:5], v5, v4
	v_xor_b32_e32 v6, 16, v3
	v_xor_b32_e32 v9, 8, v3
	v_cndmask_b32_e64 v5, v3, v5, s[4:5]
	v_lshlrev_b32_e32 v5, 2, v5
	v_cmp_lt_i32_e64 s[4:5], v6, v4
	v_xor_b32_e32 v10, 4, v3
	v_xor_b32_e32 v11, 2, v3
	v_cndmask_b32_e64 v6, v3, v6, s[4:5]
	v_lshlrev_b32_e32 v6, 2, v6
	v_cmp_lt_i32_e64 s[4:5], v9, v4
	v_xor_b32_e32 v12, 1, v3
	s_mov_b32 s6, 0x42b17218
	v_cndmask_b32_e64 v9, v3, v9, s[4:5]
	v_lshlrev_b32_e32 v9, 2, v9
	v_cmp_lt_i32_e64 s[4:5], v10, v4
	s_waitcnt vmcnt(1)
	ds_bpermute_b32 v7, v5, v1
	v_max_f32_e32 v8, v1, v1
	v_cndmask_b32_e64 v10, v3, v10, s[4:5]
	v_lshlrev_b32_e32 v10, 2, v10
	v_cmp_lt_i32_e64 s[4:5], v11, v4
	s_waitcnt lgkmcnt(0)
	v_max_f32_e32 v7, v7, v7
	v_max_f32_e32 v7, v8, v7
	ds_bpermute_b32 v8, v6, v7
	v_cndmask_b32_e64 v11, v3, v11, s[4:5]
	v_lshlrev_b32_e32 v11, 2, v11
	v_cmp_lt_i32_e64 s[4:5], v12, v4
	s_waitcnt lgkmcnt(0)
	v_max_f32_e32 v8, v8, v8
	v_max_f32_e32 v7, v7, v8
	ds_bpermute_b32 v8, v9, v7
	v_cndmask_b32_e64 v3, v3, v12, s[4:5]
	v_lshlrev_b32_e32 v3, 2, v3
	s_mov_b32 s4, 0x3fb8aa3b
	s_waitcnt lgkmcnt(0)
	v_max_f32_e32 v8, v8, v8
	v_max_f32_e32 v7, v7, v8
	ds_bpermute_b32 v8, v10, v7
	s_waitcnt lgkmcnt(0)
	v_max_f32_e32 v8, v8, v8
	v_max_f32_e32 v7, v7, v8
	ds_bpermute_b32 v8, v11, v7
	;; [unrolled: 4-line block ×3, first 2 shown]
	s_waitcnt lgkmcnt(0)
	v_max_f32_e32 v7, v7, v7
	v_max_f32_e32 v4, v4, v7
	v_sub_f32_e32 v1, v1, v4
	v_mul_f32_e32 v4, 0x3fb8aa3b, v1
	v_fma_f32 v7, v1, s4, -v4
	v_rndne_f32_e32 v8, v4
	v_fmamk_f32 v7, v1, 0x32a5705f, v7
	v_sub_f32_e32 v4, v4, v8
	v_add_f32_e32 v4, v4, v7
	v_cvt_i32_f32_e32 v8, v8
	v_exp_f32_e32 v4, v4
	s_mov_b32 s4, 0xc2ce8ed0
	v_cmp_ngt_f32_e64 s[4:5], s4, v1
	v_mov_b32_e32 v7, 0x7f800000
	v_ldexp_f32 v4, v4, v8
	v_cndmask_b32_e64 v4, 0, v4, s[4:5]
	v_cmp_nlt_f32_e64 s[4:5], s6, v1
	s_nop 1
	v_cndmask_b32_e64 v1, v7, v4, s[4:5]
	v_cndmask_b32_e32 v1, 0, v1, vcc
	s_waitcnt vmcnt(0)
	v_mul_f32_e32 v4, v1, v2
	ds_bpermute_b32 v1, v5, v4
	v_cmp_eq_u32_e32 vcc, 0, v0
	s_waitcnt lgkmcnt(0)
	v_add_f32_e32 v1, v4, v1
	ds_bpermute_b32 v2, v6, v1
	s_waitcnt lgkmcnt(0)
	v_add_f32_e32 v1, v1, v2
	ds_bpermute_b32 v2, v9, v1
	;; [unrolled: 3-line block ×5, first 2 shown]
	v_lshlrev_b32_e32 v3, 2, v0
	ds_write_b32 v3, v4
	s_and_saveexec_b64 s[4:5], vcc
	s_cbranch_execz .LBB264_8
; %bb.7:
	s_waitcnt lgkmcnt(1)
	v_add_f32_e32 v1, v1, v2
	v_mov_b32_e32 v2, 0
	ds_write_b32 v2, v1 offset:256
.LBB264_8:
	s_or_b64 exec, exec, s[4:5]
	v_mov_b32_e32 v1, s10
.LBB264_9:
	s_or_b64 exec, exec, s[20:21]
	s_lshl_b32 s4, s22, 7
	s_mov_b32 s5, 0
	s_lshl_b64 s[4:5], s[4:5], 1
	s_add_u32 s4, s8, s4
	s_addc_u32 s5, s9, s5
	s_lshl_b32 s6, s25, 7
	s_addk_i32 s6, 0xff80
	s_waitcnt lgkmcnt(1)
	v_lshlrev_b32_e32 v2, 7, v1
	v_mov_b32_e32 v3, 0
	s_cmp_lt_i32 s24, 1
	v_lshl_add_u64 v[4:5], v[2:3], 1, s[4:5]
	s_cselect_b32 s4, s6, 0
	v_lshlrev_b32_e32 v2, 1, v0
	s_ashr_i32 s5, s4, 31
	v_lshl_add_u64 v[0:1], v[4:5], 0, v[2:3]
	s_cmpk_lt_i32 s24, 0x101
	v_lshl_add_u64 v[12:13], s[4:5], 1, v[0:1]
	s_cselect_b32 s4, s6, 0x80
	s_ashr_i32 s5, s4, 31
	s_cmpk_lt_i32 s24, 0x201
	v_lshl_add_u64 v[14:15], s[4:5], 1, v[0:1]
	s_cselect_b32 s4, s6, 0x100
	s_ashr_i32 s5, s4, 31
	s_cmpk_lt_i32 s24, 0x301
	v_lshl_add_u64 v[16:17], s[4:5], 1, v[0:1]
	s_cselect_b32 s4, s6, 0x180
	s_ashr_i32 s5, s4, 31
	s_cmpk_lt_i32 s24, 0x401
	v_lshl_add_u64 v[18:19], s[4:5], 1, v[0:1]
	s_cselect_b32 s4, s6, 0x200
	s_ashr_i32 s5, s4, 31
	s_cmpk_lt_i32 s24, 0x501
	v_lshl_add_u64 v[20:21], s[4:5], 1, v[0:1]
	s_cselect_b32 s4, s6, 0x280
	s_ashr_i32 s5, s4, 31
	s_cmpk_lt_i32 s24, 0x601
	v_lshl_add_u64 v[22:23], s[4:5], 1, v[0:1]
	s_cselect_b32 s4, s6, 0x300
	s_ashr_i32 s5, s4, 31
	s_cmpk_lt_i32 s24, 0x701
	v_lshl_add_u64 v[24:25], s[4:5], 1, v[0:1]
	s_cselect_b32 s4, s6, 0x380
	s_ashr_i32 s5, s4, 31
	s_cmpk_lt_i32 s24, 0x801
	v_lshl_add_u64 v[26:27], s[4:5], 1, v[0:1]
	s_cselect_b32 s4, s6, 0x400
	s_ashr_i32 s5, s4, 31
	s_cmpk_lt_i32 s24, 0x901
	global_load_ushort v4, v[12:13], off
	global_load_ushort v5, v[14:15], off
	;; [unrolled: 1-line block ×8, first 2 shown]
	v_lshl_add_u64 v[20:21], s[4:5], 1, v[0:1]
	s_cselect_b32 s4, s6, 0x480
	s_ashr_i32 s5, s4, 31
	s_cmpk_lt_i32 s24, 0xa01
	v_lshl_add_u64 v[22:23], s[4:5], 1, v[0:1]
	s_cselect_b32 s4, s6, 0x500
	s_ashr_i32 s5, s4, 31
	s_cmpk_lt_i32 s24, 0xb01
	;; [unrolled: 4-line block ×6, first 2 shown]
	v_lshl_add_u64 v[32:33], s[4:5], 1, v[0:1]
	s_cselect_b32 s4, s6, 0x780
	s_ashr_i32 s5, s4, 31
	v_lshl_add_u64 v[34:35], s[4:5], 1, v[0:1]
	global_load_ushort v13, v[20:21], off
	global_load_ushort v14, v[22:23], off
	;; [unrolled: 1-line block ×8, first 2 shown]
	s_cmpk_gt_i32 s24, 0x1000
	s_cselect_b64 s[4:5], -1, 0
	s_cmpk_lt_i32 s24, 0x1001
	v_mov_b32_e32 v36, 0
	v_mov_b32_e32 v37, 0
	;; [unrolled: 1-line block ×48, first 2 shown]
	s_waitcnt lgkmcnt(0)
	s_barrier
	s_cbranch_scc1 .LBB264_12
; %bb.10:
	s_cmpk_lt_u32 s24, 0x1101
	s_cselect_b32 s8, s6, 0x880
	s_ashr_i32 s9, s8, 31
	s_cmpk_lt_u32 s24, 0x1201
	v_lshl_add_u64 v[30:31], s[8:9], 1, v[0:1]
	s_cselect_b32 s8, s6, 0x900
	s_ashr_i32 s9, s8, 31
	s_cmpk_lt_u32 s24, 0x1301
	v_lshl_add_u64 v[32:33], s[8:9], 1, v[0:1]
	;; [unrolled: 4-line block ×7, first 2 shown]
	s_cselect_b32 s8, s6, 0xc00
	v_add_co_u32_e32 v28, vcc, 0x1000, v0
	s_ashr_i32 s9, s8, 31
	s_nop 0
	v_addc_co_u32_e32 v29, vcc, 0, v1, vcc
	s_cmpk_lt_u32 s24, 0x1901
	global_load_ushort v27, v[28:29], off
	global_load_ushort v26, v[30:31], off
	;; [unrolled: 1-line block ×8, first 2 shown]
	v_lshl_add_u64 v[36:37], s[8:9], 1, v[0:1]
	s_cselect_b32 s8, s6, 0xc80
	s_ashr_i32 s9, s8, 31
	s_cmpk_lt_u32 s24, 0x1a01
	v_lshl_add_u64 v[38:39], s[8:9], 1, v[0:1]
	s_cselect_b32 s8, s6, 0xd00
	s_ashr_i32 s9, s8, 31
	s_cmpk_lt_u32 s24, 0x1b01
	;; [unrolled: 4-line block ×6, first 2 shown]
	v_lshl_add_u64 v[48:49], s[8:9], 1, v[0:1]
	s_cselect_b32 s8, s6, 0xf80
	s_ashr_i32 s9, s8, 31
	v_lshl_add_u64 v[50:51], s[8:9], 1, v[0:1]
	global_load_ushort v35, v[36:37], off
	global_load_ushort v34, v[38:39], off
	;; [unrolled: 1-line block ×8, first 2 shown]
	s_cmpk_lt_u32 s24, 0x2001
	v_mov_b32_e32 v67, 0
	v_mov_b32_e32 v66, 0
	;; [unrolled: 1-line block ×32, first 2 shown]
	s_cbranch_scc1 .LBB264_12
; %bb.11:
	s_cmpk_lt_u32 s24, 0x2101
	s_cselect_b32 s8, s6, 0x1080
	s_ashr_i32 s9, s8, 31
	s_cmpk_lt_u32 s24, 0x2201
	v_lshl_add_u64 v[38:39], s[8:9], 1, v[0:1]
	s_cselect_b32 s8, s6, 0x1100
	s_ashr_i32 s9, s8, 31
	s_cmpk_lt_u32 s24, 0x2301
	v_lshl_add_u64 v[40:41], s[8:9], 1, v[0:1]
	;; [unrolled: 4-line block ×7, first 2 shown]
	s_cselect_b32 s8, s6, 0x1400
	v_add_co_u32_e32 v36, vcc, 0x2000, v0
	s_ashr_i32 s9, s8, 31
	s_nop 0
	v_addc_co_u32_e32 v37, vcc, 0, v1, vcc
	s_cmpk_lt_u32 s24, 0x2901
	global_load_ushort v52, v[36:37], off
	global_load_ushort v53, v[38:39], off
	;; [unrolled: 1-line block ×8, first 2 shown]
	v_lshl_add_u64 v[36:37], s[8:9], 1, v[0:1]
	s_cselect_b32 s8, s6, 0x1480
	s_ashr_i32 s9, s8, 31
	s_cmpk_lt_u32 s24, 0x2a01
	v_lshl_add_u64 v[38:39], s[8:9], 1, v[0:1]
	s_cselect_b32 s8, s6, 0x1500
	s_ashr_i32 s9, s8, 31
	s_cmpk_lt_u32 s24, 0x2b01
	;; [unrolled: 4-line block ×8, first 2 shown]
	global_load_ushort v68, v[36:37], off
	global_load_ushort v69, v[38:39], off
	;; [unrolled: 1-line block ×8, first 2 shown]
	v_lshl_add_u64 v[36:37], s[8:9], 1, v[0:1]
	s_cselect_b32 s8, s6, 0x1880
	s_ashr_i32 s9, s8, 31
	s_cmpk_lt_u32 s24, 0x3201
	v_lshl_add_u64 v[38:39], s[8:9], 1, v[0:1]
	s_cselect_b32 s8, s6, 0x1900
	s_ashr_i32 s9, s8, 31
	s_cmpk_lt_u32 s24, 0x3301
	;; [unrolled: 4-line block ×8, first 2 shown]
	global_load_ushort v76, v[36:37], off
	global_load_ushort v77, v[38:39], off
	;; [unrolled: 1-line block ×8, first 2 shown]
	v_lshl_add_u64 v[36:37], s[8:9], 1, v[0:1]
	s_cselect_b32 s8, s6, 0x1c80
	s_ashr_i32 s9, s8, 31
	s_cmpk_lt_u32 s24, 0x3a01
	v_lshl_add_u64 v[38:39], s[8:9], 1, v[0:1]
	s_cselect_b32 s8, s6, 0x1d00
	s_ashr_i32 s9, s8, 31
	s_cmpk_lt_u32 s24, 0x3b01
	;; [unrolled: 4-line block ×6, first 2 shown]
	s_cselect_b32 s6, s6, 0x1f80
	s_ashr_i32 s7, s6, 31
	v_lshl_add_u64 v[48:49], s[8:9], 1, v[0:1]
	v_lshl_add_u64 v[0:1], s[6:7], 1, v[0:1]
	global_load_ushort v84, v[36:37], off
	global_load_ushort v85, v[38:39], off
	;; [unrolled: 1-line block ×8, first 2 shown]
	s_waitcnt vmcnt(31)
	v_cvt_f32_f16_e32 v67, v52
	s_waitcnt vmcnt(30)
	v_cvt_f32_f16_e32 v66, v53
	;; [unrolled: 2-line block ×32, first 2 shown]
.LBB264_12:
	ds_read_b128 v[68:71], v3
	ds_read_b128 v[72:75], v3 offset:16
	ds_read_b128 v[76:79], v3 offset:32
	;; [unrolled: 1-line block ×3, first 2 shown]
	s_load_dwordx2 s[6:7], s[0:1], 0x38
	s_andn2_b64 vcc, exec, s[4:5]
	s_waitcnt vmcnt(15) lgkmcnt(0)
	v_fma_mix_f32 v0, v68, v4, 0 op_sel_hi:[0,1,0]
	s_waitcnt vmcnt(14)
	v_fma_mix_f32 v0, v69, v5, v0 op_sel_hi:[0,1,0]
	s_waitcnt vmcnt(13)
	;; [unrolled: 2-line block ×15, first 2 shown]
	v_fma_mix_f32 v0, v83, v12, v0 op_sel_hi:[0,1,0]
	s_cbranch_vccnz .LBB264_15
; %bb.13:
	ds_read_b128 v[4:7], v3 offset:64
	ds_read_b128 v[8:11], v3 offset:80
	;; [unrolled: 1-line block ×4, first 2 shown]
	s_cmpk_lt_u32 s24, 0x2001
	s_waitcnt lgkmcnt(3)
	v_fma_mix_f32 v0, v4, v27, v0 op_sel_hi:[0,1,0]
	v_fma_mix_f32 v0, v5, v26, v0 op_sel_hi:[0,1,0]
	v_fma_mix_f32 v0, v6, v25, v0 op_sel_hi:[0,1,0]
	v_fma_mix_f32 v0, v7, v24, v0 op_sel_hi:[0,1,0]
	s_waitcnt lgkmcnt(2)
	v_fma_mix_f32 v0, v8, v23, v0 op_sel_hi:[0,1,0]
	v_fma_mix_f32 v0, v9, v22, v0 op_sel_hi:[0,1,0]
	v_fma_mix_f32 v0, v10, v21, v0 op_sel_hi:[0,1,0]
	v_fma_mix_f32 v0, v11, v20, v0 op_sel_hi:[0,1,0]
	;; [unrolled: 5-line block ×4, first 2 shown]
	s_cbranch_scc1 .LBB264_15
; %bb.14:
	v_mov_b32_e32 v1, 0
	ds_read_b128 v[4:7], v1 offset:128
	ds_read_b128 v[8:11], v1 offset:144
	;; [unrolled: 1-line block ×4, first 2 shown]
	s_waitcnt lgkmcnt(3)
	v_fmac_f32_e32 v0, v4, v67
	v_fmac_f32_e32 v0, v5, v66
	v_fmac_f32_e32 v0, v6, v65
	v_fmac_f32_e32 v0, v7, v64
	s_waitcnt lgkmcnt(2)
	v_fmac_f32_e32 v0, v8, v63
	v_fmac_f32_e32 v0, v9, v62
	v_fmac_f32_e32 v0, v10, v61
	v_fmac_f32_e32 v0, v11, v60
	;; [unrolled: 5-line block ×3, first 2 shown]
	ds_read_b128 v[4:7], v1 offset:192
	ds_read_b128 v[8:11], v1 offset:208
	s_waitcnt lgkmcnt(2)
	v_fmac_f32_e32 v0, v16, v55
	v_fmac_f32_e32 v0, v17, v54
	;; [unrolled: 1-line block ×4, first 2 shown]
	s_waitcnt lgkmcnt(1)
	v_fmac_f32_e32 v0, v4, v51
	v_fmac_f32_e32 v0, v5, v50
	;; [unrolled: 1-line block ×4, first 2 shown]
	ds_read_b128 v[4:7], v1 offset:224
	s_waitcnt lgkmcnt(1)
	v_fmac_f32_e32 v0, v8, v47
	v_fmac_f32_e32 v0, v9, v46
	;; [unrolled: 1-line block ×4, first 2 shown]
	ds_read_b128 v[8:11], v1 offset:240
	s_waitcnt lgkmcnt(1)
	v_fmac_f32_e32 v0, v4, v43
	v_fmac_f32_e32 v0, v5, v42
	;; [unrolled: 1-line block ×4, first 2 shown]
	s_waitcnt lgkmcnt(0)
	v_fmac_f32_e32 v0, v8, v39
	v_fmac_f32_e32 v0, v9, v38
	;; [unrolled: 1-line block ×4, first 2 shown]
.LBB264_15:
	s_load_dwordx2 s[0:1], s[0:1], 0x0
	ds_read_b32 v3, v3 offset:256
	s_cmp_eq_u64 s[6:7], 0
	s_cbranch_scc1 .LBB264_20
; %bb.16:
	s_load_dword s6, s[6:7], 0x0
	s_waitcnt lgkmcnt(0)
	v_div_scale_f32 v1, s[4:5], s6, s6, 1.0
	v_rcp_f32_e32 v4, v1
	v_div_scale_f32 v5, vcc, 1.0, s6, 1.0
	v_fma_f32 v6, -v1, v4, 1.0
	v_fmac_f32_e32 v4, v6, v4
	v_mul_f32_e32 v6, v5, v4
	v_fma_f32 v7, -v1, v6, v5
	v_fmac_f32_e32 v6, v7, v4
	v_fma_f32 v1, -v1, v6, v5
	v_div_fmas_f32 v1, v1, v4, v6
	v_div_fixup_f32 v1, v1, s6, 1.0
	s_andn2_b64 vcc, exec, s[16:17]
	s_cbranch_vccnz .LBB264_18
.LBB264_17:
	s_add_u32 s4, s14, s18
	s_addc_u32 s5, s15, s19
	s_load_dword s12, s[4:5], 0x0
	s_mov_b32 s13, 0
.LBB264_18:
	s_waitcnt lgkmcnt(0)
	v_add_f32_e32 v3, 0x358637bd, v3
	v_div_scale_f32 v4, s[4:5], v3, v3, 1.0
	v_rcp_f32_e32 v5, v4
	v_div_scale_f32 v6, vcc, 1.0, v3, 1.0
	s_mul_i32 s4, s3, s13
	v_fma_f32 v7, -v4, v5, 1.0
	v_fmac_f32_e32 v5, v7, v5
	v_mul_f32_e32 v7, v6, v5
	v_fma_f32 v8, -v4, v7, v6
	s_mul_hi_u32 s5, s3, s12
	v_fmac_f32_e32 v7, v8, v5
	s_add_i32 s5, s5, s4
	s_mul_i32 s4, s3, s12
	v_fma_f32 v4, -v4, v7, v6
	s_lshl_b64 s[4:5], s[4:5], 8
	v_div_fmas_f32 v4, v4, v5, v7
	s_add_u32 s4, s0, s4
	s_mov_b32 s3, 0
	v_div_fixup_f32 v3, v4, v3, 1.0
	s_addc_u32 s5, s1, s5
	s_lshl_b64 s[0:1], s[2:3], 8
	v_mul_f32_e32 v0, v0, v3
	s_add_u32 s0, s4, s0
	s_addc_u32 s1, s5, s1
	v_fma_mixlo_f16 v0, v0, v1, 0
	global_store_short v2, v0, s[0:1]
	s_endpgm
.LBB264_19:
	s_mov_b64 s[6:7], 0
	s_branch .LBB264_2
.LBB264_20:
	v_mov_b32_e32 v1, 1.0
	s_andn2_b64 vcc, exec, s[16:17]
	s_cbranch_vccz .LBB264_17
	s_branch .LBB264_18
	.section	.rodata,"a",@progbits
	.p2align	6, 0x0
	.amdhsa_kernel _Z35paged_attention_ll4mi_reduce_kernelIDF16_DF16_Li128ELi128ELi256ELi1EEvPT0_PKfS3_PKT_PKiS8_iS3_
		.amdhsa_group_segment_fixed_size 260
		.amdhsa_private_segment_fixed_size 0
		.amdhsa_kernarg_size 320
		.amdhsa_user_sgpr_count 2
		.amdhsa_user_sgpr_dispatch_ptr 0
		.amdhsa_user_sgpr_queue_ptr 0
		.amdhsa_user_sgpr_kernarg_segment_ptr 1
		.amdhsa_user_sgpr_dispatch_id 0
		.amdhsa_user_sgpr_kernarg_preload_length 0
		.amdhsa_user_sgpr_kernarg_preload_offset 0
		.amdhsa_user_sgpr_private_segment_size 0
		.amdhsa_uses_dynamic_stack 0
		.amdhsa_enable_private_segment 0
		.amdhsa_system_sgpr_workgroup_id_x 1
		.amdhsa_system_sgpr_workgroup_id_y 1
		.amdhsa_system_sgpr_workgroup_id_z 0
		.amdhsa_system_sgpr_workgroup_info 0
		.amdhsa_system_vgpr_workitem_id 0
		.amdhsa_next_free_vgpr 92
		.amdhsa_next_free_sgpr 30
		.amdhsa_accum_offset 92
		.amdhsa_reserve_vcc 1
		.amdhsa_float_round_mode_32 0
		.amdhsa_float_round_mode_16_64 0
		.amdhsa_float_denorm_mode_32 3
		.amdhsa_float_denorm_mode_16_64 3
		.amdhsa_dx10_clamp 1
		.amdhsa_ieee_mode 1
		.amdhsa_fp16_overflow 0
		.amdhsa_tg_split 0
		.amdhsa_exception_fp_ieee_invalid_op 0
		.amdhsa_exception_fp_denorm_src 0
		.amdhsa_exception_fp_ieee_div_zero 0
		.amdhsa_exception_fp_ieee_overflow 0
		.amdhsa_exception_fp_ieee_underflow 0
		.amdhsa_exception_fp_ieee_inexact 0
		.amdhsa_exception_int_div_zero 0
	.end_amdhsa_kernel
	.section	.text._Z35paged_attention_ll4mi_reduce_kernelIDF16_DF16_Li128ELi128ELi256ELi1EEvPT0_PKfS3_PKT_PKiS8_iS3_,"axG",@progbits,_Z35paged_attention_ll4mi_reduce_kernelIDF16_DF16_Li128ELi128ELi256ELi1EEvPT0_PKfS3_PKT_PKiS8_iS3_,comdat
.Lfunc_end264:
	.size	_Z35paged_attention_ll4mi_reduce_kernelIDF16_DF16_Li128ELi128ELi256ELi1EEvPT0_PKfS3_PKT_PKiS8_iS3_, .Lfunc_end264-_Z35paged_attention_ll4mi_reduce_kernelIDF16_DF16_Li128ELi128ELi256ELi1EEvPT0_PKfS3_PKT_PKiS8_iS3_
                                        ; -- End function
	.section	.AMDGPU.csdata,"",@progbits
; Kernel info:
; codeLenInByte = 4604
; NumSgprs: 36
; NumVgprs: 92
; NumAgprs: 0
; TotalNumVgprs: 92
; ScratchSize: 0
; MemoryBound: 0
; FloatMode: 240
; IeeeMode: 1
; LDSByteSize: 260 bytes/workgroup (compile time only)
; SGPRBlocks: 4
; VGPRBlocks: 11
; NumSGPRsForWavesPerEU: 36
; NumVGPRsForWavesPerEU: 92
; AccumOffset: 92
; Occupancy: 5
; WaveLimiterHint : 1
; COMPUTE_PGM_RSRC2:SCRATCH_EN: 0
; COMPUTE_PGM_RSRC2:USER_SGPR: 2
; COMPUTE_PGM_RSRC2:TRAP_HANDLER: 0
; COMPUTE_PGM_RSRC2:TGID_X_EN: 1
; COMPUTE_PGM_RSRC2:TGID_Y_EN: 1
; COMPUTE_PGM_RSRC2:TGID_Z_EN: 0
; COMPUTE_PGM_RSRC2:TIDIG_COMP_CNT: 0
; COMPUTE_PGM_RSRC3_GFX90A:ACCUM_OFFSET: 22
; COMPUTE_PGM_RSRC3_GFX90A:TG_SPLIT: 0
	.section	.text._Z35paged_attention_ll4mi_reduce_kernelIDF16_DF16_Li128ELi128ELi256ELi2EEvPT0_PKfS3_PKT_PKiS8_iS3_,"axG",@progbits,_Z35paged_attention_ll4mi_reduce_kernelIDF16_DF16_Li128ELi128ELi256ELi2EEvPT0_PKfS3_PKT_PKiS8_iS3_,comdat
	.protected	_Z35paged_attention_ll4mi_reduce_kernelIDF16_DF16_Li128ELi128ELi256ELi2EEvPT0_PKfS3_PKT_PKiS8_iS3_ ; -- Begin function _Z35paged_attention_ll4mi_reduce_kernelIDF16_DF16_Li128ELi128ELi256ELi2EEvPT0_PKfS3_PKT_PKiS8_iS3_
	.globl	_Z35paged_attention_ll4mi_reduce_kernelIDF16_DF16_Li128ELi128ELi256ELi2EEvPT0_PKfS3_PKT_PKiS8_iS3_
	.p2align	8
	.type	_Z35paged_attention_ll4mi_reduce_kernelIDF16_DF16_Li128ELi128ELi256ELi2EEvPT0_PKfS3_PKT_PKiS8_iS3_,@function
_Z35paged_attention_ll4mi_reduce_kernelIDF16_DF16_Li128ELi128ELi256ELi2EEvPT0_PKfS3_PKT_PKiS8_iS3_: ; @_Z35paged_attention_ll4mi_reduce_kernelIDF16_DF16_Li128ELi128ELi256ELi2EEvPT0_PKfS3_PKT_PKiS8_iS3_
; %bb.0:
	s_load_dwordx2 s[18:19], s[0:1], 0x28
	s_mov_b32 s16, s3
	s_mov_b64 s[4:5], 0
	s_waitcnt lgkmcnt(0)
	s_cmp_lg_u64 s[18:19], 0
	s_cselect_b64 s[20:21], -1, 0
	s_and_b64 vcc, exec, s[20:21]
	s_cbranch_vccz .LBB265_21
; %bb.1:
	s_add_i32 s6, s16, 1
	s_mov_b32 s7, 0
	s_lshl_b64 s[8:9], s[6:7], 2
	s_add_u32 s8, s18, s8
	s_mov_b32 s17, s7
	s_addc_u32 s9, s19, s9
	s_lshl_b64 s[6:7], s[16:17], 2
	s_add_u32 s6, s18, s6
	s_addc_u32 s7, s19, s7
	s_load_dword s3, s[8:9], 0x0
	s_load_dword s10, s[6:7], 0x0
	s_waitcnt lgkmcnt(0)
	s_sub_i32 s3, s3, s10
	s_cmp_eq_u32 s3, 1
	s_cselect_b64 s[6:7], -1, 0
	s_andn2_b64 vcc, exec, s[4:5]
	s_cbranch_vccnz .LBB265_3
.LBB265_2:
	s_mov_b32 s17, 0
	s_mov_b64 s[6:7], -1
.LBB265_3:
	s_andn2_b64 vcc, exec, s[6:7]
	s_cbranch_vccz .LBB265_5
; %bb.4:
	s_endpgm
.LBB265_5:
	s_load_dwordx4 s[8:11], s[0:1], 0x18
	s_load_dword s12, s[0:1], 0x30
	s_lshl_b64 s[22:23], s[16:17], 2
	v_cmp_lt_u32_e32 vcc, 63, v0
	s_waitcnt lgkmcnt(0)
	s_add_u32 s4, s10, s22
	s_addc_u32 s5, s11, s23
	s_load_dword s28, s[4:5], 0x0
	s_load_dword s3, s[0:1], 0x40
	s_mul_i32 s10, s2, s12
	s_mul_i32 s6, s16, s12
	s_waitcnt lgkmcnt(0)
	s_add_i32 s7, s28, 0xff
	s_ashr_i32 s4, s7, 31
	s_lshr_b32 s4, s4, 24
	s_add_i32 s7, s7, s4
	s_and_saveexec_b64 s[4:5], vcc
	s_xor_b64 s[4:5], exec, s[4:5]
	s_or_saveexec_b64 s[24:25], s[4:5]
	s_ashr_i32 s29, s7, 8
	v_mov_b32_e32 v1, s10
	s_mul_i32 s26, s6, s3
	s_xor_b64 exec, exec, s[24:25]
	s_cbranch_execz .LBB265_9
; %bb.6:
	s_load_dwordx4 s[12:15], s[0:1], 0x8
	s_mov_b32 s27, 0
	s_add_i32 s4, s29, -1
	v_or_b32_e32 v3, 64, v0
	s_lshl_b64 s[30:31], s[26:27], 2
	s_mov_b32 s11, s27
	v_mov_b32_e32 v1, s4
	v_cmp_gt_u32_e64 s[4:5], s29, v3
	s_waitcnt lgkmcnt(0)
	s_add_u32 s6, s14, s30
	v_cmp_gt_u32_e32 vcc, s29, v0
	v_cndmask_b32_e64 v4, v1, v3, s[4:5]
	s_addc_u32 s7, s15, s31
	s_lshl_b64 s[14:15], s[10:11], 2
	v_cndmask_b32_e32 v2, v1, v0, vcc
	s_add_u32 s6, s6, s14
	v_ashrrev_i32_e32 v5, 31, v4
	s_addc_u32 s7, s7, s15
	v_ashrrev_i32_e32 v3, 31, v2
	v_lshlrev_b64 v[4:5], 2, v[4:5]
	v_lshlrev_b64 v[2:3], 2, v[2:3]
	v_lshl_add_u64 v[8:9], s[6:7], 0, v[4:5]
	v_lshl_add_u64 v[6:7], s[6:7], 0, v[2:3]
	global_load_dword v1, v[8:9], off
	global_load_dword v10, v[6:7], off
	v_mbcnt_lo_u32_b32 v6, -1, 0
	v_mbcnt_hi_u32_b32 v6, -1, v6
	v_and_b32_e32 v7, 64, v6
	v_xor_b32_e32 v8, 32, v6
	v_add_u32_e32 v7, 64, v7
	v_cmp_lt_i32_e64 s[6:7], v8, v7
	v_xor_b32_e32 v12, 4, v6
	v_xor_b32_e32 v13, 2, v6
	v_cndmask_b32_e64 v8, v6, v8, s[6:7]
	s_add_u32 s6, s12, s30
	s_addc_u32 s7, s13, s31
	s_add_u32 s6, s6, s14
	s_addc_u32 s7, s7, s15
	v_lshl_add_u64 v[2:3], s[6:7], 0, v[2:3]
	v_lshl_add_u64 v[4:5], s[6:7], 0, v[4:5]
	global_load_dword v9, v[2:3], off
	global_load_dword v11, v[4:5], off
	v_lshlrev_b32_e32 v2, 2, v8
	v_xor_b32_e32 v5, 16, v6
	v_cmp_lt_i32_e64 s[6:7], v5, v7
	v_xor_b32_e32 v8, 8, v6
	v_xor_b32_e32 v14, 1, v6
	v_cndmask_b32_e64 v5, v6, v5, s[6:7]
	v_lshlrev_b32_e32 v5, 2, v5
	v_cmp_lt_i32_e64 s[6:7], v8, v7
	s_mov_b32 s11, 0xc2ce8ed0
	s_mov_b32 s12, 0x42b17218
	v_cndmask_b32_e64 v8, v6, v8, s[6:7]
	v_lshlrev_b32_e32 v8, 2, v8
	v_cmp_lt_i32_e64 s[6:7], v12, v7
	s_waitcnt vmcnt(3)
	v_max_f32_e32 v3, v1, v1
	s_waitcnt vmcnt(2)
	v_max_f32_e32 v4, v10, v10
	v_max_f32_e32 v3, v4, v3
	ds_bpermute_b32 v4, v2, v3
	v_cndmask_b32_e64 v12, v6, v12, s[6:7]
	v_lshlrev_b32_e32 v12, 2, v12
	v_cmp_lt_i32_e64 s[6:7], v13, v7
	s_waitcnt lgkmcnt(0)
	v_max_f32_e32 v4, v4, v4
	v_max_f32_e32 v3, v3, v4
	ds_bpermute_b32 v4, v5, v3
	v_cndmask_b32_e64 v13, v6, v13, s[6:7]
	v_lshlrev_b32_e32 v13, 2, v13
	v_cmp_lt_i32_e64 s[6:7], v14, v7
	s_waitcnt lgkmcnt(0)
	v_max_f32_e32 v4, v4, v4
	v_max_f32_e32 v3, v3, v4
	ds_bpermute_b32 v4, v8, v3
	v_cndmask_b32_e64 v6, v6, v14, s[6:7]
	v_lshlrev_b32_e32 v6, 2, v6
	s_mov_b32 s6, 0x3fb8aa3b
	s_waitcnt lgkmcnt(0)
	v_max_f32_e32 v4, v4, v4
	v_max_f32_e32 v3, v3, v4
	ds_bpermute_b32 v4, v12, v3
	s_waitcnt lgkmcnt(0)
	v_max_f32_e32 v4, v4, v4
	v_max_f32_e32 v3, v3, v4
	ds_bpermute_b32 v4, v13, v3
	;; [unrolled: 4-line block ×3, first 2 shown]
	s_waitcnt lgkmcnt(0)
	v_max_f32_e32 v4, v4, v4
	v_max_f32_e32 v3, v3, v4
	v_sub_f32_e32 v4, v10, v3
	v_sub_f32_e32 v1, v1, v3
	v_mul_f32_e32 v3, 0x3fb8aa3b, v4
	v_mul_f32_e32 v7, 0x3fb8aa3b, v1
	v_fma_f32 v10, v4, s6, -v3
	v_rndne_f32_e32 v14, v3
	v_fma_f32 v15, v1, s6, -v7
	v_rndne_f32_e32 v16, v7
	v_fmac_f32_e32 v10, 0x32a5705f, v4
	v_sub_f32_e32 v3, v3, v14
	v_fmac_f32_e32 v15, 0x32a5705f, v1
	v_sub_f32_e32 v7, v7, v16
	v_add_f32_e32 v3, v3, v10
	v_cvt_i32_f32_e32 v14, v14
	v_add_f32_e32 v7, v7, v15
	v_exp_f32_e32 v3, v3
	v_cvt_i32_f32_e32 v16, v16
	v_exp_f32_e32 v7, v7
	v_cmp_ngt_f32_e64 s[6:7], s11, v4
	v_ldexp_f32 v3, v3, v14
	v_mov_b32_e32 v10, 0x7f800000
	v_ldexp_f32 v7, v7, v16
	v_cndmask_b32_e64 v3, 0, v3, s[6:7]
	v_cmp_ngt_f32_e64 s[6:7], s11, v1
	v_lshlrev_b32_e32 v15, 2, v0
	s_nop 0
	v_cndmask_b32_e64 v7, 0, v7, s[6:7]
	v_cmp_nlt_f32_e64 s[6:7], s12, v4
	s_nop 1
	v_cndmask_b32_e64 v3, v10, v3, s[6:7]
	v_cmp_nlt_f32_e64 s[6:7], s12, v1
	v_cndmask_b32_e32 v3, 0, v3, vcc
	s_waitcnt vmcnt(1)
	v_mul_f32_e32 v3, v9, v3
	v_cndmask_b32_e64 v1, v10, v7, s[6:7]
	v_cndmask_b32_e64 v1, 0, v1, s[4:5]
	s_waitcnt vmcnt(0)
	v_mul_f32_e32 v4, v11, v1
	ds_write2st64_b32 v15, v3, v4 offset1:1
	v_fmac_f32_e32 v3, v11, v1
	ds_bpermute_b32 v1, v2, v3
	v_cmp_eq_u32_e32 vcc, 0, v0
	s_waitcnt lgkmcnt(0)
	v_add_f32_e32 v1, v3, v1
	ds_bpermute_b32 v2, v5, v1
	s_waitcnt lgkmcnt(0)
	v_add_f32_e32 v1, v1, v2
	ds_bpermute_b32 v2, v8, v1
	;; [unrolled: 3-line block ×5, first 2 shown]
	s_and_saveexec_b64 s[4:5], vcc
	s_cbranch_execz .LBB265_8
; %bb.7:
	s_waitcnt lgkmcnt(0)
	v_add_f32_e32 v1, v1, v2
	v_mov_b32_e32 v2, 0
	ds_write_b32 v2, v1 offset:512
.LBB265_8:
	s_or_b64 exec, exec, s[4:5]
	v_mov_b32_e32 v1, s10
.LBB265_9:
	s_or_b64 exec, exec, s[24:25]
	s_lshl_b32 s4, s26, 7
	s_mov_b32 s5, 0
	s_lshl_b64 s[4:5], s[4:5], 1
	s_add_u32 s4, s8, s4
	s_addc_u32 s5, s9, s5
	s_lshl_b32 s6, s29, 7
	s_addk_i32 s6, 0xff80
	s_waitcnt lgkmcnt(0)
	v_lshlrev_b32_e32 v2, 7, v1
	v_mov_b32_e32 v3, 0
	s_cmp_lt_i32 s28, 1
	v_lshl_add_u64 v[4:5], v[2:3], 1, s[4:5]
	s_cselect_b32 s4, s6, 0
	v_lshlrev_b32_e32 v2, 1, v0
	s_ashr_i32 s5, s4, 31
	v_lshl_add_u64 v[0:1], v[4:5], 0, v[2:3]
	s_cmpk_lt_i32 s28, 0x101
	v_lshl_add_u64 v[12:13], s[4:5], 1, v[0:1]
	s_cselect_b32 s4, s6, 0x80
	s_ashr_i32 s5, s4, 31
	s_cmpk_lt_i32 s28, 0x201
	v_lshl_add_u64 v[14:15], s[4:5], 1, v[0:1]
	s_cselect_b32 s4, s6, 0x100
	s_ashr_i32 s5, s4, 31
	;; [unrolled: 4-line block ×8, first 2 shown]
	s_cmpk_lt_i32 s28, 0x901
	global_load_ushort v4, v[12:13], off
	global_load_ushort v5, v[14:15], off
	;; [unrolled: 1-line block ×8, first 2 shown]
	v_lshl_add_u64 v[20:21], s[4:5], 1, v[0:1]
	s_cselect_b32 s4, s6, 0x480
	s_ashr_i32 s5, s4, 31
	s_cmpk_lt_i32 s28, 0xa01
	v_lshl_add_u64 v[22:23], s[4:5], 1, v[0:1]
	s_cselect_b32 s4, s6, 0x500
	s_ashr_i32 s5, s4, 31
	s_cmpk_lt_i32 s28, 0xb01
	;; [unrolled: 4-line block ×6, first 2 shown]
	v_lshl_add_u64 v[32:33], s[4:5], 1, v[0:1]
	s_cselect_b32 s4, s6, 0x780
	s_ashr_i32 s5, s4, 31
	v_lshl_add_u64 v[34:35], s[4:5], 1, v[0:1]
	global_load_ushort v13, v[20:21], off
	global_load_ushort v14, v[22:23], off
	;; [unrolled: 1-line block ×8, first 2 shown]
	s_cmpk_gt_i32 s28, 0x1000
	s_cselect_b64 s[4:5], -1, 0
	s_cmpk_lt_i32 s28, 0x1001
	v_mov_b32_e32 v36, 0
	v_mov_b32_e32 v37, 0
	;; [unrolled: 1-line block ×48, first 2 shown]
	s_barrier
	s_cbranch_scc1 .LBB265_12
; %bb.10:
	s_cmpk_lt_u32 s28, 0x1101
	s_cselect_b32 s8, s6, 0x880
	s_ashr_i32 s9, s8, 31
	s_cmpk_lt_u32 s28, 0x1201
	v_lshl_add_u64 v[30:31], s[8:9], 1, v[0:1]
	s_cselect_b32 s8, s6, 0x900
	s_ashr_i32 s9, s8, 31
	s_cmpk_lt_u32 s28, 0x1301
	v_lshl_add_u64 v[32:33], s[8:9], 1, v[0:1]
	;; [unrolled: 4-line block ×7, first 2 shown]
	s_cselect_b32 s8, s6, 0xc00
	v_add_co_u32_e32 v28, vcc, 0x1000, v0
	s_ashr_i32 s9, s8, 31
	s_nop 0
	v_addc_co_u32_e32 v29, vcc, 0, v1, vcc
	s_cmpk_lt_u32 s28, 0x1901
	global_load_ushort v27, v[28:29], off
	global_load_ushort v26, v[30:31], off
	;; [unrolled: 1-line block ×8, first 2 shown]
	v_lshl_add_u64 v[36:37], s[8:9], 1, v[0:1]
	s_cselect_b32 s8, s6, 0xc80
	s_ashr_i32 s9, s8, 31
	s_cmpk_lt_u32 s28, 0x1a01
	v_lshl_add_u64 v[38:39], s[8:9], 1, v[0:1]
	s_cselect_b32 s8, s6, 0xd00
	s_ashr_i32 s9, s8, 31
	s_cmpk_lt_u32 s28, 0x1b01
	;; [unrolled: 4-line block ×6, first 2 shown]
	v_lshl_add_u64 v[48:49], s[8:9], 1, v[0:1]
	s_cselect_b32 s8, s6, 0xf80
	s_ashr_i32 s9, s8, 31
	v_lshl_add_u64 v[50:51], s[8:9], 1, v[0:1]
	global_load_ushort v35, v[36:37], off
	global_load_ushort v34, v[38:39], off
	global_load_ushort v33, v[40:41], off
	global_load_ushort v32, v[42:43], off
	global_load_ushort v31, v[44:45], off
	global_load_ushort v30, v[46:47], off
	global_load_ushort v29, v[48:49], off
	global_load_ushort v28, v[50:51], off
	s_cmpk_lt_u32 s28, 0x2001
	v_mov_b32_e32 v67, 0
	v_mov_b32_e32 v66, 0
	;; [unrolled: 1-line block ×32, first 2 shown]
	s_cbranch_scc1 .LBB265_12
; %bb.11:
	s_cmpk_lt_u32 s28, 0x2101
	s_cselect_b32 s8, s6, 0x1080
	s_ashr_i32 s9, s8, 31
	s_cmpk_lt_u32 s28, 0x2201
	v_lshl_add_u64 v[38:39], s[8:9], 1, v[0:1]
	s_cselect_b32 s8, s6, 0x1100
	s_ashr_i32 s9, s8, 31
	s_cmpk_lt_u32 s28, 0x2301
	v_lshl_add_u64 v[40:41], s[8:9], 1, v[0:1]
	;; [unrolled: 4-line block ×7, first 2 shown]
	s_cselect_b32 s8, s6, 0x1400
	v_add_co_u32_e32 v36, vcc, 0x2000, v0
	s_ashr_i32 s9, s8, 31
	s_nop 0
	v_addc_co_u32_e32 v37, vcc, 0, v1, vcc
	s_cmpk_lt_u32 s28, 0x2901
	global_load_ushort v52, v[36:37], off
	global_load_ushort v53, v[38:39], off
	;; [unrolled: 1-line block ×8, first 2 shown]
	v_lshl_add_u64 v[36:37], s[8:9], 1, v[0:1]
	s_cselect_b32 s8, s6, 0x1480
	s_ashr_i32 s9, s8, 31
	s_cmpk_lt_u32 s28, 0x2a01
	v_lshl_add_u64 v[38:39], s[8:9], 1, v[0:1]
	s_cselect_b32 s8, s6, 0x1500
	s_ashr_i32 s9, s8, 31
	s_cmpk_lt_u32 s28, 0x2b01
	;; [unrolled: 4-line block ×8, first 2 shown]
	global_load_ushort v68, v[36:37], off
	global_load_ushort v69, v[38:39], off
	;; [unrolled: 1-line block ×8, first 2 shown]
	v_lshl_add_u64 v[36:37], s[8:9], 1, v[0:1]
	s_cselect_b32 s8, s6, 0x1880
	s_ashr_i32 s9, s8, 31
	s_cmpk_lt_u32 s28, 0x3201
	v_lshl_add_u64 v[38:39], s[8:9], 1, v[0:1]
	s_cselect_b32 s8, s6, 0x1900
	s_ashr_i32 s9, s8, 31
	s_cmpk_lt_u32 s28, 0x3301
	;; [unrolled: 4-line block ×8, first 2 shown]
	global_load_ushort v76, v[36:37], off
	global_load_ushort v77, v[38:39], off
	;; [unrolled: 1-line block ×8, first 2 shown]
	v_lshl_add_u64 v[36:37], s[8:9], 1, v[0:1]
	s_cselect_b32 s8, s6, 0x1c80
	s_ashr_i32 s9, s8, 31
	s_cmpk_lt_u32 s28, 0x3a01
	v_lshl_add_u64 v[38:39], s[8:9], 1, v[0:1]
	s_cselect_b32 s8, s6, 0x1d00
	s_ashr_i32 s9, s8, 31
	s_cmpk_lt_u32 s28, 0x3b01
	;; [unrolled: 4-line block ×6, first 2 shown]
	v_lshl_add_u64 v[48:49], s[8:9], 1, v[0:1]
	s_cselect_b32 s8, s6, 0x1f80
	s_ashr_i32 s9, s8, 31
	v_lshl_add_u64 v[50:51], s[8:9], 1, v[0:1]
	global_load_ushort v84, v[36:37], off
	global_load_ushort v85, v[38:39], off
	global_load_ushort v86, v[40:41], off
	global_load_ushort v87, v[42:43], off
	global_load_ushort v88, v[44:45], off
	global_load_ushort v89, v[46:47], off
	global_load_ushort v90, v[48:49], off
	global_load_ushort v91, v[50:51], off
	s_waitcnt vmcnt(31)
	v_cvt_f32_f16_e32 v67, v52
	s_waitcnt vmcnt(30)
	v_cvt_f32_f16_e32 v66, v53
	;; [unrolled: 2-line block ×32, first 2 shown]
.LBB265_12:
	ds_read_b128 v[68:71], v3
	ds_read_b128 v[72:75], v3 offset:16
	ds_read_b128 v[76:79], v3 offset:32
	;; [unrolled: 1-line block ×3, first 2 shown]
	s_andn2_b64 vcc, exec, s[4:5]
	s_waitcnt vmcnt(15) lgkmcnt(3)
	v_fma_mix_f32 v4, v68, v4, 0 op_sel_hi:[0,1,0]
	s_waitcnt vmcnt(14)
	v_fma_mix_f32 v4, v69, v5, v4 op_sel_hi:[0,1,0]
	s_waitcnt vmcnt(13)
	v_fma_mix_f32 v4, v70, v6, v4 op_sel_hi:[0,1,0]
	s_waitcnt vmcnt(12)
	v_fma_mix_f32 v4, v71, v7, v4 op_sel_hi:[0,1,0]
	s_waitcnt vmcnt(11) lgkmcnt(2)
	v_fma_mix_f32 v4, v72, v8, v4 op_sel_hi:[0,1,0]
	s_waitcnt vmcnt(10)
	v_fma_mix_f32 v4, v73, v9, v4 op_sel_hi:[0,1,0]
	s_waitcnt vmcnt(9)
	v_fma_mix_f32 v4, v74, v10, v4 op_sel_hi:[0,1,0]
	s_waitcnt vmcnt(8)
	v_fma_mix_f32 v4, v75, v11, v4 op_sel_hi:[0,1,0]
	;; [unrolled: 8-line block ×4, first 2 shown]
	s_cbranch_vccnz .LBB265_15
; %bb.13:
	ds_read_b128 v[6:9], v3 offset:64
	ds_read_b128 v[10:13], v3 offset:80
	;; [unrolled: 1-line block ×4, first 2 shown]
	s_cmpk_lt_u32 s28, 0x2001
	s_waitcnt lgkmcnt(3)
	v_fma_mix_f32 v3, v6, v27, v4 op_sel_hi:[0,1,0]
	v_fma_mix_f32 v3, v7, v26, v3 op_sel_hi:[0,1,0]
	v_fma_mix_f32 v3, v8, v25, v3 op_sel_hi:[0,1,0]
	v_fma_mix_f32 v3, v9, v24, v3 op_sel_hi:[0,1,0]
	s_waitcnt lgkmcnt(2)
	v_fma_mix_f32 v3, v10, v23, v3 op_sel_hi:[0,1,0]
	v_fma_mix_f32 v3, v11, v22, v3 op_sel_hi:[0,1,0]
	v_fma_mix_f32 v3, v12, v21, v3 op_sel_hi:[0,1,0]
	v_fma_mix_f32 v3, v13, v20, v3 op_sel_hi:[0,1,0]
	;; [unrolled: 5-line block ×4, first 2 shown]
	s_cbranch_scc1 .LBB265_15
; %bb.14:
	v_mov_b32_e32 v3, 0
	ds_read_b128 v[6:9], v3 offset:128
	ds_read_b128 v[10:13], v3 offset:144
	;; [unrolled: 1-line block ×4, first 2 shown]
	s_waitcnt lgkmcnt(3)
	v_fmac_f32_e32 v4, v6, v67
	v_fmac_f32_e32 v4, v7, v66
	v_fmac_f32_e32 v4, v8, v65
	v_fmac_f32_e32 v4, v9, v64
	s_waitcnt lgkmcnt(2)
	v_fmac_f32_e32 v4, v10, v63
	v_fmac_f32_e32 v4, v11, v62
	v_fmac_f32_e32 v4, v12, v61
	v_fmac_f32_e32 v4, v13, v60
	;; [unrolled: 5-line block ×3, first 2 shown]
	ds_read_b128 v[6:9], v3 offset:192
	ds_read_b128 v[10:13], v3 offset:208
	s_waitcnt lgkmcnt(2)
	v_fmac_f32_e32 v4, v18, v55
	v_fmac_f32_e32 v4, v19, v54
	;; [unrolled: 1-line block ×4, first 2 shown]
	s_waitcnt lgkmcnt(1)
	v_fmac_f32_e32 v4, v6, v51
	v_fmac_f32_e32 v4, v7, v50
	;; [unrolled: 1-line block ×4, first 2 shown]
	ds_read_b128 v[6:9], v3 offset:224
	s_waitcnt lgkmcnt(1)
	v_fmac_f32_e32 v4, v10, v47
	v_fmac_f32_e32 v4, v11, v46
	;; [unrolled: 1-line block ×4, first 2 shown]
	ds_read_b128 v[10:13], v3 offset:240
	s_waitcnt lgkmcnt(1)
	v_fmac_f32_e32 v4, v6, v43
	v_fmac_f32_e32 v4, v7, v42
	v_fmac_f32_e32 v4, v8, v41
	v_fmac_f32_e32 v4, v9, v40
	s_waitcnt lgkmcnt(0)
	v_fmac_f32_e32 v4, v10, v39
	v_fmac_f32_e32 v4, v11, v38
	;; [unrolled: 1-line block ×4, first 2 shown]
.LBB265_15:
	s_load_dwordx2 s[4:5], s[0:1], 0x38
	s_cmpk_lt_i32 s28, 0x4001
	s_cbranch_scc1 .LBB265_17
; %bb.16:
	s_cmpk_lt_u32 s28, 0x4101
	s_cselect_b32 s8, s6, 0x2080
	s_ashr_i32 s9, s8, 31
	s_cmpk_lt_u32 s28, 0x4201
	v_lshl_add_u64 v[14:15], s[8:9], 1, v[0:1]
	s_cselect_b32 s8, s6, 0x2100
	s_ashr_i32 s9, s8, 31
	s_cmpk_lt_u32 s28, 0x4301
	v_lshl_add_u64 v[16:17], s[8:9], 1, v[0:1]
	;; [unrolled: 4-line block ×7, first 2 shown]
	s_cselect_b32 s8, s6, 0x2400
	v_add_co_u32_e32 v12, vcc, 0x4000, v0
	s_ashr_i32 s9, s8, 31
	s_nop 0
	v_addc_co_u32_e32 v13, vcc, 0, v1, vcc
	s_cmpk_lt_u32 s28, 0x4901
	global_load_ushort v3, v[12:13], off
	global_load_ushort v5, v[14:15], off
	global_load_ushort v6, v[16:17], off
	global_load_ushort v7, v[18:19], off
	global_load_ushort v8, v[20:21], off
	global_load_ushort v9, v[22:23], off
	global_load_ushort v10, v[24:25], off
	global_load_ushort v11, v[26:27], off
	v_lshl_add_u64 v[12:13], s[8:9], 1, v[0:1]
	s_cselect_b32 s8, s6, 0x2480
	s_ashr_i32 s9, s8, 31
	s_cmpk_lt_u32 s28, 0x4a01
	v_lshl_add_u64 v[14:15], s[8:9], 1, v[0:1]
	s_cselect_b32 s8, s6, 0x2500
	s_ashr_i32 s9, s8, 31
	s_cmpk_lt_u32 s28, 0x4b01
	v_lshl_add_u64 v[16:17], s[8:9], 1, v[0:1]
	s_cselect_b32 s8, s6, 0x2580
	s_ashr_i32 s9, s8, 31
	s_cmpk_lt_u32 s28, 0x4c01
	v_lshl_add_u64 v[18:19], s[8:9], 1, v[0:1]
	s_cselect_b32 s8, s6, 0x2600
	s_ashr_i32 s9, s8, 31
	s_cmpk_lt_u32 s28, 0x4d01
	v_lshl_add_u64 v[20:21], s[8:9], 1, v[0:1]
	s_cselect_b32 s8, s6, 0x2680
	s_ashr_i32 s9, s8, 31
	s_cmpk_lt_u32 s28, 0x4e01
	v_lshl_add_u64 v[22:23], s[8:9], 1, v[0:1]
	s_cselect_b32 s8, s6, 0x2700
	s_ashr_i32 s9, s8, 31
	s_cmpk_lt_u32 s28, 0x4f01
	v_lshl_add_u64 v[24:25], s[8:9], 1, v[0:1]
	s_cselect_b32 s8, s6, 0x2780
	s_ashr_i32 s9, s8, 31
	s_cmpk_lt_u32 s28, 0x5001
	v_lshl_add_u64 v[26:27], s[8:9], 1, v[0:1]
	s_cselect_b32 s8, s6, 0x2800
	s_ashr_i32 s9, s8, 31
	s_cmpk_lt_u32 s28, 0x5101
	global_load_ushort v28, v[12:13], off
	global_load_ushort v29, v[14:15], off
	global_load_ushort v30, v[16:17], off
	global_load_ushort v31, v[18:19], off
	global_load_ushort v32, v[20:21], off
	global_load_ushort v33, v[22:23], off
	global_load_ushort v34, v[24:25], off
	global_load_ushort v35, v[26:27], off
	v_lshl_add_u64 v[12:13], s[8:9], 1, v[0:1]
	s_cselect_b32 s8, s6, 0x2880
	s_ashr_i32 s9, s8, 31
	s_cmpk_lt_u32 s28, 0x5201
	v_lshl_add_u64 v[14:15], s[8:9], 1, v[0:1]
	s_cselect_b32 s8, s6, 0x2900
	s_ashr_i32 s9, s8, 31
	s_cmpk_lt_u32 s28, 0x5301
	v_lshl_add_u64 v[16:17], s[8:9], 1, v[0:1]
	s_cselect_b32 s8, s6, 0x2980
	s_ashr_i32 s9, s8, 31
	s_cmpk_lt_u32 s28, 0x5401
	v_lshl_add_u64 v[18:19], s[8:9], 1, v[0:1]
	s_cselect_b32 s8, s6, 0x2a00
	s_ashr_i32 s9, s8, 31
	s_cmpk_lt_u32 s28, 0x5501
	v_lshl_add_u64 v[20:21], s[8:9], 1, v[0:1]
	s_cselect_b32 s8, s6, 0x2a80
	s_ashr_i32 s9, s8, 31
	s_cmpk_lt_u32 s28, 0x5601
	v_lshl_add_u64 v[22:23], s[8:9], 1, v[0:1]
	s_cselect_b32 s8, s6, 0x2b00
	s_ashr_i32 s9, s8, 31
	s_cmpk_lt_u32 s28, 0x5701
	v_lshl_add_u64 v[24:25], s[8:9], 1, v[0:1]
	s_cselect_b32 s8, s6, 0x2b80
	s_ashr_i32 s9, s8, 31
	s_cmpk_lt_u32 s28, 0x5801
	v_lshl_add_u64 v[26:27], s[8:9], 1, v[0:1]
	s_cselect_b32 s8, s6, 0x2c00
	s_ashr_i32 s9, s8, 31
	;; [unrolled: 40-line block ×6, first 2 shown]
	s_cmpk_lt_u32 s28, 0x7901
	global_load_ushort v68, v[12:13], off
	global_load_ushort v69, v[14:15], off
	global_load_ushort v70, v[16:17], off
	global_load_ushort v71, v[18:19], off
	global_load_ushort v72, v[20:21], off
	global_load_ushort v73, v[22:23], off
	global_load_ushort v74, v[24:25], off
	global_load_ushort v75, v[26:27], off
	v_lshl_add_u64 v[12:13], s[8:9], 1, v[0:1]
	s_cselect_b32 s8, s6, 0x3c80
	s_ashr_i32 s9, s8, 31
	s_cmpk_lt_u32 s28, 0x7a01
	v_lshl_add_u64 v[14:15], s[8:9], 1, v[0:1]
	s_cselect_b32 s8, s6, 0x3d00
	s_ashr_i32 s9, s8, 31
	s_cmpk_lt_u32 s28, 0x7b01
	;; [unrolled: 4-line block ×6, first 2 shown]
	s_cselect_b32 s6, s6, 0x3f80
	s_ashr_i32 s7, s6, 31
	v_lshl_add_u64 v[24:25], s[8:9], 1, v[0:1]
	v_lshl_add_u64 v[0:1], s[6:7], 1, v[0:1]
	global_load_ushort v76, v[12:13], off
	global_load_ushort v77, v[14:15], off
	;; [unrolled: 1-line block ×8, first 2 shown]
	v_mov_b32_e32 v0, 0
	ds_read_b128 v[12:15], v0 offset:256
	ds_read_b128 v[16:19], v0 offset:272
	;; [unrolled: 1-line block ×4, first 2 shown]
	s_waitcnt vmcnt(62) lgkmcnt(0)
	v_fma_mix_f32 v1, v12, v3, v4 op_sel_hi:[0,1,0]
	v_fma_mix_f32 v1, v13, v5, v1 op_sel_hi:[0,1,0]
	s_waitcnt vmcnt(61)
	v_fma_mix_f32 v1, v14, v6, v1 op_sel_hi:[0,1,0]
	s_waitcnt vmcnt(60)
	;; [unrolled: 2-line block ×10, first 2 shown]
	v_fma_mix_f32 v1, v23, v31, v1 op_sel_hi:[0,1,0]
	ds_read_b128 v[4:7], v0 offset:320
	ds_read_b128 v[8:11], v0 offset:336
	s_waitcnt vmcnt(51)
	v_fma_mix_f32 v1, v24, v32, v1 op_sel_hi:[0,1,0]
	s_waitcnt vmcnt(50)
	v_fma_mix_f32 v1, v25, v33, v1 op_sel_hi:[0,1,0]
	;; [unrolled: 2-line block ×4, first 2 shown]
	s_waitcnt vmcnt(47) lgkmcnt(1)
	v_fma_mix_f32 v1, v4, v36, v1 op_sel_hi:[0,1,0]
	s_waitcnt vmcnt(46)
	v_fma_mix_f32 v1, v5, v37, v1 op_sel_hi:[0,1,0]
	s_waitcnt vmcnt(45)
	v_fma_mix_f32 v1, v6, v38, v1 op_sel_hi:[0,1,0]
	s_waitcnt vmcnt(44)
	v_fma_mix_f32 v1, v7, v39, v1 op_sel_hi:[0,1,0]
	ds_read_b128 v[4:7], v0 offset:352
	s_waitcnt vmcnt(43) lgkmcnt(1)
	v_fma_mix_f32 v1, v8, v40, v1 op_sel_hi:[0,1,0]
	s_waitcnt vmcnt(42)
	v_fma_mix_f32 v1, v9, v41, v1 op_sel_hi:[0,1,0]
	s_waitcnt vmcnt(41)
	v_fma_mix_f32 v1, v10, v42, v1 op_sel_hi:[0,1,0]
	s_waitcnt vmcnt(40)
	v_fma_mix_f32 v1, v11, v43, v1 op_sel_hi:[0,1,0]
	ds_read_b128 v[8:11], v0 offset:368
	;; [unrolled: 9-line block ×10, first 2 shown]
	s_waitcnt vmcnt(7) lgkmcnt(1)
	v_fma_mix_f32 v0, v4, v76, v1 op_sel_hi:[0,1,0]
	s_waitcnt vmcnt(6)
	v_fma_mix_f32 v0, v5, v77, v0 op_sel_hi:[0,1,0]
	s_waitcnt vmcnt(5)
	;; [unrolled: 2-line block ×3, first 2 shown]
	v_fma_mix_f32 v0, v7, v79, v0 op_sel_hi:[0,1,0]
	s_waitcnt vmcnt(3) lgkmcnt(0)
	v_fma_mix_f32 v0, v8, v80, v0 op_sel_hi:[0,1,0]
	s_waitcnt vmcnt(2)
	v_fma_mix_f32 v0, v9, v81, v0 op_sel_hi:[0,1,0]
	s_waitcnt vmcnt(1)
	v_fma_mix_f32 v0, v10, v82, v0 op_sel_hi:[0,1,0]
	s_waitcnt vmcnt(0)
	v_fma_mix_f32 v4, v11, v83, v0 op_sel_hi:[0,1,0]
.LBB265_17:
	v_mov_b32_e32 v0, 0
	s_load_dwordx2 s[0:1], s[0:1], 0x0
	ds_read_b32 v1, v0 offset:512
	s_waitcnt lgkmcnt(0)
	s_cmp_eq_u64 s[4:5], 0
	s_cbranch_scc1 .LBB265_22
; %bb.18:
	s_load_dword s6, s[4:5], 0x0
	s_waitcnt lgkmcnt(0)
	v_div_scale_f32 v0, s[4:5], s6, s6, 1.0
	v_rcp_f32_e32 v3, v0
	v_div_scale_f32 v5, vcc, 1.0, s6, 1.0
	v_fma_f32 v6, -v0, v3, 1.0
	v_fmac_f32_e32 v3, v6, v3
	v_mul_f32_e32 v6, v5, v3
	v_fma_f32 v7, -v0, v6, v5
	v_fmac_f32_e32 v6, v7, v3
	v_fma_f32 v0, -v0, v6, v5
	v_div_fmas_f32 v0, v0, v3, v6
	v_div_fixup_f32 v0, v0, s6, 1.0
	s_andn2_b64 vcc, exec, s[20:21]
	s_cbranch_vccnz .LBB265_20
.LBB265_19:
	s_add_u32 s4, s18, s22
	s_addc_u32 s5, s19, s23
	s_load_dword s16, s[4:5], 0x0
	s_mov_b32 s17, 0
.LBB265_20:
	v_add_f32_e32 v1, 0x358637bd, v1
	v_div_scale_f32 v3, s[4:5], v1, v1, 1.0
	v_rcp_f32_e32 v5, v3
	v_div_scale_f32 v6, vcc, 1.0, v1, 1.0
	s_mul_i32 s4, s3, s17
	v_fma_f32 v7, -v3, v5, 1.0
	v_fmac_f32_e32 v5, v7, v5
	v_mul_f32_e32 v7, v6, v5
	v_fma_f32 v8, -v3, v7, v6
	s_waitcnt lgkmcnt(0)
	s_mul_hi_u32 s5, s3, s16
	v_fmac_f32_e32 v7, v8, v5
	s_add_i32 s5, s5, s4
	s_mul_i32 s4, s3, s16
	v_fma_f32 v3, -v3, v7, v6
	s_lshl_b64 s[4:5], s[4:5], 8
	v_div_fmas_f32 v3, v3, v5, v7
	s_add_u32 s4, s0, s4
	s_mov_b32 s3, 0
	v_div_fixup_f32 v1, v3, v1, 1.0
	s_addc_u32 s5, s1, s5
	s_lshl_b64 s[0:1], s[2:3], 8
	v_mul_f32_e32 v1, v4, v1
	s_add_u32 s0, s4, s0
	s_addc_u32 s1, s5, s1
	v_fma_mixlo_f16 v0, v1, v0, 0
	global_store_short v2, v0, s[0:1]
	s_endpgm
.LBB265_21:
	s_mov_b64 s[6:7], 0
	s_branch .LBB265_2
.LBB265_22:
	v_mov_b32_e32 v0, 1.0
	s_andn2_b64 vcc, exec, s[20:21]
	s_cbranch_vccz .LBB265_19
	s_branch .LBB265_20
	.section	.rodata,"a",@progbits
	.p2align	6, 0x0
	.amdhsa_kernel _Z35paged_attention_ll4mi_reduce_kernelIDF16_DF16_Li128ELi128ELi256ELi2EEvPT0_PKfS3_PKT_PKiS8_iS3_
		.amdhsa_group_segment_fixed_size 516
		.amdhsa_private_segment_fixed_size 0
		.amdhsa_kernarg_size 320
		.amdhsa_user_sgpr_count 2
		.amdhsa_user_sgpr_dispatch_ptr 0
		.amdhsa_user_sgpr_queue_ptr 0
		.amdhsa_user_sgpr_kernarg_segment_ptr 1
		.amdhsa_user_sgpr_dispatch_id 0
		.amdhsa_user_sgpr_kernarg_preload_length 0
		.amdhsa_user_sgpr_kernarg_preload_offset 0
		.amdhsa_user_sgpr_private_segment_size 0
		.amdhsa_uses_dynamic_stack 0
		.amdhsa_enable_private_segment 0
		.amdhsa_system_sgpr_workgroup_id_x 1
		.amdhsa_system_sgpr_workgroup_id_y 1
		.amdhsa_system_sgpr_workgroup_id_z 0
		.amdhsa_system_sgpr_workgroup_info 0
		.amdhsa_system_vgpr_workitem_id 0
		.amdhsa_next_free_vgpr 92
		.amdhsa_next_free_sgpr 32
		.amdhsa_accum_offset 92
		.amdhsa_reserve_vcc 1
		.amdhsa_float_round_mode_32 0
		.amdhsa_float_round_mode_16_64 0
		.amdhsa_float_denorm_mode_32 3
		.amdhsa_float_denorm_mode_16_64 3
		.amdhsa_dx10_clamp 1
		.amdhsa_ieee_mode 1
		.amdhsa_fp16_overflow 0
		.amdhsa_tg_split 0
		.amdhsa_exception_fp_ieee_invalid_op 0
		.amdhsa_exception_fp_denorm_src 0
		.amdhsa_exception_fp_ieee_div_zero 0
		.amdhsa_exception_fp_ieee_overflow 0
		.amdhsa_exception_fp_ieee_underflow 0
		.amdhsa_exception_fp_ieee_inexact 0
		.amdhsa_exception_int_div_zero 0
	.end_amdhsa_kernel
	.section	.text._Z35paged_attention_ll4mi_reduce_kernelIDF16_DF16_Li128ELi128ELi256ELi2EEvPT0_PKfS3_PKT_PKiS8_iS3_,"axG",@progbits,_Z35paged_attention_ll4mi_reduce_kernelIDF16_DF16_Li128ELi128ELi256ELi2EEvPT0_PKfS3_PKT_PKiS8_iS3_,comdat
.Lfunc_end265:
	.size	_Z35paged_attention_ll4mi_reduce_kernelIDF16_DF16_Li128ELi128ELi256ELi2EEvPT0_PKfS3_PKT_PKiS8_iS3_, .Lfunc_end265-_Z35paged_attention_ll4mi_reduce_kernelIDF16_DF16_Li128ELi128ELi256ELi2EEvPT0_PKfS3_PKT_PKiS8_iS3_
                                        ; -- End function
	.section	.AMDGPU.csdata,"",@progbits
; Kernel info:
; codeLenInByte = 7740
; NumSgprs: 38
; NumVgprs: 92
; NumAgprs: 0
; TotalNumVgprs: 92
; ScratchSize: 0
; MemoryBound: 0
; FloatMode: 240
; IeeeMode: 1
; LDSByteSize: 516 bytes/workgroup (compile time only)
; SGPRBlocks: 4
; VGPRBlocks: 11
; NumSGPRsForWavesPerEU: 38
; NumVGPRsForWavesPerEU: 92
; AccumOffset: 92
; Occupancy: 5
; WaveLimiterHint : 1
; COMPUTE_PGM_RSRC2:SCRATCH_EN: 0
; COMPUTE_PGM_RSRC2:USER_SGPR: 2
; COMPUTE_PGM_RSRC2:TRAP_HANDLER: 0
; COMPUTE_PGM_RSRC2:TGID_X_EN: 1
; COMPUTE_PGM_RSRC2:TGID_Y_EN: 1
; COMPUTE_PGM_RSRC2:TGID_Z_EN: 0
; COMPUTE_PGM_RSRC2:TIDIG_COMP_CNT: 0
; COMPUTE_PGM_RSRC3_GFX90A:ACCUM_OFFSET: 22
; COMPUTE_PGM_RSRC3_GFX90A:TG_SPLIT: 0
	.section	.text._Z35paged_attention_ll4mi_reduce_kernelIDF16_DF16_Li128ELi128ELi256ELi3EEvPT0_PKfS3_PKT_PKiS8_iS3_,"axG",@progbits,_Z35paged_attention_ll4mi_reduce_kernelIDF16_DF16_Li128ELi128ELi256ELi3EEvPT0_PKfS3_PKT_PKiS8_iS3_,comdat
	.protected	_Z35paged_attention_ll4mi_reduce_kernelIDF16_DF16_Li128ELi128ELi256ELi3EEvPT0_PKfS3_PKT_PKiS8_iS3_ ; -- Begin function _Z35paged_attention_ll4mi_reduce_kernelIDF16_DF16_Li128ELi128ELi256ELi3EEvPT0_PKfS3_PKT_PKiS8_iS3_
	.globl	_Z35paged_attention_ll4mi_reduce_kernelIDF16_DF16_Li128ELi128ELi256ELi3EEvPT0_PKfS3_PKT_PKiS8_iS3_
	.p2align	8
	.type	_Z35paged_attention_ll4mi_reduce_kernelIDF16_DF16_Li128ELi128ELi256ELi3EEvPT0_PKfS3_PKT_PKiS8_iS3_,@function
_Z35paged_attention_ll4mi_reduce_kernelIDF16_DF16_Li128ELi128ELi256ELi3EEvPT0_PKfS3_PKT_PKiS8_iS3_: ; @_Z35paged_attention_ll4mi_reduce_kernelIDF16_DF16_Li128ELi128ELi256ELi3EEvPT0_PKfS3_PKT_PKiS8_iS3_
; %bb.0:
	s_load_dwordx2 s[20:21], s[0:1], 0x28
	s_mov_b32 s10, s3
	s_mov_b64 s[4:5], 0
	s_waitcnt lgkmcnt(0)
	s_cmp_lg_u64 s[20:21], 0
	s_cselect_b64 s[22:23], -1, 0
	s_and_b64 vcc, exec, s[22:23]
	s_cbranch_vccz .LBB266_23
; %bb.1:
	s_add_i32 s6, s10, 1
	s_mov_b32 s7, 0
	s_lshl_b64 s[8:9], s[6:7], 2
	s_add_u32 s8, s20, s8
	s_mov_b32 s11, s7
	s_addc_u32 s9, s21, s9
	s_lshl_b64 s[6:7], s[10:11], 2
	s_add_u32 s6, s20, s6
	s_addc_u32 s7, s21, s7
	s_load_dword s3, s[8:9], 0x0
	s_load_dword s12, s[6:7], 0x0
	s_waitcnt lgkmcnt(0)
	s_sub_i32 s3, s3, s12
	s_cmp_eq_u32 s3, 1
	s_cselect_b64 s[6:7], -1, 0
	s_andn2_b64 vcc, exec, s[4:5]
	s_cbranch_vccnz .LBB266_3
.LBB266_2:
	s_mov_b32 s11, 0
	s_mov_b64 s[6:7], -1
.LBB266_3:
	s_andn2_b64 vcc, exec, s[6:7]
	s_cbranch_vccz .LBB266_5
; %bb.4:
	s_endpgm
.LBB266_5:
	s_load_dwordx4 s[12:15], s[0:1], 0x18
	s_load_dword s8, s[0:1], 0x30
	s_lshl_b64 s[24:25], s[10:11], 2
	v_cmp_lt_u32_e32 vcc, 63, v0
	s_waitcnt lgkmcnt(0)
	s_add_u32 s4, s14, s24
	s_addc_u32 s5, s15, s25
	s_load_dword s30, s[4:5], 0x0
	s_load_dword s3, s[0:1], 0x40
	s_mul_i32 s14, s2, s8
	s_mul_i32 s6, s10, s8
	s_waitcnt lgkmcnt(0)
	s_add_i32 s7, s30, 0xff
	s_ashr_i32 s4, s7, 31
	s_lshr_b32 s4, s4, 24
	s_add_i32 s7, s7, s4
	s_and_saveexec_b64 s[4:5], vcc
	s_xor_b64 s[4:5], exec, s[4:5]
	s_or_saveexec_b64 s[26:27], s[4:5]
	s_ashr_i32 s31, s7, 8
	v_mov_b32_e32 v1, s14
	s_mul_i32 s28, s6, s3
	s_xor_b64 exec, exec, s[26:27]
	s_cbranch_execz .LBB266_9
; %bb.6:
	s_load_dwordx4 s[16:19], s[0:1], 0x8
	s_mov_b32 s29, 0
	s_add_i32 s4, s31, -1
	v_or_b32_e32 v3, 64, v0
	v_mov_b32_e32 v1, s4
	v_cmp_gt_u32_e64 s[4:5], s31, v3
	s_lshl_b64 s[34:35], s[28:29], 2
	s_mov_b32 s15, s29
	v_cmp_gt_u32_e32 vcc, s31, v0
	v_cndmask_b32_e64 v4, v1, v3, s[4:5]
	v_or_b32_e32 v3, 0x80, v0
	s_waitcnt lgkmcnt(0)
	s_add_u32 s8, s18, s34
	v_cndmask_b32_e32 v2, v1, v0, vcc
	v_cmp_gt_u32_e64 s[6:7], s31, v3
	s_addc_u32 s9, s19, s35
	s_lshl_b64 s[18:19], s[14:15], 2
	v_cndmask_b32_e64 v6, v1, v3, s[6:7]
	s_add_u32 s8, s8, s18
	v_ashrrev_i32_e32 v3, 31, v2
	s_addc_u32 s9, s9, s19
	v_lshlrev_b64 v[2:3], 2, v[2:3]
	v_ashrrev_i32_e32 v5, 31, v4
	v_ashrrev_i32_e32 v7, 31, v6
	v_lshl_add_u64 v[8:9], s[8:9], 0, v[2:3]
	v_lshlrev_b64 v[4:5], 2, v[4:5]
	v_lshlrev_b64 v[6:7], 2, v[6:7]
	v_lshl_add_u64 v[10:11], s[8:9], 0, v[4:5]
	v_lshl_add_u64 v[12:13], s[8:9], 0, v[6:7]
	global_load_dword v1, v[8:9], off
	global_load_dword v14, v[10:11], off
	;; [unrolled: 1-line block ×3, first 2 shown]
	v_mbcnt_lo_u32_b32 v8, -1, 0
	v_mbcnt_hi_u32_b32 v8, -1, v8
	v_and_b32_e32 v9, 64, v8
	v_xor_b32_e32 v10, 32, v8
	v_add_u32_e32 v9, 64, v9
	v_xor_b32_e32 v11, 16, v8
	v_cmp_lt_i32_e64 s[8:9], v10, v9
	v_xor_b32_e32 v12, 8, v8
	s_mov_b32 s15, 0xc2ce8ed0
	v_cndmask_b32_e64 v10, v8, v10, s[8:9]
	v_cmp_lt_i32_e64 s[8:9], v11, v9
	v_lshlrev_b32_e32 v10, 2, v10
	s_waitcnt vmcnt(0)
	v_max3_f32 v13, v1, v14, v15
	v_cndmask_b32_e64 v11, v8, v11, s[8:9]
	v_cmp_lt_i32_e64 s[8:9], v12, v9
	ds_bpermute_b32 v16, v10, v13
	v_lshlrev_b32_e32 v11, 2, v11
	v_cndmask_b32_e64 v12, v8, v12, s[8:9]
	s_add_u32 s8, s16, s34
	s_addc_u32 s9, s17, s35
	s_add_u32 s8, s8, s18
	s_addc_u32 s9, s9, s19
	v_lshl_add_u64 v[2:3], s[8:9], 0, v[2:3]
	v_lshl_add_u64 v[4:5], s[8:9], 0, v[4:5]
	global_load_dword v17, v[2:3], off
	global_load_dword v18, v[4:5], off
	v_lshl_add_u64 v[2:3], s[8:9], 0, v[6:7]
	global_load_dword v3, v[2:3], off
	s_waitcnt lgkmcnt(0)
	v_max_f32_e32 v16, v16, v16
	v_max_f32_e32 v13, v13, v16
	ds_bpermute_b32 v16, v11, v13
	v_lshlrev_b32_e32 v12, 2, v12
	v_xor_b32_e32 v5, 4, v8
	v_cmp_lt_i32_e64 s[8:9], v5, v9
	v_xor_b32_e32 v6, 2, v8
	s_waitcnt lgkmcnt(0)
	v_max_f32_e32 v2, v16, v16
	v_max_f32_e32 v2, v13, v2
	ds_bpermute_b32 v4, v12, v2
	v_cndmask_b32_e64 v5, v8, v5, s[8:9]
	v_lshlrev_b32_e32 v5, 2, v5
	v_cmp_lt_i32_e64 s[8:9], v6, v9
	v_xor_b32_e32 v7, 1, v8
	s_waitcnt lgkmcnt(0)
	v_max_f32_e32 v4, v4, v4
	v_max_f32_e32 v2, v2, v4
	ds_bpermute_b32 v4, v5, v2
	v_cndmask_b32_e64 v6, v8, v6, s[8:9]
	v_lshlrev_b32_e32 v6, 2, v6
	v_cmp_lt_i32_e64 s[8:9], v7, v9
	s_mov_b32 s16, 0x42b17218
	s_waitcnt lgkmcnt(0)
	v_max_f32_e32 v4, v4, v4
	v_max_f32_e32 v2, v2, v4
	ds_bpermute_b32 v4, v6, v2
	v_cndmask_b32_e64 v7, v8, v7, s[8:9]
	v_lshlrev_b32_e32 v7, 2, v7
	s_mov_b32 s8, 0x3fb8aa3b
	v_mov_b32_e32 v8, 0x7f800000
	s_waitcnt lgkmcnt(0)
	v_max_f32_e32 v4, v4, v4
	v_max_f32_e32 v2, v2, v4
	ds_bpermute_b32 v4, v7, v2
	s_waitcnt lgkmcnt(0)
	v_max_f32_e32 v4, v4, v4
	v_max_f32_e32 v2, v2, v4
	v_sub_f32_e32 v1, v1, v2
	v_sub_f32_e32 v4, v14, v2
	v_mul_f32_e32 v9, 0x3fb8aa3b, v1
	v_sub_f32_e32 v2, v15, v2
	v_mul_f32_e32 v13, 0x3fb8aa3b, v4
	v_fma_f32 v15, v1, s8, -v9
	v_rndne_f32_e32 v16, v9
	v_mul_f32_e32 v14, 0x3fb8aa3b, v2
	v_fma_f32 v19, v4, s8, -v13
	v_rndne_f32_e32 v20, v13
	v_fmac_f32_e32 v15, 0x32a5705f, v1
	v_sub_f32_e32 v9, v9, v16
	v_fma_f32 v21, v2, s8, -v14
	v_rndne_f32_e32 v22, v14
	v_fmac_f32_e32 v19, 0x32a5705f, v4
	v_sub_f32_e32 v13, v13, v20
	v_add_f32_e32 v9, v9, v15
	v_cvt_i32_f32_e32 v16, v16
	v_fmac_f32_e32 v21, 0x32a5705f, v2
	v_sub_f32_e32 v14, v14, v22
	v_add_f32_e32 v13, v13, v19
	v_exp_f32_e32 v9, v9
	v_cvt_i32_f32_e32 v20, v20
	v_add_f32_e32 v14, v14, v21
	v_exp_f32_e32 v13, v13
	v_cvt_i32_f32_e32 v22, v22
	v_exp_f32_e32 v14, v14
	v_ldexp_f32 v9, v9, v16
	v_cmp_ngt_f32_e64 s[8:9], s15, v1
	v_ldexp_f32 v13, v13, v20
	v_ldexp_f32 v14, v14, v22
	v_cndmask_b32_e64 v9, 0, v9, s[8:9]
	v_cmp_ngt_f32_e64 s[8:9], s15, v4
	v_lshlrev_b32_e32 v15, 2, v0
	s_nop 0
	v_cndmask_b32_e64 v13, 0, v13, s[8:9]
	v_cmp_ngt_f32_e64 s[8:9], s15, v2
	s_nop 1
	v_cndmask_b32_e64 v14, 0, v14, s[8:9]
	v_cmp_nlt_f32_e64 s[8:9], s16, v1
	s_nop 1
	v_cndmask_b32_e64 v1, v8, v9, s[8:9]
	v_cmp_nlt_f32_e64 s[8:9], s16, v4
	v_cndmask_b32_e32 v1, 0, v1, vcc
	s_waitcnt vmcnt(2)
	v_mul_f32_e32 v1, v17, v1
	v_cndmask_b32_e64 v4, v8, v13, s[8:9]
	v_cmp_nlt_f32_e64 s[8:9], s16, v2
	v_cndmask_b32_e64 v4, 0, v4, s[4:5]
	v_cmp_eq_u32_e32 vcc, 0, v0
	v_cndmask_b32_e64 v2, v8, v14, s[8:9]
	v_cndmask_b32_e64 v8, 0, v2, s[6:7]
	s_waitcnt vmcnt(1)
	v_mul_f32_e32 v2, v18, v4
	ds_write2st64_b32 v15, v1, v2 offset1:1
	v_fmac_f32_e32 v1, v18, v4
	s_waitcnt vmcnt(0)
	v_fmac_f32_e32 v1, v3, v8
	ds_bpermute_b32 v2, v10, v1
	v_mul_f32_e32 v3, v3, v8
	ds_write_b32 v15, v3 offset:512
	s_waitcnt lgkmcnt(1)
	v_add_f32_e32 v1, v1, v2
	ds_bpermute_b32 v2, v11, v1
	s_waitcnt lgkmcnt(0)
	v_add_f32_e32 v1, v1, v2
	ds_bpermute_b32 v2, v12, v1
	;; [unrolled: 3-line block ×5, first 2 shown]
	s_and_saveexec_b64 s[4:5], vcc
	s_cbranch_execz .LBB266_8
; %bb.7:
	s_waitcnt lgkmcnt(0)
	v_add_f32_e32 v1, v1, v2
	v_mov_b32_e32 v2, 0
	ds_write_b32 v2, v1 offset:768
.LBB266_8:
	s_or_b64 exec, exec, s[4:5]
	v_mov_b32_e32 v1, s14
.LBB266_9:
	s_or_b64 exec, exec, s[26:27]
	s_lshl_b32 s4, s28, 7
	s_mov_b32 s5, 0
	s_lshl_b64 s[4:5], s[4:5], 1
	s_add_u32 s4, s12, s4
	s_addc_u32 s5, s13, s5
	s_lshl_b32 s6, s31, 7
	s_addk_i32 s6, 0xff80
	s_waitcnt lgkmcnt(0)
	v_lshlrev_b32_e32 v2, 7, v1
	v_mov_b32_e32 v3, 0
	s_cmp_lt_i32 s30, 1
	v_lshl_add_u64 v[4:5], v[2:3], 1, s[4:5]
	s_cselect_b32 s4, s6, 0
	v_lshlrev_b32_e32 v2, 1, v0
	s_ashr_i32 s5, s4, 31
	v_lshl_add_u64 v[0:1], v[4:5], 0, v[2:3]
	s_cmpk_lt_i32 s30, 0x101
	v_lshl_add_u64 v[12:13], s[4:5], 1, v[0:1]
	s_cselect_b32 s4, s6, 0x80
	s_ashr_i32 s5, s4, 31
	s_cmpk_lt_i32 s30, 0x201
	v_lshl_add_u64 v[14:15], s[4:5], 1, v[0:1]
	s_cselect_b32 s4, s6, 0x100
	s_ashr_i32 s5, s4, 31
	;; [unrolled: 4-line block ×8, first 2 shown]
	s_cmpk_lt_i32 s30, 0x901
	global_load_ushort v4, v[12:13], off
	global_load_ushort v5, v[14:15], off
	;; [unrolled: 1-line block ×8, first 2 shown]
	v_lshl_add_u64 v[20:21], s[4:5], 1, v[0:1]
	s_cselect_b32 s4, s6, 0x480
	s_ashr_i32 s5, s4, 31
	s_cmpk_lt_i32 s30, 0xa01
	v_lshl_add_u64 v[22:23], s[4:5], 1, v[0:1]
	s_cselect_b32 s4, s6, 0x500
	s_ashr_i32 s5, s4, 31
	s_cmpk_lt_i32 s30, 0xb01
	;; [unrolled: 4-line block ×6, first 2 shown]
	v_lshl_add_u64 v[32:33], s[4:5], 1, v[0:1]
	s_cselect_b32 s4, s6, 0x780
	s_ashr_i32 s5, s4, 31
	v_lshl_add_u64 v[34:35], s[4:5], 1, v[0:1]
	global_load_ushort v13, v[20:21], off
	global_load_ushort v14, v[22:23], off
	;; [unrolled: 1-line block ×8, first 2 shown]
	s_cmpk_gt_i32 s30, 0x1000
	s_cselect_b64 s[4:5], -1, 0
	s_cmpk_lt_i32 s30, 0x1001
	v_mov_b32_e32 v36, 0
	v_mov_b32_e32 v37, 0
	;; [unrolled: 1-line block ×48, first 2 shown]
	s_barrier
	s_cbranch_scc1 .LBB266_12
; %bb.10:
	s_cmpk_lt_u32 s30, 0x1101
	s_cselect_b32 s8, s6, 0x880
	s_ashr_i32 s9, s8, 31
	s_cmpk_lt_u32 s30, 0x1201
	v_lshl_add_u64 v[30:31], s[8:9], 1, v[0:1]
	s_cselect_b32 s8, s6, 0x900
	s_ashr_i32 s9, s8, 31
	s_cmpk_lt_u32 s30, 0x1301
	v_lshl_add_u64 v[32:33], s[8:9], 1, v[0:1]
	;; [unrolled: 4-line block ×7, first 2 shown]
	s_cselect_b32 s8, s6, 0xc00
	v_add_co_u32_e32 v28, vcc, 0x1000, v0
	s_ashr_i32 s9, s8, 31
	s_nop 0
	v_addc_co_u32_e32 v29, vcc, 0, v1, vcc
	s_cmpk_lt_u32 s30, 0x1901
	global_load_ushort v27, v[28:29], off
	global_load_ushort v26, v[30:31], off
	;; [unrolled: 1-line block ×8, first 2 shown]
	v_lshl_add_u64 v[36:37], s[8:9], 1, v[0:1]
	s_cselect_b32 s8, s6, 0xc80
	s_ashr_i32 s9, s8, 31
	s_cmpk_lt_u32 s30, 0x1a01
	v_lshl_add_u64 v[38:39], s[8:9], 1, v[0:1]
	s_cselect_b32 s8, s6, 0xd00
	s_ashr_i32 s9, s8, 31
	s_cmpk_lt_u32 s30, 0x1b01
	;; [unrolled: 4-line block ×6, first 2 shown]
	v_lshl_add_u64 v[48:49], s[8:9], 1, v[0:1]
	s_cselect_b32 s8, s6, 0xf80
	s_ashr_i32 s9, s8, 31
	v_lshl_add_u64 v[50:51], s[8:9], 1, v[0:1]
	global_load_ushort v35, v[36:37], off
	global_load_ushort v34, v[38:39], off
	;; [unrolled: 1-line block ×8, first 2 shown]
	s_cmpk_lt_u32 s30, 0x2001
	v_mov_b32_e32 v67, 0
	v_mov_b32_e32 v66, 0
	;; [unrolled: 1-line block ×32, first 2 shown]
	s_cbranch_scc1 .LBB266_12
; %bb.11:
	s_cmpk_lt_u32 s30, 0x2101
	s_cselect_b32 s8, s6, 0x1080
	s_ashr_i32 s9, s8, 31
	s_cmpk_lt_u32 s30, 0x2201
	v_lshl_add_u64 v[38:39], s[8:9], 1, v[0:1]
	s_cselect_b32 s8, s6, 0x1100
	s_ashr_i32 s9, s8, 31
	s_cmpk_lt_u32 s30, 0x2301
	v_lshl_add_u64 v[40:41], s[8:9], 1, v[0:1]
	;; [unrolled: 4-line block ×7, first 2 shown]
	s_cselect_b32 s8, s6, 0x1400
	v_add_co_u32_e32 v36, vcc, 0x2000, v0
	s_ashr_i32 s9, s8, 31
	s_nop 0
	v_addc_co_u32_e32 v37, vcc, 0, v1, vcc
	s_cmpk_lt_u32 s30, 0x2901
	global_load_ushort v52, v[36:37], off
	global_load_ushort v53, v[38:39], off
	;; [unrolled: 1-line block ×8, first 2 shown]
	v_lshl_add_u64 v[36:37], s[8:9], 1, v[0:1]
	s_cselect_b32 s8, s6, 0x1480
	s_ashr_i32 s9, s8, 31
	s_cmpk_lt_u32 s30, 0x2a01
	v_lshl_add_u64 v[38:39], s[8:9], 1, v[0:1]
	s_cselect_b32 s8, s6, 0x1500
	s_ashr_i32 s9, s8, 31
	s_cmpk_lt_u32 s30, 0x2b01
	;; [unrolled: 4-line block ×8, first 2 shown]
	global_load_ushort v68, v[36:37], off
	global_load_ushort v69, v[38:39], off
	;; [unrolled: 1-line block ×8, first 2 shown]
	v_lshl_add_u64 v[36:37], s[8:9], 1, v[0:1]
	s_cselect_b32 s8, s6, 0x1880
	s_ashr_i32 s9, s8, 31
	s_cmpk_lt_u32 s30, 0x3201
	v_lshl_add_u64 v[38:39], s[8:9], 1, v[0:1]
	s_cselect_b32 s8, s6, 0x1900
	s_ashr_i32 s9, s8, 31
	s_cmpk_lt_u32 s30, 0x3301
	;; [unrolled: 4-line block ×8, first 2 shown]
	global_load_ushort v76, v[36:37], off
	global_load_ushort v77, v[38:39], off
	;; [unrolled: 1-line block ×8, first 2 shown]
	v_lshl_add_u64 v[36:37], s[8:9], 1, v[0:1]
	s_cselect_b32 s8, s6, 0x1c80
	s_ashr_i32 s9, s8, 31
	s_cmpk_lt_u32 s30, 0x3a01
	v_lshl_add_u64 v[38:39], s[8:9], 1, v[0:1]
	s_cselect_b32 s8, s6, 0x1d00
	s_ashr_i32 s9, s8, 31
	s_cmpk_lt_u32 s30, 0x3b01
	;; [unrolled: 4-line block ×6, first 2 shown]
	v_lshl_add_u64 v[48:49], s[8:9], 1, v[0:1]
	s_cselect_b32 s8, s6, 0x1f80
	s_ashr_i32 s9, s8, 31
	v_lshl_add_u64 v[50:51], s[8:9], 1, v[0:1]
	global_load_ushort v84, v[36:37], off
	global_load_ushort v85, v[38:39], off
	;; [unrolled: 1-line block ×8, first 2 shown]
	s_waitcnt vmcnt(31)
	v_cvt_f32_f16_e32 v67, v52
	s_waitcnt vmcnt(30)
	v_cvt_f32_f16_e32 v66, v53
	s_waitcnt vmcnt(29)
	v_cvt_f32_f16_e32 v65, v54
	s_waitcnt vmcnt(28)
	v_cvt_f32_f16_e32 v64, v55
	s_waitcnt vmcnt(27)
	v_cvt_f32_f16_e32 v63, v56
	s_waitcnt vmcnt(26)
	v_cvt_f32_f16_e32 v62, v57
	s_waitcnt vmcnt(25)
	v_cvt_f32_f16_e32 v61, v58
	s_waitcnt vmcnt(24)
	v_cvt_f32_f16_e32 v60, v59
	s_waitcnt vmcnt(23)
	v_cvt_f32_f16_e32 v59, v68
	s_waitcnt vmcnt(22)
	v_cvt_f32_f16_e32 v58, v69
	s_waitcnt vmcnt(21)
	v_cvt_f32_f16_e32 v57, v70
	s_waitcnt vmcnt(20)
	v_cvt_f32_f16_e32 v56, v71
	s_waitcnt vmcnt(19)
	v_cvt_f32_f16_e32 v55, v72
	s_waitcnt vmcnt(18)
	v_cvt_f32_f16_e32 v54, v73
	s_waitcnt vmcnt(17)
	v_cvt_f32_f16_e32 v53, v74
	s_waitcnt vmcnt(16)
	v_cvt_f32_f16_e32 v52, v75
	s_waitcnt vmcnt(15)
	v_cvt_f32_f16_e32 v51, v76
	s_waitcnt vmcnt(14)
	v_cvt_f32_f16_e32 v50, v77
	s_waitcnt vmcnt(13)
	v_cvt_f32_f16_e32 v49, v78
	s_waitcnt vmcnt(12)
	v_cvt_f32_f16_e32 v48, v79
	s_waitcnt vmcnt(11)
	v_cvt_f32_f16_e32 v47, v80
	s_waitcnt vmcnt(10)
	v_cvt_f32_f16_e32 v46, v81
	s_waitcnt vmcnt(9)
	v_cvt_f32_f16_e32 v45, v82
	s_waitcnt vmcnt(8)
	v_cvt_f32_f16_e32 v44, v83
	s_waitcnt vmcnt(7)
	v_cvt_f32_f16_e32 v43, v84
	s_waitcnt vmcnt(6)
	v_cvt_f32_f16_e32 v42, v85
	s_waitcnt vmcnt(5)
	v_cvt_f32_f16_e32 v41, v86
	s_waitcnt vmcnt(4)
	v_cvt_f32_f16_e32 v40, v87
	s_waitcnt vmcnt(3)
	v_cvt_f32_f16_e32 v39, v88
	s_waitcnt vmcnt(2)
	v_cvt_f32_f16_e32 v38, v89
	s_waitcnt vmcnt(1)
	v_cvt_f32_f16_e32 v37, v90
	s_waitcnt vmcnt(0)
	v_cvt_f32_f16_e32 v36, v91
.LBB266_12:
	ds_read_b128 v[68:71], v3
	ds_read_b128 v[72:75], v3 offset:16
	ds_read_b128 v[76:79], v3 offset:32
	;; [unrolled: 1-line block ×3, first 2 shown]
	s_andn2_b64 vcc, exec, s[4:5]
	s_waitcnt vmcnt(15) lgkmcnt(3)
	v_fma_mix_f32 v4, v68, v4, 0 op_sel_hi:[0,1,0]
	s_waitcnt vmcnt(14)
	v_fma_mix_f32 v4, v69, v5, v4 op_sel_hi:[0,1,0]
	s_waitcnt vmcnt(13)
	v_fma_mix_f32 v4, v70, v6, v4 op_sel_hi:[0,1,0]
	s_waitcnt vmcnt(12)
	v_fma_mix_f32 v4, v71, v7, v4 op_sel_hi:[0,1,0]
	s_waitcnt vmcnt(11) lgkmcnt(2)
	v_fma_mix_f32 v4, v72, v8, v4 op_sel_hi:[0,1,0]
	s_waitcnt vmcnt(10)
	v_fma_mix_f32 v4, v73, v9, v4 op_sel_hi:[0,1,0]
	s_waitcnt vmcnt(9)
	v_fma_mix_f32 v4, v74, v10, v4 op_sel_hi:[0,1,0]
	s_waitcnt vmcnt(8)
	v_fma_mix_f32 v4, v75, v11, v4 op_sel_hi:[0,1,0]
	;; [unrolled: 8-line block ×4, first 2 shown]
	s_cbranch_vccnz .LBB266_15
; %bb.13:
	ds_read_b128 v[6:9], v3 offset:64
	ds_read_b128 v[10:13], v3 offset:80
	;; [unrolled: 1-line block ×4, first 2 shown]
	s_cmpk_lt_u32 s30, 0x2001
	s_waitcnt lgkmcnt(3)
	v_fma_mix_f32 v3, v6, v27, v4 op_sel_hi:[0,1,0]
	v_fma_mix_f32 v3, v7, v26, v3 op_sel_hi:[0,1,0]
	v_fma_mix_f32 v3, v8, v25, v3 op_sel_hi:[0,1,0]
	v_fma_mix_f32 v3, v9, v24, v3 op_sel_hi:[0,1,0]
	s_waitcnt lgkmcnt(2)
	v_fma_mix_f32 v3, v10, v23, v3 op_sel_hi:[0,1,0]
	v_fma_mix_f32 v3, v11, v22, v3 op_sel_hi:[0,1,0]
	v_fma_mix_f32 v3, v12, v21, v3 op_sel_hi:[0,1,0]
	v_fma_mix_f32 v3, v13, v20, v3 op_sel_hi:[0,1,0]
	;; [unrolled: 5-line block ×4, first 2 shown]
	s_cbranch_scc1 .LBB266_15
; %bb.14:
	v_mov_b32_e32 v3, 0
	ds_read_b128 v[6:9], v3 offset:128
	ds_read_b128 v[10:13], v3 offset:144
	;; [unrolled: 1-line block ×4, first 2 shown]
	s_waitcnt lgkmcnt(3)
	v_fmac_f32_e32 v4, v6, v67
	v_fmac_f32_e32 v4, v7, v66
	v_fmac_f32_e32 v4, v8, v65
	v_fmac_f32_e32 v4, v9, v64
	s_waitcnt lgkmcnt(2)
	v_fmac_f32_e32 v4, v10, v63
	v_fmac_f32_e32 v4, v11, v62
	v_fmac_f32_e32 v4, v12, v61
	v_fmac_f32_e32 v4, v13, v60
	s_waitcnt lgkmcnt(1)
	v_fmac_f32_e32 v4, v14, v59
	v_fmac_f32_e32 v4, v15, v58
	v_fmac_f32_e32 v4, v16, v57
	v_fmac_f32_e32 v4, v17, v56
	ds_read_b128 v[6:9], v3 offset:192
	ds_read_b128 v[10:13], v3 offset:208
	s_waitcnt lgkmcnt(2)
	v_fmac_f32_e32 v4, v18, v55
	v_fmac_f32_e32 v4, v19, v54
	;; [unrolled: 1-line block ×4, first 2 shown]
	s_waitcnt lgkmcnt(1)
	v_fmac_f32_e32 v4, v6, v51
	v_fmac_f32_e32 v4, v7, v50
	;; [unrolled: 1-line block ×4, first 2 shown]
	ds_read_b128 v[6:9], v3 offset:224
	s_waitcnt lgkmcnt(1)
	v_fmac_f32_e32 v4, v10, v47
	v_fmac_f32_e32 v4, v11, v46
	;; [unrolled: 1-line block ×4, first 2 shown]
	ds_read_b128 v[10:13], v3 offset:240
	s_waitcnt lgkmcnt(1)
	v_fmac_f32_e32 v4, v6, v43
	v_fmac_f32_e32 v4, v7, v42
	;; [unrolled: 1-line block ×4, first 2 shown]
	s_waitcnt lgkmcnt(0)
	v_fmac_f32_e32 v4, v10, v39
	v_fmac_f32_e32 v4, v11, v38
	;; [unrolled: 1-line block ×4, first 2 shown]
.LBB266_15:
	s_cmpk_lt_i32 s30, 0x4001
	s_cbranch_scc1 .LBB266_17
; %bb.16:
	s_cmpk_lt_i32 s30, 0x4101
	s_cselect_b32 s4, s6, 0x2080
	s_ashr_i32 s5, s4, 31
	s_cmpk_lt_i32 s30, 0x4201
	v_lshl_add_u64 v[14:15], s[4:5], 1, v[0:1]
	s_cselect_b32 s4, s6, 0x2100
	s_ashr_i32 s5, s4, 31
	s_cmpk_lt_i32 s30, 0x4301
	v_lshl_add_u64 v[16:17], s[4:5], 1, v[0:1]
	;; [unrolled: 4-line block ×7, first 2 shown]
	s_cselect_b32 s4, s6, 0x2400
	v_add_co_u32_e32 v12, vcc, 0x4000, v0
	s_ashr_i32 s5, s4, 31
	s_nop 0
	v_addc_co_u32_e32 v13, vcc, 0, v1, vcc
	s_cmpk_lt_i32 s30, 0x4901
	global_load_ushort v3, v[12:13], off
	global_load_ushort v5, v[14:15], off
	global_load_ushort v6, v[16:17], off
	global_load_ushort v7, v[18:19], off
	global_load_ushort v8, v[20:21], off
	global_load_ushort v9, v[22:23], off
	global_load_ushort v10, v[24:25], off
	global_load_ushort v11, v[26:27], off
	v_lshl_add_u64 v[12:13], s[4:5], 1, v[0:1]
	s_cselect_b32 s4, s6, 0x2480
	s_ashr_i32 s5, s4, 31
	s_cmpk_lt_i32 s30, 0x4a01
	v_lshl_add_u64 v[14:15], s[4:5], 1, v[0:1]
	s_cselect_b32 s4, s6, 0x2500
	s_ashr_i32 s5, s4, 31
	s_cmpk_lt_i32 s30, 0x4b01
	v_lshl_add_u64 v[16:17], s[4:5], 1, v[0:1]
	s_cselect_b32 s4, s6, 0x2580
	s_ashr_i32 s5, s4, 31
	s_cmpk_lt_i32 s30, 0x4c01
	v_lshl_add_u64 v[18:19], s[4:5], 1, v[0:1]
	s_cselect_b32 s4, s6, 0x2600
	s_ashr_i32 s5, s4, 31
	s_cmpk_lt_i32 s30, 0x4d01
	v_lshl_add_u64 v[20:21], s[4:5], 1, v[0:1]
	s_cselect_b32 s4, s6, 0x2680
	s_ashr_i32 s5, s4, 31
	s_cmpk_lt_i32 s30, 0x4e01
	v_lshl_add_u64 v[22:23], s[4:5], 1, v[0:1]
	s_cselect_b32 s4, s6, 0x2700
	s_ashr_i32 s5, s4, 31
	s_cmpk_lt_i32 s30, 0x4f01
	v_lshl_add_u64 v[24:25], s[4:5], 1, v[0:1]
	s_cselect_b32 s4, s6, 0x2780
	s_ashr_i32 s5, s4, 31
	s_cmpk_lt_i32 s30, 0x5001
	v_lshl_add_u64 v[26:27], s[4:5], 1, v[0:1]
	s_cselect_b32 s4, s6, 0x2800
	s_ashr_i32 s5, s4, 31
	s_cmpk_lt_i32 s30, 0x5101
	global_load_ushort v28, v[12:13], off
	global_load_ushort v29, v[14:15], off
	global_load_ushort v30, v[16:17], off
	global_load_ushort v31, v[18:19], off
	global_load_ushort v32, v[20:21], off
	global_load_ushort v33, v[22:23], off
	global_load_ushort v34, v[24:25], off
	global_load_ushort v35, v[26:27], off
	v_lshl_add_u64 v[12:13], s[4:5], 1, v[0:1]
	s_cselect_b32 s4, s6, 0x2880
	s_ashr_i32 s5, s4, 31
	s_cmpk_lt_i32 s30, 0x5201
	v_lshl_add_u64 v[14:15], s[4:5], 1, v[0:1]
	s_cselect_b32 s4, s6, 0x2900
	s_ashr_i32 s5, s4, 31
	s_cmpk_lt_i32 s30, 0x5301
	v_lshl_add_u64 v[16:17], s[4:5], 1, v[0:1]
	s_cselect_b32 s4, s6, 0x2980
	s_ashr_i32 s5, s4, 31
	s_cmpk_lt_i32 s30, 0x5401
	v_lshl_add_u64 v[18:19], s[4:5], 1, v[0:1]
	s_cselect_b32 s4, s6, 0x2a00
	s_ashr_i32 s5, s4, 31
	s_cmpk_lt_i32 s30, 0x5501
	v_lshl_add_u64 v[20:21], s[4:5], 1, v[0:1]
	s_cselect_b32 s4, s6, 0x2a80
	s_ashr_i32 s5, s4, 31
	s_cmpk_lt_i32 s30, 0x5601
	v_lshl_add_u64 v[22:23], s[4:5], 1, v[0:1]
	s_cselect_b32 s4, s6, 0x2b00
	s_ashr_i32 s5, s4, 31
	s_cmpk_lt_i32 s30, 0x5701
	v_lshl_add_u64 v[24:25], s[4:5], 1, v[0:1]
	s_cselect_b32 s4, s6, 0x2b80
	s_ashr_i32 s5, s4, 31
	s_cmpk_lt_i32 s30, 0x5801
	v_lshl_add_u64 v[26:27], s[4:5], 1, v[0:1]
	s_cselect_b32 s4, s6, 0x2c00
	s_ashr_i32 s5, s4, 31
	;; [unrolled: 40-line block ×6, first 2 shown]
	s_cmpk_lt_i32 s30, 0x7901
	global_load_ushort v68, v[12:13], off
	global_load_ushort v69, v[14:15], off
	;; [unrolled: 1-line block ×8, first 2 shown]
	v_lshl_add_u64 v[12:13], s[4:5], 1, v[0:1]
	s_cselect_b32 s4, s6, 0x3c80
	s_ashr_i32 s5, s4, 31
	s_cmpk_lt_i32 s30, 0x7a01
	v_lshl_add_u64 v[14:15], s[4:5], 1, v[0:1]
	s_cselect_b32 s4, s6, 0x3d00
	s_ashr_i32 s5, s4, 31
	s_cmpk_lt_i32 s30, 0x7b01
	;; [unrolled: 4-line block ×6, first 2 shown]
	v_lshl_add_u64 v[24:25], s[4:5], 1, v[0:1]
	s_cselect_b32 s4, s6, 0x3f80
	s_ashr_i32 s5, s4, 31
	v_lshl_add_u64 v[26:27], s[4:5], 1, v[0:1]
	global_load_ushort v76, v[12:13], off
	global_load_ushort v77, v[14:15], off
	;; [unrolled: 1-line block ×8, first 2 shown]
	v_mov_b32_e32 v84, 0
	ds_read_b128 v[12:15], v84 offset:256
	ds_read_b128 v[16:19], v84 offset:272
	ds_read_b128 v[20:23], v84 offset:288
	ds_read_b128 v[24:27], v84 offset:304
	s_waitcnt vmcnt(62) lgkmcnt(3)
	v_fma_mix_f32 v3, v12, v3, v4 op_sel_hi:[0,1,0]
	v_fma_mix_f32 v3, v13, v5, v3 op_sel_hi:[0,1,0]
	s_waitcnt vmcnt(61)
	v_fma_mix_f32 v3, v14, v6, v3 op_sel_hi:[0,1,0]
	s_waitcnt vmcnt(60)
	v_fma_mix_f32 v3, v15, v7, v3 op_sel_hi:[0,1,0]
	s_waitcnt vmcnt(59) lgkmcnt(2)
	v_fma_mix_f32 v3, v16, v8, v3 op_sel_hi:[0,1,0]
	s_waitcnt vmcnt(58)
	v_fma_mix_f32 v3, v17, v9, v3 op_sel_hi:[0,1,0]
	s_waitcnt vmcnt(57)
	;; [unrolled: 2-line block ×3, first 2 shown]
	v_fma_mix_f32 v3, v19, v11, v3 op_sel_hi:[0,1,0]
	s_waitcnt vmcnt(55) lgkmcnt(1)
	v_fma_mix_f32 v3, v20, v28, v3 op_sel_hi:[0,1,0]
	s_waitcnt vmcnt(54)
	v_fma_mix_f32 v3, v21, v29, v3 op_sel_hi:[0,1,0]
	s_waitcnt vmcnt(53)
	;; [unrolled: 2-line block ×3, first 2 shown]
	v_fma_mix_f32 v3, v23, v31, v3 op_sel_hi:[0,1,0]
	ds_read_b128 v[4:7], v84 offset:320
	ds_read_b128 v[8:11], v84 offset:336
	s_waitcnt vmcnt(51) lgkmcnt(2)
	v_fma_mix_f32 v3, v24, v32, v3 op_sel_hi:[0,1,0]
	s_waitcnt vmcnt(50)
	v_fma_mix_f32 v3, v25, v33, v3 op_sel_hi:[0,1,0]
	s_waitcnt vmcnt(49)
	;; [unrolled: 2-line block ×3, first 2 shown]
	v_fma_mix_f32 v3, v27, v35, v3 op_sel_hi:[0,1,0]
	s_waitcnt vmcnt(47) lgkmcnt(1)
	v_fma_mix_f32 v3, v4, v36, v3 op_sel_hi:[0,1,0]
	s_waitcnt vmcnt(46)
	v_fma_mix_f32 v3, v5, v37, v3 op_sel_hi:[0,1,0]
	s_waitcnt vmcnt(45)
	v_fma_mix_f32 v3, v6, v38, v3 op_sel_hi:[0,1,0]
	s_waitcnt vmcnt(44)
	v_fma_mix_f32 v3, v7, v39, v3 op_sel_hi:[0,1,0]
	ds_read_b128 v[4:7], v84 offset:352
	s_waitcnt vmcnt(43) lgkmcnt(1)
	v_fma_mix_f32 v3, v8, v40, v3 op_sel_hi:[0,1,0]
	s_waitcnt vmcnt(42)
	v_fma_mix_f32 v3, v9, v41, v3 op_sel_hi:[0,1,0]
	s_waitcnt vmcnt(41)
	v_fma_mix_f32 v3, v10, v42, v3 op_sel_hi:[0,1,0]
	s_waitcnt vmcnt(40)
	v_fma_mix_f32 v3, v11, v43, v3 op_sel_hi:[0,1,0]
	ds_read_b128 v[8:11], v84 offset:368
	;; [unrolled: 9-line block ×10, first 2 shown]
	s_waitcnt vmcnt(7) lgkmcnt(1)
	v_fma_mix_f32 v3, v4, v76, v3 op_sel_hi:[0,1,0]
	s_waitcnt vmcnt(6)
	v_fma_mix_f32 v3, v5, v77, v3 op_sel_hi:[0,1,0]
	s_waitcnt vmcnt(5)
	;; [unrolled: 2-line block ×3, first 2 shown]
	v_fma_mix_f32 v3, v7, v79, v3 op_sel_hi:[0,1,0]
	s_waitcnt vmcnt(3) lgkmcnt(0)
	v_fma_mix_f32 v3, v8, v80, v3 op_sel_hi:[0,1,0]
	s_waitcnt vmcnt(2)
	v_fma_mix_f32 v3, v9, v81, v3 op_sel_hi:[0,1,0]
	s_waitcnt vmcnt(1)
	;; [unrolled: 2-line block ×3, first 2 shown]
	v_fma_mix_f32 v4, v11, v83, v3 op_sel_hi:[0,1,0]
.LBB266_17:
	s_load_dwordx2 s[4:5], s[0:1], 0x38
	s_cmp_lt_i32 s30, 0x8001
	s_cbranch_scc1 .LBB266_19
; %bb.18:
	s_cmp_lt_i32 s30, 0x8101
	s_cselect_b32 s8, s6, 0x4080
	s_ashr_i32 s9, s8, 31
	s_cmp_lt_i32 s30, 0x8201
	v_lshl_add_u64 v[14:15], s[8:9], 1, v[0:1]
	s_cselect_b32 s8, s6, 0x4100
	s_ashr_i32 s9, s8, 31
	s_cmp_lt_i32 s30, 0x8301
	v_lshl_add_u64 v[16:17], s[8:9], 1, v[0:1]
	;; [unrolled: 4-line block ×7, first 2 shown]
	s_cselect_b32 s8, s6, 0x4400
	v_add_co_u32_e32 v12, vcc, 0x8000, v0
	s_ashr_i32 s9, s8, 31
	s_nop 0
	v_addc_co_u32_e32 v13, vcc, 0, v1, vcc
	s_cmp_lt_i32 s30, 0x8901
	global_load_ushort v3, v[12:13], off
	global_load_ushort v5, v[14:15], off
	global_load_ushort v6, v[16:17], off
	global_load_ushort v7, v[18:19], off
	global_load_ushort v8, v[20:21], off
	global_load_ushort v9, v[22:23], off
	global_load_ushort v10, v[24:25], off
	global_load_ushort v11, v[26:27], off
	v_lshl_add_u64 v[12:13], s[8:9], 1, v[0:1]
	s_cselect_b32 s8, s6, 0x4480
	s_ashr_i32 s9, s8, 31
	s_cmp_lt_i32 s30, 0x8a01
	v_lshl_add_u64 v[14:15], s[8:9], 1, v[0:1]
	s_cselect_b32 s8, s6, 0x4500
	s_ashr_i32 s9, s8, 31
	s_cmp_lt_i32 s30, 0x8b01
	v_lshl_add_u64 v[16:17], s[8:9], 1, v[0:1]
	s_cselect_b32 s8, s6, 0x4580
	s_ashr_i32 s9, s8, 31
	s_cmp_lt_i32 s30, 0x8c01
	v_lshl_add_u64 v[18:19], s[8:9], 1, v[0:1]
	s_cselect_b32 s8, s6, 0x4600
	s_ashr_i32 s9, s8, 31
	s_cmp_lt_i32 s30, 0x8d01
	v_lshl_add_u64 v[20:21], s[8:9], 1, v[0:1]
	s_cselect_b32 s8, s6, 0x4680
	s_ashr_i32 s9, s8, 31
	s_cmp_lt_i32 s30, 0x8e01
	v_lshl_add_u64 v[22:23], s[8:9], 1, v[0:1]
	s_cselect_b32 s8, s6, 0x4700
	s_ashr_i32 s9, s8, 31
	s_cmp_lt_i32 s30, 0x8f01
	v_lshl_add_u64 v[24:25], s[8:9], 1, v[0:1]
	s_cselect_b32 s8, s6, 0x4780
	s_ashr_i32 s9, s8, 31
	s_cmp_lt_i32 s30, 0x9001
	v_lshl_add_u64 v[26:27], s[8:9], 1, v[0:1]
	s_cselect_b32 s8, s6, 0x4800
	s_ashr_i32 s9, s8, 31
	s_cmp_lt_i32 s30, 0x9101
	global_load_ushort v28, v[12:13], off
	global_load_ushort v29, v[14:15], off
	global_load_ushort v30, v[16:17], off
	global_load_ushort v31, v[18:19], off
	global_load_ushort v32, v[20:21], off
	global_load_ushort v33, v[22:23], off
	global_load_ushort v34, v[24:25], off
	global_load_ushort v35, v[26:27], off
	v_lshl_add_u64 v[12:13], s[8:9], 1, v[0:1]
	s_cselect_b32 s8, s6, 0x4880
	s_ashr_i32 s9, s8, 31
	s_cmp_lt_i32 s30, 0x9201
	v_lshl_add_u64 v[14:15], s[8:9], 1, v[0:1]
	s_cselect_b32 s8, s6, 0x4900
	s_ashr_i32 s9, s8, 31
	s_cmp_lt_i32 s30, 0x9301
	v_lshl_add_u64 v[16:17], s[8:9], 1, v[0:1]
	s_cselect_b32 s8, s6, 0x4980
	s_ashr_i32 s9, s8, 31
	s_cmp_lt_i32 s30, 0x9401
	v_lshl_add_u64 v[18:19], s[8:9], 1, v[0:1]
	s_cselect_b32 s8, s6, 0x4a00
	s_ashr_i32 s9, s8, 31
	s_cmp_lt_i32 s30, 0x9501
	v_lshl_add_u64 v[20:21], s[8:9], 1, v[0:1]
	s_cselect_b32 s8, s6, 0x4a80
	s_ashr_i32 s9, s8, 31
	s_cmp_lt_i32 s30, 0x9601
	v_lshl_add_u64 v[22:23], s[8:9], 1, v[0:1]
	s_cselect_b32 s8, s6, 0x4b00
	s_ashr_i32 s9, s8, 31
	s_cmp_lt_i32 s30, 0x9701
	v_lshl_add_u64 v[24:25], s[8:9], 1, v[0:1]
	s_cselect_b32 s8, s6, 0x4b80
	s_ashr_i32 s9, s8, 31
	s_cmp_lt_i32 s30, 0x9801
	v_lshl_add_u64 v[26:27], s[8:9], 1, v[0:1]
	s_cselect_b32 s8, s6, 0x4c00
	s_ashr_i32 s9, s8, 31
	;; [unrolled: 40-line block ×6, first 2 shown]
	s_cmp_lt_i32 s30, 0xb901
	global_load_ushort v68, v[12:13], off
	global_load_ushort v69, v[14:15], off
	;; [unrolled: 1-line block ×8, first 2 shown]
	v_lshl_add_u64 v[12:13], s[8:9], 1, v[0:1]
	s_cselect_b32 s8, s6, 0x5c80
	s_ashr_i32 s9, s8, 31
	s_cmp_lt_i32 s30, 0xba01
	v_lshl_add_u64 v[14:15], s[8:9], 1, v[0:1]
	s_cselect_b32 s8, s6, 0x5d00
	s_ashr_i32 s9, s8, 31
	s_cmp_lt_i32 s30, 0xbb01
	;; [unrolled: 4-line block ×6, first 2 shown]
	s_cselect_b32 s6, s6, 0x5f80
	s_ashr_i32 s7, s6, 31
	v_lshl_add_u64 v[24:25], s[8:9], 1, v[0:1]
	v_lshl_add_u64 v[0:1], s[6:7], 1, v[0:1]
	global_load_ushort v76, v[12:13], off
	global_load_ushort v77, v[14:15], off
	;; [unrolled: 1-line block ×8, first 2 shown]
	v_mov_b32_e32 v0, 0
	ds_read_b128 v[12:15], v0 offset:512
	ds_read_b128 v[16:19], v0 offset:528
	;; [unrolled: 1-line block ×4, first 2 shown]
	s_waitcnt vmcnt(62) lgkmcnt(0)
	v_fma_mix_f32 v1, v12, v3, v4 op_sel_hi:[0,1,0]
	v_fma_mix_f32 v1, v13, v5, v1 op_sel_hi:[0,1,0]
	s_waitcnt vmcnt(61)
	v_fma_mix_f32 v1, v14, v6, v1 op_sel_hi:[0,1,0]
	s_waitcnt vmcnt(60)
	;; [unrolled: 2-line block ×10, first 2 shown]
	v_fma_mix_f32 v1, v23, v31, v1 op_sel_hi:[0,1,0]
	ds_read_b128 v[4:7], v0 offset:576
	ds_read_b128 v[8:11], v0 offset:592
	s_waitcnt vmcnt(51)
	v_fma_mix_f32 v1, v24, v32, v1 op_sel_hi:[0,1,0]
	s_waitcnt vmcnt(50)
	v_fma_mix_f32 v1, v25, v33, v1 op_sel_hi:[0,1,0]
	;; [unrolled: 2-line block ×4, first 2 shown]
	s_waitcnt vmcnt(47) lgkmcnt(1)
	v_fma_mix_f32 v1, v4, v36, v1 op_sel_hi:[0,1,0]
	s_waitcnt vmcnt(46)
	v_fma_mix_f32 v1, v5, v37, v1 op_sel_hi:[0,1,0]
	s_waitcnt vmcnt(45)
	v_fma_mix_f32 v1, v6, v38, v1 op_sel_hi:[0,1,0]
	s_waitcnt vmcnt(44)
	v_fma_mix_f32 v1, v7, v39, v1 op_sel_hi:[0,1,0]
	ds_read_b128 v[4:7], v0 offset:608
	s_waitcnt vmcnt(43) lgkmcnt(1)
	v_fma_mix_f32 v1, v8, v40, v1 op_sel_hi:[0,1,0]
	s_waitcnt vmcnt(42)
	v_fma_mix_f32 v1, v9, v41, v1 op_sel_hi:[0,1,0]
	s_waitcnt vmcnt(41)
	v_fma_mix_f32 v1, v10, v42, v1 op_sel_hi:[0,1,0]
	s_waitcnt vmcnt(40)
	v_fma_mix_f32 v1, v11, v43, v1 op_sel_hi:[0,1,0]
	ds_read_b128 v[8:11], v0 offset:624
	;; [unrolled: 9-line block ×10, first 2 shown]
	s_waitcnt vmcnt(7) lgkmcnt(1)
	v_fma_mix_f32 v0, v4, v76, v1 op_sel_hi:[0,1,0]
	s_waitcnt vmcnt(6)
	v_fma_mix_f32 v0, v5, v77, v0 op_sel_hi:[0,1,0]
	s_waitcnt vmcnt(5)
	;; [unrolled: 2-line block ×3, first 2 shown]
	v_fma_mix_f32 v0, v7, v79, v0 op_sel_hi:[0,1,0]
	s_waitcnt vmcnt(3) lgkmcnt(0)
	v_fma_mix_f32 v0, v8, v80, v0 op_sel_hi:[0,1,0]
	s_waitcnt vmcnt(2)
	v_fma_mix_f32 v0, v9, v81, v0 op_sel_hi:[0,1,0]
	s_waitcnt vmcnt(1)
	;; [unrolled: 2-line block ×3, first 2 shown]
	v_fma_mix_f32 v4, v11, v83, v0 op_sel_hi:[0,1,0]
.LBB266_19:
	v_mov_b32_e32 v0, 0
	s_load_dwordx2 s[0:1], s[0:1], 0x0
	ds_read_b32 v1, v0 offset:768
	s_waitcnt lgkmcnt(0)
	s_cmp_eq_u64 s[4:5], 0
	s_cbranch_scc1 .LBB266_24
; %bb.20:
	s_load_dword s6, s[4:5], 0x0
	s_waitcnt lgkmcnt(0)
	v_div_scale_f32 v0, s[4:5], s6, s6, 1.0
	v_rcp_f32_e32 v3, v0
	v_div_scale_f32 v5, vcc, 1.0, s6, 1.0
	v_fma_f32 v6, -v0, v3, 1.0
	v_fmac_f32_e32 v3, v6, v3
	v_mul_f32_e32 v6, v5, v3
	v_fma_f32 v7, -v0, v6, v5
	v_fmac_f32_e32 v6, v7, v3
	v_fma_f32 v0, -v0, v6, v5
	v_div_fmas_f32 v0, v0, v3, v6
	v_div_fixup_f32 v0, v0, s6, 1.0
	s_andn2_b64 vcc, exec, s[22:23]
	s_cbranch_vccnz .LBB266_22
.LBB266_21:
	s_add_u32 s4, s20, s24
	s_addc_u32 s5, s21, s25
	s_load_dword s10, s[4:5], 0x0
	s_mov_b32 s11, 0
.LBB266_22:
	v_add_f32_e32 v1, 0x358637bd, v1
	v_div_scale_f32 v3, s[4:5], v1, v1, 1.0
	v_rcp_f32_e32 v5, v3
	v_div_scale_f32 v6, vcc, 1.0, v1, 1.0
	s_mul_i32 s4, s3, s11
	v_fma_f32 v7, -v3, v5, 1.0
	v_fmac_f32_e32 v5, v7, v5
	v_mul_f32_e32 v7, v6, v5
	v_fma_f32 v8, -v3, v7, v6
	s_waitcnt lgkmcnt(0)
	s_mul_hi_u32 s5, s3, s10
	v_fmac_f32_e32 v7, v8, v5
	s_add_i32 s5, s5, s4
	s_mul_i32 s4, s3, s10
	v_fma_f32 v3, -v3, v7, v6
	s_lshl_b64 s[4:5], s[4:5], 8
	v_div_fmas_f32 v3, v3, v5, v7
	s_add_u32 s4, s0, s4
	s_mov_b32 s3, 0
	v_div_fixup_f32 v1, v3, v1, 1.0
	s_addc_u32 s5, s1, s5
	s_lshl_b64 s[0:1], s[2:3], 8
	v_mul_f32_e32 v1, v4, v1
	s_add_u32 s0, s4, s0
	s_addc_u32 s1, s5, s1
	v_fma_mixlo_f16 v0, v1, v0, 0
	global_store_short v2, v0, s[0:1]
	s_endpgm
.LBB266_23:
	s_mov_b64 s[6:7], 0
	s_branch .LBB266_2
.LBB266_24:
	v_mov_b32_e32 v0, 1.0
	s_andn2_b64 vcc, exec, s[22:23]
	s_cbranch_vccz .LBB266_21
	s_branch .LBB266_22
	.section	.rodata,"a",@progbits
	.p2align	6, 0x0
	.amdhsa_kernel _Z35paged_attention_ll4mi_reduce_kernelIDF16_DF16_Li128ELi128ELi256ELi3EEvPT0_PKfS3_PKT_PKiS8_iS3_
		.amdhsa_group_segment_fixed_size 772
		.amdhsa_private_segment_fixed_size 0
		.amdhsa_kernarg_size 320
		.amdhsa_user_sgpr_count 2
		.amdhsa_user_sgpr_dispatch_ptr 0
		.amdhsa_user_sgpr_queue_ptr 0
		.amdhsa_user_sgpr_kernarg_segment_ptr 1
		.amdhsa_user_sgpr_dispatch_id 0
		.amdhsa_user_sgpr_kernarg_preload_length 0
		.amdhsa_user_sgpr_kernarg_preload_offset 0
		.amdhsa_user_sgpr_private_segment_size 0
		.amdhsa_uses_dynamic_stack 0
		.amdhsa_enable_private_segment 0
		.amdhsa_system_sgpr_workgroup_id_x 1
		.amdhsa_system_sgpr_workgroup_id_y 1
		.amdhsa_system_sgpr_workgroup_id_z 0
		.amdhsa_system_sgpr_workgroup_info 0
		.amdhsa_system_vgpr_workitem_id 0
		.amdhsa_next_free_vgpr 92
		.amdhsa_next_free_sgpr 36
		.amdhsa_accum_offset 92
		.amdhsa_reserve_vcc 1
		.amdhsa_float_round_mode_32 0
		.amdhsa_float_round_mode_16_64 0
		.amdhsa_float_denorm_mode_32 3
		.amdhsa_float_denorm_mode_16_64 3
		.amdhsa_dx10_clamp 1
		.amdhsa_ieee_mode 1
		.amdhsa_fp16_overflow 0
		.amdhsa_tg_split 0
		.amdhsa_exception_fp_ieee_invalid_op 0
		.amdhsa_exception_fp_denorm_src 0
		.amdhsa_exception_fp_ieee_div_zero 0
		.amdhsa_exception_fp_ieee_overflow 0
		.amdhsa_exception_fp_ieee_underflow 0
		.amdhsa_exception_fp_ieee_inexact 0
		.amdhsa_exception_int_div_zero 0
	.end_amdhsa_kernel
	.section	.text._Z35paged_attention_ll4mi_reduce_kernelIDF16_DF16_Li128ELi128ELi256ELi3EEvPT0_PKfS3_PKT_PKiS8_iS3_,"axG",@progbits,_Z35paged_attention_ll4mi_reduce_kernelIDF16_DF16_Li128ELi128ELi256ELi3EEvPT0_PKfS3_PKT_PKiS8_iS3_,comdat
.Lfunc_end266:
	.size	_Z35paged_attention_ll4mi_reduce_kernelIDF16_DF16_Li128ELi128ELi256ELi3EEvPT0_PKfS3_PKT_PKiS8_iS3_, .Lfunc_end266-_Z35paged_attention_ll4mi_reduce_kernelIDF16_DF16_Li128ELi128ELi256ELi3EEvPT0_PKfS3_PKT_PKiS8_iS3_
                                        ; -- End function
	.section	.AMDGPU.csdata,"",@progbits
; Kernel info:
; codeLenInByte = 11120
; NumSgprs: 42
; NumVgprs: 92
; NumAgprs: 0
; TotalNumVgprs: 92
; ScratchSize: 0
; MemoryBound: 0
; FloatMode: 240
; IeeeMode: 1
; LDSByteSize: 772 bytes/workgroup (compile time only)
; SGPRBlocks: 5
; VGPRBlocks: 11
; NumSGPRsForWavesPerEU: 42
; NumVGPRsForWavesPerEU: 92
; AccumOffset: 92
; Occupancy: 5
; WaveLimiterHint : 1
; COMPUTE_PGM_RSRC2:SCRATCH_EN: 0
; COMPUTE_PGM_RSRC2:USER_SGPR: 2
; COMPUTE_PGM_RSRC2:TRAP_HANDLER: 0
; COMPUTE_PGM_RSRC2:TGID_X_EN: 1
; COMPUTE_PGM_RSRC2:TGID_Y_EN: 1
; COMPUTE_PGM_RSRC2:TGID_Z_EN: 0
; COMPUTE_PGM_RSRC2:TIDIG_COMP_CNT: 0
; COMPUTE_PGM_RSRC3_GFX90A:ACCUM_OFFSET: 22
; COMPUTE_PGM_RSRC3_GFX90A:TG_SPLIT: 0
	.section	.text._Z35paged_attention_ll4mi_reduce_kernelIDF16_DF16_Li128ELi128ELi256ELi4EEvPT0_PKfS3_PKT_PKiS8_iS3_,"axG",@progbits,_Z35paged_attention_ll4mi_reduce_kernelIDF16_DF16_Li128ELi128ELi256ELi4EEvPT0_PKfS3_PKT_PKiS8_iS3_,comdat
	.protected	_Z35paged_attention_ll4mi_reduce_kernelIDF16_DF16_Li128ELi128ELi256ELi4EEvPT0_PKfS3_PKT_PKiS8_iS3_ ; -- Begin function _Z35paged_attention_ll4mi_reduce_kernelIDF16_DF16_Li128ELi128ELi256ELi4EEvPT0_PKfS3_PKT_PKiS8_iS3_
	.globl	_Z35paged_attention_ll4mi_reduce_kernelIDF16_DF16_Li128ELi128ELi256ELi4EEvPT0_PKfS3_PKT_PKiS8_iS3_
	.p2align	8
	.type	_Z35paged_attention_ll4mi_reduce_kernelIDF16_DF16_Li128ELi128ELi256ELi4EEvPT0_PKfS3_PKT_PKiS8_iS3_,@function
_Z35paged_attention_ll4mi_reduce_kernelIDF16_DF16_Li128ELi128ELi256ELi4EEvPT0_PKfS3_PKT_PKiS8_iS3_: ; @_Z35paged_attention_ll4mi_reduce_kernelIDF16_DF16_Li128ELi128ELi256ELi4EEvPT0_PKfS3_PKT_PKiS8_iS3_
; %bb.0:
	s_load_dwordx2 s[22:23], s[0:1], 0x28
	s_mov_b32 s20, s3
	s_mov_b64 s[4:5], 0
	s_waitcnt lgkmcnt(0)
	s_cmp_lg_u64 s[22:23], 0
	s_cselect_b64 s[24:25], -1, 0
	s_and_b64 vcc, exec, s[24:25]
	s_cbranch_vccz .LBB267_23
; %bb.1:
	s_add_i32 s6, s20, 1
	s_mov_b32 s7, 0
	s_lshl_b64 s[8:9], s[6:7], 2
	s_add_u32 s8, s22, s8
	s_mov_b32 s21, s7
	s_addc_u32 s9, s23, s9
	s_lshl_b64 s[6:7], s[20:21], 2
	s_add_u32 s6, s22, s6
	s_addc_u32 s7, s23, s7
	s_load_dword s3, s[8:9], 0x0
	s_load_dword s10, s[6:7], 0x0
	s_waitcnt lgkmcnt(0)
	s_sub_i32 s3, s3, s10
	s_cmp_eq_u32 s3, 1
	s_cselect_b64 s[6:7], -1, 0
	s_andn2_b64 vcc, exec, s[4:5]
	s_cbranch_vccnz .LBB267_3
.LBB267_2:
	s_mov_b32 s21, 0
	s_mov_b64 s[6:7], -1
.LBB267_3:
	s_andn2_b64 vcc, exec, s[6:7]
	s_cbranch_vccz .LBB267_5
; %bb.4:
	s_endpgm
.LBB267_5:
	s_load_dwordx4 s[12:15], s[0:1], 0x18
	s_load_dword s8, s[0:1], 0x30
	s_lshl_b64 s[26:27], s[20:21], 2
	v_cmp_lt_u32_e32 vcc, 63, v0
	s_waitcnt lgkmcnt(0)
	s_add_u32 s4, s14, s26
	s_addc_u32 s5, s15, s27
	s_load_dword s34, s[4:5], 0x0
	s_load_dword s3, s[0:1], 0x40
	s_mul_i32 s14, s2, s8
	s_mul_i32 s6, s20, s8
	s_waitcnt lgkmcnt(0)
	s_add_i32 s7, s34, 0xff
	s_ashr_i32 s4, s7, 31
	s_lshr_b32 s4, s4, 24
	s_add_i32 s7, s7, s4
	s_and_saveexec_b64 s[4:5], vcc
	s_xor_b64 s[4:5], exec, s[4:5]
	s_or_saveexec_b64 s[28:29], s[4:5]
	s_ashr_i32 s33, s7, 8
	v_mov_b32_e32 v1, s14
	s_mul_i32 s30, s6, s3
	s_xor_b64 exec, exec, s[28:29]
	s_cbranch_execz .LBB267_9
; %bb.6:
	s_load_dwordx4 s[16:19], s[0:1], 0x8
	s_add_i32 s4, s33, -1
	v_or_b32_e32 v3, 64, v0
	v_mov_b32_e32 v1, s4
	v_cmp_gt_u32_e64 s[8:9], s33, v3
	s_mov_b32 s31, 0
	s_lshl_b64 s[36:37], s[30:31], 2
	v_cndmask_b32_e64 v4, v1, v3, s[8:9]
	v_or_b32_e32 v3, 0x80, v0
	v_cmp_gt_u32_e64 s[4:5], s33, v3
	s_mov_b32 s15, s31
	v_cmp_gt_u32_e64 s[6:7], s33, v0
	v_cndmask_b32_e64 v6, v1, v3, s[4:5]
	v_or_b32_e32 v3, 0xc0, v0
	s_waitcnt lgkmcnt(0)
	s_add_u32 s10, s18, s36
	v_cndmask_b32_e64 v2, v1, v0, s[6:7]
	v_cmp_gt_u32_e32 vcc, s33, v3
	s_addc_u32 s11, s19, s37
	s_lshl_b64 s[18:19], s[14:15], 2
	v_cndmask_b32_e32 v8, v1, v3, vcc
	s_add_u32 s10, s10, s18
	v_ashrrev_i32_e32 v3, 31, v2
	s_addc_u32 s11, s11, s19
	v_lshlrev_b64 v[2:3], 2, v[2:3]
	v_ashrrev_i32_e32 v5, 31, v4
	v_lshl_add_u64 v[10:11], s[10:11], 0, v[2:3]
	v_lshlrev_b64 v[4:5], 2, v[4:5]
	v_ashrrev_i32_e32 v7, 31, v6
	v_lshl_add_u64 v[12:13], s[10:11], 0, v[4:5]
	v_lshlrev_b64 v[6:7], 2, v[6:7]
	v_ashrrev_i32_e32 v9, 31, v8
	global_load_dword v1, v[10:11], off
	global_load_dword v16, v[12:13], off
	v_lshl_add_u64 v[14:15], s[10:11], 0, v[6:7]
	v_lshlrev_b64 v[8:9], 2, v[8:9]
	v_lshl_add_u64 v[10:11], s[10:11], 0, v[8:9]
	global_load_dword v12, v[14:15], off
	global_load_dword v13, v[10:11], off
	v_mbcnt_lo_u32_b32 v10, -1, 0
	v_mbcnt_hi_u32_b32 v10, -1, v10
	v_and_b32_e32 v11, 64, v10
	v_xor_b32_e32 v14, 32, v10
	v_add_u32_e32 v11, 64, v11
	v_cmp_lt_i32_e64 s[10:11], v14, v11
	v_xor_b32_e32 v15, 16, v10
	v_xor_b32_e32 v17, 8, v10
	v_cndmask_b32_e64 v14, v10, v14, s[10:11]
	v_cmp_lt_i32_e64 s[10:11], v15, v11
	v_lshlrev_b32_e32 v14, 2, v14
	v_xor_b32_e32 v18, 4, v10
	v_cndmask_b32_e64 v15, v10, v15, s[10:11]
	s_add_u32 s10, s16, s36
	s_addc_u32 s11, s17, s37
	s_add_u32 s16, s10, s18
	s_addc_u32 s17, s11, s19
	v_lshl_add_u64 v[2:3], s[16:17], 0, v[2:3]
	v_lshl_add_u64 v[4:5], s[16:17], 0, v[4:5]
	global_load_dword v22, v[2:3], off
	global_load_dword v23, v[4:5], off
	v_lshlrev_b32_e32 v15, 2, v15
	v_cmp_lt_i32_e64 s[10:11], v17, v11
	v_xor_b32_e32 v19, 2, v10
	s_mov_b32 s15, 0x3fb8aa3b
	v_cndmask_b32_e64 v4, v10, v17, s[10:11]
	v_lshlrev_b32_e32 v17, 2, v4
	v_cmp_lt_i32_e64 s[10:11], v18, v11
	s_waitcnt vmcnt(5)
	v_max_f32_e32 v21, v1, v1
	s_waitcnt vmcnt(4)
	v_max_f32_e32 v20, v16, v16
	v_max_f32_e32 v20, v21, v20
	v_cndmask_b32_e64 v5, v10, v18, s[10:11]
	v_cmp_lt_i32_e64 s[10:11], v19, v11
	s_waitcnt vmcnt(2)
	v_max3_f32 v20, v20, v12, v13
	ds_bpermute_b32 v21, v14, v20
	v_cndmask_b32_e64 v4, v10, v19, s[10:11]
	v_lshlrev_b32_e32 v18, 2, v5
	v_lshlrev_b32_e32 v19, 2, v4
	v_lshl_add_u64 v[4:5], s[16:17], 0, v[8:9]
	s_waitcnt lgkmcnt(0)
	v_max_f32_e32 v2, v21, v21
	v_max_f32_e32 v2, v20, v2
	ds_bpermute_b32 v3, v15, v2
	s_waitcnt lgkmcnt(0)
	v_max_f32_e32 v3, v3, v3
	v_max_f32_e32 v2, v2, v3
	ds_bpermute_b32 v3, v17, v2
	s_waitcnt lgkmcnt(0)
	v_max_f32_e32 v3, v3, v3
	v_max_f32_e32 v20, v2, v3
	v_lshl_add_u64 v[2:3], s[16:17], 0, v[6:7]
	global_load_dword v6, v[2:3], off
	global_load_dword v7, v[4:5], off
	ds_bpermute_b32 v21, v18, v20
	v_xor_b32_e32 v4, 1, v10
	v_cmp_lt_i32_e64 s[10:11], v4, v11
	s_mov_b32 s16, 0xc2ce8ed0
	s_mov_b32 s17, 0x42b17218
	s_waitcnt lgkmcnt(0)
	v_max_f32_e32 v2, v21, v21
	v_max_f32_e32 v2, v20, v2
	ds_bpermute_b32 v3, v19, v2
	v_cndmask_b32_e64 v4, v10, v4, s[10:11]
	v_lshlrev_b32_e32 v4, 2, v4
	v_mov_b32_e32 v5, 0x7f800000
	s_waitcnt lgkmcnt(0)
	v_max_f32_e32 v3, v3, v3
	v_max_f32_e32 v2, v2, v3
	ds_bpermute_b32 v3, v4, v2
	s_waitcnt lgkmcnt(0)
	v_max_f32_e32 v3, v3, v3
	v_max_f32_e32 v2, v2, v3
	v_sub_f32_e32 v1, v1, v2
	v_sub_f32_e32 v3, v16, v2
	v_mul_f32_e32 v9, 0x3fb8aa3b, v1
	v_sub_f32_e32 v8, v12, v2
	v_mul_f32_e32 v10, 0x3fb8aa3b, v3
	v_fma_f32 v12, v1, s15, -v9
	v_rndne_f32_e32 v16, v9
	v_mul_f32_e32 v11, 0x3fb8aa3b, v8
	v_fma_f32 v20, v3, s15, -v10
	v_rndne_f32_e32 v21, v10
	v_fmac_f32_e32 v12, 0x32a5705f, v1
	v_sub_f32_e32 v9, v9, v16
	v_fma_f32 v24, v8, s15, -v11
	v_rndne_f32_e32 v25, v11
	v_fmac_f32_e32 v20, 0x32a5705f, v3
	v_sub_f32_e32 v10, v10, v21
	v_add_f32_e32 v9, v9, v12
	v_cvt_i32_f32_e32 v16, v16
	v_fmac_f32_e32 v24, 0x32a5705f, v8
	v_sub_f32_e32 v11, v11, v25
	v_add_f32_e32 v10, v10, v20
	v_exp_f32_e32 v9, v9
	v_cvt_i32_f32_e32 v21, v21
	v_add_f32_e32 v11, v11, v24
	v_exp_f32_e32 v10, v10
	v_cvt_i32_f32_e32 v25, v25
	v_exp_f32_e32 v11, v11
	v_ldexp_f32 v9, v9, v16
	v_cmp_ngt_f32_e64 s[10:11], s16, v1
	v_ldexp_f32 v10, v10, v21
	v_ldexp_f32 v11, v11, v25
	v_cndmask_b32_e64 v9, 0, v9, s[10:11]
	v_cmp_ngt_f32_e64 s[10:11], s16, v3
	v_sub_f32_e32 v2, v13, v2
	s_nop 0
	v_cndmask_b32_e64 v10, 0, v10, s[10:11]
	v_cmp_ngt_f32_e64 s[10:11], s16, v8
	s_nop 1
	v_cndmask_b32_e64 v11, 0, v11, s[10:11]
	v_cmp_nlt_f32_e64 s[10:11], s17, v1
	s_nop 1
	v_cndmask_b32_e64 v1, v5, v9, s[10:11]
	v_cmp_nlt_f32_e64 s[10:11], s17, v3
	v_cndmask_b32_e64 v1, 0, v1, s[6:7]
	v_cmp_nlt_f32_e64 s[6:7], s17, v8
	v_cndmask_b32_e64 v3, v5, v10, s[10:11]
	v_mul_f32_e32 v10, 0x3fb8aa3b, v2
	v_fma_f32 v12, v2, s15, -v10
	v_rndne_f32_e32 v13, v10
	v_fmac_f32_e32 v12, 0x32a5705f, v2
	v_sub_f32_e32 v10, v10, v13
	v_add_f32_e32 v10, v10, v12
	v_exp_f32_e32 v10, v10
	v_cvt_i32_f32_e32 v12, v13
	v_cndmask_b32_e64 v8, v5, v11, s[6:7]
	v_cndmask_b32_e64 v8, 0, v8, s[4:5]
	v_cmp_ngt_f32_e64 s[4:5], s16, v2
	v_ldexp_f32 v10, v10, v12
	v_cndmask_b32_e64 v3, 0, v3, s[8:9]
	v_cndmask_b32_e64 v10, 0, v10, s[4:5]
	v_cmp_nlt_f32_e64 s[4:5], s17, v2
	s_waitcnt vmcnt(3)
	v_mul_f32_e32 v1, v22, v1
	s_waitcnt vmcnt(2)
	v_mul_f32_e32 v9, v23, v3
	v_cndmask_b32_e64 v2, v5, v10, s[4:5]
	v_lshlrev_b32_e32 v10, 2, v0
	ds_write2st64_b32 v10, v1, v9 offset1:1
	v_fmac_f32_e32 v1, v23, v3
	v_cndmask_b32_e32 v5, 0, v2, vcc
	s_waitcnt vmcnt(1)
	v_fmac_f32_e32 v1, v6, v8
	s_waitcnt vmcnt(0)
	v_fmac_f32_e32 v1, v7, v5
	ds_bpermute_b32 v2, v14, v1
	v_mul_f32_e32 v3, v6, v8
	v_cmp_eq_u32_e32 vcc, 0, v0
	s_waitcnt lgkmcnt(0)
	v_add_f32_e32 v1, v1, v2
	ds_bpermute_b32 v2, v15, v1
	s_waitcnt lgkmcnt(0)
	v_add_f32_e32 v1, v1, v2
	ds_bpermute_b32 v2, v17, v1
	;; [unrolled: 3-line block ×5, first 2 shown]
	v_mul_f32_e32 v4, v7, v5
	ds_write2st64_b32 v10, v3, v4 offset0:2 offset1:3
	s_and_saveexec_b64 s[4:5], vcc
	s_cbranch_execz .LBB267_8
; %bb.7:
	s_waitcnt lgkmcnt(1)
	v_add_f32_e32 v1, v1, v2
	v_mov_b32_e32 v2, 0
	ds_write_b32 v2, v1 offset:1024
.LBB267_8:
	s_or_b64 exec, exec, s[4:5]
	v_mov_b32_e32 v1, s14
.LBB267_9:
	s_or_b64 exec, exec, s[28:29]
	s_lshl_b32 s4, s30, 7
	s_mov_b32 s5, 0
	s_lshl_b64 s[4:5], s[4:5], 1
	s_add_u32 s4, s12, s4
	s_addc_u32 s5, s13, s5
	s_lshl_b32 s10, s33, 7
	s_add_i32 s11, s10, 0xffffff80
	s_waitcnt lgkmcnt(1)
	v_lshlrev_b32_e32 v2, 7, v1
	v_mov_b32_e32 v3, 0
	s_cmp_lt_i32 s34, 1
	v_lshl_add_u64 v[4:5], v[2:3], 1, s[4:5]
	s_cselect_b32 s4, s11, 0
	v_lshlrev_b32_e32 v2, 1, v0
	s_ashr_i32 s5, s4, 31
	v_lshl_add_u64 v[0:1], v[4:5], 0, v[2:3]
	s_cmpk_lt_i32 s34, 0x101
	v_lshl_add_u64 v[12:13], s[4:5], 1, v[0:1]
	s_cselect_b32 s4, s11, 0x80
	s_ashr_i32 s5, s4, 31
	s_cmpk_lt_i32 s34, 0x201
	v_lshl_add_u64 v[14:15], s[4:5], 1, v[0:1]
	s_cselect_b32 s4, s11, 0x100
	s_ashr_i32 s5, s4, 31
	;; [unrolled: 4-line block ×8, first 2 shown]
	s_cmpk_lt_i32 s34, 0x901
	global_load_ushort v4, v[12:13], off
	global_load_ushort v5, v[14:15], off
	;; [unrolled: 1-line block ×8, first 2 shown]
	v_lshl_add_u64 v[20:21], s[4:5], 1, v[0:1]
	s_cselect_b32 s4, s11, 0x480
	s_ashr_i32 s5, s4, 31
	s_cmpk_lt_i32 s34, 0xa01
	v_lshl_add_u64 v[22:23], s[4:5], 1, v[0:1]
	s_cselect_b32 s4, s11, 0x500
	s_ashr_i32 s5, s4, 31
	s_cmpk_lt_i32 s34, 0xb01
	;; [unrolled: 4-line block ×6, first 2 shown]
	v_lshl_add_u64 v[32:33], s[4:5], 1, v[0:1]
	s_cselect_b32 s4, s11, 0x780
	s_ashr_i32 s5, s4, 31
	v_lshl_add_u64 v[34:35], s[4:5], 1, v[0:1]
	global_load_ushort v12, v[20:21], off
	global_load_ushort v13, v[22:23], off
	;; [unrolled: 1-line block ×8, first 2 shown]
	s_cmpk_gt_i32 s34, 0x1000
	s_cselect_b64 s[8:9], -1, 0
	s_cmpk_lt_i32 s34, 0x1001
	v_mov_b32_e32 v36, 0
	v_mov_b32_e32 v37, 0
	v_mov_b32_e32 v38, 0
	v_mov_b32_e32 v39, 0
	v_mov_b32_e32 v40, 0
	v_mov_b32_e32 v41, 0
	v_mov_b32_e32 v42, 0
	v_mov_b32_e32 v43, 0
	v_mov_b32_e32 v44, 0
	v_mov_b32_e32 v45, 0
	v_mov_b32_e32 v46, 0
	v_mov_b32_e32 v47, 0
	v_mov_b32_e32 v48, 0
	v_mov_b32_e32 v49, 0
	v_mov_b32_e32 v50, 0
	v_mov_b32_e32 v51, 0
	v_mov_b32_e32 v52, 0
	v_mov_b32_e32 v53, 0
	v_mov_b32_e32 v54, 0
	v_mov_b32_e32 v55, 0
	v_mov_b32_e32 v56, 0
	v_mov_b32_e32 v57, 0
	v_mov_b32_e32 v58, 0
	v_mov_b32_e32 v59, 0
	v_mov_b32_e32 v60, 0
	v_mov_b32_e32 v61, 0
	v_mov_b32_e32 v62, 0
	v_mov_b32_e32 v63, 0
	v_mov_b32_e32 v64, 0
	v_mov_b32_e32 v65, 0
	v_mov_b32_e32 v66, 0
	v_mov_b32_e32 v67, 0
	v_mov_b32_e32 v28, 0
	v_mov_b32_e32 v29, 0
	v_mov_b32_e32 v30, 0
	v_mov_b32_e32 v31, 0
	v_mov_b32_e32 v32, 0
	v_mov_b32_e32 v33, 0
	v_mov_b32_e32 v34, 0
	v_mov_b32_e32 v35, 0
	v_mov_b32_e32 v20, 0
	v_mov_b32_e32 v21, 0
	v_mov_b32_e32 v22, 0
	v_mov_b32_e32 v23, 0
	v_mov_b32_e32 v24, 0
	v_mov_b32_e32 v25, 0
	v_mov_b32_e32 v26, 0
	v_mov_b32_e32 v27, 0
	s_waitcnt lgkmcnt(0)
	s_barrier
	s_cbranch_scc1 .LBB267_12
; %bb.10:
	s_cmpk_lt_u32 s34, 0x1101
	s_cselect_b32 s4, s11, 0x880
	s_ashr_i32 s5, s4, 31
	s_cmpk_lt_u32 s34, 0x1201
	v_lshl_add_u64 v[30:31], s[4:5], 1, v[0:1]
	s_cselect_b32 s4, s11, 0x900
	s_ashr_i32 s5, s4, 31
	s_cmpk_lt_u32 s34, 0x1301
	v_lshl_add_u64 v[32:33], s[4:5], 1, v[0:1]
	;; [unrolled: 4-line block ×7, first 2 shown]
	s_cselect_b32 s4, s11, 0xc00
	v_add_co_u32_e32 v28, vcc, 0x1000, v0
	s_ashr_i32 s5, s4, 31
	s_nop 0
	v_addc_co_u32_e32 v29, vcc, 0, v1, vcc
	s_cmpk_lt_u32 s34, 0x1901
	global_load_ushort v27, v[28:29], off
	global_load_ushort v26, v[30:31], off
	;; [unrolled: 1-line block ×8, first 2 shown]
	v_lshl_add_u64 v[36:37], s[4:5], 1, v[0:1]
	s_cselect_b32 s4, s11, 0xc80
	s_ashr_i32 s5, s4, 31
	s_cmpk_lt_u32 s34, 0x1a01
	v_lshl_add_u64 v[38:39], s[4:5], 1, v[0:1]
	s_cselect_b32 s4, s11, 0xd00
	s_ashr_i32 s5, s4, 31
	s_cmpk_lt_u32 s34, 0x1b01
	;; [unrolled: 4-line block ×6, first 2 shown]
	v_lshl_add_u64 v[48:49], s[4:5], 1, v[0:1]
	s_cselect_b32 s4, s11, 0xf80
	s_ashr_i32 s5, s4, 31
	v_lshl_add_u64 v[50:51], s[4:5], 1, v[0:1]
	global_load_ushort v35, v[36:37], off
	global_load_ushort v34, v[38:39], off
	;; [unrolled: 1-line block ×8, first 2 shown]
	s_cmpk_lt_u32 s34, 0x2001
	v_mov_b32_e32 v67, 0
	v_mov_b32_e32 v66, 0
	;; [unrolled: 1-line block ×32, first 2 shown]
	s_cbranch_scc1 .LBB267_12
; %bb.11:
	s_cmpk_lt_u32 s34, 0x2101
	s_cselect_b32 s4, s11, 0x1080
	s_ashr_i32 s5, s4, 31
	s_cmpk_lt_u32 s34, 0x2201
	v_lshl_add_u64 v[38:39], s[4:5], 1, v[0:1]
	s_cselect_b32 s4, s11, 0x1100
	s_ashr_i32 s5, s4, 31
	s_cmpk_lt_u32 s34, 0x2301
	v_lshl_add_u64 v[40:41], s[4:5], 1, v[0:1]
	;; [unrolled: 4-line block ×7, first 2 shown]
	s_cselect_b32 s4, s11, 0x1400
	v_add_co_u32_e32 v36, vcc, 0x2000, v0
	s_ashr_i32 s5, s4, 31
	s_nop 0
	v_addc_co_u32_e32 v37, vcc, 0, v1, vcc
	s_cmpk_lt_u32 s34, 0x2901
	global_load_ushort v52, v[36:37], off
	global_load_ushort v53, v[38:39], off
	;; [unrolled: 1-line block ×8, first 2 shown]
	v_lshl_add_u64 v[36:37], s[4:5], 1, v[0:1]
	s_cselect_b32 s4, s11, 0x1480
	s_ashr_i32 s5, s4, 31
	s_cmpk_lt_u32 s34, 0x2a01
	v_lshl_add_u64 v[38:39], s[4:5], 1, v[0:1]
	s_cselect_b32 s4, s11, 0x1500
	s_ashr_i32 s5, s4, 31
	s_cmpk_lt_u32 s34, 0x2b01
	;; [unrolled: 4-line block ×8, first 2 shown]
	global_load_ushort v68, v[36:37], off
	global_load_ushort v69, v[38:39], off
	;; [unrolled: 1-line block ×8, first 2 shown]
	v_lshl_add_u64 v[36:37], s[4:5], 1, v[0:1]
	s_cselect_b32 s4, s11, 0x1880
	s_ashr_i32 s5, s4, 31
	s_cmpk_lt_u32 s34, 0x3201
	v_lshl_add_u64 v[38:39], s[4:5], 1, v[0:1]
	s_cselect_b32 s4, s11, 0x1900
	s_ashr_i32 s5, s4, 31
	s_cmpk_lt_u32 s34, 0x3301
	;; [unrolled: 4-line block ×8, first 2 shown]
	global_load_ushort v76, v[36:37], off
	global_load_ushort v77, v[38:39], off
	;; [unrolled: 1-line block ×8, first 2 shown]
	v_lshl_add_u64 v[36:37], s[4:5], 1, v[0:1]
	s_cselect_b32 s4, s11, 0x1c80
	s_ashr_i32 s5, s4, 31
	s_cmpk_lt_u32 s34, 0x3a01
	v_lshl_add_u64 v[38:39], s[4:5], 1, v[0:1]
	s_cselect_b32 s4, s11, 0x1d00
	s_ashr_i32 s5, s4, 31
	s_cmpk_lt_u32 s34, 0x3b01
	;; [unrolled: 4-line block ×6, first 2 shown]
	v_lshl_add_u64 v[48:49], s[4:5], 1, v[0:1]
	s_cselect_b32 s4, s11, 0x1f80
	s_ashr_i32 s5, s4, 31
	v_lshl_add_u64 v[50:51], s[4:5], 1, v[0:1]
	global_load_ushort v84, v[36:37], off
	global_load_ushort v85, v[38:39], off
	;; [unrolled: 1-line block ×8, first 2 shown]
	s_waitcnt vmcnt(31)
	v_cvt_f32_f16_e32 v67, v52
	s_waitcnt vmcnt(30)
	v_cvt_f32_f16_e32 v66, v53
	;; [unrolled: 2-line block ×32, first 2 shown]
.LBB267_12:
	ds_read_b128 v[68:71], v3
	s_load_dwordx2 s[4:5], s[0:1], 0x0
	s_load_dwordx2 s[6:7], s[0:1], 0x38
	ds_read_b128 v[72:75], v3 offset:16
	ds_read_b128 v[76:79], v3 offset:32
	;; [unrolled: 1-line block ×3, first 2 shown]
	s_and_b64 vcc, exec, s[8:9]
	s_waitcnt vmcnt(15) lgkmcnt(0)
	v_fma_mix_f32 v4, v68, v4, 0 op_sel_hi:[0,1,0]
	s_waitcnt vmcnt(14)
	v_fma_mix_f32 v4, v69, v5, v4 op_sel_hi:[0,1,0]
	s_waitcnt vmcnt(13)
	;; [unrolled: 2-line block ×15, first 2 shown]
	v_fma_mix_f32 v4, v83, v19, v4 op_sel_hi:[0,1,0]
	s_cbranch_vccz .LBB267_15
; %bb.13:
	ds_read_b128 v[6:9], v3 offset:64
	ds_read_b128 v[10:13], v3 offset:80
	;; [unrolled: 1-line block ×4, first 2 shown]
	s_cmpk_lt_u32 s34, 0x2001
	s_waitcnt lgkmcnt(3)
	v_fma_mix_f32 v3, v6, v27, v4 op_sel_hi:[0,1,0]
	v_fma_mix_f32 v3, v7, v26, v3 op_sel_hi:[0,1,0]
	v_fma_mix_f32 v3, v8, v25, v3 op_sel_hi:[0,1,0]
	v_fma_mix_f32 v3, v9, v24, v3 op_sel_hi:[0,1,0]
	s_waitcnt lgkmcnt(2)
	v_fma_mix_f32 v3, v10, v23, v3 op_sel_hi:[0,1,0]
	v_fma_mix_f32 v3, v11, v22, v3 op_sel_hi:[0,1,0]
	v_fma_mix_f32 v3, v12, v21, v3 op_sel_hi:[0,1,0]
	v_fma_mix_f32 v3, v13, v20, v3 op_sel_hi:[0,1,0]
	;; [unrolled: 5-line block ×4, first 2 shown]
	s_cbranch_scc1 .LBB267_15
; %bb.14:
	v_mov_b32_e32 v3, 0
	ds_read_b128 v[6:9], v3 offset:128
	ds_read_b128 v[10:13], v3 offset:144
	;; [unrolled: 1-line block ×4, first 2 shown]
	s_waitcnt lgkmcnt(3)
	v_fmac_f32_e32 v4, v6, v67
	v_fmac_f32_e32 v4, v7, v66
	v_fmac_f32_e32 v4, v8, v65
	v_fmac_f32_e32 v4, v9, v64
	s_waitcnt lgkmcnt(2)
	v_fmac_f32_e32 v4, v10, v63
	v_fmac_f32_e32 v4, v11, v62
	v_fmac_f32_e32 v4, v12, v61
	v_fmac_f32_e32 v4, v13, v60
	;; [unrolled: 5-line block ×3, first 2 shown]
	ds_read_b128 v[6:9], v3 offset:192
	ds_read_b128 v[10:13], v3 offset:208
	s_waitcnt lgkmcnt(2)
	v_fmac_f32_e32 v4, v18, v55
	v_fmac_f32_e32 v4, v19, v54
	;; [unrolled: 1-line block ×4, first 2 shown]
	s_waitcnt lgkmcnt(1)
	v_fmac_f32_e32 v4, v6, v51
	v_fmac_f32_e32 v4, v7, v50
	;; [unrolled: 1-line block ×4, first 2 shown]
	ds_read_b128 v[6:9], v3 offset:224
	s_waitcnt lgkmcnt(1)
	v_fmac_f32_e32 v4, v10, v47
	v_fmac_f32_e32 v4, v11, v46
	;; [unrolled: 1-line block ×4, first 2 shown]
	ds_read_b128 v[10:13], v3 offset:240
	s_waitcnt lgkmcnt(1)
	v_fmac_f32_e32 v4, v6, v43
	v_fmac_f32_e32 v4, v7, v42
	;; [unrolled: 1-line block ×4, first 2 shown]
	s_waitcnt lgkmcnt(0)
	v_fmac_f32_e32 v4, v10, v39
	v_fmac_f32_e32 v4, v11, v38
	;; [unrolled: 1-line block ×4, first 2 shown]
.LBB267_15:
	s_movk_i32 s0, 0x3f80
	s_movk_i32 s1, 0x100
	s_mov_b32 s8, 64
	s_branch .LBB267_17
.LBB267_16:                             ;   in Loop: Header=BB267_17 Depth=1
	s_addk_i32 s0, 0x2000
	s_addk_i32 s1, 0x100
	s_add_i32 s8, s8, 64
	s_cmpk_eq_u32 s0, 0x9f80
	s_cbranch_scc1 .LBB267_19
.LBB267_17:                             ; =>This Inner Loop Header: Depth=1
	s_cmp_le_i32 s33, s8
	s_cbranch_scc1 .LBB267_16
; %bb.18:                               ;   in Loop: Header=BB267_17 Depth=1
	s_add_i32 s9, s0, 0xffffe080
	s_cmp_lt_i32 s9, s10
	s_cselect_b32 s12, s9, s11
	s_ashr_i32 s13, s12, 31
	s_add_i32 s9, s0, 0xffffe100
	s_cmp_lt_i32 s9, s10
	v_lshl_add_u64 v[12:13], s[12:13], 1, v[0:1]
	s_cselect_b32 s12, s9, s11
	s_ashr_i32 s13, s12, 31
	s_add_i32 s9, s0, 0xffffe180
	s_cmp_lt_i32 s9, s10
	v_lshl_add_u64 v[14:15], s[12:13], 1, v[0:1]
	;; [unrolled: 5-line block ×8, first 2 shown]
	s_cselect_b32 s12, s9, s11
	s_ashr_i32 s13, s12, 31
	s_add_i32 s9, s0, 0xffffe500
	s_cmp_lt_i32 s9, s10
	global_load_ushort v3, v[12:13], off
	global_load_ushort v5, v[14:15], off
	global_load_ushort v6, v[16:17], off
	global_load_ushort v7, v[18:19], off
	global_load_ushort v8, v[20:21], off
	global_load_ushort v9, v[22:23], off
	global_load_ushort v10, v[24:25], off
	global_load_ushort v11, v[26:27], off
	v_lshl_add_u64 v[12:13], s[12:13], 1, v[0:1]
	s_cselect_b32 s12, s9, s11
	s_ashr_i32 s13, s12, 31
	s_add_i32 s9, s0, 0xffffe580
	s_cmp_lt_i32 s9, s10
	v_lshl_add_u64 v[14:15], s[12:13], 1, v[0:1]
	s_cselect_b32 s12, s9, s11
	s_ashr_i32 s13, s12, 31
	s_add_i32 s9, s0, 0xffffe600
	s_cmp_lt_i32 s9, s10
	v_lshl_add_u64 v[16:17], s[12:13], 1, v[0:1]
	s_cselect_b32 s12, s9, s11
	s_ashr_i32 s13, s12, 31
	s_add_i32 s9, s0, 0xffffe680
	s_cmp_lt_i32 s9, s10
	v_lshl_add_u64 v[18:19], s[12:13], 1, v[0:1]
	s_cselect_b32 s12, s9, s11
	s_ashr_i32 s13, s12, 31
	s_add_i32 s9, s0, 0xffffe700
	s_cmp_lt_i32 s9, s10
	v_lshl_add_u64 v[20:21], s[12:13], 1, v[0:1]
	s_cselect_b32 s12, s9, s11
	s_ashr_i32 s13, s12, 31
	s_add_i32 s9, s0, 0xffffe780
	s_cmp_lt_i32 s9, s10
	v_lshl_add_u64 v[22:23], s[12:13], 1, v[0:1]
	s_cselect_b32 s12, s9, s11
	s_ashr_i32 s13, s12, 31
	s_add_i32 s9, s0, 0xffffe800
	s_cmp_lt_i32 s9, s10
	v_lshl_add_u64 v[24:25], s[12:13], 1, v[0:1]
	s_cselect_b32 s12, s9, s11
	s_ashr_i32 s13, s12, 31
	s_add_i32 s9, s0, 0xffffe880
	s_cmp_lt_i32 s9, s10
	v_lshl_add_u64 v[26:27], s[12:13], 1, v[0:1]
	s_cselect_b32 s12, s9, s11
	s_ashr_i32 s13, s12, 31
	s_add_i32 s9, s0, 0xffffe900
	s_cmp_lt_i32 s9, s10
	global_load_ushort v28, v[12:13], off
	global_load_ushort v29, v[14:15], off
	global_load_ushort v30, v[16:17], off
	global_load_ushort v31, v[18:19], off
	global_load_ushort v32, v[20:21], off
	global_load_ushort v33, v[22:23], off
	global_load_ushort v34, v[24:25], off
	global_load_ushort v35, v[26:27], off
	v_lshl_add_u64 v[12:13], s[12:13], 1, v[0:1]
	s_cselect_b32 s12, s9, s11
	s_ashr_i32 s13, s12, 31
	s_add_i32 s9, s0, 0xffffe980
	s_cmp_lt_i32 s9, s10
	v_lshl_add_u64 v[14:15], s[12:13], 1, v[0:1]
	s_cselect_b32 s12, s9, s11
	s_ashr_i32 s13, s12, 31
	s_add_i32 s9, s0, 0xffffea00
	s_cmp_lt_i32 s9, s10
	v_lshl_add_u64 v[16:17], s[12:13], 1, v[0:1]
	s_cselect_b32 s12, s9, s11
	s_ashr_i32 s13, s12, 31
	s_add_i32 s9, s0, 0xffffea80
	s_cmp_lt_i32 s9, s10
	v_lshl_add_u64 v[18:19], s[12:13], 1, v[0:1]
	s_cselect_b32 s12, s9, s11
	s_ashr_i32 s13, s12, 31
	s_add_i32 s9, s0, 0xffffeb00
	s_cmp_lt_i32 s9, s10
	v_lshl_add_u64 v[20:21], s[12:13], 1, v[0:1]
	s_cselect_b32 s12, s9, s11
	s_ashr_i32 s13, s12, 31
	s_add_i32 s9, s0, 0xffffeb80
	s_cmp_lt_i32 s9, s10
	v_lshl_add_u64 v[22:23], s[12:13], 1, v[0:1]
	s_cselect_b32 s12, s9, s11
	s_ashr_i32 s13, s12, 31
	s_add_i32 s9, s0, 0xffffec00
	s_cmp_lt_i32 s9, s10
	v_lshl_add_u64 v[24:25], s[12:13], 1, v[0:1]
	s_cselect_b32 s12, s9, s11
	s_ashr_i32 s13, s12, 31
	s_add_i32 s9, s0, 0xffffec80
	s_cmp_lt_i32 s9, s10
	v_lshl_add_u64 v[26:27], s[12:13], 1, v[0:1]
	;; [unrolled: 48-line block ×6, first 2 shown]
	s_cselect_b32 s12, s9, s11
	s_ashr_i32 s13, s12, 31
	s_add_i32 s9, s0, 0xfffffd00
	s_cmp_lt_i32 s9, s10
	global_load_ushort v68, v[12:13], off
	global_load_ushort v69, v[14:15], off
	;; [unrolled: 1-line block ×8, first 2 shown]
	v_lshl_add_u64 v[12:13], s[12:13], 1, v[0:1]
	s_cselect_b32 s12, s9, s11
	s_ashr_i32 s13, s12, 31
	s_add_i32 s9, s0, 0xfffffd80
	s_cmp_lt_i32 s9, s10
	v_lshl_add_u64 v[14:15], s[12:13], 1, v[0:1]
	s_cselect_b32 s12, s9, s11
	s_ashr_i32 s13, s12, 31
	s_add_i32 s9, s0, 0xfffffe00
	s_cmp_lt_i32 s9, s10
	;; [unrolled: 5-line block ×5, first 2 shown]
	v_lshl_add_u64 v[22:23], s[12:13], 1, v[0:1]
	s_cselect_b32 s12, s9, s11
	s_ashr_i32 s13, s12, 31
	s_cmp_lt_i32 s0, s10
	v_lshl_add_u64 v[24:25], s[12:13], 1, v[0:1]
	s_cselect_b32 s12, s0, s11
	s_ashr_i32 s13, s12, 31
	v_lshl_add_u64 v[26:27], s[12:13], 1, v[0:1]
	global_load_ushort v76, v[12:13], off
	global_load_ushort v77, v[14:15], off
	;; [unrolled: 1-line block ×8, first 2 shown]
	v_mov_b32_e32 v84, s1
	ds_read_b128 v[12:15], v84
	ds_read_b128 v[16:19], v84 offset:16
	ds_read_b128 v[20:23], v84 offset:32
	;; [unrolled: 1-line block ×3, first 2 shown]
	s_waitcnt vmcnt(62) lgkmcnt(3)
	v_fma_mix_f32 v3, v12, v3, v4 op_sel_hi:[0,1,0]
	v_fma_mix_f32 v3, v13, v5, v3 op_sel_hi:[0,1,0]
	s_waitcnt vmcnt(61)
	v_fma_mix_f32 v3, v14, v6, v3 op_sel_hi:[0,1,0]
	s_waitcnt vmcnt(60)
	v_fma_mix_f32 v3, v15, v7, v3 op_sel_hi:[0,1,0]
	s_waitcnt vmcnt(59) lgkmcnt(2)
	v_fma_mix_f32 v3, v16, v8, v3 op_sel_hi:[0,1,0]
	s_waitcnt vmcnt(58)
	v_fma_mix_f32 v3, v17, v9, v3 op_sel_hi:[0,1,0]
	s_waitcnt vmcnt(57)
	;; [unrolled: 2-line block ×3, first 2 shown]
	v_fma_mix_f32 v3, v19, v11, v3 op_sel_hi:[0,1,0]
	s_waitcnt vmcnt(55) lgkmcnt(1)
	v_fma_mix_f32 v3, v20, v28, v3 op_sel_hi:[0,1,0]
	s_waitcnt vmcnt(54)
	v_fma_mix_f32 v3, v21, v29, v3 op_sel_hi:[0,1,0]
	s_waitcnt vmcnt(53)
	v_fma_mix_f32 v3, v22, v30, v3 op_sel_hi:[0,1,0]
	s_waitcnt vmcnt(52)
	v_fma_mix_f32 v3, v23, v31, v3 op_sel_hi:[0,1,0]
	ds_read_b128 v[4:7], v84 offset:64
	ds_read_b128 v[8:11], v84 offset:80
	s_waitcnt vmcnt(51) lgkmcnt(2)
	v_fma_mix_f32 v3, v24, v32, v3 op_sel_hi:[0,1,0]
	s_waitcnt vmcnt(50)
	v_fma_mix_f32 v3, v25, v33, v3 op_sel_hi:[0,1,0]
	s_waitcnt vmcnt(49)
	;; [unrolled: 2-line block ×3, first 2 shown]
	v_fma_mix_f32 v3, v27, v35, v3 op_sel_hi:[0,1,0]
	s_waitcnt vmcnt(47) lgkmcnt(1)
	v_fma_mix_f32 v3, v4, v36, v3 op_sel_hi:[0,1,0]
	s_waitcnt vmcnt(46)
	v_fma_mix_f32 v3, v5, v37, v3 op_sel_hi:[0,1,0]
	s_waitcnt vmcnt(45)
	v_fma_mix_f32 v3, v6, v38, v3 op_sel_hi:[0,1,0]
	s_waitcnt vmcnt(44)
	v_fma_mix_f32 v3, v7, v39, v3 op_sel_hi:[0,1,0]
	ds_read_b128 v[4:7], v84 offset:96
	s_waitcnt vmcnt(43) lgkmcnt(1)
	v_fma_mix_f32 v3, v8, v40, v3 op_sel_hi:[0,1,0]
	s_waitcnt vmcnt(42)
	v_fma_mix_f32 v3, v9, v41, v3 op_sel_hi:[0,1,0]
	s_waitcnt vmcnt(41)
	v_fma_mix_f32 v3, v10, v42, v3 op_sel_hi:[0,1,0]
	s_waitcnt vmcnt(40)
	v_fma_mix_f32 v3, v11, v43, v3 op_sel_hi:[0,1,0]
	ds_read_b128 v[8:11], v84 offset:112
	;; [unrolled: 9-line block ×10, first 2 shown]
	s_waitcnt vmcnt(7) lgkmcnt(1)
	v_fma_mix_f32 v3, v4, v76, v3 op_sel_hi:[0,1,0]
	s_waitcnt vmcnt(6)
	v_fma_mix_f32 v3, v5, v77, v3 op_sel_hi:[0,1,0]
	s_waitcnt vmcnt(5)
	;; [unrolled: 2-line block ×3, first 2 shown]
	v_fma_mix_f32 v3, v7, v79, v3 op_sel_hi:[0,1,0]
	s_waitcnt vmcnt(3) lgkmcnt(0)
	v_fma_mix_f32 v3, v8, v80, v3 op_sel_hi:[0,1,0]
	s_waitcnt vmcnt(2)
	v_fma_mix_f32 v3, v9, v81, v3 op_sel_hi:[0,1,0]
	s_waitcnt vmcnt(1)
	;; [unrolled: 2-line block ×3, first 2 shown]
	v_fma_mix_f32 v4, v11, v83, v3 op_sel_hi:[0,1,0]
	s_branch .LBB267_16
.LBB267_19:
	v_mov_b32_e32 v0, 0
	ds_read_b32 v1, v0 offset:1024
	s_cmp_lg_u64 s[6:7], 0
	s_cbranch_scc0 .LBB267_24
; %bb.20:
	s_load_dword s6, s[6:7], 0x0
	s_waitcnt lgkmcnt(0)
	v_div_scale_f32 v0, s[0:1], s6, s6, 1.0
	v_rcp_f32_e32 v3, v0
	v_div_scale_f32 v5, vcc, 1.0, s6, 1.0
	v_fma_f32 v6, -v0, v3, 1.0
	v_fmac_f32_e32 v3, v6, v3
	v_mul_f32_e32 v6, v5, v3
	v_fma_f32 v7, -v0, v6, v5
	v_fmac_f32_e32 v6, v7, v3
	v_fma_f32 v0, -v0, v6, v5
	v_div_fmas_f32 v0, v0, v3, v6
	v_div_fixup_f32 v0, v0, s6, 1.0
	s_andn2_b64 vcc, exec, s[24:25]
	s_cbranch_vccnz .LBB267_22
.LBB267_21:
	s_add_u32 s0, s22, s26
	s_addc_u32 s1, s23, s27
	s_load_dword s20, s[0:1], 0x0
	s_mov_b32 s21, 0
.LBB267_22:
	s_waitcnt lgkmcnt(0)
	v_add_f32_e32 v1, 0x358637bd, v1
	v_div_scale_f32 v3, s[0:1], v1, v1, 1.0
	v_rcp_f32_e32 v5, v3
	v_div_scale_f32 v6, vcc, 1.0, v1, 1.0
	s_mul_i32 s0, s3, s21
	v_fma_f32 v7, -v3, v5, 1.0
	v_fmac_f32_e32 v5, v7, v5
	v_mul_f32_e32 v7, v6, v5
	v_fma_f32 v8, -v3, v7, v6
	s_mul_hi_u32 s1, s3, s20
	v_fmac_f32_e32 v7, v8, v5
	s_add_i32 s1, s1, s0
	s_mul_i32 s0, s3, s20
	v_fma_f32 v3, -v3, v7, v6
	s_lshl_b64 s[0:1], s[0:1], 8
	v_div_fmas_f32 v3, v3, v5, v7
	s_add_u32 s4, s4, s0
	s_mov_b32 s3, 0
	v_div_fixup_f32 v1, v3, v1, 1.0
	s_addc_u32 s5, s5, s1
	s_lshl_b64 s[0:1], s[2:3], 8
	v_mul_f32_e32 v1, v4, v1
	s_add_u32 s0, s4, s0
	s_addc_u32 s1, s5, s1
	v_fma_mixlo_f16 v0, v1, v0, 0
	global_store_short v2, v0, s[0:1]
	s_endpgm
.LBB267_23:
	s_mov_b64 s[6:7], 0
	s_branch .LBB267_2
.LBB267_24:
	v_mov_b32_e32 v0, 1.0
	s_andn2_b64 vcc, exec, s[24:25]
	s_cbranch_vccz .LBB267_21
	s_branch .LBB267_22
	.section	.rodata,"a",@progbits
	.p2align	6, 0x0
	.amdhsa_kernel _Z35paged_attention_ll4mi_reduce_kernelIDF16_DF16_Li128ELi128ELi256ELi4EEvPT0_PKfS3_PKT_PKiS8_iS3_
		.amdhsa_group_segment_fixed_size 1028
		.amdhsa_private_segment_fixed_size 0
		.amdhsa_kernarg_size 320
		.amdhsa_user_sgpr_count 2
		.amdhsa_user_sgpr_dispatch_ptr 0
		.amdhsa_user_sgpr_queue_ptr 0
		.amdhsa_user_sgpr_kernarg_segment_ptr 1
		.amdhsa_user_sgpr_dispatch_id 0
		.amdhsa_user_sgpr_kernarg_preload_length 0
		.amdhsa_user_sgpr_kernarg_preload_offset 0
		.amdhsa_user_sgpr_private_segment_size 0
		.amdhsa_uses_dynamic_stack 0
		.amdhsa_enable_private_segment 0
		.amdhsa_system_sgpr_workgroup_id_x 1
		.amdhsa_system_sgpr_workgroup_id_y 1
		.amdhsa_system_sgpr_workgroup_id_z 0
		.amdhsa_system_sgpr_workgroup_info 0
		.amdhsa_system_vgpr_workitem_id 0
		.amdhsa_next_free_vgpr 92
		.amdhsa_next_free_sgpr 38
		.amdhsa_accum_offset 92
		.amdhsa_reserve_vcc 1
		.amdhsa_float_round_mode_32 0
		.amdhsa_float_round_mode_16_64 0
		.amdhsa_float_denorm_mode_32 3
		.amdhsa_float_denorm_mode_16_64 3
		.amdhsa_dx10_clamp 1
		.amdhsa_ieee_mode 1
		.amdhsa_fp16_overflow 0
		.amdhsa_tg_split 0
		.amdhsa_exception_fp_ieee_invalid_op 0
		.amdhsa_exception_fp_denorm_src 0
		.amdhsa_exception_fp_ieee_div_zero 0
		.amdhsa_exception_fp_ieee_overflow 0
		.amdhsa_exception_fp_ieee_underflow 0
		.amdhsa_exception_fp_ieee_inexact 0
		.amdhsa_exception_int_div_zero 0
	.end_amdhsa_kernel
	.section	.text._Z35paged_attention_ll4mi_reduce_kernelIDF16_DF16_Li128ELi128ELi256ELi4EEvPT0_PKfS3_PKT_PKiS8_iS3_,"axG",@progbits,_Z35paged_attention_ll4mi_reduce_kernelIDF16_DF16_Li128ELi128ELi256ELi4EEvPT0_PKfS3_PKT_PKiS8_iS3_,comdat
.Lfunc_end267:
	.size	_Z35paged_attention_ll4mi_reduce_kernelIDF16_DF16_Li128ELi128ELi256ELi4EEvPT0_PKfS3_PKT_PKiS8_iS3_, .Lfunc_end267-_Z35paged_attention_ll4mi_reduce_kernelIDF16_DF16_Li128ELi128ELi256ELi4EEvPT0_PKfS3_PKT_PKiS8_iS3_
                                        ; -- End function
	.section	.AMDGPU.csdata,"",@progbits
; Kernel info:
; codeLenInByte = 8416
; NumSgprs: 44
; NumVgprs: 92
; NumAgprs: 0
; TotalNumVgprs: 92
; ScratchSize: 0
; MemoryBound: 0
; FloatMode: 240
; IeeeMode: 1
; LDSByteSize: 1028 bytes/workgroup (compile time only)
; SGPRBlocks: 5
; VGPRBlocks: 11
; NumSGPRsForWavesPerEU: 44
; NumVGPRsForWavesPerEU: 92
; AccumOffset: 92
; Occupancy: 5
; WaveLimiterHint : 1
; COMPUTE_PGM_RSRC2:SCRATCH_EN: 0
; COMPUTE_PGM_RSRC2:USER_SGPR: 2
; COMPUTE_PGM_RSRC2:TRAP_HANDLER: 0
; COMPUTE_PGM_RSRC2:TGID_X_EN: 1
; COMPUTE_PGM_RSRC2:TGID_Y_EN: 1
; COMPUTE_PGM_RSRC2:TGID_Z_EN: 0
; COMPUTE_PGM_RSRC2:TIDIG_COMP_CNT: 0
; COMPUTE_PGM_RSRC3_GFX90A:ACCUM_OFFSET: 22
; COMPUTE_PGM_RSRC3_GFX90A:TG_SPLIT: 0
	.section	.text._Z35paged_attention_ll4mi_reduce_kernelIDF16_DF16_Li128ELi128ELi256ELi5EEvPT0_PKfS3_PKT_PKiS8_iS3_,"axG",@progbits,_Z35paged_attention_ll4mi_reduce_kernelIDF16_DF16_Li128ELi128ELi256ELi5EEvPT0_PKfS3_PKT_PKiS8_iS3_,comdat
	.protected	_Z35paged_attention_ll4mi_reduce_kernelIDF16_DF16_Li128ELi128ELi256ELi5EEvPT0_PKfS3_PKT_PKiS8_iS3_ ; -- Begin function _Z35paged_attention_ll4mi_reduce_kernelIDF16_DF16_Li128ELi128ELi256ELi5EEvPT0_PKfS3_PKT_PKiS8_iS3_
	.globl	_Z35paged_attention_ll4mi_reduce_kernelIDF16_DF16_Li128ELi128ELi256ELi5EEvPT0_PKfS3_PKT_PKiS8_iS3_
	.p2align	8
	.type	_Z35paged_attention_ll4mi_reduce_kernelIDF16_DF16_Li128ELi128ELi256ELi5EEvPT0_PKfS3_PKT_PKiS8_iS3_,@function
_Z35paged_attention_ll4mi_reduce_kernelIDF16_DF16_Li128ELi128ELi256ELi5EEvPT0_PKfS3_PKT_PKiS8_iS3_: ; @_Z35paged_attention_ll4mi_reduce_kernelIDF16_DF16_Li128ELi128ELi256ELi5EEvPT0_PKfS3_PKT_PKiS8_iS3_
; %bb.0:
	s_load_dwordx2 s[24:25], s[0:1], 0x28
	s_mov_b32 s14, s3
	s_mov_b64 s[4:5], 0
	s_waitcnt lgkmcnt(0)
	s_cmp_lg_u64 s[24:25], 0
	s_cselect_b64 s[26:27], -1, 0
	s_and_b64 vcc, exec, s[26:27]
	s_cbranch_vccz .LBB268_23
; %bb.1:
	s_add_i32 s6, s14, 1
	s_mov_b32 s7, 0
	s_lshl_b64 s[8:9], s[6:7], 2
	s_add_u32 s8, s24, s8
	s_mov_b32 s15, s7
	s_addc_u32 s9, s25, s9
	s_lshl_b64 s[6:7], s[14:15], 2
	s_add_u32 s6, s24, s6
	s_addc_u32 s7, s25, s7
	s_load_dword s3, s[8:9], 0x0
	s_load_dword s10, s[6:7], 0x0
	s_waitcnt lgkmcnt(0)
	s_sub_i32 s3, s3, s10
	s_cmp_eq_u32 s3, 1
	s_cselect_b64 s[6:7], -1, 0
	s_andn2_b64 vcc, exec, s[4:5]
	s_cbranch_vccnz .LBB268_3
.LBB268_2:
	s_mov_b32 s15, 0
	s_mov_b64 s[6:7], -1
.LBB268_3:
	s_andn2_b64 vcc, exec, s[6:7]
	s_cbranch_vccz .LBB268_5
; %bb.4:
	s_endpgm
.LBB268_5:
	s_load_dwordx4 s[16:19], s[0:1], 0x18
	s_load_dword s8, s[0:1], 0x30
	s_lshl_b64 s[28:29], s[14:15], 2
	v_cmp_lt_u32_e32 vcc, 63, v0
	s_waitcnt lgkmcnt(0)
	s_add_u32 s4, s18, s28
	s_addc_u32 s5, s19, s29
	s_load_dword s38, s[4:5], 0x0
	s_load_dword s3, s[0:1], 0x40
	s_mul_i32 s18, s2, s8
	s_mul_i32 s6, s14, s8
	s_waitcnt lgkmcnt(0)
	s_add_i32 s7, s38, 0xff
	s_ashr_i32 s4, s7, 31
	s_lshr_b32 s4, s4, 24
	s_add_i32 s7, s7, s4
	s_and_saveexec_b64 s[4:5], vcc
	s_xor_b64 s[4:5], exec, s[4:5]
	s_or_saveexec_b64 s[30:31], s[4:5]
	s_ashr_i32 s33, s7, 8
	v_mov_b32_e32 v1, s18
	s_mul_i32 s34, s6, s3
	s_xor_b64 exec, exec, s[30:31]
	s_cbranch_execz .LBB268_9
; %bb.6:
	s_add_i32 s4, s33, -1
	v_or_b32_e32 v3, 64, v0
	s_load_dwordx4 s[20:23], s[0:1], 0x8
	v_mov_b32_e32 v1, s4
	v_cmp_gt_u32_e64 s[8:9], s33, v3
	s_mov_b32 s35, 0
	s_lshl_b64 s[36:37], s[34:35], 2
	v_cndmask_b32_e64 v4, v1, v3, s[8:9]
	v_or_b32_e32 v3, 0x80, v0
	v_cmp_gt_u32_e64 s[6:7], s33, v3
	s_mov_b32 s19, s35
	v_cmp_gt_u32_e64 s[10:11], s33, v0
	v_cndmask_b32_e64 v6, v1, v3, s[6:7]
	v_or_b32_e32 v3, 0xc0, v0
	v_cmp_gt_u32_e64 s[4:5], s33, v3
	s_waitcnt lgkmcnt(0)
	s_add_u32 s12, s22, s36
	v_cndmask_b32_e64 v2, v1, v0, s[10:11]
	v_cndmask_b32_e64 v8, v1, v3, s[4:5]
	v_or_b32_e32 v3, 0x100, v0
	v_cmp_gt_u32_e32 vcc, s33, v3
	s_addc_u32 s13, s23, s37
	s_lshl_b64 s[22:23], s[18:19], 2
	v_cndmask_b32_e32 v10, v1, v3, vcc
	s_add_u32 s12, s12, s22
	v_ashrrev_i32_e32 v3, 31, v2
	s_addc_u32 s13, s13, s23
	v_lshlrev_b64 v[2:3], 2, v[2:3]
	v_ashrrev_i32_e32 v5, 31, v4
	v_ashrrev_i32_e32 v7, 31, v6
	;; [unrolled: 1-line block ×4, first 2 shown]
	v_lshl_add_u64 v[12:13], s[12:13], 0, v[2:3]
	v_lshlrev_b64 v[4:5], 2, v[4:5]
	v_lshlrev_b64 v[6:7], 2, v[6:7]
	;; [unrolled: 1-line block ×4, first 2 shown]
	v_lshl_add_u64 v[14:15], s[12:13], 0, v[4:5]
	v_lshl_add_u64 v[16:17], s[12:13], 0, v[6:7]
	;; [unrolled: 1-line block ×4, first 2 shown]
	global_load_dword v1, v[12:13], off
	global_load_dword v22, v[14:15], off
	;; [unrolled: 1-line block ×5, first 2 shown]
	v_mbcnt_lo_u32_b32 v12, -1, 0
	v_mbcnt_hi_u32_b32 v12, -1, v12
	v_and_b32_e32 v14, 64, v12
	v_xor_b32_e32 v15, 32, v12
	v_add_u32_e32 v14, 64, v14
	v_cmp_lt_i32_e64 s[12:13], v15, v14
	v_xor_b32_e32 v16, 16, v12
	v_xor_b32_e32 v17, 8, v12
	v_cndmask_b32_e64 v15, v12, v15, s[12:13]
	s_add_u32 s12, s20, s36
	s_addc_u32 s13, s21, s37
	s_add_u32 s20, s12, s22
	s_addc_u32 s21, s13, s23
	v_lshl_add_u64 v[2:3], s[20:21], 0, v[2:3]
	global_load_dword v18, v[2:3], off
	v_lshlrev_b32_e32 v15, 2, v15
	v_cmp_lt_i32_e64 s[12:13], v16, v14
	s_mov_b32 s19, 0x3fb8aa3b
	s_mov_b32 s35, 0xc2ce8ed0
	v_cndmask_b32_e64 v16, v12, v16, s[12:13]
	v_lshlrev_b32_e32 v16, 2, v16
	v_cmp_lt_i32_e64 s[12:13], v17, v14
	s_mov_b32 s39, 0x42b17218
	v_mov_b32_e32 v13, 0x7f800000
	s_waitcnt vmcnt(3)
	v_max3_f32 v2, v1, v22, v23
	s_waitcnt vmcnt(1)
	v_max3_f32 v19, v2, v24, v25
	ds_bpermute_b32 v20, v15, v19
	v_lshl_add_u64 v[2:3], s[20:21], 0, v[4:5]
	global_load_dword v21, v[2:3], off
	v_cndmask_b32_e64 v5, v12, v17, s[12:13]
	v_lshlrev_b32_e32 v17, 2, v5
	s_waitcnt lgkmcnt(0)
	v_max_f32_e32 v2, v20, v20
	v_max_f32_e32 v2, v19, v2
	ds_bpermute_b32 v3, v16, v2
	v_xor_b32_e32 v4, 4, v12
	v_cmp_lt_i32_e64 s[12:13], v4, v14
	v_xor_b32_e32 v5, 2, v12
	s_waitcnt lgkmcnt(0)
	v_max_f32_e32 v3, v3, v3
	v_max_f32_e32 v2, v2, v3
	ds_bpermute_b32 v3, v17, v2
	v_cndmask_b32_e64 v4, v12, v4, s[12:13]
	v_lshlrev_b32_e32 v19, 2, v4
	v_cmp_lt_i32_e64 s[12:13], v5, v14
	v_xor_b32_e32 v4, 1, v12
	s_waitcnt lgkmcnt(0)
	v_max_f32_e32 v3, v3, v3
	v_max_f32_e32 v2, v2, v3
	ds_bpermute_b32 v3, v19, v2
	v_cndmask_b32_e64 v5, v12, v5, s[12:13]
	v_lshlrev_b32_e32 v20, 2, v5
	v_cmp_lt_i32_e64 s[12:13], v4, v14
	s_waitcnt lgkmcnt(0)
	v_max_f32_e32 v3, v3, v3
	v_max_f32_e32 v26, v2, v3
	ds_bpermute_b32 v27, v20, v26
	v_cndmask_b32_e64 v2, v12, v4, s[12:13]
	v_lshlrev_b32_e32 v12, 2, v2
	v_lshl_add_u64 v[2:3], s[20:21], 0, v[6:7]
	v_lshl_add_u64 v[4:5], s[20:21], 0, v[8:9]
	s_waitcnt lgkmcnt(0)
	v_max_f32_e32 v6, v27, v27
	v_max_f32_e32 v8, v26, v6
	v_lshl_add_u64 v[6:7], s[20:21], 0, v[10:11]
	global_load_dword v10, v[2:3], off
	global_load_dword v11, v[4:5], off
	;; [unrolled: 1-line block ×3, first 2 shown]
	ds_bpermute_b32 v9, v12, v8
	s_waitcnt lgkmcnt(0)
	v_max_f32_e32 v2, v9, v9
	v_max_f32_e32 v2, v8, v2
	v_sub_f32_e32 v1, v1, v2
	v_sub_f32_e32 v3, v22, v2
	v_mul_f32_e32 v5, 0x3fb8aa3b, v1
	v_mul_f32_e32 v6, 0x3fb8aa3b, v3
	v_fma_f32 v8, v1, s19, -v5
	v_rndne_f32_e32 v9, v5
	v_sub_f32_e32 v4, v23, v2
	v_fma_f32 v22, v3, s19, -v6
	v_rndne_f32_e32 v23, v6
	v_fmac_f32_e32 v8, 0x32a5705f, v1
	v_sub_f32_e32 v5, v5, v9
	v_fmac_f32_e32 v22, 0x32a5705f, v3
	v_sub_f32_e32 v6, v6, v23
	v_add_f32_e32 v5, v5, v8
	v_cvt_i32_f32_e32 v9, v9
	v_add_f32_e32 v6, v6, v22
	v_exp_f32_e32 v5, v5
	v_mul_f32_e32 v7, 0x3fb8aa3b, v4
	v_cvt_i32_f32_e32 v23, v23
	v_exp_f32_e32 v6, v6
	v_fma_f32 v26, v4, s19, -v7
	v_rndne_f32_e32 v27, v7
	v_fmac_f32_e32 v26, 0x32a5705f, v4
	v_sub_f32_e32 v7, v7, v27
	v_add_f32_e32 v7, v7, v26
	v_ldexp_f32 v5, v5, v9
	v_cmp_ngt_f32_e64 s[12:13], s35, v1
	v_cvt_i32_f32_e32 v27, v27
	v_exp_f32_e32 v7, v7
	v_ldexp_f32 v6, v6, v23
	v_cndmask_b32_e64 v5, 0, v5, s[12:13]
	v_cmp_ngt_f32_e64 s[12:13], s35, v3
	s_nop 1
	v_cndmask_b32_e64 v6, 0, v6, s[12:13]
	v_cmp_nlt_f32_e64 s[12:13], s39, v1
	s_nop 1
	v_cndmask_b32_e64 v1, v13, v5, s[12:13]
	v_cndmask_b32_e64 v1, 0, v1, s[10:11]
	v_cmp_nlt_f32_e64 s[10:11], s39, v3
	s_waitcnt vmcnt(4)
	v_mul_f32_e32 v1, v18, v1
	v_cndmask_b32_e64 v3, v13, v6, s[10:11]
	v_ldexp_f32 v6, v7, v27
	v_sub_f32_e32 v7, v24, v2
	v_mul_f32_e32 v8, 0x3fb8aa3b, v7
	v_fma_f32 v9, v7, s19, -v8
	v_rndne_f32_e32 v18, v8
	v_fmac_f32_e32 v9, 0x32a5705f, v7
	v_sub_f32_e32 v8, v8, v18
	v_add_f32_e32 v8, v8, v9
	v_exp_f32_e32 v8, v8
	v_cvt_i32_f32_e32 v9, v18
	v_cndmask_b32_e64 v3, 0, v3, s[8:9]
	v_cmp_ngt_f32_e64 s[8:9], s35, v4
	v_sub_f32_e32 v2, v25, v2
	s_waitcnt vmcnt(3)
	v_mul_f32_e32 v5, v21, v3
	v_cndmask_b32_e64 v6, 0, v6, s[8:9]
	v_cmp_nlt_f32_e64 s[8:9], s39, v4
	s_nop 1
	v_cndmask_b32_e64 v4, v13, v6, s[8:9]
	v_ldexp_f32 v6, v8, v9
	v_mul_f32_e32 v8, 0x3fb8aa3b, v2
	v_fma_f32 v9, v2, s19, -v8
	v_rndne_f32_e32 v18, v8
	v_fmac_f32_e32 v9, 0x32a5705f, v2
	v_sub_f32_e32 v8, v8, v18
	v_add_f32_e32 v8, v8, v9
	v_exp_f32_e32 v8, v8
	v_cvt_i32_f32_e32 v9, v18
	v_cndmask_b32_e64 v4, 0, v4, s[6:7]
	v_cmp_ngt_f32_e64 s[6:7], s35, v7
	s_nop 1
	v_cndmask_b32_e64 v6, 0, v6, s[6:7]
	v_cmp_nlt_f32_e64 s[6:7], s39, v7
	v_ldexp_f32 v7, v8, v9
	v_lshlrev_b32_e32 v8, 2, v0
	v_cndmask_b32_e64 v6, v13, v6, s[6:7]
	v_cndmask_b32_e64 v6, 0, v6, s[4:5]
	v_cmp_ngt_f32_e64 s[4:5], s35, v2
	ds_write2st64_b32 v8, v1, v5 offset1:1
	v_fmac_f32_e32 v1, v21, v3
	v_cndmask_b32_e64 v7, 0, v7, s[4:5]
	v_cmp_nlt_f32_e64 s[4:5], s39, v2
	s_waitcnt vmcnt(2)
	v_fmac_f32_e32 v1, v10, v4
	s_waitcnt vmcnt(1)
	v_fmac_f32_e32 v1, v11, v6
	v_cndmask_b32_e64 v2, v13, v7, s[4:5]
	v_cndmask_b32_e32 v7, 0, v2, vcc
	s_waitcnt vmcnt(0)
	v_fmac_f32_e32 v1, v14, v7
	ds_bpermute_b32 v2, v15, v1
	v_mul_f32_e32 v3, v10, v4
	v_mul_f32_e32 v4, v11, v6
	v_cmp_eq_u32_e32 vcc, 0, v0
	v_mul_f32_e32 v5, v14, v7
	s_waitcnt lgkmcnt(0)
	v_add_f32_e32 v1, v1, v2
	ds_bpermute_b32 v2, v16, v1
	ds_write2st64_b32 v8, v3, v4 offset0:2 offset1:3
	ds_write_b32 v8, v5 offset:1024
	s_waitcnt lgkmcnt(2)
	v_add_f32_e32 v1, v1, v2
	ds_bpermute_b32 v2, v17, v1
	s_waitcnt lgkmcnt(0)
	v_add_f32_e32 v1, v1, v2
	ds_bpermute_b32 v2, v19, v1
	;; [unrolled: 3-line block ×4, first 2 shown]
	s_and_saveexec_b64 s[4:5], vcc
	s_cbranch_execz .LBB268_8
; %bb.7:
	s_waitcnt lgkmcnt(0)
	v_add_f32_e32 v1, v1, v2
	v_mov_b32_e32 v2, 0
	ds_write_b32 v2, v1 offset:1280
.LBB268_8:
	s_or_b64 exec, exec, s[4:5]
	v_mov_b32_e32 v1, s18
.LBB268_9:
	s_or_b64 exec, exec, s[30:31]
	s_lshl_b32 s4, s34, 7
	s_mov_b32 s5, 0
	s_lshl_b64 s[4:5], s[4:5], 1
	s_add_u32 s4, s16, s4
	s_addc_u32 s5, s17, s5
	s_lshl_b32 s10, s33, 7
	s_add_i32 s11, s10, 0xffffff80
	s_waitcnt lgkmcnt(0)
	v_lshlrev_b32_e32 v2, 7, v1
	v_mov_b32_e32 v3, 0
	s_cmp_lt_i32 s38, 1
	v_lshl_add_u64 v[4:5], v[2:3], 1, s[4:5]
	s_cselect_b32 s4, s11, 0
	v_lshlrev_b32_e32 v2, 1, v0
	s_ashr_i32 s5, s4, 31
	v_lshl_add_u64 v[0:1], v[4:5], 0, v[2:3]
	s_cmpk_lt_i32 s38, 0x101
	v_lshl_add_u64 v[12:13], s[4:5], 1, v[0:1]
	s_cselect_b32 s4, s11, 0x80
	s_ashr_i32 s5, s4, 31
	s_cmpk_lt_i32 s38, 0x201
	v_lshl_add_u64 v[14:15], s[4:5], 1, v[0:1]
	s_cselect_b32 s4, s11, 0x100
	s_ashr_i32 s5, s4, 31
	;; [unrolled: 4-line block ×8, first 2 shown]
	s_cmpk_lt_i32 s38, 0x901
	global_load_ushort v4, v[12:13], off
	global_load_ushort v5, v[14:15], off
	global_load_ushort v6, v[16:17], off
	global_load_ushort v7, v[18:19], off
	global_load_ushort v8, v[20:21], off
	global_load_ushort v9, v[22:23], off
	global_load_ushort v10, v[24:25], off
	global_load_ushort v11, v[26:27], off
	v_lshl_add_u64 v[20:21], s[4:5], 1, v[0:1]
	s_cselect_b32 s4, s11, 0x480
	s_ashr_i32 s5, s4, 31
	s_cmpk_lt_i32 s38, 0xa01
	v_lshl_add_u64 v[22:23], s[4:5], 1, v[0:1]
	s_cselect_b32 s4, s11, 0x500
	s_ashr_i32 s5, s4, 31
	s_cmpk_lt_i32 s38, 0xb01
	;; [unrolled: 4-line block ×6, first 2 shown]
	v_lshl_add_u64 v[32:33], s[4:5], 1, v[0:1]
	s_cselect_b32 s4, s11, 0x780
	s_ashr_i32 s5, s4, 31
	v_lshl_add_u64 v[34:35], s[4:5], 1, v[0:1]
	global_load_ushort v12, v[20:21], off
	global_load_ushort v13, v[22:23], off
	;; [unrolled: 1-line block ×8, first 2 shown]
	s_cmpk_gt_i32 s38, 0x1000
	s_cselect_b64 s[8:9], -1, 0
	s_cmpk_lt_i32 s38, 0x1001
	v_mov_b32_e32 v36, 0
	v_mov_b32_e32 v37, 0
	;; [unrolled: 1-line block ×48, first 2 shown]
	s_barrier
	s_cbranch_scc1 .LBB268_12
; %bb.10:
	s_cmpk_lt_u32 s38, 0x1101
	s_cselect_b32 s4, s11, 0x880
	s_ashr_i32 s5, s4, 31
	s_cmpk_lt_u32 s38, 0x1201
	v_lshl_add_u64 v[30:31], s[4:5], 1, v[0:1]
	s_cselect_b32 s4, s11, 0x900
	s_ashr_i32 s5, s4, 31
	s_cmpk_lt_u32 s38, 0x1301
	v_lshl_add_u64 v[32:33], s[4:5], 1, v[0:1]
	;; [unrolled: 4-line block ×7, first 2 shown]
	s_cselect_b32 s4, s11, 0xc00
	v_add_co_u32_e32 v28, vcc, 0x1000, v0
	s_ashr_i32 s5, s4, 31
	s_nop 0
	v_addc_co_u32_e32 v29, vcc, 0, v1, vcc
	s_cmpk_lt_u32 s38, 0x1901
	global_load_ushort v27, v[28:29], off
	global_load_ushort v26, v[30:31], off
	;; [unrolled: 1-line block ×8, first 2 shown]
	v_lshl_add_u64 v[36:37], s[4:5], 1, v[0:1]
	s_cselect_b32 s4, s11, 0xc80
	s_ashr_i32 s5, s4, 31
	s_cmpk_lt_u32 s38, 0x1a01
	v_lshl_add_u64 v[38:39], s[4:5], 1, v[0:1]
	s_cselect_b32 s4, s11, 0xd00
	s_ashr_i32 s5, s4, 31
	s_cmpk_lt_u32 s38, 0x1b01
	;; [unrolled: 4-line block ×6, first 2 shown]
	v_lshl_add_u64 v[48:49], s[4:5], 1, v[0:1]
	s_cselect_b32 s4, s11, 0xf80
	s_ashr_i32 s5, s4, 31
	v_lshl_add_u64 v[50:51], s[4:5], 1, v[0:1]
	global_load_ushort v35, v[36:37], off
	global_load_ushort v34, v[38:39], off
	;; [unrolled: 1-line block ×8, first 2 shown]
	s_cmpk_lt_u32 s38, 0x2001
	v_mov_b32_e32 v67, 0
	v_mov_b32_e32 v66, 0
	;; [unrolled: 1-line block ×32, first 2 shown]
	s_cbranch_scc1 .LBB268_12
; %bb.11:
	s_cmpk_lt_u32 s38, 0x2101
	s_cselect_b32 s4, s11, 0x1080
	s_ashr_i32 s5, s4, 31
	s_cmpk_lt_u32 s38, 0x2201
	v_lshl_add_u64 v[38:39], s[4:5], 1, v[0:1]
	s_cselect_b32 s4, s11, 0x1100
	s_ashr_i32 s5, s4, 31
	s_cmpk_lt_u32 s38, 0x2301
	v_lshl_add_u64 v[40:41], s[4:5], 1, v[0:1]
	s_cselect_b32 s4, s11, 0x1180
	s_ashr_i32 s5, s4, 31
	s_cmpk_lt_u32 s38, 0x2401
	v_lshl_add_u64 v[42:43], s[4:5], 1, v[0:1]
	s_cselect_b32 s4, s11, 0x1200
	s_ashr_i32 s5, s4, 31
	s_cmpk_lt_u32 s38, 0x2501
	v_lshl_add_u64 v[44:45], s[4:5], 1, v[0:1]
	s_cselect_b32 s4, s11, 0x1280
	s_ashr_i32 s5, s4, 31
	s_cmpk_lt_u32 s38, 0x2601
	v_lshl_add_u64 v[46:47], s[4:5], 1, v[0:1]
	s_cselect_b32 s4, s11, 0x1300
	s_ashr_i32 s5, s4, 31
	s_cmpk_lt_u32 s38, 0x2701
	v_lshl_add_u64 v[48:49], s[4:5], 1, v[0:1]
	s_cselect_b32 s4, s11, 0x1380
	s_ashr_i32 s5, s4, 31
	s_cmpk_lt_u32 s38, 0x2801
	v_lshl_add_u64 v[50:51], s[4:5], 1, v[0:1]
	s_cselect_b32 s4, s11, 0x1400
	v_add_co_u32_e32 v36, vcc, 0x2000, v0
	s_ashr_i32 s5, s4, 31
	s_nop 0
	v_addc_co_u32_e32 v37, vcc, 0, v1, vcc
	s_cmpk_lt_u32 s38, 0x2901
	global_load_ushort v52, v[36:37], off
	global_load_ushort v53, v[38:39], off
	;; [unrolled: 1-line block ×8, first 2 shown]
	v_lshl_add_u64 v[36:37], s[4:5], 1, v[0:1]
	s_cselect_b32 s4, s11, 0x1480
	s_ashr_i32 s5, s4, 31
	s_cmpk_lt_u32 s38, 0x2a01
	v_lshl_add_u64 v[38:39], s[4:5], 1, v[0:1]
	s_cselect_b32 s4, s11, 0x1500
	s_ashr_i32 s5, s4, 31
	s_cmpk_lt_u32 s38, 0x2b01
	;; [unrolled: 4-line block ×8, first 2 shown]
	global_load_ushort v68, v[36:37], off
	global_load_ushort v69, v[38:39], off
	;; [unrolled: 1-line block ×8, first 2 shown]
	v_lshl_add_u64 v[36:37], s[4:5], 1, v[0:1]
	s_cselect_b32 s4, s11, 0x1880
	s_ashr_i32 s5, s4, 31
	s_cmpk_lt_u32 s38, 0x3201
	v_lshl_add_u64 v[38:39], s[4:5], 1, v[0:1]
	s_cselect_b32 s4, s11, 0x1900
	s_ashr_i32 s5, s4, 31
	s_cmpk_lt_u32 s38, 0x3301
	;; [unrolled: 4-line block ×8, first 2 shown]
	global_load_ushort v76, v[36:37], off
	global_load_ushort v77, v[38:39], off
	;; [unrolled: 1-line block ×8, first 2 shown]
	v_lshl_add_u64 v[36:37], s[4:5], 1, v[0:1]
	s_cselect_b32 s4, s11, 0x1c80
	s_ashr_i32 s5, s4, 31
	s_cmpk_lt_u32 s38, 0x3a01
	v_lshl_add_u64 v[38:39], s[4:5], 1, v[0:1]
	s_cselect_b32 s4, s11, 0x1d00
	s_ashr_i32 s5, s4, 31
	s_cmpk_lt_u32 s38, 0x3b01
	;; [unrolled: 4-line block ×6, first 2 shown]
	v_lshl_add_u64 v[48:49], s[4:5], 1, v[0:1]
	s_cselect_b32 s4, s11, 0x1f80
	s_ashr_i32 s5, s4, 31
	v_lshl_add_u64 v[50:51], s[4:5], 1, v[0:1]
	global_load_ushort v84, v[36:37], off
	global_load_ushort v85, v[38:39], off
	;; [unrolled: 1-line block ×8, first 2 shown]
	s_waitcnt vmcnt(31)
	v_cvt_f32_f16_e32 v67, v52
	s_waitcnt vmcnt(30)
	v_cvt_f32_f16_e32 v66, v53
	;; [unrolled: 2-line block ×32, first 2 shown]
.LBB268_12:
	ds_read_b128 v[68:71], v3
	s_load_dwordx2 s[4:5], s[0:1], 0x0
	s_load_dwordx2 s[6:7], s[0:1], 0x38
	ds_read_b128 v[72:75], v3 offset:16
	ds_read_b128 v[76:79], v3 offset:32
	;; [unrolled: 1-line block ×3, first 2 shown]
	s_and_b64 vcc, exec, s[8:9]
	s_waitcnt vmcnt(15) lgkmcnt(0)
	v_fma_mix_f32 v4, v68, v4, 0 op_sel_hi:[0,1,0]
	s_waitcnt vmcnt(14)
	v_fma_mix_f32 v4, v69, v5, v4 op_sel_hi:[0,1,0]
	s_waitcnt vmcnt(13)
	;; [unrolled: 2-line block ×15, first 2 shown]
	v_fma_mix_f32 v4, v83, v19, v4 op_sel_hi:[0,1,0]
	s_cbranch_vccz .LBB268_15
; %bb.13:
	ds_read_b128 v[6:9], v3 offset:64
	ds_read_b128 v[10:13], v3 offset:80
	ds_read_b128 v[14:17], v3 offset:96
	ds_read_b128 v[68:71], v3 offset:112
	s_cmpk_lt_u32 s38, 0x2001
	s_waitcnt lgkmcnt(3)
	v_fma_mix_f32 v3, v6, v27, v4 op_sel_hi:[0,1,0]
	v_fma_mix_f32 v3, v7, v26, v3 op_sel_hi:[0,1,0]
	v_fma_mix_f32 v3, v8, v25, v3 op_sel_hi:[0,1,0]
	v_fma_mix_f32 v3, v9, v24, v3 op_sel_hi:[0,1,0]
	s_waitcnt lgkmcnt(2)
	v_fma_mix_f32 v3, v10, v23, v3 op_sel_hi:[0,1,0]
	v_fma_mix_f32 v3, v11, v22, v3 op_sel_hi:[0,1,0]
	v_fma_mix_f32 v3, v12, v21, v3 op_sel_hi:[0,1,0]
	v_fma_mix_f32 v3, v13, v20, v3 op_sel_hi:[0,1,0]
	s_waitcnt lgkmcnt(1)
	v_fma_mix_f32 v3, v14, v35, v3 op_sel_hi:[0,1,0]
	v_fma_mix_f32 v3, v15, v34, v3 op_sel_hi:[0,1,0]
	v_fma_mix_f32 v3, v16, v33, v3 op_sel_hi:[0,1,0]
	v_fma_mix_f32 v3, v17, v32, v3 op_sel_hi:[0,1,0]
	s_waitcnt lgkmcnt(0)
	v_fma_mix_f32 v3, v68, v31, v3 op_sel_hi:[0,1,0]
	v_fma_mix_f32 v3, v69, v30, v3 op_sel_hi:[0,1,0]
	v_fma_mix_f32 v3, v70, v29, v3 op_sel_hi:[0,1,0]
	v_fma_mix_f32 v4, v71, v28, v3 op_sel_hi:[0,1,0]
	s_cbranch_scc1 .LBB268_15
; %bb.14:
	v_mov_b32_e32 v3, 0
	ds_read_b128 v[6:9], v3 offset:128
	ds_read_b128 v[10:13], v3 offset:144
	;; [unrolled: 1-line block ×4, first 2 shown]
	s_waitcnt lgkmcnt(3)
	v_fmac_f32_e32 v4, v6, v67
	v_fmac_f32_e32 v4, v7, v66
	v_fmac_f32_e32 v4, v8, v65
	v_fmac_f32_e32 v4, v9, v64
	s_waitcnt lgkmcnt(2)
	v_fmac_f32_e32 v4, v10, v63
	v_fmac_f32_e32 v4, v11, v62
	v_fmac_f32_e32 v4, v12, v61
	v_fmac_f32_e32 v4, v13, v60
	;; [unrolled: 5-line block ×3, first 2 shown]
	ds_read_b128 v[6:9], v3 offset:192
	ds_read_b128 v[10:13], v3 offset:208
	s_waitcnt lgkmcnt(2)
	v_fmac_f32_e32 v4, v18, v55
	v_fmac_f32_e32 v4, v19, v54
	;; [unrolled: 1-line block ×4, first 2 shown]
	s_waitcnt lgkmcnt(1)
	v_fmac_f32_e32 v4, v6, v51
	v_fmac_f32_e32 v4, v7, v50
	;; [unrolled: 1-line block ×4, first 2 shown]
	ds_read_b128 v[6:9], v3 offset:224
	s_waitcnt lgkmcnt(1)
	v_fmac_f32_e32 v4, v10, v47
	v_fmac_f32_e32 v4, v11, v46
	;; [unrolled: 1-line block ×4, first 2 shown]
	ds_read_b128 v[10:13], v3 offset:240
	s_waitcnt lgkmcnt(1)
	v_fmac_f32_e32 v4, v6, v43
	v_fmac_f32_e32 v4, v7, v42
	;; [unrolled: 1-line block ×4, first 2 shown]
	s_waitcnt lgkmcnt(0)
	v_fmac_f32_e32 v4, v10, v39
	v_fmac_f32_e32 v4, v11, v38
	;; [unrolled: 1-line block ×4, first 2 shown]
.LBB268_15:
	s_movk_i32 s0, 0x3f80
	s_movk_i32 s1, 0x100
	s_mov_b32 s8, 64
	s_branch .LBB268_17
.LBB268_16:                             ;   in Loop: Header=BB268_17 Depth=1
	s_addk_i32 s0, 0x2000
	s_addk_i32 s1, 0x100
	s_add_i32 s8, s8, 64
	s_cmpk_eq_u32 s0, 0xbf80
	s_cbranch_scc1 .LBB268_19
.LBB268_17:                             ; =>This Inner Loop Header: Depth=1
	s_cmp_le_i32 s33, s8
	s_cbranch_scc1 .LBB268_16
; %bb.18:                               ;   in Loop: Header=BB268_17 Depth=1
	s_add_i32 s9, s0, 0xffffe080
	s_cmp_lt_i32 s9, s10
	s_cselect_b32 s12, s9, s11
	s_ashr_i32 s13, s12, 31
	s_add_i32 s9, s0, 0xffffe100
	s_cmp_lt_i32 s9, s10
	v_lshl_add_u64 v[12:13], s[12:13], 1, v[0:1]
	s_cselect_b32 s12, s9, s11
	s_ashr_i32 s13, s12, 31
	s_add_i32 s9, s0, 0xffffe180
	s_cmp_lt_i32 s9, s10
	v_lshl_add_u64 v[14:15], s[12:13], 1, v[0:1]
	;; [unrolled: 5-line block ×8, first 2 shown]
	s_cselect_b32 s12, s9, s11
	s_ashr_i32 s13, s12, 31
	s_add_i32 s9, s0, 0xffffe500
	s_cmp_lt_i32 s9, s10
	global_load_ushort v3, v[12:13], off
	global_load_ushort v5, v[14:15], off
	global_load_ushort v6, v[16:17], off
	global_load_ushort v7, v[18:19], off
	global_load_ushort v8, v[20:21], off
	global_load_ushort v9, v[22:23], off
	global_load_ushort v10, v[24:25], off
	global_load_ushort v11, v[26:27], off
	v_lshl_add_u64 v[12:13], s[12:13], 1, v[0:1]
	s_cselect_b32 s12, s9, s11
	s_ashr_i32 s13, s12, 31
	s_add_i32 s9, s0, 0xffffe580
	s_cmp_lt_i32 s9, s10
	v_lshl_add_u64 v[14:15], s[12:13], 1, v[0:1]
	s_cselect_b32 s12, s9, s11
	s_ashr_i32 s13, s12, 31
	s_add_i32 s9, s0, 0xffffe600
	s_cmp_lt_i32 s9, s10
	v_lshl_add_u64 v[16:17], s[12:13], 1, v[0:1]
	s_cselect_b32 s12, s9, s11
	s_ashr_i32 s13, s12, 31
	s_add_i32 s9, s0, 0xffffe680
	s_cmp_lt_i32 s9, s10
	v_lshl_add_u64 v[18:19], s[12:13], 1, v[0:1]
	s_cselect_b32 s12, s9, s11
	s_ashr_i32 s13, s12, 31
	s_add_i32 s9, s0, 0xffffe700
	s_cmp_lt_i32 s9, s10
	v_lshl_add_u64 v[20:21], s[12:13], 1, v[0:1]
	s_cselect_b32 s12, s9, s11
	s_ashr_i32 s13, s12, 31
	s_add_i32 s9, s0, 0xffffe780
	s_cmp_lt_i32 s9, s10
	v_lshl_add_u64 v[22:23], s[12:13], 1, v[0:1]
	s_cselect_b32 s12, s9, s11
	s_ashr_i32 s13, s12, 31
	s_add_i32 s9, s0, 0xffffe800
	s_cmp_lt_i32 s9, s10
	v_lshl_add_u64 v[24:25], s[12:13], 1, v[0:1]
	s_cselect_b32 s12, s9, s11
	s_ashr_i32 s13, s12, 31
	s_add_i32 s9, s0, 0xffffe880
	s_cmp_lt_i32 s9, s10
	v_lshl_add_u64 v[26:27], s[12:13], 1, v[0:1]
	s_cselect_b32 s12, s9, s11
	s_ashr_i32 s13, s12, 31
	s_add_i32 s9, s0, 0xffffe900
	s_cmp_lt_i32 s9, s10
	global_load_ushort v28, v[12:13], off
	global_load_ushort v29, v[14:15], off
	global_load_ushort v30, v[16:17], off
	global_load_ushort v31, v[18:19], off
	global_load_ushort v32, v[20:21], off
	global_load_ushort v33, v[22:23], off
	global_load_ushort v34, v[24:25], off
	global_load_ushort v35, v[26:27], off
	v_lshl_add_u64 v[12:13], s[12:13], 1, v[0:1]
	s_cselect_b32 s12, s9, s11
	s_ashr_i32 s13, s12, 31
	s_add_i32 s9, s0, 0xffffe980
	s_cmp_lt_i32 s9, s10
	v_lshl_add_u64 v[14:15], s[12:13], 1, v[0:1]
	s_cselect_b32 s12, s9, s11
	s_ashr_i32 s13, s12, 31
	s_add_i32 s9, s0, 0xffffea00
	s_cmp_lt_i32 s9, s10
	v_lshl_add_u64 v[16:17], s[12:13], 1, v[0:1]
	s_cselect_b32 s12, s9, s11
	s_ashr_i32 s13, s12, 31
	s_add_i32 s9, s0, 0xffffea80
	s_cmp_lt_i32 s9, s10
	v_lshl_add_u64 v[18:19], s[12:13], 1, v[0:1]
	s_cselect_b32 s12, s9, s11
	s_ashr_i32 s13, s12, 31
	s_add_i32 s9, s0, 0xffffeb00
	s_cmp_lt_i32 s9, s10
	v_lshl_add_u64 v[20:21], s[12:13], 1, v[0:1]
	s_cselect_b32 s12, s9, s11
	s_ashr_i32 s13, s12, 31
	s_add_i32 s9, s0, 0xffffeb80
	s_cmp_lt_i32 s9, s10
	v_lshl_add_u64 v[22:23], s[12:13], 1, v[0:1]
	s_cselect_b32 s12, s9, s11
	s_ashr_i32 s13, s12, 31
	s_add_i32 s9, s0, 0xffffec00
	s_cmp_lt_i32 s9, s10
	v_lshl_add_u64 v[24:25], s[12:13], 1, v[0:1]
	s_cselect_b32 s12, s9, s11
	s_ashr_i32 s13, s12, 31
	s_add_i32 s9, s0, 0xffffec80
	s_cmp_lt_i32 s9, s10
	v_lshl_add_u64 v[26:27], s[12:13], 1, v[0:1]
	;; [unrolled: 48-line block ×6, first 2 shown]
	s_cselect_b32 s12, s9, s11
	s_ashr_i32 s13, s12, 31
	s_add_i32 s9, s0, 0xfffffd00
	s_cmp_lt_i32 s9, s10
	global_load_ushort v68, v[12:13], off
	global_load_ushort v69, v[14:15], off
	;; [unrolled: 1-line block ×8, first 2 shown]
	v_lshl_add_u64 v[12:13], s[12:13], 1, v[0:1]
	s_cselect_b32 s12, s9, s11
	s_ashr_i32 s13, s12, 31
	s_add_i32 s9, s0, 0xfffffd80
	s_cmp_lt_i32 s9, s10
	v_lshl_add_u64 v[14:15], s[12:13], 1, v[0:1]
	s_cselect_b32 s12, s9, s11
	s_ashr_i32 s13, s12, 31
	s_add_i32 s9, s0, 0xfffffe00
	s_cmp_lt_i32 s9, s10
	v_lshl_add_u64 v[16:17], s[12:13], 1, v[0:1]
	s_cselect_b32 s12, s9, s11
	s_ashr_i32 s13, s12, 31
	s_add_i32 s9, s0, 0xfffffe80
	s_cmp_lt_i32 s9, s10
	v_lshl_add_u64 v[18:19], s[12:13], 1, v[0:1]
	s_cselect_b32 s12, s9, s11
	s_ashr_i32 s13, s12, 31
	s_add_i32 s9, s0, 0xffffff00
	s_cmp_lt_i32 s9, s10
	v_lshl_add_u64 v[20:21], s[12:13], 1, v[0:1]
	s_cselect_b32 s12, s9, s11
	s_ashr_i32 s13, s12, 31
	s_add_i32 s9, s0, 0xffffff80
	s_cmp_lt_i32 s9, s10
	v_lshl_add_u64 v[22:23], s[12:13], 1, v[0:1]
	s_cselect_b32 s12, s9, s11
	s_ashr_i32 s13, s12, 31
	s_cmp_lt_i32 s0, s10
	v_lshl_add_u64 v[24:25], s[12:13], 1, v[0:1]
	s_cselect_b32 s12, s0, s11
	s_ashr_i32 s13, s12, 31
	v_lshl_add_u64 v[26:27], s[12:13], 1, v[0:1]
	global_load_ushort v76, v[12:13], off
	global_load_ushort v77, v[14:15], off
	global_load_ushort v78, v[16:17], off
	global_load_ushort v79, v[18:19], off
	global_load_ushort v80, v[20:21], off
	global_load_ushort v81, v[22:23], off
	global_load_ushort v82, v[24:25], off
	global_load_ushort v83, v[26:27], off
	v_mov_b32_e32 v84, s1
	ds_read_b128 v[12:15], v84
	ds_read_b128 v[16:19], v84 offset:16
	ds_read_b128 v[20:23], v84 offset:32
	;; [unrolled: 1-line block ×3, first 2 shown]
	s_waitcnt vmcnt(62) lgkmcnt(3)
	v_fma_mix_f32 v3, v12, v3, v4 op_sel_hi:[0,1,0]
	v_fma_mix_f32 v3, v13, v5, v3 op_sel_hi:[0,1,0]
	s_waitcnt vmcnt(61)
	v_fma_mix_f32 v3, v14, v6, v3 op_sel_hi:[0,1,0]
	s_waitcnt vmcnt(60)
	v_fma_mix_f32 v3, v15, v7, v3 op_sel_hi:[0,1,0]
	s_waitcnt vmcnt(59) lgkmcnt(2)
	v_fma_mix_f32 v3, v16, v8, v3 op_sel_hi:[0,1,0]
	s_waitcnt vmcnt(58)
	v_fma_mix_f32 v3, v17, v9, v3 op_sel_hi:[0,1,0]
	s_waitcnt vmcnt(57)
	;; [unrolled: 2-line block ×3, first 2 shown]
	v_fma_mix_f32 v3, v19, v11, v3 op_sel_hi:[0,1,0]
	s_waitcnt vmcnt(55) lgkmcnt(1)
	v_fma_mix_f32 v3, v20, v28, v3 op_sel_hi:[0,1,0]
	s_waitcnt vmcnt(54)
	v_fma_mix_f32 v3, v21, v29, v3 op_sel_hi:[0,1,0]
	s_waitcnt vmcnt(53)
	;; [unrolled: 2-line block ×3, first 2 shown]
	v_fma_mix_f32 v3, v23, v31, v3 op_sel_hi:[0,1,0]
	ds_read_b128 v[4:7], v84 offset:64
	ds_read_b128 v[8:11], v84 offset:80
	s_waitcnt vmcnt(51) lgkmcnt(2)
	v_fma_mix_f32 v3, v24, v32, v3 op_sel_hi:[0,1,0]
	s_waitcnt vmcnt(50)
	v_fma_mix_f32 v3, v25, v33, v3 op_sel_hi:[0,1,0]
	s_waitcnt vmcnt(49)
	;; [unrolled: 2-line block ×3, first 2 shown]
	v_fma_mix_f32 v3, v27, v35, v3 op_sel_hi:[0,1,0]
	s_waitcnt vmcnt(47) lgkmcnt(1)
	v_fma_mix_f32 v3, v4, v36, v3 op_sel_hi:[0,1,0]
	s_waitcnt vmcnt(46)
	v_fma_mix_f32 v3, v5, v37, v3 op_sel_hi:[0,1,0]
	s_waitcnt vmcnt(45)
	v_fma_mix_f32 v3, v6, v38, v3 op_sel_hi:[0,1,0]
	s_waitcnt vmcnt(44)
	v_fma_mix_f32 v3, v7, v39, v3 op_sel_hi:[0,1,0]
	ds_read_b128 v[4:7], v84 offset:96
	s_waitcnt vmcnt(43) lgkmcnt(1)
	v_fma_mix_f32 v3, v8, v40, v3 op_sel_hi:[0,1,0]
	s_waitcnt vmcnt(42)
	v_fma_mix_f32 v3, v9, v41, v3 op_sel_hi:[0,1,0]
	s_waitcnt vmcnt(41)
	v_fma_mix_f32 v3, v10, v42, v3 op_sel_hi:[0,1,0]
	s_waitcnt vmcnt(40)
	v_fma_mix_f32 v3, v11, v43, v3 op_sel_hi:[0,1,0]
	ds_read_b128 v[8:11], v84 offset:112
	;; [unrolled: 9-line block ×10, first 2 shown]
	s_waitcnt vmcnt(7) lgkmcnt(1)
	v_fma_mix_f32 v3, v4, v76, v3 op_sel_hi:[0,1,0]
	s_waitcnt vmcnt(6)
	v_fma_mix_f32 v3, v5, v77, v3 op_sel_hi:[0,1,0]
	s_waitcnt vmcnt(5)
	v_fma_mix_f32 v3, v6, v78, v3 op_sel_hi:[0,1,0]
	s_waitcnt vmcnt(4)
	v_fma_mix_f32 v3, v7, v79, v3 op_sel_hi:[0,1,0]
	s_waitcnt vmcnt(3) lgkmcnt(0)
	v_fma_mix_f32 v3, v8, v80, v3 op_sel_hi:[0,1,0]
	s_waitcnt vmcnt(2)
	v_fma_mix_f32 v3, v9, v81, v3 op_sel_hi:[0,1,0]
	s_waitcnt vmcnt(1)
	;; [unrolled: 2-line block ×3, first 2 shown]
	v_fma_mix_f32 v4, v11, v83, v3 op_sel_hi:[0,1,0]
	s_branch .LBB268_16
.LBB268_19:
	v_mov_b32_e32 v0, 0
	ds_read_b32 v1, v0 offset:1280
	s_cmp_lg_u64 s[6:7], 0
	s_cbranch_scc0 .LBB268_24
; %bb.20:
	s_load_dword s6, s[6:7], 0x0
	s_waitcnt lgkmcnt(0)
	v_div_scale_f32 v0, s[0:1], s6, s6, 1.0
	v_rcp_f32_e32 v3, v0
	v_div_scale_f32 v5, vcc, 1.0, s6, 1.0
	v_fma_f32 v6, -v0, v3, 1.0
	v_fmac_f32_e32 v3, v6, v3
	v_mul_f32_e32 v6, v5, v3
	v_fma_f32 v7, -v0, v6, v5
	v_fmac_f32_e32 v6, v7, v3
	v_fma_f32 v0, -v0, v6, v5
	v_div_fmas_f32 v0, v0, v3, v6
	v_div_fixup_f32 v0, v0, s6, 1.0
	s_andn2_b64 vcc, exec, s[26:27]
	s_cbranch_vccnz .LBB268_22
.LBB268_21:
	s_add_u32 s0, s24, s28
	s_addc_u32 s1, s25, s29
	s_load_dword s14, s[0:1], 0x0
	s_mov_b32 s15, 0
.LBB268_22:
	s_waitcnt lgkmcnt(0)
	v_add_f32_e32 v1, 0x358637bd, v1
	v_div_scale_f32 v3, s[0:1], v1, v1, 1.0
	v_rcp_f32_e32 v5, v3
	v_div_scale_f32 v6, vcc, 1.0, v1, 1.0
	s_mul_i32 s0, s3, s15
	v_fma_f32 v7, -v3, v5, 1.0
	v_fmac_f32_e32 v5, v7, v5
	v_mul_f32_e32 v7, v6, v5
	v_fma_f32 v8, -v3, v7, v6
	s_mul_hi_u32 s1, s3, s14
	v_fmac_f32_e32 v7, v8, v5
	s_add_i32 s1, s1, s0
	s_mul_i32 s0, s3, s14
	v_fma_f32 v3, -v3, v7, v6
	s_lshl_b64 s[0:1], s[0:1], 8
	v_div_fmas_f32 v3, v3, v5, v7
	s_add_u32 s4, s4, s0
	s_mov_b32 s3, 0
	v_div_fixup_f32 v1, v3, v1, 1.0
	s_addc_u32 s5, s5, s1
	s_lshl_b64 s[0:1], s[2:3], 8
	v_mul_f32_e32 v1, v4, v1
	s_add_u32 s0, s4, s0
	s_addc_u32 s1, s5, s1
	v_fma_mixlo_f16 v0, v1, v0, 0
	global_store_short v2, v0, s[0:1]
	s_endpgm
.LBB268_23:
	s_mov_b64 s[6:7], 0
	s_branch .LBB268_2
.LBB268_24:
	v_mov_b32_e32 v0, 1.0
	s_andn2_b64 vcc, exec, s[26:27]
	s_cbranch_vccz .LBB268_21
	s_branch .LBB268_22
	.section	.rodata,"a",@progbits
	.p2align	6, 0x0
	.amdhsa_kernel _Z35paged_attention_ll4mi_reduce_kernelIDF16_DF16_Li128ELi128ELi256ELi5EEvPT0_PKfS3_PKT_PKiS8_iS3_
		.amdhsa_group_segment_fixed_size 1284
		.amdhsa_private_segment_fixed_size 0
		.amdhsa_kernarg_size 320
		.amdhsa_user_sgpr_count 2
		.amdhsa_user_sgpr_dispatch_ptr 0
		.amdhsa_user_sgpr_queue_ptr 0
		.amdhsa_user_sgpr_kernarg_segment_ptr 1
		.amdhsa_user_sgpr_dispatch_id 0
		.amdhsa_user_sgpr_kernarg_preload_length 0
		.amdhsa_user_sgpr_kernarg_preload_offset 0
		.amdhsa_user_sgpr_private_segment_size 0
		.amdhsa_uses_dynamic_stack 0
		.amdhsa_enable_private_segment 0
		.amdhsa_system_sgpr_workgroup_id_x 1
		.amdhsa_system_sgpr_workgroup_id_y 1
		.amdhsa_system_sgpr_workgroup_id_z 0
		.amdhsa_system_sgpr_workgroup_info 0
		.amdhsa_system_vgpr_workitem_id 0
		.amdhsa_next_free_vgpr 92
		.amdhsa_next_free_sgpr 40
		.amdhsa_accum_offset 92
		.amdhsa_reserve_vcc 1
		.amdhsa_float_round_mode_32 0
		.amdhsa_float_round_mode_16_64 0
		.amdhsa_float_denorm_mode_32 3
		.amdhsa_float_denorm_mode_16_64 3
		.amdhsa_dx10_clamp 1
		.amdhsa_ieee_mode 1
		.amdhsa_fp16_overflow 0
		.amdhsa_tg_split 0
		.amdhsa_exception_fp_ieee_invalid_op 0
		.amdhsa_exception_fp_denorm_src 0
		.amdhsa_exception_fp_ieee_div_zero 0
		.amdhsa_exception_fp_ieee_overflow 0
		.amdhsa_exception_fp_ieee_underflow 0
		.amdhsa_exception_fp_ieee_inexact 0
		.amdhsa_exception_int_div_zero 0
	.end_amdhsa_kernel
	.section	.text._Z35paged_attention_ll4mi_reduce_kernelIDF16_DF16_Li128ELi128ELi256ELi5EEvPT0_PKfS3_PKT_PKiS8_iS3_,"axG",@progbits,_Z35paged_attention_ll4mi_reduce_kernelIDF16_DF16_Li128ELi128ELi256ELi5EEvPT0_PKfS3_PKT_PKiS8_iS3_,comdat
.Lfunc_end268:
	.size	_Z35paged_attention_ll4mi_reduce_kernelIDF16_DF16_Li128ELi128ELi256ELi5EEvPT0_PKfS3_PKT_PKiS8_iS3_, .Lfunc_end268-_Z35paged_attention_ll4mi_reduce_kernelIDF16_DF16_Li128ELi128ELi256ELi5EEvPT0_PKfS3_PKT_PKiS8_iS3_
                                        ; -- End function
	.section	.AMDGPU.csdata,"",@progbits
; Kernel info:
; codeLenInByte = 8592
; NumSgprs: 46
; NumVgprs: 92
; NumAgprs: 0
; TotalNumVgprs: 92
; ScratchSize: 0
; MemoryBound: 0
; FloatMode: 240
; IeeeMode: 1
; LDSByteSize: 1284 bytes/workgroup (compile time only)
; SGPRBlocks: 5
; VGPRBlocks: 11
; NumSGPRsForWavesPerEU: 46
; NumVGPRsForWavesPerEU: 92
; AccumOffset: 92
; Occupancy: 5
; WaveLimiterHint : 1
; COMPUTE_PGM_RSRC2:SCRATCH_EN: 0
; COMPUTE_PGM_RSRC2:USER_SGPR: 2
; COMPUTE_PGM_RSRC2:TRAP_HANDLER: 0
; COMPUTE_PGM_RSRC2:TGID_X_EN: 1
; COMPUTE_PGM_RSRC2:TGID_Y_EN: 1
; COMPUTE_PGM_RSRC2:TGID_Z_EN: 0
; COMPUTE_PGM_RSRC2:TIDIG_COMP_CNT: 0
; COMPUTE_PGM_RSRC3_GFX90A:ACCUM_OFFSET: 22
; COMPUTE_PGM_RSRC3_GFX90A:TG_SPLIT: 0
	.section	.text._Z35paged_attention_ll4mi_reduce_kernelIDF16_DF16_Li128ELi128ELi256ELi6EEvPT0_PKfS3_PKT_PKiS8_iS3_,"axG",@progbits,_Z35paged_attention_ll4mi_reduce_kernelIDF16_DF16_Li128ELi128ELi256ELi6EEvPT0_PKfS3_PKT_PKiS8_iS3_,comdat
	.protected	_Z35paged_attention_ll4mi_reduce_kernelIDF16_DF16_Li128ELi128ELi256ELi6EEvPT0_PKfS3_PKT_PKiS8_iS3_ ; -- Begin function _Z35paged_attention_ll4mi_reduce_kernelIDF16_DF16_Li128ELi128ELi256ELi6EEvPT0_PKfS3_PKT_PKiS8_iS3_
	.globl	_Z35paged_attention_ll4mi_reduce_kernelIDF16_DF16_Li128ELi128ELi256ELi6EEvPT0_PKfS3_PKT_PKiS8_iS3_
	.p2align	8
	.type	_Z35paged_attention_ll4mi_reduce_kernelIDF16_DF16_Li128ELi128ELi256ELi6EEvPT0_PKfS3_PKT_PKiS8_iS3_,@function
_Z35paged_attention_ll4mi_reduce_kernelIDF16_DF16_Li128ELi128ELi256ELi6EEvPT0_PKfS3_PKT_PKiS8_iS3_: ; @_Z35paged_attention_ll4mi_reduce_kernelIDF16_DF16_Li128ELi128ELi256ELi6EEvPT0_PKfS3_PKT_PKiS8_iS3_
; %bb.0:
	s_load_dwordx2 s[26:27], s[0:1], 0x28
	s_mov_b32 s24, s3
	s_mov_b64 s[4:5], 0
	s_waitcnt lgkmcnt(0)
	s_cmp_lg_u64 s[26:27], 0
	s_cselect_b64 s[28:29], -1, 0
	s_and_b64 vcc, exec, s[28:29]
	s_cbranch_vccz .LBB269_23
; %bb.1:
	s_add_i32 s6, s24, 1
	s_mov_b32 s7, 0
	s_lshl_b64 s[8:9], s[6:7], 2
	s_add_u32 s8, s26, s8
	s_mov_b32 s25, s7
	s_addc_u32 s9, s27, s9
	s_lshl_b64 s[6:7], s[24:25], 2
	s_add_u32 s6, s26, s6
	s_addc_u32 s7, s27, s7
	s_load_dword s3, s[8:9], 0x0
	s_load_dword s10, s[6:7], 0x0
	s_waitcnt lgkmcnt(0)
	s_sub_i32 s3, s3, s10
	s_cmp_eq_u32 s3, 1
	s_cselect_b64 s[6:7], -1, 0
	s_andn2_b64 vcc, exec, s[4:5]
	s_cbranch_vccnz .LBB269_3
.LBB269_2:
	s_mov_b32 s25, 0
	s_mov_b64 s[6:7], -1
.LBB269_3:
	s_andn2_b64 vcc, exec, s[6:7]
	s_cbranch_vccz .LBB269_5
; %bb.4:
	s_endpgm
.LBB269_5:
	s_load_dwordx4 s[16:19], s[0:1], 0x18
	s_load_dword s8, s[0:1], 0x30
	s_lshl_b64 s[30:31], s[24:25], 2
	v_cmp_lt_u32_e32 vcc, 63, v0
	s_waitcnt lgkmcnt(0)
	s_add_u32 s4, s18, s30
	s_addc_u32 s5, s19, s31
	s_load_dword s38, s[4:5], 0x0
	s_load_dword s3, s[0:1], 0x40
	s_mul_i32 s18, s2, s8
	s_mul_i32 s6, s24, s8
	s_waitcnt lgkmcnt(0)
	s_add_i32 s7, s38, 0xff
	s_ashr_i32 s4, s7, 31
	s_lshr_b32 s4, s4, 24
	s_add_i32 s7, s7, s4
	s_and_saveexec_b64 s[4:5], vcc
	s_xor_b64 s[4:5], exec, s[4:5]
	s_or_saveexec_b64 s[34:35], s[4:5]
	s_ashr_i32 s33, s7, 8
	v_mov_b32_e32 v1, s18
	s_mul_i32 s36, s6, s3
	s_xor_b64 exec, exec, s[34:35]
	s_cbranch_execz .LBB269_9
; %bb.6:
	s_add_i32 s4, s33, -1
	v_or_b32_e32 v3, 64, v0
	v_mov_b32_e32 v1, s4
	v_cmp_gt_u32_e64 s[10:11], s33, v3
	s_load_dwordx4 s[20:23], s[0:1], 0x8
	s_mov_b32 s37, 0
	v_cndmask_b32_e64 v4, v1, v3, s[10:11]
	v_or_b32_e32 v3, 0x80, v0
	v_cmp_gt_u32_e64 s[8:9], s33, v3
	s_lshl_b64 s[14:15], s[36:37], 2
	s_mov_b32 s19, s37
	v_cndmask_b32_e64 v6, v1, v3, s[8:9]
	v_or_b32_e32 v3, 0xc0, v0
	v_cmp_gt_u32_e64 s[6:7], s33, v3
	v_cmp_gt_u32_e64 s[12:13], s33, v0
	s_waitcnt lgkmcnt(0)
	s_add_u32 s37, s22, s14
	v_cndmask_b32_e64 v8, v1, v3, s[6:7]
	v_or_b32_e32 v3, 0x100, v0
	v_cmp_gt_u32_e64 s[4:5], s33, v3
	v_cndmask_b32_e64 v2, v1, v0, s[12:13]
	s_addc_u32 s39, s23, s15
	v_cndmask_b32_e64 v10, v1, v3, s[4:5]
	v_or_b32_e32 v3, 0x140, v0
	v_cmp_gt_u32_e32 vcc, s33, v3
	s_lshl_b64 s[22:23], s[18:19], 2
	s_add_u32 s40, s37, s22
	v_cndmask_b32_e32 v12, v1, v3, vcc
	v_ashrrev_i32_e32 v3, 31, v2
	s_addc_u32 s41, s39, s23
	v_lshlrev_b64 v[2:3], 2, v[2:3]
	v_ashrrev_i32_e32 v5, 31, v4
	v_ashrrev_i32_e32 v7, 31, v6
	;; [unrolled: 1-line block ×5, first 2 shown]
	v_lshl_add_u64 v[14:15], s[40:41], 0, v[2:3]
	v_lshlrev_b64 v[4:5], 2, v[4:5]
	v_lshlrev_b64 v[6:7], 2, v[6:7]
	;; [unrolled: 1-line block ×5, first 2 shown]
	v_lshl_add_u64 v[16:17], s[40:41], 0, v[4:5]
	v_lshl_add_u64 v[18:19], s[40:41], 0, v[6:7]
	;; [unrolled: 1-line block ×5, first 2 shown]
	global_load_dword v1, v[14:15], off
	global_load_dword v26, v[16:17], off
	;; [unrolled: 1-line block ×6, first 2 shown]
	v_mbcnt_lo_u32_b32 v14, -1, 0
	s_add_u32 s14, s20, s14
	v_mbcnt_hi_u32_b32 v14, -1, v14
	s_addc_u32 s15, s21, s15
	v_and_b32_e32 v15, 64, v14
	s_add_u32 s20, s14, s22
	v_xor_b32_e32 v16, 32, v14
	v_add_u32_e32 v15, 64, v15
	s_addc_u32 s21, s15, s23
	v_lshl_add_u64 v[2:3], s[20:21], 0, v[2:3]
	v_cmp_lt_i32_e64 s[14:15], v16, v15
	global_load_dword v20, v[2:3], off
	v_xor_b32_e32 v17, 16, v14
	v_cndmask_b32_e64 v2, v14, v16, s[14:15]
	v_lshlrev_b32_e32 v16, 2, v2
	v_cmp_lt_i32_e64 s[14:15], v17, v15
	v_xor_b32_e32 v18, 8, v14
	v_xor_b32_e32 v19, 4, v14
	s_mov_b32 s19, 0x3fb8aa3b
	s_mov_b32 s37, 0xc2ce8ed0
	s_waitcnt vmcnt(6)
	v_max_f32_e32 v3, v1, v1
	s_waitcnt vmcnt(5)
	v_max_f32_e32 v2, v26, v26
	v_max_f32_e32 v2, v3, v2
	s_waitcnt vmcnt(3)
	v_max3_f32 v2, v2, v27, v28
	s_waitcnt vmcnt(1)
	v_max3_f32 v21, v2, v29, v30
	ds_bpermute_b32 v22, v16, v21
	v_cndmask_b32_e64 v2, v14, v17, s[14:15]
	v_lshlrev_b32_e32 v17, 2, v2
	v_lshl_add_u64 v[2:3], s[20:21], 0, v[4:5]
	global_load_dword v23, v[2:3], off
	s_waitcnt lgkmcnt(0)
	v_max_f32_e32 v2, v22, v22
	v_max_f32_e32 v2, v21, v2
	ds_bpermute_b32 v3, v17, v2
	v_cmp_lt_i32_e64 s[14:15], v18, v15
	v_xor_b32_e32 v4, 2, v14
	s_waitcnt lgkmcnt(0)
	v_max_f32_e32 v3, v3, v3
	v_cndmask_b32_e64 v5, v14, v18, s[14:15]
	v_lshlrev_b32_e32 v18, 2, v5
	v_max_f32_e32 v5, v2, v3
	ds_bpermute_b32 v21, v18, v5
	v_cmp_lt_i32_e64 s[14:15], v19, v15
	s_nop 1
	v_cndmask_b32_e64 v2, v14, v19, s[14:15]
	v_lshlrev_b32_e32 v19, 2, v2
	v_lshl_add_u64 v[2:3], s[20:21], 0, v[6:7]
	global_load_dword v6, v[2:3], off
	s_waitcnt lgkmcnt(0)
	v_max_f32_e32 v2, v21, v21
	v_max_f32_e32 v2, v5, v2
	ds_bpermute_b32 v3, v19, v2
	v_xor_b32_e32 v5, 1, v14
	v_cmp_lt_i32_e64 s[14:15], v4, v15
	s_waitcnt lgkmcnt(0)
	v_max_f32_e32 v3, v3, v3
	v_cndmask_b32_e64 v4, v14, v4, s[14:15]
	v_cmp_lt_i32_e64 s[14:15], v5, v15
	v_max_f32_e32 v21, v2, v3
	v_lshlrev_b32_e32 v7, 2, v4
	v_cndmask_b32_e64 v2, v14, v5, s[14:15]
	v_lshlrev_b32_e32 v14, 2, v2
	v_lshl_add_u64 v[2:3], s[20:21], 0, v[8:9]
	v_lshl_add_u64 v[4:5], s[20:21], 0, v[10:11]
	global_load_dword v10, v[2:3], off
	v_lshl_add_u64 v[2:3], s[20:21], 0, v[12:13]
	global_load_dword v11, v[4:5], off
	global_load_dword v12, v[2:3], off
	ds_bpermute_b32 v22, v7, v21
	s_mov_b32 s20, 0x42b17218
	s_waitcnt lgkmcnt(0)
	v_max_f32_e32 v8, v22, v22
	v_max_f32_e32 v8, v21, v8
	ds_bpermute_b32 v9, v14, v8
	s_waitcnt lgkmcnt(0)
	v_max_f32_e32 v2, v9, v9
	v_max_f32_e32 v2, v8, v2
	v_sub_f32_e32 v1, v1, v2
	v_mul_f32_e32 v4, 0x3fb8aa3b, v1
	v_fma_f32 v8, v1, s19, -v4
	v_rndne_f32_e32 v9, v4
	v_sub_f32_e32 v3, v26, v2
	v_fmac_f32_e32 v8, 0x32a5705f, v1
	v_sub_f32_e32 v4, v4, v9
	v_mul_f32_e32 v5, 0x3fb8aa3b, v3
	v_add_f32_e32 v4, v4, v8
	v_fma_f32 v13, v3, s19, -v5
	v_rndne_f32_e32 v15, v5
	v_cvt_i32_f32_e32 v9, v9
	v_exp_f32_e32 v4, v4
	v_fmac_f32_e32 v13, 0x32a5705f, v3
	v_sub_f32_e32 v5, v5, v15
	v_add_f32_e32 v5, v5, v13
	v_cvt_i32_f32_e32 v15, v15
	v_exp_f32_e32 v5, v5
	v_ldexp_f32 v4, v4, v9
	v_cmp_ngt_f32_e64 s[14:15], s37, v1
	v_mov_b32_e32 v8, 0x7f800000
	v_ldexp_f32 v5, v5, v15
	v_cndmask_b32_e64 v4, 0, v4, s[14:15]
	v_cmp_nlt_f32_e64 s[14:15], s20, v1
	s_nop 1
	v_cndmask_b32_e64 v1, v8, v4, s[14:15]
	v_cndmask_b32_e64 v1, 0, v1, s[12:13]
	v_cmp_ngt_f32_e64 s[12:13], s37, v3
	s_waitcnt vmcnt(5)
	v_mul_f32_e32 v4, v20, v1
	v_cndmask_b32_e64 v1, 0, v5, s[12:13]
	v_sub_f32_e32 v5, v27, v2
	v_mul_f32_e32 v9, 0x3fb8aa3b, v5
	v_fma_f32 v13, v5, s19, -v9
	v_rndne_f32_e32 v15, v9
	v_fmac_f32_e32 v13, 0x32a5705f, v5
	v_sub_f32_e32 v9, v9, v15
	v_add_f32_e32 v9, v9, v13
	v_exp_f32_e32 v9, v9
	v_cvt_i32_f32_e32 v13, v15
	v_cmp_nlt_f32_e64 s[12:13], s20, v3
	s_nop 1
	v_cndmask_b32_e64 v1, v8, v1, s[12:13]
	v_cndmask_b32_e64 v1, 0, v1, s[10:11]
	s_waitcnt vmcnt(4)
	v_mul_f32_e32 v3, v23, v1
	v_ldexp_f32 v1, v9, v13
	v_sub_f32_e32 v9, v28, v2
	v_mul_f32_e32 v13, 0x3fb8aa3b, v9
	v_fma_f32 v15, v9, s19, -v13
	v_rndne_f32_e32 v20, v13
	v_fmac_f32_e32 v15, 0x32a5705f, v9
	v_sub_f32_e32 v13, v13, v20
	v_cmp_ngt_f32_e64 s[10:11], s37, v5
	v_add_f32_e32 v13, v13, v15
	v_exp_f32_e32 v13, v13
	v_cndmask_b32_e64 v1, 0, v1, s[10:11]
	v_cvt_i32_f32_e32 v15, v20
	v_cmp_nlt_f32_e64 s[10:11], s20, v5
	s_nop 1
	v_cndmask_b32_e64 v1, v8, v1, s[10:11]
	v_cndmask_b32_e64 v1, 0, v1, s[8:9]
	s_waitcnt vmcnt(3)
	v_mul_f32_e32 v5, v6, v1
	v_sub_f32_e32 v6, v29, v2
	v_ldexp_f32 v1, v13, v15
	v_mul_f32_e32 v13, 0x3fb8aa3b, v6
	v_fma_f32 v15, v6, s19, -v13
	v_rndne_f32_e32 v20, v13
	v_fmac_f32_e32 v15, 0x32a5705f, v6
	v_sub_f32_e32 v13, v13, v20
	v_cmp_ngt_f32_e64 s[8:9], s37, v9
	v_add_f32_e32 v13, v13, v15
	v_exp_f32_e32 v13, v13
	v_cndmask_b32_e64 v1, 0, v1, s[8:9]
	v_cvt_i32_f32_e32 v15, v20
	v_cmp_nlt_f32_e64 s[8:9], s20, v9
	v_sub_f32_e32 v2, v30, v2
	s_nop 0
	v_cndmask_b32_e64 v1, v8, v1, s[8:9]
	v_cndmask_b32_e64 v1, 0, v1, s[6:7]
	s_waitcnt vmcnt(2)
	v_mul_f32_e32 v9, v10, v1
	v_mul_f32_e32 v10, 0x3fb8aa3b, v2
	v_ldexp_f32 v1, v13, v15
	v_fma_f32 v13, v2, s19, -v10
	v_rndne_f32_e32 v15, v10
	v_fmac_f32_e32 v13, 0x32a5705f, v2
	v_sub_f32_e32 v10, v10, v15
	v_add_f32_e32 v10, v10, v13
	v_cmp_ngt_f32_e64 s[6:7], s37, v6
	v_exp_f32_e32 v10, v10
	v_cvt_i32_f32_e32 v13, v15
	v_cndmask_b32_e64 v1, 0, v1, s[6:7]
	v_cmp_nlt_f32_e64 s[6:7], s20, v6
	s_nop 1
	v_cndmask_b32_e64 v1, v8, v1, s[6:7]
	v_cndmask_b32_e64 v1, 0, v1, s[4:5]
	s_waitcnt vmcnt(1)
	v_mul_f32_e32 v6, v11, v1
	v_ldexp_f32 v1, v10, v13
	v_cmp_ngt_f32_e64 s[4:5], s37, v2
	s_nop 1
	v_cndmask_b32_e64 v1, 0, v1, s[4:5]
	v_cmp_nlt_f32_e64 s[4:5], s20, v2
	s_nop 1
	v_cndmask_b32_e64 v1, v8, v1, s[4:5]
	v_cndmask_b32_e32 v1, 0, v1, vcc
	s_waitcnt vmcnt(0)
	v_mul_f32_e32 v8, v12, v1
	v_add_f32_e32 v1, v4, v3
	v_add_f32_e32 v1, v1, v5
	v_add_f32_e32 v1, v1, v9
	v_add_f32_e32 v1, v1, v6
	v_add_f32_e32 v1, v1, v8
	ds_bpermute_b32 v2, v16, v1
	v_cmp_eq_u32_e32 vcc, 0, v0
	s_waitcnt lgkmcnt(0)
	v_add_f32_e32 v1, v1, v2
	ds_bpermute_b32 v2, v17, v1
	s_waitcnt lgkmcnt(0)
	v_add_f32_e32 v1, v1, v2
	ds_bpermute_b32 v2, v18, v1
	;; [unrolled: 3-line block ×4, first 2 shown]
	v_lshlrev_b32_e32 v7, 2, v0
	ds_write2st64_b32 v7, v4, v3 offset1:1
	ds_write2st64_b32 v7, v5, v9 offset0:2 offset1:3
	ds_write2st64_b32 v7, v6, v8 offset0:4 offset1:5
	s_waitcnt lgkmcnt(3)
	v_add_f32_e32 v1, v1, v2
	ds_bpermute_b32 v2, v14, v1
	s_and_saveexec_b64 s[4:5], vcc
	s_cbranch_execz .LBB269_8
; %bb.7:
	s_waitcnt lgkmcnt(0)
	v_add_f32_e32 v1, v1, v2
	v_mov_b32_e32 v2, 0
	ds_write_b32 v2, v1 offset:1536
.LBB269_8:
	s_or_b64 exec, exec, s[4:5]
	v_mov_b32_e32 v1, s18
.LBB269_9:
	s_or_b64 exec, exec, s[34:35]
	s_lshl_b32 s4, s36, 7
	s_mov_b32 s5, 0
	s_lshl_b64 s[4:5], s[4:5], 1
	s_add_u32 s4, s16, s4
	s_addc_u32 s5, s17, s5
	s_lshl_b32 s10, s33, 7
	s_add_i32 s11, s10, 0xffffff80
	s_waitcnt lgkmcnt(0)
	v_lshlrev_b32_e32 v2, 7, v1
	v_mov_b32_e32 v3, 0
	s_cmp_lt_i32 s38, 1
	v_lshl_add_u64 v[4:5], v[2:3], 1, s[4:5]
	s_cselect_b32 s4, s11, 0
	v_lshlrev_b32_e32 v2, 1, v0
	s_ashr_i32 s5, s4, 31
	v_lshl_add_u64 v[0:1], v[4:5], 0, v[2:3]
	s_cmpk_lt_i32 s38, 0x101
	v_lshl_add_u64 v[12:13], s[4:5], 1, v[0:1]
	s_cselect_b32 s4, s11, 0x80
	s_ashr_i32 s5, s4, 31
	s_cmpk_lt_i32 s38, 0x201
	v_lshl_add_u64 v[14:15], s[4:5], 1, v[0:1]
	s_cselect_b32 s4, s11, 0x100
	s_ashr_i32 s5, s4, 31
	;; [unrolled: 4-line block ×8, first 2 shown]
	s_cmpk_lt_i32 s38, 0x901
	global_load_ushort v4, v[12:13], off
	global_load_ushort v5, v[14:15], off
	;; [unrolled: 1-line block ×8, first 2 shown]
	v_lshl_add_u64 v[20:21], s[4:5], 1, v[0:1]
	s_cselect_b32 s4, s11, 0x480
	s_ashr_i32 s5, s4, 31
	s_cmpk_lt_i32 s38, 0xa01
	v_lshl_add_u64 v[22:23], s[4:5], 1, v[0:1]
	s_cselect_b32 s4, s11, 0x500
	s_ashr_i32 s5, s4, 31
	s_cmpk_lt_i32 s38, 0xb01
	;; [unrolled: 4-line block ×6, first 2 shown]
	v_lshl_add_u64 v[32:33], s[4:5], 1, v[0:1]
	s_cselect_b32 s4, s11, 0x780
	s_ashr_i32 s5, s4, 31
	v_lshl_add_u64 v[34:35], s[4:5], 1, v[0:1]
	global_load_ushort v12, v[20:21], off
	global_load_ushort v13, v[22:23], off
	;; [unrolled: 1-line block ×8, first 2 shown]
	s_cmpk_gt_i32 s38, 0x1000
	s_cselect_b64 s[8:9], -1, 0
	s_cmpk_lt_i32 s38, 0x1001
	v_mov_b32_e32 v36, 0
	v_mov_b32_e32 v37, 0
	;; [unrolled: 1-line block ×48, first 2 shown]
	s_barrier
	s_cbranch_scc1 .LBB269_12
; %bb.10:
	s_cmpk_lt_u32 s38, 0x1101
	s_cselect_b32 s4, s11, 0x880
	s_ashr_i32 s5, s4, 31
	s_cmpk_lt_u32 s38, 0x1201
	v_lshl_add_u64 v[30:31], s[4:5], 1, v[0:1]
	s_cselect_b32 s4, s11, 0x900
	s_ashr_i32 s5, s4, 31
	s_cmpk_lt_u32 s38, 0x1301
	v_lshl_add_u64 v[32:33], s[4:5], 1, v[0:1]
	;; [unrolled: 4-line block ×7, first 2 shown]
	s_cselect_b32 s4, s11, 0xc00
	v_add_co_u32_e32 v28, vcc, 0x1000, v0
	s_ashr_i32 s5, s4, 31
	s_nop 0
	v_addc_co_u32_e32 v29, vcc, 0, v1, vcc
	s_cmpk_lt_u32 s38, 0x1901
	global_load_ushort v27, v[28:29], off
	global_load_ushort v26, v[30:31], off
	;; [unrolled: 1-line block ×8, first 2 shown]
	v_lshl_add_u64 v[36:37], s[4:5], 1, v[0:1]
	s_cselect_b32 s4, s11, 0xc80
	s_ashr_i32 s5, s4, 31
	s_cmpk_lt_u32 s38, 0x1a01
	v_lshl_add_u64 v[38:39], s[4:5], 1, v[0:1]
	s_cselect_b32 s4, s11, 0xd00
	s_ashr_i32 s5, s4, 31
	s_cmpk_lt_u32 s38, 0x1b01
	v_lshl_add_u64 v[40:41], s[4:5], 1, v[0:1]
	s_cselect_b32 s4, s11, 0xd80
	s_ashr_i32 s5, s4, 31
	s_cmpk_lt_u32 s38, 0x1c01
	v_lshl_add_u64 v[42:43], s[4:5], 1, v[0:1]
	s_cselect_b32 s4, s11, 0xe00
	s_ashr_i32 s5, s4, 31
	s_cmpk_lt_u32 s38, 0x1d01
	v_lshl_add_u64 v[44:45], s[4:5], 1, v[0:1]
	s_cselect_b32 s4, s11, 0xe80
	s_ashr_i32 s5, s4, 31
	s_cmpk_lt_u32 s38, 0x1e01
	v_lshl_add_u64 v[46:47], s[4:5], 1, v[0:1]
	s_cselect_b32 s4, s11, 0xf00
	s_ashr_i32 s5, s4, 31
	s_cmpk_lt_u32 s38, 0x1f01
	v_lshl_add_u64 v[48:49], s[4:5], 1, v[0:1]
	s_cselect_b32 s4, s11, 0xf80
	s_ashr_i32 s5, s4, 31
	v_lshl_add_u64 v[50:51], s[4:5], 1, v[0:1]
	global_load_ushort v35, v[36:37], off
	global_load_ushort v34, v[38:39], off
	global_load_ushort v33, v[40:41], off
	global_load_ushort v32, v[42:43], off
	global_load_ushort v31, v[44:45], off
	global_load_ushort v30, v[46:47], off
	global_load_ushort v29, v[48:49], off
	global_load_ushort v28, v[50:51], off
	s_cmpk_lt_u32 s38, 0x2001
	v_mov_b32_e32 v67, 0
	v_mov_b32_e32 v66, 0
	v_mov_b32_e32 v65, 0
	v_mov_b32_e32 v64, 0
	v_mov_b32_e32 v63, 0
	v_mov_b32_e32 v62, 0
	v_mov_b32_e32 v61, 0
	v_mov_b32_e32 v60, 0
	v_mov_b32_e32 v59, 0
	v_mov_b32_e32 v58, 0
	v_mov_b32_e32 v57, 0
	v_mov_b32_e32 v56, 0
	v_mov_b32_e32 v55, 0
	v_mov_b32_e32 v54, 0
	v_mov_b32_e32 v53, 0
	v_mov_b32_e32 v52, 0
	v_mov_b32_e32 v51, 0
	v_mov_b32_e32 v50, 0
	v_mov_b32_e32 v49, 0
	v_mov_b32_e32 v48, 0
	v_mov_b32_e32 v47, 0
	v_mov_b32_e32 v46, 0
	v_mov_b32_e32 v45, 0
	v_mov_b32_e32 v44, 0
	v_mov_b32_e32 v43, 0
	v_mov_b32_e32 v42, 0
	v_mov_b32_e32 v41, 0
	v_mov_b32_e32 v40, 0
	v_mov_b32_e32 v39, 0
	v_mov_b32_e32 v38, 0
	v_mov_b32_e32 v37, 0
	v_mov_b32_e32 v36, 0
	s_cbranch_scc1 .LBB269_12
; %bb.11:
	s_cmpk_lt_u32 s38, 0x2101
	s_cselect_b32 s4, s11, 0x1080
	s_ashr_i32 s5, s4, 31
	s_cmpk_lt_u32 s38, 0x2201
	v_lshl_add_u64 v[38:39], s[4:5], 1, v[0:1]
	s_cselect_b32 s4, s11, 0x1100
	s_ashr_i32 s5, s4, 31
	s_cmpk_lt_u32 s38, 0x2301
	v_lshl_add_u64 v[40:41], s[4:5], 1, v[0:1]
	;; [unrolled: 4-line block ×7, first 2 shown]
	s_cselect_b32 s4, s11, 0x1400
	v_add_co_u32_e32 v36, vcc, 0x2000, v0
	s_ashr_i32 s5, s4, 31
	s_nop 0
	v_addc_co_u32_e32 v37, vcc, 0, v1, vcc
	s_cmpk_lt_u32 s38, 0x2901
	global_load_ushort v52, v[36:37], off
	global_load_ushort v53, v[38:39], off
	;; [unrolled: 1-line block ×8, first 2 shown]
	v_lshl_add_u64 v[36:37], s[4:5], 1, v[0:1]
	s_cselect_b32 s4, s11, 0x1480
	s_ashr_i32 s5, s4, 31
	s_cmpk_lt_u32 s38, 0x2a01
	v_lshl_add_u64 v[38:39], s[4:5], 1, v[0:1]
	s_cselect_b32 s4, s11, 0x1500
	s_ashr_i32 s5, s4, 31
	s_cmpk_lt_u32 s38, 0x2b01
	;; [unrolled: 4-line block ×8, first 2 shown]
	global_load_ushort v68, v[36:37], off
	global_load_ushort v69, v[38:39], off
	;; [unrolled: 1-line block ×8, first 2 shown]
	v_lshl_add_u64 v[36:37], s[4:5], 1, v[0:1]
	s_cselect_b32 s4, s11, 0x1880
	s_ashr_i32 s5, s4, 31
	s_cmpk_lt_u32 s38, 0x3201
	v_lshl_add_u64 v[38:39], s[4:5], 1, v[0:1]
	s_cselect_b32 s4, s11, 0x1900
	s_ashr_i32 s5, s4, 31
	s_cmpk_lt_u32 s38, 0x3301
	;; [unrolled: 4-line block ×8, first 2 shown]
	global_load_ushort v76, v[36:37], off
	global_load_ushort v77, v[38:39], off
	;; [unrolled: 1-line block ×8, first 2 shown]
	v_lshl_add_u64 v[36:37], s[4:5], 1, v[0:1]
	s_cselect_b32 s4, s11, 0x1c80
	s_ashr_i32 s5, s4, 31
	s_cmpk_lt_u32 s38, 0x3a01
	v_lshl_add_u64 v[38:39], s[4:5], 1, v[0:1]
	s_cselect_b32 s4, s11, 0x1d00
	s_ashr_i32 s5, s4, 31
	s_cmpk_lt_u32 s38, 0x3b01
	;; [unrolled: 4-line block ×6, first 2 shown]
	v_lshl_add_u64 v[48:49], s[4:5], 1, v[0:1]
	s_cselect_b32 s4, s11, 0x1f80
	s_ashr_i32 s5, s4, 31
	v_lshl_add_u64 v[50:51], s[4:5], 1, v[0:1]
	global_load_ushort v84, v[36:37], off
	global_load_ushort v85, v[38:39], off
	;; [unrolled: 1-line block ×8, first 2 shown]
	s_waitcnt vmcnt(31)
	v_cvt_f32_f16_e32 v67, v52
	s_waitcnt vmcnt(30)
	v_cvt_f32_f16_e32 v66, v53
	;; [unrolled: 2-line block ×32, first 2 shown]
.LBB269_12:
	ds_read_b128 v[68:71], v3
	s_load_dwordx2 s[4:5], s[0:1], 0x0
	s_load_dwordx2 s[6:7], s[0:1], 0x38
	ds_read_b128 v[72:75], v3 offset:16
	ds_read_b128 v[76:79], v3 offset:32
	;; [unrolled: 1-line block ×3, first 2 shown]
	s_and_b64 vcc, exec, s[8:9]
	s_waitcnt vmcnt(15) lgkmcnt(0)
	v_fma_mix_f32 v4, v68, v4, 0 op_sel_hi:[0,1,0]
	s_waitcnt vmcnt(14)
	v_fma_mix_f32 v4, v69, v5, v4 op_sel_hi:[0,1,0]
	s_waitcnt vmcnt(13)
	;; [unrolled: 2-line block ×15, first 2 shown]
	v_fma_mix_f32 v4, v83, v19, v4 op_sel_hi:[0,1,0]
	s_cbranch_vccz .LBB269_15
; %bb.13:
	ds_read_b128 v[6:9], v3 offset:64
	ds_read_b128 v[10:13], v3 offset:80
	;; [unrolled: 1-line block ×4, first 2 shown]
	s_cmpk_lt_u32 s38, 0x2001
	s_waitcnt lgkmcnt(3)
	v_fma_mix_f32 v3, v6, v27, v4 op_sel_hi:[0,1,0]
	v_fma_mix_f32 v3, v7, v26, v3 op_sel_hi:[0,1,0]
	v_fma_mix_f32 v3, v8, v25, v3 op_sel_hi:[0,1,0]
	v_fma_mix_f32 v3, v9, v24, v3 op_sel_hi:[0,1,0]
	s_waitcnt lgkmcnt(2)
	v_fma_mix_f32 v3, v10, v23, v3 op_sel_hi:[0,1,0]
	v_fma_mix_f32 v3, v11, v22, v3 op_sel_hi:[0,1,0]
	v_fma_mix_f32 v3, v12, v21, v3 op_sel_hi:[0,1,0]
	v_fma_mix_f32 v3, v13, v20, v3 op_sel_hi:[0,1,0]
	;; [unrolled: 5-line block ×4, first 2 shown]
	s_cbranch_scc1 .LBB269_15
; %bb.14:
	v_mov_b32_e32 v3, 0
	ds_read_b128 v[6:9], v3 offset:128
	ds_read_b128 v[10:13], v3 offset:144
	;; [unrolled: 1-line block ×4, first 2 shown]
	s_waitcnt lgkmcnt(3)
	v_fmac_f32_e32 v4, v6, v67
	v_fmac_f32_e32 v4, v7, v66
	v_fmac_f32_e32 v4, v8, v65
	v_fmac_f32_e32 v4, v9, v64
	s_waitcnt lgkmcnt(2)
	v_fmac_f32_e32 v4, v10, v63
	v_fmac_f32_e32 v4, v11, v62
	v_fmac_f32_e32 v4, v12, v61
	v_fmac_f32_e32 v4, v13, v60
	;; [unrolled: 5-line block ×3, first 2 shown]
	ds_read_b128 v[6:9], v3 offset:192
	ds_read_b128 v[10:13], v3 offset:208
	s_waitcnt lgkmcnt(2)
	v_fmac_f32_e32 v4, v18, v55
	v_fmac_f32_e32 v4, v19, v54
	;; [unrolled: 1-line block ×4, first 2 shown]
	s_waitcnt lgkmcnt(1)
	v_fmac_f32_e32 v4, v6, v51
	v_fmac_f32_e32 v4, v7, v50
	;; [unrolled: 1-line block ×4, first 2 shown]
	ds_read_b128 v[6:9], v3 offset:224
	s_waitcnt lgkmcnt(1)
	v_fmac_f32_e32 v4, v10, v47
	v_fmac_f32_e32 v4, v11, v46
	;; [unrolled: 1-line block ×4, first 2 shown]
	ds_read_b128 v[10:13], v3 offset:240
	s_waitcnt lgkmcnt(1)
	v_fmac_f32_e32 v4, v6, v43
	v_fmac_f32_e32 v4, v7, v42
	;; [unrolled: 1-line block ×4, first 2 shown]
	s_waitcnt lgkmcnt(0)
	v_fmac_f32_e32 v4, v10, v39
	v_fmac_f32_e32 v4, v11, v38
	;; [unrolled: 1-line block ×4, first 2 shown]
.LBB269_15:
	s_movk_i32 s0, 0x3f80
	s_movk_i32 s1, 0x100
	s_mov_b32 s8, 64
	s_branch .LBB269_17
.LBB269_16:                             ;   in Loop: Header=BB269_17 Depth=1
	s_addk_i32 s0, 0x2000
	s_addk_i32 s1, 0x100
	s_add_i32 s8, s8, 64
	s_cmpk_eq_u32 s0, 0xdf80
	s_cbranch_scc1 .LBB269_19
.LBB269_17:                             ; =>This Inner Loop Header: Depth=1
	s_cmp_le_i32 s33, s8
	s_cbranch_scc1 .LBB269_16
; %bb.18:                               ;   in Loop: Header=BB269_17 Depth=1
	s_add_i32 s9, s0, 0xffffe080
	s_cmp_lt_i32 s9, s10
	s_cselect_b32 s12, s9, s11
	s_ashr_i32 s13, s12, 31
	s_add_i32 s9, s0, 0xffffe100
	s_cmp_lt_i32 s9, s10
	v_lshl_add_u64 v[12:13], s[12:13], 1, v[0:1]
	s_cselect_b32 s12, s9, s11
	s_ashr_i32 s13, s12, 31
	s_add_i32 s9, s0, 0xffffe180
	s_cmp_lt_i32 s9, s10
	v_lshl_add_u64 v[14:15], s[12:13], 1, v[0:1]
	;; [unrolled: 5-line block ×8, first 2 shown]
	s_cselect_b32 s12, s9, s11
	s_ashr_i32 s13, s12, 31
	s_add_i32 s9, s0, 0xffffe500
	s_cmp_lt_i32 s9, s10
	global_load_ushort v3, v[12:13], off
	global_load_ushort v5, v[14:15], off
	global_load_ushort v6, v[16:17], off
	global_load_ushort v7, v[18:19], off
	global_load_ushort v8, v[20:21], off
	global_load_ushort v9, v[22:23], off
	global_load_ushort v10, v[24:25], off
	global_load_ushort v11, v[26:27], off
	v_lshl_add_u64 v[12:13], s[12:13], 1, v[0:1]
	s_cselect_b32 s12, s9, s11
	s_ashr_i32 s13, s12, 31
	s_add_i32 s9, s0, 0xffffe580
	s_cmp_lt_i32 s9, s10
	v_lshl_add_u64 v[14:15], s[12:13], 1, v[0:1]
	s_cselect_b32 s12, s9, s11
	s_ashr_i32 s13, s12, 31
	s_add_i32 s9, s0, 0xffffe600
	s_cmp_lt_i32 s9, s10
	v_lshl_add_u64 v[16:17], s[12:13], 1, v[0:1]
	s_cselect_b32 s12, s9, s11
	s_ashr_i32 s13, s12, 31
	s_add_i32 s9, s0, 0xffffe680
	s_cmp_lt_i32 s9, s10
	v_lshl_add_u64 v[18:19], s[12:13], 1, v[0:1]
	s_cselect_b32 s12, s9, s11
	s_ashr_i32 s13, s12, 31
	s_add_i32 s9, s0, 0xffffe700
	s_cmp_lt_i32 s9, s10
	v_lshl_add_u64 v[20:21], s[12:13], 1, v[0:1]
	s_cselect_b32 s12, s9, s11
	s_ashr_i32 s13, s12, 31
	s_add_i32 s9, s0, 0xffffe780
	s_cmp_lt_i32 s9, s10
	v_lshl_add_u64 v[22:23], s[12:13], 1, v[0:1]
	s_cselect_b32 s12, s9, s11
	s_ashr_i32 s13, s12, 31
	s_add_i32 s9, s0, 0xffffe800
	s_cmp_lt_i32 s9, s10
	v_lshl_add_u64 v[24:25], s[12:13], 1, v[0:1]
	s_cselect_b32 s12, s9, s11
	s_ashr_i32 s13, s12, 31
	s_add_i32 s9, s0, 0xffffe880
	s_cmp_lt_i32 s9, s10
	v_lshl_add_u64 v[26:27], s[12:13], 1, v[0:1]
	s_cselect_b32 s12, s9, s11
	s_ashr_i32 s13, s12, 31
	s_add_i32 s9, s0, 0xffffe900
	s_cmp_lt_i32 s9, s10
	global_load_ushort v28, v[12:13], off
	global_load_ushort v29, v[14:15], off
	global_load_ushort v30, v[16:17], off
	global_load_ushort v31, v[18:19], off
	global_load_ushort v32, v[20:21], off
	global_load_ushort v33, v[22:23], off
	global_load_ushort v34, v[24:25], off
	global_load_ushort v35, v[26:27], off
	v_lshl_add_u64 v[12:13], s[12:13], 1, v[0:1]
	s_cselect_b32 s12, s9, s11
	s_ashr_i32 s13, s12, 31
	s_add_i32 s9, s0, 0xffffe980
	s_cmp_lt_i32 s9, s10
	v_lshl_add_u64 v[14:15], s[12:13], 1, v[0:1]
	s_cselect_b32 s12, s9, s11
	s_ashr_i32 s13, s12, 31
	s_add_i32 s9, s0, 0xffffea00
	s_cmp_lt_i32 s9, s10
	v_lshl_add_u64 v[16:17], s[12:13], 1, v[0:1]
	s_cselect_b32 s12, s9, s11
	s_ashr_i32 s13, s12, 31
	s_add_i32 s9, s0, 0xffffea80
	s_cmp_lt_i32 s9, s10
	v_lshl_add_u64 v[18:19], s[12:13], 1, v[0:1]
	s_cselect_b32 s12, s9, s11
	s_ashr_i32 s13, s12, 31
	s_add_i32 s9, s0, 0xffffeb00
	s_cmp_lt_i32 s9, s10
	v_lshl_add_u64 v[20:21], s[12:13], 1, v[0:1]
	s_cselect_b32 s12, s9, s11
	s_ashr_i32 s13, s12, 31
	s_add_i32 s9, s0, 0xffffeb80
	s_cmp_lt_i32 s9, s10
	v_lshl_add_u64 v[22:23], s[12:13], 1, v[0:1]
	s_cselect_b32 s12, s9, s11
	s_ashr_i32 s13, s12, 31
	s_add_i32 s9, s0, 0xffffec00
	s_cmp_lt_i32 s9, s10
	v_lshl_add_u64 v[24:25], s[12:13], 1, v[0:1]
	s_cselect_b32 s12, s9, s11
	s_ashr_i32 s13, s12, 31
	s_add_i32 s9, s0, 0xffffec80
	s_cmp_lt_i32 s9, s10
	v_lshl_add_u64 v[26:27], s[12:13], 1, v[0:1]
	;; [unrolled: 48-line block ×6, first 2 shown]
	s_cselect_b32 s12, s9, s11
	s_ashr_i32 s13, s12, 31
	s_add_i32 s9, s0, 0xfffffd00
	s_cmp_lt_i32 s9, s10
	global_load_ushort v68, v[12:13], off
	global_load_ushort v69, v[14:15], off
	;; [unrolled: 1-line block ×8, first 2 shown]
	v_lshl_add_u64 v[12:13], s[12:13], 1, v[0:1]
	s_cselect_b32 s12, s9, s11
	s_ashr_i32 s13, s12, 31
	s_add_i32 s9, s0, 0xfffffd80
	s_cmp_lt_i32 s9, s10
	v_lshl_add_u64 v[14:15], s[12:13], 1, v[0:1]
	s_cselect_b32 s12, s9, s11
	s_ashr_i32 s13, s12, 31
	s_add_i32 s9, s0, 0xfffffe00
	s_cmp_lt_i32 s9, s10
	;; [unrolled: 5-line block ×5, first 2 shown]
	v_lshl_add_u64 v[22:23], s[12:13], 1, v[0:1]
	s_cselect_b32 s12, s9, s11
	s_ashr_i32 s13, s12, 31
	s_cmp_lt_i32 s0, s10
	v_lshl_add_u64 v[24:25], s[12:13], 1, v[0:1]
	s_cselect_b32 s12, s0, s11
	s_ashr_i32 s13, s12, 31
	v_lshl_add_u64 v[26:27], s[12:13], 1, v[0:1]
	global_load_ushort v76, v[12:13], off
	global_load_ushort v77, v[14:15], off
	;; [unrolled: 1-line block ×8, first 2 shown]
	v_mov_b32_e32 v84, s1
	ds_read_b128 v[12:15], v84
	ds_read_b128 v[16:19], v84 offset:16
	ds_read_b128 v[20:23], v84 offset:32
	;; [unrolled: 1-line block ×3, first 2 shown]
	s_waitcnt vmcnt(62) lgkmcnt(3)
	v_fma_mix_f32 v3, v12, v3, v4 op_sel_hi:[0,1,0]
	v_fma_mix_f32 v3, v13, v5, v3 op_sel_hi:[0,1,0]
	s_waitcnt vmcnt(61)
	v_fma_mix_f32 v3, v14, v6, v3 op_sel_hi:[0,1,0]
	s_waitcnt vmcnt(60)
	v_fma_mix_f32 v3, v15, v7, v3 op_sel_hi:[0,1,0]
	s_waitcnt vmcnt(59) lgkmcnt(2)
	v_fma_mix_f32 v3, v16, v8, v3 op_sel_hi:[0,1,0]
	s_waitcnt vmcnt(58)
	v_fma_mix_f32 v3, v17, v9, v3 op_sel_hi:[0,1,0]
	s_waitcnt vmcnt(57)
	v_fma_mix_f32 v3, v18, v10, v3 op_sel_hi:[0,1,0]
	s_waitcnt vmcnt(56)
	v_fma_mix_f32 v3, v19, v11, v3 op_sel_hi:[0,1,0]
	s_waitcnt vmcnt(55) lgkmcnt(1)
	v_fma_mix_f32 v3, v20, v28, v3 op_sel_hi:[0,1,0]
	s_waitcnt vmcnt(54)
	v_fma_mix_f32 v3, v21, v29, v3 op_sel_hi:[0,1,0]
	s_waitcnt vmcnt(53)
	;; [unrolled: 2-line block ×3, first 2 shown]
	v_fma_mix_f32 v3, v23, v31, v3 op_sel_hi:[0,1,0]
	ds_read_b128 v[4:7], v84 offset:64
	ds_read_b128 v[8:11], v84 offset:80
	s_waitcnt vmcnt(51) lgkmcnt(2)
	v_fma_mix_f32 v3, v24, v32, v3 op_sel_hi:[0,1,0]
	s_waitcnt vmcnt(50)
	v_fma_mix_f32 v3, v25, v33, v3 op_sel_hi:[0,1,0]
	s_waitcnt vmcnt(49)
	;; [unrolled: 2-line block ×3, first 2 shown]
	v_fma_mix_f32 v3, v27, v35, v3 op_sel_hi:[0,1,0]
	s_waitcnt vmcnt(47) lgkmcnt(1)
	v_fma_mix_f32 v3, v4, v36, v3 op_sel_hi:[0,1,0]
	s_waitcnt vmcnt(46)
	v_fma_mix_f32 v3, v5, v37, v3 op_sel_hi:[0,1,0]
	s_waitcnt vmcnt(45)
	v_fma_mix_f32 v3, v6, v38, v3 op_sel_hi:[0,1,0]
	s_waitcnt vmcnt(44)
	v_fma_mix_f32 v3, v7, v39, v3 op_sel_hi:[0,1,0]
	ds_read_b128 v[4:7], v84 offset:96
	s_waitcnt vmcnt(43) lgkmcnt(1)
	v_fma_mix_f32 v3, v8, v40, v3 op_sel_hi:[0,1,0]
	s_waitcnt vmcnt(42)
	v_fma_mix_f32 v3, v9, v41, v3 op_sel_hi:[0,1,0]
	s_waitcnt vmcnt(41)
	v_fma_mix_f32 v3, v10, v42, v3 op_sel_hi:[0,1,0]
	s_waitcnt vmcnt(40)
	v_fma_mix_f32 v3, v11, v43, v3 op_sel_hi:[0,1,0]
	ds_read_b128 v[8:11], v84 offset:112
	;; [unrolled: 9-line block ×10, first 2 shown]
	s_waitcnt vmcnt(7) lgkmcnt(1)
	v_fma_mix_f32 v3, v4, v76, v3 op_sel_hi:[0,1,0]
	s_waitcnt vmcnt(6)
	v_fma_mix_f32 v3, v5, v77, v3 op_sel_hi:[0,1,0]
	s_waitcnt vmcnt(5)
	;; [unrolled: 2-line block ×3, first 2 shown]
	v_fma_mix_f32 v3, v7, v79, v3 op_sel_hi:[0,1,0]
	s_waitcnt vmcnt(3) lgkmcnt(0)
	v_fma_mix_f32 v3, v8, v80, v3 op_sel_hi:[0,1,0]
	s_waitcnt vmcnt(2)
	v_fma_mix_f32 v3, v9, v81, v3 op_sel_hi:[0,1,0]
	s_waitcnt vmcnt(1)
	;; [unrolled: 2-line block ×3, first 2 shown]
	v_fma_mix_f32 v4, v11, v83, v3 op_sel_hi:[0,1,0]
	s_branch .LBB269_16
.LBB269_19:
	v_mov_b32_e32 v0, 0
	ds_read_b32 v1, v0 offset:1536
	s_cmp_lg_u64 s[6:7], 0
	s_cbranch_scc0 .LBB269_24
; %bb.20:
	s_load_dword s6, s[6:7], 0x0
	s_waitcnt lgkmcnt(0)
	v_div_scale_f32 v0, s[0:1], s6, s6, 1.0
	v_rcp_f32_e32 v3, v0
	v_div_scale_f32 v5, vcc, 1.0, s6, 1.0
	v_fma_f32 v6, -v0, v3, 1.0
	v_fmac_f32_e32 v3, v6, v3
	v_mul_f32_e32 v6, v5, v3
	v_fma_f32 v7, -v0, v6, v5
	v_fmac_f32_e32 v6, v7, v3
	v_fma_f32 v0, -v0, v6, v5
	v_div_fmas_f32 v0, v0, v3, v6
	v_div_fixup_f32 v0, v0, s6, 1.0
	s_andn2_b64 vcc, exec, s[28:29]
	s_cbranch_vccnz .LBB269_22
.LBB269_21:
	s_add_u32 s0, s26, s30
	s_addc_u32 s1, s27, s31
	s_load_dword s24, s[0:1], 0x0
	s_mov_b32 s25, 0
.LBB269_22:
	s_waitcnt lgkmcnt(0)
	v_add_f32_e32 v1, 0x358637bd, v1
	v_div_scale_f32 v3, s[0:1], v1, v1, 1.0
	v_rcp_f32_e32 v5, v3
	v_div_scale_f32 v6, vcc, 1.0, v1, 1.0
	s_mul_i32 s0, s3, s25
	v_fma_f32 v7, -v3, v5, 1.0
	v_fmac_f32_e32 v5, v7, v5
	v_mul_f32_e32 v7, v6, v5
	v_fma_f32 v8, -v3, v7, v6
	s_mul_hi_u32 s1, s3, s24
	v_fmac_f32_e32 v7, v8, v5
	s_add_i32 s1, s1, s0
	s_mul_i32 s0, s3, s24
	v_fma_f32 v3, -v3, v7, v6
	s_lshl_b64 s[0:1], s[0:1], 8
	v_div_fmas_f32 v3, v3, v5, v7
	s_add_u32 s4, s4, s0
	s_mov_b32 s3, 0
	v_div_fixup_f32 v1, v3, v1, 1.0
	s_addc_u32 s5, s5, s1
	s_lshl_b64 s[0:1], s[2:3], 8
	v_mul_f32_e32 v1, v4, v1
	s_add_u32 s0, s4, s0
	s_addc_u32 s1, s5, s1
	v_fma_mixlo_f16 v0, v1, v0, 0
	global_store_short v2, v0, s[0:1]
	s_endpgm
.LBB269_23:
	s_mov_b64 s[6:7], 0
	s_branch .LBB269_2
.LBB269_24:
	v_mov_b32_e32 v0, 1.0
	s_andn2_b64 vcc, exec, s[28:29]
	s_cbranch_vccz .LBB269_21
	s_branch .LBB269_22
	.section	.rodata,"a",@progbits
	.p2align	6, 0x0
	.amdhsa_kernel _Z35paged_attention_ll4mi_reduce_kernelIDF16_DF16_Li128ELi128ELi256ELi6EEvPT0_PKfS3_PKT_PKiS8_iS3_
		.amdhsa_group_segment_fixed_size 1540
		.amdhsa_private_segment_fixed_size 0
		.amdhsa_kernarg_size 320
		.amdhsa_user_sgpr_count 2
		.amdhsa_user_sgpr_dispatch_ptr 0
		.amdhsa_user_sgpr_queue_ptr 0
		.amdhsa_user_sgpr_kernarg_segment_ptr 1
		.amdhsa_user_sgpr_dispatch_id 0
		.amdhsa_user_sgpr_kernarg_preload_length 0
		.amdhsa_user_sgpr_kernarg_preload_offset 0
		.amdhsa_user_sgpr_private_segment_size 0
		.amdhsa_uses_dynamic_stack 0
		.amdhsa_enable_private_segment 0
		.amdhsa_system_sgpr_workgroup_id_x 1
		.amdhsa_system_sgpr_workgroup_id_y 1
		.amdhsa_system_sgpr_workgroup_id_z 0
		.amdhsa_system_sgpr_workgroup_info 0
		.amdhsa_system_vgpr_workitem_id 0
		.amdhsa_next_free_vgpr 92
		.amdhsa_next_free_sgpr 42
		.amdhsa_accum_offset 92
		.amdhsa_reserve_vcc 1
		.amdhsa_float_round_mode_32 0
		.amdhsa_float_round_mode_16_64 0
		.amdhsa_float_denorm_mode_32 3
		.amdhsa_float_denorm_mode_16_64 3
		.amdhsa_dx10_clamp 1
		.amdhsa_ieee_mode 1
		.amdhsa_fp16_overflow 0
		.amdhsa_tg_split 0
		.amdhsa_exception_fp_ieee_invalid_op 0
		.amdhsa_exception_fp_denorm_src 0
		.amdhsa_exception_fp_ieee_div_zero 0
		.amdhsa_exception_fp_ieee_overflow 0
		.amdhsa_exception_fp_ieee_underflow 0
		.amdhsa_exception_fp_ieee_inexact 0
		.amdhsa_exception_int_div_zero 0
	.end_amdhsa_kernel
	.section	.text._Z35paged_attention_ll4mi_reduce_kernelIDF16_DF16_Li128ELi128ELi256ELi6EEvPT0_PKfS3_PKT_PKiS8_iS3_,"axG",@progbits,_Z35paged_attention_ll4mi_reduce_kernelIDF16_DF16_Li128ELi128ELi256ELi6EEvPT0_PKfS3_PKT_PKiS8_iS3_,comdat
.Lfunc_end269:
	.size	_Z35paged_attention_ll4mi_reduce_kernelIDF16_DF16_Li128ELi128ELi256ELi6EEvPT0_PKfS3_PKT_PKiS8_iS3_, .Lfunc_end269-_Z35paged_attention_ll4mi_reduce_kernelIDF16_DF16_Li128ELi128ELi256ELi6EEvPT0_PKfS3_PKT_PKiS8_iS3_
                                        ; -- End function
	.section	.AMDGPU.csdata,"",@progbits
; Kernel info:
; codeLenInByte = 8804
; NumSgprs: 48
; NumVgprs: 92
; NumAgprs: 0
; TotalNumVgprs: 92
; ScratchSize: 0
; MemoryBound: 0
; FloatMode: 240
; IeeeMode: 1
; LDSByteSize: 1540 bytes/workgroup (compile time only)
; SGPRBlocks: 5
; VGPRBlocks: 11
; NumSGPRsForWavesPerEU: 48
; NumVGPRsForWavesPerEU: 92
; AccumOffset: 92
; Occupancy: 5
; WaveLimiterHint : 1
; COMPUTE_PGM_RSRC2:SCRATCH_EN: 0
; COMPUTE_PGM_RSRC2:USER_SGPR: 2
; COMPUTE_PGM_RSRC2:TRAP_HANDLER: 0
; COMPUTE_PGM_RSRC2:TGID_X_EN: 1
; COMPUTE_PGM_RSRC2:TGID_Y_EN: 1
; COMPUTE_PGM_RSRC2:TGID_Z_EN: 0
; COMPUTE_PGM_RSRC2:TIDIG_COMP_CNT: 0
; COMPUTE_PGM_RSRC3_GFX90A:ACCUM_OFFSET: 22
; COMPUTE_PGM_RSRC3_GFX90A:TG_SPLIT: 0
	.section	.text._Z35paged_attention_ll4mi_reduce_kernelIDF16_DF16_Li128ELi128ELi256ELi7EEvPT0_PKfS3_PKT_PKiS8_iS3_,"axG",@progbits,_Z35paged_attention_ll4mi_reduce_kernelIDF16_DF16_Li128ELi128ELi256ELi7EEvPT0_PKfS3_PKT_PKiS8_iS3_,comdat
	.protected	_Z35paged_attention_ll4mi_reduce_kernelIDF16_DF16_Li128ELi128ELi256ELi7EEvPT0_PKfS3_PKT_PKiS8_iS3_ ; -- Begin function _Z35paged_attention_ll4mi_reduce_kernelIDF16_DF16_Li128ELi128ELi256ELi7EEvPT0_PKfS3_PKT_PKiS8_iS3_
	.globl	_Z35paged_attention_ll4mi_reduce_kernelIDF16_DF16_Li128ELi128ELi256ELi7EEvPT0_PKfS3_PKT_PKiS8_iS3_
	.p2align	8
	.type	_Z35paged_attention_ll4mi_reduce_kernelIDF16_DF16_Li128ELi128ELi256ELi7EEvPT0_PKfS3_PKT_PKiS8_iS3_,@function
_Z35paged_attention_ll4mi_reduce_kernelIDF16_DF16_Li128ELi128ELi256ELi7EEvPT0_PKfS3_PKT_PKiS8_iS3_: ; @_Z35paged_attention_ll4mi_reduce_kernelIDF16_DF16_Li128ELi128ELi256ELi7EEvPT0_PKfS3_PKT_PKiS8_iS3_
; %bb.0:
	s_load_dwordx2 s[26:27], s[0:1], 0x28
	s_mov_b32 s24, s3
	s_mov_b64 s[4:5], 0
	s_waitcnt lgkmcnt(0)
	s_cmp_lg_u64 s[26:27], 0
	s_cselect_b64 s[28:29], -1, 0
	s_and_b64 vcc, exec, s[28:29]
	s_cbranch_vccz .LBB270_23
; %bb.1:
	s_add_i32 s6, s24, 1
	s_mov_b32 s7, 0
	s_lshl_b64 s[8:9], s[6:7], 2
	s_add_u32 s8, s26, s8
	s_mov_b32 s25, s7
	s_addc_u32 s9, s27, s9
	s_lshl_b64 s[6:7], s[24:25], 2
	s_add_u32 s6, s26, s6
	s_addc_u32 s7, s27, s7
	s_load_dword s3, s[8:9], 0x0
	s_load_dword s10, s[6:7], 0x0
	s_waitcnt lgkmcnt(0)
	s_sub_i32 s3, s3, s10
	s_cmp_eq_u32 s3, 1
	s_cselect_b64 s[6:7], -1, 0
	s_andn2_b64 vcc, exec, s[4:5]
	s_cbranch_vccnz .LBB270_3
.LBB270_2:
	s_mov_b32 s25, 0
	s_mov_b64 s[6:7], -1
.LBB270_3:
	s_andn2_b64 vcc, exec, s[6:7]
	s_cbranch_vccz .LBB270_5
; %bb.4:
	s_endpgm
.LBB270_5:
	s_load_dwordx4 s[20:23], s[0:1], 0x18
	s_load_dword s8, s[0:1], 0x30
	s_lshl_b64 s[30:31], s[24:25], 2
	v_cmp_lt_u32_e32 vcc, 63, v0
	s_waitcnt lgkmcnt(0)
	s_add_u32 s4, s22, s30
	s_addc_u32 s5, s23, s31
	s_load_dword s40, s[4:5], 0x0
	s_load_dword s3, s[0:1], 0x40
	s_mul_i32 s22, s2, s8
	s_mul_i32 s6, s24, s8
	s_waitcnt lgkmcnt(0)
	s_add_i32 s7, s40, 0xff
	s_ashr_i32 s4, s7, 31
	s_lshr_b32 s4, s4, 24
	s_add_i32 s7, s7, s4
	s_and_saveexec_b64 s[4:5], vcc
	s_xor_b64 s[4:5], exec, s[4:5]
	s_or_saveexec_b64 s[34:35], s[4:5]
	s_ashr_i32 s33, s7, 8
	v_mov_b32_e32 v1, s22
	s_mul_i32 s36, s6, s3
	s_xor_b64 exec, exec, s[34:35]
	s_cbranch_execz .LBB270_9
; %bb.6:
	s_add_i32 s4, s33, -1
	v_or_b32_e32 v3, 64, v0
	v_mov_b32_e32 v1, s4
	v_cmp_gt_u32_e64 s[12:13], s33, v3
	s_load_dwordx4 s[16:19], s[0:1], 0x8
	s_mov_b32 s37, 0
	v_cndmask_b32_e64 v4, v1, v3, s[12:13]
	v_or_b32_e32 v3, 0x80, v0
	v_cmp_gt_u32_e64 s[10:11], s33, v3
	s_lshl_b64 s[38:39], s[36:37], 2
	s_mov_b32 s23, s37
	v_cndmask_b32_e64 v6, v1, v3, s[10:11]
	v_or_b32_e32 v3, 0xc0, v0
	v_cmp_gt_u32_e64 s[8:9], s33, v3
	v_cmp_gt_u32_e64 s[14:15], s33, v0
	s_waitcnt lgkmcnt(0)
	s_add_u32 s37, s18, s38
	v_cndmask_b32_e64 v8, v1, v3, s[8:9]
	v_or_b32_e32 v3, 0x100, v0
	v_cmp_gt_u32_e64 s[6:7], s33, v3
	v_cndmask_b32_e64 v2, v1, v0, s[14:15]
	s_addc_u32 s41, s19, s39
	v_cndmask_b32_e64 v10, v1, v3, s[6:7]
	v_or_b32_e32 v3, 0x140, v0
	v_cmp_gt_u32_e64 s[4:5], s33, v3
	s_lshl_b64 s[18:19], s[22:23], 2
	s_add_u32 s42, s37, s18
	v_cndmask_b32_e64 v12, v1, v3, s[4:5]
	v_or_b32_e32 v3, 0x180, v0
	v_cmp_gt_u32_e32 vcc, s33, v3
	s_addc_u32 s43, s41, s19
	v_ashrrev_i32_e32 v5, 31, v4
	v_cndmask_b32_e32 v14, v1, v3, vcc
	v_ashrrev_i32_e32 v3, 31, v2
	v_lshlrev_b64 v[2:3], 2, v[2:3]
	v_ashrrev_i32_e32 v7, 31, v6
	v_ashrrev_i32_e32 v9, 31, v8
	;; [unrolled: 1-line block ×5, first 2 shown]
	v_lshl_add_u64 v[16:17], s[42:43], 0, v[2:3]
	v_lshlrev_b64 v[4:5], 2, v[4:5]
	v_lshlrev_b64 v[6:7], 2, v[6:7]
	;; [unrolled: 1-line block ×6, first 2 shown]
	v_lshl_add_u64 v[18:19], s[42:43], 0, v[4:5]
	v_lshl_add_u64 v[20:21], s[42:43], 0, v[6:7]
	;; [unrolled: 1-line block ×6, first 2 shown]
	global_load_dword v1, v[16:17], off
	global_load_dword v30, v[18:19], off
	;; [unrolled: 1-line block ×7, first 2 shown]
	v_mbcnt_lo_u32_b32 v16, -1, 0
	s_add_u32 s16, s16, s38
	v_mbcnt_hi_u32_b32 v16, -1, v16
	s_addc_u32 s17, s17, s39
	v_and_b32_e32 v18, 64, v16
	s_add_u32 s18, s16, s18
	v_xor_b32_e32 v19, 32, v16
	s_addc_u32 s19, s17, s19
	v_add_u32_e32 v18, 64, v18
	v_lshl_add_u64 v[2:3], s[18:19], 0, v[2:3]
	v_cmp_lt_i32_e64 s[16:17], v19, v18
	global_load_dword v22, v[2:3], off
	v_xor_b32_e32 v20, 16, v16
	v_cndmask_b32_e64 v2, v16, v19, s[16:17]
	v_lshlrev_b32_e32 v19, 2, v2
	v_cmp_lt_i32_e64 s[16:17], v20, v18
	v_xor_b32_e32 v21, 8, v16
	v_xor_b32_e32 v23, 4, v16
	;; [unrolled: 1-line block ×3, first 2 shown]
	s_mov_b32 s41, 0x3fb8aa3b
	s_mov_b32 s23, 0xc2ce8ed0
	;; [unrolled: 1-line block ×3, first 2 shown]
	v_mov_b32_e32 v17, 0x7f800000
	s_waitcnt vmcnt(5)
	v_max3_f32 v2, v1, v30, v31
	s_waitcnt vmcnt(3)
	v_max3_f32 v2, v2, v32, v33
	s_waitcnt vmcnt(1)
	v_max3_f32 v25, v2, v34, v35
	ds_bpermute_b32 v26, v19, v25
	v_cndmask_b32_e64 v2, v16, v20, s[16:17]
	v_lshlrev_b32_e32 v20, 2, v2
	v_lshl_add_u64 v[2:3], s[18:19], 0, v[4:5]
	global_load_dword v27, v[2:3], off
	s_waitcnt lgkmcnt(0)
	v_max_f32_e32 v2, v26, v26
	v_max_f32_e32 v2, v25, v2
	ds_bpermute_b32 v3, v20, v2
	v_cmp_lt_i32_e64 s[16:17], v21, v18
	v_xor_b32_e32 v4, 1, v16
	s_waitcnt lgkmcnt(0)
	v_max_f32_e32 v3, v3, v3
	v_cndmask_b32_e64 v5, v16, v21, s[16:17]
	v_lshlrev_b32_e32 v21, 2, v5
	v_max_f32_e32 v5, v2, v3
	ds_bpermute_b32 v25, v21, v5
	v_cmp_lt_i32_e64 s[16:17], v23, v18
	s_nop 1
	v_cndmask_b32_e64 v2, v16, v23, s[16:17]
	v_lshlrev_b32_e32 v23, 2, v2
	v_lshl_add_u64 v[2:3], s[18:19], 0, v[6:7]
	global_load_dword v26, v[2:3], off
	s_waitcnt lgkmcnt(0)
	v_max_f32_e32 v2, v25, v25
	v_max_f32_e32 v2, v5, v2
	ds_bpermute_b32 v3, v23, v2
	v_cmp_lt_i32_e64 s[16:17], v24, v18
	v_lshl_add_u64 v[6:7], s[18:19], 0, v[12:13]
	s_waitcnt lgkmcnt(0)
	v_max_f32_e32 v3, v3, v3
	v_cndmask_b32_e64 v5, v16, v24, s[16:17]
	v_cmp_lt_i32_e64 s[16:17], v4, v18
	v_max_f32_e32 v18, v2, v3
	v_lshl_add_u64 v[2:3], s[18:19], 0, v[8:9]
	global_load_dword v9, v[2:3], off
	v_cndmask_b32_e64 v4, v16, v4, s[16:17]
	v_lshlrev_b32_e32 v16, 2, v5
	v_lshlrev_b32_e32 v25, 2, v4
	v_lshl_add_u64 v[4:5], s[18:19], 0, v[10:11]
	v_lshl_add_u64 v[2:3], s[18:19], 0, v[14:15]
	global_load_dword v11, v[4:5], off
	global_load_dword v12, v[6:7], off
	;; [unrolled: 1-line block ×3, first 2 shown]
	ds_bpermute_b32 v24, v16, v18
	s_waitcnt lgkmcnt(0)
	v_max_f32_e32 v8, v24, v24
	v_max_f32_e32 v8, v18, v8
	ds_bpermute_b32 v10, v25, v8
	s_waitcnt lgkmcnt(0)
	v_max_f32_e32 v2, v10, v10
	v_max_f32_e32 v2, v8, v2
	v_sub_f32_e32 v1, v1, v2
	v_mul_f32_e32 v4, 0x3fb8aa3b, v1
	v_fma_f32 v5, v1, s41, -v4
	v_rndne_f32_e32 v6, v4
	v_fmac_f32_e32 v5, 0x32a5705f, v1
	v_sub_f32_e32 v4, v4, v6
	v_add_f32_e32 v4, v4, v5
	v_cvt_i32_f32_e32 v6, v6
	v_exp_f32_e32 v4, v4
	v_sub_f32_e32 v3, v30, v2
	v_mul_f32_e32 v5, 0x3fb8aa3b, v3
	v_fma_f32 v7, v3, s41, -v5
	v_ldexp_f32 v4, v4, v6
	v_rndne_f32_e32 v6, v5
	v_fmac_f32_e32 v7, 0x32a5705f, v3
	v_sub_f32_e32 v5, v5, v6
	v_add_f32_e32 v5, v5, v7
	v_exp_f32_e32 v5, v5
	v_cvt_i32_f32_e32 v6, v6
	v_cmp_ngt_f32_e64 s[16:17], s23, v1
	s_nop 1
	v_cndmask_b32_e64 v4, 0, v4, s[16:17]
	v_cmp_nlt_f32_e64 s[16:17], s37, v1
	s_nop 1
	v_cndmask_b32_e64 v1, v17, v4, s[16:17]
	v_ldexp_f32 v4, v5, v6
	v_sub_f32_e32 v5, v31, v2
	v_mul_f32_e32 v6, 0x3fb8aa3b, v5
	v_fma_f32 v7, v5, s41, -v6
	v_rndne_f32_e32 v8, v6
	v_fmac_f32_e32 v7, 0x32a5705f, v5
	v_sub_f32_e32 v6, v6, v8
	v_add_f32_e32 v6, v6, v7
	v_exp_f32_e32 v6, v6
	v_cvt_i32_f32_e32 v7, v8
	v_cndmask_b32_e64 v1, 0, v1, s[14:15]
	v_cmp_ngt_f32_e64 s[14:15], s23, v3
	s_waitcnt vmcnt(6)
	v_mul_f32_e32 v1, v22, v1
	v_cndmask_b32_e64 v4, 0, v4, s[14:15]
	v_cmp_nlt_f32_e64 s[14:15], s37, v3
	s_nop 1
	v_cndmask_b32_e64 v3, v17, v4, s[14:15]
	v_ldexp_f32 v4, v6, v7
	v_sub_f32_e32 v6, v32, v2
	v_mul_f32_e32 v7, 0x3fb8aa3b, v6
	v_fma_f32 v8, v6, s41, -v7
	v_rndne_f32_e32 v10, v7
	v_fmac_f32_e32 v8, 0x32a5705f, v6
	v_sub_f32_e32 v7, v7, v10
	v_add_f32_e32 v7, v7, v8
	v_exp_f32_e32 v7, v7
	v_cvt_i32_f32_e32 v8, v10
	v_cndmask_b32_e64 v3, 0, v3, s[12:13]
	v_cmp_ngt_f32_e64 s[12:13], s23, v5
	s_waitcnt vmcnt(5)
	v_mul_f32_e32 v3, v27, v3
	v_cndmask_b32_e64 v4, 0, v4, s[12:13]
	v_cmp_nlt_f32_e64 s[12:13], s37, v5
	v_ldexp_f32 v5, v7, v8
	v_sub_f32_e32 v7, v33, v2
	v_mul_f32_e32 v8, 0x3fb8aa3b, v7
	v_fma_f32 v10, v7, s41, -v8
	v_rndne_f32_e32 v14, v8
	v_fmac_f32_e32 v10, 0x32a5705f, v7
	v_sub_f32_e32 v8, v8, v14
	v_add_f32_e32 v8, v8, v10
	v_cndmask_b32_e64 v4, v17, v4, s[12:13]
	v_exp_f32_e32 v8, v8
	v_cvt_i32_f32_e32 v10, v14
	v_cndmask_b32_e64 v4, 0, v4, s[10:11]
	v_cmp_ngt_f32_e64 s[10:11], s23, v6
	s_waitcnt vmcnt(4)
	v_mul_f32_e32 v4, v26, v4
	v_cndmask_b32_e64 v5, 0, v5, s[10:11]
	v_cmp_nlt_f32_e64 s[10:11], s37, v6
	v_ldexp_f32 v6, v8, v10
	v_sub_f32_e32 v8, v34, v2
	v_cndmask_b32_e64 v5, v17, v5, s[10:11]
	v_cndmask_b32_e64 v5, 0, v5, s[8:9]
	s_waitcnt vmcnt(3)
	v_mul_f32_e32 v5, v9, v5
	v_mul_f32_e32 v9, 0x3fb8aa3b, v8
	v_fma_f32 v10, v8, s41, -v9
	v_rndne_f32_e32 v14, v9
	v_fmac_f32_e32 v10, 0x32a5705f, v8
	v_sub_f32_e32 v9, v9, v14
	v_add_f32_e32 v9, v9, v10
	v_exp_f32_e32 v9, v9
	v_cvt_i32_f32_e32 v10, v14
	v_cmp_ngt_f32_e64 s[8:9], s23, v7
	v_sub_f32_e32 v2, v35, v2
	s_nop 0
	v_cndmask_b32_e64 v6, 0, v6, s[8:9]
	v_cmp_nlt_f32_e64 s[8:9], s37, v7
	v_ldexp_f32 v7, v9, v10
	v_mul_f32_e32 v9, 0x3fb8aa3b, v2
	v_cndmask_b32_e64 v6, v17, v6, s[8:9]
	v_cndmask_b32_e64 v6, 0, v6, s[6:7]
	s_waitcnt vmcnt(2)
	v_mul_f32_e32 v6, v11, v6
	v_fma_f32 v10, v2, s41, -v9
	v_rndne_f32_e32 v11, v9
	v_fmac_f32_e32 v10, 0x32a5705f, v2
	v_sub_f32_e32 v9, v9, v11
	v_add_f32_e32 v9, v9, v10
	v_exp_f32_e32 v9, v9
	v_cvt_i32_f32_e32 v10, v11
	v_cmp_ngt_f32_e64 s[6:7], s23, v8
	v_lshlrev_b32_e32 v11, 2, v0
	ds_write2st64_b32 v11, v1, v3 offset1:1
	v_cndmask_b32_e64 v7, 0, v7, s[6:7]
	v_cmp_nlt_f32_e64 s[6:7], s37, v8
	v_ldexp_f32 v8, v9, v10
	s_nop 0
	v_cndmask_b32_e64 v7, v17, v7, s[6:7]
	v_cndmask_b32_e64 v7, 0, v7, s[4:5]
	v_cmp_ngt_f32_e64 s[4:5], s23, v2
	s_waitcnt vmcnt(1)
	v_mul_f32_e32 v7, v12, v7
	v_cndmask_b32_e64 v8, 0, v8, s[4:5]
	v_cmp_nlt_f32_e64 s[4:5], s37, v2
	s_nop 1
	v_cndmask_b32_e64 v2, v17, v8, s[4:5]
	v_add_f32_e32 v8, v1, v3
	v_add_f32_e32 v8, v8, v4
	;; [unrolled: 1-line block ×4, first 2 shown]
	v_cndmask_b32_e32 v2, 0, v2, vcc
	v_add_f32_e32 v8, v8, v7
	s_waitcnt vmcnt(0)
	v_fmac_f32_e32 v8, v13, v2
	ds_bpermute_b32 v9, v19, v8
	v_mul_f32_e32 v10, v13, v2
	v_cmp_eq_u32_e32 vcc, 0, v0
	ds_write2st64_b32 v11, v4, v5 offset0:2 offset1:3
	ds_write2st64_b32 v11, v6, v7 offset0:4 offset1:5
	ds_write_b32 v11, v10 offset:1536
	s_waitcnt lgkmcnt(3)
	v_add_f32_e32 v8, v8, v9
	ds_bpermute_b32 v9, v20, v8
	s_waitcnt lgkmcnt(0)
	v_add_f32_e32 v8, v8, v9
	ds_bpermute_b32 v9, v21, v8
	;; [unrolled: 3-line block ×5, first 2 shown]
	s_and_saveexec_b64 s[4:5], vcc
	s_cbranch_execz .LBB270_8
; %bb.7:
	s_waitcnt lgkmcnt(0)
	v_add_f32_e32 v1, v1, v2
	v_mov_b32_e32 v2, 0
	ds_write_b32 v2, v1 offset:1792
.LBB270_8:
	s_or_b64 exec, exec, s[4:5]
	v_mov_b32_e32 v1, s22
.LBB270_9:
	s_or_b64 exec, exec, s[34:35]
	s_lshl_b32 s4, s36, 7
	s_mov_b32 s5, 0
	s_lshl_b64 s[4:5], s[4:5], 1
	s_add_u32 s4, s20, s4
	s_addc_u32 s5, s21, s5
	s_lshl_b32 s10, s33, 7
	s_add_i32 s11, s10, 0xffffff80
	s_waitcnt lgkmcnt(0)
	v_lshlrev_b32_e32 v2, 7, v1
	v_mov_b32_e32 v3, 0
	s_cmp_lt_i32 s40, 1
	v_lshl_add_u64 v[4:5], v[2:3], 1, s[4:5]
	s_cselect_b32 s4, s11, 0
	v_lshlrev_b32_e32 v2, 1, v0
	s_ashr_i32 s5, s4, 31
	v_lshl_add_u64 v[0:1], v[4:5], 0, v[2:3]
	s_cmpk_lt_i32 s40, 0x101
	v_lshl_add_u64 v[12:13], s[4:5], 1, v[0:1]
	s_cselect_b32 s4, s11, 0x80
	s_ashr_i32 s5, s4, 31
	s_cmpk_lt_i32 s40, 0x201
	v_lshl_add_u64 v[14:15], s[4:5], 1, v[0:1]
	s_cselect_b32 s4, s11, 0x100
	s_ashr_i32 s5, s4, 31
	;; [unrolled: 4-line block ×8, first 2 shown]
	s_cmpk_lt_i32 s40, 0x901
	global_load_ushort v4, v[12:13], off
	global_load_ushort v5, v[14:15], off
	;; [unrolled: 1-line block ×8, first 2 shown]
	v_lshl_add_u64 v[20:21], s[4:5], 1, v[0:1]
	s_cselect_b32 s4, s11, 0x480
	s_ashr_i32 s5, s4, 31
	s_cmpk_lt_i32 s40, 0xa01
	v_lshl_add_u64 v[22:23], s[4:5], 1, v[0:1]
	s_cselect_b32 s4, s11, 0x500
	s_ashr_i32 s5, s4, 31
	s_cmpk_lt_i32 s40, 0xb01
	;; [unrolled: 4-line block ×6, first 2 shown]
	v_lshl_add_u64 v[32:33], s[4:5], 1, v[0:1]
	s_cselect_b32 s4, s11, 0x780
	s_ashr_i32 s5, s4, 31
	v_lshl_add_u64 v[34:35], s[4:5], 1, v[0:1]
	global_load_ushort v12, v[20:21], off
	global_load_ushort v13, v[22:23], off
	;; [unrolled: 1-line block ×8, first 2 shown]
	s_cmpk_gt_i32 s40, 0x1000
	s_cselect_b64 s[8:9], -1, 0
	s_cmpk_lt_i32 s40, 0x1001
	v_mov_b32_e32 v36, 0
	v_mov_b32_e32 v37, 0
	;; [unrolled: 1-line block ×48, first 2 shown]
	s_barrier
	s_cbranch_scc1 .LBB270_12
; %bb.10:
	s_cmpk_lt_u32 s40, 0x1101
	s_cselect_b32 s4, s11, 0x880
	s_ashr_i32 s5, s4, 31
	s_cmpk_lt_u32 s40, 0x1201
	v_lshl_add_u64 v[30:31], s[4:5], 1, v[0:1]
	s_cselect_b32 s4, s11, 0x900
	s_ashr_i32 s5, s4, 31
	s_cmpk_lt_u32 s40, 0x1301
	v_lshl_add_u64 v[32:33], s[4:5], 1, v[0:1]
	;; [unrolled: 4-line block ×7, first 2 shown]
	s_cselect_b32 s4, s11, 0xc00
	v_add_co_u32_e32 v28, vcc, 0x1000, v0
	s_ashr_i32 s5, s4, 31
	s_nop 0
	v_addc_co_u32_e32 v29, vcc, 0, v1, vcc
	s_cmpk_lt_u32 s40, 0x1901
	global_load_ushort v27, v[28:29], off
	global_load_ushort v26, v[30:31], off
	;; [unrolled: 1-line block ×8, first 2 shown]
	v_lshl_add_u64 v[36:37], s[4:5], 1, v[0:1]
	s_cselect_b32 s4, s11, 0xc80
	s_ashr_i32 s5, s4, 31
	s_cmpk_lt_u32 s40, 0x1a01
	v_lshl_add_u64 v[38:39], s[4:5], 1, v[0:1]
	s_cselect_b32 s4, s11, 0xd00
	s_ashr_i32 s5, s4, 31
	s_cmpk_lt_u32 s40, 0x1b01
	;; [unrolled: 4-line block ×6, first 2 shown]
	v_lshl_add_u64 v[48:49], s[4:5], 1, v[0:1]
	s_cselect_b32 s4, s11, 0xf80
	s_ashr_i32 s5, s4, 31
	v_lshl_add_u64 v[50:51], s[4:5], 1, v[0:1]
	global_load_ushort v35, v[36:37], off
	global_load_ushort v34, v[38:39], off
	;; [unrolled: 1-line block ×8, first 2 shown]
	s_cmpk_lt_u32 s40, 0x2001
	v_mov_b32_e32 v67, 0
	v_mov_b32_e32 v66, 0
	;; [unrolled: 1-line block ×32, first 2 shown]
	s_cbranch_scc1 .LBB270_12
; %bb.11:
	s_cmpk_lt_u32 s40, 0x2101
	s_cselect_b32 s4, s11, 0x1080
	s_ashr_i32 s5, s4, 31
	s_cmpk_lt_u32 s40, 0x2201
	v_lshl_add_u64 v[38:39], s[4:5], 1, v[0:1]
	s_cselect_b32 s4, s11, 0x1100
	s_ashr_i32 s5, s4, 31
	s_cmpk_lt_u32 s40, 0x2301
	v_lshl_add_u64 v[40:41], s[4:5], 1, v[0:1]
	;; [unrolled: 4-line block ×7, first 2 shown]
	s_cselect_b32 s4, s11, 0x1400
	v_add_co_u32_e32 v36, vcc, 0x2000, v0
	s_ashr_i32 s5, s4, 31
	s_nop 0
	v_addc_co_u32_e32 v37, vcc, 0, v1, vcc
	s_cmpk_lt_u32 s40, 0x2901
	global_load_ushort v52, v[36:37], off
	global_load_ushort v53, v[38:39], off
	;; [unrolled: 1-line block ×8, first 2 shown]
	v_lshl_add_u64 v[36:37], s[4:5], 1, v[0:1]
	s_cselect_b32 s4, s11, 0x1480
	s_ashr_i32 s5, s4, 31
	s_cmpk_lt_u32 s40, 0x2a01
	v_lshl_add_u64 v[38:39], s[4:5], 1, v[0:1]
	s_cselect_b32 s4, s11, 0x1500
	s_ashr_i32 s5, s4, 31
	s_cmpk_lt_u32 s40, 0x2b01
	;; [unrolled: 4-line block ×8, first 2 shown]
	global_load_ushort v68, v[36:37], off
	global_load_ushort v69, v[38:39], off
	;; [unrolled: 1-line block ×8, first 2 shown]
	v_lshl_add_u64 v[36:37], s[4:5], 1, v[0:1]
	s_cselect_b32 s4, s11, 0x1880
	s_ashr_i32 s5, s4, 31
	s_cmpk_lt_u32 s40, 0x3201
	v_lshl_add_u64 v[38:39], s[4:5], 1, v[0:1]
	s_cselect_b32 s4, s11, 0x1900
	s_ashr_i32 s5, s4, 31
	s_cmpk_lt_u32 s40, 0x3301
	;; [unrolled: 4-line block ×8, first 2 shown]
	global_load_ushort v76, v[36:37], off
	global_load_ushort v77, v[38:39], off
	;; [unrolled: 1-line block ×8, first 2 shown]
	v_lshl_add_u64 v[36:37], s[4:5], 1, v[0:1]
	s_cselect_b32 s4, s11, 0x1c80
	s_ashr_i32 s5, s4, 31
	s_cmpk_lt_u32 s40, 0x3a01
	v_lshl_add_u64 v[38:39], s[4:5], 1, v[0:1]
	s_cselect_b32 s4, s11, 0x1d00
	s_ashr_i32 s5, s4, 31
	s_cmpk_lt_u32 s40, 0x3b01
	;; [unrolled: 4-line block ×6, first 2 shown]
	v_lshl_add_u64 v[48:49], s[4:5], 1, v[0:1]
	s_cselect_b32 s4, s11, 0x1f80
	s_ashr_i32 s5, s4, 31
	v_lshl_add_u64 v[50:51], s[4:5], 1, v[0:1]
	global_load_ushort v84, v[36:37], off
	global_load_ushort v85, v[38:39], off
	;; [unrolled: 1-line block ×8, first 2 shown]
	s_waitcnt vmcnt(31)
	v_cvt_f32_f16_e32 v67, v52
	s_waitcnt vmcnt(30)
	v_cvt_f32_f16_e32 v66, v53
	;; [unrolled: 2-line block ×32, first 2 shown]
.LBB270_12:
	ds_read_b128 v[68:71], v3
	s_load_dwordx2 s[4:5], s[0:1], 0x0
	s_load_dwordx2 s[6:7], s[0:1], 0x38
	ds_read_b128 v[72:75], v3 offset:16
	ds_read_b128 v[76:79], v3 offset:32
	;; [unrolled: 1-line block ×3, first 2 shown]
	s_and_b64 vcc, exec, s[8:9]
	s_waitcnt vmcnt(15) lgkmcnt(0)
	v_fma_mix_f32 v4, v68, v4, 0 op_sel_hi:[0,1,0]
	s_waitcnt vmcnt(14)
	v_fma_mix_f32 v4, v69, v5, v4 op_sel_hi:[0,1,0]
	s_waitcnt vmcnt(13)
	;; [unrolled: 2-line block ×15, first 2 shown]
	v_fma_mix_f32 v4, v83, v19, v4 op_sel_hi:[0,1,0]
	s_cbranch_vccz .LBB270_15
; %bb.13:
	ds_read_b128 v[6:9], v3 offset:64
	ds_read_b128 v[10:13], v3 offset:80
	;; [unrolled: 1-line block ×4, first 2 shown]
	s_cmpk_lt_u32 s40, 0x2001
	s_waitcnt lgkmcnt(3)
	v_fma_mix_f32 v3, v6, v27, v4 op_sel_hi:[0,1,0]
	v_fma_mix_f32 v3, v7, v26, v3 op_sel_hi:[0,1,0]
	v_fma_mix_f32 v3, v8, v25, v3 op_sel_hi:[0,1,0]
	v_fma_mix_f32 v3, v9, v24, v3 op_sel_hi:[0,1,0]
	s_waitcnt lgkmcnt(2)
	v_fma_mix_f32 v3, v10, v23, v3 op_sel_hi:[0,1,0]
	v_fma_mix_f32 v3, v11, v22, v3 op_sel_hi:[0,1,0]
	v_fma_mix_f32 v3, v12, v21, v3 op_sel_hi:[0,1,0]
	v_fma_mix_f32 v3, v13, v20, v3 op_sel_hi:[0,1,0]
	;; [unrolled: 5-line block ×4, first 2 shown]
	s_cbranch_scc1 .LBB270_15
; %bb.14:
	v_mov_b32_e32 v3, 0
	ds_read_b128 v[6:9], v3 offset:128
	ds_read_b128 v[10:13], v3 offset:144
	;; [unrolled: 1-line block ×4, first 2 shown]
	s_waitcnt lgkmcnt(3)
	v_fmac_f32_e32 v4, v6, v67
	v_fmac_f32_e32 v4, v7, v66
	v_fmac_f32_e32 v4, v8, v65
	v_fmac_f32_e32 v4, v9, v64
	s_waitcnt lgkmcnt(2)
	v_fmac_f32_e32 v4, v10, v63
	v_fmac_f32_e32 v4, v11, v62
	v_fmac_f32_e32 v4, v12, v61
	v_fmac_f32_e32 v4, v13, v60
	s_waitcnt lgkmcnt(1)
	v_fmac_f32_e32 v4, v14, v59
	v_fmac_f32_e32 v4, v15, v58
	v_fmac_f32_e32 v4, v16, v57
	v_fmac_f32_e32 v4, v17, v56
	ds_read_b128 v[6:9], v3 offset:192
	ds_read_b128 v[10:13], v3 offset:208
	s_waitcnt lgkmcnt(2)
	v_fmac_f32_e32 v4, v18, v55
	v_fmac_f32_e32 v4, v19, v54
	;; [unrolled: 1-line block ×4, first 2 shown]
	s_waitcnt lgkmcnt(1)
	v_fmac_f32_e32 v4, v6, v51
	v_fmac_f32_e32 v4, v7, v50
	;; [unrolled: 1-line block ×4, first 2 shown]
	ds_read_b128 v[6:9], v3 offset:224
	s_waitcnt lgkmcnt(1)
	v_fmac_f32_e32 v4, v10, v47
	v_fmac_f32_e32 v4, v11, v46
	;; [unrolled: 1-line block ×4, first 2 shown]
	ds_read_b128 v[10:13], v3 offset:240
	s_waitcnt lgkmcnt(1)
	v_fmac_f32_e32 v4, v6, v43
	v_fmac_f32_e32 v4, v7, v42
	;; [unrolled: 1-line block ×4, first 2 shown]
	s_waitcnt lgkmcnt(0)
	v_fmac_f32_e32 v4, v10, v39
	v_fmac_f32_e32 v4, v11, v38
	;; [unrolled: 1-line block ×4, first 2 shown]
.LBB270_15:
	s_movk_i32 s0, 0x3f80
	s_movk_i32 s1, 0x100
	s_mov_b32 s8, 64
	s_branch .LBB270_17
.LBB270_16:                             ;   in Loop: Header=BB270_17 Depth=1
	s_addk_i32 s0, 0x2000
	s_addk_i32 s1, 0x100
	s_add_i32 s8, s8, 64
	s_cmpk_eq_u32 s0, 0xff80
	s_cbranch_scc1 .LBB270_19
.LBB270_17:                             ; =>This Inner Loop Header: Depth=1
	s_cmp_le_i32 s33, s8
	s_cbranch_scc1 .LBB270_16
; %bb.18:                               ;   in Loop: Header=BB270_17 Depth=1
	s_add_i32 s9, s0, 0xffffe080
	s_cmp_lt_i32 s9, s10
	s_cselect_b32 s12, s9, s11
	s_ashr_i32 s13, s12, 31
	s_add_i32 s9, s0, 0xffffe100
	s_cmp_lt_i32 s9, s10
	v_lshl_add_u64 v[12:13], s[12:13], 1, v[0:1]
	s_cselect_b32 s12, s9, s11
	s_ashr_i32 s13, s12, 31
	s_add_i32 s9, s0, 0xffffe180
	s_cmp_lt_i32 s9, s10
	v_lshl_add_u64 v[14:15], s[12:13], 1, v[0:1]
	;; [unrolled: 5-line block ×8, first 2 shown]
	s_cselect_b32 s12, s9, s11
	s_ashr_i32 s13, s12, 31
	s_add_i32 s9, s0, 0xffffe500
	s_cmp_lt_i32 s9, s10
	global_load_ushort v3, v[12:13], off
	global_load_ushort v5, v[14:15], off
	global_load_ushort v6, v[16:17], off
	global_load_ushort v7, v[18:19], off
	global_load_ushort v8, v[20:21], off
	global_load_ushort v9, v[22:23], off
	global_load_ushort v10, v[24:25], off
	global_load_ushort v11, v[26:27], off
	v_lshl_add_u64 v[12:13], s[12:13], 1, v[0:1]
	s_cselect_b32 s12, s9, s11
	s_ashr_i32 s13, s12, 31
	s_add_i32 s9, s0, 0xffffe580
	s_cmp_lt_i32 s9, s10
	v_lshl_add_u64 v[14:15], s[12:13], 1, v[0:1]
	s_cselect_b32 s12, s9, s11
	s_ashr_i32 s13, s12, 31
	s_add_i32 s9, s0, 0xffffe600
	s_cmp_lt_i32 s9, s10
	v_lshl_add_u64 v[16:17], s[12:13], 1, v[0:1]
	s_cselect_b32 s12, s9, s11
	s_ashr_i32 s13, s12, 31
	s_add_i32 s9, s0, 0xffffe680
	s_cmp_lt_i32 s9, s10
	v_lshl_add_u64 v[18:19], s[12:13], 1, v[0:1]
	s_cselect_b32 s12, s9, s11
	s_ashr_i32 s13, s12, 31
	s_add_i32 s9, s0, 0xffffe700
	s_cmp_lt_i32 s9, s10
	v_lshl_add_u64 v[20:21], s[12:13], 1, v[0:1]
	s_cselect_b32 s12, s9, s11
	s_ashr_i32 s13, s12, 31
	s_add_i32 s9, s0, 0xffffe780
	s_cmp_lt_i32 s9, s10
	v_lshl_add_u64 v[22:23], s[12:13], 1, v[0:1]
	s_cselect_b32 s12, s9, s11
	s_ashr_i32 s13, s12, 31
	s_add_i32 s9, s0, 0xffffe800
	s_cmp_lt_i32 s9, s10
	v_lshl_add_u64 v[24:25], s[12:13], 1, v[0:1]
	s_cselect_b32 s12, s9, s11
	s_ashr_i32 s13, s12, 31
	s_add_i32 s9, s0, 0xffffe880
	s_cmp_lt_i32 s9, s10
	v_lshl_add_u64 v[26:27], s[12:13], 1, v[0:1]
	s_cselect_b32 s12, s9, s11
	s_ashr_i32 s13, s12, 31
	s_add_i32 s9, s0, 0xffffe900
	s_cmp_lt_i32 s9, s10
	global_load_ushort v28, v[12:13], off
	global_load_ushort v29, v[14:15], off
	global_load_ushort v30, v[16:17], off
	global_load_ushort v31, v[18:19], off
	global_load_ushort v32, v[20:21], off
	global_load_ushort v33, v[22:23], off
	global_load_ushort v34, v[24:25], off
	global_load_ushort v35, v[26:27], off
	v_lshl_add_u64 v[12:13], s[12:13], 1, v[0:1]
	s_cselect_b32 s12, s9, s11
	s_ashr_i32 s13, s12, 31
	s_add_i32 s9, s0, 0xffffe980
	s_cmp_lt_i32 s9, s10
	v_lshl_add_u64 v[14:15], s[12:13], 1, v[0:1]
	s_cselect_b32 s12, s9, s11
	s_ashr_i32 s13, s12, 31
	s_add_i32 s9, s0, 0xffffea00
	s_cmp_lt_i32 s9, s10
	v_lshl_add_u64 v[16:17], s[12:13], 1, v[0:1]
	s_cselect_b32 s12, s9, s11
	s_ashr_i32 s13, s12, 31
	s_add_i32 s9, s0, 0xffffea80
	s_cmp_lt_i32 s9, s10
	v_lshl_add_u64 v[18:19], s[12:13], 1, v[0:1]
	s_cselect_b32 s12, s9, s11
	s_ashr_i32 s13, s12, 31
	s_add_i32 s9, s0, 0xffffeb00
	s_cmp_lt_i32 s9, s10
	v_lshl_add_u64 v[20:21], s[12:13], 1, v[0:1]
	s_cselect_b32 s12, s9, s11
	s_ashr_i32 s13, s12, 31
	s_add_i32 s9, s0, 0xffffeb80
	s_cmp_lt_i32 s9, s10
	v_lshl_add_u64 v[22:23], s[12:13], 1, v[0:1]
	s_cselect_b32 s12, s9, s11
	s_ashr_i32 s13, s12, 31
	s_add_i32 s9, s0, 0xffffec00
	s_cmp_lt_i32 s9, s10
	v_lshl_add_u64 v[24:25], s[12:13], 1, v[0:1]
	s_cselect_b32 s12, s9, s11
	s_ashr_i32 s13, s12, 31
	s_add_i32 s9, s0, 0xffffec80
	s_cmp_lt_i32 s9, s10
	v_lshl_add_u64 v[26:27], s[12:13], 1, v[0:1]
	;; [unrolled: 48-line block ×6, first 2 shown]
	s_cselect_b32 s12, s9, s11
	s_ashr_i32 s13, s12, 31
	s_add_i32 s9, s0, 0xfffffd00
	s_cmp_lt_i32 s9, s10
	global_load_ushort v68, v[12:13], off
	global_load_ushort v69, v[14:15], off
	;; [unrolled: 1-line block ×8, first 2 shown]
	v_lshl_add_u64 v[12:13], s[12:13], 1, v[0:1]
	s_cselect_b32 s12, s9, s11
	s_ashr_i32 s13, s12, 31
	s_add_i32 s9, s0, 0xfffffd80
	s_cmp_lt_i32 s9, s10
	v_lshl_add_u64 v[14:15], s[12:13], 1, v[0:1]
	s_cselect_b32 s12, s9, s11
	s_ashr_i32 s13, s12, 31
	s_add_i32 s9, s0, 0xfffffe00
	s_cmp_lt_i32 s9, s10
	v_lshl_add_u64 v[16:17], s[12:13], 1, v[0:1]
	s_cselect_b32 s12, s9, s11
	s_ashr_i32 s13, s12, 31
	s_add_i32 s9, s0, 0xfffffe80
	s_cmp_lt_i32 s9, s10
	v_lshl_add_u64 v[18:19], s[12:13], 1, v[0:1]
	s_cselect_b32 s12, s9, s11
	s_ashr_i32 s13, s12, 31
	s_add_i32 s9, s0, 0xffffff00
	s_cmp_lt_i32 s9, s10
	v_lshl_add_u64 v[20:21], s[12:13], 1, v[0:1]
	s_cselect_b32 s12, s9, s11
	s_ashr_i32 s13, s12, 31
	s_add_i32 s9, s0, 0xffffff80
	s_cmp_lt_i32 s9, s10
	v_lshl_add_u64 v[22:23], s[12:13], 1, v[0:1]
	s_cselect_b32 s12, s9, s11
	s_ashr_i32 s13, s12, 31
	s_cmp_lt_i32 s0, s10
	v_lshl_add_u64 v[24:25], s[12:13], 1, v[0:1]
	s_cselect_b32 s12, s0, s11
	s_ashr_i32 s13, s12, 31
	v_lshl_add_u64 v[26:27], s[12:13], 1, v[0:1]
	global_load_ushort v76, v[12:13], off
	global_load_ushort v77, v[14:15], off
	;; [unrolled: 1-line block ×8, first 2 shown]
	v_mov_b32_e32 v84, s1
	ds_read_b128 v[12:15], v84
	ds_read_b128 v[16:19], v84 offset:16
	ds_read_b128 v[20:23], v84 offset:32
	;; [unrolled: 1-line block ×3, first 2 shown]
	s_waitcnt vmcnt(62) lgkmcnt(3)
	v_fma_mix_f32 v3, v12, v3, v4 op_sel_hi:[0,1,0]
	v_fma_mix_f32 v3, v13, v5, v3 op_sel_hi:[0,1,0]
	s_waitcnt vmcnt(61)
	v_fma_mix_f32 v3, v14, v6, v3 op_sel_hi:[0,1,0]
	s_waitcnt vmcnt(60)
	v_fma_mix_f32 v3, v15, v7, v3 op_sel_hi:[0,1,0]
	s_waitcnt vmcnt(59) lgkmcnt(2)
	v_fma_mix_f32 v3, v16, v8, v3 op_sel_hi:[0,1,0]
	s_waitcnt vmcnt(58)
	v_fma_mix_f32 v3, v17, v9, v3 op_sel_hi:[0,1,0]
	s_waitcnt vmcnt(57)
	;; [unrolled: 2-line block ×3, first 2 shown]
	v_fma_mix_f32 v3, v19, v11, v3 op_sel_hi:[0,1,0]
	s_waitcnt vmcnt(55) lgkmcnt(1)
	v_fma_mix_f32 v3, v20, v28, v3 op_sel_hi:[0,1,0]
	s_waitcnt vmcnt(54)
	v_fma_mix_f32 v3, v21, v29, v3 op_sel_hi:[0,1,0]
	s_waitcnt vmcnt(53)
	;; [unrolled: 2-line block ×3, first 2 shown]
	v_fma_mix_f32 v3, v23, v31, v3 op_sel_hi:[0,1,0]
	ds_read_b128 v[4:7], v84 offset:64
	ds_read_b128 v[8:11], v84 offset:80
	s_waitcnt vmcnt(51) lgkmcnt(2)
	v_fma_mix_f32 v3, v24, v32, v3 op_sel_hi:[0,1,0]
	s_waitcnt vmcnt(50)
	v_fma_mix_f32 v3, v25, v33, v3 op_sel_hi:[0,1,0]
	s_waitcnt vmcnt(49)
	;; [unrolled: 2-line block ×3, first 2 shown]
	v_fma_mix_f32 v3, v27, v35, v3 op_sel_hi:[0,1,0]
	s_waitcnt vmcnt(47) lgkmcnt(1)
	v_fma_mix_f32 v3, v4, v36, v3 op_sel_hi:[0,1,0]
	s_waitcnt vmcnt(46)
	v_fma_mix_f32 v3, v5, v37, v3 op_sel_hi:[0,1,0]
	s_waitcnt vmcnt(45)
	v_fma_mix_f32 v3, v6, v38, v3 op_sel_hi:[0,1,0]
	s_waitcnt vmcnt(44)
	v_fma_mix_f32 v3, v7, v39, v3 op_sel_hi:[0,1,0]
	ds_read_b128 v[4:7], v84 offset:96
	s_waitcnt vmcnt(43) lgkmcnt(1)
	v_fma_mix_f32 v3, v8, v40, v3 op_sel_hi:[0,1,0]
	s_waitcnt vmcnt(42)
	v_fma_mix_f32 v3, v9, v41, v3 op_sel_hi:[0,1,0]
	s_waitcnt vmcnt(41)
	v_fma_mix_f32 v3, v10, v42, v3 op_sel_hi:[0,1,0]
	s_waitcnt vmcnt(40)
	v_fma_mix_f32 v3, v11, v43, v3 op_sel_hi:[0,1,0]
	ds_read_b128 v[8:11], v84 offset:112
	;; [unrolled: 9-line block ×10, first 2 shown]
	s_waitcnt vmcnt(7) lgkmcnt(1)
	v_fma_mix_f32 v3, v4, v76, v3 op_sel_hi:[0,1,0]
	s_waitcnt vmcnt(6)
	v_fma_mix_f32 v3, v5, v77, v3 op_sel_hi:[0,1,0]
	s_waitcnt vmcnt(5)
	;; [unrolled: 2-line block ×3, first 2 shown]
	v_fma_mix_f32 v3, v7, v79, v3 op_sel_hi:[0,1,0]
	s_waitcnt vmcnt(3) lgkmcnt(0)
	v_fma_mix_f32 v3, v8, v80, v3 op_sel_hi:[0,1,0]
	s_waitcnt vmcnt(2)
	v_fma_mix_f32 v3, v9, v81, v3 op_sel_hi:[0,1,0]
	s_waitcnt vmcnt(1)
	;; [unrolled: 2-line block ×3, first 2 shown]
	v_fma_mix_f32 v4, v11, v83, v3 op_sel_hi:[0,1,0]
	s_branch .LBB270_16
.LBB270_19:
	v_mov_b32_e32 v0, 0
	ds_read_b32 v1, v0 offset:1792
	s_cmp_lg_u64 s[6:7], 0
	s_cbranch_scc0 .LBB270_24
; %bb.20:
	s_load_dword s6, s[6:7], 0x0
	s_waitcnt lgkmcnt(0)
	v_div_scale_f32 v0, s[0:1], s6, s6, 1.0
	v_rcp_f32_e32 v3, v0
	v_div_scale_f32 v5, vcc, 1.0, s6, 1.0
	v_fma_f32 v6, -v0, v3, 1.0
	v_fmac_f32_e32 v3, v6, v3
	v_mul_f32_e32 v6, v5, v3
	v_fma_f32 v7, -v0, v6, v5
	v_fmac_f32_e32 v6, v7, v3
	v_fma_f32 v0, -v0, v6, v5
	v_div_fmas_f32 v0, v0, v3, v6
	v_div_fixup_f32 v0, v0, s6, 1.0
	s_andn2_b64 vcc, exec, s[28:29]
	s_cbranch_vccnz .LBB270_22
.LBB270_21:
	s_add_u32 s0, s26, s30
	s_addc_u32 s1, s27, s31
	s_load_dword s24, s[0:1], 0x0
	s_mov_b32 s25, 0
.LBB270_22:
	s_waitcnt lgkmcnt(0)
	v_add_f32_e32 v1, 0x358637bd, v1
	v_div_scale_f32 v3, s[0:1], v1, v1, 1.0
	v_rcp_f32_e32 v5, v3
	v_div_scale_f32 v6, vcc, 1.0, v1, 1.0
	s_mul_i32 s0, s3, s25
	v_fma_f32 v7, -v3, v5, 1.0
	v_fmac_f32_e32 v5, v7, v5
	v_mul_f32_e32 v7, v6, v5
	v_fma_f32 v8, -v3, v7, v6
	s_mul_hi_u32 s1, s3, s24
	v_fmac_f32_e32 v7, v8, v5
	s_add_i32 s1, s1, s0
	s_mul_i32 s0, s3, s24
	v_fma_f32 v3, -v3, v7, v6
	s_lshl_b64 s[0:1], s[0:1], 8
	v_div_fmas_f32 v3, v3, v5, v7
	s_add_u32 s4, s4, s0
	s_mov_b32 s3, 0
	v_div_fixup_f32 v1, v3, v1, 1.0
	s_addc_u32 s5, s5, s1
	s_lshl_b64 s[0:1], s[2:3], 8
	v_mul_f32_e32 v1, v4, v1
	s_add_u32 s0, s4, s0
	s_addc_u32 s1, s5, s1
	v_fma_mixlo_f16 v0, v1, v0, 0
	global_store_short v2, v0, s[0:1]
	s_endpgm
.LBB270_23:
	s_mov_b64 s[6:7], 0
	s_branch .LBB270_2
.LBB270_24:
	v_mov_b32_e32 v0, 1.0
	s_andn2_b64 vcc, exec, s[28:29]
	s_cbranch_vccz .LBB270_21
	s_branch .LBB270_22
	.section	.rodata,"a",@progbits
	.p2align	6, 0x0
	.amdhsa_kernel _Z35paged_attention_ll4mi_reduce_kernelIDF16_DF16_Li128ELi128ELi256ELi7EEvPT0_PKfS3_PKT_PKiS8_iS3_
		.amdhsa_group_segment_fixed_size 1796
		.amdhsa_private_segment_fixed_size 0
		.amdhsa_kernarg_size 320
		.amdhsa_user_sgpr_count 2
		.amdhsa_user_sgpr_dispatch_ptr 0
		.amdhsa_user_sgpr_queue_ptr 0
		.amdhsa_user_sgpr_kernarg_segment_ptr 1
		.amdhsa_user_sgpr_dispatch_id 0
		.amdhsa_user_sgpr_kernarg_preload_length 0
		.amdhsa_user_sgpr_kernarg_preload_offset 0
		.amdhsa_user_sgpr_private_segment_size 0
		.amdhsa_uses_dynamic_stack 0
		.amdhsa_enable_private_segment 0
		.amdhsa_system_sgpr_workgroup_id_x 1
		.amdhsa_system_sgpr_workgroup_id_y 1
		.amdhsa_system_sgpr_workgroup_id_z 0
		.amdhsa_system_sgpr_workgroup_info 0
		.amdhsa_system_vgpr_workitem_id 0
		.amdhsa_next_free_vgpr 92
		.amdhsa_next_free_sgpr 44
		.amdhsa_accum_offset 92
		.amdhsa_reserve_vcc 1
		.amdhsa_float_round_mode_32 0
		.amdhsa_float_round_mode_16_64 0
		.amdhsa_float_denorm_mode_32 3
		.amdhsa_float_denorm_mode_16_64 3
		.amdhsa_dx10_clamp 1
		.amdhsa_ieee_mode 1
		.amdhsa_fp16_overflow 0
		.amdhsa_tg_split 0
		.amdhsa_exception_fp_ieee_invalid_op 0
		.amdhsa_exception_fp_denorm_src 0
		.amdhsa_exception_fp_ieee_div_zero 0
		.amdhsa_exception_fp_ieee_overflow 0
		.amdhsa_exception_fp_ieee_underflow 0
		.amdhsa_exception_fp_ieee_inexact 0
		.amdhsa_exception_int_div_zero 0
	.end_amdhsa_kernel
	.section	.text._Z35paged_attention_ll4mi_reduce_kernelIDF16_DF16_Li128ELi128ELi256ELi7EEvPT0_PKfS3_PKT_PKiS8_iS3_,"axG",@progbits,_Z35paged_attention_ll4mi_reduce_kernelIDF16_DF16_Li128ELi128ELi256ELi7EEvPT0_PKfS3_PKT_PKiS8_iS3_,comdat
.Lfunc_end270:
	.size	_Z35paged_attention_ll4mi_reduce_kernelIDF16_DF16_Li128ELi128ELi256ELi7EEvPT0_PKfS3_PKT_PKiS8_iS3_, .Lfunc_end270-_Z35paged_attention_ll4mi_reduce_kernelIDF16_DF16_Li128ELi128ELi256ELi7EEvPT0_PKfS3_PKT_PKiS8_iS3_
                                        ; -- End function
	.section	.AMDGPU.csdata,"",@progbits
; Kernel info:
; codeLenInByte = 8976
; NumSgprs: 50
; NumVgprs: 92
; NumAgprs: 0
; TotalNumVgprs: 92
; ScratchSize: 0
; MemoryBound: 0
; FloatMode: 240
; IeeeMode: 1
; LDSByteSize: 1796 bytes/workgroup (compile time only)
; SGPRBlocks: 6
; VGPRBlocks: 11
; NumSGPRsForWavesPerEU: 50
; NumVGPRsForWavesPerEU: 92
; AccumOffset: 92
; Occupancy: 5
; WaveLimiterHint : 1
; COMPUTE_PGM_RSRC2:SCRATCH_EN: 0
; COMPUTE_PGM_RSRC2:USER_SGPR: 2
; COMPUTE_PGM_RSRC2:TRAP_HANDLER: 0
; COMPUTE_PGM_RSRC2:TGID_X_EN: 1
; COMPUTE_PGM_RSRC2:TGID_Y_EN: 1
; COMPUTE_PGM_RSRC2:TGID_Z_EN: 0
; COMPUTE_PGM_RSRC2:TIDIG_COMP_CNT: 0
; COMPUTE_PGM_RSRC3_GFX90A:ACCUM_OFFSET: 22
; COMPUTE_PGM_RSRC3_GFX90A:TG_SPLIT: 0
	.section	.text._Z35paged_attention_ll4mi_reduce_kernelIDF16_DF16_Li128ELi128ELi256ELi8EEvPT0_PKfS3_PKT_PKiS8_iS3_,"axG",@progbits,_Z35paged_attention_ll4mi_reduce_kernelIDF16_DF16_Li128ELi128ELi256ELi8EEvPT0_PKfS3_PKT_PKiS8_iS3_,comdat
	.protected	_Z35paged_attention_ll4mi_reduce_kernelIDF16_DF16_Li128ELi128ELi256ELi8EEvPT0_PKfS3_PKT_PKiS8_iS3_ ; -- Begin function _Z35paged_attention_ll4mi_reduce_kernelIDF16_DF16_Li128ELi128ELi256ELi8EEvPT0_PKfS3_PKT_PKiS8_iS3_
	.globl	_Z35paged_attention_ll4mi_reduce_kernelIDF16_DF16_Li128ELi128ELi256ELi8EEvPT0_PKfS3_PKT_PKiS8_iS3_
	.p2align	8
	.type	_Z35paged_attention_ll4mi_reduce_kernelIDF16_DF16_Li128ELi128ELi256ELi8EEvPT0_PKfS3_PKT_PKiS8_iS3_,@function
_Z35paged_attention_ll4mi_reduce_kernelIDF16_DF16_Li128ELi128ELi256ELi8EEvPT0_PKfS3_PKT_PKiS8_iS3_: ; @_Z35paged_attention_ll4mi_reduce_kernelIDF16_DF16_Li128ELi128ELi256ELi8EEvPT0_PKfS3_PKT_PKiS8_iS3_
; %bb.0:
	s_load_dwordx2 s[30:31], s[0:1], 0x28
	s_mov_b32 s28, s3
	s_mov_b64 s[4:5], 0
	s_waitcnt lgkmcnt(0)
	s_cmp_lg_u64 s[30:31], 0
	s_cselect_b64 s[34:35], -1, 0
	s_and_b64 vcc, exec, s[34:35]
	s_cbranch_vccz .LBB271_23
; %bb.1:
	s_add_i32 s6, s28, 1
	s_mov_b32 s7, 0
	s_lshl_b64 s[8:9], s[6:7], 2
	s_add_u32 s8, s30, s8
	s_mov_b32 s29, s7
	s_addc_u32 s9, s31, s9
	s_lshl_b64 s[6:7], s[28:29], 2
	s_add_u32 s6, s30, s6
	s_addc_u32 s7, s31, s7
	s_load_dword s3, s[8:9], 0x0
	s_load_dword s10, s[6:7], 0x0
	s_waitcnt lgkmcnt(0)
	s_sub_i32 s3, s3, s10
	s_cmp_eq_u32 s3, 1
	s_cselect_b64 s[6:7], -1, 0
	s_andn2_b64 vcc, exec, s[4:5]
	s_cbranch_vccnz .LBB271_3
.LBB271_2:
	s_mov_b32 s29, 0
	s_mov_b64 s[6:7], -1
.LBB271_3:
	s_andn2_b64 vcc, exec, s[6:7]
	s_cbranch_vccz .LBB271_5
; %bb.4:
	s_endpgm
.LBB271_5:
	s_load_dwordx4 s[20:23], s[0:1], 0x18
	s_load_dword s8, s[0:1], 0x30
	s_lshl_b64 s[36:37], s[28:29], 2
	v_cmp_lt_u32_e32 vcc, 63, v0
	s_waitcnt lgkmcnt(0)
	s_add_u32 s4, s22, s36
	s_addc_u32 s5, s23, s37
	s_load_dword s44, s[4:5], 0x0
	s_load_dword s3, s[0:1], 0x40
	s_mul_i32 s22, s2, s8
	s_mul_i32 s6, s28, s8
	s_waitcnt lgkmcnt(0)
	s_add_i32 s7, s44, 0xff
	s_ashr_i32 s4, s7, 31
	s_lshr_b32 s4, s4, 24
	s_add_i32 s7, s7, s4
	s_and_saveexec_b64 s[4:5], vcc
	s_xor_b64 s[4:5], exec, s[4:5]
	s_or_saveexec_b64 s[38:39], s[4:5]
	s_ashr_i32 s33, s7, 8
	v_mov_b32_e32 v1, s22
	s_mul_i32 s40, s6, s3
	s_xor_b64 exec, exec, s[38:39]
	s_cbranch_execz .LBB271_9
; %bb.6:
	s_add_i32 s4, s33, -1
	v_or_b32_e32 v3, 64, v0
	v_mov_b32_e32 v1, s4
	v_cmp_gt_u32_e64 s[14:15], s33, v3
	s_load_dwordx4 s[24:27], s[0:1], 0x8
	s_mov_b32 s41, 0
	v_cndmask_b32_e64 v4, v1, v3, s[14:15]
	v_or_b32_e32 v3, 0x80, v0
	v_cmp_gt_u32_e64 s[12:13], s33, v3
	s_lshl_b64 s[42:43], s[40:41], 2
	s_mov_b32 s23, s41
	v_cndmask_b32_e64 v6, v1, v3, s[12:13]
	v_or_b32_e32 v3, 0xc0, v0
	v_cmp_gt_u32_e64 s[10:11], s33, v3
	v_cmp_gt_u32_e64 s[16:17], s33, v0
	s_waitcnt lgkmcnt(0)
	s_add_u32 s18, s26, s42
	v_cndmask_b32_e64 v8, v1, v3, s[10:11]
	v_or_b32_e32 v3, 0x100, v0
	v_cmp_gt_u32_e64 s[8:9], s33, v3
	v_cndmask_b32_e64 v2, v1, v0, s[16:17]
	s_addc_u32 s19, s27, s43
	v_cndmask_b32_e64 v10, v1, v3, s[8:9]
	v_or_b32_e32 v3, 0x140, v0
	v_cmp_gt_u32_e64 s[6:7], s33, v3
	s_lshl_b64 s[26:27], s[22:23], 2
	s_add_u32 s18, s18, s26
	v_cndmask_b32_e64 v12, v1, v3, s[6:7]
	v_or_b32_e32 v3, 0x180, v0
	v_cmp_gt_u32_e64 s[4:5], s33, v3
	s_addc_u32 s19, s19, s27
	v_ashrrev_i32_e32 v5, 31, v4
	v_cndmask_b32_e64 v14, v1, v3, s[4:5]
	v_or_b32_e32 v3, 0x1c0, v0
	v_cmp_gt_u32_e32 vcc, s33, v3
	v_ashrrev_i32_e32 v7, 31, v6
	v_ashrrev_i32_e32 v9, 31, v8
	v_cndmask_b32_e32 v16, v1, v3, vcc
	v_ashrrev_i32_e32 v3, 31, v2
	v_lshlrev_b64 v[2:3], 2, v[2:3]
	v_ashrrev_i32_e32 v11, 31, v10
	v_ashrrev_i32_e32 v13, 31, v12
	v_ashrrev_i32_e32 v15, 31, v14
	v_ashrrev_i32_e32 v17, 31, v16
	v_lshl_add_u64 v[18:19], s[18:19], 0, v[2:3]
	v_lshlrev_b64 v[4:5], 2, v[4:5]
	v_lshlrev_b64 v[6:7], 2, v[6:7]
	;; [unrolled: 1-line block ×7, first 2 shown]
	v_lshl_add_u64 v[20:21], s[18:19], 0, v[4:5]
	v_lshl_add_u64 v[22:23], s[18:19], 0, v[6:7]
	;; [unrolled: 1-line block ×7, first 2 shown]
	global_load_dword v1, v[18:19], off
	global_load_dword v34, v[20:21], off
	;; [unrolled: 1-line block ×8, first 2 shown]
	v_mbcnt_lo_u32_b32 v18, -1, 0
	v_mbcnt_hi_u32_b32 v18, -1, v18
	v_and_b32_e32 v19, 64, v18
	v_xor_b32_e32 v20, 32, v18
	v_add_u32_e32 v19, 64, v19
	v_cmp_lt_i32_e64 s[18:19], v20, v19
	v_xor_b32_e32 v21, 16, v18
	v_xor_b32_e32 v22, 8, v18
	v_cndmask_b32_e64 v20, v18, v20, s[18:19]
	s_add_u32 s18, s24, s42
	s_addc_u32 s19, s25, s43
	s_add_u32 s24, s18, s26
	s_addc_u32 s25, s19, s27
	v_lshl_add_u64 v[2:3], s[24:25], 0, v[2:3]
	global_load_dword v24, v[2:3], off
	v_lshlrev_b32_e32 v20, 2, v20
	v_cmp_lt_i32_e64 s[18:19], v21, v19
	v_xor_b32_e32 v23, 4, v18
	v_xor_b32_e32 v25, 2, v18
	v_cndmask_b32_e64 v21, v18, v21, s[18:19]
	v_lshlrev_b32_e32 v21, 2, v21
	v_cmp_lt_i32_e64 s[18:19], v22, v19
	s_mov_b32 s23, 0x3fb8aa3b
	s_waitcnt vmcnt(8)
	v_max_f32_e32 v3, v1, v1
	s_waitcnt vmcnt(7)
	v_max_f32_e32 v2, v34, v34
	v_max_f32_e32 v2, v3, v2
	s_waitcnt vmcnt(5)
	v_max3_f32 v2, v2, v35, v36
	s_waitcnt vmcnt(3)
	v_max3_f32 v2, v2, v37, v38
	;; [unrolled: 2-line block ×3, first 2 shown]
	ds_bpermute_b32 v3, v20, v2
	s_waitcnt lgkmcnt(0)
	v_max_f32_e32 v3, v3, v3
	v_max_f32_e32 v26, v2, v3
	ds_bpermute_b32 v27, v21, v26
	v_cndmask_b32_e64 v2, v18, v22, s[18:19]
	v_lshlrev_b32_e32 v22, 2, v2
	v_lshl_add_u64 v[2:3], s[24:25], 0, v[4:5]
	global_load_dword v28, v[2:3], off
	s_waitcnt lgkmcnt(0)
	v_max_f32_e32 v2, v27, v27
	v_max_f32_e32 v2, v26, v2
	ds_bpermute_b32 v3, v22, v2
	v_cmp_lt_i32_e64 s[18:19], v23, v19
	v_xor_b32_e32 v4, 1, v18
	s_waitcnt lgkmcnt(0)
	v_max_f32_e32 v3, v3, v3
	v_cndmask_b32_e64 v5, v18, v23, s[18:19]
	v_lshlrev_b32_e32 v23, 2, v5
	v_max_f32_e32 v5, v2, v3
	ds_bpermute_b32 v26, v23, v5
	v_cmp_lt_i32_e64 s[18:19], v25, v19
	s_nop 1
	v_cndmask_b32_e64 v2, v18, v25, s[18:19]
	v_lshlrev_b32_e32 v25, 2, v2
	v_lshl_add_u64 v[2:3], s[24:25], 0, v[6:7]
	global_load_dword v27, v[2:3], off
	s_waitcnt lgkmcnt(0)
	v_max_f32_e32 v2, v26, v26
	v_max_f32_e32 v5, v5, v2
	ds_bpermute_b32 v6, v25, v5
	v_cmp_lt_i32_e64 s[18:19], v4, v19
	s_nop 1
	v_cndmask_b32_e64 v2, v18, v4, s[18:19]
	s_waitcnt lgkmcnt(0)
	v_max_f32_e32 v4, v6, v6
	v_lshlrev_b32_e32 v18, 2, v2
	v_lshl_add_u64 v[2:3], s[24:25], 0, v[8:9]
	v_max_f32_e32 v19, v5, v4
	ds_bpermute_b32 v26, v18, v19
	global_load_dword v2, v[2:3], off
	v_lshl_add_u64 v[6:7], s[24:25], 0, v[12:13]
	v_lshl_add_u64 v[8:9], s[24:25], 0, v[14:15]
	;; [unrolled: 1-line block ×3, first 2 shown]
	s_waitcnt lgkmcnt(0)
	v_max_f32_e32 v12, v26, v26
	v_max_f32_e32 v12, v19, v12
	v_sub_f32_e32 v1, v1, v12
	v_mul_f32_e32 v3, 0x3fb8aa3b, v1
	v_fma_f32 v13, v1, s23, -v3
	v_rndne_f32_e32 v14, v3
	v_fmac_f32_e32 v13, 0x32a5705f, v1
	v_sub_f32_e32 v3, v3, v14
	v_lshl_add_u64 v[10:11], s[24:25], 0, v[16:17]
	v_add_f32_e32 v3, v3, v13
	v_cvt_i32_f32_e32 v13, v14
	global_load_dword v14, v[4:5], off
	global_load_dword v15, v[6:7], off
	;; [unrolled: 1-line block ×4, first 2 shown]
	v_sub_f32_e32 v5, v34, v12
	v_mul_f32_e32 v6, 0x3fb8aa3b, v5
	v_fma_f32 v7, v5, s23, -v6
	v_rndne_f32_e32 v8, v6
	v_exp_f32_e32 v3, v3
	v_fmac_f32_e32 v7, 0x32a5705f, v5
	v_sub_f32_e32 v6, v6, v8
	v_add_f32_e32 v6, v6, v7
	v_exp_f32_e32 v6, v6
	v_cvt_i32_f32_e32 v7, v8
	s_mov_b32 s24, 0xc2ce8ed0
	v_ldexp_f32 v3, v3, v13
	v_cmp_ngt_f32_e64 s[18:19], s24, v1
	s_mov_b32 s25, 0x42b17218
	v_mov_b32_e32 v4, 0x7f800000
	v_cndmask_b32_e64 v3, 0, v3, s[18:19]
	v_cmp_nlt_f32_e64 s[18:19], s25, v1
	s_nop 1
	v_cndmask_b32_e64 v1, v4, v3, s[18:19]
	v_ldexp_f32 v3, v6, v7
	v_sub_f32_e32 v6, v35, v12
	v_mul_f32_e32 v7, 0x3fb8aa3b, v6
	v_fma_f32 v8, v6, s23, -v7
	v_rndne_f32_e32 v9, v7
	v_fmac_f32_e32 v8, 0x32a5705f, v6
	v_sub_f32_e32 v7, v7, v9
	v_add_f32_e32 v7, v7, v8
	v_exp_f32_e32 v7, v7
	v_cvt_i32_f32_e32 v8, v9
	v_cndmask_b32_e64 v1, 0, v1, s[16:17]
	v_cmp_ngt_f32_e64 s[16:17], s24, v5
	s_waitcnt vmcnt(7)
	v_mul_f32_e32 v1, v24, v1
	v_cndmask_b32_e64 v3, 0, v3, s[16:17]
	v_cmp_nlt_f32_e64 s[16:17], s25, v5
	v_ldexp_f32 v5, v7, v8
	v_sub_f32_e32 v7, v36, v12
	v_mul_f32_e32 v8, 0x3fb8aa3b, v7
	v_fma_f32 v9, v7, s23, -v8
	v_rndne_f32_e32 v10, v8
	v_fmac_f32_e32 v9, 0x32a5705f, v7
	v_sub_f32_e32 v8, v8, v10
	v_add_f32_e32 v8, v8, v9
	v_exp_f32_e32 v8, v8
	v_cvt_i32_f32_e32 v9, v10
	v_cndmask_b32_e64 v3, v4, v3, s[16:17]
	v_cndmask_b32_e64 v3, 0, v3, s[14:15]
	v_cmp_ngt_f32_e64 s[14:15], s24, v6
	s_waitcnt vmcnt(6)
	v_mul_f32_e32 v3, v28, v3
	v_cndmask_b32_e64 v5, 0, v5, s[14:15]
	v_cmp_nlt_f32_e64 s[14:15], s25, v6
	v_ldexp_f32 v6, v8, v9
	v_sub_f32_e32 v8, v37, v12
	v_mul_f32_e32 v9, 0x3fb8aa3b, v8
	v_fma_f32 v10, v8, s23, -v9
	v_rndne_f32_e32 v11, v9
	v_fmac_f32_e32 v10, 0x32a5705f, v8
	v_sub_f32_e32 v9, v9, v11
	v_cndmask_b32_e64 v5, v4, v5, s[14:15]
	v_add_f32_e32 v9, v9, v10
	v_cndmask_b32_e64 v5, 0, v5, s[12:13]
	v_cmp_ngt_f32_e64 s[12:13], s24, v7
	v_exp_f32_e32 v9, v9
	v_cvt_i32_f32_e32 v10, v11
	v_cndmask_b32_e64 v6, 0, v6, s[12:13]
	v_cmp_nlt_f32_e64 s[12:13], s25, v7
	v_sub_f32_e32 v7, v38, v12
	s_waitcnt vmcnt(5)
	v_mul_f32_e32 v5, v27, v5
	v_cndmask_b32_e64 v6, v4, v6, s[12:13]
	v_cndmask_b32_e64 v6, 0, v6, s[10:11]
	s_waitcnt vmcnt(4)
	v_mul_f32_e32 v6, v2, v6
	v_ldexp_f32 v2, v9, v10
	v_mul_f32_e32 v9, 0x3fb8aa3b, v7
	v_fma_f32 v10, v7, s23, -v9
	v_rndne_f32_e32 v11, v9
	v_fmac_f32_e32 v10, 0x32a5705f, v7
	v_sub_f32_e32 v9, v9, v11
	v_add_f32_e32 v9, v9, v10
	v_cmp_ngt_f32_e64 s[10:11], s24, v8
	v_exp_f32_e32 v9, v9
	v_cvt_i32_f32_e32 v10, v11
	v_cndmask_b32_e64 v2, 0, v2, s[10:11]
	v_cmp_nlt_f32_e64 s[10:11], s25, v8
	s_nop 1
	v_cndmask_b32_e64 v2, v4, v2, s[10:11]
	v_cndmask_b32_e64 v2, 0, v2, s[8:9]
	s_waitcnt vmcnt(3)
	v_mul_f32_e32 v8, v14, v2
	v_ldexp_f32 v2, v9, v10
	v_sub_f32_e32 v9, v39, v12
	v_mul_f32_e32 v10, 0x3fb8aa3b, v9
	v_fma_f32 v11, v9, s23, -v10
	v_rndne_f32_e32 v13, v10
	v_fmac_f32_e32 v11, 0x32a5705f, v9
	v_sub_f32_e32 v10, v10, v13
	v_add_f32_e32 v10, v10, v11
	v_cmp_ngt_f32_e64 s[8:9], s24, v7
	v_exp_f32_e32 v10, v10
	v_cvt_i32_f32_e32 v11, v13
	v_cndmask_b32_e64 v2, 0, v2, s[8:9]
	v_cmp_nlt_f32_e64 s[8:9], s25, v7
	s_nop 1
	v_cndmask_b32_e64 v2, v4, v2, s[8:9]
	v_cndmask_b32_e64 v2, 0, v2, s[6:7]
	s_waitcnt vmcnt(2)
	v_mul_f32_e32 v7, v15, v2
	v_ldexp_f32 v2, v10, v11
	v_sub_f32_e32 v10, v40, v12
	v_mul_f32_e32 v11, 0x3fb8aa3b, v10
	v_fma_f32 v12, v10, s23, -v11
	v_rndne_f32_e32 v13, v11
	v_fmac_f32_e32 v12, 0x32a5705f, v10
	v_sub_f32_e32 v11, v11, v13
	v_add_f32_e32 v11, v11, v12
	v_exp_f32_e32 v11, v11
	v_cvt_i32_f32_e32 v12, v13
	v_cmp_ngt_f32_e64 s[6:7], s24, v9
	s_nop 1
	v_cndmask_b32_e64 v2, 0, v2, s[6:7]
	v_cmp_nlt_f32_e64 s[6:7], s25, v9
	v_ldexp_f32 v9, v11, v12
	v_lshlrev_b32_e32 v12, 2, v0
	v_cndmask_b32_e64 v2, v4, v2, s[6:7]
	v_cndmask_b32_e64 v2, 0, v2, s[4:5]
	v_cmp_ngt_f32_e64 s[4:5], s24, v10
	ds_write2st64_b32 v12, v1, v3 offset1:1
	s_waitcnt vmcnt(1)
	v_mul_f32_e32 v11, v16, v2
	v_cndmask_b32_e64 v9, 0, v9, s[4:5]
	v_cmp_nlt_f32_e64 s[4:5], s25, v10
	s_nop 1
	v_cndmask_b32_e64 v4, v4, v9, s[4:5]
	v_add_f32_e32 v9, v1, v3
	v_add_f32_e32 v9, v9, v5
	v_add_f32_e32 v9, v9, v6
	v_add_f32_e32 v9, v9, v8
	v_add_f32_e32 v9, v9, v7
	v_cndmask_b32_e32 v4, 0, v4, vcc
	v_fmac_f32_e32 v9, v16, v2
	s_waitcnt vmcnt(0)
	v_fmac_f32_e32 v9, v17, v4
	ds_bpermute_b32 v10, v20, v9
	v_cmp_eq_u32_e32 vcc, 0, v0
	v_mul_f32_e32 v4, v17, v4
	ds_write2st64_b32 v12, v5, v6 offset0:2 offset1:3
	ds_write2st64_b32 v12, v8, v7 offset0:4 offset1:5
	;; [unrolled: 1-line block ×3, first 2 shown]
	s_waitcnt lgkmcnt(3)
	v_add_f32_e32 v9, v9, v10
	ds_bpermute_b32 v10, v21, v9
	s_waitcnt lgkmcnt(0)
	v_add_f32_e32 v9, v9, v10
	ds_bpermute_b32 v10, v22, v9
	;; [unrolled: 3-line block ×5, first 2 shown]
	s_and_saveexec_b64 s[4:5], vcc
	s_cbranch_execz .LBB271_8
; %bb.7:
	s_waitcnt lgkmcnt(0)
	v_add_f32_e32 v1, v1, v2
	v_mov_b32_e32 v2, 0
	ds_write_b32 v2, v1 offset:2048
.LBB271_8:
	s_or_b64 exec, exec, s[4:5]
	v_mov_b32_e32 v1, s22
.LBB271_9:
	s_or_b64 exec, exec, s[38:39]
	s_lshl_b32 s4, s40, 7
	s_mov_b32 s5, 0
	s_lshl_b64 s[4:5], s[4:5], 1
	s_add_u32 s4, s20, s4
	s_addc_u32 s5, s21, s5
	s_lshl_b32 s10, s33, 7
	s_add_i32 s11, s10, 0xffffff80
	s_waitcnt lgkmcnt(0)
	v_lshlrev_b32_e32 v2, 7, v1
	v_mov_b32_e32 v3, 0
	s_cmp_lt_i32 s44, 1
	v_lshl_add_u64 v[4:5], v[2:3], 1, s[4:5]
	s_cselect_b32 s4, s11, 0
	v_lshlrev_b32_e32 v2, 1, v0
	s_ashr_i32 s5, s4, 31
	v_lshl_add_u64 v[0:1], v[4:5], 0, v[2:3]
	s_cmpk_lt_i32 s44, 0x101
	v_lshl_add_u64 v[12:13], s[4:5], 1, v[0:1]
	s_cselect_b32 s4, s11, 0x80
	s_ashr_i32 s5, s4, 31
	s_cmpk_lt_i32 s44, 0x201
	v_lshl_add_u64 v[14:15], s[4:5], 1, v[0:1]
	s_cselect_b32 s4, s11, 0x100
	s_ashr_i32 s5, s4, 31
	;; [unrolled: 4-line block ×8, first 2 shown]
	s_cmpk_lt_i32 s44, 0x901
	global_load_ushort v4, v[12:13], off
	global_load_ushort v5, v[14:15], off
	;; [unrolled: 1-line block ×8, first 2 shown]
	v_lshl_add_u64 v[20:21], s[4:5], 1, v[0:1]
	s_cselect_b32 s4, s11, 0x480
	s_ashr_i32 s5, s4, 31
	s_cmpk_lt_i32 s44, 0xa01
	v_lshl_add_u64 v[22:23], s[4:5], 1, v[0:1]
	s_cselect_b32 s4, s11, 0x500
	s_ashr_i32 s5, s4, 31
	s_cmpk_lt_i32 s44, 0xb01
	;; [unrolled: 4-line block ×6, first 2 shown]
	v_lshl_add_u64 v[32:33], s[4:5], 1, v[0:1]
	s_cselect_b32 s4, s11, 0x780
	s_ashr_i32 s5, s4, 31
	v_lshl_add_u64 v[34:35], s[4:5], 1, v[0:1]
	global_load_ushort v12, v[20:21], off
	global_load_ushort v13, v[22:23], off
	;; [unrolled: 1-line block ×8, first 2 shown]
	s_cmpk_gt_i32 s44, 0x1000
	s_cselect_b64 s[8:9], -1, 0
	s_cmpk_lt_i32 s44, 0x1001
	v_mov_b32_e32 v36, 0
	v_mov_b32_e32 v37, 0
	;; [unrolled: 1-line block ×48, first 2 shown]
	s_barrier
	s_cbranch_scc1 .LBB271_12
; %bb.10:
	s_cmpk_lt_u32 s44, 0x1101
	s_cselect_b32 s4, s11, 0x880
	s_ashr_i32 s5, s4, 31
	s_cmpk_lt_u32 s44, 0x1201
	v_lshl_add_u64 v[30:31], s[4:5], 1, v[0:1]
	s_cselect_b32 s4, s11, 0x900
	s_ashr_i32 s5, s4, 31
	s_cmpk_lt_u32 s44, 0x1301
	v_lshl_add_u64 v[32:33], s[4:5], 1, v[0:1]
	;; [unrolled: 4-line block ×7, first 2 shown]
	s_cselect_b32 s4, s11, 0xc00
	v_add_co_u32_e32 v28, vcc, 0x1000, v0
	s_ashr_i32 s5, s4, 31
	s_nop 0
	v_addc_co_u32_e32 v29, vcc, 0, v1, vcc
	s_cmpk_lt_u32 s44, 0x1901
	global_load_ushort v27, v[28:29], off
	global_load_ushort v26, v[30:31], off
	;; [unrolled: 1-line block ×8, first 2 shown]
	v_lshl_add_u64 v[36:37], s[4:5], 1, v[0:1]
	s_cselect_b32 s4, s11, 0xc80
	s_ashr_i32 s5, s4, 31
	s_cmpk_lt_u32 s44, 0x1a01
	v_lshl_add_u64 v[38:39], s[4:5], 1, v[0:1]
	s_cselect_b32 s4, s11, 0xd00
	s_ashr_i32 s5, s4, 31
	s_cmpk_lt_u32 s44, 0x1b01
	;; [unrolled: 4-line block ×6, first 2 shown]
	v_lshl_add_u64 v[48:49], s[4:5], 1, v[0:1]
	s_cselect_b32 s4, s11, 0xf80
	s_ashr_i32 s5, s4, 31
	v_lshl_add_u64 v[50:51], s[4:5], 1, v[0:1]
	global_load_ushort v35, v[36:37], off
	global_load_ushort v34, v[38:39], off
	;; [unrolled: 1-line block ×8, first 2 shown]
	s_cmpk_lt_u32 s44, 0x2001
	v_mov_b32_e32 v67, 0
	v_mov_b32_e32 v66, 0
	;; [unrolled: 1-line block ×32, first 2 shown]
	s_cbranch_scc1 .LBB271_12
; %bb.11:
	s_cmpk_lt_u32 s44, 0x2101
	s_cselect_b32 s4, s11, 0x1080
	s_ashr_i32 s5, s4, 31
	s_cmpk_lt_u32 s44, 0x2201
	v_lshl_add_u64 v[38:39], s[4:5], 1, v[0:1]
	s_cselect_b32 s4, s11, 0x1100
	s_ashr_i32 s5, s4, 31
	s_cmpk_lt_u32 s44, 0x2301
	v_lshl_add_u64 v[40:41], s[4:5], 1, v[0:1]
	;; [unrolled: 4-line block ×7, first 2 shown]
	s_cselect_b32 s4, s11, 0x1400
	v_add_co_u32_e32 v36, vcc, 0x2000, v0
	s_ashr_i32 s5, s4, 31
	s_nop 0
	v_addc_co_u32_e32 v37, vcc, 0, v1, vcc
	s_cmpk_lt_u32 s44, 0x2901
	global_load_ushort v52, v[36:37], off
	global_load_ushort v53, v[38:39], off
	global_load_ushort v54, v[40:41], off
	global_load_ushort v55, v[42:43], off
	global_load_ushort v56, v[44:45], off
	global_load_ushort v57, v[46:47], off
	global_load_ushort v58, v[48:49], off
	global_load_ushort v59, v[50:51], off
	v_lshl_add_u64 v[36:37], s[4:5], 1, v[0:1]
	s_cselect_b32 s4, s11, 0x1480
	s_ashr_i32 s5, s4, 31
	s_cmpk_lt_u32 s44, 0x2a01
	v_lshl_add_u64 v[38:39], s[4:5], 1, v[0:1]
	s_cselect_b32 s4, s11, 0x1500
	s_ashr_i32 s5, s4, 31
	s_cmpk_lt_u32 s44, 0x2b01
	;; [unrolled: 4-line block ×8, first 2 shown]
	global_load_ushort v68, v[36:37], off
	global_load_ushort v69, v[38:39], off
	;; [unrolled: 1-line block ×8, first 2 shown]
	v_lshl_add_u64 v[36:37], s[4:5], 1, v[0:1]
	s_cselect_b32 s4, s11, 0x1880
	s_ashr_i32 s5, s4, 31
	s_cmpk_lt_u32 s44, 0x3201
	v_lshl_add_u64 v[38:39], s[4:5], 1, v[0:1]
	s_cselect_b32 s4, s11, 0x1900
	s_ashr_i32 s5, s4, 31
	s_cmpk_lt_u32 s44, 0x3301
	v_lshl_add_u64 v[40:41], s[4:5], 1, v[0:1]
	s_cselect_b32 s4, s11, 0x1980
	s_ashr_i32 s5, s4, 31
	s_cmpk_lt_u32 s44, 0x3401
	v_lshl_add_u64 v[42:43], s[4:5], 1, v[0:1]
	s_cselect_b32 s4, s11, 0x1a00
	s_ashr_i32 s5, s4, 31
	s_cmpk_lt_u32 s44, 0x3501
	v_lshl_add_u64 v[44:45], s[4:5], 1, v[0:1]
	s_cselect_b32 s4, s11, 0x1a80
	s_ashr_i32 s5, s4, 31
	s_cmpk_lt_u32 s44, 0x3601
	v_lshl_add_u64 v[46:47], s[4:5], 1, v[0:1]
	s_cselect_b32 s4, s11, 0x1b00
	s_ashr_i32 s5, s4, 31
	s_cmpk_lt_u32 s44, 0x3701
	v_lshl_add_u64 v[48:49], s[4:5], 1, v[0:1]
	s_cselect_b32 s4, s11, 0x1b80
	s_ashr_i32 s5, s4, 31
	s_cmpk_lt_u32 s44, 0x3801
	v_lshl_add_u64 v[50:51], s[4:5], 1, v[0:1]
	s_cselect_b32 s4, s11, 0x1c00
	s_ashr_i32 s5, s4, 31
	s_cmpk_lt_u32 s44, 0x3901
	global_load_ushort v76, v[36:37], off
	global_load_ushort v77, v[38:39], off
	;; [unrolled: 1-line block ×8, first 2 shown]
	v_lshl_add_u64 v[36:37], s[4:5], 1, v[0:1]
	s_cselect_b32 s4, s11, 0x1c80
	s_ashr_i32 s5, s4, 31
	s_cmpk_lt_u32 s44, 0x3a01
	v_lshl_add_u64 v[38:39], s[4:5], 1, v[0:1]
	s_cselect_b32 s4, s11, 0x1d00
	s_ashr_i32 s5, s4, 31
	s_cmpk_lt_u32 s44, 0x3b01
	;; [unrolled: 4-line block ×6, first 2 shown]
	v_lshl_add_u64 v[48:49], s[4:5], 1, v[0:1]
	s_cselect_b32 s4, s11, 0x1f80
	s_ashr_i32 s5, s4, 31
	v_lshl_add_u64 v[50:51], s[4:5], 1, v[0:1]
	global_load_ushort v84, v[36:37], off
	global_load_ushort v85, v[38:39], off
	global_load_ushort v86, v[40:41], off
	global_load_ushort v87, v[42:43], off
	global_load_ushort v88, v[44:45], off
	global_load_ushort v89, v[46:47], off
	global_load_ushort v90, v[48:49], off
	global_load_ushort v91, v[50:51], off
	s_waitcnt vmcnt(31)
	v_cvt_f32_f16_e32 v67, v52
	s_waitcnt vmcnt(30)
	v_cvt_f32_f16_e32 v66, v53
	;; [unrolled: 2-line block ×32, first 2 shown]
.LBB271_12:
	ds_read_b128 v[68:71], v3
	s_load_dwordx2 s[4:5], s[0:1], 0x0
	s_load_dwordx2 s[6:7], s[0:1], 0x38
	ds_read_b128 v[72:75], v3 offset:16
	ds_read_b128 v[76:79], v3 offset:32
	;; [unrolled: 1-line block ×3, first 2 shown]
	s_and_b64 vcc, exec, s[8:9]
	s_waitcnt vmcnt(15) lgkmcnt(0)
	v_fma_mix_f32 v4, v68, v4, 0 op_sel_hi:[0,1,0]
	s_waitcnt vmcnt(14)
	v_fma_mix_f32 v4, v69, v5, v4 op_sel_hi:[0,1,0]
	s_waitcnt vmcnt(13)
	;; [unrolled: 2-line block ×15, first 2 shown]
	v_fma_mix_f32 v4, v83, v19, v4 op_sel_hi:[0,1,0]
	s_cbranch_vccz .LBB271_15
; %bb.13:
	ds_read_b128 v[6:9], v3 offset:64
	ds_read_b128 v[10:13], v3 offset:80
	ds_read_b128 v[14:17], v3 offset:96
	ds_read_b128 v[68:71], v3 offset:112
	s_cmpk_lt_u32 s44, 0x2001
	s_waitcnt lgkmcnt(3)
	v_fma_mix_f32 v3, v6, v27, v4 op_sel_hi:[0,1,0]
	v_fma_mix_f32 v3, v7, v26, v3 op_sel_hi:[0,1,0]
	v_fma_mix_f32 v3, v8, v25, v3 op_sel_hi:[0,1,0]
	v_fma_mix_f32 v3, v9, v24, v3 op_sel_hi:[0,1,0]
	s_waitcnt lgkmcnt(2)
	v_fma_mix_f32 v3, v10, v23, v3 op_sel_hi:[0,1,0]
	v_fma_mix_f32 v3, v11, v22, v3 op_sel_hi:[0,1,0]
	v_fma_mix_f32 v3, v12, v21, v3 op_sel_hi:[0,1,0]
	v_fma_mix_f32 v3, v13, v20, v3 op_sel_hi:[0,1,0]
	;; [unrolled: 5-line block ×4, first 2 shown]
	s_cbranch_scc1 .LBB271_15
; %bb.14:
	v_mov_b32_e32 v3, 0
	ds_read_b128 v[6:9], v3 offset:128
	ds_read_b128 v[10:13], v3 offset:144
	;; [unrolled: 1-line block ×4, first 2 shown]
	s_waitcnt lgkmcnt(3)
	v_fmac_f32_e32 v4, v6, v67
	v_fmac_f32_e32 v4, v7, v66
	v_fmac_f32_e32 v4, v8, v65
	v_fmac_f32_e32 v4, v9, v64
	s_waitcnt lgkmcnt(2)
	v_fmac_f32_e32 v4, v10, v63
	v_fmac_f32_e32 v4, v11, v62
	v_fmac_f32_e32 v4, v12, v61
	v_fmac_f32_e32 v4, v13, v60
	;; [unrolled: 5-line block ×3, first 2 shown]
	ds_read_b128 v[6:9], v3 offset:192
	ds_read_b128 v[10:13], v3 offset:208
	s_waitcnt lgkmcnt(2)
	v_fmac_f32_e32 v4, v18, v55
	v_fmac_f32_e32 v4, v19, v54
	;; [unrolled: 1-line block ×4, first 2 shown]
	s_waitcnt lgkmcnt(1)
	v_fmac_f32_e32 v4, v6, v51
	v_fmac_f32_e32 v4, v7, v50
	;; [unrolled: 1-line block ×4, first 2 shown]
	ds_read_b128 v[6:9], v3 offset:224
	s_waitcnt lgkmcnt(1)
	v_fmac_f32_e32 v4, v10, v47
	v_fmac_f32_e32 v4, v11, v46
	;; [unrolled: 1-line block ×4, first 2 shown]
	ds_read_b128 v[10:13], v3 offset:240
	s_waitcnt lgkmcnt(1)
	v_fmac_f32_e32 v4, v6, v43
	v_fmac_f32_e32 v4, v7, v42
	;; [unrolled: 1-line block ×4, first 2 shown]
	s_waitcnt lgkmcnt(0)
	v_fmac_f32_e32 v4, v10, v39
	v_fmac_f32_e32 v4, v11, v38
	;; [unrolled: 1-line block ×4, first 2 shown]
.LBB271_15:
	s_movk_i32 s0, 0x3f80
	s_movk_i32 s1, 0x100
	s_mov_b32 s8, 64
	s_branch .LBB271_17
.LBB271_16:                             ;   in Loop: Header=BB271_17 Depth=1
	s_addk_i32 s0, 0x2000
	s_addk_i32 s1, 0x100
	s_add_i32 s8, s8, 64
	s_cmp_eq_u32 s0, 0x11f80
	s_cbranch_scc1 .LBB271_19
.LBB271_17:                             ; =>This Inner Loop Header: Depth=1
	s_cmp_le_i32 s33, s8
	s_cbranch_scc1 .LBB271_16
; %bb.18:                               ;   in Loop: Header=BB271_17 Depth=1
	s_add_i32 s9, s0, 0xffffe080
	s_cmp_lt_i32 s9, s10
	s_cselect_b32 s12, s9, s11
	s_ashr_i32 s13, s12, 31
	s_add_i32 s9, s0, 0xffffe100
	s_cmp_lt_i32 s9, s10
	v_lshl_add_u64 v[12:13], s[12:13], 1, v[0:1]
	s_cselect_b32 s12, s9, s11
	s_ashr_i32 s13, s12, 31
	s_add_i32 s9, s0, 0xffffe180
	s_cmp_lt_i32 s9, s10
	v_lshl_add_u64 v[14:15], s[12:13], 1, v[0:1]
	;; [unrolled: 5-line block ×8, first 2 shown]
	s_cselect_b32 s12, s9, s11
	s_ashr_i32 s13, s12, 31
	s_add_i32 s9, s0, 0xffffe500
	s_cmp_lt_i32 s9, s10
	global_load_ushort v3, v[12:13], off
	global_load_ushort v5, v[14:15], off
	global_load_ushort v6, v[16:17], off
	global_load_ushort v7, v[18:19], off
	global_load_ushort v8, v[20:21], off
	global_load_ushort v9, v[22:23], off
	global_load_ushort v10, v[24:25], off
	global_load_ushort v11, v[26:27], off
	v_lshl_add_u64 v[12:13], s[12:13], 1, v[0:1]
	s_cselect_b32 s12, s9, s11
	s_ashr_i32 s13, s12, 31
	s_add_i32 s9, s0, 0xffffe580
	s_cmp_lt_i32 s9, s10
	v_lshl_add_u64 v[14:15], s[12:13], 1, v[0:1]
	s_cselect_b32 s12, s9, s11
	s_ashr_i32 s13, s12, 31
	s_add_i32 s9, s0, 0xffffe600
	s_cmp_lt_i32 s9, s10
	v_lshl_add_u64 v[16:17], s[12:13], 1, v[0:1]
	s_cselect_b32 s12, s9, s11
	s_ashr_i32 s13, s12, 31
	s_add_i32 s9, s0, 0xffffe680
	s_cmp_lt_i32 s9, s10
	v_lshl_add_u64 v[18:19], s[12:13], 1, v[0:1]
	s_cselect_b32 s12, s9, s11
	s_ashr_i32 s13, s12, 31
	s_add_i32 s9, s0, 0xffffe700
	s_cmp_lt_i32 s9, s10
	v_lshl_add_u64 v[20:21], s[12:13], 1, v[0:1]
	s_cselect_b32 s12, s9, s11
	s_ashr_i32 s13, s12, 31
	s_add_i32 s9, s0, 0xffffe780
	s_cmp_lt_i32 s9, s10
	v_lshl_add_u64 v[22:23], s[12:13], 1, v[0:1]
	s_cselect_b32 s12, s9, s11
	s_ashr_i32 s13, s12, 31
	s_add_i32 s9, s0, 0xffffe800
	s_cmp_lt_i32 s9, s10
	v_lshl_add_u64 v[24:25], s[12:13], 1, v[0:1]
	s_cselect_b32 s12, s9, s11
	s_ashr_i32 s13, s12, 31
	s_add_i32 s9, s0, 0xffffe880
	s_cmp_lt_i32 s9, s10
	v_lshl_add_u64 v[26:27], s[12:13], 1, v[0:1]
	s_cselect_b32 s12, s9, s11
	s_ashr_i32 s13, s12, 31
	s_add_i32 s9, s0, 0xffffe900
	s_cmp_lt_i32 s9, s10
	global_load_ushort v28, v[12:13], off
	global_load_ushort v29, v[14:15], off
	global_load_ushort v30, v[16:17], off
	global_load_ushort v31, v[18:19], off
	global_load_ushort v32, v[20:21], off
	global_load_ushort v33, v[22:23], off
	global_load_ushort v34, v[24:25], off
	global_load_ushort v35, v[26:27], off
	v_lshl_add_u64 v[12:13], s[12:13], 1, v[0:1]
	s_cselect_b32 s12, s9, s11
	s_ashr_i32 s13, s12, 31
	s_add_i32 s9, s0, 0xffffe980
	s_cmp_lt_i32 s9, s10
	v_lshl_add_u64 v[14:15], s[12:13], 1, v[0:1]
	s_cselect_b32 s12, s9, s11
	s_ashr_i32 s13, s12, 31
	s_add_i32 s9, s0, 0xffffea00
	s_cmp_lt_i32 s9, s10
	v_lshl_add_u64 v[16:17], s[12:13], 1, v[0:1]
	s_cselect_b32 s12, s9, s11
	s_ashr_i32 s13, s12, 31
	s_add_i32 s9, s0, 0xffffea80
	s_cmp_lt_i32 s9, s10
	v_lshl_add_u64 v[18:19], s[12:13], 1, v[0:1]
	s_cselect_b32 s12, s9, s11
	s_ashr_i32 s13, s12, 31
	s_add_i32 s9, s0, 0xffffeb00
	s_cmp_lt_i32 s9, s10
	v_lshl_add_u64 v[20:21], s[12:13], 1, v[0:1]
	s_cselect_b32 s12, s9, s11
	s_ashr_i32 s13, s12, 31
	s_add_i32 s9, s0, 0xffffeb80
	s_cmp_lt_i32 s9, s10
	v_lshl_add_u64 v[22:23], s[12:13], 1, v[0:1]
	s_cselect_b32 s12, s9, s11
	s_ashr_i32 s13, s12, 31
	s_add_i32 s9, s0, 0xffffec00
	s_cmp_lt_i32 s9, s10
	v_lshl_add_u64 v[24:25], s[12:13], 1, v[0:1]
	s_cselect_b32 s12, s9, s11
	s_ashr_i32 s13, s12, 31
	s_add_i32 s9, s0, 0xffffec80
	s_cmp_lt_i32 s9, s10
	v_lshl_add_u64 v[26:27], s[12:13], 1, v[0:1]
	;; [unrolled: 48-line block ×6, first 2 shown]
	s_cselect_b32 s12, s9, s11
	s_ashr_i32 s13, s12, 31
	s_add_i32 s9, s0, 0xfffffd00
	s_cmp_lt_i32 s9, s10
	global_load_ushort v68, v[12:13], off
	global_load_ushort v69, v[14:15], off
	;; [unrolled: 1-line block ×8, first 2 shown]
	v_lshl_add_u64 v[12:13], s[12:13], 1, v[0:1]
	s_cselect_b32 s12, s9, s11
	s_ashr_i32 s13, s12, 31
	s_add_i32 s9, s0, 0xfffffd80
	s_cmp_lt_i32 s9, s10
	v_lshl_add_u64 v[14:15], s[12:13], 1, v[0:1]
	s_cselect_b32 s12, s9, s11
	s_ashr_i32 s13, s12, 31
	s_add_i32 s9, s0, 0xfffffe00
	s_cmp_lt_i32 s9, s10
	v_lshl_add_u64 v[16:17], s[12:13], 1, v[0:1]
	s_cselect_b32 s12, s9, s11
	s_ashr_i32 s13, s12, 31
	s_add_i32 s9, s0, 0xfffffe80
	s_cmp_lt_i32 s9, s10
	v_lshl_add_u64 v[18:19], s[12:13], 1, v[0:1]
	s_cselect_b32 s12, s9, s11
	s_ashr_i32 s13, s12, 31
	s_add_i32 s9, s0, 0xffffff00
	s_cmp_lt_i32 s9, s10
	v_lshl_add_u64 v[20:21], s[12:13], 1, v[0:1]
	s_cselect_b32 s12, s9, s11
	s_ashr_i32 s13, s12, 31
	s_add_i32 s9, s0, 0xffffff80
	s_cmp_lt_i32 s9, s10
	v_lshl_add_u64 v[22:23], s[12:13], 1, v[0:1]
	s_cselect_b32 s12, s9, s11
	s_ashr_i32 s13, s12, 31
	s_cmp_lt_i32 s0, s10
	v_lshl_add_u64 v[24:25], s[12:13], 1, v[0:1]
	s_cselect_b32 s12, s0, s11
	s_ashr_i32 s13, s12, 31
	v_lshl_add_u64 v[26:27], s[12:13], 1, v[0:1]
	global_load_ushort v76, v[12:13], off
	global_load_ushort v77, v[14:15], off
	;; [unrolled: 1-line block ×8, first 2 shown]
	v_mov_b32_e32 v84, s1
	ds_read_b128 v[12:15], v84
	ds_read_b128 v[16:19], v84 offset:16
	ds_read_b128 v[20:23], v84 offset:32
	;; [unrolled: 1-line block ×3, first 2 shown]
	s_waitcnt vmcnt(62) lgkmcnt(3)
	v_fma_mix_f32 v3, v12, v3, v4 op_sel_hi:[0,1,0]
	v_fma_mix_f32 v3, v13, v5, v3 op_sel_hi:[0,1,0]
	s_waitcnt vmcnt(61)
	v_fma_mix_f32 v3, v14, v6, v3 op_sel_hi:[0,1,0]
	s_waitcnt vmcnt(60)
	v_fma_mix_f32 v3, v15, v7, v3 op_sel_hi:[0,1,0]
	s_waitcnt vmcnt(59) lgkmcnt(2)
	v_fma_mix_f32 v3, v16, v8, v3 op_sel_hi:[0,1,0]
	s_waitcnt vmcnt(58)
	v_fma_mix_f32 v3, v17, v9, v3 op_sel_hi:[0,1,0]
	s_waitcnt vmcnt(57)
	v_fma_mix_f32 v3, v18, v10, v3 op_sel_hi:[0,1,0]
	s_waitcnt vmcnt(56)
	v_fma_mix_f32 v3, v19, v11, v3 op_sel_hi:[0,1,0]
	s_waitcnt vmcnt(55) lgkmcnt(1)
	v_fma_mix_f32 v3, v20, v28, v3 op_sel_hi:[0,1,0]
	s_waitcnt vmcnt(54)
	v_fma_mix_f32 v3, v21, v29, v3 op_sel_hi:[0,1,0]
	s_waitcnt vmcnt(53)
	;; [unrolled: 2-line block ×3, first 2 shown]
	v_fma_mix_f32 v3, v23, v31, v3 op_sel_hi:[0,1,0]
	ds_read_b128 v[4:7], v84 offset:64
	ds_read_b128 v[8:11], v84 offset:80
	s_waitcnt vmcnt(51) lgkmcnt(2)
	v_fma_mix_f32 v3, v24, v32, v3 op_sel_hi:[0,1,0]
	s_waitcnt vmcnt(50)
	v_fma_mix_f32 v3, v25, v33, v3 op_sel_hi:[0,1,0]
	s_waitcnt vmcnt(49)
	;; [unrolled: 2-line block ×3, first 2 shown]
	v_fma_mix_f32 v3, v27, v35, v3 op_sel_hi:[0,1,0]
	s_waitcnt vmcnt(47) lgkmcnt(1)
	v_fma_mix_f32 v3, v4, v36, v3 op_sel_hi:[0,1,0]
	s_waitcnt vmcnt(46)
	v_fma_mix_f32 v3, v5, v37, v3 op_sel_hi:[0,1,0]
	s_waitcnt vmcnt(45)
	v_fma_mix_f32 v3, v6, v38, v3 op_sel_hi:[0,1,0]
	s_waitcnt vmcnt(44)
	v_fma_mix_f32 v3, v7, v39, v3 op_sel_hi:[0,1,0]
	ds_read_b128 v[4:7], v84 offset:96
	s_waitcnt vmcnt(43) lgkmcnt(1)
	v_fma_mix_f32 v3, v8, v40, v3 op_sel_hi:[0,1,0]
	s_waitcnt vmcnt(42)
	v_fma_mix_f32 v3, v9, v41, v3 op_sel_hi:[0,1,0]
	s_waitcnt vmcnt(41)
	v_fma_mix_f32 v3, v10, v42, v3 op_sel_hi:[0,1,0]
	s_waitcnt vmcnt(40)
	v_fma_mix_f32 v3, v11, v43, v3 op_sel_hi:[0,1,0]
	ds_read_b128 v[8:11], v84 offset:112
	;; [unrolled: 9-line block ×10, first 2 shown]
	s_waitcnt vmcnt(7) lgkmcnt(1)
	v_fma_mix_f32 v3, v4, v76, v3 op_sel_hi:[0,1,0]
	s_waitcnt vmcnt(6)
	v_fma_mix_f32 v3, v5, v77, v3 op_sel_hi:[0,1,0]
	s_waitcnt vmcnt(5)
	;; [unrolled: 2-line block ×3, first 2 shown]
	v_fma_mix_f32 v3, v7, v79, v3 op_sel_hi:[0,1,0]
	s_waitcnt vmcnt(3) lgkmcnt(0)
	v_fma_mix_f32 v3, v8, v80, v3 op_sel_hi:[0,1,0]
	s_waitcnt vmcnt(2)
	v_fma_mix_f32 v3, v9, v81, v3 op_sel_hi:[0,1,0]
	s_waitcnt vmcnt(1)
	;; [unrolled: 2-line block ×3, first 2 shown]
	v_fma_mix_f32 v4, v11, v83, v3 op_sel_hi:[0,1,0]
	s_branch .LBB271_16
.LBB271_19:
	v_mov_b32_e32 v0, 0
	ds_read_b32 v1, v0 offset:2048
	s_cmp_lg_u64 s[6:7], 0
	s_cbranch_scc0 .LBB271_24
; %bb.20:
	s_load_dword s6, s[6:7], 0x0
	s_waitcnt lgkmcnt(0)
	v_div_scale_f32 v0, s[0:1], s6, s6, 1.0
	v_rcp_f32_e32 v3, v0
	v_div_scale_f32 v5, vcc, 1.0, s6, 1.0
	v_fma_f32 v6, -v0, v3, 1.0
	v_fmac_f32_e32 v3, v6, v3
	v_mul_f32_e32 v6, v5, v3
	v_fma_f32 v7, -v0, v6, v5
	v_fmac_f32_e32 v6, v7, v3
	v_fma_f32 v0, -v0, v6, v5
	v_div_fmas_f32 v0, v0, v3, v6
	v_div_fixup_f32 v0, v0, s6, 1.0
	s_andn2_b64 vcc, exec, s[34:35]
	s_cbranch_vccnz .LBB271_22
.LBB271_21:
	s_add_u32 s0, s30, s36
	s_addc_u32 s1, s31, s37
	s_load_dword s28, s[0:1], 0x0
	s_mov_b32 s29, 0
.LBB271_22:
	s_waitcnt lgkmcnt(0)
	v_add_f32_e32 v1, 0x358637bd, v1
	v_div_scale_f32 v3, s[0:1], v1, v1, 1.0
	v_rcp_f32_e32 v5, v3
	v_div_scale_f32 v6, vcc, 1.0, v1, 1.0
	s_mul_i32 s0, s3, s29
	v_fma_f32 v7, -v3, v5, 1.0
	v_fmac_f32_e32 v5, v7, v5
	v_mul_f32_e32 v7, v6, v5
	v_fma_f32 v8, -v3, v7, v6
	s_mul_hi_u32 s1, s3, s28
	v_fmac_f32_e32 v7, v8, v5
	s_add_i32 s1, s1, s0
	s_mul_i32 s0, s3, s28
	v_fma_f32 v3, -v3, v7, v6
	s_lshl_b64 s[0:1], s[0:1], 8
	v_div_fmas_f32 v3, v3, v5, v7
	s_add_u32 s4, s4, s0
	s_mov_b32 s3, 0
	v_div_fixup_f32 v1, v3, v1, 1.0
	s_addc_u32 s5, s5, s1
	s_lshl_b64 s[0:1], s[2:3], 8
	v_mul_f32_e32 v1, v4, v1
	s_add_u32 s0, s4, s0
	s_addc_u32 s1, s5, s1
	v_fma_mixlo_f16 v0, v1, v0, 0
	global_store_short v2, v0, s[0:1]
	s_endpgm
.LBB271_23:
	s_mov_b64 s[6:7], 0
	s_branch .LBB271_2
.LBB271_24:
	v_mov_b32_e32 v0, 1.0
	s_andn2_b64 vcc, exec, s[34:35]
	s_cbranch_vccz .LBB271_21
	s_branch .LBB271_22
	.section	.rodata,"a",@progbits
	.p2align	6, 0x0
	.amdhsa_kernel _Z35paged_attention_ll4mi_reduce_kernelIDF16_DF16_Li128ELi128ELi256ELi8EEvPT0_PKfS3_PKT_PKiS8_iS3_
		.amdhsa_group_segment_fixed_size 2052
		.amdhsa_private_segment_fixed_size 0
		.amdhsa_kernarg_size 320
		.amdhsa_user_sgpr_count 2
		.amdhsa_user_sgpr_dispatch_ptr 0
		.amdhsa_user_sgpr_queue_ptr 0
		.amdhsa_user_sgpr_kernarg_segment_ptr 1
		.amdhsa_user_sgpr_dispatch_id 0
		.amdhsa_user_sgpr_kernarg_preload_length 0
		.amdhsa_user_sgpr_kernarg_preload_offset 0
		.amdhsa_user_sgpr_private_segment_size 0
		.amdhsa_uses_dynamic_stack 0
		.amdhsa_enable_private_segment 0
		.amdhsa_system_sgpr_workgroup_id_x 1
		.amdhsa_system_sgpr_workgroup_id_y 1
		.amdhsa_system_sgpr_workgroup_id_z 0
		.amdhsa_system_sgpr_workgroup_info 0
		.amdhsa_system_vgpr_workitem_id 0
		.amdhsa_next_free_vgpr 92
		.amdhsa_next_free_sgpr 45
		.amdhsa_accum_offset 92
		.amdhsa_reserve_vcc 1
		.amdhsa_float_round_mode_32 0
		.amdhsa_float_round_mode_16_64 0
		.amdhsa_float_denorm_mode_32 3
		.amdhsa_float_denorm_mode_16_64 3
		.amdhsa_dx10_clamp 1
		.amdhsa_ieee_mode 1
		.amdhsa_fp16_overflow 0
		.amdhsa_tg_split 0
		.amdhsa_exception_fp_ieee_invalid_op 0
		.amdhsa_exception_fp_denorm_src 0
		.amdhsa_exception_fp_ieee_div_zero 0
		.amdhsa_exception_fp_ieee_overflow 0
		.amdhsa_exception_fp_ieee_underflow 0
		.amdhsa_exception_fp_ieee_inexact 0
		.amdhsa_exception_int_div_zero 0
	.end_amdhsa_kernel
	.section	.text._Z35paged_attention_ll4mi_reduce_kernelIDF16_DF16_Li128ELi128ELi256ELi8EEvPT0_PKfS3_PKT_PKiS8_iS3_,"axG",@progbits,_Z35paged_attention_ll4mi_reduce_kernelIDF16_DF16_Li128ELi128ELi256ELi8EEvPT0_PKfS3_PKT_PKiS8_iS3_,comdat
.Lfunc_end271:
	.size	_Z35paged_attention_ll4mi_reduce_kernelIDF16_DF16_Li128ELi128ELi256ELi8EEvPT0_PKfS3_PKT_PKiS8_iS3_, .Lfunc_end271-_Z35paged_attention_ll4mi_reduce_kernelIDF16_DF16_Li128ELi128ELi256ELi8EEvPT0_PKfS3_PKT_PKiS8_iS3_
                                        ; -- End function
	.section	.AMDGPU.csdata,"",@progbits
; Kernel info:
; codeLenInByte = 9176
; NumSgprs: 51
; NumVgprs: 92
; NumAgprs: 0
; TotalNumVgprs: 92
; ScratchSize: 0
; MemoryBound: 0
; FloatMode: 240
; IeeeMode: 1
; LDSByteSize: 2052 bytes/workgroup (compile time only)
; SGPRBlocks: 6
; VGPRBlocks: 11
; NumSGPRsForWavesPerEU: 51
; NumVGPRsForWavesPerEU: 92
; AccumOffset: 92
; Occupancy: 5
; WaveLimiterHint : 1
; COMPUTE_PGM_RSRC2:SCRATCH_EN: 0
; COMPUTE_PGM_RSRC2:USER_SGPR: 2
; COMPUTE_PGM_RSRC2:TRAP_HANDLER: 0
; COMPUTE_PGM_RSRC2:TGID_X_EN: 1
; COMPUTE_PGM_RSRC2:TGID_Y_EN: 1
; COMPUTE_PGM_RSRC2:TGID_Z_EN: 0
; COMPUTE_PGM_RSRC2:TIDIG_COMP_CNT: 0
; COMPUTE_PGM_RSRC3_GFX90A:ACCUM_OFFSET: 22
; COMPUTE_PGM_RSRC3_GFX90A:TG_SPLIT: 0
	.section	.text._Z39paged_attention_ll4mi_QKV_mfma16_kernelIDF16_DF16_LN4vllm18Fp8KVCacheDataTypeE0EDF16_Li16ELi128ELi256ELb1ELi1EEvPKT_PKT0_S7_ifPKiS9_S9_iPKfiiiPfSC_PS2_PT2_iSB_SB_,"axG",@progbits,_Z39paged_attention_ll4mi_QKV_mfma16_kernelIDF16_DF16_LN4vllm18Fp8KVCacheDataTypeE0EDF16_Li16ELi128ELi256ELb1ELi1EEvPKT_PKT0_S7_ifPKiS9_S9_iPKfiiiPfSC_PS2_PT2_iSB_SB_,comdat
	.protected	_Z39paged_attention_ll4mi_QKV_mfma16_kernelIDF16_DF16_LN4vllm18Fp8KVCacheDataTypeE0EDF16_Li16ELi128ELi256ELb1ELi1EEvPKT_PKT0_S7_ifPKiS9_S9_iPKfiiiPfSC_PS2_PT2_iSB_SB_ ; -- Begin function _Z39paged_attention_ll4mi_QKV_mfma16_kernelIDF16_DF16_LN4vllm18Fp8KVCacheDataTypeE0EDF16_Li16ELi128ELi256ELb1ELi1EEvPKT_PKT0_S7_ifPKiS9_S9_iPKfiiiPfSC_PS2_PT2_iSB_SB_
	.globl	_Z39paged_attention_ll4mi_QKV_mfma16_kernelIDF16_DF16_LN4vllm18Fp8KVCacheDataTypeE0EDF16_Li16ELi128ELi256ELb1ELi1EEvPKT_PKT0_S7_ifPKiS9_S9_iPKfiiiPfSC_PS2_PT2_iSB_SB_
	.p2align	8
	.type	_Z39paged_attention_ll4mi_QKV_mfma16_kernelIDF16_DF16_LN4vllm18Fp8KVCacheDataTypeE0EDF16_Li16ELi128ELi256ELb1ELi1EEvPKT_PKT0_S7_ifPKiS9_S9_iPKfiiiPfSC_PS2_PT2_iSB_SB_,@function
_Z39paged_attention_ll4mi_QKV_mfma16_kernelIDF16_DF16_LN4vllm18Fp8KVCacheDataTypeE0EDF16_Li16ELi128ELi256ELb1ELi1EEvPKT_PKT0_S7_ifPKiS9_S9_iPKfiiiPfSC_PS2_PT2_iSB_SB_: ; @_Z39paged_attention_ll4mi_QKV_mfma16_kernelIDF16_DF16_LN4vllm18Fp8KVCacheDataTypeE0EDF16_Li16ELi128ELi256ELb1ELi1EEvPKT_PKT0_S7_ifPKiS9_S9_iPKfiiiPfSC_PS2_PT2_iSB_SB_
; %bb.0:
	s_load_dwordx2 s[8:9], s[0:1], 0x30
	s_mov_b32 s28, s3
	s_mov_b64 s[6:7], 0
	s_waitcnt lgkmcnt(0)
	s_cmp_lg_u64 s[8:9], 0
	s_cselect_b64 s[10:11], -1, 0
	s_and_b64 vcc, exec, s[10:11]
	s_cbranch_vccz .LBB272_7
; %bb.1:
	s_add_i32 s12, s2, 1
	s_mov_b32 s13, 0
	s_lshl_b64 s[14:15], s[12:13], 2
	s_add_u32 s14, s8, s14
	s_mov_b32 s3, s13
	s_addc_u32 s15, s9, s15
	s_lshl_b64 s[12:13], s[2:3], 2
	s_add_u32 s12, s8, s12
	s_addc_u32 s13, s9, s13
	s_load_dword s5, s[14:15], 0x0
	s_load_dword s16, s[12:13], 0x0
	s_waitcnt lgkmcnt(0)
	s_sub_i32 s5, s5, s16
	s_cmp_eq_u32 s5, 1
	s_cselect_b64 s[12:13], -1, 0
	s_andn2_b64 vcc, exec, s[6:7]
	s_cbranch_vccnz .LBB272_3
.LBB272_2:
	s_mov_b32 s3, 0
	s_mov_b64 s[12:13], -1
.LBB272_3:
	s_andn2_b64 vcc, exec, s[12:13]
	s_cbranch_vccnz .LBB272_19
; %bb.4:
	s_load_dwordx2 s[6:7], s[0:1], 0x28
	s_lshl_b64 s[12:13], s[2:3], 2
	s_waitcnt lgkmcnt(0)
	s_add_u32 s6, s6, s12
	s_addc_u32 s7, s7, s13
	s_load_dword s29, s[6:7], 0x0
	s_lshl_b32 s18, s28, 8
	s_waitcnt lgkmcnt(0)
	s_cmp_ge_i32 s18, s29
	s_cbranch_scc1 .LBB272_19
; %bb.5:
	s_load_dwordx2 s[6:7], s[0:1], 0x20
	s_load_dword s5, s[0:1], 0x38
	s_add_i32 s14, s29, 15
	s_ashr_i32 s15, s14, 31
	v_and_b32_e32 v1, 0xcf, v0
	s_lshr_b32 s15, s15, 28
	v_add_u32_e32 v1, s18, v1
	s_add_i32 s14, s14, s15
	v_ashrrev_i32_e32 v2, 31, v1
	s_ashr_i32 s19, s14, 4
	v_lshrrev_b32_e32 v4, 28, v2
	s_add_i32 s19, s19, -1
	s_waitcnt lgkmcnt(0)
	s_mul_i32 s14, s2, s5
	s_mov_b32 s15, 0
	v_add_u32_e32 v2, v1, v4
	s_lshl_b64 s[14:15], s[14:15], 2
	v_ashrrev_i32_e32 v2, 4, v2
	v_mov_b32_e32 v5, s19
	v_cmp_gt_i32_e32 vcc, s29, v1
	s_add_u32 s6, s6, s14
	s_addc_u32 s7, s7, s15
	v_cndmask_b32_e32 v2, v5, v2, vcc
	v_ashrrev_i32_e32 v3, 31, v2
	v_lshl_add_u64 v[6:7], v[2:3], 2, s[6:7]
	v_or_b32_e32 v2, 16, v1
	v_add_u32_e32 v3, v2, v4
	v_ashrrev_i32_e32 v3, 4, v3
	v_cmp_gt_i32_e32 vcc, s29, v2
	s_load_dwordx2 s[14:15], s[0:1], 0x8
	s_nop 0
	v_cndmask_b32_e32 v2, v5, v3, vcc
	v_ashrrev_i32_e32 v3, 31, v2
	v_lshl_add_u64 v[8:9], v[2:3], 2, s[6:7]
	v_or_b32_e32 v2, 32, v1
	v_add_u32_e32 v3, v2, v4
	v_ashrrev_i32_e32 v3, 4, v3
	v_cmp_gt_i32_e32 vcc, s29, v2
	v_or_b32_e32 v1, 48, v1
	s_nop 0
	v_cndmask_b32_e32 v2, v5, v3, vcc
	v_ashrrev_i32_e32 v3, 31, v2
	v_lshl_add_u64 v[10:11], v[2:3], 2, s[6:7]
	v_add_u32_e32 v2, v1, v4
	v_ashrrev_i32_e32 v2, 4, v2
	v_cmp_gt_i32_e32 vcc, s29, v1
	s_nop 1
	v_cndmask_b32_e32 v2, v5, v2, vcc
	v_ashrrev_i32_e32 v3, 31, v2
	v_lshl_add_u64 v[12:13], v[2:3], 2, s[6:7]
	global_load_dword v5, v[6:7], off
	global_load_dword v4, v[8:9], off
	;; [unrolled: 1-line block ×4, first 2 shown]
	s_andn2_b64 vcc, exec, s[10:11]
	s_cbranch_vccnz .LBB272_8
; %bb.6:
	s_add_u32 s8, s8, s12
	s_addc_u32 s9, s9, s13
	s_load_dword s5, s[8:9], 0x0
	s_branch .LBB272_9
.LBB272_7:
	s_mov_b64 s[12:13], 0
	s_branch .LBB272_2
.LBB272_8:
	s_mov_b32 s5, s2
.LBB272_9:
	s_load_dwordx2 s[12:13], s[0:1], 0x10
	s_load_dwordx4 s[8:11], s[0:1], 0x48
	v_lshrrev_b32_e32 v87, 6, v0
	v_bfe_u32 v84, v0, 4, 2
	v_and_b32_e32 v85, 15, v0
	v_lshl_or_b32 v1, v87, 2, v84
	v_lshlrev_b32_e32 v6, 3, v85
	v_cmp_eq_u32_e32 vcc, 0, v1
	v_lshlrev_b32_e32 v1, 1, v6
	scratch_store_dword off, v1, off        ; 4-byte Folded Spill
	s_and_saveexec_b64 s[16:17], vcc
	s_cbranch_execz .LBB272_11
; %bb.10:
	scratch_load_dword v1, off, off         ; 4-byte Folded Reload
	s_load_dwordx2 s[20:21], s[0:1], 0x0
	s_waitcnt lgkmcnt(0)
	s_ashr_i32 s11, s8, 31
	s_mul_hi_u32 s22, s5, s8
	s_mul_i32 s11, s5, s11
	s_add_i32 s23, s22, s11
	s_mul_i32 s22, s5, s8
	s_lshl_b64 s[22:23], s[22:23], 1
	s_add_u32 s5, s20, s22
	s_addc_u32 s8, s21, s23
	s_lshl_b32 s20, s4, 7
	s_ashr_i32 s21, s20, 31
	s_lshl_b64 s[20:21], s[20:21], 1
	s_add_u32 s20, s5, s20
	s_addc_u32 s21, s8, s21
	v_and_b32_e32 v10, 3, v0
	v_lshlrev_b32_e32 v11, 9, v85
	v_lshlrev_b32_e32 v10, 9, v10
	s_movk_i32 s5, 0x1800
	v_and_or_b32 v10, v11, s5, v10
	s_waitcnt vmcnt(0)
	global_load_dwordx4 v[6:9], v1, s[20:21]
	s_waitcnt vmcnt(0)
	ds_write_b128 v10, v[6:9]
.LBB272_11:
	s_or_b64 exec, exec, s[16:17]
	s_waitcnt lgkmcnt(0)
	s_mul_i32 s10, s4, s10
	s_mov_b32 s11, 0
	s_lshl_b64 s[10:11], s[10:11], 1
	s_add_u32 s14, s14, s10
	v_lshlrev_b32_e32 v1, 4, v0
	s_addc_u32 s15, s15, s11
	v_and_b32_e32 v82, 0xf0, v1
	v_mov_b32_e32 v83, 0
	v_lshl_add_u64 v[6:7], s[14:15], 0, v[82:83]
	s_waitcnt vmcnt(4)
	v_mad_i64_i32 v[8:9], s[14:15], v5, s9, 0
	s_waitcnt vmcnt(3)
	v_mad_i64_i32 v[4:5], s[14:15], v4, s9, 0
	v_lshl_add_u64 v[8:9], v[8:9], 1, v[6:7]
	v_and_b32_e32 v82, 0x300, v1
	v_lshl_add_u64 v[4:5], v[4:5], 1, v[6:7]
	v_lshl_add_u64 v[8:9], v[8:9], 0, v[82:83]
	;; [unrolled: 1-line block ×3, first 2 shown]
	s_barrier
	global_load_dwordx4 v[78:81], v[8:9], off
	global_load_dwordx4 v[74:77], v[8:9], off offset:1024
	global_load_dwordx4 v[70:73], v[8:9], off offset:2048
	;; [unrolled: 1-line block ×3, first 2 shown]
	global_load_dwordx4 v[66:69], v[4:5], off
	global_load_dwordx4 v[62:65], v[4:5], off offset:1024
	global_load_dwordx4 v[58:61], v[4:5], off offset:2048
	;; [unrolled: 1-line block ×3, first 2 shown]
	s_waitcnt vmcnt(10)
	v_mad_i64_i32 v[4:5], s[14:15], v3, s9, 0
	s_waitcnt vmcnt(9)
	v_mad_i64_i32 v[2:3], s[14:15], v2, s9, 0
	v_lshl_add_u64 v[4:5], v[4:5], 1, v[6:7]
	v_lshl_add_u64 v[2:3], v[2:3], 1, v[6:7]
	;; [unrolled: 1-line block ×4, first 2 shown]
	global_load_dwordx4 v[54:57], v[4:5], off
	global_load_dwordx4 v[30:33], v[4:5], off offset:1024
	global_load_dwordx4 v[26:29], v[4:5], off offset:2048
	;; [unrolled: 1-line block ×3, first 2 shown]
	global_load_dwordx4 v[10:13], v[6:7], off
	s_nop 0
	global_load_dwordx4 v[2:5], v[6:7], off offset:1024
	global_load_dwordx4 v[42:45], v[6:7], off offset:2048
	;; [unrolled: 1-line block ×3, first 2 shown]
	v_lshlrev_b32_e32 v38, 9, v84
	ds_read_b128 v[50:53], v38
	ds_read_b128 v[6:9], v38 offset:2048
	ds_read_b128 v[46:49], v38 offset:4096
	;; [unrolled: 1-line block ×3, first 2 shown]
	v_and_b32_e32 v88, 63, v0
	v_cmp_eq_u32_e32 vcc, 0, v85
	v_mov_b32_e32 v89, 0
	s_and_saveexec_b64 s[14:15], vcc
	s_cbranch_execz .LBB272_13
; %bb.12:
	s_load_dwordx2 s[16:17], s[0:1], 0x40
	s_ashr_i32 s5, s4, 31
	s_lshl_b64 s[20:21], s[4:5], 2
	s_waitcnt lgkmcnt(0)
	s_add_u32 s16, s16, s20
	s_addc_u32 s17, s17, s21
	s_load_dword s5, s[16:17], 0x0
	s_waitcnt lgkmcnt(0)
	v_mov_b32_e32 v89, s5
.LBB272_13:
	s_or_b64 exec, exec, s[14:15]
	s_waitcnt vmcnt(15) lgkmcnt(3)
	v_mfma_f32_16x16x16_f16 v[90:93], v[78:79], v[50:51], 0
	s_add_u32 s10, s12, s10
	s_addc_u32 s11, s13, s11
	s_mov_b32 s5, 0xff7fffff
	v_mfma_f32_16x16x16_f16 v[78:81], v[80:81], v[52:53], v[90:93]
	s_waitcnt vmcnt(14) lgkmcnt(2)
	v_mfma_f32_16x16x16_f16 v[78:81], v[74:75], v[6:7], v[78:81]
	s_nop 0
	v_lshl_or_b32 v90, v87, 4, v85
	v_lshlrev_b32_e32 v82, 5, v90
	v_mfma_f32_16x16x16_f16 v[74:77], v[76:77], v[8:9], v[78:81]
	s_waitcnt vmcnt(13) lgkmcnt(1)
	v_mfma_f32_16x16x16_f16 v[74:77], v[70:71], v[46:47], v[74:77]
	v_mfma_f32_16x16x16_f16 v[70:73], v[72:73], v[48:49], v[74:77]
	s_waitcnt vmcnt(11)
	v_mfma_f32_16x16x16_f16 v[74:77], v[66:67], v[50:51], 0
	v_mfma_f32_16x16x16_f16 v[66:69], v[68:69], v[52:53], v[74:77]
	s_nop 5
	v_and_or_b32 v74, v0, 48, s18
	s_waitcnt lgkmcnt(0)
	v_mfma_f32_16x16x16_f16 v[70:73], v[14:15], v[38:39], v[70:73]
	v_ashrrev_i32_e32 v14, 4, v74
	v_mov_b32_e32 v75, s19
	v_cmp_gt_i32_e32 vcc, s29, v74
	s_waitcnt vmcnt(10)
	v_mfma_f32_16x16x16_f16 v[66:69], v[62:63], v[6:7], v[66:69]
	v_cndmask_b32_e32 v14, v75, v14, vcc
	v_ashrrev_i32_e32 v15, 31, v14
	v_lshl_add_u64 v[14:15], v[14:15], 2, s[6:7]
	global_load_dword v76, v[14:15], off
	v_or_b32_e32 v14, 64, v74
	v_ashrrev_i32_e32 v15, 4, v14
	v_cmp_gt_i32_e32 vcc, s29, v14
	v_mfma_f32_16x16x16_f16 v[62:65], v[64:65], v[8:9], v[66:69]
	s_nop 0
	v_cndmask_b32_e32 v14, v75, v15, vcc
	v_ashrrev_i32_e32 v15, 31, v14
	v_lshl_add_u64 v[14:15], v[14:15], 2, s[6:7]
	global_load_dword v78, v[14:15], off
	s_waitcnt vmcnt(11)
	v_mfma_f32_16x16x16_f16 v[62:65], v[58:59], v[46:47], v[62:65]
	v_or_b32_e32 v14, 0x80, v74
	v_ashrrev_i32_e32 v15, 4, v14
	v_cmp_gt_i32_e32 vcc, s29, v14
	v_mfma_f32_16x16x16_f16 v[58:61], v[60:61], v[48:49], v[62:65]
	s_nop 0
	v_cndmask_b32_e32 v14, v75, v15, vcc
	v_ashrrev_i32_e32 v15, 31, v14
	s_waitcnt vmcnt(9)
	v_mfma_f32_16x16x16_f16 v[62:65], v[54:55], v[50:51], 0
	v_lshl_add_u64 v[14:15], v[14:15], 2, s[6:7]
	v_mfma_f32_16x16x16_f16 v[54:57], v[56:57], v[52:53], v[62:65]
	s_nop 4
	global_load_dword v62, v[14:15], off
	v_or_b32_e32 v14, 0xc0, v74
	v_ashrrev_i32_e32 v15, 4, v14
	v_cmp_gt_i32_e32 vcc, s29, v14
	s_waitcnt vmcnt(9)
	v_mfma_f32_16x16x16_f16 v[54:57], v[30:31], v[6:7], v[54:57]
	v_cndmask_b32_e32 v14, v75, v15, vcc
	v_ashrrev_i32_e32 v15, 31, v14
	v_lshl_add_u64 v[14:15], v[14:15], 2, s[6:7]
	global_load_dword v74, v[14:15], off
	v_mfma_f32_16x16x16_f16 v[30:33], v[32:33], v[8:9], v[54:57]
	s_load_dword s6, s[0:1], 0x1c
	s_waitcnt vmcnt(3)
	v_mad_i64_i32 v[14:15], s[12:13], v76, s9, 0
	v_mfma_f32_16x16x16_f16 v[30:33], v[26:27], v[46:47], v[30:33]
	v_lshlrev_b64 v[76:77], 1, v[14:15]
	v_mfma_f32_16x16x16_f16 v[64:67], v[16:17], v[40:41], v[70:73]
	v_mfma_f32_16x16x16_f16 v[14:17], v[28:29], v[48:49], v[30:33]
	s_nop 1
	v_lshl_add_u64 v[72:73], s[10:11], 0, v[82:83]
	v_or_b32_e32 v82, 0x800, v82
	v_mfma_f32_16x16x16_f16 v[54:57], v[18:19], v[38:39], v[58:61]
	v_lshl_add_u64 v[18:19], v[72:73], 0, v[76:77]
	global_load_dwordx4 v[30:33], v[18:19], off
	global_load_dwordx4 v[26:29], v[18:19], off offset:16
	s_waitcnt vmcnt(4)
	v_mad_i64_i32 v[18:19], s[12:13], v78, s9, 0
	v_mfma_f32_16x16x16_f16 v[14:17], v[22:23], v[38:39], v[14:17]
	s_waitcnt lgkmcnt(0)
	v_pk_mul_f32 v[78:79], s[6:7], v[66:67] op_sel_hi:[0,1]
	v_mfma_f32_16x16x16_f16 v[68:71], v[20:21], v[40:41], v[54:57]
	s_nop 2
	v_lshlrev_b64 v[54:55], 1, v[18:19]
	v_mfma_f32_16x16x16_f16 v[92:95], v[24:25], v[40:41], v[14:17]
	s_nop 2
	v_lshl_add_u64 v[14:15], v[72:73], 0, v[54:55]
	global_load_dwordx4 v[22:25], v[14:15], off
	global_load_dwordx4 v[18:21], v[14:15], off offset:16
	v_mfma_f32_16x16x16_f16 v[14:17], v[10:11], v[50:51], 0
	s_waitcnt vmcnt(5)
	v_mad_i64_i32 v[10:11], s[12:13], v62, s9, 0
	v_lshlrev_b64 v[50:51], 1, v[10:11]
	v_mfma_f32_16x16x16_f16 v[56:59], v[12:13], v[52:53], v[14:17]
	v_lshl_add_u64 v[10:11], v[72:73], 0, v[50:51]
	s_nop 1
	global_load_dwordx4 v[14:17], v[10:11], off
	s_nop 0
	global_load_dwordx4 v[10:13], v[10:11], off offset:16
	v_mfma_f32_16x16x16_f16 v[60:63], v[2:3], v[6:7], v[56:59]
	s_waitcnt vmcnt(6)
	v_mad_i64_i32 v[2:3], s[8:9], v74, s9, 0
	v_mfma_f32_16x16x16_f16 v[60:63], v[4:5], v[8:9], v[60:63]
	v_lshlrev_b64 v[58:59], 1, v[2:3]
	v_lshl_add_u64 v[2:3], v[72:73], 0, v[58:59]
	global_load_dwordx4 v[6:9], v[2:3], off
	s_nop 0
	global_load_dwordx4 v[2:5], v[2:3], off offset:16
	v_mfma_f32_16x16x16_f16 v[72:75], v[42:43], v[46:47], v[60:63]
	v_mfma_f32_16x16x16_f16 v[44:47], v[44:45], v[48:49], v[72:75]
	s_nop 1
	v_lshl_add_u64 v[62:63], s[10:11], 0, v[82:83]
	v_lshl_add_u64 v[42:43], v[62:63], 0, v[76:77]
	v_pk_mul_f32 v[76:77], s[6:7], v[68:69] op_sel_hi:[0,1]
	v_mfma_f32_16x16x16_f16 v[44:47], v[34:35], v[38:39], v[44:47]
	v_pk_mul_f32 v[60:61], s[6:7], v[64:65] op_sel_hi:[0,1]
	v_pk_mul_f32 v[74:75], s[6:7], v[70:71] op_sel_hi:[0,1]
	;; [unrolled: 1-line block ×3, first 2 shown]
	v_mfma_f32_16x16x16_f16 v[34:37], v[36:37], v[40:41], v[44:47]
	v_pk_mul_f32 v[72:73], s[6:7], v[92:93] op_sel_hi:[0,1]
	v_lshl_add_u64 v[50:51], v[62:63], 0, v[50:51]
	v_lshl_add_u64 v[58:59], v[62:63], 0, v[58:59]
	s_nop 3
	v_pk_mul_f32 v[68:69], s[6:7], v[34:35] op_sel_hi:[0,1]
	v_and_b32_e32 v34, 0xc0, v0
	v_add_u32_e32 v34, s18, v34
	v_lshl_or_b32 v34, v84, 2, v34
	v_or_b32_e32 v35, 1, v34
	v_pk_mul_f32 v[66:67], s[6:7], v[36:37] op_sel_hi:[0,1]
	v_subrev_u32_e32 v36, s29, v35
	v_add_u32_e32 v38, 1, v36
	v_add_u32_e32 v39, 2, v36
	v_cvt_f32_i32_e32 v37, v36
	v_cvt_f32_i32_e32 v38, v38
	;; [unrolled: 1-line block ×3, first 2 shown]
	v_add_u32_e32 v40, 3, v36
	v_fma_f32 v60, v89, v37, v60
	v_fmac_f32_e32 v61, v89, v38
	v_fma_f32 v78, v89, v39, v78
	v_add_u32_e32 v37, 16, v36
	v_add_u32_e32 v38, 17, v36
	v_add_u32_e32 v39, 18, v36
	v_cvt_f32_i32_e32 v40, v40
	v_cvt_f32_i32_e32 v37, v37
	;; [unrolled: 1-line block ×4, first 2 shown]
	v_fmac_f32_e32 v79, v89, v40
	v_add_u32_e32 v40, 19, v36
	v_fma_f32 v76, v89, v37, v76
	v_fmac_f32_e32 v77, v89, v38
	v_fma_f32 v74, v89, v39, v74
	v_add_u32_e32 v37, 32, v36
	v_add_u32_e32 v38, 33, v36
	;; [unrolled: 1-line block ×3, first 2 shown]
	v_cvt_f32_i32_e32 v40, v40
	v_cvt_f32_i32_e32 v37, v37
	;; [unrolled: 1-line block ×4, first 2 shown]
	v_fmac_f32_e32 v75, v89, v40
	v_add_u32_e32 v40, 35, v36
	v_fma_f32 v72, v89, v37, v72
	v_fmac_f32_e32 v73, v89, v38
	v_fma_f32 v70, v89, v39, v70
	v_add_u32_e32 v37, 48, v36
	v_add_u32_e32 v38, 49, v36
	;; [unrolled: 1-line block ×4, first 2 shown]
	v_cvt_f32_i32_e32 v36, v36
	v_cvt_f32_i32_e32 v37, v37
	;; [unrolled: 1-line block ×3, first 2 shown]
	v_cmp_gt_i32_e64 s[30:31], s29, v34
	v_fmac_f32_e32 v67, v89, v36
	v_mov_b32_e32 v36, 0xff7fffff
	v_cmp_gt_i32_e64 s[34:35], s29, v35
	v_fma_f32 v68, v89, v37, v68
	v_cndmask_b32_e64 v37, v36, v60, s[30:31]
	v_cndmask_b32_e64 v35, v36, v61, s[34:35]
	v_fmac_f32_e32 v69, v89, v38
	v_max3_f32 v35, v37, s5, v35
	v_or_b32_e32 v37, 2, v34
	v_or_b32_e32 v38, 3, v34
	v_cmp_gt_i32_e64 s[36:37], s29, v37
	v_cmp_gt_i32_e64 s[38:39], s29, v38
	v_cvt_f32_i32_e32 v40, v40
	v_cndmask_b32_e64 v37, v36, v78, s[36:37]
	v_cndmask_b32_e64 v38, v36, v79, s[38:39]
	v_max3_f32 v35, v35, v37, v38
	v_or_b32_e32 v37, 16, v34
	v_or_b32_e32 v38, 17, v34
	v_cmp_gt_i32_e64 s[24:25], s29, v37
	v_cmp_gt_i32_e64 s[26:27], s29, v38
	v_fmac_f32_e32 v71, v89, v40
	v_cndmask_b32_e64 v37, v36, v76, s[24:25]
	v_cndmask_b32_e64 v38, v36, v77, s[26:27]
	v_max3_f32 v35, v35, v37, v38
	v_or_b32_e32 v37, 18, v34
	v_or_b32_e32 v38, 19, v34
	v_cmp_gt_i32_e64 s[20:21], s29, v37
	v_cmp_gt_i32_e64 s[22:23], s29, v38
	v_cvt_f32_i32_e32 v39, v39
	v_cndmask_b32_e64 v37, v36, v74, s[20:21]
	v_cndmask_b32_e64 v38, v36, v75, s[22:23]
	v_max3_f32 v35, v35, v37, v38
	v_or_b32_e32 v37, 32, v34
	v_or_b32_e32 v38, 33, v34
	v_cmp_gt_i32_e64 s[16:17], s29, v37
	v_cmp_gt_i32_e64 s[18:19], s29, v38
	v_fma_f32 v66, v89, v39, v66
	v_cndmask_b32_e64 v37, v36, v72, s[16:17]
	v_cndmask_b32_e64 v38, v36, v73, s[18:19]
	v_max3_f32 v35, v35, v37, v38
	v_or_b32_e32 v37, 34, v34
	v_or_b32_e32 v38, 35, v34
	v_cmp_gt_i32_e64 s[12:13], s29, v37
	v_cmp_gt_i32_e64 s[14:15], s29, v38
	s_nop 0
	v_cndmask_b32_e64 v37, v36, v70, s[12:13]
	v_cndmask_b32_e64 v38, v36, v71, s[14:15]
	v_max3_f32 v35, v35, v37, v38
	v_or_b32_e32 v37, 48, v34
	v_or_b32_e32 v38, 49, v34
	v_cmp_gt_i32_e64 s[8:9], s29, v37
	v_cmp_gt_i32_e64 s[10:11], s29, v38
	s_nop 0
	v_cndmask_b32_e64 v37, v36, v68, s[8:9]
	v_cndmask_b32_e64 v38, v36, v69, s[10:11]
	v_max3_f32 v35, v35, v37, v38
	v_or_b32_e32 v37, 50, v34
	v_or_b32_e32 v34, 51, v34
	v_cmp_gt_i32_e32 vcc, s29, v37
	v_cmp_gt_i32_e64 s[6:7], s29, v34
	global_load_dwordx4 v[46:49], v[42:43], off
	global_load_dwordx4 v[38:41], v[42:43], off offset:16
	v_cndmask_b32_e32 v37, v36, v66, vcc
	v_cndmask_b32_e64 v34, v36, v67, s[6:7]
	v_max3_f32 v52, v35, v37, v34
	v_mbcnt_lo_u32_b32 v34, -1, 0
	v_mbcnt_hi_u32_b32 v53, -1, v34
	v_and_b32_e32 v34, 64, v53
	v_add_u32_e32 v56, 64, v34
	v_xor_b32_e32 v34, 32, v53
	v_cmp_lt_i32_e64 s[40:41], v34, v56
	s_nop 1
	v_cndmask_b32_e64 v34, v53, v34, s[40:41]
	v_lshlrev_b32_e32 v83, 2, v34
	ds_bpermute_b32 v57, v83, v52
	v_lshl_add_u64 v[34:35], v[62:63], 0, v[54:55]
	global_load_dwordx4 v[42:45], v[34:35], off
	s_nop 0
	global_load_dwordx4 v[34:37], v[34:35], off offset:16
	s_waitcnt lgkmcnt(0)
	v_max_f32_e32 v54, v57, v57
	v_max_f32_e32 v64, v52, v54
	v_xor_b32_e32 v52, 16, v53
	v_cmp_lt_i32_e64 s[40:41], v52, v56
	s_nop 1
	v_cndmask_b32_e64 v52, v53, v52, s[40:41]
	v_lshlrev_b32_e32 v89, 2, v52
	ds_bpermute_b32 v65, v89, v64
	global_load_dwordx4 v[54:57], v[50:51], off
	s_nop 0
	global_load_dwordx4 v[50:53], v[50:51], off offset:16
	s_waitcnt lgkmcnt(0)
	v_max_f32_e32 v62, v65, v65
	v_max_f32_e32 v82, v64, v62
	v_sub_f32_e32 v60, v60, v82
	v_mul_f32_e32 v60, 0x3fb8aa3b, v60
	v_exp_f32_e32 v80, v60
	v_sub_f32_e32 v60, v61, v82
	v_mul_f32_e32 v60, 0x3fb8aa3b, v60
	v_exp_f32_e32 v81, v60
	global_load_dwordx4 v[62:65], v[58:59], off
	s_nop 0
	global_load_dwordx4 v[58:61], v[58:59], off offset:16
	v_sub_f32_e32 v78, v78, v82
	v_mul_f32_e32 v78, 0x3fb8aa3b, v78
	v_sub_f32_e32 v79, v79, v82
	v_exp_f32_e32 v78, v78
	v_mul_f32_e32 v79, 0x3fb8aa3b, v79
	v_sub_f32_e32 v76, v76, v82
	v_exp_f32_e32 v79, v79
	v_mul_f32_e32 v76, 0x3fb8aa3b, v76
	v_sub_f32_e32 v77, v77, v82
	v_cndmask_b32_e64 v80, 0, v80, s[30:31]
	v_exp_f32_e32 v76, v76
	v_mul_f32_e32 v77, 0x3fb8aa3b, v77
	v_sub_f32_e32 v74, v74, v82
	v_add_f32_e32 v91, 0, v80
	v_cndmask_b32_e64 v81, 0, v81, s[34:35]
	v_exp_f32_e32 v77, v77
	v_mul_f32_e32 v74, 0x3fb8aa3b, v74
	v_sub_f32_e32 v75, v75, v82
	v_add_f32_e32 v91, v91, v81
	;; [unrolled: 5-line block ×10, first 2 shown]
	v_cndmask_b32_e64 v70, 0, v70, s[12:13]
	v_exp_f32_e32 v66, v66
	v_mul_f32_e32 v67, 0x3fb8aa3b, v67
	v_add_f32_e32 v91, v91, v70
	v_cndmask_b32_e64 v71, 0, v71, s[14:15]
	v_exp_f32_e32 v67, v67
	v_add_f32_e32 v91, v91, v71
	v_cndmask_b32_e64 v68, 0, v68, s[8:9]
	v_add_f32_e32 v91, v91, v68
	v_cndmask_b32_e64 v69, 0, v69, s[10:11]
	v_add_f32_e32 v91, v91, v69
	v_cndmask_b32_e32 v66, 0, v66, vcc
	v_add_f32_e32 v91, v91, v66
	v_cndmask_b32_e64 v67, 0, v67, s[6:7]
	v_add_f32_e32 v91, v91, v67
	ds_bpermute_b32 v83, v83, v91
	v_cmp_lt_u32_e64 s[6:7], 15, v88
	v_cmp_gt_u32_e32 vcc, 16, v88
	s_waitcnt lgkmcnt(0)
	s_barrier
	v_add_f32_e32 v83, v91, v83
	ds_bpermute_b32 v89, v89, v83
	s_waitcnt lgkmcnt(0)
	s_and_saveexec_b64 s[8:9], vcc
	s_cbranch_execz .LBB272_15
; %bb.14:
	v_add_f32_e32 v83, v83, v89
	v_lshlrev_b32_e32 v88, 2, v90
	ds_write2st64_b32 v88, v82, v83 offset1:1
.LBB272_15:
	s_or_b64 exec, exec, s[8:9]
	v_lshlrev_b32_e32 v83, 2, v85
	s_load_dwordx2 s[8:9], s[0:1], 0x94
	s_waitcnt lgkmcnt(0)
	s_barrier
	ds_read2_b32 v[88:89], v83 offset1:16
	ds_read2_b32 v[90:91], v83 offset0:32 offset1:48
	ds_read2_b32 v[92:93], v83 offset0:64 offset1:80
	s_waitcnt lgkmcnt(2)
	v_max3_f32 v82, v88, s5, v89
	s_waitcnt lgkmcnt(1)
	v_max3_f32 v82, v82, v90, v91
	v_sub_f32_e32 v88, v88, v82
	v_mul_f32_e32 v88, 0x3fb8aa3b, v88
	v_exp_f32_e32 v94, v88
	v_sub_f32_e32 v88, v89, v82
	v_mul_f32_e32 v88, 0x3fb8aa3b, v88
	v_exp_f32_e32 v95, v88
	;; [unrolled: 3-line block ×3, first 2 shown]
	ds_read2_b32 v[88:89], v83 offset0:96 offset1:112
	v_sub_f32_e32 v83, v91, v82
	v_mul_f32_e32 v83, 0x3fb8aa3b, v83
	v_exp_f32_e32 v91, v83
	s_waitcnt lgkmcnt(1)
	v_fma_f32 v83, v94, v92, 0
	v_fmac_f32_e32 v83, v95, v93
	s_waitcnt lgkmcnt(0)
	v_fmac_f32_e32 v83, v90, v88
	v_fmac_f32_e32 v83, v91, v89
	v_add_f32_e32 v89, 0x358637bd, v83
	v_div_scale_f32 v92, s[10:11], v89, v89, 1.0
	v_rcp_f32_e32 v93, v92
	v_mov_b32_e32 v88, 0
	s_barrier
	v_fma_f32 v1, -v92, v93, 1.0
	v_fmac_f32_e32 v93, v1, v93
	v_div_scale_f32 v1, vcc, 1.0, v89, 1.0
	v_mul_f32_e32 v86, v1, v93
	v_fma_f32 v84, -v92, v86, v1
	v_fmac_f32_e32 v86, v84, v93
	v_fma_f32 v1, -v92, v86, v1
	v_div_fmas_f32 v1, v1, v93, v86
	v_cmp_eq_u32_e32 vcc, 1, v87
	v_div_fixup_f32 v1, v1, v89, 1.0
	s_nop 0
	v_cndmask_b32_e32 v84, v94, v95, vcc
	v_cmp_eq_u32_e32 vcc, 2, v87
	s_nop 1
	v_cndmask_b32_e32 v84, v84, v90, vcc
	v_cmp_eq_u32_e32 vcc, 3, v87
	s_nop 1
	v_cndmask_b32_e32 v84, v84, v91, vcc
	v_mul_f32_e32 v90, v84, v1
	v_pk_mul_f32 v[78:79], v[90:91], v[78:79] op_sel_hi:[0,1]
	v_cvt_f16_f32_e32 v78, v78
	v_cvt_f16_f32_e32 v79, v79
	v_pk_mul_f32 v[80:81], v[90:91], v[80:81] op_sel_hi:[0,1]
	v_cvt_f16_f32_e32 v1, v80
	v_cvt_f16_f32_e32 v80, v81
	v_pk_mul_f32 v[74:75], v[90:91], v[74:75] op_sel_hi:[0,1]
	v_pk_mul_f32 v[76:77], v[90:91], v[76:77] op_sel_hi:[0,1]
	v_pack_b32_f16 v81, v78, v79
	v_cvt_f16_f32_e32 v76, v76
	v_cvt_f16_f32_e32 v77, v77
	;; [unrolled: 1-line block ×4, first 2 shown]
	v_bfe_u32 v84, v0, 4, 2
	v_pack_b32_f16 v80, v1, v80
	v_lshlrev_b32_e32 v1, 3, v84
	v_lshlrev_b32_e32 v78, 5, v85
	;; [unrolled: 1-line block ×3, first 2 shown]
	v_pk_mul_f32 v[70:71], v[90:91], v[70:71] op_sel_hi:[0,1]
	v_pk_mul_f32 v[72:73], v[90:91], v[72:73] op_sel_hi:[0,1]
	;; [unrolled: 1-line block ×4, first 2 shown]
	v_or3_b32 v74, v74, v78, v1
	v_pack_b32_f16 v76, v76, v77
	v_pack_b32_f16 v77, v79, v75
	v_cvt_f16_f32_e32 v1, v72
	v_cvt_f16_f32_e32 v72, v73
	;; [unrolled: 1-line block ×8, first 2 shown]
	v_pack_b32_f16 v66, v1, v72
	v_pack_b32_f16 v67, v70, v71
	;; [unrolled: 1-line block ×4, first 2 shown]
	v_cmp_eq_u32_e32 vcc, 0, v0
	ds_write2st64_b64 v74, v[80:81], v[76:77] offset1:1
	ds_write2st64_b64 v74, v[66:67], v[68:69] offset0:2 offset1:3
	s_and_saveexec_b64 s[10:11], vcc
	s_cbranch_execz .LBB272_17
; %bb.16:
	s_mul_i32 s3, s3, s9
	s_mul_hi_u32 s5, s2, s9
	s_add_i32 s5, s5, s3
	s_mul_i32 s3, s2, s9
	s_add_u32 s3, s3, s4
	s_addc_u32 s5, s5, 0
	s_load_dwordx4 s[12:15], s[0:1], 0x58
	s_mul_i32 s5, s5, s8
	s_mul_hi_u32 s16, s3, s8
	s_add_i32 s5, s16, s5
	s_mul_i32 s3, s3, s8
	s_add_u32 s16, s3, s28
	s_addc_u32 s17, s5, 0
	s_lshl_b64 s[16:17], s[16:17], 2
	s_waitcnt lgkmcnt(0)
	s_add_u32 s14, s14, s16
	s_addc_u32 s15, s15, s17
	s_add_u32 s12, s12, s16
	s_addc_u32 s13, s13, s17
	global_store_dword v88, v82, s[14:15]
	global_store_dword v88, v83, s[12:13]
.LBB272_17:
	s_or_b64 exec, exec, s[10:11]
	v_lshl_or_b32 v1, v84, 9, v78
	s_waitcnt lgkmcnt(0)
	s_barrier
	ds_read_b128 v[70:73], v1
	ds_read_b128 v[66:69], v1 offset:16
	s_waitcnt vmcnt(15) lgkmcnt(1)
	v_mfma_f32_16x16x16_f16 v[76:79], v[30:31], v[70:71], 0
	v_cmp_gt_u32_e32 vcc, 64, v0
	s_xor_b64 s[6:7], s[6:7], -1
	s_mov_b32 s3, 0
	v_mfma_f32_16x16x16_f16 v[30:33], v[32:33], v[72:73], v[76:79]
	s_and_b64 s[6:7], vcc, s[6:7]
	s_waitcnt vmcnt(14) lgkmcnt(0)
	v_mfma_f32_16x16x16_f16 v[30:33], v[26:27], v[66:67], v[30:33]
	v_mfma_f32_16x16x16_f16 v[26:29], v[28:29], v[68:69], v[30:33]
	s_nop 5
	ds_read_b128 v[30:33], v1 offset:2048
	ds_read_b128 v[76:79], v1 offset:2064
	s_waitcnt vmcnt(13) lgkmcnt(1)
	v_mfma_f32_16x16x16_f16 v[26:29], v[22:23], v[30:31], v[26:29]
	v_mfma_f32_16x16x16_f16 v[22:25], v[24:25], v[32:33], v[26:29]
	s_waitcnt vmcnt(12) lgkmcnt(0)
	v_mfma_f32_16x16x16_f16 v[22:25], v[18:19], v[76:77], v[22:25]
	v_mfma_f32_16x16x16_f16 v[18:21], v[20:21], v[78:79], v[22:25]
	s_nop 5
	ds_read_b128 v[22:25], v1 offset:4096
	ds_read_b128 v[26:29], v1 offset:4112
	s_waitcnt vmcnt(11) lgkmcnt(1)
	v_mfma_f32_16x16x16_f16 v[18:21], v[14:15], v[22:23], v[18:21]
	v_mfma_f32_16x16x16_f16 v[14:17], v[16:17], v[24:25], v[18:21]
	s_waitcnt vmcnt(10) lgkmcnt(0)
	v_mfma_f32_16x16x16_f16 v[14:17], v[10:11], v[26:27], v[14:17]
	v_mfma_f32_16x16x16_f16 v[10:13], v[12:13], v[28:29], v[14:17]
	s_nop 5
	ds_read_b128 v[14:17], v1 offset:6144
	ds_read_b128 v[18:21], v1 offset:6160
	s_waitcnt lgkmcnt(0)
	s_barrier
	s_waitcnt vmcnt(9)
	v_mfma_f32_16x16x16_f16 v[10:13], v[6:7], v[14:15], v[10:13]
	v_mfma_f32_16x16x16_f16 v[6:9], v[8:9], v[16:17], v[10:13]
	s_waitcnt vmcnt(8)
	v_mfma_f32_16x16x16_f16 v[6:9], v[2:3], v[18:19], v[6:9]
	v_mfma_f32_16x16x16_f16 v[2:5], v[4:5], v[20:21], v[6:9]
	;; [unrolled: 3-line block ×3, first 2 shown]
	s_nop 3
	v_cvt_f16_f32_e32 v1, v2
	v_cvt_f16_f32_e32 v10, v3
	;; [unrolled: 1-line block ×3, first 2 shown]
	s_waitcnt vmcnt(6)
	v_mfma_f32_16x16x16_f16 v[6:9], v[38:39], v[66:67], v[6:9]
	v_cvt_f16_f32_e32 v12, v5
	v_mfma_f32_16x16x16_f16 v[6:9], v[40:41], v[68:69], v[6:9]
	s_waitcnt vmcnt(5)
	v_mfma_f32_16x16x16_f16 v[6:9], v[42:43], v[30:31], v[6:9]
	v_mfma_f32_16x16x16_f16 v[6:9], v[44:45], v[32:33], v[6:9]
	s_waitcnt vmcnt(4)
	v_mfma_f32_16x16x16_f16 v[6:9], v[34:35], v[76:77], v[6:9]
	;; [unrolled: 3-line block ×6, first 2 shown]
	v_mfma_f32_16x16x16_f16 v[2:5], v[60:61], v[20:21], v[6:9]
	s_nop 6
	v_cvt_f16_f32_e32 v6, v2
	v_cvt_f16_f32_e32 v7, v3
	;; [unrolled: 1-line block ×4, first 2 shown]
	v_pack_b32_f16 v2, v1, v10
	v_pack_b32_f16 v3, v11, v12
	;; [unrolled: 1-line block ×4, first 2 shown]
	ds_write2st64_b64 v74, v[2:3], v[4:5] offset1:1
	s_waitcnt lgkmcnt(0)
	s_barrier
	s_and_saveexec_b64 s[10:11], s[6:7]
	s_cbranch_execz .LBB272_19
; %bb.18:
	v_lshlrev_b32_e32 v3, 6, v85
	v_lshlrev_b32_e32 v2, 4, v0
	v_lshl_or_b32 v0, v0, 10, v3
	v_lshlrev_b32_e32 v1, 5, v84
	v_and_b32_e32 v2, 16, v2
	v_and_b32_e32 v0, 0x1a00, v0
	v_or3_b32 v0, v0, v1, v2
	ds_read_b128 v[2:5], v0
	scratch_load_dword v0, off, off         ; 4-byte Folded Reload
	s_load_dwordx2 s[0:1], s[0:1], 0x68
	s_mul_i32 s2, s9, s2
	s_lshl_b32 s5, s8, 7
	s_mul_hi_u32 s7, s2, s5
	s_mul_i32 s6, s2, s5
	s_lshl_b64 s[6:7], s[6:7], 1
	s_waitcnt lgkmcnt(0)
	s_add_u32 s6, s0, s6
	s_addc_u32 s7, s1, s7
	s_lshl_b32 s2, s28, 7
	s_lshl_b64 s[0:1], s[2:3], 1
	s_add_u32 s2, s6, s0
	s_addc_u32 s3, s7, s1
	s_mul_hi_u32 s1, s5, s4
	s_mul_i32 s0, s5, s4
	s_lshl_b64 s[0:1], s[0:1], 1
	s_add_u32 s0, s2, s0
	s_addc_u32 s1, s3, s1
	s_waitcnt vmcnt(0)
	global_store_dwordx4 v0, v[2:5], s[0:1]
.LBB272_19:
	s_endpgm
	.section	.rodata,"a",@progbits
	.p2align	6, 0x0
	.amdhsa_kernel _Z39paged_attention_ll4mi_QKV_mfma16_kernelIDF16_DF16_LN4vllm18Fp8KVCacheDataTypeE0EDF16_Li16ELi128ELi256ELb1ELi1EEvPKT_PKT0_S7_ifPKiS9_S9_iPKfiiiPfSC_PS2_PT2_iSB_SB_
		.amdhsa_group_segment_fixed_size 8192
		.amdhsa_private_segment_fixed_size 8
		.amdhsa_kernarg_size 400
		.amdhsa_user_sgpr_count 2
		.amdhsa_user_sgpr_dispatch_ptr 0
		.amdhsa_user_sgpr_queue_ptr 0
		.amdhsa_user_sgpr_kernarg_segment_ptr 1
		.amdhsa_user_sgpr_dispatch_id 0
		.amdhsa_user_sgpr_kernarg_preload_length 0
		.amdhsa_user_sgpr_kernarg_preload_offset 0
		.amdhsa_user_sgpr_private_segment_size 0
		.amdhsa_uses_dynamic_stack 0
		.amdhsa_enable_private_segment 1
		.amdhsa_system_sgpr_workgroup_id_x 1
		.amdhsa_system_sgpr_workgroup_id_y 1
		.amdhsa_system_sgpr_workgroup_id_z 1
		.amdhsa_system_sgpr_workgroup_info 0
		.amdhsa_system_vgpr_workitem_id 0
		.amdhsa_next_free_vgpr 96
		.amdhsa_next_free_sgpr 42
		.amdhsa_accum_offset 96
		.amdhsa_reserve_vcc 1
		.amdhsa_float_round_mode_32 0
		.amdhsa_float_round_mode_16_64 0
		.amdhsa_float_denorm_mode_32 3
		.amdhsa_float_denorm_mode_16_64 3
		.amdhsa_dx10_clamp 1
		.amdhsa_ieee_mode 1
		.amdhsa_fp16_overflow 0
		.amdhsa_tg_split 0
		.amdhsa_exception_fp_ieee_invalid_op 0
		.amdhsa_exception_fp_denorm_src 0
		.amdhsa_exception_fp_ieee_div_zero 0
		.amdhsa_exception_fp_ieee_overflow 0
		.amdhsa_exception_fp_ieee_underflow 0
		.amdhsa_exception_fp_ieee_inexact 0
		.amdhsa_exception_int_div_zero 0
	.end_amdhsa_kernel
	.section	.text._Z39paged_attention_ll4mi_QKV_mfma16_kernelIDF16_DF16_LN4vllm18Fp8KVCacheDataTypeE0EDF16_Li16ELi128ELi256ELb1ELi1EEvPKT_PKT0_S7_ifPKiS9_S9_iPKfiiiPfSC_PS2_PT2_iSB_SB_,"axG",@progbits,_Z39paged_attention_ll4mi_QKV_mfma16_kernelIDF16_DF16_LN4vllm18Fp8KVCacheDataTypeE0EDF16_Li16ELi128ELi256ELb1ELi1EEvPKT_PKT0_S7_ifPKiS9_S9_iPKfiiiPfSC_PS2_PT2_iSB_SB_,comdat
.Lfunc_end272:
	.size	_Z39paged_attention_ll4mi_QKV_mfma16_kernelIDF16_DF16_LN4vllm18Fp8KVCacheDataTypeE0EDF16_Li16ELi128ELi256ELb1ELi1EEvPKT_PKT0_S7_ifPKiS9_S9_iPKfiiiPfSC_PS2_PT2_iSB_SB_, .Lfunc_end272-_Z39paged_attention_ll4mi_QKV_mfma16_kernelIDF16_DF16_LN4vllm18Fp8KVCacheDataTypeE0EDF16_Li16ELi128ELi256ELb1ELi1EEvPKT_PKT0_S7_ifPKiS9_S9_iPKfiiiPfSC_PS2_PT2_iSB_SB_
                                        ; -- End function
	.section	.AMDGPU.csdata,"",@progbits
; Kernel info:
; codeLenInByte = 4588
; NumSgprs: 48
; NumVgprs: 96
; NumAgprs: 0
; TotalNumVgprs: 96
; ScratchSize: 8
; MemoryBound: 0
; FloatMode: 240
; IeeeMode: 1
; LDSByteSize: 8192 bytes/workgroup (compile time only)
; SGPRBlocks: 5
; VGPRBlocks: 11
; NumSGPRsForWavesPerEU: 48
; NumVGPRsForWavesPerEU: 96
; AccumOffset: 96
; Occupancy: 5
; WaveLimiterHint : 1
; COMPUTE_PGM_RSRC2:SCRATCH_EN: 1
; COMPUTE_PGM_RSRC2:USER_SGPR: 2
; COMPUTE_PGM_RSRC2:TRAP_HANDLER: 0
; COMPUTE_PGM_RSRC2:TGID_X_EN: 1
; COMPUTE_PGM_RSRC2:TGID_Y_EN: 1
; COMPUTE_PGM_RSRC2:TGID_Z_EN: 1
; COMPUTE_PGM_RSRC2:TIDIG_COMP_CNT: 0
; COMPUTE_PGM_RSRC3_GFX90A:ACCUM_OFFSET: 23
; COMPUTE_PGM_RSRC3_GFX90A:TG_SPLIT: 0
	.section	.text._Z39paged_attention_ll4mi_QKV_mfma16_kernelIDF16_DF16_LN4vllm18Fp8KVCacheDataTypeE0EDF16_Li16ELi128ELi256ELb1ELi2EEvPKT_PKT0_S7_ifPKiS9_S9_iPKfiiiPfSC_PS2_PT2_iSB_SB_,"axG",@progbits,_Z39paged_attention_ll4mi_QKV_mfma16_kernelIDF16_DF16_LN4vllm18Fp8KVCacheDataTypeE0EDF16_Li16ELi128ELi256ELb1ELi2EEvPKT_PKT0_S7_ifPKiS9_S9_iPKfiiiPfSC_PS2_PT2_iSB_SB_,comdat
	.protected	_Z39paged_attention_ll4mi_QKV_mfma16_kernelIDF16_DF16_LN4vllm18Fp8KVCacheDataTypeE0EDF16_Li16ELi128ELi256ELb1ELi2EEvPKT_PKT0_S7_ifPKiS9_S9_iPKfiiiPfSC_PS2_PT2_iSB_SB_ ; -- Begin function _Z39paged_attention_ll4mi_QKV_mfma16_kernelIDF16_DF16_LN4vllm18Fp8KVCacheDataTypeE0EDF16_Li16ELi128ELi256ELb1ELi2EEvPKT_PKT0_S7_ifPKiS9_S9_iPKfiiiPfSC_PS2_PT2_iSB_SB_
	.globl	_Z39paged_attention_ll4mi_QKV_mfma16_kernelIDF16_DF16_LN4vllm18Fp8KVCacheDataTypeE0EDF16_Li16ELi128ELi256ELb1ELi2EEvPKT_PKT0_S7_ifPKiS9_S9_iPKfiiiPfSC_PS2_PT2_iSB_SB_
	.p2align	8
	.type	_Z39paged_attention_ll4mi_QKV_mfma16_kernelIDF16_DF16_LN4vllm18Fp8KVCacheDataTypeE0EDF16_Li16ELi128ELi256ELb1ELi2EEvPKT_PKT0_S7_ifPKiS9_S9_iPKfiiiPfSC_PS2_PT2_iSB_SB_,@function
_Z39paged_attention_ll4mi_QKV_mfma16_kernelIDF16_DF16_LN4vllm18Fp8KVCacheDataTypeE0EDF16_Li16ELi128ELi256ELb1ELi2EEvPKT_PKT0_S7_ifPKiS9_S9_iPKfiiiPfSC_PS2_PT2_iSB_SB_: ; @_Z39paged_attention_ll4mi_QKV_mfma16_kernelIDF16_DF16_LN4vllm18Fp8KVCacheDataTypeE0EDF16_Li16ELi128ELi256ELb1ELi2EEvPKT_PKT0_S7_ifPKiS9_S9_iPKfiiiPfSC_PS2_PT2_iSB_SB_
; %bb.0:
	s_load_dwordx2 s[8:9], s[0:1], 0x30
	s_mov_b32 s26, s3
	s_mov_b64 s[6:7], 0
	s_waitcnt lgkmcnt(0)
	s_cmp_lg_u64 s[8:9], 0
	s_cselect_b64 s[10:11], -1, 0
	s_and_b64 vcc, exec, s[10:11]
	s_cbranch_vccz .LBB273_7
; %bb.1:
	s_add_i32 s12, s2, 1
	s_mov_b32 s13, 0
	s_lshl_b64 s[14:15], s[12:13], 2
	s_add_u32 s14, s8, s14
	s_mov_b32 s3, s13
	s_addc_u32 s15, s9, s15
	s_lshl_b64 s[12:13], s[2:3], 2
	s_add_u32 s12, s8, s12
	s_addc_u32 s13, s9, s13
	s_load_dword s5, s[14:15], 0x0
	s_load_dword s16, s[12:13], 0x0
	s_waitcnt lgkmcnt(0)
	s_sub_i32 s5, s5, s16
	s_cmp_eq_u32 s5, 1
	s_cselect_b64 s[12:13], -1, 0
	s_andn2_b64 vcc, exec, s[6:7]
	s_cbranch_vccnz .LBB273_3
.LBB273_2:
	s_mov_b32 s3, 0
	s_mov_b64 s[12:13], -1
.LBB273_3:
	s_andn2_b64 vcc, exec, s[12:13]
	s_cbranch_vccnz .LBB273_19
; %bb.4:
	s_load_dwordx2 s[6:7], s[0:1], 0x28
	s_lshl_b64 s[12:13], s[2:3], 2
	s_waitcnt lgkmcnt(0)
	s_add_u32 s6, s6, s12
	s_addc_u32 s7, s7, s13
	s_load_dword s33, s[6:7], 0x0
	s_lshl_b32 s18, s26, 8
	s_waitcnt lgkmcnt(0)
	s_cmp_ge_i32 s18, s33
	s_cbranch_scc1 .LBB273_19
; %bb.5:
	s_load_dwordx2 s[6:7], s[0:1], 0x20
	s_load_dword s5, s[0:1], 0x38
	s_add_i32 s14, s33, 15
	s_ashr_i32 s15, s14, 31
	v_and_b32_e32 v1, 0xcf, v0
	s_lshr_b32 s15, s15, 28
	v_add_u32_e32 v1, s18, v1
	s_add_i32 s14, s14, s15
	v_ashrrev_i32_e32 v2, 31, v1
	s_ashr_i32 s19, s14, 4
	v_lshrrev_b32_e32 v4, 28, v2
	s_add_i32 s19, s19, -1
	s_waitcnt lgkmcnt(0)
	s_mul_i32 s14, s2, s5
	s_mov_b32 s15, 0
	v_add_u32_e32 v2, v1, v4
	s_lshl_b64 s[14:15], s[14:15], 2
	v_ashrrev_i32_e32 v2, 4, v2
	v_mov_b32_e32 v5, s19
	v_cmp_gt_i32_e32 vcc, s33, v1
	s_add_u32 s6, s6, s14
	s_addc_u32 s7, s7, s15
	v_cndmask_b32_e32 v2, v5, v2, vcc
	v_ashrrev_i32_e32 v3, 31, v2
	v_lshl_add_u64 v[6:7], v[2:3], 2, s[6:7]
	v_or_b32_e32 v2, 16, v1
	v_add_u32_e32 v3, v2, v4
	v_ashrrev_i32_e32 v3, 4, v3
	v_cmp_gt_i32_e32 vcc, s33, v2
	s_load_dwordx2 s[14:15], s[0:1], 0x8
	s_nop 0
	v_cndmask_b32_e32 v2, v5, v3, vcc
	v_ashrrev_i32_e32 v3, 31, v2
	v_lshl_add_u64 v[8:9], v[2:3], 2, s[6:7]
	v_or_b32_e32 v2, 32, v1
	v_add_u32_e32 v3, v2, v4
	v_ashrrev_i32_e32 v3, 4, v3
	v_cmp_gt_i32_e32 vcc, s33, v2
	v_or_b32_e32 v1, 48, v1
	s_nop 0
	v_cndmask_b32_e32 v2, v5, v3, vcc
	v_ashrrev_i32_e32 v3, 31, v2
	v_lshl_add_u64 v[10:11], v[2:3], 2, s[6:7]
	v_add_u32_e32 v2, v1, v4
	v_ashrrev_i32_e32 v2, 4, v2
	v_cmp_gt_i32_e32 vcc, s33, v1
	s_nop 1
	v_cndmask_b32_e32 v2, v5, v2, vcc
	v_ashrrev_i32_e32 v3, 31, v2
	v_lshl_add_u64 v[12:13], v[2:3], 2, s[6:7]
	global_load_dword v5, v[6:7], off
	global_load_dword v4, v[8:9], off
	;; [unrolled: 1-line block ×4, first 2 shown]
	s_andn2_b64 vcc, exec, s[10:11]
	s_cbranch_vccnz .LBB273_8
; %bb.6:
	s_add_u32 s8, s8, s12
	s_addc_u32 s9, s9, s13
	s_load_dword s5, s[8:9], 0x0
	s_branch .LBB273_9
.LBB273_7:
	s_mov_b64 s[12:13], 0
	s_branch .LBB273_2
.LBB273_8:
	s_mov_b32 s5, s2
.LBB273_9:
	s_load_dwordx2 s[12:13], s[0:1], 0x10
	s_load_dwordx4 s[8:11], s[0:1], 0x48
	v_lshrrev_b32_e32 v88, 6, v0
	v_bfe_u32 v1, v0, 4, 2
	v_and_b32_e32 v86, 15, v0
	v_lshl_or_b32 v6, v88, 2, v1
	v_lshlrev_b32_e32 v7, 3, v86
	s_lshl_b32 s27, s4, 1
	v_cmp_gt_u32_e32 vcc, 2, v6
	v_lshlrev_b32_e32 v82, 1, v7
	s_and_saveexec_b64 s[16:17], vcc
	s_cbranch_execz .LBB273_11
; %bb.10:
	s_load_dwordx2 s[20:21], s[0:1], 0x0
	s_waitcnt lgkmcnt(0)
	s_ashr_i32 s11, s8, 31
	s_mul_hi_u32 s22, s5, s8
	s_mul_i32 s11, s5, s11
	s_add_i32 s23, s22, s11
	s_mul_i32 s22, s5, s8
	s_lshl_b64 s[22:23], s[22:23], 1
	s_add_u32 s20, s20, s22
	v_add_lshl_u32 v8, v1, s27, 7
	s_addc_u32 s21, s21, s23
	v_ashrrev_i32_e32 v9, 31, v8
	v_lshl_add_u64 v[8:9], v[8:9], 1, s[20:21]
	v_mov_b32_e32 v83, 0
	v_lshl_add_u64 v[8:9], v[8:9], 0, v[82:83]
	global_load_dwordx4 v[8:11], v[8:9], off
	v_and_b32_e32 v7, 3, v0
	v_lshlrev_b32_e32 v12, 9, v86
	v_lshlrev_b32_e32 v6, 5, v6
	;; [unrolled: 1-line block ×3, first 2 shown]
	v_and_b32_e32 v12, 0x1800, v12
	v_or3_b32 v6, v12, v7, v6
	s_waitcnt vmcnt(0)
	ds_write_b128 v6, v[8:11]
.LBB273_11:
	s_or_b64 exec, exec, s[16:17]
	s_waitcnt lgkmcnt(0)
	s_mul_i32 s4, s4, s10
	s_mov_b32 s5, 0
	s_lshl_b64 s[4:5], s[4:5], 1
	s_add_u32 s10, s14, s4
	v_lshlrev_b32_e32 v10, 4, v0
	s_addc_u32 s11, s15, s5
	v_and_b32_e32 v84, 0xf0, v10
	v_mov_b32_e32 v85, 0
	v_lshl_add_u64 v[6:7], s[10:11], 0, v[84:85]
	s_waitcnt vmcnt(3)
	v_mad_i64_i32 v[8:9], s[10:11], v5, s9, 0
	s_waitcnt vmcnt(2)
	v_mad_i64_i32 v[4:5], s[10:11], v4, s9, 0
	v_lshl_add_u64 v[8:9], v[8:9], 1, v[6:7]
	v_and_b32_e32 v84, 0x300, v10
	v_lshl_add_u64 v[4:5], v[4:5], 1, v[6:7]
	v_lshl_add_u64 v[8:9], v[8:9], 0, v[84:85]
	;; [unrolled: 1-line block ×3, first 2 shown]
	s_barrier
	global_load_dwordx4 v[78:81], v[8:9], off
	global_load_dwordx4 v[74:77], v[8:9], off offset:1024
	global_load_dwordx4 v[70:73], v[8:9], off offset:2048
	;; [unrolled: 1-line block ×3, first 2 shown]
	global_load_dwordx4 v[66:69], v[4:5], off
	global_load_dwordx4 v[62:65], v[4:5], off offset:1024
	global_load_dwordx4 v[58:61], v[4:5], off offset:2048
	;; [unrolled: 1-line block ×3, first 2 shown]
	s_waitcnt vmcnt(9)
	v_mad_i64_i32 v[4:5], s[10:11], v3, s9, 0
	s_waitcnt vmcnt(8)
	v_mad_i64_i32 v[2:3], s[10:11], v2, s9, 0
	v_lshl_add_u64 v[4:5], v[4:5], 1, v[6:7]
	v_lshl_add_u64 v[2:3], v[2:3], 1, v[6:7]
	;; [unrolled: 1-line block ×4, first 2 shown]
	global_load_dwordx4 v[54:57], v[4:5], off
	global_load_dwordx4 v[30:33], v[4:5], off offset:1024
	global_load_dwordx4 v[26:29], v[4:5], off offset:2048
	;; [unrolled: 1-line block ×3, first 2 shown]
	global_load_dwordx4 v[6:9], v[14:15], off
	s_nop 0
	global_load_dwordx4 v[2:5], v[14:15], off offset:1024
	global_load_dwordx4 v[42:45], v[14:15], off offset:2048
	;; [unrolled: 1-line block ×3, first 2 shown]
	v_and_b32_e32 v14, 1, v0
	v_lshlrev_b32_e32 v14, 5, v14
	v_lshl_or_b32 v38, v1, 9, v14
	ds_read_b128 v[14:17], v38
	ds_read_b128 v[50:53], v38 offset:2048
	ds_read_b128 v[46:49], v38 offset:4096
	;; [unrolled: 1-line block ×3, first 2 shown]
	v_cmp_gt_u32_e32 vcc, 2, v86
	v_mov_b32_e32 v89, 0
	s_and_saveexec_b64 s[10:11], vcc
	s_cbranch_execz .LBB273_13
; %bb.12:
	s_load_dwordx2 s[14:15], s[0:1], 0x40
	v_or_b32_e32 v90, s27, v86
	v_ashrrev_i32_e32 v91, 31, v90
	s_waitcnt lgkmcnt(0)
	v_lshl_add_u64 v[90:91], v[90:91], 2, s[14:15]
	global_load_dword v89, v[90:91], off
.LBB273_13:
	s_or_b64 exec, exec, s[10:11]
	s_waitcnt vmcnt(15) lgkmcnt(3)
	v_mfma_f32_16x16x16_f16 v[90:93], v[78:79], v[14:15], 0
	s_add_u32 s4, s12, s4
	s_addc_u32 s5, s13, s5
	s_mov_b32 s40, 0xff7fffff
	v_mfma_f32_16x16x16_f16 v[78:81], v[80:81], v[16:17], v[90:93]
	s_waitcnt vmcnt(14) lgkmcnt(2)
	v_mfma_f32_16x16x16_f16 v[78:81], v[74:75], v[50:51], v[78:81]
	s_nop 0
	v_lshl_or_b32 v90, v88, 4, v86
	v_lshlrev_b32_e32 v84, 5, v90
	v_mfma_f32_16x16x16_f16 v[74:77], v[76:77], v[52:53], v[78:81]
	s_waitcnt vmcnt(13) lgkmcnt(1)
	v_mfma_f32_16x16x16_f16 v[74:77], v[70:71], v[46:47], v[74:77]
	v_mfma_f32_16x16x16_f16 v[70:73], v[72:73], v[48:49], v[74:77]
	s_waitcnt vmcnt(11)
	v_mfma_f32_16x16x16_f16 v[74:77], v[66:67], v[14:15], 0
	v_mfma_f32_16x16x16_f16 v[66:69], v[68:69], v[16:17], v[74:77]
	s_nop 5
	v_and_or_b32 v74, v0, 48, s18
	s_waitcnt lgkmcnt(0)
	v_mfma_f32_16x16x16_f16 v[70:73], v[10:11], v[38:39], v[70:73]
	v_ashrrev_i32_e32 v10, 4, v74
	v_mov_b32_e32 v75, s19
	v_cmp_gt_i32_e32 vcc, s33, v74
	s_waitcnt vmcnt(10)
	v_mfma_f32_16x16x16_f16 v[66:69], v[62:63], v[50:51], v[66:69]
	v_cndmask_b32_e32 v10, v75, v10, vcc
	v_ashrrev_i32_e32 v11, 31, v10
	v_lshl_add_u64 v[10:11], v[10:11], 2, s[6:7]
	global_load_dword v76, v[10:11], off
	v_mfma_f32_16x16x16_f16 v[62:65], v[64:65], v[52:53], v[66:69]
	v_or_b32_e32 v10, 64, v74
	v_ashrrev_i32_e32 v11, 4, v10
	v_cmp_gt_i32_e32 vcc, s33, v10
	s_waitcnt vmcnt(10)
	v_mfma_f32_16x16x16_f16 v[62:65], v[58:59], v[46:47], v[62:65]
	v_cndmask_b32_e32 v10, v75, v11, vcc
	v_ashrrev_i32_e32 v11, 31, v10
	v_lshl_add_u64 v[10:11], v[10:11], 2, s[6:7]
	global_load_dword v77, v[10:11], off
	v_or_b32_e32 v10, 0x80, v74
	v_mfma_f32_16x16x16_f16 v[58:61], v[60:61], v[48:49], v[62:65]
	v_ashrrev_i32_e32 v11, 4, v10
	v_cmp_gt_i32_e32 vcc, s33, v10
	s_waitcnt vmcnt(9)
	v_mfma_f32_16x16x16_f16 v[62:65], v[54:55], v[14:15], 0
	v_cndmask_b32_e32 v10, v75, v11, vcc
	v_ashrrev_i32_e32 v11, 31, v10
	v_lshl_add_u64 v[10:11], v[10:11], 2, s[6:7]
	v_mfma_f32_16x16x16_f16 v[54:57], v[56:57], v[16:17], v[62:65]
	s_nop 2
	global_load_dword v62, v[10:11], off
	v_or_b32_e32 v10, 0xc0, v74
	v_ashrrev_i32_e32 v11, 4, v10
	v_cmp_gt_i32_e32 vcc, s33, v10
	s_waitcnt vmcnt(9)
	v_mfma_f32_16x16x16_f16 v[54:57], v[30:31], v[50:51], v[54:57]
	v_cndmask_b32_e32 v10, v75, v11, vcc
	v_ashrrev_i32_e32 v11, 31, v10
	v_lshl_add_u64 v[10:11], v[10:11], 2, s[6:7]
	global_load_dword v63, v[10:11], off
	v_mfma_f32_16x16x16_f16 v[30:33], v[32:33], v[52:53], v[54:57]
	s_load_dword s6, s[0:1], 0x1c
	s_waitcnt vmcnt(3)
	v_mad_i64_i32 v[10:11], s[10:11], v76, s9, 0
	v_mfma_f32_16x16x16_f16 v[30:33], v[26:27], v[46:47], v[30:33]
	v_mfma_f32_16x16x16_f16 v[64:67], v[12:13], v[40:41], v[70:73]
	s_nop 2
	v_lshlrev_b64 v[72:73], 1, v[10:11]
	v_mfma_f32_16x16x16_f16 v[10:13], v[28:29], v[48:49], v[30:33]
	s_waitcnt lgkmcnt(0)
	s_nop 0
	v_pk_mul_f32 v[78:79], s[6:7], v[66:67] op_sel_hi:[0,1]
	v_mfma_f32_16x16x16_f16 v[54:57], v[18:19], v[38:39], v[58:61]
	s_nop 2
	v_lshl_add_u64 v[60:61], s[4:5], 0, v[84:85]
	v_mfma_f32_16x16x16_f16 v[10:13], v[22:23], v[38:39], v[10:13]
	v_lshl_add_u64 v[18:19], v[60:61], 0, v[72:73]
	global_load_dwordx4 v[30:33], v[18:19], off
	global_load_dwordx4 v[26:29], v[18:19], off offset:16
	s_waitcnt vmcnt(4)
	v_mad_i64_i32 v[18:19], s[10:11], v77, s9, 0
	v_mfma_f32_16x16x16_f16 v[68:71], v[20:21], v[40:41], v[54:57]
	v_or_b32_e32 v84, 0x800, v84
	s_nop 1
	v_lshlrev_b64 v[54:55], 1, v[18:19]
	v_mfma_f32_16x16x16_f16 v[92:95], v[24:25], v[40:41], v[10:13]
	s_nop 1
	v_pk_mul_f32 v[76:77], s[6:7], v[68:69] op_sel_hi:[0,1]
	v_pk_mul_f32 v[74:75], s[6:7], v[70:71] op_sel_hi:[0,1]
	v_lshl_add_u64 v[10:11], v[60:61], 0, v[54:55]
	global_load_dwordx4 v[22:25], v[10:11], off
	global_load_dwordx4 v[18:21], v[10:11], off offset:16
	v_mfma_f32_16x16x16_f16 v[10:13], v[6:7], v[14:15], 0
	s_waitcnt vmcnt(5)
	v_mad_i64_i32 v[6:7], s[10:11], v62, s9, 0
	v_lshlrev_b64 v[56:57], 1, v[6:7]
	v_mfma_f32_16x16x16_f16 v[6:9], v[8:9], v[16:17], v[10:13]
	v_pk_mul_f32 v[70:71], s[6:7], v[94:95] op_sel_hi:[0,1]
	v_mfma_f32_16x16x16_f16 v[6:9], v[2:3], v[50:51], v[6:9]
	s_waitcnt vmcnt(4)
	v_mad_i64_i32 v[2:3], s[8:9], v63, s9, 0
	v_lshlrev_b64 v[58:59], 1, v[2:3]
	v_mfma_f32_16x16x16_f16 v[50:53], v[4:5], v[52:53], v[6:9]
	v_lshl_add_u64 v[10:11], v[60:61], 0, v[56:57]
	v_lshl_add_u64 v[2:3], v[60:61], 0, v[58:59]
	v_pk_mul_f32 v[60:61], s[6:7], v[64:65] op_sel_hi:[0,1]
	v_mfma_f32_16x16x16_f16 v[50:53], v[42:43], v[46:47], v[50:53]
	v_lshl_add_u64 v[62:63], s[4:5], 0, v[84:85]
	v_lshl_add_u64 v[42:43], v[62:63], 0, v[72:73]
	v_pk_mul_f32 v[72:73], s[6:7], v[92:93] op_sel_hi:[0,1]
	v_mfma_f32_16x16x16_f16 v[44:47], v[44:45], v[48:49], v[50:53]
	v_lshl_add_u64 v[58:59], v[62:63], 0, v[58:59]
	global_load_dwordx4 v[14:17], v[10:11], off
	s_nop 0
	global_load_dwordx4 v[10:13], v[10:11], off offset:16
	s_nop 0
	global_load_dwordx4 v[6:9], v[2:3], off
	s_nop 0
	global_load_dwordx4 v[2:5], v[2:3], off offset:16
	v_mfma_f32_16x16x16_f16 v[44:47], v[34:35], v[38:39], v[44:47]
	v_mfma_f32_16x16x16_f16 v[34:37], v[36:37], v[40:41], v[44:47]
	s_nop 6
	v_pk_mul_f32 v[68:69], s[6:7], v[34:35] op_sel_hi:[0,1]
	v_and_b32_e32 v34, 0xc0, v0
	v_add_u32_e32 v34, s18, v34
	v_lshl_or_b32 v34, v1, 2, v34
	v_or_b32_e32 v35, 1, v34
	v_pk_mul_f32 v[66:67], s[6:7], v[36:37] op_sel_hi:[0,1]
	v_subrev_u32_e32 v36, s33, v35
	v_add_u32_e32 v38, 1, v36
	v_add_u32_e32 v39, 2, v36
	v_cvt_f32_i32_e32 v37, v36
	v_cvt_f32_i32_e32 v38, v38
	;; [unrolled: 1-line block ×3, first 2 shown]
	v_add_u32_e32 v40, 3, v36
	v_fma_f32 v60, v89, v37, v60
	v_fmac_f32_e32 v61, v89, v38
	v_fma_f32 v78, v89, v39, v78
	v_add_u32_e32 v37, 16, v36
	v_add_u32_e32 v38, 17, v36
	;; [unrolled: 1-line block ×3, first 2 shown]
	v_cvt_f32_i32_e32 v40, v40
	v_cvt_f32_i32_e32 v37, v37
	;; [unrolled: 1-line block ×4, first 2 shown]
	v_fmac_f32_e32 v79, v89, v40
	v_add_u32_e32 v40, 19, v36
	v_fma_f32 v76, v89, v37, v76
	v_fmac_f32_e32 v77, v89, v38
	v_fma_f32 v74, v89, v39, v74
	v_add_u32_e32 v37, 32, v36
	v_add_u32_e32 v38, 33, v36
	;; [unrolled: 1-line block ×3, first 2 shown]
	v_cvt_f32_i32_e32 v40, v40
	v_cvt_f32_i32_e32 v37, v37
	;; [unrolled: 1-line block ×4, first 2 shown]
	v_fmac_f32_e32 v75, v89, v40
	v_add_u32_e32 v40, 35, v36
	v_fma_f32 v72, v89, v37, v72
	v_fmac_f32_e32 v73, v89, v38
	v_fma_f32 v70, v89, v39, v70
	v_add_u32_e32 v37, 48, v36
	v_add_u32_e32 v38, 49, v36
	;; [unrolled: 1-line block ×4, first 2 shown]
	v_cvt_f32_i32_e32 v36, v36
	v_cvt_f32_i32_e32 v37, v37
	;; [unrolled: 1-line block ×3, first 2 shown]
	v_cmp_gt_i32_e64 s[28:29], s33, v34
	v_fmac_f32_e32 v67, v89, v36
	v_mov_b32_e32 v36, 0xff7fffff
	v_cmp_gt_i32_e64 s[30:31], s33, v35
	v_fma_f32 v68, v89, v37, v68
	v_cndmask_b32_e64 v37, v36, v60, s[28:29]
	v_cndmask_b32_e64 v35, v36, v61, s[30:31]
	v_fmac_f32_e32 v69, v89, v38
	v_max3_f32 v35, v37, s40, v35
	v_or_b32_e32 v37, 2, v34
	v_or_b32_e32 v38, 3, v34
	v_cmp_gt_i32_e64 s[34:35], s33, v37
	v_cmp_gt_i32_e64 s[36:37], s33, v38
	v_cvt_f32_i32_e32 v40, v40
	v_cndmask_b32_e64 v37, v36, v78, s[34:35]
	v_cndmask_b32_e64 v38, v36, v79, s[36:37]
	v_max3_f32 v35, v35, v37, v38
	v_or_b32_e32 v37, 16, v34
	v_or_b32_e32 v38, 17, v34
	v_cmp_gt_i32_e64 s[22:23], s33, v37
	v_cmp_gt_i32_e64 s[24:25], s33, v38
	v_fmac_f32_e32 v71, v89, v40
	v_cndmask_b32_e64 v37, v36, v76, s[22:23]
	v_cndmask_b32_e64 v38, v36, v77, s[24:25]
	v_max3_f32 v35, v35, v37, v38
	v_or_b32_e32 v37, 18, v34
	v_or_b32_e32 v38, 19, v34
	v_cmp_gt_i32_e64 s[18:19], s33, v37
	v_cmp_gt_i32_e64 s[20:21], s33, v38
	v_cvt_f32_i32_e32 v39, v39
	v_cndmask_b32_e64 v37, v36, v74, s[18:19]
	v_cndmask_b32_e64 v38, v36, v75, s[20:21]
	v_max3_f32 v35, v35, v37, v38
	v_or_b32_e32 v37, 32, v34
	v_or_b32_e32 v38, 33, v34
	v_cmp_gt_i32_e64 s[14:15], s33, v37
	v_cmp_gt_i32_e64 s[16:17], s33, v38
	v_fma_f32 v66, v89, v39, v66
	v_cndmask_b32_e64 v37, v36, v72, s[14:15]
	v_cndmask_b32_e64 v38, v36, v73, s[16:17]
	v_max3_f32 v35, v35, v37, v38
	v_or_b32_e32 v37, 34, v34
	v_or_b32_e32 v38, 35, v34
	v_cmp_gt_i32_e64 s[10:11], s33, v37
	v_cmp_gt_i32_e64 s[12:13], s33, v38
	v_and_b32_e32 v1, 63, v0
	v_cndmask_b32_e64 v37, v36, v70, s[10:11]
	v_cndmask_b32_e64 v38, v36, v71, s[12:13]
	v_max3_f32 v35, v35, v37, v38
	v_or_b32_e32 v37, 48, v34
	v_or_b32_e32 v38, 49, v34
	v_cmp_gt_i32_e64 s[6:7], s33, v37
	v_cmp_gt_i32_e64 s[8:9], s33, v38
	s_nop 0
	v_cndmask_b32_e64 v37, v36, v68, s[6:7]
	v_cndmask_b32_e64 v38, v36, v69, s[8:9]
	v_max3_f32 v35, v35, v37, v38
	v_or_b32_e32 v37, 50, v34
	v_or_b32_e32 v34, 51, v34
	v_cmp_gt_i32_e32 vcc, s33, v37
	v_cmp_gt_i32_e64 s[4:5], s33, v34
	global_load_dwordx4 v[46:49], v[42:43], off
	global_load_dwordx4 v[38:41], v[42:43], off offset:16
	v_cndmask_b32_e32 v37, v36, v66, vcc
	v_cndmask_b32_e64 v34, v36, v67, s[4:5]
	v_max3_f32 v50, v35, v37, v34
	v_mbcnt_lo_u32_b32 v34, -1, 0
	v_mbcnt_hi_u32_b32 v51, -1, v34
	v_and_b32_e32 v34, 64, v51
	v_add_u32_e32 v52, 64, v34
	v_xor_b32_e32 v34, 32, v51
	v_cmp_lt_i32_e64 s[38:39], v34, v52
	s_nop 1
	v_cndmask_b32_e64 v34, v51, v34, s[38:39]
	v_lshlrev_b32_e32 v85, 2, v34
	ds_bpermute_b32 v53, v85, v50
	v_lshl_add_u64 v[34:35], v[62:63], 0, v[54:55]
	global_load_dwordx4 v[42:45], v[34:35], off
	s_nop 0
	global_load_dwordx4 v[34:37], v[34:35], off offset:16
	s_waitcnt lgkmcnt(0)
	v_max_f32_e32 v53, v53, v53
	v_max_f32_e32 v64, v50, v53
	v_xor_b32_e32 v50, 16, v51
	v_cmp_lt_i32_e64 s[38:39], v50, v52
	s_nop 1
	v_cndmask_b32_e64 v50, v51, v50, s[38:39]
	v_lshlrev_b32_e32 v89, 2, v50
	ds_bpermute_b32 v65, v89, v64
	v_lshl_add_u64 v[50:51], v[62:63], 0, v[56:57]
	global_load_dwordx4 v[54:57], v[50:51], off
	s_nop 0
	global_load_dwordx4 v[50:53], v[50:51], off offset:16
	s_waitcnt lgkmcnt(0)
	v_max_f32_e32 v62, v65, v65
	v_max_f32_e32 v84, v64, v62
	v_sub_f32_e32 v60, v60, v84
	v_mul_f32_e32 v60, 0x3fb8aa3b, v60
	v_exp_f32_e32 v80, v60
	v_sub_f32_e32 v60, v61, v84
	v_mul_f32_e32 v60, 0x3fb8aa3b, v60
	v_exp_f32_e32 v81, v60
	global_load_dwordx4 v[62:65], v[58:59], off
	s_nop 0
	global_load_dwordx4 v[58:61], v[58:59], off offset:16
	v_sub_f32_e32 v78, v78, v84
	v_mul_f32_e32 v78, 0x3fb8aa3b, v78
	v_sub_f32_e32 v79, v79, v84
	v_exp_f32_e32 v78, v78
	v_mul_f32_e32 v79, 0x3fb8aa3b, v79
	v_sub_f32_e32 v76, v76, v84
	v_exp_f32_e32 v79, v79
	v_mul_f32_e32 v76, 0x3fb8aa3b, v76
	v_sub_f32_e32 v77, v77, v84
	v_cndmask_b32_e64 v80, 0, v80, s[28:29]
	v_exp_f32_e32 v76, v76
	v_mul_f32_e32 v77, 0x3fb8aa3b, v77
	v_sub_f32_e32 v74, v74, v84
	v_add_f32_e32 v91, 0, v80
	v_cndmask_b32_e64 v81, 0, v81, s[30:31]
	v_exp_f32_e32 v77, v77
	v_mul_f32_e32 v74, 0x3fb8aa3b, v74
	v_sub_f32_e32 v75, v75, v84
	v_add_f32_e32 v91, v91, v81
	;; [unrolled: 5-line block ×10, first 2 shown]
	v_cndmask_b32_e64 v70, 0, v70, s[10:11]
	v_exp_f32_e32 v66, v66
	v_mul_f32_e32 v67, 0x3fb8aa3b, v67
	v_add_f32_e32 v91, v91, v70
	v_cndmask_b32_e64 v71, 0, v71, s[12:13]
	v_exp_f32_e32 v67, v67
	v_add_f32_e32 v91, v91, v71
	v_cndmask_b32_e64 v68, 0, v68, s[6:7]
	v_add_f32_e32 v91, v91, v68
	v_cndmask_b32_e64 v69, 0, v69, s[8:9]
	v_add_f32_e32 v91, v91, v69
	v_cndmask_b32_e32 v66, 0, v66, vcc
	v_add_f32_e32 v91, v91, v66
	v_cndmask_b32_e64 v67, 0, v67, s[4:5]
	v_add_f32_e32 v91, v91, v67
	ds_bpermute_b32 v85, v85, v91
	s_load_dword s7, s[0:1], 0x98
	v_cmp_gt_u32_e32 vcc, 16, v1
	s_waitcnt lgkmcnt(0)
	s_barrier
	v_add_f32_e32 v85, v91, v85
	ds_bpermute_b32 v89, v89, v85
	s_waitcnt lgkmcnt(0)
	s_and_saveexec_b64 s[4:5], vcc
	s_cbranch_execz .LBB273_15
; %bb.14:
	v_add_f32_e32 v85, v85, v89
	v_lshlrev_b32_e32 v89, 2, v90
	ds_write2st64_b32 v89, v84, v85 offset1:1
.LBB273_15:
	s_or_b64 exec, exec, s[4:5]
	v_lshlrev_b32_e32 v85, 2, v86
	s_load_dword s6, s[0:1], 0x94
	s_waitcnt lgkmcnt(0)
	s_barrier
	ds_read2_b32 v[90:91], v85 offset1:16
	ds_read2_b32 v[92:93], v85 offset0:32 offset1:48
	ds_read2_b32 v[94:95], v85 offset0:64 offset1:80
	s_lshl_b32 s7, s7, 1
	s_waitcnt lgkmcnt(2)
	v_max3_f32 v84, v90, s40, v91
	s_waitcnt lgkmcnt(1)
	v_max3_f32 v84, v84, v92, v93
	v_sub_f32_e32 v89, v90, v84
	v_sub_f32_e32 v90, v91, v84
	v_mul_f32_e32 v90, 0x3fb8aa3b, v90
	v_mul_f32_e32 v89, 0x3fb8aa3b, v89
	v_exp_f32_e32 v87, v90
	v_sub_f32_e32 v90, v92, v84
	v_exp_f32_e32 v89, v89
	v_mul_f32_e32 v90, 0x3fb8aa3b, v90
	v_exp_f32_e32 v92, v90
	ds_read2_b32 v[90:91], v85 offset0:96 offset1:112
	v_sub_f32_e32 v85, v93, v84
	v_mul_f32_e32 v85, 0x3fb8aa3b, v85
	v_exp_f32_e32 v93, v85
	s_waitcnt lgkmcnt(1)
	v_fma_f32 v85, v89, v94, 0
	v_fmac_f32_e32 v85, v87, v95
	s_waitcnt lgkmcnt(0)
	v_fmac_f32_e32 v85, v92, v90
	v_fmac_f32_e32 v85, v93, v91
	v_add_f32_e32 v90, 0x358637bd, v85
	v_div_scale_f32 v91, s[4:5], v90, v90, 1.0
	v_rcp_f32_e32 v94, v91
	s_barrier
	v_fma_f32 v95, -v91, v94, 1.0
	v_fmac_f32_e32 v94, v95, v94
	v_div_scale_f32 v95, vcc, 1.0, v90, 1.0
	v_mul_f32_e32 v83, v95, v94
	v_fma_f32 v1, -v91, v83, v95
	v_fmac_f32_e32 v83, v1, v94
	v_fma_f32 v1, -v91, v83, v95
	v_div_fmas_f32 v1, v1, v94, v83
	v_cmp_eq_u32_e32 vcc, 1, v88
	v_div_fixup_f32 v1, v1, v90, 1.0
	s_nop 0
	v_cndmask_b32_e32 v83, v89, v87, vcc
	v_cmp_eq_u32_e32 vcc, 2, v88
	s_nop 1
	v_cndmask_b32_e32 v83, v83, v92, vcc
	v_cmp_eq_u32_e32 vcc, 3, v88
	s_nop 1
	v_cndmask_b32_e32 v83, v83, v93, vcc
	v_mul_f32_e32 v90, v83, v1
	v_pk_mul_f32 v[78:79], v[90:91], v[78:79] op_sel_hi:[0,1]
	v_cvt_f16_f32_e32 v78, v78
	v_cvt_f16_f32_e32 v79, v79
	v_pk_mul_f32 v[80:81], v[90:91], v[80:81] op_sel_hi:[0,1]
	v_cvt_f16_f32_e32 v1, v80
	v_cvt_f16_f32_e32 v80, v81
	v_pk_mul_f32 v[74:75], v[90:91], v[74:75] op_sel_hi:[0,1]
	v_pk_mul_f32 v[76:77], v[90:91], v[76:77] op_sel_hi:[0,1]
	v_pack_b32_f16 v81, v78, v79
	v_cvt_f16_f32_e32 v76, v76
	v_cvt_f16_f32_e32 v77, v77
	;; [unrolled: 1-line block ×4, first 2 shown]
	v_bfe_u32 v83, v0, 4, 2
	v_pack_b32_f16 v80, v1, v80
	v_lshlrev_b32_e32 v1, 3, v83
	v_lshlrev_b32_e32 v78, 5, v86
	;; [unrolled: 1-line block ×3, first 2 shown]
	v_pk_mul_f32 v[70:71], v[90:91], v[70:71] op_sel_hi:[0,1]
	v_pk_mul_f32 v[72:73], v[90:91], v[72:73] op_sel_hi:[0,1]
	v_pk_mul_f32 v[66:67], v[90:91], v[66:67] op_sel_hi:[0,1]
	v_pk_mul_f32 v[68:69], v[90:91], v[68:69] op_sel_hi:[0,1]
	v_or3_b32 v74, v74, v78, v1
	v_pack_b32_f16 v76, v76, v77
	v_pack_b32_f16 v77, v79, v75
	v_cvt_f16_f32_e32 v1, v72
	v_cvt_f16_f32_e32 v72, v73
	;; [unrolled: 1-line block ×8, first 2 shown]
	v_pack_b32_f16 v66, v1, v72
	v_pack_b32_f16 v67, v70, v71
	;; [unrolled: 1-line block ×4, first 2 shown]
	v_cmp_gt_u32_e32 vcc, 2, v0
	ds_write2st64_b64 v74, v[80:81], v[76:77] offset1:1
	ds_write2st64_b64 v74, v[66:67], v[68:69] offset0:2 offset1:3
	s_and_saveexec_b64 s[4:5], vcc
	s_cbranch_execz .LBB273_17
; %bb.16:
	v_or_b32_e32 v66, s27, v0
	v_mov_b32_e32 v67, 0
	v_mov_b32_e32 v1, s7
	v_mad_u64_u32 v[68:69], s[12:13], s2, v1, v[66:67]
	v_mov_b32_e32 v66, s26
	s_load_dwordx4 s[8:11], s[0:1], 0x58
	s_mul_i32 s3, s3, s7
	v_mad_u64_u32 v[66:67], s[12:13], v68, s6, v[66:67]
	v_add_u32_e32 v1, s3, v69
	v_mov_b32_e32 v68, v67
	v_mad_u64_u32 v[68:69], s[12:13], v1, s6, v[68:69]
	v_mov_b32_e32 v67, v68
	v_lshlrev_b64 v[66:67], 2, v[66:67]
	s_waitcnt lgkmcnt(0)
	v_lshl_add_u64 v[68:69], s[10:11], 0, v[66:67]
	v_lshl_add_u64 v[66:67], s[8:9], 0, v[66:67]
	global_store_dword v[68:69], v84, off
	global_store_dword v[66:67], v85, off
.LBB273_17:
	s_or_b64 exec, exec, s[4:5]
	v_lshl_or_b32 v1, v83, 9, v78
	s_waitcnt lgkmcnt(0)
	s_barrier
	ds_read_b128 v[70:73], v1
	ds_read_b128 v[66:69], v1 offset:16
	s_waitcnt vmcnt(15) lgkmcnt(1)
	v_mfma_f32_16x16x16_f16 v[76:79], v[30:31], v[70:71], 0
	v_cmp_gt_u32_e32 vcc, 64, v0
	s_mov_b32 s3, 0
	v_mfma_f32_16x16x16_f16 v[30:33], v[32:33], v[72:73], v[76:79]
	s_waitcnt vmcnt(14) lgkmcnt(0)
	v_mfma_f32_16x16x16_f16 v[30:33], v[26:27], v[66:67], v[30:33]
	v_mfma_f32_16x16x16_f16 v[26:29], v[28:29], v[68:69], v[30:33]
	s_nop 5
	ds_read_b128 v[30:33], v1 offset:2048
	ds_read_b128 v[76:79], v1 offset:2064
	s_waitcnt vmcnt(13) lgkmcnt(1)
	v_mfma_f32_16x16x16_f16 v[26:29], v[22:23], v[30:31], v[26:29]
	v_mfma_f32_16x16x16_f16 v[22:25], v[24:25], v[32:33], v[26:29]
	s_waitcnt vmcnt(12) lgkmcnt(0)
	v_mfma_f32_16x16x16_f16 v[22:25], v[18:19], v[76:77], v[22:25]
	v_mfma_f32_16x16x16_f16 v[18:21], v[20:21], v[78:79], v[22:25]
	s_nop 5
	ds_read_b128 v[22:25], v1 offset:4096
	ds_read_b128 v[26:29], v1 offset:4112
	s_waitcnt vmcnt(11) lgkmcnt(1)
	v_mfma_f32_16x16x16_f16 v[18:21], v[14:15], v[22:23], v[18:21]
	v_mfma_f32_16x16x16_f16 v[14:17], v[16:17], v[24:25], v[18:21]
	s_waitcnt vmcnt(10) lgkmcnt(0)
	v_mfma_f32_16x16x16_f16 v[14:17], v[10:11], v[26:27], v[14:17]
	v_mfma_f32_16x16x16_f16 v[10:13], v[12:13], v[28:29], v[14:17]
	s_nop 5
	ds_read_b128 v[14:17], v1 offset:6144
	ds_read_b128 v[18:21], v1 offset:6160
	s_waitcnt lgkmcnt(0)
	s_barrier
	s_waitcnt vmcnt(9)
	v_mfma_f32_16x16x16_f16 v[10:13], v[6:7], v[14:15], v[10:13]
	v_mfma_f32_16x16x16_f16 v[6:9], v[8:9], v[16:17], v[10:13]
	s_waitcnt vmcnt(8)
	v_mfma_f32_16x16x16_f16 v[6:9], v[2:3], v[18:19], v[6:9]
	v_mfma_f32_16x16x16_f16 v[2:5], v[4:5], v[20:21], v[6:9]
	;; [unrolled: 3-line block ×3, first 2 shown]
	s_nop 3
	v_cvt_f16_f32_e32 v1, v2
	v_cvt_f16_f32_e32 v10, v3
	;; [unrolled: 1-line block ×3, first 2 shown]
	s_waitcnt vmcnt(6)
	v_mfma_f32_16x16x16_f16 v[6:9], v[38:39], v[66:67], v[6:9]
	v_cvt_f16_f32_e32 v12, v5
	v_mfma_f32_16x16x16_f16 v[6:9], v[40:41], v[68:69], v[6:9]
	s_waitcnt vmcnt(5)
	v_mfma_f32_16x16x16_f16 v[6:9], v[42:43], v[30:31], v[6:9]
	v_mfma_f32_16x16x16_f16 v[6:9], v[44:45], v[32:33], v[6:9]
	s_waitcnt vmcnt(4)
	v_mfma_f32_16x16x16_f16 v[6:9], v[34:35], v[76:77], v[6:9]
	v_mfma_f32_16x16x16_f16 v[6:9], v[36:37], v[78:79], v[6:9]
	s_waitcnt vmcnt(3)
	v_mfma_f32_16x16x16_f16 v[6:9], v[54:55], v[22:23], v[6:9]
	v_mfma_f32_16x16x16_f16 v[6:9], v[56:57], v[24:25], v[6:9]
	s_waitcnt vmcnt(2)
	v_mfma_f32_16x16x16_f16 v[6:9], v[50:51], v[26:27], v[6:9]
	v_mfma_f32_16x16x16_f16 v[6:9], v[52:53], v[28:29], v[6:9]
	s_waitcnt vmcnt(1)
	v_mfma_f32_16x16x16_f16 v[6:9], v[62:63], v[14:15], v[6:9]
	v_mfma_f32_16x16x16_f16 v[6:9], v[64:65], v[16:17], v[6:9]
	s_waitcnt vmcnt(0)
	v_mfma_f32_16x16x16_f16 v[6:9], v[58:59], v[18:19], v[6:9]
	v_mfma_f32_16x16x16_f16 v[2:5], v[60:61], v[20:21], v[6:9]
	s_nop 6
	v_cvt_f16_f32_e32 v6, v2
	v_cvt_f16_f32_e32 v7, v3
	v_cvt_f16_f32_e32 v8, v4
	v_cvt_f16_f32_e32 v5, v5
	v_pack_b32_f16 v2, v1, v10
	v_and_b32_e32 v1, 63, v0
	v_cmp_gt_u32_e64 s[4:5], 32, v1
	v_pack_b32_f16 v3, v11, v12
	v_pack_b32_f16 v4, v6, v7
	;; [unrolled: 1-line block ×3, first 2 shown]
	s_and_b64 s[4:5], vcc, s[4:5]
	ds_write2st64_b64 v74, v[2:3], v[4:5] offset1:1
	s_waitcnt lgkmcnt(0)
	s_barrier
	s_and_saveexec_b64 s[8:9], s[4:5]
	s_cbranch_execz .LBB273_19
; %bb.18:
	s_load_dwordx2 s[0:1], s[0:1], 0x68
	s_mul_i32 s2, s7, s2
	s_lshl_b32 s6, s6, 7
	v_lshlrev_b32_e32 v3, 6, v86
	s_mul_hi_u32 s5, s2, s6
	s_mul_i32 s4, s2, s6
	v_lshlrev_b32_e32 v2, 4, v0
	v_lshl_or_b32 v0, v0, 10, v3
	s_lshl_b64 s[4:5], s[4:5], 1
	v_lshlrev_b32_e32 v1, 5, v83
	v_and_b32_e32 v2, 16, v2
	v_and_b32_e32 v0, 0x1a00, v0
	s_waitcnt lgkmcnt(0)
	s_add_u32 s4, s0, s4
	v_or3_b32 v0, v0, v1, v2
	s_addc_u32 s5, s1, s5
	s_lshl_b32 s2, s26, 7
	ds_read_b128 v[2:5], v0
	s_lshl_b64 s[0:1], s[2:3], 1
	s_add_u32 s0, s4, s0
	v_or_b32_e32 v0, s27, v83
	s_addc_u32 s1, s5, s1
	v_mad_u64_u32 v[0:1], s[2:3], s6, v0, 0
	v_lshl_add_u64 v[0:1], v[0:1], 1, s[0:1]
	v_mov_b32_e32 v83, 0
	v_lshl_add_u64 v[0:1], v[0:1], 0, v[82:83]
	s_waitcnt lgkmcnt(0)
	global_store_dwordx4 v[0:1], v[2:5], off
.LBB273_19:
	s_endpgm
	.section	.rodata,"a",@progbits
	.p2align	6, 0x0
	.amdhsa_kernel _Z39paged_attention_ll4mi_QKV_mfma16_kernelIDF16_DF16_LN4vllm18Fp8KVCacheDataTypeE0EDF16_Li16ELi128ELi256ELb1ELi2EEvPKT_PKT0_S7_ifPKiS9_S9_iPKfiiiPfSC_PS2_PT2_iSB_SB_
		.amdhsa_group_segment_fixed_size 8192
		.amdhsa_private_segment_fixed_size 0
		.amdhsa_kernarg_size 400
		.amdhsa_user_sgpr_count 2
		.amdhsa_user_sgpr_dispatch_ptr 0
		.amdhsa_user_sgpr_queue_ptr 0
		.amdhsa_user_sgpr_kernarg_segment_ptr 1
		.amdhsa_user_sgpr_dispatch_id 0
		.amdhsa_user_sgpr_kernarg_preload_length 0
		.amdhsa_user_sgpr_kernarg_preload_offset 0
		.amdhsa_user_sgpr_private_segment_size 0
		.amdhsa_uses_dynamic_stack 0
		.amdhsa_enable_private_segment 0
		.amdhsa_system_sgpr_workgroup_id_x 1
		.amdhsa_system_sgpr_workgroup_id_y 1
		.amdhsa_system_sgpr_workgroup_id_z 1
		.amdhsa_system_sgpr_workgroup_info 0
		.amdhsa_system_vgpr_workitem_id 0
		.amdhsa_next_free_vgpr 96
		.amdhsa_next_free_sgpr 41
		.amdhsa_accum_offset 96
		.amdhsa_reserve_vcc 1
		.amdhsa_float_round_mode_32 0
		.amdhsa_float_round_mode_16_64 0
		.amdhsa_float_denorm_mode_32 3
		.amdhsa_float_denorm_mode_16_64 3
		.amdhsa_dx10_clamp 1
		.amdhsa_ieee_mode 1
		.amdhsa_fp16_overflow 0
		.amdhsa_tg_split 0
		.amdhsa_exception_fp_ieee_invalid_op 0
		.amdhsa_exception_fp_denorm_src 0
		.amdhsa_exception_fp_ieee_div_zero 0
		.amdhsa_exception_fp_ieee_overflow 0
		.amdhsa_exception_fp_ieee_underflow 0
		.amdhsa_exception_fp_ieee_inexact 0
		.amdhsa_exception_int_div_zero 0
	.end_amdhsa_kernel
	.section	.text._Z39paged_attention_ll4mi_QKV_mfma16_kernelIDF16_DF16_LN4vllm18Fp8KVCacheDataTypeE0EDF16_Li16ELi128ELi256ELb1ELi2EEvPKT_PKT0_S7_ifPKiS9_S9_iPKfiiiPfSC_PS2_PT2_iSB_SB_,"axG",@progbits,_Z39paged_attention_ll4mi_QKV_mfma16_kernelIDF16_DF16_LN4vllm18Fp8KVCacheDataTypeE0EDF16_Li16ELi128ELi256ELb1ELi2EEvPKT_PKT0_S7_ifPKiS9_S9_iPKfiiiPfSC_PS2_PT2_iSB_SB_,comdat
.Lfunc_end273:
	.size	_Z39paged_attention_ll4mi_QKV_mfma16_kernelIDF16_DF16_LN4vllm18Fp8KVCacheDataTypeE0EDF16_Li16ELi128ELi256ELb1ELi2EEvPKT_PKT0_S7_ifPKiS9_S9_iPKfiiiPfSC_PS2_PT2_iSB_SB_, .Lfunc_end273-_Z39paged_attention_ll4mi_QKV_mfma16_kernelIDF16_DF16_LN4vllm18Fp8KVCacheDataTypeE0EDF16_Li16ELi128ELi256ELb1ELi2EEvPKT_PKT0_S7_ifPKiS9_S9_iPKfiiiPfSC_PS2_PT2_iSB_SB_
                                        ; -- End function
	.section	.AMDGPU.csdata,"",@progbits
; Kernel info:
; codeLenInByte = 4612
; NumSgprs: 47
; NumVgprs: 96
; NumAgprs: 0
; TotalNumVgprs: 96
; ScratchSize: 0
; MemoryBound: 0
; FloatMode: 240
; IeeeMode: 1
; LDSByteSize: 8192 bytes/workgroup (compile time only)
; SGPRBlocks: 5
; VGPRBlocks: 11
; NumSGPRsForWavesPerEU: 47
; NumVGPRsForWavesPerEU: 96
; AccumOffset: 96
; Occupancy: 5
; WaveLimiterHint : 1
; COMPUTE_PGM_RSRC2:SCRATCH_EN: 0
; COMPUTE_PGM_RSRC2:USER_SGPR: 2
; COMPUTE_PGM_RSRC2:TRAP_HANDLER: 0
; COMPUTE_PGM_RSRC2:TGID_X_EN: 1
; COMPUTE_PGM_RSRC2:TGID_Y_EN: 1
; COMPUTE_PGM_RSRC2:TGID_Z_EN: 1
; COMPUTE_PGM_RSRC2:TIDIG_COMP_CNT: 0
; COMPUTE_PGM_RSRC3_GFX90A:ACCUM_OFFSET: 23
; COMPUTE_PGM_RSRC3_GFX90A:TG_SPLIT: 0
	.section	.text._Z39paged_attention_ll4mi_QKV_mfma16_kernelIDF16_DF16_LN4vllm18Fp8KVCacheDataTypeE0EDF16_Li16ELi128ELi256ELb1ELi3EEvPKT_PKT0_S7_ifPKiS9_S9_iPKfiiiPfSC_PS2_PT2_iSB_SB_,"axG",@progbits,_Z39paged_attention_ll4mi_QKV_mfma16_kernelIDF16_DF16_LN4vllm18Fp8KVCacheDataTypeE0EDF16_Li16ELi128ELi256ELb1ELi3EEvPKT_PKT0_S7_ifPKiS9_S9_iPKfiiiPfSC_PS2_PT2_iSB_SB_,comdat
	.protected	_Z39paged_attention_ll4mi_QKV_mfma16_kernelIDF16_DF16_LN4vllm18Fp8KVCacheDataTypeE0EDF16_Li16ELi128ELi256ELb1ELi3EEvPKT_PKT0_S7_ifPKiS9_S9_iPKfiiiPfSC_PS2_PT2_iSB_SB_ ; -- Begin function _Z39paged_attention_ll4mi_QKV_mfma16_kernelIDF16_DF16_LN4vllm18Fp8KVCacheDataTypeE0EDF16_Li16ELi128ELi256ELb1ELi3EEvPKT_PKT0_S7_ifPKiS9_S9_iPKfiiiPfSC_PS2_PT2_iSB_SB_
	.globl	_Z39paged_attention_ll4mi_QKV_mfma16_kernelIDF16_DF16_LN4vllm18Fp8KVCacheDataTypeE0EDF16_Li16ELi128ELi256ELb1ELi3EEvPKT_PKT0_S7_ifPKiS9_S9_iPKfiiiPfSC_PS2_PT2_iSB_SB_
	.p2align	8
	.type	_Z39paged_attention_ll4mi_QKV_mfma16_kernelIDF16_DF16_LN4vllm18Fp8KVCacheDataTypeE0EDF16_Li16ELi128ELi256ELb1ELi3EEvPKT_PKT0_S7_ifPKiS9_S9_iPKfiiiPfSC_PS2_PT2_iSB_SB_,@function
_Z39paged_attention_ll4mi_QKV_mfma16_kernelIDF16_DF16_LN4vllm18Fp8KVCacheDataTypeE0EDF16_Li16ELi128ELi256ELb1ELi3EEvPKT_PKT0_S7_ifPKiS9_S9_iPKfiiiPfSC_PS2_PT2_iSB_SB_: ; @_Z39paged_attention_ll4mi_QKV_mfma16_kernelIDF16_DF16_LN4vllm18Fp8KVCacheDataTypeE0EDF16_Li16ELi128ELi256ELb1ELi3EEvPKT_PKT0_S7_ifPKiS9_S9_iPKfiiiPfSC_PS2_PT2_iSB_SB_
; %bb.0:
	s_load_dwordx2 s[8:9], s[0:1], 0x30
	s_mov_b32 s26, s3
	s_mov_b64 s[6:7], 0
	s_waitcnt lgkmcnt(0)
	s_cmp_lg_u64 s[8:9], 0
	s_cselect_b64 s[10:11], -1, 0
	s_and_b64 vcc, exec, s[10:11]
	s_cbranch_vccz .LBB274_7
; %bb.1:
	s_add_i32 s12, s2, 1
	s_mov_b32 s13, 0
	s_lshl_b64 s[14:15], s[12:13], 2
	s_add_u32 s14, s8, s14
	s_mov_b32 s3, s13
	s_addc_u32 s15, s9, s15
	s_lshl_b64 s[12:13], s[2:3], 2
	s_add_u32 s12, s8, s12
	s_addc_u32 s13, s9, s13
	s_load_dword s5, s[14:15], 0x0
	s_load_dword s16, s[12:13], 0x0
	s_waitcnt lgkmcnt(0)
	s_sub_i32 s5, s5, s16
	s_cmp_eq_u32 s5, 1
	s_cselect_b64 s[12:13], -1, 0
	s_andn2_b64 vcc, exec, s[6:7]
	s_cbranch_vccnz .LBB274_3
.LBB274_2:
	s_mov_b32 s3, 0
	s_mov_b64 s[12:13], -1
.LBB274_3:
	s_andn2_b64 vcc, exec, s[12:13]
	s_cbranch_vccnz .LBB274_19
; %bb.4:
	s_load_dwordx2 s[6:7], s[0:1], 0x28
	s_lshl_b64 s[12:13], s[2:3], 2
	s_waitcnt lgkmcnt(0)
	s_add_u32 s6, s6, s12
	s_addc_u32 s7, s7, s13
	s_load_dword s27, s[6:7], 0x0
	s_lshl_b32 s18, s26, 8
	s_waitcnt lgkmcnt(0)
	s_cmp_ge_i32 s18, s27
	s_cbranch_scc1 .LBB274_19
; %bb.5:
	s_load_dwordx2 s[6:7], s[0:1], 0x20
	s_load_dword s5, s[0:1], 0x38
	s_add_i32 s14, s27, 15
	s_ashr_i32 s15, s14, 31
	v_and_b32_e32 v1, 0xcf, v0
	s_lshr_b32 s15, s15, 28
	v_add_u32_e32 v1, s18, v1
	s_add_i32 s14, s14, s15
	v_ashrrev_i32_e32 v2, 31, v1
	s_ashr_i32 s19, s14, 4
	v_lshrrev_b32_e32 v4, 28, v2
	s_add_i32 s19, s19, -1
	s_waitcnt lgkmcnt(0)
	s_mul_i32 s14, s2, s5
	s_mov_b32 s15, 0
	v_add_u32_e32 v2, v1, v4
	s_lshl_b64 s[14:15], s[14:15], 2
	v_ashrrev_i32_e32 v2, 4, v2
	v_mov_b32_e32 v5, s19
	v_cmp_gt_i32_e32 vcc, s27, v1
	s_add_u32 s6, s6, s14
	s_addc_u32 s7, s7, s15
	v_cndmask_b32_e32 v2, v5, v2, vcc
	v_ashrrev_i32_e32 v3, 31, v2
	v_lshl_add_u64 v[6:7], v[2:3], 2, s[6:7]
	v_or_b32_e32 v2, 16, v1
	v_add_u32_e32 v3, v2, v4
	v_ashrrev_i32_e32 v3, 4, v3
	v_cmp_gt_i32_e32 vcc, s27, v2
	s_load_dwordx2 s[14:15], s[0:1], 0x8
	s_nop 0
	v_cndmask_b32_e32 v2, v5, v3, vcc
	v_ashrrev_i32_e32 v3, 31, v2
	v_lshl_add_u64 v[8:9], v[2:3], 2, s[6:7]
	v_or_b32_e32 v2, 32, v1
	v_add_u32_e32 v3, v2, v4
	v_ashrrev_i32_e32 v3, 4, v3
	v_cmp_gt_i32_e32 vcc, s27, v2
	v_or_b32_e32 v1, 48, v1
	s_nop 0
	v_cndmask_b32_e32 v2, v5, v3, vcc
	v_ashrrev_i32_e32 v3, 31, v2
	v_lshl_add_u64 v[10:11], v[2:3], 2, s[6:7]
	v_add_u32_e32 v2, v1, v4
	v_ashrrev_i32_e32 v2, 4, v2
	v_cmp_gt_i32_e32 vcc, s27, v1
	s_nop 1
	v_cndmask_b32_e32 v2, v5, v2, vcc
	v_ashrrev_i32_e32 v3, 31, v2
	v_lshl_add_u64 v[12:13], v[2:3], 2, s[6:7]
	global_load_dword v5, v[6:7], off
	global_load_dword v4, v[8:9], off
	;; [unrolled: 1-line block ×4, first 2 shown]
	s_andn2_b64 vcc, exec, s[10:11]
	s_cbranch_vccnz .LBB274_8
; %bb.6:
	s_add_u32 s8, s8, s12
	s_addc_u32 s9, s9, s13
	s_load_dword s5, s[8:9], 0x0
	s_branch .LBB274_9
.LBB274_7:
	s_mov_b64 s[12:13], 0
	s_branch .LBB274_2
.LBB274_8:
	s_mov_b32 s5, s2
.LBB274_9:
	v_bfe_u32 v88, v0, 4, 2
	s_mul_i32 s40, s4, 3
	v_add_u32_e32 v1, s40, v88
	scratch_store_dword off, v1, off offset:8 ; 4-byte Folded Spill
	s_load_dwordx2 s[12:13], s[0:1], 0x10
	s_load_dwordx4 s[8:11], s[0:1], 0x48
	v_lshrrev_b32_e32 v85, 6, v0
	v_and_b32_e32 v84, 15, v0
	v_lshl_or_b32 v6, v85, 2, v88
	v_lshlrev_b32_e32 v7, 3, v84
	v_cmp_gt_u32_e32 vcc, 3, v6
	v_lshlrev_b32_e32 v8, 1, v7
	scratch_store_dwordx2 off, v[8:9], off  ; 8-byte Folded Spill
	s_and_saveexec_b64 s[16:17], vcc
	s_cbranch_execz .LBB274_11
; %bb.10:
	scratch_load_dword v1, off, off offset:8 ; 4-byte Folded Reload
	scratch_load_dwordx2 v[10:11], off, off ; 8-byte Folded Reload
	s_load_dwordx2 s[20:21], s[0:1], 0x0
	s_waitcnt lgkmcnt(0)
	s_ashr_i32 s11, s8, 31
	s_mul_hi_u32 s22, s5, s8
	s_mul_i32 s11, s5, s11
	s_add_i32 s23, s22, s11
	s_mul_i32 s22, s5, s8
	s_lshl_b64 s[22:23], s[22:23], 1
	s_add_u32 s20, s20, s22
	s_addc_u32 s21, s21, s23
	v_mov_b32_e32 v13, 0
	v_and_b32_e32 v7, 3, v0
	v_lshlrev_b32_e32 v6, 5, v6
	v_lshlrev_b32_e32 v7, 9, v7
	s_waitcnt vmcnt(1)
	v_lshlrev_b32_e32 v8, 7, v1
	v_ashrrev_i32_e32 v9, 31, v8
	v_lshl_add_u64 v[8:9], v[8:9], 1, s[20:21]
	s_waitcnt vmcnt(0)
	v_mov_b32_e32 v12, v10
	v_lshl_add_u64 v[8:9], v[8:9], 0, v[12:13]
	scratch_store_dwordx2 off, v[10:11], off ; 8-byte Folded Spill
	global_load_dwordx4 v[8:11], v[8:9], off
	v_lshlrev_b32_e32 v12, 9, v84
	v_and_b32_e32 v12, 0x1800, v12
	v_or3_b32 v6, v12, v7, v6
	s_waitcnt vmcnt(0)
	ds_write_b128 v6, v[8:11]
.LBB274_11:
	s_or_b64 exec, exec, s[16:17]
	s_waitcnt lgkmcnt(0)
	s_mul_i32 s4, s4, s10
	s_mov_b32 s5, 0
	s_lshl_b64 s[4:5], s[4:5], 1
	s_add_u32 s10, s14, s4
	v_lshlrev_b32_e32 v1, 4, v0
	s_addc_u32 s11, s15, s5
	v_and_b32_e32 v86, 0xf0, v1
	v_mov_b32_e32 v87, 0
	v_lshl_add_u64 v[6:7], s[10:11], 0, v[86:87]
	s_waitcnt vmcnt(5)
	v_mad_i64_i32 v[8:9], s[10:11], v5, s9, 0
	s_waitcnt vmcnt(4)
	v_mad_i64_i32 v[4:5], s[10:11], v4, s9, 0
	v_lshl_add_u64 v[8:9], v[8:9], 1, v[6:7]
	v_and_b32_e32 v86, 0x300, v1
	v_lshl_add_u64 v[4:5], v[4:5], 1, v[6:7]
	v_lshl_add_u64 v[8:9], v[8:9], 0, v[86:87]
	v_lshl_add_u64 v[4:5], v[4:5], 0, v[86:87]
	s_barrier
	global_load_dwordx4 v[78:81], v[8:9], off
	global_load_dwordx4 v[74:77], v[8:9], off offset:1024
	global_load_dwordx4 v[70:73], v[8:9], off offset:2048
	;; [unrolled: 1-line block ×3, first 2 shown]
	global_load_dwordx4 v[66:69], v[4:5], off
	global_load_dwordx4 v[62:65], v[4:5], off offset:1024
	global_load_dwordx4 v[58:61], v[4:5], off offset:2048
	;; [unrolled: 1-line block ×3, first 2 shown]
	s_waitcnt vmcnt(11)
	v_mad_i64_i32 v[4:5], s[10:11], v3, s9, 0
	s_waitcnt vmcnt(10)
	v_mad_i64_i32 v[2:3], s[10:11], v2, s9, 0
	v_lshl_add_u64 v[4:5], v[4:5], 1, v[6:7]
	v_lshl_add_u64 v[2:3], v[2:3], 1, v[6:7]
	;; [unrolled: 1-line block ×4, first 2 shown]
	global_load_dwordx4 v[30:33], v[4:5], off
	global_load_dwordx4 v[26:29], v[4:5], off offset:1024
	global_load_dwordx4 v[22:25], v[4:5], off offset:2048
	;; [unrolled: 1-line block ×3, first 2 shown]
	global_load_dwordx4 v[6:9], v[34:35], off
	s_nop 0
	global_load_dwordx4 v[2:5], v[34:35], off offset:1024
	global_load_dwordx4 v[38:41], v[34:35], off offset:2048
	s_nop 0
	global_load_dwordx4 v[34:37], v[34:35], off offset:3072
	v_mul_lo_u16_e32 v42, 0x56, v84
	v_mov_b32_e32 v43, 3
	v_mul_lo_u16_sdwa v42, v42, v43 dst_sel:DWORD dst_unused:UNUSED_PAD src0_sel:BYTE_1 src1_sel:DWORD
	v_sub_u16_e32 v42, v84, v42
	v_mov_b32_e32 v43, 5
	v_lshlrev_b32_sdwa v42, v43, v42 dst_sel:DWORD dst_unused:UNUSED_PAD src0_sel:DWORD src1_sel:BYTE_0
	v_lshl_add_u32 v42, v88, 9, v42
	ds_read_b128 v[54:57], v42
	ds_read_b128 v[50:53], v42 offset:2048
	ds_read_b128 v[46:49], v42 offset:4096
	;; [unrolled: 1-line block ×3, first 2 shown]
	v_and_b32_e32 v89, 63, v0
	v_cmp_gt_u32_e32 vcc, 3, v84
	v_mov_b32_e32 v90, 0
	s_and_saveexec_b64 s[10:11], vcc
	s_cbranch_execz .LBB274_13
; %bb.12:
	s_load_dwordx2 s[14:15], s[0:1], 0x40
	v_add_u32_e32 v90, s40, v84
	v_ashrrev_i32_e32 v91, 31, v90
	s_waitcnt lgkmcnt(0)
	v_lshl_add_u64 v[90:91], v[90:91], 2, s[14:15]
	global_load_dword v90, v[90:91], off
.LBB274_13:
	s_or_b64 exec, exec, s[10:11]
	s_waitcnt vmcnt(15) lgkmcnt(3)
	v_mfma_f32_16x16x16_f16 v[92:95], v[78:79], v[54:55], 0
	s_add_u32 s4, s12, s4
	v_lshl_or_b32 v91, v85, 4, v84
	s_addc_u32 s5, s13, s5
	v_mfma_f32_16x16x16_f16 v[78:81], v[80:81], v[56:57], v[92:95]
	v_lshlrev_b32_e32 v86, 5, v91
	s_mov_b32 s33, 0xff7fffff
	s_waitcnt vmcnt(14) lgkmcnt(2)
	v_mfma_f32_16x16x16_f16 v[78:81], v[74:75], v[50:51], v[78:81]
	v_mfma_f32_16x16x16_f16 v[74:77], v[76:77], v[52:53], v[78:81]
	s_waitcnt vmcnt(13) lgkmcnt(1)
	v_mfma_f32_16x16x16_f16 v[74:77], v[70:71], v[46:47], v[74:77]
	v_mfma_f32_16x16x16_f16 v[70:73], v[72:73], v[48:49], v[74:77]
	s_waitcnt vmcnt(11)
	v_mfma_f32_16x16x16_f16 v[74:77], v[66:67], v[54:55], 0
	v_mfma_f32_16x16x16_f16 v[66:69], v[68:69], v[56:57], v[74:77]
	s_nop 5
	v_and_or_b32 v74, v0, 48, s18
	s_waitcnt lgkmcnt(0)
	v_mfma_f32_16x16x16_f16 v[70:73], v[10:11], v[42:43], v[70:73]
	v_ashrrev_i32_e32 v10, 4, v74
	v_mov_b32_e32 v75, s19
	v_cmp_gt_i32_e32 vcc, s27, v74
	s_waitcnt vmcnt(10)
	v_mfma_f32_16x16x16_f16 v[66:69], v[62:63], v[50:51], v[66:69]
	v_cndmask_b32_e32 v10, v75, v10, vcc
	v_ashrrev_i32_e32 v11, 31, v10
	v_lshl_add_u64 v[10:11], v[10:11], 2, s[6:7]
	global_load_dword v76, v[10:11], off
	v_mfma_f32_16x16x16_f16 v[62:65], v[64:65], v[52:53], v[66:69]
	v_or_b32_e32 v10, 64, v74
	v_ashrrev_i32_e32 v11, 4, v10
	v_cmp_gt_i32_e32 vcc, s27, v10
	s_waitcnt vmcnt(10)
	v_mfma_f32_16x16x16_f16 v[62:65], v[58:59], v[46:47], v[62:65]
	v_cndmask_b32_e32 v10, v75, v11, vcc
	v_ashrrev_i32_e32 v11, 31, v10
	v_lshl_add_u64 v[10:11], v[10:11], 2, s[6:7]
	global_load_dword v77, v[10:11], off
	v_or_b32_e32 v10, 0x80, v74
	v_mfma_f32_16x16x16_f16 v[58:61], v[60:61], v[48:49], v[62:65]
	v_ashrrev_i32_e32 v11, 4, v10
	v_cmp_gt_i32_e32 vcc, s27, v10
	s_waitcnt vmcnt(9)
	v_mfma_f32_16x16x16_f16 v[62:65], v[30:31], v[54:55], 0
	v_cndmask_b32_e32 v10, v75, v11, vcc
	v_ashrrev_i32_e32 v11, 31, v10
	v_lshl_add_u64 v[10:11], v[10:11], 2, s[6:7]
	v_mfma_f32_16x16x16_f16 v[30:33], v[32:33], v[56:57], v[62:65]
	s_nop 2
	global_load_dword v64, v[10:11], off
	v_or_b32_e32 v10, 0xc0, v74
	v_ashrrev_i32_e32 v11, 4, v10
	v_cmp_gt_i32_e32 vcc, s27, v10
	s_waitcnt vmcnt(9)
	v_mfma_f32_16x16x16_f16 v[30:33], v[26:27], v[50:51], v[30:33]
	v_lshl_add_u64 v[62:63], s[4:5], 0, v[86:87]
	v_cndmask_b32_e32 v10, v75, v11, vcc
	v_ashrrev_i32_e32 v11, 31, v10
	v_lshl_add_u64 v[10:11], v[10:11], 2, s[6:7]
	global_load_dword v65, v[10:11], off
	v_mfma_f32_16x16x16_f16 v[26:29], v[28:29], v[52:53], v[30:33]
	s_load_dword s6, s[0:1], 0x1c
	v_or_b32_e32 v86, 0x800, v86
	s_waitcnt vmcnt(3)
	v_mad_i64_i32 v[10:11], s[10:11], v76, s9, 0
	v_mfma_f32_16x16x16_f16 v[26:29], v[22:23], v[46:47], v[26:29]
	v_lshlrev_b64 v[74:75], 1, v[10:11]
	v_mfma_f32_16x16x16_f16 v[66:69], v[12:13], v[44:45], v[70:73]
	v_mfma_f32_16x16x16_f16 v[10:13], v[24:25], v[48:49], v[26:29]
	;; [unrolled: 1-line block ×3, first 2 shown]
	v_lshl_add_u64 v[14:15], v[62:63], 0, v[74:75]
	s_waitcnt lgkmcnt(0)
	s_nop 2
	v_pk_mul_f32 v[78:79], s[6:7], v[68:69] op_sel_hi:[0,1]
	v_mfma_f32_16x16x16_f16 v[10:13], v[18:19], v[42:43], v[10:13]
	v_mfma_f32_16x16x16_f16 v[70:73], v[16:17], v[44:45], v[30:33]
	s_nop 2
	global_load_dwordx4 v[30:33], v[14:15], off
	global_load_dwordx4 v[26:29], v[14:15], off offset:16
	s_waitcnt vmcnt(4)
	v_mad_i64_i32 v[14:15], s[10:11], v77, s9, 0
	v_lshlrev_b64 v[58:59], 1, v[14:15]
	v_mfma_f32_16x16x16_f16 v[92:95], v[20:21], v[44:45], v[10:13]
	v_pk_mul_f32 v[76:77], s[6:7], v[70:71] op_sel_hi:[0,1]
	s_nop 1
	v_lshl_add_u64 v[10:11], v[62:63], 0, v[58:59]
	global_load_dwordx4 v[22:25], v[10:11], off
	global_load_dwordx4 v[18:21], v[10:11], off offset:16
	v_mfma_f32_16x16x16_f16 v[10:13], v[6:7], v[54:55], 0
	s_waitcnt vmcnt(5)
	v_mad_i64_i32 v[6:7], s[10:11], v64, s9, 0
	v_lshlrev_b64 v[54:55], 1, v[6:7]
	v_mfma_f32_16x16x16_f16 v[6:9], v[8:9], v[56:57], v[10:13]
	v_pk_mul_f32 v[70:71], s[6:7], v[94:95] op_sel_hi:[0,1]
	v_mfma_f32_16x16x16_f16 v[6:9], v[2:3], v[50:51], v[6:9]
	s_waitcnt vmcnt(4)
	v_mad_i64_i32 v[2:3], s[8:9], v65, s9, 0
	v_lshlrev_b64 v[60:61], 1, v[2:3]
	v_mfma_f32_16x16x16_f16 v[50:53], v[4:5], v[52:53], v[6:9]
	v_lshl_add_u64 v[10:11], v[62:63], 0, v[54:55]
	v_lshl_add_u64 v[2:3], v[62:63], 0, v[60:61]
	v_pk_mul_f32 v[62:63], s[6:7], v[66:67] op_sel_hi:[0,1]
	v_mfma_f32_16x16x16_f16 v[50:53], v[38:39], v[46:47], v[50:53]
	v_lshl_add_u64 v[64:65], s[4:5], 0, v[86:87]
	v_lshl_add_u64 v[38:39], v[64:65], 0, v[74:75]
	v_pk_mul_f32 v[74:75], s[6:7], v[72:73] op_sel_hi:[0,1]
	v_mfma_f32_16x16x16_f16 v[46:49], v[40:41], v[48:49], v[50:53]
	v_pk_mul_f32 v[72:73], s[6:7], v[92:93] op_sel_hi:[0,1]
	global_load_dwordx4 v[14:17], v[10:11], off
	s_nop 0
	global_load_dwordx4 v[10:13], v[10:11], off offset:16
	s_nop 0
	global_load_dwordx4 v[6:9], v[2:3], off
	s_nop 0
	global_load_dwordx4 v[2:5], v[2:3], off offset:16
	v_mfma_f32_16x16x16_f16 v[40:43], v[34:35], v[42:43], v[46:49]
	v_mfma_f32_16x16x16_f16 v[34:37], v[36:37], v[44:45], v[40:43]
	s_nop 6
	v_pk_mul_f32 v[68:69], s[6:7], v[34:35] op_sel_hi:[0,1]
	v_and_b32_e32 v34, 0xc0, v0
	v_add_u32_e32 v34, s18, v34
	v_lshl_or_b32 v34, v88, 2, v34
	v_or_b32_e32 v35, 1, v34
	v_pk_mul_f32 v[66:67], s[6:7], v[36:37] op_sel_hi:[0,1]
	v_subrev_u32_e32 v36, s27, v35
	v_add_u32_e32 v40, 1, v36
	v_add_u32_e32 v41, 2, v36
	v_cvt_f32_i32_e32 v37, v36
	v_cvt_f32_i32_e32 v40, v40
	;; [unrolled: 1-line block ×3, first 2 shown]
	v_add_u32_e32 v42, 3, v36
	v_fma_f32 v62, v90, v37, v62
	v_fmac_f32_e32 v63, v90, v40
	v_fma_f32 v78, v90, v41, v78
	v_add_u32_e32 v37, 16, v36
	v_add_u32_e32 v40, 17, v36
	;; [unrolled: 1-line block ×3, first 2 shown]
	v_cvt_f32_i32_e32 v42, v42
	v_cvt_f32_i32_e32 v37, v37
	;; [unrolled: 1-line block ×4, first 2 shown]
	v_fmac_f32_e32 v79, v90, v42
	v_add_u32_e32 v42, 19, v36
	v_fma_f32 v76, v90, v37, v76
	v_fmac_f32_e32 v77, v90, v40
	v_fma_f32 v74, v90, v41, v74
	v_add_u32_e32 v37, 32, v36
	v_add_u32_e32 v40, 33, v36
	;; [unrolled: 1-line block ×3, first 2 shown]
	v_cvt_f32_i32_e32 v42, v42
	v_cvt_f32_i32_e32 v37, v37
	;; [unrolled: 1-line block ×4, first 2 shown]
	v_fmac_f32_e32 v75, v90, v42
	v_add_u32_e32 v42, 35, v36
	v_fma_f32 v72, v90, v37, v72
	v_fmac_f32_e32 v73, v90, v40
	v_fma_f32 v70, v90, v41, v70
	v_add_u32_e32 v37, 48, v36
	v_add_u32_e32 v40, 49, v36
	;; [unrolled: 1-line block ×4, first 2 shown]
	v_cvt_f32_i32_e32 v36, v36
	v_cvt_f32_i32_e32 v37, v37
	;; [unrolled: 1-line block ×3, first 2 shown]
	v_cmp_gt_i32_e64 s[28:29], s27, v34
	v_fmac_f32_e32 v67, v90, v36
	v_mov_b32_e32 v36, 0xff7fffff
	v_cmp_gt_i32_e64 s[30:31], s27, v35
	v_fma_f32 v68, v90, v37, v68
	v_cndmask_b32_e64 v37, v36, v62, s[28:29]
	v_cndmask_b32_e64 v35, v36, v63, s[30:31]
	v_fmac_f32_e32 v69, v90, v40
	v_max3_f32 v35, v37, s33, v35
	v_or_b32_e32 v37, 2, v34
	v_or_b32_e32 v40, 3, v34
	v_cmp_gt_i32_e64 s[34:35], s27, v37
	v_cmp_gt_i32_e64 s[36:37], s27, v40
	v_cvt_f32_i32_e32 v42, v42
	v_cndmask_b32_e64 v37, v36, v78, s[34:35]
	v_cndmask_b32_e64 v40, v36, v79, s[36:37]
	v_max3_f32 v35, v35, v37, v40
	v_or_b32_e32 v37, 16, v34
	v_or_b32_e32 v40, 17, v34
	v_cmp_gt_i32_e64 s[22:23], s27, v37
	v_cmp_gt_i32_e64 s[24:25], s27, v40
	v_fmac_f32_e32 v71, v90, v42
	v_cndmask_b32_e64 v37, v36, v76, s[22:23]
	v_cndmask_b32_e64 v40, v36, v77, s[24:25]
	v_max3_f32 v35, v35, v37, v40
	v_or_b32_e32 v37, 18, v34
	v_or_b32_e32 v40, 19, v34
	v_cmp_gt_i32_e64 s[18:19], s27, v37
	v_cmp_gt_i32_e64 s[20:21], s27, v40
	v_cvt_f32_i32_e32 v41, v41
	v_cndmask_b32_e64 v37, v36, v74, s[18:19]
	v_cndmask_b32_e64 v40, v36, v75, s[20:21]
	v_max3_f32 v35, v35, v37, v40
	v_or_b32_e32 v37, 32, v34
	v_or_b32_e32 v40, 33, v34
	v_cmp_gt_i32_e64 s[14:15], s27, v37
	v_cmp_gt_i32_e64 s[16:17], s27, v40
	v_fma_f32 v66, v90, v41, v66
	v_cndmask_b32_e64 v37, v36, v72, s[14:15]
	v_cndmask_b32_e64 v40, v36, v73, s[16:17]
	v_max3_f32 v35, v35, v37, v40
	v_or_b32_e32 v37, 34, v34
	v_or_b32_e32 v40, 35, v34
	v_cmp_gt_i32_e64 s[10:11], s27, v37
	v_cmp_gt_i32_e64 s[12:13], s27, v40
	s_nop 0
	v_cndmask_b32_e64 v37, v36, v70, s[10:11]
	v_cndmask_b32_e64 v40, v36, v71, s[12:13]
	v_max3_f32 v35, v35, v37, v40
	v_or_b32_e32 v37, 48, v34
	v_or_b32_e32 v40, 49, v34
	v_cmp_gt_i32_e64 s[6:7], s27, v37
	v_cmp_gt_i32_e64 s[8:9], s27, v40
	s_nop 0
	v_cndmask_b32_e64 v37, v36, v68, s[6:7]
	v_cndmask_b32_e64 v40, v36, v69, s[8:9]
	v_max3_f32 v35, v35, v37, v40
	v_or_b32_e32 v37, 50, v34
	v_or_b32_e32 v34, 51, v34
	v_cmp_gt_i32_e32 vcc, s27, v37
	v_cmp_gt_i32_e64 s[4:5], s27, v34
	global_load_dwordx4 v[46:49], v[38:39], off
	s_nop 0
	global_load_dwordx4 v[38:41], v[38:39], off offset:16
	v_cndmask_b32_e32 v37, v36, v66, vcc
	v_cndmask_b32_e64 v34, v36, v67, s[4:5]
	v_max3_f32 v50, v35, v37, v34
	v_mbcnt_lo_u32_b32 v34, -1, 0
	v_mbcnt_hi_u32_b32 v51, -1, v34
	v_and_b32_e32 v34, 64, v51
	v_add_u32_e32 v52, 64, v34
	v_xor_b32_e32 v34, 32, v51
	v_cmp_lt_i32_e64 s[38:39], v34, v52
	s_nop 1
	v_cndmask_b32_e64 v34, v51, v34, s[38:39]
	v_lshlrev_b32_e32 v87, 2, v34
	ds_bpermute_b32 v53, v87, v50
	v_lshl_add_u64 v[34:35], v[64:65], 0, v[58:59]
	v_lshl_add_u64 v[58:59], v[64:65], 0, v[60:61]
	global_load_dwordx4 v[42:45], v[34:35], off
	s_nop 0
	global_load_dwordx4 v[34:37], v[34:35], off offset:16
	s_waitcnt lgkmcnt(0)
	v_max_f32_e32 v53, v53, v53
	v_max_f32_e32 v80, v50, v53
	v_xor_b32_e32 v50, 16, v51
	v_cmp_lt_i32_e64 s[38:39], v50, v52
	s_nop 1
	v_cndmask_b32_e64 v50, v51, v50, s[38:39]
	v_lshlrev_b32_e32 v90, 2, v50
	ds_bpermute_b32 v81, v90, v80
	v_lshl_add_u64 v[50:51], v[64:65], 0, v[54:55]
	global_load_dwordx4 v[54:57], v[50:51], off
	s_nop 0
	global_load_dwordx4 v[50:53], v[50:51], off offset:16
	s_waitcnt lgkmcnt(0)
	v_max_f32_e32 v60, v81, v81
	v_max_f32_e32 v86, v80, v60
	v_sub_f32_e32 v60, v62, v86
	v_mul_f32_e32 v60, 0x3fb8aa3b, v60
	v_exp_f32_e32 v80, v60
	v_sub_f32_e32 v60, v63, v86
	v_mul_f32_e32 v60, 0x3fb8aa3b, v60
	v_exp_f32_e32 v81, v60
	global_load_dwordx4 v[62:65], v[58:59], off
	s_nop 0
	global_load_dwordx4 v[58:61], v[58:59], off offset:16
	v_sub_f32_e32 v78, v78, v86
	v_mul_f32_e32 v78, 0x3fb8aa3b, v78
	v_sub_f32_e32 v79, v79, v86
	v_exp_f32_e32 v78, v78
	v_mul_f32_e32 v79, 0x3fb8aa3b, v79
	v_sub_f32_e32 v76, v76, v86
	v_exp_f32_e32 v79, v79
	v_mul_f32_e32 v76, 0x3fb8aa3b, v76
	v_sub_f32_e32 v77, v77, v86
	v_cndmask_b32_e64 v80, 0, v80, s[28:29]
	v_exp_f32_e32 v76, v76
	v_mul_f32_e32 v77, 0x3fb8aa3b, v77
	v_sub_f32_e32 v74, v74, v86
	v_add_f32_e32 v92, 0, v80
	v_cndmask_b32_e64 v81, 0, v81, s[30:31]
	v_exp_f32_e32 v77, v77
	v_mul_f32_e32 v74, 0x3fb8aa3b, v74
	v_sub_f32_e32 v75, v75, v86
	v_add_f32_e32 v92, v92, v81
	;; [unrolled: 5-line block ×10, first 2 shown]
	v_cndmask_b32_e64 v70, 0, v70, s[10:11]
	v_exp_f32_e32 v66, v66
	v_mul_f32_e32 v67, 0x3fb8aa3b, v67
	v_add_f32_e32 v92, v92, v70
	v_cndmask_b32_e64 v71, 0, v71, s[12:13]
	v_exp_f32_e32 v67, v67
	v_add_f32_e32 v92, v92, v71
	v_cndmask_b32_e64 v68, 0, v68, s[6:7]
	v_add_f32_e32 v92, v92, v68
	v_cndmask_b32_e64 v69, 0, v69, s[8:9]
	v_add_f32_e32 v92, v92, v69
	v_cndmask_b32_e32 v66, 0, v66, vcc
	v_add_f32_e32 v92, v92, v66
	v_cndmask_b32_e64 v67, 0, v67, s[4:5]
	v_add_f32_e32 v92, v92, v67
	ds_bpermute_b32 v87, v87, v92
	s_load_dword s7, s[0:1], 0x98
	v_cmp_gt_u32_e32 vcc, 16, v89
	s_waitcnt lgkmcnt(0)
	s_barrier
	v_add_f32_e32 v87, v92, v87
	ds_bpermute_b32 v90, v90, v87
	s_waitcnt lgkmcnt(0)
	s_and_saveexec_b64 s[4:5], vcc
	s_cbranch_execz .LBB274_15
; %bb.14:
	v_add_f32_e32 v87, v87, v90
	v_lshlrev_b32_e32 v89, 2, v91
	ds_write2st64_b32 v89, v86, v87 offset1:1
.LBB274_15:
	s_or_b64 exec, exec, s[4:5]
	v_lshlrev_b32_e32 v87, 2, v84
	s_load_dword s6, s[0:1], 0x94
	s_waitcnt lgkmcnt(0)
	s_barrier
	ds_read2_b32 v[90:91], v87 offset1:16
	ds_read2_b32 v[92:93], v87 offset0:32 offset1:48
	ds_read2_b32 v[94:95], v87 offset0:64 offset1:80
	s_mul_i32 s7, s7, 3
	s_waitcnt lgkmcnt(2)
	v_max3_f32 v86, v90, s33, v91
	s_waitcnt lgkmcnt(1)
	v_max3_f32 v86, v86, v92, v93
	v_sub_f32_e32 v89, v90, v86
	v_sub_f32_e32 v90, v91, v86
	v_mul_f32_e32 v90, 0x3fb8aa3b, v90
	v_mul_f32_e32 v89, 0x3fb8aa3b, v89
	v_exp_f32_e32 v1, v90
	v_sub_f32_e32 v90, v92, v86
	v_exp_f32_e32 v89, v89
	v_mul_f32_e32 v90, 0x3fb8aa3b, v90
	v_exp_f32_e32 v92, v90
	ds_read2_b32 v[90:91], v87 offset0:96 offset1:112
	v_sub_f32_e32 v87, v93, v86
	v_mul_f32_e32 v87, 0x3fb8aa3b, v87
	v_exp_f32_e32 v93, v87
	s_waitcnt lgkmcnt(1)
	v_fma_f32 v87, v89, v94, 0
	v_fmac_f32_e32 v87, v1, v95
	s_waitcnt lgkmcnt(0)
	v_fmac_f32_e32 v87, v92, v90
	v_fmac_f32_e32 v87, v93, v91
	v_add_f32_e32 v90, 0x358637bd, v87
	v_div_scale_f32 v91, s[4:5], v90, v90, 1.0
	v_rcp_f32_e32 v94, v91
	s_barrier
	v_fma_f32 v95, -v91, v94, 1.0
	v_fmac_f32_e32 v94, v95, v94
	v_div_scale_f32 v95, vcc, 1.0, v90, 1.0
	v_mul_f32_e32 v83, v95, v94
	v_fma_f32 v82, -v91, v83, v95
	v_fmac_f32_e32 v83, v82, v94
	v_fma_f32 v82, -v91, v83, v95
	v_div_fmas_f32 v82, v82, v94, v83
	v_cmp_eq_u32_e32 vcc, 1, v85
	v_div_fixup_f32 v82, v82, v90, 1.0
	s_nop 0
	v_cndmask_b32_e32 v1, v89, v1, vcc
	v_cmp_eq_u32_e32 vcc, 2, v85
	s_nop 1
	v_cndmask_b32_e32 v1, v1, v92, vcc
	v_cmp_eq_u32_e32 vcc, 3, v85
	s_nop 1
	v_cndmask_b32_e32 v1, v1, v93, vcc
	v_mul_f32_e32 v90, v1, v82
	v_pk_mul_f32 v[78:79], v[90:91], v[78:79] op_sel_hi:[0,1]
	v_cvt_f16_f32_e32 v78, v78
	v_cvt_f16_f32_e32 v79, v79
	v_pk_mul_f32 v[80:81], v[90:91], v[80:81] op_sel_hi:[0,1]
	v_cvt_f16_f32_e32 v1, v80
	v_cvt_f16_f32_e32 v80, v81
	v_pk_mul_f32 v[74:75], v[90:91], v[74:75] op_sel_hi:[0,1]
	v_pk_mul_f32 v[76:77], v[90:91], v[76:77] op_sel_hi:[0,1]
	v_pack_b32_f16 v81, v78, v79
	v_cvt_f16_f32_e32 v76, v76
	v_cvt_f16_f32_e32 v77, v77
	;; [unrolled: 1-line block ×4, first 2 shown]
	v_pack_b32_f16 v80, v1, v80
	v_lshlrev_b32_e32 v1, 3, v88
	v_lshlrev_b32_e32 v78, 5, v84
	;; [unrolled: 1-line block ×3, first 2 shown]
	v_pk_mul_f32 v[70:71], v[90:91], v[70:71] op_sel_hi:[0,1]
	v_pk_mul_f32 v[72:73], v[90:91], v[72:73] op_sel_hi:[0,1]
	;; [unrolled: 1-line block ×4, first 2 shown]
	v_or3_b32 v74, v74, v78, v1
	v_pack_b32_f16 v76, v76, v77
	v_pack_b32_f16 v77, v79, v75
	v_cvt_f16_f32_e32 v1, v72
	v_cvt_f16_f32_e32 v72, v73
	;; [unrolled: 1-line block ×8, first 2 shown]
	v_pack_b32_f16 v66, v1, v72
	v_pack_b32_f16 v67, v70, v71
	;; [unrolled: 1-line block ×4, first 2 shown]
	v_cmp_gt_u32_e32 vcc, 3, v0
	ds_write2st64_b64 v74, v[80:81], v[76:77] offset1:1
	ds_write2st64_b64 v74, v[66:67], v[68:69] offset0:2 offset1:3
	s_and_saveexec_b64 s[4:5], vcc
	s_cbranch_execz .LBB274_17
; %bb.16:
	s_mov_b32 s41, 0
	v_mov_b32_e32 v85, 0
	v_lshl_add_u64 v[66:67], s[40:41], 0, v[84:85]
	v_mov_b32_e32 v1, s7
	v_mad_u64_u32 v[66:67], s[12:13], s2, v1, v[66:67]
	s_mul_i32 s3, s3, s7
	v_mov_b32_e32 v68, s26
	v_mov_b32_e32 v69, v85
	s_load_dwordx4 s[8:11], s[0:1], 0x58
	v_add_u32_e32 v1, s3, v67
	v_mad_u64_u32 v[66:67], s[12:13], v66, s6, v[68:69]
	v_mov_b32_e32 v68, v67
	v_mad_u64_u32 v[68:69], s[12:13], v1, s6, v[68:69]
	v_mov_b32_e32 v67, v68
	v_lshlrev_b64 v[66:67], 2, v[66:67]
	s_waitcnt lgkmcnt(0)
	v_lshl_add_u64 v[68:69], s[10:11], 0, v[66:67]
	v_lshl_add_u64 v[66:67], s[8:9], 0, v[66:67]
	global_store_dword v[68:69], v86, off
	global_store_dword v[66:67], v87, off
.LBB274_17:
	s_or_b64 exec, exec, s[4:5]
	v_lshl_or_b32 v1, v88, 9, v78
	s_waitcnt lgkmcnt(0)
	s_barrier
	ds_read_b128 v[70:73], v1
	ds_read_b128 v[66:69], v1 offset:16
	s_waitcnt vmcnt(15) lgkmcnt(1)
	v_mfma_f32_16x16x16_f16 v[76:79], v[30:31], v[70:71], 0
	v_cmp_gt_u32_e32 vcc, 64, v0
	v_cmp_ne_u32_e64 s[4:5], 3, v88
	s_mov_b32 s3, 0
	v_mfma_f32_16x16x16_f16 v[30:33], v[32:33], v[72:73], v[76:79]
	s_and_b64 s[4:5], vcc, s[4:5]
	s_waitcnt vmcnt(14) lgkmcnt(0)
	v_mfma_f32_16x16x16_f16 v[30:33], v[26:27], v[66:67], v[30:33]
	v_mfma_f32_16x16x16_f16 v[26:29], v[28:29], v[68:69], v[30:33]
	s_nop 5
	ds_read_b128 v[30:33], v1 offset:2048
	ds_read_b128 v[76:79], v1 offset:2064
	s_waitcnt vmcnt(13) lgkmcnt(1)
	v_mfma_f32_16x16x16_f16 v[26:29], v[22:23], v[30:31], v[26:29]
	v_mfma_f32_16x16x16_f16 v[22:25], v[24:25], v[32:33], v[26:29]
	s_waitcnt vmcnt(12) lgkmcnt(0)
	v_mfma_f32_16x16x16_f16 v[22:25], v[18:19], v[76:77], v[22:25]
	v_mfma_f32_16x16x16_f16 v[18:21], v[20:21], v[78:79], v[22:25]
	s_nop 5
	ds_read_b128 v[22:25], v1 offset:4096
	ds_read_b128 v[26:29], v1 offset:4112
	s_waitcnt vmcnt(11) lgkmcnt(1)
	v_mfma_f32_16x16x16_f16 v[18:21], v[14:15], v[22:23], v[18:21]
	v_mfma_f32_16x16x16_f16 v[14:17], v[16:17], v[24:25], v[18:21]
	s_waitcnt vmcnt(10) lgkmcnt(0)
	v_mfma_f32_16x16x16_f16 v[14:17], v[10:11], v[26:27], v[14:17]
	v_mfma_f32_16x16x16_f16 v[10:13], v[12:13], v[28:29], v[14:17]
	s_nop 5
	ds_read_b128 v[14:17], v1 offset:6144
	ds_read_b128 v[18:21], v1 offset:6160
	s_waitcnt lgkmcnt(0)
	s_barrier
	s_waitcnt vmcnt(9)
	v_mfma_f32_16x16x16_f16 v[10:13], v[6:7], v[14:15], v[10:13]
	v_mfma_f32_16x16x16_f16 v[6:9], v[8:9], v[16:17], v[10:13]
	s_waitcnt vmcnt(8)
	v_mfma_f32_16x16x16_f16 v[6:9], v[2:3], v[18:19], v[6:9]
	v_mfma_f32_16x16x16_f16 v[2:5], v[4:5], v[20:21], v[6:9]
	;; [unrolled: 3-line block ×3, first 2 shown]
	s_nop 3
	v_cvt_f16_f32_e32 v1, v2
	v_cvt_f16_f32_e32 v10, v3
	;; [unrolled: 1-line block ×3, first 2 shown]
	s_waitcnt vmcnt(6)
	v_mfma_f32_16x16x16_f16 v[6:9], v[38:39], v[66:67], v[6:9]
	v_cvt_f16_f32_e32 v12, v5
	v_mfma_f32_16x16x16_f16 v[6:9], v[40:41], v[68:69], v[6:9]
	s_waitcnt vmcnt(5)
	v_mfma_f32_16x16x16_f16 v[6:9], v[42:43], v[30:31], v[6:9]
	v_mfma_f32_16x16x16_f16 v[6:9], v[44:45], v[32:33], v[6:9]
	s_waitcnt vmcnt(4)
	v_mfma_f32_16x16x16_f16 v[6:9], v[34:35], v[76:77], v[6:9]
	;; [unrolled: 3-line block ×6, first 2 shown]
	v_mfma_f32_16x16x16_f16 v[2:5], v[60:61], v[20:21], v[6:9]
	s_nop 6
	v_cvt_f16_f32_e32 v6, v2
	v_cvt_f16_f32_e32 v7, v3
	;; [unrolled: 1-line block ×4, first 2 shown]
	v_pack_b32_f16 v2, v1, v10
	v_pack_b32_f16 v3, v11, v12
	;; [unrolled: 1-line block ×4, first 2 shown]
	ds_write2st64_b64 v74, v[2:3], v[4:5] offset1:1
	s_waitcnt lgkmcnt(0)
	s_barrier
	s_and_saveexec_b64 s[8:9], s[4:5]
	s_cbranch_execz .LBB274_19
; %bb.18:
	v_lshlrev_b32_e32 v3, 6, v84
	v_lshlrev_b32_e32 v2, 4, v0
	v_lshl_or_b32 v0, v0, 10, v3
	v_lshlrev_b32_e32 v1, 5, v88
	v_and_b32_e32 v2, 16, v2
	v_and_b32_e32 v0, 0x1a00, v0
	v_or3_b32 v0, v0, v1, v2
	ds_read_b128 v[2:5], v0
	scratch_load_dword v0, off, off offset:8 ; 4-byte Folded Reload
	scratch_load_dwordx2 v[6:7], off, off   ; 8-byte Folded Reload
	s_load_dwordx2 s[0:1], s[0:1], 0x68
	s_mul_i32 s2, s7, s2
	s_lshl_b32 s6, s6, 7
	s_mul_hi_u32 s5, s2, s6
	s_mul_i32 s4, s2, s6
	s_lshl_b64 s[4:5], s[4:5], 1
	s_waitcnt lgkmcnt(0)
	s_add_u32 s4, s0, s4
	s_addc_u32 s5, s1, s5
	s_lshl_b32 s2, s26, 7
	s_lshl_b64 s[0:1], s[2:3], 1
	s_add_u32 s0, s4, s0
	s_addc_u32 s1, s5, s1
	s_waitcnt vmcnt(0)
	v_mov_b32_e32 v7, 0
	v_mad_u64_u32 v[0:1], s[2:3], s6, v0, 0
	v_lshl_add_u64 v[0:1], v[0:1], 1, s[0:1]
	v_lshl_add_u64 v[0:1], v[0:1], 0, v[6:7]
	global_store_dwordx4 v[0:1], v[2:5], off
.LBB274_19:
	s_endpgm
	.section	.rodata,"a",@progbits
	.p2align	6, 0x0
	.amdhsa_kernel _Z39paged_attention_ll4mi_QKV_mfma16_kernelIDF16_DF16_LN4vllm18Fp8KVCacheDataTypeE0EDF16_Li16ELi128ELi256ELb1ELi3EEvPKT_PKT0_S7_ifPKiS9_S9_iPKfiiiPfSC_PS2_PT2_iSB_SB_
		.amdhsa_group_segment_fixed_size 8192
		.amdhsa_private_segment_fixed_size 16
		.amdhsa_kernarg_size 400
		.amdhsa_user_sgpr_count 2
		.amdhsa_user_sgpr_dispatch_ptr 0
		.amdhsa_user_sgpr_queue_ptr 0
		.amdhsa_user_sgpr_kernarg_segment_ptr 1
		.amdhsa_user_sgpr_dispatch_id 0
		.amdhsa_user_sgpr_kernarg_preload_length 0
		.amdhsa_user_sgpr_kernarg_preload_offset 0
		.amdhsa_user_sgpr_private_segment_size 0
		.amdhsa_uses_dynamic_stack 0
		.amdhsa_enable_private_segment 1
		.amdhsa_system_sgpr_workgroup_id_x 1
		.amdhsa_system_sgpr_workgroup_id_y 1
		.amdhsa_system_sgpr_workgroup_id_z 1
		.amdhsa_system_sgpr_workgroup_info 0
		.amdhsa_system_vgpr_workitem_id 0
		.amdhsa_next_free_vgpr 96
		.amdhsa_next_free_sgpr 42
		.amdhsa_accum_offset 96
		.amdhsa_reserve_vcc 1
		.amdhsa_float_round_mode_32 0
		.amdhsa_float_round_mode_16_64 0
		.amdhsa_float_denorm_mode_32 3
		.amdhsa_float_denorm_mode_16_64 3
		.amdhsa_dx10_clamp 1
		.amdhsa_ieee_mode 1
		.amdhsa_fp16_overflow 0
		.amdhsa_tg_split 0
		.amdhsa_exception_fp_ieee_invalid_op 0
		.amdhsa_exception_fp_denorm_src 0
		.amdhsa_exception_fp_ieee_div_zero 0
		.amdhsa_exception_fp_ieee_overflow 0
		.amdhsa_exception_fp_ieee_underflow 0
		.amdhsa_exception_fp_ieee_inexact 0
		.amdhsa_exception_int_div_zero 0
	.end_amdhsa_kernel
	.section	.text._Z39paged_attention_ll4mi_QKV_mfma16_kernelIDF16_DF16_LN4vllm18Fp8KVCacheDataTypeE0EDF16_Li16ELi128ELi256ELb1ELi3EEvPKT_PKT0_S7_ifPKiS9_S9_iPKfiiiPfSC_PS2_PT2_iSB_SB_,"axG",@progbits,_Z39paged_attention_ll4mi_QKV_mfma16_kernelIDF16_DF16_LN4vllm18Fp8KVCacheDataTypeE0EDF16_Li16ELi128ELi256ELb1ELi3EEvPKT_PKT0_S7_ifPKiS9_S9_iPKfiiiPfSC_PS2_PT2_iSB_SB_,comdat
.Lfunc_end274:
	.size	_Z39paged_attention_ll4mi_QKV_mfma16_kernelIDF16_DF16_LN4vllm18Fp8KVCacheDataTypeE0EDF16_Li16ELi128ELi256ELb1ELi3EEvPKT_PKT0_S7_ifPKiS9_S9_iPKfiiiPfSC_PS2_PT2_iSB_SB_, .Lfunc_end274-_Z39paged_attention_ll4mi_QKV_mfma16_kernelIDF16_DF16_LN4vllm18Fp8KVCacheDataTypeE0EDF16_Li16ELi128ELi256ELb1ELi3EEvPKT_PKT0_S7_ifPKiS9_S9_iPKfiiiPfSC_PS2_PT2_iSB_SB_
                                        ; -- End function
	.section	.AMDGPU.csdata,"",@progbits
; Kernel info:
; codeLenInByte = 4704
; NumSgprs: 48
; NumVgprs: 96
; NumAgprs: 0
; TotalNumVgprs: 96
; ScratchSize: 16
; MemoryBound: 0
; FloatMode: 240
; IeeeMode: 1
; LDSByteSize: 8192 bytes/workgroup (compile time only)
; SGPRBlocks: 5
; VGPRBlocks: 11
; NumSGPRsForWavesPerEU: 48
; NumVGPRsForWavesPerEU: 96
; AccumOffset: 96
; Occupancy: 5
; WaveLimiterHint : 1
; COMPUTE_PGM_RSRC2:SCRATCH_EN: 1
; COMPUTE_PGM_RSRC2:USER_SGPR: 2
; COMPUTE_PGM_RSRC2:TRAP_HANDLER: 0
; COMPUTE_PGM_RSRC2:TGID_X_EN: 1
; COMPUTE_PGM_RSRC2:TGID_Y_EN: 1
; COMPUTE_PGM_RSRC2:TGID_Z_EN: 1
; COMPUTE_PGM_RSRC2:TIDIG_COMP_CNT: 0
; COMPUTE_PGM_RSRC3_GFX90A:ACCUM_OFFSET: 23
; COMPUTE_PGM_RSRC3_GFX90A:TG_SPLIT: 0
	.section	.text._Z39paged_attention_ll4mi_QKV_mfma16_kernelIDF16_DF16_LN4vllm18Fp8KVCacheDataTypeE0EDF16_Li16ELi128ELi256ELb1ELi4EEvPKT_PKT0_S7_ifPKiS9_S9_iPKfiiiPfSC_PS2_PT2_iSB_SB_,"axG",@progbits,_Z39paged_attention_ll4mi_QKV_mfma16_kernelIDF16_DF16_LN4vllm18Fp8KVCacheDataTypeE0EDF16_Li16ELi128ELi256ELb1ELi4EEvPKT_PKT0_S7_ifPKiS9_S9_iPKfiiiPfSC_PS2_PT2_iSB_SB_,comdat
	.protected	_Z39paged_attention_ll4mi_QKV_mfma16_kernelIDF16_DF16_LN4vllm18Fp8KVCacheDataTypeE0EDF16_Li16ELi128ELi256ELb1ELi4EEvPKT_PKT0_S7_ifPKiS9_S9_iPKfiiiPfSC_PS2_PT2_iSB_SB_ ; -- Begin function _Z39paged_attention_ll4mi_QKV_mfma16_kernelIDF16_DF16_LN4vllm18Fp8KVCacheDataTypeE0EDF16_Li16ELi128ELi256ELb1ELi4EEvPKT_PKT0_S7_ifPKiS9_S9_iPKfiiiPfSC_PS2_PT2_iSB_SB_
	.globl	_Z39paged_attention_ll4mi_QKV_mfma16_kernelIDF16_DF16_LN4vllm18Fp8KVCacheDataTypeE0EDF16_Li16ELi128ELi256ELb1ELi4EEvPKT_PKT0_S7_ifPKiS9_S9_iPKfiiiPfSC_PS2_PT2_iSB_SB_
	.p2align	8
	.type	_Z39paged_attention_ll4mi_QKV_mfma16_kernelIDF16_DF16_LN4vllm18Fp8KVCacheDataTypeE0EDF16_Li16ELi128ELi256ELb1ELi4EEvPKT_PKT0_S7_ifPKiS9_S9_iPKfiiiPfSC_PS2_PT2_iSB_SB_,@function
_Z39paged_attention_ll4mi_QKV_mfma16_kernelIDF16_DF16_LN4vllm18Fp8KVCacheDataTypeE0EDF16_Li16ELi128ELi256ELb1ELi4EEvPKT_PKT0_S7_ifPKiS9_S9_iPKfiiiPfSC_PS2_PT2_iSB_SB_: ; @_Z39paged_attention_ll4mi_QKV_mfma16_kernelIDF16_DF16_LN4vllm18Fp8KVCacheDataTypeE0EDF16_Li16ELi128ELi256ELb1ELi4EEvPKT_PKT0_S7_ifPKiS9_S9_iPKfiiiPfSC_PS2_PT2_iSB_SB_
; %bb.0:
	s_load_dwordx2 s[8:9], s[0:1], 0x30
	s_mov_b32 s20, s3
	s_mov_b64 s[6:7], 0
	s_waitcnt lgkmcnt(0)
	s_cmp_lg_u64 s[8:9], 0
	s_cselect_b64 s[10:11], -1, 0
	s_and_b64 vcc, exec, s[10:11]
	s_cbranch_vccz .LBB275_7
; %bb.1:
	s_add_i32 s12, s2, 1
	s_mov_b32 s13, 0
	s_lshl_b64 s[14:15], s[12:13], 2
	s_add_u32 s14, s8, s14
	s_mov_b32 s3, s13
	s_addc_u32 s15, s9, s15
	s_lshl_b64 s[12:13], s[2:3], 2
	s_add_u32 s12, s8, s12
	s_addc_u32 s13, s9, s13
	s_load_dword s5, s[14:15], 0x0
	s_load_dword s16, s[12:13], 0x0
	s_waitcnt lgkmcnt(0)
	s_sub_i32 s5, s5, s16
	s_cmp_eq_u32 s5, 1
	s_cselect_b64 s[12:13], -1, 0
	s_andn2_b64 vcc, exec, s[6:7]
	s_cbranch_vccnz .LBB275_3
.LBB275_2:
	s_mov_b32 s3, 0
	s_mov_b64 s[12:13], -1
.LBB275_3:
	s_andn2_b64 vcc, exec, s[12:13]
	s_cbranch_vccnz .LBB275_19
; %bb.4:
	s_load_dwordx2 s[6:7], s[0:1], 0x28
	s_lshl_b64 s[12:13], s[2:3], 2
	s_waitcnt lgkmcnt(0)
	s_add_u32 s6, s6, s12
	s_addc_u32 s7, s7, s13
	s_load_dword s33, s[6:7], 0x0
	s_lshl_b32 s18, s20, 8
	s_waitcnt lgkmcnt(0)
	s_cmp_ge_i32 s18, s33
	s_cbranch_scc1 .LBB275_19
; %bb.5:
	s_load_dwordx2 s[6:7], s[0:1], 0x20
	s_load_dword s5, s[0:1], 0x38
	s_add_i32 s14, s33, 15
	s_ashr_i32 s15, s14, 31
	v_and_b32_e32 v1, 0xcf, v0
	s_lshr_b32 s15, s15, 28
	v_add_u32_e32 v1, s18, v1
	s_add_i32 s14, s14, s15
	v_ashrrev_i32_e32 v2, 31, v1
	s_ashr_i32 s19, s14, 4
	v_lshrrev_b32_e32 v4, 28, v2
	s_add_i32 s19, s19, -1
	s_waitcnt lgkmcnt(0)
	s_mul_i32 s14, s2, s5
	s_mov_b32 s15, 0
	v_add_u32_e32 v2, v1, v4
	s_lshl_b64 s[14:15], s[14:15], 2
	v_ashrrev_i32_e32 v2, 4, v2
	v_mov_b32_e32 v5, s19
	v_cmp_gt_i32_e32 vcc, s33, v1
	s_add_u32 s6, s6, s14
	s_addc_u32 s7, s7, s15
	v_cndmask_b32_e32 v2, v5, v2, vcc
	v_ashrrev_i32_e32 v3, 31, v2
	v_lshl_add_u64 v[6:7], v[2:3], 2, s[6:7]
	v_or_b32_e32 v2, 16, v1
	v_add_u32_e32 v3, v2, v4
	v_ashrrev_i32_e32 v3, 4, v3
	v_cmp_gt_i32_e32 vcc, s33, v2
	s_load_dwordx2 s[14:15], s[0:1], 0x8
	s_nop 0
	v_cndmask_b32_e32 v2, v5, v3, vcc
	v_ashrrev_i32_e32 v3, 31, v2
	v_lshl_add_u64 v[8:9], v[2:3], 2, s[6:7]
	v_or_b32_e32 v2, 32, v1
	v_add_u32_e32 v3, v2, v4
	v_ashrrev_i32_e32 v3, 4, v3
	v_cmp_gt_i32_e32 vcc, s33, v2
	v_or_b32_e32 v1, 48, v1
	s_nop 0
	v_cndmask_b32_e32 v2, v5, v3, vcc
	v_ashrrev_i32_e32 v3, 31, v2
	v_lshl_add_u64 v[10:11], v[2:3], 2, s[6:7]
	v_add_u32_e32 v2, v1, v4
	v_ashrrev_i32_e32 v2, 4, v2
	v_cmp_gt_i32_e32 vcc, s33, v1
	s_nop 1
	v_cndmask_b32_e32 v2, v5, v2, vcc
	v_ashrrev_i32_e32 v3, 31, v2
	v_lshl_add_u64 v[12:13], v[2:3], 2, s[6:7]
	global_load_dword v5, v[6:7], off
	global_load_dword v4, v[8:9], off
	;; [unrolled: 1-line block ×4, first 2 shown]
	s_andn2_b64 vcc, exec, s[10:11]
	s_cbranch_vccnz .LBB275_8
; %bb.6:
	s_add_u32 s8, s8, s12
	s_addc_u32 s9, s9, s13
	s_load_dword s5, s[8:9], 0x0
	s_branch .LBB275_9
.LBB275_7:
	s_mov_b64 s[12:13], 0
	s_branch .LBB275_2
.LBB275_8:
	s_mov_b32 s5, s2
.LBB275_9:
	v_bfe_u32 v93, v0, 4, 2
	s_lshl_b32 s21, s4, 2
	v_or_b32_e32 v6, s21, v93
	scratch_store_dword off, v6, off        ; 4-byte Folded Spill
	s_load_dwordx2 s[12:13], s[0:1], 0x10
	s_load_dwordx4 s[8:11], s[0:1], 0x48
	v_and_b32_e32 v94, 15, v0
	v_lshlrev_b32_e32 v7, 3, v94
	v_lshrrev_b32_e32 v90, 6, v0
	v_and_b32_e32 v6, 3, v0
	v_cmp_gt_u32_e64 s[22:23], 64, v0
	v_lshlrev_b32_e32 v82, 1, v7
	v_lshlrev_b32_e32 v1, 5, v93
	scratch_store_dword off, v1, off offset:4 ; 4-byte Folded Spill
	s_and_saveexec_b64 s[16:17], s[22:23]
	s_cbranch_execz .LBB275_11
; %bb.10:
	scratch_load_dword v7, off, off         ; 4-byte Folded Reload
	s_load_dwordx2 s[24:25], s[0:1], 0x0
	s_waitcnt lgkmcnt(0)
	s_ashr_i32 s11, s8, 31
	s_mul_hi_u32 s26, s5, s8
	s_mul_i32 s11, s5, s11
	s_add_i32 s27, s26, s11
	s_mul_i32 s26, s5, s8
	s_lshl_b64 s[26:27], s[26:27], 1
	s_add_u32 s24, s24, s26
	s_addc_u32 s25, s25, s27
	v_mov_b32_e32 v83, 0
	v_lshlrev_b32_e32 v1, 5, v93
	v_lshlrev_b32_e32 v13, 9, v94
	;; [unrolled: 1-line block ×3, first 2 shown]
	v_and_b32_e32 v13, 0x1800, v13
	s_waitcnt vmcnt(0)
	v_lshlrev_b32_e32 v8, 7, v7
	v_ashrrev_i32_e32 v9, 31, v8
	v_lshl_add_u64 v[8:9], v[8:9], 1, s[24:25]
	v_lshl_add_u64 v[8:9], v[8:9], 0, v[82:83]
	global_load_dwordx4 v[8:11], v[8:9], off
	v_lshl_or_b32 v7, v90, 7, v1
	v_or3_b32 v7, v13, v12, v7
	s_waitcnt vmcnt(0)
	ds_write_b128 v7, v[8:11]
.LBB275_11:
	s_or_b64 exec, exec, s[16:17]
	s_waitcnt lgkmcnt(0)
	s_mul_i32 s4, s4, s10
	s_mov_b32 s5, 0
	s_lshl_b64 s[4:5], s[4:5], 1
	s_add_u32 s10, s14, s4
	v_lshlrev_b32_e32 v1, 4, v0
	s_addc_u32 s11, s15, s5
	v_and_b32_e32 v84, 0xf0, v1
	v_mov_b32_e32 v85, 0
	v_lshl_add_u64 v[8:9], s[10:11], 0, v[84:85]
	s_waitcnt vmcnt(5)
	v_mad_i64_i32 v[10:11], s[10:11], v5, s9, 0
	s_waitcnt vmcnt(4)
	v_mad_i64_i32 v[4:5], s[10:11], v4, s9, 0
	v_lshl_add_u64 v[10:11], v[10:11], 1, v[8:9]
	v_and_b32_e32 v84, 0x300, v1
	v_lshl_add_u64 v[4:5], v[4:5], 1, v[8:9]
	v_lshl_add_u64 v[10:11], v[10:11], 0, v[84:85]
	;; [unrolled: 1-line block ×3, first 2 shown]
	s_barrier
	global_load_dwordx4 v[78:81], v[10:11], off
	global_load_dwordx4 v[74:77], v[10:11], off offset:1024
	global_load_dwordx4 v[70:73], v[10:11], off offset:2048
	;; [unrolled: 1-line block ×3, first 2 shown]
	global_load_dwordx4 v[66:69], v[4:5], off
	global_load_dwordx4 v[62:65], v[4:5], off offset:1024
	global_load_dwordx4 v[58:61], v[4:5], off offset:2048
	;; [unrolled: 1-line block ×3, first 2 shown]
	s_waitcnt vmcnt(11)
	v_mad_i64_i32 v[4:5], s[10:11], v3, s9, 0
	s_waitcnt vmcnt(10)
	v_mad_i64_i32 v[2:3], s[10:11], v2, s9, 0
	v_lshl_add_u64 v[4:5], v[4:5], 1, v[8:9]
	v_lshl_add_u64 v[2:3], v[2:3], 1, v[8:9]
	;; [unrolled: 1-line block ×4, first 2 shown]
	global_load_dwordx4 v[54:57], v[4:5], off
	global_load_dwordx4 v[30:33], v[4:5], off offset:1024
	global_load_dwordx4 v[26:29], v[4:5], off offset:2048
	;; [unrolled: 1-line block ×3, first 2 shown]
	global_load_dwordx4 v[10:13], v[8:9], off
	s_nop 0
	global_load_dwordx4 v[2:5], v[8:9], off offset:1024
	global_load_dwordx4 v[42:45], v[8:9], off offset:2048
	;; [unrolled: 1-line block ×3, first 2 shown]
	v_lshlrev_b32_e32 v6, 5, v6
	v_lshl_or_b32 v38, v93, 9, v6
	ds_read_b128 v[50:53], v38
	ds_read_b128 v[6:9], v38 offset:2048
	ds_read_b128 v[46:49], v38 offset:4096
	;; [unrolled: 1-line block ×3, first 2 shown]
	v_and_b32_e32 v1, 63, v0
	v_cmp_gt_u32_e32 vcc, 4, v94
	v_mov_b32_e32 v92, 0
	s_and_saveexec_b64 s[10:11], vcc
	s_cbranch_execz .LBB275_13
; %bb.12:
	s_load_dwordx2 s[14:15], s[0:1], 0x40
	v_or_b32_e32 v86, s21, v94
	v_ashrrev_i32_e32 v87, 31, v86
	s_waitcnt lgkmcnt(0)
	v_lshl_add_u64 v[86:87], v[86:87], 2, s[14:15]
	global_load_dword v92, v[86:87], off
.LBB275_13:
	s_or_b64 exec, exec, s[10:11]
	s_waitcnt vmcnt(15) lgkmcnt(3)
	v_mfma_f32_16x16x16_f16 v[86:89], v[78:79], v[50:51], 0
	s_add_u32 s4, s12, s4
	v_lshl_or_b32 v91, v90, 4, v94
	s_addc_u32 s5, s13, s5
	v_mfma_f32_16x16x16_f16 v[78:81], v[80:81], v[52:53], v[86:89]
	v_lshlrev_b32_e32 v84, 5, v91
	s_mov_b32 s42, 0xff7fffff
	s_waitcnt vmcnt(14) lgkmcnt(2)
	v_mfma_f32_16x16x16_f16 v[78:81], v[74:75], v[6:7], v[78:81]
	v_mfma_f32_16x16x16_f16 v[74:77], v[76:77], v[8:9], v[78:81]
	s_waitcnt vmcnt(13) lgkmcnt(1)
	v_mfma_f32_16x16x16_f16 v[74:77], v[70:71], v[46:47], v[74:77]
	v_mfma_f32_16x16x16_f16 v[70:73], v[72:73], v[48:49], v[74:77]
	s_waitcnt vmcnt(11)
	v_mfma_f32_16x16x16_f16 v[74:77], v[66:67], v[50:51], 0
	v_mfma_f32_16x16x16_f16 v[66:69], v[68:69], v[52:53], v[74:77]
	s_nop 5
	v_and_or_b32 v74, v0, 48, s18
	s_waitcnt lgkmcnt(0)
	v_mfma_f32_16x16x16_f16 v[70:73], v[14:15], v[38:39], v[70:73]
	v_ashrrev_i32_e32 v14, 4, v74
	v_mov_b32_e32 v75, s19
	v_cmp_gt_i32_e32 vcc, s33, v74
	s_waitcnt vmcnt(10)
	v_mfma_f32_16x16x16_f16 v[66:69], v[62:63], v[6:7], v[66:69]
	v_cndmask_b32_e32 v14, v75, v14, vcc
	v_ashrrev_i32_e32 v15, 31, v14
	v_lshl_add_u64 v[14:15], v[14:15], 2, s[6:7]
	global_load_dword v76, v[14:15], off
	v_or_b32_e32 v14, 64, v74
	v_ashrrev_i32_e32 v15, 4, v14
	v_cmp_gt_i32_e32 vcc, s33, v14
	v_mfma_f32_16x16x16_f16 v[62:65], v[64:65], v[8:9], v[66:69]
	s_nop 0
	v_cndmask_b32_e32 v14, v75, v15, vcc
	v_ashrrev_i32_e32 v15, 31, v14
	v_lshl_add_u64 v[14:15], v[14:15], 2, s[6:7]
	global_load_dword v78, v[14:15], off
	s_waitcnt vmcnt(11)
	v_mfma_f32_16x16x16_f16 v[62:65], v[58:59], v[46:47], v[62:65]
	v_or_b32_e32 v14, 0x80, v74
	v_ashrrev_i32_e32 v15, 4, v14
	v_cmp_gt_i32_e32 vcc, s33, v14
	v_mfma_f32_16x16x16_f16 v[58:61], v[60:61], v[48:49], v[62:65]
	s_nop 0
	v_cndmask_b32_e32 v14, v75, v15, vcc
	v_ashrrev_i32_e32 v15, 31, v14
	s_waitcnt vmcnt(9)
	v_mfma_f32_16x16x16_f16 v[62:65], v[54:55], v[50:51], 0
	v_lshl_add_u64 v[14:15], v[14:15], 2, s[6:7]
	v_mfma_f32_16x16x16_f16 v[54:57], v[56:57], v[52:53], v[62:65]
	s_nop 4
	global_load_dword v62, v[14:15], off
	v_or_b32_e32 v14, 0xc0, v74
	v_ashrrev_i32_e32 v15, 4, v14
	v_cmp_gt_i32_e32 vcc, s33, v14
	s_waitcnt vmcnt(9)
	v_mfma_f32_16x16x16_f16 v[54:57], v[30:31], v[6:7], v[54:57]
	v_cndmask_b32_e32 v14, v75, v15, vcc
	v_ashrrev_i32_e32 v15, 31, v14
	v_lshl_add_u64 v[14:15], v[14:15], 2, s[6:7]
	global_load_dword v74, v[14:15], off
	v_mfma_f32_16x16x16_f16 v[30:33], v[32:33], v[8:9], v[54:57]
	s_load_dword s6, s[0:1], 0x1c
	s_waitcnt vmcnt(3)
	v_mad_i64_i32 v[14:15], s[10:11], v76, s9, 0
	v_mfma_f32_16x16x16_f16 v[30:33], v[26:27], v[46:47], v[30:33]
	v_lshlrev_b64 v[76:77], 1, v[14:15]
	v_mfma_f32_16x16x16_f16 v[64:67], v[16:17], v[40:41], v[70:73]
	v_mfma_f32_16x16x16_f16 v[14:17], v[28:29], v[48:49], v[30:33]
	s_nop 1
	v_lshl_add_u64 v[72:73], s[4:5], 0, v[84:85]
	v_or_b32_e32 v84, 0x800, v84
	v_mfma_f32_16x16x16_f16 v[54:57], v[22:23], v[38:39], v[58:61]
	v_lshl_add_u64 v[22:23], v[72:73], 0, v[76:77]
	global_load_dwordx4 v[30:33], v[22:23], off
	global_load_dwordx4 v[26:29], v[22:23], off offset:16
	v_mfma_f32_16x16x16_f16 v[14:17], v[18:19], v[38:39], v[14:17]
	s_waitcnt vmcnt(4)
	v_mad_i64_i32 v[18:19], s[10:11], v78, s9, 0
	v_mfma_f32_16x16x16_f16 v[68:71], v[24:25], v[40:41], v[54:57]
	s_nop 2
	v_lshlrev_b64 v[54:55], 1, v[18:19]
	v_mfma_f32_16x16x16_f16 v[86:89], v[20:21], v[40:41], v[14:17]
	s_nop 2
	v_lshl_add_u64 v[14:15], v[72:73], 0, v[54:55]
	global_load_dwordx4 v[22:25], v[14:15], off
	global_load_dwordx4 v[18:21], v[14:15], off offset:16
	v_mfma_f32_16x16x16_f16 v[14:17], v[10:11], v[50:51], 0
	s_waitcnt vmcnt(5)
	v_mad_i64_i32 v[10:11], s[10:11], v62, s9, 0
	v_lshlrev_b64 v[50:51], 1, v[10:11]
	v_mfma_f32_16x16x16_f16 v[56:59], v[12:13], v[52:53], v[14:17]
	v_lshl_add_u64 v[10:11], v[72:73], 0, v[50:51]
	s_waitcnt lgkmcnt(0)
	v_pk_mul_f32 v[78:79], s[6:7], v[88:89] op_sel_hi:[0,1]
	global_load_dwordx4 v[14:17], v[10:11], off
	s_nop 0
	global_load_dwordx4 v[10:13], v[10:11], off offset:16
	v_mfma_f32_16x16x16_f16 v[60:63], v[2:3], v[6:7], v[56:59]
	s_waitcnt vmcnt(6)
	v_mad_i64_i32 v[2:3], s[8:9], v74, s9, 0
	v_mfma_f32_16x16x16_f16 v[60:63], v[4:5], v[8:9], v[60:63]
	v_lshlrev_b64 v[58:59], 1, v[2:3]
	v_lshl_add_u64 v[2:3], v[72:73], 0, v[58:59]
	global_load_dwordx4 v[6:9], v[2:3], off
	s_nop 0
	global_load_dwordx4 v[2:5], v[2:3], off offset:16
	v_mfma_f32_16x16x16_f16 v[72:75], v[42:43], v[46:47], v[60:63]
	v_mfma_f32_16x16x16_f16 v[44:47], v[44:45], v[48:49], v[72:75]
	s_nop 1
	v_lshl_add_u64 v[62:63], s[4:5], 0, v[84:85]
	v_lshl_add_u64 v[42:43], v[62:63], 0, v[76:77]
	v_pk_mul_f32 v[76:77], s[6:7], v[66:67] op_sel_hi:[0,1]
	v_mfma_f32_16x16x16_f16 v[44:47], v[34:35], v[38:39], v[44:47]
	v_pk_mul_f32 v[60:61], s[6:7], v[64:65] op_sel_hi:[0,1]
	v_pk_mul_f32 v[74:75], s[6:7], v[70:71] op_sel_hi:[0,1]
	v_pk_mul_f32 v[66:67], s[6:7], v[68:69] op_sel_hi:[0,1]
	v_mfma_f32_16x16x16_f16 v[34:37], v[36:37], v[40:41], v[44:47]
	v_pk_mul_f32 v[70:71], s[6:7], v[86:87] op_sel_hi:[0,1]
	v_lshl_add_u64 v[50:51], v[62:63], 0, v[50:51]
	v_lshl_add_u64 v[58:59], v[62:63], 0, v[58:59]
	s_nop 3
	v_pk_mul_f32 v[72:73], s[6:7], v[34:35] op_sel_hi:[0,1]
	v_and_b32_e32 v34, 0xc0, v0
	v_add_u32_e32 v34, s18, v34
	v_lshl_or_b32 v34, v93, 2, v34
	v_or_b32_e32 v35, 1, v34
	v_pk_mul_f32 v[80:81], s[6:7], v[36:37] op_sel_hi:[0,1]
	v_subrev_u32_e32 v36, s33, v35
	v_add_u32_e32 v38, 1, v36
	v_add_u32_e32 v39, 2, v36
	v_cvt_f32_i32_e32 v37, v36
	v_cvt_f32_i32_e32 v38, v38
	;; [unrolled: 1-line block ×3, first 2 shown]
	v_add_u32_e32 v40, 3, v36
	v_fma_f32 v60, v92, v37, v60
	v_fmac_f32_e32 v61, v92, v38
	v_fma_f32 v76, v92, v39, v76
	v_add_u32_e32 v37, 16, v36
	v_add_u32_e32 v38, 17, v36
	v_add_u32_e32 v39, 18, v36
	v_cvt_f32_i32_e32 v40, v40
	v_cvt_f32_i32_e32 v37, v37
	;; [unrolled: 1-line block ×4, first 2 shown]
	v_fmac_f32_e32 v77, v92, v40
	v_add_u32_e32 v40, 19, v36
	v_fma_f32 v66, v92, v37, v66
	v_fmac_f32_e32 v67, v92, v38
	v_fma_f32 v74, v92, v39, v74
	v_add_u32_e32 v37, 32, v36
	v_add_u32_e32 v38, 33, v36
	;; [unrolled: 1-line block ×3, first 2 shown]
	v_cvt_f32_i32_e32 v40, v40
	v_cvt_f32_i32_e32 v37, v37
	;; [unrolled: 1-line block ×4, first 2 shown]
	v_fmac_f32_e32 v75, v92, v40
	v_add_u32_e32 v40, 35, v36
	v_fma_f32 v70, v92, v37, v70
	v_fmac_f32_e32 v71, v92, v38
	v_fma_f32 v78, v92, v39, v78
	v_add_u32_e32 v37, 48, v36
	v_add_u32_e32 v38, 49, v36
	;; [unrolled: 1-line block ×4, first 2 shown]
	v_cvt_f32_i32_e32 v36, v36
	v_cvt_f32_i32_e32 v37, v37
	;; [unrolled: 1-line block ×3, first 2 shown]
	v_cmp_gt_i32_e64 s[4:5], s33, v34
	v_fmac_f32_e32 v81, v92, v36
	v_mov_b32_e32 v36, 0xff7fffff
	v_cmp_gt_i32_e64 s[24:25], s33, v35
	v_fma_f32 v72, v92, v37, v72
	v_cndmask_b32_e64 v37, v36, v60, s[4:5]
	v_cndmask_b32_e64 v35, v36, v61, s[24:25]
	v_fmac_f32_e32 v73, v92, v38
	v_max3_f32 v35, v37, s42, v35
	v_or_b32_e32 v37, 2, v34
	v_or_b32_e32 v38, 3, v34
	v_cmp_gt_i32_e64 s[26:27], s33, v37
	v_cmp_gt_i32_e64 s[28:29], s33, v38
	v_cvt_f32_i32_e32 v40, v40
	v_cndmask_b32_e64 v37, v36, v76, s[26:27]
	v_cndmask_b32_e64 v38, v36, v77, s[28:29]
	v_max3_f32 v35, v35, v37, v38
	v_or_b32_e32 v37, 16, v34
	v_or_b32_e32 v38, 17, v34
	v_cmp_gt_i32_e64 s[30:31], s33, v37
	v_cmp_gt_i32_e64 s[34:35], s33, v38
	v_fmac_f32_e32 v79, v92, v40
	v_cndmask_b32_e64 v37, v36, v66, s[30:31]
	v_cndmask_b32_e64 v38, v36, v67, s[34:35]
	v_max3_f32 v35, v35, v37, v38
	v_or_b32_e32 v37, 18, v34
	v_or_b32_e32 v38, 19, v34
	v_cmp_gt_i32_e64 s[36:37], s33, v37
	v_cmp_gt_i32_e64 s[38:39], s33, v38
	v_cvt_f32_i32_e32 v39, v39
	v_cndmask_b32_e64 v37, v36, v74, s[36:37]
	v_cndmask_b32_e64 v38, v36, v75, s[38:39]
	v_max3_f32 v35, v35, v37, v38
	v_or_b32_e32 v37, 32, v34
	v_or_b32_e32 v38, 33, v34
	v_cmp_gt_i32_e64 s[16:17], s33, v37
	v_cmp_gt_i32_e64 s[18:19], s33, v38
	v_fma_f32 v80, v92, v39, v80
	v_cndmask_b32_e64 v37, v36, v70, s[16:17]
	v_cndmask_b32_e64 v38, v36, v71, s[18:19]
	v_max3_f32 v35, v35, v37, v38
	v_or_b32_e32 v37, 34, v34
	v_or_b32_e32 v38, 35, v34
	v_cmp_gt_i32_e64 s[12:13], s33, v37
	v_cmp_gt_i32_e64 s[14:15], s33, v38
	s_nop 0
	v_cndmask_b32_e64 v37, v36, v78, s[12:13]
	v_cndmask_b32_e64 v38, v36, v79, s[14:15]
	v_max3_f32 v35, v35, v37, v38
	v_or_b32_e32 v37, 48, v34
	v_or_b32_e32 v38, 49, v34
	v_cmp_gt_i32_e64 s[8:9], s33, v37
	v_cmp_gt_i32_e64 s[10:11], s33, v38
	s_nop 0
	v_cndmask_b32_e64 v37, v36, v72, s[8:9]
	v_cndmask_b32_e64 v38, v36, v73, s[10:11]
	v_max3_f32 v35, v35, v37, v38
	v_or_b32_e32 v37, 50, v34
	v_or_b32_e32 v34, 51, v34
	v_cmp_gt_i32_e32 vcc, s33, v37
	v_cmp_gt_i32_e64 s[6:7], s33, v34
	global_load_dwordx4 v[46:49], v[42:43], off
	global_load_dwordx4 v[38:41], v[42:43], off offset:16
	v_cndmask_b32_e32 v37, v36, v80, vcc
	v_cndmask_b32_e64 v34, v36, v81, s[6:7]
	v_max3_f32 v52, v35, v37, v34
	v_mbcnt_lo_u32_b32 v34, -1, 0
	v_mbcnt_hi_u32_b32 v53, -1, v34
	v_and_b32_e32 v34, 64, v53
	v_add_u32_e32 v56, 64, v34
	v_xor_b32_e32 v34, 32, v53
	v_cmp_lt_i32_e64 s[40:41], v34, v56
	s_nop 1
	v_cndmask_b32_e64 v34, v53, v34, s[40:41]
	v_lshlrev_b32_e32 v86, 2, v34
	ds_bpermute_b32 v57, v86, v52
	v_lshl_add_u64 v[34:35], v[62:63], 0, v[54:55]
	global_load_dwordx4 v[42:45], v[34:35], off
	s_nop 0
	global_load_dwordx4 v[34:37], v[34:35], off offset:16
	s_waitcnt lgkmcnt(0)
	v_max_f32_e32 v54, v57, v57
	v_max_f32_e32 v64, v52, v54
	v_xor_b32_e32 v52, 16, v53
	v_cmp_lt_i32_e64 s[40:41], v52, v56
	s_nop 1
	v_cndmask_b32_e64 v52, v53, v52, s[40:41]
	v_lshlrev_b32_e32 v85, 2, v52
	ds_bpermute_b32 v65, v85, v64
	global_load_dwordx4 v[54:57], v[50:51], off
	s_nop 0
	global_load_dwordx4 v[50:53], v[50:51], off offset:16
	s_waitcnt lgkmcnt(0)
	v_max_f32_e32 v62, v65, v65
	v_max_f32_e32 v84, v64, v62
	v_sub_f32_e32 v60, v60, v84
	v_mul_f32_e32 v60, 0x3fb8aa3b, v60
	v_exp_f32_e32 v68, v60
	v_sub_f32_e32 v60, v61, v84
	v_mul_f32_e32 v60, 0x3fb8aa3b, v60
	v_exp_f32_e32 v69, v60
	global_load_dwordx4 v[62:65], v[58:59], off
	s_nop 0
	global_load_dwordx4 v[58:61], v[58:59], off offset:16
	v_sub_f32_e32 v76, v76, v84
	v_mul_f32_e32 v76, 0x3fb8aa3b, v76
	v_sub_f32_e32 v77, v77, v84
	v_exp_f32_e32 v76, v76
	v_mul_f32_e32 v77, 0x3fb8aa3b, v77
	v_sub_f32_e32 v66, v66, v84
	v_exp_f32_e32 v77, v77
	v_mul_f32_e32 v66, 0x3fb8aa3b, v66
	v_sub_f32_e32 v67, v67, v84
	v_cndmask_b32_e64 v68, 0, v68, s[4:5]
	v_exp_f32_e32 v66, v66
	v_mul_f32_e32 v67, 0x3fb8aa3b, v67
	v_sub_f32_e32 v74, v74, v84
	v_add_f32_e32 v87, 0, v68
	v_cndmask_b32_e64 v69, 0, v69, s[24:25]
	v_exp_f32_e32 v67, v67
	v_mul_f32_e32 v74, 0x3fb8aa3b, v74
	v_sub_f32_e32 v75, v75, v84
	v_add_f32_e32 v87, v87, v69
	;; [unrolled: 5-line block ×10, first 2 shown]
	v_cndmask_b32_e64 v78, 0, v78, s[12:13]
	v_exp_f32_e32 v80, v80
	v_mul_f32_e32 v81, 0x3fb8aa3b, v81
	v_add_f32_e32 v87, v87, v78
	v_cndmask_b32_e64 v79, 0, v79, s[14:15]
	v_exp_f32_e32 v81, v81
	v_add_f32_e32 v87, v87, v79
	v_cndmask_b32_e64 v72, 0, v72, s[8:9]
	v_add_f32_e32 v87, v87, v72
	v_cndmask_b32_e64 v73, 0, v73, s[10:11]
	v_add_f32_e32 v87, v87, v73
	v_cndmask_b32_e32 v80, 0, v80, vcc
	v_add_f32_e32 v87, v87, v80
	v_cndmask_b32_e64 v81, 0, v81, s[6:7]
	v_add_f32_e32 v92, v87, v81
	ds_bpermute_b32 v93, v86, v92
	s_load_dword s7, s[0:1], 0x98
	v_cmp_gt_u32_e32 vcc, 16, v1
	s_waitcnt lgkmcnt(0)
	s_barrier
	v_add_f32_e32 v92, v92, v93
	ds_bpermute_b32 v85, v85, v92
	s_waitcnt lgkmcnt(0)
	s_and_saveexec_b64 s[4:5], vcc
	s_cbranch_execz .LBB275_15
; %bb.14:
	v_add_f32_e32 v85, v92, v85
	v_lshlrev_b32_e32 v86, 2, v91
	ds_write2st64_b32 v86, v84, v85 offset1:1
.LBB275_15:
	s_or_b64 exec, exec, s[4:5]
	v_lshlrev_b32_e32 v85, 2, v94
	s_load_dword s6, s[0:1], 0x94
	s_waitcnt lgkmcnt(0)
	s_barrier
	ds_read2_b32 v[86:87], v85 offset1:16
	ds_read2_b32 v[88:89], v85 offset0:32 offset1:48
	ds_read2_b32 v[92:93], v85 offset0:64 offset1:80
	v_mov_b32_e32 v1, v94
	s_lshl_b32 s7, s7, 2
	s_waitcnt lgkmcnt(2)
	v_max3_f32 v84, v86, s42, v87
	s_waitcnt lgkmcnt(1)
	v_max3_f32 v84, v84, v88, v89
	v_sub_f32_e32 v86, v86, v84
	v_mul_f32_e32 v86, 0x3fb8aa3b, v86
	v_exp_f32_e32 v91, v86
	v_sub_f32_e32 v86, v87, v84
	v_mul_f32_e32 v86, 0x3fb8aa3b, v86
	v_exp_f32_e32 v95, v86
	;; [unrolled: 3-line block ×3, first 2 shown]
	ds_read2_b32 v[86:87], v85 offset0:96 offset1:112
	v_sub_f32_e32 v85, v89, v84
	v_mul_f32_e32 v85, 0x3fb8aa3b, v85
	v_exp_f32_e32 v89, v85
	s_waitcnt lgkmcnt(1)
	v_fma_f32 v85, v91, v92, 0
	v_fmac_f32_e32 v85, v95, v93
	s_waitcnt lgkmcnt(0)
	v_fmac_f32_e32 v85, v88, v86
	v_fmac_f32_e32 v85, v89, v87
	v_add_f32_e32 v86, 0x358637bd, v85
	v_div_scale_f32 v87, s[4:5], v86, v86, 1.0
	v_rcp_f32_e32 v92, v87
	s_barrier
	v_fma_f32 v93, -v87, v92, 1.0
	v_fmac_f32_e32 v92, v93, v92
	v_div_scale_f32 v93, vcc, 1.0, v86, 1.0
	v_mul_f32_e32 v83, v93, v92
	v_fma_f32 v94, -v87, v83, v93
	v_fmac_f32_e32 v83, v94, v92
	v_fma_f32 v87, -v87, v83, v93
	v_div_fmas_f32 v83, v87, v92, v83
	v_cmp_eq_u32_e32 vcc, 1, v90
	v_div_fixup_f32 v83, v83, v86, 1.0
	v_mov_b32_e32 v94, v1
	v_cndmask_b32_e32 v86, v91, v95, vcc
	v_cmp_eq_u32_e32 vcc, 2, v90
	v_bfe_u32 v1, v0, 4, 2
	s_nop 0
	v_cndmask_b32_e32 v86, v86, v88, vcc
	v_cmp_eq_u32_e32 vcc, 3, v90
	s_nop 1
	v_cndmask_b32_e32 v86, v86, v89, vcc
	v_mul_f32_e32 v86, v86, v83
	v_pk_mul_f32 v[76:77], v[86:87], v[76:77] op_sel_hi:[0,1]
	v_cvt_f16_f32_e32 v83, v76
	v_cvt_f16_f32_e32 v77, v77
	v_pk_mul_f32 v[68:69], v[86:87], v[68:69] op_sel_hi:[0,1]
	v_cvt_f16_f32_e32 v68, v68
	v_cvt_f16_f32_e32 v69, v69
	v_pk_mul_f32 v[74:75], v[86:87], v[74:75] op_sel_hi:[0,1]
	v_pk_mul_f32 v[66:67], v[86:87], v[66:67] op_sel_hi:[0,1]
	v_pack_b32_f16 v77, v83, v77
	v_cvt_f16_f32_e32 v66, v66
	v_cvt_f16_f32_e32 v67, v67
	;; [unrolled: 1-line block ×4, first 2 shown]
	v_pack_b32_f16 v76, v68, v69
	v_lshlrev_b32_e32 v69, 3, v1
	v_lshlrev_b32_e32 v68, 5, v94
	;; [unrolled: 1-line block ×3, first 2 shown]
	v_or3_b32 v74, v74, v68, v69
	v_pack_b32_f16 v66, v66, v67
	v_pack_b32_f16 v67, v83, v75
	ds_write2st64_b64 v74, v[76:77], v[66:67] offset1:1
	v_pk_mul_f32 v[66:67], v[86:87], v[78:79] op_sel_hi:[0,1]
	v_pk_mul_f32 v[70:71], v[86:87], v[70:71] op_sel_hi:[0,1]
	v_cvt_f16_f32_e32 v69, v70
	v_cvt_f16_f32_e32 v75, v71
	;; [unrolled: 1-line block ×4, first 2 shown]
	v_pk_mul_f32 v[66:67], v[86:87], v[80:81] op_sel_hi:[0,1]
	v_pk_mul_f32 v[70:71], v[86:87], v[72:73] op_sel_hi:[0,1]
	v_cvt_f16_f32_e32 v70, v70
	v_cvt_f16_f32_e32 v71, v71
	;; [unrolled: 1-line block ×4, first 2 shown]
	v_pack_b32_f16 v66, v69, v75
	v_pack_b32_f16 v67, v76, v77
	;; [unrolled: 1-line block ×4, first 2 shown]
	v_cmp_gt_u32_e32 vcc, 4, v0
	ds_write2st64_b64 v74, v[66:67], v[70:71] offset0:2 offset1:3
	s_and_saveexec_b64 s[4:5], vcc
	s_cbranch_execz .LBB275_17
; %bb.16:
	v_or_b32_e32 v66, s21, v0
	v_mov_b32_e32 v67, 0
	v_mov_b32_e32 v69, s7
	v_mad_u64_u32 v[70:71], s[12:13], s2, v69, v[66:67]
	v_mov_b32_e32 v66, s20
	s_load_dwordx4 s[8:11], s[0:1], 0x58
	s_mul_i32 s3, s3, s7
	v_mad_u64_u32 v[66:67], s[12:13], v70, s6, v[66:67]
	v_add_u32_e32 v69, s3, v71
	v_mov_b32_e32 v70, v67
	v_mad_u64_u32 v[70:71], s[12:13], v69, s6, v[70:71]
	v_mov_b32_e32 v67, v70
	v_lshlrev_b64 v[66:67], 2, v[66:67]
	s_waitcnt lgkmcnt(0)
	v_lshl_add_u64 v[70:71], s[10:11], 0, v[66:67]
	v_lshl_add_u64 v[66:67], s[8:9], 0, v[66:67]
	global_store_dword v[70:71], v84, off
	global_store_dword v[66:67], v85, off
.LBB275_17:
	s_or_b64 exec, exec, s[4:5]
	v_lshl_or_b32 v1, v1, 9, v68
	s_waitcnt lgkmcnt(0)
	s_barrier
	ds_read_b128 v[70:73], v1
	ds_read_b128 v[66:69], v1 offset:16
	s_waitcnt vmcnt(15) lgkmcnt(1)
	v_mfma_f32_16x16x16_f16 v[76:79], v[30:31], v[70:71], 0
	s_mov_b32 s3, 0
	v_mfma_f32_16x16x16_f16 v[30:33], v[32:33], v[72:73], v[76:79]
	s_waitcnt vmcnt(14) lgkmcnt(0)
	v_mfma_f32_16x16x16_f16 v[30:33], v[26:27], v[66:67], v[30:33]
	v_mfma_f32_16x16x16_f16 v[26:29], v[28:29], v[68:69], v[30:33]
	s_nop 5
	ds_read_b128 v[30:33], v1 offset:2048
	ds_read_b128 v[76:79], v1 offset:2064
	s_waitcnt vmcnt(13) lgkmcnt(1)
	v_mfma_f32_16x16x16_f16 v[26:29], v[22:23], v[30:31], v[26:29]
	v_mfma_f32_16x16x16_f16 v[22:25], v[24:25], v[32:33], v[26:29]
	s_waitcnt vmcnt(12) lgkmcnt(0)
	v_mfma_f32_16x16x16_f16 v[22:25], v[18:19], v[76:77], v[22:25]
	v_mfma_f32_16x16x16_f16 v[18:21], v[20:21], v[78:79], v[22:25]
	s_nop 5
	ds_read_b128 v[22:25], v1 offset:4096
	ds_read_b128 v[26:29], v1 offset:4112
	s_waitcnt vmcnt(11) lgkmcnt(1)
	v_mfma_f32_16x16x16_f16 v[18:21], v[14:15], v[22:23], v[18:21]
	v_mfma_f32_16x16x16_f16 v[14:17], v[16:17], v[24:25], v[18:21]
	s_waitcnt vmcnt(10) lgkmcnt(0)
	v_mfma_f32_16x16x16_f16 v[14:17], v[10:11], v[26:27], v[14:17]
	v_mfma_f32_16x16x16_f16 v[10:13], v[12:13], v[28:29], v[14:17]
	s_nop 5
	ds_read_b128 v[14:17], v1 offset:6144
	ds_read_b128 v[18:21], v1 offset:6160
	s_waitcnt lgkmcnt(0)
	s_barrier
	s_waitcnt vmcnt(9)
	v_mfma_f32_16x16x16_f16 v[10:13], v[6:7], v[14:15], v[10:13]
	v_mfma_f32_16x16x16_f16 v[6:9], v[8:9], v[16:17], v[10:13]
	s_waitcnt vmcnt(8)
	v_mfma_f32_16x16x16_f16 v[6:9], v[2:3], v[18:19], v[6:9]
	v_mfma_f32_16x16x16_f16 v[2:5], v[4:5], v[20:21], v[6:9]
	;; [unrolled: 3-line block ×3, first 2 shown]
	s_nop 3
	v_cvt_f16_f32_e32 v1, v2
	v_cvt_f16_f32_e32 v10, v3
	;; [unrolled: 1-line block ×3, first 2 shown]
	s_waitcnt vmcnt(6)
	v_mfma_f32_16x16x16_f16 v[6:9], v[38:39], v[66:67], v[6:9]
	v_cvt_f16_f32_e32 v12, v5
	v_mfma_f32_16x16x16_f16 v[6:9], v[40:41], v[68:69], v[6:9]
	s_waitcnt vmcnt(5)
	v_mfma_f32_16x16x16_f16 v[6:9], v[42:43], v[30:31], v[6:9]
	v_mfma_f32_16x16x16_f16 v[6:9], v[44:45], v[32:33], v[6:9]
	s_waitcnt vmcnt(4)
	v_mfma_f32_16x16x16_f16 v[6:9], v[34:35], v[76:77], v[6:9]
	;; [unrolled: 3-line block ×6, first 2 shown]
	v_mfma_f32_16x16x16_f16 v[2:5], v[60:61], v[20:21], v[6:9]
	s_nop 6
	v_cvt_f16_f32_e32 v6, v2
	v_cvt_f16_f32_e32 v7, v3
	;; [unrolled: 1-line block ×4, first 2 shown]
	v_pack_b32_f16 v2, v1, v10
	v_pack_b32_f16 v3, v11, v12
	;; [unrolled: 1-line block ×4, first 2 shown]
	ds_write2st64_b64 v74, v[2:3], v[4:5] offset1:1
	s_waitcnt lgkmcnt(0)
	s_barrier
	s_and_saveexec_b64 s[4:5], s[22:23]
	s_cbranch_execz .LBB275_19
; %bb.18:
	v_lshlrev_b32_e32 v2, 6, v94
	v_lshlrev_b32_e32 v1, 4, v0
	v_lshl_or_b32 v0, v0, 10, v2
	scratch_load_dword v2, off, off offset:4 ; 4-byte Folded Reload
	scratch_load_dword v4, off, off         ; 4-byte Folded Reload
	s_load_dwordx2 s[0:1], s[0:1], 0x68
	s_lshl_b32 s6, s6, 7
	s_mul_i32 s2, s7, s2
	s_mul_hi_u32 s5, s2, s6
	s_mul_i32 s4, s2, s6
	s_lshl_b64 s[4:5], s[4:5], 1
	v_and_b32_e32 v1, 16, v1
	v_and_b32_e32 v0, 0x1a00, v0
	s_waitcnt lgkmcnt(0)
	s_add_u32 s4, s0, s4
	s_addc_u32 s5, s1, s5
	s_lshl_b32 s2, s20, 7
	s_lshl_b64 s[0:1], s[2:3], 1
	s_add_u32 s0, s4, s0
	s_addc_u32 s1, s5, s1
	v_mov_b32_e32 v83, 0
	s_waitcnt vmcnt(1)
	v_or3_b32 v0, v0, v2, v1
	ds_read_b128 v[0:3], v0
	s_waitcnt vmcnt(0)
	v_mad_u64_u32 v[4:5], s[2:3], s6, v4, 0
	v_lshl_add_u64 v[4:5], v[4:5], 1, s[0:1]
	v_lshl_add_u64 v[4:5], v[4:5], 0, v[82:83]
	s_waitcnt lgkmcnt(0)
	global_store_dwordx4 v[4:5], v[0:3], off
.LBB275_19:
	s_endpgm
	.section	.rodata,"a",@progbits
	.p2align	6, 0x0
	.amdhsa_kernel _Z39paged_attention_ll4mi_QKV_mfma16_kernelIDF16_DF16_LN4vllm18Fp8KVCacheDataTypeE0EDF16_Li16ELi128ELi256ELb1ELi4EEvPKT_PKT0_S7_ifPKiS9_S9_iPKfiiiPfSC_PS2_PT2_iSB_SB_
		.amdhsa_group_segment_fixed_size 8192
		.amdhsa_private_segment_fixed_size 12
		.amdhsa_kernarg_size 400
		.amdhsa_user_sgpr_count 2
		.amdhsa_user_sgpr_dispatch_ptr 0
		.amdhsa_user_sgpr_queue_ptr 0
		.amdhsa_user_sgpr_kernarg_segment_ptr 1
		.amdhsa_user_sgpr_dispatch_id 0
		.amdhsa_user_sgpr_kernarg_preload_length 0
		.amdhsa_user_sgpr_kernarg_preload_offset 0
		.amdhsa_user_sgpr_private_segment_size 0
		.amdhsa_uses_dynamic_stack 0
		.amdhsa_enable_private_segment 1
		.amdhsa_system_sgpr_workgroup_id_x 1
		.amdhsa_system_sgpr_workgroup_id_y 1
		.amdhsa_system_sgpr_workgroup_id_z 1
		.amdhsa_system_sgpr_workgroup_info 0
		.amdhsa_system_vgpr_workitem_id 0
		.amdhsa_next_free_vgpr 96
		.amdhsa_next_free_sgpr 43
		.amdhsa_accum_offset 96
		.amdhsa_reserve_vcc 1
		.amdhsa_float_round_mode_32 0
		.amdhsa_float_round_mode_16_64 0
		.amdhsa_float_denorm_mode_32 3
		.amdhsa_float_denorm_mode_16_64 3
		.amdhsa_dx10_clamp 1
		.amdhsa_ieee_mode 1
		.amdhsa_fp16_overflow 0
		.amdhsa_tg_split 0
		.amdhsa_exception_fp_ieee_invalid_op 0
		.amdhsa_exception_fp_denorm_src 0
		.amdhsa_exception_fp_ieee_div_zero 0
		.amdhsa_exception_fp_ieee_overflow 0
		.amdhsa_exception_fp_ieee_underflow 0
		.amdhsa_exception_fp_ieee_inexact 0
		.amdhsa_exception_int_div_zero 0
	.end_amdhsa_kernel
	.section	.text._Z39paged_attention_ll4mi_QKV_mfma16_kernelIDF16_DF16_LN4vllm18Fp8KVCacheDataTypeE0EDF16_Li16ELi128ELi256ELb1ELi4EEvPKT_PKT0_S7_ifPKiS9_S9_iPKfiiiPfSC_PS2_PT2_iSB_SB_,"axG",@progbits,_Z39paged_attention_ll4mi_QKV_mfma16_kernelIDF16_DF16_LN4vllm18Fp8KVCacheDataTypeE0EDF16_Li16ELi128ELi256ELb1ELi4EEvPKT_PKT0_S7_ifPKiS9_S9_iPKfiiiPfSC_PS2_PT2_iSB_SB_,comdat
.Lfunc_end275:
	.size	_Z39paged_attention_ll4mi_QKV_mfma16_kernelIDF16_DF16_LN4vllm18Fp8KVCacheDataTypeE0EDF16_Li16ELi128ELi256ELb1ELi4EEvPKT_PKT0_S7_ifPKiS9_S9_iPKfiiiPfSC_PS2_PT2_iSB_SB_, .Lfunc_end275-_Z39paged_attention_ll4mi_QKV_mfma16_kernelIDF16_DF16_LN4vllm18Fp8KVCacheDataTypeE0EDF16_Li16ELi128ELi256ELb1ELi4EEvPKT_PKT0_S7_ifPKiS9_S9_iPKfiiiPfSC_PS2_PT2_iSB_SB_
                                        ; -- End function
	.section	.AMDGPU.csdata,"",@progbits
; Kernel info:
; codeLenInByte = 4644
; NumSgprs: 49
; NumVgprs: 96
; NumAgprs: 0
; TotalNumVgprs: 96
; ScratchSize: 12
; MemoryBound: 0
; FloatMode: 240
; IeeeMode: 1
; LDSByteSize: 8192 bytes/workgroup (compile time only)
; SGPRBlocks: 6
; VGPRBlocks: 11
; NumSGPRsForWavesPerEU: 49
; NumVGPRsForWavesPerEU: 96
; AccumOffset: 96
; Occupancy: 5
; WaveLimiterHint : 1
; COMPUTE_PGM_RSRC2:SCRATCH_EN: 1
; COMPUTE_PGM_RSRC2:USER_SGPR: 2
; COMPUTE_PGM_RSRC2:TRAP_HANDLER: 0
; COMPUTE_PGM_RSRC2:TGID_X_EN: 1
; COMPUTE_PGM_RSRC2:TGID_Y_EN: 1
; COMPUTE_PGM_RSRC2:TGID_Z_EN: 1
; COMPUTE_PGM_RSRC2:TIDIG_COMP_CNT: 0
; COMPUTE_PGM_RSRC3_GFX90A:ACCUM_OFFSET: 23
; COMPUTE_PGM_RSRC3_GFX90A:TG_SPLIT: 0
	.section	.text._Z35paged_attention_ll4mi_reduce_kernelIDF16_DF16_Li128ELi128ELi256ELi9EEvPT0_PKfS3_PKT_PKiS8_iS3_,"axG",@progbits,_Z35paged_attention_ll4mi_reduce_kernelIDF16_DF16_Li128ELi128ELi256ELi9EEvPT0_PKfS3_PKT_PKiS8_iS3_,comdat
	.protected	_Z35paged_attention_ll4mi_reduce_kernelIDF16_DF16_Li128ELi128ELi256ELi9EEvPT0_PKfS3_PKT_PKiS8_iS3_ ; -- Begin function _Z35paged_attention_ll4mi_reduce_kernelIDF16_DF16_Li128ELi128ELi256ELi9EEvPT0_PKfS3_PKT_PKiS8_iS3_
	.globl	_Z35paged_attention_ll4mi_reduce_kernelIDF16_DF16_Li128ELi128ELi256ELi9EEvPT0_PKfS3_PKT_PKiS8_iS3_
	.p2align	8
	.type	_Z35paged_attention_ll4mi_reduce_kernelIDF16_DF16_Li128ELi128ELi256ELi9EEvPT0_PKfS3_PKT_PKiS8_iS3_,@function
_Z35paged_attention_ll4mi_reduce_kernelIDF16_DF16_Li128ELi128ELi256ELi9EEvPT0_PKfS3_PKT_PKiS8_iS3_: ; @_Z35paged_attention_ll4mi_reduce_kernelIDF16_DF16_Li128ELi128ELi256ELi9EEvPT0_PKfS3_PKT_PKiS8_iS3_
; %bb.0:
	s_load_dwordx2 s[34:35], s[0:1], 0x28
	s_mov_b32 s22, s3
	s_mov_b64 s[4:5], 0
	s_waitcnt lgkmcnt(0)
	s_cmp_lg_u64 s[34:35], 0
	s_cselect_b64 s[36:37], -1, 0
	s_and_b64 vcc, exec, s[36:37]
	s_cbranch_vccz .LBB276_23
; %bb.1:
	s_add_i32 s6, s22, 1
	s_mov_b32 s7, 0
	s_lshl_b64 s[8:9], s[6:7], 2
	s_add_u32 s8, s34, s8
	s_mov_b32 s23, s7
	s_addc_u32 s9, s35, s9
	s_lshl_b64 s[6:7], s[22:23], 2
	s_add_u32 s6, s34, s6
	s_addc_u32 s7, s35, s7
	s_load_dword s3, s[8:9], 0x0
	s_load_dword s10, s[6:7], 0x0
	s_waitcnt lgkmcnt(0)
	s_sub_i32 s3, s3, s10
	s_cmp_eq_u32 s3, 1
	s_cselect_b64 s[6:7], -1, 0
	s_andn2_b64 vcc, exec, s[4:5]
	s_cbranch_vccnz .LBB276_3
.LBB276_2:
	s_mov_b32 s23, 0
	s_mov_b64 s[6:7], -1
.LBB276_3:
	s_andn2_b64 vcc, exec, s[6:7]
	s_cbranch_vccz .LBB276_5
; %bb.4:
	s_endpgm
.LBB276_5:
	s_load_dwordx4 s[24:27], s[0:1], 0x18
	s_load_dword s8, s[0:1], 0x30
	s_lshl_b64 s[38:39], s[22:23], 2
	v_cmp_lt_u32_e32 vcc, 63, v0
	s_waitcnt lgkmcnt(0)
	s_add_u32 s4, s26, s38
	s_addc_u32 s5, s27, s39
	s_load_dword s46, s[4:5], 0x0
	s_load_dword s3, s[0:1], 0x40
	s_mul_i32 s26, s2, s8
	s_mul_i32 s6, s22, s8
	s_waitcnt lgkmcnt(0)
	s_add_i32 s7, s46, 0xff
	s_ashr_i32 s4, s7, 31
	s_lshr_b32 s4, s4, 24
	s_add_i32 s7, s7, s4
	s_and_saveexec_b64 s[4:5], vcc
	s_xor_b64 s[4:5], exec, s[4:5]
	s_or_saveexec_b64 s[40:41], s[4:5]
	s_ashr_i32 s33, s7, 8
	v_mov_b32_e32 v1, s26
	s_mul_i32 s42, s6, s3
	s_xor_b64 exec, exec, s[40:41]
	s_cbranch_execz .LBB276_9
; %bb.6:
	s_add_i32 s4, s33, -1
	v_or_b32_e32 v3, 64, v0
	v_mov_b32_e32 v1, s4
	v_cmp_gt_u32_e64 s[16:17], s33, v3
	s_load_dwordx4 s[28:31], s[0:1], 0x8
	s_mov_b32 s43, 0
	v_cndmask_b32_e64 v4, v1, v3, s[16:17]
	v_or_b32_e32 v3, 0x80, v0
	v_cmp_gt_u32_e64 s[14:15], s33, v3
	s_lshl_b64 s[44:45], s[42:43], 2
	s_mov_b32 s27, s43
	v_cndmask_b32_e64 v6, v1, v3, s[14:15]
	v_or_b32_e32 v3, 0xc0, v0
	v_cmp_gt_u32_e64 s[12:13], s33, v3
	v_cmp_gt_u32_e64 s[18:19], s33, v0
	s_waitcnt lgkmcnt(0)
	s_add_u32 s20, s30, s44
	v_cndmask_b32_e64 v8, v1, v3, s[12:13]
	v_or_b32_e32 v3, 0x100, v0
	v_cmp_gt_u32_e64 s[10:11], s33, v3
	v_cndmask_b32_e64 v2, v1, v0, s[18:19]
	s_addc_u32 s21, s31, s45
	v_cndmask_b32_e64 v10, v1, v3, s[10:11]
	v_or_b32_e32 v3, 0x140, v0
	v_cmp_gt_u32_e64 s[8:9], s33, v3
	s_lshl_b64 s[30:31], s[26:27], 2
	s_add_u32 s20, s20, s30
	v_cndmask_b32_e64 v12, v1, v3, s[8:9]
	v_or_b32_e32 v3, 0x180, v0
	v_cmp_gt_u32_e64 s[6:7], s33, v3
	s_addc_u32 s21, s21, s31
	v_ashrrev_i32_e32 v5, 31, v4
	v_cndmask_b32_e64 v14, v1, v3, s[6:7]
	v_or_b32_e32 v3, 0x1c0, v0
	v_cmp_gt_u32_e64 s[4:5], s33, v3
	v_ashrrev_i32_e32 v7, 31, v6
	v_ashrrev_i32_e32 v9, 31, v8
	v_cndmask_b32_e64 v16, v1, v3, s[4:5]
	v_or_b32_e32 v3, 0x200, v0
	v_cmp_gt_u32_e32 vcc, s33, v3
	v_ashrrev_i32_e32 v11, 31, v10
	v_ashrrev_i32_e32 v13, 31, v12
	v_cndmask_b32_e32 v18, v1, v3, vcc
	v_ashrrev_i32_e32 v3, 31, v2
	v_lshlrev_b64 v[2:3], 2, v[2:3]
	v_ashrrev_i32_e32 v15, 31, v14
	v_ashrrev_i32_e32 v17, 31, v16
	;; [unrolled: 1-line block ×3, first 2 shown]
	v_lshl_add_u64 v[20:21], s[20:21], 0, v[2:3]
	v_lshlrev_b64 v[4:5], 2, v[4:5]
	v_lshlrev_b64 v[6:7], 2, v[6:7]
	;; [unrolled: 1-line block ×8, first 2 shown]
	v_lshl_add_u64 v[22:23], s[20:21], 0, v[4:5]
	v_lshl_add_u64 v[24:25], s[20:21], 0, v[6:7]
	;; [unrolled: 1-line block ×7, first 2 shown]
	global_load_dword v1, v[20:21], off
	global_load_dword v36, v[22:23], off
	global_load_dword v37, v[24:25], off
	global_load_dword v38, v[26:27], off
	global_load_dword v39, v[28:29], off
	global_load_dword v40, v[30:31], off
	global_load_dword v41, v[32:33], off
	global_load_dword v42, v[34:35], off
	v_lshl_add_u64 v[20:21], s[20:21], 0, v[18:19]
	global_load_dword v20, v[20:21], off
	v_mbcnt_lo_u32_b32 v21, -1, 0
	v_mbcnt_hi_u32_b32 v21, -1, v21
	v_and_b32_e32 v22, 64, v21
	v_xor_b32_e32 v23, 32, v21
	v_add_u32_e32 v22, 64, v22
	v_cmp_lt_i32_e64 s[20:21], v23, v22
	v_xor_b32_e32 v24, 16, v21
	v_xor_b32_e32 v25, 8, v21
	v_cndmask_b32_e64 v23, v21, v23, s[20:21]
	s_add_u32 s20, s28, s44
	s_addc_u32 s21, s29, s45
	s_add_u32 s28, s20, s30
	s_addc_u32 s29, s21, s31
	v_lshl_add_u64 v[2:3], s[28:29], 0, v[2:3]
	global_load_dword v27, v[2:3], off
	v_lshlrev_b32_e32 v23, 2, v23
	v_cmp_lt_i32_e64 s[20:21], v24, v22
	v_xor_b32_e32 v26, 4, v21
	v_xor_b32_e32 v28, 2, v21
	v_cndmask_b32_e64 v24, v21, v24, s[20:21]
	v_lshlrev_b32_e32 v24, 2, v24
	v_cmp_lt_i32_e64 s[20:21], v25, v22
	s_mov_b32 s27, 0x3fb8aa3b
	s_waitcnt vmcnt(7)
	v_max3_f32 v2, v1, v36, v37
	s_waitcnt vmcnt(5)
	v_max3_f32 v2, v2, v38, v39
	s_waitcnt vmcnt(3)
	v_max3_f32 v2, v2, v40, v41
	s_waitcnt vmcnt(1)
	v_max3_f32 v2, v2, v42, v20
	ds_bpermute_b32 v3, v23, v2
	s_waitcnt lgkmcnt(0)
	v_max_f32_e32 v3, v3, v3
	v_max_f32_e32 v29, v2, v3
	ds_bpermute_b32 v30, v24, v29
	v_cndmask_b32_e64 v2, v21, v25, s[20:21]
	v_lshlrev_b32_e32 v25, 2, v2
	v_lshl_add_u64 v[2:3], s[28:29], 0, v[4:5]
	v_cmp_lt_i32_e64 s[20:21], v26, v22
	s_waitcnt lgkmcnt(0)
	v_max_f32_e32 v4, v30, v30
	v_max_f32_e32 v4, v29, v4
	ds_bpermute_b32 v5, v25, v4
	global_load_dword v29, v[2:3], off
	v_cndmask_b32_e64 v2, v21, v26, s[20:21]
	v_lshlrev_b32_e32 v26, 2, v2
	v_cmp_lt_i32_e64 s[20:21], v28, v22
	s_waitcnt lgkmcnt(0)
	v_max_f32_e32 v2, v5, v5
	v_max_f32_e32 v2, v4, v2
	ds_bpermute_b32 v3, v26, v2
	v_cndmask_b32_e64 v5, v21, v28, s[20:21]
	v_lshlrev_b32_e32 v28, 2, v5
	v_xor_b32_e32 v4, 1, v21
	v_cmp_lt_i32_e64 s[20:21], v4, v22
	s_waitcnt lgkmcnt(0)
	v_max_f32_e32 v3, v3, v3
	v_max_f32_e32 v5, v2, v3
	ds_bpermute_b32 v30, v28, v5
	v_lshl_add_u64 v[2:3], s[28:29], 0, v[6:7]
	global_load_dword v31, v[2:3], off
	v_cndmask_b32_e64 v2, v21, v4, s[20:21]
	v_lshlrev_b32_e32 v22, 2, v2
	s_waitcnt lgkmcnt(0)
	v_max_f32_e32 v3, v30, v30
	v_max_f32_e32 v21, v5, v3
	v_lshl_add_u64 v[2:3], s[28:29], 0, v[8:9]
	v_lshl_add_u64 v[8:9], s[28:29], 0, v[14:15]
	global_load_dword v14, v[2:3], off
	ds_bpermute_b32 v30, v22, v21
	v_lshl_add_u64 v[6:7], s[28:29], 0, v[12:13]
	v_lshl_add_u64 v[4:5], s[28:29], 0, v[10:11]
	;; [unrolled: 1-line block ×3, first 2 shown]
	s_waitcnt lgkmcnt(0)
	v_max_f32_e32 v12, v30, v30
	v_max_f32_e32 v12, v21, v12
	v_sub_f32_e32 v1, v1, v12
	v_mul_f32_e32 v13, 0x3fb8aa3b, v1
	v_fma_f32 v2, v1, s27, -v13
	v_rndne_f32_e32 v3, v13
	v_fmac_f32_e32 v2, 0x32a5705f, v1
	v_sub_f32_e32 v13, v13, v3
	v_add_f32_e32 v2, v13, v2
	global_load_dword v16, v[4:5], off
	global_load_dword v17, v[6:7], off
	;; [unrolled: 1-line block ×4, first 2 shown]
	v_exp_f32_e32 v13, v2
	v_cvt_i32_f32_e32 v15, v3
	v_lshl_add_u64 v[2:3], s[28:29], 0, v[18:19]
	global_load_dword v2, v[2:3], off
	v_sub_f32_e32 v5, v36, v12
	v_mul_f32_e32 v6, 0x3fb8aa3b, v5
	v_fma_f32 v7, v5, s27, -v6
	v_rndne_f32_e32 v8, v6
	v_fmac_f32_e32 v7, 0x32a5705f, v5
	v_sub_f32_e32 v6, v6, v8
	v_add_f32_e32 v6, v6, v7
	v_exp_f32_e32 v6, v6
	v_cvt_i32_f32_e32 v7, v8
	s_mov_b32 s28, 0xc2ce8ed0
	v_ldexp_f32 v3, v13, v15
	v_cmp_ngt_f32_e64 s[20:21], s28, v1
	s_mov_b32 s29, 0x42b17218
	v_mov_b32_e32 v4, 0x7f800000
	v_cndmask_b32_e64 v3, 0, v3, s[20:21]
	v_cmp_nlt_f32_e64 s[20:21], s29, v1
	s_nop 1
	v_cndmask_b32_e64 v1, v4, v3, s[20:21]
	v_ldexp_f32 v3, v6, v7
	v_sub_f32_e32 v6, v37, v12
	v_mul_f32_e32 v7, 0x3fb8aa3b, v6
	v_fma_f32 v8, v6, s27, -v7
	v_rndne_f32_e32 v9, v7
	v_fmac_f32_e32 v8, 0x32a5705f, v6
	v_sub_f32_e32 v7, v7, v9
	v_add_f32_e32 v7, v7, v8
	v_exp_f32_e32 v7, v7
	v_cvt_i32_f32_e32 v8, v9
	v_cndmask_b32_e64 v1, 0, v1, s[18:19]
	v_cmp_ngt_f32_e64 s[18:19], s28, v5
	s_waitcnt vmcnt(8)
	v_mul_f32_e32 v1, v27, v1
	v_cndmask_b32_e64 v3, 0, v3, s[18:19]
	v_cmp_nlt_f32_e64 s[18:19], s29, v5
	v_ldexp_f32 v5, v7, v8
	v_sub_f32_e32 v7, v38, v12
	v_mul_f32_e32 v8, 0x3fb8aa3b, v7
	v_fma_f32 v9, v7, s27, -v8
	v_rndne_f32_e32 v10, v8
	v_fmac_f32_e32 v9, 0x32a5705f, v7
	v_sub_f32_e32 v8, v8, v10
	v_add_f32_e32 v8, v8, v9
	v_exp_f32_e32 v8, v8
	v_cvt_i32_f32_e32 v9, v10
	v_cndmask_b32_e64 v3, v4, v3, s[18:19]
	v_cndmask_b32_e64 v3, 0, v3, s[16:17]
	v_cmp_ngt_f32_e64 s[16:17], s28, v6
	s_waitcnt vmcnt(7)
	v_mul_f32_e32 v3, v29, v3
	v_cndmask_b32_e64 v5, 0, v5, s[16:17]
	v_cmp_nlt_f32_e64 s[16:17], s29, v6
	v_ldexp_f32 v6, v8, v9
	v_sub_f32_e32 v8, v39, v12
	v_mul_f32_e32 v9, 0x3fb8aa3b, v8
	v_fma_f32 v10, v8, s27, -v9
	v_rndne_f32_e32 v11, v9
	v_fmac_f32_e32 v10, 0x32a5705f, v8
	v_sub_f32_e32 v9, v9, v11
	v_add_f32_e32 v9, v9, v10
	v_exp_f32_e32 v9, v9
	v_cvt_i32_f32_e32 v10, v11
	v_cndmask_b32_e64 v5, v4, v5, s[16:17]
	;; [unrolled: 17-line block ×5, first 2 shown]
	v_cndmask_b32_e64 v8, 0, v8, s[8:9]
	v_cmp_ngt_f32_e64 s[8:9], s28, v10
	v_sub_f32_e32 v12, v20, v12
	s_waitcnt vmcnt(3)
	v_mul_f32_e32 v8, v17, v8
	v_cndmask_b32_e64 v9, 0, v9, s[8:9]
	v_cmp_nlt_f32_e64 s[8:9], s29, v10
	v_ldexp_f32 v10, v13, v14
	v_mul_f32_e32 v13, 0x3fb8aa3b, v12
	v_fma_f32 v14, v12, s27, -v13
	v_rndne_f32_e32 v15, v13
	v_fmac_f32_e32 v14, 0x32a5705f, v12
	v_sub_f32_e32 v13, v13, v15
	v_add_f32_e32 v13, v13, v14
	v_cndmask_b32_e64 v9, v4, v9, s[8:9]
	v_exp_f32_e32 v13, v13
	v_cvt_i32_f32_e32 v14, v15
	v_cndmask_b32_e64 v9, 0, v9, s[6:7]
	v_cmp_ngt_f32_e64 s[6:7], s28, v11
	s_nop 1
	v_cndmask_b32_e64 v10, 0, v10, s[6:7]
	v_cmp_nlt_f32_e64 s[6:7], s29, v11
	v_ldexp_f32 v11, v13, v14
	v_lshlrev_b32_e32 v13, 2, v0
	v_cndmask_b32_e64 v10, v4, v10, s[6:7]
	v_cndmask_b32_e64 v10, 0, v10, s[4:5]
	v_cmp_ngt_f32_e64 s[4:5], s28, v12
	ds_write2st64_b32 v13, v1, v3 offset1:1
	ds_write2st64_b32 v13, v5, v6 offset0:2 offset1:3
	v_cndmask_b32_e64 v11, 0, v11, s[4:5]
	v_cmp_nlt_f32_e64 s[4:5], s29, v12
	s_nop 1
	v_cndmask_b32_e64 v4, v4, v11, s[4:5]
	v_add_f32_e32 v11, v1, v3
	v_add_f32_e32 v11, v11, v5
	;; [unrolled: 1-line block ×5, first 2 shown]
	s_waitcnt vmcnt(2)
	v_fmac_f32_e32 v11, v21, v9
	v_cndmask_b32_e32 v4, 0, v4, vcc
	s_waitcnt vmcnt(1)
	v_fmac_f32_e32 v11, v30, v10
	s_waitcnt vmcnt(0)
	v_fmac_f32_e32 v11, v2, v4
	ds_bpermute_b32 v12, v23, v11
	v_mul_f32_e32 v4, v2, v4
	v_cmp_eq_u32_e32 vcc, 0, v0
	v_mul_f32_e32 v9, v21, v9
	v_mul_f32_e32 v10, v30, v10
	s_waitcnt lgkmcnt(0)
	v_add_f32_e32 v11, v11, v12
	ds_bpermute_b32 v12, v24, v11
	ds_write2st64_b32 v13, v7, v8 offset0:4 offset1:5
	ds_write2st64_b32 v13, v9, v10 offset0:6 offset1:7
	ds_write_b32 v13, v4 offset:2048
	s_waitcnt lgkmcnt(3)
	v_add_f32_e32 v11, v11, v12
	ds_bpermute_b32 v12, v25, v11
	s_waitcnt lgkmcnt(0)
	v_add_f32_e32 v11, v11, v12
	ds_bpermute_b32 v12, v26, v11
	;; [unrolled: 3-line block ×4, first 2 shown]
	s_and_saveexec_b64 s[4:5], vcc
	s_cbranch_execz .LBB276_8
; %bb.7:
	s_waitcnt lgkmcnt(0)
	v_add_f32_e32 v1, v1, v2
	v_mov_b32_e32 v2, 0
	ds_write_b32 v2, v1 offset:2304
.LBB276_8:
	s_or_b64 exec, exec, s[4:5]
	v_mov_b32_e32 v1, s26
.LBB276_9:
	s_or_b64 exec, exec, s[40:41]
	s_lshl_b32 s4, s42, 7
	s_mov_b32 s5, 0
	s_lshl_b64 s[4:5], s[4:5], 1
	s_add_u32 s4, s24, s4
	s_addc_u32 s5, s25, s5
	s_lshl_b32 s10, s33, 7
	s_add_i32 s11, s10, 0xffffff80
	s_waitcnt lgkmcnt(0)
	v_lshlrev_b32_e32 v2, 7, v1
	v_mov_b32_e32 v3, 0
	s_cmp_lt_i32 s46, 1
	v_lshl_add_u64 v[4:5], v[2:3], 1, s[4:5]
	s_cselect_b32 s4, s11, 0
	v_lshlrev_b32_e32 v2, 1, v0
	s_ashr_i32 s5, s4, 31
	v_lshl_add_u64 v[0:1], v[4:5], 0, v[2:3]
	s_cmpk_lt_i32 s46, 0x101
	v_lshl_add_u64 v[12:13], s[4:5], 1, v[0:1]
	s_cselect_b32 s4, s11, 0x80
	s_ashr_i32 s5, s4, 31
	s_cmpk_lt_i32 s46, 0x201
	v_lshl_add_u64 v[14:15], s[4:5], 1, v[0:1]
	s_cselect_b32 s4, s11, 0x100
	s_ashr_i32 s5, s4, 31
	;; [unrolled: 4-line block ×8, first 2 shown]
	s_cmpk_lt_i32 s46, 0x901
	global_load_ushort v4, v[12:13], off
	global_load_ushort v5, v[14:15], off
	;; [unrolled: 1-line block ×8, first 2 shown]
	v_lshl_add_u64 v[20:21], s[4:5], 1, v[0:1]
	s_cselect_b32 s4, s11, 0x480
	s_ashr_i32 s5, s4, 31
	s_cmpk_lt_i32 s46, 0xa01
	v_lshl_add_u64 v[22:23], s[4:5], 1, v[0:1]
	s_cselect_b32 s4, s11, 0x500
	s_ashr_i32 s5, s4, 31
	s_cmpk_lt_i32 s46, 0xb01
	v_lshl_add_u64 v[24:25], s[4:5], 1, v[0:1]
	s_cselect_b32 s4, s11, 0x580
	s_ashr_i32 s5, s4, 31
	s_cmpk_lt_i32 s46, 0xc01
	v_lshl_add_u64 v[26:27], s[4:5], 1, v[0:1]
	s_cselect_b32 s4, s11, 0x600
	s_ashr_i32 s5, s4, 31
	s_cmpk_lt_i32 s46, 0xd01
	v_lshl_add_u64 v[28:29], s[4:5], 1, v[0:1]
	s_cselect_b32 s4, s11, 0x680
	s_ashr_i32 s5, s4, 31
	s_cmpk_lt_i32 s46, 0xe01
	v_lshl_add_u64 v[30:31], s[4:5], 1, v[0:1]
	s_cselect_b32 s4, s11, 0x700
	s_ashr_i32 s5, s4, 31
	s_cmpk_lt_i32 s46, 0xf01
	v_lshl_add_u64 v[32:33], s[4:5], 1, v[0:1]
	s_cselect_b32 s4, s11, 0x780
	s_ashr_i32 s5, s4, 31
	v_lshl_add_u64 v[34:35], s[4:5], 1, v[0:1]
	global_load_ushort v12, v[20:21], off
	global_load_ushort v13, v[22:23], off
	;; [unrolled: 1-line block ×8, first 2 shown]
	s_cmpk_gt_i32 s46, 0x1000
	s_cselect_b64 s[8:9], -1, 0
	s_cmpk_lt_i32 s46, 0x1001
	v_mov_b32_e32 v36, 0
	v_mov_b32_e32 v37, 0
	;; [unrolled: 1-line block ×48, first 2 shown]
	s_barrier
	s_cbranch_scc1 .LBB276_12
; %bb.10:
	s_cmpk_lt_u32 s46, 0x1101
	s_cselect_b32 s4, s11, 0x880
	s_ashr_i32 s5, s4, 31
	s_cmpk_lt_u32 s46, 0x1201
	v_lshl_add_u64 v[30:31], s[4:5], 1, v[0:1]
	s_cselect_b32 s4, s11, 0x900
	s_ashr_i32 s5, s4, 31
	s_cmpk_lt_u32 s46, 0x1301
	v_lshl_add_u64 v[32:33], s[4:5], 1, v[0:1]
	;; [unrolled: 4-line block ×7, first 2 shown]
	s_cselect_b32 s4, s11, 0xc00
	v_add_co_u32_e32 v28, vcc, 0x1000, v0
	s_ashr_i32 s5, s4, 31
	s_nop 0
	v_addc_co_u32_e32 v29, vcc, 0, v1, vcc
	s_cmpk_lt_u32 s46, 0x1901
	global_load_ushort v27, v[28:29], off
	global_load_ushort v26, v[30:31], off
	;; [unrolled: 1-line block ×8, first 2 shown]
	v_lshl_add_u64 v[36:37], s[4:5], 1, v[0:1]
	s_cselect_b32 s4, s11, 0xc80
	s_ashr_i32 s5, s4, 31
	s_cmpk_lt_u32 s46, 0x1a01
	v_lshl_add_u64 v[38:39], s[4:5], 1, v[0:1]
	s_cselect_b32 s4, s11, 0xd00
	s_ashr_i32 s5, s4, 31
	s_cmpk_lt_u32 s46, 0x1b01
	;; [unrolled: 4-line block ×6, first 2 shown]
	v_lshl_add_u64 v[48:49], s[4:5], 1, v[0:1]
	s_cselect_b32 s4, s11, 0xf80
	s_ashr_i32 s5, s4, 31
	v_lshl_add_u64 v[50:51], s[4:5], 1, v[0:1]
	global_load_ushort v35, v[36:37], off
	global_load_ushort v34, v[38:39], off
	;; [unrolled: 1-line block ×8, first 2 shown]
	s_cmpk_lt_u32 s46, 0x2001
	v_mov_b32_e32 v67, 0
	v_mov_b32_e32 v66, 0
	v_mov_b32_e32 v65, 0
	v_mov_b32_e32 v64, 0
	v_mov_b32_e32 v63, 0
	v_mov_b32_e32 v62, 0
	v_mov_b32_e32 v61, 0
	v_mov_b32_e32 v60, 0
	v_mov_b32_e32 v59, 0
	v_mov_b32_e32 v58, 0
	v_mov_b32_e32 v57, 0
	v_mov_b32_e32 v56, 0
	v_mov_b32_e32 v55, 0
	v_mov_b32_e32 v54, 0
	v_mov_b32_e32 v53, 0
	v_mov_b32_e32 v52, 0
	v_mov_b32_e32 v51, 0
	v_mov_b32_e32 v50, 0
	v_mov_b32_e32 v49, 0
	v_mov_b32_e32 v48, 0
	v_mov_b32_e32 v47, 0
	v_mov_b32_e32 v46, 0
	v_mov_b32_e32 v45, 0
	v_mov_b32_e32 v44, 0
	v_mov_b32_e32 v43, 0
	v_mov_b32_e32 v42, 0
	v_mov_b32_e32 v41, 0
	v_mov_b32_e32 v40, 0
	v_mov_b32_e32 v39, 0
	v_mov_b32_e32 v38, 0
	v_mov_b32_e32 v37, 0
	v_mov_b32_e32 v36, 0
	s_cbranch_scc1 .LBB276_12
; %bb.11:
	s_cmpk_lt_u32 s46, 0x2101
	s_cselect_b32 s4, s11, 0x1080
	s_ashr_i32 s5, s4, 31
	s_cmpk_lt_u32 s46, 0x2201
	v_lshl_add_u64 v[38:39], s[4:5], 1, v[0:1]
	s_cselect_b32 s4, s11, 0x1100
	s_ashr_i32 s5, s4, 31
	s_cmpk_lt_u32 s46, 0x2301
	v_lshl_add_u64 v[40:41], s[4:5], 1, v[0:1]
	;; [unrolled: 4-line block ×7, first 2 shown]
	s_cselect_b32 s4, s11, 0x1400
	v_add_co_u32_e32 v36, vcc, 0x2000, v0
	s_ashr_i32 s5, s4, 31
	s_nop 0
	v_addc_co_u32_e32 v37, vcc, 0, v1, vcc
	s_cmpk_lt_u32 s46, 0x2901
	global_load_ushort v52, v[36:37], off
	global_load_ushort v53, v[38:39], off
	;; [unrolled: 1-line block ×8, first 2 shown]
	v_lshl_add_u64 v[36:37], s[4:5], 1, v[0:1]
	s_cselect_b32 s4, s11, 0x1480
	s_ashr_i32 s5, s4, 31
	s_cmpk_lt_u32 s46, 0x2a01
	v_lshl_add_u64 v[38:39], s[4:5], 1, v[0:1]
	s_cselect_b32 s4, s11, 0x1500
	s_ashr_i32 s5, s4, 31
	s_cmpk_lt_u32 s46, 0x2b01
	;; [unrolled: 4-line block ×8, first 2 shown]
	global_load_ushort v68, v[36:37], off
	global_load_ushort v69, v[38:39], off
	global_load_ushort v70, v[40:41], off
	global_load_ushort v71, v[42:43], off
	global_load_ushort v72, v[44:45], off
	global_load_ushort v73, v[46:47], off
	global_load_ushort v74, v[48:49], off
	global_load_ushort v75, v[50:51], off
	v_lshl_add_u64 v[36:37], s[4:5], 1, v[0:1]
	s_cselect_b32 s4, s11, 0x1880
	s_ashr_i32 s5, s4, 31
	s_cmpk_lt_u32 s46, 0x3201
	v_lshl_add_u64 v[38:39], s[4:5], 1, v[0:1]
	s_cselect_b32 s4, s11, 0x1900
	s_ashr_i32 s5, s4, 31
	s_cmpk_lt_u32 s46, 0x3301
	;; [unrolled: 4-line block ×8, first 2 shown]
	global_load_ushort v76, v[36:37], off
	global_load_ushort v77, v[38:39], off
	;; [unrolled: 1-line block ×8, first 2 shown]
	v_lshl_add_u64 v[36:37], s[4:5], 1, v[0:1]
	s_cselect_b32 s4, s11, 0x1c80
	s_ashr_i32 s5, s4, 31
	s_cmpk_lt_u32 s46, 0x3a01
	v_lshl_add_u64 v[38:39], s[4:5], 1, v[0:1]
	s_cselect_b32 s4, s11, 0x1d00
	s_ashr_i32 s5, s4, 31
	s_cmpk_lt_u32 s46, 0x3b01
	;; [unrolled: 4-line block ×6, first 2 shown]
	v_lshl_add_u64 v[48:49], s[4:5], 1, v[0:1]
	s_cselect_b32 s4, s11, 0x1f80
	s_ashr_i32 s5, s4, 31
	v_lshl_add_u64 v[50:51], s[4:5], 1, v[0:1]
	global_load_ushort v84, v[36:37], off
	global_load_ushort v85, v[38:39], off
	global_load_ushort v86, v[40:41], off
	global_load_ushort v87, v[42:43], off
	global_load_ushort v88, v[44:45], off
	global_load_ushort v89, v[46:47], off
	global_load_ushort v90, v[48:49], off
	global_load_ushort v91, v[50:51], off
	s_waitcnt vmcnt(31)
	v_cvt_f32_f16_e32 v67, v52
	s_waitcnt vmcnt(30)
	v_cvt_f32_f16_e32 v66, v53
	;; [unrolled: 2-line block ×32, first 2 shown]
.LBB276_12:
	ds_read_b128 v[68:71], v3
	s_load_dwordx2 s[4:5], s[0:1], 0x0
	s_load_dwordx2 s[6:7], s[0:1], 0x38
	ds_read_b128 v[72:75], v3 offset:16
	ds_read_b128 v[76:79], v3 offset:32
	;; [unrolled: 1-line block ×3, first 2 shown]
	s_and_b64 vcc, exec, s[8:9]
	s_waitcnt vmcnt(15) lgkmcnt(0)
	v_fma_mix_f32 v4, v68, v4, 0 op_sel_hi:[0,1,0]
	s_waitcnt vmcnt(14)
	v_fma_mix_f32 v4, v69, v5, v4 op_sel_hi:[0,1,0]
	s_waitcnt vmcnt(13)
	;; [unrolled: 2-line block ×15, first 2 shown]
	v_fma_mix_f32 v4, v83, v19, v4 op_sel_hi:[0,1,0]
	s_cbranch_vccz .LBB276_15
; %bb.13:
	ds_read_b128 v[6:9], v3 offset:64
	ds_read_b128 v[10:13], v3 offset:80
	;; [unrolled: 1-line block ×4, first 2 shown]
	s_cmpk_lt_u32 s46, 0x2001
	s_waitcnt lgkmcnt(3)
	v_fma_mix_f32 v3, v6, v27, v4 op_sel_hi:[0,1,0]
	v_fma_mix_f32 v3, v7, v26, v3 op_sel_hi:[0,1,0]
	v_fma_mix_f32 v3, v8, v25, v3 op_sel_hi:[0,1,0]
	v_fma_mix_f32 v3, v9, v24, v3 op_sel_hi:[0,1,0]
	s_waitcnt lgkmcnt(2)
	v_fma_mix_f32 v3, v10, v23, v3 op_sel_hi:[0,1,0]
	v_fma_mix_f32 v3, v11, v22, v3 op_sel_hi:[0,1,0]
	v_fma_mix_f32 v3, v12, v21, v3 op_sel_hi:[0,1,0]
	v_fma_mix_f32 v3, v13, v20, v3 op_sel_hi:[0,1,0]
	;; [unrolled: 5-line block ×4, first 2 shown]
	s_cbranch_scc1 .LBB276_15
; %bb.14:
	v_mov_b32_e32 v3, 0
	ds_read_b128 v[6:9], v3 offset:128
	ds_read_b128 v[10:13], v3 offset:144
	;; [unrolled: 1-line block ×4, first 2 shown]
	s_waitcnt lgkmcnt(3)
	v_fmac_f32_e32 v4, v6, v67
	v_fmac_f32_e32 v4, v7, v66
	v_fmac_f32_e32 v4, v8, v65
	v_fmac_f32_e32 v4, v9, v64
	s_waitcnt lgkmcnt(2)
	v_fmac_f32_e32 v4, v10, v63
	v_fmac_f32_e32 v4, v11, v62
	v_fmac_f32_e32 v4, v12, v61
	v_fmac_f32_e32 v4, v13, v60
	;; [unrolled: 5-line block ×3, first 2 shown]
	ds_read_b128 v[6:9], v3 offset:192
	ds_read_b128 v[10:13], v3 offset:208
	s_waitcnt lgkmcnt(2)
	v_fmac_f32_e32 v4, v18, v55
	v_fmac_f32_e32 v4, v19, v54
	;; [unrolled: 1-line block ×4, first 2 shown]
	s_waitcnt lgkmcnt(1)
	v_fmac_f32_e32 v4, v6, v51
	v_fmac_f32_e32 v4, v7, v50
	;; [unrolled: 1-line block ×4, first 2 shown]
	ds_read_b128 v[6:9], v3 offset:224
	s_waitcnt lgkmcnt(1)
	v_fmac_f32_e32 v4, v10, v47
	v_fmac_f32_e32 v4, v11, v46
	;; [unrolled: 1-line block ×4, first 2 shown]
	ds_read_b128 v[10:13], v3 offset:240
	s_waitcnt lgkmcnt(1)
	v_fmac_f32_e32 v4, v6, v43
	v_fmac_f32_e32 v4, v7, v42
	;; [unrolled: 1-line block ×4, first 2 shown]
	s_waitcnt lgkmcnt(0)
	v_fmac_f32_e32 v4, v10, v39
	v_fmac_f32_e32 v4, v11, v38
	v_fmac_f32_e32 v4, v12, v37
	v_fmac_f32_e32 v4, v13, v36
.LBB276_15:
	s_movk_i32 s0, 0x3f80
	s_movk_i32 s1, 0x100
	s_mov_b32 s8, 64
	s_branch .LBB276_17
.LBB276_16:                             ;   in Loop: Header=BB276_17 Depth=1
	s_addk_i32 s0, 0x2000
	s_addk_i32 s1, 0x100
	s_add_i32 s8, s8, 64
	s_cmp_eq_u32 s0, 0x13f80
	s_cbranch_scc1 .LBB276_19
.LBB276_17:                             ; =>This Inner Loop Header: Depth=1
	s_cmp_le_i32 s33, s8
	s_cbranch_scc1 .LBB276_16
; %bb.18:                               ;   in Loop: Header=BB276_17 Depth=1
	s_add_i32 s9, s0, 0xffffe080
	s_cmp_lt_i32 s9, s10
	s_cselect_b32 s12, s9, s11
	s_ashr_i32 s13, s12, 31
	s_add_i32 s9, s0, 0xffffe100
	s_cmp_lt_i32 s9, s10
	v_lshl_add_u64 v[12:13], s[12:13], 1, v[0:1]
	s_cselect_b32 s12, s9, s11
	s_ashr_i32 s13, s12, 31
	s_add_i32 s9, s0, 0xffffe180
	s_cmp_lt_i32 s9, s10
	v_lshl_add_u64 v[14:15], s[12:13], 1, v[0:1]
	;; [unrolled: 5-line block ×8, first 2 shown]
	s_cselect_b32 s12, s9, s11
	s_ashr_i32 s13, s12, 31
	s_add_i32 s9, s0, 0xffffe500
	s_cmp_lt_i32 s9, s10
	global_load_ushort v3, v[12:13], off
	global_load_ushort v5, v[14:15], off
	global_load_ushort v6, v[16:17], off
	global_load_ushort v7, v[18:19], off
	global_load_ushort v8, v[20:21], off
	global_load_ushort v9, v[22:23], off
	global_load_ushort v10, v[24:25], off
	global_load_ushort v11, v[26:27], off
	v_lshl_add_u64 v[12:13], s[12:13], 1, v[0:1]
	s_cselect_b32 s12, s9, s11
	s_ashr_i32 s13, s12, 31
	s_add_i32 s9, s0, 0xffffe580
	s_cmp_lt_i32 s9, s10
	v_lshl_add_u64 v[14:15], s[12:13], 1, v[0:1]
	s_cselect_b32 s12, s9, s11
	s_ashr_i32 s13, s12, 31
	s_add_i32 s9, s0, 0xffffe600
	s_cmp_lt_i32 s9, s10
	v_lshl_add_u64 v[16:17], s[12:13], 1, v[0:1]
	s_cselect_b32 s12, s9, s11
	s_ashr_i32 s13, s12, 31
	s_add_i32 s9, s0, 0xffffe680
	s_cmp_lt_i32 s9, s10
	v_lshl_add_u64 v[18:19], s[12:13], 1, v[0:1]
	s_cselect_b32 s12, s9, s11
	s_ashr_i32 s13, s12, 31
	s_add_i32 s9, s0, 0xffffe700
	s_cmp_lt_i32 s9, s10
	v_lshl_add_u64 v[20:21], s[12:13], 1, v[0:1]
	s_cselect_b32 s12, s9, s11
	s_ashr_i32 s13, s12, 31
	s_add_i32 s9, s0, 0xffffe780
	s_cmp_lt_i32 s9, s10
	v_lshl_add_u64 v[22:23], s[12:13], 1, v[0:1]
	s_cselect_b32 s12, s9, s11
	s_ashr_i32 s13, s12, 31
	s_add_i32 s9, s0, 0xffffe800
	s_cmp_lt_i32 s9, s10
	v_lshl_add_u64 v[24:25], s[12:13], 1, v[0:1]
	s_cselect_b32 s12, s9, s11
	s_ashr_i32 s13, s12, 31
	s_add_i32 s9, s0, 0xffffe880
	s_cmp_lt_i32 s9, s10
	v_lshl_add_u64 v[26:27], s[12:13], 1, v[0:1]
	s_cselect_b32 s12, s9, s11
	s_ashr_i32 s13, s12, 31
	s_add_i32 s9, s0, 0xffffe900
	s_cmp_lt_i32 s9, s10
	global_load_ushort v28, v[12:13], off
	global_load_ushort v29, v[14:15], off
	global_load_ushort v30, v[16:17], off
	global_load_ushort v31, v[18:19], off
	global_load_ushort v32, v[20:21], off
	global_load_ushort v33, v[22:23], off
	global_load_ushort v34, v[24:25], off
	global_load_ushort v35, v[26:27], off
	v_lshl_add_u64 v[12:13], s[12:13], 1, v[0:1]
	s_cselect_b32 s12, s9, s11
	s_ashr_i32 s13, s12, 31
	s_add_i32 s9, s0, 0xffffe980
	s_cmp_lt_i32 s9, s10
	v_lshl_add_u64 v[14:15], s[12:13], 1, v[0:1]
	s_cselect_b32 s12, s9, s11
	s_ashr_i32 s13, s12, 31
	s_add_i32 s9, s0, 0xffffea00
	s_cmp_lt_i32 s9, s10
	v_lshl_add_u64 v[16:17], s[12:13], 1, v[0:1]
	s_cselect_b32 s12, s9, s11
	s_ashr_i32 s13, s12, 31
	s_add_i32 s9, s0, 0xffffea80
	s_cmp_lt_i32 s9, s10
	v_lshl_add_u64 v[18:19], s[12:13], 1, v[0:1]
	s_cselect_b32 s12, s9, s11
	s_ashr_i32 s13, s12, 31
	s_add_i32 s9, s0, 0xffffeb00
	s_cmp_lt_i32 s9, s10
	v_lshl_add_u64 v[20:21], s[12:13], 1, v[0:1]
	s_cselect_b32 s12, s9, s11
	s_ashr_i32 s13, s12, 31
	s_add_i32 s9, s0, 0xffffeb80
	s_cmp_lt_i32 s9, s10
	v_lshl_add_u64 v[22:23], s[12:13], 1, v[0:1]
	s_cselect_b32 s12, s9, s11
	s_ashr_i32 s13, s12, 31
	s_add_i32 s9, s0, 0xffffec00
	s_cmp_lt_i32 s9, s10
	v_lshl_add_u64 v[24:25], s[12:13], 1, v[0:1]
	s_cselect_b32 s12, s9, s11
	s_ashr_i32 s13, s12, 31
	s_add_i32 s9, s0, 0xffffec80
	s_cmp_lt_i32 s9, s10
	v_lshl_add_u64 v[26:27], s[12:13], 1, v[0:1]
	;; [unrolled: 48-line block ×6, first 2 shown]
	s_cselect_b32 s12, s9, s11
	s_ashr_i32 s13, s12, 31
	s_add_i32 s9, s0, 0xfffffd00
	s_cmp_lt_i32 s9, s10
	global_load_ushort v68, v[12:13], off
	global_load_ushort v69, v[14:15], off
	;; [unrolled: 1-line block ×8, first 2 shown]
	v_lshl_add_u64 v[12:13], s[12:13], 1, v[0:1]
	s_cselect_b32 s12, s9, s11
	s_ashr_i32 s13, s12, 31
	s_add_i32 s9, s0, 0xfffffd80
	s_cmp_lt_i32 s9, s10
	v_lshl_add_u64 v[14:15], s[12:13], 1, v[0:1]
	s_cselect_b32 s12, s9, s11
	s_ashr_i32 s13, s12, 31
	s_add_i32 s9, s0, 0xfffffe00
	s_cmp_lt_i32 s9, s10
	;; [unrolled: 5-line block ×5, first 2 shown]
	v_lshl_add_u64 v[22:23], s[12:13], 1, v[0:1]
	s_cselect_b32 s12, s9, s11
	s_ashr_i32 s13, s12, 31
	s_cmp_lt_i32 s0, s10
	v_lshl_add_u64 v[24:25], s[12:13], 1, v[0:1]
	s_cselect_b32 s12, s0, s11
	s_ashr_i32 s13, s12, 31
	v_lshl_add_u64 v[26:27], s[12:13], 1, v[0:1]
	global_load_ushort v76, v[12:13], off
	global_load_ushort v77, v[14:15], off
	;; [unrolled: 1-line block ×8, first 2 shown]
	v_mov_b32_e32 v84, s1
	ds_read_b128 v[12:15], v84
	ds_read_b128 v[16:19], v84 offset:16
	ds_read_b128 v[20:23], v84 offset:32
	;; [unrolled: 1-line block ×3, first 2 shown]
	s_waitcnt vmcnt(62) lgkmcnt(3)
	v_fma_mix_f32 v3, v12, v3, v4 op_sel_hi:[0,1,0]
	v_fma_mix_f32 v3, v13, v5, v3 op_sel_hi:[0,1,0]
	s_waitcnt vmcnt(61)
	v_fma_mix_f32 v3, v14, v6, v3 op_sel_hi:[0,1,0]
	s_waitcnt vmcnt(60)
	v_fma_mix_f32 v3, v15, v7, v3 op_sel_hi:[0,1,0]
	s_waitcnt vmcnt(59) lgkmcnt(2)
	v_fma_mix_f32 v3, v16, v8, v3 op_sel_hi:[0,1,0]
	s_waitcnt vmcnt(58)
	v_fma_mix_f32 v3, v17, v9, v3 op_sel_hi:[0,1,0]
	s_waitcnt vmcnt(57)
	;; [unrolled: 2-line block ×3, first 2 shown]
	v_fma_mix_f32 v3, v19, v11, v3 op_sel_hi:[0,1,0]
	s_waitcnt vmcnt(55) lgkmcnt(1)
	v_fma_mix_f32 v3, v20, v28, v3 op_sel_hi:[0,1,0]
	s_waitcnt vmcnt(54)
	v_fma_mix_f32 v3, v21, v29, v3 op_sel_hi:[0,1,0]
	s_waitcnt vmcnt(53)
	;; [unrolled: 2-line block ×3, first 2 shown]
	v_fma_mix_f32 v3, v23, v31, v3 op_sel_hi:[0,1,0]
	ds_read_b128 v[4:7], v84 offset:64
	ds_read_b128 v[8:11], v84 offset:80
	s_waitcnt vmcnt(51) lgkmcnt(2)
	v_fma_mix_f32 v3, v24, v32, v3 op_sel_hi:[0,1,0]
	s_waitcnt vmcnt(50)
	v_fma_mix_f32 v3, v25, v33, v3 op_sel_hi:[0,1,0]
	s_waitcnt vmcnt(49)
	;; [unrolled: 2-line block ×3, first 2 shown]
	v_fma_mix_f32 v3, v27, v35, v3 op_sel_hi:[0,1,0]
	s_waitcnt vmcnt(47) lgkmcnt(1)
	v_fma_mix_f32 v3, v4, v36, v3 op_sel_hi:[0,1,0]
	s_waitcnt vmcnt(46)
	v_fma_mix_f32 v3, v5, v37, v3 op_sel_hi:[0,1,0]
	s_waitcnt vmcnt(45)
	v_fma_mix_f32 v3, v6, v38, v3 op_sel_hi:[0,1,0]
	s_waitcnt vmcnt(44)
	v_fma_mix_f32 v3, v7, v39, v3 op_sel_hi:[0,1,0]
	ds_read_b128 v[4:7], v84 offset:96
	s_waitcnt vmcnt(43) lgkmcnt(1)
	v_fma_mix_f32 v3, v8, v40, v3 op_sel_hi:[0,1,0]
	s_waitcnt vmcnt(42)
	v_fma_mix_f32 v3, v9, v41, v3 op_sel_hi:[0,1,0]
	s_waitcnt vmcnt(41)
	v_fma_mix_f32 v3, v10, v42, v3 op_sel_hi:[0,1,0]
	s_waitcnt vmcnt(40)
	v_fma_mix_f32 v3, v11, v43, v3 op_sel_hi:[0,1,0]
	ds_read_b128 v[8:11], v84 offset:112
	;; [unrolled: 9-line block ×10, first 2 shown]
	s_waitcnt vmcnt(7) lgkmcnt(1)
	v_fma_mix_f32 v3, v4, v76, v3 op_sel_hi:[0,1,0]
	s_waitcnt vmcnt(6)
	v_fma_mix_f32 v3, v5, v77, v3 op_sel_hi:[0,1,0]
	s_waitcnt vmcnt(5)
	;; [unrolled: 2-line block ×3, first 2 shown]
	v_fma_mix_f32 v3, v7, v79, v3 op_sel_hi:[0,1,0]
	s_waitcnt vmcnt(3) lgkmcnt(0)
	v_fma_mix_f32 v3, v8, v80, v3 op_sel_hi:[0,1,0]
	s_waitcnt vmcnt(2)
	v_fma_mix_f32 v3, v9, v81, v3 op_sel_hi:[0,1,0]
	s_waitcnt vmcnt(1)
	;; [unrolled: 2-line block ×3, first 2 shown]
	v_fma_mix_f32 v4, v11, v83, v3 op_sel_hi:[0,1,0]
	s_branch .LBB276_16
.LBB276_19:
	v_mov_b32_e32 v0, 0
	ds_read_b32 v1, v0 offset:2304
	s_cmp_lg_u64 s[6:7], 0
	s_cbranch_scc0 .LBB276_24
; %bb.20:
	s_load_dword s6, s[6:7], 0x0
	s_waitcnt lgkmcnt(0)
	v_div_scale_f32 v0, s[0:1], s6, s6, 1.0
	v_rcp_f32_e32 v3, v0
	v_div_scale_f32 v5, vcc, 1.0, s6, 1.0
	v_fma_f32 v6, -v0, v3, 1.0
	v_fmac_f32_e32 v3, v6, v3
	v_mul_f32_e32 v6, v5, v3
	v_fma_f32 v7, -v0, v6, v5
	v_fmac_f32_e32 v6, v7, v3
	v_fma_f32 v0, -v0, v6, v5
	v_div_fmas_f32 v0, v0, v3, v6
	v_div_fixup_f32 v0, v0, s6, 1.0
	s_andn2_b64 vcc, exec, s[36:37]
	s_cbranch_vccnz .LBB276_22
.LBB276_21:
	s_add_u32 s0, s34, s38
	s_addc_u32 s1, s35, s39
	s_load_dword s22, s[0:1], 0x0
	s_mov_b32 s23, 0
.LBB276_22:
	s_waitcnt lgkmcnt(0)
	v_add_f32_e32 v1, 0x358637bd, v1
	v_div_scale_f32 v3, s[0:1], v1, v1, 1.0
	v_rcp_f32_e32 v5, v3
	v_div_scale_f32 v6, vcc, 1.0, v1, 1.0
	s_mul_i32 s0, s3, s23
	v_fma_f32 v7, -v3, v5, 1.0
	v_fmac_f32_e32 v5, v7, v5
	v_mul_f32_e32 v7, v6, v5
	v_fma_f32 v8, -v3, v7, v6
	s_mul_hi_u32 s1, s3, s22
	v_fmac_f32_e32 v7, v8, v5
	s_add_i32 s1, s1, s0
	s_mul_i32 s0, s3, s22
	v_fma_f32 v3, -v3, v7, v6
	s_lshl_b64 s[0:1], s[0:1], 8
	v_div_fmas_f32 v3, v3, v5, v7
	s_add_u32 s4, s4, s0
	s_mov_b32 s3, 0
	v_div_fixup_f32 v1, v3, v1, 1.0
	s_addc_u32 s5, s5, s1
	s_lshl_b64 s[0:1], s[2:3], 8
	v_mul_f32_e32 v1, v4, v1
	s_add_u32 s0, s4, s0
	s_addc_u32 s1, s5, s1
	v_fma_mixlo_f16 v0, v1, v0, 0
	global_store_short v2, v0, s[0:1]
	s_endpgm
.LBB276_23:
	s_mov_b64 s[6:7], 0
	s_branch .LBB276_2
.LBB276_24:
	v_mov_b32_e32 v0, 1.0
	s_andn2_b64 vcc, exec, s[36:37]
	s_cbranch_vccz .LBB276_21
	s_branch .LBB276_22
	.section	.rodata,"a",@progbits
	.p2align	6, 0x0
	.amdhsa_kernel _Z35paged_attention_ll4mi_reduce_kernelIDF16_DF16_Li128ELi128ELi256ELi9EEvPT0_PKfS3_PKT_PKiS8_iS3_
		.amdhsa_group_segment_fixed_size 2308
		.amdhsa_private_segment_fixed_size 0
		.amdhsa_kernarg_size 320
		.amdhsa_user_sgpr_count 2
		.amdhsa_user_sgpr_dispatch_ptr 0
		.amdhsa_user_sgpr_queue_ptr 0
		.amdhsa_user_sgpr_kernarg_segment_ptr 1
		.amdhsa_user_sgpr_dispatch_id 0
		.amdhsa_user_sgpr_kernarg_preload_length 0
		.amdhsa_user_sgpr_kernarg_preload_offset 0
		.amdhsa_user_sgpr_private_segment_size 0
		.amdhsa_uses_dynamic_stack 0
		.amdhsa_enable_private_segment 0
		.amdhsa_system_sgpr_workgroup_id_x 1
		.amdhsa_system_sgpr_workgroup_id_y 1
		.amdhsa_system_sgpr_workgroup_id_z 0
		.amdhsa_system_sgpr_workgroup_info 0
		.amdhsa_system_vgpr_workitem_id 0
		.amdhsa_next_free_vgpr 92
		.amdhsa_next_free_sgpr 47
		.amdhsa_accum_offset 92
		.amdhsa_reserve_vcc 1
		.amdhsa_float_round_mode_32 0
		.amdhsa_float_round_mode_16_64 0
		.amdhsa_float_denorm_mode_32 3
		.amdhsa_float_denorm_mode_16_64 3
		.amdhsa_dx10_clamp 1
		.amdhsa_ieee_mode 1
		.amdhsa_fp16_overflow 0
		.amdhsa_tg_split 0
		.amdhsa_exception_fp_ieee_invalid_op 0
		.amdhsa_exception_fp_denorm_src 0
		.amdhsa_exception_fp_ieee_div_zero 0
		.amdhsa_exception_fp_ieee_overflow 0
		.amdhsa_exception_fp_ieee_underflow 0
		.amdhsa_exception_fp_ieee_inexact 0
		.amdhsa_exception_int_div_zero 0
	.end_amdhsa_kernel
	.section	.text._Z35paged_attention_ll4mi_reduce_kernelIDF16_DF16_Li128ELi128ELi256ELi9EEvPT0_PKfS3_PKT_PKiS8_iS3_,"axG",@progbits,_Z35paged_attention_ll4mi_reduce_kernelIDF16_DF16_Li128ELi128ELi256ELi9EEvPT0_PKfS3_PKT_PKiS8_iS3_,comdat
.Lfunc_end276:
	.size	_Z35paged_attention_ll4mi_reduce_kernelIDF16_DF16_Li128ELi128ELi256ELi9EEvPT0_PKfS3_PKT_PKiS8_iS3_, .Lfunc_end276-_Z35paged_attention_ll4mi_reduce_kernelIDF16_DF16_Li128ELi128ELi256ELi9EEvPT0_PKfS3_PKT_PKiS8_iS3_
                                        ; -- End function
	.section	.AMDGPU.csdata,"",@progbits
; Kernel info:
; codeLenInByte = 9336
; NumSgprs: 53
; NumVgprs: 92
; NumAgprs: 0
; TotalNumVgprs: 92
; ScratchSize: 0
; MemoryBound: 0
; FloatMode: 240
; IeeeMode: 1
; LDSByteSize: 2308 bytes/workgroup (compile time only)
; SGPRBlocks: 6
; VGPRBlocks: 11
; NumSGPRsForWavesPerEU: 53
; NumVGPRsForWavesPerEU: 92
; AccumOffset: 92
; Occupancy: 5
; WaveLimiterHint : 1
; COMPUTE_PGM_RSRC2:SCRATCH_EN: 0
; COMPUTE_PGM_RSRC2:USER_SGPR: 2
; COMPUTE_PGM_RSRC2:TRAP_HANDLER: 0
; COMPUTE_PGM_RSRC2:TGID_X_EN: 1
; COMPUTE_PGM_RSRC2:TGID_Y_EN: 1
; COMPUTE_PGM_RSRC2:TGID_Z_EN: 0
; COMPUTE_PGM_RSRC2:TIDIG_COMP_CNT: 0
; COMPUTE_PGM_RSRC3_GFX90A:ACCUM_OFFSET: 22
; COMPUTE_PGM_RSRC3_GFX90A:TG_SPLIT: 0
	.section	.text._Z35paged_attention_ll4mi_reduce_kernelIDF16_DF16_Li128ELi128ELi256ELi10EEvPT0_PKfS3_PKT_PKiS8_iS3_,"axG",@progbits,_Z35paged_attention_ll4mi_reduce_kernelIDF16_DF16_Li128ELi128ELi256ELi10EEvPT0_PKfS3_PKT_PKiS8_iS3_,comdat
	.protected	_Z35paged_attention_ll4mi_reduce_kernelIDF16_DF16_Li128ELi128ELi256ELi10EEvPT0_PKfS3_PKT_PKiS8_iS3_ ; -- Begin function _Z35paged_attention_ll4mi_reduce_kernelIDF16_DF16_Li128ELi128ELi256ELi10EEvPT0_PKfS3_PKT_PKiS8_iS3_
	.globl	_Z35paged_attention_ll4mi_reduce_kernelIDF16_DF16_Li128ELi128ELi256ELi10EEvPT0_PKfS3_PKT_PKiS8_iS3_
	.p2align	8
	.type	_Z35paged_attention_ll4mi_reduce_kernelIDF16_DF16_Li128ELi128ELi256ELi10EEvPT0_PKfS3_PKT_PKiS8_iS3_,@function
_Z35paged_attention_ll4mi_reduce_kernelIDF16_DF16_Li128ELi128ELi256ELi10EEvPT0_PKfS3_PKT_PKiS8_iS3_: ; @_Z35paged_attention_ll4mi_reduce_kernelIDF16_DF16_Li128ELi128ELi256ELi10EEvPT0_PKfS3_PKT_PKiS8_iS3_
; %bb.0:
	s_load_dwordx2 s[36:37], s[0:1], 0x28
	s_mov_b32 s34, s3
	s_mov_b64 s[4:5], 0
	s_waitcnt lgkmcnt(0)
	s_cmp_lg_u64 s[36:37], 0
	s_cselect_b64 s[38:39], -1, 0
	s_and_b64 vcc, exec, s[38:39]
	s_cbranch_vccz .LBB277_23
; %bb.1:
	s_add_i32 s6, s34, 1
	s_mov_b32 s7, 0
	s_lshl_b64 s[8:9], s[6:7], 2
	s_add_u32 s8, s36, s8
	s_mov_b32 s35, s7
	s_addc_u32 s9, s37, s9
	s_lshl_b64 s[6:7], s[34:35], 2
	s_add_u32 s6, s36, s6
	s_addc_u32 s7, s37, s7
	s_load_dword s3, s[8:9], 0x0
	s_load_dword s10, s[6:7], 0x0
	s_waitcnt lgkmcnt(0)
	s_sub_i32 s3, s3, s10
	s_cmp_eq_u32 s3, 1
	s_cselect_b64 s[6:7], -1, 0
	s_andn2_b64 vcc, exec, s[4:5]
	s_cbranch_vccnz .LBB277_3
.LBB277_2:
	s_mov_b32 s35, 0
	s_mov_b64 s[6:7], -1
.LBB277_3:
	s_andn2_b64 vcc, exec, s[6:7]
	s_cbranch_vccz .LBB277_5
; %bb.4:
	s_endpgm
.LBB277_5:
	s_load_dwordx4 s[24:27], s[0:1], 0x18
	s_load_dword s8, s[0:1], 0x30
	s_lshl_b64 s[40:41], s[34:35], 2
	v_cmp_lt_u32_e32 vcc, 63, v0
	s_waitcnt lgkmcnt(0)
	s_add_u32 s4, s26, s40
	s_addc_u32 s5, s27, s41
	s_load_dword s48, s[4:5], 0x0
	s_load_dword s3, s[0:1], 0x40
	s_mul_i32 s26, s2, s8
	s_mul_i32 s6, s34, s8
	s_waitcnt lgkmcnt(0)
	s_add_i32 s7, s48, 0xff
	s_ashr_i32 s4, s7, 31
	s_lshr_b32 s4, s4, 24
	s_add_i32 s7, s7, s4
	s_and_saveexec_b64 s[4:5], vcc
	s_xor_b64 s[4:5], exec, s[4:5]
	s_or_saveexec_b64 s[42:43], s[4:5]
	s_ashr_i32 s33, s7, 8
	v_mov_b32_e32 v1, s26
	s_mul_i32 s44, s6, s3
	s_xor_b64 exec, exec, s[42:43]
	s_cbranch_execz .LBB277_9
; %bb.6:
	s_add_i32 s4, s33, -1
	v_or_b32_e32 v3, 64, v0
	v_mov_b32_e32 v1, s4
	v_cmp_gt_u32_e64 s[18:19], s33, v3
	s_load_dwordx4 s[28:31], s[0:1], 0x8
	s_mov_b32 s45, 0
	v_cndmask_b32_e64 v4, v1, v3, s[18:19]
	v_or_b32_e32 v3, 0x80, v0
	v_cmp_gt_u32_e64 s[16:17], s33, v3
	s_lshl_b64 s[46:47], s[44:45], 2
	s_mov_b32 s27, s45
	v_cndmask_b32_e64 v6, v1, v3, s[16:17]
	v_or_b32_e32 v3, 0xc0, v0
	v_cmp_gt_u32_e64 s[14:15], s33, v3
	v_cmp_gt_u32_e64 s[20:21], s33, v0
	s_waitcnt lgkmcnt(0)
	s_add_u32 s22, s30, s46
	v_cndmask_b32_e64 v8, v1, v3, s[14:15]
	v_or_b32_e32 v3, 0x100, v0
	v_cmp_gt_u32_e64 s[12:13], s33, v3
	v_cndmask_b32_e64 v2, v1, v0, s[20:21]
	s_addc_u32 s23, s31, s47
	v_cndmask_b32_e64 v10, v1, v3, s[12:13]
	v_or_b32_e32 v3, 0x140, v0
	v_cmp_gt_u32_e64 s[10:11], s33, v3
	s_lshl_b64 s[30:31], s[26:27], 2
	s_add_u32 s22, s22, s30
	v_cndmask_b32_e64 v12, v1, v3, s[10:11]
	v_or_b32_e32 v3, 0x180, v0
	v_cmp_gt_u32_e64 s[8:9], s33, v3
	s_addc_u32 s23, s23, s31
	v_ashrrev_i32_e32 v5, 31, v4
	v_cndmask_b32_e64 v14, v1, v3, s[8:9]
	v_or_b32_e32 v3, 0x1c0, v0
	v_cmp_gt_u32_e64 s[6:7], s33, v3
	v_ashrrev_i32_e32 v7, 31, v6
	v_ashrrev_i32_e32 v9, 31, v8
	v_cndmask_b32_e64 v16, v1, v3, s[6:7]
	v_or_b32_e32 v3, 0x200, v0
	v_cmp_gt_u32_e64 s[4:5], s33, v3
	v_ashrrev_i32_e32 v11, 31, v10
	v_ashrrev_i32_e32 v13, 31, v12
	v_cndmask_b32_e64 v18, v1, v3, s[4:5]
	v_or_b32_e32 v3, 0x240, v0
	v_cmp_gt_u32_e32 vcc, s33, v3
	v_ashrrev_i32_e32 v15, 31, v14
	v_ashrrev_i32_e32 v17, 31, v16
	v_cndmask_b32_e32 v20, v1, v3, vcc
	v_ashrrev_i32_e32 v3, 31, v2
	v_lshlrev_b64 v[2:3], 2, v[2:3]
	v_ashrrev_i32_e32 v19, 31, v18
	v_lshl_add_u64 v[22:23], s[22:23], 0, v[2:3]
	v_lshlrev_b64 v[4:5], 2, v[4:5]
	v_lshlrev_b64 v[6:7], 2, v[6:7]
	;; [unrolled: 1-line block ×8, first 2 shown]
	v_ashrrev_i32_e32 v21, 31, v20
	v_lshl_add_u64 v[24:25], s[22:23], 0, v[4:5]
	v_lshl_add_u64 v[26:27], s[22:23], 0, v[6:7]
	v_lshl_add_u64 v[28:29], s[22:23], 0, v[8:9]
	v_lshl_add_u64 v[30:31], s[22:23], 0, v[10:11]
	v_lshl_add_u64 v[32:33], s[22:23], 0, v[12:13]
	v_lshl_add_u64 v[34:35], s[22:23], 0, v[14:15]
	v_lshl_add_u64 v[36:37], s[22:23], 0, v[16:17]
	global_load_dword v1, v[22:23], off
	global_load_dword v38, v[24:25], off
	;; [unrolled: 1-line block ×8, first 2 shown]
	v_lshl_add_u64 v[22:23], s[22:23], 0, v[18:19]
	v_lshlrev_b64 v[20:21], 2, v[20:21]
	v_lshl_add_u64 v[24:25], s[22:23], 0, v[20:21]
	global_load_dword v26, v[22:23], off
	global_load_dword v27, v[24:25], off
	v_mbcnt_lo_u32_b32 v22, -1, 0
	v_mbcnt_hi_u32_b32 v22, -1, v22
	v_and_b32_e32 v23, 64, v22
	v_xor_b32_e32 v24, 32, v22
	v_add_u32_e32 v23, 64, v23
	v_cmp_lt_i32_e64 s[22:23], v24, v23
	v_xor_b32_e32 v25, 16, v22
	v_xor_b32_e32 v30, 8, v22
	v_cndmask_b32_e64 v24, v22, v24, s[22:23]
	v_lshlrev_b32_e32 v24, 2, v24
	v_cmp_lt_i32_e64 s[22:23], v25, v23
	s_mov_b32 s27, 0x3fb8aa3b
	s_waitcnt vmcnt(9)
	v_max_f32_e32 v29, v1, v1
	s_waitcnt vmcnt(8)
	v_max_f32_e32 v28, v38, v38
	v_max_f32_e32 v28, v29, v28
	s_waitcnt vmcnt(6)
	v_max3_f32 v28, v28, v39, v40
	v_cndmask_b32_e64 v25, v22, v25, s[22:23]
	s_waitcnt vmcnt(4)
	v_max3_f32 v28, v28, v41, v42
	v_lshlrev_b32_e32 v25, 2, v25
	s_waitcnt vmcnt(2)
	v_max3_f32 v28, v28, v43, v44
	v_cmp_lt_i32_e64 s[22:23], v30, v23
	s_waitcnt vmcnt(0)
	v_max3_f32 v28, v28, v26, v27
	ds_bpermute_b32 v29, v24, v28
	v_cndmask_b32_e64 v30, v22, v30, s[22:23]
	v_lshlrev_b32_e32 v30, 2, v30
	s_add_u32 s22, s28, s46
	s_addc_u32 s23, s29, s47
	s_waitcnt lgkmcnt(0)
	v_max_f32_e32 v29, v29, v29
	v_max_f32_e32 v28, v28, v29
	ds_bpermute_b32 v29, v25, v28
	s_add_u32 s28, s22, s30
	s_addc_u32 s29, s23, s31
	v_lshl_add_u64 v[2:3], s[28:29], 0, v[2:3]
	global_load_dword v31, v[2:3], off
	s_waitcnt lgkmcnt(0)
	v_max_f32_e32 v29, v29, v29
	v_max_f32_e32 v28, v28, v29
	ds_bpermute_b32 v29, v30, v28
	s_waitcnt lgkmcnt(0)
	v_max_f32_e32 v2, v29, v29
	v_max_f32_e32 v28, v28, v2
	v_xor_b32_e32 v2, 4, v22
	v_cmp_lt_i32_e64 s[22:23], v2, v23
	s_nop 1
	v_cndmask_b32_e64 v2, v22, v2, s[22:23]
	v_lshlrev_b32_e32 v29, 2, v2
	ds_bpermute_b32 v2, v29, v28
	s_waitcnt lgkmcnt(0)
	v_max_f32_e32 v32, v2, v2
	v_lshl_add_u64 v[2:3], s[28:29], 0, v[4:5]
	global_load_dword v33, v[2:3], off
	v_xor_b32_e32 v3, 2, v22
	v_cmp_lt_i32_e64 s[22:23], v3, v23
	v_max_f32_e32 v2, v28, v32
	v_xor_b32_e32 v4, 1, v22
	v_cndmask_b32_e64 v3, v22, v3, s[22:23]
	v_lshlrev_b32_e32 v28, 2, v3
	ds_bpermute_b32 v3, v28, v2
	v_cmp_lt_i32_e64 s[22:23], v4, v23
	s_waitcnt lgkmcnt(0)
	v_max_f32_e32 v3, v3, v3
	v_max_f32_e32 v32, v2, v3
	v_lshl_add_u64 v[2:3], s[28:29], 0, v[6:7]
	global_load_dword v34, v[2:3], off
	v_cndmask_b32_e64 v2, v22, v4, s[22:23]
	v_lshlrev_b32_e32 v22, 2, v2
	v_lshl_add_u64 v[2:3], s[28:29], 0, v[8:9]
	v_lshl_add_u64 v[4:5], s[28:29], 0, v[10:11]
	;; [unrolled: 1-line block ×5, first 2 shown]
	global_load_dword v12, v[2:3], off
	global_load_dword v13, v[4:5], off
	;; [unrolled: 1-line block ×5, first 2 shown]
	ds_bpermute_b32 v23, v22, v32
	v_lshl_add_u64 v[2:3], s[28:29], 0, v[18:19]
	s_waitcnt lgkmcnt(0)
	v_max_f32_e32 v4, v23, v23
	v_max_f32_e32 v6, v32, v4
	v_sub_f32_e32 v1, v1, v6
	v_mul_f32_e32 v4, 0x3fb8aa3b, v1
	v_fma_f32 v5, v1, s27, -v4
	v_rndne_f32_e32 v7, v4
	v_fmac_f32_e32 v5, 0x32a5705f, v1
	v_sub_f32_e32 v4, v4, v7
	v_add_f32_e32 v4, v4, v5
	v_exp_f32_e32 v8, v4
	v_cvt_i32_f32_e32 v7, v7
	v_lshl_add_u64 v[4:5], s[28:29], 0, v[20:21]
	global_load_dword v9, v[2:3], off
	global_load_dword v10, v[4:5], off
	v_sub_f32_e32 v4, v38, v6
	v_mul_f32_e32 v5, 0x3fb8aa3b, v4
	v_ldexp_f32 v2, v8, v7
	v_fma_f32 v7, v4, s27, -v5
	v_rndne_f32_e32 v8, v5
	v_fmac_f32_e32 v7, 0x32a5705f, v4
	v_sub_f32_e32 v5, v5, v8
	v_add_f32_e32 v5, v5, v7
	v_exp_f32_e32 v5, v5
	v_cvt_i32_f32_e32 v7, v8
	s_mov_b32 s28, 0xc2ce8ed0
	v_cmp_ngt_f32_e64 s[22:23], s28, v1
	s_mov_b32 s29, 0x42b17218
	v_mov_b32_e32 v3, 0x7f800000
	v_cndmask_b32_e64 v2, 0, v2, s[22:23]
	v_cmp_nlt_f32_e64 s[22:23], s29, v1
	s_nop 1
	v_cndmask_b32_e64 v1, v3, v2, s[22:23]
	v_ldexp_f32 v2, v5, v7
	v_sub_f32_e32 v5, v39, v6
	v_mul_f32_e32 v7, 0x3fb8aa3b, v5
	v_fma_f32 v8, v5, s27, -v7
	v_rndne_f32_e32 v11, v7
	v_fmac_f32_e32 v8, 0x32a5705f, v5
	v_sub_f32_e32 v7, v7, v11
	v_add_f32_e32 v7, v7, v8
	v_exp_f32_e32 v7, v7
	v_cvt_i32_f32_e32 v8, v11
	v_cndmask_b32_e64 v1, 0, v1, s[20:21]
	v_cmp_ngt_f32_e64 s[20:21], s28, v4
	s_waitcnt vmcnt(9)
	v_mul_f32_e32 v1, v31, v1
	v_cndmask_b32_e64 v2, 0, v2, s[20:21]
	v_cmp_nlt_f32_e64 s[20:21], s29, v4
	v_ldexp_f32 v4, v7, v8
	v_sub_f32_e32 v7, v40, v6
	v_mul_f32_e32 v8, 0x3fb8aa3b, v7
	v_fma_f32 v11, v7, s27, -v8
	v_rndne_f32_e32 v17, v8
	v_fmac_f32_e32 v11, 0x32a5705f, v7
	v_sub_f32_e32 v8, v8, v17
	v_add_f32_e32 v8, v8, v11
	v_exp_f32_e32 v8, v8
	v_cvt_i32_f32_e32 v11, v17
	v_cndmask_b32_e64 v2, v3, v2, s[20:21]
	v_cndmask_b32_e64 v2, 0, v2, s[18:19]
	v_cmp_ngt_f32_e64 s[18:19], s28, v5
	s_waitcnt vmcnt(8)
	v_mul_f32_e32 v2, v33, v2
	v_cndmask_b32_e64 v4, 0, v4, s[18:19]
	v_cmp_nlt_f32_e64 s[18:19], s29, v5
	v_ldexp_f32 v5, v8, v11
	v_sub_f32_e32 v8, v41, v6
	v_mul_f32_e32 v11, 0x3fb8aa3b, v8
	v_fma_f32 v17, v8, s27, -v11
	v_rndne_f32_e32 v18, v11
	v_fmac_f32_e32 v17, 0x32a5705f, v8
	v_sub_f32_e32 v11, v11, v18
	v_add_f32_e32 v11, v11, v17
	v_cndmask_b32_e64 v4, v3, v4, s[18:19]
	v_exp_f32_e32 v11, v11
	v_cvt_i32_f32_e32 v17, v18
	v_cndmask_b32_e64 v4, 0, v4, s[16:17]
	v_cmp_ngt_f32_e64 s[16:17], s28, v7
	s_waitcnt vmcnt(7)
	v_mul_f32_e32 v4, v34, v4
	v_cndmask_b32_e64 v5, 0, v5, s[16:17]
	v_cmp_nlt_f32_e64 s[16:17], s29, v7
	v_ldexp_f32 v7, v11, v17
	v_sub_f32_e32 v11, v42, v6
	v_cndmask_b32_e64 v5, v3, v5, s[16:17]
	v_cndmask_b32_e64 v5, 0, v5, s[14:15]
	s_waitcnt vmcnt(6)
	v_mul_f32_e32 v5, v12, v5
	v_mul_f32_e32 v12, 0x3fb8aa3b, v11
	v_fma_f32 v17, v11, s27, -v12
	v_rndne_f32_e32 v18, v12
	v_fmac_f32_e32 v17, 0x32a5705f, v11
	v_sub_f32_e32 v12, v12, v18
	v_add_f32_e32 v12, v12, v17
	v_exp_f32_e32 v12, v12
	v_cvt_i32_f32_e32 v17, v18
	v_cmp_ngt_f32_e64 s[14:15], s28, v8
	s_nop 1
	v_cndmask_b32_e64 v7, 0, v7, s[14:15]
	v_cmp_nlt_f32_e64 s[14:15], s29, v8
	v_ldexp_f32 v8, v12, v17
	v_sub_f32_e32 v12, v43, v6
	v_cndmask_b32_e64 v7, v3, v7, s[14:15]
	v_cndmask_b32_e64 v7, 0, v7, s[12:13]
	s_waitcnt vmcnt(5)
	v_mul_f32_e32 v7, v13, v7
	v_mul_f32_e32 v13, 0x3fb8aa3b, v12
	v_fma_f32 v17, v12, s27, -v13
	v_rndne_f32_e32 v18, v13
	v_fmac_f32_e32 v17, 0x32a5705f, v12
	v_sub_f32_e32 v13, v13, v18
	v_add_f32_e32 v13, v13, v17
	v_exp_f32_e32 v13, v13
	v_cvt_i32_f32_e32 v17, v18
	v_cmp_ngt_f32_e64 s[12:13], s28, v11
	s_nop 1
	;; [unrolled: 18-line block ×3, first 2 shown]
	v_cndmask_b32_e64 v11, 0, v11, s[10:11]
	v_cmp_nlt_f32_e64 s[10:11], s29, v12
	v_ldexp_f32 v12, v14, v17
	v_sub_f32_e32 v14, v26, v6
	v_mul_f32_e32 v17, 0x3fb8aa3b, v14
	v_fma_f32 v18, v14, s27, -v17
	v_rndne_f32_e32 v19, v17
	v_fmac_f32_e32 v18, 0x32a5705f, v14
	v_sub_f32_e32 v17, v17, v19
	v_add_f32_e32 v17, v17, v18
	v_exp_f32_e32 v17, v17
	v_cvt_i32_f32_e32 v18, v19
	v_cndmask_b32_e64 v11, v3, v11, s[10:11]
	v_cndmask_b32_e64 v11, 0, v11, s[8:9]
	v_cmp_ngt_f32_e64 s[8:9], s28, v13
	v_sub_f32_e32 v6, v27, v6
	s_nop 0
	v_cndmask_b32_e64 v12, 0, v12, s[8:9]
	v_cmp_nlt_f32_e64 s[8:9], s29, v13
	v_ldexp_f32 v13, v17, v18
	v_mul_f32_e32 v17, 0x3fb8aa3b, v6
	v_fma_f32 v18, v6, s27, -v17
	v_rndne_f32_e32 v19, v17
	v_fmac_f32_e32 v18, 0x32a5705f, v6
	v_sub_f32_e32 v17, v17, v19
	v_add_f32_e32 v17, v17, v18
	v_cndmask_b32_e64 v12, v3, v12, s[8:9]
	v_exp_f32_e32 v17, v17
	v_cvt_i32_f32_e32 v18, v19
	v_cndmask_b32_e64 v12, 0, v12, s[6:7]
	v_cmp_ngt_f32_e64 s[6:7], s28, v14
	s_nop 1
	v_cndmask_b32_e64 v13, 0, v13, s[6:7]
	v_cmp_nlt_f32_e64 s[6:7], s29, v14
	v_ldexp_f32 v14, v17, v18
	s_nop 0
	v_cndmask_b32_e64 v13, v3, v13, s[6:7]
	v_cndmask_b32_e64 v13, 0, v13, s[4:5]
	v_cmp_ngt_f32_e64 s[4:5], s28, v6
	s_nop 1
	v_cndmask_b32_e64 v14, 0, v14, s[4:5]
	v_cmp_nlt_f32_e64 s[4:5], s29, v6
	v_add_f32_e32 v6, v1, v2
	v_add_f32_e32 v6, v6, v4
	;; [unrolled: 1-line block ×5, first 2 shown]
	s_waitcnt vmcnt(3)
	v_fmac_f32_e32 v6, v15, v11
	v_cndmask_b32_e64 v3, v3, v14, s[4:5]
	s_waitcnt vmcnt(2)
	v_fmac_f32_e32 v6, v16, v12
	v_cndmask_b32_e32 v3, 0, v3, vcc
	s_waitcnt vmcnt(1)
	v_fmac_f32_e32 v6, v9, v13
	s_waitcnt vmcnt(0)
	v_fmac_f32_e32 v6, v10, v3
	ds_bpermute_b32 v14, v24, v6
	v_mul_f32_e32 v9, v9, v13
	v_mul_f32_e32 v3, v10, v3
	v_lshlrev_b32_e32 v10, 2, v0
	ds_write2st64_b32 v10, v1, v2 offset1:1
	ds_write2st64_b32 v10, v4, v5 offset0:2 offset1:3
	s_waitcnt lgkmcnt(2)
	v_add_f32_e32 v6, v6, v14
	ds_bpermute_b32 v14, v25, v6
	v_cmp_eq_u32_e32 vcc, 0, v0
	v_mul_f32_e32 v11, v15, v11
	v_mul_f32_e32 v12, v16, v12
	ds_write2st64_b32 v10, v7, v8 offset0:4 offset1:5
	ds_write2st64_b32 v10, v11, v12 offset0:6 offset1:7
	;; [unrolled: 1-line block ×3, first 2 shown]
	s_waitcnt lgkmcnt(3)
	v_add_f32_e32 v6, v6, v14
	ds_bpermute_b32 v14, v30, v6
	s_waitcnt lgkmcnt(0)
	v_add_f32_e32 v6, v6, v14
	ds_bpermute_b32 v14, v29, v6
	;; [unrolled: 3-line block ×4, first 2 shown]
	s_and_saveexec_b64 s[4:5], vcc
	s_cbranch_execz .LBB277_8
; %bb.7:
	s_waitcnt lgkmcnt(0)
	v_add_f32_e32 v1, v1, v2
	v_mov_b32_e32 v2, 0
	ds_write_b32 v2, v1 offset:2560
.LBB277_8:
	s_or_b64 exec, exec, s[4:5]
	v_mov_b32_e32 v1, s26
.LBB277_9:
	s_or_b64 exec, exec, s[42:43]
	s_lshl_b32 s4, s44, 7
	s_mov_b32 s5, 0
	s_lshl_b64 s[4:5], s[4:5], 1
	s_add_u32 s4, s24, s4
	s_addc_u32 s5, s25, s5
	s_lshl_b32 s10, s33, 7
	s_add_i32 s11, s10, 0xffffff80
	s_waitcnt lgkmcnt(0)
	v_lshlrev_b32_e32 v2, 7, v1
	v_mov_b32_e32 v3, 0
	s_cmp_lt_i32 s48, 1
	v_lshl_add_u64 v[4:5], v[2:3], 1, s[4:5]
	s_cselect_b32 s4, s11, 0
	v_lshlrev_b32_e32 v2, 1, v0
	s_ashr_i32 s5, s4, 31
	v_lshl_add_u64 v[0:1], v[4:5], 0, v[2:3]
	s_cmpk_lt_i32 s48, 0x101
	v_lshl_add_u64 v[12:13], s[4:5], 1, v[0:1]
	s_cselect_b32 s4, s11, 0x80
	s_ashr_i32 s5, s4, 31
	s_cmpk_lt_i32 s48, 0x201
	v_lshl_add_u64 v[14:15], s[4:5], 1, v[0:1]
	s_cselect_b32 s4, s11, 0x100
	s_ashr_i32 s5, s4, 31
	;; [unrolled: 4-line block ×8, first 2 shown]
	s_cmpk_lt_i32 s48, 0x901
	global_load_ushort v4, v[12:13], off
	global_load_ushort v5, v[14:15], off
	;; [unrolled: 1-line block ×8, first 2 shown]
	v_lshl_add_u64 v[20:21], s[4:5], 1, v[0:1]
	s_cselect_b32 s4, s11, 0x480
	s_ashr_i32 s5, s4, 31
	s_cmpk_lt_i32 s48, 0xa01
	v_lshl_add_u64 v[22:23], s[4:5], 1, v[0:1]
	s_cselect_b32 s4, s11, 0x500
	s_ashr_i32 s5, s4, 31
	s_cmpk_lt_i32 s48, 0xb01
	;; [unrolled: 4-line block ×6, first 2 shown]
	v_lshl_add_u64 v[32:33], s[4:5], 1, v[0:1]
	s_cselect_b32 s4, s11, 0x780
	s_ashr_i32 s5, s4, 31
	v_lshl_add_u64 v[34:35], s[4:5], 1, v[0:1]
	global_load_ushort v12, v[20:21], off
	global_load_ushort v13, v[22:23], off
	;; [unrolled: 1-line block ×8, first 2 shown]
	s_cmpk_gt_i32 s48, 0x1000
	s_cselect_b64 s[8:9], -1, 0
	s_cmpk_lt_i32 s48, 0x1001
	v_mov_b32_e32 v36, 0
	v_mov_b32_e32 v37, 0
	;; [unrolled: 1-line block ×48, first 2 shown]
	s_barrier
	s_cbranch_scc1 .LBB277_12
; %bb.10:
	s_cmpk_lt_u32 s48, 0x1101
	s_cselect_b32 s4, s11, 0x880
	s_ashr_i32 s5, s4, 31
	s_cmpk_lt_u32 s48, 0x1201
	v_lshl_add_u64 v[30:31], s[4:5], 1, v[0:1]
	s_cselect_b32 s4, s11, 0x900
	s_ashr_i32 s5, s4, 31
	s_cmpk_lt_u32 s48, 0x1301
	v_lshl_add_u64 v[32:33], s[4:5], 1, v[0:1]
	s_cselect_b32 s4, s11, 0x980
	s_ashr_i32 s5, s4, 31
	s_cmpk_lt_u32 s48, 0x1401
	v_lshl_add_u64 v[34:35], s[4:5], 1, v[0:1]
	s_cselect_b32 s4, s11, 0xa00
	s_ashr_i32 s5, s4, 31
	s_cmpk_lt_u32 s48, 0x1501
	v_lshl_add_u64 v[36:37], s[4:5], 1, v[0:1]
	s_cselect_b32 s4, s11, 0xa80
	s_ashr_i32 s5, s4, 31
	s_cmpk_lt_u32 s48, 0x1601
	v_lshl_add_u64 v[38:39], s[4:5], 1, v[0:1]
	s_cselect_b32 s4, s11, 0xb00
	s_ashr_i32 s5, s4, 31
	s_cmpk_lt_u32 s48, 0x1701
	v_lshl_add_u64 v[40:41], s[4:5], 1, v[0:1]
	s_cselect_b32 s4, s11, 0xb80
	s_ashr_i32 s5, s4, 31
	s_cmpk_lt_u32 s48, 0x1801
	v_lshl_add_u64 v[42:43], s[4:5], 1, v[0:1]
	s_cselect_b32 s4, s11, 0xc00
	v_add_co_u32_e32 v28, vcc, 0x1000, v0
	s_ashr_i32 s5, s4, 31
	s_nop 0
	v_addc_co_u32_e32 v29, vcc, 0, v1, vcc
	s_cmpk_lt_u32 s48, 0x1901
	global_load_ushort v27, v[28:29], off
	global_load_ushort v26, v[30:31], off
	;; [unrolled: 1-line block ×8, first 2 shown]
	v_lshl_add_u64 v[36:37], s[4:5], 1, v[0:1]
	s_cselect_b32 s4, s11, 0xc80
	s_ashr_i32 s5, s4, 31
	s_cmpk_lt_u32 s48, 0x1a01
	v_lshl_add_u64 v[38:39], s[4:5], 1, v[0:1]
	s_cselect_b32 s4, s11, 0xd00
	s_ashr_i32 s5, s4, 31
	s_cmpk_lt_u32 s48, 0x1b01
	;; [unrolled: 4-line block ×6, first 2 shown]
	v_lshl_add_u64 v[48:49], s[4:5], 1, v[0:1]
	s_cselect_b32 s4, s11, 0xf80
	s_ashr_i32 s5, s4, 31
	v_lshl_add_u64 v[50:51], s[4:5], 1, v[0:1]
	global_load_ushort v35, v[36:37], off
	global_load_ushort v34, v[38:39], off
	;; [unrolled: 1-line block ×8, first 2 shown]
	s_cmpk_lt_u32 s48, 0x2001
	v_mov_b32_e32 v67, 0
	v_mov_b32_e32 v66, 0
	;; [unrolled: 1-line block ×32, first 2 shown]
	s_cbranch_scc1 .LBB277_12
; %bb.11:
	s_cmpk_lt_u32 s48, 0x2101
	s_cselect_b32 s4, s11, 0x1080
	s_ashr_i32 s5, s4, 31
	s_cmpk_lt_u32 s48, 0x2201
	v_lshl_add_u64 v[38:39], s[4:5], 1, v[0:1]
	s_cselect_b32 s4, s11, 0x1100
	s_ashr_i32 s5, s4, 31
	s_cmpk_lt_u32 s48, 0x2301
	v_lshl_add_u64 v[40:41], s[4:5], 1, v[0:1]
	;; [unrolled: 4-line block ×7, first 2 shown]
	s_cselect_b32 s4, s11, 0x1400
	v_add_co_u32_e32 v36, vcc, 0x2000, v0
	s_ashr_i32 s5, s4, 31
	s_nop 0
	v_addc_co_u32_e32 v37, vcc, 0, v1, vcc
	s_cmpk_lt_u32 s48, 0x2901
	global_load_ushort v52, v[36:37], off
	global_load_ushort v53, v[38:39], off
	;; [unrolled: 1-line block ×8, first 2 shown]
	v_lshl_add_u64 v[36:37], s[4:5], 1, v[0:1]
	s_cselect_b32 s4, s11, 0x1480
	s_ashr_i32 s5, s4, 31
	s_cmpk_lt_u32 s48, 0x2a01
	v_lshl_add_u64 v[38:39], s[4:5], 1, v[0:1]
	s_cselect_b32 s4, s11, 0x1500
	s_ashr_i32 s5, s4, 31
	s_cmpk_lt_u32 s48, 0x2b01
	;; [unrolled: 4-line block ×8, first 2 shown]
	global_load_ushort v68, v[36:37], off
	global_load_ushort v69, v[38:39], off
	;; [unrolled: 1-line block ×8, first 2 shown]
	v_lshl_add_u64 v[36:37], s[4:5], 1, v[0:1]
	s_cselect_b32 s4, s11, 0x1880
	s_ashr_i32 s5, s4, 31
	s_cmpk_lt_u32 s48, 0x3201
	v_lshl_add_u64 v[38:39], s[4:5], 1, v[0:1]
	s_cselect_b32 s4, s11, 0x1900
	s_ashr_i32 s5, s4, 31
	s_cmpk_lt_u32 s48, 0x3301
	;; [unrolled: 4-line block ×8, first 2 shown]
	global_load_ushort v76, v[36:37], off
	global_load_ushort v77, v[38:39], off
	global_load_ushort v78, v[40:41], off
	global_load_ushort v79, v[42:43], off
	global_load_ushort v80, v[44:45], off
	global_load_ushort v81, v[46:47], off
	global_load_ushort v82, v[48:49], off
	global_load_ushort v83, v[50:51], off
	v_lshl_add_u64 v[36:37], s[4:5], 1, v[0:1]
	s_cselect_b32 s4, s11, 0x1c80
	s_ashr_i32 s5, s4, 31
	s_cmpk_lt_u32 s48, 0x3a01
	v_lshl_add_u64 v[38:39], s[4:5], 1, v[0:1]
	s_cselect_b32 s4, s11, 0x1d00
	s_ashr_i32 s5, s4, 31
	s_cmpk_lt_u32 s48, 0x3b01
	;; [unrolled: 4-line block ×6, first 2 shown]
	v_lshl_add_u64 v[48:49], s[4:5], 1, v[0:1]
	s_cselect_b32 s4, s11, 0x1f80
	s_ashr_i32 s5, s4, 31
	v_lshl_add_u64 v[50:51], s[4:5], 1, v[0:1]
	global_load_ushort v84, v[36:37], off
	global_load_ushort v85, v[38:39], off
	;; [unrolled: 1-line block ×8, first 2 shown]
	s_waitcnt vmcnt(31)
	v_cvt_f32_f16_e32 v67, v52
	s_waitcnt vmcnt(30)
	v_cvt_f32_f16_e32 v66, v53
	;; [unrolled: 2-line block ×32, first 2 shown]
.LBB277_12:
	ds_read_b128 v[68:71], v3
	s_load_dwordx2 s[4:5], s[0:1], 0x0
	s_load_dwordx2 s[6:7], s[0:1], 0x38
	ds_read_b128 v[72:75], v3 offset:16
	ds_read_b128 v[76:79], v3 offset:32
	;; [unrolled: 1-line block ×3, first 2 shown]
	s_and_b64 vcc, exec, s[8:9]
	s_waitcnt vmcnt(15) lgkmcnt(0)
	v_fma_mix_f32 v4, v68, v4, 0 op_sel_hi:[0,1,0]
	s_waitcnt vmcnt(14)
	v_fma_mix_f32 v4, v69, v5, v4 op_sel_hi:[0,1,0]
	s_waitcnt vmcnt(13)
	;; [unrolled: 2-line block ×15, first 2 shown]
	v_fma_mix_f32 v4, v83, v19, v4 op_sel_hi:[0,1,0]
	s_cbranch_vccz .LBB277_15
; %bb.13:
	ds_read_b128 v[6:9], v3 offset:64
	ds_read_b128 v[10:13], v3 offset:80
	;; [unrolled: 1-line block ×4, first 2 shown]
	s_cmpk_lt_u32 s48, 0x2001
	s_waitcnt lgkmcnt(3)
	v_fma_mix_f32 v3, v6, v27, v4 op_sel_hi:[0,1,0]
	v_fma_mix_f32 v3, v7, v26, v3 op_sel_hi:[0,1,0]
	v_fma_mix_f32 v3, v8, v25, v3 op_sel_hi:[0,1,0]
	v_fma_mix_f32 v3, v9, v24, v3 op_sel_hi:[0,1,0]
	s_waitcnt lgkmcnt(2)
	v_fma_mix_f32 v3, v10, v23, v3 op_sel_hi:[0,1,0]
	v_fma_mix_f32 v3, v11, v22, v3 op_sel_hi:[0,1,0]
	v_fma_mix_f32 v3, v12, v21, v3 op_sel_hi:[0,1,0]
	v_fma_mix_f32 v3, v13, v20, v3 op_sel_hi:[0,1,0]
	;; [unrolled: 5-line block ×4, first 2 shown]
	s_cbranch_scc1 .LBB277_15
; %bb.14:
	v_mov_b32_e32 v3, 0
	ds_read_b128 v[6:9], v3 offset:128
	ds_read_b128 v[10:13], v3 offset:144
	;; [unrolled: 1-line block ×4, first 2 shown]
	s_waitcnt lgkmcnt(3)
	v_fmac_f32_e32 v4, v6, v67
	v_fmac_f32_e32 v4, v7, v66
	v_fmac_f32_e32 v4, v8, v65
	v_fmac_f32_e32 v4, v9, v64
	s_waitcnt lgkmcnt(2)
	v_fmac_f32_e32 v4, v10, v63
	v_fmac_f32_e32 v4, v11, v62
	v_fmac_f32_e32 v4, v12, v61
	v_fmac_f32_e32 v4, v13, v60
	;; [unrolled: 5-line block ×3, first 2 shown]
	ds_read_b128 v[6:9], v3 offset:192
	ds_read_b128 v[10:13], v3 offset:208
	s_waitcnt lgkmcnt(2)
	v_fmac_f32_e32 v4, v18, v55
	v_fmac_f32_e32 v4, v19, v54
	;; [unrolled: 1-line block ×4, first 2 shown]
	s_waitcnt lgkmcnt(1)
	v_fmac_f32_e32 v4, v6, v51
	v_fmac_f32_e32 v4, v7, v50
	;; [unrolled: 1-line block ×4, first 2 shown]
	ds_read_b128 v[6:9], v3 offset:224
	s_waitcnt lgkmcnt(1)
	v_fmac_f32_e32 v4, v10, v47
	v_fmac_f32_e32 v4, v11, v46
	v_fmac_f32_e32 v4, v12, v45
	v_fmac_f32_e32 v4, v13, v44
	ds_read_b128 v[10:13], v3 offset:240
	s_waitcnt lgkmcnt(1)
	v_fmac_f32_e32 v4, v6, v43
	v_fmac_f32_e32 v4, v7, v42
	v_fmac_f32_e32 v4, v8, v41
	v_fmac_f32_e32 v4, v9, v40
	s_waitcnt lgkmcnt(0)
	v_fmac_f32_e32 v4, v10, v39
	v_fmac_f32_e32 v4, v11, v38
	;; [unrolled: 1-line block ×4, first 2 shown]
.LBB277_15:
	s_movk_i32 s0, 0x3f80
	s_movk_i32 s1, 0x100
	s_mov_b32 s8, 64
	s_branch .LBB277_17
.LBB277_16:                             ;   in Loop: Header=BB277_17 Depth=1
	s_addk_i32 s0, 0x2000
	s_addk_i32 s1, 0x100
	s_add_i32 s8, s8, 64
	s_cmp_eq_u32 s0, 0x15f80
	s_cbranch_scc1 .LBB277_19
.LBB277_17:                             ; =>This Inner Loop Header: Depth=1
	s_cmp_le_i32 s33, s8
	s_cbranch_scc1 .LBB277_16
; %bb.18:                               ;   in Loop: Header=BB277_17 Depth=1
	s_add_i32 s9, s0, 0xffffe080
	s_cmp_lt_i32 s9, s10
	s_cselect_b32 s12, s9, s11
	s_ashr_i32 s13, s12, 31
	s_add_i32 s9, s0, 0xffffe100
	s_cmp_lt_i32 s9, s10
	v_lshl_add_u64 v[12:13], s[12:13], 1, v[0:1]
	s_cselect_b32 s12, s9, s11
	s_ashr_i32 s13, s12, 31
	s_add_i32 s9, s0, 0xffffe180
	s_cmp_lt_i32 s9, s10
	v_lshl_add_u64 v[14:15], s[12:13], 1, v[0:1]
	;; [unrolled: 5-line block ×8, first 2 shown]
	s_cselect_b32 s12, s9, s11
	s_ashr_i32 s13, s12, 31
	s_add_i32 s9, s0, 0xffffe500
	s_cmp_lt_i32 s9, s10
	global_load_ushort v3, v[12:13], off
	global_load_ushort v5, v[14:15], off
	global_load_ushort v6, v[16:17], off
	global_load_ushort v7, v[18:19], off
	global_load_ushort v8, v[20:21], off
	global_load_ushort v9, v[22:23], off
	global_load_ushort v10, v[24:25], off
	global_load_ushort v11, v[26:27], off
	v_lshl_add_u64 v[12:13], s[12:13], 1, v[0:1]
	s_cselect_b32 s12, s9, s11
	s_ashr_i32 s13, s12, 31
	s_add_i32 s9, s0, 0xffffe580
	s_cmp_lt_i32 s9, s10
	v_lshl_add_u64 v[14:15], s[12:13], 1, v[0:1]
	s_cselect_b32 s12, s9, s11
	s_ashr_i32 s13, s12, 31
	s_add_i32 s9, s0, 0xffffe600
	s_cmp_lt_i32 s9, s10
	v_lshl_add_u64 v[16:17], s[12:13], 1, v[0:1]
	s_cselect_b32 s12, s9, s11
	s_ashr_i32 s13, s12, 31
	s_add_i32 s9, s0, 0xffffe680
	s_cmp_lt_i32 s9, s10
	v_lshl_add_u64 v[18:19], s[12:13], 1, v[0:1]
	s_cselect_b32 s12, s9, s11
	s_ashr_i32 s13, s12, 31
	s_add_i32 s9, s0, 0xffffe700
	s_cmp_lt_i32 s9, s10
	v_lshl_add_u64 v[20:21], s[12:13], 1, v[0:1]
	s_cselect_b32 s12, s9, s11
	s_ashr_i32 s13, s12, 31
	s_add_i32 s9, s0, 0xffffe780
	s_cmp_lt_i32 s9, s10
	v_lshl_add_u64 v[22:23], s[12:13], 1, v[0:1]
	s_cselect_b32 s12, s9, s11
	s_ashr_i32 s13, s12, 31
	s_add_i32 s9, s0, 0xffffe800
	s_cmp_lt_i32 s9, s10
	v_lshl_add_u64 v[24:25], s[12:13], 1, v[0:1]
	s_cselect_b32 s12, s9, s11
	s_ashr_i32 s13, s12, 31
	s_add_i32 s9, s0, 0xffffe880
	s_cmp_lt_i32 s9, s10
	v_lshl_add_u64 v[26:27], s[12:13], 1, v[0:1]
	s_cselect_b32 s12, s9, s11
	s_ashr_i32 s13, s12, 31
	s_add_i32 s9, s0, 0xffffe900
	s_cmp_lt_i32 s9, s10
	global_load_ushort v28, v[12:13], off
	global_load_ushort v29, v[14:15], off
	global_load_ushort v30, v[16:17], off
	global_load_ushort v31, v[18:19], off
	global_load_ushort v32, v[20:21], off
	global_load_ushort v33, v[22:23], off
	global_load_ushort v34, v[24:25], off
	global_load_ushort v35, v[26:27], off
	v_lshl_add_u64 v[12:13], s[12:13], 1, v[0:1]
	s_cselect_b32 s12, s9, s11
	s_ashr_i32 s13, s12, 31
	s_add_i32 s9, s0, 0xffffe980
	s_cmp_lt_i32 s9, s10
	v_lshl_add_u64 v[14:15], s[12:13], 1, v[0:1]
	s_cselect_b32 s12, s9, s11
	s_ashr_i32 s13, s12, 31
	s_add_i32 s9, s0, 0xffffea00
	s_cmp_lt_i32 s9, s10
	v_lshl_add_u64 v[16:17], s[12:13], 1, v[0:1]
	s_cselect_b32 s12, s9, s11
	s_ashr_i32 s13, s12, 31
	s_add_i32 s9, s0, 0xffffea80
	s_cmp_lt_i32 s9, s10
	v_lshl_add_u64 v[18:19], s[12:13], 1, v[0:1]
	s_cselect_b32 s12, s9, s11
	s_ashr_i32 s13, s12, 31
	s_add_i32 s9, s0, 0xffffeb00
	s_cmp_lt_i32 s9, s10
	v_lshl_add_u64 v[20:21], s[12:13], 1, v[0:1]
	s_cselect_b32 s12, s9, s11
	s_ashr_i32 s13, s12, 31
	s_add_i32 s9, s0, 0xffffeb80
	s_cmp_lt_i32 s9, s10
	v_lshl_add_u64 v[22:23], s[12:13], 1, v[0:1]
	s_cselect_b32 s12, s9, s11
	s_ashr_i32 s13, s12, 31
	s_add_i32 s9, s0, 0xffffec00
	s_cmp_lt_i32 s9, s10
	v_lshl_add_u64 v[24:25], s[12:13], 1, v[0:1]
	s_cselect_b32 s12, s9, s11
	s_ashr_i32 s13, s12, 31
	s_add_i32 s9, s0, 0xffffec80
	s_cmp_lt_i32 s9, s10
	v_lshl_add_u64 v[26:27], s[12:13], 1, v[0:1]
	;; [unrolled: 48-line block ×6, first 2 shown]
	s_cselect_b32 s12, s9, s11
	s_ashr_i32 s13, s12, 31
	s_add_i32 s9, s0, 0xfffffd00
	s_cmp_lt_i32 s9, s10
	global_load_ushort v68, v[12:13], off
	global_load_ushort v69, v[14:15], off
	;; [unrolled: 1-line block ×8, first 2 shown]
	v_lshl_add_u64 v[12:13], s[12:13], 1, v[0:1]
	s_cselect_b32 s12, s9, s11
	s_ashr_i32 s13, s12, 31
	s_add_i32 s9, s0, 0xfffffd80
	s_cmp_lt_i32 s9, s10
	v_lshl_add_u64 v[14:15], s[12:13], 1, v[0:1]
	s_cselect_b32 s12, s9, s11
	s_ashr_i32 s13, s12, 31
	s_add_i32 s9, s0, 0xfffffe00
	s_cmp_lt_i32 s9, s10
	;; [unrolled: 5-line block ×5, first 2 shown]
	v_lshl_add_u64 v[22:23], s[12:13], 1, v[0:1]
	s_cselect_b32 s12, s9, s11
	s_ashr_i32 s13, s12, 31
	s_cmp_lt_i32 s0, s10
	v_lshl_add_u64 v[24:25], s[12:13], 1, v[0:1]
	s_cselect_b32 s12, s0, s11
	s_ashr_i32 s13, s12, 31
	v_lshl_add_u64 v[26:27], s[12:13], 1, v[0:1]
	global_load_ushort v76, v[12:13], off
	global_load_ushort v77, v[14:15], off
	;; [unrolled: 1-line block ×8, first 2 shown]
	v_mov_b32_e32 v84, s1
	ds_read_b128 v[12:15], v84
	ds_read_b128 v[16:19], v84 offset:16
	ds_read_b128 v[20:23], v84 offset:32
	ds_read_b128 v[24:27], v84 offset:48
	s_waitcnt vmcnt(62) lgkmcnt(3)
	v_fma_mix_f32 v3, v12, v3, v4 op_sel_hi:[0,1,0]
	v_fma_mix_f32 v3, v13, v5, v3 op_sel_hi:[0,1,0]
	s_waitcnt vmcnt(61)
	v_fma_mix_f32 v3, v14, v6, v3 op_sel_hi:[0,1,0]
	s_waitcnt vmcnt(60)
	v_fma_mix_f32 v3, v15, v7, v3 op_sel_hi:[0,1,0]
	s_waitcnt vmcnt(59) lgkmcnt(2)
	v_fma_mix_f32 v3, v16, v8, v3 op_sel_hi:[0,1,0]
	s_waitcnt vmcnt(58)
	v_fma_mix_f32 v3, v17, v9, v3 op_sel_hi:[0,1,0]
	s_waitcnt vmcnt(57)
	v_fma_mix_f32 v3, v18, v10, v3 op_sel_hi:[0,1,0]
	s_waitcnt vmcnt(56)
	v_fma_mix_f32 v3, v19, v11, v3 op_sel_hi:[0,1,0]
	s_waitcnt vmcnt(55) lgkmcnt(1)
	v_fma_mix_f32 v3, v20, v28, v3 op_sel_hi:[0,1,0]
	s_waitcnt vmcnt(54)
	v_fma_mix_f32 v3, v21, v29, v3 op_sel_hi:[0,1,0]
	s_waitcnt vmcnt(53)
	;; [unrolled: 2-line block ×3, first 2 shown]
	v_fma_mix_f32 v3, v23, v31, v3 op_sel_hi:[0,1,0]
	ds_read_b128 v[4:7], v84 offset:64
	ds_read_b128 v[8:11], v84 offset:80
	s_waitcnt vmcnt(51) lgkmcnt(2)
	v_fma_mix_f32 v3, v24, v32, v3 op_sel_hi:[0,1,0]
	s_waitcnt vmcnt(50)
	v_fma_mix_f32 v3, v25, v33, v3 op_sel_hi:[0,1,0]
	s_waitcnt vmcnt(49)
	;; [unrolled: 2-line block ×3, first 2 shown]
	v_fma_mix_f32 v3, v27, v35, v3 op_sel_hi:[0,1,0]
	s_waitcnt vmcnt(47) lgkmcnt(1)
	v_fma_mix_f32 v3, v4, v36, v3 op_sel_hi:[0,1,0]
	s_waitcnt vmcnt(46)
	v_fma_mix_f32 v3, v5, v37, v3 op_sel_hi:[0,1,0]
	s_waitcnt vmcnt(45)
	v_fma_mix_f32 v3, v6, v38, v3 op_sel_hi:[0,1,0]
	s_waitcnt vmcnt(44)
	v_fma_mix_f32 v3, v7, v39, v3 op_sel_hi:[0,1,0]
	ds_read_b128 v[4:7], v84 offset:96
	s_waitcnt vmcnt(43) lgkmcnt(1)
	v_fma_mix_f32 v3, v8, v40, v3 op_sel_hi:[0,1,0]
	s_waitcnt vmcnt(42)
	v_fma_mix_f32 v3, v9, v41, v3 op_sel_hi:[0,1,0]
	s_waitcnt vmcnt(41)
	v_fma_mix_f32 v3, v10, v42, v3 op_sel_hi:[0,1,0]
	s_waitcnt vmcnt(40)
	v_fma_mix_f32 v3, v11, v43, v3 op_sel_hi:[0,1,0]
	ds_read_b128 v[8:11], v84 offset:112
	;; [unrolled: 9-line block ×10, first 2 shown]
	s_waitcnt vmcnt(7) lgkmcnt(1)
	v_fma_mix_f32 v3, v4, v76, v3 op_sel_hi:[0,1,0]
	s_waitcnt vmcnt(6)
	v_fma_mix_f32 v3, v5, v77, v3 op_sel_hi:[0,1,0]
	s_waitcnt vmcnt(5)
	;; [unrolled: 2-line block ×3, first 2 shown]
	v_fma_mix_f32 v3, v7, v79, v3 op_sel_hi:[0,1,0]
	s_waitcnt vmcnt(3) lgkmcnt(0)
	v_fma_mix_f32 v3, v8, v80, v3 op_sel_hi:[0,1,0]
	s_waitcnt vmcnt(2)
	v_fma_mix_f32 v3, v9, v81, v3 op_sel_hi:[0,1,0]
	s_waitcnt vmcnt(1)
	;; [unrolled: 2-line block ×3, first 2 shown]
	v_fma_mix_f32 v4, v11, v83, v3 op_sel_hi:[0,1,0]
	s_branch .LBB277_16
.LBB277_19:
	v_mov_b32_e32 v0, 0
	ds_read_b32 v1, v0 offset:2560
	s_cmp_lg_u64 s[6:7], 0
	s_cbranch_scc0 .LBB277_24
; %bb.20:
	s_load_dword s6, s[6:7], 0x0
	s_waitcnt lgkmcnt(0)
	v_div_scale_f32 v0, s[0:1], s6, s6, 1.0
	v_rcp_f32_e32 v3, v0
	v_div_scale_f32 v5, vcc, 1.0, s6, 1.0
	v_fma_f32 v6, -v0, v3, 1.0
	v_fmac_f32_e32 v3, v6, v3
	v_mul_f32_e32 v6, v5, v3
	v_fma_f32 v7, -v0, v6, v5
	v_fmac_f32_e32 v6, v7, v3
	v_fma_f32 v0, -v0, v6, v5
	v_div_fmas_f32 v0, v0, v3, v6
	v_div_fixup_f32 v0, v0, s6, 1.0
	s_andn2_b64 vcc, exec, s[38:39]
	s_cbranch_vccnz .LBB277_22
.LBB277_21:
	s_add_u32 s0, s36, s40
	s_addc_u32 s1, s37, s41
	s_load_dword s34, s[0:1], 0x0
	s_mov_b32 s35, 0
.LBB277_22:
	s_waitcnt lgkmcnt(0)
	v_add_f32_e32 v1, 0x358637bd, v1
	v_div_scale_f32 v3, s[0:1], v1, v1, 1.0
	v_rcp_f32_e32 v5, v3
	v_div_scale_f32 v6, vcc, 1.0, v1, 1.0
	s_mul_i32 s0, s3, s35
	v_fma_f32 v7, -v3, v5, 1.0
	v_fmac_f32_e32 v5, v7, v5
	v_mul_f32_e32 v7, v6, v5
	v_fma_f32 v8, -v3, v7, v6
	s_mul_hi_u32 s1, s3, s34
	v_fmac_f32_e32 v7, v8, v5
	s_add_i32 s1, s1, s0
	s_mul_i32 s0, s3, s34
	v_fma_f32 v3, -v3, v7, v6
	s_lshl_b64 s[0:1], s[0:1], 8
	v_div_fmas_f32 v3, v3, v5, v7
	s_add_u32 s4, s4, s0
	s_mov_b32 s3, 0
	v_div_fixup_f32 v1, v3, v1, 1.0
	s_addc_u32 s5, s5, s1
	s_lshl_b64 s[0:1], s[2:3], 8
	v_mul_f32_e32 v1, v4, v1
	s_add_u32 s0, s4, s0
	s_addc_u32 s1, s5, s1
	v_fma_mixlo_f16 v0, v1, v0, 0
	global_store_short v2, v0, s[0:1]
	s_endpgm
.LBB277_23:
	s_mov_b64 s[6:7], 0
	s_branch .LBB277_2
.LBB277_24:
	v_mov_b32_e32 v0, 1.0
	s_andn2_b64 vcc, exec, s[38:39]
	s_cbranch_vccz .LBB277_21
	s_branch .LBB277_22
	.section	.rodata,"a",@progbits
	.p2align	6, 0x0
	.amdhsa_kernel _Z35paged_attention_ll4mi_reduce_kernelIDF16_DF16_Li128ELi128ELi256ELi10EEvPT0_PKfS3_PKT_PKiS8_iS3_
		.amdhsa_group_segment_fixed_size 2564
		.amdhsa_private_segment_fixed_size 0
		.amdhsa_kernarg_size 320
		.amdhsa_user_sgpr_count 2
		.amdhsa_user_sgpr_dispatch_ptr 0
		.amdhsa_user_sgpr_queue_ptr 0
		.amdhsa_user_sgpr_kernarg_segment_ptr 1
		.amdhsa_user_sgpr_dispatch_id 0
		.amdhsa_user_sgpr_kernarg_preload_length 0
		.amdhsa_user_sgpr_kernarg_preload_offset 0
		.amdhsa_user_sgpr_private_segment_size 0
		.amdhsa_uses_dynamic_stack 0
		.amdhsa_enable_private_segment 0
		.amdhsa_system_sgpr_workgroup_id_x 1
		.amdhsa_system_sgpr_workgroup_id_y 1
		.amdhsa_system_sgpr_workgroup_id_z 0
		.amdhsa_system_sgpr_workgroup_info 0
		.amdhsa_system_vgpr_workitem_id 0
		.amdhsa_next_free_vgpr 92
		.amdhsa_next_free_sgpr 49
		.amdhsa_accum_offset 92
		.amdhsa_reserve_vcc 1
		.amdhsa_float_round_mode_32 0
		.amdhsa_float_round_mode_16_64 0
		.amdhsa_float_denorm_mode_32 3
		.amdhsa_float_denorm_mode_16_64 3
		.amdhsa_dx10_clamp 1
		.amdhsa_ieee_mode 1
		.amdhsa_fp16_overflow 0
		.amdhsa_tg_split 0
		.amdhsa_exception_fp_ieee_invalid_op 0
		.amdhsa_exception_fp_denorm_src 0
		.amdhsa_exception_fp_ieee_div_zero 0
		.amdhsa_exception_fp_ieee_overflow 0
		.amdhsa_exception_fp_ieee_underflow 0
		.amdhsa_exception_fp_ieee_inexact 0
		.amdhsa_exception_int_div_zero 0
	.end_amdhsa_kernel
	.section	.text._Z35paged_attention_ll4mi_reduce_kernelIDF16_DF16_Li128ELi128ELi256ELi10EEvPT0_PKfS3_PKT_PKiS8_iS3_,"axG",@progbits,_Z35paged_attention_ll4mi_reduce_kernelIDF16_DF16_Li128ELi128ELi256ELi10EEvPT0_PKfS3_PKT_PKiS8_iS3_,comdat
.Lfunc_end277:
	.size	_Z35paged_attention_ll4mi_reduce_kernelIDF16_DF16_Li128ELi128ELi256ELi10EEvPT0_PKfS3_PKT_PKiS8_iS3_, .Lfunc_end277-_Z35paged_attention_ll4mi_reduce_kernelIDF16_DF16_Li128ELi128ELi256ELi10EEvPT0_PKfS3_PKT_PKiS8_iS3_
                                        ; -- End function
	.section	.AMDGPU.csdata,"",@progbits
; Kernel info:
; codeLenInByte = 9556
; NumSgprs: 55
; NumVgprs: 92
; NumAgprs: 0
; TotalNumVgprs: 92
; ScratchSize: 0
; MemoryBound: 0
; FloatMode: 240
; IeeeMode: 1
; LDSByteSize: 2564 bytes/workgroup (compile time only)
; SGPRBlocks: 6
; VGPRBlocks: 11
; NumSGPRsForWavesPerEU: 55
; NumVGPRsForWavesPerEU: 92
; AccumOffset: 92
; Occupancy: 5
; WaveLimiterHint : 1
; COMPUTE_PGM_RSRC2:SCRATCH_EN: 0
; COMPUTE_PGM_RSRC2:USER_SGPR: 2
; COMPUTE_PGM_RSRC2:TRAP_HANDLER: 0
; COMPUTE_PGM_RSRC2:TGID_X_EN: 1
; COMPUTE_PGM_RSRC2:TGID_Y_EN: 1
; COMPUTE_PGM_RSRC2:TGID_Z_EN: 0
; COMPUTE_PGM_RSRC2:TIDIG_COMP_CNT: 0
; COMPUTE_PGM_RSRC3_GFX90A:ACCUM_OFFSET: 22
; COMPUTE_PGM_RSRC3_GFX90A:TG_SPLIT: 0
	.section	.text._Z35paged_attention_ll4mi_reduce_kernelIDF16_DF16_Li128ELi128ELi256ELi11EEvPT0_PKfS3_PKT_PKiS8_iS3_,"axG",@progbits,_Z35paged_attention_ll4mi_reduce_kernelIDF16_DF16_Li128ELi128ELi256ELi11EEvPT0_PKfS3_PKT_PKiS8_iS3_,comdat
	.protected	_Z35paged_attention_ll4mi_reduce_kernelIDF16_DF16_Li128ELi128ELi256ELi11EEvPT0_PKfS3_PKT_PKiS8_iS3_ ; -- Begin function _Z35paged_attention_ll4mi_reduce_kernelIDF16_DF16_Li128ELi128ELi256ELi11EEvPT0_PKfS3_PKT_PKiS8_iS3_
	.globl	_Z35paged_attention_ll4mi_reduce_kernelIDF16_DF16_Li128ELi128ELi256ELi11EEvPT0_PKfS3_PKT_PKiS8_iS3_
	.p2align	8
	.type	_Z35paged_attention_ll4mi_reduce_kernelIDF16_DF16_Li128ELi128ELi256ELi11EEvPT0_PKfS3_PKT_PKiS8_iS3_,@function
_Z35paged_attention_ll4mi_reduce_kernelIDF16_DF16_Li128ELi128ELi256ELi11EEvPT0_PKfS3_PKT_PKiS8_iS3_: ; @_Z35paged_attention_ll4mi_reduce_kernelIDF16_DF16_Li128ELi128ELi256ELi11EEvPT0_PKfS3_PKT_PKiS8_iS3_
; %bb.0:
	s_load_dwordx2 s[34:35], s[0:1], 0x28
	s_mov_b32 s26, s3
	s_mov_b64 s[4:5], 0
	s_waitcnt lgkmcnt(0)
	s_cmp_lg_u64 s[34:35], 0
	s_cselect_b64 s[40:41], -1, 0
	s_and_b64 vcc, exec, s[40:41]
	s_cbranch_vccz .LBB278_23
; %bb.1:
	s_add_i32 s6, s26, 1
	s_mov_b32 s7, 0
	s_lshl_b64 s[8:9], s[6:7], 2
	s_add_u32 s8, s34, s8
	s_mov_b32 s27, s7
	s_addc_u32 s9, s35, s9
	s_lshl_b64 s[6:7], s[26:27], 2
	s_add_u32 s6, s34, s6
	s_addc_u32 s7, s35, s7
	s_load_dword s3, s[8:9], 0x0
	s_load_dword s10, s[6:7], 0x0
	s_waitcnt lgkmcnt(0)
	s_sub_i32 s3, s3, s10
	s_cmp_eq_u32 s3, 1
	s_cselect_b64 s[6:7], -1, 0
	s_andn2_b64 vcc, exec, s[4:5]
	s_cbranch_vccnz .LBB278_3
.LBB278_2:
	s_mov_b32 s27, 0
	s_mov_b64 s[6:7], -1
.LBB278_3:
	s_andn2_b64 vcc, exec, s[6:7]
	s_cbranch_vccz .LBB278_5
; %bb.4:
	s_endpgm
.LBB278_5:
	s_load_dwordx4 s[28:31], s[0:1], 0x18
	s_load_dword s8, s[0:1], 0x30
	s_lshl_b64 s[42:43], s[26:27], 2
	v_cmp_lt_u32_e32 vcc, 63, v0
	s_waitcnt lgkmcnt(0)
	s_add_u32 s4, s30, s42
	s_addc_u32 s5, s31, s43
	s_load_dword s50, s[4:5], 0x0
	s_load_dword s3, s[0:1], 0x40
	s_mul_i32 s30, s2, s8
	s_mul_i32 s6, s26, s8
	s_waitcnt lgkmcnt(0)
	s_add_i32 s7, s50, 0xff
	s_ashr_i32 s4, s7, 31
	s_lshr_b32 s4, s4, 24
	s_add_i32 s7, s7, s4
	s_and_saveexec_b64 s[4:5], vcc
	s_xor_b64 s[4:5], exec, s[4:5]
	s_or_saveexec_b64 s[44:45], s[4:5]
	s_ashr_i32 s33, s7, 8
	v_mov_b32_e32 v1, s30
	s_mul_i32 s46, s6, s3
	s_xor_b64 exec, exec, s[44:45]
	s_cbranch_execz .LBB278_9
; %bb.6:
	s_add_i32 s4, s33, -1
	v_or_b32_e32 v3, 64, v0
	v_mov_b32_e32 v1, s4
	v_cmp_gt_u32_e64 s[20:21], s33, v3
	s_load_dwordx4 s[36:39], s[0:1], 0x8
	s_mov_b32 s47, 0
	v_cndmask_b32_e64 v4, v1, v3, s[20:21]
	v_or_b32_e32 v3, 0x80, v0
	v_cmp_gt_u32_e64 s[18:19], s33, v3
	s_lshl_b64 s[48:49], s[46:47], 2
	s_mov_b32 s31, s47
	v_cndmask_b32_e64 v6, v1, v3, s[18:19]
	v_or_b32_e32 v3, 0xc0, v0
	v_cmp_gt_u32_e64 s[16:17], s33, v3
	v_cmp_gt_u32_e64 s[22:23], s33, v0
	s_waitcnt lgkmcnt(0)
	s_add_u32 s24, s38, s48
	v_cndmask_b32_e64 v8, v1, v3, s[16:17]
	v_or_b32_e32 v3, 0x100, v0
	v_cmp_gt_u32_e64 s[14:15], s33, v3
	v_cndmask_b32_e64 v2, v1, v0, s[22:23]
	s_addc_u32 s25, s39, s49
	v_cndmask_b32_e64 v10, v1, v3, s[14:15]
	v_or_b32_e32 v3, 0x140, v0
	v_cmp_gt_u32_e64 s[12:13], s33, v3
	s_lshl_b64 s[38:39], s[30:31], 2
	s_add_u32 s24, s24, s38
	v_cndmask_b32_e64 v12, v1, v3, s[12:13]
	v_or_b32_e32 v3, 0x180, v0
	v_cmp_gt_u32_e64 s[10:11], s33, v3
	v_ashrrev_i32_e32 v9, 31, v8
	v_ashrrev_i32_e32 v11, 31, v10
	v_cndmask_b32_e64 v14, v1, v3, s[10:11]
	v_or_b32_e32 v3, 0x1c0, v0
	v_cmp_gt_u32_e64 s[8:9], s33, v3
	v_ashrrev_i32_e32 v13, 31, v12
	s_addc_u32 s25, s25, s39
	v_cndmask_b32_e64 v16, v1, v3, s[8:9]
	v_or_b32_e32 v3, 0x200, v0
	v_cmp_gt_u32_e64 s[6:7], s33, v3
	v_ashrrev_i32_e32 v5, 31, v4
	v_ashrrev_i32_e32 v7, 31, v6
	v_cndmask_b32_e64 v18, v1, v3, s[6:7]
	v_or_b32_e32 v3, 0x240, v0
	v_cmp_gt_u32_e64 s[4:5], s33, v3
	v_lshlrev_b64 v[8:9], 2, v[8:9]
	v_lshlrev_b64 v[10:11], 2, v[10:11]
	v_cndmask_b32_e64 v20, v1, v3, s[4:5]
	v_or_b32_e32 v3, 0x280, v0
	v_cmp_gt_u32_e32 vcc, s33, v3
	v_lshlrev_b64 v[12:13], 2, v[12:13]
	v_ashrrev_i32_e32 v15, 31, v14
	v_cndmask_b32_e32 v22, v1, v3, vcc
	v_ashrrev_i32_e32 v3, 31, v2
	v_lshlrev_b64 v[2:3], 2, v[2:3]
	v_ashrrev_i32_e32 v17, 31, v16
	v_ashrrev_i32_e32 v19, 31, v18
	v_lshl_add_u64 v[24:25], s[24:25], 0, v[2:3]
	v_lshlrev_b64 v[4:5], 2, v[4:5]
	v_lshlrev_b64 v[6:7], 2, v[6:7]
	v_lshl_add_u64 v[30:31], s[24:25], 0, v[8:9]
	v_lshl_add_u64 v[32:33], s[24:25], 0, v[10:11]
	;; [unrolled: 1-line block ×3, first 2 shown]
	v_lshlrev_b64 v[14:15], 2, v[14:15]
	v_lshlrev_b64 v[16:17], 2, v[16:17]
	;; [unrolled: 1-line block ×3, first 2 shown]
	v_ashrrev_i32_e32 v21, 31, v20
	v_ashrrev_i32_e32 v23, 31, v22
	v_lshl_add_u64 v[26:27], s[24:25], 0, v[4:5]
	v_lshl_add_u64 v[28:29], s[24:25], 0, v[6:7]
	;; [unrolled: 1-line block ×4, first 2 shown]
	global_load_dword v1, v[24:25], off
	global_load_dword v40, v[26:27], off
	;; [unrolled: 1-line block ×3, first 2 shown]
	s_nop 0
	global_load_dword v30, v[30:31], off
	s_nop 0
	global_load_dword v31, v[32:33], off
	;; [unrolled: 2-line block ×3, first 2 shown]
	global_load_dword v33, v[36:37], off
	s_nop 0
	global_load_dword v34, v[38:39], off
	v_lshl_add_u64 v[24:25], s[24:25], 0, v[18:19]
	v_lshlrev_b64 v[20:21], 2, v[20:21]
	v_lshlrev_b64 v[22:23], 2, v[22:23]
	v_lshl_add_u64 v[26:27], s[24:25], 0, v[20:21]
	v_lshl_add_u64 v[28:29], s[24:25], 0, v[22:23]
	global_load_dword v24, v[24:25], off
	s_nop 0
	global_load_dword v25, v[26:27], off
	global_load_dword v35, v[28:29], off
	v_mbcnt_lo_u32_b32 v26, -1, 0
	v_mbcnt_hi_u32_b32 v26, -1, v26
	v_and_b32_e32 v27, 64, v26
	v_add_u32_e32 v27, 64, v27
	v_xor_b32_e32 v29, 32, v26
	v_cmp_lt_i32_e64 s[24:25], v29, v27
	v_xor_b32_e32 v42, 2, v26
	s_mov_b32 s31, 0x3fb8aa3b
	v_cndmask_b32_e64 v29, v26, v29, s[24:25]
	v_lshlrev_b32_e32 v29, 2, v29
	s_waitcnt vmcnt(8)
	v_max3_f32 v28, v1, v40, v41
	s_waitcnt vmcnt(6)
	v_max3_f32 v28, v28, v30, v31
	s_waitcnt vmcnt(4)
	v_max3_f32 v28, v28, v32, v33
	s_waitcnt vmcnt(2)
	v_max3_f32 v28, v28, v34, v24
	s_waitcnt vmcnt(0)
	v_max3_f32 v28, v28, v25, v35
	ds_bpermute_b32 v36, v29, v28
	s_waitcnt lgkmcnt(0)
	v_max_f32_e32 v36, v36, v36
	v_max_f32_e32 v28, v28, v36
	v_xor_b32_e32 v36, 16, v26
	v_cmp_lt_i32_e64 s[24:25], v36, v27
	s_nop 1
	v_cndmask_b32_e64 v36, v26, v36, s[24:25]
	v_lshlrev_b32_e32 v36, 2, v36
	ds_bpermute_b32 v37, v36, v28
	s_waitcnt lgkmcnt(0)
	v_max_f32_e32 v37, v37, v37
	v_max_f32_e32 v28, v28, v37
	v_xor_b32_e32 v37, 8, v26
	v_cmp_lt_i32_e64 s[24:25], v37, v27
	s_nop 1
	v_cndmask_b32_e64 v37, v26, v37, s[24:25]
	s_add_u32 s24, s36, s48
	v_lshlrev_b32_e32 v37, 2, v37
	s_addc_u32 s25, s37, s49
	ds_bpermute_b32 v38, v37, v28
	s_add_u32 s36, s24, s38
	s_addc_u32 s37, s25, s39
	v_lshl_add_u64 v[2:3], s[36:37], 0, v[2:3]
	global_load_dword v39, v[2:3], off
	v_xor_b32_e32 v3, 4, v26
	v_cmp_lt_i32_e64 s[24:25], v3, v27
	s_waitcnt lgkmcnt(0)
	v_max_f32_e32 v2, v38, v38
	v_max_f32_e32 v2, v28, v2
	v_cndmask_b32_e64 v3, v26, v3, s[24:25]
	v_lshlrev_b32_e32 v28, 2, v3
	ds_bpermute_b32 v3, v28, v2
	v_cmp_lt_i32_e64 s[24:25], v42, v27
	s_waitcnt lgkmcnt(0)
	v_max_f32_e32 v3, v3, v3
	v_max_f32_e32 v38, v2, v3
	v_lshl_add_u64 v[2:3], s[36:37], 0, v[4:5]
	global_load_dword v43, v[2:3], off
	v_cndmask_b32_e64 v2, v26, v42, s[24:25]
	v_lshlrev_b32_e32 v42, 2, v2
	ds_bpermute_b32 v2, v42, v38
	v_lshl_add_u64 v[4:5], s[36:37], 0, v[10:11]
	v_lshl_add_u64 v[10:11], s[36:37], 0, v[16:17]
	s_waitcnt lgkmcnt(0)
	v_max_f32_e32 v2, v2, v2
	v_max_f32_e32 v38, v38, v2
	v_xor_b32_e32 v2, 1, v26
	v_cmp_lt_i32_e64 s[24:25], v2, v27
	s_nop 1
	v_cndmask_b32_e64 v2, v26, v2, s[24:25]
	v_lshlrev_b32_e32 v26, 2, v2
	v_lshl_add_u64 v[2:3], s[36:37], 0, v[6:7]
	global_load_dword v27, v[2:3], off
	v_lshl_add_u64 v[2:3], s[36:37], 0, v[8:9]
	v_lshl_add_u64 v[6:7], s[36:37], 0, v[12:13]
	;; [unrolled: 1-line block ×3, first 2 shown]
	global_load_dword v12, v[2:3], off
	global_load_dword v13, v[4:5], off
	;; [unrolled: 1-line block ×5, first 2 shown]
	ds_bpermute_b32 v44, v26, v38
	v_lshl_add_u64 v[2:3], s[36:37], 0, v[18:19]
	v_lshl_add_u64 v[4:5], s[36:37], 0, v[20:21]
	;; [unrolled: 1-line block ×3, first 2 shown]
	s_mov_b32 s36, 0xc2ce8ed0
	s_waitcnt lgkmcnt(0)
	v_max_f32_e32 v8, v44, v44
	v_max_f32_e32 v8, v38, v8
	v_sub_f32_e32 v1, v1, v8
	v_mul_f32_e32 v9, 0x3fb8aa3b, v1
	v_fma_f32 v10, v1, s31, -v9
	v_rndne_f32_e32 v11, v9
	v_fmac_f32_e32 v10, 0x32a5705f, v1
	v_sub_f32_e32 v9, v9, v11
	v_add_f32_e32 v9, v9, v10
	v_cvt_i32_f32_e32 v10, v11
	global_load_dword v11, v[2:3], off
	global_load_dword v17, v[4:5], off
	;; [unrolled: 1-line block ×3, first 2 shown]
	v_sub_f32_e32 v4, v40, v8
	v_mul_f32_e32 v5, 0x3fb8aa3b, v4
	v_fma_f32 v6, v4, s31, -v5
	v_rndne_f32_e32 v7, v5
	v_exp_f32_e32 v9, v9
	v_fmac_f32_e32 v6, 0x32a5705f, v4
	v_sub_f32_e32 v5, v5, v7
	v_add_f32_e32 v5, v5, v6
	v_exp_f32_e32 v5, v5
	v_cvt_i32_f32_e32 v6, v7
	v_ldexp_f32 v2, v9, v10
	v_cmp_ngt_f32_e64 s[24:25], s36, v1
	s_mov_b32 s37, 0x42b17218
	v_mov_b32_e32 v3, 0x7f800000
	v_cndmask_b32_e64 v2, 0, v2, s[24:25]
	v_cmp_nlt_f32_e64 s[24:25], s37, v1
	s_nop 1
	v_cndmask_b32_e64 v1, v3, v2, s[24:25]
	v_ldexp_f32 v2, v5, v6
	v_sub_f32_e32 v5, v41, v8
	v_mul_f32_e32 v6, 0x3fb8aa3b, v5
	v_fma_f32 v7, v5, s31, -v6
	v_rndne_f32_e32 v9, v6
	v_fmac_f32_e32 v7, 0x32a5705f, v5
	v_sub_f32_e32 v6, v6, v9
	v_add_f32_e32 v6, v6, v7
	v_exp_f32_e32 v6, v6
	v_cvt_i32_f32_e32 v7, v9
	v_cndmask_b32_e64 v1, 0, v1, s[22:23]
	v_cmp_ngt_f32_e64 s[22:23], s36, v4
	s_waitcnt vmcnt(10)
	v_mul_f32_e32 v1, v39, v1
	v_cndmask_b32_e64 v2, 0, v2, s[22:23]
	v_cmp_nlt_f32_e64 s[22:23], s37, v4
	v_ldexp_f32 v4, v6, v7
	v_sub_f32_e32 v6, v30, v8
	v_mul_f32_e32 v7, 0x3fb8aa3b, v6
	v_fma_f32 v9, v6, s31, -v7
	v_rndne_f32_e32 v10, v7
	v_fmac_f32_e32 v9, 0x32a5705f, v6
	v_sub_f32_e32 v7, v7, v10
	v_add_f32_e32 v7, v7, v9
	v_exp_f32_e32 v7, v7
	v_cvt_i32_f32_e32 v9, v10
	v_cndmask_b32_e64 v2, v3, v2, s[22:23]
	v_cndmask_b32_e64 v2, 0, v2, s[20:21]
	v_cmp_ngt_f32_e64 s[20:21], s36, v5
	s_waitcnt vmcnt(9)
	v_mul_f32_e32 v2, v43, v2
	v_cndmask_b32_e64 v4, 0, v4, s[20:21]
	v_cmp_nlt_f32_e64 s[20:21], s37, v5
	v_ldexp_f32 v5, v7, v9
	v_sub_f32_e32 v7, v31, v8
	v_mul_f32_e32 v9, 0x3fb8aa3b, v7
	v_fma_f32 v10, v7, s31, -v9
	v_rndne_f32_e32 v19, v9
	v_fmac_f32_e32 v10, 0x32a5705f, v7
	v_sub_f32_e32 v9, v9, v19
	v_add_f32_e32 v9, v9, v10
	v_exp_f32_e32 v9, v9
	v_cvt_i32_f32_e32 v10, v19
	v_cndmask_b32_e64 v4, v3, v4, s[20:21]
	v_cndmask_b32_e64 v4, 0, v4, s[18:19]
	v_cmp_ngt_f32_e64 s[18:19], s36, v6
	s_waitcnt vmcnt(8)
	v_mul_f32_e32 v4, v27, v4
	v_cndmask_b32_e64 v5, 0, v5, s[18:19]
	v_cmp_nlt_f32_e64 s[18:19], s37, v6
	v_ldexp_f32 v6, v9, v10
	v_sub_f32_e32 v9, v32, v8
	v_cndmask_b32_e64 v5, v3, v5, s[18:19]
	v_cndmask_b32_e64 v5, 0, v5, s[16:17]
	v_mul_f32_e32 v10, 0x3fb8aa3b, v9
	s_waitcnt vmcnt(7)
	v_mul_f32_e32 v5, v12, v5
	v_fma_f32 v12, v9, s31, -v10
	v_rndne_f32_e32 v19, v10
	v_fmac_f32_e32 v12, 0x32a5705f, v9
	v_sub_f32_e32 v10, v10, v19
	v_add_f32_e32 v10, v10, v12
	v_exp_f32_e32 v10, v10
	v_cvt_i32_f32_e32 v12, v19
	v_cmp_ngt_f32_e64 s[16:17], s36, v7
	s_nop 1
	v_cndmask_b32_e64 v6, 0, v6, s[16:17]
	v_cmp_nlt_f32_e64 s[16:17], s37, v7
	v_ldexp_f32 v7, v10, v12
	v_sub_f32_e32 v10, v33, v8
	v_cndmask_b32_e64 v6, v3, v6, s[16:17]
	v_cndmask_b32_e64 v6, 0, v6, s[14:15]
	v_mul_f32_e32 v12, 0x3fb8aa3b, v10
	s_waitcnt vmcnt(6)
	v_mul_f32_e32 v6, v13, v6
	v_fma_f32 v13, v10, s31, -v12
	v_rndne_f32_e32 v19, v12
	v_fmac_f32_e32 v13, 0x32a5705f, v10
	v_sub_f32_e32 v12, v12, v19
	v_add_f32_e32 v12, v12, v13
	v_exp_f32_e32 v12, v12
	v_cvt_i32_f32_e32 v13, v19
	v_cmp_ngt_f32_e64 s[14:15], s36, v9
	s_nop 1
	;; [unrolled: 18-line block ×4, first 2 shown]
	v_cndmask_b32_e64 v10, 0, v10, s[10:11]
	v_cmp_nlt_f32_e64 s[10:11], s37, v12
	v_ldexp_f32 v12, v14, v15
	v_sub_f32_e32 v14, v25, v8
	v_cndmask_b32_e64 v10, v3, v10, s[10:11]
	v_cndmask_b32_e64 v10, 0, v10, s[8:9]
	v_mul_f32_e32 v15, 0x3fb8aa3b, v14
	s_waitcnt vmcnt(3)
	v_mul_f32_e32 v10, v16, v10
	v_fma_f32 v16, v14, s31, -v15
	v_rndne_f32_e32 v19, v15
	v_fmac_f32_e32 v16, 0x32a5705f, v14
	v_sub_f32_e32 v15, v15, v19
	v_add_f32_e32 v15, v15, v16
	v_cmp_ngt_f32_e64 s[8:9], s36, v13
	v_exp_f32_e32 v15, v15
	v_cvt_i32_f32_e32 v16, v19
	v_cndmask_b32_e64 v12, 0, v12, s[8:9]
	v_cmp_nlt_f32_e64 s[8:9], s37, v13
	v_sub_f32_e32 v8, v35, v8
	v_mul_f32_e32 v13, 0x3fb8aa3b, v8
	v_cndmask_b32_e64 v12, v3, v12, s[8:9]
	v_cndmask_b32_e64 v12, 0, v12, s[6:7]
	s_waitcnt vmcnt(2)
	v_mul_f32_e32 v11, v11, v12
	v_ldexp_f32 v12, v15, v16
	v_fma_f32 v15, v8, s31, -v13
	v_rndne_f32_e32 v16, v13
	v_fmac_f32_e32 v15, 0x32a5705f, v8
	v_sub_f32_e32 v13, v13, v16
	v_add_f32_e32 v13, v13, v15
	v_exp_f32_e32 v13, v13
	v_cvt_i32_f32_e32 v15, v16
	v_cmp_ngt_f32_e64 s[6:7], s36, v14
	v_ldexp_f32 v13, v13, v15
	s_nop 0
	v_cndmask_b32_e64 v12, 0, v12, s[6:7]
	v_cmp_nlt_f32_e64 s[6:7], s37, v14
	v_lshlrev_b32_e32 v14, 2, v0
	ds_write2st64_b32 v14, v1, v2 offset1:1
	ds_write2st64_b32 v14, v4, v5 offset0:2 offset1:3
	ds_write2st64_b32 v14, v6, v7 offset0:4 offset1:5
	v_cndmask_b32_e64 v12, v3, v12, s[6:7]
	v_cndmask_b32_e64 v12, 0, v12, s[4:5]
	v_cmp_ngt_f32_e64 s[4:5], s36, v8
	s_waitcnt vmcnt(1)
	v_mul_f32_e32 v12, v17, v12
	v_cndmask_b32_e64 v13, 0, v13, s[4:5]
	v_cmp_nlt_f32_e64 s[4:5], s37, v8
	v_add_f32_e32 v8, v1, v2
	v_add_f32_e32 v8, v8, v4
	;; [unrolled: 1-line block ×6, first 2 shown]
	v_cndmask_b32_e64 v3, v3, v13, s[4:5]
	v_add_f32_e32 v8, v8, v10
	v_cndmask_b32_e32 v3, 0, v3, vcc
	v_add_f32_e32 v8, v8, v11
	s_waitcnt vmcnt(0)
	v_mul_f32_e32 v3, v18, v3
	v_add_f32_e32 v8, v8, v12
	v_add_f32_e32 v8, v8, v3
	ds_bpermute_b32 v13, v29, v8
	v_cmp_eq_u32_e32 vcc, 0, v0
	ds_write2st64_b32 v14, v9, v10 offset0:6 offset1:7
	ds_write2st64_b32 v14, v11, v12 offset0:8 offset1:9
	ds_write_b32 v14, v3 offset:2560
	s_waitcnt lgkmcnt(3)
	v_add_f32_e32 v8, v8, v13
	ds_bpermute_b32 v13, v36, v8
	s_waitcnt lgkmcnt(0)
	v_add_f32_e32 v8, v8, v13
	ds_bpermute_b32 v13, v37, v8
	;; [unrolled: 3-line block ×5, first 2 shown]
	s_and_saveexec_b64 s[4:5], vcc
	s_cbranch_execz .LBB278_8
; %bb.7:
	s_waitcnt lgkmcnt(0)
	v_add_f32_e32 v1, v1, v2
	v_mov_b32_e32 v2, 0
	ds_write_b32 v2, v1 offset:2816
.LBB278_8:
	s_or_b64 exec, exec, s[4:5]
	v_mov_b32_e32 v1, s30
.LBB278_9:
	s_or_b64 exec, exec, s[44:45]
	s_lshl_b32 s4, s46, 7
	s_mov_b32 s5, 0
	s_lshl_b64 s[4:5], s[4:5], 1
	s_add_u32 s4, s28, s4
	s_addc_u32 s5, s29, s5
	s_lshl_b32 s10, s33, 7
	s_add_i32 s11, s10, 0xffffff80
	s_waitcnt lgkmcnt(0)
	v_lshlrev_b32_e32 v2, 7, v1
	v_mov_b32_e32 v3, 0
	s_cmp_lt_i32 s50, 1
	v_lshl_add_u64 v[4:5], v[2:3], 1, s[4:5]
	s_cselect_b32 s4, s11, 0
	v_lshlrev_b32_e32 v2, 1, v0
	s_ashr_i32 s5, s4, 31
	v_lshl_add_u64 v[0:1], v[4:5], 0, v[2:3]
	s_cmpk_lt_i32 s50, 0x101
	v_lshl_add_u64 v[12:13], s[4:5], 1, v[0:1]
	s_cselect_b32 s4, s11, 0x80
	s_ashr_i32 s5, s4, 31
	s_cmpk_lt_i32 s50, 0x201
	v_lshl_add_u64 v[14:15], s[4:5], 1, v[0:1]
	s_cselect_b32 s4, s11, 0x100
	s_ashr_i32 s5, s4, 31
	;; [unrolled: 4-line block ×8, first 2 shown]
	s_cmpk_lt_i32 s50, 0x901
	global_load_ushort v4, v[12:13], off
	global_load_ushort v5, v[14:15], off
	;; [unrolled: 1-line block ×8, first 2 shown]
	v_lshl_add_u64 v[20:21], s[4:5], 1, v[0:1]
	s_cselect_b32 s4, s11, 0x480
	s_ashr_i32 s5, s4, 31
	s_cmpk_lt_i32 s50, 0xa01
	v_lshl_add_u64 v[22:23], s[4:5], 1, v[0:1]
	s_cselect_b32 s4, s11, 0x500
	s_ashr_i32 s5, s4, 31
	s_cmpk_lt_i32 s50, 0xb01
	v_lshl_add_u64 v[24:25], s[4:5], 1, v[0:1]
	s_cselect_b32 s4, s11, 0x580
	s_ashr_i32 s5, s4, 31
	s_cmpk_lt_i32 s50, 0xc01
	v_lshl_add_u64 v[26:27], s[4:5], 1, v[0:1]
	s_cselect_b32 s4, s11, 0x600
	s_ashr_i32 s5, s4, 31
	s_cmpk_lt_i32 s50, 0xd01
	v_lshl_add_u64 v[28:29], s[4:5], 1, v[0:1]
	s_cselect_b32 s4, s11, 0x680
	s_ashr_i32 s5, s4, 31
	s_cmpk_lt_i32 s50, 0xe01
	v_lshl_add_u64 v[30:31], s[4:5], 1, v[0:1]
	s_cselect_b32 s4, s11, 0x700
	s_ashr_i32 s5, s4, 31
	s_cmpk_lt_i32 s50, 0xf01
	v_lshl_add_u64 v[32:33], s[4:5], 1, v[0:1]
	s_cselect_b32 s4, s11, 0x780
	s_ashr_i32 s5, s4, 31
	v_lshl_add_u64 v[34:35], s[4:5], 1, v[0:1]
	global_load_ushort v12, v[20:21], off
	global_load_ushort v13, v[22:23], off
	;; [unrolled: 1-line block ×8, first 2 shown]
	s_cmpk_gt_i32 s50, 0x1000
	s_cselect_b64 s[8:9], -1, 0
	s_cmpk_lt_i32 s50, 0x1001
	v_mov_b32_e32 v36, 0
	v_mov_b32_e32 v37, 0
	;; [unrolled: 1-line block ×48, first 2 shown]
	s_barrier
	s_cbranch_scc1 .LBB278_12
; %bb.10:
	s_cmpk_lt_u32 s50, 0x1101
	s_cselect_b32 s4, s11, 0x880
	s_ashr_i32 s5, s4, 31
	s_cmpk_lt_u32 s50, 0x1201
	v_lshl_add_u64 v[30:31], s[4:5], 1, v[0:1]
	s_cselect_b32 s4, s11, 0x900
	s_ashr_i32 s5, s4, 31
	s_cmpk_lt_u32 s50, 0x1301
	v_lshl_add_u64 v[32:33], s[4:5], 1, v[0:1]
	;; [unrolled: 4-line block ×7, first 2 shown]
	s_cselect_b32 s4, s11, 0xc00
	v_add_co_u32_e32 v28, vcc, 0x1000, v0
	s_ashr_i32 s5, s4, 31
	s_nop 0
	v_addc_co_u32_e32 v29, vcc, 0, v1, vcc
	s_cmpk_lt_u32 s50, 0x1901
	global_load_ushort v27, v[28:29], off
	global_load_ushort v26, v[30:31], off
	;; [unrolled: 1-line block ×8, first 2 shown]
	v_lshl_add_u64 v[36:37], s[4:5], 1, v[0:1]
	s_cselect_b32 s4, s11, 0xc80
	s_ashr_i32 s5, s4, 31
	s_cmpk_lt_u32 s50, 0x1a01
	v_lshl_add_u64 v[38:39], s[4:5], 1, v[0:1]
	s_cselect_b32 s4, s11, 0xd00
	s_ashr_i32 s5, s4, 31
	s_cmpk_lt_u32 s50, 0x1b01
	;; [unrolled: 4-line block ×6, first 2 shown]
	v_lshl_add_u64 v[48:49], s[4:5], 1, v[0:1]
	s_cselect_b32 s4, s11, 0xf80
	s_ashr_i32 s5, s4, 31
	v_lshl_add_u64 v[50:51], s[4:5], 1, v[0:1]
	global_load_ushort v35, v[36:37], off
	global_load_ushort v34, v[38:39], off
	;; [unrolled: 1-line block ×8, first 2 shown]
	s_cmpk_lt_u32 s50, 0x2001
	v_mov_b32_e32 v67, 0
	v_mov_b32_e32 v66, 0
	;; [unrolled: 1-line block ×32, first 2 shown]
	s_cbranch_scc1 .LBB278_12
; %bb.11:
	s_cmpk_lt_u32 s50, 0x2101
	s_cselect_b32 s4, s11, 0x1080
	s_ashr_i32 s5, s4, 31
	s_cmpk_lt_u32 s50, 0x2201
	v_lshl_add_u64 v[38:39], s[4:5], 1, v[0:1]
	s_cselect_b32 s4, s11, 0x1100
	s_ashr_i32 s5, s4, 31
	s_cmpk_lt_u32 s50, 0x2301
	v_lshl_add_u64 v[40:41], s[4:5], 1, v[0:1]
	;; [unrolled: 4-line block ×7, first 2 shown]
	s_cselect_b32 s4, s11, 0x1400
	v_add_co_u32_e32 v36, vcc, 0x2000, v0
	s_ashr_i32 s5, s4, 31
	s_nop 0
	v_addc_co_u32_e32 v37, vcc, 0, v1, vcc
	s_cmpk_lt_u32 s50, 0x2901
	global_load_ushort v52, v[36:37], off
	global_load_ushort v53, v[38:39], off
	;; [unrolled: 1-line block ×8, first 2 shown]
	v_lshl_add_u64 v[36:37], s[4:5], 1, v[0:1]
	s_cselect_b32 s4, s11, 0x1480
	s_ashr_i32 s5, s4, 31
	s_cmpk_lt_u32 s50, 0x2a01
	v_lshl_add_u64 v[38:39], s[4:5], 1, v[0:1]
	s_cselect_b32 s4, s11, 0x1500
	s_ashr_i32 s5, s4, 31
	s_cmpk_lt_u32 s50, 0x2b01
	;; [unrolled: 4-line block ×8, first 2 shown]
	global_load_ushort v68, v[36:37], off
	global_load_ushort v69, v[38:39], off
	;; [unrolled: 1-line block ×8, first 2 shown]
	v_lshl_add_u64 v[36:37], s[4:5], 1, v[0:1]
	s_cselect_b32 s4, s11, 0x1880
	s_ashr_i32 s5, s4, 31
	s_cmpk_lt_u32 s50, 0x3201
	v_lshl_add_u64 v[38:39], s[4:5], 1, v[0:1]
	s_cselect_b32 s4, s11, 0x1900
	s_ashr_i32 s5, s4, 31
	s_cmpk_lt_u32 s50, 0x3301
	v_lshl_add_u64 v[40:41], s[4:5], 1, v[0:1]
	s_cselect_b32 s4, s11, 0x1980
	s_ashr_i32 s5, s4, 31
	s_cmpk_lt_u32 s50, 0x3401
	v_lshl_add_u64 v[42:43], s[4:5], 1, v[0:1]
	s_cselect_b32 s4, s11, 0x1a00
	s_ashr_i32 s5, s4, 31
	s_cmpk_lt_u32 s50, 0x3501
	v_lshl_add_u64 v[44:45], s[4:5], 1, v[0:1]
	s_cselect_b32 s4, s11, 0x1a80
	s_ashr_i32 s5, s4, 31
	s_cmpk_lt_u32 s50, 0x3601
	v_lshl_add_u64 v[46:47], s[4:5], 1, v[0:1]
	s_cselect_b32 s4, s11, 0x1b00
	s_ashr_i32 s5, s4, 31
	s_cmpk_lt_u32 s50, 0x3701
	v_lshl_add_u64 v[48:49], s[4:5], 1, v[0:1]
	s_cselect_b32 s4, s11, 0x1b80
	s_ashr_i32 s5, s4, 31
	s_cmpk_lt_u32 s50, 0x3801
	v_lshl_add_u64 v[50:51], s[4:5], 1, v[0:1]
	s_cselect_b32 s4, s11, 0x1c00
	s_ashr_i32 s5, s4, 31
	s_cmpk_lt_u32 s50, 0x3901
	global_load_ushort v76, v[36:37], off
	global_load_ushort v77, v[38:39], off
	;; [unrolled: 1-line block ×8, first 2 shown]
	v_lshl_add_u64 v[36:37], s[4:5], 1, v[0:1]
	s_cselect_b32 s4, s11, 0x1c80
	s_ashr_i32 s5, s4, 31
	s_cmpk_lt_u32 s50, 0x3a01
	v_lshl_add_u64 v[38:39], s[4:5], 1, v[0:1]
	s_cselect_b32 s4, s11, 0x1d00
	s_ashr_i32 s5, s4, 31
	s_cmpk_lt_u32 s50, 0x3b01
	;; [unrolled: 4-line block ×6, first 2 shown]
	v_lshl_add_u64 v[48:49], s[4:5], 1, v[0:1]
	s_cselect_b32 s4, s11, 0x1f80
	s_ashr_i32 s5, s4, 31
	v_lshl_add_u64 v[50:51], s[4:5], 1, v[0:1]
	global_load_ushort v84, v[36:37], off
	global_load_ushort v85, v[38:39], off
	;; [unrolled: 1-line block ×8, first 2 shown]
	s_waitcnt vmcnt(31)
	v_cvt_f32_f16_e32 v67, v52
	s_waitcnt vmcnt(30)
	v_cvt_f32_f16_e32 v66, v53
	;; [unrolled: 2-line block ×32, first 2 shown]
.LBB278_12:
	ds_read_b128 v[68:71], v3
	s_load_dwordx2 s[4:5], s[0:1], 0x0
	s_load_dwordx2 s[6:7], s[0:1], 0x38
	ds_read_b128 v[72:75], v3 offset:16
	ds_read_b128 v[76:79], v3 offset:32
	;; [unrolled: 1-line block ×3, first 2 shown]
	s_and_b64 vcc, exec, s[8:9]
	s_waitcnt vmcnt(15) lgkmcnt(0)
	v_fma_mix_f32 v4, v68, v4, 0 op_sel_hi:[0,1,0]
	s_waitcnt vmcnt(14)
	v_fma_mix_f32 v4, v69, v5, v4 op_sel_hi:[0,1,0]
	s_waitcnt vmcnt(13)
	;; [unrolled: 2-line block ×15, first 2 shown]
	v_fma_mix_f32 v4, v83, v19, v4 op_sel_hi:[0,1,0]
	s_cbranch_vccz .LBB278_15
; %bb.13:
	ds_read_b128 v[6:9], v3 offset:64
	ds_read_b128 v[10:13], v3 offset:80
	;; [unrolled: 1-line block ×4, first 2 shown]
	s_cmpk_lt_u32 s50, 0x2001
	s_waitcnt lgkmcnt(3)
	v_fma_mix_f32 v3, v6, v27, v4 op_sel_hi:[0,1,0]
	v_fma_mix_f32 v3, v7, v26, v3 op_sel_hi:[0,1,0]
	v_fma_mix_f32 v3, v8, v25, v3 op_sel_hi:[0,1,0]
	v_fma_mix_f32 v3, v9, v24, v3 op_sel_hi:[0,1,0]
	s_waitcnt lgkmcnt(2)
	v_fma_mix_f32 v3, v10, v23, v3 op_sel_hi:[0,1,0]
	v_fma_mix_f32 v3, v11, v22, v3 op_sel_hi:[0,1,0]
	v_fma_mix_f32 v3, v12, v21, v3 op_sel_hi:[0,1,0]
	v_fma_mix_f32 v3, v13, v20, v3 op_sel_hi:[0,1,0]
	;; [unrolled: 5-line block ×4, first 2 shown]
	s_cbranch_scc1 .LBB278_15
; %bb.14:
	v_mov_b32_e32 v3, 0
	ds_read_b128 v[6:9], v3 offset:128
	ds_read_b128 v[10:13], v3 offset:144
	;; [unrolled: 1-line block ×4, first 2 shown]
	s_waitcnt lgkmcnt(3)
	v_fmac_f32_e32 v4, v6, v67
	v_fmac_f32_e32 v4, v7, v66
	v_fmac_f32_e32 v4, v8, v65
	v_fmac_f32_e32 v4, v9, v64
	s_waitcnt lgkmcnt(2)
	v_fmac_f32_e32 v4, v10, v63
	v_fmac_f32_e32 v4, v11, v62
	v_fmac_f32_e32 v4, v12, v61
	v_fmac_f32_e32 v4, v13, v60
	;; [unrolled: 5-line block ×3, first 2 shown]
	ds_read_b128 v[6:9], v3 offset:192
	ds_read_b128 v[10:13], v3 offset:208
	s_waitcnt lgkmcnt(2)
	v_fmac_f32_e32 v4, v18, v55
	v_fmac_f32_e32 v4, v19, v54
	;; [unrolled: 1-line block ×4, first 2 shown]
	s_waitcnt lgkmcnt(1)
	v_fmac_f32_e32 v4, v6, v51
	v_fmac_f32_e32 v4, v7, v50
	;; [unrolled: 1-line block ×4, first 2 shown]
	ds_read_b128 v[6:9], v3 offset:224
	s_waitcnt lgkmcnt(1)
	v_fmac_f32_e32 v4, v10, v47
	v_fmac_f32_e32 v4, v11, v46
	;; [unrolled: 1-line block ×4, first 2 shown]
	ds_read_b128 v[10:13], v3 offset:240
	s_waitcnt lgkmcnt(1)
	v_fmac_f32_e32 v4, v6, v43
	v_fmac_f32_e32 v4, v7, v42
	;; [unrolled: 1-line block ×4, first 2 shown]
	s_waitcnt lgkmcnt(0)
	v_fmac_f32_e32 v4, v10, v39
	v_fmac_f32_e32 v4, v11, v38
	;; [unrolled: 1-line block ×4, first 2 shown]
.LBB278_15:
	s_movk_i32 s0, 0x3f80
	s_movk_i32 s1, 0x100
	s_mov_b32 s8, 64
	s_branch .LBB278_17
.LBB278_16:                             ;   in Loop: Header=BB278_17 Depth=1
	s_addk_i32 s0, 0x2000
	s_addk_i32 s1, 0x100
	s_add_i32 s8, s8, 64
	s_cmp_eq_u32 s0, 0x17f80
	s_cbranch_scc1 .LBB278_19
.LBB278_17:                             ; =>This Inner Loop Header: Depth=1
	s_cmp_le_i32 s33, s8
	s_cbranch_scc1 .LBB278_16
; %bb.18:                               ;   in Loop: Header=BB278_17 Depth=1
	s_add_i32 s9, s0, 0xffffe080
	s_cmp_lt_i32 s9, s10
	s_cselect_b32 s12, s9, s11
	s_ashr_i32 s13, s12, 31
	s_add_i32 s9, s0, 0xffffe100
	s_cmp_lt_i32 s9, s10
	v_lshl_add_u64 v[12:13], s[12:13], 1, v[0:1]
	s_cselect_b32 s12, s9, s11
	s_ashr_i32 s13, s12, 31
	s_add_i32 s9, s0, 0xffffe180
	s_cmp_lt_i32 s9, s10
	v_lshl_add_u64 v[14:15], s[12:13], 1, v[0:1]
	;; [unrolled: 5-line block ×8, first 2 shown]
	s_cselect_b32 s12, s9, s11
	s_ashr_i32 s13, s12, 31
	s_add_i32 s9, s0, 0xffffe500
	s_cmp_lt_i32 s9, s10
	global_load_ushort v3, v[12:13], off
	global_load_ushort v5, v[14:15], off
	global_load_ushort v6, v[16:17], off
	global_load_ushort v7, v[18:19], off
	global_load_ushort v8, v[20:21], off
	global_load_ushort v9, v[22:23], off
	global_load_ushort v10, v[24:25], off
	global_load_ushort v11, v[26:27], off
	v_lshl_add_u64 v[12:13], s[12:13], 1, v[0:1]
	s_cselect_b32 s12, s9, s11
	s_ashr_i32 s13, s12, 31
	s_add_i32 s9, s0, 0xffffe580
	s_cmp_lt_i32 s9, s10
	v_lshl_add_u64 v[14:15], s[12:13], 1, v[0:1]
	s_cselect_b32 s12, s9, s11
	s_ashr_i32 s13, s12, 31
	s_add_i32 s9, s0, 0xffffe600
	s_cmp_lt_i32 s9, s10
	v_lshl_add_u64 v[16:17], s[12:13], 1, v[0:1]
	s_cselect_b32 s12, s9, s11
	s_ashr_i32 s13, s12, 31
	s_add_i32 s9, s0, 0xffffe680
	s_cmp_lt_i32 s9, s10
	v_lshl_add_u64 v[18:19], s[12:13], 1, v[0:1]
	s_cselect_b32 s12, s9, s11
	s_ashr_i32 s13, s12, 31
	s_add_i32 s9, s0, 0xffffe700
	s_cmp_lt_i32 s9, s10
	v_lshl_add_u64 v[20:21], s[12:13], 1, v[0:1]
	s_cselect_b32 s12, s9, s11
	s_ashr_i32 s13, s12, 31
	s_add_i32 s9, s0, 0xffffe780
	s_cmp_lt_i32 s9, s10
	v_lshl_add_u64 v[22:23], s[12:13], 1, v[0:1]
	s_cselect_b32 s12, s9, s11
	s_ashr_i32 s13, s12, 31
	s_add_i32 s9, s0, 0xffffe800
	s_cmp_lt_i32 s9, s10
	v_lshl_add_u64 v[24:25], s[12:13], 1, v[0:1]
	s_cselect_b32 s12, s9, s11
	s_ashr_i32 s13, s12, 31
	s_add_i32 s9, s0, 0xffffe880
	s_cmp_lt_i32 s9, s10
	v_lshl_add_u64 v[26:27], s[12:13], 1, v[0:1]
	s_cselect_b32 s12, s9, s11
	s_ashr_i32 s13, s12, 31
	s_add_i32 s9, s0, 0xffffe900
	s_cmp_lt_i32 s9, s10
	global_load_ushort v28, v[12:13], off
	global_load_ushort v29, v[14:15], off
	global_load_ushort v30, v[16:17], off
	global_load_ushort v31, v[18:19], off
	global_load_ushort v32, v[20:21], off
	global_load_ushort v33, v[22:23], off
	global_load_ushort v34, v[24:25], off
	global_load_ushort v35, v[26:27], off
	v_lshl_add_u64 v[12:13], s[12:13], 1, v[0:1]
	s_cselect_b32 s12, s9, s11
	s_ashr_i32 s13, s12, 31
	s_add_i32 s9, s0, 0xffffe980
	s_cmp_lt_i32 s9, s10
	v_lshl_add_u64 v[14:15], s[12:13], 1, v[0:1]
	s_cselect_b32 s12, s9, s11
	s_ashr_i32 s13, s12, 31
	s_add_i32 s9, s0, 0xffffea00
	s_cmp_lt_i32 s9, s10
	v_lshl_add_u64 v[16:17], s[12:13], 1, v[0:1]
	s_cselect_b32 s12, s9, s11
	s_ashr_i32 s13, s12, 31
	s_add_i32 s9, s0, 0xffffea80
	s_cmp_lt_i32 s9, s10
	v_lshl_add_u64 v[18:19], s[12:13], 1, v[0:1]
	s_cselect_b32 s12, s9, s11
	s_ashr_i32 s13, s12, 31
	s_add_i32 s9, s0, 0xffffeb00
	s_cmp_lt_i32 s9, s10
	v_lshl_add_u64 v[20:21], s[12:13], 1, v[0:1]
	s_cselect_b32 s12, s9, s11
	s_ashr_i32 s13, s12, 31
	s_add_i32 s9, s0, 0xffffeb80
	s_cmp_lt_i32 s9, s10
	v_lshl_add_u64 v[22:23], s[12:13], 1, v[0:1]
	s_cselect_b32 s12, s9, s11
	s_ashr_i32 s13, s12, 31
	s_add_i32 s9, s0, 0xffffec00
	s_cmp_lt_i32 s9, s10
	v_lshl_add_u64 v[24:25], s[12:13], 1, v[0:1]
	s_cselect_b32 s12, s9, s11
	s_ashr_i32 s13, s12, 31
	s_add_i32 s9, s0, 0xffffec80
	s_cmp_lt_i32 s9, s10
	v_lshl_add_u64 v[26:27], s[12:13], 1, v[0:1]
	;; [unrolled: 48-line block ×6, first 2 shown]
	s_cselect_b32 s12, s9, s11
	s_ashr_i32 s13, s12, 31
	s_add_i32 s9, s0, 0xfffffd00
	s_cmp_lt_i32 s9, s10
	global_load_ushort v68, v[12:13], off
	global_load_ushort v69, v[14:15], off
	;; [unrolled: 1-line block ×8, first 2 shown]
	v_lshl_add_u64 v[12:13], s[12:13], 1, v[0:1]
	s_cselect_b32 s12, s9, s11
	s_ashr_i32 s13, s12, 31
	s_add_i32 s9, s0, 0xfffffd80
	s_cmp_lt_i32 s9, s10
	v_lshl_add_u64 v[14:15], s[12:13], 1, v[0:1]
	s_cselect_b32 s12, s9, s11
	s_ashr_i32 s13, s12, 31
	s_add_i32 s9, s0, 0xfffffe00
	s_cmp_lt_i32 s9, s10
	;; [unrolled: 5-line block ×5, first 2 shown]
	v_lshl_add_u64 v[22:23], s[12:13], 1, v[0:1]
	s_cselect_b32 s12, s9, s11
	s_ashr_i32 s13, s12, 31
	s_cmp_lt_i32 s0, s10
	v_lshl_add_u64 v[24:25], s[12:13], 1, v[0:1]
	s_cselect_b32 s12, s0, s11
	s_ashr_i32 s13, s12, 31
	v_lshl_add_u64 v[26:27], s[12:13], 1, v[0:1]
	global_load_ushort v76, v[12:13], off
	global_load_ushort v77, v[14:15], off
	;; [unrolled: 1-line block ×8, first 2 shown]
	v_mov_b32_e32 v84, s1
	ds_read_b128 v[12:15], v84
	ds_read_b128 v[16:19], v84 offset:16
	ds_read_b128 v[20:23], v84 offset:32
	;; [unrolled: 1-line block ×3, first 2 shown]
	s_waitcnt vmcnt(62) lgkmcnt(3)
	v_fma_mix_f32 v3, v12, v3, v4 op_sel_hi:[0,1,0]
	v_fma_mix_f32 v3, v13, v5, v3 op_sel_hi:[0,1,0]
	s_waitcnt vmcnt(61)
	v_fma_mix_f32 v3, v14, v6, v3 op_sel_hi:[0,1,0]
	s_waitcnt vmcnt(60)
	v_fma_mix_f32 v3, v15, v7, v3 op_sel_hi:[0,1,0]
	s_waitcnt vmcnt(59) lgkmcnt(2)
	v_fma_mix_f32 v3, v16, v8, v3 op_sel_hi:[0,1,0]
	s_waitcnt vmcnt(58)
	v_fma_mix_f32 v3, v17, v9, v3 op_sel_hi:[0,1,0]
	s_waitcnt vmcnt(57)
	;; [unrolled: 2-line block ×3, first 2 shown]
	v_fma_mix_f32 v3, v19, v11, v3 op_sel_hi:[0,1,0]
	s_waitcnt vmcnt(55) lgkmcnt(1)
	v_fma_mix_f32 v3, v20, v28, v3 op_sel_hi:[0,1,0]
	s_waitcnt vmcnt(54)
	v_fma_mix_f32 v3, v21, v29, v3 op_sel_hi:[0,1,0]
	s_waitcnt vmcnt(53)
	;; [unrolled: 2-line block ×3, first 2 shown]
	v_fma_mix_f32 v3, v23, v31, v3 op_sel_hi:[0,1,0]
	ds_read_b128 v[4:7], v84 offset:64
	ds_read_b128 v[8:11], v84 offset:80
	s_waitcnt vmcnt(51) lgkmcnt(2)
	v_fma_mix_f32 v3, v24, v32, v3 op_sel_hi:[0,1,0]
	s_waitcnt vmcnt(50)
	v_fma_mix_f32 v3, v25, v33, v3 op_sel_hi:[0,1,0]
	s_waitcnt vmcnt(49)
	;; [unrolled: 2-line block ×3, first 2 shown]
	v_fma_mix_f32 v3, v27, v35, v3 op_sel_hi:[0,1,0]
	s_waitcnt vmcnt(47) lgkmcnt(1)
	v_fma_mix_f32 v3, v4, v36, v3 op_sel_hi:[0,1,0]
	s_waitcnt vmcnt(46)
	v_fma_mix_f32 v3, v5, v37, v3 op_sel_hi:[0,1,0]
	s_waitcnt vmcnt(45)
	v_fma_mix_f32 v3, v6, v38, v3 op_sel_hi:[0,1,0]
	s_waitcnt vmcnt(44)
	v_fma_mix_f32 v3, v7, v39, v3 op_sel_hi:[0,1,0]
	ds_read_b128 v[4:7], v84 offset:96
	s_waitcnt vmcnt(43) lgkmcnt(1)
	v_fma_mix_f32 v3, v8, v40, v3 op_sel_hi:[0,1,0]
	s_waitcnt vmcnt(42)
	v_fma_mix_f32 v3, v9, v41, v3 op_sel_hi:[0,1,0]
	s_waitcnt vmcnt(41)
	v_fma_mix_f32 v3, v10, v42, v3 op_sel_hi:[0,1,0]
	s_waitcnt vmcnt(40)
	v_fma_mix_f32 v3, v11, v43, v3 op_sel_hi:[0,1,0]
	ds_read_b128 v[8:11], v84 offset:112
	;; [unrolled: 9-line block ×10, first 2 shown]
	s_waitcnt vmcnt(7) lgkmcnt(1)
	v_fma_mix_f32 v3, v4, v76, v3 op_sel_hi:[0,1,0]
	s_waitcnt vmcnt(6)
	v_fma_mix_f32 v3, v5, v77, v3 op_sel_hi:[0,1,0]
	s_waitcnt vmcnt(5)
	;; [unrolled: 2-line block ×3, first 2 shown]
	v_fma_mix_f32 v3, v7, v79, v3 op_sel_hi:[0,1,0]
	s_waitcnt vmcnt(3) lgkmcnt(0)
	v_fma_mix_f32 v3, v8, v80, v3 op_sel_hi:[0,1,0]
	s_waitcnt vmcnt(2)
	v_fma_mix_f32 v3, v9, v81, v3 op_sel_hi:[0,1,0]
	s_waitcnt vmcnt(1)
	v_fma_mix_f32 v3, v10, v82, v3 op_sel_hi:[0,1,0]
	s_waitcnt vmcnt(0)
	v_fma_mix_f32 v4, v11, v83, v3 op_sel_hi:[0,1,0]
	s_branch .LBB278_16
.LBB278_19:
	v_mov_b32_e32 v0, 0
	ds_read_b32 v1, v0 offset:2816
	s_cmp_lg_u64 s[6:7], 0
	s_cbranch_scc0 .LBB278_24
; %bb.20:
	s_load_dword s6, s[6:7], 0x0
	s_waitcnt lgkmcnt(0)
	v_div_scale_f32 v0, s[0:1], s6, s6, 1.0
	v_rcp_f32_e32 v3, v0
	v_div_scale_f32 v5, vcc, 1.0, s6, 1.0
	v_fma_f32 v6, -v0, v3, 1.0
	v_fmac_f32_e32 v3, v6, v3
	v_mul_f32_e32 v6, v5, v3
	v_fma_f32 v7, -v0, v6, v5
	v_fmac_f32_e32 v6, v7, v3
	v_fma_f32 v0, -v0, v6, v5
	v_div_fmas_f32 v0, v0, v3, v6
	v_div_fixup_f32 v0, v0, s6, 1.0
	s_andn2_b64 vcc, exec, s[40:41]
	s_cbranch_vccnz .LBB278_22
.LBB278_21:
	s_add_u32 s0, s34, s42
	s_addc_u32 s1, s35, s43
	s_load_dword s26, s[0:1], 0x0
	s_mov_b32 s27, 0
.LBB278_22:
	s_waitcnt lgkmcnt(0)
	v_add_f32_e32 v1, 0x358637bd, v1
	v_div_scale_f32 v3, s[0:1], v1, v1, 1.0
	v_rcp_f32_e32 v5, v3
	v_div_scale_f32 v6, vcc, 1.0, v1, 1.0
	s_mul_i32 s0, s3, s27
	v_fma_f32 v7, -v3, v5, 1.0
	v_fmac_f32_e32 v5, v7, v5
	v_mul_f32_e32 v7, v6, v5
	v_fma_f32 v8, -v3, v7, v6
	s_mul_hi_u32 s1, s3, s26
	v_fmac_f32_e32 v7, v8, v5
	s_add_i32 s1, s1, s0
	s_mul_i32 s0, s3, s26
	v_fma_f32 v3, -v3, v7, v6
	s_lshl_b64 s[0:1], s[0:1], 8
	v_div_fmas_f32 v3, v3, v5, v7
	s_add_u32 s4, s4, s0
	s_mov_b32 s3, 0
	v_div_fixup_f32 v1, v3, v1, 1.0
	s_addc_u32 s5, s5, s1
	s_lshl_b64 s[0:1], s[2:3], 8
	v_mul_f32_e32 v1, v4, v1
	s_add_u32 s0, s4, s0
	s_addc_u32 s1, s5, s1
	v_fma_mixlo_f16 v0, v1, v0, 0
	global_store_short v2, v0, s[0:1]
	s_endpgm
.LBB278_23:
	s_mov_b64 s[6:7], 0
	s_branch .LBB278_2
.LBB278_24:
	v_mov_b32_e32 v0, 1.0
	s_andn2_b64 vcc, exec, s[40:41]
	s_cbranch_vccz .LBB278_21
	s_branch .LBB278_22
	.section	.rodata,"a",@progbits
	.p2align	6, 0x0
	.amdhsa_kernel _Z35paged_attention_ll4mi_reduce_kernelIDF16_DF16_Li128ELi128ELi256ELi11EEvPT0_PKfS3_PKT_PKiS8_iS3_
		.amdhsa_group_segment_fixed_size 2820
		.amdhsa_private_segment_fixed_size 0
		.amdhsa_kernarg_size 320
		.amdhsa_user_sgpr_count 2
		.amdhsa_user_sgpr_dispatch_ptr 0
		.amdhsa_user_sgpr_queue_ptr 0
		.amdhsa_user_sgpr_kernarg_segment_ptr 1
		.amdhsa_user_sgpr_dispatch_id 0
		.amdhsa_user_sgpr_kernarg_preload_length 0
		.amdhsa_user_sgpr_kernarg_preload_offset 0
		.amdhsa_user_sgpr_private_segment_size 0
		.amdhsa_uses_dynamic_stack 0
		.amdhsa_enable_private_segment 0
		.amdhsa_system_sgpr_workgroup_id_x 1
		.amdhsa_system_sgpr_workgroup_id_y 1
		.amdhsa_system_sgpr_workgroup_id_z 0
		.amdhsa_system_sgpr_workgroup_info 0
		.amdhsa_system_vgpr_workitem_id 0
		.amdhsa_next_free_vgpr 92
		.amdhsa_next_free_sgpr 51
		.amdhsa_accum_offset 92
		.amdhsa_reserve_vcc 1
		.amdhsa_float_round_mode_32 0
		.amdhsa_float_round_mode_16_64 0
		.amdhsa_float_denorm_mode_32 3
		.amdhsa_float_denorm_mode_16_64 3
		.amdhsa_dx10_clamp 1
		.amdhsa_ieee_mode 1
		.amdhsa_fp16_overflow 0
		.amdhsa_tg_split 0
		.amdhsa_exception_fp_ieee_invalid_op 0
		.amdhsa_exception_fp_denorm_src 0
		.amdhsa_exception_fp_ieee_div_zero 0
		.amdhsa_exception_fp_ieee_overflow 0
		.amdhsa_exception_fp_ieee_underflow 0
		.amdhsa_exception_fp_ieee_inexact 0
		.amdhsa_exception_int_div_zero 0
	.end_amdhsa_kernel
	.section	.text._Z35paged_attention_ll4mi_reduce_kernelIDF16_DF16_Li128ELi128ELi256ELi11EEvPT0_PKfS3_PKT_PKiS8_iS3_,"axG",@progbits,_Z35paged_attention_ll4mi_reduce_kernelIDF16_DF16_Li128ELi128ELi256ELi11EEvPT0_PKfS3_PKT_PKiS8_iS3_,comdat
.Lfunc_end278:
	.size	_Z35paged_attention_ll4mi_reduce_kernelIDF16_DF16_Li128ELi128ELi256ELi11EEvPT0_PKfS3_PKT_PKiS8_iS3_, .Lfunc_end278-_Z35paged_attention_ll4mi_reduce_kernelIDF16_DF16_Li128ELi128ELi256ELi11EEvPT0_PKfS3_PKT_PKiS8_iS3_
                                        ; -- End function
	.section	.AMDGPU.csdata,"",@progbits
; Kernel info:
; codeLenInByte = 9752
; NumSgprs: 57
; NumVgprs: 92
; NumAgprs: 0
; TotalNumVgprs: 92
; ScratchSize: 0
; MemoryBound: 0
; FloatMode: 240
; IeeeMode: 1
; LDSByteSize: 2820 bytes/workgroup (compile time only)
; SGPRBlocks: 7
; VGPRBlocks: 11
; NumSGPRsForWavesPerEU: 57
; NumVGPRsForWavesPerEU: 92
; AccumOffset: 92
; Occupancy: 5
; WaveLimiterHint : 1
; COMPUTE_PGM_RSRC2:SCRATCH_EN: 0
; COMPUTE_PGM_RSRC2:USER_SGPR: 2
; COMPUTE_PGM_RSRC2:TRAP_HANDLER: 0
; COMPUTE_PGM_RSRC2:TGID_X_EN: 1
; COMPUTE_PGM_RSRC2:TGID_Y_EN: 1
; COMPUTE_PGM_RSRC2:TGID_Z_EN: 0
; COMPUTE_PGM_RSRC2:TIDIG_COMP_CNT: 0
; COMPUTE_PGM_RSRC3_GFX90A:ACCUM_OFFSET: 22
; COMPUTE_PGM_RSRC3_GFX90A:TG_SPLIT: 0
	.section	.text._Z35paged_attention_ll4mi_reduce_kernelIDF16_DF16_Li128ELi128ELi256ELi12EEvPT0_PKfS3_PKT_PKiS8_iS3_,"axG",@progbits,_Z35paged_attention_ll4mi_reduce_kernelIDF16_DF16_Li128ELi128ELi256ELi12EEvPT0_PKfS3_PKT_PKiS8_iS3_,comdat
	.protected	_Z35paged_attention_ll4mi_reduce_kernelIDF16_DF16_Li128ELi128ELi256ELi12EEvPT0_PKfS3_PKT_PKiS8_iS3_ ; -- Begin function _Z35paged_attention_ll4mi_reduce_kernelIDF16_DF16_Li128ELi128ELi256ELi12EEvPT0_PKfS3_PKT_PKiS8_iS3_
	.globl	_Z35paged_attention_ll4mi_reduce_kernelIDF16_DF16_Li128ELi128ELi256ELi12EEvPT0_PKfS3_PKT_PKiS8_iS3_
	.p2align	8
	.type	_Z35paged_attention_ll4mi_reduce_kernelIDF16_DF16_Li128ELi128ELi256ELi12EEvPT0_PKfS3_PKT_PKiS8_iS3_,@function
_Z35paged_attention_ll4mi_reduce_kernelIDF16_DF16_Li128ELi128ELi256ELi12EEvPT0_PKfS3_PKT_PKiS8_iS3_: ; @_Z35paged_attention_ll4mi_reduce_kernelIDF16_DF16_Li128ELi128ELi256ELi12EEvPT0_PKfS3_PKT_PKiS8_iS3_
; %bb.0:
	s_load_dwordx2 s[40:41], s[0:1], 0x28
	s_mov_b32 s34, s3
	s_mov_b64 s[4:5], 0
	s_waitcnt lgkmcnt(0)
	s_cmp_lg_u64 s[40:41], 0
	s_cselect_b64 s[42:43], -1, 0
	s_and_b64 vcc, exec, s[42:43]
	s_cbranch_vccz .LBB279_23
; %bb.1:
	s_add_i32 s6, s34, 1
	s_mov_b32 s7, 0
	s_lshl_b64 s[8:9], s[6:7], 2
	s_add_u32 s8, s40, s8
	s_mov_b32 s35, s7
	s_addc_u32 s9, s41, s9
	s_lshl_b64 s[6:7], s[34:35], 2
	s_add_u32 s6, s40, s6
	s_addc_u32 s7, s41, s7
	s_load_dword s3, s[8:9], 0x0
	s_load_dword s10, s[6:7], 0x0
	s_waitcnt lgkmcnt(0)
	s_sub_i32 s3, s3, s10
	s_cmp_eq_u32 s3, 1
	s_cselect_b64 s[6:7], -1, 0
	s_andn2_b64 vcc, exec, s[4:5]
	s_cbranch_vccnz .LBB279_3
.LBB279_2:
	s_mov_b32 s35, 0
	s_mov_b64 s[6:7], -1
.LBB279_3:
	s_andn2_b64 vcc, exec, s[6:7]
	s_cbranch_vccz .LBB279_5
; %bb.4:
	s_endpgm
.LBB279_5:
	s_load_dwordx4 s[28:31], s[0:1], 0x18
	s_load_dword s8, s[0:1], 0x30
	s_lshl_b64 s[44:45], s[34:35], 2
	v_cmp_lt_u32_e32 vcc, 63, v0
	s_waitcnt lgkmcnt(0)
	s_add_u32 s4, s30, s44
	s_addc_u32 s5, s31, s45
	s_load_dword s52, s[4:5], 0x0
	s_load_dword s3, s[0:1], 0x40
	s_mul_i32 s30, s2, s8
	s_mul_i32 s6, s34, s8
	s_waitcnt lgkmcnt(0)
	s_add_i32 s7, s52, 0xff
	s_ashr_i32 s4, s7, 31
	s_lshr_b32 s4, s4, 24
	s_add_i32 s7, s7, s4
	s_and_saveexec_b64 s[4:5], vcc
	s_xor_b64 s[4:5], exec, s[4:5]
	s_or_saveexec_b64 s[46:47], s[4:5]
	s_ashr_i32 s33, s7, 8
	v_mov_b32_e32 v1, s30
	s_mul_i32 s48, s6, s3
	s_xor_b64 exec, exec, s[46:47]
	s_cbranch_execz .LBB279_9
; %bb.6:
	s_add_i32 s4, s33, -1
	v_or_b32_e32 v3, 64, v0
	v_mov_b32_e32 v1, s4
	v_cmp_gt_u32_e64 s[22:23], s33, v3
	s_load_dwordx4 s[36:39], s[0:1], 0x8
	s_mov_b32 s49, 0
	v_cndmask_b32_e64 v4, v1, v3, s[22:23]
	v_or_b32_e32 v3, 0x80, v0
	v_cmp_gt_u32_e64 s[20:21], s33, v3
	s_lshl_b64 s[50:51], s[48:49], 2
	s_mov_b32 s31, s49
	v_cndmask_b32_e64 v6, v1, v3, s[20:21]
	v_or_b32_e32 v3, 0xc0, v0
	v_cmp_gt_u32_e64 s[18:19], s33, v3
	v_cmp_gt_u32_e64 s[24:25], s33, v0
	s_waitcnt lgkmcnt(0)
	s_add_u32 s26, s38, s50
	v_cndmask_b32_e64 v8, v1, v3, s[18:19]
	v_or_b32_e32 v3, 0x100, v0
	v_cmp_gt_u32_e64 s[16:17], s33, v3
	v_cndmask_b32_e64 v2, v1, v0, s[24:25]
	s_addc_u32 s27, s39, s51
	v_cndmask_b32_e64 v10, v1, v3, s[16:17]
	v_or_b32_e32 v3, 0x140, v0
	v_cmp_gt_u32_e64 s[14:15], s33, v3
	s_lshl_b64 s[38:39], s[30:31], 2
	s_add_u32 s26, s26, s38
	v_cndmask_b32_e64 v12, v1, v3, s[14:15]
	v_or_b32_e32 v3, 0x180, v0
	v_cmp_gt_u32_e64 s[12:13], s33, v3
	v_ashrrev_i32_e32 v11, 31, v10
	v_ashrrev_i32_e32 v13, 31, v12
	v_cndmask_b32_e64 v14, v1, v3, s[12:13]
	v_or_b32_e32 v3, 0x1c0, v0
	v_cmp_gt_u32_e64 s[10:11], s33, v3
	s_addc_u32 s27, s27, s39
	v_ashrrev_i32_e32 v5, 31, v4
	v_cndmask_b32_e64 v16, v1, v3, s[10:11]
	v_or_b32_e32 v3, 0x200, v0
	v_cmp_gt_u32_e64 s[8:9], s33, v3
	v_ashrrev_i32_e32 v7, 31, v6
	v_ashrrev_i32_e32 v9, 31, v8
	v_cndmask_b32_e64 v18, v1, v3, s[8:9]
	v_or_b32_e32 v3, 0x240, v0
	v_cmp_gt_u32_e64 s[6:7], s33, v3
	v_lshlrev_b64 v[10:11], 2, v[10:11]
	v_lshlrev_b64 v[12:13], 2, v[12:13]
	v_cndmask_b32_e64 v20, v1, v3, s[6:7]
	v_or_b32_e32 v3, 0x280, v0
	v_cmp_gt_u32_e64 s[4:5], s33, v3
	v_ashrrev_i32_e32 v15, 31, v14
	v_ashrrev_i32_e32 v17, 31, v16
	v_cndmask_b32_e64 v22, v1, v3, s[4:5]
	v_or_b32_e32 v3, 0x2c0, v0
	v_cmp_gt_u32_e32 vcc, s33, v3
	v_lshlrev_b64 v[4:5], 2, v[4:5]
	v_lshlrev_b64 v[6:7], 2, v[6:7]
	v_cndmask_b32_e32 v24, v1, v3, vcc
	v_ashrrev_i32_e32 v3, 31, v2
	v_lshlrev_b64 v[2:3], 2, v[2:3]
	v_lshl_add_u64 v[26:27], s[26:27], 0, v[2:3]
	v_lshlrev_b64 v[8:9], 2, v[8:9]
	v_lshl_add_u64 v[34:35], s[26:27], 0, v[10:11]
	v_lshl_add_u64 v[36:37], s[26:27], 0, v[12:13]
	v_lshlrev_b64 v[14:15], 2, v[14:15]
	v_lshlrev_b64 v[16:17], 2, v[16:17]
	v_ashrrev_i32_e32 v19, 31, v18
	v_ashrrev_i32_e32 v21, 31, v20
	v_lshl_add_u64 v[28:29], s[26:27], 0, v[4:5]
	v_lshl_add_u64 v[30:31], s[26:27], 0, v[6:7]
	;; [unrolled: 1-line block ×5, first 2 shown]
	global_load_dword v1, v[26:27], off
	global_load_dword v42, v[28:29], off
	;; [unrolled: 1-line block ×4, first 2 shown]
	s_nop 0
	global_load_dword v34, v[34:35], off
	s_nop 0
	global_load_dword v35, v[36:37], off
	;; [unrolled: 2-line block ×3, first 2 shown]
	global_load_dword v37, v[40:41], off
	v_lshlrev_b64 v[18:19], 2, v[18:19]
	v_lshlrev_b64 v[20:21], 2, v[20:21]
	v_ashrrev_i32_e32 v23, 31, v22
	v_ashrrev_i32_e32 v25, 31, v24
	v_lshl_add_u64 v[26:27], s[26:27], 0, v[18:19]
	v_lshl_add_u64 v[28:29], s[26:27], 0, v[20:21]
	v_lshlrev_b64 v[22:23], 2, v[22:23]
	v_lshlrev_b64 v[24:25], 2, v[24:25]
	v_lshl_add_u64 v[30:31], s[26:27], 0, v[22:23]
	v_lshl_add_u64 v[32:33], s[26:27], 0, v[24:25]
	global_load_dword v26, v[26:27], off
	s_nop 0
	global_load_dword v27, v[28:29], off
	s_nop 0
	global_load_dword v28, v[30:31], off
	global_load_dword v29, v[32:33], off
	s_mov_b32 s31, 0x3fb8aa3b
	s_waitcnt vmcnt(11)
	v_max_f32_e32 v31, v1, v1
	s_waitcnt vmcnt(10)
	v_max_f32_e32 v30, v42, v42
	v_max_f32_e32 v30, v31, v30
	v_mbcnt_lo_u32_b32 v31, -1, 0
	v_mbcnt_hi_u32_b32 v31, -1, v31
	s_waitcnt vmcnt(8)
	v_max3_f32 v30, v30, v43, v44
	v_and_b32_e32 v32, 64, v31
	s_waitcnt vmcnt(6)
	v_max3_f32 v30, v30, v34, v35
	v_add_u32_e32 v32, 64, v32
	v_xor_b32_e32 v33, 32, v31
	s_waitcnt vmcnt(4)
	v_max3_f32 v30, v30, v36, v37
	v_cmp_lt_i32_e64 s[26:27], v33, v32
	s_waitcnt vmcnt(2)
	v_max3_f32 v30, v30, v26, v27
	v_cndmask_b32_e64 v33, v31, v33, s[26:27]
	s_waitcnt vmcnt(0)
	v_max3_f32 v30, v30, v28, v29
	v_lshlrev_b32_e32 v33, 2, v33
	ds_bpermute_b32 v38, v33, v30
	s_waitcnt lgkmcnt(0)
	v_max_f32_e32 v38, v38, v38
	v_max_f32_e32 v30, v30, v38
	v_xor_b32_e32 v38, 16, v31
	v_cmp_lt_i32_e64 s[26:27], v38, v32
	s_nop 1
	v_cndmask_b32_e64 v38, v31, v38, s[26:27]
	v_lshlrev_b32_e32 v38, 2, v38
	ds_bpermute_b32 v39, v38, v30
	s_waitcnt lgkmcnt(0)
	v_max_f32_e32 v39, v39, v39
	v_max_f32_e32 v30, v30, v39
	v_xor_b32_e32 v39, 8, v31
	v_cmp_lt_i32_e64 s[26:27], v39, v32
	s_nop 1
	v_cndmask_b32_e64 v39, v31, v39, s[26:27]
	v_lshlrev_b32_e32 v39, 2, v39
	ds_bpermute_b32 v40, v39, v30
	s_add_u32 s26, s36, s50
	s_addc_u32 s27, s37, s51
	s_add_u32 s36, s26, s38
	s_addc_u32 s37, s27, s39
	s_waitcnt lgkmcnt(0)
	v_max_f32_e32 v40, v40, v40
	v_lshl_add_u64 v[2:3], s[36:37], 0, v[2:3]
	v_max_f32_e32 v30, v30, v40
	global_load_dword v40, v[2:3], off
	v_xor_b32_e32 v2, 4, v31
	v_cmp_lt_i32_e64 s[26:27], v2, v32
	s_nop 1
	v_cndmask_b32_e64 v2, v31, v2, s[26:27]
	v_lshlrev_b32_e32 v41, 2, v2
	ds_bpermute_b32 v2, v41, v30
	s_waitcnt lgkmcnt(0)
	v_max_f32_e32 v2, v2, v2
	v_max_f32_e32 v30, v30, v2
	v_xor_b32_e32 v2, 2, v31
	v_cmp_lt_i32_e64 s[26:27], v2, v32
	s_nop 1
	v_cndmask_b32_e64 v45, v31, v2, s[26:27]
	v_lshl_add_u64 v[2:3], s[36:37], 0, v[4:5]
	v_lshlrev_b32_e32 v45, 2, v45
	global_load_dword v46, v[2:3], off
	ds_bpermute_b32 v2, v45, v30
	v_lshl_add_u64 v[4:5], s[36:37], 0, v[8:9]
	v_lshl_add_u64 v[8:9], s[36:37], 0, v[14:15]
	s_waitcnt lgkmcnt(0)
	v_max_f32_e32 v2, v2, v2
	v_max_f32_e32 v30, v30, v2
	v_xor_b32_e32 v2, 1, v31
	v_cmp_lt_i32_e64 s[26:27], v2, v32
	s_nop 1
	v_cndmask_b32_e64 v2, v31, v2, s[26:27]
	v_lshlrev_b32_e32 v31, 2, v2
	v_lshl_add_u64 v[2:3], s[36:37], 0, v[6:7]
	global_load_dword v47, v[2:3], off
	v_lshl_add_u64 v[2:3], s[36:37], 0, v[10:11]
	v_lshl_add_u64 v[6:7], s[36:37], 0, v[12:13]
	;; [unrolled: 1-line block ×3, first 2 shown]
	global_load_dword v12, v[4:5], off
	global_load_dword v13, v[2:3], off
	;; [unrolled: 1-line block ×5, first 2 shown]
	ds_bpermute_b32 v32, v31, v30
	v_lshl_add_u64 v[2:3], s[36:37], 0, v[18:19]
	v_lshl_add_u64 v[4:5], s[36:37], 0, v[20:21]
	;; [unrolled: 1-line block ×4, first 2 shown]
	s_waitcnt lgkmcnt(0)
	v_max_f32_e32 v10, v32, v32
	v_max_f32_e32 v10, v30, v10
	v_sub_f32_e32 v1, v1, v10
	v_mul_f32_e32 v11, 0x3fb8aa3b, v1
	v_fma_f32 v17, v1, s31, -v11
	v_rndne_f32_e32 v18, v11
	v_fmac_f32_e32 v17, 0x32a5705f, v1
	v_sub_f32_e32 v11, v11, v18
	v_add_f32_e32 v11, v11, v17
	v_cvt_i32_f32_e32 v17, v18
	global_load_dword v18, v[2:3], off
	global_load_dword v19, v[4:5], off
	;; [unrolled: 1-line block ×4, first 2 shown]
	v_sub_f32_e32 v4, v42, v10
	v_mul_f32_e32 v5, 0x3fb8aa3b, v4
	v_fma_f32 v6, v4, s31, -v5
	v_rndne_f32_e32 v7, v5
	v_exp_f32_e32 v11, v11
	v_fmac_f32_e32 v6, 0x32a5705f, v4
	v_sub_f32_e32 v5, v5, v7
	v_add_f32_e32 v5, v5, v6
	v_exp_f32_e32 v5, v5
	v_cvt_i32_f32_e32 v6, v7
	s_mov_b32 s36, 0xc2ce8ed0
	v_ldexp_f32 v2, v11, v17
	v_cmp_ngt_f32_e64 s[26:27], s36, v1
	s_mov_b32 s37, 0x42b17218
	v_mov_b32_e32 v3, 0x7f800000
	v_cndmask_b32_e64 v2, 0, v2, s[26:27]
	v_cmp_nlt_f32_e64 s[26:27], s37, v1
	s_nop 1
	v_cndmask_b32_e64 v1, v3, v2, s[26:27]
	v_ldexp_f32 v2, v5, v6
	v_sub_f32_e32 v5, v43, v10
	v_mul_f32_e32 v6, 0x3fb8aa3b, v5
	v_fma_f32 v7, v5, s31, -v6
	v_rndne_f32_e32 v8, v6
	v_fmac_f32_e32 v7, 0x32a5705f, v5
	v_sub_f32_e32 v6, v6, v8
	v_add_f32_e32 v6, v6, v7
	v_exp_f32_e32 v6, v6
	v_cvt_i32_f32_e32 v7, v8
	v_cndmask_b32_e64 v1, 0, v1, s[24:25]
	v_cmp_ngt_f32_e64 s[24:25], s36, v4
	s_waitcnt vmcnt(11)
	v_mul_f32_e32 v1, v40, v1
	v_cndmask_b32_e64 v2, 0, v2, s[24:25]
	v_cmp_nlt_f32_e64 s[24:25], s37, v4
	v_ldexp_f32 v4, v6, v7
	v_sub_f32_e32 v6, v44, v10
	v_mul_f32_e32 v7, 0x3fb8aa3b, v6
	v_fma_f32 v8, v6, s31, -v7
	v_rndne_f32_e32 v9, v7
	v_fmac_f32_e32 v8, 0x32a5705f, v6
	v_sub_f32_e32 v7, v7, v9
	v_add_f32_e32 v7, v7, v8
	v_exp_f32_e32 v7, v7
	v_cvt_i32_f32_e32 v8, v9
	v_cndmask_b32_e64 v2, v3, v2, s[24:25]
	v_cndmask_b32_e64 v2, 0, v2, s[22:23]
	v_cmp_ngt_f32_e64 s[22:23], s36, v5
	s_waitcnt vmcnt(10)
	v_mul_f32_e32 v2, v46, v2
	v_cndmask_b32_e64 v4, 0, v4, s[22:23]
	v_cmp_nlt_f32_e64 s[22:23], s37, v5
	v_ldexp_f32 v5, v7, v8
	v_sub_f32_e32 v7, v34, v10
	v_mul_f32_e32 v8, 0x3fb8aa3b, v7
	v_fma_f32 v9, v7, s31, -v8
	v_rndne_f32_e32 v11, v8
	v_fmac_f32_e32 v9, 0x32a5705f, v7
	v_sub_f32_e32 v8, v8, v11
	v_add_f32_e32 v8, v8, v9
	v_exp_f32_e32 v8, v8
	v_cvt_i32_f32_e32 v9, v11
	v_cndmask_b32_e64 v4, v3, v4, s[22:23]
	v_cndmask_b32_e64 v4, 0, v4, s[20:21]
	v_cmp_ngt_f32_e64 s[20:21], s36, v6
	s_waitcnt vmcnt(9)
	v_mul_f32_e32 v4, v47, v4
	v_cndmask_b32_e64 v5, 0, v5, s[20:21]
	v_cmp_nlt_f32_e64 s[20:21], s37, v6
	v_ldexp_f32 v6, v8, v9
	v_sub_f32_e32 v8, v35, v10
	v_cndmask_b32_e64 v5, v3, v5, s[20:21]
	v_cndmask_b32_e64 v5, 0, v5, s[18:19]
	v_mul_f32_e32 v9, 0x3fb8aa3b, v8
	s_waitcnt vmcnt(8)
	v_mul_f32_e32 v5, v12, v5
	v_fma_f32 v11, v8, s31, -v9
	v_rndne_f32_e32 v12, v9
	v_fmac_f32_e32 v11, 0x32a5705f, v8
	v_sub_f32_e32 v9, v9, v12
	v_add_f32_e32 v9, v9, v11
	v_exp_f32_e32 v9, v9
	v_cvt_i32_f32_e32 v11, v12
	v_cmp_ngt_f32_e64 s[18:19], s36, v7
	s_nop 1
	v_cndmask_b32_e64 v6, 0, v6, s[18:19]
	v_cmp_nlt_f32_e64 s[18:19], s37, v7
	v_ldexp_f32 v7, v9, v11
	v_sub_f32_e32 v9, v36, v10
	v_cndmask_b32_e64 v6, v3, v6, s[18:19]
	v_cndmask_b32_e64 v6, 0, v6, s[16:17]
	v_mul_f32_e32 v11, 0x3fb8aa3b, v9
	s_waitcnt vmcnt(7)
	v_mul_f32_e32 v6, v13, v6
	v_fma_f32 v12, v9, s31, -v11
	v_rndne_f32_e32 v13, v11
	v_fmac_f32_e32 v12, 0x32a5705f, v9
	v_sub_f32_e32 v11, v11, v13
	v_add_f32_e32 v11, v11, v12
	v_exp_f32_e32 v11, v11
	v_cvt_i32_f32_e32 v12, v13
	v_cmp_ngt_f32_e64 s[16:17], s36, v8
	s_nop 1
	;; [unrolled: 18-line block ×5, first 2 shown]
	v_cndmask_b32_e64 v11, 0, v11, s[10:11]
	v_cmp_nlt_f32_e64 s[10:11], s37, v12
	v_ldexp_f32 v12, v14, v15
	v_sub_f32_e32 v14, v28, v10
	v_mul_f32_e32 v15, 0x3fb8aa3b, v14
	v_fma_f32 v16, v14, s31, -v15
	v_rndne_f32_e32 v17, v15
	v_fmac_f32_e32 v16, 0x32a5705f, v14
	v_sub_f32_e32 v15, v15, v17
	v_add_f32_e32 v15, v15, v16
	v_exp_f32_e32 v15, v15
	v_cvt_i32_f32_e32 v16, v17
	v_cndmask_b32_e64 v11, v3, v11, s[10:11]
	v_cndmask_b32_e64 v11, 0, v11, s[8:9]
	v_cmp_ngt_f32_e64 s[8:9], s36, v13
	v_sub_f32_e32 v10, v29, v10
	s_waitcnt vmcnt(3)
	v_mul_f32_e32 v11, v18, v11
	v_cndmask_b32_e64 v12, 0, v12, s[8:9]
	v_cmp_nlt_f32_e64 s[8:9], s37, v13
	v_ldexp_f32 v13, v15, v16
	v_mul_f32_e32 v15, 0x3fb8aa3b, v10
	v_fma_f32 v16, v10, s31, -v15
	v_rndne_f32_e32 v17, v15
	v_fmac_f32_e32 v16, 0x32a5705f, v10
	v_sub_f32_e32 v15, v15, v17
	v_add_f32_e32 v15, v15, v16
	v_cndmask_b32_e64 v12, v3, v12, s[8:9]
	v_exp_f32_e32 v15, v15
	v_cvt_i32_f32_e32 v16, v17
	v_cndmask_b32_e64 v12, 0, v12, s[6:7]
	v_cmp_ngt_f32_e64 s[6:7], s36, v14
	s_waitcnt vmcnt(2)
	v_mul_f32_e32 v12, v19, v12
	v_cndmask_b32_e64 v13, 0, v13, s[6:7]
	v_cmp_nlt_f32_e64 s[6:7], s37, v14
	v_ldexp_f32 v14, v15, v16
	v_lshlrev_b32_e32 v15, 2, v0
	v_cndmask_b32_e64 v13, v3, v13, s[6:7]
	v_cndmask_b32_e64 v13, 0, v13, s[4:5]
	v_cmp_ngt_f32_e64 s[4:5], s36, v10
	s_waitcnt vmcnt(1)
	v_mul_f32_e32 v13, v20, v13
	ds_write2st64_b32 v15, v1, v2 offset1:1
	ds_write2st64_b32 v15, v4, v5 offset0:2 offset1:3
	ds_write2st64_b32 v15, v6, v7 offset0:4 offset1:5
	v_cndmask_b32_e64 v14, 0, v14, s[4:5]
	v_cmp_nlt_f32_e64 s[4:5], s37, v10
	v_add_f32_e32 v10, v1, v2
	v_add_f32_e32 v10, v10, v4
	;; [unrolled: 1-line block ×8, first 2 shown]
	v_cndmask_b32_e64 v3, v3, v14, s[4:5]
	v_add_f32_e32 v10, v10, v12
	v_cndmask_b32_e32 v3, 0, v3, vcc
	v_add_f32_e32 v10, v10, v13
	s_waitcnt vmcnt(0)
	v_fmac_f32_e32 v10, v21, v3
	ds_bpermute_b32 v14, v33, v10
	v_cmp_eq_u32_e32 vcc, 0, v0
	v_mul_f32_e32 v3, v21, v3
	ds_write2st64_b32 v15, v8, v9 offset0:6 offset1:7
	ds_write2st64_b32 v15, v11, v12 offset0:8 offset1:9
	;; [unrolled: 1-line block ×3, first 2 shown]
	s_waitcnt lgkmcnt(3)
	v_add_f32_e32 v10, v10, v14
	ds_bpermute_b32 v14, v38, v10
	s_waitcnt lgkmcnt(0)
	v_add_f32_e32 v10, v10, v14
	ds_bpermute_b32 v14, v39, v10
	;; [unrolled: 3-line block ×5, first 2 shown]
	s_and_saveexec_b64 s[4:5], vcc
	s_cbranch_execz .LBB279_8
; %bb.7:
	s_waitcnt lgkmcnt(0)
	v_add_f32_e32 v1, v1, v2
	v_mov_b32_e32 v2, 0
	ds_write_b32 v2, v1 offset:3072
.LBB279_8:
	s_or_b64 exec, exec, s[4:5]
	v_mov_b32_e32 v1, s30
.LBB279_9:
	s_or_b64 exec, exec, s[46:47]
	s_lshl_b32 s4, s48, 7
	s_mov_b32 s5, 0
	s_lshl_b64 s[4:5], s[4:5], 1
	s_add_u32 s4, s28, s4
	s_addc_u32 s5, s29, s5
	s_lshl_b32 s10, s33, 7
	s_add_i32 s11, s10, 0xffffff80
	s_waitcnt lgkmcnt(0)
	v_lshlrev_b32_e32 v2, 7, v1
	v_mov_b32_e32 v3, 0
	s_cmp_lt_i32 s52, 1
	v_lshl_add_u64 v[4:5], v[2:3], 1, s[4:5]
	s_cselect_b32 s4, s11, 0
	v_lshlrev_b32_e32 v2, 1, v0
	s_ashr_i32 s5, s4, 31
	v_lshl_add_u64 v[0:1], v[4:5], 0, v[2:3]
	s_cmpk_lt_i32 s52, 0x101
	v_lshl_add_u64 v[12:13], s[4:5], 1, v[0:1]
	s_cselect_b32 s4, s11, 0x80
	s_ashr_i32 s5, s4, 31
	s_cmpk_lt_i32 s52, 0x201
	v_lshl_add_u64 v[14:15], s[4:5], 1, v[0:1]
	s_cselect_b32 s4, s11, 0x100
	s_ashr_i32 s5, s4, 31
	;; [unrolled: 4-line block ×8, first 2 shown]
	s_cmpk_lt_i32 s52, 0x901
	global_load_ushort v4, v[12:13], off
	global_load_ushort v5, v[14:15], off
	;; [unrolled: 1-line block ×8, first 2 shown]
	v_lshl_add_u64 v[20:21], s[4:5], 1, v[0:1]
	s_cselect_b32 s4, s11, 0x480
	s_ashr_i32 s5, s4, 31
	s_cmpk_lt_i32 s52, 0xa01
	v_lshl_add_u64 v[22:23], s[4:5], 1, v[0:1]
	s_cselect_b32 s4, s11, 0x500
	s_ashr_i32 s5, s4, 31
	s_cmpk_lt_i32 s52, 0xb01
	;; [unrolled: 4-line block ×6, first 2 shown]
	v_lshl_add_u64 v[32:33], s[4:5], 1, v[0:1]
	s_cselect_b32 s4, s11, 0x780
	s_ashr_i32 s5, s4, 31
	v_lshl_add_u64 v[34:35], s[4:5], 1, v[0:1]
	global_load_ushort v12, v[20:21], off
	global_load_ushort v13, v[22:23], off
	;; [unrolled: 1-line block ×8, first 2 shown]
	s_cmpk_gt_i32 s52, 0x1000
	s_cselect_b64 s[8:9], -1, 0
	s_cmpk_lt_i32 s52, 0x1001
	v_mov_b32_e32 v36, 0
	v_mov_b32_e32 v37, 0
	;; [unrolled: 1-line block ×48, first 2 shown]
	s_barrier
	s_cbranch_scc1 .LBB279_12
; %bb.10:
	s_cmpk_lt_u32 s52, 0x1101
	s_cselect_b32 s4, s11, 0x880
	s_ashr_i32 s5, s4, 31
	s_cmpk_lt_u32 s52, 0x1201
	v_lshl_add_u64 v[30:31], s[4:5], 1, v[0:1]
	s_cselect_b32 s4, s11, 0x900
	s_ashr_i32 s5, s4, 31
	s_cmpk_lt_u32 s52, 0x1301
	v_lshl_add_u64 v[32:33], s[4:5], 1, v[0:1]
	;; [unrolled: 4-line block ×7, first 2 shown]
	s_cselect_b32 s4, s11, 0xc00
	v_add_co_u32_e32 v28, vcc, 0x1000, v0
	s_ashr_i32 s5, s4, 31
	s_nop 0
	v_addc_co_u32_e32 v29, vcc, 0, v1, vcc
	s_cmpk_lt_u32 s52, 0x1901
	global_load_ushort v27, v[28:29], off
	global_load_ushort v26, v[30:31], off
	;; [unrolled: 1-line block ×8, first 2 shown]
	v_lshl_add_u64 v[36:37], s[4:5], 1, v[0:1]
	s_cselect_b32 s4, s11, 0xc80
	s_ashr_i32 s5, s4, 31
	s_cmpk_lt_u32 s52, 0x1a01
	v_lshl_add_u64 v[38:39], s[4:5], 1, v[0:1]
	s_cselect_b32 s4, s11, 0xd00
	s_ashr_i32 s5, s4, 31
	s_cmpk_lt_u32 s52, 0x1b01
	;; [unrolled: 4-line block ×6, first 2 shown]
	v_lshl_add_u64 v[48:49], s[4:5], 1, v[0:1]
	s_cselect_b32 s4, s11, 0xf80
	s_ashr_i32 s5, s4, 31
	v_lshl_add_u64 v[50:51], s[4:5], 1, v[0:1]
	global_load_ushort v35, v[36:37], off
	global_load_ushort v34, v[38:39], off
	;; [unrolled: 1-line block ×8, first 2 shown]
	s_cmpk_lt_u32 s52, 0x2001
	v_mov_b32_e32 v67, 0
	v_mov_b32_e32 v66, 0
	;; [unrolled: 1-line block ×32, first 2 shown]
	s_cbranch_scc1 .LBB279_12
; %bb.11:
	s_cmpk_lt_u32 s52, 0x2101
	s_cselect_b32 s4, s11, 0x1080
	s_ashr_i32 s5, s4, 31
	s_cmpk_lt_u32 s52, 0x2201
	v_lshl_add_u64 v[38:39], s[4:5], 1, v[0:1]
	s_cselect_b32 s4, s11, 0x1100
	s_ashr_i32 s5, s4, 31
	s_cmpk_lt_u32 s52, 0x2301
	v_lshl_add_u64 v[40:41], s[4:5], 1, v[0:1]
	;; [unrolled: 4-line block ×7, first 2 shown]
	s_cselect_b32 s4, s11, 0x1400
	v_add_co_u32_e32 v36, vcc, 0x2000, v0
	s_ashr_i32 s5, s4, 31
	s_nop 0
	v_addc_co_u32_e32 v37, vcc, 0, v1, vcc
	s_cmpk_lt_u32 s52, 0x2901
	global_load_ushort v52, v[36:37], off
	global_load_ushort v53, v[38:39], off
	;; [unrolled: 1-line block ×8, first 2 shown]
	v_lshl_add_u64 v[36:37], s[4:5], 1, v[0:1]
	s_cselect_b32 s4, s11, 0x1480
	s_ashr_i32 s5, s4, 31
	s_cmpk_lt_u32 s52, 0x2a01
	v_lshl_add_u64 v[38:39], s[4:5], 1, v[0:1]
	s_cselect_b32 s4, s11, 0x1500
	s_ashr_i32 s5, s4, 31
	s_cmpk_lt_u32 s52, 0x2b01
	;; [unrolled: 4-line block ×8, first 2 shown]
	global_load_ushort v68, v[36:37], off
	global_load_ushort v69, v[38:39], off
	;; [unrolled: 1-line block ×8, first 2 shown]
	v_lshl_add_u64 v[36:37], s[4:5], 1, v[0:1]
	s_cselect_b32 s4, s11, 0x1880
	s_ashr_i32 s5, s4, 31
	s_cmpk_lt_u32 s52, 0x3201
	v_lshl_add_u64 v[38:39], s[4:5], 1, v[0:1]
	s_cselect_b32 s4, s11, 0x1900
	s_ashr_i32 s5, s4, 31
	s_cmpk_lt_u32 s52, 0x3301
	;; [unrolled: 4-line block ×8, first 2 shown]
	global_load_ushort v76, v[36:37], off
	global_load_ushort v77, v[38:39], off
	;; [unrolled: 1-line block ×8, first 2 shown]
	v_lshl_add_u64 v[36:37], s[4:5], 1, v[0:1]
	s_cselect_b32 s4, s11, 0x1c80
	s_ashr_i32 s5, s4, 31
	s_cmpk_lt_u32 s52, 0x3a01
	v_lshl_add_u64 v[38:39], s[4:5], 1, v[0:1]
	s_cselect_b32 s4, s11, 0x1d00
	s_ashr_i32 s5, s4, 31
	s_cmpk_lt_u32 s52, 0x3b01
	v_lshl_add_u64 v[40:41], s[4:5], 1, v[0:1]
	s_cselect_b32 s4, s11, 0x1d80
	s_ashr_i32 s5, s4, 31
	s_cmpk_lt_u32 s52, 0x3c01
	v_lshl_add_u64 v[42:43], s[4:5], 1, v[0:1]
	s_cselect_b32 s4, s11, 0x1e00
	s_ashr_i32 s5, s4, 31
	s_cmpk_lt_u32 s52, 0x3d01
	v_lshl_add_u64 v[44:45], s[4:5], 1, v[0:1]
	s_cselect_b32 s4, s11, 0x1e80
	s_ashr_i32 s5, s4, 31
	s_cmpk_lt_u32 s52, 0x3e01
	v_lshl_add_u64 v[46:47], s[4:5], 1, v[0:1]
	s_cselect_b32 s4, s11, 0x1f00
	s_ashr_i32 s5, s4, 31
	s_cmpk_lt_u32 s52, 0x3f01
	v_lshl_add_u64 v[48:49], s[4:5], 1, v[0:1]
	s_cselect_b32 s4, s11, 0x1f80
	s_ashr_i32 s5, s4, 31
	v_lshl_add_u64 v[50:51], s[4:5], 1, v[0:1]
	global_load_ushort v84, v[36:37], off
	global_load_ushort v85, v[38:39], off
	;; [unrolled: 1-line block ×8, first 2 shown]
	s_waitcnt vmcnt(31)
	v_cvt_f32_f16_e32 v67, v52
	s_waitcnt vmcnt(30)
	v_cvt_f32_f16_e32 v66, v53
	;; [unrolled: 2-line block ×32, first 2 shown]
.LBB279_12:
	ds_read_b128 v[68:71], v3
	s_load_dwordx2 s[4:5], s[0:1], 0x0
	s_load_dwordx2 s[6:7], s[0:1], 0x38
	ds_read_b128 v[72:75], v3 offset:16
	ds_read_b128 v[76:79], v3 offset:32
	;; [unrolled: 1-line block ×3, first 2 shown]
	s_and_b64 vcc, exec, s[8:9]
	s_waitcnt vmcnt(15) lgkmcnt(0)
	v_fma_mix_f32 v4, v68, v4, 0 op_sel_hi:[0,1,0]
	s_waitcnt vmcnt(14)
	v_fma_mix_f32 v4, v69, v5, v4 op_sel_hi:[0,1,0]
	s_waitcnt vmcnt(13)
	;; [unrolled: 2-line block ×15, first 2 shown]
	v_fma_mix_f32 v4, v83, v19, v4 op_sel_hi:[0,1,0]
	s_cbranch_vccz .LBB279_15
; %bb.13:
	ds_read_b128 v[6:9], v3 offset:64
	ds_read_b128 v[10:13], v3 offset:80
	;; [unrolled: 1-line block ×4, first 2 shown]
	s_cmpk_lt_u32 s52, 0x2001
	s_waitcnt lgkmcnt(3)
	v_fma_mix_f32 v3, v6, v27, v4 op_sel_hi:[0,1,0]
	v_fma_mix_f32 v3, v7, v26, v3 op_sel_hi:[0,1,0]
	v_fma_mix_f32 v3, v8, v25, v3 op_sel_hi:[0,1,0]
	v_fma_mix_f32 v3, v9, v24, v3 op_sel_hi:[0,1,0]
	s_waitcnt lgkmcnt(2)
	v_fma_mix_f32 v3, v10, v23, v3 op_sel_hi:[0,1,0]
	v_fma_mix_f32 v3, v11, v22, v3 op_sel_hi:[0,1,0]
	v_fma_mix_f32 v3, v12, v21, v3 op_sel_hi:[0,1,0]
	v_fma_mix_f32 v3, v13, v20, v3 op_sel_hi:[0,1,0]
	;; [unrolled: 5-line block ×4, first 2 shown]
	s_cbranch_scc1 .LBB279_15
; %bb.14:
	v_mov_b32_e32 v3, 0
	ds_read_b128 v[6:9], v3 offset:128
	ds_read_b128 v[10:13], v3 offset:144
	;; [unrolled: 1-line block ×4, first 2 shown]
	s_waitcnt lgkmcnt(3)
	v_fmac_f32_e32 v4, v6, v67
	v_fmac_f32_e32 v4, v7, v66
	v_fmac_f32_e32 v4, v8, v65
	v_fmac_f32_e32 v4, v9, v64
	s_waitcnt lgkmcnt(2)
	v_fmac_f32_e32 v4, v10, v63
	v_fmac_f32_e32 v4, v11, v62
	v_fmac_f32_e32 v4, v12, v61
	v_fmac_f32_e32 v4, v13, v60
	;; [unrolled: 5-line block ×3, first 2 shown]
	ds_read_b128 v[6:9], v3 offset:192
	ds_read_b128 v[10:13], v3 offset:208
	s_waitcnt lgkmcnt(2)
	v_fmac_f32_e32 v4, v18, v55
	v_fmac_f32_e32 v4, v19, v54
	;; [unrolled: 1-line block ×4, first 2 shown]
	s_waitcnt lgkmcnt(1)
	v_fmac_f32_e32 v4, v6, v51
	v_fmac_f32_e32 v4, v7, v50
	;; [unrolled: 1-line block ×4, first 2 shown]
	ds_read_b128 v[6:9], v3 offset:224
	s_waitcnt lgkmcnt(1)
	v_fmac_f32_e32 v4, v10, v47
	v_fmac_f32_e32 v4, v11, v46
	;; [unrolled: 1-line block ×4, first 2 shown]
	ds_read_b128 v[10:13], v3 offset:240
	s_waitcnt lgkmcnt(1)
	v_fmac_f32_e32 v4, v6, v43
	v_fmac_f32_e32 v4, v7, v42
	;; [unrolled: 1-line block ×4, first 2 shown]
	s_waitcnt lgkmcnt(0)
	v_fmac_f32_e32 v4, v10, v39
	v_fmac_f32_e32 v4, v11, v38
	;; [unrolled: 1-line block ×4, first 2 shown]
.LBB279_15:
	s_movk_i32 s0, 0x3f80
	s_movk_i32 s1, 0x100
	s_mov_b32 s8, 64
	s_branch .LBB279_17
.LBB279_16:                             ;   in Loop: Header=BB279_17 Depth=1
	s_addk_i32 s0, 0x2000
	s_addk_i32 s1, 0x100
	s_add_i32 s8, s8, 64
	s_cmp_eq_u32 s0, 0x19f80
	s_cbranch_scc1 .LBB279_19
.LBB279_17:                             ; =>This Inner Loop Header: Depth=1
	s_cmp_le_i32 s33, s8
	s_cbranch_scc1 .LBB279_16
; %bb.18:                               ;   in Loop: Header=BB279_17 Depth=1
	s_add_i32 s9, s0, 0xffffe080
	s_cmp_lt_i32 s9, s10
	s_cselect_b32 s12, s9, s11
	s_ashr_i32 s13, s12, 31
	s_add_i32 s9, s0, 0xffffe100
	s_cmp_lt_i32 s9, s10
	v_lshl_add_u64 v[12:13], s[12:13], 1, v[0:1]
	s_cselect_b32 s12, s9, s11
	s_ashr_i32 s13, s12, 31
	s_add_i32 s9, s0, 0xffffe180
	s_cmp_lt_i32 s9, s10
	v_lshl_add_u64 v[14:15], s[12:13], 1, v[0:1]
	;; [unrolled: 5-line block ×8, first 2 shown]
	s_cselect_b32 s12, s9, s11
	s_ashr_i32 s13, s12, 31
	s_add_i32 s9, s0, 0xffffe500
	s_cmp_lt_i32 s9, s10
	global_load_ushort v3, v[12:13], off
	global_load_ushort v5, v[14:15], off
	global_load_ushort v6, v[16:17], off
	global_load_ushort v7, v[18:19], off
	global_load_ushort v8, v[20:21], off
	global_load_ushort v9, v[22:23], off
	global_load_ushort v10, v[24:25], off
	global_load_ushort v11, v[26:27], off
	v_lshl_add_u64 v[12:13], s[12:13], 1, v[0:1]
	s_cselect_b32 s12, s9, s11
	s_ashr_i32 s13, s12, 31
	s_add_i32 s9, s0, 0xffffe580
	s_cmp_lt_i32 s9, s10
	v_lshl_add_u64 v[14:15], s[12:13], 1, v[0:1]
	s_cselect_b32 s12, s9, s11
	s_ashr_i32 s13, s12, 31
	s_add_i32 s9, s0, 0xffffe600
	s_cmp_lt_i32 s9, s10
	v_lshl_add_u64 v[16:17], s[12:13], 1, v[0:1]
	s_cselect_b32 s12, s9, s11
	s_ashr_i32 s13, s12, 31
	s_add_i32 s9, s0, 0xffffe680
	s_cmp_lt_i32 s9, s10
	v_lshl_add_u64 v[18:19], s[12:13], 1, v[0:1]
	s_cselect_b32 s12, s9, s11
	s_ashr_i32 s13, s12, 31
	s_add_i32 s9, s0, 0xffffe700
	s_cmp_lt_i32 s9, s10
	v_lshl_add_u64 v[20:21], s[12:13], 1, v[0:1]
	s_cselect_b32 s12, s9, s11
	s_ashr_i32 s13, s12, 31
	s_add_i32 s9, s0, 0xffffe780
	s_cmp_lt_i32 s9, s10
	v_lshl_add_u64 v[22:23], s[12:13], 1, v[0:1]
	s_cselect_b32 s12, s9, s11
	s_ashr_i32 s13, s12, 31
	s_add_i32 s9, s0, 0xffffe800
	s_cmp_lt_i32 s9, s10
	v_lshl_add_u64 v[24:25], s[12:13], 1, v[0:1]
	s_cselect_b32 s12, s9, s11
	s_ashr_i32 s13, s12, 31
	s_add_i32 s9, s0, 0xffffe880
	s_cmp_lt_i32 s9, s10
	v_lshl_add_u64 v[26:27], s[12:13], 1, v[0:1]
	s_cselect_b32 s12, s9, s11
	s_ashr_i32 s13, s12, 31
	s_add_i32 s9, s0, 0xffffe900
	s_cmp_lt_i32 s9, s10
	global_load_ushort v28, v[12:13], off
	global_load_ushort v29, v[14:15], off
	global_load_ushort v30, v[16:17], off
	global_load_ushort v31, v[18:19], off
	global_load_ushort v32, v[20:21], off
	global_load_ushort v33, v[22:23], off
	global_load_ushort v34, v[24:25], off
	global_load_ushort v35, v[26:27], off
	v_lshl_add_u64 v[12:13], s[12:13], 1, v[0:1]
	s_cselect_b32 s12, s9, s11
	s_ashr_i32 s13, s12, 31
	s_add_i32 s9, s0, 0xffffe980
	s_cmp_lt_i32 s9, s10
	v_lshl_add_u64 v[14:15], s[12:13], 1, v[0:1]
	s_cselect_b32 s12, s9, s11
	s_ashr_i32 s13, s12, 31
	s_add_i32 s9, s0, 0xffffea00
	s_cmp_lt_i32 s9, s10
	v_lshl_add_u64 v[16:17], s[12:13], 1, v[0:1]
	s_cselect_b32 s12, s9, s11
	s_ashr_i32 s13, s12, 31
	s_add_i32 s9, s0, 0xffffea80
	s_cmp_lt_i32 s9, s10
	v_lshl_add_u64 v[18:19], s[12:13], 1, v[0:1]
	s_cselect_b32 s12, s9, s11
	s_ashr_i32 s13, s12, 31
	s_add_i32 s9, s0, 0xffffeb00
	s_cmp_lt_i32 s9, s10
	v_lshl_add_u64 v[20:21], s[12:13], 1, v[0:1]
	s_cselect_b32 s12, s9, s11
	s_ashr_i32 s13, s12, 31
	s_add_i32 s9, s0, 0xffffeb80
	s_cmp_lt_i32 s9, s10
	v_lshl_add_u64 v[22:23], s[12:13], 1, v[0:1]
	s_cselect_b32 s12, s9, s11
	s_ashr_i32 s13, s12, 31
	s_add_i32 s9, s0, 0xffffec00
	s_cmp_lt_i32 s9, s10
	v_lshl_add_u64 v[24:25], s[12:13], 1, v[0:1]
	s_cselect_b32 s12, s9, s11
	s_ashr_i32 s13, s12, 31
	s_add_i32 s9, s0, 0xffffec80
	s_cmp_lt_i32 s9, s10
	v_lshl_add_u64 v[26:27], s[12:13], 1, v[0:1]
	;; [unrolled: 48-line block ×6, first 2 shown]
	s_cselect_b32 s12, s9, s11
	s_ashr_i32 s13, s12, 31
	s_add_i32 s9, s0, 0xfffffd00
	s_cmp_lt_i32 s9, s10
	global_load_ushort v68, v[12:13], off
	global_load_ushort v69, v[14:15], off
	;; [unrolled: 1-line block ×8, first 2 shown]
	v_lshl_add_u64 v[12:13], s[12:13], 1, v[0:1]
	s_cselect_b32 s12, s9, s11
	s_ashr_i32 s13, s12, 31
	s_add_i32 s9, s0, 0xfffffd80
	s_cmp_lt_i32 s9, s10
	v_lshl_add_u64 v[14:15], s[12:13], 1, v[0:1]
	s_cselect_b32 s12, s9, s11
	s_ashr_i32 s13, s12, 31
	s_add_i32 s9, s0, 0xfffffe00
	s_cmp_lt_i32 s9, s10
	v_lshl_add_u64 v[16:17], s[12:13], 1, v[0:1]
	s_cselect_b32 s12, s9, s11
	s_ashr_i32 s13, s12, 31
	s_add_i32 s9, s0, 0xfffffe80
	s_cmp_lt_i32 s9, s10
	v_lshl_add_u64 v[18:19], s[12:13], 1, v[0:1]
	s_cselect_b32 s12, s9, s11
	s_ashr_i32 s13, s12, 31
	s_add_i32 s9, s0, 0xffffff00
	s_cmp_lt_i32 s9, s10
	v_lshl_add_u64 v[20:21], s[12:13], 1, v[0:1]
	s_cselect_b32 s12, s9, s11
	s_ashr_i32 s13, s12, 31
	s_add_i32 s9, s0, 0xffffff80
	s_cmp_lt_i32 s9, s10
	v_lshl_add_u64 v[22:23], s[12:13], 1, v[0:1]
	s_cselect_b32 s12, s9, s11
	s_ashr_i32 s13, s12, 31
	s_cmp_lt_i32 s0, s10
	v_lshl_add_u64 v[24:25], s[12:13], 1, v[0:1]
	s_cselect_b32 s12, s0, s11
	s_ashr_i32 s13, s12, 31
	v_lshl_add_u64 v[26:27], s[12:13], 1, v[0:1]
	global_load_ushort v76, v[12:13], off
	global_load_ushort v77, v[14:15], off
	;; [unrolled: 1-line block ×8, first 2 shown]
	v_mov_b32_e32 v84, s1
	ds_read_b128 v[12:15], v84
	ds_read_b128 v[16:19], v84 offset:16
	ds_read_b128 v[20:23], v84 offset:32
	;; [unrolled: 1-line block ×3, first 2 shown]
	s_waitcnt vmcnt(62) lgkmcnt(3)
	v_fma_mix_f32 v3, v12, v3, v4 op_sel_hi:[0,1,0]
	v_fma_mix_f32 v3, v13, v5, v3 op_sel_hi:[0,1,0]
	s_waitcnt vmcnt(61)
	v_fma_mix_f32 v3, v14, v6, v3 op_sel_hi:[0,1,0]
	s_waitcnt vmcnt(60)
	v_fma_mix_f32 v3, v15, v7, v3 op_sel_hi:[0,1,0]
	s_waitcnt vmcnt(59) lgkmcnt(2)
	v_fma_mix_f32 v3, v16, v8, v3 op_sel_hi:[0,1,0]
	s_waitcnt vmcnt(58)
	v_fma_mix_f32 v3, v17, v9, v3 op_sel_hi:[0,1,0]
	s_waitcnt vmcnt(57)
	;; [unrolled: 2-line block ×3, first 2 shown]
	v_fma_mix_f32 v3, v19, v11, v3 op_sel_hi:[0,1,0]
	s_waitcnt vmcnt(55) lgkmcnt(1)
	v_fma_mix_f32 v3, v20, v28, v3 op_sel_hi:[0,1,0]
	s_waitcnt vmcnt(54)
	v_fma_mix_f32 v3, v21, v29, v3 op_sel_hi:[0,1,0]
	s_waitcnt vmcnt(53)
	;; [unrolled: 2-line block ×3, first 2 shown]
	v_fma_mix_f32 v3, v23, v31, v3 op_sel_hi:[0,1,0]
	ds_read_b128 v[4:7], v84 offset:64
	ds_read_b128 v[8:11], v84 offset:80
	s_waitcnt vmcnt(51) lgkmcnt(2)
	v_fma_mix_f32 v3, v24, v32, v3 op_sel_hi:[0,1,0]
	s_waitcnt vmcnt(50)
	v_fma_mix_f32 v3, v25, v33, v3 op_sel_hi:[0,1,0]
	s_waitcnt vmcnt(49)
	;; [unrolled: 2-line block ×3, first 2 shown]
	v_fma_mix_f32 v3, v27, v35, v3 op_sel_hi:[0,1,0]
	s_waitcnt vmcnt(47) lgkmcnt(1)
	v_fma_mix_f32 v3, v4, v36, v3 op_sel_hi:[0,1,0]
	s_waitcnt vmcnt(46)
	v_fma_mix_f32 v3, v5, v37, v3 op_sel_hi:[0,1,0]
	s_waitcnt vmcnt(45)
	v_fma_mix_f32 v3, v6, v38, v3 op_sel_hi:[0,1,0]
	s_waitcnt vmcnt(44)
	v_fma_mix_f32 v3, v7, v39, v3 op_sel_hi:[0,1,0]
	ds_read_b128 v[4:7], v84 offset:96
	s_waitcnt vmcnt(43) lgkmcnt(1)
	v_fma_mix_f32 v3, v8, v40, v3 op_sel_hi:[0,1,0]
	s_waitcnt vmcnt(42)
	v_fma_mix_f32 v3, v9, v41, v3 op_sel_hi:[0,1,0]
	s_waitcnt vmcnt(41)
	v_fma_mix_f32 v3, v10, v42, v3 op_sel_hi:[0,1,0]
	s_waitcnt vmcnt(40)
	v_fma_mix_f32 v3, v11, v43, v3 op_sel_hi:[0,1,0]
	ds_read_b128 v[8:11], v84 offset:112
	;; [unrolled: 9-line block ×10, first 2 shown]
	s_waitcnt vmcnt(7) lgkmcnt(1)
	v_fma_mix_f32 v3, v4, v76, v3 op_sel_hi:[0,1,0]
	s_waitcnt vmcnt(6)
	v_fma_mix_f32 v3, v5, v77, v3 op_sel_hi:[0,1,0]
	s_waitcnt vmcnt(5)
	;; [unrolled: 2-line block ×3, first 2 shown]
	v_fma_mix_f32 v3, v7, v79, v3 op_sel_hi:[0,1,0]
	s_waitcnt vmcnt(3) lgkmcnt(0)
	v_fma_mix_f32 v3, v8, v80, v3 op_sel_hi:[0,1,0]
	s_waitcnt vmcnt(2)
	v_fma_mix_f32 v3, v9, v81, v3 op_sel_hi:[0,1,0]
	s_waitcnt vmcnt(1)
	;; [unrolled: 2-line block ×3, first 2 shown]
	v_fma_mix_f32 v4, v11, v83, v3 op_sel_hi:[0,1,0]
	s_branch .LBB279_16
.LBB279_19:
	v_mov_b32_e32 v0, 0
	ds_read_b32 v1, v0 offset:3072
	s_cmp_lg_u64 s[6:7], 0
	s_cbranch_scc0 .LBB279_24
; %bb.20:
	s_load_dword s6, s[6:7], 0x0
	s_waitcnt lgkmcnt(0)
	v_div_scale_f32 v0, s[0:1], s6, s6, 1.0
	v_rcp_f32_e32 v3, v0
	v_div_scale_f32 v5, vcc, 1.0, s6, 1.0
	v_fma_f32 v6, -v0, v3, 1.0
	v_fmac_f32_e32 v3, v6, v3
	v_mul_f32_e32 v6, v5, v3
	v_fma_f32 v7, -v0, v6, v5
	v_fmac_f32_e32 v6, v7, v3
	v_fma_f32 v0, -v0, v6, v5
	v_div_fmas_f32 v0, v0, v3, v6
	v_div_fixup_f32 v0, v0, s6, 1.0
	s_andn2_b64 vcc, exec, s[42:43]
	s_cbranch_vccnz .LBB279_22
.LBB279_21:
	s_add_u32 s0, s40, s44
	s_addc_u32 s1, s41, s45
	s_load_dword s34, s[0:1], 0x0
	s_mov_b32 s35, 0
.LBB279_22:
	s_waitcnt lgkmcnt(0)
	v_add_f32_e32 v1, 0x358637bd, v1
	v_div_scale_f32 v3, s[0:1], v1, v1, 1.0
	v_rcp_f32_e32 v5, v3
	v_div_scale_f32 v6, vcc, 1.0, v1, 1.0
	s_mul_i32 s0, s3, s35
	v_fma_f32 v7, -v3, v5, 1.0
	v_fmac_f32_e32 v5, v7, v5
	v_mul_f32_e32 v7, v6, v5
	v_fma_f32 v8, -v3, v7, v6
	s_mul_hi_u32 s1, s3, s34
	v_fmac_f32_e32 v7, v8, v5
	s_add_i32 s1, s1, s0
	s_mul_i32 s0, s3, s34
	v_fma_f32 v3, -v3, v7, v6
	s_lshl_b64 s[0:1], s[0:1], 8
	v_div_fmas_f32 v3, v3, v5, v7
	s_add_u32 s4, s4, s0
	s_mov_b32 s3, 0
	v_div_fixup_f32 v1, v3, v1, 1.0
	s_addc_u32 s5, s5, s1
	s_lshl_b64 s[0:1], s[2:3], 8
	v_mul_f32_e32 v1, v4, v1
	s_add_u32 s0, s4, s0
	s_addc_u32 s1, s5, s1
	v_fma_mixlo_f16 v0, v1, v0, 0
	global_store_short v2, v0, s[0:1]
	s_endpgm
.LBB279_23:
	s_mov_b64 s[6:7], 0
	s_branch .LBB279_2
.LBB279_24:
	v_mov_b32_e32 v0, 1.0
	s_andn2_b64 vcc, exec, s[42:43]
	s_cbranch_vccz .LBB279_21
	s_branch .LBB279_22
	.section	.rodata,"a",@progbits
	.p2align	6, 0x0
	.amdhsa_kernel _Z35paged_attention_ll4mi_reduce_kernelIDF16_DF16_Li128ELi128ELi256ELi12EEvPT0_PKfS3_PKT_PKiS8_iS3_
		.amdhsa_group_segment_fixed_size 3076
		.amdhsa_private_segment_fixed_size 0
		.amdhsa_kernarg_size 320
		.amdhsa_user_sgpr_count 2
		.amdhsa_user_sgpr_dispatch_ptr 0
		.amdhsa_user_sgpr_queue_ptr 0
		.amdhsa_user_sgpr_kernarg_segment_ptr 1
		.amdhsa_user_sgpr_dispatch_id 0
		.amdhsa_user_sgpr_kernarg_preload_length 0
		.amdhsa_user_sgpr_kernarg_preload_offset 0
		.amdhsa_user_sgpr_private_segment_size 0
		.amdhsa_uses_dynamic_stack 0
		.amdhsa_enable_private_segment 0
		.amdhsa_system_sgpr_workgroup_id_x 1
		.amdhsa_system_sgpr_workgroup_id_y 1
		.amdhsa_system_sgpr_workgroup_id_z 0
		.amdhsa_system_sgpr_workgroup_info 0
		.amdhsa_system_vgpr_workitem_id 0
		.amdhsa_next_free_vgpr 92
		.amdhsa_next_free_sgpr 53
		.amdhsa_accum_offset 92
		.amdhsa_reserve_vcc 1
		.amdhsa_float_round_mode_32 0
		.amdhsa_float_round_mode_16_64 0
		.amdhsa_float_denorm_mode_32 3
		.amdhsa_float_denorm_mode_16_64 3
		.amdhsa_dx10_clamp 1
		.amdhsa_ieee_mode 1
		.amdhsa_fp16_overflow 0
		.amdhsa_tg_split 0
		.amdhsa_exception_fp_ieee_invalid_op 0
		.amdhsa_exception_fp_denorm_src 0
		.amdhsa_exception_fp_ieee_div_zero 0
		.amdhsa_exception_fp_ieee_overflow 0
		.amdhsa_exception_fp_ieee_underflow 0
		.amdhsa_exception_fp_ieee_inexact 0
		.amdhsa_exception_int_div_zero 0
	.end_amdhsa_kernel
	.section	.text._Z35paged_attention_ll4mi_reduce_kernelIDF16_DF16_Li128ELi128ELi256ELi12EEvPT0_PKfS3_PKT_PKiS8_iS3_,"axG",@progbits,_Z35paged_attention_ll4mi_reduce_kernelIDF16_DF16_Li128ELi128ELi256ELi12EEvPT0_PKfS3_PKT_PKiS8_iS3_,comdat
.Lfunc_end279:
	.size	_Z35paged_attention_ll4mi_reduce_kernelIDF16_DF16_Li128ELi128ELi256ELi12EEvPT0_PKfS3_PKT_PKiS8_iS3_, .Lfunc_end279-_Z35paged_attention_ll4mi_reduce_kernelIDF16_DF16_Li128ELi128ELi256ELi12EEvPT0_PKfS3_PKT_PKiS8_iS3_
                                        ; -- End function
	.section	.AMDGPU.csdata,"",@progbits
; Kernel info:
; codeLenInByte = 9956
; NumSgprs: 59
; NumVgprs: 92
; NumAgprs: 0
; TotalNumVgprs: 92
; ScratchSize: 0
; MemoryBound: 0
; FloatMode: 240
; IeeeMode: 1
; LDSByteSize: 3076 bytes/workgroup (compile time only)
; SGPRBlocks: 7
; VGPRBlocks: 11
; NumSGPRsForWavesPerEU: 59
; NumVGPRsForWavesPerEU: 92
; AccumOffset: 92
; Occupancy: 5
; WaveLimiterHint : 1
; COMPUTE_PGM_RSRC2:SCRATCH_EN: 0
; COMPUTE_PGM_RSRC2:USER_SGPR: 2
; COMPUTE_PGM_RSRC2:TRAP_HANDLER: 0
; COMPUTE_PGM_RSRC2:TGID_X_EN: 1
; COMPUTE_PGM_RSRC2:TGID_Y_EN: 1
; COMPUTE_PGM_RSRC2:TGID_Z_EN: 0
; COMPUTE_PGM_RSRC2:TIDIG_COMP_CNT: 0
; COMPUTE_PGM_RSRC3_GFX90A:ACCUM_OFFSET: 22
; COMPUTE_PGM_RSRC3_GFX90A:TG_SPLIT: 0
	.section	.text._Z35paged_attention_ll4mi_reduce_kernelIDF16_DF16_Li128ELi128ELi256ELi13EEvPT0_PKfS3_PKT_PKiS8_iS3_,"axG",@progbits,_Z35paged_attention_ll4mi_reduce_kernelIDF16_DF16_Li128ELi128ELi256ELi13EEvPT0_PKfS3_PKT_PKiS8_iS3_,comdat
	.protected	_Z35paged_attention_ll4mi_reduce_kernelIDF16_DF16_Li128ELi128ELi256ELi13EEvPT0_PKfS3_PKT_PKiS8_iS3_ ; -- Begin function _Z35paged_attention_ll4mi_reduce_kernelIDF16_DF16_Li128ELi128ELi256ELi13EEvPT0_PKfS3_PKT_PKiS8_iS3_
	.globl	_Z35paged_attention_ll4mi_reduce_kernelIDF16_DF16_Li128ELi128ELi256ELi13EEvPT0_PKfS3_PKT_PKiS8_iS3_
	.p2align	8
	.type	_Z35paged_attention_ll4mi_reduce_kernelIDF16_DF16_Li128ELi128ELi256ELi13EEvPT0_PKfS3_PKT_PKiS8_iS3_,@function
_Z35paged_attention_ll4mi_reduce_kernelIDF16_DF16_Li128ELi128ELi256ELi13EEvPT0_PKfS3_PKT_PKiS8_iS3_: ; @_Z35paged_attention_ll4mi_reduce_kernelIDF16_DF16_Li128ELi128ELi256ELi13EEvPT0_PKfS3_PKT_PKiS8_iS3_
; %bb.0:
	s_load_dwordx2 s[34:35], s[0:1], 0x28
	s_mov_b32 s30, s3
	s_mov_b64 s[4:5], 0
	s_waitcnt lgkmcnt(0)
	s_cmp_lg_u64 s[34:35], 0
	s_cselect_b64 s[44:45], -1, 0
	s_and_b64 vcc, exec, s[44:45]
	s_cbranch_vccz .LBB280_23
; %bb.1:
	s_add_i32 s6, s30, 1
	s_mov_b32 s7, 0
	s_lshl_b64 s[8:9], s[6:7], 2
	s_add_u32 s8, s34, s8
	s_mov_b32 s31, s7
	s_addc_u32 s9, s35, s9
	s_lshl_b64 s[6:7], s[30:31], 2
	s_add_u32 s6, s34, s6
	s_addc_u32 s7, s35, s7
	s_load_dword s3, s[8:9], 0x0
	s_load_dword s10, s[6:7], 0x0
	s_waitcnt lgkmcnt(0)
	s_sub_i32 s3, s3, s10
	s_cmp_eq_u32 s3, 1
	s_cselect_b64 s[6:7], -1, 0
	s_andn2_b64 vcc, exec, s[4:5]
	s_cbranch_vccnz .LBB280_3
.LBB280_2:
	s_mov_b32 s31, 0
	s_mov_b64 s[6:7], -1
.LBB280_3:
	s_andn2_b64 vcc, exec, s[6:7]
	s_cbranch_vccz .LBB280_5
; %bb.4:
	s_endpgm
.LBB280_5:
	s_load_dwordx4 s[36:39], s[0:1], 0x18
	s_load_dword s8, s[0:1], 0x30
	s_lshl_b64 s[46:47], s[30:31], 2
	v_cmp_lt_u32_e32 vcc, 63, v0
	s_waitcnt lgkmcnt(0)
	s_add_u32 s4, s38, s46
	s_addc_u32 s5, s39, s47
	s_load_dword s54, s[4:5], 0x0
	s_load_dword s3, s[0:1], 0x40
	s_mul_i32 s38, s2, s8
	s_mul_i32 s6, s30, s8
	s_waitcnt lgkmcnt(0)
	s_add_i32 s7, s54, 0xff
	s_ashr_i32 s4, s7, 31
	s_lshr_b32 s4, s4, 24
	s_add_i32 s7, s7, s4
	s_and_saveexec_b64 s[4:5], vcc
	s_xor_b64 s[4:5], exec, s[4:5]
	s_or_saveexec_b64 s[48:49], s[4:5]
	s_ashr_i32 s33, s7, 8
	v_mov_b32_e32 v1, s38
	s_mul_i32 s50, s6, s3
	s_xor_b64 exec, exec, s[48:49]
	s_cbranch_execz .LBB280_9
; %bb.6:
	s_add_i32 s4, s33, -1
	v_or_b32_e32 v3, 64, v0
	v_mov_b32_e32 v1, s4
	v_cmp_gt_u32_e64 s[24:25], s33, v3
	s_load_dwordx4 s[40:43], s[0:1], 0x8
	s_mov_b32 s51, 0
	v_cndmask_b32_e64 v4, v1, v3, s[24:25]
	v_or_b32_e32 v3, 0x80, v0
	v_cmp_gt_u32_e64 s[22:23], s33, v3
	s_lshl_b64 s[52:53], s[50:51], 2
	s_mov_b32 s39, s51
	v_cndmask_b32_e64 v6, v1, v3, s[22:23]
	v_or_b32_e32 v3, 0xc0, v0
	v_cmp_gt_u32_e64 s[20:21], s33, v3
	v_cmp_gt_u32_e64 s[26:27], s33, v0
	s_waitcnt lgkmcnt(0)
	s_add_u32 s28, s42, s52
	v_cndmask_b32_e64 v8, v1, v3, s[20:21]
	v_or_b32_e32 v3, 0x100, v0
	v_cmp_gt_u32_e64 s[18:19], s33, v3
	v_cndmask_b32_e64 v2, v1, v0, s[26:27]
	s_addc_u32 s29, s43, s53
	v_cndmask_b32_e64 v10, v1, v3, s[18:19]
	v_or_b32_e32 v3, 0x140, v0
	v_cmp_gt_u32_e64 s[16:17], s33, v3
	s_lshl_b64 s[42:43], s[38:39], 2
	s_add_u32 s28, s28, s42
	v_cndmask_b32_e64 v12, v1, v3, s[16:17]
	v_or_b32_e32 v3, 0x180, v0
	v_cmp_gt_u32_e64 s[14:15], s33, v3
	v_ashrrev_i32_e32 v13, 31, v12
	s_addc_u32 s29, s29, s43
	v_cndmask_b32_e64 v14, v1, v3, s[14:15]
	v_or_b32_e32 v3, 0x1c0, v0
	v_cmp_gt_u32_e64 s[12:13], s33, v3
	v_ashrrev_i32_e32 v15, 31, v14
	v_ashrrev_i32_e32 v5, 31, v4
	v_cndmask_b32_e64 v16, v1, v3, s[12:13]
	v_or_b32_e32 v3, 0x200, v0
	v_cmp_gt_u32_e64 s[10:11], s33, v3
	v_ashrrev_i32_e32 v7, 31, v6
	v_ashrrev_i32_e32 v9, 31, v8
	v_cndmask_b32_e64 v18, v1, v3, s[10:11]
	v_or_b32_e32 v3, 0x240, v0
	v_cmp_gt_u32_e64 s[8:9], s33, v3
	v_ashrrev_i32_e32 v11, 31, v10
	v_lshlrev_b64 v[12:13], 2, v[12:13]
	v_cndmask_b32_e64 v20, v1, v3, s[8:9]
	v_or_b32_e32 v3, 0x280, v0
	v_cmp_gt_u32_e64 s[6:7], s33, v3
	v_lshlrev_b64 v[14:15], 2, v[14:15]
	v_ashrrev_i32_e32 v17, 31, v16
	v_cndmask_b32_e64 v22, v1, v3, s[6:7]
	v_or_b32_e32 v3, 0x2c0, v0
	v_cmp_gt_u32_e64 s[4:5], s33, v3
	v_lshlrev_b64 v[4:5], 2, v[4:5]
	v_lshlrev_b64 v[6:7], 2, v[6:7]
	v_cndmask_b32_e64 v24, v1, v3, s[4:5]
	v_or_b32_e32 v3, 0x300, v0
	v_cmp_gt_u32_e32 vcc, s33, v3
	v_lshlrev_b64 v[8:9], 2, v[8:9]
	v_lshlrev_b64 v[10:11], 2, v[10:11]
	v_cndmask_b32_e32 v26, v1, v3, vcc
	v_ashrrev_i32_e32 v3, 31, v2
	v_lshlrev_b64 v[2:3], 2, v[2:3]
	v_lshl_add_u64 v[28:29], s[28:29], 0, v[2:3]
	v_lshl_add_u64 v[38:39], s[28:29], 0, v[12:13]
	;; [unrolled: 1-line block ×3, first 2 shown]
	v_lshlrev_b64 v[16:17], 2, v[16:17]
	v_ashrrev_i32_e32 v19, 31, v18
	v_ashrrev_i32_e32 v21, 31, v20
	;; [unrolled: 1-line block ×3, first 2 shown]
	v_lshl_add_u64 v[30:31], s[28:29], 0, v[4:5]
	v_lshl_add_u64 v[32:33], s[28:29], 0, v[6:7]
	;; [unrolled: 1-line block ×5, first 2 shown]
	global_load_dword v1, v[28:29], off
	global_load_dword v44, v[30:31], off
	;; [unrolled: 1-line block ×5, first 2 shown]
	s_nop 0
	global_load_dword v38, v[38:39], off
	s_nop 0
	global_load_dword v39, v[40:41], off
	;; [unrolled: 2-line block ×3, first 2 shown]
	v_lshlrev_b64 v[18:19], 2, v[18:19]
	v_lshlrev_b64 v[20:21], 2, v[20:21]
	;; [unrolled: 1-line block ×3, first 2 shown]
	v_ashrrev_i32_e32 v25, 31, v24
	v_ashrrev_i32_e32 v27, 31, v26
	v_lshl_add_u64 v[28:29], s[28:29], 0, v[18:19]
	v_lshl_add_u64 v[30:31], s[28:29], 0, v[20:21]
	;; [unrolled: 1-line block ×3, first 2 shown]
	v_lshlrev_b64 v[24:25], 2, v[24:25]
	v_lshlrev_b64 v[26:27], 2, v[26:27]
	v_lshl_add_u64 v[34:35], s[28:29], 0, v[24:25]
	v_lshl_add_u64 v[36:37], s[28:29], 0, v[26:27]
	global_load_dword v28, v[28:29], off
	s_nop 0
	global_load_dword v29, v[30:31], off
	s_nop 0
	global_load_dword v30, v[32:33], off
	global_load_dword v31, v[34:35], off
	s_nop 0
	global_load_dword v32, v[36:37], off
	v_mbcnt_lo_u32_b32 v34, -1, 0
	v_mbcnt_hi_u32_b32 v34, -1, v34
	v_and_b32_e32 v35, 64, v34
	v_add_u32_e32 v35, 64, v35
	v_xor_b32_e32 v36, 32, v34
	v_cmp_lt_i32_e64 s[28:29], v36, v35
	s_mov_b32 s39, 0x3fb8aa3b
	s_waitcnt vmcnt(10)
	v_max3_f32 v33, v1, v44, v45
	v_cndmask_b32_e64 v36, v34, v36, s[28:29]
	s_waitcnt vmcnt(8)
	v_max3_f32 v33, v33, v46, v47
	v_lshlrev_b32_e32 v36, 2, v36
	s_waitcnt vmcnt(6)
	v_max3_f32 v33, v33, v38, v39
	s_waitcnt vmcnt(4)
	v_max3_f32 v33, v33, v40, v28
	;; [unrolled: 2-line block ×4, first 2 shown]
	ds_bpermute_b32 v37, v36, v33
	s_waitcnt lgkmcnt(0)
	v_max_f32_e32 v37, v37, v37
	v_max_f32_e32 v33, v33, v37
	v_xor_b32_e32 v37, 16, v34
	v_cmp_lt_i32_e64 s[28:29], v37, v35
	s_nop 1
	v_cndmask_b32_e64 v37, v34, v37, s[28:29]
	v_lshlrev_b32_e32 v37, 2, v37
	ds_bpermute_b32 v41, v37, v33
	s_waitcnt lgkmcnt(0)
	v_max_f32_e32 v41, v41, v41
	v_max_f32_e32 v33, v33, v41
	v_xor_b32_e32 v41, 8, v34
	v_cmp_lt_i32_e64 s[28:29], v41, v35
	s_nop 1
	v_cndmask_b32_e64 v41, v34, v41, s[28:29]
	v_lshlrev_b32_e32 v41, 2, v41
	ds_bpermute_b32 v42, v41, v33
	s_add_u32 s28, s40, s52
	s_addc_u32 s29, s41, s53
	s_add_u32 s40, s28, s42
	s_addc_u32 s41, s29, s43
	s_waitcnt lgkmcnt(0)
	v_max_f32_e32 v42, v42, v42
	v_max_f32_e32 v33, v33, v42
	v_xor_b32_e32 v42, 4, v34
	v_lshl_add_u64 v[2:3], s[40:41], 0, v[2:3]
	v_cmp_lt_i32_e64 s[28:29], v42, v35
	global_load_dword v43, v[2:3], off
	s_nop 0
	v_cndmask_b32_e64 v2, v34, v42, s[28:29]
	v_lshlrev_b32_e32 v42, 2, v2
	ds_bpermute_b32 v2, v42, v33
	s_waitcnt lgkmcnt(0)
	v_max_f32_e32 v2, v2, v2
	v_max_f32_e32 v33, v33, v2
	v_xor_b32_e32 v2, 2, v34
	v_cmp_lt_i32_e64 s[28:29], v2, v35
	s_nop 1
	v_cndmask_b32_e64 v2, v34, v2, s[28:29]
	v_lshlrev_b32_e32 v48, 2, v2
	ds_bpermute_b32 v49, v48, v33
	v_lshl_add_u64 v[2:3], s[40:41], 0, v[4:5]
	global_load_dword v50, v[2:3], off
	v_lshl_add_u64 v[4:5], s[40:41], 0, v[8:9]
	v_lshl_add_u64 v[8:9], s[40:41], 0, v[12:13]
	s_waitcnt lgkmcnt(0)
	v_max_f32_e32 v2, v49, v49
	v_max_f32_e32 v33, v33, v2
	v_xor_b32_e32 v2, 1, v34
	v_cmp_lt_i32_e64 s[28:29], v2, v35
	s_nop 1
	v_cndmask_b32_e64 v2, v34, v2, s[28:29]
	v_lshlrev_b32_e32 v34, 2, v2
	v_lshl_add_u64 v[2:3], s[40:41], 0, v[6:7]
	global_load_dword v12, v[2:3], off
	v_lshl_add_u64 v[6:7], s[40:41], 0, v[10:11]
	v_lshl_add_u64 v[2:3], s[40:41], 0, v[14:15]
	v_lshl_add_u64 v[10:11], s[40:41], 0, v[16:17]
	global_load_dword v13, v[4:5], off
	global_load_dword v14, v[6:7], off
	;; [unrolled: 1-line block ×5, first 2 shown]
	ds_bpermute_b32 v35, v34, v33
	v_lshl_add_u64 v[2:3], s[40:41], 0, v[18:19]
	v_lshl_add_u64 v[4:5], s[40:41], 0, v[20:21]
	;; [unrolled: 1-line block ×4, first 2 shown]
	s_waitcnt lgkmcnt(0)
	v_max_f32_e32 v18, v35, v35
	v_max_f32_e32 v18, v33, v18
	v_sub_f32_e32 v1, v1, v18
	v_mul_f32_e32 v19, 0x3fb8aa3b, v1
	v_fma_f32 v20, v1, s39, -v19
	v_rndne_f32_e32 v21, v19
	v_fmac_f32_e32 v20, 0x32a5705f, v1
	v_sub_f32_e32 v19, v19, v21
	v_lshl_add_u64 v[10:11], s[40:41], 0, v[26:27]
	v_add_f32_e32 v19, v19, v20
	v_cvt_i32_f32_e32 v20, v21
	global_load_dword v21, v[2:3], off
	global_load_dword v22, v[4:5], off
	;; [unrolled: 1-line block ×5, first 2 shown]
	v_sub_f32_e32 v4, v44, v18
	v_mul_f32_e32 v5, 0x3fb8aa3b, v4
	v_fma_f32 v6, v4, s39, -v5
	v_rndne_f32_e32 v7, v5
	v_exp_f32_e32 v19, v19
	v_fmac_f32_e32 v6, 0x32a5705f, v4
	v_sub_f32_e32 v5, v5, v7
	v_add_f32_e32 v5, v5, v6
	v_exp_f32_e32 v5, v5
	v_cvt_i32_f32_e32 v6, v7
	s_mov_b32 s40, 0xc2ce8ed0
	v_ldexp_f32 v2, v19, v20
	v_cmp_ngt_f32_e64 s[28:29], s40, v1
	s_mov_b32 s41, 0x42b17218
	v_mov_b32_e32 v3, 0x7f800000
	v_cndmask_b32_e64 v2, 0, v2, s[28:29]
	v_cmp_nlt_f32_e64 s[28:29], s41, v1
	s_nop 1
	v_cndmask_b32_e64 v1, v3, v2, s[28:29]
	v_ldexp_f32 v2, v5, v6
	v_sub_f32_e32 v5, v45, v18
	v_mul_f32_e32 v6, 0x3fb8aa3b, v5
	v_fma_f32 v7, v5, s39, -v6
	v_rndne_f32_e32 v8, v6
	v_fmac_f32_e32 v7, 0x32a5705f, v5
	v_sub_f32_e32 v6, v6, v8
	v_add_f32_e32 v6, v6, v7
	v_exp_f32_e32 v6, v6
	v_cvt_i32_f32_e32 v7, v8
	v_cndmask_b32_e64 v1, 0, v1, s[26:27]
	v_cmp_ngt_f32_e64 s[26:27], s40, v4
	s_waitcnt vmcnt(12)
	v_mul_f32_e32 v1, v43, v1
	v_cndmask_b32_e64 v2, 0, v2, s[26:27]
	v_cmp_nlt_f32_e64 s[26:27], s41, v4
	v_ldexp_f32 v4, v6, v7
	v_sub_f32_e32 v6, v46, v18
	v_mul_f32_e32 v7, 0x3fb8aa3b, v6
	v_fma_f32 v8, v6, s39, -v7
	v_rndne_f32_e32 v9, v7
	v_fmac_f32_e32 v8, 0x32a5705f, v6
	v_sub_f32_e32 v7, v7, v9
	v_add_f32_e32 v7, v7, v8
	v_exp_f32_e32 v7, v7
	v_cvt_i32_f32_e32 v8, v9
	v_cndmask_b32_e64 v2, v3, v2, s[26:27]
	v_cndmask_b32_e64 v2, 0, v2, s[24:25]
	v_cmp_ngt_f32_e64 s[24:25], s40, v5
	s_waitcnt vmcnt(11)
	v_mul_f32_e32 v2, v50, v2
	v_cndmask_b32_e64 v4, 0, v4, s[24:25]
	v_cmp_nlt_f32_e64 s[24:25], s41, v5
	v_ldexp_f32 v5, v7, v8
	v_sub_f32_e32 v7, v47, v18
	v_mul_f32_e32 v8, 0x3fb8aa3b, v7
	v_fma_f32 v9, v7, s39, -v8
	v_rndne_f32_e32 v10, v8
	v_fmac_f32_e32 v9, 0x32a5705f, v7
	v_sub_f32_e32 v8, v8, v10
	v_add_f32_e32 v8, v8, v9
	v_exp_f32_e32 v8, v8
	v_cvt_i32_f32_e32 v9, v10
	v_cndmask_b32_e64 v4, v3, v4, s[24:25]
	;; [unrolled: 17-line block ×9, first 2 shown]
	v_cndmask_b32_e64 v11, 0, v11, s[8:9]
	v_cmp_ngt_f32_e64 s[8:9], s40, v13
	s_waitcnt vmcnt(3)
	v_mul_f32_e32 v11, v22, v11
	v_cndmask_b32_e64 v12, 0, v12, s[8:9]
	v_cmp_nlt_f32_e64 s[8:9], s41, v13
	v_ldexp_f32 v13, v15, v16
	v_sub_f32_e32 v15, v32, v18
	v_mul_f32_e32 v16, 0x3fb8aa3b, v15
	v_fma_f32 v17, v15, s39, -v16
	v_rndne_f32_e32 v18, v16
	v_fmac_f32_e32 v17, 0x32a5705f, v15
	v_sub_f32_e32 v16, v16, v18
	v_add_f32_e32 v16, v16, v17
	v_cndmask_b32_e64 v12, v3, v12, s[8:9]
	v_exp_f32_e32 v16, v16
	v_cvt_i32_f32_e32 v17, v18
	v_cndmask_b32_e64 v12, 0, v12, s[6:7]
	v_cmp_ngt_f32_e64 s[6:7], s40, v14
	s_waitcnt vmcnt(2)
	v_mul_f32_e32 v12, v23, v12
	v_cndmask_b32_e64 v13, 0, v13, s[6:7]
	v_cmp_nlt_f32_e64 s[6:7], s41, v14
	v_ldexp_f32 v14, v16, v17
	v_lshlrev_b32_e32 v16, 2, v0
	v_cndmask_b32_e64 v13, v3, v13, s[6:7]
	v_cndmask_b32_e64 v13, 0, v13, s[4:5]
	v_cmp_ngt_f32_e64 s[4:5], s40, v15
	ds_write2st64_b32 v16, v1, v2 offset1:1
	ds_write2st64_b32 v16, v4, v5 offset0:2 offset1:3
	ds_write2st64_b32 v16, v6, v7 offset0:4 offset1:5
	;; [unrolled: 1-line block ×3, first 2 shown]
	v_cndmask_b32_e64 v14, 0, v14, s[4:5]
	v_cmp_nlt_f32_e64 s[4:5], s41, v15
	s_nop 1
	v_cndmask_b32_e64 v3, v3, v14, s[4:5]
	v_add_f32_e32 v14, v1, v2
	v_add_f32_e32 v14, v14, v4
	;; [unrolled: 1-line block ×10, first 2 shown]
	v_cndmask_b32_e32 v3, 0, v3, vcc
	s_waitcnt vmcnt(1)
	v_fmac_f32_e32 v14, v24, v13
	s_waitcnt vmcnt(0)
	v_fmac_f32_e32 v14, v25, v3
	ds_bpermute_b32 v15, v36, v14
	v_cmp_eq_u32_e32 vcc, 0, v0
	v_mul_f32_e32 v13, v24, v13
	v_mul_f32_e32 v3, v25, v3
	ds_write2st64_b32 v16, v10, v11 offset0:8 offset1:9
	ds_write2st64_b32 v16, v12, v13 offset0:10 offset1:11
	ds_write_b32 v16, v3 offset:3072
	s_waitcnt lgkmcnt(3)
	v_add_f32_e32 v14, v14, v15
	ds_bpermute_b32 v15, v37, v14
	s_waitcnt lgkmcnt(0)
	v_add_f32_e32 v14, v14, v15
	ds_bpermute_b32 v15, v41, v14
	;; [unrolled: 3-line block ×5, first 2 shown]
	s_and_saveexec_b64 s[4:5], vcc
	s_cbranch_execz .LBB280_8
; %bb.7:
	s_waitcnt lgkmcnt(0)
	v_add_f32_e32 v1, v1, v2
	v_mov_b32_e32 v2, 0
	ds_write_b32 v2, v1 offset:3328
.LBB280_8:
	s_or_b64 exec, exec, s[4:5]
	v_mov_b32_e32 v1, s38
.LBB280_9:
	s_or_b64 exec, exec, s[48:49]
	s_lshl_b32 s4, s50, 7
	s_mov_b32 s5, 0
	s_lshl_b64 s[4:5], s[4:5], 1
	s_add_u32 s4, s36, s4
	s_addc_u32 s5, s37, s5
	s_lshl_b32 s10, s33, 7
	s_add_i32 s11, s10, 0xffffff80
	s_waitcnt lgkmcnt(0)
	v_lshlrev_b32_e32 v2, 7, v1
	v_mov_b32_e32 v3, 0
	s_cmp_lt_i32 s54, 1
	v_lshl_add_u64 v[4:5], v[2:3], 1, s[4:5]
	s_cselect_b32 s4, s11, 0
	v_lshlrev_b32_e32 v2, 1, v0
	s_ashr_i32 s5, s4, 31
	v_lshl_add_u64 v[0:1], v[4:5], 0, v[2:3]
	s_cmpk_lt_i32 s54, 0x101
	v_lshl_add_u64 v[12:13], s[4:5], 1, v[0:1]
	s_cselect_b32 s4, s11, 0x80
	s_ashr_i32 s5, s4, 31
	s_cmpk_lt_i32 s54, 0x201
	v_lshl_add_u64 v[14:15], s[4:5], 1, v[0:1]
	s_cselect_b32 s4, s11, 0x100
	s_ashr_i32 s5, s4, 31
	;; [unrolled: 4-line block ×8, first 2 shown]
	s_cmpk_lt_i32 s54, 0x901
	global_load_ushort v4, v[12:13], off
	global_load_ushort v5, v[14:15], off
	;; [unrolled: 1-line block ×8, first 2 shown]
	v_lshl_add_u64 v[20:21], s[4:5], 1, v[0:1]
	s_cselect_b32 s4, s11, 0x480
	s_ashr_i32 s5, s4, 31
	s_cmpk_lt_i32 s54, 0xa01
	v_lshl_add_u64 v[22:23], s[4:5], 1, v[0:1]
	s_cselect_b32 s4, s11, 0x500
	s_ashr_i32 s5, s4, 31
	s_cmpk_lt_i32 s54, 0xb01
	;; [unrolled: 4-line block ×6, first 2 shown]
	v_lshl_add_u64 v[32:33], s[4:5], 1, v[0:1]
	s_cselect_b32 s4, s11, 0x780
	s_ashr_i32 s5, s4, 31
	v_lshl_add_u64 v[34:35], s[4:5], 1, v[0:1]
	global_load_ushort v12, v[20:21], off
	global_load_ushort v13, v[22:23], off
	;; [unrolled: 1-line block ×8, first 2 shown]
	s_cmpk_gt_i32 s54, 0x1000
	s_cselect_b64 s[8:9], -1, 0
	s_cmpk_lt_i32 s54, 0x1001
	v_mov_b32_e32 v36, 0
	v_mov_b32_e32 v37, 0
	;; [unrolled: 1-line block ×48, first 2 shown]
	s_barrier
	s_cbranch_scc1 .LBB280_12
; %bb.10:
	s_cmpk_lt_u32 s54, 0x1101
	s_cselect_b32 s4, s11, 0x880
	s_ashr_i32 s5, s4, 31
	s_cmpk_lt_u32 s54, 0x1201
	v_lshl_add_u64 v[30:31], s[4:5], 1, v[0:1]
	s_cselect_b32 s4, s11, 0x900
	s_ashr_i32 s5, s4, 31
	s_cmpk_lt_u32 s54, 0x1301
	v_lshl_add_u64 v[32:33], s[4:5], 1, v[0:1]
	;; [unrolled: 4-line block ×7, first 2 shown]
	s_cselect_b32 s4, s11, 0xc00
	v_add_co_u32_e32 v28, vcc, 0x1000, v0
	s_ashr_i32 s5, s4, 31
	s_nop 0
	v_addc_co_u32_e32 v29, vcc, 0, v1, vcc
	s_cmpk_lt_u32 s54, 0x1901
	global_load_ushort v27, v[28:29], off
	global_load_ushort v26, v[30:31], off
	;; [unrolled: 1-line block ×8, first 2 shown]
	v_lshl_add_u64 v[36:37], s[4:5], 1, v[0:1]
	s_cselect_b32 s4, s11, 0xc80
	s_ashr_i32 s5, s4, 31
	s_cmpk_lt_u32 s54, 0x1a01
	v_lshl_add_u64 v[38:39], s[4:5], 1, v[0:1]
	s_cselect_b32 s4, s11, 0xd00
	s_ashr_i32 s5, s4, 31
	s_cmpk_lt_u32 s54, 0x1b01
	;; [unrolled: 4-line block ×6, first 2 shown]
	v_lshl_add_u64 v[48:49], s[4:5], 1, v[0:1]
	s_cselect_b32 s4, s11, 0xf80
	s_ashr_i32 s5, s4, 31
	v_lshl_add_u64 v[50:51], s[4:5], 1, v[0:1]
	global_load_ushort v35, v[36:37], off
	global_load_ushort v34, v[38:39], off
	;; [unrolled: 1-line block ×8, first 2 shown]
	s_cmpk_lt_u32 s54, 0x2001
	v_mov_b32_e32 v67, 0
	v_mov_b32_e32 v66, 0
	;; [unrolled: 1-line block ×32, first 2 shown]
	s_cbranch_scc1 .LBB280_12
; %bb.11:
	s_cmpk_lt_u32 s54, 0x2101
	s_cselect_b32 s4, s11, 0x1080
	s_ashr_i32 s5, s4, 31
	s_cmpk_lt_u32 s54, 0x2201
	v_lshl_add_u64 v[38:39], s[4:5], 1, v[0:1]
	s_cselect_b32 s4, s11, 0x1100
	s_ashr_i32 s5, s4, 31
	s_cmpk_lt_u32 s54, 0x2301
	v_lshl_add_u64 v[40:41], s[4:5], 1, v[0:1]
	;; [unrolled: 4-line block ×7, first 2 shown]
	s_cselect_b32 s4, s11, 0x1400
	v_add_co_u32_e32 v36, vcc, 0x2000, v0
	s_ashr_i32 s5, s4, 31
	s_nop 0
	v_addc_co_u32_e32 v37, vcc, 0, v1, vcc
	s_cmpk_lt_u32 s54, 0x2901
	global_load_ushort v52, v[36:37], off
	global_load_ushort v53, v[38:39], off
	;; [unrolled: 1-line block ×8, first 2 shown]
	v_lshl_add_u64 v[36:37], s[4:5], 1, v[0:1]
	s_cselect_b32 s4, s11, 0x1480
	s_ashr_i32 s5, s4, 31
	s_cmpk_lt_u32 s54, 0x2a01
	v_lshl_add_u64 v[38:39], s[4:5], 1, v[0:1]
	s_cselect_b32 s4, s11, 0x1500
	s_ashr_i32 s5, s4, 31
	s_cmpk_lt_u32 s54, 0x2b01
	;; [unrolled: 4-line block ×8, first 2 shown]
	global_load_ushort v68, v[36:37], off
	global_load_ushort v69, v[38:39], off
	;; [unrolled: 1-line block ×8, first 2 shown]
	v_lshl_add_u64 v[36:37], s[4:5], 1, v[0:1]
	s_cselect_b32 s4, s11, 0x1880
	s_ashr_i32 s5, s4, 31
	s_cmpk_lt_u32 s54, 0x3201
	v_lshl_add_u64 v[38:39], s[4:5], 1, v[0:1]
	s_cselect_b32 s4, s11, 0x1900
	s_ashr_i32 s5, s4, 31
	s_cmpk_lt_u32 s54, 0x3301
	;; [unrolled: 4-line block ×8, first 2 shown]
	global_load_ushort v76, v[36:37], off
	global_load_ushort v77, v[38:39], off
	;; [unrolled: 1-line block ×8, first 2 shown]
	v_lshl_add_u64 v[36:37], s[4:5], 1, v[0:1]
	s_cselect_b32 s4, s11, 0x1c80
	s_ashr_i32 s5, s4, 31
	s_cmpk_lt_u32 s54, 0x3a01
	v_lshl_add_u64 v[38:39], s[4:5], 1, v[0:1]
	s_cselect_b32 s4, s11, 0x1d00
	s_ashr_i32 s5, s4, 31
	s_cmpk_lt_u32 s54, 0x3b01
	v_lshl_add_u64 v[40:41], s[4:5], 1, v[0:1]
	s_cselect_b32 s4, s11, 0x1d80
	s_ashr_i32 s5, s4, 31
	s_cmpk_lt_u32 s54, 0x3c01
	v_lshl_add_u64 v[42:43], s[4:5], 1, v[0:1]
	s_cselect_b32 s4, s11, 0x1e00
	s_ashr_i32 s5, s4, 31
	s_cmpk_lt_u32 s54, 0x3d01
	v_lshl_add_u64 v[44:45], s[4:5], 1, v[0:1]
	s_cselect_b32 s4, s11, 0x1e80
	s_ashr_i32 s5, s4, 31
	s_cmpk_lt_u32 s54, 0x3e01
	v_lshl_add_u64 v[46:47], s[4:5], 1, v[0:1]
	s_cselect_b32 s4, s11, 0x1f00
	s_ashr_i32 s5, s4, 31
	s_cmpk_lt_u32 s54, 0x3f01
	v_lshl_add_u64 v[48:49], s[4:5], 1, v[0:1]
	s_cselect_b32 s4, s11, 0x1f80
	s_ashr_i32 s5, s4, 31
	v_lshl_add_u64 v[50:51], s[4:5], 1, v[0:1]
	global_load_ushort v84, v[36:37], off
	global_load_ushort v85, v[38:39], off
	;; [unrolled: 1-line block ×8, first 2 shown]
	s_waitcnt vmcnt(31)
	v_cvt_f32_f16_e32 v67, v52
	s_waitcnt vmcnt(30)
	v_cvt_f32_f16_e32 v66, v53
	;; [unrolled: 2-line block ×32, first 2 shown]
.LBB280_12:
	ds_read_b128 v[68:71], v3
	s_load_dwordx2 s[4:5], s[0:1], 0x0
	s_load_dwordx2 s[6:7], s[0:1], 0x38
	ds_read_b128 v[72:75], v3 offset:16
	ds_read_b128 v[76:79], v3 offset:32
	;; [unrolled: 1-line block ×3, first 2 shown]
	s_and_b64 vcc, exec, s[8:9]
	s_waitcnt vmcnt(15) lgkmcnt(0)
	v_fma_mix_f32 v4, v68, v4, 0 op_sel_hi:[0,1,0]
	s_waitcnt vmcnt(14)
	v_fma_mix_f32 v4, v69, v5, v4 op_sel_hi:[0,1,0]
	s_waitcnt vmcnt(13)
	;; [unrolled: 2-line block ×15, first 2 shown]
	v_fma_mix_f32 v4, v83, v19, v4 op_sel_hi:[0,1,0]
	s_cbranch_vccz .LBB280_15
; %bb.13:
	ds_read_b128 v[6:9], v3 offset:64
	ds_read_b128 v[10:13], v3 offset:80
	;; [unrolled: 1-line block ×4, first 2 shown]
	s_cmpk_lt_u32 s54, 0x2001
	s_waitcnt lgkmcnt(3)
	v_fma_mix_f32 v3, v6, v27, v4 op_sel_hi:[0,1,0]
	v_fma_mix_f32 v3, v7, v26, v3 op_sel_hi:[0,1,0]
	v_fma_mix_f32 v3, v8, v25, v3 op_sel_hi:[0,1,0]
	v_fma_mix_f32 v3, v9, v24, v3 op_sel_hi:[0,1,0]
	s_waitcnt lgkmcnt(2)
	v_fma_mix_f32 v3, v10, v23, v3 op_sel_hi:[0,1,0]
	v_fma_mix_f32 v3, v11, v22, v3 op_sel_hi:[0,1,0]
	v_fma_mix_f32 v3, v12, v21, v3 op_sel_hi:[0,1,0]
	v_fma_mix_f32 v3, v13, v20, v3 op_sel_hi:[0,1,0]
	s_waitcnt lgkmcnt(1)
	v_fma_mix_f32 v3, v14, v35, v3 op_sel_hi:[0,1,0]
	v_fma_mix_f32 v3, v15, v34, v3 op_sel_hi:[0,1,0]
	v_fma_mix_f32 v3, v16, v33, v3 op_sel_hi:[0,1,0]
	v_fma_mix_f32 v3, v17, v32, v3 op_sel_hi:[0,1,0]
	s_waitcnt lgkmcnt(0)
	v_fma_mix_f32 v3, v68, v31, v3 op_sel_hi:[0,1,0]
	v_fma_mix_f32 v3, v69, v30, v3 op_sel_hi:[0,1,0]
	v_fma_mix_f32 v3, v70, v29, v3 op_sel_hi:[0,1,0]
	v_fma_mix_f32 v4, v71, v28, v3 op_sel_hi:[0,1,0]
	s_cbranch_scc1 .LBB280_15
; %bb.14:
	v_mov_b32_e32 v3, 0
	ds_read_b128 v[6:9], v3 offset:128
	ds_read_b128 v[10:13], v3 offset:144
	;; [unrolled: 1-line block ×4, first 2 shown]
	s_waitcnt lgkmcnt(3)
	v_fmac_f32_e32 v4, v6, v67
	v_fmac_f32_e32 v4, v7, v66
	v_fmac_f32_e32 v4, v8, v65
	v_fmac_f32_e32 v4, v9, v64
	s_waitcnt lgkmcnt(2)
	v_fmac_f32_e32 v4, v10, v63
	v_fmac_f32_e32 v4, v11, v62
	v_fmac_f32_e32 v4, v12, v61
	v_fmac_f32_e32 v4, v13, v60
	;; [unrolled: 5-line block ×3, first 2 shown]
	ds_read_b128 v[6:9], v3 offset:192
	ds_read_b128 v[10:13], v3 offset:208
	s_waitcnt lgkmcnt(2)
	v_fmac_f32_e32 v4, v18, v55
	v_fmac_f32_e32 v4, v19, v54
	;; [unrolled: 1-line block ×4, first 2 shown]
	s_waitcnt lgkmcnt(1)
	v_fmac_f32_e32 v4, v6, v51
	v_fmac_f32_e32 v4, v7, v50
	;; [unrolled: 1-line block ×4, first 2 shown]
	ds_read_b128 v[6:9], v3 offset:224
	s_waitcnt lgkmcnt(1)
	v_fmac_f32_e32 v4, v10, v47
	v_fmac_f32_e32 v4, v11, v46
	;; [unrolled: 1-line block ×4, first 2 shown]
	ds_read_b128 v[10:13], v3 offset:240
	s_waitcnt lgkmcnt(1)
	v_fmac_f32_e32 v4, v6, v43
	v_fmac_f32_e32 v4, v7, v42
	v_fmac_f32_e32 v4, v8, v41
	v_fmac_f32_e32 v4, v9, v40
	s_waitcnt lgkmcnt(0)
	v_fmac_f32_e32 v4, v10, v39
	v_fmac_f32_e32 v4, v11, v38
	;; [unrolled: 1-line block ×4, first 2 shown]
.LBB280_15:
	s_movk_i32 s0, 0x3f80
	s_movk_i32 s1, 0x100
	s_mov_b32 s8, 64
	s_branch .LBB280_17
.LBB280_16:                             ;   in Loop: Header=BB280_17 Depth=1
	s_addk_i32 s0, 0x2000
	s_addk_i32 s1, 0x100
	s_add_i32 s8, s8, 64
	s_cmp_eq_u32 s0, 0x1bf80
	s_cbranch_scc1 .LBB280_19
.LBB280_17:                             ; =>This Inner Loop Header: Depth=1
	s_cmp_le_i32 s33, s8
	s_cbranch_scc1 .LBB280_16
; %bb.18:                               ;   in Loop: Header=BB280_17 Depth=1
	s_add_i32 s9, s0, 0xffffe080
	s_cmp_lt_i32 s9, s10
	s_cselect_b32 s12, s9, s11
	s_ashr_i32 s13, s12, 31
	s_add_i32 s9, s0, 0xffffe100
	s_cmp_lt_i32 s9, s10
	v_lshl_add_u64 v[12:13], s[12:13], 1, v[0:1]
	s_cselect_b32 s12, s9, s11
	s_ashr_i32 s13, s12, 31
	s_add_i32 s9, s0, 0xffffe180
	s_cmp_lt_i32 s9, s10
	v_lshl_add_u64 v[14:15], s[12:13], 1, v[0:1]
	;; [unrolled: 5-line block ×8, first 2 shown]
	s_cselect_b32 s12, s9, s11
	s_ashr_i32 s13, s12, 31
	s_add_i32 s9, s0, 0xffffe500
	s_cmp_lt_i32 s9, s10
	global_load_ushort v3, v[12:13], off
	global_load_ushort v5, v[14:15], off
	global_load_ushort v6, v[16:17], off
	global_load_ushort v7, v[18:19], off
	global_load_ushort v8, v[20:21], off
	global_load_ushort v9, v[22:23], off
	global_load_ushort v10, v[24:25], off
	global_load_ushort v11, v[26:27], off
	v_lshl_add_u64 v[12:13], s[12:13], 1, v[0:1]
	s_cselect_b32 s12, s9, s11
	s_ashr_i32 s13, s12, 31
	s_add_i32 s9, s0, 0xffffe580
	s_cmp_lt_i32 s9, s10
	v_lshl_add_u64 v[14:15], s[12:13], 1, v[0:1]
	s_cselect_b32 s12, s9, s11
	s_ashr_i32 s13, s12, 31
	s_add_i32 s9, s0, 0xffffe600
	s_cmp_lt_i32 s9, s10
	v_lshl_add_u64 v[16:17], s[12:13], 1, v[0:1]
	s_cselect_b32 s12, s9, s11
	s_ashr_i32 s13, s12, 31
	s_add_i32 s9, s0, 0xffffe680
	s_cmp_lt_i32 s9, s10
	v_lshl_add_u64 v[18:19], s[12:13], 1, v[0:1]
	s_cselect_b32 s12, s9, s11
	s_ashr_i32 s13, s12, 31
	s_add_i32 s9, s0, 0xffffe700
	s_cmp_lt_i32 s9, s10
	v_lshl_add_u64 v[20:21], s[12:13], 1, v[0:1]
	s_cselect_b32 s12, s9, s11
	s_ashr_i32 s13, s12, 31
	s_add_i32 s9, s0, 0xffffe780
	s_cmp_lt_i32 s9, s10
	v_lshl_add_u64 v[22:23], s[12:13], 1, v[0:1]
	s_cselect_b32 s12, s9, s11
	s_ashr_i32 s13, s12, 31
	s_add_i32 s9, s0, 0xffffe800
	s_cmp_lt_i32 s9, s10
	v_lshl_add_u64 v[24:25], s[12:13], 1, v[0:1]
	s_cselect_b32 s12, s9, s11
	s_ashr_i32 s13, s12, 31
	s_add_i32 s9, s0, 0xffffe880
	s_cmp_lt_i32 s9, s10
	v_lshl_add_u64 v[26:27], s[12:13], 1, v[0:1]
	s_cselect_b32 s12, s9, s11
	s_ashr_i32 s13, s12, 31
	s_add_i32 s9, s0, 0xffffe900
	s_cmp_lt_i32 s9, s10
	global_load_ushort v28, v[12:13], off
	global_load_ushort v29, v[14:15], off
	global_load_ushort v30, v[16:17], off
	global_load_ushort v31, v[18:19], off
	global_load_ushort v32, v[20:21], off
	global_load_ushort v33, v[22:23], off
	global_load_ushort v34, v[24:25], off
	global_load_ushort v35, v[26:27], off
	v_lshl_add_u64 v[12:13], s[12:13], 1, v[0:1]
	s_cselect_b32 s12, s9, s11
	s_ashr_i32 s13, s12, 31
	s_add_i32 s9, s0, 0xffffe980
	s_cmp_lt_i32 s9, s10
	v_lshl_add_u64 v[14:15], s[12:13], 1, v[0:1]
	s_cselect_b32 s12, s9, s11
	s_ashr_i32 s13, s12, 31
	s_add_i32 s9, s0, 0xffffea00
	s_cmp_lt_i32 s9, s10
	v_lshl_add_u64 v[16:17], s[12:13], 1, v[0:1]
	s_cselect_b32 s12, s9, s11
	s_ashr_i32 s13, s12, 31
	s_add_i32 s9, s0, 0xffffea80
	s_cmp_lt_i32 s9, s10
	v_lshl_add_u64 v[18:19], s[12:13], 1, v[0:1]
	s_cselect_b32 s12, s9, s11
	s_ashr_i32 s13, s12, 31
	s_add_i32 s9, s0, 0xffffeb00
	s_cmp_lt_i32 s9, s10
	v_lshl_add_u64 v[20:21], s[12:13], 1, v[0:1]
	s_cselect_b32 s12, s9, s11
	s_ashr_i32 s13, s12, 31
	s_add_i32 s9, s0, 0xffffeb80
	s_cmp_lt_i32 s9, s10
	v_lshl_add_u64 v[22:23], s[12:13], 1, v[0:1]
	s_cselect_b32 s12, s9, s11
	s_ashr_i32 s13, s12, 31
	s_add_i32 s9, s0, 0xffffec00
	s_cmp_lt_i32 s9, s10
	v_lshl_add_u64 v[24:25], s[12:13], 1, v[0:1]
	s_cselect_b32 s12, s9, s11
	s_ashr_i32 s13, s12, 31
	s_add_i32 s9, s0, 0xffffec80
	s_cmp_lt_i32 s9, s10
	v_lshl_add_u64 v[26:27], s[12:13], 1, v[0:1]
	;; [unrolled: 48-line block ×6, first 2 shown]
	s_cselect_b32 s12, s9, s11
	s_ashr_i32 s13, s12, 31
	s_add_i32 s9, s0, 0xfffffd00
	s_cmp_lt_i32 s9, s10
	global_load_ushort v68, v[12:13], off
	global_load_ushort v69, v[14:15], off
	;; [unrolled: 1-line block ×8, first 2 shown]
	v_lshl_add_u64 v[12:13], s[12:13], 1, v[0:1]
	s_cselect_b32 s12, s9, s11
	s_ashr_i32 s13, s12, 31
	s_add_i32 s9, s0, 0xfffffd80
	s_cmp_lt_i32 s9, s10
	v_lshl_add_u64 v[14:15], s[12:13], 1, v[0:1]
	s_cselect_b32 s12, s9, s11
	s_ashr_i32 s13, s12, 31
	s_add_i32 s9, s0, 0xfffffe00
	s_cmp_lt_i32 s9, s10
	;; [unrolled: 5-line block ×5, first 2 shown]
	v_lshl_add_u64 v[22:23], s[12:13], 1, v[0:1]
	s_cselect_b32 s12, s9, s11
	s_ashr_i32 s13, s12, 31
	s_cmp_lt_i32 s0, s10
	v_lshl_add_u64 v[24:25], s[12:13], 1, v[0:1]
	s_cselect_b32 s12, s0, s11
	s_ashr_i32 s13, s12, 31
	v_lshl_add_u64 v[26:27], s[12:13], 1, v[0:1]
	global_load_ushort v76, v[12:13], off
	global_load_ushort v77, v[14:15], off
	;; [unrolled: 1-line block ×8, first 2 shown]
	v_mov_b32_e32 v84, s1
	ds_read_b128 v[12:15], v84
	ds_read_b128 v[16:19], v84 offset:16
	ds_read_b128 v[20:23], v84 offset:32
	ds_read_b128 v[24:27], v84 offset:48
	s_waitcnt vmcnt(62) lgkmcnt(3)
	v_fma_mix_f32 v3, v12, v3, v4 op_sel_hi:[0,1,0]
	v_fma_mix_f32 v3, v13, v5, v3 op_sel_hi:[0,1,0]
	s_waitcnt vmcnt(61)
	v_fma_mix_f32 v3, v14, v6, v3 op_sel_hi:[0,1,0]
	s_waitcnt vmcnt(60)
	v_fma_mix_f32 v3, v15, v7, v3 op_sel_hi:[0,1,0]
	s_waitcnt vmcnt(59) lgkmcnt(2)
	v_fma_mix_f32 v3, v16, v8, v3 op_sel_hi:[0,1,0]
	s_waitcnt vmcnt(58)
	v_fma_mix_f32 v3, v17, v9, v3 op_sel_hi:[0,1,0]
	s_waitcnt vmcnt(57)
	;; [unrolled: 2-line block ×3, first 2 shown]
	v_fma_mix_f32 v3, v19, v11, v3 op_sel_hi:[0,1,0]
	s_waitcnt vmcnt(55) lgkmcnt(1)
	v_fma_mix_f32 v3, v20, v28, v3 op_sel_hi:[0,1,0]
	s_waitcnt vmcnt(54)
	v_fma_mix_f32 v3, v21, v29, v3 op_sel_hi:[0,1,0]
	s_waitcnt vmcnt(53)
	;; [unrolled: 2-line block ×3, first 2 shown]
	v_fma_mix_f32 v3, v23, v31, v3 op_sel_hi:[0,1,0]
	ds_read_b128 v[4:7], v84 offset:64
	ds_read_b128 v[8:11], v84 offset:80
	s_waitcnt vmcnt(51) lgkmcnt(2)
	v_fma_mix_f32 v3, v24, v32, v3 op_sel_hi:[0,1,0]
	s_waitcnt vmcnt(50)
	v_fma_mix_f32 v3, v25, v33, v3 op_sel_hi:[0,1,0]
	s_waitcnt vmcnt(49)
	;; [unrolled: 2-line block ×3, first 2 shown]
	v_fma_mix_f32 v3, v27, v35, v3 op_sel_hi:[0,1,0]
	s_waitcnt vmcnt(47) lgkmcnt(1)
	v_fma_mix_f32 v3, v4, v36, v3 op_sel_hi:[0,1,0]
	s_waitcnt vmcnt(46)
	v_fma_mix_f32 v3, v5, v37, v3 op_sel_hi:[0,1,0]
	s_waitcnt vmcnt(45)
	v_fma_mix_f32 v3, v6, v38, v3 op_sel_hi:[0,1,0]
	s_waitcnt vmcnt(44)
	v_fma_mix_f32 v3, v7, v39, v3 op_sel_hi:[0,1,0]
	ds_read_b128 v[4:7], v84 offset:96
	s_waitcnt vmcnt(43) lgkmcnt(1)
	v_fma_mix_f32 v3, v8, v40, v3 op_sel_hi:[0,1,0]
	s_waitcnt vmcnt(42)
	v_fma_mix_f32 v3, v9, v41, v3 op_sel_hi:[0,1,0]
	s_waitcnt vmcnt(41)
	v_fma_mix_f32 v3, v10, v42, v3 op_sel_hi:[0,1,0]
	s_waitcnt vmcnt(40)
	v_fma_mix_f32 v3, v11, v43, v3 op_sel_hi:[0,1,0]
	ds_read_b128 v[8:11], v84 offset:112
	;; [unrolled: 9-line block ×10, first 2 shown]
	s_waitcnt vmcnt(7) lgkmcnt(1)
	v_fma_mix_f32 v3, v4, v76, v3 op_sel_hi:[0,1,0]
	s_waitcnt vmcnt(6)
	v_fma_mix_f32 v3, v5, v77, v3 op_sel_hi:[0,1,0]
	s_waitcnt vmcnt(5)
	;; [unrolled: 2-line block ×3, first 2 shown]
	v_fma_mix_f32 v3, v7, v79, v3 op_sel_hi:[0,1,0]
	s_waitcnt vmcnt(3) lgkmcnt(0)
	v_fma_mix_f32 v3, v8, v80, v3 op_sel_hi:[0,1,0]
	s_waitcnt vmcnt(2)
	v_fma_mix_f32 v3, v9, v81, v3 op_sel_hi:[0,1,0]
	s_waitcnt vmcnt(1)
	;; [unrolled: 2-line block ×3, first 2 shown]
	v_fma_mix_f32 v4, v11, v83, v3 op_sel_hi:[0,1,0]
	s_branch .LBB280_16
.LBB280_19:
	v_mov_b32_e32 v0, 0
	ds_read_b32 v1, v0 offset:3328
	s_cmp_lg_u64 s[6:7], 0
	s_cbranch_scc0 .LBB280_24
; %bb.20:
	s_load_dword s6, s[6:7], 0x0
	s_waitcnt lgkmcnt(0)
	v_div_scale_f32 v0, s[0:1], s6, s6, 1.0
	v_rcp_f32_e32 v3, v0
	v_div_scale_f32 v5, vcc, 1.0, s6, 1.0
	v_fma_f32 v6, -v0, v3, 1.0
	v_fmac_f32_e32 v3, v6, v3
	v_mul_f32_e32 v6, v5, v3
	v_fma_f32 v7, -v0, v6, v5
	v_fmac_f32_e32 v6, v7, v3
	v_fma_f32 v0, -v0, v6, v5
	v_div_fmas_f32 v0, v0, v3, v6
	v_div_fixup_f32 v0, v0, s6, 1.0
	s_andn2_b64 vcc, exec, s[44:45]
	s_cbranch_vccnz .LBB280_22
.LBB280_21:
	s_add_u32 s0, s34, s46
	s_addc_u32 s1, s35, s47
	s_load_dword s30, s[0:1], 0x0
	s_mov_b32 s31, 0
.LBB280_22:
	s_waitcnt lgkmcnt(0)
	v_add_f32_e32 v1, 0x358637bd, v1
	v_div_scale_f32 v3, s[0:1], v1, v1, 1.0
	v_rcp_f32_e32 v5, v3
	v_div_scale_f32 v6, vcc, 1.0, v1, 1.0
	s_mul_i32 s0, s3, s31
	v_fma_f32 v7, -v3, v5, 1.0
	v_fmac_f32_e32 v5, v7, v5
	v_mul_f32_e32 v7, v6, v5
	v_fma_f32 v8, -v3, v7, v6
	s_mul_hi_u32 s1, s3, s30
	v_fmac_f32_e32 v7, v8, v5
	s_add_i32 s1, s1, s0
	s_mul_i32 s0, s3, s30
	v_fma_f32 v3, -v3, v7, v6
	s_lshl_b64 s[0:1], s[0:1], 8
	v_div_fmas_f32 v3, v3, v5, v7
	s_add_u32 s4, s4, s0
	s_mov_b32 s3, 0
	v_div_fixup_f32 v1, v3, v1, 1.0
	s_addc_u32 s5, s5, s1
	s_lshl_b64 s[0:1], s[2:3], 8
	v_mul_f32_e32 v1, v4, v1
	s_add_u32 s0, s4, s0
	s_addc_u32 s1, s5, s1
	v_fma_mixlo_f16 v0, v1, v0, 0
	global_store_short v2, v0, s[0:1]
	s_endpgm
.LBB280_23:
	s_mov_b64 s[6:7], 0
	s_branch .LBB280_2
.LBB280_24:
	v_mov_b32_e32 v0, 1.0
	s_andn2_b64 vcc, exec, s[44:45]
	s_cbranch_vccz .LBB280_21
	s_branch .LBB280_22
	.section	.rodata,"a",@progbits
	.p2align	6, 0x0
	.amdhsa_kernel _Z35paged_attention_ll4mi_reduce_kernelIDF16_DF16_Li128ELi128ELi256ELi13EEvPT0_PKfS3_PKT_PKiS8_iS3_
		.amdhsa_group_segment_fixed_size 3332
		.amdhsa_private_segment_fixed_size 0
		.amdhsa_kernarg_size 320
		.amdhsa_user_sgpr_count 2
		.amdhsa_user_sgpr_dispatch_ptr 0
		.amdhsa_user_sgpr_queue_ptr 0
		.amdhsa_user_sgpr_kernarg_segment_ptr 1
		.amdhsa_user_sgpr_dispatch_id 0
		.amdhsa_user_sgpr_kernarg_preload_length 0
		.amdhsa_user_sgpr_kernarg_preload_offset 0
		.amdhsa_user_sgpr_private_segment_size 0
		.amdhsa_uses_dynamic_stack 0
		.amdhsa_enable_private_segment 0
		.amdhsa_system_sgpr_workgroup_id_x 1
		.amdhsa_system_sgpr_workgroup_id_y 1
		.amdhsa_system_sgpr_workgroup_id_z 0
		.amdhsa_system_sgpr_workgroup_info 0
		.amdhsa_system_vgpr_workitem_id 0
		.amdhsa_next_free_vgpr 92
		.amdhsa_next_free_sgpr 55
		.amdhsa_accum_offset 92
		.amdhsa_reserve_vcc 1
		.amdhsa_float_round_mode_32 0
		.amdhsa_float_round_mode_16_64 0
		.amdhsa_float_denorm_mode_32 3
		.amdhsa_float_denorm_mode_16_64 3
		.amdhsa_dx10_clamp 1
		.amdhsa_ieee_mode 1
		.amdhsa_fp16_overflow 0
		.amdhsa_tg_split 0
		.amdhsa_exception_fp_ieee_invalid_op 0
		.amdhsa_exception_fp_denorm_src 0
		.amdhsa_exception_fp_ieee_div_zero 0
		.amdhsa_exception_fp_ieee_overflow 0
		.amdhsa_exception_fp_ieee_underflow 0
		.amdhsa_exception_fp_ieee_inexact 0
		.amdhsa_exception_int_div_zero 0
	.end_amdhsa_kernel
	.section	.text._Z35paged_attention_ll4mi_reduce_kernelIDF16_DF16_Li128ELi128ELi256ELi13EEvPT0_PKfS3_PKT_PKiS8_iS3_,"axG",@progbits,_Z35paged_attention_ll4mi_reduce_kernelIDF16_DF16_Li128ELi128ELi256ELi13EEvPT0_PKfS3_PKT_PKiS8_iS3_,comdat
.Lfunc_end280:
	.size	_Z35paged_attention_ll4mi_reduce_kernelIDF16_DF16_Li128ELi128ELi256ELi13EEvPT0_PKfS3_PKT_PKiS8_iS3_, .Lfunc_end280-_Z35paged_attention_ll4mi_reduce_kernelIDF16_DF16_Li128ELi128ELi256ELi13EEvPT0_PKfS3_PKT_PKiS8_iS3_
                                        ; -- End function
	.section	.AMDGPU.csdata,"",@progbits
; Kernel info:
; codeLenInByte = 10120
; NumSgprs: 61
; NumVgprs: 92
; NumAgprs: 0
; TotalNumVgprs: 92
; ScratchSize: 0
; MemoryBound: 0
; FloatMode: 240
; IeeeMode: 1
; LDSByteSize: 3332 bytes/workgroup (compile time only)
; SGPRBlocks: 7
; VGPRBlocks: 11
; NumSGPRsForWavesPerEU: 61
; NumVGPRsForWavesPerEU: 92
; AccumOffset: 92
; Occupancy: 5
; WaveLimiterHint : 1
; COMPUTE_PGM_RSRC2:SCRATCH_EN: 0
; COMPUTE_PGM_RSRC2:USER_SGPR: 2
; COMPUTE_PGM_RSRC2:TRAP_HANDLER: 0
; COMPUTE_PGM_RSRC2:TGID_X_EN: 1
; COMPUTE_PGM_RSRC2:TGID_Y_EN: 1
; COMPUTE_PGM_RSRC2:TGID_Z_EN: 0
; COMPUTE_PGM_RSRC2:TIDIG_COMP_CNT: 0
; COMPUTE_PGM_RSRC3_GFX90A:ACCUM_OFFSET: 22
; COMPUTE_PGM_RSRC3_GFX90A:TG_SPLIT: 0
	.section	.text._Z35paged_attention_ll4mi_reduce_kernelIDF16_DF16_Li128ELi128ELi256ELi14EEvPT0_PKfS3_PKT_PKiS8_iS3_,"axG",@progbits,_Z35paged_attention_ll4mi_reduce_kernelIDF16_DF16_Li128ELi128ELi256ELi14EEvPT0_PKfS3_PKT_PKiS8_iS3_,comdat
	.protected	_Z35paged_attention_ll4mi_reduce_kernelIDF16_DF16_Li128ELi128ELi256ELi14EEvPT0_PKfS3_PKT_PKiS8_iS3_ ; -- Begin function _Z35paged_attention_ll4mi_reduce_kernelIDF16_DF16_Li128ELi128ELi256ELi14EEvPT0_PKfS3_PKT_PKiS8_iS3_
	.globl	_Z35paged_attention_ll4mi_reduce_kernelIDF16_DF16_Li128ELi128ELi256ELi14EEvPT0_PKfS3_PKT_PKiS8_iS3_
	.p2align	8
	.type	_Z35paged_attention_ll4mi_reduce_kernelIDF16_DF16_Li128ELi128ELi256ELi14EEvPT0_PKfS3_PKT_PKiS8_iS3_,@function
_Z35paged_attention_ll4mi_reduce_kernelIDF16_DF16_Li128ELi128ELi256ELi14EEvPT0_PKfS3_PKT_PKiS8_iS3_: ; @_Z35paged_attention_ll4mi_reduce_kernelIDF16_DF16_Li128ELi128ELi256ELi14EEvPT0_PKfS3_PKT_PKiS8_iS3_
; %bb.0:
	s_load_dwordx2 s[44:45], s[0:1], 0x28
	s_mov_b32 s34, s3
	s_mov_b64 s[4:5], 0
	s_waitcnt lgkmcnt(0)
	s_cmp_lg_u64 s[44:45], 0
	s_cselect_b64 s[46:47], -1, 0
	s_and_b64 vcc, exec, s[46:47]
	s_cbranch_vccz .LBB281_23
; %bb.1:
	s_add_i32 s6, s34, 1
	s_mov_b32 s7, 0
	s_lshl_b64 s[8:9], s[6:7], 2
	s_add_u32 s8, s44, s8
	s_mov_b32 s35, s7
	s_addc_u32 s9, s45, s9
	s_lshl_b64 s[6:7], s[34:35], 2
	s_add_u32 s6, s44, s6
	s_addc_u32 s7, s45, s7
	s_load_dword s3, s[8:9], 0x0
	s_load_dword s10, s[6:7], 0x0
	s_waitcnt lgkmcnt(0)
	s_sub_i32 s3, s3, s10
	s_cmp_eq_u32 s3, 1
	s_cselect_b64 s[6:7], -1, 0
	s_andn2_b64 vcc, exec, s[4:5]
	s_cbranch_vccnz .LBB281_3
.LBB281_2:
	s_mov_b32 s35, 0
	s_mov_b64 s[6:7], -1
.LBB281_3:
	s_andn2_b64 vcc, exec, s[6:7]
	s_cbranch_vccz .LBB281_5
; %bb.4:
	s_endpgm
.LBB281_5:
	s_load_dwordx4 s[36:39], s[0:1], 0x18
	s_load_dword s8, s[0:1], 0x30
	s_lshl_b64 s[48:49], s[34:35], 2
	v_cmp_lt_u32_e32 vcc, 63, v0
	s_waitcnt lgkmcnt(0)
	s_add_u32 s4, s38, s48
	s_addc_u32 s5, s39, s49
	s_load_dword s56, s[4:5], 0x0
	s_load_dword s3, s[0:1], 0x40
	s_mul_i32 s38, s2, s8
	s_mul_i32 s6, s34, s8
	s_waitcnt lgkmcnt(0)
	s_add_i32 s7, s56, 0xff
	s_ashr_i32 s4, s7, 31
	s_lshr_b32 s4, s4, 24
	s_add_i32 s7, s7, s4
	s_and_saveexec_b64 s[4:5], vcc
	s_xor_b64 s[4:5], exec, s[4:5]
	s_or_saveexec_b64 s[50:51], s[4:5]
	s_ashr_i32 s33, s7, 8
	v_mov_b32_e32 v1, s38
	s_mul_i32 s52, s6, s3
	s_xor_b64 exec, exec, s[50:51]
	s_cbranch_execz .LBB281_9
; %bb.6:
	s_add_i32 s4, s33, -1
	v_or_b32_e32 v3, 64, v0
	v_mov_b32_e32 v1, s4
	v_cmp_gt_u32_e64 s[26:27], s33, v3
	s_load_dwordx4 s[40:43], s[0:1], 0x8
	s_mov_b32 s53, 0
	v_cndmask_b32_e64 v4, v1, v3, s[26:27]
	v_or_b32_e32 v3, 0x80, v0
	v_cmp_gt_u32_e64 s[24:25], s33, v3
	s_lshl_b64 s[54:55], s[52:53], 2
	s_mov_b32 s39, s53
	v_cndmask_b32_e64 v6, v1, v3, s[24:25]
	v_or_b32_e32 v3, 0xc0, v0
	v_cmp_gt_u32_e64 s[22:23], s33, v3
	v_cmp_gt_u32_e64 s[28:29], s33, v0
	s_waitcnt lgkmcnt(0)
	s_add_u32 s30, s42, s54
	v_cndmask_b32_e64 v8, v1, v3, s[22:23]
	v_or_b32_e32 v3, 0x100, v0
	v_cmp_gt_u32_e64 s[20:21], s33, v3
	v_cndmask_b32_e64 v2, v1, v0, s[28:29]
	s_addc_u32 s31, s43, s55
	v_cndmask_b32_e64 v10, v1, v3, s[20:21]
	v_or_b32_e32 v3, 0x140, v0
	v_cmp_gt_u32_e64 s[18:19], s33, v3
	s_lshl_b64 s[42:43], s[38:39], 2
	s_add_u32 s30, s30, s42
	v_cndmask_b32_e64 v12, v1, v3, s[18:19]
	v_or_b32_e32 v3, 0x180, v0
	v_cmp_gt_u32_e64 s[16:17], s33, v3
	s_addc_u32 s31, s31, s43
	v_ashrrev_i32_e32 v5, 31, v4
	v_cndmask_b32_e64 v14, v1, v3, s[16:17]
	v_or_b32_e32 v3, 0x1c0, v0
	v_cmp_gt_u32_e64 s[14:15], s33, v3
	v_ashrrev_i32_e32 v15, 31, v14
	v_ashrrev_i32_e32 v7, 31, v6
	v_cndmask_b32_e64 v16, v1, v3, s[14:15]
	v_or_b32_e32 v3, 0x200, v0
	v_cmp_gt_u32_e64 s[12:13], s33, v3
	v_ashrrev_i32_e32 v9, 31, v8
	;; [unrolled: 5-line block ×3, first 2 shown]
	v_lshlrev_b64 v[14:15], 2, v[14:15]
	v_cndmask_b32_e64 v20, v1, v3, s[10:11]
	v_or_b32_e32 v3, 0x280, v0
	v_cmp_gt_u32_e64 s[8:9], s33, v3
	v_ashrrev_i32_e32 v17, 31, v16
	v_lshlrev_b64 v[4:5], 2, v[4:5]
	v_cndmask_b32_e64 v22, v1, v3, s[8:9]
	v_or_b32_e32 v3, 0x2c0, v0
	v_cmp_gt_u32_e64 s[6:7], s33, v3
	v_lshlrev_b64 v[6:7], 2, v[6:7]
	v_lshlrev_b64 v[8:9], 2, v[8:9]
	v_cndmask_b32_e64 v24, v1, v3, s[6:7]
	v_or_b32_e32 v3, 0x300, v0
	v_cmp_gt_u32_e64 s[4:5], s33, v3
	v_lshlrev_b64 v[10:11], 2, v[10:11]
	v_lshlrev_b64 v[12:13], 2, v[12:13]
	v_cndmask_b32_e64 v26, v1, v3, s[4:5]
	v_or_b32_e32 v3, 0x340, v0
	v_cmp_gt_u32_e32 vcc, s33, v3
	v_lshl_add_u64 v[42:43], s[30:31], 0, v[14:15]
	v_lshlrev_b64 v[16:17], 2, v[16:17]
	v_cndmask_b32_e32 v28, v1, v3, vcc
	v_ashrrev_i32_e32 v3, 31, v2
	v_lshlrev_b64 v[2:3], 2, v[2:3]
	v_lshl_add_u64 v[30:31], s[30:31], 0, v[2:3]
	v_lshl_add_u64 v[32:33], s[30:31], 0, v[4:5]
	v_lshl_add_u64 v[34:35], s[30:31], 0, v[6:7]
	v_lshl_add_u64 v[36:37], s[30:31], 0, v[8:9]
	v_lshl_add_u64 v[38:39], s[30:31], 0, v[10:11]
	v_lshl_add_u64 v[40:41], s[30:31], 0, v[12:13]
	v_lshl_add_u64 v[44:45], s[30:31], 0, v[16:17]
	global_load_dword v1, v[30:31], off
	global_load_dword v46, v[32:33], off
	;; [unrolled: 1-line block ×6, first 2 shown]
	s_nop 0
	global_load_dword v42, v[42:43], off
	s_nop 0
	global_load_dword v43, v[44:45], off
	v_ashrrev_i32_e32 v19, 31, v18
	v_ashrrev_i32_e32 v21, 31, v20
	;; [unrolled: 1-line block ×3, first 2 shown]
	v_lshlrev_b64 v[18:19], 2, v[18:19]
	v_lshlrev_b64 v[20:21], 2, v[20:21]
	;; [unrolled: 1-line block ×3, first 2 shown]
	v_ashrrev_i32_e32 v25, 31, v24
	v_ashrrev_i32_e32 v27, 31, v26
	;; [unrolled: 1-line block ×3, first 2 shown]
	v_lshl_add_u64 v[30:31], s[30:31], 0, v[18:19]
	v_lshl_add_u64 v[32:33], s[30:31], 0, v[20:21]
	;; [unrolled: 1-line block ×3, first 2 shown]
	v_lshlrev_b64 v[24:25], 2, v[24:25]
	v_lshlrev_b64 v[26:27], 2, v[26:27]
	;; [unrolled: 1-line block ×3, first 2 shown]
	v_lshl_add_u64 v[36:37], s[30:31], 0, v[24:25]
	v_lshl_add_u64 v[38:39], s[30:31], 0, v[26:27]
	;; [unrolled: 1-line block ×3, first 2 shown]
	global_load_dword v30, v[30:31], off
	s_nop 0
	global_load_dword v31, v[32:33], off
	s_nop 0
	global_load_dword v32, v[34:35], off
	global_load_dword v33, v[36:37], off
	s_nop 0
	global_load_dword v34, v[38:39], off
	global_load_dword v35, v[40:41], off
	s_mov_b32 s39, 0x3fb8aa3b
	s_waitcnt vmcnt(13)
	v_max_f32_e32 v37, v1, v1
	s_waitcnt vmcnt(12)
	v_max_f32_e32 v36, v46, v46
	v_max_f32_e32 v36, v37, v36
	v_mbcnt_lo_u32_b32 v37, -1, 0
	s_waitcnt vmcnt(10)
	v_max3_f32 v36, v36, v47, v48
	v_mbcnt_hi_u32_b32 v37, -1, v37
	s_waitcnt vmcnt(8)
	v_max3_f32 v36, v36, v49, v50
	v_and_b32_e32 v38, 64, v37
	s_waitcnt vmcnt(6)
	v_max3_f32 v36, v36, v42, v43
	v_add_u32_e32 v38, 64, v38
	v_xor_b32_e32 v39, 32, v37
	v_cmp_lt_i32_e64 s[30:31], v39, v38
	s_waitcnt vmcnt(4)
	v_max3_f32 v36, v36, v30, v31
	v_cndmask_b32_e64 v39, v37, v39, s[30:31]
	s_waitcnt vmcnt(2)
	v_max3_f32 v36, v36, v32, v33
	v_lshlrev_b32_e32 v39, 2, v39
	s_waitcnt vmcnt(0)
	v_max3_f32 v36, v36, v34, v35
	ds_bpermute_b32 v40, v39, v36
	s_waitcnt lgkmcnt(0)
	v_max_f32_e32 v40, v40, v40
	v_max_f32_e32 v36, v36, v40
	v_xor_b32_e32 v40, 16, v37
	v_cmp_lt_i32_e64 s[30:31], v40, v38
	s_nop 1
	v_cndmask_b32_e64 v40, v37, v40, s[30:31]
	v_lshlrev_b32_e32 v40, 2, v40
	ds_bpermute_b32 v41, v40, v36
	s_waitcnt lgkmcnt(0)
	v_max_f32_e32 v41, v41, v41
	v_max_f32_e32 v36, v36, v41
	v_xor_b32_e32 v41, 8, v37
	v_cmp_lt_i32_e64 s[30:31], v41, v38
	s_nop 1
	v_cndmask_b32_e64 v41, v37, v41, s[30:31]
	v_lshlrev_b32_e32 v41, 2, v41
	ds_bpermute_b32 v44, v41, v36
	s_add_u32 s30, s40, s54
	s_addc_u32 s31, s41, s55
	s_add_u32 s40, s30, s42
	s_addc_u32 s41, s31, s43
	s_waitcnt lgkmcnt(0)
	v_max_f32_e32 v44, v44, v44
	v_max_f32_e32 v36, v36, v44
	v_xor_b32_e32 v44, 4, v37
	v_lshl_add_u64 v[2:3], s[40:41], 0, v[2:3]
	v_cmp_lt_i32_e64 s[30:31], v44, v38
	global_load_dword v45, v[2:3], off
	s_nop 0
	v_cndmask_b32_e64 v2, v37, v44, s[30:31]
	v_lshlrev_b32_e32 v44, 2, v2
	ds_bpermute_b32 v2, v44, v36
	s_waitcnt lgkmcnt(0)
	v_max_f32_e32 v2, v2, v2
	v_max_f32_e32 v36, v36, v2
	v_xor_b32_e32 v2, 2, v37
	v_cmp_lt_i32_e64 s[30:31], v2, v38
	s_nop 1
	v_cndmask_b32_e64 v2, v37, v2, s[30:31]
	v_lshlrev_b32_e32 v51, 2, v2
	ds_bpermute_b32 v52, v51, v36
	v_lshl_add_u64 v[2:3], s[40:41], 0, v[4:5]
	global_load_dword v53, v[2:3], off
	v_lshl_add_u64 v[4:5], s[40:41], 0, v[8:9]
	v_lshl_add_u64 v[8:9], s[40:41], 0, v[12:13]
	s_waitcnt lgkmcnt(0)
	v_max_f32_e32 v2, v52, v52
	v_max_f32_e32 v36, v36, v2
	v_xor_b32_e32 v2, 1, v37
	v_cmp_lt_i32_e64 s[30:31], v2, v38
	v_lshl_add_u64 v[12:13], s[40:41], 0, v[16:17]
	s_nop 0
	v_cndmask_b32_e64 v2, v37, v2, s[30:31]
	v_lshlrev_b32_e32 v37, 2, v2
	v_lshl_add_u64 v[2:3], s[40:41], 0, v[6:7]
	v_lshl_add_u64 v[6:7], s[40:41], 0, v[10:11]
	;; [unrolled: 1-line block ×3, first 2 shown]
	global_load_dword v14, v[2:3], off
	global_load_dword v15, v[4:5], off
	;; [unrolled: 1-line block ×6, first 2 shown]
	ds_bpermute_b32 v38, v37, v36
	v_lshl_add_u64 v[2:3], s[40:41], 0, v[18:19]
	v_lshl_add_u64 v[4:5], s[40:41], 0, v[20:21]
	;; [unrolled: 1-line block ×4, first 2 shown]
	s_waitcnt lgkmcnt(0)
	v_max_f32_e32 v18, v38, v38
	v_max_f32_e32 v18, v36, v18
	v_sub_f32_e32 v1, v1, v18
	v_mul_f32_e32 v19, 0x3fb8aa3b, v1
	v_fma_f32 v20, v1, s39, -v19
	v_rndne_f32_e32 v21, v19
	v_fmac_f32_e32 v20, 0x32a5705f, v1
	v_sub_f32_e32 v19, v19, v21
	v_lshl_add_u64 v[10:11], s[40:41], 0, v[26:27]
	v_lshl_add_u64 v[12:13], s[40:41], 0, v[28:29]
	v_add_f32_e32 v19, v19, v20
	v_cvt_i32_f32_e32 v20, v21
	global_load_dword v2, v[2:3], off
	s_nop 0
	global_load_dword v3, v[4:5], off
	global_load_dword v21, v[6:7], off
	global_load_dword v22, v[8:9], off
	global_load_dword v23, v[10:11], off
	global_load_dword v24, v[12:13], off
	v_sub_f32_e32 v6, v46, v18
	v_mul_f32_e32 v7, 0x3fb8aa3b, v6
	v_fma_f32 v8, v6, s39, -v7
	v_rndne_f32_e32 v9, v7
	v_exp_f32_e32 v19, v19
	v_fmac_f32_e32 v8, 0x32a5705f, v6
	v_sub_f32_e32 v7, v7, v9
	v_add_f32_e32 v7, v7, v8
	v_exp_f32_e32 v7, v7
	v_cvt_i32_f32_e32 v8, v9
	s_mov_b32 s40, 0xc2ce8ed0
	v_ldexp_f32 v4, v19, v20
	v_cmp_ngt_f32_e64 s[30:31], s40, v1
	s_mov_b32 s41, 0x42b17218
	v_mov_b32_e32 v5, 0x7f800000
	v_cndmask_b32_e64 v4, 0, v4, s[30:31]
	v_cmp_nlt_f32_e64 s[30:31], s41, v1
	s_nop 1
	v_cndmask_b32_e64 v1, v5, v4, s[30:31]
	v_ldexp_f32 v4, v7, v8
	v_sub_f32_e32 v7, v47, v18
	v_mul_f32_e32 v8, 0x3fb8aa3b, v7
	v_fma_f32 v9, v7, s39, -v8
	v_rndne_f32_e32 v10, v8
	v_fmac_f32_e32 v9, 0x32a5705f, v7
	v_sub_f32_e32 v8, v8, v10
	v_add_f32_e32 v8, v8, v9
	v_exp_f32_e32 v8, v8
	v_cvt_i32_f32_e32 v9, v10
	v_cndmask_b32_e64 v1, 0, v1, s[28:29]
	v_cmp_ngt_f32_e64 s[28:29], s40, v6
	s_waitcnt vmcnt(13)
	v_mul_f32_e32 v1, v45, v1
	v_cndmask_b32_e64 v4, 0, v4, s[28:29]
	v_cmp_nlt_f32_e64 s[28:29], s41, v6
	v_ldexp_f32 v6, v8, v9
	v_sub_f32_e32 v8, v48, v18
	v_mul_f32_e32 v9, 0x3fb8aa3b, v8
	v_fma_f32 v10, v8, s39, -v9
	v_rndne_f32_e32 v11, v9
	v_fmac_f32_e32 v10, 0x32a5705f, v8
	v_sub_f32_e32 v9, v9, v11
	v_add_f32_e32 v9, v9, v10
	v_exp_f32_e32 v9, v9
	v_cvt_i32_f32_e32 v10, v11
	v_cndmask_b32_e64 v4, v5, v4, s[28:29]
	v_cndmask_b32_e64 v4, 0, v4, s[26:27]
	v_cmp_ngt_f32_e64 s[26:27], s40, v7
	s_waitcnt vmcnt(12)
	v_mul_f32_e32 v4, v53, v4
	v_cndmask_b32_e64 v6, 0, v6, s[26:27]
	v_cmp_nlt_f32_e64 s[26:27], s41, v7
	v_ldexp_f32 v7, v9, v10
	v_sub_f32_e32 v9, v49, v18
	v_mul_f32_e32 v10, 0x3fb8aa3b, v9
	v_fma_f32 v11, v9, s39, -v10
	v_rndne_f32_e32 v12, v10
	v_fmac_f32_e32 v11, 0x32a5705f, v9
	v_sub_f32_e32 v10, v10, v12
	v_add_f32_e32 v10, v10, v11
	v_exp_f32_e32 v10, v10
	v_cvt_i32_f32_e32 v11, v12
	v_cndmask_b32_e64 v6, v5, v6, s[26:27]
	;; [unrolled: 17-line block ×6, first 2 shown]
	v_cndmask_b32_e64 v10, 0, v10, s[16:17]
	v_cmp_ngt_f32_e64 s[16:17], s40, v12
	s_waitcnt vmcnt(7)
	v_mul_f32_e32 v10, v52, v10
	v_cndmask_b32_e64 v11, 0, v11, s[16:17]
	v_cmp_nlt_f32_e64 s[16:17], s41, v12
	v_ldexp_f32 v12, v14, v15
	v_sub_f32_e32 v14, v31, v18
	v_mul_f32_e32 v15, 0x3fb8aa3b, v14
	v_fma_f32 v16, v14, s39, -v15
	v_rndne_f32_e32 v17, v15
	v_fmac_f32_e32 v16, 0x32a5705f, v14
	v_sub_f32_e32 v15, v15, v17
	v_cndmask_b32_e64 v11, v5, v11, s[16:17]
	v_add_f32_e32 v15, v15, v16
	v_cndmask_b32_e64 v11, 0, v11, s[14:15]
	v_cmp_ngt_f32_e64 s[14:15], s40, v13
	v_exp_f32_e32 v15, v15
	v_cvt_i32_f32_e32 v16, v17
	v_cndmask_b32_e64 v12, 0, v12, s[14:15]
	v_cmp_nlt_f32_e64 s[14:15], s41, v13
	v_sub_f32_e32 v13, v32, v18
	s_waitcnt vmcnt(6)
	v_mul_f32_e32 v11, v54, v11
	v_cndmask_b32_e64 v12, v5, v12, s[14:15]
	v_cndmask_b32_e64 v12, 0, v12, s[12:13]
	s_waitcnt vmcnt(5)
	v_mul_f32_e32 v12, v2, v12
	v_ldexp_f32 v2, v15, v16
	v_mul_f32_e32 v15, 0x3fb8aa3b, v13
	v_fma_f32 v16, v13, s39, -v15
	v_rndne_f32_e32 v17, v15
	v_fmac_f32_e32 v16, 0x32a5705f, v13
	v_sub_f32_e32 v15, v15, v17
	v_add_f32_e32 v15, v15, v16
	v_cmp_ngt_f32_e64 s[12:13], s40, v14
	v_exp_f32_e32 v15, v15
	v_cvt_i32_f32_e32 v16, v17
	v_cndmask_b32_e64 v2, 0, v2, s[12:13]
	v_cmp_nlt_f32_e64 s[12:13], s41, v14
	v_sub_f32_e32 v14, v33, v18
	s_nop 0
	v_cndmask_b32_e64 v2, v5, v2, s[12:13]
	v_cndmask_b32_e64 v2, 0, v2, s[10:11]
	s_waitcnt vmcnt(4)
	v_mul_f32_e32 v3, v3, v2
	v_ldexp_f32 v2, v15, v16
	v_mul_f32_e32 v15, 0x3fb8aa3b, v14
	v_fma_f32 v16, v14, s39, -v15
	v_rndne_f32_e32 v17, v15
	v_fmac_f32_e32 v16, 0x32a5705f, v14
	v_sub_f32_e32 v15, v15, v17
	v_add_f32_e32 v15, v15, v16
	v_cmp_ngt_f32_e64 s[10:11], s40, v13
	v_exp_f32_e32 v15, v15
	v_cvt_i32_f32_e32 v16, v17
	v_cndmask_b32_e64 v2, 0, v2, s[10:11]
	v_cmp_nlt_f32_e64 s[10:11], s41, v13
	s_nop 1
	v_cndmask_b32_e64 v2, v5, v2, s[10:11]
	v_cndmask_b32_e64 v2, 0, v2, s[8:9]
	s_waitcnt vmcnt(3)
	v_mul_f32_e32 v13, v21, v2
	v_ldexp_f32 v2, v15, v16
	v_sub_f32_e32 v15, v34, v18
	v_mul_f32_e32 v16, 0x3fb8aa3b, v15
	v_fma_f32 v17, v15, s39, -v16
	v_rndne_f32_e32 v19, v16
	v_fmac_f32_e32 v17, 0x32a5705f, v15
	v_sub_f32_e32 v16, v16, v19
	v_add_f32_e32 v16, v16, v17
	v_exp_f32_e32 v16, v16
	v_cvt_i32_f32_e32 v17, v19
	v_cmp_ngt_f32_e64 s[8:9], s40, v14
	s_nop 1
	v_cndmask_b32_e64 v2, 0, v2, s[8:9]
	v_cmp_nlt_f32_e64 s[8:9], s41, v14
	v_ldexp_f32 v14, v16, v17
	v_sub_f32_e32 v16, v35, v18
	v_mul_f32_e32 v17, 0x3fb8aa3b, v16
	v_fma_f32 v18, v16, s39, -v17
	v_rndne_f32_e32 v19, v17
	v_fmac_f32_e32 v18, 0x32a5705f, v16
	v_sub_f32_e32 v17, v17, v19
	v_add_f32_e32 v17, v17, v18
	v_cndmask_b32_e64 v2, v5, v2, s[8:9]
	v_exp_f32_e32 v17, v17
	v_cvt_i32_f32_e32 v18, v19
	v_cndmask_b32_e64 v2, 0, v2, s[6:7]
	v_cmp_ngt_f32_e64 s[6:7], s40, v15
	s_nop 1
	v_cndmask_b32_e64 v14, 0, v14, s[6:7]
	v_cmp_nlt_f32_e64 s[6:7], s41, v15
	v_ldexp_f32 v15, v17, v18
	s_waitcnt vmcnt(2)
	v_mul_f32_e32 v17, v22, v2
	v_cndmask_b32_e64 v14, v5, v14, s[6:7]
	v_cndmask_b32_e64 v14, 0, v14, s[4:5]
	v_cmp_ngt_f32_e64 s[4:5], s40, v16
	v_lshlrev_b32_e32 v18, 2, v0
	ds_write2st64_b32 v18, v1, v4 offset1:1
	ds_write2st64_b32 v18, v6, v7 offset0:2 offset1:3
	ds_write2st64_b32 v18, v8, v9 offset0:4 offset1:5
	;; [unrolled: 1-line block ×3, first 2 shown]
	v_cndmask_b32_e64 v15, 0, v15, s[4:5]
	v_cmp_nlt_f32_e64 s[4:5], s41, v16
	s_nop 1
	v_cndmask_b32_e64 v5, v5, v15, s[4:5]
	v_add_f32_e32 v15, v1, v4
	v_add_f32_e32 v15, v15, v6
	;; [unrolled: 1-line block ×10, first 2 shown]
	v_fmac_f32_e32 v15, v22, v2
	v_cndmask_b32_e32 v5, 0, v5, vcc
	s_waitcnt vmcnt(1)
	v_fmac_f32_e32 v15, v23, v14
	s_waitcnt vmcnt(0)
	v_fmac_f32_e32 v15, v24, v5
	ds_bpermute_b32 v16, v39, v15
	v_cmp_eq_u32_e32 vcc, 0, v0
	v_mul_f32_e32 v14, v23, v14
	v_mul_f32_e32 v5, v24, v5
	ds_write2st64_b32 v18, v12, v3 offset0:8 offset1:9
	ds_write2st64_b32 v18, v13, v17 offset0:10 offset1:11
	;; [unrolled: 1-line block ×3, first 2 shown]
	s_waitcnt lgkmcnt(3)
	v_add_f32_e32 v15, v15, v16
	ds_bpermute_b32 v16, v40, v15
	s_waitcnt lgkmcnt(0)
	v_add_f32_e32 v15, v15, v16
	ds_bpermute_b32 v16, v41, v15
	;; [unrolled: 3-line block ×5, first 2 shown]
	s_and_saveexec_b64 s[4:5], vcc
	s_cbranch_execz .LBB281_8
; %bb.7:
	s_waitcnt lgkmcnt(0)
	v_add_f32_e32 v1, v1, v2
	v_mov_b32_e32 v2, 0
	ds_write_b32 v2, v1 offset:3584
.LBB281_8:
	s_or_b64 exec, exec, s[4:5]
	v_mov_b32_e32 v1, s38
.LBB281_9:
	s_or_b64 exec, exec, s[50:51]
	s_lshl_b32 s4, s52, 7
	s_mov_b32 s5, 0
	s_lshl_b64 s[4:5], s[4:5], 1
	s_add_u32 s4, s36, s4
	s_addc_u32 s5, s37, s5
	s_lshl_b32 s10, s33, 7
	s_add_i32 s11, s10, 0xffffff80
	s_waitcnt lgkmcnt(0)
	v_lshlrev_b32_e32 v2, 7, v1
	v_mov_b32_e32 v3, 0
	s_cmp_lt_i32 s56, 1
	v_lshl_add_u64 v[4:5], v[2:3], 1, s[4:5]
	s_cselect_b32 s4, s11, 0
	v_lshlrev_b32_e32 v2, 1, v0
	s_ashr_i32 s5, s4, 31
	v_lshl_add_u64 v[0:1], v[4:5], 0, v[2:3]
	s_cmpk_lt_i32 s56, 0x101
	v_lshl_add_u64 v[12:13], s[4:5], 1, v[0:1]
	s_cselect_b32 s4, s11, 0x80
	s_ashr_i32 s5, s4, 31
	s_cmpk_lt_i32 s56, 0x201
	v_lshl_add_u64 v[14:15], s[4:5], 1, v[0:1]
	s_cselect_b32 s4, s11, 0x100
	s_ashr_i32 s5, s4, 31
	;; [unrolled: 4-line block ×8, first 2 shown]
	s_cmpk_lt_i32 s56, 0x901
	global_load_ushort v4, v[12:13], off
	global_load_ushort v5, v[14:15], off
	;; [unrolled: 1-line block ×8, first 2 shown]
	v_lshl_add_u64 v[20:21], s[4:5], 1, v[0:1]
	s_cselect_b32 s4, s11, 0x480
	s_ashr_i32 s5, s4, 31
	s_cmpk_lt_i32 s56, 0xa01
	v_lshl_add_u64 v[22:23], s[4:5], 1, v[0:1]
	s_cselect_b32 s4, s11, 0x500
	s_ashr_i32 s5, s4, 31
	s_cmpk_lt_i32 s56, 0xb01
	;; [unrolled: 4-line block ×6, first 2 shown]
	v_lshl_add_u64 v[32:33], s[4:5], 1, v[0:1]
	s_cselect_b32 s4, s11, 0x780
	s_ashr_i32 s5, s4, 31
	v_lshl_add_u64 v[34:35], s[4:5], 1, v[0:1]
	global_load_ushort v12, v[20:21], off
	global_load_ushort v13, v[22:23], off
	;; [unrolled: 1-line block ×8, first 2 shown]
	s_cmpk_gt_i32 s56, 0x1000
	s_cselect_b64 s[8:9], -1, 0
	s_cmpk_lt_i32 s56, 0x1001
	v_mov_b32_e32 v36, 0
	v_mov_b32_e32 v37, 0
	;; [unrolled: 1-line block ×48, first 2 shown]
	s_barrier
	s_cbranch_scc1 .LBB281_12
; %bb.10:
	s_cmpk_lt_u32 s56, 0x1101
	s_cselect_b32 s4, s11, 0x880
	s_ashr_i32 s5, s4, 31
	s_cmpk_lt_u32 s56, 0x1201
	v_lshl_add_u64 v[30:31], s[4:5], 1, v[0:1]
	s_cselect_b32 s4, s11, 0x900
	s_ashr_i32 s5, s4, 31
	s_cmpk_lt_u32 s56, 0x1301
	v_lshl_add_u64 v[32:33], s[4:5], 1, v[0:1]
	;; [unrolled: 4-line block ×7, first 2 shown]
	s_cselect_b32 s4, s11, 0xc00
	v_add_co_u32_e32 v28, vcc, 0x1000, v0
	s_ashr_i32 s5, s4, 31
	s_nop 0
	v_addc_co_u32_e32 v29, vcc, 0, v1, vcc
	s_cmpk_lt_u32 s56, 0x1901
	global_load_ushort v27, v[28:29], off
	global_load_ushort v26, v[30:31], off
	;; [unrolled: 1-line block ×8, first 2 shown]
	v_lshl_add_u64 v[36:37], s[4:5], 1, v[0:1]
	s_cselect_b32 s4, s11, 0xc80
	s_ashr_i32 s5, s4, 31
	s_cmpk_lt_u32 s56, 0x1a01
	v_lshl_add_u64 v[38:39], s[4:5], 1, v[0:1]
	s_cselect_b32 s4, s11, 0xd00
	s_ashr_i32 s5, s4, 31
	s_cmpk_lt_u32 s56, 0x1b01
	;; [unrolled: 4-line block ×6, first 2 shown]
	v_lshl_add_u64 v[48:49], s[4:5], 1, v[0:1]
	s_cselect_b32 s4, s11, 0xf80
	s_ashr_i32 s5, s4, 31
	v_lshl_add_u64 v[50:51], s[4:5], 1, v[0:1]
	global_load_ushort v35, v[36:37], off
	global_load_ushort v34, v[38:39], off
	;; [unrolled: 1-line block ×8, first 2 shown]
	s_cmpk_lt_u32 s56, 0x2001
	v_mov_b32_e32 v67, 0
	v_mov_b32_e32 v66, 0
	;; [unrolled: 1-line block ×32, first 2 shown]
	s_cbranch_scc1 .LBB281_12
; %bb.11:
	s_cmpk_lt_u32 s56, 0x2101
	s_cselect_b32 s4, s11, 0x1080
	s_ashr_i32 s5, s4, 31
	s_cmpk_lt_u32 s56, 0x2201
	v_lshl_add_u64 v[38:39], s[4:5], 1, v[0:1]
	s_cselect_b32 s4, s11, 0x1100
	s_ashr_i32 s5, s4, 31
	s_cmpk_lt_u32 s56, 0x2301
	v_lshl_add_u64 v[40:41], s[4:5], 1, v[0:1]
	;; [unrolled: 4-line block ×7, first 2 shown]
	s_cselect_b32 s4, s11, 0x1400
	v_add_co_u32_e32 v36, vcc, 0x2000, v0
	s_ashr_i32 s5, s4, 31
	s_nop 0
	v_addc_co_u32_e32 v37, vcc, 0, v1, vcc
	s_cmpk_lt_u32 s56, 0x2901
	global_load_ushort v52, v[36:37], off
	global_load_ushort v53, v[38:39], off
	;; [unrolled: 1-line block ×8, first 2 shown]
	v_lshl_add_u64 v[36:37], s[4:5], 1, v[0:1]
	s_cselect_b32 s4, s11, 0x1480
	s_ashr_i32 s5, s4, 31
	s_cmpk_lt_u32 s56, 0x2a01
	v_lshl_add_u64 v[38:39], s[4:5], 1, v[0:1]
	s_cselect_b32 s4, s11, 0x1500
	s_ashr_i32 s5, s4, 31
	s_cmpk_lt_u32 s56, 0x2b01
	;; [unrolled: 4-line block ×8, first 2 shown]
	global_load_ushort v68, v[36:37], off
	global_load_ushort v69, v[38:39], off
	;; [unrolled: 1-line block ×8, first 2 shown]
	v_lshl_add_u64 v[36:37], s[4:5], 1, v[0:1]
	s_cselect_b32 s4, s11, 0x1880
	s_ashr_i32 s5, s4, 31
	s_cmpk_lt_u32 s56, 0x3201
	v_lshl_add_u64 v[38:39], s[4:5], 1, v[0:1]
	s_cselect_b32 s4, s11, 0x1900
	s_ashr_i32 s5, s4, 31
	s_cmpk_lt_u32 s56, 0x3301
	;; [unrolled: 4-line block ×8, first 2 shown]
	global_load_ushort v76, v[36:37], off
	global_load_ushort v77, v[38:39], off
	;; [unrolled: 1-line block ×8, first 2 shown]
	v_lshl_add_u64 v[36:37], s[4:5], 1, v[0:1]
	s_cselect_b32 s4, s11, 0x1c80
	s_ashr_i32 s5, s4, 31
	s_cmpk_lt_u32 s56, 0x3a01
	v_lshl_add_u64 v[38:39], s[4:5], 1, v[0:1]
	s_cselect_b32 s4, s11, 0x1d00
	s_ashr_i32 s5, s4, 31
	s_cmpk_lt_u32 s56, 0x3b01
	;; [unrolled: 4-line block ×6, first 2 shown]
	v_lshl_add_u64 v[48:49], s[4:5], 1, v[0:1]
	s_cselect_b32 s4, s11, 0x1f80
	s_ashr_i32 s5, s4, 31
	v_lshl_add_u64 v[50:51], s[4:5], 1, v[0:1]
	global_load_ushort v84, v[36:37], off
	global_load_ushort v85, v[38:39], off
	;; [unrolled: 1-line block ×8, first 2 shown]
	s_waitcnt vmcnt(31)
	v_cvt_f32_f16_e32 v67, v52
	s_waitcnt vmcnt(30)
	v_cvt_f32_f16_e32 v66, v53
	s_waitcnt vmcnt(29)
	v_cvt_f32_f16_e32 v65, v54
	s_waitcnt vmcnt(28)
	v_cvt_f32_f16_e32 v64, v55
	s_waitcnt vmcnt(27)
	v_cvt_f32_f16_e32 v63, v56
	s_waitcnt vmcnt(26)
	v_cvt_f32_f16_e32 v62, v57
	s_waitcnt vmcnt(25)
	v_cvt_f32_f16_e32 v61, v58
	s_waitcnt vmcnt(24)
	v_cvt_f32_f16_e32 v60, v59
	s_waitcnt vmcnt(23)
	v_cvt_f32_f16_e32 v59, v68
	s_waitcnt vmcnt(22)
	v_cvt_f32_f16_e32 v58, v69
	s_waitcnt vmcnt(21)
	v_cvt_f32_f16_e32 v57, v70
	s_waitcnt vmcnt(20)
	v_cvt_f32_f16_e32 v56, v71
	s_waitcnt vmcnt(19)
	v_cvt_f32_f16_e32 v55, v72
	s_waitcnt vmcnt(18)
	v_cvt_f32_f16_e32 v54, v73
	s_waitcnt vmcnt(17)
	v_cvt_f32_f16_e32 v53, v74
	s_waitcnt vmcnt(16)
	v_cvt_f32_f16_e32 v52, v75
	s_waitcnt vmcnt(15)
	v_cvt_f32_f16_e32 v51, v76
	s_waitcnt vmcnt(14)
	v_cvt_f32_f16_e32 v50, v77
	s_waitcnt vmcnt(13)
	v_cvt_f32_f16_e32 v49, v78
	s_waitcnt vmcnt(12)
	v_cvt_f32_f16_e32 v48, v79
	s_waitcnt vmcnt(11)
	v_cvt_f32_f16_e32 v47, v80
	s_waitcnt vmcnt(10)
	v_cvt_f32_f16_e32 v46, v81
	s_waitcnt vmcnt(9)
	v_cvt_f32_f16_e32 v45, v82
	s_waitcnt vmcnt(8)
	v_cvt_f32_f16_e32 v44, v83
	s_waitcnt vmcnt(7)
	v_cvt_f32_f16_e32 v43, v84
	s_waitcnt vmcnt(6)
	v_cvt_f32_f16_e32 v42, v85
	s_waitcnt vmcnt(5)
	v_cvt_f32_f16_e32 v41, v86
	s_waitcnt vmcnt(4)
	v_cvt_f32_f16_e32 v40, v87
	s_waitcnt vmcnt(3)
	v_cvt_f32_f16_e32 v39, v88
	s_waitcnt vmcnt(2)
	v_cvt_f32_f16_e32 v38, v89
	s_waitcnt vmcnt(1)
	v_cvt_f32_f16_e32 v37, v90
	s_waitcnt vmcnt(0)
	v_cvt_f32_f16_e32 v36, v91
.LBB281_12:
	ds_read_b128 v[68:71], v3
	s_load_dwordx2 s[4:5], s[0:1], 0x0
	s_load_dwordx2 s[6:7], s[0:1], 0x38
	ds_read_b128 v[72:75], v3 offset:16
	ds_read_b128 v[76:79], v3 offset:32
	;; [unrolled: 1-line block ×3, first 2 shown]
	s_and_b64 vcc, exec, s[8:9]
	s_waitcnt vmcnt(15) lgkmcnt(0)
	v_fma_mix_f32 v4, v68, v4, 0 op_sel_hi:[0,1,0]
	s_waitcnt vmcnt(14)
	v_fma_mix_f32 v4, v69, v5, v4 op_sel_hi:[0,1,0]
	s_waitcnt vmcnt(13)
	;; [unrolled: 2-line block ×15, first 2 shown]
	v_fma_mix_f32 v4, v83, v19, v4 op_sel_hi:[0,1,0]
	s_cbranch_vccz .LBB281_15
; %bb.13:
	ds_read_b128 v[6:9], v3 offset:64
	ds_read_b128 v[10:13], v3 offset:80
	;; [unrolled: 1-line block ×4, first 2 shown]
	s_cmpk_lt_u32 s56, 0x2001
	s_waitcnt lgkmcnt(3)
	v_fma_mix_f32 v3, v6, v27, v4 op_sel_hi:[0,1,0]
	v_fma_mix_f32 v3, v7, v26, v3 op_sel_hi:[0,1,0]
	v_fma_mix_f32 v3, v8, v25, v3 op_sel_hi:[0,1,0]
	v_fma_mix_f32 v3, v9, v24, v3 op_sel_hi:[0,1,0]
	s_waitcnt lgkmcnt(2)
	v_fma_mix_f32 v3, v10, v23, v3 op_sel_hi:[0,1,0]
	v_fma_mix_f32 v3, v11, v22, v3 op_sel_hi:[0,1,0]
	v_fma_mix_f32 v3, v12, v21, v3 op_sel_hi:[0,1,0]
	v_fma_mix_f32 v3, v13, v20, v3 op_sel_hi:[0,1,0]
	s_waitcnt lgkmcnt(1)
	v_fma_mix_f32 v3, v14, v35, v3 op_sel_hi:[0,1,0]
	v_fma_mix_f32 v3, v15, v34, v3 op_sel_hi:[0,1,0]
	v_fma_mix_f32 v3, v16, v33, v3 op_sel_hi:[0,1,0]
	v_fma_mix_f32 v3, v17, v32, v3 op_sel_hi:[0,1,0]
	s_waitcnt lgkmcnt(0)
	v_fma_mix_f32 v3, v68, v31, v3 op_sel_hi:[0,1,0]
	v_fma_mix_f32 v3, v69, v30, v3 op_sel_hi:[0,1,0]
	v_fma_mix_f32 v3, v70, v29, v3 op_sel_hi:[0,1,0]
	v_fma_mix_f32 v4, v71, v28, v3 op_sel_hi:[0,1,0]
	s_cbranch_scc1 .LBB281_15
; %bb.14:
	v_mov_b32_e32 v3, 0
	ds_read_b128 v[6:9], v3 offset:128
	ds_read_b128 v[10:13], v3 offset:144
	;; [unrolled: 1-line block ×4, first 2 shown]
	s_waitcnt lgkmcnt(3)
	v_fmac_f32_e32 v4, v6, v67
	v_fmac_f32_e32 v4, v7, v66
	v_fmac_f32_e32 v4, v8, v65
	v_fmac_f32_e32 v4, v9, v64
	s_waitcnt lgkmcnt(2)
	v_fmac_f32_e32 v4, v10, v63
	v_fmac_f32_e32 v4, v11, v62
	v_fmac_f32_e32 v4, v12, v61
	v_fmac_f32_e32 v4, v13, v60
	;; [unrolled: 5-line block ×3, first 2 shown]
	ds_read_b128 v[6:9], v3 offset:192
	ds_read_b128 v[10:13], v3 offset:208
	s_waitcnt lgkmcnt(2)
	v_fmac_f32_e32 v4, v18, v55
	v_fmac_f32_e32 v4, v19, v54
	;; [unrolled: 1-line block ×4, first 2 shown]
	s_waitcnt lgkmcnt(1)
	v_fmac_f32_e32 v4, v6, v51
	v_fmac_f32_e32 v4, v7, v50
	;; [unrolled: 1-line block ×4, first 2 shown]
	ds_read_b128 v[6:9], v3 offset:224
	s_waitcnt lgkmcnt(1)
	v_fmac_f32_e32 v4, v10, v47
	v_fmac_f32_e32 v4, v11, v46
	;; [unrolled: 1-line block ×4, first 2 shown]
	ds_read_b128 v[10:13], v3 offset:240
	s_waitcnt lgkmcnt(1)
	v_fmac_f32_e32 v4, v6, v43
	v_fmac_f32_e32 v4, v7, v42
	;; [unrolled: 1-line block ×4, first 2 shown]
	s_waitcnt lgkmcnt(0)
	v_fmac_f32_e32 v4, v10, v39
	v_fmac_f32_e32 v4, v11, v38
	;; [unrolled: 1-line block ×4, first 2 shown]
.LBB281_15:
	s_movk_i32 s0, 0x3f80
	s_movk_i32 s1, 0x100
	s_mov_b32 s8, 64
	s_branch .LBB281_17
.LBB281_16:                             ;   in Loop: Header=BB281_17 Depth=1
	s_addk_i32 s0, 0x2000
	s_addk_i32 s1, 0x100
	s_add_i32 s8, s8, 64
	s_cmp_eq_u32 s0, 0x1df80
	s_cbranch_scc1 .LBB281_19
.LBB281_17:                             ; =>This Inner Loop Header: Depth=1
	s_cmp_le_i32 s33, s8
	s_cbranch_scc1 .LBB281_16
; %bb.18:                               ;   in Loop: Header=BB281_17 Depth=1
	s_add_i32 s9, s0, 0xffffe080
	s_cmp_lt_i32 s9, s10
	s_cselect_b32 s12, s9, s11
	s_ashr_i32 s13, s12, 31
	s_add_i32 s9, s0, 0xffffe100
	s_cmp_lt_i32 s9, s10
	v_lshl_add_u64 v[12:13], s[12:13], 1, v[0:1]
	s_cselect_b32 s12, s9, s11
	s_ashr_i32 s13, s12, 31
	s_add_i32 s9, s0, 0xffffe180
	s_cmp_lt_i32 s9, s10
	v_lshl_add_u64 v[14:15], s[12:13], 1, v[0:1]
	;; [unrolled: 5-line block ×8, first 2 shown]
	s_cselect_b32 s12, s9, s11
	s_ashr_i32 s13, s12, 31
	s_add_i32 s9, s0, 0xffffe500
	s_cmp_lt_i32 s9, s10
	global_load_ushort v3, v[12:13], off
	global_load_ushort v5, v[14:15], off
	global_load_ushort v6, v[16:17], off
	global_load_ushort v7, v[18:19], off
	global_load_ushort v8, v[20:21], off
	global_load_ushort v9, v[22:23], off
	global_load_ushort v10, v[24:25], off
	global_load_ushort v11, v[26:27], off
	v_lshl_add_u64 v[12:13], s[12:13], 1, v[0:1]
	s_cselect_b32 s12, s9, s11
	s_ashr_i32 s13, s12, 31
	s_add_i32 s9, s0, 0xffffe580
	s_cmp_lt_i32 s9, s10
	v_lshl_add_u64 v[14:15], s[12:13], 1, v[0:1]
	s_cselect_b32 s12, s9, s11
	s_ashr_i32 s13, s12, 31
	s_add_i32 s9, s0, 0xffffe600
	s_cmp_lt_i32 s9, s10
	v_lshl_add_u64 v[16:17], s[12:13], 1, v[0:1]
	s_cselect_b32 s12, s9, s11
	s_ashr_i32 s13, s12, 31
	s_add_i32 s9, s0, 0xffffe680
	s_cmp_lt_i32 s9, s10
	v_lshl_add_u64 v[18:19], s[12:13], 1, v[0:1]
	s_cselect_b32 s12, s9, s11
	s_ashr_i32 s13, s12, 31
	s_add_i32 s9, s0, 0xffffe700
	s_cmp_lt_i32 s9, s10
	v_lshl_add_u64 v[20:21], s[12:13], 1, v[0:1]
	s_cselect_b32 s12, s9, s11
	s_ashr_i32 s13, s12, 31
	s_add_i32 s9, s0, 0xffffe780
	s_cmp_lt_i32 s9, s10
	v_lshl_add_u64 v[22:23], s[12:13], 1, v[0:1]
	s_cselect_b32 s12, s9, s11
	s_ashr_i32 s13, s12, 31
	s_add_i32 s9, s0, 0xffffe800
	s_cmp_lt_i32 s9, s10
	v_lshl_add_u64 v[24:25], s[12:13], 1, v[0:1]
	s_cselect_b32 s12, s9, s11
	s_ashr_i32 s13, s12, 31
	s_add_i32 s9, s0, 0xffffe880
	s_cmp_lt_i32 s9, s10
	v_lshl_add_u64 v[26:27], s[12:13], 1, v[0:1]
	s_cselect_b32 s12, s9, s11
	s_ashr_i32 s13, s12, 31
	s_add_i32 s9, s0, 0xffffe900
	s_cmp_lt_i32 s9, s10
	global_load_ushort v28, v[12:13], off
	global_load_ushort v29, v[14:15], off
	global_load_ushort v30, v[16:17], off
	global_load_ushort v31, v[18:19], off
	global_load_ushort v32, v[20:21], off
	global_load_ushort v33, v[22:23], off
	global_load_ushort v34, v[24:25], off
	global_load_ushort v35, v[26:27], off
	v_lshl_add_u64 v[12:13], s[12:13], 1, v[0:1]
	s_cselect_b32 s12, s9, s11
	s_ashr_i32 s13, s12, 31
	s_add_i32 s9, s0, 0xffffe980
	s_cmp_lt_i32 s9, s10
	v_lshl_add_u64 v[14:15], s[12:13], 1, v[0:1]
	s_cselect_b32 s12, s9, s11
	s_ashr_i32 s13, s12, 31
	s_add_i32 s9, s0, 0xffffea00
	s_cmp_lt_i32 s9, s10
	v_lshl_add_u64 v[16:17], s[12:13], 1, v[0:1]
	s_cselect_b32 s12, s9, s11
	s_ashr_i32 s13, s12, 31
	s_add_i32 s9, s0, 0xffffea80
	s_cmp_lt_i32 s9, s10
	v_lshl_add_u64 v[18:19], s[12:13], 1, v[0:1]
	s_cselect_b32 s12, s9, s11
	s_ashr_i32 s13, s12, 31
	s_add_i32 s9, s0, 0xffffeb00
	s_cmp_lt_i32 s9, s10
	v_lshl_add_u64 v[20:21], s[12:13], 1, v[0:1]
	s_cselect_b32 s12, s9, s11
	s_ashr_i32 s13, s12, 31
	s_add_i32 s9, s0, 0xffffeb80
	s_cmp_lt_i32 s9, s10
	v_lshl_add_u64 v[22:23], s[12:13], 1, v[0:1]
	s_cselect_b32 s12, s9, s11
	s_ashr_i32 s13, s12, 31
	s_add_i32 s9, s0, 0xffffec00
	s_cmp_lt_i32 s9, s10
	v_lshl_add_u64 v[24:25], s[12:13], 1, v[0:1]
	s_cselect_b32 s12, s9, s11
	s_ashr_i32 s13, s12, 31
	s_add_i32 s9, s0, 0xffffec80
	s_cmp_lt_i32 s9, s10
	v_lshl_add_u64 v[26:27], s[12:13], 1, v[0:1]
	;; [unrolled: 48-line block ×6, first 2 shown]
	s_cselect_b32 s12, s9, s11
	s_ashr_i32 s13, s12, 31
	s_add_i32 s9, s0, 0xfffffd00
	s_cmp_lt_i32 s9, s10
	global_load_ushort v68, v[12:13], off
	global_load_ushort v69, v[14:15], off
	;; [unrolled: 1-line block ×8, first 2 shown]
	v_lshl_add_u64 v[12:13], s[12:13], 1, v[0:1]
	s_cselect_b32 s12, s9, s11
	s_ashr_i32 s13, s12, 31
	s_add_i32 s9, s0, 0xfffffd80
	s_cmp_lt_i32 s9, s10
	v_lshl_add_u64 v[14:15], s[12:13], 1, v[0:1]
	s_cselect_b32 s12, s9, s11
	s_ashr_i32 s13, s12, 31
	s_add_i32 s9, s0, 0xfffffe00
	s_cmp_lt_i32 s9, s10
	;; [unrolled: 5-line block ×5, first 2 shown]
	v_lshl_add_u64 v[22:23], s[12:13], 1, v[0:1]
	s_cselect_b32 s12, s9, s11
	s_ashr_i32 s13, s12, 31
	s_cmp_lt_i32 s0, s10
	v_lshl_add_u64 v[24:25], s[12:13], 1, v[0:1]
	s_cselect_b32 s12, s0, s11
	s_ashr_i32 s13, s12, 31
	v_lshl_add_u64 v[26:27], s[12:13], 1, v[0:1]
	global_load_ushort v76, v[12:13], off
	global_load_ushort v77, v[14:15], off
	;; [unrolled: 1-line block ×8, first 2 shown]
	v_mov_b32_e32 v84, s1
	ds_read_b128 v[12:15], v84
	ds_read_b128 v[16:19], v84 offset:16
	ds_read_b128 v[20:23], v84 offset:32
	ds_read_b128 v[24:27], v84 offset:48
	s_waitcnt vmcnt(62) lgkmcnt(3)
	v_fma_mix_f32 v3, v12, v3, v4 op_sel_hi:[0,1,0]
	v_fma_mix_f32 v3, v13, v5, v3 op_sel_hi:[0,1,0]
	s_waitcnt vmcnt(61)
	v_fma_mix_f32 v3, v14, v6, v3 op_sel_hi:[0,1,0]
	s_waitcnt vmcnt(60)
	v_fma_mix_f32 v3, v15, v7, v3 op_sel_hi:[0,1,0]
	s_waitcnt vmcnt(59) lgkmcnt(2)
	v_fma_mix_f32 v3, v16, v8, v3 op_sel_hi:[0,1,0]
	s_waitcnt vmcnt(58)
	v_fma_mix_f32 v3, v17, v9, v3 op_sel_hi:[0,1,0]
	s_waitcnt vmcnt(57)
	;; [unrolled: 2-line block ×3, first 2 shown]
	v_fma_mix_f32 v3, v19, v11, v3 op_sel_hi:[0,1,0]
	s_waitcnt vmcnt(55) lgkmcnt(1)
	v_fma_mix_f32 v3, v20, v28, v3 op_sel_hi:[0,1,0]
	s_waitcnt vmcnt(54)
	v_fma_mix_f32 v3, v21, v29, v3 op_sel_hi:[0,1,0]
	s_waitcnt vmcnt(53)
	;; [unrolled: 2-line block ×3, first 2 shown]
	v_fma_mix_f32 v3, v23, v31, v3 op_sel_hi:[0,1,0]
	ds_read_b128 v[4:7], v84 offset:64
	ds_read_b128 v[8:11], v84 offset:80
	s_waitcnt vmcnt(51) lgkmcnt(2)
	v_fma_mix_f32 v3, v24, v32, v3 op_sel_hi:[0,1,0]
	s_waitcnt vmcnt(50)
	v_fma_mix_f32 v3, v25, v33, v3 op_sel_hi:[0,1,0]
	s_waitcnt vmcnt(49)
	;; [unrolled: 2-line block ×3, first 2 shown]
	v_fma_mix_f32 v3, v27, v35, v3 op_sel_hi:[0,1,0]
	s_waitcnt vmcnt(47) lgkmcnt(1)
	v_fma_mix_f32 v3, v4, v36, v3 op_sel_hi:[0,1,0]
	s_waitcnt vmcnt(46)
	v_fma_mix_f32 v3, v5, v37, v3 op_sel_hi:[0,1,0]
	s_waitcnt vmcnt(45)
	v_fma_mix_f32 v3, v6, v38, v3 op_sel_hi:[0,1,0]
	s_waitcnt vmcnt(44)
	v_fma_mix_f32 v3, v7, v39, v3 op_sel_hi:[0,1,0]
	ds_read_b128 v[4:7], v84 offset:96
	s_waitcnt vmcnt(43) lgkmcnt(1)
	v_fma_mix_f32 v3, v8, v40, v3 op_sel_hi:[0,1,0]
	s_waitcnt vmcnt(42)
	v_fma_mix_f32 v3, v9, v41, v3 op_sel_hi:[0,1,0]
	s_waitcnt vmcnt(41)
	v_fma_mix_f32 v3, v10, v42, v3 op_sel_hi:[0,1,0]
	s_waitcnt vmcnt(40)
	v_fma_mix_f32 v3, v11, v43, v3 op_sel_hi:[0,1,0]
	ds_read_b128 v[8:11], v84 offset:112
	;; [unrolled: 9-line block ×10, first 2 shown]
	s_waitcnt vmcnt(7) lgkmcnt(1)
	v_fma_mix_f32 v3, v4, v76, v3 op_sel_hi:[0,1,0]
	s_waitcnt vmcnt(6)
	v_fma_mix_f32 v3, v5, v77, v3 op_sel_hi:[0,1,0]
	s_waitcnt vmcnt(5)
	;; [unrolled: 2-line block ×3, first 2 shown]
	v_fma_mix_f32 v3, v7, v79, v3 op_sel_hi:[0,1,0]
	s_waitcnt vmcnt(3) lgkmcnt(0)
	v_fma_mix_f32 v3, v8, v80, v3 op_sel_hi:[0,1,0]
	s_waitcnt vmcnt(2)
	v_fma_mix_f32 v3, v9, v81, v3 op_sel_hi:[0,1,0]
	s_waitcnt vmcnt(1)
	;; [unrolled: 2-line block ×3, first 2 shown]
	v_fma_mix_f32 v4, v11, v83, v3 op_sel_hi:[0,1,0]
	s_branch .LBB281_16
.LBB281_19:
	v_mov_b32_e32 v0, 0
	ds_read_b32 v1, v0 offset:3584
	s_cmp_lg_u64 s[6:7], 0
	s_cbranch_scc0 .LBB281_24
; %bb.20:
	s_load_dword s6, s[6:7], 0x0
	s_waitcnt lgkmcnt(0)
	v_div_scale_f32 v0, s[0:1], s6, s6, 1.0
	v_rcp_f32_e32 v3, v0
	v_div_scale_f32 v5, vcc, 1.0, s6, 1.0
	v_fma_f32 v6, -v0, v3, 1.0
	v_fmac_f32_e32 v3, v6, v3
	v_mul_f32_e32 v6, v5, v3
	v_fma_f32 v7, -v0, v6, v5
	v_fmac_f32_e32 v6, v7, v3
	v_fma_f32 v0, -v0, v6, v5
	v_div_fmas_f32 v0, v0, v3, v6
	v_div_fixup_f32 v0, v0, s6, 1.0
	s_andn2_b64 vcc, exec, s[46:47]
	s_cbranch_vccnz .LBB281_22
.LBB281_21:
	s_add_u32 s0, s44, s48
	s_addc_u32 s1, s45, s49
	s_load_dword s34, s[0:1], 0x0
	s_mov_b32 s35, 0
.LBB281_22:
	s_waitcnt lgkmcnt(0)
	v_add_f32_e32 v1, 0x358637bd, v1
	v_div_scale_f32 v3, s[0:1], v1, v1, 1.0
	v_rcp_f32_e32 v5, v3
	v_div_scale_f32 v6, vcc, 1.0, v1, 1.0
	s_mul_i32 s0, s3, s35
	v_fma_f32 v7, -v3, v5, 1.0
	v_fmac_f32_e32 v5, v7, v5
	v_mul_f32_e32 v7, v6, v5
	v_fma_f32 v8, -v3, v7, v6
	s_mul_hi_u32 s1, s3, s34
	v_fmac_f32_e32 v7, v8, v5
	s_add_i32 s1, s1, s0
	s_mul_i32 s0, s3, s34
	v_fma_f32 v3, -v3, v7, v6
	s_lshl_b64 s[0:1], s[0:1], 8
	v_div_fmas_f32 v3, v3, v5, v7
	s_add_u32 s4, s4, s0
	s_mov_b32 s3, 0
	v_div_fixup_f32 v1, v3, v1, 1.0
	s_addc_u32 s5, s5, s1
	s_lshl_b64 s[0:1], s[2:3], 8
	v_mul_f32_e32 v1, v4, v1
	s_add_u32 s0, s4, s0
	s_addc_u32 s1, s5, s1
	v_fma_mixlo_f16 v0, v1, v0, 0
	global_store_short v2, v0, s[0:1]
	s_endpgm
.LBB281_23:
	s_mov_b64 s[6:7], 0
	s_branch .LBB281_2
.LBB281_24:
	v_mov_b32_e32 v0, 1.0
	s_andn2_b64 vcc, exec, s[46:47]
	s_cbranch_vccz .LBB281_21
	s_branch .LBB281_22
	.section	.rodata,"a",@progbits
	.p2align	6, 0x0
	.amdhsa_kernel _Z35paged_attention_ll4mi_reduce_kernelIDF16_DF16_Li128ELi128ELi256ELi14EEvPT0_PKfS3_PKT_PKiS8_iS3_
		.amdhsa_group_segment_fixed_size 3588
		.amdhsa_private_segment_fixed_size 0
		.amdhsa_kernarg_size 320
		.amdhsa_user_sgpr_count 2
		.amdhsa_user_sgpr_dispatch_ptr 0
		.amdhsa_user_sgpr_queue_ptr 0
		.amdhsa_user_sgpr_kernarg_segment_ptr 1
		.amdhsa_user_sgpr_dispatch_id 0
		.amdhsa_user_sgpr_kernarg_preload_length 0
		.amdhsa_user_sgpr_kernarg_preload_offset 0
		.amdhsa_user_sgpr_private_segment_size 0
		.amdhsa_uses_dynamic_stack 0
		.amdhsa_enable_private_segment 0
		.amdhsa_system_sgpr_workgroup_id_x 1
		.amdhsa_system_sgpr_workgroup_id_y 1
		.amdhsa_system_sgpr_workgroup_id_z 0
		.amdhsa_system_sgpr_workgroup_info 0
		.amdhsa_system_vgpr_workitem_id 0
		.amdhsa_next_free_vgpr 92
		.amdhsa_next_free_sgpr 57
		.amdhsa_accum_offset 92
		.amdhsa_reserve_vcc 1
		.amdhsa_float_round_mode_32 0
		.amdhsa_float_round_mode_16_64 0
		.amdhsa_float_denorm_mode_32 3
		.amdhsa_float_denorm_mode_16_64 3
		.amdhsa_dx10_clamp 1
		.amdhsa_ieee_mode 1
		.amdhsa_fp16_overflow 0
		.amdhsa_tg_split 0
		.amdhsa_exception_fp_ieee_invalid_op 0
		.amdhsa_exception_fp_denorm_src 0
		.amdhsa_exception_fp_ieee_div_zero 0
		.amdhsa_exception_fp_ieee_overflow 0
		.amdhsa_exception_fp_ieee_underflow 0
		.amdhsa_exception_fp_ieee_inexact 0
		.amdhsa_exception_int_div_zero 0
	.end_amdhsa_kernel
	.section	.text._Z35paged_attention_ll4mi_reduce_kernelIDF16_DF16_Li128ELi128ELi256ELi14EEvPT0_PKfS3_PKT_PKiS8_iS3_,"axG",@progbits,_Z35paged_attention_ll4mi_reduce_kernelIDF16_DF16_Li128ELi128ELi256ELi14EEvPT0_PKfS3_PKT_PKiS8_iS3_,comdat
.Lfunc_end281:
	.size	_Z35paged_attention_ll4mi_reduce_kernelIDF16_DF16_Li128ELi128ELi256ELi14EEvPT0_PKfS3_PKT_PKiS8_iS3_, .Lfunc_end281-_Z35paged_attention_ll4mi_reduce_kernelIDF16_DF16_Li128ELi128ELi256ELi14EEvPT0_PKfS3_PKT_PKiS8_iS3_
                                        ; -- End function
	.section	.AMDGPU.csdata,"",@progbits
; Kernel info:
; codeLenInByte = 10332
; NumSgprs: 63
; NumVgprs: 92
; NumAgprs: 0
; TotalNumVgprs: 92
; ScratchSize: 0
; MemoryBound: 0
; FloatMode: 240
; IeeeMode: 1
; LDSByteSize: 3588 bytes/workgroup (compile time only)
; SGPRBlocks: 7
; VGPRBlocks: 11
; NumSGPRsForWavesPerEU: 63
; NumVGPRsForWavesPerEU: 92
; AccumOffset: 92
; Occupancy: 5
; WaveLimiterHint : 1
; COMPUTE_PGM_RSRC2:SCRATCH_EN: 0
; COMPUTE_PGM_RSRC2:USER_SGPR: 2
; COMPUTE_PGM_RSRC2:TRAP_HANDLER: 0
; COMPUTE_PGM_RSRC2:TGID_X_EN: 1
; COMPUTE_PGM_RSRC2:TGID_Y_EN: 1
; COMPUTE_PGM_RSRC2:TGID_Z_EN: 0
; COMPUTE_PGM_RSRC2:TIDIG_COMP_CNT: 0
; COMPUTE_PGM_RSRC3_GFX90A:ACCUM_OFFSET: 22
; COMPUTE_PGM_RSRC3_GFX90A:TG_SPLIT: 0
	.section	.text._Z35paged_attention_ll4mi_reduce_kernelIDF16_DF16_Li128ELi128ELi256ELi15EEvPT0_PKfS3_PKT_PKiS8_iS3_,"axG",@progbits,_Z35paged_attention_ll4mi_reduce_kernelIDF16_DF16_Li128ELi128ELi256ELi15EEvPT0_PKfS3_PKT_PKiS8_iS3_,comdat
	.protected	_Z35paged_attention_ll4mi_reduce_kernelIDF16_DF16_Li128ELi128ELi256ELi15EEvPT0_PKfS3_PKT_PKiS8_iS3_ ; -- Begin function _Z35paged_attention_ll4mi_reduce_kernelIDF16_DF16_Li128ELi128ELi256ELi15EEvPT0_PKfS3_PKT_PKiS8_iS3_
	.globl	_Z35paged_attention_ll4mi_reduce_kernelIDF16_DF16_Li128ELi128ELi256ELi15EEvPT0_PKfS3_PKT_PKiS8_iS3_
	.p2align	8
	.type	_Z35paged_attention_ll4mi_reduce_kernelIDF16_DF16_Li128ELi128ELi256ELi15EEvPT0_PKfS3_PKT_PKiS8_iS3_,@function
_Z35paged_attention_ll4mi_reduce_kernelIDF16_DF16_Li128ELi128ELi256ELi15EEvPT0_PKfS3_PKT_PKiS8_iS3_: ; @_Z35paged_attention_ll4mi_reduce_kernelIDF16_DF16_Li128ELi128ELi256ELi15EEvPT0_PKfS3_PKT_PKiS8_iS3_
; %bb.0:
	s_load_dwordx2 s[46:47], s[0:1], 0x28
	s_mov_b32 s44, s3
	s_mov_b64 s[4:5], 0
	s_waitcnt lgkmcnt(0)
	s_cmp_lg_u64 s[46:47], 0
	s_cselect_b64 s[48:49], -1, 0
	s_and_b64 vcc, exec, s[48:49]
	s_cbranch_vccz .LBB282_23
; %bb.1:
	s_add_i32 s6, s44, 1
	s_mov_b32 s7, 0
	s_lshl_b64 s[8:9], s[6:7], 2
	s_add_u32 s8, s46, s8
	s_mov_b32 s45, s7
	s_addc_u32 s9, s47, s9
	s_lshl_b64 s[6:7], s[44:45], 2
	s_add_u32 s6, s46, s6
	s_addc_u32 s7, s47, s7
	s_load_dword s3, s[8:9], 0x0
	s_load_dword s10, s[6:7], 0x0
	s_waitcnt lgkmcnt(0)
	s_sub_i32 s3, s3, s10
	s_cmp_eq_u32 s3, 1
	s_cselect_b64 s[6:7], -1, 0
	s_andn2_b64 vcc, exec, s[4:5]
	s_cbranch_vccnz .LBB282_3
.LBB282_2:
	s_mov_b32 s45, 0
	s_mov_b64 s[6:7], -1
.LBB282_3:
	s_andn2_b64 vcc, exec, s[6:7]
	s_cbranch_vccz .LBB282_5
; %bb.4:
	s_endpgm
.LBB282_5:
	s_load_dwordx4 s[36:39], s[0:1], 0x18
	s_load_dword s8, s[0:1], 0x30
	s_lshl_b64 s[50:51], s[44:45], 2
	v_cmp_lt_u32_e32 vcc, 63, v0
	s_waitcnt lgkmcnt(0)
	s_add_u32 s4, s38, s50
	s_addc_u32 s5, s39, s51
	s_load_dword s58, s[4:5], 0x0
	s_load_dword s3, s[0:1], 0x40
	s_mul_i32 s38, s2, s8
	s_mul_i32 s6, s44, s8
	s_waitcnt lgkmcnt(0)
	s_add_i32 s7, s58, 0xff
	s_ashr_i32 s4, s7, 31
	s_lshr_b32 s4, s4, 24
	s_add_i32 s7, s7, s4
	s_and_saveexec_b64 s[4:5], vcc
	s_xor_b64 s[4:5], exec, s[4:5]
	s_or_saveexec_b64 s[52:53], s[4:5]
	s_ashr_i32 s33, s7, 8
	v_mov_b32_e32 v1, s38
	s_mul_i32 s54, s6, s3
	s_xor_b64 exec, exec, s[52:53]
	s_cbranch_execz .LBB282_9
; %bb.6:
	s_add_i32 s4, s33, -1
	v_or_b32_e32 v3, 64, v0
	v_mov_b32_e32 v1, s4
	v_cmp_gt_u32_e64 s[28:29], s33, v3
	s_load_dwordx4 s[40:43], s[0:1], 0x8
	s_mov_b32 s55, 0
	v_cndmask_b32_e64 v4, v1, v3, s[28:29]
	v_or_b32_e32 v3, 0x80, v0
	v_cmp_gt_u32_e64 s[26:27], s33, v3
	s_lshl_b64 s[56:57], s[54:55], 2
	s_mov_b32 s39, s55
	v_cndmask_b32_e64 v6, v1, v3, s[26:27]
	v_or_b32_e32 v3, 0xc0, v0
	v_cmp_gt_u32_e64 s[24:25], s33, v3
	v_cmp_gt_u32_e64 s[30:31], s33, v0
	s_waitcnt lgkmcnt(0)
	s_add_u32 s34, s42, s56
	v_cndmask_b32_e64 v8, v1, v3, s[24:25]
	v_or_b32_e32 v3, 0x100, v0
	v_cmp_gt_u32_e64 s[22:23], s33, v3
	v_cndmask_b32_e64 v2, v1, v0, s[30:31]
	s_addc_u32 s35, s43, s57
	v_cndmask_b32_e64 v10, v1, v3, s[22:23]
	v_or_b32_e32 v3, 0x140, v0
	v_cmp_gt_u32_e64 s[20:21], s33, v3
	s_lshl_b64 s[42:43], s[38:39], 2
	s_add_u32 s34, s34, s42
	v_cndmask_b32_e64 v12, v1, v3, s[20:21]
	v_or_b32_e32 v3, 0x180, v0
	v_cmp_gt_u32_e64 s[18:19], s33, v3
	s_addc_u32 s35, s35, s43
	v_ashrrev_i32_e32 v5, 31, v4
	v_cndmask_b32_e64 v14, v1, v3, s[18:19]
	v_or_b32_e32 v3, 0x1c0, v0
	v_cmp_gt_u32_e64 s[16:17], s33, v3
	v_ashrrev_i32_e32 v7, 31, v6
	v_ashrrev_i32_e32 v9, 31, v8
	v_cndmask_b32_e64 v16, v1, v3, s[16:17]
	v_or_b32_e32 v3, 0x200, v0
	v_cmp_gt_u32_e64 s[14:15], s33, v3
	v_ashrrev_i32_e32 v17, 31, v16
	;; [unrolled: 5-line block ×3, first 2 shown]
	v_ashrrev_i32_e32 v15, 31, v14
	v_cndmask_b32_e64 v20, v1, v3, s[12:13]
	v_or_b32_e32 v3, 0x280, v0
	v_cmp_gt_u32_e64 s[10:11], s33, v3
	v_lshlrev_b64 v[16:17], 2, v[16:17]
	v_lshlrev_b64 v[4:5], 2, v[4:5]
	v_cndmask_b32_e64 v22, v1, v3, s[10:11]
	v_or_b32_e32 v3, 0x2c0, v0
	v_cmp_gt_u32_e64 s[8:9], s33, v3
	v_lshlrev_b64 v[6:7], 2, v[6:7]
	v_lshlrev_b64 v[8:9], 2, v[8:9]
	;; [unrolled: 5-line block ×3, first 2 shown]
	v_cndmask_b32_e64 v26, v1, v3, s[6:7]
	v_or_b32_e32 v3, 0x340, v0
	v_cmp_gt_u32_e64 s[4:5], s33, v3
	v_lshlrev_b64 v[14:15], 2, v[14:15]
	v_lshl_add_u64 v[46:47], s[34:35], 0, v[16:17]
	v_cndmask_b32_e64 v28, v1, v3, s[4:5]
	v_or_b32_e32 v3, 0x380, v0
	v_cmp_gt_u32_e32 vcc, s33, v3
	v_lshl_add_u64 v[34:35], s[34:35], 0, v[4:5]
	v_lshl_add_u64 v[36:37], s[34:35], 0, v[6:7]
	v_cndmask_b32_e32 v30, v1, v3, vcc
	v_ashrrev_i32_e32 v3, 31, v2
	v_lshlrev_b64 v[2:3], 2, v[2:3]
	v_lshl_add_u64 v[32:33], s[34:35], 0, v[2:3]
	v_lshl_add_u64 v[38:39], s[34:35], 0, v[8:9]
	;; [unrolled: 1-line block ×5, first 2 shown]
	global_load_dword v1, v[32:33], off
	global_load_dword v48, v[34:35], off
	;; [unrolled: 1-line block ×7, first 2 shown]
	s_nop 0
	global_load_dword v46, v[46:47], off
	v_ashrrev_i32_e32 v19, 31, v18
	v_ashrrev_i32_e32 v21, 31, v20
	;; [unrolled: 1-line block ×4, first 2 shown]
	v_lshlrev_b64 v[18:19], 2, v[18:19]
	v_lshlrev_b64 v[20:21], 2, v[20:21]
	;; [unrolled: 1-line block ×4, first 2 shown]
	v_ashrrev_i32_e32 v27, 31, v26
	v_ashrrev_i32_e32 v29, 31, v28
	;; [unrolled: 1-line block ×3, first 2 shown]
	v_lshl_add_u64 v[32:33], s[34:35], 0, v[18:19]
	v_lshl_add_u64 v[34:35], s[34:35], 0, v[20:21]
	;; [unrolled: 1-line block ×4, first 2 shown]
	v_lshlrev_b64 v[26:27], 2, v[26:27]
	v_lshlrev_b64 v[28:29], 2, v[28:29]
	;; [unrolled: 1-line block ×3, first 2 shown]
	v_lshl_add_u64 v[40:41], s[34:35], 0, v[26:27]
	v_lshl_add_u64 v[42:43], s[34:35], 0, v[28:29]
	;; [unrolled: 1-line block ×3, first 2 shown]
	global_load_dword v32, v[32:33], off
	s_nop 0
	global_load_dword v33, v[34:35], off
	s_nop 0
	global_load_dword v34, v[36:37], off
	global_load_dword v35, v[38:39], off
	s_nop 0
	global_load_dword v36, v[40:41], off
	global_load_dword v37, v[42:43], off
	;; [unrolled: 1-line block ×3, first 2 shown]
	v_mbcnt_lo_u32_b32 v40, -1, 0
	v_mbcnt_hi_u32_b32 v40, -1, v40
	v_and_b32_e32 v41, 64, v40
	v_add_u32_e32 v41, 64, v41
	v_xor_b32_e32 v42, 32, v40
	v_cmp_lt_i32_e64 s[34:35], v42, v41
	s_mov_b32 s39, 0x3fb8aa3b
	s_waitcnt vmcnt(12)
	v_max3_f32 v39, v1, v48, v49
	v_cndmask_b32_e64 v42, v40, v42, s[34:35]
	s_waitcnt vmcnt(10)
	v_max3_f32 v39, v39, v50, v51
	v_lshlrev_b32_e32 v42, 2, v42
	s_waitcnt vmcnt(8)
	v_max3_f32 v39, v39, v52, v53
	s_waitcnt vmcnt(6)
	v_max3_f32 v39, v39, v46, v32
	;; [unrolled: 2-line block ×5, first 2 shown]
	ds_bpermute_b32 v43, v42, v39
	s_waitcnt lgkmcnt(0)
	v_max_f32_e32 v43, v43, v43
	v_max_f32_e32 v39, v39, v43
	v_xor_b32_e32 v43, 16, v40
	v_cmp_lt_i32_e64 s[34:35], v43, v41
	s_nop 1
	v_cndmask_b32_e64 v43, v40, v43, s[34:35]
	v_lshlrev_b32_e32 v43, 2, v43
	ds_bpermute_b32 v44, v43, v39
	s_waitcnt lgkmcnt(0)
	v_max_f32_e32 v44, v44, v44
	v_max_f32_e32 v39, v39, v44
	v_xor_b32_e32 v44, 8, v40
	v_cmp_lt_i32_e64 s[34:35], v44, v41
	s_nop 1
	v_cndmask_b32_e64 v44, v40, v44, s[34:35]
	v_lshlrev_b32_e32 v44, 2, v44
	ds_bpermute_b32 v45, v44, v39
	s_waitcnt lgkmcnt(0)
	v_max_f32_e32 v45, v45, v45
	v_max_f32_e32 v39, v39, v45
	v_xor_b32_e32 v45, 4, v40
	v_cmp_lt_i32_e64 s[34:35], v45, v41
	s_nop 1
	v_cndmask_b32_e64 v45, v40, v45, s[34:35]
	s_add_u32 s34, s40, s56
	s_addc_u32 s35, s41, s57
	s_add_u32 s40, s34, s42
	s_addc_u32 s41, s35, s43
	v_lshlrev_b32_e32 v45, 2, v45
	v_lshl_add_u64 v[2:3], s[40:41], 0, v[2:3]
	global_load_dword v47, v[2:3], off
	ds_bpermute_b32 v2, v45, v39
	s_waitcnt lgkmcnt(0)
	v_max_f32_e32 v2, v2, v2
	v_max_f32_e32 v39, v39, v2
	v_xor_b32_e32 v2, 2, v40
	v_cmp_lt_i32_e64 s[34:35], v2, v41
	s_nop 1
	v_cndmask_b32_e64 v2, v40, v2, s[34:35]
	v_lshlrev_b32_e32 v54, 2, v2
	ds_bpermute_b32 v55, v54, v39
	v_lshl_add_u64 v[2:3], s[40:41], 0, v[4:5]
	global_load_dword v56, v[2:3], off
	v_lshl_add_u64 v[4:5], s[40:41], 0, v[8:9]
	v_lshl_add_u64 v[8:9], s[40:41], 0, v[12:13]
	s_waitcnt lgkmcnt(0)
	v_max_f32_e32 v2, v55, v55
	v_max_f32_e32 v39, v39, v2
	v_xor_b32_e32 v2, 1, v40
	v_cmp_lt_i32_e64 s[34:35], v2, v41
	v_lshl_add_u64 v[12:13], s[40:41], 0, v[16:17]
	s_nop 0
	v_cndmask_b32_e64 v2, v40, v2, s[34:35]
	v_lshlrev_b32_e32 v40, 2, v2
	v_lshl_add_u64 v[2:3], s[40:41], 0, v[6:7]
	v_lshl_add_u64 v[6:7], s[40:41], 0, v[10:11]
	;; [unrolled: 1-line block ×3, first 2 shown]
	global_load_dword v16, v[2:3], off
	global_load_dword v17, v[4:5], off
	;; [unrolled: 1-line block ×6, first 2 shown]
	ds_bpermute_b32 v41, v40, v39
	v_lshl_add_u64 v[2:3], s[40:41], 0, v[18:19]
	v_lshl_add_u64 v[4:5], s[40:41], 0, v[20:21]
	;; [unrolled: 1-line block ×4, first 2 shown]
	s_waitcnt lgkmcnt(0)
	v_max_f32_e32 v18, v41, v41
	v_max_f32_e32 v18, v39, v18
	v_sub_f32_e32 v1, v1, v18
	v_lshl_add_u64 v[10:11], s[40:41], 0, v[26:27]
	v_mul_f32_e32 v19, 0x3fb8aa3b, v1
	v_lshl_add_u64 v[12:13], s[40:41], 0, v[28:29]
	v_lshl_add_u64 v[14:15], s[40:41], 0, v[30:31]
	v_fma_f32 v20, v1, s39, -v19
	v_rndne_f32_e32 v21, v19
	global_load_dword v2, v[2:3], off
	s_nop 0
	global_load_dword v3, v[4:5], off
	s_nop 0
	global_load_dword v4, v[6:7], off
	global_load_dword v5, v[8:9], off
	s_nop 0
	global_load_dword v6, v[10:11], off
	global_load_dword v7, v[12:13], off
	;; [unrolled: 1-line block ×3, first 2 shown]
	v_sub_f32_e32 v11, v48, v18
	v_fmac_f32_e32 v20, 0x32a5705f, v1
	v_sub_f32_e32 v19, v19, v21
	v_mul_f32_e32 v12, 0x3fb8aa3b, v11
	v_add_f32_e32 v19, v19, v20
	v_fma_f32 v13, v11, s39, -v12
	v_rndne_f32_e32 v14, v12
	v_exp_f32_e32 v19, v19
	v_cvt_i32_f32_e32 v20, v21
	v_fmac_f32_e32 v13, 0x32a5705f, v11
	v_sub_f32_e32 v12, v12, v14
	v_add_f32_e32 v12, v12, v13
	v_exp_f32_e32 v12, v12
	v_cvt_i32_f32_e32 v13, v14
	s_mov_b32 s40, 0xc2ce8ed0
	v_ldexp_f32 v9, v19, v20
	v_cmp_ngt_f32_e64 s[34:35], s40, v1
	s_mov_b32 s41, 0x42b17218
	v_mov_b32_e32 v10, 0x7f800000
	v_cndmask_b32_e64 v9, 0, v9, s[34:35]
	v_cmp_nlt_f32_e64 s[34:35], s41, v1
	s_nop 1
	v_cndmask_b32_e64 v1, v10, v9, s[34:35]
	v_ldexp_f32 v9, v12, v13
	v_sub_f32_e32 v12, v49, v18
	v_mul_f32_e32 v13, 0x3fb8aa3b, v12
	v_fma_f32 v14, v12, s39, -v13
	v_rndne_f32_e32 v15, v13
	v_fmac_f32_e32 v14, 0x32a5705f, v12
	v_sub_f32_e32 v13, v13, v15
	v_add_f32_e32 v13, v13, v14
	v_exp_f32_e32 v13, v13
	v_cvt_i32_f32_e32 v14, v15
	v_cndmask_b32_e64 v1, 0, v1, s[30:31]
	v_cmp_ngt_f32_e64 s[30:31], s40, v11
	s_waitcnt vmcnt(14)
	v_mul_f32_e32 v1, v47, v1
	v_cndmask_b32_e64 v9, 0, v9, s[30:31]
	v_cmp_nlt_f32_e64 s[30:31], s41, v11
	v_ldexp_f32 v11, v13, v14
	v_sub_f32_e32 v13, v50, v18
	v_mul_f32_e32 v14, 0x3fb8aa3b, v13
	v_fma_f32 v15, v13, s39, -v14
	v_rndne_f32_e32 v19, v14
	v_fmac_f32_e32 v15, 0x32a5705f, v13
	v_sub_f32_e32 v14, v14, v19
	v_add_f32_e32 v14, v14, v15
	v_exp_f32_e32 v14, v14
	v_cvt_i32_f32_e32 v15, v19
	v_cndmask_b32_e64 v9, v10, v9, s[30:31]
	v_cndmask_b32_e64 v9, 0, v9, s[28:29]
	v_cmp_ngt_f32_e64 s[28:29], s40, v12
	s_waitcnt vmcnt(13)
	v_mul_f32_e32 v9, v56, v9
	v_cndmask_b32_e64 v11, 0, v11, s[28:29]
	v_cmp_nlt_f32_e64 s[28:29], s41, v12
	v_ldexp_f32 v12, v14, v15
	v_sub_f32_e32 v14, v51, v18
	v_cndmask_b32_e64 v11, v10, v11, s[28:29]
	v_cndmask_b32_e64 v11, 0, v11, s[26:27]
	v_mul_f32_e32 v15, 0x3fb8aa3b, v14
	s_waitcnt vmcnt(12)
	v_mul_f32_e32 v11, v16, v11
	v_fma_f32 v16, v14, s39, -v15
	v_rndne_f32_e32 v19, v15
	v_fmac_f32_e32 v16, 0x32a5705f, v14
	v_sub_f32_e32 v15, v15, v19
	v_add_f32_e32 v15, v15, v16
	v_exp_f32_e32 v15, v15
	v_cvt_i32_f32_e32 v16, v19
	v_cmp_ngt_f32_e64 s[26:27], s40, v13
	s_nop 1
	v_cndmask_b32_e64 v12, 0, v12, s[26:27]
	v_cmp_nlt_f32_e64 s[26:27], s41, v13
	v_ldexp_f32 v13, v15, v16
	v_sub_f32_e32 v15, v52, v18
	v_cndmask_b32_e64 v12, v10, v12, s[26:27]
	v_cndmask_b32_e64 v12, 0, v12, s[24:25]
	v_mul_f32_e32 v16, 0x3fb8aa3b, v15
	s_waitcnt vmcnt(11)
	v_mul_f32_e32 v12, v17, v12
	v_fma_f32 v17, v15, s39, -v16
	v_rndne_f32_e32 v19, v16
	v_fmac_f32_e32 v17, 0x32a5705f, v15
	v_sub_f32_e32 v16, v16, v19
	v_add_f32_e32 v16, v16, v17
	v_exp_f32_e32 v16, v16
	v_cvt_i32_f32_e32 v17, v19
	v_cmp_ngt_f32_e64 s[24:25], s40, v14
	s_nop 1
	v_cndmask_b32_e64 v13, 0, v13, s[24:25]
	v_cmp_nlt_f32_e64 s[24:25], s41, v14
	v_ldexp_f32 v14, v16, v17
	v_sub_f32_e32 v16, v53, v18
	v_mul_f32_e32 v17, 0x3fb8aa3b, v16
	v_fma_f32 v19, v16, s39, -v17
	v_rndne_f32_e32 v20, v17
	v_fmac_f32_e32 v19, 0x32a5705f, v16
	v_sub_f32_e32 v17, v17, v20
	v_add_f32_e32 v17, v17, v19
	v_exp_f32_e32 v17, v17
	v_cvt_i32_f32_e32 v19, v20
	v_cndmask_b32_e64 v13, v10, v13, s[24:25]
	v_cndmask_b32_e64 v13, 0, v13, s[22:23]
	v_cmp_ngt_f32_e64 s[22:23], s40, v15
	s_waitcnt vmcnt(10)
	v_mul_f32_e32 v13, v55, v13
	v_cndmask_b32_e64 v14, 0, v14, s[22:23]
	v_cmp_nlt_f32_e64 s[22:23], s41, v15
	v_ldexp_f32 v15, v17, v19
	v_sub_f32_e32 v17, v46, v18
	v_mul_f32_e32 v19, 0x3fb8aa3b, v17
	v_fma_f32 v20, v17, s39, -v19
	v_rndne_f32_e32 v21, v19
	v_fmac_f32_e32 v20, 0x32a5705f, v17
	v_sub_f32_e32 v19, v19, v21
	v_add_f32_e32 v19, v19, v20
	v_exp_f32_e32 v19, v19
	v_cvt_i32_f32_e32 v20, v21
	v_cndmask_b32_e64 v14, v10, v14, s[22:23]
	v_cndmask_b32_e64 v14, 0, v14, s[20:21]
	v_cmp_ngt_f32_e64 s[20:21], s40, v16
	s_waitcnt vmcnt(9)
	v_mul_f32_e32 v14, v57, v14
	;; [unrolled: 17-line block ×3, first 2 shown]
	v_cndmask_b32_e64 v16, 0, v16, s[18:19]
	v_cmp_nlt_f32_e64 s[18:19], s41, v17
	v_ldexp_f32 v17, v20, v21
	v_sub_f32_e32 v20, v33, v18
	v_mul_f32_e32 v21, 0x3fb8aa3b, v20
	v_fma_f32 v22, v20, s39, -v21
	v_rndne_f32_e32 v23, v21
	v_fmac_f32_e32 v22, 0x32a5705f, v20
	v_sub_f32_e32 v21, v21, v23
	v_cndmask_b32_e64 v16, v10, v16, s[18:19]
	v_add_f32_e32 v21, v21, v22
	v_cndmask_b32_e64 v16, 0, v16, s[16:17]
	v_cmp_ngt_f32_e64 s[16:17], s40, v19
	v_exp_f32_e32 v21, v21
	v_cvt_i32_f32_e32 v22, v23
	v_cndmask_b32_e64 v17, 0, v17, s[16:17]
	v_cmp_nlt_f32_e64 s[16:17], s41, v19
	v_sub_f32_e32 v19, v34, v18
	s_waitcnt vmcnt(7)
	v_mul_f32_e32 v16, v59, v16
	v_cndmask_b32_e64 v17, v10, v17, s[16:17]
	v_cndmask_b32_e64 v17, 0, v17, s[14:15]
	s_waitcnt vmcnt(6)
	v_mul_f32_e32 v2, v2, v17
	v_ldexp_f32 v17, v21, v22
	v_mul_f32_e32 v21, 0x3fb8aa3b, v19
	v_fma_f32 v22, v19, s39, -v21
	v_rndne_f32_e32 v23, v21
	v_fmac_f32_e32 v22, 0x32a5705f, v19
	v_sub_f32_e32 v21, v21, v23
	v_add_f32_e32 v21, v21, v22
	v_cmp_ngt_f32_e64 s[14:15], s40, v20
	v_exp_f32_e32 v21, v21
	v_cvt_i32_f32_e32 v22, v23
	v_cndmask_b32_e64 v17, 0, v17, s[14:15]
	v_cmp_nlt_f32_e64 s[14:15], s41, v20
	v_sub_f32_e32 v20, v35, v18
	s_nop 0
	v_cndmask_b32_e64 v17, v10, v17, s[14:15]
	v_cndmask_b32_e64 v17, 0, v17, s[12:13]
	s_waitcnt vmcnt(5)
	v_mul_f32_e32 v3, v3, v17
	v_ldexp_f32 v17, v21, v22
	v_mul_f32_e32 v21, 0x3fb8aa3b, v20
	v_fma_f32 v22, v20, s39, -v21
	v_rndne_f32_e32 v23, v21
	v_fmac_f32_e32 v22, 0x32a5705f, v20
	v_sub_f32_e32 v21, v21, v23
	v_add_f32_e32 v21, v21, v22
	v_cmp_ngt_f32_e64 s[12:13], s40, v19
	v_exp_f32_e32 v21, v21
	v_cvt_i32_f32_e32 v22, v23
	v_cndmask_b32_e64 v17, 0, v17, s[12:13]
	v_cmp_nlt_f32_e64 s[12:13], s41, v19
	v_sub_f32_e32 v19, v36, v18
	s_nop 0
	v_cndmask_b32_e64 v17, v10, v17, s[12:13]
	v_cndmask_b32_e64 v17, 0, v17, s[10:11]
	s_waitcnt vmcnt(4)
	v_mul_f32_e32 v4, v4, v17
	v_ldexp_f32 v17, v21, v22
	v_mul_f32_e32 v21, 0x3fb8aa3b, v19
	v_fma_f32 v22, v19, s39, -v21
	v_rndne_f32_e32 v23, v21
	v_fmac_f32_e32 v22, 0x32a5705f, v19
	v_sub_f32_e32 v21, v21, v23
	v_add_f32_e32 v21, v21, v22
	v_exp_f32_e32 v21, v21
	v_cvt_i32_f32_e32 v22, v23
	v_cmp_ngt_f32_e64 s[10:11], s40, v20
	s_nop 1
	v_cndmask_b32_e64 v17, 0, v17, s[10:11]
	v_cmp_nlt_f32_e64 s[10:11], s41, v20
	v_ldexp_f32 v20, v21, v22
	v_sub_f32_e32 v21, v37, v18
	v_mul_f32_e32 v22, 0x3fb8aa3b, v21
	v_fma_f32 v23, v21, s39, -v22
	v_rndne_f32_e32 v24, v22
	v_fmac_f32_e32 v23, 0x32a5705f, v21
	v_sub_f32_e32 v22, v22, v24
	v_add_f32_e32 v22, v22, v23
	v_exp_f32_e32 v22, v22
	v_cvt_i32_f32_e32 v23, v24
	v_cndmask_b32_e64 v17, v10, v17, s[10:11]
	v_cndmask_b32_e64 v17, 0, v17, s[8:9]
	v_cmp_ngt_f32_e64 s[8:9], s40, v19
	v_sub_f32_e32 v18, v38, v18
	s_nop 0
	v_cndmask_b32_e64 v20, 0, v20, s[8:9]
	v_cmp_nlt_f32_e64 s[8:9], s41, v19
	s_nop 1
	v_cndmask_b32_e64 v19, v10, v20, s[8:9]
	v_ldexp_f32 v20, v22, v23
	v_mul_f32_e32 v22, 0x3fb8aa3b, v18
	v_fma_f32 v23, v18, s39, -v22
	v_rndne_f32_e32 v24, v22
	v_fmac_f32_e32 v23, 0x32a5705f, v18
	v_sub_f32_e32 v22, v22, v24
	v_add_f32_e32 v22, v22, v23
	v_exp_f32_e32 v22, v22
	v_cvt_i32_f32_e32 v23, v24
	v_cndmask_b32_e64 v19, 0, v19, s[6:7]
	v_cmp_ngt_f32_e64 s[6:7], s40, v21
	s_nop 1
	v_cndmask_b32_e64 v20, 0, v20, s[6:7]
	v_cmp_nlt_f32_e64 s[6:7], s41, v21
	v_ldexp_f32 v21, v22, v23
	s_nop 0
	v_cndmask_b32_e64 v20, v10, v20, s[6:7]
	v_cndmask_b32_e64 v20, 0, v20, s[4:5]
	v_cmp_ngt_f32_e64 s[4:5], s40, v18
	s_nop 1
	v_cndmask_b32_e64 v21, 0, v21, s[4:5]
	v_cmp_nlt_f32_e64 s[4:5], s41, v18
	v_add_f32_e32 v18, v1, v9
	v_add_f32_e32 v18, v18, v11
	;; [unrolled: 1-line block ×10, first 2 shown]
	s_waitcnt vmcnt(3)
	v_fmac_f32_e32 v18, v5, v17
	v_cndmask_b32_e64 v10, v10, v21, s[4:5]
	s_waitcnt vmcnt(2)
	v_fmac_f32_e32 v18, v6, v19
	v_cndmask_b32_e32 v10, 0, v10, vcc
	s_waitcnt vmcnt(1)
	v_fmac_f32_e32 v18, v7, v20
	s_waitcnt vmcnt(0)
	v_fmac_f32_e32 v18, v8, v10
	ds_bpermute_b32 v21, v42, v18
	v_mul_f32_e32 v5, v5, v17
	v_mul_f32_e32 v8, v8, v10
	v_lshlrev_b32_e32 v10, 2, v0
	ds_write2st64_b32 v10, v1, v9 offset1:1
	s_waitcnt lgkmcnt(1)
	v_add_f32_e32 v18, v18, v21
	ds_bpermute_b32 v21, v43, v18
	ds_write2st64_b32 v10, v11, v12 offset0:2 offset1:3
	ds_write2st64_b32 v10, v13, v14 offset0:4 offset1:5
	;; [unrolled: 1-line block ×4, first 2 shown]
	v_cmp_eq_u32_e32 vcc, 0, v0
	v_mul_f32_e32 v6, v6, v19
	v_mul_f32_e32 v7, v7, v20
	s_waitcnt lgkmcnt(4)
	v_add_f32_e32 v18, v18, v21
	ds_bpermute_b32 v21, v44, v18
	ds_write2st64_b32 v10, v4, v5 offset0:10 offset1:11
	ds_write2st64_b32 v10, v6, v7 offset0:12 offset1:13
	ds_write_b32 v10, v8 offset:3584
	s_waitcnt lgkmcnt(3)
	v_add_f32_e32 v17, v18, v21
	ds_bpermute_b32 v18, v45, v17
	s_waitcnt lgkmcnt(0)
	v_add_f32_e32 v1, v17, v18
	ds_bpermute_b32 v9, v54, v1
	;; [unrolled: 3-line block ×3, first 2 shown]
	s_and_saveexec_b64 s[4:5], vcc
	s_cbranch_execz .LBB282_8
; %bb.7:
	s_waitcnt lgkmcnt(0)
	v_add_f32_e32 v1, v1, v2
	v_mov_b32_e32 v2, 0
	ds_write_b32 v2, v1 offset:3840
.LBB282_8:
	s_or_b64 exec, exec, s[4:5]
	v_mov_b32_e32 v1, s38
.LBB282_9:
	s_or_b64 exec, exec, s[52:53]
	s_lshl_b32 s4, s54, 7
	s_mov_b32 s5, 0
	s_lshl_b64 s[4:5], s[4:5], 1
	s_add_u32 s4, s36, s4
	s_addc_u32 s5, s37, s5
	s_lshl_b32 s10, s33, 7
	s_add_i32 s11, s10, 0xffffff80
	s_waitcnt lgkmcnt(0)
	v_lshlrev_b32_e32 v2, 7, v1
	v_mov_b32_e32 v3, 0
	s_cmp_lt_i32 s58, 1
	v_lshl_add_u64 v[4:5], v[2:3], 1, s[4:5]
	s_cselect_b32 s4, s11, 0
	v_lshlrev_b32_e32 v2, 1, v0
	s_ashr_i32 s5, s4, 31
	v_lshl_add_u64 v[0:1], v[4:5], 0, v[2:3]
	s_cmpk_lt_i32 s58, 0x101
	v_lshl_add_u64 v[12:13], s[4:5], 1, v[0:1]
	s_cselect_b32 s4, s11, 0x80
	s_ashr_i32 s5, s4, 31
	s_cmpk_lt_i32 s58, 0x201
	v_lshl_add_u64 v[14:15], s[4:5], 1, v[0:1]
	s_cselect_b32 s4, s11, 0x100
	s_ashr_i32 s5, s4, 31
	;; [unrolled: 4-line block ×8, first 2 shown]
	s_cmpk_lt_i32 s58, 0x901
	global_load_ushort v4, v[12:13], off
	global_load_ushort v5, v[14:15], off
	;; [unrolled: 1-line block ×8, first 2 shown]
	v_lshl_add_u64 v[20:21], s[4:5], 1, v[0:1]
	s_cselect_b32 s4, s11, 0x480
	s_ashr_i32 s5, s4, 31
	s_cmpk_lt_i32 s58, 0xa01
	v_lshl_add_u64 v[22:23], s[4:5], 1, v[0:1]
	s_cselect_b32 s4, s11, 0x500
	s_ashr_i32 s5, s4, 31
	s_cmpk_lt_i32 s58, 0xb01
	;; [unrolled: 4-line block ×6, first 2 shown]
	v_lshl_add_u64 v[32:33], s[4:5], 1, v[0:1]
	s_cselect_b32 s4, s11, 0x780
	s_ashr_i32 s5, s4, 31
	v_lshl_add_u64 v[34:35], s[4:5], 1, v[0:1]
	global_load_ushort v12, v[20:21], off
	global_load_ushort v13, v[22:23], off
	;; [unrolled: 1-line block ×8, first 2 shown]
	s_cmpk_gt_i32 s58, 0x1000
	s_cselect_b64 s[8:9], -1, 0
	s_cmpk_lt_i32 s58, 0x1001
	v_mov_b32_e32 v36, 0
	v_mov_b32_e32 v37, 0
	;; [unrolled: 1-line block ×48, first 2 shown]
	s_barrier
	s_cbranch_scc1 .LBB282_12
; %bb.10:
	s_cmpk_lt_u32 s58, 0x1101
	s_cselect_b32 s4, s11, 0x880
	s_ashr_i32 s5, s4, 31
	s_cmpk_lt_u32 s58, 0x1201
	v_lshl_add_u64 v[30:31], s[4:5], 1, v[0:1]
	s_cselect_b32 s4, s11, 0x900
	s_ashr_i32 s5, s4, 31
	s_cmpk_lt_u32 s58, 0x1301
	v_lshl_add_u64 v[32:33], s[4:5], 1, v[0:1]
	;; [unrolled: 4-line block ×7, first 2 shown]
	s_cselect_b32 s4, s11, 0xc00
	v_add_co_u32_e32 v28, vcc, 0x1000, v0
	s_ashr_i32 s5, s4, 31
	s_nop 0
	v_addc_co_u32_e32 v29, vcc, 0, v1, vcc
	s_cmpk_lt_u32 s58, 0x1901
	global_load_ushort v27, v[28:29], off
	global_load_ushort v26, v[30:31], off
	;; [unrolled: 1-line block ×8, first 2 shown]
	v_lshl_add_u64 v[36:37], s[4:5], 1, v[0:1]
	s_cselect_b32 s4, s11, 0xc80
	s_ashr_i32 s5, s4, 31
	s_cmpk_lt_u32 s58, 0x1a01
	v_lshl_add_u64 v[38:39], s[4:5], 1, v[0:1]
	s_cselect_b32 s4, s11, 0xd00
	s_ashr_i32 s5, s4, 31
	s_cmpk_lt_u32 s58, 0x1b01
	;; [unrolled: 4-line block ×6, first 2 shown]
	v_lshl_add_u64 v[48:49], s[4:5], 1, v[0:1]
	s_cselect_b32 s4, s11, 0xf80
	s_ashr_i32 s5, s4, 31
	v_lshl_add_u64 v[50:51], s[4:5], 1, v[0:1]
	global_load_ushort v35, v[36:37], off
	global_load_ushort v34, v[38:39], off
	;; [unrolled: 1-line block ×8, first 2 shown]
	s_cmpk_lt_u32 s58, 0x2001
	v_mov_b32_e32 v67, 0
	v_mov_b32_e32 v66, 0
	;; [unrolled: 1-line block ×32, first 2 shown]
	s_cbranch_scc1 .LBB282_12
; %bb.11:
	s_cmpk_lt_u32 s58, 0x2101
	s_cselect_b32 s4, s11, 0x1080
	s_ashr_i32 s5, s4, 31
	s_cmpk_lt_u32 s58, 0x2201
	v_lshl_add_u64 v[38:39], s[4:5], 1, v[0:1]
	s_cselect_b32 s4, s11, 0x1100
	s_ashr_i32 s5, s4, 31
	s_cmpk_lt_u32 s58, 0x2301
	v_lshl_add_u64 v[40:41], s[4:5], 1, v[0:1]
	;; [unrolled: 4-line block ×7, first 2 shown]
	s_cselect_b32 s4, s11, 0x1400
	v_add_co_u32_e32 v36, vcc, 0x2000, v0
	s_ashr_i32 s5, s4, 31
	s_nop 0
	v_addc_co_u32_e32 v37, vcc, 0, v1, vcc
	s_cmpk_lt_u32 s58, 0x2901
	global_load_ushort v52, v[36:37], off
	global_load_ushort v53, v[38:39], off
	;; [unrolled: 1-line block ×8, first 2 shown]
	v_lshl_add_u64 v[36:37], s[4:5], 1, v[0:1]
	s_cselect_b32 s4, s11, 0x1480
	s_ashr_i32 s5, s4, 31
	s_cmpk_lt_u32 s58, 0x2a01
	v_lshl_add_u64 v[38:39], s[4:5], 1, v[0:1]
	s_cselect_b32 s4, s11, 0x1500
	s_ashr_i32 s5, s4, 31
	s_cmpk_lt_u32 s58, 0x2b01
	;; [unrolled: 4-line block ×8, first 2 shown]
	global_load_ushort v68, v[36:37], off
	global_load_ushort v69, v[38:39], off
	;; [unrolled: 1-line block ×8, first 2 shown]
	v_lshl_add_u64 v[36:37], s[4:5], 1, v[0:1]
	s_cselect_b32 s4, s11, 0x1880
	s_ashr_i32 s5, s4, 31
	s_cmpk_lt_u32 s58, 0x3201
	v_lshl_add_u64 v[38:39], s[4:5], 1, v[0:1]
	s_cselect_b32 s4, s11, 0x1900
	s_ashr_i32 s5, s4, 31
	s_cmpk_lt_u32 s58, 0x3301
	;; [unrolled: 4-line block ×8, first 2 shown]
	global_load_ushort v76, v[36:37], off
	global_load_ushort v77, v[38:39], off
	;; [unrolled: 1-line block ×8, first 2 shown]
	v_lshl_add_u64 v[36:37], s[4:5], 1, v[0:1]
	s_cselect_b32 s4, s11, 0x1c80
	s_ashr_i32 s5, s4, 31
	s_cmpk_lt_u32 s58, 0x3a01
	v_lshl_add_u64 v[38:39], s[4:5], 1, v[0:1]
	s_cselect_b32 s4, s11, 0x1d00
	s_ashr_i32 s5, s4, 31
	s_cmpk_lt_u32 s58, 0x3b01
	;; [unrolled: 4-line block ×6, first 2 shown]
	v_lshl_add_u64 v[48:49], s[4:5], 1, v[0:1]
	s_cselect_b32 s4, s11, 0x1f80
	s_ashr_i32 s5, s4, 31
	v_lshl_add_u64 v[50:51], s[4:5], 1, v[0:1]
	global_load_ushort v84, v[36:37], off
	global_load_ushort v85, v[38:39], off
	;; [unrolled: 1-line block ×8, first 2 shown]
	s_waitcnt vmcnt(31)
	v_cvt_f32_f16_e32 v67, v52
	s_waitcnt vmcnt(30)
	v_cvt_f32_f16_e32 v66, v53
	;; [unrolled: 2-line block ×32, first 2 shown]
.LBB282_12:
	ds_read_b128 v[68:71], v3
	s_load_dwordx2 s[4:5], s[0:1], 0x0
	s_load_dwordx2 s[6:7], s[0:1], 0x38
	ds_read_b128 v[72:75], v3 offset:16
	ds_read_b128 v[76:79], v3 offset:32
	;; [unrolled: 1-line block ×3, first 2 shown]
	s_and_b64 vcc, exec, s[8:9]
	s_waitcnt vmcnt(15) lgkmcnt(0)
	v_fma_mix_f32 v4, v68, v4, 0 op_sel_hi:[0,1,0]
	s_waitcnt vmcnt(14)
	v_fma_mix_f32 v4, v69, v5, v4 op_sel_hi:[0,1,0]
	s_waitcnt vmcnt(13)
	;; [unrolled: 2-line block ×15, first 2 shown]
	v_fma_mix_f32 v4, v83, v19, v4 op_sel_hi:[0,1,0]
	s_cbranch_vccz .LBB282_15
; %bb.13:
	ds_read_b128 v[6:9], v3 offset:64
	ds_read_b128 v[10:13], v3 offset:80
	;; [unrolled: 1-line block ×4, first 2 shown]
	s_cmpk_lt_u32 s58, 0x2001
	s_waitcnt lgkmcnt(3)
	v_fma_mix_f32 v3, v6, v27, v4 op_sel_hi:[0,1,0]
	v_fma_mix_f32 v3, v7, v26, v3 op_sel_hi:[0,1,0]
	v_fma_mix_f32 v3, v8, v25, v3 op_sel_hi:[0,1,0]
	v_fma_mix_f32 v3, v9, v24, v3 op_sel_hi:[0,1,0]
	s_waitcnt lgkmcnt(2)
	v_fma_mix_f32 v3, v10, v23, v3 op_sel_hi:[0,1,0]
	v_fma_mix_f32 v3, v11, v22, v3 op_sel_hi:[0,1,0]
	v_fma_mix_f32 v3, v12, v21, v3 op_sel_hi:[0,1,0]
	v_fma_mix_f32 v3, v13, v20, v3 op_sel_hi:[0,1,0]
	;; [unrolled: 5-line block ×4, first 2 shown]
	s_cbranch_scc1 .LBB282_15
; %bb.14:
	v_mov_b32_e32 v3, 0
	ds_read_b128 v[6:9], v3 offset:128
	ds_read_b128 v[10:13], v3 offset:144
	;; [unrolled: 1-line block ×4, first 2 shown]
	s_waitcnt lgkmcnt(3)
	v_fmac_f32_e32 v4, v6, v67
	v_fmac_f32_e32 v4, v7, v66
	v_fmac_f32_e32 v4, v8, v65
	v_fmac_f32_e32 v4, v9, v64
	s_waitcnt lgkmcnt(2)
	v_fmac_f32_e32 v4, v10, v63
	v_fmac_f32_e32 v4, v11, v62
	v_fmac_f32_e32 v4, v12, v61
	v_fmac_f32_e32 v4, v13, v60
	s_waitcnt lgkmcnt(1)
	v_fmac_f32_e32 v4, v14, v59
	v_fmac_f32_e32 v4, v15, v58
	v_fmac_f32_e32 v4, v16, v57
	v_fmac_f32_e32 v4, v17, v56
	ds_read_b128 v[6:9], v3 offset:192
	ds_read_b128 v[10:13], v3 offset:208
	s_waitcnt lgkmcnt(2)
	v_fmac_f32_e32 v4, v18, v55
	v_fmac_f32_e32 v4, v19, v54
	;; [unrolled: 1-line block ×4, first 2 shown]
	s_waitcnt lgkmcnt(1)
	v_fmac_f32_e32 v4, v6, v51
	v_fmac_f32_e32 v4, v7, v50
	;; [unrolled: 1-line block ×4, first 2 shown]
	ds_read_b128 v[6:9], v3 offset:224
	s_waitcnt lgkmcnt(1)
	v_fmac_f32_e32 v4, v10, v47
	v_fmac_f32_e32 v4, v11, v46
	;; [unrolled: 1-line block ×4, first 2 shown]
	ds_read_b128 v[10:13], v3 offset:240
	s_waitcnt lgkmcnt(1)
	v_fmac_f32_e32 v4, v6, v43
	v_fmac_f32_e32 v4, v7, v42
	;; [unrolled: 1-line block ×4, first 2 shown]
	s_waitcnt lgkmcnt(0)
	v_fmac_f32_e32 v4, v10, v39
	v_fmac_f32_e32 v4, v11, v38
	;; [unrolled: 1-line block ×4, first 2 shown]
.LBB282_15:
	s_movk_i32 s0, 0x3f80
	s_movk_i32 s1, 0x100
	s_mov_b32 s8, 64
	s_branch .LBB282_17
.LBB282_16:                             ;   in Loop: Header=BB282_17 Depth=1
	s_addk_i32 s0, 0x2000
	s_addk_i32 s1, 0x100
	s_add_i32 s8, s8, 64
	s_cmp_eq_u32 s0, 0x1ff80
	s_cbranch_scc1 .LBB282_19
.LBB282_17:                             ; =>This Inner Loop Header: Depth=1
	s_cmp_le_i32 s33, s8
	s_cbranch_scc1 .LBB282_16
; %bb.18:                               ;   in Loop: Header=BB282_17 Depth=1
	s_add_i32 s9, s0, 0xffffe080
	s_cmp_lt_i32 s9, s10
	s_cselect_b32 s12, s9, s11
	s_ashr_i32 s13, s12, 31
	s_add_i32 s9, s0, 0xffffe100
	s_cmp_lt_i32 s9, s10
	v_lshl_add_u64 v[12:13], s[12:13], 1, v[0:1]
	s_cselect_b32 s12, s9, s11
	s_ashr_i32 s13, s12, 31
	s_add_i32 s9, s0, 0xffffe180
	s_cmp_lt_i32 s9, s10
	v_lshl_add_u64 v[14:15], s[12:13], 1, v[0:1]
	;; [unrolled: 5-line block ×8, first 2 shown]
	s_cselect_b32 s12, s9, s11
	s_ashr_i32 s13, s12, 31
	s_add_i32 s9, s0, 0xffffe500
	s_cmp_lt_i32 s9, s10
	global_load_ushort v3, v[12:13], off
	global_load_ushort v5, v[14:15], off
	global_load_ushort v6, v[16:17], off
	global_load_ushort v7, v[18:19], off
	global_load_ushort v8, v[20:21], off
	global_load_ushort v9, v[22:23], off
	global_load_ushort v10, v[24:25], off
	global_load_ushort v11, v[26:27], off
	v_lshl_add_u64 v[12:13], s[12:13], 1, v[0:1]
	s_cselect_b32 s12, s9, s11
	s_ashr_i32 s13, s12, 31
	s_add_i32 s9, s0, 0xffffe580
	s_cmp_lt_i32 s9, s10
	v_lshl_add_u64 v[14:15], s[12:13], 1, v[0:1]
	s_cselect_b32 s12, s9, s11
	s_ashr_i32 s13, s12, 31
	s_add_i32 s9, s0, 0xffffe600
	s_cmp_lt_i32 s9, s10
	v_lshl_add_u64 v[16:17], s[12:13], 1, v[0:1]
	s_cselect_b32 s12, s9, s11
	s_ashr_i32 s13, s12, 31
	s_add_i32 s9, s0, 0xffffe680
	s_cmp_lt_i32 s9, s10
	v_lshl_add_u64 v[18:19], s[12:13], 1, v[0:1]
	s_cselect_b32 s12, s9, s11
	s_ashr_i32 s13, s12, 31
	s_add_i32 s9, s0, 0xffffe700
	s_cmp_lt_i32 s9, s10
	v_lshl_add_u64 v[20:21], s[12:13], 1, v[0:1]
	s_cselect_b32 s12, s9, s11
	s_ashr_i32 s13, s12, 31
	s_add_i32 s9, s0, 0xffffe780
	s_cmp_lt_i32 s9, s10
	v_lshl_add_u64 v[22:23], s[12:13], 1, v[0:1]
	s_cselect_b32 s12, s9, s11
	s_ashr_i32 s13, s12, 31
	s_add_i32 s9, s0, 0xffffe800
	s_cmp_lt_i32 s9, s10
	v_lshl_add_u64 v[24:25], s[12:13], 1, v[0:1]
	s_cselect_b32 s12, s9, s11
	s_ashr_i32 s13, s12, 31
	s_add_i32 s9, s0, 0xffffe880
	s_cmp_lt_i32 s9, s10
	v_lshl_add_u64 v[26:27], s[12:13], 1, v[0:1]
	s_cselect_b32 s12, s9, s11
	s_ashr_i32 s13, s12, 31
	s_add_i32 s9, s0, 0xffffe900
	s_cmp_lt_i32 s9, s10
	global_load_ushort v28, v[12:13], off
	global_load_ushort v29, v[14:15], off
	global_load_ushort v30, v[16:17], off
	global_load_ushort v31, v[18:19], off
	global_load_ushort v32, v[20:21], off
	global_load_ushort v33, v[22:23], off
	global_load_ushort v34, v[24:25], off
	global_load_ushort v35, v[26:27], off
	v_lshl_add_u64 v[12:13], s[12:13], 1, v[0:1]
	s_cselect_b32 s12, s9, s11
	s_ashr_i32 s13, s12, 31
	s_add_i32 s9, s0, 0xffffe980
	s_cmp_lt_i32 s9, s10
	v_lshl_add_u64 v[14:15], s[12:13], 1, v[0:1]
	s_cselect_b32 s12, s9, s11
	s_ashr_i32 s13, s12, 31
	s_add_i32 s9, s0, 0xffffea00
	s_cmp_lt_i32 s9, s10
	v_lshl_add_u64 v[16:17], s[12:13], 1, v[0:1]
	s_cselect_b32 s12, s9, s11
	s_ashr_i32 s13, s12, 31
	s_add_i32 s9, s0, 0xffffea80
	s_cmp_lt_i32 s9, s10
	v_lshl_add_u64 v[18:19], s[12:13], 1, v[0:1]
	s_cselect_b32 s12, s9, s11
	s_ashr_i32 s13, s12, 31
	s_add_i32 s9, s0, 0xffffeb00
	s_cmp_lt_i32 s9, s10
	v_lshl_add_u64 v[20:21], s[12:13], 1, v[0:1]
	s_cselect_b32 s12, s9, s11
	s_ashr_i32 s13, s12, 31
	s_add_i32 s9, s0, 0xffffeb80
	s_cmp_lt_i32 s9, s10
	v_lshl_add_u64 v[22:23], s[12:13], 1, v[0:1]
	s_cselect_b32 s12, s9, s11
	s_ashr_i32 s13, s12, 31
	s_add_i32 s9, s0, 0xffffec00
	s_cmp_lt_i32 s9, s10
	v_lshl_add_u64 v[24:25], s[12:13], 1, v[0:1]
	s_cselect_b32 s12, s9, s11
	s_ashr_i32 s13, s12, 31
	s_add_i32 s9, s0, 0xffffec80
	s_cmp_lt_i32 s9, s10
	v_lshl_add_u64 v[26:27], s[12:13], 1, v[0:1]
	;; [unrolled: 48-line block ×6, first 2 shown]
	s_cselect_b32 s12, s9, s11
	s_ashr_i32 s13, s12, 31
	s_add_i32 s9, s0, 0xfffffd00
	s_cmp_lt_i32 s9, s10
	global_load_ushort v68, v[12:13], off
	global_load_ushort v69, v[14:15], off
	;; [unrolled: 1-line block ×8, first 2 shown]
	v_lshl_add_u64 v[12:13], s[12:13], 1, v[0:1]
	s_cselect_b32 s12, s9, s11
	s_ashr_i32 s13, s12, 31
	s_add_i32 s9, s0, 0xfffffd80
	s_cmp_lt_i32 s9, s10
	v_lshl_add_u64 v[14:15], s[12:13], 1, v[0:1]
	s_cselect_b32 s12, s9, s11
	s_ashr_i32 s13, s12, 31
	s_add_i32 s9, s0, 0xfffffe00
	s_cmp_lt_i32 s9, s10
	;; [unrolled: 5-line block ×5, first 2 shown]
	v_lshl_add_u64 v[22:23], s[12:13], 1, v[0:1]
	s_cselect_b32 s12, s9, s11
	s_ashr_i32 s13, s12, 31
	s_cmp_lt_i32 s0, s10
	v_lshl_add_u64 v[24:25], s[12:13], 1, v[0:1]
	s_cselect_b32 s12, s0, s11
	s_ashr_i32 s13, s12, 31
	v_lshl_add_u64 v[26:27], s[12:13], 1, v[0:1]
	global_load_ushort v76, v[12:13], off
	global_load_ushort v77, v[14:15], off
	global_load_ushort v78, v[16:17], off
	global_load_ushort v79, v[18:19], off
	global_load_ushort v80, v[20:21], off
	global_load_ushort v81, v[22:23], off
	global_load_ushort v82, v[24:25], off
	global_load_ushort v83, v[26:27], off
	v_mov_b32_e32 v84, s1
	ds_read_b128 v[12:15], v84
	ds_read_b128 v[16:19], v84 offset:16
	ds_read_b128 v[20:23], v84 offset:32
	;; [unrolled: 1-line block ×3, first 2 shown]
	s_waitcnt vmcnt(62) lgkmcnt(3)
	v_fma_mix_f32 v3, v12, v3, v4 op_sel_hi:[0,1,0]
	v_fma_mix_f32 v3, v13, v5, v3 op_sel_hi:[0,1,0]
	s_waitcnt vmcnt(61)
	v_fma_mix_f32 v3, v14, v6, v3 op_sel_hi:[0,1,0]
	s_waitcnt vmcnt(60)
	v_fma_mix_f32 v3, v15, v7, v3 op_sel_hi:[0,1,0]
	s_waitcnt vmcnt(59) lgkmcnt(2)
	v_fma_mix_f32 v3, v16, v8, v3 op_sel_hi:[0,1,0]
	s_waitcnt vmcnt(58)
	v_fma_mix_f32 v3, v17, v9, v3 op_sel_hi:[0,1,0]
	s_waitcnt vmcnt(57)
	;; [unrolled: 2-line block ×3, first 2 shown]
	v_fma_mix_f32 v3, v19, v11, v3 op_sel_hi:[0,1,0]
	s_waitcnt vmcnt(55) lgkmcnt(1)
	v_fma_mix_f32 v3, v20, v28, v3 op_sel_hi:[0,1,0]
	s_waitcnt vmcnt(54)
	v_fma_mix_f32 v3, v21, v29, v3 op_sel_hi:[0,1,0]
	s_waitcnt vmcnt(53)
	;; [unrolled: 2-line block ×3, first 2 shown]
	v_fma_mix_f32 v3, v23, v31, v3 op_sel_hi:[0,1,0]
	ds_read_b128 v[4:7], v84 offset:64
	ds_read_b128 v[8:11], v84 offset:80
	s_waitcnt vmcnt(51) lgkmcnt(2)
	v_fma_mix_f32 v3, v24, v32, v3 op_sel_hi:[0,1,0]
	s_waitcnt vmcnt(50)
	v_fma_mix_f32 v3, v25, v33, v3 op_sel_hi:[0,1,0]
	s_waitcnt vmcnt(49)
	;; [unrolled: 2-line block ×3, first 2 shown]
	v_fma_mix_f32 v3, v27, v35, v3 op_sel_hi:[0,1,0]
	s_waitcnt vmcnt(47) lgkmcnt(1)
	v_fma_mix_f32 v3, v4, v36, v3 op_sel_hi:[0,1,0]
	s_waitcnt vmcnt(46)
	v_fma_mix_f32 v3, v5, v37, v3 op_sel_hi:[0,1,0]
	s_waitcnt vmcnt(45)
	v_fma_mix_f32 v3, v6, v38, v3 op_sel_hi:[0,1,0]
	s_waitcnt vmcnt(44)
	v_fma_mix_f32 v3, v7, v39, v3 op_sel_hi:[0,1,0]
	ds_read_b128 v[4:7], v84 offset:96
	s_waitcnt vmcnt(43) lgkmcnt(1)
	v_fma_mix_f32 v3, v8, v40, v3 op_sel_hi:[0,1,0]
	s_waitcnt vmcnt(42)
	v_fma_mix_f32 v3, v9, v41, v3 op_sel_hi:[0,1,0]
	s_waitcnt vmcnt(41)
	v_fma_mix_f32 v3, v10, v42, v3 op_sel_hi:[0,1,0]
	s_waitcnt vmcnt(40)
	v_fma_mix_f32 v3, v11, v43, v3 op_sel_hi:[0,1,0]
	ds_read_b128 v[8:11], v84 offset:112
	;; [unrolled: 9-line block ×10, first 2 shown]
	s_waitcnt vmcnt(7) lgkmcnt(1)
	v_fma_mix_f32 v3, v4, v76, v3 op_sel_hi:[0,1,0]
	s_waitcnt vmcnt(6)
	v_fma_mix_f32 v3, v5, v77, v3 op_sel_hi:[0,1,0]
	s_waitcnt vmcnt(5)
	v_fma_mix_f32 v3, v6, v78, v3 op_sel_hi:[0,1,0]
	s_waitcnt vmcnt(4)
	v_fma_mix_f32 v3, v7, v79, v3 op_sel_hi:[0,1,0]
	s_waitcnt vmcnt(3) lgkmcnt(0)
	v_fma_mix_f32 v3, v8, v80, v3 op_sel_hi:[0,1,0]
	s_waitcnt vmcnt(2)
	v_fma_mix_f32 v3, v9, v81, v3 op_sel_hi:[0,1,0]
	s_waitcnt vmcnt(1)
	;; [unrolled: 2-line block ×3, first 2 shown]
	v_fma_mix_f32 v4, v11, v83, v3 op_sel_hi:[0,1,0]
	s_branch .LBB282_16
.LBB282_19:
	v_mov_b32_e32 v0, 0
	ds_read_b32 v1, v0 offset:3840
	s_cmp_lg_u64 s[6:7], 0
	s_cbranch_scc0 .LBB282_24
; %bb.20:
	s_load_dword s6, s[6:7], 0x0
	s_waitcnt lgkmcnt(0)
	v_div_scale_f32 v0, s[0:1], s6, s6, 1.0
	v_rcp_f32_e32 v3, v0
	v_div_scale_f32 v5, vcc, 1.0, s6, 1.0
	v_fma_f32 v6, -v0, v3, 1.0
	v_fmac_f32_e32 v3, v6, v3
	v_mul_f32_e32 v6, v5, v3
	v_fma_f32 v7, -v0, v6, v5
	v_fmac_f32_e32 v6, v7, v3
	v_fma_f32 v0, -v0, v6, v5
	v_div_fmas_f32 v0, v0, v3, v6
	v_div_fixup_f32 v0, v0, s6, 1.0
	s_andn2_b64 vcc, exec, s[48:49]
	s_cbranch_vccnz .LBB282_22
.LBB282_21:
	s_add_u32 s0, s46, s50
	s_addc_u32 s1, s47, s51
	s_load_dword s44, s[0:1], 0x0
	s_mov_b32 s45, 0
.LBB282_22:
	s_waitcnt lgkmcnt(0)
	v_add_f32_e32 v1, 0x358637bd, v1
	v_div_scale_f32 v3, s[0:1], v1, v1, 1.0
	v_rcp_f32_e32 v5, v3
	v_div_scale_f32 v6, vcc, 1.0, v1, 1.0
	s_mul_i32 s0, s3, s45
	v_fma_f32 v7, -v3, v5, 1.0
	v_fmac_f32_e32 v5, v7, v5
	v_mul_f32_e32 v7, v6, v5
	v_fma_f32 v8, -v3, v7, v6
	s_mul_hi_u32 s1, s3, s44
	v_fmac_f32_e32 v7, v8, v5
	s_add_i32 s1, s1, s0
	s_mul_i32 s0, s3, s44
	v_fma_f32 v3, -v3, v7, v6
	s_lshl_b64 s[0:1], s[0:1], 8
	v_div_fmas_f32 v3, v3, v5, v7
	s_add_u32 s4, s4, s0
	s_mov_b32 s3, 0
	v_div_fixup_f32 v1, v3, v1, 1.0
	s_addc_u32 s5, s5, s1
	s_lshl_b64 s[0:1], s[2:3], 8
	v_mul_f32_e32 v1, v4, v1
	s_add_u32 s0, s4, s0
	s_addc_u32 s1, s5, s1
	v_fma_mixlo_f16 v0, v1, v0, 0
	global_store_short v2, v0, s[0:1]
	s_endpgm
.LBB282_23:
	s_mov_b64 s[6:7], 0
	s_branch .LBB282_2
.LBB282_24:
	v_mov_b32_e32 v0, 1.0
	s_andn2_b64 vcc, exec, s[48:49]
	s_cbranch_vccz .LBB282_21
	s_branch .LBB282_22
	.section	.rodata,"a",@progbits
	.p2align	6, 0x0
	.amdhsa_kernel _Z35paged_attention_ll4mi_reduce_kernelIDF16_DF16_Li128ELi128ELi256ELi15EEvPT0_PKfS3_PKT_PKiS8_iS3_
		.amdhsa_group_segment_fixed_size 3844
		.amdhsa_private_segment_fixed_size 0
		.amdhsa_kernarg_size 320
		.amdhsa_user_sgpr_count 2
		.amdhsa_user_sgpr_dispatch_ptr 0
		.amdhsa_user_sgpr_queue_ptr 0
		.amdhsa_user_sgpr_kernarg_segment_ptr 1
		.amdhsa_user_sgpr_dispatch_id 0
		.amdhsa_user_sgpr_kernarg_preload_length 0
		.amdhsa_user_sgpr_kernarg_preload_offset 0
		.amdhsa_user_sgpr_private_segment_size 0
		.amdhsa_uses_dynamic_stack 0
		.amdhsa_enable_private_segment 0
		.amdhsa_system_sgpr_workgroup_id_x 1
		.amdhsa_system_sgpr_workgroup_id_y 1
		.amdhsa_system_sgpr_workgroup_id_z 0
		.amdhsa_system_sgpr_workgroup_info 0
		.amdhsa_system_vgpr_workitem_id 0
		.amdhsa_next_free_vgpr 92
		.amdhsa_next_free_sgpr 59
		.amdhsa_accum_offset 92
		.amdhsa_reserve_vcc 1
		.amdhsa_float_round_mode_32 0
		.amdhsa_float_round_mode_16_64 0
		.amdhsa_float_denorm_mode_32 3
		.amdhsa_float_denorm_mode_16_64 3
		.amdhsa_dx10_clamp 1
		.amdhsa_ieee_mode 1
		.amdhsa_fp16_overflow 0
		.amdhsa_tg_split 0
		.amdhsa_exception_fp_ieee_invalid_op 0
		.amdhsa_exception_fp_denorm_src 0
		.amdhsa_exception_fp_ieee_div_zero 0
		.amdhsa_exception_fp_ieee_overflow 0
		.amdhsa_exception_fp_ieee_underflow 0
		.amdhsa_exception_fp_ieee_inexact 0
		.amdhsa_exception_int_div_zero 0
	.end_amdhsa_kernel
	.section	.text._Z35paged_attention_ll4mi_reduce_kernelIDF16_DF16_Li128ELi128ELi256ELi15EEvPT0_PKfS3_PKT_PKiS8_iS3_,"axG",@progbits,_Z35paged_attention_ll4mi_reduce_kernelIDF16_DF16_Li128ELi128ELi256ELi15EEvPT0_PKfS3_PKT_PKiS8_iS3_,comdat
.Lfunc_end282:
	.size	_Z35paged_attention_ll4mi_reduce_kernelIDF16_DF16_Li128ELi128ELi256ELi15EEvPT0_PKfS3_PKT_PKiS8_iS3_, .Lfunc_end282-_Z35paged_attention_ll4mi_reduce_kernelIDF16_DF16_Li128ELi128ELi256ELi15EEvPT0_PKfS3_PKT_PKiS8_iS3_
                                        ; -- End function
	.section	.AMDGPU.csdata,"",@progbits
; Kernel info:
; codeLenInByte = 10532
; NumSgprs: 65
; NumVgprs: 92
; NumAgprs: 0
; TotalNumVgprs: 92
; ScratchSize: 0
; MemoryBound: 0
; FloatMode: 240
; IeeeMode: 1
; LDSByteSize: 3844 bytes/workgroup (compile time only)
; SGPRBlocks: 8
; VGPRBlocks: 11
; NumSGPRsForWavesPerEU: 65
; NumVGPRsForWavesPerEU: 92
; AccumOffset: 92
; Occupancy: 5
; WaveLimiterHint : 1
; COMPUTE_PGM_RSRC2:SCRATCH_EN: 0
; COMPUTE_PGM_RSRC2:USER_SGPR: 2
; COMPUTE_PGM_RSRC2:TRAP_HANDLER: 0
; COMPUTE_PGM_RSRC2:TGID_X_EN: 1
; COMPUTE_PGM_RSRC2:TGID_Y_EN: 1
; COMPUTE_PGM_RSRC2:TGID_Z_EN: 0
; COMPUTE_PGM_RSRC2:TIDIG_COMP_CNT: 0
; COMPUTE_PGM_RSRC3_GFX90A:ACCUM_OFFSET: 22
; COMPUTE_PGM_RSRC3_GFX90A:TG_SPLIT: 0
	.section	.text._Z35paged_attention_ll4mi_reduce_kernelIDF16_DF16_Li128ELi128ELi256ELi16EEvPT0_PKfS3_PKT_PKiS8_iS3_,"axG",@progbits,_Z35paged_attention_ll4mi_reduce_kernelIDF16_DF16_Li128ELi128ELi256ELi16EEvPT0_PKfS3_PKT_PKiS8_iS3_,comdat
	.protected	_Z35paged_attention_ll4mi_reduce_kernelIDF16_DF16_Li128ELi128ELi256ELi16EEvPT0_PKfS3_PKT_PKiS8_iS3_ ; -- Begin function _Z35paged_attention_ll4mi_reduce_kernelIDF16_DF16_Li128ELi128ELi256ELi16EEvPT0_PKfS3_PKT_PKiS8_iS3_
	.globl	_Z35paged_attention_ll4mi_reduce_kernelIDF16_DF16_Li128ELi128ELi256ELi16EEvPT0_PKfS3_PKT_PKiS8_iS3_
	.p2align	8
	.type	_Z35paged_attention_ll4mi_reduce_kernelIDF16_DF16_Li128ELi128ELi256ELi16EEvPT0_PKfS3_PKT_PKiS8_iS3_,@function
_Z35paged_attention_ll4mi_reduce_kernelIDF16_DF16_Li128ELi128ELi256ELi16EEvPT0_PKfS3_PKT_PKiS8_iS3_: ; @_Z35paged_attention_ll4mi_reduce_kernelIDF16_DF16_Li128ELi128ELi256ELi16EEvPT0_PKfS3_PKT_PKiS8_iS3_
; %bb.0:
	s_load_dwordx2 s[48:49], s[0:1], 0x28
	s_mov_b32 s38, s3
	s_mov_b64 s[4:5], 0
	s_waitcnt lgkmcnt(0)
	s_cmp_lg_u64 s[48:49], 0
	s_cselect_b64 s[50:51], -1, 0
	s_and_b64 vcc, exec, s[50:51]
	s_cbranch_vccz .LBB283_23
; %bb.1:
	s_add_i32 s6, s38, 1
	s_mov_b32 s7, 0
	s_lshl_b64 s[8:9], s[6:7], 2
	s_add_u32 s8, s48, s8
	s_mov_b32 s39, s7
	s_addc_u32 s9, s49, s9
	s_lshl_b64 s[6:7], s[38:39], 2
	s_add_u32 s6, s48, s6
	s_addc_u32 s7, s49, s7
	s_load_dword s3, s[8:9], 0x0
	s_load_dword s10, s[6:7], 0x0
	s_waitcnt lgkmcnt(0)
	s_sub_i32 s3, s3, s10
	s_cmp_eq_u32 s3, 1
	s_cselect_b64 s[6:7], -1, 0
	s_andn2_b64 vcc, exec, s[4:5]
	s_cbranch_vccnz .LBB283_3
.LBB283_2:
	s_mov_b32 s39, 0
	s_mov_b64 s[6:7], -1
.LBB283_3:
	s_andn2_b64 vcc, exec, s[6:7]
	s_cbranch_vccz .LBB283_5
; %bb.4:
	s_endpgm
.LBB283_5:
	s_load_dwordx4 s[40:43], s[0:1], 0x18
	s_load_dword s8, s[0:1], 0x30
	s_lshl_b64 s[52:53], s[38:39], 2
	v_cmp_lt_u32_e32 vcc, 63, v0
	s_waitcnt lgkmcnt(0)
	s_add_u32 s4, s42, s52
	s_addc_u32 s5, s43, s53
	s_load_dword s60, s[4:5], 0x0
	s_load_dword s3, s[0:1], 0x40
	s_mul_i32 s42, s2, s8
	s_mul_i32 s6, s38, s8
	s_waitcnt lgkmcnt(0)
	s_add_i32 s7, s60, 0xff
	s_ashr_i32 s4, s7, 31
	s_lshr_b32 s4, s4, 24
	s_add_i32 s7, s7, s4
	s_and_saveexec_b64 s[4:5], vcc
	s_xor_b64 s[4:5], exec, s[4:5]
	s_or_saveexec_b64 s[54:55], s[4:5]
	s_ashr_i32 s33, s7, 8
	v_mov_b32_e32 v1, s42
	s_mul_i32 s56, s6, s3
	s_xor_b64 exec, exec, s[54:55]
	s_cbranch_execz .LBB283_9
; %bb.6:
	s_add_i32 s4, s33, -1
	v_or_b32_e32 v3, 64, v0
	v_mov_b32_e32 v1, s4
	v_cmp_gt_u32_e64 s[22:23], s33, v3
	s_load_dwordx4 s[44:47], s[0:1], 0x8
	s_mov_b32 s57, 0
	v_cndmask_b32_e64 v4, v1, v3, s[22:23]
	v_or_b32_e32 v3, 0x80, v0
	v_cmp_gt_u32_e64 s[20:21], s33, v3
	s_lshl_b64 s[58:59], s[56:57], 2
	s_mov_b32 s43, s57
	v_cndmask_b32_e64 v6, v1, v3, s[20:21]
	v_or_b32_e32 v3, 0xc0, v0
	v_cmp_gt_u32_e64 s[18:19], s33, v3
	v_cmp_gt_u32_e64 s[24:25], s33, v0
	s_waitcnt lgkmcnt(0)
	s_add_u32 s36, s46, s58
	v_cndmask_b32_e64 v10, v1, v3, s[18:19]
	v_or_b32_e32 v3, 0x100, v0
	v_cmp_gt_u32_e64 s[16:17], s33, v3
	v_cndmask_b32_e64 v2, v1, v0, s[24:25]
	s_addc_u32 s37, s47, s59
	v_cndmask_b32_e64 v12, v1, v3, s[16:17]
	v_or_b32_e32 v3, 0x140, v0
	v_cmp_gt_u32_e64 s[14:15], s33, v3
	s_lshl_b64 s[46:47], s[42:43], 2
	s_add_u32 s36, s36, s46
	v_cndmask_b32_e64 v14, v1, v3, s[14:15]
	v_or_b32_e32 v3, 0x180, v0
	v_cmp_gt_u32_e64 s[12:13], s33, v3
	v_ashrrev_i32_e32 v5, 31, v4
	v_ashrrev_i32_e32 v7, 31, v6
	v_cndmask_b32_e64 v16, v1, v3, s[12:13]
	v_or_b32_e32 v3, 0x1c0, v0
	v_cmp_gt_u32_e64 s[8:9], s33, v3
	s_addc_u32 s37, s37, s47
	v_lshlrev_b64 v[18:19], 2, v[4:5]
	v_cndmask_b32_e64 v20, v1, v3, s[8:9]
	v_or_b32_e32 v3, 0x200, v0
	v_cmp_gt_u32_e64 s[6:7], s33, v3
	v_lshlrev_b64 v[8:9], 2, v[6:7]
	v_ashrrev_i32_e32 v11, 31, v10
	v_cndmask_b32_e64 v24, v1, v3, s[6:7]
	v_or_b32_e32 v3, 0x240, v0
	v_cmp_gt_u32_e64 s[4:5], s33, v3
	v_ashrrev_i32_e32 v13, 31, v12
	v_ashrrev_i32_e32 v15, 31, v14
	v_cndmask_b32_e64 v26, v1, v3, s[4:5]
	v_or_b32_e32 v3, 0x280, v0
	v_cmp_gt_u32_e32 vcc, s33, v3
	v_ashrrev_i32_e32 v17, 31, v16
	v_ashrrev_i32_e32 v21, 31, v20
	v_cndmask_b32_e32 v28, v1, v3, vcc
	v_or_b32_e32 v3, 0x2c0, v0
	v_cmp_gt_u32_e64 s[34:35], s33, v3
	v_lshl_add_u64 v[42:43], s[36:37], 0, v[18:19]
	v_lshl_add_u64 v[44:45], s[36:37], 0, v[8:9]
	v_cndmask_b32_e64 v30, v1, v3, s[34:35]
	v_or_b32_e32 v3, 0x300, v0
	v_cmp_gt_u32_e64 s[30:31], s33, v3
	v_lshlrev_b64 v[4:5], 2, v[12:13]
	v_lshlrev_b64 v[6:7], 2, v[14:15]
	v_cndmask_b32_e64 v32, v1, v3, s[30:31]
	v_or_b32_e32 v3, 0x340, v0
	v_cmp_gt_u32_e64 s[28:29], s33, v3
	v_lshlrev_b64 v[16:17], 2, v[16:17]
	v_lshlrev_b64 v[20:21], 2, v[20:21]
	v_cndmask_b32_e64 v34, v1, v3, s[28:29]
	v_or_b32_e32 v3, 0x380, v0
	v_cmp_gt_u32_e64 s[26:27], s33, v3
	v_lshl_add_u64 v[12:13], s[36:37], 0, v[4:5]
	v_lshl_add_u64 v[14:15], s[36:37], 0, v[6:7]
	v_cndmask_b32_e64 v36, v1, v3, s[26:27]
	v_or_b32_e32 v3, 0x3c0, v0
	v_cmp_gt_u32_e64 s[10:11], s33, v3
	v_lshl_add_u64 v[52:53], s[36:37], 0, v[16:17]
	v_lshl_add_u64 v[54:55], s[36:37], 0, v[20:21]
	v_cndmask_b32_e64 v38, v1, v3, s[10:11]
	v_ashrrev_i32_e32 v3, 31, v2
	v_lshlrev_b64 v[22:23], 2, v[2:3]
	v_lshl_add_u64 v[40:41], s[36:37], 0, v[22:23]
	v_lshlrev_b64 v[2:3], 2, v[10:11]
	v_lshl_add_u64 v[10:11], s[36:37], 0, v[2:3]
	global_load_dword v51, v[40:41], off
	global_load_dword v50, v[42:43], off
	;; [unrolled: 1-line block ×5, first 2 shown]
	s_nop 0
	global_load_dword v44, v[14:15], off
	global_load_dword v43, v[52:53], off
	;; [unrolled: 1-line block ×3, first 2 shown]
	v_ashrrev_i32_e32 v25, 31, v24
	v_ashrrev_i32_e32 v27, 31, v26
	;; [unrolled: 1-line block ×3, first 2 shown]
	v_lshlrev_b64 v[24:25], 2, v[24:25]
	v_lshlrev_b64 v[26:27], 2, v[26:27]
	;; [unrolled: 1-line block ×3, first 2 shown]
	v_ashrrev_i32_e32 v31, 31, v30
	v_ashrrev_i32_e32 v33, 31, v32
	;; [unrolled: 1-line block ×5, first 2 shown]
	v_lshl_add_u64 v[52:53], s[36:37], 0, v[24:25]
	v_lshl_add_u64 v[54:55], s[36:37], 0, v[26:27]
	;; [unrolled: 1-line block ×3, first 2 shown]
	v_lshlrev_b64 v[10:11], 2, v[30:31]
	v_lshlrev_b64 v[32:33], 2, v[32:33]
	;; [unrolled: 1-line block ×5, first 2 shown]
	v_lshl_add_u64 v[58:59], s[36:37], 0, v[10:11]
	v_lshl_add_u64 v[60:61], s[36:37], 0, v[32:33]
	;; [unrolled: 1-line block ×5, first 2 shown]
	global_load_dword v42, v[52:53], off
	global_load_dword v40, v[54:55], off
	;; [unrolled: 1-line block ×3, first 2 shown]
	s_nop 0
	global_load_dword v52, v[58:59], off
	global_load_dword v54, v[60:61], off
	;; [unrolled: 1-line block ×5, first 2 shown]
	s_mov_b32 s43, 0x3fb8aa3b
	s_waitcnt vmcnt(15)
	v_max_f32_e32 v34, v51, v51
	s_waitcnt vmcnt(14)
	v_max_f32_e32 v1, v50, v50
	v_max_f32_e32 v1, v34, v1
	s_waitcnt vmcnt(12)
	v_max3_f32 v1, v1, v49, v47
	s_waitcnt vmcnt(10)
	v_max3_f32 v1, v1, v46, v44
	;; [unrolled: 2-line block ×7, first 2 shown]
	v_mbcnt_lo_u32_b32 v1, -1, 0
	v_mbcnt_hi_u32_b32 v39, -1, v1
	v_and_b32_e32 v1, 64, v39
	v_add_u32_e32 v48, 64, v1
	v_xor_b32_e32 v1, 32, v39
	v_cmp_lt_i32_e64 s[36:37], v1, v48
	s_nop 1
	v_cndmask_b32_e64 v1, v39, v1, s[36:37]
	v_lshlrev_b32_e32 v1, 2, v1
	ds_bpermute_b32 v36, v1, v34
	s_waitcnt lgkmcnt(0)
	v_max_f32_e32 v36, v36, v36
	v_max_f32_e32 v36, v34, v36
	v_xor_b32_e32 v34, 16, v39
	v_cmp_lt_i32_e64 s[36:37], v34, v48
	s_nop 1
	v_cndmask_b32_e64 v34, v39, v34, s[36:37]
	v_lshlrev_b32_e32 v34, 2, v34
	ds_bpermute_b32 v37, v34, v36
	s_waitcnt lgkmcnt(0)
	v_max_f32_e32 v37, v37, v37
	v_max_f32_e32 v37, v36, v37
	;; [unrolled: 9-line block ×5, first 2 shown]
	v_xor_b32_e32 v57, 1, v39
	v_cmp_lt_i32_e64 s[36:37], v57, v48
	s_nop 1
	v_cndmask_b32_e64 v39, v39, v57, s[36:37]
	v_lshlrev_b32_e32 v39, 2, v39
	ds_bpermute_b32 v48, v39, v53
	s_add_u32 s36, s44, s58
	s_addc_u32 s37, s45, s59
	s_add_u32 s44, s36, s46
	s_addc_u32 s45, s37, s47
	s_waitcnt lgkmcnt(0)
	v_max_f32_e32 v48, v48, v48
	v_max_f32_e32 v48, v53, v48
	v_sub_f32_e32 v57, v52, v48
	v_mul_f32_e32 v52, 0x3fb8aa3b, v57
	v_fma_f32 v53, v57, s43, -v52
	v_rndne_f32_e32 v58, v52
	v_fmac_f32_e32 v53, 0x32a5705f, v57
	v_sub_f32_e32 v52, v52, v58
	v_add_f32_e32 v52, v52, v53
	v_exp_f32_e32 v52, v52
	v_cvt_i32_f32_e32 v53, v58
	v_lshl_add_u64 v[32:33], s[44:45], 0, v[32:33]
	v_lshl_add_u64 v[14:15], s[44:45], 0, v[14:15]
	;; [unrolled: 1-line block ×5, first 2 shown]
	v_ldexp_f32 v58, v52, v53
	v_lshl_add_u64 v[52:53], s[44:45], 0, v[12:13]
	global_load_dword v12, v[32:33], off
	global_load_dword v13, v[14:15], off
	s_nop 0
	global_load_dword v14, v[28:29], off
	global_load_dword v15, v[30:31], off
	s_nop 0
	global_load_dword v28, v[52:53], off
	s_mov_b32 s47, 0xc2ce8ed0
	global_load_dword v11, v[10:11], off
	s_mov_b32 s46, 0x42b17218
	v_cmp_ngt_f32_e64 s[36:37], s47, v57
	v_mov_b32_e32 v30, 0x7f800000
	v_sub_f32_e32 v10, v54, v48
	v_cndmask_b32_e64 v29, 0, v58, s[36:37]
	v_cmp_nlt_f32_e64 s[36:37], s46, v57
	v_lshl_add_u64 v[8:9], s[44:45], 0, v[8:9]
	v_lshl_add_u64 v[2:3], s[44:45], 0, v[2:3]
	v_cndmask_b32_e64 v29, v30, v29, s[36:37]
	v_cndmask_b32_e64 v29, 0, v29, s[34:35]
	v_cmp_ngt_f32_e64 s[34:35], s47, v10
	v_lshl_add_u64 v[4:5], s[44:45], 0, v[4:5]
	s_waitcnt vmcnt(0)
	v_mul_f32_e32 v29, v11, v29
	v_mul_f32_e32 v11, 0x3fb8aa3b, v10
	v_fma_f32 v31, v10, s43, -v11
	v_rndne_f32_e32 v32, v11
	v_fmac_f32_e32 v31, 0x32a5705f, v10
	v_sub_f32_e32 v11, v11, v32
	v_add_f32_e32 v11, v11, v31
	v_exp_f32_e32 v11, v11
	v_cvt_i32_f32_e32 v31, v32
	v_ldexp_f32 v11, v11, v31
	v_cndmask_b32_e64 v11, 0, v11, s[34:35]
	v_cmp_nlt_f32_e64 s[34:35], s46, v10
	s_nop 1
	v_cndmask_b32_e64 v10, v30, v11, s[34:35]
	v_cndmask_b32_e64 v10, 0, v10, s[30:31]
	v_mul_f32_e32 v12, v12, v10
	v_lshl_add_u64 v[10:11], s[44:45], 0, v[22:23]
	global_load_dword v22, v[10:11], off
	v_lshl_add_u64 v[10:11], s[44:45], 0, v[24:25]
	global_load_dword v23, v[10:11], off
	v_lshl_add_u64 v[10:11], s[44:45], 0, v[26:27]
	v_sub_f32_e32 v25, v55, v48
	global_load_dword v24, v[10:11], off
	v_mul_f32_e32 v10, 0x3fb8aa3b, v25
	v_fma_f32 v11, v25, s43, -v10
	v_rndne_f32_e32 v26, v10
	v_fmac_f32_e32 v11, 0x32a5705f, v25
	v_sub_f32_e32 v10, v10, v26
	v_add_f32_e32 v27, v10, v11
	v_lshl_add_u64 v[10:11], s[44:45], 0, v[18:19]
	global_load_dword v10, v[10:11], off
	v_exp_f32_e32 v11, v27
	v_cvt_i32_f32_e32 v18, v26
	v_cmp_ngt_f32_e64 s[30:31], s47, v25
	v_ldexp_f32 v11, v11, v18
	v_sub_f32_e32 v18, v56, v48
	v_mul_f32_e32 v19, 0x3fb8aa3b, v18
	v_fma_f32 v26, v18, s43, -v19
	v_rndne_f32_e32 v27, v19
	v_fmac_f32_e32 v26, 0x32a5705f, v18
	v_sub_f32_e32 v19, v19, v27
	v_add_f32_e32 v19, v19, v26
	global_load_dword v26, v[8:9], off
	v_cndmask_b32_e64 v8, 0, v11, s[30:31]
	v_exp_f32_e32 v9, v19
	v_cvt_i32_f32_e32 v11, v27
	v_cmp_nlt_f32_e64 s[30:31], s46, v25
	s_nop 1
	v_cndmask_b32_e64 v8, v30, v8, s[30:31]
	v_cndmask_b32_e64 v8, 0, v8, s[28:29]
	v_mul_f32_e32 v13, v13, v8
	v_ldexp_f32 v8, v9, v11
	v_cmp_ngt_f32_e64 s[28:29], s47, v18
	s_nop 1
	v_cndmask_b32_e64 v8, 0, v8, s[28:29]
	v_cmp_nlt_f32_e64 s[28:29], s46, v18
	s_nop 1
	v_cndmask_b32_e64 v8, v30, v8, s[28:29]
	v_cndmask_b32_e64 v8, 0, v8, s[26:27]
	v_mul_f32_e32 v11, v14, v8
	global_load_dword v14, v[2:3], off
	v_lshl_add_u64 v[2:3], s[44:45], 0, v[6:7]
	v_lshl_add_u64 v[6:7], s[44:45], 0, v[16:17]
	v_sub_f32_e32 v16, v51, v48
	v_mul_f32_e32 v17, 0x3fb8aa3b, v16
	v_fma_f32 v18, v16, s43, -v17
	v_rndne_f32_e32 v19, v17
	v_fmac_f32_e32 v18, 0x32a5705f, v16
	v_sub_f32_e32 v17, v17, v19
	v_lshl_add_u64 v[8:9], s[44:45], 0, v[20:21]
	v_add_f32_e32 v17, v17, v18
	v_cvt_i32_f32_e32 v18, v19
	global_load_dword v19, v[4:5], off
	global_load_dword v20, v[2:3], off
	;; [unrolled: 1-line block ×4, first 2 shown]
	v_sub_f32_e32 v3, v50, v48
	v_mul_f32_e32 v4, 0x3fb8aa3b, v3
	v_fma_f32 v5, v3, s43, -v4
	v_rndne_f32_e32 v6, v4
	v_fmac_f32_e32 v5, 0x32a5705f, v3
	v_sub_f32_e32 v4, v4, v6
	v_add_f32_e32 v4, v4, v5
	v_exp_f32_e32 v4, v4
	v_cvt_i32_f32_e32 v5, v6
	v_exp_f32_e32 v17, v17
	v_cmp_ngt_f32_e64 s[26:27], s47, v16
	v_ldexp_f32 v4, v4, v5
	v_sub_f32_e32 v5, v49, v48
	v_mul_f32_e32 v6, 0x3fb8aa3b, v5
	v_fma_f32 v7, v5, s43, -v6
	v_rndne_f32_e32 v8, v6
	v_fmac_f32_e32 v7, 0x32a5705f, v5
	v_sub_f32_e32 v6, v6, v8
	v_ldexp_f32 v2, v17, v18
	v_add_f32_e32 v6, v6, v7
	v_cndmask_b32_e64 v2, 0, v2, s[26:27]
	v_cmp_nlt_f32_e64 s[26:27], s46, v16
	v_exp_f32_e32 v6, v6
	v_cvt_i32_f32_e32 v7, v8
	v_cndmask_b32_e64 v2, v30, v2, s[26:27]
	v_cndmask_b32_e64 v2, 0, v2, s[24:25]
	v_cmp_ngt_f32_e64 s[24:25], s47, v3
	s_waitcnt vmcnt(9)
	v_mul_f32_e32 v2, v22, v2
	v_cndmask_b32_e64 v4, 0, v4, s[24:25]
	v_cmp_nlt_f32_e64 s[24:25], s46, v3
	s_nop 1
	v_cndmask_b32_e64 v3, v30, v4, s[24:25]
	v_ldexp_f32 v4, v6, v7
	v_sub_f32_e32 v6, v47, v48
	v_mul_f32_e32 v7, 0x3fb8aa3b, v6
	v_fma_f32 v8, v6, s43, -v7
	v_rndne_f32_e32 v9, v7
	v_fmac_f32_e32 v8, 0x32a5705f, v6
	v_sub_f32_e32 v7, v7, v9
	v_add_f32_e32 v7, v7, v8
	v_exp_f32_e32 v7, v7
	v_cvt_i32_f32_e32 v8, v9
	v_cndmask_b32_e64 v3, 0, v3, s[22:23]
	v_cmp_ngt_f32_e64 s[22:23], s47, v5
	s_waitcnt vmcnt(6)
	v_mul_f32_e32 v3, v10, v3
	v_cndmask_b32_e64 v4, 0, v4, s[22:23]
	v_cmp_nlt_f32_e64 s[22:23], s46, v5
	v_ldexp_f32 v5, v7, v8
	v_sub_f32_e32 v7, v46, v48
	v_mul_f32_e32 v8, 0x3fb8aa3b, v7
	v_fma_f32 v9, v7, s43, -v8
	v_rndne_f32_e32 v10, v8
	v_fmac_f32_e32 v9, 0x32a5705f, v7
	v_sub_f32_e32 v8, v8, v10
	v_add_f32_e32 v8, v8, v9
	v_exp_f32_e32 v8, v8
	v_cvt_i32_f32_e32 v9, v10
	v_cndmask_b32_e64 v4, v30, v4, s[22:23]
	v_cndmask_b32_e64 v4, 0, v4, s[20:21]
	v_cmp_ngt_f32_e64 s[20:21], s47, v6
	s_waitcnt vmcnt(5)
	v_mul_f32_e32 v4, v26, v4
	v_cndmask_b32_e64 v5, 0, v5, s[20:21]
	v_cmp_nlt_f32_e64 s[20:21], s46, v6
	v_ldexp_f32 v6, v8, v9
	v_sub_f32_e32 v8, v44, v48
	v_cndmask_b32_e64 v5, v30, v5, s[20:21]
	v_cndmask_b32_e64 v5, 0, v5, s[18:19]
	v_mul_f32_e32 v9, 0x3fb8aa3b, v8
	s_waitcnt vmcnt(4)
	v_mul_f32_e32 v5, v14, v5
	v_fma_f32 v10, v8, s43, -v9
	v_rndne_f32_e32 v14, v9
	v_fmac_f32_e32 v10, 0x32a5705f, v8
	v_sub_f32_e32 v9, v9, v14
	v_add_f32_e32 v9, v9, v10
	v_cmp_ngt_f32_e64 s[18:19], s47, v7
	v_exp_f32_e32 v9, v9
	v_cvt_i32_f32_e32 v10, v14
	v_cndmask_b32_e64 v6, 0, v6, s[18:19]
	v_cmp_nlt_f32_e64 s[18:19], s46, v7
	v_sub_f32_e32 v7, v43, v48
	s_nop 0
	v_cndmask_b32_e64 v6, v30, v6, s[18:19]
	v_cndmask_b32_e64 v6, 0, v6, s[16:17]
	s_waitcnt vmcnt(3)
	v_mul_f32_e32 v14, v19, v6
	v_ldexp_f32 v6, v9, v10
	v_mul_f32_e32 v9, 0x3fb8aa3b, v7
	v_fma_f32 v10, v7, s43, -v9
	v_rndne_f32_e32 v16, v9
	v_fmac_f32_e32 v10, 0x32a5705f, v7
	v_sub_f32_e32 v9, v9, v16
	v_add_f32_e32 v9, v9, v10
	v_cmp_ngt_f32_e64 s[16:17], s47, v8
	v_exp_f32_e32 v9, v9
	v_cvt_i32_f32_e32 v10, v16
	v_cndmask_b32_e64 v6, 0, v6, s[16:17]
	v_cmp_nlt_f32_e64 s[16:17], s46, v8
	s_nop 1
	v_cndmask_b32_e64 v6, v30, v6, s[16:17]
	v_cndmask_b32_e64 v6, 0, v6, s[14:15]
	s_waitcnt vmcnt(2)
	v_mul_f32_e32 v16, v20, v6
	v_ldexp_f32 v6, v9, v10
	v_cmp_ngt_f32_e64 s[14:15], s47, v7
	s_nop 1
	v_cndmask_b32_e64 v6, 0, v6, s[14:15]
	v_cmp_nlt_f32_e64 s[14:15], s46, v7
	v_sub_f32_e32 v7, v41, v48
	v_mul_f32_e32 v8, 0x3fb8aa3b, v7
	v_fma_f32 v9, v7, s43, -v8
	v_rndne_f32_e32 v10, v8
	v_fmac_f32_e32 v9, 0x32a5705f, v7
	v_sub_f32_e32 v8, v8, v10
	v_add_f32_e32 v8, v8, v9
	v_cvt_i32_f32_e32 v9, v10
	v_sub_f32_e32 v10, v45, v48
	v_mul_f32_e32 v17, 0x3fb8aa3b, v10
	v_fma_f32 v18, v10, s43, -v17
	v_rndne_f32_e32 v19, v17
	v_fmac_f32_e32 v18, 0x32a5705f, v10
	v_sub_f32_e32 v17, v17, v19
	v_exp_f32_e32 v8, v8
	v_add_f32_e32 v17, v17, v18
	v_exp_f32_e32 v17, v17
	v_cvt_i32_f32_e32 v18, v19
	v_cndmask_b32_e64 v6, v30, v6, s[14:15]
	v_cndmask_b32_e64 v6, 0, v6, s[12:13]
	v_ldexp_f32 v8, v8, v9
	v_cmp_ngt_f32_e64 s[12:13], s47, v7
	v_ldexp_f32 v9, v17, v18
	s_waitcnt vmcnt(1)
	v_mul_f32_e32 v6, v21, v6
	v_cndmask_b32_e64 v8, 0, v8, s[12:13]
	v_cmp_ngt_f32_e64 s[12:13], s47, v10
	v_lshlrev_b32_e32 v17, 2, v0
	s_nop 0
	v_cndmask_b32_e64 v9, 0, v9, s[12:13]
	v_cmp_nlt_f32_e64 s[12:13], s46, v7
	s_nop 1
	v_cndmask_b32_e64 v7, v30, v8, s[12:13]
	v_cndmask_b32_e64 v7, 0, v7, s[8:9]
	v_cmp_nlt_f32_e64 s[8:9], s46, v10
	s_waitcnt vmcnt(0)
	v_mul_f32_e32 v7, v25, v7
	ds_write2st64_b32 v17, v6, v7 offset0:6 offset1:7
	v_cndmask_b32_e64 v8, v30, v9, s[8:9]
	v_cndmask_b32_e64 v8, 0, v8, s[10:11]
	v_mul_f32_e32 v15, v15, v8
	v_sub_f32_e32 v8, v42, v48
	v_mul_f32_e32 v10, 0x3fb8aa3b, v8
	v_fma_f32 v18, v8, s43, -v10
	v_rndne_f32_e32 v19, v10
	v_fmac_f32_e32 v18, 0x32a5705f, v8
	v_sub_f32_e32 v10, v10, v19
	v_add_f32_e32 v9, v2, v3
	v_add_f32_e32 v10, v10, v18
	;; [unrolled: 1-line block ×3, first 2 shown]
	v_exp_f32_e32 v10, v10
	v_cvt_i32_f32_e32 v18, v19
	v_add_f32_e32 v9, v9, v5
	v_add_f32_e32 v9, v9, v14
	;; [unrolled: 1-line block ×4, first 2 shown]
	v_ldexp_f32 v9, v10, v18
	v_sub_f32_e32 v10, v40, v48
	v_mul_f32_e32 v18, 0x3fb8aa3b, v10
	v_fma_f32 v19, v10, s43, -v18
	v_rndne_f32_e32 v20, v18
	v_fmac_f32_e32 v19, 0x32a5705f, v10
	v_sub_f32_e32 v18, v18, v20
	v_add_f32_e32 v18, v18, v19
	v_exp_f32_e32 v18, v18
	v_cvt_i32_f32_e32 v19, v20
	v_cmp_ngt_f32_e64 s[8:9], s47, v8
	v_add_f32_e32 v6, v6, v7
	s_nop 0
	v_cndmask_b32_e64 v9, 0, v9, s[8:9]
	v_cmp_nlt_f32_e64 s[8:9], s46, v8
	s_nop 1
	v_cndmask_b32_e64 v8, v30, v9, s[8:9]
	v_cndmask_b32_e64 v8, 0, v8, s[6:7]
	v_ldexp_f32 v9, v18, v19
	v_cmp_ngt_f32_e64 s[6:7], s47, v10
	v_mul_f32_e32 v8, v23, v8
	v_add_f32_e32 v6, v6, v8
	v_cndmask_b32_e64 v9, 0, v9, s[6:7]
	v_cmp_nlt_f32_e64 s[6:7], s46, v10
	v_sub_f32_e32 v10, v35, v48
	v_mul_f32_e32 v18, 0x3fb8aa3b, v10
	v_fma_f32 v19, v10, s43, -v18
	v_rndne_f32_e32 v20, v18
	v_fmac_f32_e32 v19, 0x32a5705f, v10
	v_sub_f32_e32 v18, v18, v20
	v_add_f32_e32 v18, v18, v19
	v_exp_f32_e32 v18, v18
	v_cvt_i32_f32_e32 v19, v20
	v_cndmask_b32_e64 v9, v30, v9, s[6:7]
	v_cndmask_b32_e64 v9, 0, v9, s[4:5]
	v_cmp_ngt_f32_e64 s[4:5], s47, v10
	v_ldexp_f32 v7, v18, v19
	v_mul_f32_e32 v9, v24, v9
	v_cndmask_b32_e64 v7, 0, v7, s[4:5]
	v_cmp_nlt_f32_e64 s[4:5], s46, v10
	v_add_f32_e32 v6, v6, v9
	ds_write2st64_b32 v17, v2, v3 offset1:1
	ds_write2st64_b32 v17, v4, v5 offset0:2 offset1:3
	ds_write2st64_b32 v17, v14, v16 offset0:4 offset1:5
	;; [unrolled: 1-line block ×3, first 2 shown]
	v_cndmask_b32_e64 v7, v30, v7, s[4:5]
	v_cndmask_b32_e32 v7, 0, v7, vcc
	v_mul_f32_e32 v10, v28, v7
	v_add_f32_e32 v6, v6, v10
	v_add_f32_e32 v6, v6, v29
	;; [unrolled: 1-line block ×6, first 2 shown]
	ds_bpermute_b32 v1, v1, v6
	v_cmp_eq_u32_e32 vcc, 0, v0
	ds_write2st64_b32 v17, v10, v29 offset0:10 offset1:11
	ds_write2st64_b32 v17, v12, v13 offset0:12 offset1:13
	;; [unrolled: 1-line block ×3, first 2 shown]
	s_waitcnt lgkmcnt(3)
	v_add_f32_e32 v1, v6, v1
	ds_bpermute_b32 v6, v34, v1
	s_waitcnt lgkmcnt(0)
	v_add_f32_e32 v1, v1, v6
	ds_bpermute_b32 v6, v36, v1
	;; [unrolled: 3-line block ×5, first 2 shown]
	s_and_saveexec_b64 s[4:5], vcc
	s_cbranch_execz .LBB283_8
; %bb.7:
	s_waitcnt lgkmcnt(0)
	v_add_f32_e32 v1, v1, v2
	v_mov_b32_e32 v2, 0
	ds_write_b32 v2, v1 offset:4096
.LBB283_8:
	s_or_b64 exec, exec, s[4:5]
	v_mov_b32_e32 v1, s42
.LBB283_9:
	s_or_b64 exec, exec, s[54:55]
	s_lshl_b32 s4, s56, 7
	s_mov_b32 s5, 0
	s_lshl_b64 s[4:5], s[4:5], 1
	s_add_u32 s4, s40, s4
	s_addc_u32 s5, s41, s5
	s_lshl_b32 s10, s33, 7
	s_add_i32 s11, s10, 0xffffff80
	s_waitcnt lgkmcnt(0)
	v_lshlrev_b32_e32 v2, 7, v1
	v_mov_b32_e32 v3, 0
	s_cmp_lt_i32 s60, 1
	v_lshl_add_u64 v[4:5], v[2:3], 1, s[4:5]
	s_cselect_b32 s4, s11, 0
	v_lshlrev_b32_e32 v2, 1, v0
	s_ashr_i32 s5, s4, 31
	v_lshl_add_u64 v[0:1], v[4:5], 0, v[2:3]
	s_cmpk_lt_i32 s60, 0x101
	v_lshl_add_u64 v[12:13], s[4:5], 1, v[0:1]
	s_cselect_b32 s4, s11, 0x80
	s_ashr_i32 s5, s4, 31
	s_cmpk_lt_i32 s60, 0x201
	v_lshl_add_u64 v[14:15], s[4:5], 1, v[0:1]
	s_cselect_b32 s4, s11, 0x100
	s_ashr_i32 s5, s4, 31
	;; [unrolled: 4-line block ×8, first 2 shown]
	s_cmpk_lt_i32 s60, 0x901
	global_load_ushort v4, v[12:13], off
	global_load_ushort v5, v[14:15], off
	;; [unrolled: 1-line block ×8, first 2 shown]
	v_lshl_add_u64 v[20:21], s[4:5], 1, v[0:1]
	s_cselect_b32 s4, s11, 0x480
	s_ashr_i32 s5, s4, 31
	s_cmpk_lt_i32 s60, 0xa01
	v_lshl_add_u64 v[22:23], s[4:5], 1, v[0:1]
	s_cselect_b32 s4, s11, 0x500
	s_ashr_i32 s5, s4, 31
	s_cmpk_lt_i32 s60, 0xb01
	;; [unrolled: 4-line block ×6, first 2 shown]
	v_lshl_add_u64 v[32:33], s[4:5], 1, v[0:1]
	s_cselect_b32 s4, s11, 0x780
	s_ashr_i32 s5, s4, 31
	v_lshl_add_u64 v[34:35], s[4:5], 1, v[0:1]
	global_load_ushort v12, v[20:21], off
	global_load_ushort v13, v[22:23], off
	;; [unrolled: 1-line block ×8, first 2 shown]
	s_cmpk_gt_i32 s60, 0x1000
	s_cselect_b64 s[8:9], -1, 0
	s_cmpk_lt_i32 s60, 0x1001
	v_mov_b32_e32 v36, 0
	v_mov_b32_e32 v37, 0
	;; [unrolled: 1-line block ×48, first 2 shown]
	s_barrier
	s_cbranch_scc1 .LBB283_12
; %bb.10:
	s_cmpk_lt_u32 s60, 0x1101
	s_cselect_b32 s4, s11, 0x880
	s_ashr_i32 s5, s4, 31
	s_cmpk_lt_u32 s60, 0x1201
	v_lshl_add_u64 v[30:31], s[4:5], 1, v[0:1]
	s_cselect_b32 s4, s11, 0x900
	s_ashr_i32 s5, s4, 31
	s_cmpk_lt_u32 s60, 0x1301
	v_lshl_add_u64 v[32:33], s[4:5], 1, v[0:1]
	;; [unrolled: 4-line block ×7, first 2 shown]
	s_cselect_b32 s4, s11, 0xc00
	v_add_co_u32_e32 v28, vcc, 0x1000, v0
	s_ashr_i32 s5, s4, 31
	s_nop 0
	v_addc_co_u32_e32 v29, vcc, 0, v1, vcc
	s_cmpk_lt_u32 s60, 0x1901
	global_load_ushort v27, v[28:29], off
	global_load_ushort v26, v[30:31], off
	;; [unrolled: 1-line block ×8, first 2 shown]
	v_lshl_add_u64 v[36:37], s[4:5], 1, v[0:1]
	s_cselect_b32 s4, s11, 0xc80
	s_ashr_i32 s5, s4, 31
	s_cmpk_lt_u32 s60, 0x1a01
	v_lshl_add_u64 v[38:39], s[4:5], 1, v[0:1]
	s_cselect_b32 s4, s11, 0xd00
	s_ashr_i32 s5, s4, 31
	s_cmpk_lt_u32 s60, 0x1b01
	;; [unrolled: 4-line block ×6, first 2 shown]
	v_lshl_add_u64 v[48:49], s[4:5], 1, v[0:1]
	s_cselect_b32 s4, s11, 0xf80
	s_ashr_i32 s5, s4, 31
	v_lshl_add_u64 v[50:51], s[4:5], 1, v[0:1]
	global_load_ushort v35, v[36:37], off
	global_load_ushort v34, v[38:39], off
	;; [unrolled: 1-line block ×8, first 2 shown]
	s_cmpk_lt_u32 s60, 0x2001
	v_mov_b32_e32 v67, 0
	v_mov_b32_e32 v66, 0
	;; [unrolled: 1-line block ×32, first 2 shown]
	s_cbranch_scc1 .LBB283_12
; %bb.11:
	s_cmpk_lt_u32 s60, 0x2101
	s_cselect_b32 s4, s11, 0x1080
	s_ashr_i32 s5, s4, 31
	s_cmpk_lt_u32 s60, 0x2201
	v_lshl_add_u64 v[38:39], s[4:5], 1, v[0:1]
	s_cselect_b32 s4, s11, 0x1100
	s_ashr_i32 s5, s4, 31
	s_cmpk_lt_u32 s60, 0x2301
	v_lshl_add_u64 v[40:41], s[4:5], 1, v[0:1]
	;; [unrolled: 4-line block ×7, first 2 shown]
	s_cselect_b32 s4, s11, 0x1400
	v_add_co_u32_e32 v36, vcc, 0x2000, v0
	s_ashr_i32 s5, s4, 31
	s_nop 0
	v_addc_co_u32_e32 v37, vcc, 0, v1, vcc
	s_cmpk_lt_u32 s60, 0x2901
	global_load_ushort v52, v[36:37], off
	global_load_ushort v53, v[38:39], off
	;; [unrolled: 1-line block ×8, first 2 shown]
	v_lshl_add_u64 v[36:37], s[4:5], 1, v[0:1]
	s_cselect_b32 s4, s11, 0x1480
	s_ashr_i32 s5, s4, 31
	s_cmpk_lt_u32 s60, 0x2a01
	v_lshl_add_u64 v[38:39], s[4:5], 1, v[0:1]
	s_cselect_b32 s4, s11, 0x1500
	s_ashr_i32 s5, s4, 31
	s_cmpk_lt_u32 s60, 0x2b01
	;; [unrolled: 4-line block ×8, first 2 shown]
	global_load_ushort v68, v[36:37], off
	global_load_ushort v69, v[38:39], off
	;; [unrolled: 1-line block ×8, first 2 shown]
	v_lshl_add_u64 v[36:37], s[4:5], 1, v[0:1]
	s_cselect_b32 s4, s11, 0x1880
	s_ashr_i32 s5, s4, 31
	s_cmpk_lt_u32 s60, 0x3201
	v_lshl_add_u64 v[38:39], s[4:5], 1, v[0:1]
	s_cselect_b32 s4, s11, 0x1900
	s_ashr_i32 s5, s4, 31
	s_cmpk_lt_u32 s60, 0x3301
	;; [unrolled: 4-line block ×8, first 2 shown]
	global_load_ushort v76, v[36:37], off
	global_load_ushort v77, v[38:39], off
	global_load_ushort v78, v[40:41], off
	global_load_ushort v79, v[42:43], off
	global_load_ushort v80, v[44:45], off
	global_load_ushort v81, v[46:47], off
	global_load_ushort v82, v[48:49], off
	global_load_ushort v83, v[50:51], off
	v_lshl_add_u64 v[36:37], s[4:5], 1, v[0:1]
	s_cselect_b32 s4, s11, 0x1c80
	s_ashr_i32 s5, s4, 31
	s_cmpk_lt_u32 s60, 0x3a01
	v_lshl_add_u64 v[38:39], s[4:5], 1, v[0:1]
	s_cselect_b32 s4, s11, 0x1d00
	s_ashr_i32 s5, s4, 31
	s_cmpk_lt_u32 s60, 0x3b01
	;; [unrolled: 4-line block ×6, first 2 shown]
	v_lshl_add_u64 v[48:49], s[4:5], 1, v[0:1]
	s_cselect_b32 s4, s11, 0x1f80
	s_ashr_i32 s5, s4, 31
	v_lshl_add_u64 v[50:51], s[4:5], 1, v[0:1]
	global_load_ushort v84, v[36:37], off
	global_load_ushort v85, v[38:39], off
	;; [unrolled: 1-line block ×8, first 2 shown]
	s_waitcnt vmcnt(31)
	v_cvt_f32_f16_e32 v67, v52
	s_waitcnt vmcnt(30)
	v_cvt_f32_f16_e32 v66, v53
	s_waitcnt vmcnt(29)
	v_cvt_f32_f16_e32 v65, v54
	s_waitcnt vmcnt(28)
	v_cvt_f32_f16_e32 v64, v55
	s_waitcnt vmcnt(27)
	v_cvt_f32_f16_e32 v63, v56
	s_waitcnt vmcnt(26)
	v_cvt_f32_f16_e32 v62, v57
	s_waitcnt vmcnt(25)
	v_cvt_f32_f16_e32 v61, v58
	s_waitcnt vmcnt(24)
	v_cvt_f32_f16_e32 v60, v59
	s_waitcnt vmcnt(23)
	v_cvt_f32_f16_e32 v59, v68
	s_waitcnt vmcnt(22)
	v_cvt_f32_f16_e32 v58, v69
	s_waitcnt vmcnt(21)
	v_cvt_f32_f16_e32 v57, v70
	s_waitcnt vmcnt(20)
	v_cvt_f32_f16_e32 v56, v71
	s_waitcnt vmcnt(19)
	v_cvt_f32_f16_e32 v55, v72
	s_waitcnt vmcnt(18)
	v_cvt_f32_f16_e32 v54, v73
	s_waitcnt vmcnt(17)
	v_cvt_f32_f16_e32 v53, v74
	s_waitcnt vmcnt(16)
	v_cvt_f32_f16_e32 v52, v75
	s_waitcnt vmcnt(15)
	v_cvt_f32_f16_e32 v51, v76
	s_waitcnt vmcnt(14)
	v_cvt_f32_f16_e32 v50, v77
	s_waitcnt vmcnt(13)
	v_cvt_f32_f16_e32 v49, v78
	s_waitcnt vmcnt(12)
	v_cvt_f32_f16_e32 v48, v79
	s_waitcnt vmcnt(11)
	v_cvt_f32_f16_e32 v47, v80
	s_waitcnt vmcnt(10)
	v_cvt_f32_f16_e32 v46, v81
	s_waitcnt vmcnt(9)
	v_cvt_f32_f16_e32 v45, v82
	s_waitcnt vmcnt(8)
	v_cvt_f32_f16_e32 v44, v83
	s_waitcnt vmcnt(7)
	v_cvt_f32_f16_e32 v43, v84
	s_waitcnt vmcnt(6)
	v_cvt_f32_f16_e32 v42, v85
	s_waitcnt vmcnt(5)
	v_cvt_f32_f16_e32 v41, v86
	s_waitcnt vmcnt(4)
	v_cvt_f32_f16_e32 v40, v87
	s_waitcnt vmcnt(3)
	v_cvt_f32_f16_e32 v39, v88
	s_waitcnt vmcnt(2)
	v_cvt_f32_f16_e32 v38, v89
	s_waitcnt vmcnt(1)
	v_cvt_f32_f16_e32 v37, v90
	s_waitcnt vmcnt(0)
	v_cvt_f32_f16_e32 v36, v91
.LBB283_12:
	ds_read_b128 v[68:71], v3
	s_load_dwordx2 s[4:5], s[0:1], 0x0
	s_load_dwordx2 s[6:7], s[0:1], 0x38
	ds_read_b128 v[72:75], v3 offset:16
	ds_read_b128 v[76:79], v3 offset:32
	;; [unrolled: 1-line block ×3, first 2 shown]
	s_and_b64 vcc, exec, s[8:9]
	s_waitcnt vmcnt(15) lgkmcnt(0)
	v_fma_mix_f32 v4, v68, v4, 0 op_sel_hi:[0,1,0]
	s_waitcnt vmcnt(14)
	v_fma_mix_f32 v4, v69, v5, v4 op_sel_hi:[0,1,0]
	s_waitcnt vmcnt(13)
	;; [unrolled: 2-line block ×15, first 2 shown]
	v_fma_mix_f32 v4, v83, v19, v4 op_sel_hi:[0,1,0]
	s_cbranch_vccz .LBB283_15
; %bb.13:
	ds_read_b128 v[6:9], v3 offset:64
	ds_read_b128 v[10:13], v3 offset:80
	;; [unrolled: 1-line block ×4, first 2 shown]
	s_cmpk_lt_u32 s60, 0x2001
	s_waitcnt lgkmcnt(3)
	v_fma_mix_f32 v3, v6, v27, v4 op_sel_hi:[0,1,0]
	v_fma_mix_f32 v3, v7, v26, v3 op_sel_hi:[0,1,0]
	v_fma_mix_f32 v3, v8, v25, v3 op_sel_hi:[0,1,0]
	v_fma_mix_f32 v3, v9, v24, v3 op_sel_hi:[0,1,0]
	s_waitcnt lgkmcnt(2)
	v_fma_mix_f32 v3, v10, v23, v3 op_sel_hi:[0,1,0]
	v_fma_mix_f32 v3, v11, v22, v3 op_sel_hi:[0,1,0]
	v_fma_mix_f32 v3, v12, v21, v3 op_sel_hi:[0,1,0]
	v_fma_mix_f32 v3, v13, v20, v3 op_sel_hi:[0,1,0]
	;; [unrolled: 5-line block ×4, first 2 shown]
	s_cbranch_scc1 .LBB283_15
; %bb.14:
	v_mov_b32_e32 v3, 0
	ds_read_b128 v[6:9], v3 offset:128
	ds_read_b128 v[10:13], v3 offset:144
	;; [unrolled: 1-line block ×4, first 2 shown]
	s_waitcnt lgkmcnt(3)
	v_fmac_f32_e32 v4, v6, v67
	v_fmac_f32_e32 v4, v7, v66
	v_fmac_f32_e32 v4, v8, v65
	v_fmac_f32_e32 v4, v9, v64
	s_waitcnt lgkmcnt(2)
	v_fmac_f32_e32 v4, v10, v63
	v_fmac_f32_e32 v4, v11, v62
	v_fmac_f32_e32 v4, v12, v61
	v_fmac_f32_e32 v4, v13, v60
	;; [unrolled: 5-line block ×3, first 2 shown]
	ds_read_b128 v[6:9], v3 offset:192
	ds_read_b128 v[10:13], v3 offset:208
	s_waitcnt lgkmcnt(2)
	v_fmac_f32_e32 v4, v18, v55
	v_fmac_f32_e32 v4, v19, v54
	;; [unrolled: 1-line block ×4, first 2 shown]
	s_waitcnt lgkmcnt(1)
	v_fmac_f32_e32 v4, v6, v51
	v_fmac_f32_e32 v4, v7, v50
	;; [unrolled: 1-line block ×4, first 2 shown]
	ds_read_b128 v[6:9], v3 offset:224
	s_waitcnt lgkmcnt(1)
	v_fmac_f32_e32 v4, v10, v47
	v_fmac_f32_e32 v4, v11, v46
	;; [unrolled: 1-line block ×4, first 2 shown]
	ds_read_b128 v[10:13], v3 offset:240
	s_waitcnt lgkmcnt(1)
	v_fmac_f32_e32 v4, v6, v43
	v_fmac_f32_e32 v4, v7, v42
	;; [unrolled: 1-line block ×4, first 2 shown]
	s_waitcnt lgkmcnt(0)
	v_fmac_f32_e32 v4, v10, v39
	v_fmac_f32_e32 v4, v11, v38
	;; [unrolled: 1-line block ×4, first 2 shown]
.LBB283_15:
	s_movk_i32 s0, 0x3f80
	s_movk_i32 s1, 0x100
	s_mov_b32 s8, 64
	s_branch .LBB283_17
.LBB283_16:                             ;   in Loop: Header=BB283_17 Depth=1
	s_addk_i32 s0, 0x2000
	s_addk_i32 s1, 0x100
	s_add_i32 s8, s8, 64
	s_cmp_eq_u32 s0, 0x21f80
	s_cbranch_scc1 .LBB283_19
.LBB283_17:                             ; =>This Inner Loop Header: Depth=1
	s_cmp_le_i32 s33, s8
	s_cbranch_scc1 .LBB283_16
; %bb.18:                               ;   in Loop: Header=BB283_17 Depth=1
	s_add_i32 s9, s0, 0xffffe080
	s_cmp_lt_i32 s9, s10
	s_cselect_b32 s12, s9, s11
	s_ashr_i32 s13, s12, 31
	s_add_i32 s9, s0, 0xffffe100
	s_cmp_lt_i32 s9, s10
	v_lshl_add_u64 v[12:13], s[12:13], 1, v[0:1]
	s_cselect_b32 s12, s9, s11
	s_ashr_i32 s13, s12, 31
	s_add_i32 s9, s0, 0xffffe180
	s_cmp_lt_i32 s9, s10
	v_lshl_add_u64 v[14:15], s[12:13], 1, v[0:1]
	s_cselect_b32 s12, s9, s11
	s_ashr_i32 s13, s12, 31
	s_add_i32 s9, s0, 0xffffe200
	s_cmp_lt_i32 s9, s10
	v_lshl_add_u64 v[16:17], s[12:13], 1, v[0:1]
	s_cselect_b32 s12, s9, s11
	s_ashr_i32 s13, s12, 31
	s_add_i32 s9, s0, 0xffffe280
	s_cmp_lt_i32 s9, s10
	v_lshl_add_u64 v[18:19], s[12:13], 1, v[0:1]
	s_cselect_b32 s12, s9, s11
	s_ashr_i32 s13, s12, 31
	s_add_i32 s9, s0, 0xffffe300
	s_cmp_lt_i32 s9, s10
	v_lshl_add_u64 v[20:21], s[12:13], 1, v[0:1]
	s_cselect_b32 s12, s9, s11
	s_ashr_i32 s13, s12, 31
	s_add_i32 s9, s0, 0xffffe380
	s_cmp_lt_i32 s9, s10
	v_lshl_add_u64 v[22:23], s[12:13], 1, v[0:1]
	s_cselect_b32 s12, s9, s11
	s_ashr_i32 s13, s12, 31
	s_add_i32 s9, s0, 0xffffe400
	s_cmp_lt_i32 s9, s10
	v_lshl_add_u64 v[24:25], s[12:13], 1, v[0:1]
	s_cselect_b32 s12, s9, s11
	s_ashr_i32 s13, s12, 31
	s_add_i32 s9, s0, 0xffffe480
	s_cmp_lt_i32 s9, s10
	v_lshl_add_u64 v[26:27], s[12:13], 1, v[0:1]
	s_cselect_b32 s12, s9, s11
	s_ashr_i32 s13, s12, 31
	s_add_i32 s9, s0, 0xffffe500
	s_cmp_lt_i32 s9, s10
	global_load_ushort v3, v[12:13], off
	global_load_ushort v5, v[14:15], off
	global_load_ushort v6, v[16:17], off
	global_load_ushort v7, v[18:19], off
	global_load_ushort v8, v[20:21], off
	global_load_ushort v9, v[22:23], off
	global_load_ushort v10, v[24:25], off
	global_load_ushort v11, v[26:27], off
	v_lshl_add_u64 v[12:13], s[12:13], 1, v[0:1]
	s_cselect_b32 s12, s9, s11
	s_ashr_i32 s13, s12, 31
	s_add_i32 s9, s0, 0xffffe580
	s_cmp_lt_i32 s9, s10
	v_lshl_add_u64 v[14:15], s[12:13], 1, v[0:1]
	s_cselect_b32 s12, s9, s11
	s_ashr_i32 s13, s12, 31
	s_add_i32 s9, s0, 0xffffe600
	s_cmp_lt_i32 s9, s10
	v_lshl_add_u64 v[16:17], s[12:13], 1, v[0:1]
	s_cselect_b32 s12, s9, s11
	s_ashr_i32 s13, s12, 31
	s_add_i32 s9, s0, 0xffffe680
	s_cmp_lt_i32 s9, s10
	v_lshl_add_u64 v[18:19], s[12:13], 1, v[0:1]
	s_cselect_b32 s12, s9, s11
	s_ashr_i32 s13, s12, 31
	s_add_i32 s9, s0, 0xffffe700
	s_cmp_lt_i32 s9, s10
	v_lshl_add_u64 v[20:21], s[12:13], 1, v[0:1]
	s_cselect_b32 s12, s9, s11
	s_ashr_i32 s13, s12, 31
	s_add_i32 s9, s0, 0xffffe780
	s_cmp_lt_i32 s9, s10
	v_lshl_add_u64 v[22:23], s[12:13], 1, v[0:1]
	s_cselect_b32 s12, s9, s11
	s_ashr_i32 s13, s12, 31
	s_add_i32 s9, s0, 0xffffe800
	s_cmp_lt_i32 s9, s10
	v_lshl_add_u64 v[24:25], s[12:13], 1, v[0:1]
	s_cselect_b32 s12, s9, s11
	s_ashr_i32 s13, s12, 31
	s_add_i32 s9, s0, 0xffffe880
	s_cmp_lt_i32 s9, s10
	v_lshl_add_u64 v[26:27], s[12:13], 1, v[0:1]
	s_cselect_b32 s12, s9, s11
	s_ashr_i32 s13, s12, 31
	s_add_i32 s9, s0, 0xffffe900
	s_cmp_lt_i32 s9, s10
	global_load_ushort v28, v[12:13], off
	global_load_ushort v29, v[14:15], off
	global_load_ushort v30, v[16:17], off
	global_load_ushort v31, v[18:19], off
	global_load_ushort v32, v[20:21], off
	global_load_ushort v33, v[22:23], off
	global_load_ushort v34, v[24:25], off
	global_load_ushort v35, v[26:27], off
	v_lshl_add_u64 v[12:13], s[12:13], 1, v[0:1]
	s_cselect_b32 s12, s9, s11
	s_ashr_i32 s13, s12, 31
	s_add_i32 s9, s0, 0xffffe980
	s_cmp_lt_i32 s9, s10
	v_lshl_add_u64 v[14:15], s[12:13], 1, v[0:1]
	s_cselect_b32 s12, s9, s11
	s_ashr_i32 s13, s12, 31
	s_add_i32 s9, s0, 0xffffea00
	s_cmp_lt_i32 s9, s10
	v_lshl_add_u64 v[16:17], s[12:13], 1, v[0:1]
	s_cselect_b32 s12, s9, s11
	s_ashr_i32 s13, s12, 31
	s_add_i32 s9, s0, 0xffffea80
	s_cmp_lt_i32 s9, s10
	v_lshl_add_u64 v[18:19], s[12:13], 1, v[0:1]
	s_cselect_b32 s12, s9, s11
	s_ashr_i32 s13, s12, 31
	s_add_i32 s9, s0, 0xffffeb00
	s_cmp_lt_i32 s9, s10
	v_lshl_add_u64 v[20:21], s[12:13], 1, v[0:1]
	s_cselect_b32 s12, s9, s11
	s_ashr_i32 s13, s12, 31
	s_add_i32 s9, s0, 0xffffeb80
	s_cmp_lt_i32 s9, s10
	v_lshl_add_u64 v[22:23], s[12:13], 1, v[0:1]
	s_cselect_b32 s12, s9, s11
	s_ashr_i32 s13, s12, 31
	s_add_i32 s9, s0, 0xffffec00
	s_cmp_lt_i32 s9, s10
	v_lshl_add_u64 v[24:25], s[12:13], 1, v[0:1]
	s_cselect_b32 s12, s9, s11
	s_ashr_i32 s13, s12, 31
	s_add_i32 s9, s0, 0xffffec80
	s_cmp_lt_i32 s9, s10
	v_lshl_add_u64 v[26:27], s[12:13], 1, v[0:1]
	;; [unrolled: 48-line block ×6, first 2 shown]
	s_cselect_b32 s12, s9, s11
	s_ashr_i32 s13, s12, 31
	s_add_i32 s9, s0, 0xfffffd00
	s_cmp_lt_i32 s9, s10
	global_load_ushort v68, v[12:13], off
	global_load_ushort v69, v[14:15], off
	;; [unrolled: 1-line block ×8, first 2 shown]
	v_lshl_add_u64 v[12:13], s[12:13], 1, v[0:1]
	s_cselect_b32 s12, s9, s11
	s_ashr_i32 s13, s12, 31
	s_add_i32 s9, s0, 0xfffffd80
	s_cmp_lt_i32 s9, s10
	v_lshl_add_u64 v[14:15], s[12:13], 1, v[0:1]
	s_cselect_b32 s12, s9, s11
	s_ashr_i32 s13, s12, 31
	s_add_i32 s9, s0, 0xfffffe00
	s_cmp_lt_i32 s9, s10
	;; [unrolled: 5-line block ×5, first 2 shown]
	v_lshl_add_u64 v[22:23], s[12:13], 1, v[0:1]
	s_cselect_b32 s12, s9, s11
	s_ashr_i32 s13, s12, 31
	s_cmp_lt_i32 s0, s10
	v_lshl_add_u64 v[24:25], s[12:13], 1, v[0:1]
	s_cselect_b32 s12, s0, s11
	s_ashr_i32 s13, s12, 31
	v_lshl_add_u64 v[26:27], s[12:13], 1, v[0:1]
	global_load_ushort v76, v[12:13], off
	global_load_ushort v77, v[14:15], off
	;; [unrolled: 1-line block ×8, first 2 shown]
	v_mov_b32_e32 v84, s1
	ds_read_b128 v[12:15], v84
	ds_read_b128 v[16:19], v84 offset:16
	ds_read_b128 v[20:23], v84 offset:32
	;; [unrolled: 1-line block ×3, first 2 shown]
	s_waitcnt vmcnt(62) lgkmcnt(3)
	v_fma_mix_f32 v3, v12, v3, v4 op_sel_hi:[0,1,0]
	v_fma_mix_f32 v3, v13, v5, v3 op_sel_hi:[0,1,0]
	s_waitcnt vmcnt(61)
	v_fma_mix_f32 v3, v14, v6, v3 op_sel_hi:[0,1,0]
	s_waitcnt vmcnt(60)
	v_fma_mix_f32 v3, v15, v7, v3 op_sel_hi:[0,1,0]
	s_waitcnt vmcnt(59) lgkmcnt(2)
	v_fma_mix_f32 v3, v16, v8, v3 op_sel_hi:[0,1,0]
	s_waitcnt vmcnt(58)
	v_fma_mix_f32 v3, v17, v9, v3 op_sel_hi:[0,1,0]
	s_waitcnt vmcnt(57)
	v_fma_mix_f32 v3, v18, v10, v3 op_sel_hi:[0,1,0]
	s_waitcnt vmcnt(56)
	v_fma_mix_f32 v3, v19, v11, v3 op_sel_hi:[0,1,0]
	s_waitcnt vmcnt(55) lgkmcnt(1)
	v_fma_mix_f32 v3, v20, v28, v3 op_sel_hi:[0,1,0]
	s_waitcnt vmcnt(54)
	v_fma_mix_f32 v3, v21, v29, v3 op_sel_hi:[0,1,0]
	s_waitcnt vmcnt(53)
	;; [unrolled: 2-line block ×3, first 2 shown]
	v_fma_mix_f32 v3, v23, v31, v3 op_sel_hi:[0,1,0]
	ds_read_b128 v[4:7], v84 offset:64
	ds_read_b128 v[8:11], v84 offset:80
	s_waitcnt vmcnt(51) lgkmcnt(2)
	v_fma_mix_f32 v3, v24, v32, v3 op_sel_hi:[0,1,0]
	s_waitcnt vmcnt(50)
	v_fma_mix_f32 v3, v25, v33, v3 op_sel_hi:[0,1,0]
	s_waitcnt vmcnt(49)
	;; [unrolled: 2-line block ×3, first 2 shown]
	v_fma_mix_f32 v3, v27, v35, v3 op_sel_hi:[0,1,0]
	s_waitcnt vmcnt(47) lgkmcnt(1)
	v_fma_mix_f32 v3, v4, v36, v3 op_sel_hi:[0,1,0]
	s_waitcnt vmcnt(46)
	v_fma_mix_f32 v3, v5, v37, v3 op_sel_hi:[0,1,0]
	s_waitcnt vmcnt(45)
	v_fma_mix_f32 v3, v6, v38, v3 op_sel_hi:[0,1,0]
	s_waitcnt vmcnt(44)
	v_fma_mix_f32 v3, v7, v39, v3 op_sel_hi:[0,1,0]
	ds_read_b128 v[4:7], v84 offset:96
	s_waitcnt vmcnt(43) lgkmcnt(1)
	v_fma_mix_f32 v3, v8, v40, v3 op_sel_hi:[0,1,0]
	s_waitcnt vmcnt(42)
	v_fma_mix_f32 v3, v9, v41, v3 op_sel_hi:[0,1,0]
	s_waitcnt vmcnt(41)
	v_fma_mix_f32 v3, v10, v42, v3 op_sel_hi:[0,1,0]
	s_waitcnt vmcnt(40)
	v_fma_mix_f32 v3, v11, v43, v3 op_sel_hi:[0,1,0]
	ds_read_b128 v[8:11], v84 offset:112
	;; [unrolled: 9-line block ×10, first 2 shown]
	s_waitcnt vmcnt(7) lgkmcnt(1)
	v_fma_mix_f32 v3, v4, v76, v3 op_sel_hi:[0,1,0]
	s_waitcnt vmcnt(6)
	v_fma_mix_f32 v3, v5, v77, v3 op_sel_hi:[0,1,0]
	s_waitcnt vmcnt(5)
	;; [unrolled: 2-line block ×3, first 2 shown]
	v_fma_mix_f32 v3, v7, v79, v3 op_sel_hi:[0,1,0]
	s_waitcnt vmcnt(3) lgkmcnt(0)
	v_fma_mix_f32 v3, v8, v80, v3 op_sel_hi:[0,1,0]
	s_waitcnt vmcnt(2)
	v_fma_mix_f32 v3, v9, v81, v3 op_sel_hi:[0,1,0]
	s_waitcnt vmcnt(1)
	;; [unrolled: 2-line block ×3, first 2 shown]
	v_fma_mix_f32 v4, v11, v83, v3 op_sel_hi:[0,1,0]
	s_branch .LBB283_16
.LBB283_19:
	v_mov_b32_e32 v0, 0
	ds_read_b32 v1, v0 offset:4096
	s_cmp_lg_u64 s[6:7], 0
	s_cbranch_scc0 .LBB283_24
; %bb.20:
	s_load_dword s6, s[6:7], 0x0
	s_waitcnt lgkmcnt(0)
	v_div_scale_f32 v0, s[0:1], s6, s6, 1.0
	v_rcp_f32_e32 v3, v0
	v_div_scale_f32 v5, vcc, 1.0, s6, 1.0
	v_fma_f32 v6, -v0, v3, 1.0
	v_fmac_f32_e32 v3, v6, v3
	v_mul_f32_e32 v6, v5, v3
	v_fma_f32 v7, -v0, v6, v5
	v_fmac_f32_e32 v6, v7, v3
	v_fma_f32 v0, -v0, v6, v5
	v_div_fmas_f32 v0, v0, v3, v6
	v_div_fixup_f32 v0, v0, s6, 1.0
	s_andn2_b64 vcc, exec, s[50:51]
	s_cbranch_vccnz .LBB283_22
.LBB283_21:
	s_add_u32 s0, s48, s52
	s_addc_u32 s1, s49, s53
	s_load_dword s38, s[0:1], 0x0
	s_mov_b32 s39, 0
.LBB283_22:
	s_waitcnt lgkmcnt(0)
	v_add_f32_e32 v1, 0x358637bd, v1
	v_div_scale_f32 v3, s[0:1], v1, v1, 1.0
	v_rcp_f32_e32 v5, v3
	v_div_scale_f32 v6, vcc, 1.0, v1, 1.0
	s_mul_i32 s0, s3, s39
	v_fma_f32 v7, -v3, v5, 1.0
	v_fmac_f32_e32 v5, v7, v5
	v_mul_f32_e32 v7, v6, v5
	v_fma_f32 v8, -v3, v7, v6
	s_mul_hi_u32 s1, s3, s38
	v_fmac_f32_e32 v7, v8, v5
	s_add_i32 s1, s1, s0
	s_mul_i32 s0, s3, s38
	v_fma_f32 v3, -v3, v7, v6
	s_lshl_b64 s[0:1], s[0:1], 8
	v_div_fmas_f32 v3, v3, v5, v7
	s_add_u32 s4, s4, s0
	s_mov_b32 s3, 0
	v_div_fixup_f32 v1, v3, v1, 1.0
	s_addc_u32 s5, s5, s1
	s_lshl_b64 s[0:1], s[2:3], 8
	v_mul_f32_e32 v1, v4, v1
	s_add_u32 s0, s4, s0
	s_addc_u32 s1, s5, s1
	v_fma_mixlo_f16 v0, v1, v0, 0
	global_store_short v2, v0, s[0:1]
	s_endpgm
.LBB283_23:
	s_mov_b64 s[6:7], 0
	s_branch .LBB283_2
.LBB283_24:
	v_mov_b32_e32 v0, 1.0
	s_andn2_b64 vcc, exec, s[50:51]
	s_cbranch_vccz .LBB283_21
	s_branch .LBB283_22
	.section	.rodata,"a",@progbits
	.p2align	6, 0x0
	.amdhsa_kernel _Z35paged_attention_ll4mi_reduce_kernelIDF16_DF16_Li128ELi128ELi256ELi16EEvPT0_PKfS3_PKT_PKiS8_iS3_
		.amdhsa_group_segment_fixed_size 4100
		.amdhsa_private_segment_fixed_size 0
		.amdhsa_kernarg_size 320
		.amdhsa_user_sgpr_count 2
		.amdhsa_user_sgpr_dispatch_ptr 0
		.amdhsa_user_sgpr_queue_ptr 0
		.amdhsa_user_sgpr_kernarg_segment_ptr 1
		.amdhsa_user_sgpr_dispatch_id 0
		.amdhsa_user_sgpr_kernarg_preload_length 0
		.amdhsa_user_sgpr_kernarg_preload_offset 0
		.amdhsa_user_sgpr_private_segment_size 0
		.amdhsa_uses_dynamic_stack 0
		.amdhsa_enable_private_segment 0
		.amdhsa_system_sgpr_workgroup_id_x 1
		.amdhsa_system_sgpr_workgroup_id_y 1
		.amdhsa_system_sgpr_workgroup_id_z 0
		.amdhsa_system_sgpr_workgroup_info 0
		.amdhsa_system_vgpr_workitem_id 0
		.amdhsa_next_free_vgpr 92
		.amdhsa_next_free_sgpr 61
		.amdhsa_accum_offset 92
		.amdhsa_reserve_vcc 1
		.amdhsa_float_round_mode_32 0
		.amdhsa_float_round_mode_16_64 0
		.amdhsa_float_denorm_mode_32 3
		.amdhsa_float_denorm_mode_16_64 3
		.amdhsa_dx10_clamp 1
		.amdhsa_ieee_mode 1
		.amdhsa_fp16_overflow 0
		.amdhsa_tg_split 0
		.amdhsa_exception_fp_ieee_invalid_op 0
		.amdhsa_exception_fp_denorm_src 0
		.amdhsa_exception_fp_ieee_div_zero 0
		.amdhsa_exception_fp_ieee_overflow 0
		.amdhsa_exception_fp_ieee_underflow 0
		.amdhsa_exception_fp_ieee_inexact 0
		.amdhsa_exception_int_div_zero 0
	.end_amdhsa_kernel
	.section	.text._Z35paged_attention_ll4mi_reduce_kernelIDF16_DF16_Li128ELi128ELi256ELi16EEvPT0_PKfS3_PKT_PKiS8_iS3_,"axG",@progbits,_Z35paged_attention_ll4mi_reduce_kernelIDF16_DF16_Li128ELi128ELi256ELi16EEvPT0_PKfS3_PKT_PKiS8_iS3_,comdat
.Lfunc_end283:
	.size	_Z35paged_attention_ll4mi_reduce_kernelIDF16_DF16_Li128ELi128ELi256ELi16EEvPT0_PKfS3_PKT_PKiS8_iS3_, .Lfunc_end283-_Z35paged_attention_ll4mi_reduce_kernelIDF16_DF16_Li128ELi128ELi256ELi16EEvPT0_PKfS3_PKT_PKiS8_iS3_
                                        ; -- End function
	.section	.AMDGPU.csdata,"",@progbits
; Kernel info:
; codeLenInByte = 10696
; NumSgprs: 67
; NumVgprs: 92
; NumAgprs: 0
; TotalNumVgprs: 92
; ScratchSize: 0
; MemoryBound: 0
; FloatMode: 240
; IeeeMode: 1
; LDSByteSize: 4100 bytes/workgroup (compile time only)
; SGPRBlocks: 8
; VGPRBlocks: 11
; NumSGPRsForWavesPerEU: 67
; NumVGPRsForWavesPerEU: 92
; AccumOffset: 92
; Occupancy: 5
; WaveLimiterHint : 1
; COMPUTE_PGM_RSRC2:SCRATCH_EN: 0
; COMPUTE_PGM_RSRC2:USER_SGPR: 2
; COMPUTE_PGM_RSRC2:TRAP_HANDLER: 0
; COMPUTE_PGM_RSRC2:TGID_X_EN: 1
; COMPUTE_PGM_RSRC2:TGID_Y_EN: 1
; COMPUTE_PGM_RSRC2:TGID_Z_EN: 0
; COMPUTE_PGM_RSRC2:TIDIG_COMP_CNT: 0
; COMPUTE_PGM_RSRC3_GFX90A:ACCUM_OFFSET: 22
; COMPUTE_PGM_RSRC3_GFX90A:TG_SPLIT: 0
	.section	.text._Z38paged_attention_ll4mi_QKV_mfma4_kernelIDF16_DF16_LN4vllm18Fp8KVCacheDataTypeE0EDF16_Li16ELi128ELi256ELb0ELi1EEvPKT_PKT0_S7_ifPKiS9_S9_iPKfiiiPfSC_PS2_PT2_iSB_SB_,"axG",@progbits,_Z38paged_attention_ll4mi_QKV_mfma4_kernelIDF16_DF16_LN4vllm18Fp8KVCacheDataTypeE0EDF16_Li16ELi128ELi256ELb0ELi1EEvPKT_PKT0_S7_ifPKiS9_S9_iPKfiiiPfSC_PS2_PT2_iSB_SB_,comdat
	.protected	_Z38paged_attention_ll4mi_QKV_mfma4_kernelIDF16_DF16_LN4vllm18Fp8KVCacheDataTypeE0EDF16_Li16ELi128ELi256ELb0ELi1EEvPKT_PKT0_S7_ifPKiS9_S9_iPKfiiiPfSC_PS2_PT2_iSB_SB_ ; -- Begin function _Z38paged_attention_ll4mi_QKV_mfma4_kernelIDF16_DF16_LN4vllm18Fp8KVCacheDataTypeE0EDF16_Li16ELi128ELi256ELb0ELi1EEvPKT_PKT0_S7_ifPKiS9_S9_iPKfiiiPfSC_PS2_PT2_iSB_SB_
	.globl	_Z38paged_attention_ll4mi_QKV_mfma4_kernelIDF16_DF16_LN4vllm18Fp8KVCacheDataTypeE0EDF16_Li16ELi128ELi256ELb0ELi1EEvPKT_PKT0_S7_ifPKiS9_S9_iPKfiiiPfSC_PS2_PT2_iSB_SB_
	.p2align	8
	.type	_Z38paged_attention_ll4mi_QKV_mfma4_kernelIDF16_DF16_LN4vllm18Fp8KVCacheDataTypeE0EDF16_Li16ELi128ELi256ELb0ELi1EEvPKT_PKT0_S7_ifPKiS9_S9_iPKfiiiPfSC_PS2_PT2_iSB_SB_,@function
_Z38paged_attention_ll4mi_QKV_mfma4_kernelIDF16_DF16_LN4vllm18Fp8KVCacheDataTypeE0EDF16_Li16ELi128ELi256ELb0ELi1EEvPKT_PKT0_S7_ifPKiS9_S9_iPKfiiiPfSC_PS2_PT2_iSB_SB_: ; @_Z38paged_attention_ll4mi_QKV_mfma4_kernelIDF16_DF16_LN4vllm18Fp8KVCacheDataTypeE0EDF16_Li16ELi128ELi256ELb0ELi1EEvPKT_PKT0_S7_ifPKiS9_S9_iPKfiiiPfSC_PS2_PT2_iSB_SB_
; %bb.0:
	s_load_dwordx2 s[16:17], s[0:1], 0x30
	s_mov_b32 s20, s3
	s_mov_b64 s[6:7], 0
	s_waitcnt lgkmcnt(0)
	s_cmp_lg_u64 s[16:17], 0
	s_cselect_b64 s[18:19], -1, 0
	s_and_b64 vcc, exec, s[18:19]
	s_cbranch_vccz .LBB284_10
; %bb.1:
	s_add_i32 s8, s2, 1
	s_mov_b32 s9, 0
	s_lshl_b64 s[10:11], s[8:9], 2
	s_add_u32 s10, s16, s10
	s_mov_b32 s3, s9
	s_addc_u32 s11, s17, s11
	s_lshl_b64 s[8:9], s[2:3], 2
	s_add_u32 s8, s16, s8
	s_addc_u32 s9, s17, s9
	s_load_dword s5, s[10:11], 0x0
	s_load_dword s12, s[8:9], 0x0
	s_waitcnt lgkmcnt(0)
	s_sub_i32 s5, s5, s12
	s_cmp_eq_u32 s5, 1
	s_cselect_b64 s[8:9], -1, 0
	s_andn2_b64 vcc, exec, s[6:7]
	s_cbranch_vccnz .LBB284_3
.LBB284_2:
	s_mov_b32 s3, 0
	s_mov_b64 s[8:9], -1
.LBB284_3:
	s_andn2_b64 vcc, exec, s[8:9]
	s_cbranch_vccnz .LBB284_25
; %bb.4:
	s_load_dword s5, s[0:1], 0x9c
	s_load_dwordx2 s[6:7], s[0:1], 0x28
	s_add_u32 s24, s0, 0x90
	s_addc_u32 s25, s1, 0
	s_lshl_b64 s[28:29], s[2:3], 2
	s_waitcnt lgkmcnt(0)
	s_and_b32 s5, s5, 0xffff
	s_add_u32 s6, s6, s28
	s_addc_u32 s7, s7, s29
	s_load_dword s3, s[6:7], 0x0
	s_mul_i32 s10, s20, s5
	s_waitcnt lgkmcnt(0)
	s_cmp_ge_i32 s10, s3
	s_cbranch_scc1 .LBB284_25
; %bb.5:
	v_and_b32_e32 v1, 0xc0, v0
	v_add_u32_e32 v2, s10, v1
	v_lshrrev_b32_e32 v70, 6, v0
	v_cmp_le_i32_e64 s[6:7], s3, v2
                                        ; implicit-def: $sgpr21
                                        ; implicit-def: $sgpr11
	s_and_saveexec_b64 s[8:9], s[6:7]
	s_xor_b64 s[8:9], exec, s[8:9]
	s_cbranch_execz .LBB284_7
; %bb.6:
	v_mul_u32_u24_e32 v1, 20, v70
	v_or_b32_e32 v1, 0x1400, v1
	v_mov_b32_e32 v2, 0x1450
	v_mov_b32_e32 v3, 0xff7fffff
	v_mad_u32_u24 v2, v70, 20, v2
	ds_write2_b32 v1, v3, v3 offset1:1
	v_mov_b32_e32 v1, 0
	ds_write2_b32 v2, v1, v1 offset1:1
	v_mov_b32_e32 v2, 0x1408
	s_mov_b32 s11, 0xff7fffff
	s_mov_b32 s21, 0
	v_mad_u32_u24 v2, v70, 20, v2
	v_mov_b32_e32 v4, 0x1458
	v_mad_u32_u24 v4, v70, 20, v4
	ds_write2_b32 v2, v3, v3 offset1:1
	ds_write2_b32 v4, v1, v1 offset1:1
                                        ; implicit-def: $vgpr2
.LBB284_7:
	s_or_saveexec_b64 s[26:27], s[8:9]
	s_load_dwordx2 s[22:23], s[0:1], 0x68
	s_load_dwordx4 s[12:15], s[0:1], 0x58
	s_load_dword s5, s[24:25], 0x4
	v_and_b32_e32 v1, 63, v0
	v_and_b32_e32 v71, 3, v0
	v_mov_b32_e32 v67, s21
	v_mov_b32_e32 v72, s11
	;; [unrolled: 1-line block ×5, first 2 shown]
                                        ; implicit-def: $vgpr43
                                        ; implicit-def: $vgpr27
                                        ; implicit-def: $vgpr3
                                        ; implicit-def: $vgpr7
                                        ; implicit-def: $vgpr11
                                        ; implicit-def: $vgpr15
                                        ; implicit-def: $vgpr19
                                        ; implicit-def: $vgpr23
                                        ; implicit-def: $vgpr59
                                        ; implicit-def: $vgpr63
                                        ; implicit-def: $vgpr31
                                        ; implicit-def: $vgpr35
                                        ; implicit-def: $vgpr39
                                        ; implicit-def: $vgpr47
                                        ; implicit-def: $vgpr51
                                        ; implicit-def: $vgpr55
	s_xor_b64 exec, exec, s[26:27]
	s_cbranch_execz .LBB284_17
; %bb.8:
	s_add_i32 s21, s3, 15
	s_load_dwordx2 s[8:9], s[0:1], 0x20
	s_load_dword s11, s[0:1], 0x38
	s_ashr_i32 s30, s21, 31
	s_lshr_b32 s30, s30, 28
	v_add_u32_e32 v72, s10, v0
	s_add_i32 s21, s21, s30
	v_ashrrev_i32_e32 v3, 31, v72
	s_ashr_i32 s21, s21, 4
	v_lshrrev_b32_e32 v3, 28, v3
	s_add_i32 s21, s21, -1
	v_add_u32_e32 v3, v72, v3
	s_waitcnt lgkmcnt(0)
	s_mul_i32 s30, s2, s11
	s_mov_b32 s31, 0
	v_ashrrev_i32_e32 v3, 4, v3
	v_mov_b32_e32 v4, s21
	v_cmp_gt_i32_e32 vcc, s3, v72
	s_lshl_b64 s[30:31], s[30:31], 2
	s_add_u32 s8, s8, s30
	v_cndmask_b32_e32 v4, v4, v3, vcc
	v_ashrrev_i32_e32 v3, 31, v2
	v_lshrrev_b32_e32 v3, 28, v3
	s_addc_u32 s9, s9, s31
	v_ashrrev_i32_e32 v5, 31, v4
	v_add_u32_e32 v2, v2, v3
	v_lshl_add_u64 v[8:9], v[4:5], 2, s[8:9]
	v_ashrrev_i32_e32 v4, 4, v2
	v_min_i32_e32 v2, s21, v4
	v_ashrrev_i32_e32 v3, 31, v2
	v_lshl_add_u64 v[10:11], v[2:3], 2, s[8:9]
	v_add_u32_e32 v2, 1, v4
	v_min_i32_e32 v2, s21, v2
	v_ashrrev_i32_e32 v3, 31, v2
	v_lshl_add_u64 v[12:13], v[2:3], 2, s[8:9]
	v_add_u32_e32 v2, 2, v4
	;; [unrolled: 4-line block ×3, first 2 shown]
	v_min_i32_e32 v2, s21, v2
	v_ashrrev_i32_e32 v3, 31, v2
	v_lshl_add_u64 v[16:17], v[2:3], 2, s[8:9]
	global_load_dword v2, v[8:9], off
	global_load_dword v4, v[10:11], off
	global_load_dword v5, v[12:13], off
	global_load_dword v6, v[14:15], off
	global_load_dword v7, v[16:17], off
	s_load_dwordx4 s[8:11], s[0:1], 0x8
	s_andn2_b64 vcc, exec, s[18:19]
	s_cbranch_vccnz .LBB284_11
; %bb.9:
	s_add_u32 s16, s16, s28
	s_addc_u32 s17, s17, s29
	s_load_dword s21, s[16:17], 0x0
	s_branch .LBB284_12
.LBB284_10:
	s_mov_b64 s[8:9], 0
	s_branch .LBB284_2
.LBB284_11:
	s_mov_b32 s21, s2
.LBB284_12:
	s_load_dwordx4 s[16:19], s[0:1], 0x48
	v_cmp_eq_u32_e32 vcc, 0, v71
	s_mov_b32 s29, 0
	v_mov_b32_e32 v73, 0
	v_mov_b32_e32 v27, 0
	;; [unrolled: 1-line block ×6, first 2 shown]
	s_and_saveexec_b64 s[30:31], vcc
	s_cbranch_execz .LBB284_14
; %bb.13:
	s_load_dwordx2 s[34:35], s[0:1], 0x0
	s_waitcnt lgkmcnt(0)
	s_ashr_i32 s19, s16, 31
	s_mul_hi_u32 s28, s21, s16
	s_mul_i32 s19, s21, s19
	s_add_i32 s37, s28, s19
	s_mul_i32 s36, s21, s16
	s_lshl_b64 s[36:37], s[36:37], 1
	s_add_u32 s16, s34, s36
	s_addc_u32 s19, s35, s37
	s_lshl_b32 s28, s4, 7
	s_lshl_b64 s[34:35], s[28:29], 1
	s_add_u32 s34, s16, s34
	s_addc_u32 s35, s19, s35
	v_lshlrev_b32_e32 v3, 2, v1
	global_load_dwordx4 v[66:69], v3, s[34:35]
	v_mov_b32_e32 v73, 1.0
.LBB284_14:
	s_or_b64 exec, exec, s[30:31]
	s_waitcnt lgkmcnt(0)
	s_mul_i32 s28, s4, s18
	s_lshl_b64 s[18:19], s[28:29], 1
	s_add_u32 s8, s18, s8
	s_waitcnt vmcnt(4)
	v_mad_i64_i32 v[2:3], s[30:31], v2, s17, 0
	s_addc_u32 s9, s19, s9
	v_and_b32_e32 v8, 15, v0
	v_lshl_add_u64 v[2:3], v[2:3], 1, s[8:9]
	v_lshlrev_b32_e32 v26, 4, v8
	v_lshl_add_u64 v[2:3], v[2:3], 0, v[26:27]
	global_load_dwordx4 v[8:11], v[2:3], off
	global_load_dwordx4 v[12:15], v[2:3], off offset:256
	global_load_dwordx4 v[16:19], v[2:3], off offset:512
	;; [unrolled: 1-line block ×15, first 2 shown]
	s_waitcnt vmcnt(19)
	v_mul_hi_i32 v24, v4, s17
	s_waitcnt vmcnt(18)
	v_mul_hi_i32 v26, v5, s17
	;; [unrolled: 2-line block ×4, first 2 shown]
	v_ashrrev_i32_e32 v93, 31, v24
	v_ashrrev_i32_e32 v24, 31, v26
	;; [unrolled: 1-line block ×4, first 2 shown]
	v_mov_b32_e32 v25, v27
	v_mov_b32_e32 v65, v27
	;; [unrolled: 1-line block ×3, first 2 shown]
	v_lshrrev_b32_e32 v24, 29, v24
	v_lshrrev_b32_e32 v64, 29, v26
	;; [unrolled: 1-line block ×3, first 2 shown]
	v_mad_i64_i32 v[2:3], s[8:9], v5, s17, v[24:25]
	v_mad_i64_i32 v[24:25], s[8:9], v6, s17, v[64:65]
	;; [unrolled: 1-line block ×3, first 2 shown]
	s_add_u32 s8, s10, s18
	v_lshrrev_b32_e32 v26, 29, v93
	s_addc_u32 s9, s11, s19
	v_mad_i64_i32 v[4:5], s[10:11], v4, s17, v[26:27]
	v_lshlrev_b64 v[2:3], 1, v[2:3]
	v_lshlrev_b64 v[6:7], 1, v[6:7]
	v_and_b32_e32 v2, -16, v2
	v_and_b32_e32 v6, -16, v6
	v_lshlrev_b32_e32 v26, 5, v1
	v_lshl_add_u64 v[2:3], s[8:9], 0, v[2:3]
	v_lshl_add_u64 v[6:7], s[8:9], 0, v[6:7]
	s_load_dword s0, s[0:1], 0x1c
	v_cmp_eq_u32_e32 vcc, 1, v71
	v_and_b32_e32 v91, -4, v72
	v_lshlrev_b32_e32 v92, 2, v0
	v_cndmask_b32_e64 v88, 0, 1.0, vcc
	v_cmp_eq_u32_e32 vcc, 2, v71
	v_or_b32_e32 v72, 3, v72
	v_cmp_gt_i32_e64 s[10:11], s3, v72
	v_cndmask_b32_e64 v89, 0, 1.0, vcc
	v_cmp_eq_u32_e32 vcc, 3, v71
	s_waitcnt vmcnt(15)
	v_mfma_f32_4x4x4_16b_f16 a[0:3], v[66:67], v[8:9], 0 cbsz:4
	v_lshlrev_b64 v[8:9], 1, v[24:25]
	s_nop 0
	v_mfma_f32_4x4x4_16b_f16 a[0:3], v[68:69], v[10:11], a[0:3] cbsz:4
	v_and_b32_e32 v8, -16, v8
	v_lshl_add_u64 v[8:9], s[8:9], 0, v[8:9]
	s_waitcnt vmcnt(14)
	v_mfma_f32_4x4x4_16b_f16 a[0:3], v[66:67], v[12:13], a[0:3] cbsz:4 abid:1
	v_lshl_add_u64 v[10:11], v[2:3], 0, v[26:27]
	v_cndmask_b32_e64 v90, 0, 1.0, vcc
	v_mfma_f32_4x4x4_16b_f16 a[0:3], v[68:69], v[14:15], a[0:3] cbsz:4 abid:1
	v_cmp_gt_i32_e32 vcc, s3, v91
	s_waitcnt vmcnt(13)
	v_mfma_f32_4x4x4_16b_f16 a[0:3], v[66:67], v[16:17], a[0:3] cbsz:4 abid:2
	s_nop 1
	v_mfma_f32_4x4x4_16b_f16 a[0:3], v[68:69], v[18:19], a[0:3] cbsz:4 abid:2
	v_lshl_add_u64 v[18:19], v[8:9], 0, v[26:27]
	s_waitcnt vmcnt(12)
	v_mfma_f32_4x4x4_16b_f16 a[0:3], v[66:67], v[20:21], a[0:3] cbsz:4 abid:3
	s_nop 1
	v_mfma_f32_4x4x4_16b_f16 a[0:3], v[68:69], v[22:23], a[0:3] cbsz:4 abid:3
	s_waitcnt vmcnt(11)
	s_nop 0
	v_mfma_f32_4x4x4_16b_f16 a[0:3], v[66:67], v[28:29], a[0:3] cbsz:4 abid:4
	v_lshlrev_b64 v[28:29], 1, v[4:5]
	v_and_b32_e32 v28, -16, v28
	v_mfma_f32_4x4x4_16b_f16 a[0:3], v[68:69], v[30:31], a[0:3] cbsz:4 abid:4
	v_lshl_add_u64 v[28:29], s[8:9], 0, v[28:29]
	s_waitcnt vmcnt(10)
	v_mfma_f32_4x4x4_16b_f16 a[0:3], v[66:67], v[32:33], a[0:3] cbsz:4 abid:5
	s_nop 1
	v_mfma_f32_4x4x4_16b_f16 a[0:3], v[68:69], v[34:35], a[0:3] cbsz:4 abid:5
	s_waitcnt vmcnt(9)
	s_nop 0
	v_mfma_f32_4x4x4_16b_f16 a[0:3], v[66:67], v[36:37], a[0:3] cbsz:4 abid:6
	s_nop 1
	v_mfma_f32_4x4x4_16b_f16 a[0:3], v[68:69], v[38:39], a[0:3] cbsz:4 abid:6
	s_waitcnt vmcnt(8)
	s_nop 0
	v_mfma_f32_4x4x4_16b_f16 a[0:3], v[66:67], v[40:41], a[0:3] cbsz:4 abid:7
	s_nop 1
	v_mfma_f32_4x4x4_16b_f16 a[0:3], v[68:69], v[42:43], a[0:3] cbsz:4 abid:7
	v_lshl_add_u64 v[42:43], v[6:7], 0, v[26:27]
	global_load_dwordx4 v[2:5], v[10:11], off
	global_load_dwordx4 v[6:9], v[10:11], off offset:16
	s_waitcnt vmcnt(9)
	v_mfma_f32_4x4x4_16b_f16 a[0:3], v[66:67], v[44:45], a[0:3] cbsz:4 abid:8
	global_load_dwordx4 v[30:33], v[10:11], off offset:2048
	global_load_dwordx4 v[34:37], v[10:11], off offset:2064
	v_mfma_f32_4x4x4_16b_f16 a[0:3], v[68:69], v[46:47], a[0:3] cbsz:4 abid:8
	global_load_dwordx4 v[10:13], v[18:19], off
	global_load_dwordx4 v[14:17], v[18:19], off offset:16
	s_waitcnt vmcnt(12)
	v_mfma_f32_4x4x4_16b_f16 a[0:3], v[66:67], v[48:49], a[0:3] cbsz:4 abid:9
	global_load_dwordx4 v[38:41], v[18:19], off offset:2048
	global_load_dwordx4 v[46:49], v[18:19], off offset:2064
	v_mfma_f32_4x4x4_16b_f16 a[0:3], v[68:69], v[50:51], a[0:3] cbsz:4 abid:9
	global_load_dwordx4 v[18:21], v[42:43], off
	global_load_dwordx4 v[22:25], v[42:43], off offset:16
	s_waitcnt vmcnt(15)
	v_mfma_f32_4x4x4_16b_f16 a[0:3], v[66:67], v[52:53], a[0:3] cbsz:4 abid:10
	s_nop 1
	v_mfma_f32_4x4x4_16b_f16 a[0:3], v[68:69], v[54:55], a[0:3] cbsz:4 abid:10
	s_waitcnt vmcnt(14)
	s_nop 0
	v_mfma_f32_4x4x4_16b_f16 a[0:3], v[66:67], v[56:57], a[0:3] cbsz:4 abid:11
	global_load_dwordx4 v[50:53], v[42:43], off offset:2048
	global_load_dwordx4 v[54:57], v[42:43], off offset:2064
	v_mfma_f32_4x4x4_16b_f16 a[0:3], v[68:69], v[58:59], a[0:3] cbsz:4 abid:11
	s_waitcnt vmcnt(15)
	s_nop 0
	v_mfma_f32_4x4x4_16b_f16 a[0:3], v[66:67], v[60:61], a[0:3] cbsz:4 abid:12
	s_nop 1
	v_mfma_f32_4x4x4_16b_f16 a[0:3], v[68:69], v[62:63], a[0:3] cbsz:4 abid:12
	s_waitcnt vmcnt(14)
	s_nop 0
	v_mfma_f32_4x4x4_16b_f16 a[0:3], v[66:67], v[74:75], a[0:3] cbsz:4 abid:13
	v_lshl_add_u64 v[74:75], v[28:29], 0, v[26:27]
	global_load_dwordx4 v[42:45], v[74:75], off
	global_load_dwordx4 v[26:29], v[74:75], off offset:16
	global_load_dwordx4 v[58:61], v[74:75], off offset:2048
	;; [unrolled: 1-line block ×3, first 2 shown]
	v_mfma_f32_4x4x4_16b_f16 a[0:3], v[68:69], v[76:77], a[0:3] cbsz:4 abid:13
	v_mov_b32_e32 v74, 0xff7fffff
	v_and_or_b32 v75, v92, 48, v71
	s_waitcnt vmcnt(17)
	v_mfma_f32_4x4x4_16b_f16 a[0:3], v[66:67], v[78:79], a[0:3] cbsz:4 abid:14
	s_nop 1
	v_mfma_f32_4x4x4_16b_f16 a[0:3], v[68:69], v[80:81], a[0:3] cbsz:4 abid:14
	s_waitcnt vmcnt(16)
	s_nop 0
	v_mfma_f32_4x4x4_16b_f16 a[0:3], v[66:67], v[82:83], a[0:3] cbsz:4 abid:15
	s_nop 1
	v_mfma_f32_4x4x4_16b_f16 a[0:3], v[68:69], v[84:85], a[0:3] cbsz:4 abid:15
	s_nop 4
	v_accvgpr_read_b32 v67, a1
	v_accvgpr_read_b32 v66, a0
	s_waitcnt lgkmcnt(0)
	v_pk_mul_f32 v[66:67], s[0:1], v[66:67] op_sel_hi:[0,1]
	v_accvgpr_read_b32 v69, a3
	v_accvgpr_read_b32 v68, a2
	v_pk_mul_f32 v[68:69], s[0:1], v[68:69] op_sel_hi:[0,1]
	v_mfma_f32_4x4x1_16b_f32 a[0:3], v66, v73, 0
	v_or_b32_e32 v66, 1, v91
	s_nop 0
	v_mfma_f32_4x4x1_16b_f32 a[0:3], v67, v88, a[0:3]
	v_lshlrev_b32_e32 v73, 2, v75
	v_cmp_gt_i32_e64 s[0:1], s3, v66
	v_mfma_f32_4x4x1_16b_f32 a[0:3], v68, v89, a[0:3]
	v_or_b32_e32 v67, 2, v91
	v_cmp_gt_i32_e64 s[8:9], s3, v67
	v_mfma_f32_4x4x1_16b_f32 a[0:3], v69, v90, a[0:3]
	s_nop 3
	v_accvgpr_read_b32 v68, a0
	v_max_f32_e32 v77, v68, v68
	v_accvgpr_read_b32 v69, a1
	v_max_f32_e32 v77, 0xff7fffff, v77
	v_max_f32_e32 v78, v69, v69
	v_cndmask_b32_e32 v74, v74, v77, vcc
	v_accvgpr_read_b32 v75, a2
	v_max_f32_e32 v77, v74, v78
	v_max_f32_e32 v79, v75, v75
	v_cndmask_b32_e64 v66, v74, v77, s[0:1]
	v_accvgpr_read_b32 v76, a3
	v_max_f32_e32 v74, v66, v79
	v_max_f32_e32 v80, v76, v76
	v_cndmask_b32_e64 v66, v66, v74, s[8:9]
	v_max_f32_e32 v67, v66, v80
	v_cndmask_b32_e64 v66, v66, v67, s[10:11]
	;;#ASMSTART
	v_nop
 v_nop
 v_max_f32_dpp v66, v66, v66 row_ror:4
	;;#ASMEND
	s_nop 0
	;;#ASMSTART
	v_nop
 v_nop
 v_max_f32_dpp v66, v66, v66 row_ror:8
	;;#ASMEND
	ds_bpermute_b32 v66, v73, v66
	s_waitcnt lgkmcnt(0)
	;;#ASMSTART
	v_nop
 v_nop
 v_max_f32_dpp v66, v66, v66 row_ror:4
	;;#ASMEND
	s_nop 0
	;;#ASMSTART
	v_nop
 v_nop
 v_max_f32_dpp v72, v66, v66 row_ror:8
	;;#ASMEND
	s_nop 0
	v_sub_f32_e32 v66, v68, v72
	v_sub_f32_e32 v67, v69, v72
	;; [unrolled: 1-line block ×3, first 2 shown]
	v_mul_f32_e32 v66, 0x3fb8aa3b, v66
	v_mul_f32_e32 v67, 0x3fb8aa3b, v67
	;; [unrolled: 1-line block ×3, first 2 shown]
	v_exp_f32_e32 v66, v66
	v_sub_f32_e32 v69, v76, v72
	v_exp_f32_e32 v67, v67
	v_exp_f32_e32 v74, v68
	v_mul_f32_e32 v69, 0x3fb8aa3b, v69
	v_exp_f32_e32 v75, v69
	v_cndmask_b32_e32 v68, 0, v66, vcc
	v_cndmask_b32_e64 v69, 0, v67, s[0:1]
	v_cndmask_b32_e64 v66, 0, v74, s[8:9]
	v_add_f32_e32 v74, 0, v68
	v_add_f32_e32 v74, v74, v69
	v_cndmask_b32_e64 v67, 0, v75, s[10:11]
	v_add_f32_e32 v74, v74, v66
	v_add_f32_e32 v74, v74, v67
	;;#ASMSTART
	v_nop
 v_nop
 v_add_f32_dpp v74, v74, v74 row_ror:4
	;;#ASMEND
	v_cmp_gt_u32_e32 vcc, 4, v1
	;;#ASMSTART
	v_nop
 v_nop
 v_add_f32_dpp v74, v74, v74 row_ror:8
	;;#ASMEND
	ds_bpermute_b32 v73, v73, v74
	s_waitcnt lgkmcnt(0)
	;;#ASMSTART
	v_nop
 v_nop
 v_add_f32_dpp v73, v73, v73 row_ror:4
	;;#ASMEND
	s_nop 0
	;;#ASMSTART
	v_nop
 v_nop
 v_add_f32_dpp v73, v73, v73 row_ror:8
	;;#ASMEND
	s_and_saveexec_b64 s[0:1], vcc
	s_cbranch_execz .LBB284_16
; %bb.15:
	v_mul_u32_u24_e32 v74, 20, v70
	v_lshl_add_u32 v74, v71, 2, v74
	v_add_u32_e32 v74, 0x1400, v74
	ds_write2_b32 v74, v72, v73 offset1:20
.LBB284_16:
	s_or_b64 exec, exec, s[0:1]
.LBB284_17:
	s_or_b64 exec, exec, s[26:27]
	s_waitcnt lgkmcnt(0)
	s_barrier
	s_load_dword s0, s[24:25], 0x8
	v_lshlrev_b32_e32 v73, 2, v71
	v_add_u32_e32 v74, 0x1400, v73
	ds_read2_b32 v[76:77], v74 offset1:5
	ds_read2_b32 v[78:79], v74 offset0:10 offset1:15
	s_mul_i32 s1, s5, s2
	s_waitcnt lgkmcnt(0)
	s_mul_i32 s0, s1, s0
	s_mov_b32 s1, 0xff7fffff
	v_max3_f32 v73, v76, s1, v77
	v_max3_f32 v73, v73, v78, v79
	v_sub_f32_e32 v75, v76, v73
	v_sub_f32_e32 v76, v77, v73
	v_mul_f32_e32 v76, 0x3fb8aa3b, v76
	ds_read2_b32 v[80:81], v74 offset0:20 offset1:25
	v_mul_f32_e32 v75, 0x3fb8aa3b, v75
	v_exp_f32_e32 v83, v76
	ds_read2_b32 v[76:77], v74 offset0:30 offset1:35
	v_sub_f32_e32 v74, v78, v73
	v_exp_f32_e32 v82, v75
	v_mul_f32_e32 v74, 0x3fb8aa3b, v74
	v_exp_f32_e32 v78, v74
	v_sub_f32_e32 v74, v79, v73
	v_mul_f32_e32 v74, 0x3fb8aa3b, v74
	v_exp_f32_e32 v79, v74
	s_waitcnt lgkmcnt(1)
	v_fma_f32 v74, v82, v80, 0
	v_fmac_f32_e32 v74, v83, v81
	s_waitcnt lgkmcnt(0)
	v_fmac_f32_e32 v74, v78, v76
	v_mov_b32_e32 v75, 0
	v_fmac_f32_e32 v74, v79, v77
	s_mov_b32 s1, 0
	v_cmp_eq_u32_e32 vcc, 0, v71
	s_and_saveexec_b64 s[2:3], vcc
	s_cbranch_execz .LBB284_19
; %bb.18:
	s_lshl_b64 s[8:9], s[0:1], 2
	s_add_u32 s12, s12, s8
	s_mov_b32 s21, s1
	s_addc_u32 s13, s13, s9
	s_lshl_b64 s[10:11], s[20:21], 2
	s_add_u32 s12, s12, s10
	s_addc_u32 s13, s13, s11
	s_add_u32 s8, s14, s8
	s_addc_u32 s9, s15, s9
	;; [unrolled: 2-line block ×3, first 2 shown]
	s_mul_i32 s8, s5, s4
	s_mov_b32 s9, s1
	s_lshl_b64 s[8:9], s[8:9], 2
	s_add_u32 s10, s12, s8
	s_addc_u32 s11, s13, s9
	s_add_u32 s8, s14, s8
	s_addc_u32 s9, s15, s9
	global_store_dword v75, v73, s[8:9]
	global_store_dword v75, v74, s[10:11]
.LBB284_19:
	s_or_b64 exec, exec, s[2:3]
	v_lshlrev_b32_e32 v70, 3, v70
	s_and_saveexec_b64 s[2:3], s[6:7]
	s_xor_b64 s[2:3], exec, s[2:3]
	s_cbranch_execz .LBB284_21
; %bb.20:
	s_mov_b32 s6, 0
	s_mov_b32 s7, s6
	s_waitcnt vmcnt(15)
	v_mad_u32_u24 v4, v1, 40, v70
	v_mov_b64_e32 v[2:3], s[6:7]
	ds_write2st64_b64 v4, v[2:3], v[2:3] offset1:5
                                        ; implicit-def: $vgpr67
                                        ; implicit-def: $vgpr69
                                        ; implicit-def: $vgpr43
                                        ; implicit-def: $vgpr27
                                        ; implicit-def: $vgpr3
                                        ; implicit-def: $vgpr7
                                        ; implicit-def: $vgpr11
                                        ; implicit-def: $vgpr15
                                        ; implicit-def: $vgpr19
                                        ; implicit-def: $vgpr23
                                        ; implicit-def: $vgpr59
                                        ; implicit-def: $vgpr63
                                        ; implicit-def: $vgpr31
                                        ; implicit-def: $vgpr35
                                        ; implicit-def: $vgpr39
                                        ; implicit-def: $vgpr47
                                        ; implicit-def: $vgpr51
                                        ; implicit-def: $vgpr55
                                        ; implicit-def: $vgpr72
                                        ; implicit-def: $vgpr73
                                        ; implicit-def: $vgpr74
                                        ; implicit-def: $vgpr70
.LBB284_21:
	s_andn2_saveexec_b64 s[2:3], s[2:3]
	s_cbranch_execz .LBB284_23
; %bb.22:
	v_add_f32_e32 v71, 0x358637bd, v74
	v_div_scale_f32 v74, s[6:7], v71, v71, 1.0
	v_rcp_f32_e32 v75, v74
	v_sub_f32_e32 v72, v72, v73
	v_mul_f32_e32 v72, 0x3fb8aa3b, v72
	v_exp_f32_e32 v72, v72
	v_fma_f32 v73, -v74, v75, 1.0
	v_fmac_f32_e32 v75, v73, v75
	v_div_scale_f32 v73, vcc, 1.0, v71, 1.0
	v_mul_f32_e32 v76, v73, v75
	v_fma_f32 v77, -v74, v76, v73
	v_fmac_f32_e32 v76, v77, v75
	v_fma_f32 v73, -v74, v76, v73
	v_div_fmas_f32 v73, v73, v75, v76
	v_div_fixup_f32 v71, v73, v71, 1.0
	v_mul_f32_e32 v72, v72, v71
	v_pk_mul_f32 v[66:67], v[66:67], v[72:73] op_sel_hi:[1,0]
	v_pk_mul_f32 v[68:69], v[68:69], v[72:73] op_sel_hi:[1,0]
	v_cvt_f16_f32_e32 v71, v66
	v_cvt_f16_f32_e32 v68, v68
	;; [unrolled: 1-line block ×4, first 2 shown]
	v_pack_b32_f16 v66, v68, v69
	v_pack_b32_f16 v67, v71, v67
	s_waitcnt vmcnt(3)
	s_nop 0
	v_mfma_f32_4x4x4_16b_f16 a[0:3], v[66:67], v[42:43], 0 cbsz:4
	s_nop 1
	v_mfma_f32_4x4x4_16b_f16 a[0:3], v[66:67], v[44:45], a[0:3] cbsz:4 abid:1
	s_waitcnt vmcnt(1)
	v_mfma_f32_4x4x4_16b_f16 a[4:7], v[66:67], v[58:59], 0 cbsz:4
	v_mfma_f32_4x4x4_16b_f16 a[0:3], v[66:67], v[26:27], a[0:3] cbsz:4 abid:2
	s_nop 0
	v_mfma_f32_4x4x4_16b_f16 a[4:7], v[66:67], v[60:61], a[4:7] cbsz:4 abid:1
	v_mfma_f32_4x4x4_16b_f16 a[0:3], v[66:67], v[28:29], a[0:3] cbsz:4 abid:3
	s_waitcnt vmcnt(0)
	v_mfma_f32_4x4x4_16b_f16 a[4:7], v[66:67], v[62:63], a[4:7] cbsz:4 abid:2
	v_mfma_f32_4x4x4_16b_f16 a[0:3], v[66:67], v[2:3], a[0:3] cbsz:4 abid:4
	s_nop 0
	v_mfma_f32_4x4x4_16b_f16 a[4:7], v[66:67], v[64:65], a[4:7] cbsz:4 abid:3
	v_mfma_f32_4x4x4_16b_f16 a[0:3], v[66:67], v[4:5], a[0:3] cbsz:4 abid:5
	s_nop 0
	;; [unrolled: 3-line block ×3, first 2 shown]
	v_mfma_f32_4x4x4_16b_f16 a[4:7], v[66:67], v[32:33], a[4:7] cbsz:4 abid:5
	v_mfma_f32_4x4x4_16b_f16 a[0:3], v[66:67], v[8:9], a[0:3] cbsz:4 abid:7
	v_mad_u32_u24 v9, v1, 40, v70
	v_mfma_f32_4x4x4_16b_f16 a[4:7], v[66:67], v[34:35], a[4:7] cbsz:4 abid:6
	v_mfma_f32_4x4x4_16b_f16 a[0:3], v[66:67], v[10:11], a[0:3] cbsz:4 abid:8
	s_nop 0
	v_mfma_f32_4x4x4_16b_f16 a[4:7], v[66:67], v[36:37], a[4:7] cbsz:4 abid:7
	v_mfma_f32_4x4x4_16b_f16 a[0:3], v[66:67], v[12:13], a[0:3] cbsz:4 abid:9
	s_nop 0
	;; [unrolled: 3-line block ×7, first 2 shown]
	v_mfma_f32_4x4x4_16b_f16 a[0:3], v[66:67], v[24:25], a[0:3] cbsz:4 abid:15
	s_nop 4
	v_accvgpr_read_b32 v2, a0
	v_accvgpr_read_b32 v3, a1
	;; [unrolled: 1-line block ×4, first 2 shown]
	v_mfma_f32_4x4x4_16b_f16 a[0:3], v[66:67], v[52:53], a[4:7] cbsz:4 abid:13
	v_cvt_f16_f32_e32 v2, v2
	v_cvt_f16_f32_e32 v3, v3
	v_mfma_f32_4x4x4_16b_f16 a[0:3], v[66:67], v[54:55], a[0:3] cbsz:4 abid:14
	v_pack_b32_f16 v2, v2, v3
	s_nop 0
	v_mfma_f32_4x4x4_16b_f16 a[0:3], v[66:67], v[56:57], a[0:3] cbsz:4 abid:15
	v_cvt_f16_f32_e32 v3, v4
	v_cvt_f16_f32_e32 v4, v5
	v_pack_b32_f16 v3, v3, v4
	s_nop 1
	v_accvgpr_read_b32 v5, a0
	v_accvgpr_read_b32 v6, a1
	v_accvgpr_read_b32 v7, a2
	v_accvgpr_read_b32 v8, a3
	v_cvt_f16_f32_e32 v5, v5
	v_cvt_f16_f32_e32 v6, v6
	v_cvt_f16_f32_e32 v7, v7
	v_cvt_f16_f32_e32 v8, v8
	v_pack_b32_f16 v4, v5, v6
	v_pack_b32_f16 v5, v7, v8
	ds_write2st64_b64 v9, v[2:3], v[4:5] offset1:5
.LBB284_23:
	s_or_b64 exec, exec, s[2:3]
	v_cmp_gt_u32_e32 vcc, 64, v0
	s_waitcnt lgkmcnt(0)
	s_barrier
	s_and_saveexec_b64 s[2:3], vcc
	s_cbranch_execz .LBB284_25
; %bb.24:
	s_waitcnt vmcnt(15)
	v_mov_b32_e32 v2, 0xa00
	v_mad_u32_u24 v2, v1, 40, v2
	s_waitcnt vmcnt(14)
	v_mov_b32_e32 v6, 0xa10
	ds_read2_b64 v[2:5], v2 offset1:1
	s_waitcnt lgkmcnt(0)
	v_mad_u32_u24 v3, v1, 40, v6
	ds_read2_b64 v[6:9], v3 offset1:1
	v_mul_u32_u24_e32 v1, 40, v1
	s_lshl_b32 s0, s0, 7
	v_pk_add_f16 v2, v2, 0
	s_lshl_b64 s[2:3], s[0:1], 1
	v_pk_add_f16 v2, v2, v4
	s_add_u32 s2, s22, s2
	s_waitcnt lgkmcnt(0)
	v_pk_add_f16 v2, v2, v6
	s_addc_u32 s3, s23, s3
	s_waitcnt vmcnt(11)
	v_pk_add_f16 v10, v2, v8
	ds_read2_b64 v[2:5], v1 offset1:1
	ds_read2_b64 v[6:9], v1 offset0:2 offset1:3
	s_lshl_b32 s0, s20, 7
	s_lshl_b64 s[0:1], s[0:1], 1
	s_add_u32 s0, s2, s0
	s_waitcnt lgkmcnt(1)
	v_pk_add_f16 v2, v2, 0
	s_mul_i32 s4, s4, s5
	v_pk_add_f16 v2, v2, v4
	s_addc_u32 s1, s3, s1
	v_lshl_or_b32 v0, s4, 7, v0
	v_mov_b32_e32 v1, 0
	s_waitcnt lgkmcnt(0)
	v_pk_add_f16 v2, v2, v6
	v_lshl_add_u64 v[0:1], v[0:1], 1, s[0:1]
	v_pk_add_f16 v2, v2, v8
	global_store_short v[0:1], v2, off
	global_store_short v[0:1], v10, off offset:128
.LBB284_25:
	s_endpgm
	.section	.rodata,"a",@progbits
	.p2align	6, 0x0
	.amdhsa_kernel _Z38paged_attention_ll4mi_QKV_mfma4_kernelIDF16_DF16_LN4vllm18Fp8KVCacheDataTypeE0EDF16_Li16ELi128ELi256ELb0ELi1EEvPKT_PKT0_S7_ifPKiS9_S9_iPKfiiiPfSC_PS2_PT2_iSB_SB_
		.amdhsa_group_segment_fixed_size 5280
		.amdhsa_private_segment_fixed_size 0
		.amdhsa_kernarg_size 400
		.amdhsa_user_sgpr_count 2
		.amdhsa_user_sgpr_dispatch_ptr 0
		.amdhsa_user_sgpr_queue_ptr 0
		.amdhsa_user_sgpr_kernarg_segment_ptr 1
		.amdhsa_user_sgpr_dispatch_id 0
		.amdhsa_user_sgpr_kernarg_preload_length 0
		.amdhsa_user_sgpr_kernarg_preload_offset 0
		.amdhsa_user_sgpr_private_segment_size 0
		.amdhsa_uses_dynamic_stack 0
		.amdhsa_enable_private_segment 0
		.amdhsa_system_sgpr_workgroup_id_x 1
		.amdhsa_system_sgpr_workgroup_id_y 1
		.amdhsa_system_sgpr_workgroup_id_z 1
		.amdhsa_system_sgpr_workgroup_info 0
		.amdhsa_system_vgpr_workitem_id 0
		.amdhsa_next_free_vgpr 104
		.amdhsa_next_free_sgpr 38
		.amdhsa_accum_offset 96
		.amdhsa_reserve_vcc 1
		.amdhsa_float_round_mode_32 0
		.amdhsa_float_round_mode_16_64 0
		.amdhsa_float_denorm_mode_32 3
		.amdhsa_float_denorm_mode_16_64 3
		.amdhsa_dx10_clamp 1
		.amdhsa_ieee_mode 1
		.amdhsa_fp16_overflow 0
		.amdhsa_tg_split 0
		.amdhsa_exception_fp_ieee_invalid_op 0
		.amdhsa_exception_fp_denorm_src 0
		.amdhsa_exception_fp_ieee_div_zero 0
		.amdhsa_exception_fp_ieee_overflow 0
		.amdhsa_exception_fp_ieee_underflow 0
		.amdhsa_exception_fp_ieee_inexact 0
		.amdhsa_exception_int_div_zero 0
	.end_amdhsa_kernel
	.section	.text._Z38paged_attention_ll4mi_QKV_mfma4_kernelIDF16_DF16_LN4vllm18Fp8KVCacheDataTypeE0EDF16_Li16ELi128ELi256ELb0ELi1EEvPKT_PKT0_S7_ifPKiS9_S9_iPKfiiiPfSC_PS2_PT2_iSB_SB_,"axG",@progbits,_Z38paged_attention_ll4mi_QKV_mfma4_kernelIDF16_DF16_LN4vllm18Fp8KVCacheDataTypeE0EDF16_Li16ELi128ELi256ELb0ELi1EEvPKT_PKT0_S7_ifPKiS9_S9_iPKfiiiPfSC_PS2_PT2_iSB_SB_,comdat
.Lfunc_end284:
	.size	_Z38paged_attention_ll4mi_QKV_mfma4_kernelIDF16_DF16_LN4vllm18Fp8KVCacheDataTypeE0EDF16_Li16ELi128ELi256ELb0ELi1EEvPKT_PKT0_S7_ifPKiS9_S9_iPKfiiiPfSC_PS2_PT2_iSB_SB_, .Lfunc_end284-_Z38paged_attention_ll4mi_QKV_mfma4_kernelIDF16_DF16_LN4vllm18Fp8KVCacheDataTypeE0EDF16_Li16ELi128ELi256ELb0ELi1EEvPKT_PKT0_S7_ifPKiS9_S9_iPKfiiiPfSC_PS2_PT2_iSB_SB_
                                        ; -- End function
	.section	.AMDGPU.csdata,"",@progbits
; Kernel info:
; codeLenInByte = 3716
; NumSgprs: 44
; NumVgprs: 94
; NumAgprs: 8
; TotalNumVgprs: 104
; ScratchSize: 0
; MemoryBound: 0
; FloatMode: 240
; IeeeMode: 1
; LDSByteSize: 5280 bytes/workgroup (compile time only)
; SGPRBlocks: 5
; VGPRBlocks: 12
; NumSGPRsForWavesPerEU: 44
; NumVGPRsForWavesPerEU: 104
; AccumOffset: 96
; Occupancy: 4
; WaveLimiterHint : 1
; COMPUTE_PGM_RSRC2:SCRATCH_EN: 0
; COMPUTE_PGM_RSRC2:USER_SGPR: 2
; COMPUTE_PGM_RSRC2:TRAP_HANDLER: 0
; COMPUTE_PGM_RSRC2:TGID_X_EN: 1
; COMPUTE_PGM_RSRC2:TGID_Y_EN: 1
; COMPUTE_PGM_RSRC2:TGID_Z_EN: 1
; COMPUTE_PGM_RSRC2:TIDIG_COMP_CNT: 0
; COMPUTE_PGM_RSRC3_GFX90A:ACCUM_OFFSET: 23
; COMPUTE_PGM_RSRC3_GFX90A:TG_SPLIT: 0
	.section	.text._Z38paged_attention_ll4mi_QKV_mfma4_kernelIDF16_DF16_LN4vllm18Fp8KVCacheDataTypeE0EDF16_Li16ELi128ELi256ELb0ELi2EEvPKT_PKT0_S7_ifPKiS9_S9_iPKfiiiPfSC_PS2_PT2_iSB_SB_,"axG",@progbits,_Z38paged_attention_ll4mi_QKV_mfma4_kernelIDF16_DF16_LN4vllm18Fp8KVCacheDataTypeE0EDF16_Li16ELi128ELi256ELb0ELi2EEvPKT_PKT0_S7_ifPKiS9_S9_iPKfiiiPfSC_PS2_PT2_iSB_SB_,comdat
	.protected	_Z38paged_attention_ll4mi_QKV_mfma4_kernelIDF16_DF16_LN4vllm18Fp8KVCacheDataTypeE0EDF16_Li16ELi128ELi256ELb0ELi2EEvPKT_PKT0_S7_ifPKiS9_S9_iPKfiiiPfSC_PS2_PT2_iSB_SB_ ; -- Begin function _Z38paged_attention_ll4mi_QKV_mfma4_kernelIDF16_DF16_LN4vllm18Fp8KVCacheDataTypeE0EDF16_Li16ELi128ELi256ELb0ELi2EEvPKT_PKT0_S7_ifPKiS9_S9_iPKfiiiPfSC_PS2_PT2_iSB_SB_
	.globl	_Z38paged_attention_ll4mi_QKV_mfma4_kernelIDF16_DF16_LN4vllm18Fp8KVCacheDataTypeE0EDF16_Li16ELi128ELi256ELb0ELi2EEvPKT_PKT0_S7_ifPKiS9_S9_iPKfiiiPfSC_PS2_PT2_iSB_SB_
	.p2align	8
	.type	_Z38paged_attention_ll4mi_QKV_mfma4_kernelIDF16_DF16_LN4vllm18Fp8KVCacheDataTypeE0EDF16_Li16ELi128ELi256ELb0ELi2EEvPKT_PKT0_S7_ifPKiS9_S9_iPKfiiiPfSC_PS2_PT2_iSB_SB_,@function
_Z38paged_attention_ll4mi_QKV_mfma4_kernelIDF16_DF16_LN4vllm18Fp8KVCacheDataTypeE0EDF16_Li16ELi128ELi256ELb0ELi2EEvPKT_PKT0_S7_ifPKiS9_S9_iPKfiiiPfSC_PS2_PT2_iSB_SB_: ; @_Z38paged_attention_ll4mi_QKV_mfma4_kernelIDF16_DF16_LN4vllm18Fp8KVCacheDataTypeE0EDF16_Li16ELi128ELi256ELb0ELi2EEvPKT_PKT0_S7_ifPKiS9_S9_iPKfiiiPfSC_PS2_PT2_iSB_SB_
; %bb.0:
	s_load_dwordx2 s[16:17], s[0:1], 0x30
	s_mov_b32 s20, s3
	s_mov_b64 s[6:7], 0
	s_waitcnt lgkmcnt(0)
	s_cmp_lg_u64 s[16:17], 0
	s_cselect_b64 s[18:19], -1, 0
	s_and_b64 vcc, exec, s[18:19]
	s_cbranch_vccz .LBB285_10
; %bb.1:
	s_add_i32 s8, s2, 1
	s_mov_b32 s9, 0
	s_lshl_b64 s[10:11], s[8:9], 2
	s_add_u32 s10, s16, s10
	s_mov_b32 s3, s9
	s_addc_u32 s11, s17, s11
	s_lshl_b64 s[8:9], s[2:3], 2
	s_add_u32 s8, s16, s8
	s_addc_u32 s9, s17, s9
	s_load_dword s5, s[10:11], 0x0
	s_load_dword s12, s[8:9], 0x0
	s_waitcnt lgkmcnt(0)
	s_sub_i32 s5, s5, s12
	s_cmp_eq_u32 s5, 1
	s_cselect_b64 s[8:9], -1, 0
	s_andn2_b64 vcc, exec, s[6:7]
	s_cbranch_vccnz .LBB285_3
.LBB285_2:
	s_mov_b32 s3, 0
	s_mov_b64 s[8:9], -1
.LBB285_3:
	s_andn2_b64 vcc, exec, s[8:9]
	s_cbranch_vccnz .LBB285_25
; %bb.4:
	s_load_dword s5, s[0:1], 0x9c
	s_load_dwordx2 s[6:7], s[0:1], 0x28
	s_add_u32 s24, s0, 0x90
	s_addc_u32 s25, s1, 0
	s_lshl_b64 s[28:29], s[2:3], 2
	s_waitcnt lgkmcnt(0)
	s_and_b32 s5, s5, 0xffff
	s_add_u32 s6, s6, s28
	s_addc_u32 s7, s7, s29
	s_load_dword s3, s[6:7], 0x0
	s_mul_i32 s10, s20, s5
	s_waitcnt lgkmcnt(0)
	s_cmp_ge_i32 s10, s3
	s_cbranch_scc1 .LBB285_25
; %bb.5:
	v_and_b32_e32 v1, 0xc0, v0
	v_add_u32_e32 v2, s10, v1
	v_lshrrev_b32_e32 v70, 6, v0
	v_cmp_le_i32_e64 s[6:7], s3, v2
                                        ; implicit-def: $sgpr21
                                        ; implicit-def: $sgpr11
	s_and_saveexec_b64 s[8:9], s[6:7]
	s_xor_b64 s[8:9], exec, s[8:9]
	s_cbranch_execz .LBB285_7
; %bb.6:
	v_mul_u32_u24_e32 v1, 20, v70
	v_or_b32_e32 v1, 0x1400, v1
	v_mov_b32_e32 v2, 0x1450
	v_mov_b32_e32 v3, 0xff7fffff
	v_mad_u32_u24 v2, v70, 20, v2
	ds_write2_b32 v1, v3, v3 offset1:1
	v_mov_b32_e32 v1, 0
	ds_write2_b32 v2, v1, v1 offset1:1
	v_mov_b32_e32 v2, 0x1408
	s_mov_b32 s11, 0xff7fffff
	s_mov_b32 s21, 0
	v_mad_u32_u24 v2, v70, 20, v2
	v_mov_b32_e32 v4, 0x1458
	v_mad_u32_u24 v4, v70, 20, v4
	ds_write2_b32 v2, v3, v3 offset1:1
	ds_write2_b32 v4, v1, v1 offset1:1
                                        ; implicit-def: $vgpr2
.LBB285_7:
	s_or_saveexec_b64 s[26:27], s[8:9]
	s_load_dwordx2 s[22:23], s[0:1], 0x68
	s_load_dwordx4 s[12:15], s[0:1], 0x58
	s_load_dword s5, s[24:25], 0x4
	v_and_b32_e32 v1, 63, v0
	v_and_b32_e32 v71, 3, v0
	v_mov_b32_e32 v67, s21
	v_mov_b32_e32 v72, s11
	;; [unrolled: 1-line block ×5, first 2 shown]
                                        ; implicit-def: $vgpr43
                                        ; implicit-def: $vgpr27
                                        ; implicit-def: $vgpr3
                                        ; implicit-def: $vgpr7
                                        ; implicit-def: $vgpr11
                                        ; implicit-def: $vgpr15
                                        ; implicit-def: $vgpr19
                                        ; implicit-def: $vgpr23
                                        ; implicit-def: $vgpr59
                                        ; implicit-def: $vgpr63
                                        ; implicit-def: $vgpr31
                                        ; implicit-def: $vgpr35
                                        ; implicit-def: $vgpr39
                                        ; implicit-def: $vgpr47
                                        ; implicit-def: $vgpr51
                                        ; implicit-def: $vgpr55
	s_xor_b64 exec, exec, s[26:27]
	s_cbranch_execz .LBB285_17
; %bb.8:
	s_add_i32 s21, s3, 15
	s_load_dwordx2 s[8:9], s[0:1], 0x20
	s_load_dword s11, s[0:1], 0x38
	s_ashr_i32 s30, s21, 31
	s_lshr_b32 s30, s30, 28
	v_add_u32_e32 v72, s10, v0
	s_add_i32 s21, s21, s30
	v_ashrrev_i32_e32 v3, 31, v72
	s_ashr_i32 s21, s21, 4
	v_lshrrev_b32_e32 v3, 28, v3
	s_add_i32 s21, s21, -1
	v_add_u32_e32 v3, v72, v3
	s_waitcnt lgkmcnt(0)
	s_mul_i32 s30, s2, s11
	s_mov_b32 s31, 0
	v_ashrrev_i32_e32 v3, 4, v3
	v_mov_b32_e32 v4, s21
	v_cmp_gt_i32_e32 vcc, s3, v72
	s_lshl_b64 s[30:31], s[30:31], 2
	s_add_u32 s8, s8, s30
	v_cndmask_b32_e32 v4, v4, v3, vcc
	v_ashrrev_i32_e32 v3, 31, v2
	v_lshrrev_b32_e32 v3, 28, v3
	s_addc_u32 s9, s9, s31
	v_ashrrev_i32_e32 v5, 31, v4
	v_add_u32_e32 v2, v2, v3
	v_lshl_add_u64 v[8:9], v[4:5], 2, s[8:9]
	v_ashrrev_i32_e32 v4, 4, v2
	v_min_i32_e32 v2, s21, v4
	v_ashrrev_i32_e32 v3, 31, v2
	v_lshl_add_u64 v[10:11], v[2:3], 2, s[8:9]
	v_add_u32_e32 v2, 1, v4
	v_min_i32_e32 v2, s21, v2
	v_ashrrev_i32_e32 v3, 31, v2
	v_lshl_add_u64 v[12:13], v[2:3], 2, s[8:9]
	v_add_u32_e32 v2, 2, v4
	;; [unrolled: 4-line block ×3, first 2 shown]
	v_min_i32_e32 v2, s21, v2
	v_ashrrev_i32_e32 v3, 31, v2
	v_lshl_add_u64 v[16:17], v[2:3], 2, s[8:9]
	global_load_dword v2, v[8:9], off
	global_load_dword v4, v[10:11], off
	;; [unrolled: 1-line block ×5, first 2 shown]
	s_load_dwordx4 s[8:11], s[0:1], 0x8
	s_andn2_b64 vcc, exec, s[18:19]
	s_cbranch_vccnz .LBB285_11
; %bb.9:
	s_add_u32 s16, s16, s28
	s_addc_u32 s17, s17, s29
	s_load_dword s21, s[16:17], 0x0
	s_branch .LBB285_12
.LBB285_10:
	s_mov_b64 s[8:9], 0
	s_branch .LBB285_2
.LBB285_11:
	s_mov_b32 s21, s2
.LBB285_12:
	s_load_dwordx4 s[16:19], s[0:1], 0x48
	v_cmp_gt_u32_e32 vcc, 2, v71
	s_mov_b32 s29, 0
	v_mov_b32_e32 v27, 0
	v_mov_b32_e32 v66, 0
	;; [unrolled: 1-line block ×5, first 2 shown]
	s_and_saveexec_b64 s[30:31], vcc
	s_cbranch_execz .LBB285_14
; %bb.13:
	s_load_dwordx2 s[34:35], s[0:1], 0x0
	s_waitcnt lgkmcnt(0)
	s_ashr_i32 s19, s16, 31
	s_mul_hi_u32 s28, s21, s16
	s_mul_i32 s19, s21, s19
	s_add_i32 s37, s28, s19
	s_mul_i32 s36, s21, s16
	s_lshl_b64 s[36:37], s[36:37], 1
	s_add_u32 s16, s34, s36
	s_addc_u32 s19, s35, s37
	s_lshl_b32 s28, s4, 8
	s_lshl_b64 s[34:35], s[28:29], 1
	v_lshlrev_b32_e32 v3, 2, v1
	s_add_u32 s34, s16, s34
	v_and_b32_e32 v3, 0xf0, v3
	s_addc_u32 s35, s19, s35
	v_lshl_or_b32 v3, v71, 8, v3
	global_load_dwordx4 v[66:69], v3, s[34:35]
.LBB285_14:
	s_or_b64 exec, exec, s[30:31]
	s_waitcnt lgkmcnt(0)
	s_mul_i32 s28, s4, s18
	s_lshl_b64 s[18:19], s[28:29], 1
	s_add_u32 s8, s18, s8
	s_waitcnt vmcnt(4)
	v_mad_i64_i32 v[2:3], s[30:31], v2, s17, 0
	s_addc_u32 s9, s19, s9
	v_and_b32_e32 v8, 15, v0
	v_lshl_add_u64 v[2:3], v[2:3], 1, s[8:9]
	v_lshlrev_b32_e32 v26, 4, v8
	v_lshl_add_u64 v[2:3], v[2:3], 0, v[26:27]
	global_load_dwordx4 v[8:11], v[2:3], off
	global_load_dwordx4 v[12:15], v[2:3], off offset:256
	global_load_dwordx4 v[16:19], v[2:3], off offset:512
	;; [unrolled: 1-line block ×15, first 2 shown]
	s_waitcnt vmcnt(19)
	v_mul_hi_i32 v24, v4, s17
	s_waitcnt vmcnt(18)
	v_mul_hi_i32 v26, v5, s17
	;; [unrolled: 2-line block ×4, first 2 shown]
	v_ashrrev_i32_e32 v94, 31, v24
	v_ashrrev_i32_e32 v24, 31, v26
	;; [unrolled: 1-line block ×4, first 2 shown]
	v_mov_b32_e32 v25, v27
	v_mov_b32_e32 v65, v27
	;; [unrolled: 1-line block ×3, first 2 shown]
	v_lshrrev_b32_e32 v24, 29, v24
	v_lshrrev_b32_e32 v64, 29, v26
	;; [unrolled: 1-line block ×3, first 2 shown]
	v_mad_i64_i32 v[2:3], s[8:9], v5, s17, v[24:25]
	v_mad_i64_i32 v[24:25], s[8:9], v6, s17, v[64:65]
	;; [unrolled: 1-line block ×3, first 2 shown]
	s_add_u32 s8, s10, s18
	v_lshrrev_b32_e32 v26, 29, v94
	s_addc_u32 s9, s11, s19
	v_mad_i64_i32 v[4:5], s[10:11], v4, s17, v[26:27]
	v_lshlrev_b64 v[2:3], 1, v[2:3]
	v_lshlrev_b64 v[6:7], 1, v[6:7]
	v_and_b32_e32 v2, -16, v2
	v_and_b32_e32 v6, -16, v6
	v_lshlrev_b32_e32 v26, 5, v1
	v_lshl_add_u64 v[2:3], s[8:9], 0, v[2:3]
	v_lshl_add_u64 v[6:7], s[8:9], 0, v[6:7]
	s_load_dword s0, s[0:1], 0x1c
	v_cmp_eq_u32_e32 vcc, 0, v71
	v_and_b32_e32 v92, -4, v72
	v_mov_b32_e32 v73, 0xff7fffff
	v_cndmask_b32_e64 v88, 0, 1.0, vcc
	v_cmp_eq_u32_e32 vcc, 1, v71
	v_or_b32_e32 v72, 3, v72
	v_cmp_gt_i32_e64 s[10:11], s3, v72
	v_cndmask_b32_e64 v89, 0, 1.0, vcc
	v_cmp_eq_u32_e32 vcc, 2, v71
	v_lshlrev_b32_e32 v93, 2, v0
	s_waitcnt vmcnt(15)
	v_mfma_f32_4x4x4_16b_f16 a[0:3], v[66:67], v[8:9], 0 cbsz:4
	v_lshlrev_b64 v[8:9], 1, v[24:25]
	s_nop 0
	v_mfma_f32_4x4x4_16b_f16 a[0:3], v[68:69], v[10:11], a[0:3] cbsz:4
	v_and_b32_e32 v8, -16, v8
	v_lshl_add_u64 v[8:9], s[8:9], 0, v[8:9]
	s_waitcnt vmcnt(14)
	v_mfma_f32_4x4x4_16b_f16 a[0:3], v[66:67], v[12:13], a[0:3] cbsz:4 abid:1
	v_lshl_add_u64 v[10:11], v[2:3], 0, v[26:27]
	v_cndmask_b32_e64 v90, 0, 1.0, vcc
	v_mfma_f32_4x4x4_16b_f16 a[0:3], v[68:69], v[14:15], a[0:3] cbsz:4 abid:1
	v_cmp_eq_u32_e32 vcc, 3, v71
	s_waitcnt vmcnt(13)
	v_mfma_f32_4x4x4_16b_f16 a[0:3], v[66:67], v[16:17], a[0:3] cbsz:4 abid:2
	v_cndmask_b32_e64 v91, 0, 1.0, vcc
	v_cmp_gt_i32_e32 vcc, s3, v92
	v_mfma_f32_4x4x4_16b_f16 a[0:3], v[68:69], v[18:19], a[0:3] cbsz:4 abid:2
	v_lshl_add_u64 v[18:19], v[8:9], 0, v[26:27]
	s_waitcnt vmcnt(12)
	v_mfma_f32_4x4x4_16b_f16 a[0:3], v[66:67], v[20:21], a[0:3] cbsz:4 abid:3
	s_nop 1
	v_mfma_f32_4x4x4_16b_f16 a[0:3], v[68:69], v[22:23], a[0:3] cbsz:4 abid:3
	s_waitcnt vmcnt(11)
	s_nop 0
	v_mfma_f32_4x4x4_16b_f16 a[0:3], v[66:67], v[28:29], a[0:3] cbsz:4 abid:4
	v_lshlrev_b64 v[28:29], 1, v[4:5]
	v_and_b32_e32 v28, -16, v28
	v_mfma_f32_4x4x4_16b_f16 a[0:3], v[68:69], v[30:31], a[0:3] cbsz:4 abid:4
	v_lshl_add_u64 v[28:29], s[8:9], 0, v[28:29]
	s_waitcnt vmcnt(10)
	v_mfma_f32_4x4x4_16b_f16 a[0:3], v[66:67], v[32:33], a[0:3] cbsz:4 abid:5
	s_nop 1
	v_mfma_f32_4x4x4_16b_f16 a[0:3], v[68:69], v[34:35], a[0:3] cbsz:4 abid:5
	s_waitcnt vmcnt(9)
	s_nop 0
	v_mfma_f32_4x4x4_16b_f16 a[0:3], v[66:67], v[36:37], a[0:3] cbsz:4 abid:6
	s_nop 1
	v_mfma_f32_4x4x4_16b_f16 a[0:3], v[68:69], v[38:39], a[0:3] cbsz:4 abid:6
	s_waitcnt vmcnt(8)
	s_nop 0
	v_mfma_f32_4x4x4_16b_f16 a[0:3], v[66:67], v[40:41], a[0:3] cbsz:4 abid:7
	s_nop 1
	v_mfma_f32_4x4x4_16b_f16 a[0:3], v[68:69], v[42:43], a[0:3] cbsz:4 abid:7
	v_lshl_add_u64 v[42:43], v[6:7], 0, v[26:27]
	global_load_dwordx4 v[2:5], v[10:11], off
	global_load_dwordx4 v[6:9], v[10:11], off offset:16
	s_waitcnt vmcnt(9)
	v_mfma_f32_4x4x4_16b_f16 a[0:3], v[66:67], v[44:45], a[0:3] cbsz:4 abid:8
	global_load_dwordx4 v[30:33], v[10:11], off offset:2048
	global_load_dwordx4 v[34:37], v[10:11], off offset:2064
	v_mfma_f32_4x4x4_16b_f16 a[0:3], v[68:69], v[46:47], a[0:3] cbsz:4 abid:8
	global_load_dwordx4 v[10:13], v[18:19], off
	global_load_dwordx4 v[14:17], v[18:19], off offset:16
	s_waitcnt vmcnt(12)
	v_mfma_f32_4x4x4_16b_f16 a[0:3], v[66:67], v[48:49], a[0:3] cbsz:4 abid:9
	global_load_dwordx4 v[38:41], v[18:19], off offset:2048
	global_load_dwordx4 v[46:49], v[18:19], off offset:2064
	v_mfma_f32_4x4x4_16b_f16 a[0:3], v[68:69], v[50:51], a[0:3] cbsz:4 abid:9
	global_load_dwordx4 v[18:21], v[42:43], off
	global_load_dwordx4 v[22:25], v[42:43], off offset:16
	s_waitcnt vmcnt(15)
	v_mfma_f32_4x4x4_16b_f16 a[0:3], v[66:67], v[52:53], a[0:3] cbsz:4 abid:10
	s_nop 1
	v_mfma_f32_4x4x4_16b_f16 a[0:3], v[68:69], v[54:55], a[0:3] cbsz:4 abid:10
	s_waitcnt vmcnt(14)
	s_nop 0
	v_mfma_f32_4x4x4_16b_f16 a[0:3], v[66:67], v[56:57], a[0:3] cbsz:4 abid:11
	global_load_dwordx4 v[50:53], v[42:43], off offset:2048
	global_load_dwordx4 v[54:57], v[42:43], off offset:2064
	v_mfma_f32_4x4x4_16b_f16 a[0:3], v[68:69], v[58:59], a[0:3] cbsz:4 abid:11
	s_waitcnt vmcnt(15)
	s_nop 0
	v_mfma_f32_4x4x4_16b_f16 a[0:3], v[66:67], v[60:61], a[0:3] cbsz:4 abid:12
	s_nop 1
	v_mfma_f32_4x4x4_16b_f16 a[0:3], v[68:69], v[62:63], a[0:3] cbsz:4 abid:12
	s_waitcnt vmcnt(14)
	s_nop 0
	v_mfma_f32_4x4x4_16b_f16 a[0:3], v[66:67], v[74:75], a[0:3] cbsz:4 abid:13
	v_lshl_add_u64 v[74:75], v[28:29], 0, v[26:27]
	global_load_dwordx4 v[42:45], v[74:75], off
	global_load_dwordx4 v[26:29], v[74:75], off offset:16
	global_load_dwordx4 v[58:61], v[74:75], off offset:2048
	;; [unrolled: 1-line block ×3, first 2 shown]
	v_mfma_f32_4x4x4_16b_f16 a[0:3], v[68:69], v[76:77], a[0:3] cbsz:4 abid:13
	v_and_or_b32 v74, v93, 48, v71
	v_lshlrev_b32_e32 v74, 2, v74
	s_waitcnt vmcnt(17)
	v_mfma_f32_4x4x4_16b_f16 a[0:3], v[66:67], v[78:79], a[0:3] cbsz:4 abid:14
	s_nop 1
	v_mfma_f32_4x4x4_16b_f16 a[0:3], v[68:69], v[80:81], a[0:3] cbsz:4 abid:14
	s_waitcnt vmcnt(16)
	s_nop 0
	v_mfma_f32_4x4x4_16b_f16 a[0:3], v[66:67], v[82:83], a[0:3] cbsz:4 abid:15
	s_nop 1
	v_mfma_f32_4x4x4_16b_f16 a[0:3], v[68:69], v[84:85], a[0:3] cbsz:4 abid:15
	s_nop 4
	v_accvgpr_read_b32 v67, a1
	v_accvgpr_read_b32 v66, a0
	s_waitcnt lgkmcnt(0)
	v_pk_mul_f32 v[66:67], s[0:1], v[66:67] op_sel_hi:[0,1]
	v_accvgpr_read_b32 v69, a3
	v_accvgpr_read_b32 v68, a2
	v_pk_mul_f32 v[68:69], s[0:1], v[68:69] op_sel_hi:[0,1]
	v_mfma_f32_4x4x1_16b_f32 a[0:3], v66, v88, 0
	v_or_b32_e32 v66, 1, v92
	s_nop 0
	v_mfma_f32_4x4x1_16b_f32 a[0:3], v67, v89, a[0:3]
	v_cmp_gt_i32_e64 s[0:1], s3, v66
	v_or_b32_e32 v67, 2, v92
	v_mfma_f32_4x4x1_16b_f32 a[0:3], v68, v90, a[0:3]
	v_cmp_gt_i32_e64 s[8:9], s3, v67
	s_nop 0
	v_mfma_f32_4x4x1_16b_f32 a[0:3], v69, v91, a[0:3]
	s_nop 3
	v_accvgpr_read_b32 v68, a0
	v_max_f32_e32 v77, v68, v68
	v_accvgpr_read_b32 v69, a1
	v_max_f32_e32 v77, 0xff7fffff, v77
	v_max_f32_e32 v78, v69, v69
	v_cndmask_b32_e32 v73, v73, v77, vcc
	v_accvgpr_read_b32 v75, a2
	v_max_f32_e32 v77, v73, v78
	v_max_f32_e32 v79, v75, v75
	v_cndmask_b32_e64 v66, v73, v77, s[0:1]
	v_accvgpr_read_b32 v76, a3
	v_max_f32_e32 v73, v66, v79
	v_max_f32_e32 v80, v76, v76
	v_cndmask_b32_e64 v66, v66, v73, s[8:9]
	v_max_f32_e32 v67, v66, v80
	v_cndmask_b32_e64 v66, v66, v67, s[10:11]
	;;#ASMSTART
	v_nop
 v_nop
 v_max_f32_dpp v66, v66, v66 row_ror:4
	;;#ASMEND
	s_nop 0
	;;#ASMSTART
	v_nop
 v_nop
 v_max_f32_dpp v66, v66, v66 row_ror:8
	;;#ASMEND
	ds_bpermute_b32 v66, v74, v66
	s_waitcnt lgkmcnt(0)
	;;#ASMSTART
	v_nop
 v_nop
 v_max_f32_dpp v66, v66, v66 row_ror:4
	;;#ASMEND
	s_nop 0
	;;#ASMSTART
	v_nop
 v_nop
 v_max_f32_dpp v72, v66, v66 row_ror:8
	;;#ASMEND
	s_nop 0
	v_sub_f32_e32 v66, v68, v72
	v_sub_f32_e32 v67, v69, v72
	;; [unrolled: 1-line block ×3, first 2 shown]
	v_mul_f32_e32 v66, 0x3fb8aa3b, v66
	v_mul_f32_e32 v67, 0x3fb8aa3b, v67
	;; [unrolled: 1-line block ×3, first 2 shown]
	v_exp_f32_e32 v66, v66
	v_sub_f32_e32 v69, v76, v72
	v_exp_f32_e32 v67, v67
	v_exp_f32_e32 v73, v68
	v_mul_f32_e32 v69, 0x3fb8aa3b, v69
	v_exp_f32_e32 v75, v69
	v_cndmask_b32_e32 v68, 0, v66, vcc
	v_cndmask_b32_e64 v69, 0, v67, s[0:1]
	v_cndmask_b32_e64 v66, 0, v73, s[8:9]
	v_add_f32_e32 v73, 0, v68
	v_add_f32_e32 v73, v73, v69
	v_cndmask_b32_e64 v67, 0, v75, s[10:11]
	v_add_f32_e32 v73, v73, v66
	v_add_f32_e32 v73, v73, v67
	;;#ASMSTART
	v_nop
 v_nop
 v_add_f32_dpp v73, v73, v73 row_ror:4
	;;#ASMEND
	v_cmp_gt_u32_e32 vcc, 4, v1
	;;#ASMSTART
	v_nop
 v_nop
 v_add_f32_dpp v73, v73, v73 row_ror:8
	;;#ASMEND
	ds_bpermute_b32 v73, v74, v73
	s_waitcnt lgkmcnt(0)
	;;#ASMSTART
	v_nop
 v_nop
 v_add_f32_dpp v73, v73, v73 row_ror:4
	;;#ASMEND
	s_nop 0
	;;#ASMSTART
	v_nop
 v_nop
 v_add_f32_dpp v73, v73, v73 row_ror:8
	;;#ASMEND
	s_and_saveexec_b64 s[0:1], vcc
	s_cbranch_execz .LBB285_16
; %bb.15:
	v_mul_u32_u24_e32 v74, 20, v70
	v_lshl_add_u32 v74, v71, 2, v74
	v_add_u32_e32 v74, 0x1400, v74
	ds_write2_b32 v74, v72, v73 offset1:20
.LBB285_16:
	s_or_b64 exec, exec, s[0:1]
.LBB285_17:
	s_or_b64 exec, exec, s[26:27]
	s_waitcnt lgkmcnt(0)
	s_barrier
	s_load_dword s0, s[24:25], 0x8
	v_lshlrev_b32_e32 v73, 2, v71
	v_add_u32_e32 v80, 0x1400, v73
	ds_read2_b32 v[74:75], v80 offset1:5
	ds_read2_b32 v[76:77], v80 offset0:10 offset1:15
	s_mul_i32 s1, s2, s5
	s_waitcnt lgkmcnt(0)
	s_mul_i32 s1, s1, s0
	s_lshl_b32 s0, s1, 1
	s_mov_b32 s1, 0xff7fffff
	v_max3_f32 v73, v74, s1, v75
	v_max3_f32 v73, v73, v76, v77
	v_sub_f32_e32 v74, v74, v73
	ds_read2_b32 v[78:79], v80 offset0:20 offset1:25
	v_mul_f32_e32 v74, 0x3fb8aa3b, v74
	v_sub_f32_e32 v75, v75, v73
	v_exp_f32_e32 v74, v74
	v_mul_f32_e32 v75, 0x3fb8aa3b, v75
	v_sub_f32_e32 v76, v76, v73
	v_exp_f32_e32 v75, v75
	ds_read2_b32 v[80:81], v80 offset0:30 offset1:35
	v_mul_f32_e32 v76, 0x3fb8aa3b, v76
	v_sub_f32_e32 v77, v77, v73
	v_exp_f32_e32 v76, v76
	v_mul_f32_e32 v77, 0x3fb8aa3b, v77
	v_exp_f32_e32 v77, v77
	s_waitcnt lgkmcnt(1)
	v_fma_f32 v74, v74, v78, 0
	v_fmac_f32_e32 v74, v75, v79
	s_waitcnt lgkmcnt(0)
	v_fmac_f32_e32 v74, v76, v80
	s_lshl_b32 s4, s4, 1
	v_fmac_f32_e32 v74, v77, v81
	v_cmp_gt_u32_e32 vcc, 2, v71
	s_and_saveexec_b64 s[2:3], vcc
	s_cbranch_execz .LBB285_19
; %bb.18:
	s_mov_b32 s1, 0
	s_lshl_b64 s[8:9], s[0:1], 2
	s_add_u32 s12, s12, s8
	s_mov_b32 s21, s1
	s_addc_u32 s13, s13, s9
	s_lshl_b64 s[10:11], s[20:21], 2
	s_add_u32 s12, s12, s10
	s_addc_u32 s13, s13, s11
	s_add_u32 s1, s14, s8
	s_addc_u32 s9, s15, s9
	v_or_b32_e32 v71, s4, v71
	s_add_u32 s8, s1, s10
	v_mul_lo_u32 v76, s5, v71
	v_mov_b32_e32 v77, 0
	s_addc_u32 s9, s9, s11
	v_lshlrev_b64 v[76:77], 2, v[76:77]
	v_lshl_add_u64 v[78:79], s[12:13], 0, v[76:77]
	v_lshl_add_u64 v[76:77], s[8:9], 0, v[76:77]
	global_store_dword v[76:77], v73, off
	global_store_dword v[78:79], v74, off
.LBB285_19:
	s_or_b64 exec, exec, s[2:3]
	v_lshlrev_b32_e32 v70, 3, v70
	s_and_saveexec_b64 s[2:3], s[6:7]
	s_xor_b64 s[2:3], exec, s[2:3]
	s_cbranch_execz .LBB285_21
; %bb.20:
	s_mov_b32 s6, 0
	s_mov_b32 s7, s6
	s_waitcnt vmcnt(15)
	v_mad_u32_u24 v4, v1, 40, v70
	v_mov_b64_e32 v[2:3], s[6:7]
	ds_write2st64_b64 v4, v[2:3], v[2:3] offset1:5
                                        ; implicit-def: $vgpr67
                                        ; implicit-def: $vgpr69
                                        ; implicit-def: $vgpr43
                                        ; implicit-def: $vgpr27
                                        ; implicit-def: $vgpr3
                                        ; implicit-def: $vgpr7
                                        ; implicit-def: $vgpr11
                                        ; implicit-def: $vgpr15
                                        ; implicit-def: $vgpr19
                                        ; implicit-def: $vgpr23
                                        ; implicit-def: $vgpr59
                                        ; implicit-def: $vgpr63
                                        ; implicit-def: $vgpr31
                                        ; implicit-def: $vgpr35
                                        ; implicit-def: $vgpr39
                                        ; implicit-def: $vgpr47
                                        ; implicit-def: $vgpr51
                                        ; implicit-def: $vgpr55
                                        ; implicit-def: $vgpr72
                                        ; implicit-def: $vgpr73
                                        ; implicit-def: $vgpr74
                                        ; implicit-def: $vgpr70
.LBB285_21:
	s_andn2_saveexec_b64 s[2:3], s[2:3]
	s_cbranch_execz .LBB285_23
; %bb.22:
	v_add_f32_e32 v71, 0x358637bd, v74
	v_div_scale_f32 v74, s[6:7], v71, v71, 1.0
	v_rcp_f32_e32 v75, v74
	v_sub_f32_e32 v72, v72, v73
	v_mul_f32_e32 v72, 0x3fb8aa3b, v72
	v_exp_f32_e32 v72, v72
	v_fma_f32 v73, -v74, v75, 1.0
	v_fmac_f32_e32 v75, v73, v75
	v_div_scale_f32 v73, vcc, 1.0, v71, 1.0
	v_mul_f32_e32 v76, v73, v75
	v_fma_f32 v77, -v74, v76, v73
	v_fmac_f32_e32 v76, v77, v75
	v_fma_f32 v73, -v74, v76, v73
	v_div_fmas_f32 v73, v73, v75, v76
	v_div_fixup_f32 v71, v73, v71, 1.0
	v_mul_f32_e32 v72, v72, v71
	v_pk_mul_f32 v[66:67], v[66:67], v[72:73] op_sel_hi:[1,0]
	v_pk_mul_f32 v[68:69], v[68:69], v[72:73] op_sel_hi:[1,0]
	v_cvt_f16_f32_e32 v71, v66
	v_cvt_f16_f32_e32 v68, v68
	;; [unrolled: 1-line block ×4, first 2 shown]
	v_pack_b32_f16 v66, v68, v69
	v_pack_b32_f16 v67, v71, v67
	s_waitcnt vmcnt(3)
	s_nop 0
	v_mfma_f32_4x4x4_16b_f16 a[0:3], v[66:67], v[42:43], 0 cbsz:4
	s_nop 1
	v_mfma_f32_4x4x4_16b_f16 a[0:3], v[66:67], v[44:45], a[0:3] cbsz:4 abid:1
	s_waitcnt vmcnt(1)
	v_mfma_f32_4x4x4_16b_f16 a[4:7], v[66:67], v[58:59], 0 cbsz:4
	v_mfma_f32_4x4x4_16b_f16 a[0:3], v[66:67], v[26:27], a[0:3] cbsz:4 abid:2
	s_nop 0
	v_mfma_f32_4x4x4_16b_f16 a[4:7], v[66:67], v[60:61], a[4:7] cbsz:4 abid:1
	v_mfma_f32_4x4x4_16b_f16 a[0:3], v[66:67], v[28:29], a[0:3] cbsz:4 abid:3
	s_waitcnt vmcnt(0)
	v_mfma_f32_4x4x4_16b_f16 a[4:7], v[66:67], v[62:63], a[4:7] cbsz:4 abid:2
	v_mfma_f32_4x4x4_16b_f16 a[0:3], v[66:67], v[2:3], a[0:3] cbsz:4 abid:4
	s_nop 0
	v_mfma_f32_4x4x4_16b_f16 a[4:7], v[66:67], v[64:65], a[4:7] cbsz:4 abid:3
	v_mfma_f32_4x4x4_16b_f16 a[0:3], v[66:67], v[4:5], a[0:3] cbsz:4 abid:5
	s_nop 0
	;; [unrolled: 3-line block ×3, first 2 shown]
	v_mfma_f32_4x4x4_16b_f16 a[4:7], v[66:67], v[32:33], a[4:7] cbsz:4 abid:5
	v_mfma_f32_4x4x4_16b_f16 a[0:3], v[66:67], v[8:9], a[0:3] cbsz:4 abid:7
	v_mad_u32_u24 v9, v1, 40, v70
	v_mfma_f32_4x4x4_16b_f16 a[4:7], v[66:67], v[34:35], a[4:7] cbsz:4 abid:6
	v_mfma_f32_4x4x4_16b_f16 a[0:3], v[66:67], v[10:11], a[0:3] cbsz:4 abid:8
	s_nop 0
	v_mfma_f32_4x4x4_16b_f16 a[4:7], v[66:67], v[36:37], a[4:7] cbsz:4 abid:7
	v_mfma_f32_4x4x4_16b_f16 a[0:3], v[66:67], v[12:13], a[0:3] cbsz:4 abid:9
	s_nop 0
	;; [unrolled: 3-line block ×7, first 2 shown]
	v_mfma_f32_4x4x4_16b_f16 a[0:3], v[66:67], v[24:25], a[0:3] cbsz:4 abid:15
	s_nop 4
	v_accvgpr_read_b32 v2, a0
	v_accvgpr_read_b32 v3, a1
	;; [unrolled: 1-line block ×4, first 2 shown]
	v_mfma_f32_4x4x4_16b_f16 a[0:3], v[66:67], v[52:53], a[4:7] cbsz:4 abid:13
	v_cvt_f16_f32_e32 v2, v2
	v_cvt_f16_f32_e32 v3, v3
	v_mfma_f32_4x4x4_16b_f16 a[0:3], v[66:67], v[54:55], a[0:3] cbsz:4 abid:14
	v_pack_b32_f16 v2, v2, v3
	s_nop 0
	v_mfma_f32_4x4x4_16b_f16 a[0:3], v[66:67], v[56:57], a[0:3] cbsz:4 abid:15
	v_cvt_f16_f32_e32 v3, v4
	v_cvt_f16_f32_e32 v4, v5
	v_pack_b32_f16 v3, v3, v4
	s_nop 1
	v_accvgpr_read_b32 v5, a0
	v_accvgpr_read_b32 v6, a1
	;; [unrolled: 1-line block ×4, first 2 shown]
	v_cvt_f16_f32_e32 v5, v5
	v_cvt_f16_f32_e32 v6, v6
	;; [unrolled: 1-line block ×4, first 2 shown]
	v_pack_b32_f16 v4, v5, v6
	v_pack_b32_f16 v5, v7, v8
	ds_write2st64_b64 v9, v[2:3], v[4:5] offset1:5
.LBB285_23:
	s_or_b64 exec, exec, s[2:3]
	v_cmp_gt_u32_e32 vcc, 64, v0
	s_waitcnt lgkmcnt(0)
	s_barrier
	s_and_saveexec_b64 s[2:3], vcc
	s_cbranch_execz .LBB285_25
; %bb.24:
	s_waitcnt vmcnt(14)
	v_mul_u32_u24_e32 v6, 40, v1
	ds_read2_b64 v[2:5], v6 offset1:1
	s_mov_b32 s1, 0
	s_waitcnt lgkmcnt(0)
	v_mov_b32_e32 v3, 0xa00
	s_lshl_b32 s0, s0, 7
	ds_read2_b64 v[6:9], v6 offset0:2 offset1:3
	v_mad_u32_u24 v3, v1, 40, v3
	v_pk_add_f16 v2, v2, 0
	s_lshl_b64 s[2:3], s[0:1], 1
	s_waitcnt lgkmcnt(0)
	v_pk_add_f16 v7, v2, v4
	v_mov_b32_e32 v9, 0xa10
	ds_read2_b64 v[2:5], v3 offset1:1
	s_add_u32 s2, s22, s2
	v_mad_u32_u24 v1, v1, 40, v9
	s_waitcnt vmcnt(11)
	ds_read2_b64 v[10:13], v1 offset1:1
	s_addc_u32 s3, s23, s3
	s_lshl_b32 s0, s20, 7
	s_lshl_b64 s[0:1], s[0:1], 1
	s_add_u32 s0, s2, s0
	v_pk_add_f16 v1, v7, v6
	s_addc_u32 s1, s3, s1
	s_lshl_b32 s2, s5, 7
	v_pk_add_f16 v6, v1, v8
	s_waitcnt lgkmcnt(1)
	v_pk_add_f16 v1, v2, 0
	s_mul_i32 s3, s2, s4
	v_pk_add_f16 v1, v1, v4
	v_or_b32_e32 v2, s3, v0
	v_mov_b32_e32 v3, 0
	s_add_i32 s3, s3, s2
	s_waitcnt lgkmcnt(0)
	v_pk_add_f16 v1, v1, v10
	v_lshl_add_u64 v[4:5], v[2:3], 1, s[0:1]
	v_or_b32_e32 v2, s3, v0
	v_pk_add_f16 v7, v1, v12
	v_lshl_add_u64 v[0:1], v[2:3], 1, s[0:1]
	global_store_short v[4:5], v6, off
	global_store_short_d16_hi v[0:1], v6, off
	global_store_short v[4:5], v7, off offset:128
	global_store_short_d16_hi v[0:1], v7, off offset:128
.LBB285_25:
	s_endpgm
	.section	.rodata,"a",@progbits
	.p2align	6, 0x0
	.amdhsa_kernel _Z38paged_attention_ll4mi_QKV_mfma4_kernelIDF16_DF16_LN4vllm18Fp8KVCacheDataTypeE0EDF16_Li16ELi128ELi256ELb0ELi2EEvPKT_PKT0_S7_ifPKiS9_S9_iPKfiiiPfSC_PS2_PT2_iSB_SB_
		.amdhsa_group_segment_fixed_size 5280
		.amdhsa_private_segment_fixed_size 0
		.amdhsa_kernarg_size 400
		.amdhsa_user_sgpr_count 2
		.amdhsa_user_sgpr_dispatch_ptr 0
		.amdhsa_user_sgpr_queue_ptr 0
		.amdhsa_user_sgpr_kernarg_segment_ptr 1
		.amdhsa_user_sgpr_dispatch_id 0
		.amdhsa_user_sgpr_kernarg_preload_length 0
		.amdhsa_user_sgpr_kernarg_preload_offset 0
		.amdhsa_user_sgpr_private_segment_size 0
		.amdhsa_uses_dynamic_stack 0
		.amdhsa_enable_private_segment 0
		.amdhsa_system_sgpr_workgroup_id_x 1
		.amdhsa_system_sgpr_workgroup_id_y 1
		.amdhsa_system_sgpr_workgroup_id_z 1
		.amdhsa_system_sgpr_workgroup_info 0
		.amdhsa_system_vgpr_workitem_id 0
		.amdhsa_next_free_vgpr 104
		.amdhsa_next_free_sgpr 38
		.amdhsa_accum_offset 96
		.amdhsa_reserve_vcc 1
		.amdhsa_float_round_mode_32 0
		.amdhsa_float_round_mode_16_64 0
		.amdhsa_float_denorm_mode_32 3
		.amdhsa_float_denorm_mode_16_64 3
		.amdhsa_dx10_clamp 1
		.amdhsa_ieee_mode 1
		.amdhsa_fp16_overflow 0
		.amdhsa_tg_split 0
		.amdhsa_exception_fp_ieee_invalid_op 0
		.amdhsa_exception_fp_denorm_src 0
		.amdhsa_exception_fp_ieee_div_zero 0
		.amdhsa_exception_fp_ieee_overflow 0
		.amdhsa_exception_fp_ieee_underflow 0
		.amdhsa_exception_fp_ieee_inexact 0
		.amdhsa_exception_int_div_zero 0
	.end_amdhsa_kernel
	.section	.text._Z38paged_attention_ll4mi_QKV_mfma4_kernelIDF16_DF16_LN4vllm18Fp8KVCacheDataTypeE0EDF16_Li16ELi128ELi256ELb0ELi2EEvPKT_PKT0_S7_ifPKiS9_S9_iPKfiiiPfSC_PS2_PT2_iSB_SB_,"axG",@progbits,_Z38paged_attention_ll4mi_QKV_mfma4_kernelIDF16_DF16_LN4vllm18Fp8KVCacheDataTypeE0EDF16_Li16ELi128ELi256ELb0ELi2EEvPKT_PKT0_S7_ifPKiS9_S9_iPKfiiiPfSC_PS2_PT2_iSB_SB_,comdat
.Lfunc_end285:
	.size	_Z38paged_attention_ll4mi_QKV_mfma4_kernelIDF16_DF16_LN4vllm18Fp8KVCacheDataTypeE0EDF16_Li16ELi128ELi256ELb0ELi2EEvPKT_PKT0_S7_ifPKiS9_S9_iPKfiiiPfSC_PS2_PT2_iSB_SB_, .Lfunc_end285-_Z38paged_attention_ll4mi_QKV_mfma4_kernelIDF16_DF16_LN4vllm18Fp8KVCacheDataTypeE0EDF16_Li16ELi128ELi256ELb0ELi2EEvPKT_PKT0_S7_ifPKiS9_S9_iPKfiiiPfSC_PS2_PT2_iSB_SB_
                                        ; -- End function
	.section	.AMDGPU.csdata,"",@progbits
; Kernel info:
; codeLenInByte = 3784
; NumSgprs: 44
; NumVgprs: 95
; NumAgprs: 8
; TotalNumVgprs: 104
; ScratchSize: 0
; MemoryBound: 0
; FloatMode: 240
; IeeeMode: 1
; LDSByteSize: 5280 bytes/workgroup (compile time only)
; SGPRBlocks: 5
; VGPRBlocks: 12
; NumSGPRsForWavesPerEU: 44
; NumVGPRsForWavesPerEU: 104
; AccumOffset: 96
; Occupancy: 4
; WaveLimiterHint : 1
; COMPUTE_PGM_RSRC2:SCRATCH_EN: 0
; COMPUTE_PGM_RSRC2:USER_SGPR: 2
; COMPUTE_PGM_RSRC2:TRAP_HANDLER: 0
; COMPUTE_PGM_RSRC2:TGID_X_EN: 1
; COMPUTE_PGM_RSRC2:TGID_Y_EN: 1
; COMPUTE_PGM_RSRC2:TGID_Z_EN: 1
; COMPUTE_PGM_RSRC2:TIDIG_COMP_CNT: 0
; COMPUTE_PGM_RSRC3_GFX90A:ACCUM_OFFSET: 23
; COMPUTE_PGM_RSRC3_GFX90A:TG_SPLIT: 0
	.section	.text._Z38paged_attention_ll4mi_QKV_mfma4_kernelIDF16_DF16_LN4vllm18Fp8KVCacheDataTypeE0EDF16_Li16ELi128ELi256ELb0ELi3EEvPKT_PKT0_S7_ifPKiS9_S9_iPKfiiiPfSC_PS2_PT2_iSB_SB_,"axG",@progbits,_Z38paged_attention_ll4mi_QKV_mfma4_kernelIDF16_DF16_LN4vllm18Fp8KVCacheDataTypeE0EDF16_Li16ELi128ELi256ELb0ELi3EEvPKT_PKT0_S7_ifPKiS9_S9_iPKfiiiPfSC_PS2_PT2_iSB_SB_,comdat
	.protected	_Z38paged_attention_ll4mi_QKV_mfma4_kernelIDF16_DF16_LN4vllm18Fp8KVCacheDataTypeE0EDF16_Li16ELi128ELi256ELb0ELi3EEvPKT_PKT0_S7_ifPKiS9_S9_iPKfiiiPfSC_PS2_PT2_iSB_SB_ ; -- Begin function _Z38paged_attention_ll4mi_QKV_mfma4_kernelIDF16_DF16_LN4vllm18Fp8KVCacheDataTypeE0EDF16_Li16ELi128ELi256ELb0ELi3EEvPKT_PKT0_S7_ifPKiS9_S9_iPKfiiiPfSC_PS2_PT2_iSB_SB_
	.globl	_Z38paged_attention_ll4mi_QKV_mfma4_kernelIDF16_DF16_LN4vllm18Fp8KVCacheDataTypeE0EDF16_Li16ELi128ELi256ELb0ELi3EEvPKT_PKT0_S7_ifPKiS9_S9_iPKfiiiPfSC_PS2_PT2_iSB_SB_
	.p2align	8
	.type	_Z38paged_attention_ll4mi_QKV_mfma4_kernelIDF16_DF16_LN4vllm18Fp8KVCacheDataTypeE0EDF16_Li16ELi128ELi256ELb0ELi3EEvPKT_PKT0_S7_ifPKiS9_S9_iPKfiiiPfSC_PS2_PT2_iSB_SB_,@function
_Z38paged_attention_ll4mi_QKV_mfma4_kernelIDF16_DF16_LN4vllm18Fp8KVCacheDataTypeE0EDF16_Li16ELi128ELi256ELb0ELi3EEvPKT_PKT0_S7_ifPKiS9_S9_iPKfiiiPfSC_PS2_PT2_iSB_SB_: ; @_Z38paged_attention_ll4mi_QKV_mfma4_kernelIDF16_DF16_LN4vllm18Fp8KVCacheDataTypeE0EDF16_Li16ELi128ELi256ELb0ELi3EEvPKT_PKT0_S7_ifPKiS9_S9_iPKfiiiPfSC_PS2_PT2_iSB_SB_
; %bb.0:
	s_load_dwordx2 s[16:17], s[0:1], 0x30
	s_mov_b32 s20, s3
	s_mov_b64 s[6:7], 0
	s_waitcnt lgkmcnt(0)
	s_cmp_lg_u64 s[16:17], 0
	s_cselect_b64 s[18:19], -1, 0
	s_and_b64 vcc, exec, s[18:19]
	s_cbranch_vccz .LBB286_10
; %bb.1:
	s_add_i32 s8, s2, 1
	s_mov_b32 s9, 0
	s_lshl_b64 s[10:11], s[8:9], 2
	s_add_u32 s10, s16, s10
	s_mov_b32 s3, s9
	s_addc_u32 s11, s17, s11
	s_lshl_b64 s[8:9], s[2:3], 2
	s_add_u32 s8, s16, s8
	s_addc_u32 s9, s17, s9
	s_load_dword s5, s[10:11], 0x0
	s_load_dword s12, s[8:9], 0x0
	s_waitcnt lgkmcnt(0)
	s_sub_i32 s5, s5, s12
	s_cmp_eq_u32 s5, 1
	s_cselect_b64 s[8:9], -1, 0
	s_andn2_b64 vcc, exec, s[6:7]
	s_cbranch_vccnz .LBB286_3
.LBB286_2:
	s_mov_b32 s3, 0
	s_mov_b64 s[8:9], -1
.LBB286_3:
	s_andn2_b64 vcc, exec, s[8:9]
	s_cbranch_vccnz .LBB286_25
; %bb.4:
	s_load_dword s5, s[0:1], 0x9c
	s_load_dwordx2 s[6:7], s[0:1], 0x28
	s_add_u32 s24, s0, 0x90
	s_addc_u32 s25, s1, 0
	s_lshl_b64 s[28:29], s[2:3], 2
	s_waitcnt lgkmcnt(0)
	s_and_b32 s5, s5, 0xffff
	s_add_u32 s6, s6, s28
	s_addc_u32 s7, s7, s29
	s_load_dword s3, s[6:7], 0x0
	s_mul_i32 s10, s20, s5
	s_waitcnt lgkmcnt(0)
	s_cmp_ge_i32 s10, s3
	s_cbranch_scc1 .LBB286_25
; %bb.5:
	v_and_b32_e32 v1, 0xc0, v0
	v_add_u32_e32 v2, s10, v1
	v_lshrrev_b32_e32 v70, 6, v0
	v_cmp_le_i32_e64 s[6:7], s3, v2
                                        ; implicit-def: $sgpr21
                                        ; implicit-def: $sgpr11
	s_and_saveexec_b64 s[8:9], s[6:7]
	s_xor_b64 s[8:9], exec, s[8:9]
	s_cbranch_execz .LBB286_7
; %bb.6:
	v_mul_u32_u24_e32 v1, 20, v70
	v_or_b32_e32 v1, 0x1400, v1
	v_mov_b32_e32 v2, 0x1450
	v_mov_b32_e32 v3, 0xff7fffff
	v_mad_u32_u24 v2, v70, 20, v2
	ds_write2_b32 v1, v3, v3 offset1:1
	v_mov_b32_e32 v1, 0
	ds_write2_b32 v2, v1, v1 offset1:1
	v_mov_b32_e32 v2, 0x1408
	s_mov_b32 s11, 0xff7fffff
	s_mov_b32 s21, 0
	v_mad_u32_u24 v2, v70, 20, v2
	v_mov_b32_e32 v4, 0x1458
	v_mad_u32_u24 v4, v70, 20, v4
	ds_write2_b32 v2, v3, v3 offset1:1
	ds_write2_b32 v4, v1, v1 offset1:1
                                        ; implicit-def: $vgpr2
.LBB286_7:
	s_or_saveexec_b64 s[26:27], s[8:9]
	s_load_dwordx2 s[22:23], s[0:1], 0x68
	s_load_dwordx4 s[12:15], s[0:1], 0x58
	s_load_dword s5, s[24:25], 0x4
	v_and_b32_e32 v1, 63, v0
	v_and_b32_e32 v71, 3, v0
	v_mov_b32_e32 v67, s21
	v_mov_b32_e32 v72, s11
	;; [unrolled: 1-line block ×5, first 2 shown]
                                        ; implicit-def: $vgpr43
                                        ; implicit-def: $vgpr27
                                        ; implicit-def: $vgpr3
                                        ; implicit-def: $vgpr7
                                        ; implicit-def: $vgpr11
                                        ; implicit-def: $vgpr15
                                        ; implicit-def: $vgpr19
                                        ; implicit-def: $vgpr23
                                        ; implicit-def: $vgpr59
                                        ; implicit-def: $vgpr63
                                        ; implicit-def: $vgpr31
                                        ; implicit-def: $vgpr35
                                        ; implicit-def: $vgpr39
                                        ; implicit-def: $vgpr47
                                        ; implicit-def: $vgpr51
                                        ; implicit-def: $vgpr55
	s_xor_b64 exec, exec, s[26:27]
	s_cbranch_execz .LBB286_17
; %bb.8:
	s_add_i32 s21, s3, 15
	s_load_dwordx2 s[8:9], s[0:1], 0x20
	s_load_dword s11, s[0:1], 0x38
	s_ashr_i32 s30, s21, 31
	s_lshr_b32 s30, s30, 28
	v_add_u32_e32 v72, s10, v0
	s_add_i32 s21, s21, s30
	v_ashrrev_i32_e32 v3, 31, v72
	s_ashr_i32 s21, s21, 4
	v_lshrrev_b32_e32 v3, 28, v3
	s_add_i32 s21, s21, -1
	v_add_u32_e32 v3, v72, v3
	s_waitcnt lgkmcnt(0)
	s_mul_i32 s30, s2, s11
	s_mov_b32 s31, 0
	v_ashrrev_i32_e32 v3, 4, v3
	v_mov_b32_e32 v4, s21
	v_cmp_gt_i32_e32 vcc, s3, v72
	s_lshl_b64 s[30:31], s[30:31], 2
	s_add_u32 s8, s8, s30
	v_cndmask_b32_e32 v4, v4, v3, vcc
	v_ashrrev_i32_e32 v3, 31, v2
	v_lshrrev_b32_e32 v3, 28, v3
	s_addc_u32 s9, s9, s31
	v_ashrrev_i32_e32 v5, 31, v4
	v_add_u32_e32 v2, v2, v3
	v_lshl_add_u64 v[8:9], v[4:5], 2, s[8:9]
	v_ashrrev_i32_e32 v4, 4, v2
	v_min_i32_e32 v2, s21, v4
	v_ashrrev_i32_e32 v3, 31, v2
	v_lshl_add_u64 v[10:11], v[2:3], 2, s[8:9]
	v_add_u32_e32 v2, 1, v4
	v_min_i32_e32 v2, s21, v2
	v_ashrrev_i32_e32 v3, 31, v2
	v_lshl_add_u64 v[12:13], v[2:3], 2, s[8:9]
	v_add_u32_e32 v2, 2, v4
	;; [unrolled: 4-line block ×3, first 2 shown]
	v_min_i32_e32 v2, s21, v2
	v_ashrrev_i32_e32 v3, 31, v2
	v_lshl_add_u64 v[16:17], v[2:3], 2, s[8:9]
	global_load_dword v2, v[8:9], off
	global_load_dword v4, v[10:11], off
	global_load_dword v5, v[12:13], off
	global_load_dword v6, v[14:15], off
	global_load_dword v7, v[16:17], off
	s_load_dwordx4 s[8:11], s[0:1], 0x8
	s_andn2_b64 vcc, exec, s[18:19]
	s_cbranch_vccnz .LBB286_11
; %bb.9:
	s_add_u32 s16, s16, s28
	s_addc_u32 s17, s17, s29
	s_load_dword s21, s[16:17], 0x0
	s_branch .LBB286_12
.LBB286_10:
	s_mov_b64 s[8:9], 0
	s_branch .LBB286_2
.LBB286_11:
	s_mov_b32 s21, s2
.LBB286_12:
	s_load_dwordx4 s[16:19], s[0:1], 0x48
	v_cmp_ne_u32_e32 vcc, 3, v71
	s_mov_b32 s29, 0
	v_mov_b32_e32 v73, 1.0
	v_mov_b32_e32 v27, 0
	v_mov_b32_e32 v66, 0
	;; [unrolled: 1-line block ×5, first 2 shown]
	s_and_saveexec_b64 s[30:31], vcc
	s_cbranch_execz .LBB286_14
; %bb.13:
	s_load_dwordx2 s[34:35], s[0:1], 0x0
	s_waitcnt lgkmcnt(0)
	s_ashr_i32 s19, s16, 31
	s_mul_hi_u32 s28, s21, s16
	s_mul_i32 s19, s21, s19
	s_add_i32 s37, s28, s19
	s_mul_i32 s36, s21, s16
	s_lshl_b64 s[36:37], s[36:37], 1
	s_add_u32 s16, s34, s36
	s_mul_i32 s28, s4, 0x180
	s_addc_u32 s19, s35, s37
	s_lshl_b64 s[34:35], s[28:29], 1
	v_lshlrev_b32_e32 v3, 2, v1
	s_add_u32 s34, s16, s34
	v_and_b32_e32 v3, 0xf0, v3
	s_addc_u32 s35, s19, s35
	v_lshl_or_b32 v3, v71, 8, v3
	global_load_dwordx4 v[66:69], v3, s[34:35]
	v_mov_b32_e32 v73, 0
.LBB286_14:
	s_or_b64 exec, exec, s[30:31]
	s_waitcnt lgkmcnt(0)
	s_mul_i32 s28, s4, s18
	s_lshl_b64 s[18:19], s[28:29], 1
	s_add_u32 s8, s18, s8
	s_waitcnt vmcnt(4)
	v_mad_i64_i32 v[2:3], s[30:31], v2, s17, 0
	s_addc_u32 s9, s19, s9
	v_and_b32_e32 v8, 15, v0
	v_lshl_add_u64 v[2:3], v[2:3], 1, s[8:9]
	v_lshlrev_b32_e32 v26, 4, v8
	v_lshl_add_u64 v[2:3], v[2:3], 0, v[26:27]
	global_load_dwordx4 v[8:11], v[2:3], off
	global_load_dwordx4 v[12:15], v[2:3], off offset:256
	global_load_dwordx4 v[16:19], v[2:3], off offset:512
	;; [unrolled: 1-line block ×15, first 2 shown]
	s_waitcnt vmcnt(19)
	v_mul_hi_i32 v24, v4, s17
	s_waitcnt vmcnt(18)
	v_mul_hi_i32 v26, v5, s17
	;; [unrolled: 2-line block ×4, first 2 shown]
	v_ashrrev_i32_e32 v93, 31, v24
	v_ashrrev_i32_e32 v24, 31, v26
	v_ashrrev_i32_e32 v26, 31, v64
	v_ashrrev_i32_e32 v2, 31, v86
	v_mov_b32_e32 v25, v27
	v_mov_b32_e32 v65, v27
	;; [unrolled: 1-line block ×3, first 2 shown]
	v_lshrrev_b32_e32 v24, 29, v24
	v_lshrrev_b32_e32 v64, 29, v26
	;; [unrolled: 1-line block ×3, first 2 shown]
	v_mad_i64_i32 v[2:3], s[8:9], v5, s17, v[24:25]
	v_mad_i64_i32 v[24:25], s[8:9], v6, s17, v[64:65]
	;; [unrolled: 1-line block ×3, first 2 shown]
	s_add_u32 s8, s10, s18
	v_lshrrev_b32_e32 v26, 29, v93
	s_addc_u32 s9, s11, s19
	v_mad_i64_i32 v[4:5], s[10:11], v4, s17, v[26:27]
	v_lshlrev_b64 v[2:3], 1, v[2:3]
	v_lshlrev_b64 v[6:7], 1, v[6:7]
	v_and_b32_e32 v2, -16, v2
	v_and_b32_e32 v6, -16, v6
	v_lshlrev_b32_e32 v26, 5, v1
	v_lshl_add_u64 v[2:3], s[8:9], 0, v[2:3]
	v_lshl_add_u64 v[6:7], s[8:9], 0, v[6:7]
	s_load_dword s0, s[0:1], 0x1c
	v_cmp_eq_u32_e32 vcc, 0, v71
	v_and_b32_e32 v91, -4, v72
	v_or_b32_e32 v72, 3, v72
	v_cndmask_b32_e64 v88, 0, 1.0, vcc
	v_cmp_eq_u32_e32 vcc, 1, v71
	v_cmp_gt_i32_e64 s[10:11], s3, v72
	v_lshlrev_b32_e32 v92, 2, v0
	v_cndmask_b32_e64 v89, 0, 1.0, vcc
	v_cmp_eq_u32_e32 vcc, 2, v71
	s_waitcnt vmcnt(15)
	v_mfma_f32_4x4x4_16b_f16 a[0:3], v[66:67], v[8:9], 0 cbsz:4
	v_lshlrev_b64 v[8:9], 1, v[24:25]
	s_nop 0
	v_mfma_f32_4x4x4_16b_f16 a[0:3], v[68:69], v[10:11], a[0:3] cbsz:4
	v_and_b32_e32 v8, -16, v8
	v_lshl_add_u64 v[8:9], s[8:9], 0, v[8:9]
	s_waitcnt vmcnt(14)
	v_mfma_f32_4x4x4_16b_f16 a[0:3], v[66:67], v[12:13], a[0:3] cbsz:4 abid:1
	v_lshl_add_u64 v[10:11], v[2:3], 0, v[26:27]
	v_cndmask_b32_e64 v90, 0, 1.0, vcc
	v_mfma_f32_4x4x4_16b_f16 a[0:3], v[68:69], v[14:15], a[0:3] cbsz:4 abid:1
	v_cmp_gt_i32_e32 vcc, s3, v91
	s_waitcnt vmcnt(13)
	v_mfma_f32_4x4x4_16b_f16 a[0:3], v[66:67], v[16:17], a[0:3] cbsz:4 abid:2
	s_nop 1
	v_mfma_f32_4x4x4_16b_f16 a[0:3], v[68:69], v[18:19], a[0:3] cbsz:4 abid:2
	v_lshl_add_u64 v[18:19], v[8:9], 0, v[26:27]
	s_waitcnt vmcnt(12)
	v_mfma_f32_4x4x4_16b_f16 a[0:3], v[66:67], v[20:21], a[0:3] cbsz:4 abid:3
	s_nop 1
	v_mfma_f32_4x4x4_16b_f16 a[0:3], v[68:69], v[22:23], a[0:3] cbsz:4 abid:3
	s_waitcnt vmcnt(11)
	s_nop 0
	v_mfma_f32_4x4x4_16b_f16 a[0:3], v[66:67], v[28:29], a[0:3] cbsz:4 abid:4
	v_lshlrev_b64 v[28:29], 1, v[4:5]
	v_and_b32_e32 v28, -16, v28
	v_mfma_f32_4x4x4_16b_f16 a[0:3], v[68:69], v[30:31], a[0:3] cbsz:4 abid:4
	v_lshl_add_u64 v[28:29], s[8:9], 0, v[28:29]
	s_waitcnt vmcnt(10)
	v_mfma_f32_4x4x4_16b_f16 a[0:3], v[66:67], v[32:33], a[0:3] cbsz:4 abid:5
	s_nop 1
	v_mfma_f32_4x4x4_16b_f16 a[0:3], v[68:69], v[34:35], a[0:3] cbsz:4 abid:5
	s_waitcnt vmcnt(9)
	s_nop 0
	v_mfma_f32_4x4x4_16b_f16 a[0:3], v[66:67], v[36:37], a[0:3] cbsz:4 abid:6
	s_nop 1
	v_mfma_f32_4x4x4_16b_f16 a[0:3], v[68:69], v[38:39], a[0:3] cbsz:4 abid:6
	s_waitcnt vmcnt(8)
	s_nop 0
	v_mfma_f32_4x4x4_16b_f16 a[0:3], v[66:67], v[40:41], a[0:3] cbsz:4 abid:7
	s_nop 1
	v_mfma_f32_4x4x4_16b_f16 a[0:3], v[68:69], v[42:43], a[0:3] cbsz:4 abid:7
	v_lshl_add_u64 v[42:43], v[6:7], 0, v[26:27]
	global_load_dwordx4 v[2:5], v[10:11], off
	global_load_dwordx4 v[6:9], v[10:11], off offset:16
	s_waitcnt vmcnt(9)
	v_mfma_f32_4x4x4_16b_f16 a[0:3], v[66:67], v[44:45], a[0:3] cbsz:4 abid:8
	global_load_dwordx4 v[30:33], v[10:11], off offset:2048
	global_load_dwordx4 v[34:37], v[10:11], off offset:2064
	v_mfma_f32_4x4x4_16b_f16 a[0:3], v[68:69], v[46:47], a[0:3] cbsz:4 abid:8
	global_load_dwordx4 v[10:13], v[18:19], off
	global_load_dwordx4 v[14:17], v[18:19], off offset:16
	s_waitcnt vmcnt(12)
	v_mfma_f32_4x4x4_16b_f16 a[0:3], v[66:67], v[48:49], a[0:3] cbsz:4 abid:9
	global_load_dwordx4 v[38:41], v[18:19], off offset:2048
	global_load_dwordx4 v[46:49], v[18:19], off offset:2064
	v_mfma_f32_4x4x4_16b_f16 a[0:3], v[68:69], v[50:51], a[0:3] cbsz:4 abid:9
	global_load_dwordx4 v[18:21], v[42:43], off
	global_load_dwordx4 v[22:25], v[42:43], off offset:16
	s_waitcnt vmcnt(15)
	v_mfma_f32_4x4x4_16b_f16 a[0:3], v[66:67], v[52:53], a[0:3] cbsz:4 abid:10
	s_nop 1
	v_mfma_f32_4x4x4_16b_f16 a[0:3], v[68:69], v[54:55], a[0:3] cbsz:4 abid:10
	s_waitcnt vmcnt(14)
	s_nop 0
	v_mfma_f32_4x4x4_16b_f16 a[0:3], v[66:67], v[56:57], a[0:3] cbsz:4 abid:11
	global_load_dwordx4 v[50:53], v[42:43], off offset:2048
	global_load_dwordx4 v[54:57], v[42:43], off offset:2064
	v_mfma_f32_4x4x4_16b_f16 a[0:3], v[68:69], v[58:59], a[0:3] cbsz:4 abid:11
	s_waitcnt vmcnt(15)
	s_nop 0
	v_mfma_f32_4x4x4_16b_f16 a[0:3], v[66:67], v[60:61], a[0:3] cbsz:4 abid:12
	s_nop 1
	v_mfma_f32_4x4x4_16b_f16 a[0:3], v[68:69], v[62:63], a[0:3] cbsz:4 abid:12
	s_waitcnt vmcnt(14)
	s_nop 0
	v_mfma_f32_4x4x4_16b_f16 a[0:3], v[66:67], v[74:75], a[0:3] cbsz:4 abid:13
	v_lshl_add_u64 v[74:75], v[28:29], 0, v[26:27]
	global_load_dwordx4 v[42:45], v[74:75], off
	global_load_dwordx4 v[26:29], v[74:75], off offset:16
	global_load_dwordx4 v[58:61], v[74:75], off offset:2048
	global_load_dwordx4 v[62:65], v[74:75], off offset:2064
	v_mfma_f32_4x4x4_16b_f16 a[0:3], v[68:69], v[76:77], a[0:3] cbsz:4 abid:13
	v_mov_b32_e32 v74, 0xff7fffff
	v_and_or_b32 v75, v92, 48, v71
	s_waitcnt vmcnt(17)
	v_mfma_f32_4x4x4_16b_f16 a[0:3], v[66:67], v[78:79], a[0:3] cbsz:4 abid:14
	v_lshlrev_b32_e32 v75, 2, v75
	s_nop 0
	v_mfma_f32_4x4x4_16b_f16 a[0:3], v[68:69], v[80:81], a[0:3] cbsz:4 abid:14
	s_waitcnt vmcnt(16)
	s_nop 0
	v_mfma_f32_4x4x4_16b_f16 a[0:3], v[66:67], v[82:83], a[0:3] cbsz:4 abid:15
	s_nop 1
	v_mfma_f32_4x4x4_16b_f16 a[0:3], v[68:69], v[84:85], a[0:3] cbsz:4 abid:15
	s_nop 4
	v_accvgpr_read_b32 v67, a1
	v_accvgpr_read_b32 v66, a0
	s_waitcnt lgkmcnt(0)
	v_pk_mul_f32 v[66:67], s[0:1], v[66:67] op_sel_hi:[0,1]
	v_accvgpr_read_b32 v69, a3
	v_accvgpr_read_b32 v68, a2
	v_pk_mul_f32 v[68:69], s[0:1], v[68:69] op_sel_hi:[0,1]
	v_mfma_f32_4x4x1_16b_f32 a[0:3], v66, v88, 0
	v_or_b32_e32 v66, 1, v91
	s_nop 0
	v_mfma_f32_4x4x1_16b_f32 a[0:3], v67, v89, a[0:3]
	v_cmp_gt_i32_e64 s[0:1], s3, v66
	v_or_b32_e32 v67, 2, v91
	v_mfma_f32_4x4x1_16b_f32 a[0:3], v68, v90, a[0:3]
	v_cmp_gt_i32_e64 s[8:9], s3, v67
	s_nop 0
	v_mfma_f32_4x4x1_16b_f32 a[0:3], v69, v73, a[0:3]
	s_nop 3
	v_accvgpr_read_b32 v68, a0
	v_max_f32_e32 v77, v68, v68
	v_accvgpr_read_b32 v69, a1
	v_max_f32_e32 v77, 0xff7fffff, v77
	v_max_f32_e32 v78, v69, v69
	v_cndmask_b32_e32 v74, v74, v77, vcc
	v_accvgpr_read_b32 v73, a2
	v_max_f32_e32 v77, v74, v78
	v_max_f32_e32 v79, v73, v73
	v_cndmask_b32_e64 v66, v74, v77, s[0:1]
	v_accvgpr_read_b32 v76, a3
	v_max_f32_e32 v74, v66, v79
	v_max_f32_e32 v80, v76, v76
	v_cndmask_b32_e64 v66, v66, v74, s[8:9]
	v_max_f32_e32 v67, v66, v80
	v_cndmask_b32_e64 v66, v66, v67, s[10:11]
	;;#ASMSTART
	v_nop
 v_nop
 v_max_f32_dpp v66, v66, v66 row_ror:4
	;;#ASMEND
	s_nop 0
	;;#ASMSTART
	v_nop
 v_nop
 v_max_f32_dpp v66, v66, v66 row_ror:8
	;;#ASMEND
	ds_bpermute_b32 v66, v75, v66
	s_waitcnt lgkmcnt(0)
	;;#ASMSTART
	v_nop
 v_nop
 v_max_f32_dpp v66, v66, v66 row_ror:4
	;;#ASMEND
	s_nop 0
	;;#ASMSTART
	v_nop
 v_nop
 v_max_f32_dpp v72, v66, v66 row_ror:8
	;;#ASMEND
	s_nop 0
	v_sub_f32_e32 v66, v68, v72
	v_sub_f32_e32 v67, v69, v72
	;; [unrolled: 1-line block ×3, first 2 shown]
	v_mul_f32_e32 v66, 0x3fb8aa3b, v66
	v_mul_f32_e32 v67, 0x3fb8aa3b, v67
	v_mul_f32_e32 v68, 0x3fb8aa3b, v68
	v_exp_f32_e32 v66, v66
	v_sub_f32_e32 v69, v76, v72
	v_exp_f32_e32 v67, v67
	v_exp_f32_e32 v73, v68
	v_mul_f32_e32 v69, 0x3fb8aa3b, v69
	v_exp_f32_e32 v74, v69
	v_cndmask_b32_e32 v68, 0, v66, vcc
	v_cndmask_b32_e64 v69, 0, v67, s[0:1]
	v_cndmask_b32_e64 v66, 0, v73, s[8:9]
	v_add_f32_e32 v73, 0, v68
	v_add_f32_e32 v73, v73, v69
	v_cndmask_b32_e64 v67, 0, v74, s[10:11]
	v_add_f32_e32 v73, v73, v66
	v_add_f32_e32 v73, v73, v67
	;;#ASMSTART
	v_nop
 v_nop
 v_add_f32_dpp v73, v73, v73 row_ror:4
	;;#ASMEND
	v_cmp_gt_u32_e32 vcc, 4, v1
	;;#ASMSTART
	v_nop
 v_nop
 v_add_f32_dpp v73, v73, v73 row_ror:8
	;;#ASMEND
	ds_bpermute_b32 v73, v75, v73
	s_waitcnt lgkmcnt(0)
	;;#ASMSTART
	v_nop
 v_nop
 v_add_f32_dpp v73, v73, v73 row_ror:4
	;;#ASMEND
	s_nop 0
	;;#ASMSTART
	v_nop
 v_nop
 v_add_f32_dpp v73, v73, v73 row_ror:8
	;;#ASMEND
	s_and_saveexec_b64 s[0:1], vcc
	s_cbranch_execz .LBB286_16
; %bb.15:
	v_mul_u32_u24_e32 v74, 20, v70
	v_lshl_add_u32 v74, v71, 2, v74
	v_add_u32_e32 v74, 0x1400, v74
	ds_write2_b32 v74, v72, v73 offset1:20
.LBB286_16:
	s_or_b64 exec, exec, s[0:1]
.LBB286_17:
	s_or_b64 exec, exec, s[26:27]
	s_waitcnt lgkmcnt(0)
	s_barrier
	s_load_dword s0, s[24:25], 0x8
	v_lshlrev_b32_e32 v73, 2, v71
	v_add_u32_e32 v80, 0x1400, v73
	ds_read2_b32 v[74:75], v80 offset1:5
	ds_read2_b32 v[76:77], v80 offset0:10 offset1:15
	s_mul_i32 s1, s2, s5
	s_waitcnt lgkmcnt(0)
	s_mul_i32 s0, s1, s0
	s_mov_b32 s1, 0xff7fffff
	v_max3_f32 v73, v74, s1, v75
	v_max3_f32 v73, v73, v76, v77
	v_sub_f32_e32 v74, v74, v73
	ds_read2_b32 v[78:79], v80 offset0:20 offset1:25
	v_mul_f32_e32 v74, 0x3fb8aa3b, v74
	v_sub_f32_e32 v75, v75, v73
	v_exp_f32_e32 v74, v74
	v_mul_f32_e32 v75, 0x3fb8aa3b, v75
	v_sub_f32_e32 v76, v76, v73
	v_exp_f32_e32 v75, v75
	ds_read2_b32 v[80:81], v80 offset0:30 offset1:35
	v_mul_f32_e32 v76, 0x3fb8aa3b, v76
	v_sub_f32_e32 v77, v77, v73
	v_exp_f32_e32 v76, v76
	v_mul_f32_e32 v77, 0x3fb8aa3b, v77
	v_exp_f32_e32 v77, v77
	s_waitcnt lgkmcnt(1)
	v_fma_f32 v74, v74, v78, 0
	v_fmac_f32_e32 v74, v75, v79
	s_waitcnt lgkmcnt(0)
	v_fmac_f32_e32 v74, v76, v80
	s_mul_i32 s4, s4, 3
	s_mul_i32 s0, s0, 3
	v_fmac_f32_e32 v74, v77, v81
	v_cmp_ne_u32_e32 vcc, 3, v71
	s_and_saveexec_b64 s[2:3], vcc
	s_cbranch_execz .LBB286_19
; %bb.18:
	s_mov_b32 s1, 0
	s_lshl_b64 s[8:9], s[0:1], 2
	s_add_u32 s12, s12, s8
	s_mov_b32 s21, s1
	s_addc_u32 s13, s13, s9
	s_lshl_b64 s[10:11], s[20:21], 2
	s_add_u32 s12, s12, s10
	s_addc_u32 s13, s13, s11
	s_add_u32 s1, s14, s8
	s_addc_u32 s9, s15, s9
	v_add_u32_e32 v71, s4, v71
	s_add_u32 s8, s1, s10
	v_mul_lo_u32 v76, s5, v71
	v_mov_b32_e32 v77, 0
	s_addc_u32 s9, s9, s11
	v_lshlrev_b64 v[76:77], 2, v[76:77]
	v_lshl_add_u64 v[78:79], s[12:13], 0, v[76:77]
	v_lshl_add_u64 v[76:77], s[8:9], 0, v[76:77]
	global_store_dword v[76:77], v73, off
	global_store_dword v[78:79], v74, off
.LBB286_19:
	s_or_b64 exec, exec, s[2:3]
	v_lshlrev_b32_e32 v70, 3, v70
	s_and_saveexec_b64 s[2:3], s[6:7]
	s_xor_b64 s[2:3], exec, s[2:3]
	s_cbranch_execz .LBB286_21
; %bb.20:
	s_mov_b32 s6, 0
	s_mov_b32 s7, s6
	s_waitcnt vmcnt(15)
	v_mad_u32_u24 v4, v1, 40, v70
	v_mov_b64_e32 v[2:3], s[6:7]
	ds_write2st64_b64 v4, v[2:3], v[2:3] offset1:5
                                        ; implicit-def: $vgpr67
                                        ; implicit-def: $vgpr69
                                        ; implicit-def: $vgpr43
                                        ; implicit-def: $vgpr27
                                        ; implicit-def: $vgpr3
                                        ; implicit-def: $vgpr7
                                        ; implicit-def: $vgpr11
                                        ; implicit-def: $vgpr15
                                        ; implicit-def: $vgpr19
                                        ; implicit-def: $vgpr23
                                        ; implicit-def: $vgpr59
                                        ; implicit-def: $vgpr63
                                        ; implicit-def: $vgpr31
                                        ; implicit-def: $vgpr35
                                        ; implicit-def: $vgpr39
                                        ; implicit-def: $vgpr47
                                        ; implicit-def: $vgpr51
                                        ; implicit-def: $vgpr55
                                        ; implicit-def: $vgpr72
                                        ; implicit-def: $vgpr73
                                        ; implicit-def: $vgpr74
                                        ; implicit-def: $vgpr70
.LBB286_21:
	s_andn2_saveexec_b64 s[2:3], s[2:3]
	s_cbranch_execz .LBB286_23
; %bb.22:
	v_add_f32_e32 v71, 0x358637bd, v74
	v_div_scale_f32 v74, s[6:7], v71, v71, 1.0
	v_rcp_f32_e32 v75, v74
	v_sub_f32_e32 v72, v72, v73
	v_mul_f32_e32 v72, 0x3fb8aa3b, v72
	v_exp_f32_e32 v72, v72
	v_fma_f32 v73, -v74, v75, 1.0
	v_fmac_f32_e32 v75, v73, v75
	v_div_scale_f32 v73, vcc, 1.0, v71, 1.0
	v_mul_f32_e32 v76, v73, v75
	v_fma_f32 v77, -v74, v76, v73
	v_fmac_f32_e32 v76, v77, v75
	v_fma_f32 v73, -v74, v76, v73
	v_div_fmas_f32 v73, v73, v75, v76
	v_div_fixup_f32 v71, v73, v71, 1.0
	v_mul_f32_e32 v72, v72, v71
	v_pk_mul_f32 v[66:67], v[66:67], v[72:73] op_sel_hi:[1,0]
	v_pk_mul_f32 v[68:69], v[68:69], v[72:73] op_sel_hi:[1,0]
	v_cvt_f16_f32_e32 v71, v66
	v_cvt_f16_f32_e32 v68, v68
	;; [unrolled: 1-line block ×4, first 2 shown]
	v_pack_b32_f16 v66, v68, v69
	v_pack_b32_f16 v67, v71, v67
	s_waitcnt vmcnt(3)
	s_nop 0
	v_mfma_f32_4x4x4_16b_f16 a[0:3], v[66:67], v[42:43], 0 cbsz:4
	s_nop 1
	v_mfma_f32_4x4x4_16b_f16 a[0:3], v[66:67], v[44:45], a[0:3] cbsz:4 abid:1
	s_waitcnt vmcnt(1)
	v_mfma_f32_4x4x4_16b_f16 a[4:7], v[66:67], v[58:59], 0 cbsz:4
	v_mfma_f32_4x4x4_16b_f16 a[0:3], v[66:67], v[26:27], a[0:3] cbsz:4 abid:2
	s_nop 0
	v_mfma_f32_4x4x4_16b_f16 a[4:7], v[66:67], v[60:61], a[4:7] cbsz:4 abid:1
	v_mfma_f32_4x4x4_16b_f16 a[0:3], v[66:67], v[28:29], a[0:3] cbsz:4 abid:3
	s_waitcnt vmcnt(0)
	v_mfma_f32_4x4x4_16b_f16 a[4:7], v[66:67], v[62:63], a[4:7] cbsz:4 abid:2
	v_mfma_f32_4x4x4_16b_f16 a[0:3], v[66:67], v[2:3], a[0:3] cbsz:4 abid:4
	s_nop 0
	v_mfma_f32_4x4x4_16b_f16 a[4:7], v[66:67], v[64:65], a[4:7] cbsz:4 abid:3
	v_mfma_f32_4x4x4_16b_f16 a[0:3], v[66:67], v[4:5], a[0:3] cbsz:4 abid:5
	s_nop 0
	;; [unrolled: 3-line block ×3, first 2 shown]
	v_mfma_f32_4x4x4_16b_f16 a[4:7], v[66:67], v[32:33], a[4:7] cbsz:4 abid:5
	v_mfma_f32_4x4x4_16b_f16 a[0:3], v[66:67], v[8:9], a[0:3] cbsz:4 abid:7
	v_mad_u32_u24 v9, v1, 40, v70
	v_mfma_f32_4x4x4_16b_f16 a[4:7], v[66:67], v[34:35], a[4:7] cbsz:4 abid:6
	v_mfma_f32_4x4x4_16b_f16 a[0:3], v[66:67], v[10:11], a[0:3] cbsz:4 abid:8
	s_nop 0
	v_mfma_f32_4x4x4_16b_f16 a[4:7], v[66:67], v[36:37], a[4:7] cbsz:4 abid:7
	v_mfma_f32_4x4x4_16b_f16 a[0:3], v[66:67], v[12:13], a[0:3] cbsz:4 abid:9
	s_nop 0
	;; [unrolled: 3-line block ×7, first 2 shown]
	v_mfma_f32_4x4x4_16b_f16 a[0:3], v[66:67], v[24:25], a[0:3] cbsz:4 abid:15
	s_nop 4
	v_accvgpr_read_b32 v2, a0
	v_accvgpr_read_b32 v3, a1
	;; [unrolled: 1-line block ×4, first 2 shown]
	v_mfma_f32_4x4x4_16b_f16 a[0:3], v[66:67], v[52:53], a[4:7] cbsz:4 abid:13
	v_cvt_f16_f32_e32 v2, v2
	v_cvt_f16_f32_e32 v3, v3
	v_mfma_f32_4x4x4_16b_f16 a[0:3], v[66:67], v[54:55], a[0:3] cbsz:4 abid:14
	v_pack_b32_f16 v2, v2, v3
	s_nop 0
	v_mfma_f32_4x4x4_16b_f16 a[0:3], v[66:67], v[56:57], a[0:3] cbsz:4 abid:15
	v_cvt_f16_f32_e32 v3, v4
	v_cvt_f16_f32_e32 v4, v5
	v_pack_b32_f16 v3, v3, v4
	s_nop 1
	v_accvgpr_read_b32 v5, a0
	v_accvgpr_read_b32 v6, a1
	v_accvgpr_read_b32 v7, a2
	v_accvgpr_read_b32 v8, a3
	v_cvt_f16_f32_e32 v5, v5
	v_cvt_f16_f32_e32 v6, v6
	;; [unrolled: 1-line block ×4, first 2 shown]
	v_pack_b32_f16 v4, v5, v6
	v_pack_b32_f16 v5, v7, v8
	ds_write2st64_b64 v9, v[2:3], v[4:5] offset1:5
.LBB286_23:
	s_or_b64 exec, exec, s[2:3]
	v_cmp_gt_u32_e32 vcc, 64, v0
	s_waitcnt lgkmcnt(0)
	s_barrier
	s_and_saveexec_b64 s[2:3], vcc
	s_cbranch_execz .LBB286_25
; %bb.24:
	s_waitcnt vmcnt(14)
	v_mul_u32_u24_e32 v6, 40, v1
	ds_read2_b64 v[2:5], v6 offset1:1
	ds_read2_b64 v[6:9], v6 offset0:2 offset1:3
	s_mov_b32 s1, 0
	s_lshl_b32 s0, s0, 7
	s_lshl_b64 s[2:3], s[0:1], 1
	s_waitcnt lgkmcnt(1)
	v_pk_add_f16 v2, v2, 0
	v_pk_add_f16 v3, v3, 0
	;; [unrolled: 1-line block ×4, first 2 shown]
	s_waitcnt lgkmcnt(0)
	v_pk_add_f16 v2, v2, v6
	v_pk_add_f16 v6, v3, v7
	s_waitcnt vmcnt(11)
	v_pk_add_f16 v10, v2, v8
	v_mov_b32_e32 v2, 0xa00
	v_mad_u32_u24 v2, v1, 40, v2
	ds_read2_b64 v[2:5], v2 offset1:1
	v_pk_add_f16 v11, v6, v9
	v_mov_b32_e32 v6, 0xa10
	v_mad_u32_u24 v1, v1, 40, v6
	ds_read2_b64 v[6:9], v1 offset1:1
	s_add_u32 s2, s22, s2
	s_addc_u32 s3, s23, s3
	s_lshl_b32 s0, s20, 7
	s_lshl_b64 s[0:1], s[0:1], 1
	s_waitcnt lgkmcnt(1)
	v_pk_add_f16 v1, v2, 0
	v_pk_add_f16 v2, v3, 0
	s_add_u32 s0, s2, s0
	v_pk_add_f16 v2, v2, v5
	s_addc_u32 s1, s3, s1
	s_lshl_b32 s2, s5, 7
	s_waitcnt lgkmcnt(0)
	v_pk_add_f16 v2, v2, v7
	s_mul_i32 s3, s2, s4
	v_pk_add_f16 v9, v2, v9
	v_or_b32_e32 v2, s3, v0
	v_mov_b32_e32 v3, 0
	s_add_i32 s3, s3, s2
	v_pk_add_f16 v1, v1, v4
	v_lshl_add_u64 v[4:5], v[2:3], 1, s[0:1]
	v_or_b32_e32 v2, s3, v0
	s_add_i32 s3, s3, s2
	v_pk_add_f16 v1, v1, v6
	v_lshl_add_u64 v[6:7], v[2:3], 1, s[0:1]
	v_or_b32_e32 v2, s3, v0
	v_pk_add_f16 v8, v1, v8
	v_lshl_add_u64 v[0:1], v[2:3], 1, s[0:1]
	global_store_short v[4:5], v10, off
	global_store_short_d16_hi v[6:7], v10, off
	global_store_short v[0:1], v11, off
	global_store_short v[4:5], v8, off offset:128
	global_store_short_d16_hi v[6:7], v8, off offset:128
	global_store_short v[0:1], v9, off offset:128
.LBB286_25:
	s_endpgm
	.section	.rodata,"a",@progbits
	.p2align	6, 0x0
	.amdhsa_kernel _Z38paged_attention_ll4mi_QKV_mfma4_kernelIDF16_DF16_LN4vllm18Fp8KVCacheDataTypeE0EDF16_Li16ELi128ELi256ELb0ELi3EEvPKT_PKT0_S7_ifPKiS9_S9_iPKfiiiPfSC_PS2_PT2_iSB_SB_
		.amdhsa_group_segment_fixed_size 5280
		.amdhsa_private_segment_fixed_size 0
		.amdhsa_kernarg_size 400
		.amdhsa_user_sgpr_count 2
		.amdhsa_user_sgpr_dispatch_ptr 0
		.amdhsa_user_sgpr_queue_ptr 0
		.amdhsa_user_sgpr_kernarg_segment_ptr 1
		.amdhsa_user_sgpr_dispatch_id 0
		.amdhsa_user_sgpr_kernarg_preload_length 0
		.amdhsa_user_sgpr_kernarg_preload_offset 0
		.amdhsa_user_sgpr_private_segment_size 0
		.amdhsa_uses_dynamic_stack 0
		.amdhsa_enable_private_segment 0
		.amdhsa_system_sgpr_workgroup_id_x 1
		.amdhsa_system_sgpr_workgroup_id_y 1
		.amdhsa_system_sgpr_workgroup_id_z 1
		.amdhsa_system_sgpr_workgroup_info 0
		.amdhsa_system_vgpr_workitem_id 0
		.amdhsa_next_free_vgpr 104
		.amdhsa_next_free_sgpr 38
		.amdhsa_accum_offset 96
		.amdhsa_reserve_vcc 1
		.amdhsa_float_round_mode_32 0
		.amdhsa_float_round_mode_16_64 0
		.amdhsa_float_denorm_mode_32 3
		.amdhsa_float_denorm_mode_16_64 3
		.amdhsa_dx10_clamp 1
		.amdhsa_ieee_mode 1
		.amdhsa_fp16_overflow 0
		.amdhsa_tg_split 0
		.amdhsa_exception_fp_ieee_invalid_op 0
		.amdhsa_exception_fp_denorm_src 0
		.amdhsa_exception_fp_ieee_div_zero 0
		.amdhsa_exception_fp_ieee_overflow 0
		.amdhsa_exception_fp_ieee_underflow 0
		.amdhsa_exception_fp_ieee_inexact 0
		.amdhsa_exception_int_div_zero 0
	.end_amdhsa_kernel
	.section	.text._Z38paged_attention_ll4mi_QKV_mfma4_kernelIDF16_DF16_LN4vllm18Fp8KVCacheDataTypeE0EDF16_Li16ELi128ELi256ELb0ELi3EEvPKT_PKT0_S7_ifPKiS9_S9_iPKfiiiPfSC_PS2_PT2_iSB_SB_,"axG",@progbits,_Z38paged_attention_ll4mi_QKV_mfma4_kernelIDF16_DF16_LN4vllm18Fp8KVCacheDataTypeE0EDF16_Li16ELi128ELi256ELb0ELi3EEvPKT_PKT0_S7_ifPKiS9_S9_iPKfiiiPfSC_PS2_PT2_iSB_SB_,comdat
.Lfunc_end286:
	.size	_Z38paged_attention_ll4mi_QKV_mfma4_kernelIDF16_DF16_LN4vllm18Fp8KVCacheDataTypeE0EDF16_Li16ELi128ELi256ELb0ELi3EEvPKT_PKT0_S7_ifPKiS9_S9_iPKfiiiPfSC_PS2_PT2_iSB_SB_, .Lfunc_end286-_Z38paged_attention_ll4mi_QKV_mfma4_kernelIDF16_DF16_LN4vllm18Fp8KVCacheDataTypeE0EDF16_Li16ELi128ELi256ELb0ELi3EEvPKT_PKT0_S7_ifPKiS9_S9_iPKfiiiPfSC_PS2_PT2_iSB_SB_
                                        ; -- End function
	.section	.AMDGPU.csdata,"",@progbits
; Kernel info:
; codeLenInByte = 3884
; NumSgprs: 44
; NumVgprs: 94
; NumAgprs: 8
; TotalNumVgprs: 104
; ScratchSize: 0
; MemoryBound: 0
; FloatMode: 240
; IeeeMode: 1
; LDSByteSize: 5280 bytes/workgroup (compile time only)
; SGPRBlocks: 5
; VGPRBlocks: 12
; NumSGPRsForWavesPerEU: 44
; NumVGPRsForWavesPerEU: 104
; AccumOffset: 96
; Occupancy: 4
; WaveLimiterHint : 1
; COMPUTE_PGM_RSRC2:SCRATCH_EN: 0
; COMPUTE_PGM_RSRC2:USER_SGPR: 2
; COMPUTE_PGM_RSRC2:TRAP_HANDLER: 0
; COMPUTE_PGM_RSRC2:TGID_X_EN: 1
; COMPUTE_PGM_RSRC2:TGID_Y_EN: 1
; COMPUTE_PGM_RSRC2:TGID_Z_EN: 1
; COMPUTE_PGM_RSRC2:TIDIG_COMP_CNT: 0
; COMPUTE_PGM_RSRC3_GFX90A:ACCUM_OFFSET: 23
; COMPUTE_PGM_RSRC3_GFX90A:TG_SPLIT: 0
	.section	.text._Z38paged_attention_ll4mi_QKV_mfma4_kernelIDF16_DF16_LN4vllm18Fp8KVCacheDataTypeE0EDF16_Li16ELi128ELi256ELb0ELi4EEvPKT_PKT0_S7_ifPKiS9_S9_iPKfiiiPfSC_PS2_PT2_iSB_SB_,"axG",@progbits,_Z38paged_attention_ll4mi_QKV_mfma4_kernelIDF16_DF16_LN4vllm18Fp8KVCacheDataTypeE0EDF16_Li16ELi128ELi256ELb0ELi4EEvPKT_PKT0_S7_ifPKiS9_S9_iPKfiiiPfSC_PS2_PT2_iSB_SB_,comdat
	.protected	_Z38paged_attention_ll4mi_QKV_mfma4_kernelIDF16_DF16_LN4vllm18Fp8KVCacheDataTypeE0EDF16_Li16ELi128ELi256ELb0ELi4EEvPKT_PKT0_S7_ifPKiS9_S9_iPKfiiiPfSC_PS2_PT2_iSB_SB_ ; -- Begin function _Z38paged_attention_ll4mi_QKV_mfma4_kernelIDF16_DF16_LN4vllm18Fp8KVCacheDataTypeE0EDF16_Li16ELi128ELi256ELb0ELi4EEvPKT_PKT0_S7_ifPKiS9_S9_iPKfiiiPfSC_PS2_PT2_iSB_SB_
	.globl	_Z38paged_attention_ll4mi_QKV_mfma4_kernelIDF16_DF16_LN4vllm18Fp8KVCacheDataTypeE0EDF16_Li16ELi128ELi256ELb0ELi4EEvPKT_PKT0_S7_ifPKiS9_S9_iPKfiiiPfSC_PS2_PT2_iSB_SB_
	.p2align	8
	.type	_Z38paged_attention_ll4mi_QKV_mfma4_kernelIDF16_DF16_LN4vllm18Fp8KVCacheDataTypeE0EDF16_Li16ELi128ELi256ELb0ELi4EEvPKT_PKT0_S7_ifPKiS9_S9_iPKfiiiPfSC_PS2_PT2_iSB_SB_,@function
_Z38paged_attention_ll4mi_QKV_mfma4_kernelIDF16_DF16_LN4vllm18Fp8KVCacheDataTypeE0EDF16_Li16ELi128ELi256ELb0ELi4EEvPKT_PKT0_S7_ifPKiS9_S9_iPKfiiiPfSC_PS2_PT2_iSB_SB_: ; @_Z38paged_attention_ll4mi_QKV_mfma4_kernelIDF16_DF16_LN4vllm18Fp8KVCacheDataTypeE0EDF16_Li16ELi128ELi256ELb0ELi4EEvPKT_PKT0_S7_ifPKiS9_S9_iPKfiiiPfSC_PS2_PT2_iSB_SB_
; %bb.0:
	s_load_dwordx2 s[8:9], s[0:1], 0x30
	s_mov_b32 s20, s3
	s_mov_b64 s[6:7], 0
	s_waitcnt lgkmcnt(0)
	s_cmp_lg_u64 s[8:9], 0
	s_cselect_b64 s[10:11], -1, 0
	s_and_b64 vcc, exec, s[10:11]
	s_cbranch_vccz .LBB287_20
; %bb.1:
	s_add_i32 s12, s2, 1
	s_mov_b32 s13, 0
	s_lshl_b64 s[14:15], s[12:13], 2
	s_add_u32 s14, s8, s14
	s_mov_b32 s3, s13
	s_addc_u32 s15, s9, s15
	s_lshl_b64 s[12:13], s[2:3], 2
	s_add_u32 s12, s8, s12
	s_addc_u32 s13, s9, s13
	s_load_dword s5, s[14:15], 0x0
	s_load_dword s16, s[12:13], 0x0
	s_mov_b64 s[30:31], s[2:3]
	s_waitcnt lgkmcnt(0)
	s_sub_i32 s5, s5, s16
	s_cmp_eq_u32 s5, 1
	s_cselect_b64 s[12:13], -1, 0
	s_andn2_b64 vcc, exec, s[6:7]
	s_cbranch_vccnz .LBB287_3
.LBB287_2:
	s_mov_b32 s3, 0
	s_mov_b64 s[12:13], -1
	s_mov_b64 s[30:31], s[2:3]
.LBB287_3:
	s_andn2_b64 vcc, exec, s[12:13]
	s_cbranch_vccnz .LBB287_19
; %bb.4:
	s_load_dword s3, s[0:1], 0x9c
	s_load_dwordx2 s[6:7], s[0:1], 0x28
	s_add_u32 s24, s0, 0x90
	s_addc_u32 s25, s1, 0
	s_lshl_b64 s[34:35], s[30:31], 2
	s_waitcnt lgkmcnt(0)
	s_and_b32 s5, s3, 0xffff
	s_add_u32 s6, s6, s34
	s_addc_u32 s7, s7, s35
	s_load_dword s3, s[6:7], 0x0
	s_mul_i32 s16, s20, s5
	s_waitcnt lgkmcnt(0)
	s_cmp_ge_i32 s16, s3
	s_cbranch_scc1 .LBB287_19
; %bb.5:
	v_and_b32_e32 v1, 0xc0, v0
	v_add_u32_e32 v2, s16, v1
	v_lshrrev_b32_e32 v70, 6, v0
	v_cmp_le_i32_e64 s[6:7], s3, v2
                                        ; implicit-def: $sgpr18
                                        ; implicit-def: $sgpr17
	s_and_saveexec_b64 s[12:13], s[6:7]
	s_xor_b64 s[12:13], exec, s[12:13]
	s_cbranch_execz .LBB287_7
; %bb.6:
	v_mul_u32_u24_e32 v1, 20, v70
	v_or_b32_e32 v1, 0x1400, v1
	v_mov_b32_e32 v2, 0x1450
	v_mov_b32_e32 v3, 0xff7fffff
	v_mad_u32_u24 v2, v70, 20, v2
	ds_write2_b32 v1, v3, v3 offset1:1
	v_mov_b32_e32 v1, 0
	ds_write2_b32 v2, v1, v1 offset1:1
	v_mov_b32_e32 v2, 0x1408
	s_mov_b32 s17, 0xff7fffff
	s_mov_b32 s18, 0
	v_mad_u32_u24 v2, v70, 20, v2
	v_mov_b32_e32 v4, 0x1458
	v_mad_u32_u24 v4, v70, 20, v4
	ds_write2_b32 v2, v3, v3 offset1:1
	ds_write2_b32 v4, v1, v1 offset1:1
                                        ; implicit-def: $vgpr2
.LBB287_7:
	s_or_saveexec_b64 s[26:27], s[12:13]
	s_load_dwordx2 s[22:23], s[0:1], 0x68
	s_load_dwordx4 s[12:15], s[0:1], 0x58
	s_load_dword s5, s[24:25], 0x4
	v_and_b32_e32 v1, 63, v0
	v_and_b32_e32 v71, 3, v0
	v_mov_b32_e32 v67, s18
	v_mov_b32_e32 v72, s17
	;; [unrolled: 1-line block ×5, first 2 shown]
                                        ; implicit-def: $vgpr43
                                        ; implicit-def: $vgpr27
                                        ; implicit-def: $vgpr3
                                        ; implicit-def: $vgpr7
                                        ; implicit-def: $vgpr11
                                        ; implicit-def: $vgpr15
                                        ; implicit-def: $vgpr19
                                        ; implicit-def: $vgpr23
                                        ; implicit-def: $vgpr59
                                        ; implicit-def: $vgpr63
                                        ; implicit-def: $vgpr31
                                        ; implicit-def: $vgpr35
                                        ; implicit-def: $vgpr39
                                        ; implicit-def: $vgpr47
                                        ; implicit-def: $vgpr51
                                        ; implicit-def: $vgpr55
	s_xor_b64 exec, exec, s[26:27]
	s_cbranch_execz .LBB287_13
; %bb.8:
	s_add_i32 s21, s3, 15
	s_load_dwordx2 s[18:19], s[0:1], 0x20
	s_load_dword s17, s[0:1], 0x38
	s_ashr_i32 s28, s21, 31
	s_lshr_b32 s28, s28, 28
	v_add_u32_e32 v66, s16, v0
	s_add_i32 s21, s21, s28
	v_ashrrev_i32_e32 v3, 31, v66
	s_ashr_i32 s21, s21, 4
	v_lshrrev_b32_e32 v3, 28, v3
	s_add_i32 s21, s21, -1
	v_add_u32_e32 v3, v66, v3
	s_waitcnt lgkmcnt(0)
	s_mul_i32 s36, s2, s17
	s_mov_b32 s37, 0
	v_ashrrev_i32_e32 v3, 4, v3
	v_mov_b32_e32 v4, s21
	v_cmp_gt_i32_e32 vcc, s3, v66
	s_lshl_b64 s[28:29], s[36:37], 2
	s_add_u32 s18, s18, s28
	v_cndmask_b32_e32 v4, v4, v3, vcc
	v_ashrrev_i32_e32 v3, 31, v2
	v_lshrrev_b32_e32 v3, 28, v3
	s_addc_u32 s19, s19, s29
	v_ashrrev_i32_e32 v5, 31, v4
	v_add_u32_e32 v2, v2, v3
	v_lshl_add_u64 v[8:9], v[4:5], 2, s[18:19]
	v_ashrrev_i32_e32 v4, 4, v2
	v_min_i32_e32 v2, s21, v4
	v_ashrrev_i32_e32 v3, 31, v2
	v_lshl_add_u64 v[10:11], v[2:3], 2, s[18:19]
	v_add_u32_e32 v2, 1, v4
	v_min_i32_e32 v2, s21, v2
	v_ashrrev_i32_e32 v3, 31, v2
	v_lshl_add_u64 v[12:13], v[2:3], 2, s[18:19]
	v_add_u32_e32 v2, 2, v4
	;; [unrolled: 4-line block ×3, first 2 shown]
	v_min_i32_e32 v2, s21, v2
	v_ashrrev_i32_e32 v3, 31, v2
	v_lshl_add_u64 v[16:17], v[2:3], 2, s[18:19]
	global_load_dword v2, v[8:9], off
	global_load_dword v4, v[10:11], off
	;; [unrolled: 1-line block ×5, first 2 shown]
	s_load_dwordx4 s[16:19], s[0:1], 0x0
	s_load_dwordx2 s[28:29], s[0:1], 0x10
	s_andn2_b64 vcc, exec, s[10:11]
	s_cbranch_vccnz .LBB287_10
; %bb.9:
	s_add_u32 s8, s8, s34
	s_addc_u32 s9, s9, s35
	s_load_dword s36, s[8:9], 0x0
	s_waitcnt lgkmcnt(0)
	s_mov_b64 s[30:31], s[36:37]
.LBB287_10:
	s_load_dwordx4 s[8:11], s[0:1], 0x48
	v_lshlrev_b32_e32 v3, 2, v1
	v_and_b32_e32 v3, 0xf0, v3
	v_lshl_or_b32 v3, v71, 8, v3
	v_and_b32_e32 v8, 15, v0
	s_waitcnt lgkmcnt(0)
	s_ashr_i32 s11, s8, 31
	s_mul_hi_u32 s21, s30, s8
	s_mul_i32 s31, s31, s8
	s_mul_i32 s34, s30, s8
	;; [unrolled: 1-line block ×3, first 2 shown]
	s_add_i32 s8, s21, s8
	s_add_i32 s35, s8, s31
	s_lshl_b64 s[30:31], s[34:35], 1
	s_add_u32 s8, s16, s30
	s_addc_u32 s11, s17, s31
	s_lshl_b32 s36, s4, 9
	s_lshl_b64 s[16:17], s[36:37], 1
	s_add_u32 s16, s8, s16
	s_addc_u32 s17, s11, s17
	global_load_dwordx4 v[72:75], v3, s[16:17]
	s_mul_i32 s36, s4, s10
	s_waitcnt vmcnt(5)
	v_mad_i64_i32 v[2:3], s[16:17], v2, s9, 0
	s_lshl_b64 s[10:11], s[36:37], 1
	s_add_u32 s16, s10, s18
	s_addc_u32 s17, s11, s19
	v_lshl_add_u64 v[2:3], v[2:3], 1, s[16:17]
	v_lshlrev_b32_e32 v26, 4, v8
	v_mov_b32_e32 v27, 0
	v_lshl_add_u64 v[2:3], v[2:3], 0, v[26:27]
	global_load_dwordx4 v[8:11], v[2:3], off
	global_load_dwordx4 v[12:15], v[2:3], off offset:256
	global_load_dwordx4 v[16:19], v[2:3], off offset:512
	;; [unrolled: 1-line block ×15, first 2 shown]
	s_waitcnt vmcnt(20)
	v_mul_hi_i32 v24, v4, s9
	s_waitcnt vmcnt(19)
	v_mul_hi_i32 v26, v5, s9
	;; [unrolled: 2-line block ×4, first 2 shown]
	v_ashrrev_i32_e32 v94, 31, v24
	v_ashrrev_i32_e32 v24, 31, v26
	;; [unrolled: 1-line block ×4, first 2 shown]
	v_mov_b32_e32 v25, v27
	v_mov_b32_e32 v65, v27
	;; [unrolled: 1-line block ×3, first 2 shown]
	v_lshrrev_b32_e32 v24, 29, v24
	v_lshrrev_b32_e32 v64, 29, v26
	v_lshrrev_b32_e32 v68, 29, v2
	v_lshrrev_b32_e32 v26, 29, v94
	v_mad_i64_i32 v[2:3], s[16:17], v5, s9, v[24:25]
	v_mad_i64_i32 v[24:25], s[16:17], v6, s9, v[64:65]
	;; [unrolled: 1-line block ×4, first 2 shown]
	v_lshlrev_b64 v[2:3], 1, v[2:3]
	v_lshlrev_b64 v[6:7], 1, v[6:7]
	s_add_u32 s10, s28, s10
	v_and_b32_e32 v2, -16, v2
	v_and_b32_e32 v6, -16, v6
	s_addc_u32 s11, s29, s11
	v_lshlrev_b32_e32 v26, 5, v1
	v_lshl_add_u64 v[2:3], s[10:11], 0, v[2:3]
	v_lshl_add_u64 v[6:7], s[10:11], 0, v[6:7]
	s_load_dword s0, s[0:1], 0x1c
	v_and_b32_e32 v92, -4, v66
	v_cmp_eq_u32_e32 vcc, 0, v71
	v_lshlrev_b32_e32 v93, 2, v0
	s_waitcnt vmcnt(15)
	v_mfma_f32_4x4x4_16b_f16 a[0:3], v[72:73], v[8:9], 0 cbsz:4
	v_lshlrev_b64 v[8:9], 1, v[24:25]
	s_nop 0
	v_mfma_f32_4x4x4_16b_f16 a[0:3], v[74:75], v[10:11], a[0:3] cbsz:4
	v_and_b32_e32 v8, -16, v8
	v_lshl_add_u64 v[8:9], s[10:11], 0, v[8:9]
	s_waitcnt vmcnt(14)
	v_mfma_f32_4x4x4_16b_f16 a[0:3], v[72:73], v[12:13], a[0:3] cbsz:4 abid:1
	v_lshl_add_u64 v[10:11], v[2:3], 0, v[26:27]
	v_cndmask_b32_e64 v88, 0, 1.0, vcc
	v_mfma_f32_4x4x4_16b_f16 a[0:3], v[74:75], v[14:15], a[0:3] cbsz:4 abid:1
	v_cmp_eq_u32_e32 vcc, 1, v71
	s_waitcnt vmcnt(13)
	v_mfma_f32_4x4x4_16b_f16 a[0:3], v[72:73], v[16:17], a[0:3] cbsz:4 abid:2
	v_cndmask_b32_e64 v89, 0, 1.0, vcc
	v_cmp_eq_u32_e32 vcc, 2, v71
	v_mfma_f32_4x4x4_16b_f16 a[0:3], v[74:75], v[18:19], a[0:3] cbsz:4 abid:2
	v_lshl_add_u64 v[18:19], v[8:9], 0, v[26:27]
	v_cndmask_b32_e64 v90, 0, 1.0, vcc
	s_waitcnt vmcnt(12)
	v_mfma_f32_4x4x4_16b_f16 a[0:3], v[72:73], v[20:21], a[0:3] cbsz:4 abid:3
	v_cmp_eq_u32_e32 vcc, 3, v71
	s_nop 0
	v_mfma_f32_4x4x4_16b_f16 a[0:3], v[74:75], v[22:23], a[0:3] cbsz:4 abid:3
	v_cndmask_b32_e64 v91, 0, 1.0, vcc
	v_cmp_gt_i32_e32 vcc, s3, v92
	s_waitcnt vmcnt(11)
	v_mfma_f32_4x4x4_16b_f16 a[0:3], v[72:73], v[28:29], a[0:3] cbsz:4 abid:4
	v_lshlrev_b64 v[28:29], 1, v[4:5]
	v_and_b32_e32 v28, -16, v28
	v_mfma_f32_4x4x4_16b_f16 a[0:3], v[74:75], v[30:31], a[0:3] cbsz:4 abid:4
	v_lshl_add_u64 v[28:29], s[10:11], 0, v[28:29]
	v_lshl_add_u64 v[68:69], v[28:29], 0, v[26:27]
	s_waitcnt vmcnt(10)
	v_mfma_f32_4x4x4_16b_f16 a[0:3], v[72:73], v[32:33], a[0:3] cbsz:4 abid:5
	s_nop 1
	v_mfma_f32_4x4x4_16b_f16 a[0:3], v[74:75], v[34:35], a[0:3] cbsz:4 abid:5
	s_waitcnt vmcnt(9)
	s_nop 0
	v_mfma_f32_4x4x4_16b_f16 a[0:3], v[72:73], v[36:37], a[0:3] cbsz:4 abid:6
	s_nop 1
	v_mfma_f32_4x4x4_16b_f16 a[0:3], v[74:75], v[38:39], a[0:3] cbsz:4 abid:6
	s_waitcnt vmcnt(8)
	s_nop 0
	v_mfma_f32_4x4x4_16b_f16 a[0:3], v[72:73], v[40:41], a[0:3] cbsz:4 abid:7
	s_nop 1
	v_mfma_f32_4x4x4_16b_f16 a[0:3], v[74:75], v[42:43], a[0:3] cbsz:4 abid:7
	v_lshl_add_u64 v[42:43], v[6:7], 0, v[26:27]
	global_load_dwordx4 v[2:5], v[10:11], off
	global_load_dwordx4 v[6:9], v[10:11], off offset:16
	s_waitcnt vmcnt(9)
	v_mfma_f32_4x4x4_16b_f16 a[0:3], v[72:73], v[44:45], a[0:3] cbsz:4 abid:8
	global_load_dwordx4 v[30:33], v[10:11], off offset:2048
	global_load_dwordx4 v[34:37], v[10:11], off offset:2064
	v_mfma_f32_4x4x4_16b_f16 a[0:3], v[74:75], v[46:47], a[0:3] cbsz:4 abid:8
	global_load_dwordx4 v[10:13], v[18:19], off
	global_load_dwordx4 v[14:17], v[18:19], off offset:16
	s_waitcnt vmcnt(12)
	v_mfma_f32_4x4x4_16b_f16 a[0:3], v[72:73], v[48:49], a[0:3] cbsz:4 abid:9
	global_load_dwordx4 v[38:41], v[18:19], off offset:2048
	global_load_dwordx4 v[46:49], v[18:19], off offset:2064
	v_mfma_f32_4x4x4_16b_f16 a[0:3], v[74:75], v[50:51], a[0:3] cbsz:4 abid:9
	global_load_dwordx4 v[18:21], v[42:43], off
	global_load_dwordx4 v[22:25], v[42:43], off offset:16
	s_waitcnt vmcnt(15)
	v_mfma_f32_4x4x4_16b_f16 a[0:3], v[72:73], v[52:53], a[0:3] cbsz:4 abid:10
	s_nop 1
	v_mfma_f32_4x4x4_16b_f16 a[0:3], v[74:75], v[54:55], a[0:3] cbsz:4 abid:10
	s_waitcnt vmcnt(14)
	s_nop 0
	v_mfma_f32_4x4x4_16b_f16 a[0:3], v[72:73], v[56:57], a[0:3] cbsz:4 abid:11
	global_load_dwordx4 v[50:53], v[42:43], off offset:2048
	global_load_dwordx4 v[54:57], v[42:43], off offset:2064
	v_mfma_f32_4x4x4_16b_f16 a[0:3], v[74:75], v[58:59], a[0:3] cbsz:4 abid:11
	global_load_dwordx4 v[42:45], v[68:69], off
	global_load_dwordx4 v[26:29], v[68:69], off offset:16
	s_waitcnt vmcnt(17)
	v_mfma_f32_4x4x4_16b_f16 a[0:3], v[72:73], v[60:61], a[0:3] cbsz:4 abid:12
	s_nop 1
	v_mfma_f32_4x4x4_16b_f16 a[0:3], v[74:75], v[62:63], a[0:3] cbsz:4 abid:12
	global_load_dwordx4 v[58:61], v[68:69], off offset:2048
	global_load_dwordx4 v[62:65], v[68:69], off offset:2064
	s_waitcnt vmcnt(18)
	v_mfma_f32_4x4x4_16b_f16 a[0:3], v[72:73], v[76:77], a[0:3] cbsz:4 abid:13
	v_mov_b32_e32 v76, 0xff7fffff
	s_nop 0
	v_mfma_f32_4x4x4_16b_f16 a[0:3], v[74:75], v[78:79], a[0:3] cbsz:4 abid:13
	s_waitcnt vmcnt(17)
	s_nop 0
	v_mfma_f32_4x4x4_16b_f16 a[0:3], v[72:73], v[80:81], a[0:3] cbsz:4 abid:14
	s_nop 1
	v_mfma_f32_4x4x4_16b_f16 a[0:3], v[74:75], v[82:83], a[0:3] cbsz:4 abid:14
	s_waitcnt vmcnt(16)
	s_nop 0
	v_mfma_f32_4x4x4_16b_f16 a[0:3], v[72:73], v[84:85], a[0:3] cbsz:4 abid:15
	v_or_b32_e32 v72, 3, v66
	v_cmp_gt_i32_e64 s[10:11], s3, v72
	v_mfma_f32_4x4x4_16b_f16 a[0:3], v[74:75], v[86:87], a[0:3] cbsz:4 abid:15
	v_and_or_b32 v73, v93, 48, v71
	v_lshlrev_b32_e32 v73, 2, v73
	s_nop 2
	v_accvgpr_read_b32 v67, a1
	v_accvgpr_read_b32 v66, a0
	s_waitcnt lgkmcnt(0)
	v_pk_mul_f32 v[66:67], s[0:1], v[66:67] op_sel_hi:[0,1]
	v_accvgpr_read_b32 v69, a3
	v_accvgpr_read_b32 v68, a2
	v_pk_mul_f32 v[68:69], s[0:1], v[68:69] op_sel_hi:[0,1]
	v_mfma_f32_4x4x1_16b_f32 a[0:3], v66, v88, 0
	v_or_b32_e32 v66, 1, v92
	s_nop 0
	v_mfma_f32_4x4x1_16b_f32 a[0:3], v67, v89, a[0:3]
	v_cmp_gt_i32_e64 s[0:1], s3, v66
	v_or_b32_e32 v67, 2, v92
	v_mfma_f32_4x4x1_16b_f32 a[0:3], v68, v90, a[0:3]
	v_cmp_gt_i32_e64 s[8:9], s3, v67
	s_nop 0
	v_mfma_f32_4x4x1_16b_f32 a[0:3], v69, v91, a[0:3]
	s_nop 3
	v_accvgpr_read_b32 v68, a0
	v_max_f32_e32 v77, v68, v68
	v_accvgpr_read_b32 v69, a1
	v_max_f32_e32 v77, 0xff7fffff, v77
	v_max_f32_e32 v78, v69, v69
	v_cndmask_b32_e32 v76, v76, v77, vcc
	v_accvgpr_read_b32 v74, a2
	v_max_f32_e32 v77, v76, v78
	v_max_f32_e32 v79, v74, v74
	v_cndmask_b32_e64 v66, v76, v77, s[0:1]
	v_accvgpr_read_b32 v75, a3
	v_max_f32_e32 v76, v66, v79
	v_max_f32_e32 v80, v75, v75
	v_cndmask_b32_e64 v66, v66, v76, s[8:9]
	v_max_f32_e32 v67, v66, v80
	v_cndmask_b32_e64 v66, v66, v67, s[10:11]
	;;#ASMSTART
	v_nop
 v_nop
 v_max_f32_dpp v66, v66, v66 row_ror:4
	;;#ASMEND
	s_nop 0
	;;#ASMSTART
	v_nop
 v_nop
 v_max_f32_dpp v66, v66, v66 row_ror:8
	;;#ASMEND
	ds_bpermute_b32 v66, v73, v66
	s_waitcnt lgkmcnt(0)
	;;#ASMSTART
	v_nop
 v_nop
 v_max_f32_dpp v66, v66, v66 row_ror:4
	;;#ASMEND
	s_nop 0
	;;#ASMSTART
	v_nop
 v_nop
 v_max_f32_dpp v72, v66, v66 row_ror:8
	;;#ASMEND
	s_nop 0
	v_sub_f32_e32 v66, v68, v72
	v_sub_f32_e32 v67, v69, v72
	;; [unrolled: 1-line block ×3, first 2 shown]
	v_mul_f32_e32 v66, 0x3fb8aa3b, v66
	v_mul_f32_e32 v67, 0x3fb8aa3b, v67
	;; [unrolled: 1-line block ×3, first 2 shown]
	v_exp_f32_e32 v66, v66
	v_sub_f32_e32 v69, v75, v72
	v_exp_f32_e32 v67, v67
	v_exp_f32_e32 v74, v68
	v_mul_f32_e32 v69, 0x3fb8aa3b, v69
	v_exp_f32_e32 v75, v69
	v_cndmask_b32_e32 v68, 0, v66, vcc
	v_cndmask_b32_e64 v69, 0, v67, s[0:1]
	v_cndmask_b32_e64 v66, 0, v74, s[8:9]
	v_add_f32_e32 v74, 0, v68
	v_add_f32_e32 v74, v74, v69
	v_cndmask_b32_e64 v67, 0, v75, s[10:11]
	v_add_f32_e32 v74, v74, v66
	v_add_f32_e32 v74, v74, v67
	;;#ASMSTART
	v_nop
 v_nop
 v_add_f32_dpp v74, v74, v74 row_ror:4
	;;#ASMEND
	v_cmp_gt_u32_e32 vcc, 4, v1
	;;#ASMSTART
	v_nop
 v_nop
 v_add_f32_dpp v74, v74, v74 row_ror:8
	;;#ASMEND
	ds_bpermute_b32 v73, v73, v74
	s_waitcnt lgkmcnt(0)
	;;#ASMSTART
	v_nop
 v_nop
 v_add_f32_dpp v73, v73, v73 row_ror:4
	;;#ASMEND
	s_nop 0
	;;#ASMSTART
	v_nop
 v_nop
 v_add_f32_dpp v73, v73, v73 row_ror:8
	;;#ASMEND
	s_and_saveexec_b64 s[0:1], vcc
	s_cbranch_execz .LBB287_12
; %bb.11:
	v_mul_u32_u24_e32 v74, 20, v70
	v_lshl_add_u32 v74, v71, 2, v74
	v_add_u32_e32 v74, 0x1400, v74
	ds_write2_b32 v74, v72, v73 offset1:20
.LBB287_12:
	s_or_b64 exec, exec, s[0:1]
.LBB287_13:
	s_or_b64 exec, exec, s[26:27]
	v_lshlrev_b32_e32 v73, 2, v71
	v_add_u32_e32 v80, 0x1400, v73
	s_waitcnt lgkmcnt(0)
	s_barrier
	s_load_dword s0, s[24:25], 0x8
	ds_read2_b32 v[74:75], v80 offset1:5
	ds_read2_b32 v[76:77], v80 offset0:10 offset1:15
	s_mov_b32 s8, 0xff7fffff
	s_mul_i32 s1, s2, s5
	ds_read2_b32 v[78:79], v80 offset0:20 offset1:25
	s_waitcnt lgkmcnt(0)
	v_max3_f32 v73, v74, s8, v75
	v_max3_f32 v73, v73, v76, v77
	s_mul_i32 s1, s1, s0
	v_sub_f32_e32 v74, v74, v73
	s_lshl_b32 s0, s1, 2
	s_mov_b32 s1, 0
	v_mul_f32_e32 v74, 0x3fb8aa3b, v74
	v_sub_f32_e32 v75, v75, v73
	s_lshl_b32 s4, s4, 2
	s_lshl_b64 s[2:3], s[0:1], 2
	v_exp_f32_e32 v74, v74
	v_mul_f32_e32 v75, 0x3fb8aa3b, v75
	v_sub_f32_e32 v76, v76, v73
	s_add_u32 s10, s12, s2
	v_exp_f32_e32 v75, v75
	ds_read2_b32 v[80:81], v80 offset0:30 offset1:35
	v_mul_f32_e32 v76, 0x3fb8aa3b, v76
	v_sub_f32_e32 v77, v77, v73
	s_addc_u32 s11, s13, s3
	v_exp_f32_e32 v76, v76
	v_mul_f32_e32 v77, 0x3fb8aa3b, v77
	s_mov_b32 s21, s1
	s_add_u32 s8, s14, s2
	v_exp_f32_e32 v77, v77
	s_addc_u32 s9, s15, s3
	s_lshl_b64 s[2:3], s[20:21], 2
	v_fma_f32 v74, v74, v78, 0
	s_add_u32 s8, s8, s2
	v_fmac_f32_e32 v74, v75, v79
	s_addc_u32 s9, s9, s3
	s_waitcnt lgkmcnt(0)
	v_fmac_f32_e32 v74, v76, v80
	v_or_b32_e32 v71, s4, v71
	v_fmac_f32_e32 v74, v77, v81
	s_add_u32 s2, s10, s2
	v_mul_lo_u32 v76, s5, v71
	v_mov_b32_e32 v77, 0
	s_addc_u32 s3, s11, s3
	v_lshlrev_b64 v[76:77], 2, v[76:77]
	v_lshl_add_u64 v[78:79], s[8:9], 0, v[76:77]
	v_lshl_add_u64 v[76:77], s[2:3], 0, v[76:77]
	v_lshlrev_b32_e32 v70, 3, v70
	global_store_dword v[78:79], v73, off
	global_store_dword v[76:77], v74, off
	s_and_saveexec_b64 s[2:3], s[6:7]
	s_xor_b64 s[2:3], exec, s[2:3]
	s_cbranch_execz .LBB287_15
; %bb.14:
	s_mov_b32 s6, s1
	s_mov_b32 s7, s1
	s_waitcnt vmcnt(17)
	v_mad_u32_u24 v4, v1, 40, v70
	v_mov_b64_e32 v[2:3], s[6:7]
	ds_write2st64_b64 v4, v[2:3], v[2:3] offset1:5
                                        ; implicit-def: $vgpr67
                                        ; implicit-def: $vgpr69
                                        ; implicit-def: $vgpr43
                                        ; implicit-def: $vgpr27
                                        ; implicit-def: $vgpr3
                                        ; implicit-def: $vgpr7
                                        ; implicit-def: $vgpr11
                                        ; implicit-def: $vgpr15
                                        ; implicit-def: $vgpr19
                                        ; implicit-def: $vgpr23
                                        ; implicit-def: $vgpr59
                                        ; implicit-def: $vgpr63
                                        ; implicit-def: $vgpr31
                                        ; implicit-def: $vgpr35
                                        ; implicit-def: $vgpr39
                                        ; implicit-def: $vgpr47
                                        ; implicit-def: $vgpr51
                                        ; implicit-def: $vgpr55
                                        ; implicit-def: $vgpr72
                                        ; implicit-def: $vgpr73
                                        ; implicit-def: $vgpr74
                                        ; implicit-def: $vgpr70
.LBB287_15:
	s_andn2_saveexec_b64 s[2:3], s[2:3]
	s_cbranch_execz .LBB287_17
; %bb.16:
	v_add_f32_e32 v71, 0x358637bd, v74
	v_div_scale_f32 v74, s[6:7], v71, v71, 1.0
	v_rcp_f32_e32 v75, v74
	v_sub_f32_e32 v72, v72, v73
	v_mul_f32_e32 v72, 0x3fb8aa3b, v72
	v_exp_f32_e32 v72, v72
	v_fma_f32 v73, -v74, v75, 1.0
	v_fmac_f32_e32 v75, v73, v75
	v_div_scale_f32 v73, vcc, 1.0, v71, 1.0
	v_mul_f32_e32 v76, v73, v75
	v_fma_f32 v77, -v74, v76, v73
	v_fmac_f32_e32 v76, v77, v75
	v_fma_f32 v73, -v74, v76, v73
	v_div_fmas_f32 v73, v73, v75, v76
	v_div_fixup_f32 v71, v73, v71, 1.0
	v_mul_f32_e32 v72, v72, v71
	v_pk_mul_f32 v[66:67], v[66:67], v[72:73] op_sel_hi:[1,0]
	v_pk_mul_f32 v[68:69], v[68:69], v[72:73] op_sel_hi:[1,0]
	v_cvt_f16_f32_e32 v71, v66
	v_cvt_f16_f32_e32 v68, v68
	;; [unrolled: 1-line block ×4, first 2 shown]
	v_pack_b32_f16 v66, v68, v69
	v_pack_b32_f16 v67, v71, v67
	s_waitcnt vmcnt(5)
	s_nop 0
	v_mfma_f32_4x4x4_16b_f16 a[0:3], v[66:67], v[42:43], 0 cbsz:4
	s_nop 1
	v_mfma_f32_4x4x4_16b_f16 a[0:3], v[66:67], v[44:45], a[0:3] cbsz:4 abid:1
	s_waitcnt vmcnt(3)
	v_mfma_f32_4x4x4_16b_f16 a[4:7], v[66:67], v[58:59], 0 cbsz:4
	v_mfma_f32_4x4x4_16b_f16 a[0:3], v[66:67], v[26:27], a[0:3] cbsz:4 abid:2
	s_nop 0
	v_mfma_f32_4x4x4_16b_f16 a[4:7], v[66:67], v[60:61], a[4:7] cbsz:4 abid:1
	v_mfma_f32_4x4x4_16b_f16 a[0:3], v[66:67], v[28:29], a[0:3] cbsz:4 abid:3
	s_waitcnt vmcnt(2)
	v_mfma_f32_4x4x4_16b_f16 a[4:7], v[66:67], v[62:63], a[4:7] cbsz:4 abid:2
	v_mfma_f32_4x4x4_16b_f16 a[0:3], v[66:67], v[2:3], a[0:3] cbsz:4 abid:4
	s_nop 0
	v_mfma_f32_4x4x4_16b_f16 a[4:7], v[66:67], v[64:65], a[4:7] cbsz:4 abid:3
	v_mfma_f32_4x4x4_16b_f16 a[0:3], v[66:67], v[4:5], a[0:3] cbsz:4 abid:5
	s_nop 0
	;; [unrolled: 3-line block ×3, first 2 shown]
	v_mfma_f32_4x4x4_16b_f16 a[4:7], v[66:67], v[32:33], a[4:7] cbsz:4 abid:5
	v_mfma_f32_4x4x4_16b_f16 a[0:3], v[66:67], v[8:9], a[0:3] cbsz:4 abid:7
	v_mad_u32_u24 v9, v1, 40, v70
	v_mfma_f32_4x4x4_16b_f16 a[4:7], v[66:67], v[34:35], a[4:7] cbsz:4 abid:6
	v_mfma_f32_4x4x4_16b_f16 a[0:3], v[66:67], v[10:11], a[0:3] cbsz:4 abid:8
	s_nop 0
	v_mfma_f32_4x4x4_16b_f16 a[4:7], v[66:67], v[36:37], a[4:7] cbsz:4 abid:7
	v_mfma_f32_4x4x4_16b_f16 a[0:3], v[66:67], v[12:13], a[0:3] cbsz:4 abid:9
	s_nop 0
	v_mfma_f32_4x4x4_16b_f16 a[4:7], v[66:67], v[38:39], a[4:7] cbsz:4 abid:8
	v_mfma_f32_4x4x4_16b_f16 a[0:3], v[66:67], v[14:15], a[0:3] cbsz:4 abid:10
	s_nop 0
	v_mfma_f32_4x4x4_16b_f16 a[4:7], v[66:67], v[40:41], a[4:7] cbsz:4 abid:9
	v_mfma_f32_4x4x4_16b_f16 a[0:3], v[66:67], v[16:17], a[0:3] cbsz:4 abid:11
	s_nop 0
	v_mfma_f32_4x4x4_16b_f16 a[4:7], v[66:67], v[46:47], a[4:7] cbsz:4 abid:10
	v_mfma_f32_4x4x4_16b_f16 a[0:3], v[66:67], v[18:19], a[0:3] cbsz:4 abid:12
	s_nop 0
	v_mfma_f32_4x4x4_16b_f16 a[4:7], v[66:67], v[48:49], a[4:7] cbsz:4 abid:11
	v_mfma_f32_4x4x4_16b_f16 a[0:3], v[66:67], v[20:21], a[0:3] cbsz:4 abid:13
	s_nop 0
	v_mfma_f32_4x4x4_16b_f16 a[4:7], v[66:67], v[50:51], a[4:7] cbsz:4 abid:12
	v_mfma_f32_4x4x4_16b_f16 a[0:3], v[66:67], v[22:23], a[0:3] cbsz:4 abid:14
	s_nop 1
	v_mfma_f32_4x4x4_16b_f16 a[0:3], v[66:67], v[24:25], a[0:3] cbsz:4 abid:15
	s_nop 4
	v_accvgpr_read_b32 v2, a0
	v_accvgpr_read_b32 v3, a1
	;; [unrolled: 1-line block ×4, first 2 shown]
	v_mfma_f32_4x4x4_16b_f16 a[0:3], v[66:67], v[52:53], a[4:7] cbsz:4 abid:13
	v_cvt_f16_f32_e32 v2, v2
	v_cvt_f16_f32_e32 v3, v3
	v_mfma_f32_4x4x4_16b_f16 a[0:3], v[66:67], v[54:55], a[0:3] cbsz:4 abid:14
	v_pack_b32_f16 v2, v2, v3
	s_nop 0
	v_mfma_f32_4x4x4_16b_f16 a[0:3], v[66:67], v[56:57], a[0:3] cbsz:4 abid:15
	v_cvt_f16_f32_e32 v3, v4
	v_cvt_f16_f32_e32 v4, v5
	v_pack_b32_f16 v3, v3, v4
	s_nop 1
	v_accvgpr_read_b32 v5, a0
	v_accvgpr_read_b32 v6, a1
	;; [unrolled: 1-line block ×4, first 2 shown]
	v_cvt_f16_f32_e32 v5, v5
	v_cvt_f16_f32_e32 v6, v6
	;; [unrolled: 1-line block ×4, first 2 shown]
	v_pack_b32_f16 v4, v5, v6
	v_pack_b32_f16 v5, v7, v8
	ds_write2st64_b64 v9, v[2:3], v[4:5] offset1:5
.LBB287_17:
	s_or_b64 exec, exec, s[2:3]
	v_cmp_gt_u32_e32 vcc, 64, v0
	s_waitcnt lgkmcnt(0)
	s_barrier
	s_and_saveexec_b64 s[2:3], vcc
	s_cbranch_execz .LBB287_19
; %bb.18:
	s_waitcnt vmcnt(16)
	v_mul_u32_u24_e32 v6, 40, v1
	ds_read2_b64 v[2:5], v6 offset1:1
	ds_read2_b64 v[6:9], v6 offset0:2 offset1:3
	s_lshl_b32 s0, s0, 7
	s_lshl_b64 s[2:3], s[0:1], 1
	s_add_u32 s2, s22, s2
	s_waitcnt lgkmcnt(1)
	v_pk_add_f16 v2, v2, 0
	v_pk_add_f16 v3, v3, 0
	;; [unrolled: 1-line block ×4, first 2 shown]
	s_waitcnt lgkmcnt(0)
	v_pk_add_f16 v2, v2, v6
	v_pk_add_f16 v6, v3, v7
	s_waitcnt vmcnt(13)
	v_pk_add_f16 v10, v2, v8
	v_mov_b32_e32 v2, 0xa00
	v_mad_u32_u24 v2, v1, 40, v2
	ds_read2_b64 v[2:5], v2 offset1:1
	v_pk_add_f16 v11, v6, v9
	v_mov_b32_e32 v6, 0xa10
	v_mad_u32_u24 v1, v1, 40, v6
	ds_read2_b64 v[6:9], v1 offset1:1
	s_addc_u32 s3, s23, s3
	s_lshl_b32 s0, s20, 7
	s_lshl_b64 s[0:1], s[0:1], 1
	s_waitcnt lgkmcnt(1)
	v_pk_add_f16 v1, v2, 0
	v_pk_add_f16 v2, v3, 0
	s_add_u32 s0, s2, s0
	v_pk_add_f16 v2, v2, v5
	s_addc_u32 s1, s3, s1
	s_lshl_b32 s2, s5, 7
	s_waitcnt lgkmcnt(0)
	v_pk_add_f16 v2, v2, v7
	s_mul_i32 s3, s2, s4
	v_pk_add_f16 v13, v2, v9
	v_or_b32_e32 v2, s3, v0
	v_mov_b32_e32 v3, 0
	s_add_i32 s3, s3, s2
	v_pk_add_f16 v1, v1, v4
	v_lshl_add_u64 v[4:5], v[2:3], 1, s[0:1]
	v_or_b32_e32 v2, s3, v0
	s_add_i32 s3, s3, s2
	v_pk_add_f16 v1, v1, v6
	v_lshl_add_u64 v[6:7], v[2:3], 1, s[0:1]
	v_or_b32_e32 v2, s3, v0
	;; [unrolled: 4-line block ×3, first 2 shown]
	v_lshl_add_u64 v[0:1], v[2:3], 1, s[0:1]
	global_store_short v[4:5], v10, off
	global_store_short_d16_hi v[6:7], v10, off
	global_store_short v[8:9], v11, off
	global_store_short_d16_hi v[0:1], v11, off
	global_store_short v[4:5], v12, off offset:128
	global_store_short_d16_hi v[6:7], v12, off offset:128
	global_store_short v[8:9], v13, off offset:128
	global_store_short_d16_hi v[0:1], v13, off offset:128
.LBB287_19:
	s_endpgm
.LBB287_20:
	s_mov_b64 s[12:13], 0
                                        ; implicit-def: $sgpr30_sgpr31
	s_branch .LBB287_2
	.section	.rodata,"a",@progbits
	.p2align	6, 0x0
	.amdhsa_kernel _Z38paged_attention_ll4mi_QKV_mfma4_kernelIDF16_DF16_LN4vllm18Fp8KVCacheDataTypeE0EDF16_Li16ELi128ELi256ELb0ELi4EEvPKT_PKT0_S7_ifPKiS9_S9_iPKfiiiPfSC_PS2_PT2_iSB_SB_
		.amdhsa_group_segment_fixed_size 5280
		.amdhsa_private_segment_fixed_size 0
		.amdhsa_kernarg_size 400
		.amdhsa_user_sgpr_count 2
		.amdhsa_user_sgpr_dispatch_ptr 0
		.amdhsa_user_sgpr_queue_ptr 0
		.amdhsa_user_sgpr_kernarg_segment_ptr 1
		.amdhsa_user_sgpr_dispatch_id 0
		.amdhsa_user_sgpr_kernarg_preload_length 0
		.amdhsa_user_sgpr_kernarg_preload_offset 0
		.amdhsa_user_sgpr_private_segment_size 0
		.amdhsa_uses_dynamic_stack 0
		.amdhsa_enable_private_segment 0
		.amdhsa_system_sgpr_workgroup_id_x 1
		.amdhsa_system_sgpr_workgroup_id_y 1
		.amdhsa_system_sgpr_workgroup_id_z 1
		.amdhsa_system_sgpr_workgroup_info 0
		.amdhsa_system_vgpr_workitem_id 0
		.amdhsa_next_free_vgpr 104
		.amdhsa_next_free_sgpr 38
		.amdhsa_accum_offset 96
		.amdhsa_reserve_vcc 1
		.amdhsa_float_round_mode_32 0
		.amdhsa_float_round_mode_16_64 0
		.amdhsa_float_denorm_mode_32 3
		.amdhsa_float_denorm_mode_16_64 3
		.amdhsa_dx10_clamp 1
		.amdhsa_ieee_mode 1
		.amdhsa_fp16_overflow 0
		.amdhsa_tg_split 0
		.amdhsa_exception_fp_ieee_invalid_op 0
		.amdhsa_exception_fp_denorm_src 0
		.amdhsa_exception_fp_ieee_div_zero 0
		.amdhsa_exception_fp_ieee_overflow 0
		.amdhsa_exception_fp_ieee_underflow 0
		.amdhsa_exception_fp_ieee_inexact 0
		.amdhsa_exception_int_div_zero 0
	.end_amdhsa_kernel
	.section	.text._Z38paged_attention_ll4mi_QKV_mfma4_kernelIDF16_DF16_LN4vllm18Fp8KVCacheDataTypeE0EDF16_Li16ELi128ELi256ELb0ELi4EEvPKT_PKT0_S7_ifPKiS9_S9_iPKfiiiPfSC_PS2_PT2_iSB_SB_,"axG",@progbits,_Z38paged_attention_ll4mi_QKV_mfma4_kernelIDF16_DF16_LN4vllm18Fp8KVCacheDataTypeE0EDF16_Li16ELi128ELi256ELb0ELi4EEvPKT_PKT0_S7_ifPKiS9_S9_iPKfiiiPfSC_PS2_PT2_iSB_SB_,comdat
.Lfunc_end287:
	.size	_Z38paged_attention_ll4mi_QKV_mfma4_kernelIDF16_DF16_LN4vllm18Fp8KVCacheDataTypeE0EDF16_Li16ELi128ELi256ELb0ELi4EEvPKT_PKT0_S7_ifPKiS9_S9_iPKfiiiPfSC_PS2_PT2_iSB_SB_, .Lfunc_end287-_Z38paged_attention_ll4mi_QKV_mfma4_kernelIDF16_DF16_LN4vllm18Fp8KVCacheDataTypeE0EDF16_Li16ELi128ELi256ELb0ELi4EEvPKT_PKT0_S7_ifPKiS9_S9_iPKfiiiPfSC_PS2_PT2_iSB_SB_
                                        ; -- End function
	.section	.AMDGPU.csdata,"",@progbits
; Kernel info:
; codeLenInByte = 3856
; NumSgprs: 44
; NumVgprs: 95
; NumAgprs: 8
; TotalNumVgprs: 104
; ScratchSize: 0
; MemoryBound: 0
; FloatMode: 240
; IeeeMode: 1
; LDSByteSize: 5280 bytes/workgroup (compile time only)
; SGPRBlocks: 5
; VGPRBlocks: 12
; NumSGPRsForWavesPerEU: 44
; NumVGPRsForWavesPerEU: 104
; AccumOffset: 96
; Occupancy: 4
; WaveLimiterHint : 1
; COMPUTE_PGM_RSRC2:SCRATCH_EN: 0
; COMPUTE_PGM_RSRC2:USER_SGPR: 2
; COMPUTE_PGM_RSRC2:TRAP_HANDLER: 0
; COMPUTE_PGM_RSRC2:TGID_X_EN: 1
; COMPUTE_PGM_RSRC2:TGID_Y_EN: 1
; COMPUTE_PGM_RSRC2:TGID_Z_EN: 1
; COMPUTE_PGM_RSRC2:TIDIG_COMP_CNT: 0
; COMPUTE_PGM_RSRC3_GFX90A:ACCUM_OFFSET: 23
; COMPUTE_PGM_RSRC3_GFX90A:TG_SPLIT: 0
	.section	.text._Z39paged_attention_ll4mi_QKV_mfma16_kernelIDF16_DF16_LN4vllm18Fp8KVCacheDataTypeE0EDF16_Li16ELi128ELi256ELb0ELi5EEvPKT_PKT0_S7_ifPKiS9_S9_iPKfiiiPfSC_PS2_PT2_iSB_SB_,"axG",@progbits,_Z39paged_attention_ll4mi_QKV_mfma16_kernelIDF16_DF16_LN4vllm18Fp8KVCacheDataTypeE0EDF16_Li16ELi128ELi256ELb0ELi5EEvPKT_PKT0_S7_ifPKiS9_S9_iPKfiiiPfSC_PS2_PT2_iSB_SB_,comdat
	.protected	_Z39paged_attention_ll4mi_QKV_mfma16_kernelIDF16_DF16_LN4vllm18Fp8KVCacheDataTypeE0EDF16_Li16ELi128ELi256ELb0ELi5EEvPKT_PKT0_S7_ifPKiS9_S9_iPKfiiiPfSC_PS2_PT2_iSB_SB_ ; -- Begin function _Z39paged_attention_ll4mi_QKV_mfma16_kernelIDF16_DF16_LN4vllm18Fp8KVCacheDataTypeE0EDF16_Li16ELi128ELi256ELb0ELi5EEvPKT_PKT0_S7_ifPKiS9_S9_iPKfiiiPfSC_PS2_PT2_iSB_SB_
	.globl	_Z39paged_attention_ll4mi_QKV_mfma16_kernelIDF16_DF16_LN4vllm18Fp8KVCacheDataTypeE0EDF16_Li16ELi128ELi256ELb0ELi5EEvPKT_PKT0_S7_ifPKiS9_S9_iPKfiiiPfSC_PS2_PT2_iSB_SB_
	.p2align	8
	.type	_Z39paged_attention_ll4mi_QKV_mfma16_kernelIDF16_DF16_LN4vllm18Fp8KVCacheDataTypeE0EDF16_Li16ELi128ELi256ELb0ELi5EEvPKT_PKT0_S7_ifPKiS9_S9_iPKfiiiPfSC_PS2_PT2_iSB_SB_,@function
_Z39paged_attention_ll4mi_QKV_mfma16_kernelIDF16_DF16_LN4vllm18Fp8KVCacheDataTypeE0EDF16_Li16ELi128ELi256ELb0ELi5EEvPKT_PKT0_S7_ifPKiS9_S9_iPKfiiiPfSC_PS2_PT2_iSB_SB_: ; @_Z39paged_attention_ll4mi_QKV_mfma16_kernelIDF16_DF16_LN4vllm18Fp8KVCacheDataTypeE0EDF16_Li16ELi128ELi256ELb0ELi5EEvPKT_PKT0_S7_ifPKiS9_S9_iPKfiiiPfSC_PS2_PT2_iSB_SB_
; %bb.0:
	s_load_dwordx2 s[8:9], s[0:1], 0x30
	s_mov_b32 s26, s3
	s_mov_b64 s[6:7], 0
	s_waitcnt lgkmcnt(0)
	s_cmp_lg_u64 s[8:9], 0
	s_cselect_b64 s[10:11], -1, 0
	s_and_b64 vcc, exec, s[10:11]
	s_cbranch_vccz .LBB288_7
; %bb.1:
	s_add_i32 s12, s2, 1
	s_mov_b32 s13, 0
	s_lshl_b64 s[14:15], s[12:13], 2
	s_add_u32 s14, s8, s14
	s_mov_b32 s3, s13
	s_addc_u32 s15, s9, s15
	s_lshl_b64 s[12:13], s[2:3], 2
	s_add_u32 s12, s8, s12
	s_addc_u32 s13, s9, s13
	s_load_dword s5, s[14:15], 0x0
	s_load_dword s16, s[12:13], 0x0
	s_waitcnt lgkmcnt(0)
	s_sub_i32 s5, s5, s16
	s_cmp_eq_u32 s5, 1
	s_cselect_b64 s[12:13], -1, 0
	s_andn2_b64 vcc, exec, s[6:7]
	s_cbranch_vccnz .LBB288_3
.LBB288_2:
	s_mov_b32 s3, 0
	s_mov_b64 s[12:13], -1
.LBB288_3:
	s_andn2_b64 vcc, exec, s[12:13]
	s_cbranch_vccnz .LBB288_18
; %bb.4:
	s_load_dwordx2 s[6:7], s[0:1], 0x28
	s_lshl_b64 s[16:17], s[2:3], 2
	s_waitcnt lgkmcnt(0)
	s_add_u32 s6, s6, s16
	s_addc_u32 s7, s7, s17
	s_load_dword s33, s[6:7], 0x0
	s_lshl_b32 s18, s26, 8
	s_waitcnt lgkmcnt(0)
	s_cmp_ge_i32 s18, s33
	s_cbranch_scc1 .LBB288_18
; %bb.5:
	s_load_dwordx2 s[6:7], s[0:1], 0x20
	s_load_dword s5, s[0:1], 0x38
	s_add_i32 s12, s33, 15
	s_ashr_i32 s13, s12, 31
	v_and_b32_e32 v1, 0xcf, v0
	s_lshr_b32 s13, s13, 28
	v_add_u32_e32 v1, s18, v1
	s_add_i32 s12, s12, s13
	v_ashrrev_i32_e32 v2, 31, v1
	s_ashr_i32 s19, s12, 4
	v_lshrrev_b32_e32 v4, 28, v2
	s_add_i32 s19, s19, -1
	s_waitcnt lgkmcnt(0)
	s_mul_i32 s12, s2, s5
	s_mov_b32 s13, 0
	v_add_u32_e32 v2, v1, v4
	s_lshl_b64 s[12:13], s[12:13], 2
	v_ashrrev_i32_e32 v2, 4, v2
	v_mov_b32_e32 v5, s19
	v_cmp_gt_i32_e32 vcc, s33, v1
	s_add_u32 s6, s6, s12
	s_addc_u32 s7, s7, s13
	v_cndmask_b32_e32 v2, v5, v2, vcc
	v_ashrrev_i32_e32 v3, 31, v2
	v_lshl_add_u64 v[6:7], v[2:3], 2, s[6:7]
	v_or_b32_e32 v2, 16, v1
	v_add_u32_e32 v3, v2, v4
	v_ashrrev_i32_e32 v3, 4, v3
	v_cmp_gt_i32_e32 vcc, s33, v2
	s_load_dwordx4 s[12:15], s[0:1], 0x8
	s_nop 0
	v_cndmask_b32_e32 v2, v5, v3, vcc
	v_ashrrev_i32_e32 v3, 31, v2
	v_lshl_add_u64 v[8:9], v[2:3], 2, s[6:7]
	v_or_b32_e32 v2, 32, v1
	v_add_u32_e32 v3, v2, v4
	v_ashrrev_i32_e32 v3, 4, v3
	v_cmp_gt_i32_e32 vcc, s33, v2
	v_or_b32_e32 v1, 48, v1
	s_nop 0
	v_cndmask_b32_e32 v2, v5, v3, vcc
	v_ashrrev_i32_e32 v3, 31, v2
	v_lshl_add_u64 v[10:11], v[2:3], 2, s[6:7]
	v_add_u32_e32 v2, v1, v4
	v_ashrrev_i32_e32 v2, 4, v2
	v_cmp_gt_i32_e32 vcc, s33, v1
	s_nop 1
	v_cndmask_b32_e32 v2, v5, v2, vcc
	v_ashrrev_i32_e32 v3, 31, v2
	v_lshl_add_u64 v[12:13], v[2:3], 2, s[6:7]
	global_load_dword v4, v[6:7], off
	global_load_dword v3, v[8:9], off
	;; [unrolled: 1-line block ×4, first 2 shown]
	s_andn2_b64 vcc, exec, s[10:11]
	s_cbranch_vccnz .LBB288_8
; %bb.6:
	s_add_u32 s8, s8, s16
	s_addc_u32 s9, s9, s17
	s_load_dword s5, s[8:9], 0x0
	s_branch .LBB288_9
.LBB288_7:
	s_mov_b64 s[12:13], 0
	s_branch .LBB288_2
.LBB288_8:
	s_mov_b32 s5, s2
.LBB288_9:
	s_load_dwordx4 s[8:11], s[0:1], 0x48
	v_lshrrev_b32_e32 v77, 6, v0
	v_bfe_u32 v86, v0, 4, 2
	v_and_b32_e32 v76, 15, v0
	v_lshl_or_b32 v1, v77, 2, v86
	v_lshlrev_b32_e32 v5, 3, v76
	v_and_b32_e32 v87, 63, v0
	s_mul_i32 s40, s4, 5
	v_cmp_gt_u32_e32 vcc, 5, v1
	v_lshlrev_b32_e32 v74, 1, v5
	s_and_saveexec_b64 s[16:17], vcc
	s_cbranch_execz .LBB288_11
; %bb.10:
	s_load_dwordx2 s[20:21], s[0:1], 0x0
	s_waitcnt lgkmcnt(0)
	s_ashr_i32 s11, s8, 31
	s_mul_hi_u32 s22, s5, s8
	s_mul_i32 s11, s5, s11
	s_add_i32 s23, s22, s11
	s_mul_i32 s22, s5, s8
	s_lshl_b64 s[22:23], s[22:23], 1
	s_add_u32 s20, s20, s22
	v_add_lshl_u32 v6, v1, s40, 7
	s_addc_u32 s21, s21, s23
	v_ashrrev_i32_e32 v7, 31, v6
	v_lshl_add_u64 v[6:7], v[6:7], 1, s[20:21]
	v_mov_b32_e32 v75, 0
	v_lshl_add_u64 v[6:7], v[6:7], 0, v[74:75]
	global_load_dwordx4 v[6:9], v[6:7], off
	v_and_b32_e32 v5, 3, v0
	v_lshlrev_b32_e32 v10, 9, v76
	v_lshlrev_b32_e32 v1, 5, v1
	;; [unrolled: 1-line block ×3, first 2 shown]
	v_and_b32_e32 v10, 0x1800, v10
	v_or3_b32 v1, v10, v5, v1
	s_waitcnt vmcnt(0)
	ds_write_b128 v1, v[6:9]
.LBB288_11:
	s_or_b64 exec, exec, s[16:17]
	s_waitcnt lgkmcnt(0)
	s_mul_i32 s4, s4, s10
	s_mov_b32 s5, 0
	s_lshl_b64 s[4:5], s[4:5], 1
	s_add_u32 s10, s12, s4
	v_lshlrev_b32_e32 v1, 4, v0
	s_addc_u32 s11, s13, s5
	v_and_b32_e32 v34, 0xf0, v1
	v_mov_b32_e32 v35, 0
	v_lshl_add_u64 v[30:31], s[10:11], 0, v[34:35]
	s_waitcnt vmcnt(3)
	v_mad_i64_i32 v[4:5], s[10:11], v4, s9, 0
	v_lshl_add_u64 v[4:5], v[4:5], 1, v[30:31]
	v_and_b32_e32 v34, 0x300, v1
	v_lshl_add_u64 v[32:33], v[4:5], 0, v[34:35]
	s_load_dword s27, s[0:1], 0x98
	s_load_dword s8, s[0:1], 0x1c
	s_waitcnt lgkmcnt(0)
	s_barrier
	global_load_dwordx4 v[6:9], v[32:33], off
	global_load_dwordx4 v[18:21], v[32:33], off offset:1024
	s_waitcnt vmcnt(4)
	v_mad_i64_i32 v[4:5], s[10:11], v3, s9, 0
	s_waitcnt vmcnt(3)
	v_mad_i64_i32 v[2:3], s[10:11], v2, s9, 0
	v_lshl_add_u64 v[4:5], v[4:5], 1, v[30:31]
	v_lshl_add_u64 v[2:3], v[2:3], 1, v[30:31]
	;; [unrolled: 1-line block ×4, first 2 shown]
	global_load_dwordx4 v[14:17], v[36:37], off
	global_load_dwordx4 v[22:25], v[36:37], off offset:1024
	global_load_dwordx4 v[26:29], v[38:39], off
	global_load_dwordx4 v[46:49], v[38:39], off offset:1024
	v_mul_lo_u16_e32 v2, 52, v76
	v_mov_b32_e32 v3, 5
	v_mul_lo_u16_sdwa v2, v2, v3 dst_sel:DWORD dst_unused:UNUSED_PAD src0_sel:BYTE_1 src1_sel:DWORD
	v_sub_u16_e32 v2, v76, v2
	v_lshlrev_b32_sdwa v2, v3, v2 dst_sel:DWORD dst_unused:UNUSED_PAD src0_sel:DWORD src1_sel:BYTE_0
	v_lshl_add_u32 v41, v86, 9, v2
	ds_read_b128 v[10:13], v41
	ds_read_b128 v[2:5], v41 offset:2048
	global_load_dwordx4 v[54:57], v[32:33], off offset:2048
	global_load_dwordx4 v[62:65], v[36:37], off offset:2048
	v_mov_b32_e32 v70, s19
	s_add_u32 s4, s14, s4
	s_addc_u32 s5, s15, s5
	s_mov_b32 s41, 0xff7fffff
	s_waitcnt vmcnt(7) lgkmcnt(1)
	v_mfma_f32_16x16x16_f16 v[42:45], v[6:7], v[10:11], 0
	v_mfma_f32_16x16x16_f16 v[6:9], v[8:9], v[12:13], v[42:45]
	s_nop 5
	global_load_dwordx4 v[42:45], v[38:39], off offset:2048
	s_waitcnt vmcnt(6)
	v_mfma_f32_16x16x16_f16 v[50:53], v[14:15], v[10:11], 0
	s_waitcnt vmcnt(4)
	v_mfma_f32_16x16x16_f16 v[58:61], v[26:27], v[10:11], 0
	v_mfma_f32_16x16x16_f16 v[14:17], v[16:17], v[12:13], v[50:53]
	;; [unrolled: 1-line block ×3, first 2 shown]
	s_nop 2
	global_load_dwordx4 v[50:53], v[32:33], off offset:3072
	v_mad_i64_i32 v[32:33], s[10:11], v40, s9, 0
	s_waitcnt lgkmcnt(0)
	v_mfma_f32_16x16x16_f16 v[6:9], v[18:19], v[2:3], v[6:9]
	v_and_or_b32 v40, v0, 48, s18
	v_ashrrev_i32_e32 v58, 4, v40
	v_cmp_gt_i32_e32 vcc, s33, v40
	v_mfma_f32_16x16x16_f16 v[14:17], v[22:23], v[2:3], v[14:17]
	v_or_b32_e32 v66, 64, v40
	v_cndmask_b32_e32 v22, v70, v58, vcc
	v_ashrrev_i32_e32 v23, 31, v22
	s_waitcnt vmcnt(4)
	v_mfma_f32_16x16x16_f16 v[26:29], v[46:47], v[2:3], v[26:29]
	v_or_b32_e32 v71, 0x80, v40
	v_or_b32_e32 v72, 0xc0, v40
	v_ashrrev_i32_e32 v40, 4, v66
	v_mfma_f32_16x16x16_f16 v[6:9], v[20:21], v[4:5], v[6:9]
	global_load_dwordx4 v[18:21], v[38:39], off offset:3072
	v_cmp_gt_i32_e32 vcc, s33, v66
	v_lshl_add_u64 v[22:23], v[22:23], 2, s[6:7]
	global_load_dwordx4 v[58:61], v[36:37], off offset:3072
	v_cndmask_b32_e32 v36, v70, v40, vcc
	v_mfma_f32_16x16x16_f16 v[14:17], v[24:25], v[4:5], v[14:17]
	global_load_dword v78, v[22:23], off
	ds_read_b128 v[66:69], v41 offset:4096
	v_ashrrev_i32_e32 v37, 31, v36
	v_mfma_f32_16x16x16_f16 v[22:25], v[48:49], v[4:5], v[26:29]
	v_ashrrev_i32_e32 v73, 4, v71
	v_cmp_gt_i32_e32 vcc, s33, v71
	v_ashrrev_i32_e32 v75, 4, v72
	v_lshl_add_u64 v[26:27], v[32:33], 1, v[30:31]
	v_lshl_add_u64 v[26:27], v[26:27], 0, v[34:35]
	;; [unrolled: 1-line block ×3, first 2 shown]
	global_load_dwordx4 v[46:49], v[26:27], off
	global_load_dword v36, v[28:29], off
	s_waitcnt vmcnt(8) lgkmcnt(0)
	v_mfma_f32_16x16x16_f16 v[6:9], v[54:55], v[66:67], v[6:9]
	v_cndmask_b32_e32 v28, v70, v73, vcc
	v_ashrrev_i32_e32 v29, 31, v28
	v_lshl_add_u64 v[28:29], v[28:29], 2, s[6:7]
	v_mfma_f32_16x16x16_f16 v[6:9], v[56:57], v[68:69], v[6:9]
	global_load_dwordx4 v[54:57], v[26:27], off offset:1024
	v_cmp_gt_i32_e32 vcc, s33, v72
	global_load_dword v82, v[28:29], off
	ds_read_b128 v[38:41], v41 offset:6144
	v_cndmask_b32_e32 v28, v70, v75, vcc
	v_ashrrev_i32_e32 v29, 31, v28
	v_lshl_add_u64 v[28:29], v[28:29], 2, s[6:7]
	global_load_dword v83, v[28:29], off
	s_waitcnt vmcnt(10)
	v_mfma_f32_16x16x16_f16 v[14:17], v[62:63], v[66:67], v[14:17]
	v_lshl_or_b32 v75, v77, 4, v76
	v_lshlrev_b32_e32 v34, 5, v75
	v_lshl_add_u64 v[62:63], s[4:5], 0, v[34:35]
	v_mfma_f32_16x16x16_f16 v[14:17], v[64:65], v[68:69], v[14:17]
	v_or_b32_e32 v34, 0x800, v34
	global_load_dwordx4 v[70:73], v[26:27], off offset:3072
	s_waitcnt vmcnt(10)
	v_mfma_f32_16x16x16_f16 v[22:25], v[42:43], v[66:67], v[22:25]
	v_mfma_f32_16x16x16_f16 v[22:25], v[44:45], v[68:69], v[22:25]
	global_load_dwordx4 v[42:45], v[26:27], off offset:2048
	s_waitcnt vmcnt(10) lgkmcnt(0)
	v_mfma_f32_16x16x16_f16 v[6:9], v[50:51], v[38:39], v[6:9]
	s_waitcnt vmcnt(9)
	v_mfma_f32_16x16x16_f16 v[22:25], v[18:19], v[38:39], v[22:25]
	s_waitcnt vmcnt(7)
	v_mad_i64_i32 v[18:19], s[6:7], v78, s9, 0
	v_lshlrev_b64 v[64:65], 1, v[18:19]
	v_mfma_f32_16x16x16_f16 v[78:81], v[52:53], v[40:41], v[6:9]
	s_nop 2
	v_lshl_add_u64 v[6:7], v[62:63], 0, v[64:65]
	global_load_dwordx4 v[30:33], v[6:7], off
	global_load_dwordx4 v[26:29], v[6:7], off offset:16
	v_mfma_f32_16x16x16_f16 v[92:95], v[20:21], v[40:41], v[22:25]
	s_waitcnt vmcnt(7)
	v_mad_i64_i32 v[6:7], s[6:7], v36, s9, 0
	v_lshlrev_b64 v[36:37], 1, v[6:7]
	v_lshl_add_u64 v[6:7], v[62:63], 0, v[36:37]
	global_load_dwordx4 v[22:25], v[6:7], off
	global_load_dwordx4 v[18:21], v[6:7], off offset:16
	v_mfma_f32_16x16x16_f16 v[6:9], v[46:47], v[10:11], 0
	s_waitcnt vmcnt(7)
	v_mad_i64_i32 v[10:11], s[6:7], v82, s9, 0
	v_mfma_f32_16x16x16_f16 v[6:9], v[48:49], v[12:13], v[6:9]
	v_lshlrev_b64 v[50:51], 1, v[10:11]
	v_lshl_add_u64 v[10:11], v[62:63], 0, v[50:51]
	v_mfma_f32_16x16x16_f16 v[6:9], v[54:55], v[2:3], v[6:9]
	s_waitcnt vmcnt(6)
	v_mad_i64_i32 v[2:3], s[6:7], v83, s9, 0
	v_pk_mul_f32 v[82:83], s[8:9], v[80:81] op_sel_hi:[0,1]
	v_mfma_f32_16x16x16_f16 v[46:49], v[56:57], v[4:5], v[6:9]
	v_pk_mul_f32 v[80:81], s[8:9], v[92:93] op_sel_hi:[0,1]
	v_mfma_f32_16x16x16_f16 v[14:17], v[58:59], v[38:39], v[14:17]
	v_lshlrev_b64 v[58:59], 1, v[2:3]
	v_lshl_add_u64 v[2:3], v[62:63], 0, v[58:59]
	v_lshl_add_u64 v[62:63], s[4:5], 0, v[34:35]
	v_mfma_f32_16x16x16_f16 v[88:91], v[60:61], v[40:41], v[14:17]
	v_pk_mul_f32 v[60:61], s[8:9], v[78:79] op_sel_hi:[0,1]
	v_pk_mul_f32 v[78:79], s[8:9], v[94:95] op_sel_hi:[0,1]
	v_lshl_add_u64 v[34:35], v[62:63], 0, v[64:65]
	s_waitcnt vmcnt(4)
	v_mfma_f32_16x16x16_f16 v[46:49], v[42:43], v[66:67], v[46:49]
	s_nop 1
	v_pk_mul_f32 v[84:85], s[8:9], v[90:91] op_sel_hi:[0,1]
	global_load_dwordx4 v[14:17], v[10:11], off
	s_nop 0
	global_load_dwordx4 v[10:13], v[10:11], off offset:16
	s_nop 0
	global_load_dwordx4 v[6:9], v[2:3], off
	s_nop 0
	global_load_dwordx4 v[2:5], v[2:3], off offset:16
	v_mfma_f32_16x16x16_f16 v[42:45], v[44:45], v[68:69], v[46:49]
	v_lshl_add_u64 v[50:51], v[62:63], 0, v[50:51]
	v_lshl_add_u64 v[58:59], v[62:63], 0, v[58:59]
	v_mfma_f32_16x16x16_f16 v[42:45], v[70:71], v[38:39], v[42:45]
	v_pk_mul_f32 v[70:71], s[8:9], v[88:89] op_sel_hi:[0,1]
	v_mfma_f32_16x16x16_f16 v[38:41], v[72:73], v[40:41], v[42:45]
	s_nop 6
	v_pk_mul_f32 v[72:73], s[8:9], v[38:39] op_sel_hi:[0,1]
	v_and_b32_e32 v38, 0xc0, v0
	v_add_u32_e32 v38, s18, v38
	v_lshl_or_b32 v38, v86, 2, v38
	v_pk_mul_f32 v[66:67], s[8:9], v[40:41] op_sel_hi:[0,1]
	v_or_b32_e32 v41, 1, v38
	v_mov_b32_e32 v39, 0xff7fffff
	v_cmp_gt_i32_e64 s[28:29], s33, v38
	v_cmp_gt_i32_e64 s[30:31], s33, v41
	v_or_b32_e32 v42, 3, v38
	v_cndmask_b32_e64 v40, v39, v60, s[28:29]
	v_cndmask_b32_e64 v41, v39, v61, s[30:31]
	v_max3_f32 v40, v40, s41, v41
	v_or_b32_e32 v41, 2, v38
	v_cmp_gt_i32_e64 s[34:35], s33, v41
	v_cmp_gt_i32_e64 s[36:37], s33, v42
	s_nop 0
	v_cndmask_b32_e64 v41, v39, v82, s[34:35]
	v_cndmask_b32_e64 v42, v39, v83, s[36:37]
	v_max3_f32 v40, v40, v41, v42
	v_or_b32_e32 v41, 16, v38
	v_or_b32_e32 v42, 17, v38
	v_cmp_gt_i32_e64 s[22:23], s33, v41
	v_cmp_gt_i32_e64 s[24:25], s33, v42
	s_nop 0
	v_cndmask_b32_e64 v41, v39, v70, s[22:23]
	v_cndmask_b32_e64 v42, v39, v71, s[24:25]
	v_max3_f32 v40, v40, v41, v42
	v_or_b32_e32 v41, 18, v38
	;; [unrolled: 8-line block ×6, first 2 shown]
	v_or_b32_e32 v38, 51, v38
	v_cmp_gt_i32_e32 vcc, s33, v41
	v_cmp_gt_i32_e64 s[4:5], s33, v38
	s_nop 0
	v_cndmask_b32_e32 v41, v39, v66, vcc
	v_cndmask_b32_e64 v38, v39, v67, s[4:5]
	v_max3_f32 v52, v40, v41, v38
	v_mbcnt_lo_u32_b32 v38, -1, 0
	v_mbcnt_hi_u32_b32 v53, -1, v38
	v_and_b32_e32 v38, 64, v53
	v_add_u32_e32 v54, 64, v38
	v_xor_b32_e32 v38, 32, v53
	v_cmp_lt_i32_e64 s[38:39], v38, v54
	s_nop 1
	v_cndmask_b32_e64 v38, v53, v38, s[38:39]
	v_lshlrev_b32_e32 v89, 2, v38
	ds_bpermute_b32 v55, v89, v52
	global_load_dwordx4 v[46:49], v[34:35], off
	global_load_dwordx4 v[38:41], v[34:35], off offset:16
	v_lshl_add_u64 v[34:35], v[62:63], 0, v[36:37]
	global_load_dwordx4 v[42:45], v[34:35], off
	s_nop 0
	global_load_dwordx4 v[34:37], v[34:35], off offset:16
	s_waitcnt lgkmcnt(0)
	v_max_f32_e32 v55, v55, v55
	v_max_f32_e32 v64, v52, v55
	v_xor_b32_e32 v52, 16, v53
	v_cmp_lt_i32_e64 s[38:39], v52, v54
	s_nop 1
	v_cndmask_b32_e64 v52, v53, v52, s[38:39]
	v_lshlrev_b32_e32 v90, 2, v52
	ds_bpermute_b32 v65, v90, v64
	global_load_dwordx4 v[54:57], v[50:51], off
	s_nop 0
	global_load_dwordx4 v[50:53], v[50:51], off offset:16
	s_waitcnt lgkmcnt(0)
	v_max_f32_e32 v62, v65, v65
	v_max_f32_e32 v88, v64, v62
	v_sub_f32_e32 v60, v60, v88
	v_mul_f32_e32 v60, 0x3fb8aa3b, v60
	v_exp_f32_e32 v68, v60
	v_sub_f32_e32 v60, v61, v88
	v_mul_f32_e32 v60, 0x3fb8aa3b, v60
	v_exp_f32_e32 v69, v60
	global_load_dwordx4 v[62:65], v[58:59], off
	s_nop 0
	global_load_dwordx4 v[58:61], v[58:59], off offset:16
	v_sub_f32_e32 v82, v82, v88
	v_mul_f32_e32 v82, 0x3fb8aa3b, v82
	v_sub_f32_e32 v83, v83, v88
	v_exp_f32_e32 v82, v82
	v_mul_f32_e32 v83, 0x3fb8aa3b, v83
	v_sub_f32_e32 v70, v70, v88
	v_exp_f32_e32 v83, v83
	v_mul_f32_e32 v70, 0x3fb8aa3b, v70
	v_sub_f32_e32 v71, v71, v88
	v_cndmask_b32_e64 v68, 0, v68, s[28:29]
	v_exp_f32_e32 v70, v70
	v_mul_f32_e32 v71, 0x3fb8aa3b, v71
	v_sub_f32_e32 v84, v84, v88
	v_add_f32_e32 v91, 0, v68
	v_cndmask_b32_e64 v69, 0, v69, s[30:31]
	v_exp_f32_e32 v71, v71
	v_mul_f32_e32 v84, 0x3fb8aa3b, v84
	v_sub_f32_e32 v85, v85, v88
	v_add_f32_e32 v91, v91, v69
	;; [unrolled: 5-line block ×10, first 2 shown]
	v_cndmask_b32_e64 v78, 0, v78, s[10:11]
	v_exp_f32_e32 v66, v66
	v_mul_f32_e32 v67, 0x3fb8aa3b, v67
	v_add_f32_e32 v91, v91, v78
	v_cndmask_b32_e64 v79, 0, v79, s[12:13]
	v_exp_f32_e32 v67, v67
	v_add_f32_e32 v91, v91, v79
	v_cndmask_b32_e64 v72, 0, v72, s[6:7]
	v_add_f32_e32 v91, v91, v72
	v_cndmask_b32_e64 v73, 0, v73, s[8:9]
	v_add_f32_e32 v91, v91, v73
	v_cndmask_b32_e32 v66, 0, v66, vcc
	v_add_f32_e32 v91, v91, v66
	v_cndmask_b32_e64 v67, 0, v67, s[4:5]
	v_add_f32_e32 v91, v91, v67
	ds_bpermute_b32 v89, v89, v91
	v_cmp_gt_u32_e64 s[4:5], 16, v87
	s_waitcnt lgkmcnt(0)
	s_barrier
	v_add_f32_e32 v89, v91, v89
	ds_bpermute_b32 v90, v90, v89
	s_and_saveexec_b64 s[6:7], s[4:5]
	s_cbranch_execz .LBB288_13
; %bb.12:
	s_waitcnt lgkmcnt(0)
	v_add_f32_e32 v87, v89, v90
	v_lshlrev_b32_e32 v75, 2, v75
	ds_write2st64_b32 v75, v88, v87 offset1:1
.LBB288_13:
	s_or_b64 exec, exec, s[6:7]
	v_lshlrev_b32_e32 v75, 2, v76
	s_load_dword s8, s[0:1], 0x94
	s_waitcnt lgkmcnt(0)
	s_barrier
	ds_read2_b32 v[88:89], v75 offset1:16
	ds_read2_b32 v[90:91], v75 offset0:32 offset1:48
	ds_read2_b32 v[92:93], v75 offset0:64 offset1:80
	;; [unrolled: 1-line block ×3, first 2 shown]
	s_waitcnt lgkmcnt(0)
	v_max3_f32 v87, v88, s41, v89
	v_max3_f32 v87, v87, v90, v91
	v_sub_f32_e32 v88, v88, v87
	v_mul_f32_e32 v88, 0x3fb8aa3b, v88
	v_exp_f32_e32 v1, v88
	v_sub_f32_e32 v88, v89, v87
	v_mul_f32_e32 v88, 0x3fb8aa3b, v88
	v_exp_f32_e32 v89, v88
	v_sub_f32_e32 v88, v90, v87
	v_mul_f32_e32 v88, 0x3fb8aa3b, v88
	v_sub_f32_e32 v75, v91, v87
	v_exp_f32_e32 v90, v88
	v_mul_f32_e32 v75, 0x3fb8aa3b, v75
	v_exp_f32_e32 v75, v75
	v_fma_f32 v88, v1, v92, 0
	v_fmac_f32_e32 v88, v89, v93
	v_fmac_f32_e32 v88, v90, v94
	v_fmac_f32_e32 v88, v75, v95
	v_add_f32_e32 v91, 0x358637bd, v88
	v_div_scale_f32 v92, s[6:7], v91, v91, 1.0
	v_rcp_f32_e32 v93, v92
	s_barrier
	s_mul_i32 s9, s27, 5
	v_fma_f32 v94, -v92, v93, 1.0
	v_fmac_f32_e32 v93, v94, v93
	v_div_scale_f32 v94, vcc, 1.0, v91, 1.0
	v_mul_f32_e32 v95, v94, v93
	v_fma_f32 v86, -v92, v95, v94
	v_fmac_f32_e32 v95, v86, v93
	v_fma_f32 v86, -v92, v95, v94
	v_div_fmas_f32 v86, v86, v93, v95
	v_cmp_eq_u32_e32 vcc, 1, v77
	v_div_fixup_f32 v86, v86, v91, 1.0
	s_nop 0
	v_cndmask_b32_e32 v1, v1, v89, vcc
	v_cmp_eq_u32_e32 vcc, 2, v77
	s_nop 1
	v_cndmask_b32_e32 v1, v1, v90, vcc
	v_cmp_eq_u32_e32 vcc, 3, v77
	s_nop 1
	v_cndmask_b32_e32 v1, v1, v75, vcc
	v_mul_f32_e32 v90, v1, v86
	v_pk_mul_f32 v[82:83], v[90:91], v[82:83] op_sel_hi:[0,1]
	v_pk_mul_f32 v[68:69], v[90:91], v[68:69] op_sel_hi:[0,1]
	v_cvt_f16_f32_e32 v1, v68
	v_cvt_f16_f32_e32 v68, v69
	v_cvt_f16_f32_e32 v69, v82
	v_cvt_f16_f32_e32 v75, v83
	v_pk_mul_f32 v[84:85], v[90:91], v[84:85] op_sel_hi:[0,1]
	v_pk_mul_f32 v[70:71], v[90:91], v[70:71] op_sel_hi:[0,1]
	v_bfe_u32 v86, v0, 4, 2
	v_pack_b32_f16 v83, v69, v75
	v_cvt_f16_f32_e32 v69, v70
	v_cvt_f16_f32_e32 v70, v71
	;; [unrolled: 1-line block ×4, first 2 shown]
	v_pack_b32_f16 v82, v1, v68
	v_lshlrev_b32_e32 v1, 3, v86
	v_lshlrev_b32_e32 v68, 5, v76
	;; [unrolled: 1-line block ×3, first 2 shown]
	v_or3_b32 v75, v75, v68, v1
	v_pack_b32_f16 v70, v69, v70
	v_pack_b32_f16 v71, v71, v84
	ds_write2st64_b64 v75, v[82:83], v[70:71] offset1:1
	v_pk_mul_f32 v[70:71], v[90:91], v[78:79] op_sel_hi:[0,1]
	v_pk_mul_f32 v[78:79], v[90:91], v[80:81] op_sel_hi:[0,1]
	v_cvt_f16_f32_e32 v1, v78
	v_cvt_f16_f32_e32 v77, v70
	;; [unrolled: 1-line block ×3, first 2 shown]
	v_pk_mul_f32 v[66:67], v[90:91], v[66:67] op_sel_hi:[0,1]
	v_pk_mul_f32 v[70:71], v[90:91], v[72:73] op_sel_hi:[0,1]
	v_cvt_f16_f32_e32 v69, v79
	v_cvt_f16_f32_e32 v70, v70
	;; [unrolled: 1-line block ×5, first 2 shown]
	v_pack_b32_f16 v66, v1, v69
	v_pack_b32_f16 v67, v77, v78
	;; [unrolled: 1-line block ×4, first 2 shown]
	v_cmp_gt_u32_e32 vcc, 5, v0
	ds_write2st64_b64 v75, v[66:67], v[70:71] offset0:2 offset1:3
	s_and_saveexec_b64 s[6:7], vcc
	s_cbranch_execz .LBB288_15
; %bb.14:
	s_mov_b32 s41, 0
	v_mov_b32_e32 v77, 0
	v_lshl_add_u64 v[66:67], s[40:41], 0, v[76:77]
	v_mov_b32_e32 v1, s9
	v_mad_u64_u32 v[66:67], s[10:11], s2, v1, v[66:67]
	s_mul_i32 s3, s3, s9
	v_mov_b32_e32 v70, s26
	v_mov_b32_e32 v71, v77
	s_load_dwordx4 s[12:15], s[0:1], 0x58
	v_add_u32_e32 v1, s3, v67
	v_mad_u64_u32 v[66:67], s[10:11], v66, s8, v[70:71]
	v_mov_b32_e32 v70, v67
	v_mad_u64_u32 v[70:71], s[10:11], v1, s8, v[70:71]
	v_mov_b32_e32 v67, v70
	v_lshlrev_b64 v[66:67], 2, v[66:67]
	s_waitcnt lgkmcnt(0)
	v_lshl_add_u64 v[70:71], s[14:15], 0, v[66:67]
	v_lshl_add_u64 v[66:67], s[12:13], 0, v[66:67]
	global_store_dword v[70:71], v87, off
	global_store_dword v[66:67], v88, off
.LBB288_15:
	s_or_b64 exec, exec, s[6:7]
	v_lshl_or_b32 v1, v86, 9, v68
	s_waitcnt lgkmcnt(0)
	s_barrier
	ds_read_b128 v[70:73], v1
	ds_read_b128 v[66:69], v1 offset:16
	s_waitcnt vmcnt(15) lgkmcnt(1)
	v_mfma_f32_16x16x16_f16 v[78:81], v[30:31], v[70:71], 0
	s_mov_b32 s3, 0
	v_cmp_gt_u32_e32 vcc, 64, v0
	v_mfma_f32_16x16x16_f16 v[30:33], v[32:33], v[72:73], v[78:81]
	s_waitcnt vmcnt(14) lgkmcnt(0)
	v_mfma_f32_16x16x16_f16 v[30:33], v[26:27], v[66:67], v[30:33]
	v_mfma_f32_16x16x16_f16 v[26:29], v[28:29], v[68:69], v[30:33]
	s_nop 5
	ds_read_b128 v[30:33], v1 offset:2048
	ds_read_b128 v[78:81], v1 offset:2064
	s_waitcnt vmcnt(13) lgkmcnt(1)
	v_mfma_f32_16x16x16_f16 v[26:29], v[22:23], v[30:31], v[26:29]
	v_mfma_f32_16x16x16_f16 v[22:25], v[24:25], v[32:33], v[26:29]
	s_waitcnt vmcnt(12) lgkmcnt(0)
	v_mfma_f32_16x16x16_f16 v[22:25], v[18:19], v[78:79], v[22:25]
	v_mfma_f32_16x16x16_f16 v[18:21], v[20:21], v[80:81], v[22:25]
	s_nop 5
	ds_read_b128 v[22:25], v1 offset:4096
	ds_read_b128 v[26:29], v1 offset:4112
	s_waitcnt vmcnt(11) lgkmcnt(1)
	v_mfma_f32_16x16x16_f16 v[18:21], v[14:15], v[22:23], v[18:21]
	v_mfma_f32_16x16x16_f16 v[14:17], v[16:17], v[24:25], v[18:21]
	s_waitcnt vmcnt(10) lgkmcnt(0)
	v_mfma_f32_16x16x16_f16 v[14:17], v[10:11], v[26:27], v[14:17]
	v_mfma_f32_16x16x16_f16 v[10:13], v[12:13], v[28:29], v[14:17]
	s_nop 5
	ds_read_b128 v[14:17], v1 offset:6144
	ds_read_b128 v[18:21], v1 offset:6160
	s_waitcnt lgkmcnt(0)
	s_barrier
	s_waitcnt vmcnt(9)
	v_mfma_f32_16x16x16_f16 v[10:13], v[6:7], v[14:15], v[10:13]
	v_mfma_f32_16x16x16_f16 v[6:9], v[8:9], v[16:17], v[10:13]
	s_waitcnt vmcnt(8)
	v_mfma_f32_16x16x16_f16 v[6:9], v[2:3], v[18:19], v[6:9]
	v_mfma_f32_16x16x16_f16 v[2:5], v[4:5], v[20:21], v[6:9]
	;; [unrolled: 3-line block ×3, first 2 shown]
	s_nop 3
	v_cvt_f16_f32_e32 v1, v2
	v_cvt_f16_f32_e32 v10, v3
	;; [unrolled: 1-line block ×3, first 2 shown]
	s_waitcnt vmcnt(6)
	v_mfma_f32_16x16x16_f16 v[6:9], v[38:39], v[66:67], v[6:9]
	v_cvt_f16_f32_e32 v12, v5
	v_mfma_f32_16x16x16_f16 v[6:9], v[40:41], v[68:69], v[6:9]
	s_waitcnt vmcnt(5)
	v_mfma_f32_16x16x16_f16 v[6:9], v[42:43], v[30:31], v[6:9]
	v_mfma_f32_16x16x16_f16 v[6:9], v[44:45], v[32:33], v[6:9]
	s_waitcnt vmcnt(4)
	v_mfma_f32_16x16x16_f16 v[6:9], v[34:35], v[78:79], v[6:9]
	v_mfma_f32_16x16x16_f16 v[6:9], v[36:37], v[80:81], v[6:9]
	s_waitcnt vmcnt(3)
	v_mfma_f32_16x16x16_f16 v[6:9], v[54:55], v[22:23], v[6:9]
	v_mfma_f32_16x16x16_f16 v[6:9], v[56:57], v[24:25], v[6:9]
	s_waitcnt vmcnt(2)
	v_mfma_f32_16x16x16_f16 v[6:9], v[50:51], v[26:27], v[6:9]
	v_mfma_f32_16x16x16_f16 v[6:9], v[52:53], v[28:29], v[6:9]
	s_waitcnt vmcnt(1)
	v_mfma_f32_16x16x16_f16 v[6:9], v[62:63], v[14:15], v[6:9]
	v_mfma_f32_16x16x16_f16 v[6:9], v[64:65], v[16:17], v[6:9]
	s_waitcnt vmcnt(0)
	v_mfma_f32_16x16x16_f16 v[6:9], v[58:59], v[18:19], v[6:9]
	v_mfma_f32_16x16x16_f16 v[2:5], v[60:61], v[20:21], v[6:9]
	s_nop 6
	v_cvt_f16_f32_e32 v6, v2
	v_cvt_f16_f32_e32 v7, v3
	;; [unrolled: 1-line block ×4, first 2 shown]
	v_pack_b32_f16 v2, v1, v10
	v_pack_b32_f16 v3, v11, v12
	;; [unrolled: 1-line block ×4, first 2 shown]
	ds_write2st64_b64 v75, v[2:3], v[4:5] offset1:1
	s_waitcnt lgkmcnt(0)
	s_barrier
	s_and_saveexec_b64 s[6:7], vcc
	s_cbranch_execz .LBB288_18
; %bb.16:
	s_load_dwordx2 s[6:7], s[0:1], 0x68
	s_lshl_b32 s0, s8, 7
	s_mul_i32 s1, s9, s2
	v_lshlrev_b32_e32 v3, 6, v76
	s_mul_hi_u32 s9, s1, s0
	s_mul_i32 s8, s1, s0
	v_lshlrev_b32_e32 v2, 4, v0
	v_lshl_or_b32 v0, v0, 10, v3
	s_lshl_b64 s[8:9], s[8:9], 1
	v_lshlrev_b32_e32 v1, 5, v86
	v_and_b32_e32 v2, 16, v2
	v_and_b32_e32 v0, 0x1a00, v0
	s_waitcnt lgkmcnt(0)
	s_add_u32 s1, s6, s8
	v_or3_b32 v2, v0, v1, v2
	s_addc_u32 s6, s7, s9
	s_lshl_b32 s2, s26, 7
	s_lshl_b64 s[2:3], s[2:3], 1
	ds_read_b128 v[4:7], v2
	s_add_u32 s2, s1, s2
	s_addc_u32 s3, s6, s3
	v_mov_b32_e32 v75, 0
	v_add_u32_e32 v3, s40, v86
	v_lshl_add_u64 v[0:1], s[2:3], 0, v[74:75]
	v_mad_u64_u32 v[8:9], s[2:3], v3, s0, 0
	v_lshl_add_u64 v[8:9], v[8:9], 1, v[0:1]
	s_waitcnt lgkmcnt(0)
	global_store_dwordx4 v[8:9], v[4:7], off
	s_and_b64 exec, exec, s[4:5]
	s_cbranch_execz .LBB288_18
; %bb.17:
	ds_read_b128 v[2:5], v2 offset:128
	v_add3_u32 v6, s40, v86, 4
	v_mad_u64_u32 v[6:7], s[0:1], v6, s0, 0
	v_lshl_add_u64 v[0:1], v[6:7], 1, v[0:1]
	s_waitcnt lgkmcnt(0)
	global_store_dwordx4 v[0:1], v[2:5], off
.LBB288_18:
	s_endpgm
	.section	.rodata,"a",@progbits
	.p2align	6, 0x0
	.amdhsa_kernel _Z39paged_attention_ll4mi_QKV_mfma16_kernelIDF16_DF16_LN4vllm18Fp8KVCacheDataTypeE0EDF16_Li16ELi128ELi256ELb0ELi5EEvPKT_PKT0_S7_ifPKiS9_S9_iPKfiiiPfSC_PS2_PT2_iSB_SB_
		.amdhsa_group_segment_fixed_size 8192
		.amdhsa_private_segment_fixed_size 0
		.amdhsa_kernarg_size 400
		.amdhsa_user_sgpr_count 2
		.amdhsa_user_sgpr_dispatch_ptr 0
		.amdhsa_user_sgpr_queue_ptr 0
		.amdhsa_user_sgpr_kernarg_segment_ptr 1
		.amdhsa_user_sgpr_dispatch_id 0
		.amdhsa_user_sgpr_kernarg_preload_length 0
		.amdhsa_user_sgpr_kernarg_preload_offset 0
		.amdhsa_user_sgpr_private_segment_size 0
		.amdhsa_uses_dynamic_stack 0
		.amdhsa_enable_private_segment 0
		.amdhsa_system_sgpr_workgroup_id_x 1
		.amdhsa_system_sgpr_workgroup_id_y 1
		.amdhsa_system_sgpr_workgroup_id_z 1
		.amdhsa_system_sgpr_workgroup_info 0
		.amdhsa_system_vgpr_workitem_id 0
		.amdhsa_next_free_vgpr 96
		.amdhsa_next_free_sgpr 42
		.amdhsa_accum_offset 96
		.amdhsa_reserve_vcc 1
		.amdhsa_float_round_mode_32 0
		.amdhsa_float_round_mode_16_64 0
		.amdhsa_float_denorm_mode_32 3
		.amdhsa_float_denorm_mode_16_64 3
		.amdhsa_dx10_clamp 1
		.amdhsa_ieee_mode 1
		.amdhsa_fp16_overflow 0
		.amdhsa_tg_split 0
		.amdhsa_exception_fp_ieee_invalid_op 0
		.amdhsa_exception_fp_denorm_src 0
		.amdhsa_exception_fp_ieee_div_zero 0
		.amdhsa_exception_fp_ieee_overflow 0
		.amdhsa_exception_fp_ieee_underflow 0
		.amdhsa_exception_fp_ieee_inexact 0
		.amdhsa_exception_int_div_zero 0
	.end_amdhsa_kernel
	.section	.text._Z39paged_attention_ll4mi_QKV_mfma16_kernelIDF16_DF16_LN4vllm18Fp8KVCacheDataTypeE0EDF16_Li16ELi128ELi256ELb0ELi5EEvPKT_PKT0_S7_ifPKiS9_S9_iPKfiiiPfSC_PS2_PT2_iSB_SB_,"axG",@progbits,_Z39paged_attention_ll4mi_QKV_mfma16_kernelIDF16_DF16_LN4vllm18Fp8KVCacheDataTypeE0EDF16_Li16ELi128ELi256ELb0ELi5EEvPKT_PKT0_S7_ifPKiS9_S9_iPKfiiiPfSC_PS2_PT2_iSB_SB_,comdat
.Lfunc_end288:
	.size	_Z39paged_attention_ll4mi_QKV_mfma16_kernelIDF16_DF16_LN4vllm18Fp8KVCacheDataTypeE0EDF16_Li16ELi128ELi256ELb0ELi5EEvPKT_PKT0_S7_ifPKiS9_S9_iPKfiiiPfSC_PS2_PT2_iSB_SB_, .Lfunc_end288-_Z39paged_attention_ll4mi_QKV_mfma16_kernelIDF16_DF16_LN4vllm18Fp8KVCacheDataTypeE0EDF16_Li16ELi128ELi256ELb0ELi5EEvPKT_PKT0_S7_ifPKiS9_S9_iPKfiiiPfSC_PS2_PT2_iSB_SB_
                                        ; -- End function
	.section	.AMDGPU.csdata,"",@progbits
; Kernel info:
; codeLenInByte = 4392
; NumSgprs: 48
; NumVgprs: 96
; NumAgprs: 0
; TotalNumVgprs: 96
; ScratchSize: 0
; MemoryBound: 0
; FloatMode: 240
; IeeeMode: 1
; LDSByteSize: 8192 bytes/workgroup (compile time only)
; SGPRBlocks: 5
; VGPRBlocks: 11
; NumSGPRsForWavesPerEU: 48
; NumVGPRsForWavesPerEU: 96
; AccumOffset: 96
; Occupancy: 5
; WaveLimiterHint : 1
; COMPUTE_PGM_RSRC2:SCRATCH_EN: 0
; COMPUTE_PGM_RSRC2:USER_SGPR: 2
; COMPUTE_PGM_RSRC2:TRAP_HANDLER: 0
; COMPUTE_PGM_RSRC2:TGID_X_EN: 1
; COMPUTE_PGM_RSRC2:TGID_Y_EN: 1
; COMPUTE_PGM_RSRC2:TGID_Z_EN: 1
; COMPUTE_PGM_RSRC2:TIDIG_COMP_CNT: 0
; COMPUTE_PGM_RSRC3_GFX90A:ACCUM_OFFSET: 23
; COMPUTE_PGM_RSRC3_GFX90A:TG_SPLIT: 0
	.section	.text._Z39paged_attention_ll4mi_QKV_mfma16_kernelIDF16_DF16_LN4vllm18Fp8KVCacheDataTypeE0EDF16_Li16ELi128ELi256ELb0ELi6EEvPKT_PKT0_S7_ifPKiS9_S9_iPKfiiiPfSC_PS2_PT2_iSB_SB_,"axG",@progbits,_Z39paged_attention_ll4mi_QKV_mfma16_kernelIDF16_DF16_LN4vllm18Fp8KVCacheDataTypeE0EDF16_Li16ELi128ELi256ELb0ELi6EEvPKT_PKT0_S7_ifPKiS9_S9_iPKfiiiPfSC_PS2_PT2_iSB_SB_,comdat
	.protected	_Z39paged_attention_ll4mi_QKV_mfma16_kernelIDF16_DF16_LN4vllm18Fp8KVCacheDataTypeE0EDF16_Li16ELi128ELi256ELb0ELi6EEvPKT_PKT0_S7_ifPKiS9_S9_iPKfiiiPfSC_PS2_PT2_iSB_SB_ ; -- Begin function _Z39paged_attention_ll4mi_QKV_mfma16_kernelIDF16_DF16_LN4vllm18Fp8KVCacheDataTypeE0EDF16_Li16ELi128ELi256ELb0ELi6EEvPKT_PKT0_S7_ifPKiS9_S9_iPKfiiiPfSC_PS2_PT2_iSB_SB_
	.globl	_Z39paged_attention_ll4mi_QKV_mfma16_kernelIDF16_DF16_LN4vllm18Fp8KVCacheDataTypeE0EDF16_Li16ELi128ELi256ELb0ELi6EEvPKT_PKT0_S7_ifPKiS9_S9_iPKfiiiPfSC_PS2_PT2_iSB_SB_
	.p2align	8
	.type	_Z39paged_attention_ll4mi_QKV_mfma16_kernelIDF16_DF16_LN4vllm18Fp8KVCacheDataTypeE0EDF16_Li16ELi128ELi256ELb0ELi6EEvPKT_PKT0_S7_ifPKiS9_S9_iPKfiiiPfSC_PS2_PT2_iSB_SB_,@function
_Z39paged_attention_ll4mi_QKV_mfma16_kernelIDF16_DF16_LN4vllm18Fp8KVCacheDataTypeE0EDF16_Li16ELi128ELi256ELb0ELi6EEvPKT_PKT0_S7_ifPKiS9_S9_iPKfiiiPfSC_PS2_PT2_iSB_SB_: ; @_Z39paged_attention_ll4mi_QKV_mfma16_kernelIDF16_DF16_LN4vllm18Fp8KVCacheDataTypeE0EDF16_Li16ELi128ELi256ELb0ELi6EEvPKT_PKT0_S7_ifPKiS9_S9_iPKfiiiPfSC_PS2_PT2_iSB_SB_
; %bb.0:
	s_load_dwordx2 s[8:9], s[0:1], 0x30
	s_mov_b32 s26, s3
	s_mov_b64 s[6:7], 0
	s_waitcnt lgkmcnt(0)
	s_cmp_lg_u64 s[8:9], 0
	s_cselect_b64 s[10:11], -1, 0
	s_and_b64 vcc, exec, s[10:11]
	s_cbranch_vccz .LBB289_7
; %bb.1:
	s_add_i32 s12, s2, 1
	s_mov_b32 s13, 0
	s_lshl_b64 s[14:15], s[12:13], 2
	s_add_u32 s14, s8, s14
	s_mov_b32 s3, s13
	s_addc_u32 s15, s9, s15
	s_lshl_b64 s[12:13], s[2:3], 2
	s_add_u32 s12, s8, s12
	s_addc_u32 s13, s9, s13
	s_load_dword s5, s[14:15], 0x0
	s_load_dword s16, s[12:13], 0x0
	s_waitcnt lgkmcnt(0)
	s_sub_i32 s5, s5, s16
	s_cmp_eq_u32 s5, 1
	s_cselect_b64 s[12:13], -1, 0
	s_andn2_b64 vcc, exec, s[6:7]
	s_cbranch_vccnz .LBB289_3
.LBB289_2:
	s_mov_b32 s3, 0
	s_mov_b64 s[12:13], -1
.LBB289_3:
	s_andn2_b64 vcc, exec, s[12:13]
	s_cbranch_vccnz .LBB289_18
; %bb.4:
	s_load_dwordx2 s[6:7], s[0:1], 0x28
	s_lshl_b64 s[16:17], s[2:3], 2
	s_waitcnt lgkmcnt(0)
	s_add_u32 s6, s6, s16
	s_addc_u32 s7, s7, s17
	s_load_dword s33, s[6:7], 0x0
	s_lshl_b32 s18, s26, 8
	s_waitcnt lgkmcnt(0)
	s_cmp_ge_i32 s18, s33
	s_cbranch_scc1 .LBB289_18
; %bb.5:
	s_load_dwordx2 s[6:7], s[0:1], 0x20
	s_load_dword s5, s[0:1], 0x38
	s_add_i32 s12, s33, 15
	s_ashr_i32 s13, s12, 31
	v_and_b32_e32 v1, 0xcf, v0
	s_lshr_b32 s13, s13, 28
	v_add_u32_e32 v1, s18, v1
	s_add_i32 s12, s12, s13
	v_ashrrev_i32_e32 v2, 31, v1
	s_ashr_i32 s19, s12, 4
	v_lshrrev_b32_e32 v4, 28, v2
	s_add_i32 s19, s19, -1
	s_waitcnt lgkmcnt(0)
	s_mul_i32 s12, s2, s5
	s_mov_b32 s13, 0
	v_add_u32_e32 v2, v1, v4
	s_lshl_b64 s[12:13], s[12:13], 2
	v_ashrrev_i32_e32 v2, 4, v2
	v_mov_b32_e32 v5, s19
	v_cmp_gt_i32_e32 vcc, s33, v1
	s_add_u32 s6, s6, s12
	s_addc_u32 s7, s7, s13
	v_cndmask_b32_e32 v2, v5, v2, vcc
	v_ashrrev_i32_e32 v3, 31, v2
	v_lshl_add_u64 v[6:7], v[2:3], 2, s[6:7]
	v_or_b32_e32 v2, 16, v1
	v_add_u32_e32 v3, v2, v4
	v_ashrrev_i32_e32 v3, 4, v3
	v_cmp_gt_i32_e32 vcc, s33, v2
	s_load_dwordx4 s[12:15], s[0:1], 0x8
	s_nop 0
	v_cndmask_b32_e32 v2, v5, v3, vcc
	v_ashrrev_i32_e32 v3, 31, v2
	v_lshl_add_u64 v[8:9], v[2:3], 2, s[6:7]
	v_or_b32_e32 v2, 32, v1
	v_add_u32_e32 v3, v2, v4
	v_ashrrev_i32_e32 v3, 4, v3
	v_cmp_gt_i32_e32 vcc, s33, v2
	v_or_b32_e32 v1, 48, v1
	s_nop 0
	v_cndmask_b32_e32 v2, v5, v3, vcc
	v_ashrrev_i32_e32 v3, 31, v2
	v_lshl_add_u64 v[10:11], v[2:3], 2, s[6:7]
	v_add_u32_e32 v2, v1, v4
	v_ashrrev_i32_e32 v2, 4, v2
	v_cmp_gt_i32_e32 vcc, s33, v1
	s_nop 1
	v_cndmask_b32_e32 v2, v5, v2, vcc
	v_ashrrev_i32_e32 v3, 31, v2
	v_lshl_add_u64 v[12:13], v[2:3], 2, s[6:7]
	global_load_dword v4, v[6:7], off
	global_load_dword v3, v[8:9], off
	global_load_dword v2, v[10:11], off
	global_load_dword v40, v[12:13], off
	s_andn2_b64 vcc, exec, s[10:11]
	s_cbranch_vccnz .LBB289_8
; %bb.6:
	s_add_u32 s8, s8, s16
	s_addc_u32 s9, s9, s17
	s_load_dword s5, s[8:9], 0x0
	s_branch .LBB289_9
.LBB289_7:
	s_mov_b64 s[12:13], 0
	s_branch .LBB289_2
.LBB289_8:
	s_mov_b32 s5, s2
.LBB289_9:
	s_load_dwordx4 s[8:11], s[0:1], 0x48
	v_lshrrev_b32_e32 v77, 6, v0
	v_bfe_u32 v86, v0, 4, 2
	v_and_b32_e32 v76, 15, v0
	v_lshl_or_b32 v1, v77, 2, v86
	v_lshlrev_b32_e32 v5, 3, v76
	v_and_b32_e32 v87, 63, v0
	s_mul_i32 s40, s4, 6
	v_cmp_gt_u32_e32 vcc, 6, v1
	v_lshlrev_b32_e32 v74, 1, v5
	s_and_saveexec_b64 s[16:17], vcc
	s_cbranch_execz .LBB289_11
; %bb.10:
	s_load_dwordx2 s[20:21], s[0:1], 0x0
	s_waitcnt lgkmcnt(0)
	s_ashr_i32 s11, s8, 31
	s_mul_hi_u32 s22, s5, s8
	s_mul_i32 s11, s5, s11
	s_add_i32 s23, s22, s11
	s_mul_i32 s22, s5, s8
	s_lshl_b64 s[22:23], s[22:23], 1
	s_add_u32 s20, s20, s22
	v_add_lshl_u32 v6, v1, s40, 7
	s_addc_u32 s21, s21, s23
	v_ashrrev_i32_e32 v7, 31, v6
	v_lshl_add_u64 v[6:7], v[6:7], 1, s[20:21]
	v_mov_b32_e32 v75, 0
	v_lshl_add_u64 v[6:7], v[6:7], 0, v[74:75]
	global_load_dwordx4 v[6:9], v[6:7], off
	v_and_b32_e32 v5, 3, v0
	v_lshlrev_b32_e32 v10, 9, v76
	v_lshlrev_b32_e32 v1, 5, v1
	;; [unrolled: 1-line block ×3, first 2 shown]
	v_and_b32_e32 v10, 0x1800, v10
	v_or3_b32 v1, v10, v5, v1
	s_waitcnt vmcnt(0)
	ds_write_b128 v1, v[6:9]
.LBB289_11:
	s_or_b64 exec, exec, s[16:17]
	s_waitcnt lgkmcnt(0)
	s_mul_i32 s4, s4, s10
	s_mov_b32 s5, 0
	s_lshl_b64 s[4:5], s[4:5], 1
	s_add_u32 s10, s12, s4
	v_lshlrev_b32_e32 v1, 4, v0
	s_addc_u32 s11, s13, s5
	v_and_b32_e32 v34, 0xf0, v1
	v_mov_b32_e32 v35, 0
	v_lshl_add_u64 v[30:31], s[10:11], 0, v[34:35]
	s_waitcnt vmcnt(3)
	v_mad_i64_i32 v[4:5], s[10:11], v4, s9, 0
	v_lshl_add_u64 v[4:5], v[4:5], 1, v[30:31]
	v_and_b32_e32 v34, 0x300, v1
	v_lshl_add_u64 v[32:33], v[4:5], 0, v[34:35]
	s_load_dword s27, s[0:1], 0x98
	s_load_dword s8, s[0:1], 0x1c
	s_waitcnt lgkmcnt(0)
	s_barrier
	global_load_dwordx4 v[6:9], v[32:33], off
	global_load_dwordx4 v[18:21], v[32:33], off offset:1024
	s_waitcnt vmcnt(4)
	v_mad_i64_i32 v[4:5], s[10:11], v3, s9, 0
	v_lshl_add_u64 v[4:5], v[4:5], 1, v[30:31]
	v_lshl_add_u64 v[36:37], v[4:5], 0, v[34:35]
	global_load_dwordx4 v[14:17], v[36:37], off
	global_load_dwordx4 v[22:25], v[36:37], off offset:1024
	s_waitcnt vmcnt(5)
	v_mad_i64_i32 v[2:3], s[10:11], v2, s9, 0
	v_lshl_add_u64 v[2:3], v[2:3], 1, v[30:31]
	v_lshl_add_u64 v[38:39], v[2:3], 0, v[34:35]
	global_load_dwordx4 v[26:29], v[38:39], off
	global_load_dwordx4 v[46:49], v[38:39], off offset:1024
	v_mul_lo_u16_e32 v2, 43, v76
	v_mov_b32_e32 v3, 6
	v_mul_lo_u16_sdwa v2, v2, v3 dst_sel:DWORD dst_unused:UNUSED_PAD src0_sel:BYTE_1 src1_sel:DWORD
	v_mov_b32_e32 v4, 5
	v_sub_u16_e32 v2, v76, v2
	v_lshlrev_b32_sdwa v2, v4, v2 dst_sel:DWORD dst_unused:UNUSED_PAD src0_sel:DWORD src1_sel:BYTE_0
	v_lshl_add_u32 v41, v86, 9, v2
	ds_read_b128 v[10:13], v41
	ds_read_b128 v[2:5], v41 offset:2048
	global_load_dwordx4 v[54:57], v[32:33], off offset:2048
	global_load_dwordx4 v[62:65], v[36:37], off offset:2048
	v_mov_b32_e32 v70, s19
	s_add_u32 s4, s14, s4
	s_addc_u32 s5, s15, s5
	s_mov_b32 s41, 0xff7fffff
	s_waitcnt vmcnt(7) lgkmcnt(1)
	v_mfma_f32_16x16x16_f16 v[42:45], v[6:7], v[10:11], 0
	v_mfma_f32_16x16x16_f16 v[6:9], v[8:9], v[12:13], v[42:45]
	s_nop 5
	global_load_dwordx4 v[42:45], v[38:39], off offset:2048
	s_waitcnt vmcnt(6)
	v_mfma_f32_16x16x16_f16 v[50:53], v[14:15], v[10:11], 0
	s_waitcnt vmcnt(4)
	v_mfma_f32_16x16x16_f16 v[58:61], v[26:27], v[10:11], 0
	v_mfma_f32_16x16x16_f16 v[14:17], v[16:17], v[12:13], v[50:53]
	s_nop 3
	global_load_dwordx4 v[50:53], v[32:33], off offset:3072
	v_mfma_f32_16x16x16_f16 v[26:29], v[28:29], v[12:13], v[58:61]
	v_mad_i64_i32 v[32:33], s[10:11], v40, s9, 0
	v_and_or_b32 v40, v0, 48, s18
	s_waitcnt lgkmcnt(0)
	v_mfma_f32_16x16x16_f16 v[14:17], v[22:23], v[2:3], v[14:17]
	v_ashrrev_i32_e32 v58, 4, v40
	v_cmp_gt_i32_e32 vcc, s33, v40
	v_or_b32_e32 v66, 64, v40
	v_mfma_f32_16x16x16_f16 v[6:9], v[18:19], v[2:3], v[6:9]
	v_cndmask_b32_e32 v18, v70, v58, vcc
	global_load_dwordx4 v[58:61], v[36:37], off offset:3072
	v_ashrrev_i32_e32 v22, 4, v66
	s_waitcnt vmcnt(5)
	v_mfma_f32_16x16x16_f16 v[26:29], v[46:47], v[2:3], v[26:29]
	v_ashrrev_i32_e32 v19, 31, v18
	v_cmp_gt_i32_e32 vcc, s33, v66
	v_lshl_add_u64 v[18:19], v[18:19], 2, s[6:7]
	v_mfma_f32_16x16x16_f16 v[14:17], v[24:25], v[4:5], v[14:17]
	v_cndmask_b32_e32 v36, v70, v22, vcc
	global_load_dwordx4 v[22:25], v[38:39], off offset:3072
	global_load_dword v82, v[18:19], off
	v_mfma_f32_16x16x16_f16 v[6:9], v[20:21], v[4:5], v[6:9]
	v_ashrrev_i32_e32 v37, 31, v36
	ds_read_b128 v[66:69], v41 offset:4096
	v_or_b32_e32 v71, 0x80, v40
	v_mfma_f32_16x16x16_f16 v[18:21], v[48:49], v[4:5], v[26:29]
	v_ashrrev_i32_e32 v73, 4, v71
	v_cmp_gt_i32_e32 vcc, s33, v71
	v_or_b32_e32 v72, 0xc0, v40
	v_lshl_add_u64 v[26:27], v[32:33], 1, v[30:31]
	v_lshl_add_u64 v[26:27], v[26:27], 0, v[34:35]
	;; [unrolled: 1-line block ×3, first 2 shown]
	global_load_dwordx4 v[46:49], v[26:27], off
	global_load_dword v36, v[28:29], off
	s_waitcnt vmcnt(8) lgkmcnt(0)
	v_mfma_f32_16x16x16_f16 v[6:9], v[54:55], v[66:67], v[6:9]
	v_cndmask_b32_e32 v28, v70, v73, vcc
	v_ashrrev_i32_e32 v29, 31, v28
	v_ashrrev_i32_e32 v75, 4, v72
	v_mfma_f32_16x16x16_f16 v[6:9], v[56:57], v[68:69], v[6:9]
	global_load_dwordx4 v[54:57], v[26:27], off offset:1024
	v_lshl_add_u64 v[28:29], v[28:29], 2, s[6:7]
	v_cmp_gt_i32_e32 vcc, s33, v72
	global_load_dword v83, v[28:29], off
	s_waitcnt vmcnt(9)
	v_mfma_f32_16x16x16_f16 v[14:17], v[62:63], v[66:67], v[14:17]
	v_cndmask_b32_e32 v28, v70, v75, vcc
	v_ashrrev_i32_e32 v29, 31, v28
	v_lshl_add_u64 v[28:29], v[28:29], 2, s[6:7]
	v_mfma_f32_16x16x16_f16 v[14:17], v[64:65], v[68:69], v[14:17]
	global_load_dword v64, v[28:29], off
	ds_read_b128 v[38:41], v41 offset:6144
	v_lshl_or_b32 v75, v77, 4, v76
	v_lshlrev_b32_e32 v34, 5, v75
	v_lshl_add_u64 v[62:63], s[4:5], 0, v[34:35]
	v_or_b32_e32 v34, 0x800, v34
	s_waitcnt vmcnt(9)
	v_mfma_f32_16x16x16_f16 v[18:21], v[42:43], v[66:67], v[18:21]
	global_load_dwordx4 v[70:73], v[26:27], off offset:3072
	v_mfma_f32_16x16x16_f16 v[18:21], v[44:45], v[68:69], v[18:21]
	global_load_dwordx4 v[42:45], v[26:27], off offset:2048
	s_waitcnt vmcnt(10) lgkmcnt(0)
	v_mfma_f32_16x16x16_f16 v[6:9], v[50:51], v[38:39], v[6:9]
	v_mfma_f32_16x16x16_f16 v[78:81], v[52:53], v[40:41], v[6:9]
	s_waitcnt vmcnt(9)
	v_mfma_f32_16x16x16_f16 v[14:17], v[58:59], v[38:39], v[14:17]
	s_waitcnt vmcnt(7)
	s_nop 2
	v_mad_i64_i32 v[6:7], s[6:7], v82, s9, 0
	v_lshlrev_b64 v[52:53], 1, v[6:7]
	v_lshl_add_u64 v[6:7], v[62:63], 0, v[52:53]
	global_load_dwordx4 v[30:33], v[6:7], off
	global_load_dwordx4 v[26:29], v[6:7], off offset:16
	v_mfma_f32_16x16x16_f16 v[6:9], v[22:23], v[38:39], v[18:21]
	v_mfma_f32_16x16x16_f16 v[88:91], v[60:61], v[40:41], v[14:17]
	v_pk_mul_f32 v[60:61], s[8:9], v[78:79] op_sel_hi:[0,1]
	s_waitcnt vmcnt(7)
	s_nop 0
	v_mad_i64_i32 v[14:15], s[6:7], v36, s9, 0
	v_lshlrev_b64 v[36:37], 1, v[14:15]
	v_mfma_f32_16x16x16_f16 v[92:95], v[24:25], v[40:41], v[6:9]
	s_nop 0
	v_pk_mul_f32 v[84:85], s[8:9], v[90:91] op_sel_hi:[0,1]
	s_nop 0
	v_lshl_add_u64 v[6:7], v[62:63], 0, v[36:37]
	global_load_dwordx4 v[22:25], v[6:7], off
	global_load_dwordx4 v[18:21], v[6:7], off offset:16
	v_mfma_f32_16x16x16_f16 v[6:9], v[46:47], v[10:11], 0
	s_waitcnt vmcnt(7)
	v_mad_i64_i32 v[10:11], s[6:7], v83, s9, 0
	v_pk_mul_f32 v[82:83], s[8:9], v[80:81] op_sel_hi:[0,1]
	v_mfma_f32_16x16x16_f16 v[6:9], v[48:49], v[12:13], v[6:9]
	v_pk_mul_f32 v[80:81], s[8:9], v[92:93] op_sel_hi:[0,1]
	v_pk_mul_f32 v[78:79], s[8:9], v[94:95] op_sel_hi:[0,1]
	v_lshlrev_b64 v[50:51], 1, v[10:11]
	v_mfma_f32_16x16x16_f16 v[6:9], v[54:55], v[2:3], v[6:9]
	s_waitcnt vmcnt(6)
	v_mad_i64_i32 v[2:3], s[6:7], v64, s9, 0
	v_lshlrev_b64 v[58:59], 1, v[2:3]
	v_mfma_f32_16x16x16_f16 v[46:49], v[56:57], v[4:5], v[6:9]
	v_lshl_add_u64 v[10:11], v[62:63], 0, v[50:51]
	v_lshl_add_u64 v[2:3], v[62:63], 0, v[58:59]
	;; [unrolled: 1-line block ×4, first 2 shown]
	global_load_dwordx4 v[14:17], v[10:11], off
	s_nop 0
	global_load_dwordx4 v[10:13], v[10:11], off offset:16
	s_nop 0
	global_load_dwordx4 v[6:9], v[2:3], off
	s_nop 0
	global_load_dwordx4 v[2:5], v[2:3], off offset:16
	v_lshl_add_u64 v[50:51], v[62:63], 0, v[50:51]
	v_lshl_add_u64 v[58:59], v[62:63], 0, v[58:59]
	s_waitcnt vmcnt(8)
	v_mfma_f32_16x16x16_f16 v[46:49], v[42:43], v[66:67], v[46:49]
	v_mfma_f32_16x16x16_f16 v[42:45], v[44:45], v[68:69], v[46:49]
	;; [unrolled: 1-line block ×3, first 2 shown]
	v_pk_mul_f32 v[70:71], s[8:9], v[88:89] op_sel_hi:[0,1]
	v_mfma_f32_16x16x16_f16 v[38:41], v[72:73], v[40:41], v[42:45]
	s_nop 6
	v_pk_mul_f32 v[72:73], s[8:9], v[38:39] op_sel_hi:[0,1]
	v_and_b32_e32 v38, 0xc0, v0
	v_add_u32_e32 v38, s18, v38
	v_lshl_or_b32 v38, v86, 2, v38
	v_pk_mul_f32 v[66:67], s[8:9], v[40:41] op_sel_hi:[0,1]
	v_or_b32_e32 v41, 1, v38
	v_mov_b32_e32 v39, 0xff7fffff
	v_cmp_gt_i32_e64 s[28:29], s33, v38
	v_cmp_gt_i32_e64 s[30:31], s33, v41
	v_or_b32_e32 v42, 3, v38
	v_cndmask_b32_e64 v40, v39, v60, s[28:29]
	v_cndmask_b32_e64 v41, v39, v61, s[30:31]
	v_max3_f32 v40, v40, s41, v41
	v_or_b32_e32 v41, 2, v38
	v_cmp_gt_i32_e64 s[34:35], s33, v41
	v_cmp_gt_i32_e64 s[36:37], s33, v42
	s_nop 0
	v_cndmask_b32_e64 v41, v39, v82, s[34:35]
	v_cndmask_b32_e64 v42, v39, v83, s[36:37]
	v_max3_f32 v40, v40, v41, v42
	v_or_b32_e32 v41, 16, v38
	v_or_b32_e32 v42, 17, v38
	v_cmp_gt_i32_e64 s[22:23], s33, v41
	v_cmp_gt_i32_e64 s[24:25], s33, v42
	s_nop 0
	v_cndmask_b32_e64 v41, v39, v70, s[22:23]
	v_cndmask_b32_e64 v42, v39, v71, s[24:25]
	v_max3_f32 v40, v40, v41, v42
	v_or_b32_e32 v41, 18, v38
	;; [unrolled: 8-line block ×6, first 2 shown]
	v_or_b32_e32 v38, 51, v38
	v_cmp_gt_i32_e32 vcc, s33, v41
	v_cmp_gt_i32_e64 s[4:5], s33, v38
	s_nop 0
	v_cndmask_b32_e32 v41, v39, v66, vcc
	v_cndmask_b32_e64 v38, v39, v67, s[4:5]
	v_max3_f32 v52, v40, v41, v38
	v_mbcnt_lo_u32_b32 v38, -1, 0
	v_mbcnt_hi_u32_b32 v53, -1, v38
	v_and_b32_e32 v38, 64, v53
	v_add_u32_e32 v54, 64, v38
	v_xor_b32_e32 v38, 32, v53
	v_cmp_lt_i32_e64 s[38:39], v38, v54
	s_nop 1
	v_cndmask_b32_e64 v38, v53, v38, s[38:39]
	v_lshlrev_b32_e32 v89, 2, v38
	ds_bpermute_b32 v55, v89, v52
	global_load_dwordx4 v[46:49], v[34:35], off
	global_load_dwordx4 v[38:41], v[34:35], off offset:16
	v_lshl_add_u64 v[34:35], v[62:63], 0, v[36:37]
	global_load_dwordx4 v[42:45], v[34:35], off
	s_nop 0
	global_load_dwordx4 v[34:37], v[34:35], off offset:16
	s_waitcnt lgkmcnt(0)
	v_max_f32_e32 v55, v55, v55
	v_max_f32_e32 v64, v52, v55
	v_xor_b32_e32 v52, 16, v53
	v_cmp_lt_i32_e64 s[38:39], v52, v54
	s_nop 1
	v_cndmask_b32_e64 v52, v53, v52, s[38:39]
	v_lshlrev_b32_e32 v90, 2, v52
	ds_bpermute_b32 v65, v90, v64
	global_load_dwordx4 v[54:57], v[50:51], off
	s_nop 0
	global_load_dwordx4 v[50:53], v[50:51], off offset:16
	s_waitcnt lgkmcnt(0)
	v_max_f32_e32 v62, v65, v65
	v_max_f32_e32 v88, v64, v62
	v_sub_f32_e32 v60, v60, v88
	v_mul_f32_e32 v60, 0x3fb8aa3b, v60
	v_exp_f32_e32 v68, v60
	v_sub_f32_e32 v60, v61, v88
	v_mul_f32_e32 v60, 0x3fb8aa3b, v60
	v_exp_f32_e32 v69, v60
	global_load_dwordx4 v[62:65], v[58:59], off
	s_nop 0
	global_load_dwordx4 v[58:61], v[58:59], off offset:16
	v_sub_f32_e32 v82, v82, v88
	v_mul_f32_e32 v82, 0x3fb8aa3b, v82
	v_sub_f32_e32 v83, v83, v88
	v_exp_f32_e32 v82, v82
	v_mul_f32_e32 v83, 0x3fb8aa3b, v83
	v_sub_f32_e32 v70, v70, v88
	v_exp_f32_e32 v83, v83
	v_mul_f32_e32 v70, 0x3fb8aa3b, v70
	v_sub_f32_e32 v71, v71, v88
	v_cndmask_b32_e64 v68, 0, v68, s[28:29]
	v_exp_f32_e32 v70, v70
	v_mul_f32_e32 v71, 0x3fb8aa3b, v71
	v_sub_f32_e32 v84, v84, v88
	v_add_f32_e32 v91, 0, v68
	v_cndmask_b32_e64 v69, 0, v69, s[30:31]
	v_exp_f32_e32 v71, v71
	v_mul_f32_e32 v84, 0x3fb8aa3b, v84
	v_sub_f32_e32 v85, v85, v88
	v_add_f32_e32 v91, v91, v69
	;; [unrolled: 5-line block ×10, first 2 shown]
	v_cndmask_b32_e64 v78, 0, v78, s[10:11]
	v_exp_f32_e32 v66, v66
	v_mul_f32_e32 v67, 0x3fb8aa3b, v67
	v_add_f32_e32 v91, v91, v78
	v_cndmask_b32_e64 v79, 0, v79, s[12:13]
	v_exp_f32_e32 v67, v67
	v_add_f32_e32 v91, v91, v79
	v_cndmask_b32_e64 v72, 0, v72, s[6:7]
	v_add_f32_e32 v91, v91, v72
	v_cndmask_b32_e64 v73, 0, v73, s[8:9]
	v_add_f32_e32 v91, v91, v73
	v_cndmask_b32_e32 v66, 0, v66, vcc
	v_add_f32_e32 v91, v91, v66
	v_cndmask_b32_e64 v67, 0, v67, s[4:5]
	v_add_f32_e32 v91, v91, v67
	ds_bpermute_b32 v89, v89, v91
	v_cmp_gt_u32_e32 vcc, 16, v87
	s_waitcnt lgkmcnt(0)
	s_barrier
	v_add_f32_e32 v89, v91, v89
	ds_bpermute_b32 v90, v90, v89
	s_and_saveexec_b64 s[4:5], vcc
	s_cbranch_execz .LBB289_13
; %bb.12:
	s_waitcnt lgkmcnt(0)
	v_add_f32_e32 v87, v89, v90
	v_lshlrev_b32_e32 v75, 2, v75
	ds_write2st64_b32 v75, v88, v87 offset1:1
.LBB289_13:
	s_or_b64 exec, exec, s[4:5]
	v_lshlrev_b32_e32 v75, 2, v76
	s_load_dword s6, s[0:1], 0x94
	s_waitcnt lgkmcnt(0)
	s_barrier
	ds_read2_b32 v[88:89], v75 offset1:16
	ds_read2_b32 v[90:91], v75 offset0:32 offset1:48
	ds_read2_b32 v[92:93], v75 offset0:64 offset1:80
	;; [unrolled: 1-line block ×3, first 2 shown]
	s_waitcnt lgkmcnt(0)
	v_max3_f32 v87, v88, s41, v89
	v_max3_f32 v87, v87, v90, v91
	v_sub_f32_e32 v88, v88, v87
	v_mul_f32_e32 v88, 0x3fb8aa3b, v88
	v_exp_f32_e32 v1, v88
	v_sub_f32_e32 v88, v89, v87
	v_mul_f32_e32 v88, 0x3fb8aa3b, v88
	v_exp_f32_e32 v89, v88
	v_sub_f32_e32 v88, v90, v87
	v_mul_f32_e32 v88, 0x3fb8aa3b, v88
	v_sub_f32_e32 v75, v91, v87
	v_exp_f32_e32 v90, v88
	v_mul_f32_e32 v75, 0x3fb8aa3b, v75
	v_exp_f32_e32 v75, v75
	v_fma_f32 v88, v1, v92, 0
	v_fmac_f32_e32 v88, v89, v93
	v_fmac_f32_e32 v88, v90, v94
	;; [unrolled: 1-line block ×3, first 2 shown]
	v_add_f32_e32 v91, 0x358637bd, v88
	v_div_scale_f32 v92, s[4:5], v91, v91, 1.0
	v_rcp_f32_e32 v93, v92
	s_barrier
	s_mul_i32 s7, s27, 6
	v_fma_f32 v94, -v92, v93, 1.0
	v_fmac_f32_e32 v93, v94, v93
	v_div_scale_f32 v94, vcc, 1.0, v91, 1.0
	v_mul_f32_e32 v95, v94, v93
	v_fma_f32 v86, -v92, v95, v94
	v_fmac_f32_e32 v95, v86, v93
	v_fma_f32 v86, -v92, v95, v94
	v_div_fmas_f32 v86, v86, v93, v95
	v_cmp_eq_u32_e32 vcc, 1, v77
	v_div_fixup_f32 v86, v86, v91, 1.0
	s_nop 0
	v_cndmask_b32_e32 v1, v1, v89, vcc
	v_cmp_eq_u32_e32 vcc, 2, v77
	s_nop 1
	v_cndmask_b32_e32 v1, v1, v90, vcc
	v_cmp_eq_u32_e32 vcc, 3, v77
	s_nop 1
	v_cndmask_b32_e32 v1, v1, v75, vcc
	v_mul_f32_e32 v90, v1, v86
	v_pk_mul_f32 v[82:83], v[90:91], v[82:83] op_sel_hi:[0,1]
	v_pk_mul_f32 v[68:69], v[90:91], v[68:69] op_sel_hi:[0,1]
	v_cvt_f16_f32_e32 v1, v68
	v_cvt_f16_f32_e32 v68, v69
	;; [unrolled: 1-line block ×4, first 2 shown]
	v_pk_mul_f32 v[84:85], v[90:91], v[84:85] op_sel_hi:[0,1]
	v_pk_mul_f32 v[70:71], v[90:91], v[70:71] op_sel_hi:[0,1]
	v_bfe_u32 v86, v0, 4, 2
	v_pack_b32_f16 v83, v69, v75
	v_cvt_f16_f32_e32 v69, v70
	v_cvt_f16_f32_e32 v70, v71
	;; [unrolled: 1-line block ×4, first 2 shown]
	v_pack_b32_f16 v82, v1, v68
	v_lshlrev_b32_e32 v1, 3, v86
	v_lshlrev_b32_e32 v68, 5, v76
	;; [unrolled: 1-line block ×3, first 2 shown]
	v_or3_b32 v75, v75, v68, v1
	v_pack_b32_f16 v70, v69, v70
	v_pack_b32_f16 v71, v71, v84
	ds_write2st64_b64 v75, v[82:83], v[70:71] offset1:1
	v_pk_mul_f32 v[70:71], v[90:91], v[78:79] op_sel_hi:[0,1]
	v_pk_mul_f32 v[78:79], v[90:91], v[80:81] op_sel_hi:[0,1]
	v_cvt_f16_f32_e32 v1, v78
	v_cvt_f16_f32_e32 v77, v70
	;; [unrolled: 1-line block ×3, first 2 shown]
	v_pk_mul_f32 v[66:67], v[90:91], v[66:67] op_sel_hi:[0,1]
	v_pk_mul_f32 v[70:71], v[90:91], v[72:73] op_sel_hi:[0,1]
	v_cvt_f16_f32_e32 v69, v79
	v_cvt_f16_f32_e32 v70, v70
	;; [unrolled: 1-line block ×5, first 2 shown]
	v_pack_b32_f16 v66, v1, v69
	v_pack_b32_f16 v67, v77, v78
	;; [unrolled: 1-line block ×4, first 2 shown]
	v_cmp_gt_u32_e32 vcc, 6, v0
	ds_write2st64_b64 v75, v[66:67], v[70:71] offset0:2 offset1:3
	s_and_saveexec_b64 s[4:5], vcc
	s_cbranch_execz .LBB289_15
; %bb.14:
	s_mov_b32 s41, 0
	v_mov_b32_e32 v77, 0
	v_lshl_add_u64 v[66:67], s[40:41], 0, v[76:77]
	v_mov_b32_e32 v1, s7
	v_mad_u64_u32 v[66:67], s[12:13], s2, v1, v[66:67]
	s_mul_i32 s3, s3, s7
	v_mov_b32_e32 v70, s26
	v_mov_b32_e32 v71, v77
	s_load_dwordx4 s[8:11], s[0:1], 0x58
	v_add_u32_e32 v1, s3, v67
	v_mad_u64_u32 v[66:67], s[12:13], v66, s6, v[70:71]
	v_mov_b32_e32 v70, v67
	v_mad_u64_u32 v[70:71], s[12:13], v1, s6, v[70:71]
	v_mov_b32_e32 v67, v70
	v_lshlrev_b64 v[66:67], 2, v[66:67]
	s_waitcnt lgkmcnt(0)
	v_lshl_add_u64 v[70:71], s[10:11], 0, v[66:67]
	v_lshl_add_u64 v[66:67], s[8:9], 0, v[66:67]
	global_store_dword v[70:71], v87, off
	global_store_dword v[66:67], v88, off
.LBB289_15:
	s_or_b64 exec, exec, s[4:5]
	v_lshl_or_b32 v1, v86, 9, v68
	s_waitcnt lgkmcnt(0)
	s_barrier
	ds_read_b128 v[70:73], v1
	ds_read_b128 v[66:69], v1 offset:16
	s_waitcnt vmcnt(15) lgkmcnt(1)
	v_mfma_f32_16x16x16_f16 v[78:81], v[30:31], v[70:71], 0
	s_mov_b32 s3, 0
	v_cmp_gt_u32_e32 vcc, 64, v0
	v_mfma_f32_16x16x16_f16 v[30:33], v[32:33], v[72:73], v[78:81]
	s_waitcnt vmcnt(14) lgkmcnt(0)
	v_mfma_f32_16x16x16_f16 v[30:33], v[26:27], v[66:67], v[30:33]
	v_mfma_f32_16x16x16_f16 v[26:29], v[28:29], v[68:69], v[30:33]
	s_nop 5
	ds_read_b128 v[30:33], v1 offset:2048
	ds_read_b128 v[78:81], v1 offset:2064
	s_waitcnt vmcnt(13) lgkmcnt(1)
	v_mfma_f32_16x16x16_f16 v[26:29], v[22:23], v[30:31], v[26:29]
	v_mfma_f32_16x16x16_f16 v[22:25], v[24:25], v[32:33], v[26:29]
	s_waitcnt vmcnt(12) lgkmcnt(0)
	v_mfma_f32_16x16x16_f16 v[22:25], v[18:19], v[78:79], v[22:25]
	v_mfma_f32_16x16x16_f16 v[18:21], v[20:21], v[80:81], v[22:25]
	s_nop 5
	ds_read_b128 v[22:25], v1 offset:4096
	ds_read_b128 v[26:29], v1 offset:4112
	s_waitcnt vmcnt(11) lgkmcnt(1)
	v_mfma_f32_16x16x16_f16 v[18:21], v[14:15], v[22:23], v[18:21]
	v_mfma_f32_16x16x16_f16 v[14:17], v[16:17], v[24:25], v[18:21]
	s_waitcnt vmcnt(10) lgkmcnt(0)
	v_mfma_f32_16x16x16_f16 v[14:17], v[10:11], v[26:27], v[14:17]
	v_mfma_f32_16x16x16_f16 v[10:13], v[12:13], v[28:29], v[14:17]
	s_nop 5
	ds_read_b128 v[14:17], v1 offset:6144
	ds_read_b128 v[18:21], v1 offset:6160
	s_waitcnt lgkmcnt(0)
	s_barrier
	s_waitcnt vmcnt(9)
	v_mfma_f32_16x16x16_f16 v[10:13], v[6:7], v[14:15], v[10:13]
	v_mfma_f32_16x16x16_f16 v[6:9], v[8:9], v[16:17], v[10:13]
	s_waitcnt vmcnt(8)
	v_mfma_f32_16x16x16_f16 v[6:9], v[2:3], v[18:19], v[6:9]
	v_mfma_f32_16x16x16_f16 v[2:5], v[4:5], v[20:21], v[6:9]
	;; [unrolled: 3-line block ×3, first 2 shown]
	s_nop 3
	v_cvt_f16_f32_e32 v1, v2
	v_cvt_f16_f32_e32 v10, v3
	;; [unrolled: 1-line block ×3, first 2 shown]
	s_waitcnt vmcnt(6)
	v_mfma_f32_16x16x16_f16 v[6:9], v[38:39], v[66:67], v[6:9]
	v_cvt_f16_f32_e32 v12, v5
	v_mfma_f32_16x16x16_f16 v[6:9], v[40:41], v[68:69], v[6:9]
	s_waitcnt vmcnt(5)
	v_mfma_f32_16x16x16_f16 v[6:9], v[42:43], v[30:31], v[6:9]
	v_mfma_f32_16x16x16_f16 v[6:9], v[44:45], v[32:33], v[6:9]
	s_waitcnt vmcnt(4)
	v_mfma_f32_16x16x16_f16 v[6:9], v[34:35], v[78:79], v[6:9]
	;; [unrolled: 3-line block ×6, first 2 shown]
	v_mfma_f32_16x16x16_f16 v[2:5], v[60:61], v[20:21], v[6:9]
	s_nop 6
	v_cvt_f16_f32_e32 v6, v2
	v_cvt_f16_f32_e32 v7, v3
	;; [unrolled: 1-line block ×4, first 2 shown]
	v_pack_b32_f16 v2, v1, v10
	v_pack_b32_f16 v3, v11, v12
	;; [unrolled: 1-line block ×4, first 2 shown]
	ds_write2st64_b64 v75, v[2:3], v[4:5] offset1:1
	s_waitcnt lgkmcnt(0)
	s_barrier
	s_and_saveexec_b64 s[4:5], vcc
	s_cbranch_execz .LBB289_18
; %bb.16:
	s_load_dwordx2 s[4:5], s[0:1], 0x68
	s_lshl_b32 s0, s6, 7
	s_mul_i32 s1, s7, s2
	v_lshlrev_b32_e32 v4, 6, v76
	s_mul_hi_u32 s7, s1, s0
	s_mul_i32 s6, s1, s0
	v_lshlrev_b32_e32 v3, 4, v0
	v_lshl_or_b32 v0, v0, 10, v4
	s_lshl_b64 s[6:7], s[6:7], 1
	v_lshlrev_b32_e32 v1, 5, v86
	v_and_b32_e32 v3, 16, v3
	v_and_b32_e32 v0, 0x1a00, v0
	s_waitcnt lgkmcnt(0)
	s_add_u32 s1, s4, s6
	v_or3_b32 v3, v0, v1, v3
	s_addc_u32 s4, s5, s7
	s_lshl_b32 s2, s26, 7
	s_lshl_b64 s[2:3], s[2:3], 1
	ds_read_b128 v[4:7], v3
	s_add_u32 s2, s1, s2
	s_addc_u32 s3, s4, s3
	v_mov_b32_e32 v75, 0
	v_add_u32_e32 v8, s40, v86
	v_or_b32_e32 v2, 4, v86
	v_lshl_add_u64 v[0:1], s[2:3], 0, v[74:75]
	v_mad_u64_u32 v[8:9], s[2:3], v8, s0, 0
	v_lshl_add_u64 v[8:9], v[8:9], 1, v[0:1]
	v_cmp_gt_u32_e32 vcc, 6, v2
	s_waitcnt lgkmcnt(0)
	global_store_dwordx4 v[8:9], v[4:7], off
	s_and_b64 exec, exec, vcc
	s_cbranch_execz .LBB289_18
; %bb.17:
	ds_read_b128 v[4:7], v3 offset:128
	v_add_u32_e32 v2, s40, v2
	v_mad_u64_u32 v[2:3], s[0:1], v2, s0, 0
	v_lshl_add_u64 v[0:1], v[2:3], 1, v[0:1]
	s_waitcnt lgkmcnt(0)
	global_store_dwordx4 v[0:1], v[4:7], off
.LBB289_18:
	s_endpgm
	.section	.rodata,"a",@progbits
	.p2align	6, 0x0
	.amdhsa_kernel _Z39paged_attention_ll4mi_QKV_mfma16_kernelIDF16_DF16_LN4vllm18Fp8KVCacheDataTypeE0EDF16_Li16ELi128ELi256ELb0ELi6EEvPKT_PKT0_S7_ifPKiS9_S9_iPKfiiiPfSC_PS2_PT2_iSB_SB_
		.amdhsa_group_segment_fixed_size 8192
		.amdhsa_private_segment_fixed_size 0
		.amdhsa_kernarg_size 400
		.amdhsa_user_sgpr_count 2
		.amdhsa_user_sgpr_dispatch_ptr 0
		.amdhsa_user_sgpr_queue_ptr 0
		.amdhsa_user_sgpr_kernarg_segment_ptr 1
		.amdhsa_user_sgpr_dispatch_id 0
		.amdhsa_user_sgpr_kernarg_preload_length 0
		.amdhsa_user_sgpr_kernarg_preload_offset 0
		.amdhsa_user_sgpr_private_segment_size 0
		.amdhsa_uses_dynamic_stack 0
		.amdhsa_enable_private_segment 0
		.amdhsa_system_sgpr_workgroup_id_x 1
		.amdhsa_system_sgpr_workgroup_id_y 1
		.amdhsa_system_sgpr_workgroup_id_z 1
		.amdhsa_system_sgpr_workgroup_info 0
		.amdhsa_system_vgpr_workitem_id 0
		.amdhsa_next_free_vgpr 96
		.amdhsa_next_free_sgpr 42
		.amdhsa_accum_offset 96
		.amdhsa_reserve_vcc 1
		.amdhsa_float_round_mode_32 0
		.amdhsa_float_round_mode_16_64 0
		.amdhsa_float_denorm_mode_32 3
		.amdhsa_float_denorm_mode_16_64 3
		.amdhsa_dx10_clamp 1
		.amdhsa_ieee_mode 1
		.amdhsa_fp16_overflow 0
		.amdhsa_tg_split 0
		.amdhsa_exception_fp_ieee_invalid_op 0
		.amdhsa_exception_fp_denorm_src 0
		.amdhsa_exception_fp_ieee_div_zero 0
		.amdhsa_exception_fp_ieee_overflow 0
		.amdhsa_exception_fp_ieee_underflow 0
		.amdhsa_exception_fp_ieee_inexact 0
		.amdhsa_exception_int_div_zero 0
	.end_amdhsa_kernel
	.section	.text._Z39paged_attention_ll4mi_QKV_mfma16_kernelIDF16_DF16_LN4vllm18Fp8KVCacheDataTypeE0EDF16_Li16ELi128ELi256ELb0ELi6EEvPKT_PKT0_S7_ifPKiS9_S9_iPKfiiiPfSC_PS2_PT2_iSB_SB_,"axG",@progbits,_Z39paged_attention_ll4mi_QKV_mfma16_kernelIDF16_DF16_LN4vllm18Fp8KVCacheDataTypeE0EDF16_Li16ELi128ELi256ELb0ELi6EEvPKT_PKT0_S7_ifPKiS9_S9_iPKfiiiPfSC_PS2_PT2_iSB_SB_,comdat
.Lfunc_end289:
	.size	_Z39paged_attention_ll4mi_QKV_mfma16_kernelIDF16_DF16_LN4vllm18Fp8KVCacheDataTypeE0EDF16_Li16ELi128ELi256ELb0ELi6EEvPKT_PKT0_S7_ifPKiS9_S9_iPKfiiiPfSC_PS2_PT2_iSB_SB_, .Lfunc_end289-_Z39paged_attention_ll4mi_QKV_mfma16_kernelIDF16_DF16_LN4vllm18Fp8KVCacheDataTypeE0EDF16_Li16ELi128ELi256ELb0ELi6EEvPKT_PKT0_S7_ifPKiS9_S9_iPKfiiiPfSC_PS2_PT2_iSB_SB_
                                        ; -- End function
	.section	.AMDGPU.csdata,"",@progbits
; Kernel info:
; codeLenInByte = 4404
; NumSgprs: 48
; NumVgprs: 96
; NumAgprs: 0
; TotalNumVgprs: 96
; ScratchSize: 0
; MemoryBound: 0
; FloatMode: 240
; IeeeMode: 1
; LDSByteSize: 8192 bytes/workgroup (compile time only)
; SGPRBlocks: 5
; VGPRBlocks: 11
; NumSGPRsForWavesPerEU: 48
; NumVGPRsForWavesPerEU: 96
; AccumOffset: 96
; Occupancy: 5
; WaveLimiterHint : 1
; COMPUTE_PGM_RSRC2:SCRATCH_EN: 0
; COMPUTE_PGM_RSRC2:USER_SGPR: 2
; COMPUTE_PGM_RSRC2:TRAP_HANDLER: 0
; COMPUTE_PGM_RSRC2:TGID_X_EN: 1
; COMPUTE_PGM_RSRC2:TGID_Y_EN: 1
; COMPUTE_PGM_RSRC2:TGID_Z_EN: 1
; COMPUTE_PGM_RSRC2:TIDIG_COMP_CNT: 0
; COMPUTE_PGM_RSRC3_GFX90A:ACCUM_OFFSET: 23
; COMPUTE_PGM_RSRC3_GFX90A:TG_SPLIT: 0
	.section	.text._Z39paged_attention_ll4mi_QKV_mfma16_kernelIDF16_DF16_LN4vllm18Fp8KVCacheDataTypeE0EDF16_Li16ELi128ELi256ELb0ELi7EEvPKT_PKT0_S7_ifPKiS9_S9_iPKfiiiPfSC_PS2_PT2_iSB_SB_,"axG",@progbits,_Z39paged_attention_ll4mi_QKV_mfma16_kernelIDF16_DF16_LN4vllm18Fp8KVCacheDataTypeE0EDF16_Li16ELi128ELi256ELb0ELi7EEvPKT_PKT0_S7_ifPKiS9_S9_iPKfiiiPfSC_PS2_PT2_iSB_SB_,comdat
	.protected	_Z39paged_attention_ll4mi_QKV_mfma16_kernelIDF16_DF16_LN4vllm18Fp8KVCacheDataTypeE0EDF16_Li16ELi128ELi256ELb0ELi7EEvPKT_PKT0_S7_ifPKiS9_S9_iPKfiiiPfSC_PS2_PT2_iSB_SB_ ; -- Begin function _Z39paged_attention_ll4mi_QKV_mfma16_kernelIDF16_DF16_LN4vllm18Fp8KVCacheDataTypeE0EDF16_Li16ELi128ELi256ELb0ELi7EEvPKT_PKT0_S7_ifPKiS9_S9_iPKfiiiPfSC_PS2_PT2_iSB_SB_
	.globl	_Z39paged_attention_ll4mi_QKV_mfma16_kernelIDF16_DF16_LN4vllm18Fp8KVCacheDataTypeE0EDF16_Li16ELi128ELi256ELb0ELi7EEvPKT_PKT0_S7_ifPKiS9_S9_iPKfiiiPfSC_PS2_PT2_iSB_SB_
	.p2align	8
	.type	_Z39paged_attention_ll4mi_QKV_mfma16_kernelIDF16_DF16_LN4vllm18Fp8KVCacheDataTypeE0EDF16_Li16ELi128ELi256ELb0ELi7EEvPKT_PKT0_S7_ifPKiS9_S9_iPKfiiiPfSC_PS2_PT2_iSB_SB_,@function
_Z39paged_attention_ll4mi_QKV_mfma16_kernelIDF16_DF16_LN4vllm18Fp8KVCacheDataTypeE0EDF16_Li16ELi128ELi256ELb0ELi7EEvPKT_PKT0_S7_ifPKiS9_S9_iPKfiiiPfSC_PS2_PT2_iSB_SB_: ; @_Z39paged_attention_ll4mi_QKV_mfma16_kernelIDF16_DF16_LN4vllm18Fp8KVCacheDataTypeE0EDF16_Li16ELi128ELi256ELb0ELi7EEvPKT_PKT0_S7_ifPKiS9_S9_iPKfiiiPfSC_PS2_PT2_iSB_SB_
; %bb.0:
	s_load_dwordx2 s[8:9], s[0:1], 0x30
	s_mov_b32 s26, s3
	s_mov_b64 s[6:7], 0
	s_waitcnt lgkmcnt(0)
	s_cmp_lg_u64 s[8:9], 0
	s_cselect_b64 s[10:11], -1, 0
	s_and_b64 vcc, exec, s[10:11]
	s_cbranch_vccz .LBB290_7
; %bb.1:
	s_add_i32 s12, s2, 1
	s_mov_b32 s13, 0
	s_lshl_b64 s[14:15], s[12:13], 2
	s_add_u32 s14, s8, s14
	s_mov_b32 s3, s13
	s_addc_u32 s15, s9, s15
	s_lshl_b64 s[12:13], s[2:3], 2
	s_add_u32 s12, s8, s12
	s_addc_u32 s13, s9, s13
	s_load_dword s5, s[14:15], 0x0
	s_load_dword s16, s[12:13], 0x0
	s_waitcnt lgkmcnt(0)
	s_sub_i32 s5, s5, s16
	s_cmp_eq_u32 s5, 1
	s_cselect_b64 s[12:13], -1, 0
	s_andn2_b64 vcc, exec, s[6:7]
	s_cbranch_vccnz .LBB290_3
.LBB290_2:
	s_mov_b32 s3, 0
	s_mov_b64 s[12:13], -1
.LBB290_3:
	s_andn2_b64 vcc, exec, s[12:13]
	s_cbranch_vccnz .LBB290_18
; %bb.4:
	s_load_dwordx2 s[6:7], s[0:1], 0x28
	s_lshl_b64 s[16:17], s[2:3], 2
	s_waitcnt lgkmcnt(0)
	s_add_u32 s6, s6, s16
	s_addc_u32 s7, s7, s17
	s_load_dword s33, s[6:7], 0x0
	s_lshl_b32 s18, s26, 8
	s_waitcnt lgkmcnt(0)
	s_cmp_ge_i32 s18, s33
	s_cbranch_scc1 .LBB290_18
; %bb.5:
	s_load_dwordx2 s[6:7], s[0:1], 0x20
	s_load_dword s5, s[0:1], 0x38
	s_add_i32 s12, s33, 15
	s_ashr_i32 s13, s12, 31
	v_and_b32_e32 v1, 0xcf, v0
	s_lshr_b32 s13, s13, 28
	v_add_u32_e32 v1, s18, v1
	s_add_i32 s12, s12, s13
	v_ashrrev_i32_e32 v2, 31, v1
	s_ashr_i32 s19, s12, 4
	v_lshrrev_b32_e32 v4, 28, v2
	s_add_i32 s19, s19, -1
	s_waitcnt lgkmcnt(0)
	s_mul_i32 s12, s2, s5
	s_mov_b32 s13, 0
	v_add_u32_e32 v2, v1, v4
	s_lshl_b64 s[12:13], s[12:13], 2
	v_ashrrev_i32_e32 v2, 4, v2
	v_mov_b32_e32 v5, s19
	v_cmp_gt_i32_e32 vcc, s33, v1
	s_add_u32 s6, s6, s12
	s_addc_u32 s7, s7, s13
	v_cndmask_b32_e32 v2, v5, v2, vcc
	v_ashrrev_i32_e32 v3, 31, v2
	v_lshl_add_u64 v[6:7], v[2:3], 2, s[6:7]
	v_or_b32_e32 v2, 16, v1
	v_add_u32_e32 v3, v2, v4
	v_ashrrev_i32_e32 v3, 4, v3
	v_cmp_gt_i32_e32 vcc, s33, v2
	s_load_dwordx4 s[12:15], s[0:1], 0x8
	s_nop 0
	v_cndmask_b32_e32 v2, v5, v3, vcc
	v_ashrrev_i32_e32 v3, 31, v2
	v_lshl_add_u64 v[8:9], v[2:3], 2, s[6:7]
	v_or_b32_e32 v2, 32, v1
	v_add_u32_e32 v3, v2, v4
	v_ashrrev_i32_e32 v3, 4, v3
	v_cmp_gt_i32_e32 vcc, s33, v2
	v_or_b32_e32 v1, 48, v1
	s_nop 0
	v_cndmask_b32_e32 v2, v5, v3, vcc
	v_ashrrev_i32_e32 v3, 31, v2
	v_lshl_add_u64 v[10:11], v[2:3], 2, s[6:7]
	v_add_u32_e32 v2, v1, v4
	v_ashrrev_i32_e32 v2, 4, v2
	v_cmp_gt_i32_e32 vcc, s33, v1
	s_nop 1
	v_cndmask_b32_e32 v2, v5, v2, vcc
	v_ashrrev_i32_e32 v3, 31, v2
	v_lshl_add_u64 v[12:13], v[2:3], 2, s[6:7]
	global_load_dword v4, v[6:7], off
	global_load_dword v3, v[8:9], off
	global_load_dword v2, v[10:11], off
	global_load_dword v40, v[12:13], off
	s_andn2_b64 vcc, exec, s[10:11]
	s_cbranch_vccnz .LBB290_8
; %bb.6:
	s_add_u32 s8, s8, s16
	s_addc_u32 s9, s9, s17
	s_load_dword s5, s[8:9], 0x0
	s_branch .LBB290_9
.LBB290_7:
	s_mov_b64 s[12:13], 0
	s_branch .LBB290_2
.LBB290_8:
	s_mov_b32 s5, s2
.LBB290_9:
	s_load_dwordx4 s[8:11], s[0:1], 0x48
	v_lshrrev_b32_e32 v77, 6, v0
	v_bfe_u32 v86, v0, 4, 2
	v_and_b32_e32 v76, 15, v0
	v_lshl_or_b32 v1, v77, 2, v86
	v_lshlrev_b32_e32 v5, 3, v76
	v_and_b32_e32 v87, 63, v0
	s_mul_i32 s40, s4, 7
	v_cmp_gt_u32_e32 vcc, 7, v1
	v_lshlrev_b32_e32 v74, 1, v5
	s_and_saveexec_b64 s[16:17], vcc
	s_cbranch_execz .LBB290_11
; %bb.10:
	s_load_dwordx2 s[20:21], s[0:1], 0x0
	s_waitcnt lgkmcnt(0)
	s_ashr_i32 s11, s8, 31
	s_mul_hi_u32 s22, s5, s8
	s_mul_i32 s11, s5, s11
	s_add_i32 s23, s22, s11
	s_mul_i32 s22, s5, s8
	s_lshl_b64 s[22:23], s[22:23], 1
	s_add_u32 s20, s20, s22
	v_add_lshl_u32 v6, v1, s40, 7
	s_addc_u32 s21, s21, s23
	v_ashrrev_i32_e32 v7, 31, v6
	v_lshl_add_u64 v[6:7], v[6:7], 1, s[20:21]
	v_mov_b32_e32 v75, 0
	v_lshl_add_u64 v[6:7], v[6:7], 0, v[74:75]
	global_load_dwordx4 v[6:9], v[6:7], off
	v_and_b32_e32 v5, 3, v0
	v_lshlrev_b32_e32 v10, 9, v76
	v_lshlrev_b32_e32 v1, 5, v1
	;; [unrolled: 1-line block ×3, first 2 shown]
	v_and_b32_e32 v10, 0x1800, v10
	v_or3_b32 v1, v10, v5, v1
	s_waitcnt vmcnt(0)
	ds_write_b128 v1, v[6:9]
.LBB290_11:
	s_or_b64 exec, exec, s[16:17]
	s_waitcnt lgkmcnt(0)
	s_mul_i32 s4, s4, s10
	s_mov_b32 s5, 0
	s_lshl_b64 s[4:5], s[4:5], 1
	s_add_u32 s10, s12, s4
	v_lshlrev_b32_e32 v1, 4, v0
	s_addc_u32 s11, s13, s5
	v_and_b32_e32 v34, 0xf0, v1
	v_mov_b32_e32 v35, 0
	v_lshl_add_u64 v[30:31], s[10:11], 0, v[34:35]
	s_waitcnt vmcnt(3)
	v_mad_i64_i32 v[4:5], s[10:11], v4, s9, 0
	v_lshl_add_u64 v[4:5], v[4:5], 1, v[30:31]
	v_and_b32_e32 v34, 0x300, v1
	v_lshl_add_u64 v[32:33], v[4:5], 0, v[34:35]
	s_load_dword s27, s[0:1], 0x98
	s_load_dword s8, s[0:1], 0x1c
	s_waitcnt lgkmcnt(0)
	s_barrier
	global_load_dwordx4 v[6:9], v[32:33], off
	global_load_dwordx4 v[18:21], v[32:33], off offset:1024
	s_waitcnt vmcnt(4)
	v_mad_i64_i32 v[4:5], s[10:11], v3, s9, 0
	v_lshl_add_u64 v[4:5], v[4:5], 1, v[30:31]
	v_lshl_add_u64 v[36:37], v[4:5], 0, v[34:35]
	global_load_dwordx4 v[14:17], v[36:37], off
	global_load_dwordx4 v[22:25], v[36:37], off offset:1024
	s_waitcnt vmcnt(5)
	v_mad_i64_i32 v[2:3], s[10:11], v2, s9, 0
	v_lshl_add_u64 v[2:3], v[2:3], 1, v[30:31]
	v_lshl_add_u64 v[38:39], v[2:3], 0, v[34:35]
	global_load_dwordx4 v[26:29], v[38:39], off
	global_load_dwordx4 v[46:49], v[38:39], off offset:1024
	v_mul_lo_u16_e32 v2, 37, v76
	v_mov_b32_e32 v3, 7
	v_mul_lo_u16_sdwa v2, v2, v3 dst_sel:DWORD dst_unused:UNUSED_PAD src0_sel:BYTE_1 src1_sel:DWORD
	v_mov_b32_e32 v4, 5
	v_sub_u16_e32 v2, v76, v2
	v_lshlrev_b32_sdwa v2, v4, v2 dst_sel:DWORD dst_unused:UNUSED_PAD src0_sel:DWORD src1_sel:BYTE_0
	v_lshl_add_u32 v41, v86, 9, v2
	ds_read_b128 v[10:13], v41
	ds_read_b128 v[2:5], v41 offset:2048
	global_load_dwordx4 v[54:57], v[32:33], off offset:2048
	global_load_dwordx4 v[62:65], v[36:37], off offset:2048
	v_mov_b32_e32 v70, s19
	s_add_u32 s4, s14, s4
	s_addc_u32 s5, s15, s5
	s_mov_b32 s41, 0xff7fffff
	s_waitcnt vmcnt(7) lgkmcnt(1)
	v_mfma_f32_16x16x16_f16 v[42:45], v[6:7], v[10:11], 0
	v_mfma_f32_16x16x16_f16 v[6:9], v[8:9], v[12:13], v[42:45]
	s_nop 5
	global_load_dwordx4 v[42:45], v[38:39], off offset:2048
	s_waitcnt vmcnt(6)
	v_mfma_f32_16x16x16_f16 v[50:53], v[14:15], v[10:11], 0
	s_waitcnt vmcnt(4)
	v_mfma_f32_16x16x16_f16 v[58:61], v[26:27], v[10:11], 0
	v_mfma_f32_16x16x16_f16 v[14:17], v[16:17], v[12:13], v[50:53]
	s_nop 3
	global_load_dwordx4 v[50:53], v[32:33], off offset:3072
	v_mfma_f32_16x16x16_f16 v[26:29], v[28:29], v[12:13], v[58:61]
	v_mad_i64_i32 v[32:33], s[10:11], v40, s9, 0
	v_and_or_b32 v40, v0, 48, s18
	s_waitcnt lgkmcnt(0)
	v_mfma_f32_16x16x16_f16 v[14:17], v[22:23], v[2:3], v[14:17]
	v_ashrrev_i32_e32 v58, 4, v40
	v_cmp_gt_i32_e32 vcc, s33, v40
	v_or_b32_e32 v66, 64, v40
	v_mfma_f32_16x16x16_f16 v[6:9], v[18:19], v[2:3], v[6:9]
	v_cndmask_b32_e32 v18, v70, v58, vcc
	global_load_dwordx4 v[58:61], v[36:37], off offset:3072
	v_ashrrev_i32_e32 v22, 4, v66
	s_waitcnt vmcnt(5)
	v_mfma_f32_16x16x16_f16 v[26:29], v[46:47], v[2:3], v[26:29]
	v_ashrrev_i32_e32 v19, 31, v18
	v_cmp_gt_i32_e32 vcc, s33, v66
	v_lshl_add_u64 v[18:19], v[18:19], 2, s[6:7]
	v_mfma_f32_16x16x16_f16 v[14:17], v[24:25], v[4:5], v[14:17]
	v_cndmask_b32_e32 v36, v70, v22, vcc
	global_load_dwordx4 v[22:25], v[38:39], off offset:3072
	global_load_dword v82, v[18:19], off
	v_mfma_f32_16x16x16_f16 v[6:9], v[20:21], v[4:5], v[6:9]
	v_ashrrev_i32_e32 v37, 31, v36
	ds_read_b128 v[66:69], v41 offset:4096
	v_or_b32_e32 v71, 0x80, v40
	v_mfma_f32_16x16x16_f16 v[18:21], v[48:49], v[4:5], v[26:29]
	v_ashrrev_i32_e32 v73, 4, v71
	v_cmp_gt_i32_e32 vcc, s33, v71
	v_or_b32_e32 v72, 0xc0, v40
	v_lshl_add_u64 v[26:27], v[32:33], 1, v[30:31]
	v_lshl_add_u64 v[26:27], v[26:27], 0, v[34:35]
	;; [unrolled: 1-line block ×3, first 2 shown]
	global_load_dwordx4 v[46:49], v[26:27], off
	global_load_dword v36, v[28:29], off
	s_waitcnt vmcnt(8) lgkmcnt(0)
	v_mfma_f32_16x16x16_f16 v[6:9], v[54:55], v[66:67], v[6:9]
	v_cndmask_b32_e32 v28, v70, v73, vcc
	v_ashrrev_i32_e32 v29, 31, v28
	v_ashrrev_i32_e32 v75, 4, v72
	v_mfma_f32_16x16x16_f16 v[6:9], v[56:57], v[68:69], v[6:9]
	global_load_dwordx4 v[54:57], v[26:27], off offset:1024
	v_lshl_add_u64 v[28:29], v[28:29], 2, s[6:7]
	v_cmp_gt_i32_e32 vcc, s33, v72
	global_load_dword v83, v[28:29], off
	s_waitcnt vmcnt(9)
	v_mfma_f32_16x16x16_f16 v[14:17], v[62:63], v[66:67], v[14:17]
	v_cndmask_b32_e32 v28, v70, v75, vcc
	v_ashrrev_i32_e32 v29, 31, v28
	v_lshl_add_u64 v[28:29], v[28:29], 2, s[6:7]
	v_mfma_f32_16x16x16_f16 v[14:17], v[64:65], v[68:69], v[14:17]
	global_load_dword v64, v[28:29], off
	ds_read_b128 v[38:41], v41 offset:6144
	v_lshl_or_b32 v75, v77, 4, v76
	v_lshlrev_b32_e32 v34, 5, v75
	v_lshl_add_u64 v[62:63], s[4:5], 0, v[34:35]
	v_or_b32_e32 v34, 0x800, v34
	s_waitcnt vmcnt(9)
	v_mfma_f32_16x16x16_f16 v[18:21], v[42:43], v[66:67], v[18:21]
	global_load_dwordx4 v[70:73], v[26:27], off offset:3072
	v_mfma_f32_16x16x16_f16 v[18:21], v[44:45], v[68:69], v[18:21]
	global_load_dwordx4 v[42:45], v[26:27], off offset:2048
	s_waitcnt vmcnt(10) lgkmcnt(0)
	v_mfma_f32_16x16x16_f16 v[6:9], v[50:51], v[38:39], v[6:9]
	v_mfma_f32_16x16x16_f16 v[78:81], v[52:53], v[40:41], v[6:9]
	s_waitcnt vmcnt(9)
	v_mfma_f32_16x16x16_f16 v[14:17], v[58:59], v[38:39], v[14:17]
	s_waitcnt vmcnt(7)
	s_nop 2
	v_mad_i64_i32 v[6:7], s[6:7], v82, s9, 0
	v_lshlrev_b64 v[52:53], 1, v[6:7]
	v_lshl_add_u64 v[6:7], v[62:63], 0, v[52:53]
	global_load_dwordx4 v[30:33], v[6:7], off
	global_load_dwordx4 v[26:29], v[6:7], off offset:16
	v_mfma_f32_16x16x16_f16 v[6:9], v[22:23], v[38:39], v[18:21]
	v_mfma_f32_16x16x16_f16 v[88:91], v[60:61], v[40:41], v[14:17]
	v_pk_mul_f32 v[60:61], s[8:9], v[78:79] op_sel_hi:[0,1]
	s_waitcnt vmcnt(7)
	s_nop 0
	v_mad_i64_i32 v[14:15], s[6:7], v36, s9, 0
	v_lshlrev_b64 v[36:37], 1, v[14:15]
	v_mfma_f32_16x16x16_f16 v[92:95], v[24:25], v[40:41], v[6:9]
	s_nop 0
	v_pk_mul_f32 v[84:85], s[8:9], v[90:91] op_sel_hi:[0,1]
	s_nop 0
	v_lshl_add_u64 v[6:7], v[62:63], 0, v[36:37]
	global_load_dwordx4 v[22:25], v[6:7], off
	global_load_dwordx4 v[18:21], v[6:7], off offset:16
	v_mfma_f32_16x16x16_f16 v[6:9], v[46:47], v[10:11], 0
	s_waitcnt vmcnt(7)
	v_mad_i64_i32 v[10:11], s[6:7], v83, s9, 0
	v_pk_mul_f32 v[82:83], s[8:9], v[80:81] op_sel_hi:[0,1]
	v_mfma_f32_16x16x16_f16 v[6:9], v[48:49], v[12:13], v[6:9]
	v_pk_mul_f32 v[80:81], s[8:9], v[92:93] op_sel_hi:[0,1]
	v_pk_mul_f32 v[78:79], s[8:9], v[94:95] op_sel_hi:[0,1]
	v_lshlrev_b64 v[50:51], 1, v[10:11]
	v_mfma_f32_16x16x16_f16 v[6:9], v[54:55], v[2:3], v[6:9]
	s_waitcnt vmcnt(6)
	v_mad_i64_i32 v[2:3], s[6:7], v64, s9, 0
	v_lshlrev_b64 v[58:59], 1, v[2:3]
	v_mfma_f32_16x16x16_f16 v[46:49], v[56:57], v[4:5], v[6:9]
	v_lshl_add_u64 v[10:11], v[62:63], 0, v[50:51]
	v_lshl_add_u64 v[2:3], v[62:63], 0, v[58:59]
	;; [unrolled: 1-line block ×4, first 2 shown]
	global_load_dwordx4 v[14:17], v[10:11], off
	s_nop 0
	global_load_dwordx4 v[10:13], v[10:11], off offset:16
	s_nop 0
	global_load_dwordx4 v[6:9], v[2:3], off
	s_nop 0
	global_load_dwordx4 v[2:5], v[2:3], off offset:16
	v_lshl_add_u64 v[50:51], v[62:63], 0, v[50:51]
	v_lshl_add_u64 v[58:59], v[62:63], 0, v[58:59]
	s_waitcnt vmcnt(8)
	v_mfma_f32_16x16x16_f16 v[46:49], v[42:43], v[66:67], v[46:49]
	v_mfma_f32_16x16x16_f16 v[42:45], v[44:45], v[68:69], v[46:49]
	;; [unrolled: 1-line block ×3, first 2 shown]
	v_pk_mul_f32 v[70:71], s[8:9], v[88:89] op_sel_hi:[0,1]
	v_mfma_f32_16x16x16_f16 v[38:41], v[72:73], v[40:41], v[42:45]
	s_nop 6
	v_pk_mul_f32 v[72:73], s[8:9], v[38:39] op_sel_hi:[0,1]
	v_and_b32_e32 v38, 0xc0, v0
	v_add_u32_e32 v38, s18, v38
	v_lshl_or_b32 v38, v86, 2, v38
	v_pk_mul_f32 v[66:67], s[8:9], v[40:41] op_sel_hi:[0,1]
	v_or_b32_e32 v41, 1, v38
	v_mov_b32_e32 v39, 0xff7fffff
	v_cmp_gt_i32_e64 s[28:29], s33, v38
	v_cmp_gt_i32_e64 s[30:31], s33, v41
	v_or_b32_e32 v42, 3, v38
	v_cndmask_b32_e64 v40, v39, v60, s[28:29]
	v_cndmask_b32_e64 v41, v39, v61, s[30:31]
	v_max3_f32 v40, v40, s41, v41
	v_or_b32_e32 v41, 2, v38
	v_cmp_gt_i32_e64 s[34:35], s33, v41
	v_cmp_gt_i32_e64 s[36:37], s33, v42
	s_nop 0
	v_cndmask_b32_e64 v41, v39, v82, s[34:35]
	v_cndmask_b32_e64 v42, v39, v83, s[36:37]
	v_max3_f32 v40, v40, v41, v42
	v_or_b32_e32 v41, 16, v38
	v_or_b32_e32 v42, 17, v38
	v_cmp_gt_i32_e64 s[22:23], s33, v41
	v_cmp_gt_i32_e64 s[24:25], s33, v42
	s_nop 0
	v_cndmask_b32_e64 v41, v39, v70, s[22:23]
	v_cndmask_b32_e64 v42, v39, v71, s[24:25]
	v_max3_f32 v40, v40, v41, v42
	v_or_b32_e32 v41, 18, v38
	;; [unrolled: 8-line block ×6, first 2 shown]
	v_or_b32_e32 v38, 51, v38
	v_cmp_gt_i32_e32 vcc, s33, v41
	v_cmp_gt_i32_e64 s[4:5], s33, v38
	s_nop 0
	v_cndmask_b32_e32 v41, v39, v66, vcc
	v_cndmask_b32_e64 v38, v39, v67, s[4:5]
	v_max3_f32 v52, v40, v41, v38
	v_mbcnt_lo_u32_b32 v38, -1, 0
	v_mbcnt_hi_u32_b32 v53, -1, v38
	v_and_b32_e32 v38, 64, v53
	v_add_u32_e32 v54, 64, v38
	v_xor_b32_e32 v38, 32, v53
	v_cmp_lt_i32_e64 s[38:39], v38, v54
	s_nop 1
	v_cndmask_b32_e64 v38, v53, v38, s[38:39]
	v_lshlrev_b32_e32 v89, 2, v38
	ds_bpermute_b32 v55, v89, v52
	global_load_dwordx4 v[46:49], v[34:35], off
	global_load_dwordx4 v[38:41], v[34:35], off offset:16
	v_lshl_add_u64 v[34:35], v[62:63], 0, v[36:37]
	global_load_dwordx4 v[42:45], v[34:35], off
	s_nop 0
	global_load_dwordx4 v[34:37], v[34:35], off offset:16
	s_waitcnt lgkmcnt(0)
	v_max_f32_e32 v55, v55, v55
	v_max_f32_e32 v64, v52, v55
	v_xor_b32_e32 v52, 16, v53
	v_cmp_lt_i32_e64 s[38:39], v52, v54
	s_nop 1
	v_cndmask_b32_e64 v52, v53, v52, s[38:39]
	v_lshlrev_b32_e32 v90, 2, v52
	ds_bpermute_b32 v65, v90, v64
	global_load_dwordx4 v[54:57], v[50:51], off
	s_nop 0
	global_load_dwordx4 v[50:53], v[50:51], off offset:16
	s_waitcnt lgkmcnt(0)
	v_max_f32_e32 v62, v65, v65
	v_max_f32_e32 v88, v64, v62
	v_sub_f32_e32 v60, v60, v88
	v_mul_f32_e32 v60, 0x3fb8aa3b, v60
	v_exp_f32_e32 v68, v60
	v_sub_f32_e32 v60, v61, v88
	v_mul_f32_e32 v60, 0x3fb8aa3b, v60
	v_exp_f32_e32 v69, v60
	global_load_dwordx4 v[62:65], v[58:59], off
	s_nop 0
	global_load_dwordx4 v[58:61], v[58:59], off offset:16
	v_sub_f32_e32 v82, v82, v88
	v_mul_f32_e32 v82, 0x3fb8aa3b, v82
	v_sub_f32_e32 v83, v83, v88
	v_exp_f32_e32 v82, v82
	v_mul_f32_e32 v83, 0x3fb8aa3b, v83
	v_sub_f32_e32 v70, v70, v88
	v_exp_f32_e32 v83, v83
	v_mul_f32_e32 v70, 0x3fb8aa3b, v70
	v_sub_f32_e32 v71, v71, v88
	v_cndmask_b32_e64 v68, 0, v68, s[28:29]
	v_exp_f32_e32 v70, v70
	v_mul_f32_e32 v71, 0x3fb8aa3b, v71
	v_sub_f32_e32 v84, v84, v88
	v_add_f32_e32 v91, 0, v68
	v_cndmask_b32_e64 v69, 0, v69, s[30:31]
	v_exp_f32_e32 v71, v71
	v_mul_f32_e32 v84, 0x3fb8aa3b, v84
	v_sub_f32_e32 v85, v85, v88
	v_add_f32_e32 v91, v91, v69
	;; [unrolled: 5-line block ×10, first 2 shown]
	v_cndmask_b32_e64 v78, 0, v78, s[10:11]
	v_exp_f32_e32 v66, v66
	v_mul_f32_e32 v67, 0x3fb8aa3b, v67
	v_add_f32_e32 v91, v91, v78
	v_cndmask_b32_e64 v79, 0, v79, s[12:13]
	v_exp_f32_e32 v67, v67
	v_add_f32_e32 v91, v91, v79
	v_cndmask_b32_e64 v72, 0, v72, s[6:7]
	v_add_f32_e32 v91, v91, v72
	v_cndmask_b32_e64 v73, 0, v73, s[8:9]
	v_add_f32_e32 v91, v91, v73
	v_cndmask_b32_e32 v66, 0, v66, vcc
	v_add_f32_e32 v91, v91, v66
	v_cndmask_b32_e64 v67, 0, v67, s[4:5]
	v_add_f32_e32 v91, v91, v67
	ds_bpermute_b32 v89, v89, v91
	v_cmp_gt_u32_e32 vcc, 16, v87
	s_waitcnt lgkmcnt(0)
	s_barrier
	v_add_f32_e32 v89, v91, v89
	ds_bpermute_b32 v90, v90, v89
	s_and_saveexec_b64 s[4:5], vcc
	s_cbranch_execz .LBB290_13
; %bb.12:
	s_waitcnt lgkmcnt(0)
	v_add_f32_e32 v87, v89, v90
	v_lshlrev_b32_e32 v75, 2, v75
	ds_write2st64_b32 v75, v88, v87 offset1:1
.LBB290_13:
	s_or_b64 exec, exec, s[4:5]
	v_lshlrev_b32_e32 v75, 2, v76
	s_load_dword s6, s[0:1], 0x94
	s_waitcnt lgkmcnt(0)
	s_barrier
	ds_read2_b32 v[88:89], v75 offset1:16
	ds_read2_b32 v[90:91], v75 offset0:32 offset1:48
	ds_read2_b32 v[92:93], v75 offset0:64 offset1:80
	;; [unrolled: 1-line block ×3, first 2 shown]
	s_waitcnt lgkmcnt(0)
	v_max3_f32 v87, v88, s41, v89
	v_max3_f32 v87, v87, v90, v91
	v_sub_f32_e32 v88, v88, v87
	v_mul_f32_e32 v88, 0x3fb8aa3b, v88
	v_exp_f32_e32 v1, v88
	v_sub_f32_e32 v88, v89, v87
	v_mul_f32_e32 v88, 0x3fb8aa3b, v88
	v_exp_f32_e32 v89, v88
	v_sub_f32_e32 v88, v90, v87
	v_mul_f32_e32 v88, 0x3fb8aa3b, v88
	v_sub_f32_e32 v75, v91, v87
	v_exp_f32_e32 v90, v88
	v_mul_f32_e32 v75, 0x3fb8aa3b, v75
	v_exp_f32_e32 v75, v75
	v_fma_f32 v88, v1, v92, 0
	v_fmac_f32_e32 v88, v89, v93
	v_fmac_f32_e32 v88, v90, v94
	;; [unrolled: 1-line block ×3, first 2 shown]
	v_add_f32_e32 v91, 0x358637bd, v88
	v_div_scale_f32 v92, s[4:5], v91, v91, 1.0
	v_rcp_f32_e32 v93, v92
	s_barrier
	s_mul_i32 s7, s27, 7
	v_fma_f32 v94, -v92, v93, 1.0
	v_fmac_f32_e32 v93, v94, v93
	v_div_scale_f32 v94, vcc, 1.0, v91, 1.0
	v_mul_f32_e32 v95, v94, v93
	v_fma_f32 v86, -v92, v95, v94
	v_fmac_f32_e32 v95, v86, v93
	v_fma_f32 v86, -v92, v95, v94
	v_div_fmas_f32 v86, v86, v93, v95
	v_cmp_eq_u32_e32 vcc, 1, v77
	v_div_fixup_f32 v86, v86, v91, 1.0
	s_nop 0
	v_cndmask_b32_e32 v1, v1, v89, vcc
	v_cmp_eq_u32_e32 vcc, 2, v77
	s_nop 1
	v_cndmask_b32_e32 v1, v1, v90, vcc
	v_cmp_eq_u32_e32 vcc, 3, v77
	s_nop 1
	v_cndmask_b32_e32 v1, v1, v75, vcc
	v_mul_f32_e32 v90, v1, v86
	v_pk_mul_f32 v[82:83], v[90:91], v[82:83] op_sel_hi:[0,1]
	v_pk_mul_f32 v[68:69], v[90:91], v[68:69] op_sel_hi:[0,1]
	v_cvt_f16_f32_e32 v1, v68
	v_cvt_f16_f32_e32 v68, v69
	;; [unrolled: 1-line block ×4, first 2 shown]
	v_pk_mul_f32 v[84:85], v[90:91], v[84:85] op_sel_hi:[0,1]
	v_pk_mul_f32 v[70:71], v[90:91], v[70:71] op_sel_hi:[0,1]
	v_bfe_u32 v86, v0, 4, 2
	v_pack_b32_f16 v83, v69, v75
	v_cvt_f16_f32_e32 v69, v70
	v_cvt_f16_f32_e32 v70, v71
	;; [unrolled: 1-line block ×4, first 2 shown]
	v_pack_b32_f16 v82, v1, v68
	v_lshlrev_b32_e32 v1, 3, v86
	v_lshlrev_b32_e32 v68, 5, v76
	;; [unrolled: 1-line block ×3, first 2 shown]
	v_or3_b32 v75, v75, v68, v1
	v_pack_b32_f16 v70, v69, v70
	v_pack_b32_f16 v71, v71, v84
	ds_write2st64_b64 v75, v[82:83], v[70:71] offset1:1
	v_pk_mul_f32 v[70:71], v[90:91], v[78:79] op_sel_hi:[0,1]
	v_pk_mul_f32 v[78:79], v[90:91], v[80:81] op_sel_hi:[0,1]
	v_cvt_f16_f32_e32 v1, v78
	v_cvt_f16_f32_e32 v77, v70
	;; [unrolled: 1-line block ×3, first 2 shown]
	v_pk_mul_f32 v[66:67], v[90:91], v[66:67] op_sel_hi:[0,1]
	v_pk_mul_f32 v[70:71], v[90:91], v[72:73] op_sel_hi:[0,1]
	v_cvt_f16_f32_e32 v69, v79
	v_cvt_f16_f32_e32 v70, v70
	;; [unrolled: 1-line block ×5, first 2 shown]
	v_pack_b32_f16 v66, v1, v69
	v_pack_b32_f16 v67, v77, v78
	;; [unrolled: 1-line block ×4, first 2 shown]
	v_cmp_gt_u32_e32 vcc, 7, v0
	ds_write2st64_b64 v75, v[66:67], v[70:71] offset0:2 offset1:3
	s_and_saveexec_b64 s[4:5], vcc
	s_cbranch_execz .LBB290_15
; %bb.14:
	s_mov_b32 s41, 0
	v_mov_b32_e32 v77, 0
	v_lshl_add_u64 v[66:67], s[40:41], 0, v[76:77]
	v_mov_b32_e32 v1, s7
	v_mad_u64_u32 v[66:67], s[12:13], s2, v1, v[66:67]
	s_mul_i32 s3, s3, s7
	v_mov_b32_e32 v70, s26
	v_mov_b32_e32 v71, v77
	s_load_dwordx4 s[8:11], s[0:1], 0x58
	v_add_u32_e32 v1, s3, v67
	v_mad_u64_u32 v[66:67], s[12:13], v66, s6, v[70:71]
	v_mov_b32_e32 v70, v67
	v_mad_u64_u32 v[70:71], s[12:13], v1, s6, v[70:71]
	v_mov_b32_e32 v67, v70
	v_lshlrev_b64 v[66:67], 2, v[66:67]
	s_waitcnt lgkmcnt(0)
	v_lshl_add_u64 v[70:71], s[10:11], 0, v[66:67]
	v_lshl_add_u64 v[66:67], s[8:9], 0, v[66:67]
	global_store_dword v[70:71], v87, off
	global_store_dword v[66:67], v88, off
.LBB290_15:
	s_or_b64 exec, exec, s[4:5]
	v_lshl_or_b32 v1, v86, 9, v68
	s_waitcnt lgkmcnt(0)
	s_barrier
	ds_read_b128 v[70:73], v1
	ds_read_b128 v[66:69], v1 offset:16
	s_waitcnt vmcnt(15) lgkmcnt(1)
	v_mfma_f32_16x16x16_f16 v[78:81], v[30:31], v[70:71], 0
	s_mov_b32 s3, 0
	v_cmp_gt_u32_e32 vcc, 64, v0
	v_mfma_f32_16x16x16_f16 v[30:33], v[32:33], v[72:73], v[78:81]
	s_waitcnt vmcnt(14) lgkmcnt(0)
	v_mfma_f32_16x16x16_f16 v[30:33], v[26:27], v[66:67], v[30:33]
	v_mfma_f32_16x16x16_f16 v[26:29], v[28:29], v[68:69], v[30:33]
	s_nop 5
	ds_read_b128 v[30:33], v1 offset:2048
	ds_read_b128 v[78:81], v1 offset:2064
	s_waitcnt vmcnt(13) lgkmcnt(1)
	v_mfma_f32_16x16x16_f16 v[26:29], v[22:23], v[30:31], v[26:29]
	v_mfma_f32_16x16x16_f16 v[22:25], v[24:25], v[32:33], v[26:29]
	s_waitcnt vmcnt(12) lgkmcnt(0)
	v_mfma_f32_16x16x16_f16 v[22:25], v[18:19], v[78:79], v[22:25]
	v_mfma_f32_16x16x16_f16 v[18:21], v[20:21], v[80:81], v[22:25]
	s_nop 5
	ds_read_b128 v[22:25], v1 offset:4096
	ds_read_b128 v[26:29], v1 offset:4112
	s_waitcnt vmcnt(11) lgkmcnt(1)
	v_mfma_f32_16x16x16_f16 v[18:21], v[14:15], v[22:23], v[18:21]
	v_mfma_f32_16x16x16_f16 v[14:17], v[16:17], v[24:25], v[18:21]
	s_waitcnt vmcnt(10) lgkmcnt(0)
	v_mfma_f32_16x16x16_f16 v[14:17], v[10:11], v[26:27], v[14:17]
	v_mfma_f32_16x16x16_f16 v[10:13], v[12:13], v[28:29], v[14:17]
	s_nop 5
	ds_read_b128 v[14:17], v1 offset:6144
	ds_read_b128 v[18:21], v1 offset:6160
	s_waitcnt lgkmcnt(0)
	s_barrier
	s_waitcnt vmcnt(9)
	v_mfma_f32_16x16x16_f16 v[10:13], v[6:7], v[14:15], v[10:13]
	v_mfma_f32_16x16x16_f16 v[6:9], v[8:9], v[16:17], v[10:13]
	s_waitcnt vmcnt(8)
	v_mfma_f32_16x16x16_f16 v[6:9], v[2:3], v[18:19], v[6:9]
	v_mfma_f32_16x16x16_f16 v[2:5], v[4:5], v[20:21], v[6:9]
	;; [unrolled: 3-line block ×3, first 2 shown]
	s_nop 3
	v_cvt_f16_f32_e32 v1, v2
	v_cvt_f16_f32_e32 v10, v3
	;; [unrolled: 1-line block ×3, first 2 shown]
	s_waitcnt vmcnt(6)
	v_mfma_f32_16x16x16_f16 v[6:9], v[38:39], v[66:67], v[6:9]
	v_cvt_f16_f32_e32 v12, v5
	v_mfma_f32_16x16x16_f16 v[6:9], v[40:41], v[68:69], v[6:9]
	s_waitcnt vmcnt(5)
	v_mfma_f32_16x16x16_f16 v[6:9], v[42:43], v[30:31], v[6:9]
	v_mfma_f32_16x16x16_f16 v[6:9], v[44:45], v[32:33], v[6:9]
	s_waitcnt vmcnt(4)
	v_mfma_f32_16x16x16_f16 v[6:9], v[34:35], v[78:79], v[6:9]
	v_mfma_f32_16x16x16_f16 v[6:9], v[36:37], v[80:81], v[6:9]
	s_waitcnt vmcnt(3)
	v_mfma_f32_16x16x16_f16 v[6:9], v[54:55], v[22:23], v[6:9]
	v_mfma_f32_16x16x16_f16 v[6:9], v[56:57], v[24:25], v[6:9]
	s_waitcnt vmcnt(2)
	v_mfma_f32_16x16x16_f16 v[6:9], v[50:51], v[26:27], v[6:9]
	v_mfma_f32_16x16x16_f16 v[6:9], v[52:53], v[28:29], v[6:9]
	s_waitcnt vmcnt(1)
	v_mfma_f32_16x16x16_f16 v[6:9], v[62:63], v[14:15], v[6:9]
	v_mfma_f32_16x16x16_f16 v[6:9], v[64:65], v[16:17], v[6:9]
	s_waitcnt vmcnt(0)
	v_mfma_f32_16x16x16_f16 v[6:9], v[58:59], v[18:19], v[6:9]
	v_mfma_f32_16x16x16_f16 v[2:5], v[60:61], v[20:21], v[6:9]
	s_nop 6
	v_cvt_f16_f32_e32 v6, v2
	v_cvt_f16_f32_e32 v7, v3
	;; [unrolled: 1-line block ×4, first 2 shown]
	v_pack_b32_f16 v2, v1, v10
	v_pack_b32_f16 v3, v11, v12
	;; [unrolled: 1-line block ×4, first 2 shown]
	ds_write2st64_b64 v75, v[2:3], v[4:5] offset1:1
	s_waitcnt lgkmcnt(0)
	s_barrier
	s_and_saveexec_b64 s[4:5], vcc
	s_cbranch_execz .LBB290_18
; %bb.16:
	s_load_dwordx2 s[4:5], s[0:1], 0x68
	s_lshl_b32 s0, s6, 7
	s_mul_i32 s1, s7, s2
	v_lshlrev_b32_e32 v3, 6, v76
	s_mul_hi_u32 s7, s1, s0
	s_mul_i32 s6, s1, s0
	v_lshlrev_b32_e32 v2, 4, v0
	v_lshl_or_b32 v0, v0, 10, v3
	s_lshl_b64 s[6:7], s[6:7], 1
	v_lshlrev_b32_e32 v1, 5, v86
	v_and_b32_e32 v2, 16, v2
	v_and_b32_e32 v0, 0x1a00, v0
	s_waitcnt lgkmcnt(0)
	s_add_u32 s1, s4, s6
	v_or3_b32 v2, v0, v1, v2
	s_addc_u32 s4, s5, s7
	s_lshl_b32 s2, s26, 7
	s_lshl_b64 s[2:3], s[2:3], 1
	ds_read_b128 v[4:7], v2
	s_add_u32 s2, s1, s2
	s_addc_u32 s3, s4, s3
	v_mov_b32_e32 v75, 0
	v_add_u32_e32 v3, s40, v86
	v_lshl_add_u64 v[0:1], s[2:3], 0, v[74:75]
	v_mad_u64_u32 v[8:9], s[2:3], v3, s0, 0
	v_lshl_add_u64 v[8:9], v[8:9], 1, v[0:1]
	v_cmp_ne_u32_e32 vcc, 3, v86
	s_waitcnt lgkmcnt(0)
	global_store_dwordx4 v[8:9], v[4:7], off
	s_and_b64 exec, exec, vcc
	s_cbranch_execz .LBB290_18
; %bb.17:
	ds_read_b128 v[2:5], v2 offset:128
	v_add3_u32 v6, s40, v86, 4
	v_mad_u64_u32 v[6:7], s[0:1], v6, s0, 0
	v_lshl_add_u64 v[0:1], v[6:7], 1, v[0:1]
	s_waitcnt lgkmcnt(0)
	global_store_dwordx4 v[0:1], v[2:5], off
.LBB290_18:
	s_endpgm
	.section	.rodata,"a",@progbits
	.p2align	6, 0x0
	.amdhsa_kernel _Z39paged_attention_ll4mi_QKV_mfma16_kernelIDF16_DF16_LN4vllm18Fp8KVCacheDataTypeE0EDF16_Li16ELi128ELi256ELb0ELi7EEvPKT_PKT0_S7_ifPKiS9_S9_iPKfiiiPfSC_PS2_PT2_iSB_SB_
		.amdhsa_group_segment_fixed_size 8192
		.amdhsa_private_segment_fixed_size 0
		.amdhsa_kernarg_size 400
		.amdhsa_user_sgpr_count 2
		.amdhsa_user_sgpr_dispatch_ptr 0
		.amdhsa_user_sgpr_queue_ptr 0
		.amdhsa_user_sgpr_kernarg_segment_ptr 1
		.amdhsa_user_sgpr_dispatch_id 0
		.amdhsa_user_sgpr_kernarg_preload_length 0
		.amdhsa_user_sgpr_kernarg_preload_offset 0
		.amdhsa_user_sgpr_private_segment_size 0
		.amdhsa_uses_dynamic_stack 0
		.amdhsa_enable_private_segment 0
		.amdhsa_system_sgpr_workgroup_id_x 1
		.amdhsa_system_sgpr_workgroup_id_y 1
		.amdhsa_system_sgpr_workgroup_id_z 1
		.amdhsa_system_sgpr_workgroup_info 0
		.amdhsa_system_vgpr_workitem_id 0
		.amdhsa_next_free_vgpr 96
		.amdhsa_next_free_sgpr 42
		.amdhsa_accum_offset 96
		.amdhsa_reserve_vcc 1
		.amdhsa_float_round_mode_32 0
		.amdhsa_float_round_mode_16_64 0
		.amdhsa_float_denorm_mode_32 3
		.amdhsa_float_denorm_mode_16_64 3
		.amdhsa_dx10_clamp 1
		.amdhsa_ieee_mode 1
		.amdhsa_fp16_overflow 0
		.amdhsa_tg_split 0
		.amdhsa_exception_fp_ieee_invalid_op 0
		.amdhsa_exception_fp_denorm_src 0
		.amdhsa_exception_fp_ieee_div_zero 0
		.amdhsa_exception_fp_ieee_overflow 0
		.amdhsa_exception_fp_ieee_underflow 0
		.amdhsa_exception_fp_ieee_inexact 0
		.amdhsa_exception_int_div_zero 0
	.end_amdhsa_kernel
	.section	.text._Z39paged_attention_ll4mi_QKV_mfma16_kernelIDF16_DF16_LN4vllm18Fp8KVCacheDataTypeE0EDF16_Li16ELi128ELi256ELb0ELi7EEvPKT_PKT0_S7_ifPKiS9_S9_iPKfiiiPfSC_PS2_PT2_iSB_SB_,"axG",@progbits,_Z39paged_attention_ll4mi_QKV_mfma16_kernelIDF16_DF16_LN4vllm18Fp8KVCacheDataTypeE0EDF16_Li16ELi128ELi256ELb0ELi7EEvPKT_PKT0_S7_ifPKiS9_S9_iPKfiiiPfSC_PS2_PT2_iSB_SB_,comdat
.Lfunc_end290:
	.size	_Z39paged_attention_ll4mi_QKV_mfma16_kernelIDF16_DF16_LN4vllm18Fp8KVCacheDataTypeE0EDF16_Li16ELi128ELi256ELb0ELi7EEvPKT_PKT0_S7_ifPKiS9_S9_iPKfiiiPfSC_PS2_PT2_iSB_SB_, .Lfunc_end290-_Z39paged_attention_ll4mi_QKV_mfma16_kernelIDF16_DF16_LN4vllm18Fp8KVCacheDataTypeE0EDF16_Li16ELi128ELi256ELb0ELi7EEvPKT_PKT0_S7_ifPKiS9_S9_iPKfiiiPfSC_PS2_PT2_iSB_SB_
                                        ; -- End function
	.section	.AMDGPU.csdata,"",@progbits
; Kernel info:
; codeLenInByte = 4404
; NumSgprs: 48
; NumVgprs: 96
; NumAgprs: 0
; TotalNumVgprs: 96
; ScratchSize: 0
; MemoryBound: 0
; FloatMode: 240
; IeeeMode: 1
; LDSByteSize: 8192 bytes/workgroup (compile time only)
; SGPRBlocks: 5
; VGPRBlocks: 11
; NumSGPRsForWavesPerEU: 48
; NumVGPRsForWavesPerEU: 96
; AccumOffset: 96
; Occupancy: 5
; WaveLimiterHint : 1
; COMPUTE_PGM_RSRC2:SCRATCH_EN: 0
; COMPUTE_PGM_RSRC2:USER_SGPR: 2
; COMPUTE_PGM_RSRC2:TRAP_HANDLER: 0
; COMPUTE_PGM_RSRC2:TGID_X_EN: 1
; COMPUTE_PGM_RSRC2:TGID_Y_EN: 1
; COMPUTE_PGM_RSRC2:TGID_Z_EN: 1
; COMPUTE_PGM_RSRC2:TIDIG_COMP_CNT: 0
; COMPUTE_PGM_RSRC3_GFX90A:ACCUM_OFFSET: 23
; COMPUTE_PGM_RSRC3_GFX90A:TG_SPLIT: 0
	.section	.text._Z39paged_attention_ll4mi_QKV_mfma16_kernelIDF16_DF16_LN4vllm18Fp8KVCacheDataTypeE0EDF16_Li16ELi128ELi256ELb0ELi8EEvPKT_PKT0_S7_ifPKiS9_S9_iPKfiiiPfSC_PS2_PT2_iSB_SB_,"axG",@progbits,_Z39paged_attention_ll4mi_QKV_mfma16_kernelIDF16_DF16_LN4vllm18Fp8KVCacheDataTypeE0EDF16_Li16ELi128ELi256ELb0ELi8EEvPKT_PKT0_S7_ifPKiS9_S9_iPKfiiiPfSC_PS2_PT2_iSB_SB_,comdat
	.protected	_Z39paged_attention_ll4mi_QKV_mfma16_kernelIDF16_DF16_LN4vllm18Fp8KVCacheDataTypeE0EDF16_Li16ELi128ELi256ELb0ELi8EEvPKT_PKT0_S7_ifPKiS9_S9_iPKfiiiPfSC_PS2_PT2_iSB_SB_ ; -- Begin function _Z39paged_attention_ll4mi_QKV_mfma16_kernelIDF16_DF16_LN4vllm18Fp8KVCacheDataTypeE0EDF16_Li16ELi128ELi256ELb0ELi8EEvPKT_PKT0_S7_ifPKiS9_S9_iPKfiiiPfSC_PS2_PT2_iSB_SB_
	.globl	_Z39paged_attention_ll4mi_QKV_mfma16_kernelIDF16_DF16_LN4vllm18Fp8KVCacheDataTypeE0EDF16_Li16ELi128ELi256ELb0ELi8EEvPKT_PKT0_S7_ifPKiS9_S9_iPKfiiiPfSC_PS2_PT2_iSB_SB_
	.p2align	8
	.type	_Z39paged_attention_ll4mi_QKV_mfma16_kernelIDF16_DF16_LN4vllm18Fp8KVCacheDataTypeE0EDF16_Li16ELi128ELi256ELb0ELi8EEvPKT_PKT0_S7_ifPKiS9_S9_iPKfiiiPfSC_PS2_PT2_iSB_SB_,@function
_Z39paged_attention_ll4mi_QKV_mfma16_kernelIDF16_DF16_LN4vllm18Fp8KVCacheDataTypeE0EDF16_Li16ELi128ELi256ELb0ELi8EEvPKT_PKT0_S7_ifPKiS9_S9_iPKfiiiPfSC_PS2_PT2_iSB_SB_: ; @_Z39paged_attention_ll4mi_QKV_mfma16_kernelIDF16_DF16_LN4vllm18Fp8KVCacheDataTypeE0EDF16_Li16ELi128ELi256ELb0ELi8EEvPKT_PKT0_S7_ifPKiS9_S9_iPKfiiiPfSC_PS2_PT2_iSB_SB_
; %bb.0:
	s_load_dwordx2 s[8:9], s[0:1], 0x30
	s_mov_b32 s26, s3
	s_mov_b64 s[6:7], 0
	s_waitcnt lgkmcnt(0)
	s_cmp_lg_u64 s[8:9], 0
	s_cselect_b64 s[10:11], -1, 0
	s_and_b64 vcc, exec, s[10:11]
	s_cbranch_vccz .LBB291_7
; %bb.1:
	s_add_i32 s12, s2, 1
	s_mov_b32 s13, 0
	s_lshl_b64 s[14:15], s[12:13], 2
	s_add_u32 s14, s8, s14
	s_mov_b32 s3, s13
	s_addc_u32 s15, s9, s15
	s_lshl_b64 s[12:13], s[2:3], 2
	s_add_u32 s12, s8, s12
	s_addc_u32 s13, s9, s13
	s_load_dword s5, s[14:15], 0x0
	s_load_dword s16, s[12:13], 0x0
	s_waitcnt lgkmcnt(0)
	s_sub_i32 s5, s5, s16
	s_cmp_eq_u32 s5, 1
	s_cselect_b64 s[12:13], -1, 0
	s_andn2_b64 vcc, exec, s[6:7]
	s_cbranch_vccnz .LBB291_3
.LBB291_2:
	s_mov_b32 s3, 0
	s_mov_b64 s[12:13], -1
.LBB291_3:
	s_andn2_b64 vcc, exec, s[12:13]
	s_cbranch_vccnz .LBB291_17
; %bb.4:
	s_load_dwordx2 s[6:7], s[0:1], 0x28
	s_lshl_b64 s[16:17], s[2:3], 2
	s_waitcnt lgkmcnt(0)
	s_add_u32 s6, s6, s16
	s_addc_u32 s7, s7, s17
	s_load_dword s38, s[6:7], 0x0
	s_lshl_b32 s18, s26, 8
	s_waitcnt lgkmcnt(0)
	s_cmp_ge_i32 s18, s38
	s_cbranch_scc1 .LBB291_17
; %bb.5:
	s_load_dwordx2 s[6:7], s[0:1], 0x20
	s_load_dword s5, s[0:1], 0x38
	s_add_i32 s12, s38, 15
	s_ashr_i32 s13, s12, 31
	v_and_b32_e32 v1, 0xcf, v0
	s_lshr_b32 s13, s13, 28
	v_add_u32_e32 v1, s18, v1
	s_add_i32 s12, s12, s13
	v_ashrrev_i32_e32 v2, 31, v1
	s_ashr_i32 s19, s12, 4
	v_lshrrev_b32_e32 v4, 28, v2
	s_add_i32 s19, s19, -1
	s_waitcnt lgkmcnt(0)
	s_mul_i32 s12, s2, s5
	s_mov_b32 s13, 0
	v_add_u32_e32 v2, v1, v4
	s_lshl_b64 s[12:13], s[12:13], 2
	v_ashrrev_i32_e32 v2, 4, v2
	v_mov_b32_e32 v5, s19
	v_cmp_gt_i32_e32 vcc, s38, v1
	s_add_u32 s6, s6, s12
	s_addc_u32 s7, s7, s13
	v_cndmask_b32_e32 v2, v5, v2, vcc
	v_ashrrev_i32_e32 v3, 31, v2
	v_lshl_add_u64 v[6:7], v[2:3], 2, s[6:7]
	v_or_b32_e32 v2, 16, v1
	v_add_u32_e32 v3, v2, v4
	v_ashrrev_i32_e32 v3, 4, v3
	v_cmp_gt_i32_e32 vcc, s38, v2
	s_load_dwordx4 s[12:15], s[0:1], 0x8
	s_nop 0
	v_cndmask_b32_e32 v2, v5, v3, vcc
	v_ashrrev_i32_e32 v3, 31, v2
	v_lshl_add_u64 v[8:9], v[2:3], 2, s[6:7]
	v_or_b32_e32 v2, 32, v1
	v_add_u32_e32 v3, v2, v4
	v_ashrrev_i32_e32 v3, 4, v3
	v_cmp_gt_i32_e32 vcc, s38, v2
	v_or_b32_e32 v1, 48, v1
	s_nop 0
	v_cndmask_b32_e32 v2, v5, v3, vcc
	v_ashrrev_i32_e32 v3, 31, v2
	v_lshl_add_u64 v[10:11], v[2:3], 2, s[6:7]
	v_add_u32_e32 v2, v1, v4
	v_ashrrev_i32_e32 v2, 4, v2
	v_cmp_gt_i32_e32 vcc, s38, v1
	s_nop 1
	v_cndmask_b32_e32 v2, v5, v2, vcc
	v_ashrrev_i32_e32 v3, 31, v2
	v_lshl_add_u64 v[12:13], v[2:3], 2, s[6:7]
	global_load_dword v4, v[6:7], off
	global_load_dword v3, v[8:9], off
	;; [unrolled: 1-line block ×4, first 2 shown]
	s_andn2_b64 vcc, exec, s[10:11]
	s_cbranch_vccnz .LBB291_8
; %bb.6:
	s_add_u32 s8, s8, s16
	s_addc_u32 s9, s9, s17
	s_load_dword s5, s[8:9], 0x0
	s_branch .LBB291_9
.LBB291_7:
	s_mov_b64 s[12:13], 0
	s_branch .LBB291_2
.LBB291_8:
	s_mov_b32 s5, s2
.LBB291_9:
	s_load_dwordx4 s[8:11], s[0:1], 0x48
	v_and_b32_e32 v84, 15, v0
	v_lshlrev_b32_e32 v5, 3, v84
	s_waitcnt lgkmcnt(0)
	s_movk_i32 s11, 0x80
	v_lshrrev_b32_e32 v85, 6, v0
	v_and_b32_e32 v86, 63, v0
	v_bfe_u32 v1, v0, 4, 2
	s_lshl_b32 s27, s4, 3
	v_cmp_gt_u32_e32 vcc, s11, v0
	v_lshlrev_b32_e32 v74, 1, v5
	s_and_saveexec_b64 s[16:17], vcc
	s_cbranch_execz .LBB291_11
; %bb.10:
	s_load_dwordx2 s[20:21], s[0:1], 0x0
	s_ashr_i32 s11, s8, 31
	s_mul_hi_u32 s22, s5, s8
	s_mul_i32 s11, s5, s11
	s_add_i32 s23, s22, s11
	s_mul_i32 s22, s5, s8
	v_lshl_or_b32 v5, v85, 2, v1
	s_lshl_b64 s[22:23], s[22:23], 1
	s_waitcnt lgkmcnt(0)
	s_add_u32 s20, s20, s22
	v_add_lshl_u32 v6, v5, s27, 7
	s_addc_u32 s21, s21, s23
	v_ashrrev_i32_e32 v7, 31, v6
	v_lshl_add_u64 v[6:7], v[6:7], 1, s[20:21]
	v_mov_b32_e32 v75, 0
	v_lshl_add_u64 v[6:7], v[6:7], 0, v[74:75]
	global_load_dwordx4 v[6:9], v[6:7], off
	v_and_b32_e32 v10, 3, v0
	v_lshlrev_b32_e32 v11, 9, v84
	v_lshlrev_b32_e32 v5, 5, v5
	;; [unrolled: 1-line block ×3, first 2 shown]
	v_and_b32_e32 v11, 0x1800, v11
	v_or3_b32 v5, v11, v10, v5
	s_waitcnt vmcnt(0)
	ds_write_b128 v5, v[6:9]
.LBB291_11:
	s_or_b64 exec, exec, s[16:17]
	s_mul_i32 s4, s4, s10
	s_mov_b32 s5, 0
	s_lshl_b64 s[4:5], s[4:5], 1
	s_add_u32 s10, s12, s4
	v_lshlrev_b32_e32 v6, 4, v0
	s_addc_u32 s11, s13, s5
	v_and_b32_e32 v34, 0xf0, v6
	v_mov_b32_e32 v35, 0
	v_lshl_add_u64 v[30:31], s[10:11], 0, v[34:35]
	s_waitcnt vmcnt(3)
	v_mad_i64_i32 v[4:5], s[10:11], v4, s9, 0
	v_lshl_add_u64 v[4:5], v[4:5], 1, v[30:31]
	v_and_b32_e32 v34, 0x300, v6
	v_lshl_add_u64 v[32:33], v[4:5], 0, v[34:35]
	s_load_dword s33, s[0:1], 0x98
	s_load_dword s8, s[0:1], 0x1c
	s_waitcnt lgkmcnt(0)
	s_barrier
	global_load_dwordx4 v[10:13], v[32:33], off
	global_load_dwordx4 v[22:25], v[32:33], off offset:1024
	s_waitcnt vmcnt(4)
	v_mad_i64_i32 v[4:5], s[10:11], v3, s9, 0
	s_waitcnt vmcnt(3)
	v_mad_i64_i32 v[2:3], s[10:11], v2, s9, 0
	v_lshl_add_u64 v[4:5], v[4:5], 1, v[30:31]
	v_lshl_add_u64 v[2:3], v[2:3], 1, v[30:31]
	;; [unrolled: 1-line block ×4, first 2 shown]
	global_load_dwordx4 v[14:17], v[36:37], off
	global_load_dwordx4 v[18:21], v[36:37], off offset:1024
	global_load_dwordx4 v[26:29], v[38:39], off
	global_load_dwordx4 v[46:49], v[38:39], off offset:1024
	v_and_b32_e32 v2, 7, v0
	v_lshlrev_b32_e32 v2, 5, v2
	v_lshl_or_b32 v41, v1, 9, v2
	ds_read_b128 v[6:9], v41
	ds_read_b128 v[2:5], v41 offset:2048
	global_load_dwordx4 v[54:57], v[32:33], off offset:2048
	v_mov_b32_e32 v76, s19
	global_load_dwordx4 v[62:65], v[36:37], off offset:2048
	v_lshl_or_b32 v87, v85, 4, v84
	s_add_u32 s4, s14, s4
	s_addc_u32 s5, s15, s5
	s_mov_b32 s40, 0xff7fffff
	s_waitcnt vmcnt(7) lgkmcnt(1)
	v_mfma_f32_16x16x16_f16 v[42:45], v[10:11], v[6:7], 0
	v_mfma_f32_16x16x16_f16 v[10:13], v[12:13], v[8:9], v[42:45]
	s_nop 5
	global_load_dwordx4 v[42:45], v[38:39], off offset:2048
	s_waitcnt vmcnt(6)
	v_mfma_f32_16x16x16_f16 v[50:53], v[14:15], v[6:7], 0
	s_waitcnt vmcnt(4)
	v_mfma_f32_16x16x16_f16 v[58:61], v[26:27], v[6:7], 0
	v_mfma_f32_16x16x16_f16 v[14:17], v[16:17], v[8:9], v[50:53]
	;; [unrolled: 1-line block ×3, first 2 shown]
	s_nop 2
	global_load_dwordx4 v[50:53], v[32:33], off offset:3072
	v_mad_i64_i32 v[32:33], s[10:11], v40, s9, 0
	global_load_dwordx4 v[58:61], v[36:37], off offset:3072
	v_and_or_b32 v40, v0, 48, s18
	s_waitcnt lgkmcnt(0)
	v_mfma_f32_16x16x16_f16 v[10:13], v[22:23], v[2:3], v[10:13]
	v_ashrrev_i32_e32 v22, 4, v40
	v_cmp_gt_i32_e32 vcc, s38, v40
	v_or_b32_e32 v77, 64, v40
	v_mfma_f32_16x16x16_f16 v[14:17], v[18:19], v[2:3], v[14:17]
	v_cndmask_b32_e32 v18, v76, v22, vcc
	v_or_b32_e32 v78, 0x80, v40
	v_or_b32_e32 v79, 0xc0, v40
	s_waitcnt vmcnt(5)
	v_mfma_f32_16x16x16_f16 v[26:29], v[46:47], v[2:3], v[26:29]
	v_ashrrev_i32_e32 v40, 4, v77
	v_ashrrev_i32_e32 v19, 31, v18
	v_cmp_gt_i32_e32 vcc, s38, v77
	v_ashrrev_i32_e32 v46, 4, v78
	v_lshl_add_u64 v[18:19], v[18:19], 2, s[6:7]
	v_cndmask_b32_e32 v36, v76, v40, vcc
	v_cmp_gt_i32_e32 vcc, s38, v78
	ds_read_b128 v[66:69], v41 offset:4096
	ds_read_b128 v[70:73], v41 offset:6144
	v_mfma_f32_16x16x16_f16 v[14:17], v[20:21], v[4:5], v[14:17]
	global_load_dword v77, v[18:19], off
	v_ashrrev_i32_e32 v37, 31, v36
	v_mfma_f32_16x16x16_f16 v[18:21], v[48:49], v[4:5], v[26:29]
	s_nop 2
	v_cndmask_b32_e32 v28, v76, v46, vcc
	v_mfma_f32_16x16x16_f16 v[10:13], v[24:25], v[4:5], v[10:13]
	global_load_dwordx4 v[22:25], v[38:39], off offset:3072
	v_ashrrev_i32_e32 v29, 31, v28
	v_lshl_add_u64 v[26:27], v[36:37], 2, s[6:7]
	v_lshl_add_u64 v[28:29], v[28:29], 2, s[6:7]
	global_load_dword v36, v[26:27], off
	global_load_dword v80, v[28:29], off
	v_lshl_add_u64 v[26:27], v[32:33], 1, v[30:31]
	v_lshl_add_u64 v[26:27], v[26:27], 0, v[34:35]
	global_load_dwordx4 v[38:41], v[26:27], off
	global_load_dwordx4 v[46:49], v[26:27], off offset:1024
	s_waitcnt vmcnt(10) lgkmcnt(1)
	v_mfma_f32_16x16x16_f16 v[10:13], v[54:55], v[66:67], v[10:13]
	v_ashrrev_i32_e32 v37, 4, v79
	v_cmp_gt_i32_e32 vcc, s38, v79
	v_lshlrev_b32_e32 v34, 5, v87
	v_mfma_f32_16x16x16_f16 v[10:13], v[56:57], v[68:69], v[10:13]
	v_cndmask_b32_e32 v28, v76, v37, vcc
	v_ashrrev_i32_e32 v29, 31, v28
	v_lshl_add_u64 v[28:29], v[28:29], 2, s[6:7]
	global_load_dword v81, v[28:29], off
	s_waitcnt vmcnt(10)
	v_mfma_f32_16x16x16_f16 v[14:17], v[62:63], v[66:67], v[14:17]
	v_lshl_add_u64 v[62:63], s[4:5], 0, v[34:35]
	v_or_b32_e32 v34, 0x800, v34
	global_load_dwordx4 v[54:57], v[26:27], off offset:3072
	s_waitcnt vmcnt(10)
	v_mfma_f32_16x16x16_f16 v[18:21], v[42:43], v[66:67], v[18:21]
	v_mfma_f32_16x16x16_f16 v[18:21], v[44:45], v[68:69], v[18:21]
	global_load_dwordx4 v[42:45], v[26:27], off offset:2048
	s_waitcnt vmcnt(10) lgkmcnt(0)
	v_mfma_f32_16x16x16_f16 v[10:13], v[50:51], v[70:71], v[10:13]
	s_waitcnt vmcnt(7)
	v_mfma_f32_16x16x16_f16 v[18:21], v[22:23], v[70:71], v[18:21]
	v_mad_i64_i32 v[22:23], s[6:7], v77, s9, 0
	v_mfma_f32_16x16x16_f16 v[76:79], v[52:53], v[72:73], v[10:13]
	s_waitcnt vmcnt(6)
	s_nop 1
	v_mad_i64_i32 v[10:11], s[6:7], v36, s9, 0
	v_mfma_f32_16x16x16_f16 v[14:17], v[64:65], v[68:69], v[14:17]
	v_lshlrev_b64 v[64:65], 1, v[22:23]
	v_lshlrev_b64 v[36:37], 1, v[10:11]
	v_lshl_add_u64 v[12:13], v[62:63], 0, v[64:65]
	v_lshl_add_u64 v[10:11], v[62:63], 0, v[36:37]
	global_load_dwordx4 v[30:33], v[12:13], off
	global_load_dwordx4 v[26:29], v[12:13], off offset:16
	v_mfma_f32_16x16x16_f16 v[92:95], v[24:25], v[72:73], v[18:21]
	global_load_dwordx4 v[22:25], v[10:11], off
	s_nop 1
	global_load_dwordx4 v[18:21], v[10:11], off offset:16
	s_waitcnt vmcnt(8)
	v_mfma_f32_16x16x16_f16 v[10:13], v[38:39], v[6:7], 0
	v_mad_i64_i32 v[6:7], s[6:7], v80, s9, 0
	v_lshlrev_b64 v[50:51], 1, v[6:7]
	v_mfma_f32_16x16x16_f16 v[6:9], v[40:41], v[8:9], v[10:13]
	s_waitcnt vmcnt(7)
	v_mfma_f32_16x16x16_f16 v[6:9], v[46:47], v[2:3], v[6:9]
	s_waitcnt vmcnt(6)
	v_mad_i64_i32 v[2:3], s[6:7], v81, s9, 0
	v_pk_mul_f32 v[80:81], s[8:9], v[78:79] op_sel_hi:[0,1]
	v_mfma_f32_16x16x16_f16 v[38:41], v[48:49], v[4:5], v[6:9]
	v_pk_mul_f32 v[78:79], s[8:9], v[92:93] op_sel_hi:[0,1]
	v_lshl_add_u64 v[10:11], v[62:63], 0, v[50:51]
	s_waitcnt vmcnt(4)
	v_mfma_f32_16x16x16_f16 v[38:41], v[42:43], v[66:67], v[38:41]
	v_mfma_f32_16x16x16_f16 v[38:41], v[44:45], v[68:69], v[38:41]
	;; [unrolled: 1-line block ×4, first 2 shown]
	v_lshlrev_b64 v[58:59], 1, v[2:3]
	v_lshl_add_u64 v[2:3], v[62:63], 0, v[58:59]
	v_lshl_add_u64 v[62:63], s[4:5], 0, v[34:35]
	v_mfma_f32_16x16x16_f16 v[38:41], v[56:57], v[72:73], v[38:41]
	v_lshl_add_u64 v[34:35], v[62:63], 0, v[64:65]
	v_lshl_add_u64 v[50:51], v[62:63], 0, v[50:51]
	v_lshl_add_u64 v[58:59], v[62:63], 0, v[58:59]
	v_mfma_f32_16x16x16_f16 v[88:91], v[60:61], v[72:73], v[14:17]
	v_pk_mul_f32 v[60:61], s[8:9], v[76:77] op_sel_hi:[0,1]
	s_nop 1
	v_pk_mul_f32 v[72:73], s[8:9], v[38:39] op_sel_hi:[0,1]
	v_and_b32_e32 v38, 0xc0, v0
	v_add_u32_e32 v38, s18, v38
	v_lshl_or_b32 v38, v1, 2, v38
	v_pk_mul_f32 v[66:67], s[8:9], v[40:41] op_sel_hi:[0,1]
	v_or_b32_e32 v41, 1, v38
	v_mov_b32_e32 v39, 0xff7fffff
	v_cmp_gt_i32_e64 s[28:29], s38, v38
	v_cmp_gt_i32_e64 s[30:31], s38, v41
	v_or_b32_e32 v42, 3, v38
	v_cndmask_b32_e64 v40, v39, v60, s[28:29]
	v_cndmask_b32_e64 v41, v39, v61, s[30:31]
	v_max3_f32 v40, v40, s40, v41
	v_or_b32_e32 v41, 2, v38
	v_cmp_gt_i32_e64 s[34:35], s38, v41
	v_cmp_gt_i32_e64 s[36:37], s38, v42
	v_pk_mul_f32 v[70:71], s[8:9], v[88:89] op_sel_hi:[0,1]
	v_cndmask_b32_e64 v41, v39, v80, s[34:35]
	v_cndmask_b32_e64 v42, v39, v81, s[36:37]
	v_max3_f32 v40, v40, v41, v42
	v_or_b32_e32 v41, 16, v38
	v_or_b32_e32 v42, 17, v38
	v_cmp_gt_i32_e64 s[22:23], s38, v41
	v_cmp_gt_i32_e64 s[24:25], s38, v42
	v_pk_mul_f32 v[82:83], s[8:9], v[90:91] op_sel_hi:[0,1]
	v_cndmask_b32_e64 v41, v39, v70, s[22:23]
	v_cndmask_b32_e64 v42, v39, v71, s[24:25]
	v_max3_f32 v40, v40, v41, v42
	v_or_b32_e32 v41, 18, v38
	;; [unrolled: 8-line block ×3, first 2 shown]
	v_or_b32_e32 v42, 33, v38
	v_cmp_gt_i32_e64 s[14:15], s38, v41
	v_cmp_gt_i32_e64 s[16:17], s38, v42
	global_load_dwordx4 v[14:17], v[10:11], off
	s_nop 0
	global_load_dwordx4 v[10:13], v[10:11], off offset:16
	v_cndmask_b32_e64 v41, v39, v78, s[14:15]
	v_cndmask_b32_e64 v42, v39, v79, s[16:17]
	v_max3_f32 v40, v40, v41, v42
	v_or_b32_e32 v41, 34, v38
	v_or_b32_e32 v42, 35, v38
	v_cmp_gt_i32_e64 s[10:11], s38, v41
	v_cmp_gt_i32_e64 s[12:13], s38, v42
	global_load_dwordx4 v[6:9], v[2:3], off
	s_nop 0
	global_load_dwordx4 v[2:5], v[2:3], off offset:16
	v_cndmask_b32_e64 v41, v39, v76, s[10:11]
	v_cndmask_b32_e64 v42, v39, v77, s[12:13]
	v_max3_f32 v40, v40, v41, v42
	v_or_b32_e32 v41, 48, v38
	v_or_b32_e32 v42, 49, v38
	v_cmp_gt_i32_e64 s[6:7], s38, v41
	v_cmp_gt_i32_e64 s[8:9], s38, v42
	s_nop 0
	v_cndmask_b32_e64 v41, v39, v72, s[6:7]
	v_cndmask_b32_e64 v42, v39, v73, s[8:9]
	v_max3_f32 v40, v40, v41, v42
	v_or_b32_e32 v41, 50, v38
	v_or_b32_e32 v38, 51, v38
	v_cmp_gt_i32_e32 vcc, s38, v41
	v_cmp_gt_i32_e64 s[4:5], s38, v38
	s_nop 0
	v_cndmask_b32_e32 v41, v39, v66, vcc
	v_cndmask_b32_e64 v38, v39, v67, s[4:5]
	v_max3_f32 v52, v40, v41, v38
	v_mbcnt_lo_u32_b32 v38, -1, 0
	v_mbcnt_hi_u32_b32 v53, -1, v38
	v_and_b32_e32 v38, 64, v53
	v_add_u32_e32 v54, 64, v38
	v_xor_b32_e32 v38, 32, v53
	v_cmp_lt_i32_e64 s[38:39], v38, v54
	s_nop 1
	v_cndmask_b32_e64 v38, v53, v38, s[38:39]
	v_lshlrev_b32_e32 v89, 2, v38
	ds_bpermute_b32 v55, v89, v52
	global_load_dwordx4 v[46:49], v[34:35], off
	global_load_dwordx4 v[38:41], v[34:35], off offset:16
	v_lshl_add_u64 v[34:35], v[62:63], 0, v[36:37]
	global_load_dwordx4 v[42:45], v[34:35], off
	s_nop 0
	global_load_dwordx4 v[34:37], v[34:35], off offset:16
	s_waitcnt lgkmcnt(0)
	v_max_f32_e32 v55, v55, v55
	v_max_f32_e32 v64, v52, v55
	v_xor_b32_e32 v52, 16, v53
	v_cmp_lt_i32_e64 s[38:39], v52, v54
	s_nop 1
	v_cndmask_b32_e64 v52, v53, v52, s[38:39]
	v_lshlrev_b32_e32 v90, 2, v52
	ds_bpermute_b32 v65, v90, v64
	global_load_dwordx4 v[54:57], v[50:51], off
	s_nop 0
	global_load_dwordx4 v[50:53], v[50:51], off offset:16
	s_waitcnt lgkmcnt(0)
	v_max_f32_e32 v62, v65, v65
	v_max_f32_e32 v88, v64, v62
	v_sub_f32_e32 v60, v60, v88
	v_mul_f32_e32 v60, 0x3fb8aa3b, v60
	v_exp_f32_e32 v68, v60
	v_sub_f32_e32 v60, v61, v88
	v_mul_f32_e32 v60, 0x3fb8aa3b, v60
	v_exp_f32_e32 v69, v60
	global_load_dwordx4 v[62:65], v[58:59], off
	s_nop 0
	global_load_dwordx4 v[58:61], v[58:59], off offset:16
	v_sub_f32_e32 v80, v80, v88
	v_mul_f32_e32 v80, 0x3fb8aa3b, v80
	v_sub_f32_e32 v81, v81, v88
	v_exp_f32_e32 v80, v80
	v_mul_f32_e32 v81, 0x3fb8aa3b, v81
	v_sub_f32_e32 v70, v70, v88
	v_exp_f32_e32 v81, v81
	v_mul_f32_e32 v70, 0x3fb8aa3b, v70
	v_sub_f32_e32 v71, v71, v88
	v_cndmask_b32_e64 v68, 0, v68, s[28:29]
	v_exp_f32_e32 v70, v70
	v_mul_f32_e32 v71, 0x3fb8aa3b, v71
	v_sub_f32_e32 v82, v82, v88
	v_add_f32_e32 v91, 0, v68
	v_cndmask_b32_e64 v69, 0, v69, s[30:31]
	v_exp_f32_e32 v71, v71
	v_mul_f32_e32 v82, 0x3fb8aa3b, v82
	v_sub_f32_e32 v83, v83, v88
	v_add_f32_e32 v91, v91, v69
	;; [unrolled: 5-line block ×10, first 2 shown]
	v_cndmask_b32_e64 v76, 0, v76, s[10:11]
	v_exp_f32_e32 v66, v66
	v_mul_f32_e32 v67, 0x3fb8aa3b, v67
	v_add_f32_e32 v91, v91, v76
	v_cndmask_b32_e64 v77, 0, v77, s[12:13]
	v_exp_f32_e32 v67, v67
	v_add_f32_e32 v91, v91, v77
	v_cndmask_b32_e64 v72, 0, v72, s[6:7]
	v_add_f32_e32 v91, v91, v72
	v_cndmask_b32_e64 v73, 0, v73, s[8:9]
	v_add_f32_e32 v91, v91, v73
	v_cndmask_b32_e32 v66, 0, v66, vcc
	v_add_f32_e32 v91, v91, v66
	v_cndmask_b32_e64 v67, 0, v67, s[4:5]
	v_add_f32_e32 v91, v91, v67
	ds_bpermute_b32 v89, v89, v91
	v_cmp_gt_u32_e32 vcc, 16, v86
	s_waitcnt lgkmcnt(0)
	s_barrier
	v_add_f32_e32 v89, v91, v89
	ds_bpermute_b32 v90, v90, v89
	s_and_saveexec_b64 s[4:5], vcc
	s_cbranch_execz .LBB291_13
; %bb.12:
	s_waitcnt lgkmcnt(0)
	v_add_f32_e32 v86, v89, v90
	v_lshlrev_b32_e32 v87, 2, v87
	ds_write2st64_b32 v87, v88, v86 offset1:1
.LBB291_13:
	s_or_b64 exec, exec, s[4:5]
	v_lshlrev_b32_e32 v87, 2, v84
	s_load_dword s6, s[0:1], 0x94
	s_waitcnt lgkmcnt(0)
	s_barrier
	ds_read2_b32 v[88:89], v87 offset1:16
	ds_read2_b32 v[90:91], v87 offset0:32 offset1:48
	ds_read2_b32 v[92:93], v87 offset0:64 offset1:80
	v_mov_b32_e32 v1, v84
	s_lshl_b32 s7, s33, 3
	s_waitcnt lgkmcnt(2)
	v_max3_f32 v86, v88, s40, v89
	s_waitcnt lgkmcnt(1)
	v_max3_f32 v86, v86, v90, v91
	v_sub_f32_e32 v88, v88, v86
	v_mul_f32_e32 v88, 0x3fb8aa3b, v88
	v_exp_f32_e32 v94, v88
	v_sub_f32_e32 v88, v89, v86
	v_mul_f32_e32 v88, 0x3fb8aa3b, v88
	v_exp_f32_e32 v95, v88
	;; [unrolled: 3-line block ×3, first 2 shown]
	ds_read2_b32 v[88:89], v87 offset0:96 offset1:112
	v_sub_f32_e32 v87, v91, v86
	v_mul_f32_e32 v87, 0x3fb8aa3b, v87
	v_exp_f32_e32 v91, v87
	s_waitcnt lgkmcnt(1)
	v_fma_f32 v87, v94, v92, 0
	v_fmac_f32_e32 v87, v95, v93
	s_waitcnt lgkmcnt(0)
	v_fmac_f32_e32 v87, v90, v88
	v_fmac_f32_e32 v87, v91, v89
	v_add_f32_e32 v88, 0x358637bd, v87
	v_div_scale_f32 v89, s[4:5], v88, v88, 1.0
	v_rcp_f32_e32 v92, v89
	s_barrier
	v_fma_f32 v93, -v89, v92, 1.0
	v_fmac_f32_e32 v92, v93, v92
	v_div_scale_f32 v93, vcc, 1.0, v88, 1.0
	v_mul_f32_e32 v75, v93, v92
	v_fma_f32 v84, -v89, v75, v93
	v_fmac_f32_e32 v75, v84, v92
	v_fma_f32 v84, -v89, v75, v93
	v_div_fmas_f32 v75, v84, v92, v75
	v_cmp_eq_u32_e32 vcc, 1, v85
	v_div_fixup_f32 v75, v75, v88, 1.0
	s_nop 0
	v_cndmask_b32_e32 v84, v94, v95, vcc
	v_cmp_eq_u32_e32 vcc, 2, v85
	s_nop 1
	v_cndmask_b32_e32 v84, v84, v90, vcc
	v_cmp_eq_u32_e32 vcc, 3, v85
	s_nop 1
	v_cndmask_b32_e32 v84, v84, v91, vcc
	v_mul_f32_e32 v88, v84, v75
	v_pk_mul_f32 v[80:81], v[88:89], v[80:81] op_sel_hi:[0,1]
	v_cvt_f16_f32_e32 v75, v80
	v_cvt_f16_f32_e32 v80, v81
	v_pk_mul_f32 v[68:69], v[88:89], v[68:69] op_sel_hi:[0,1]
	v_cvt_f16_f32_e32 v68, v68
	v_cvt_f16_f32_e32 v69, v69
	v_pack_b32_f16 v91, v75, v80
	v_pk_mul_f32 v[80:81], v[88:89], v[82:83] op_sel_hi:[0,1]
	v_pk_mul_f32 v[70:71], v[88:89], v[70:71] op_sel_hi:[0,1]
	v_cvt_f16_f32_e32 v70, v70
	v_cvt_f16_f32_e32 v71, v71
	;; [unrolled: 1-line block ×4, first 2 shown]
	v_mov_b32_e32 v84, v1
	v_bfe_u32 v1, v0, 4, 2
	v_pack_b32_f16 v90, v68, v69
	v_lshlrev_b32_e32 v69, 3, v1
	v_lshlrev_b32_e32 v68, 5, v84
	;; [unrolled: 1-line block ×3, first 2 shown]
	v_or3_b32 v80, v80, v68, v69
	v_pack_b32_f16 v70, v70, v71
	v_pack_b32_f16 v71, v75, v81
	ds_write2st64_b64 v80, v[90:91], v[70:71] offset1:1
	v_pk_mul_f32 v[70:71], v[88:89], v[76:77] op_sel_hi:[0,1]
	v_pk_mul_f32 v[76:77], v[88:89], v[78:79] op_sel_hi:[0,1]
	v_cvt_f16_f32_e32 v69, v76
	v_cvt_f16_f32_e32 v75, v77
	v_cvt_f16_f32_e32 v76, v70
	v_cvt_f16_f32_e32 v77, v71
	v_pk_mul_f32 v[66:67], v[88:89], v[66:67] op_sel_hi:[0,1]
	v_pk_mul_f32 v[70:71], v[88:89], v[72:73] op_sel_hi:[0,1]
	v_cvt_f16_f32_e32 v70, v70
	v_cvt_f16_f32_e32 v71, v71
	;; [unrolled: 1-line block ×4, first 2 shown]
	v_pack_b32_f16 v66, v69, v75
	v_pack_b32_f16 v67, v76, v77
	;; [unrolled: 1-line block ×4, first 2 shown]
	v_cmp_gt_u32_e32 vcc, 8, v0
	ds_write2st64_b64 v80, v[66:67], v[70:71] offset0:2 offset1:3
	s_and_saveexec_b64 s[4:5], vcc
	s_cbranch_execz .LBB291_15
; %bb.14:
	v_or_b32_e32 v66, s27, v0
	v_mov_b32_e32 v67, 0
	v_mov_b32_e32 v69, s7
	v_mad_u64_u32 v[70:71], s[12:13], s2, v69, v[66:67]
	v_mov_b32_e32 v66, s26
	s_load_dwordx4 s[8:11], s[0:1], 0x58
	s_mul_i32 s3, s3, s7
	v_mad_u64_u32 v[66:67], s[12:13], v70, s6, v[66:67]
	v_add_u32_e32 v69, s3, v71
	v_mov_b32_e32 v70, v67
	v_mad_u64_u32 v[70:71], s[12:13], v69, s6, v[70:71]
	v_mov_b32_e32 v67, v70
	v_lshlrev_b64 v[66:67], 2, v[66:67]
	s_waitcnt lgkmcnt(0)
	v_lshl_add_u64 v[70:71], s[10:11], 0, v[66:67]
	v_lshl_add_u64 v[66:67], s[8:9], 0, v[66:67]
	global_store_dword v[70:71], v86, off
	global_store_dword v[66:67], v87, off
.LBB291_15:
	s_or_b64 exec, exec, s[4:5]
	v_lshl_or_b32 v75, v1, 9, v68
	s_waitcnt lgkmcnt(0)
	s_barrier
	ds_read_b128 v[70:73], v75
	ds_read_b128 v[66:69], v75 offset:16
	s_waitcnt vmcnt(15) lgkmcnt(1)
	v_mfma_f32_16x16x16_f16 v[76:79], v[30:31], v[70:71], 0
	s_mov_b32 s3, 0
	v_cmp_gt_u32_e32 vcc, 64, v0
	v_mfma_f32_16x16x16_f16 v[30:33], v[32:33], v[72:73], v[76:79]
	s_waitcnt vmcnt(14) lgkmcnt(0)
	v_mfma_f32_16x16x16_f16 v[30:33], v[26:27], v[66:67], v[30:33]
	v_mfma_f32_16x16x16_f16 v[26:29], v[28:29], v[68:69], v[30:33]
	s_nop 5
	ds_read_b128 v[30:33], v75 offset:2048
	ds_read_b128 v[76:79], v75 offset:2064
	s_waitcnt vmcnt(13) lgkmcnt(1)
	v_mfma_f32_16x16x16_f16 v[26:29], v[22:23], v[30:31], v[26:29]
	v_mfma_f32_16x16x16_f16 v[22:25], v[24:25], v[32:33], v[26:29]
	s_waitcnt vmcnt(12) lgkmcnt(0)
	v_mfma_f32_16x16x16_f16 v[22:25], v[18:19], v[76:77], v[22:25]
	v_mfma_f32_16x16x16_f16 v[18:21], v[20:21], v[78:79], v[22:25]
	s_nop 5
	ds_read_b128 v[22:25], v75 offset:4096
	ds_read_b128 v[26:29], v75 offset:4112
	s_waitcnt vmcnt(11) lgkmcnt(1)
	v_mfma_f32_16x16x16_f16 v[18:21], v[14:15], v[22:23], v[18:21]
	v_mfma_f32_16x16x16_f16 v[14:17], v[16:17], v[24:25], v[18:21]
	s_waitcnt vmcnt(10) lgkmcnt(0)
	v_mfma_f32_16x16x16_f16 v[14:17], v[10:11], v[26:27], v[14:17]
	v_mfma_f32_16x16x16_f16 v[10:13], v[12:13], v[28:29], v[14:17]
	s_nop 5
	ds_read_b128 v[14:17], v75 offset:6144
	ds_read_b128 v[18:21], v75 offset:6160
	s_waitcnt lgkmcnt(0)
	s_barrier
	s_waitcnt vmcnt(9)
	v_mfma_f32_16x16x16_f16 v[10:13], v[6:7], v[14:15], v[10:13]
	v_mfma_f32_16x16x16_f16 v[6:9], v[8:9], v[16:17], v[10:13]
	s_waitcnt vmcnt(8)
	v_mfma_f32_16x16x16_f16 v[6:9], v[2:3], v[18:19], v[6:9]
	v_mfma_f32_16x16x16_f16 v[2:5], v[4:5], v[20:21], v[6:9]
	;; [unrolled: 3-line block ×3, first 2 shown]
	s_nop 3
	v_cvt_f16_f32_e32 v10, v2
	v_cvt_f16_f32_e32 v11, v3
	;; [unrolled: 1-line block ×3, first 2 shown]
	s_waitcnt vmcnt(6)
	v_mfma_f32_16x16x16_f16 v[6:9], v[38:39], v[66:67], v[6:9]
	v_cvt_f16_f32_e32 v13, v5
	v_mfma_f32_16x16x16_f16 v[6:9], v[40:41], v[68:69], v[6:9]
	s_waitcnt vmcnt(5)
	v_mfma_f32_16x16x16_f16 v[6:9], v[42:43], v[30:31], v[6:9]
	v_mfma_f32_16x16x16_f16 v[6:9], v[44:45], v[32:33], v[6:9]
	s_waitcnt vmcnt(4)
	v_mfma_f32_16x16x16_f16 v[6:9], v[34:35], v[76:77], v[6:9]
	v_mfma_f32_16x16x16_f16 v[6:9], v[36:37], v[78:79], v[6:9]
	s_waitcnt vmcnt(3)
	v_mfma_f32_16x16x16_f16 v[6:9], v[54:55], v[22:23], v[6:9]
	v_mfma_f32_16x16x16_f16 v[6:9], v[56:57], v[24:25], v[6:9]
	s_waitcnt vmcnt(2)
	v_mfma_f32_16x16x16_f16 v[6:9], v[50:51], v[26:27], v[6:9]
	v_mfma_f32_16x16x16_f16 v[6:9], v[52:53], v[28:29], v[6:9]
	s_waitcnt vmcnt(1)
	v_mfma_f32_16x16x16_f16 v[6:9], v[62:63], v[14:15], v[6:9]
	v_mfma_f32_16x16x16_f16 v[6:9], v[64:65], v[16:17], v[6:9]
	s_waitcnt vmcnt(0)
	v_mfma_f32_16x16x16_f16 v[6:9], v[58:59], v[18:19], v[6:9]
	v_mfma_f32_16x16x16_f16 v[2:5], v[60:61], v[20:21], v[6:9]
	s_nop 6
	v_cvt_f16_f32_e32 v6, v2
	v_cvt_f16_f32_e32 v7, v3
	;; [unrolled: 1-line block ×4, first 2 shown]
	v_pack_b32_f16 v2, v10, v11
	v_pack_b32_f16 v3, v12, v13
	;; [unrolled: 1-line block ×4, first 2 shown]
	ds_write2st64_b64 v80, v[2:3], v[4:5] offset1:1
	s_waitcnt lgkmcnt(0)
	s_barrier
	s_and_saveexec_b64 s[4:5], vcc
	s_cbranch_execz .LBB291_17
; %bb.16:
	s_load_dwordx2 s[0:1], s[0:1], 0x68
	s_lshl_b32 s6, s6, 7
	s_mul_i32 s2, s7, s2
	s_mul_hi_u32 s5, s2, s6
	s_mul_i32 s4, s2, s6
	v_lshlrev_b32_e32 v4, 6, v84
	s_lshl_b64 s[4:5], s[4:5], 1
	v_lshlrev_b32_e32 v3, 4, v0
	v_lshl_or_b32 v0, v0, 10, v4
	s_waitcnt lgkmcnt(0)
	s_add_u32 s4, s0, s4
	v_lshlrev_b32_e32 v2, 5, v1
	v_and_b32_e32 v3, 16, v3
	v_and_b32_e32 v0, 0x1a00, v0
	s_addc_u32 s5, s1, s5
	s_lshl_b32 s2, s26, 7
	v_or3_b32 v0, v0, v2, v3
	s_lshl_b64 s[0:1], s[2:3], 1
	ds_read_b128 v[2:5], v0
	ds_read_b128 v[6:9], v0 offset:128
	s_add_u32 s0, s4, s0
	s_addc_u32 s1, s5, s1
	v_mov_b32_e32 v75, 0
	v_or_b32_e32 v12, s27, v1
	v_lshl_add_u64 v[10:11], s[0:1], 0, v[74:75]
	v_mad_u64_u32 v[0:1], s[0:1], v12, s6, 0
	v_lshl_add_u64 v[0:1], v[0:1], 1, v[10:11]
	s_waitcnt lgkmcnt(1)
	global_store_dwordx4 v[0:1], v[2:5], off
	v_or_b32_e32 v0, 4, v12
	v_mad_u64_u32 v[0:1], s[0:1], v0, s6, 0
	v_lshl_add_u64 v[0:1], v[0:1], 1, v[10:11]
	s_waitcnt lgkmcnt(0)
	global_store_dwordx4 v[0:1], v[6:9], off
.LBB291_17:
	s_endpgm
	.section	.rodata,"a",@progbits
	.p2align	6, 0x0
	.amdhsa_kernel _Z39paged_attention_ll4mi_QKV_mfma16_kernelIDF16_DF16_LN4vllm18Fp8KVCacheDataTypeE0EDF16_Li16ELi128ELi256ELb0ELi8EEvPKT_PKT0_S7_ifPKiS9_S9_iPKfiiiPfSC_PS2_PT2_iSB_SB_
		.amdhsa_group_segment_fixed_size 8192
		.amdhsa_private_segment_fixed_size 0
		.amdhsa_kernarg_size 400
		.amdhsa_user_sgpr_count 2
		.amdhsa_user_sgpr_dispatch_ptr 0
		.amdhsa_user_sgpr_queue_ptr 0
		.amdhsa_user_sgpr_kernarg_segment_ptr 1
		.amdhsa_user_sgpr_dispatch_id 0
		.amdhsa_user_sgpr_kernarg_preload_length 0
		.amdhsa_user_sgpr_kernarg_preload_offset 0
		.amdhsa_user_sgpr_private_segment_size 0
		.amdhsa_uses_dynamic_stack 0
		.amdhsa_enable_private_segment 0
		.amdhsa_system_sgpr_workgroup_id_x 1
		.amdhsa_system_sgpr_workgroup_id_y 1
		.amdhsa_system_sgpr_workgroup_id_z 1
		.amdhsa_system_sgpr_workgroup_info 0
		.amdhsa_system_vgpr_workitem_id 0
		.amdhsa_next_free_vgpr 96
		.amdhsa_next_free_sgpr 41
		.amdhsa_accum_offset 96
		.amdhsa_reserve_vcc 1
		.amdhsa_float_round_mode_32 0
		.amdhsa_float_round_mode_16_64 0
		.amdhsa_float_denorm_mode_32 3
		.amdhsa_float_denorm_mode_16_64 3
		.amdhsa_dx10_clamp 1
		.amdhsa_ieee_mode 1
		.amdhsa_fp16_overflow 0
		.amdhsa_tg_split 0
		.amdhsa_exception_fp_ieee_invalid_op 0
		.amdhsa_exception_fp_denorm_src 0
		.amdhsa_exception_fp_ieee_div_zero 0
		.amdhsa_exception_fp_ieee_overflow 0
		.amdhsa_exception_fp_ieee_underflow 0
		.amdhsa_exception_fp_ieee_inexact 0
		.amdhsa_exception_int_div_zero 0
	.end_amdhsa_kernel
	.section	.text._Z39paged_attention_ll4mi_QKV_mfma16_kernelIDF16_DF16_LN4vllm18Fp8KVCacheDataTypeE0EDF16_Li16ELi128ELi256ELb0ELi8EEvPKT_PKT0_S7_ifPKiS9_S9_iPKfiiiPfSC_PS2_PT2_iSB_SB_,"axG",@progbits,_Z39paged_attention_ll4mi_QKV_mfma16_kernelIDF16_DF16_LN4vllm18Fp8KVCacheDataTypeE0EDF16_Li16ELi128ELi256ELb0ELi8EEvPKT_PKT0_S7_ifPKiS9_S9_iPKfiiiPfSC_PS2_PT2_iSB_SB_,comdat
.Lfunc_end291:
	.size	_Z39paged_attention_ll4mi_QKV_mfma16_kernelIDF16_DF16_LN4vllm18Fp8KVCacheDataTypeE0EDF16_Li16ELi128ELi256ELb0ELi8EEvPKT_PKT0_S7_ifPKiS9_S9_iPKfiiiPfSC_PS2_PT2_iSB_SB_, .Lfunc_end291-_Z39paged_attention_ll4mi_QKV_mfma16_kernelIDF16_DF16_LN4vllm18Fp8KVCacheDataTypeE0EDF16_Li16ELi128ELi256ELb0ELi8EEvPKT_PKT0_S7_ifPKiS9_S9_iPKfiiiPfSC_PS2_PT2_iSB_SB_
                                        ; -- End function
	.section	.AMDGPU.csdata,"",@progbits
; Kernel info:
; codeLenInByte = 4348
; NumSgprs: 47
; NumVgprs: 96
; NumAgprs: 0
; TotalNumVgprs: 96
; ScratchSize: 0
; MemoryBound: 0
; FloatMode: 240
; IeeeMode: 1
; LDSByteSize: 8192 bytes/workgroup (compile time only)
; SGPRBlocks: 5
; VGPRBlocks: 11
; NumSGPRsForWavesPerEU: 47
; NumVGPRsForWavesPerEU: 96
; AccumOffset: 96
; Occupancy: 5
; WaveLimiterHint : 1
; COMPUTE_PGM_RSRC2:SCRATCH_EN: 0
; COMPUTE_PGM_RSRC2:USER_SGPR: 2
; COMPUTE_PGM_RSRC2:TRAP_HANDLER: 0
; COMPUTE_PGM_RSRC2:TGID_X_EN: 1
; COMPUTE_PGM_RSRC2:TGID_Y_EN: 1
; COMPUTE_PGM_RSRC2:TGID_Z_EN: 1
; COMPUTE_PGM_RSRC2:TIDIG_COMP_CNT: 0
; COMPUTE_PGM_RSRC3_GFX90A:ACCUM_OFFSET: 23
; COMPUTE_PGM_RSRC3_GFX90A:TG_SPLIT: 0
	.section	.text._Z39paged_attention_ll4mi_QKV_mfma16_kernelIDF16_DF16_LN4vllm18Fp8KVCacheDataTypeE0EDF16_Li16ELi128ELi256ELb0ELi9EEvPKT_PKT0_S7_ifPKiS9_S9_iPKfiiiPfSC_PS2_PT2_iSB_SB_,"axG",@progbits,_Z39paged_attention_ll4mi_QKV_mfma16_kernelIDF16_DF16_LN4vllm18Fp8KVCacheDataTypeE0EDF16_Li16ELi128ELi256ELb0ELi9EEvPKT_PKT0_S7_ifPKiS9_S9_iPKfiiiPfSC_PS2_PT2_iSB_SB_,comdat
	.protected	_Z39paged_attention_ll4mi_QKV_mfma16_kernelIDF16_DF16_LN4vllm18Fp8KVCacheDataTypeE0EDF16_Li16ELi128ELi256ELb0ELi9EEvPKT_PKT0_S7_ifPKiS9_S9_iPKfiiiPfSC_PS2_PT2_iSB_SB_ ; -- Begin function _Z39paged_attention_ll4mi_QKV_mfma16_kernelIDF16_DF16_LN4vllm18Fp8KVCacheDataTypeE0EDF16_Li16ELi128ELi256ELb0ELi9EEvPKT_PKT0_S7_ifPKiS9_S9_iPKfiiiPfSC_PS2_PT2_iSB_SB_
	.globl	_Z39paged_attention_ll4mi_QKV_mfma16_kernelIDF16_DF16_LN4vllm18Fp8KVCacheDataTypeE0EDF16_Li16ELi128ELi256ELb0ELi9EEvPKT_PKT0_S7_ifPKiS9_S9_iPKfiiiPfSC_PS2_PT2_iSB_SB_
	.p2align	8
	.type	_Z39paged_attention_ll4mi_QKV_mfma16_kernelIDF16_DF16_LN4vllm18Fp8KVCacheDataTypeE0EDF16_Li16ELi128ELi256ELb0ELi9EEvPKT_PKT0_S7_ifPKiS9_S9_iPKfiiiPfSC_PS2_PT2_iSB_SB_,@function
_Z39paged_attention_ll4mi_QKV_mfma16_kernelIDF16_DF16_LN4vllm18Fp8KVCacheDataTypeE0EDF16_Li16ELi128ELi256ELb0ELi9EEvPKT_PKT0_S7_ifPKiS9_S9_iPKfiiiPfSC_PS2_PT2_iSB_SB_: ; @_Z39paged_attention_ll4mi_QKV_mfma16_kernelIDF16_DF16_LN4vllm18Fp8KVCacheDataTypeE0EDF16_Li16ELi128ELi256ELb0ELi9EEvPKT_PKT0_S7_ifPKiS9_S9_iPKfiiiPfSC_PS2_PT2_iSB_SB_
; %bb.0:
	s_load_dwordx2 s[8:9], s[0:1], 0x30
	s_mov_b32 s26, s3
	s_mov_b64 s[6:7], 0
	s_waitcnt lgkmcnt(0)
	s_cmp_lg_u64 s[8:9], 0
	s_cselect_b64 s[10:11], -1, 0
	s_and_b64 vcc, exec, s[10:11]
	s_cbranch_vccz .LBB292_7
; %bb.1:
	s_add_i32 s12, s2, 1
	s_mov_b32 s13, 0
	s_lshl_b64 s[14:15], s[12:13], 2
	s_add_u32 s14, s8, s14
	s_mov_b32 s3, s13
	s_addc_u32 s15, s9, s15
	s_lshl_b64 s[12:13], s[2:3], 2
	s_add_u32 s12, s8, s12
	s_addc_u32 s13, s9, s13
	s_load_dword s5, s[14:15], 0x0
	s_load_dword s16, s[12:13], 0x0
	s_waitcnt lgkmcnt(0)
	s_sub_i32 s5, s5, s16
	s_cmp_eq_u32 s5, 1
	s_cselect_b64 s[12:13], -1, 0
	s_andn2_b64 vcc, exec, s[6:7]
	s_cbranch_vccnz .LBB292_3
.LBB292_2:
	s_mov_b32 s3, 0
	s_mov_b64 s[12:13], -1
.LBB292_3:
	s_andn2_b64 vcc, exec, s[12:13]
	s_cbranch_vccnz .LBB292_18
; %bb.4:
	s_load_dwordx2 s[6:7], s[0:1], 0x28
	s_lshl_b64 s[16:17], s[2:3], 2
	s_waitcnt lgkmcnt(0)
	s_add_u32 s6, s6, s16
	s_addc_u32 s7, s7, s17
	s_load_dword s33, s[6:7], 0x0
	s_lshl_b32 s18, s26, 8
	s_waitcnt lgkmcnt(0)
	s_cmp_ge_i32 s18, s33
	s_cbranch_scc1 .LBB292_18
; %bb.5:
	s_load_dwordx2 s[6:7], s[0:1], 0x20
	s_load_dword s5, s[0:1], 0x38
	s_add_i32 s12, s33, 15
	s_ashr_i32 s13, s12, 31
	v_and_b32_e32 v1, 0xcf, v0
	s_lshr_b32 s13, s13, 28
	v_add_u32_e32 v1, s18, v1
	s_add_i32 s12, s12, s13
	v_ashrrev_i32_e32 v2, 31, v1
	s_ashr_i32 s19, s12, 4
	v_lshrrev_b32_e32 v4, 28, v2
	s_add_i32 s19, s19, -1
	s_waitcnt lgkmcnt(0)
	s_mul_i32 s12, s2, s5
	s_mov_b32 s13, 0
	v_add_u32_e32 v2, v1, v4
	s_lshl_b64 s[12:13], s[12:13], 2
	v_ashrrev_i32_e32 v2, 4, v2
	v_mov_b32_e32 v5, s19
	v_cmp_gt_i32_e32 vcc, s33, v1
	s_add_u32 s6, s6, s12
	s_addc_u32 s7, s7, s13
	v_cndmask_b32_e32 v2, v5, v2, vcc
	v_ashrrev_i32_e32 v3, 31, v2
	v_lshl_add_u64 v[6:7], v[2:3], 2, s[6:7]
	v_or_b32_e32 v2, 16, v1
	v_add_u32_e32 v3, v2, v4
	v_ashrrev_i32_e32 v3, 4, v3
	v_cmp_gt_i32_e32 vcc, s33, v2
	s_load_dwordx4 s[12:15], s[0:1], 0x8
	s_nop 0
	v_cndmask_b32_e32 v2, v5, v3, vcc
	v_ashrrev_i32_e32 v3, 31, v2
	v_lshl_add_u64 v[8:9], v[2:3], 2, s[6:7]
	v_or_b32_e32 v2, 32, v1
	v_add_u32_e32 v3, v2, v4
	v_ashrrev_i32_e32 v3, 4, v3
	v_cmp_gt_i32_e32 vcc, s33, v2
	v_or_b32_e32 v1, 48, v1
	s_nop 0
	v_cndmask_b32_e32 v2, v5, v3, vcc
	v_ashrrev_i32_e32 v3, 31, v2
	v_lshl_add_u64 v[10:11], v[2:3], 2, s[6:7]
	v_add_u32_e32 v2, v1, v4
	v_ashrrev_i32_e32 v2, 4, v2
	v_cmp_gt_i32_e32 vcc, s33, v1
	s_nop 1
	v_cndmask_b32_e32 v2, v5, v2, vcc
	v_ashrrev_i32_e32 v3, 31, v2
	v_lshl_add_u64 v[12:13], v[2:3], 2, s[6:7]
	global_load_dword v4, v[6:7], off
	global_load_dword v3, v[8:9], off
	;; [unrolled: 1-line block ×4, first 2 shown]
	s_andn2_b64 vcc, exec, s[10:11]
	s_cbranch_vccnz .LBB292_8
; %bb.6:
	s_add_u32 s8, s8, s16
	s_addc_u32 s9, s9, s17
	s_load_dword s5, s[8:9], 0x0
	s_branch .LBB292_9
.LBB292_7:
	s_mov_b64 s[12:13], 0
	s_branch .LBB292_2
.LBB292_8:
	s_mov_b32 s5, s2
.LBB292_9:
	s_load_dwordx4 s[8:11], s[0:1], 0x48
	v_lshrrev_b32_e32 v77, 6, v0
	v_bfe_u32 v86, v0, 4, 2
	v_and_b32_e32 v76, 15, v0
	v_lshl_or_b32 v1, v77, 2, v86
	v_lshlrev_b32_e32 v5, 3, v76
	v_and_b32_e32 v87, 63, v0
	s_mul_i32 s40, s4, 9
	v_cmp_gt_u32_e32 vcc, 9, v1
	v_lshlrev_b32_e32 v74, 1, v5
	s_and_saveexec_b64 s[16:17], vcc
	s_cbranch_execz .LBB292_11
; %bb.10:
	s_load_dwordx2 s[20:21], s[0:1], 0x0
	s_waitcnt lgkmcnt(0)
	s_ashr_i32 s11, s8, 31
	s_mul_hi_u32 s22, s5, s8
	s_mul_i32 s11, s5, s11
	s_add_i32 s23, s22, s11
	s_mul_i32 s22, s5, s8
	s_lshl_b64 s[22:23], s[22:23], 1
	s_add_u32 s20, s20, s22
	v_add_lshl_u32 v6, v1, s40, 7
	s_addc_u32 s21, s21, s23
	v_ashrrev_i32_e32 v7, 31, v6
	v_lshl_add_u64 v[6:7], v[6:7], 1, s[20:21]
	v_mov_b32_e32 v75, 0
	v_lshl_add_u64 v[6:7], v[6:7], 0, v[74:75]
	global_load_dwordx4 v[6:9], v[6:7], off
	v_and_b32_e32 v5, 3, v0
	v_lshlrev_b32_e32 v10, 9, v76
	v_lshlrev_b32_e32 v1, 5, v1
	;; [unrolled: 1-line block ×3, first 2 shown]
	v_and_b32_e32 v10, 0x1800, v10
	v_or3_b32 v1, v10, v5, v1
	s_waitcnt vmcnt(0)
	ds_write_b128 v1, v[6:9]
.LBB292_11:
	s_or_b64 exec, exec, s[16:17]
	s_waitcnt lgkmcnt(0)
	s_mul_i32 s4, s4, s10
	s_mov_b32 s5, 0
	s_lshl_b64 s[4:5], s[4:5], 1
	s_add_u32 s10, s12, s4
	v_lshlrev_b32_e32 v1, 4, v0
	s_addc_u32 s11, s13, s5
	v_and_b32_e32 v34, 0xf0, v1
	v_mov_b32_e32 v35, 0
	v_lshl_add_u64 v[30:31], s[10:11], 0, v[34:35]
	s_waitcnt vmcnt(3)
	v_mad_i64_i32 v[4:5], s[10:11], v4, s9, 0
	v_lshl_add_u64 v[4:5], v[4:5], 1, v[30:31]
	v_and_b32_e32 v34, 0x300, v1
	v_lshl_add_u64 v[32:33], v[4:5], 0, v[34:35]
	s_load_dword s27, s[0:1], 0x98
	s_load_dword s8, s[0:1], 0x1c
	s_waitcnt lgkmcnt(0)
	s_barrier
	global_load_dwordx4 v[6:9], v[32:33], off
	global_load_dwordx4 v[18:21], v[32:33], off offset:1024
	s_waitcnt vmcnt(4)
	v_mad_i64_i32 v[4:5], s[10:11], v3, s9, 0
	s_waitcnt vmcnt(3)
	v_mad_i64_i32 v[2:3], s[10:11], v2, s9, 0
	v_lshl_add_u64 v[4:5], v[4:5], 1, v[30:31]
	v_lshl_add_u64 v[2:3], v[2:3], 1, v[30:31]
	;; [unrolled: 1-line block ×4, first 2 shown]
	global_load_dwordx4 v[14:17], v[36:37], off
	global_load_dwordx4 v[22:25], v[36:37], off offset:1024
	global_load_dwordx4 v[26:29], v[38:39], off
	global_load_dwordx4 v[46:49], v[38:39], off offset:1024
	v_add_u32_e32 v2, -9, v76
	v_cmp_gt_u32_e32 vcc, 9, v76
	global_load_dwordx4 v[54:57], v[32:33], off offset:2048
	global_load_dwordx4 v[62:65], v[36:37], off offset:2048
	v_cndmask_b32_e32 v2, v2, v76, vcc
	v_lshlrev_b32_e32 v2, 5, v2
	v_lshl_add_u32 v41, v86, 9, v2
	ds_read_b128 v[10:13], v41
	ds_read_b128 v[2:5], v41 offset:2048
	v_mov_b32_e32 v70, s19
	s_add_u32 s4, s14, s4
	s_addc_u32 s5, s15, s5
	s_mov_b32 s41, 0xff7fffff
	s_waitcnt vmcnt(7) lgkmcnt(1)
	v_mfma_f32_16x16x16_f16 v[42:45], v[6:7], v[10:11], 0
	v_mfma_f32_16x16x16_f16 v[6:9], v[8:9], v[12:13], v[42:45]
	s_nop 5
	global_load_dwordx4 v[42:45], v[38:39], off offset:2048
	s_waitcnt vmcnt(6)
	v_mfma_f32_16x16x16_f16 v[50:53], v[14:15], v[10:11], 0
	s_waitcnt vmcnt(4)
	v_mfma_f32_16x16x16_f16 v[58:61], v[26:27], v[10:11], 0
	v_mfma_f32_16x16x16_f16 v[14:17], v[16:17], v[12:13], v[50:53]
	;; [unrolled: 1-line block ×3, first 2 shown]
	s_nop 2
	global_load_dwordx4 v[50:53], v[32:33], off offset:3072
	v_mad_i64_i32 v[32:33], s[10:11], v40, s9, 0
	s_waitcnt lgkmcnt(0)
	v_mfma_f32_16x16x16_f16 v[6:9], v[18:19], v[2:3], v[6:9]
	v_and_or_b32 v40, v0, 48, s18
	v_ashrrev_i32_e32 v58, 4, v40
	v_cmp_gt_i32_e32 vcc, s33, v40
	v_mfma_f32_16x16x16_f16 v[14:17], v[22:23], v[2:3], v[14:17]
	v_or_b32_e32 v66, 64, v40
	v_cndmask_b32_e32 v22, v70, v58, vcc
	v_ashrrev_i32_e32 v23, 31, v22
	s_waitcnt vmcnt(4)
	v_mfma_f32_16x16x16_f16 v[26:29], v[46:47], v[2:3], v[26:29]
	v_or_b32_e32 v71, 0x80, v40
	v_or_b32_e32 v72, 0xc0, v40
	v_ashrrev_i32_e32 v40, 4, v66
	v_mfma_f32_16x16x16_f16 v[6:9], v[20:21], v[4:5], v[6:9]
	global_load_dwordx4 v[18:21], v[38:39], off offset:3072
	v_cmp_gt_i32_e32 vcc, s33, v66
	v_lshl_add_u64 v[22:23], v[22:23], 2, s[6:7]
	global_load_dwordx4 v[58:61], v[36:37], off offset:3072
	v_cndmask_b32_e32 v36, v70, v40, vcc
	v_mfma_f32_16x16x16_f16 v[14:17], v[24:25], v[4:5], v[14:17]
	global_load_dword v78, v[22:23], off
	ds_read_b128 v[66:69], v41 offset:4096
	v_ashrrev_i32_e32 v37, 31, v36
	v_mfma_f32_16x16x16_f16 v[22:25], v[48:49], v[4:5], v[26:29]
	v_ashrrev_i32_e32 v73, 4, v71
	v_cmp_gt_i32_e32 vcc, s33, v71
	v_ashrrev_i32_e32 v75, 4, v72
	v_lshl_add_u64 v[26:27], v[32:33], 1, v[30:31]
	v_lshl_add_u64 v[26:27], v[26:27], 0, v[34:35]
	;; [unrolled: 1-line block ×3, first 2 shown]
	global_load_dwordx4 v[46:49], v[26:27], off
	global_load_dword v36, v[28:29], off
	s_waitcnt vmcnt(8) lgkmcnt(0)
	v_mfma_f32_16x16x16_f16 v[6:9], v[54:55], v[66:67], v[6:9]
	v_cndmask_b32_e32 v28, v70, v73, vcc
	v_ashrrev_i32_e32 v29, 31, v28
	v_lshl_add_u64 v[28:29], v[28:29], 2, s[6:7]
	v_mfma_f32_16x16x16_f16 v[6:9], v[56:57], v[68:69], v[6:9]
	global_load_dwordx4 v[54:57], v[26:27], off offset:1024
	v_cmp_gt_i32_e32 vcc, s33, v72
	global_load_dword v82, v[28:29], off
	ds_read_b128 v[38:41], v41 offset:6144
	v_cndmask_b32_e32 v28, v70, v75, vcc
	v_ashrrev_i32_e32 v29, 31, v28
	v_lshl_add_u64 v[28:29], v[28:29], 2, s[6:7]
	global_load_dword v83, v[28:29], off
	s_waitcnt vmcnt(10)
	v_mfma_f32_16x16x16_f16 v[14:17], v[62:63], v[66:67], v[14:17]
	v_lshl_or_b32 v75, v77, 4, v76
	v_lshlrev_b32_e32 v34, 5, v75
	v_lshl_add_u64 v[62:63], s[4:5], 0, v[34:35]
	v_mfma_f32_16x16x16_f16 v[14:17], v[64:65], v[68:69], v[14:17]
	v_or_b32_e32 v34, 0x800, v34
	global_load_dwordx4 v[70:73], v[26:27], off offset:3072
	s_waitcnt vmcnt(10)
	v_mfma_f32_16x16x16_f16 v[22:25], v[42:43], v[66:67], v[22:25]
	v_mfma_f32_16x16x16_f16 v[22:25], v[44:45], v[68:69], v[22:25]
	global_load_dwordx4 v[42:45], v[26:27], off offset:2048
	s_waitcnt vmcnt(10) lgkmcnt(0)
	v_mfma_f32_16x16x16_f16 v[6:9], v[50:51], v[38:39], v[6:9]
	s_waitcnt vmcnt(9)
	v_mfma_f32_16x16x16_f16 v[22:25], v[18:19], v[38:39], v[22:25]
	s_waitcnt vmcnt(7)
	v_mad_i64_i32 v[18:19], s[6:7], v78, s9, 0
	v_lshlrev_b64 v[64:65], 1, v[18:19]
	v_mfma_f32_16x16x16_f16 v[78:81], v[52:53], v[40:41], v[6:9]
	s_nop 2
	v_lshl_add_u64 v[6:7], v[62:63], 0, v[64:65]
	global_load_dwordx4 v[30:33], v[6:7], off
	global_load_dwordx4 v[26:29], v[6:7], off offset:16
	v_mfma_f32_16x16x16_f16 v[92:95], v[20:21], v[40:41], v[22:25]
	s_waitcnt vmcnt(7)
	v_mad_i64_i32 v[6:7], s[6:7], v36, s9, 0
	v_lshlrev_b64 v[36:37], 1, v[6:7]
	v_lshl_add_u64 v[6:7], v[62:63], 0, v[36:37]
	global_load_dwordx4 v[22:25], v[6:7], off
	global_load_dwordx4 v[18:21], v[6:7], off offset:16
	v_mfma_f32_16x16x16_f16 v[6:9], v[46:47], v[10:11], 0
	s_waitcnt vmcnt(7)
	v_mad_i64_i32 v[10:11], s[6:7], v82, s9, 0
	v_mfma_f32_16x16x16_f16 v[6:9], v[48:49], v[12:13], v[6:9]
	v_lshlrev_b64 v[50:51], 1, v[10:11]
	v_lshl_add_u64 v[10:11], v[62:63], 0, v[50:51]
	v_mfma_f32_16x16x16_f16 v[6:9], v[54:55], v[2:3], v[6:9]
	s_waitcnt vmcnt(6)
	v_mad_i64_i32 v[2:3], s[6:7], v83, s9, 0
	v_pk_mul_f32 v[82:83], s[8:9], v[80:81] op_sel_hi:[0,1]
	v_mfma_f32_16x16x16_f16 v[46:49], v[56:57], v[4:5], v[6:9]
	v_pk_mul_f32 v[80:81], s[8:9], v[92:93] op_sel_hi:[0,1]
	v_mfma_f32_16x16x16_f16 v[14:17], v[58:59], v[38:39], v[14:17]
	v_lshlrev_b64 v[58:59], 1, v[2:3]
	v_lshl_add_u64 v[2:3], v[62:63], 0, v[58:59]
	v_lshl_add_u64 v[62:63], s[4:5], 0, v[34:35]
	v_mfma_f32_16x16x16_f16 v[88:91], v[60:61], v[40:41], v[14:17]
	v_pk_mul_f32 v[60:61], s[8:9], v[78:79] op_sel_hi:[0,1]
	v_pk_mul_f32 v[78:79], s[8:9], v[94:95] op_sel_hi:[0,1]
	v_lshl_add_u64 v[34:35], v[62:63], 0, v[64:65]
	s_waitcnt vmcnt(4)
	v_mfma_f32_16x16x16_f16 v[46:49], v[42:43], v[66:67], v[46:49]
	s_nop 1
	v_pk_mul_f32 v[84:85], s[8:9], v[90:91] op_sel_hi:[0,1]
	global_load_dwordx4 v[14:17], v[10:11], off
	s_nop 0
	global_load_dwordx4 v[10:13], v[10:11], off offset:16
	s_nop 0
	global_load_dwordx4 v[6:9], v[2:3], off
	s_nop 0
	global_load_dwordx4 v[2:5], v[2:3], off offset:16
	v_mfma_f32_16x16x16_f16 v[42:45], v[44:45], v[68:69], v[46:49]
	v_lshl_add_u64 v[50:51], v[62:63], 0, v[50:51]
	v_lshl_add_u64 v[58:59], v[62:63], 0, v[58:59]
	v_mfma_f32_16x16x16_f16 v[42:45], v[70:71], v[38:39], v[42:45]
	v_pk_mul_f32 v[70:71], s[8:9], v[88:89] op_sel_hi:[0,1]
	v_mfma_f32_16x16x16_f16 v[38:41], v[72:73], v[40:41], v[42:45]
	s_nop 6
	v_pk_mul_f32 v[72:73], s[8:9], v[38:39] op_sel_hi:[0,1]
	v_and_b32_e32 v38, 0xc0, v0
	v_add_u32_e32 v38, s18, v38
	v_lshl_or_b32 v38, v86, 2, v38
	v_pk_mul_f32 v[66:67], s[8:9], v[40:41] op_sel_hi:[0,1]
	v_or_b32_e32 v41, 1, v38
	v_mov_b32_e32 v39, 0xff7fffff
	v_cmp_gt_i32_e64 s[28:29], s33, v38
	v_cmp_gt_i32_e64 s[30:31], s33, v41
	v_or_b32_e32 v42, 3, v38
	v_cndmask_b32_e64 v40, v39, v60, s[28:29]
	v_cndmask_b32_e64 v41, v39, v61, s[30:31]
	v_max3_f32 v40, v40, s41, v41
	v_or_b32_e32 v41, 2, v38
	v_cmp_gt_i32_e64 s[34:35], s33, v41
	v_cmp_gt_i32_e64 s[36:37], s33, v42
	s_nop 0
	v_cndmask_b32_e64 v41, v39, v82, s[34:35]
	v_cndmask_b32_e64 v42, v39, v83, s[36:37]
	v_max3_f32 v40, v40, v41, v42
	v_or_b32_e32 v41, 16, v38
	v_or_b32_e32 v42, 17, v38
	v_cmp_gt_i32_e64 s[22:23], s33, v41
	v_cmp_gt_i32_e64 s[24:25], s33, v42
	s_nop 0
	v_cndmask_b32_e64 v41, v39, v70, s[22:23]
	v_cndmask_b32_e64 v42, v39, v71, s[24:25]
	v_max3_f32 v40, v40, v41, v42
	v_or_b32_e32 v41, 18, v38
	;; [unrolled: 8-line block ×6, first 2 shown]
	v_or_b32_e32 v38, 51, v38
	v_cmp_gt_i32_e32 vcc, s33, v41
	v_cmp_gt_i32_e64 s[4:5], s33, v38
	s_nop 0
	v_cndmask_b32_e32 v41, v39, v66, vcc
	v_cndmask_b32_e64 v38, v39, v67, s[4:5]
	v_max3_f32 v52, v40, v41, v38
	v_mbcnt_lo_u32_b32 v38, -1, 0
	v_mbcnt_hi_u32_b32 v53, -1, v38
	v_and_b32_e32 v38, 64, v53
	v_add_u32_e32 v54, 64, v38
	v_xor_b32_e32 v38, 32, v53
	v_cmp_lt_i32_e64 s[38:39], v38, v54
	s_nop 1
	v_cndmask_b32_e64 v38, v53, v38, s[38:39]
	v_lshlrev_b32_e32 v89, 2, v38
	ds_bpermute_b32 v55, v89, v52
	global_load_dwordx4 v[46:49], v[34:35], off
	global_load_dwordx4 v[38:41], v[34:35], off offset:16
	v_lshl_add_u64 v[34:35], v[62:63], 0, v[36:37]
	global_load_dwordx4 v[42:45], v[34:35], off
	s_nop 0
	global_load_dwordx4 v[34:37], v[34:35], off offset:16
	s_waitcnt lgkmcnt(0)
	v_max_f32_e32 v55, v55, v55
	v_max_f32_e32 v64, v52, v55
	v_xor_b32_e32 v52, 16, v53
	v_cmp_lt_i32_e64 s[38:39], v52, v54
	s_nop 1
	v_cndmask_b32_e64 v52, v53, v52, s[38:39]
	v_lshlrev_b32_e32 v90, 2, v52
	ds_bpermute_b32 v65, v90, v64
	global_load_dwordx4 v[54:57], v[50:51], off
	s_nop 0
	global_load_dwordx4 v[50:53], v[50:51], off offset:16
	s_waitcnt lgkmcnt(0)
	v_max_f32_e32 v62, v65, v65
	v_max_f32_e32 v88, v64, v62
	v_sub_f32_e32 v60, v60, v88
	v_mul_f32_e32 v60, 0x3fb8aa3b, v60
	v_exp_f32_e32 v68, v60
	v_sub_f32_e32 v60, v61, v88
	v_mul_f32_e32 v60, 0x3fb8aa3b, v60
	v_exp_f32_e32 v69, v60
	global_load_dwordx4 v[62:65], v[58:59], off
	s_nop 0
	global_load_dwordx4 v[58:61], v[58:59], off offset:16
	v_sub_f32_e32 v82, v82, v88
	v_mul_f32_e32 v82, 0x3fb8aa3b, v82
	v_sub_f32_e32 v83, v83, v88
	v_exp_f32_e32 v82, v82
	v_mul_f32_e32 v83, 0x3fb8aa3b, v83
	v_sub_f32_e32 v70, v70, v88
	v_exp_f32_e32 v83, v83
	v_mul_f32_e32 v70, 0x3fb8aa3b, v70
	v_sub_f32_e32 v71, v71, v88
	v_cndmask_b32_e64 v68, 0, v68, s[28:29]
	v_exp_f32_e32 v70, v70
	v_mul_f32_e32 v71, 0x3fb8aa3b, v71
	v_sub_f32_e32 v84, v84, v88
	v_add_f32_e32 v91, 0, v68
	v_cndmask_b32_e64 v69, 0, v69, s[30:31]
	v_exp_f32_e32 v71, v71
	v_mul_f32_e32 v84, 0x3fb8aa3b, v84
	v_sub_f32_e32 v85, v85, v88
	v_add_f32_e32 v91, v91, v69
	v_cndmask_b32_e64 v82, 0, v82, s[34:35]
	v_exp_f32_e32 v84, v84
	v_mul_f32_e32 v85, 0x3fb8aa3b, v85
	v_sub_f32_e32 v80, v80, v88
	v_add_f32_e32 v91, v91, v82
	v_cndmask_b32_e64 v83, 0, v83, s[36:37]
	v_exp_f32_e32 v85, v85
	v_mul_f32_e32 v80, 0x3fb8aa3b, v80
	v_sub_f32_e32 v81, v81, v88
	v_add_f32_e32 v91, v91, v83
	v_cndmask_b32_e64 v70, 0, v70, s[22:23]
	v_exp_f32_e32 v80, v80
	v_mul_f32_e32 v81, 0x3fb8aa3b, v81
	v_sub_f32_e32 v78, v78, v88
	v_add_f32_e32 v91, v91, v70
	v_cndmask_b32_e64 v71, 0, v71, s[24:25]
	v_exp_f32_e32 v81, v81
	v_mul_f32_e32 v78, 0x3fb8aa3b, v78
	v_sub_f32_e32 v79, v79, v88
	v_add_f32_e32 v91, v91, v71
	v_cndmask_b32_e64 v84, 0, v84, s[18:19]
	v_exp_f32_e32 v78, v78
	v_mul_f32_e32 v79, 0x3fb8aa3b, v79
	v_sub_f32_e32 v72, v72, v88
	v_add_f32_e32 v91, v91, v84
	v_cndmask_b32_e64 v85, 0, v85, s[20:21]
	v_exp_f32_e32 v79, v79
	v_mul_f32_e32 v72, 0x3fb8aa3b, v72
	v_sub_f32_e32 v73, v73, v88
	v_add_f32_e32 v91, v91, v85
	v_cndmask_b32_e64 v80, 0, v80, s[14:15]
	v_exp_f32_e32 v72, v72
	v_mul_f32_e32 v73, 0x3fb8aa3b, v73
	v_sub_f32_e32 v66, v66, v88
	v_add_f32_e32 v91, v91, v80
	v_cndmask_b32_e64 v81, 0, v81, s[16:17]
	v_exp_f32_e32 v73, v73
	v_mul_f32_e32 v66, 0x3fb8aa3b, v66
	v_sub_f32_e32 v67, v67, v88
	v_add_f32_e32 v91, v91, v81
	v_cndmask_b32_e64 v78, 0, v78, s[10:11]
	v_exp_f32_e32 v66, v66
	v_mul_f32_e32 v67, 0x3fb8aa3b, v67
	v_add_f32_e32 v91, v91, v78
	v_cndmask_b32_e64 v79, 0, v79, s[12:13]
	v_exp_f32_e32 v67, v67
	v_add_f32_e32 v91, v91, v79
	v_cndmask_b32_e64 v72, 0, v72, s[6:7]
	v_add_f32_e32 v91, v91, v72
	v_cndmask_b32_e64 v73, 0, v73, s[8:9]
	v_add_f32_e32 v91, v91, v73
	v_cndmask_b32_e32 v66, 0, v66, vcc
	v_add_f32_e32 v91, v91, v66
	v_cndmask_b32_e64 v67, 0, v67, s[4:5]
	v_add_f32_e32 v91, v91, v67
	ds_bpermute_b32 v89, v89, v91
	v_cmp_gt_u32_e64 s[4:5], 16, v87
	s_waitcnt lgkmcnt(0)
	s_barrier
	v_add_f32_e32 v89, v91, v89
	ds_bpermute_b32 v90, v90, v89
	s_and_saveexec_b64 s[6:7], s[4:5]
	s_cbranch_execz .LBB292_13
; %bb.12:
	s_waitcnt lgkmcnt(0)
	v_add_f32_e32 v87, v89, v90
	v_lshlrev_b32_e32 v75, 2, v75
	ds_write2st64_b32 v75, v88, v87 offset1:1
.LBB292_13:
	s_or_b64 exec, exec, s[6:7]
	v_lshlrev_b32_e32 v75, 2, v76
	s_load_dword s8, s[0:1], 0x94
	s_waitcnt lgkmcnt(0)
	s_barrier
	ds_read2_b32 v[88:89], v75 offset1:16
	ds_read2_b32 v[90:91], v75 offset0:32 offset1:48
	ds_read2_b32 v[92:93], v75 offset0:64 offset1:80
	;; [unrolled: 1-line block ×3, first 2 shown]
	s_waitcnt lgkmcnt(0)
	v_max3_f32 v87, v88, s41, v89
	v_max3_f32 v87, v87, v90, v91
	v_sub_f32_e32 v88, v88, v87
	v_mul_f32_e32 v88, 0x3fb8aa3b, v88
	v_exp_f32_e32 v1, v88
	v_sub_f32_e32 v88, v89, v87
	v_mul_f32_e32 v88, 0x3fb8aa3b, v88
	v_exp_f32_e32 v89, v88
	v_sub_f32_e32 v88, v90, v87
	v_mul_f32_e32 v88, 0x3fb8aa3b, v88
	v_sub_f32_e32 v75, v91, v87
	v_exp_f32_e32 v90, v88
	v_mul_f32_e32 v75, 0x3fb8aa3b, v75
	v_exp_f32_e32 v75, v75
	v_fma_f32 v88, v1, v92, 0
	v_fmac_f32_e32 v88, v89, v93
	v_fmac_f32_e32 v88, v90, v94
	;; [unrolled: 1-line block ×3, first 2 shown]
	v_add_f32_e32 v91, 0x358637bd, v88
	v_div_scale_f32 v92, s[6:7], v91, v91, 1.0
	v_rcp_f32_e32 v93, v92
	s_barrier
	s_mul_i32 s9, s27, 9
	v_fma_f32 v94, -v92, v93, 1.0
	v_fmac_f32_e32 v93, v94, v93
	v_div_scale_f32 v94, vcc, 1.0, v91, 1.0
	v_mul_f32_e32 v95, v94, v93
	v_fma_f32 v86, -v92, v95, v94
	v_fmac_f32_e32 v95, v86, v93
	v_fma_f32 v86, -v92, v95, v94
	v_div_fmas_f32 v86, v86, v93, v95
	v_cmp_eq_u32_e32 vcc, 1, v77
	v_div_fixup_f32 v86, v86, v91, 1.0
	s_nop 0
	v_cndmask_b32_e32 v1, v1, v89, vcc
	v_cmp_eq_u32_e32 vcc, 2, v77
	s_nop 1
	v_cndmask_b32_e32 v1, v1, v90, vcc
	v_cmp_eq_u32_e32 vcc, 3, v77
	s_nop 1
	v_cndmask_b32_e32 v1, v1, v75, vcc
	v_mul_f32_e32 v90, v1, v86
	v_pk_mul_f32 v[82:83], v[90:91], v[82:83] op_sel_hi:[0,1]
	v_pk_mul_f32 v[68:69], v[90:91], v[68:69] op_sel_hi:[0,1]
	v_cvt_f16_f32_e32 v1, v68
	v_cvt_f16_f32_e32 v68, v69
	;; [unrolled: 1-line block ×4, first 2 shown]
	v_pk_mul_f32 v[84:85], v[90:91], v[84:85] op_sel_hi:[0,1]
	v_pk_mul_f32 v[70:71], v[90:91], v[70:71] op_sel_hi:[0,1]
	v_bfe_u32 v86, v0, 4, 2
	v_pack_b32_f16 v83, v69, v75
	v_cvt_f16_f32_e32 v69, v70
	v_cvt_f16_f32_e32 v70, v71
	;; [unrolled: 1-line block ×4, first 2 shown]
	v_pack_b32_f16 v82, v1, v68
	v_lshlrev_b32_e32 v1, 3, v86
	v_lshlrev_b32_e32 v68, 5, v76
	;; [unrolled: 1-line block ×3, first 2 shown]
	v_or3_b32 v75, v75, v68, v1
	v_pack_b32_f16 v70, v69, v70
	v_pack_b32_f16 v71, v71, v84
	ds_write2st64_b64 v75, v[82:83], v[70:71] offset1:1
	v_pk_mul_f32 v[70:71], v[90:91], v[78:79] op_sel_hi:[0,1]
	v_pk_mul_f32 v[78:79], v[90:91], v[80:81] op_sel_hi:[0,1]
	v_cvt_f16_f32_e32 v1, v78
	v_cvt_f16_f32_e32 v77, v70
	;; [unrolled: 1-line block ×3, first 2 shown]
	v_pk_mul_f32 v[66:67], v[90:91], v[66:67] op_sel_hi:[0,1]
	v_pk_mul_f32 v[70:71], v[90:91], v[72:73] op_sel_hi:[0,1]
	v_cvt_f16_f32_e32 v69, v79
	v_cvt_f16_f32_e32 v70, v70
	;; [unrolled: 1-line block ×5, first 2 shown]
	v_pack_b32_f16 v66, v1, v69
	v_pack_b32_f16 v67, v77, v78
	;; [unrolled: 1-line block ×4, first 2 shown]
	v_cmp_gt_u32_e32 vcc, 9, v0
	ds_write2st64_b64 v75, v[66:67], v[70:71] offset0:2 offset1:3
	s_and_saveexec_b64 s[6:7], vcc
	s_cbranch_execz .LBB292_15
; %bb.14:
	s_mov_b32 s41, 0
	v_mov_b32_e32 v77, 0
	v_lshl_add_u64 v[66:67], s[40:41], 0, v[76:77]
	v_mov_b32_e32 v1, s9
	v_mad_u64_u32 v[66:67], s[10:11], s2, v1, v[66:67]
	s_mul_i32 s3, s3, s9
	v_mov_b32_e32 v70, s26
	v_mov_b32_e32 v71, v77
	s_load_dwordx4 s[12:15], s[0:1], 0x58
	v_add_u32_e32 v1, s3, v67
	v_mad_u64_u32 v[66:67], s[10:11], v66, s8, v[70:71]
	v_mov_b32_e32 v70, v67
	v_mad_u64_u32 v[70:71], s[10:11], v1, s8, v[70:71]
	v_mov_b32_e32 v67, v70
	v_lshlrev_b64 v[66:67], 2, v[66:67]
	s_waitcnt lgkmcnt(0)
	v_lshl_add_u64 v[70:71], s[14:15], 0, v[66:67]
	v_lshl_add_u64 v[66:67], s[12:13], 0, v[66:67]
	global_store_dword v[70:71], v87, off
	global_store_dword v[66:67], v88, off
.LBB292_15:
	s_or_b64 exec, exec, s[6:7]
	v_lshl_or_b32 v1, v86, 9, v68
	s_waitcnt lgkmcnt(0)
	s_barrier
	ds_read_b128 v[70:73], v1
	ds_read_b128 v[66:69], v1 offset:16
	s_waitcnt vmcnt(15) lgkmcnt(1)
	v_mfma_f32_16x16x16_f16 v[78:81], v[30:31], v[70:71], 0
	s_mov_b32 s3, 0
	v_cmp_gt_u32_e32 vcc, 64, v0
	v_mfma_f32_16x16x16_f16 v[30:33], v[32:33], v[72:73], v[78:81]
	s_waitcnt vmcnt(14) lgkmcnt(0)
	v_mfma_f32_16x16x16_f16 v[30:33], v[26:27], v[66:67], v[30:33]
	v_mfma_f32_16x16x16_f16 v[26:29], v[28:29], v[68:69], v[30:33]
	s_nop 5
	ds_read_b128 v[30:33], v1 offset:2048
	ds_read_b128 v[78:81], v1 offset:2064
	s_waitcnt vmcnt(13) lgkmcnt(1)
	v_mfma_f32_16x16x16_f16 v[26:29], v[22:23], v[30:31], v[26:29]
	v_mfma_f32_16x16x16_f16 v[22:25], v[24:25], v[32:33], v[26:29]
	s_waitcnt vmcnt(12) lgkmcnt(0)
	v_mfma_f32_16x16x16_f16 v[22:25], v[18:19], v[78:79], v[22:25]
	v_mfma_f32_16x16x16_f16 v[18:21], v[20:21], v[80:81], v[22:25]
	s_nop 5
	ds_read_b128 v[22:25], v1 offset:4096
	ds_read_b128 v[26:29], v1 offset:4112
	s_waitcnt vmcnt(11) lgkmcnt(1)
	v_mfma_f32_16x16x16_f16 v[18:21], v[14:15], v[22:23], v[18:21]
	v_mfma_f32_16x16x16_f16 v[14:17], v[16:17], v[24:25], v[18:21]
	s_waitcnt vmcnt(10) lgkmcnt(0)
	v_mfma_f32_16x16x16_f16 v[14:17], v[10:11], v[26:27], v[14:17]
	v_mfma_f32_16x16x16_f16 v[10:13], v[12:13], v[28:29], v[14:17]
	s_nop 5
	ds_read_b128 v[14:17], v1 offset:6144
	ds_read_b128 v[18:21], v1 offset:6160
	s_waitcnt lgkmcnt(0)
	s_barrier
	s_waitcnt vmcnt(9)
	v_mfma_f32_16x16x16_f16 v[10:13], v[6:7], v[14:15], v[10:13]
	v_mfma_f32_16x16x16_f16 v[6:9], v[8:9], v[16:17], v[10:13]
	s_waitcnt vmcnt(8)
	v_mfma_f32_16x16x16_f16 v[6:9], v[2:3], v[18:19], v[6:9]
	v_mfma_f32_16x16x16_f16 v[2:5], v[4:5], v[20:21], v[6:9]
	;; [unrolled: 3-line block ×3, first 2 shown]
	s_nop 3
	v_cvt_f16_f32_e32 v1, v2
	v_cvt_f16_f32_e32 v10, v3
	;; [unrolled: 1-line block ×3, first 2 shown]
	s_waitcnt vmcnt(6)
	v_mfma_f32_16x16x16_f16 v[6:9], v[38:39], v[66:67], v[6:9]
	v_cvt_f16_f32_e32 v12, v5
	v_mfma_f32_16x16x16_f16 v[6:9], v[40:41], v[68:69], v[6:9]
	s_waitcnt vmcnt(5)
	v_mfma_f32_16x16x16_f16 v[6:9], v[42:43], v[30:31], v[6:9]
	v_mfma_f32_16x16x16_f16 v[6:9], v[44:45], v[32:33], v[6:9]
	s_waitcnt vmcnt(4)
	v_mfma_f32_16x16x16_f16 v[6:9], v[34:35], v[78:79], v[6:9]
	;; [unrolled: 3-line block ×6, first 2 shown]
	v_mfma_f32_16x16x16_f16 v[2:5], v[60:61], v[20:21], v[6:9]
	s_nop 6
	v_cvt_f16_f32_e32 v6, v2
	v_cvt_f16_f32_e32 v7, v3
	;; [unrolled: 1-line block ×4, first 2 shown]
	v_pack_b32_f16 v2, v1, v10
	v_pack_b32_f16 v3, v11, v12
	;; [unrolled: 1-line block ×4, first 2 shown]
	ds_write2st64_b64 v75, v[2:3], v[4:5] offset1:1
	s_waitcnt lgkmcnt(0)
	s_barrier
	s_and_saveexec_b64 s[6:7], vcc
	s_cbranch_execz .LBB292_18
; %bb.16:
	s_load_dwordx2 s[6:7], s[0:1], 0x68
	s_lshl_b32 s0, s8, 7
	s_mul_i32 s1, s9, s2
	v_lshlrev_b32_e32 v3, 6, v76
	s_mul_hi_u32 s9, s1, s0
	s_mul_i32 s8, s1, s0
	v_lshlrev_b32_e32 v2, 4, v0
	v_lshl_or_b32 v0, v0, 10, v3
	s_lshl_b64 s[8:9], s[8:9], 1
	v_lshlrev_b32_e32 v1, 5, v86
	v_and_b32_e32 v2, 16, v2
	v_and_b32_e32 v0, 0x1a00, v0
	s_waitcnt lgkmcnt(0)
	s_add_u32 s1, s6, s8
	v_or3_b32 v2, v0, v1, v2
	s_addc_u32 s6, s7, s9
	s_lshl_b32 s2, s26, 7
	s_lshl_b64 s[2:3], s[2:3], 1
	ds_read_b128 v[4:7], v2 offset:128
	ds_read_b128 v[8:11], v2
	s_add_u32 s2, s1, s2
	s_addc_u32 s3, s6, s3
	v_mov_b32_e32 v75, 0
	v_add_u32_e32 v3, s40, v86
	v_lshl_add_u64 v[0:1], s[2:3], 0, v[74:75]
	v_mad_u64_u32 v[12:13], s[2:3], v3, s0, 0
	v_lshl_add_u64 v[12:13], v[12:13], 1, v[0:1]
	v_add_u32_e32 v3, 4, v3
	s_waitcnt lgkmcnt(0)
	global_store_dwordx4 v[12:13], v[8:11], off
	s_nop 1
	v_mad_u64_u32 v[8:9], s[2:3], v3, s0, 0
	v_lshl_add_u64 v[8:9], v[8:9], 1, v[0:1]
	global_store_dwordx4 v[8:9], v[4:7], off
	s_and_b64 exec, exec, s[4:5]
	s_cbranch_execz .LBB292_18
; %bb.17:
	ds_read_b128 v[2:5], v2 offset:256
	v_add3_u32 v6, s40, v86, 8
	v_mad_u64_u32 v[6:7], s[0:1], v6, s0, 0
	v_lshl_add_u64 v[0:1], v[6:7], 1, v[0:1]
	s_waitcnt lgkmcnt(0)
	global_store_dwordx4 v[0:1], v[2:5], off
.LBB292_18:
	s_endpgm
	.section	.rodata,"a",@progbits
	.p2align	6, 0x0
	.amdhsa_kernel _Z39paged_attention_ll4mi_QKV_mfma16_kernelIDF16_DF16_LN4vllm18Fp8KVCacheDataTypeE0EDF16_Li16ELi128ELi256ELb0ELi9EEvPKT_PKT0_S7_ifPKiS9_S9_iPKfiiiPfSC_PS2_PT2_iSB_SB_
		.amdhsa_group_segment_fixed_size 8192
		.amdhsa_private_segment_fixed_size 0
		.amdhsa_kernarg_size 400
		.amdhsa_user_sgpr_count 2
		.amdhsa_user_sgpr_dispatch_ptr 0
		.amdhsa_user_sgpr_queue_ptr 0
		.amdhsa_user_sgpr_kernarg_segment_ptr 1
		.amdhsa_user_sgpr_dispatch_id 0
		.amdhsa_user_sgpr_kernarg_preload_length 0
		.amdhsa_user_sgpr_kernarg_preload_offset 0
		.amdhsa_user_sgpr_private_segment_size 0
		.amdhsa_uses_dynamic_stack 0
		.amdhsa_enable_private_segment 0
		.amdhsa_system_sgpr_workgroup_id_x 1
		.amdhsa_system_sgpr_workgroup_id_y 1
		.amdhsa_system_sgpr_workgroup_id_z 1
		.amdhsa_system_sgpr_workgroup_info 0
		.amdhsa_system_vgpr_workitem_id 0
		.amdhsa_next_free_vgpr 96
		.amdhsa_next_free_sgpr 42
		.amdhsa_accum_offset 96
		.amdhsa_reserve_vcc 1
		.amdhsa_float_round_mode_32 0
		.amdhsa_float_round_mode_16_64 0
		.amdhsa_float_denorm_mode_32 3
		.amdhsa_float_denorm_mode_16_64 3
		.amdhsa_dx10_clamp 1
		.amdhsa_ieee_mode 1
		.amdhsa_fp16_overflow 0
		.amdhsa_tg_split 0
		.amdhsa_exception_fp_ieee_invalid_op 0
		.amdhsa_exception_fp_denorm_src 0
		.amdhsa_exception_fp_ieee_div_zero 0
		.amdhsa_exception_fp_ieee_overflow 0
		.amdhsa_exception_fp_ieee_underflow 0
		.amdhsa_exception_fp_ieee_inexact 0
		.amdhsa_exception_int_div_zero 0
	.end_amdhsa_kernel
	.section	.text._Z39paged_attention_ll4mi_QKV_mfma16_kernelIDF16_DF16_LN4vllm18Fp8KVCacheDataTypeE0EDF16_Li16ELi128ELi256ELb0ELi9EEvPKT_PKT0_S7_ifPKiS9_S9_iPKfiiiPfSC_PS2_PT2_iSB_SB_,"axG",@progbits,_Z39paged_attention_ll4mi_QKV_mfma16_kernelIDF16_DF16_LN4vllm18Fp8KVCacheDataTypeE0EDF16_Li16ELi128ELi256ELb0ELi9EEvPKT_PKT0_S7_ifPKiS9_S9_iPKfiiiPfSC_PS2_PT2_iSB_SB_,comdat
.Lfunc_end292:
	.size	_Z39paged_attention_ll4mi_QKV_mfma16_kernelIDF16_DF16_LN4vllm18Fp8KVCacheDataTypeE0EDF16_Li16ELi128ELi256ELb0ELi9EEvPKT_PKT0_S7_ifPKiS9_S9_iPKfiiiPfSC_PS2_PT2_iSB_SB_, .Lfunc_end292-_Z39paged_attention_ll4mi_QKV_mfma16_kernelIDF16_DF16_LN4vllm18Fp8KVCacheDataTypeE0EDF16_Li16ELi128ELi256ELb0ELi9EEvPKT_PKT0_S7_ifPKiS9_S9_iPKfiiiPfSC_PS2_PT2_iSB_SB_
                                        ; -- End function
	.section	.AMDGPU.csdata,"",@progbits
; Kernel info:
; codeLenInByte = 4420
; NumSgprs: 48
; NumVgprs: 96
; NumAgprs: 0
; TotalNumVgprs: 96
; ScratchSize: 0
; MemoryBound: 0
; FloatMode: 240
; IeeeMode: 1
; LDSByteSize: 8192 bytes/workgroup (compile time only)
; SGPRBlocks: 5
; VGPRBlocks: 11
; NumSGPRsForWavesPerEU: 48
; NumVGPRsForWavesPerEU: 96
; AccumOffset: 96
; Occupancy: 5
; WaveLimiterHint : 1
; COMPUTE_PGM_RSRC2:SCRATCH_EN: 0
; COMPUTE_PGM_RSRC2:USER_SGPR: 2
; COMPUTE_PGM_RSRC2:TRAP_HANDLER: 0
; COMPUTE_PGM_RSRC2:TGID_X_EN: 1
; COMPUTE_PGM_RSRC2:TGID_Y_EN: 1
; COMPUTE_PGM_RSRC2:TGID_Z_EN: 1
; COMPUTE_PGM_RSRC2:TIDIG_COMP_CNT: 0
; COMPUTE_PGM_RSRC3_GFX90A:ACCUM_OFFSET: 23
; COMPUTE_PGM_RSRC3_GFX90A:TG_SPLIT: 0
	.section	.text._Z39paged_attention_ll4mi_QKV_mfma16_kernelIDF16_DF16_LN4vllm18Fp8KVCacheDataTypeE0EDF16_Li16ELi128ELi256ELb0ELi10EEvPKT_PKT0_S7_ifPKiS9_S9_iPKfiiiPfSC_PS2_PT2_iSB_SB_,"axG",@progbits,_Z39paged_attention_ll4mi_QKV_mfma16_kernelIDF16_DF16_LN4vllm18Fp8KVCacheDataTypeE0EDF16_Li16ELi128ELi256ELb0ELi10EEvPKT_PKT0_S7_ifPKiS9_S9_iPKfiiiPfSC_PS2_PT2_iSB_SB_,comdat
	.protected	_Z39paged_attention_ll4mi_QKV_mfma16_kernelIDF16_DF16_LN4vllm18Fp8KVCacheDataTypeE0EDF16_Li16ELi128ELi256ELb0ELi10EEvPKT_PKT0_S7_ifPKiS9_S9_iPKfiiiPfSC_PS2_PT2_iSB_SB_ ; -- Begin function _Z39paged_attention_ll4mi_QKV_mfma16_kernelIDF16_DF16_LN4vllm18Fp8KVCacheDataTypeE0EDF16_Li16ELi128ELi256ELb0ELi10EEvPKT_PKT0_S7_ifPKiS9_S9_iPKfiiiPfSC_PS2_PT2_iSB_SB_
	.globl	_Z39paged_attention_ll4mi_QKV_mfma16_kernelIDF16_DF16_LN4vllm18Fp8KVCacheDataTypeE0EDF16_Li16ELi128ELi256ELb0ELi10EEvPKT_PKT0_S7_ifPKiS9_S9_iPKfiiiPfSC_PS2_PT2_iSB_SB_
	.p2align	8
	.type	_Z39paged_attention_ll4mi_QKV_mfma16_kernelIDF16_DF16_LN4vllm18Fp8KVCacheDataTypeE0EDF16_Li16ELi128ELi256ELb0ELi10EEvPKT_PKT0_S7_ifPKiS9_S9_iPKfiiiPfSC_PS2_PT2_iSB_SB_,@function
_Z39paged_attention_ll4mi_QKV_mfma16_kernelIDF16_DF16_LN4vllm18Fp8KVCacheDataTypeE0EDF16_Li16ELi128ELi256ELb0ELi10EEvPKT_PKT0_S7_ifPKiS9_S9_iPKfiiiPfSC_PS2_PT2_iSB_SB_: ; @_Z39paged_attention_ll4mi_QKV_mfma16_kernelIDF16_DF16_LN4vllm18Fp8KVCacheDataTypeE0EDF16_Li16ELi128ELi256ELb0ELi10EEvPKT_PKT0_S7_ifPKiS9_S9_iPKfiiiPfSC_PS2_PT2_iSB_SB_
; %bb.0:
	s_load_dwordx2 s[8:9], s[0:1], 0x30
	s_mov_b32 s26, s3
	s_mov_b64 s[6:7], 0
	s_waitcnt lgkmcnt(0)
	s_cmp_lg_u64 s[8:9], 0
	s_cselect_b64 s[10:11], -1, 0
	s_and_b64 vcc, exec, s[10:11]
	s_cbranch_vccz .LBB293_7
; %bb.1:
	s_add_i32 s12, s2, 1
	s_mov_b32 s13, 0
	s_lshl_b64 s[14:15], s[12:13], 2
	s_add_u32 s14, s8, s14
	s_mov_b32 s3, s13
	s_addc_u32 s15, s9, s15
	s_lshl_b64 s[12:13], s[2:3], 2
	s_add_u32 s12, s8, s12
	s_addc_u32 s13, s9, s13
	s_load_dword s5, s[14:15], 0x0
	s_load_dword s16, s[12:13], 0x0
	s_waitcnt lgkmcnt(0)
	s_sub_i32 s5, s5, s16
	s_cmp_eq_u32 s5, 1
	s_cselect_b64 s[12:13], -1, 0
	s_andn2_b64 vcc, exec, s[6:7]
	s_cbranch_vccnz .LBB293_3
.LBB293_2:
	s_mov_b32 s3, 0
	s_mov_b64 s[12:13], -1
.LBB293_3:
	s_andn2_b64 vcc, exec, s[12:13]
	s_cbranch_vccnz .LBB293_18
; %bb.4:
	s_load_dwordx2 s[6:7], s[0:1], 0x28
	s_lshl_b64 s[16:17], s[2:3], 2
	s_waitcnt lgkmcnt(0)
	s_add_u32 s6, s6, s16
	s_addc_u32 s7, s7, s17
	s_load_dword s33, s[6:7], 0x0
	s_lshl_b32 s18, s26, 8
	s_waitcnt lgkmcnt(0)
	s_cmp_ge_i32 s18, s33
	s_cbranch_scc1 .LBB293_18
; %bb.5:
	s_load_dwordx2 s[6:7], s[0:1], 0x20
	s_load_dword s5, s[0:1], 0x38
	s_add_i32 s12, s33, 15
	s_ashr_i32 s13, s12, 31
	v_and_b32_e32 v1, 0xcf, v0
	s_lshr_b32 s13, s13, 28
	v_add_u32_e32 v1, s18, v1
	s_add_i32 s12, s12, s13
	v_ashrrev_i32_e32 v2, 31, v1
	s_ashr_i32 s19, s12, 4
	v_lshrrev_b32_e32 v4, 28, v2
	s_add_i32 s19, s19, -1
	s_waitcnt lgkmcnt(0)
	s_mul_i32 s12, s2, s5
	s_mov_b32 s13, 0
	v_add_u32_e32 v2, v1, v4
	s_lshl_b64 s[12:13], s[12:13], 2
	v_ashrrev_i32_e32 v2, 4, v2
	v_mov_b32_e32 v5, s19
	v_cmp_gt_i32_e32 vcc, s33, v1
	s_add_u32 s6, s6, s12
	s_addc_u32 s7, s7, s13
	v_cndmask_b32_e32 v2, v5, v2, vcc
	v_ashrrev_i32_e32 v3, 31, v2
	v_lshl_add_u64 v[6:7], v[2:3], 2, s[6:7]
	v_or_b32_e32 v2, 16, v1
	v_add_u32_e32 v3, v2, v4
	v_ashrrev_i32_e32 v3, 4, v3
	v_cmp_gt_i32_e32 vcc, s33, v2
	s_load_dwordx4 s[12:15], s[0:1], 0x8
	s_nop 0
	v_cndmask_b32_e32 v2, v5, v3, vcc
	v_ashrrev_i32_e32 v3, 31, v2
	v_lshl_add_u64 v[8:9], v[2:3], 2, s[6:7]
	v_or_b32_e32 v2, 32, v1
	v_add_u32_e32 v3, v2, v4
	v_ashrrev_i32_e32 v3, 4, v3
	v_cmp_gt_i32_e32 vcc, s33, v2
	v_or_b32_e32 v1, 48, v1
	s_nop 0
	v_cndmask_b32_e32 v2, v5, v3, vcc
	v_ashrrev_i32_e32 v3, 31, v2
	v_lshl_add_u64 v[10:11], v[2:3], 2, s[6:7]
	v_add_u32_e32 v2, v1, v4
	v_ashrrev_i32_e32 v2, 4, v2
	v_cmp_gt_i32_e32 vcc, s33, v1
	s_nop 1
	v_cndmask_b32_e32 v2, v5, v2, vcc
	v_ashrrev_i32_e32 v3, 31, v2
	v_lshl_add_u64 v[12:13], v[2:3], 2, s[6:7]
	global_load_dword v4, v[6:7], off
	global_load_dword v3, v[8:9], off
	;; [unrolled: 1-line block ×4, first 2 shown]
	s_andn2_b64 vcc, exec, s[10:11]
	s_cbranch_vccnz .LBB293_8
; %bb.6:
	s_add_u32 s8, s8, s16
	s_addc_u32 s9, s9, s17
	s_load_dword s5, s[8:9], 0x0
	s_branch .LBB293_9
.LBB293_7:
	s_mov_b64 s[12:13], 0
	s_branch .LBB293_2
.LBB293_8:
	s_mov_b32 s5, s2
.LBB293_9:
	s_load_dwordx4 s[8:11], s[0:1], 0x48
	v_lshrrev_b32_e32 v77, 6, v0
	v_bfe_u32 v86, v0, 4, 2
	v_and_b32_e32 v76, 15, v0
	v_lshl_or_b32 v1, v77, 2, v86
	v_lshlrev_b32_e32 v5, 3, v76
	v_and_b32_e32 v87, 63, v0
	s_mul_i32 s40, s4, 10
	v_cmp_gt_u32_e32 vcc, 10, v1
	v_lshlrev_b32_e32 v74, 1, v5
	s_and_saveexec_b64 s[16:17], vcc
	s_cbranch_execz .LBB293_11
; %bb.10:
	s_load_dwordx2 s[20:21], s[0:1], 0x0
	s_waitcnt lgkmcnt(0)
	s_ashr_i32 s11, s8, 31
	s_mul_hi_u32 s22, s5, s8
	s_mul_i32 s11, s5, s11
	s_add_i32 s23, s22, s11
	s_mul_i32 s22, s5, s8
	s_lshl_b64 s[22:23], s[22:23], 1
	s_add_u32 s20, s20, s22
	v_add_lshl_u32 v6, v1, s40, 7
	s_addc_u32 s21, s21, s23
	v_ashrrev_i32_e32 v7, 31, v6
	v_lshl_add_u64 v[6:7], v[6:7], 1, s[20:21]
	v_mov_b32_e32 v75, 0
	v_lshl_add_u64 v[6:7], v[6:7], 0, v[74:75]
	global_load_dwordx4 v[6:9], v[6:7], off
	v_and_b32_e32 v5, 3, v0
	v_lshlrev_b32_e32 v10, 9, v76
	v_lshlrev_b32_e32 v1, 5, v1
	;; [unrolled: 1-line block ×3, first 2 shown]
	v_and_b32_e32 v10, 0x1800, v10
	v_or3_b32 v1, v10, v5, v1
	s_waitcnt vmcnt(0)
	ds_write_b128 v1, v[6:9]
.LBB293_11:
	s_or_b64 exec, exec, s[16:17]
	s_waitcnt lgkmcnt(0)
	s_mul_i32 s4, s4, s10
	s_mov_b32 s5, 0
	s_lshl_b64 s[4:5], s[4:5], 1
	s_add_u32 s10, s12, s4
	v_lshlrev_b32_e32 v1, 4, v0
	s_addc_u32 s11, s13, s5
	v_and_b32_e32 v34, 0xf0, v1
	v_mov_b32_e32 v35, 0
	v_lshl_add_u64 v[30:31], s[10:11], 0, v[34:35]
	s_waitcnt vmcnt(3)
	v_mad_i64_i32 v[4:5], s[10:11], v4, s9, 0
	v_lshl_add_u64 v[4:5], v[4:5], 1, v[30:31]
	v_and_b32_e32 v34, 0x300, v1
	v_lshl_add_u64 v[32:33], v[4:5], 0, v[34:35]
	s_load_dword s27, s[0:1], 0x98
	s_load_dword s8, s[0:1], 0x1c
	s_waitcnt lgkmcnt(0)
	s_barrier
	global_load_dwordx4 v[6:9], v[32:33], off
	global_load_dwordx4 v[18:21], v[32:33], off offset:1024
	s_waitcnt vmcnt(4)
	v_mad_i64_i32 v[4:5], s[10:11], v3, s9, 0
	s_waitcnt vmcnt(3)
	v_mad_i64_i32 v[2:3], s[10:11], v2, s9, 0
	v_lshl_add_u64 v[4:5], v[4:5], 1, v[30:31]
	v_lshl_add_u64 v[2:3], v[2:3], 1, v[30:31]
	;; [unrolled: 1-line block ×4, first 2 shown]
	global_load_dwordx4 v[14:17], v[36:37], off
	global_load_dwordx4 v[22:25], v[36:37], off offset:1024
	global_load_dwordx4 v[26:29], v[38:39], off
	global_load_dwordx4 v[46:49], v[38:39], off offset:1024
	v_add_u32_e32 v2, -10, v76
	v_cmp_gt_u32_e32 vcc, 10, v76
	global_load_dwordx4 v[54:57], v[32:33], off offset:2048
	global_load_dwordx4 v[62:65], v[36:37], off offset:2048
	v_cndmask_b32_e32 v2, v2, v76, vcc
	v_lshlrev_b32_e32 v2, 5, v2
	v_lshl_add_u32 v41, v86, 9, v2
	ds_read_b128 v[10:13], v41
	ds_read_b128 v[2:5], v41 offset:2048
	v_mov_b32_e32 v70, s19
	s_add_u32 s4, s14, s4
	s_addc_u32 s5, s15, s5
	s_mov_b32 s41, 0xff7fffff
	s_waitcnt vmcnt(7) lgkmcnt(1)
	v_mfma_f32_16x16x16_f16 v[42:45], v[6:7], v[10:11], 0
	v_mfma_f32_16x16x16_f16 v[6:9], v[8:9], v[12:13], v[42:45]
	s_nop 5
	global_load_dwordx4 v[42:45], v[38:39], off offset:2048
	s_waitcnt vmcnt(6)
	v_mfma_f32_16x16x16_f16 v[50:53], v[14:15], v[10:11], 0
	s_waitcnt vmcnt(4)
	v_mfma_f32_16x16x16_f16 v[58:61], v[26:27], v[10:11], 0
	v_mfma_f32_16x16x16_f16 v[14:17], v[16:17], v[12:13], v[50:53]
	;; [unrolled: 1-line block ×3, first 2 shown]
	s_nop 2
	global_load_dwordx4 v[50:53], v[32:33], off offset:3072
	v_mad_i64_i32 v[32:33], s[10:11], v40, s9, 0
	s_waitcnt lgkmcnt(0)
	v_mfma_f32_16x16x16_f16 v[6:9], v[18:19], v[2:3], v[6:9]
	v_and_or_b32 v40, v0, 48, s18
	v_ashrrev_i32_e32 v58, 4, v40
	v_cmp_gt_i32_e32 vcc, s33, v40
	v_mfma_f32_16x16x16_f16 v[14:17], v[22:23], v[2:3], v[14:17]
	v_or_b32_e32 v66, 64, v40
	v_cndmask_b32_e32 v22, v70, v58, vcc
	v_ashrrev_i32_e32 v23, 31, v22
	s_waitcnt vmcnt(4)
	v_mfma_f32_16x16x16_f16 v[26:29], v[46:47], v[2:3], v[26:29]
	v_or_b32_e32 v71, 0x80, v40
	v_or_b32_e32 v72, 0xc0, v40
	v_ashrrev_i32_e32 v40, 4, v66
	v_mfma_f32_16x16x16_f16 v[6:9], v[20:21], v[4:5], v[6:9]
	global_load_dwordx4 v[18:21], v[38:39], off offset:3072
	v_cmp_gt_i32_e32 vcc, s33, v66
	v_lshl_add_u64 v[22:23], v[22:23], 2, s[6:7]
	global_load_dwordx4 v[58:61], v[36:37], off offset:3072
	v_cndmask_b32_e32 v36, v70, v40, vcc
	v_mfma_f32_16x16x16_f16 v[14:17], v[24:25], v[4:5], v[14:17]
	global_load_dword v78, v[22:23], off
	ds_read_b128 v[66:69], v41 offset:4096
	v_ashrrev_i32_e32 v37, 31, v36
	v_mfma_f32_16x16x16_f16 v[22:25], v[48:49], v[4:5], v[26:29]
	v_ashrrev_i32_e32 v73, 4, v71
	v_cmp_gt_i32_e32 vcc, s33, v71
	v_ashrrev_i32_e32 v75, 4, v72
	v_lshl_add_u64 v[26:27], v[32:33], 1, v[30:31]
	v_lshl_add_u64 v[26:27], v[26:27], 0, v[34:35]
	;; [unrolled: 1-line block ×3, first 2 shown]
	global_load_dwordx4 v[46:49], v[26:27], off
	global_load_dword v36, v[28:29], off
	s_waitcnt vmcnt(8) lgkmcnt(0)
	v_mfma_f32_16x16x16_f16 v[6:9], v[54:55], v[66:67], v[6:9]
	v_cndmask_b32_e32 v28, v70, v73, vcc
	v_ashrrev_i32_e32 v29, 31, v28
	v_lshl_add_u64 v[28:29], v[28:29], 2, s[6:7]
	v_mfma_f32_16x16x16_f16 v[6:9], v[56:57], v[68:69], v[6:9]
	global_load_dwordx4 v[54:57], v[26:27], off offset:1024
	v_cmp_gt_i32_e32 vcc, s33, v72
	global_load_dword v82, v[28:29], off
	ds_read_b128 v[38:41], v41 offset:6144
	v_cndmask_b32_e32 v28, v70, v75, vcc
	v_ashrrev_i32_e32 v29, 31, v28
	v_lshl_add_u64 v[28:29], v[28:29], 2, s[6:7]
	global_load_dword v83, v[28:29], off
	s_waitcnt vmcnt(10)
	v_mfma_f32_16x16x16_f16 v[14:17], v[62:63], v[66:67], v[14:17]
	v_lshl_or_b32 v75, v77, 4, v76
	v_lshlrev_b32_e32 v34, 5, v75
	v_lshl_add_u64 v[62:63], s[4:5], 0, v[34:35]
	v_mfma_f32_16x16x16_f16 v[14:17], v[64:65], v[68:69], v[14:17]
	v_or_b32_e32 v34, 0x800, v34
	global_load_dwordx4 v[70:73], v[26:27], off offset:3072
	s_waitcnt vmcnt(10)
	v_mfma_f32_16x16x16_f16 v[22:25], v[42:43], v[66:67], v[22:25]
	v_mfma_f32_16x16x16_f16 v[22:25], v[44:45], v[68:69], v[22:25]
	global_load_dwordx4 v[42:45], v[26:27], off offset:2048
	s_waitcnt vmcnt(10) lgkmcnt(0)
	v_mfma_f32_16x16x16_f16 v[6:9], v[50:51], v[38:39], v[6:9]
	s_waitcnt vmcnt(9)
	v_mfma_f32_16x16x16_f16 v[22:25], v[18:19], v[38:39], v[22:25]
	s_waitcnt vmcnt(7)
	v_mad_i64_i32 v[18:19], s[6:7], v78, s9, 0
	v_lshlrev_b64 v[64:65], 1, v[18:19]
	v_mfma_f32_16x16x16_f16 v[78:81], v[52:53], v[40:41], v[6:9]
	s_nop 2
	v_lshl_add_u64 v[6:7], v[62:63], 0, v[64:65]
	global_load_dwordx4 v[30:33], v[6:7], off
	global_load_dwordx4 v[26:29], v[6:7], off offset:16
	v_mfma_f32_16x16x16_f16 v[92:95], v[20:21], v[40:41], v[22:25]
	s_waitcnt vmcnt(7)
	v_mad_i64_i32 v[6:7], s[6:7], v36, s9, 0
	v_lshlrev_b64 v[36:37], 1, v[6:7]
	v_lshl_add_u64 v[6:7], v[62:63], 0, v[36:37]
	global_load_dwordx4 v[22:25], v[6:7], off
	global_load_dwordx4 v[18:21], v[6:7], off offset:16
	v_mfma_f32_16x16x16_f16 v[6:9], v[46:47], v[10:11], 0
	s_waitcnt vmcnt(7)
	v_mad_i64_i32 v[10:11], s[6:7], v82, s9, 0
	v_mfma_f32_16x16x16_f16 v[6:9], v[48:49], v[12:13], v[6:9]
	v_lshlrev_b64 v[50:51], 1, v[10:11]
	v_lshl_add_u64 v[10:11], v[62:63], 0, v[50:51]
	v_mfma_f32_16x16x16_f16 v[6:9], v[54:55], v[2:3], v[6:9]
	s_waitcnt vmcnt(6)
	v_mad_i64_i32 v[2:3], s[6:7], v83, s9, 0
	v_pk_mul_f32 v[82:83], s[8:9], v[80:81] op_sel_hi:[0,1]
	v_mfma_f32_16x16x16_f16 v[46:49], v[56:57], v[4:5], v[6:9]
	v_pk_mul_f32 v[80:81], s[8:9], v[92:93] op_sel_hi:[0,1]
	v_mfma_f32_16x16x16_f16 v[14:17], v[58:59], v[38:39], v[14:17]
	v_lshlrev_b64 v[58:59], 1, v[2:3]
	v_lshl_add_u64 v[2:3], v[62:63], 0, v[58:59]
	v_lshl_add_u64 v[62:63], s[4:5], 0, v[34:35]
	v_mfma_f32_16x16x16_f16 v[88:91], v[60:61], v[40:41], v[14:17]
	v_pk_mul_f32 v[60:61], s[8:9], v[78:79] op_sel_hi:[0,1]
	v_pk_mul_f32 v[78:79], s[8:9], v[94:95] op_sel_hi:[0,1]
	v_lshl_add_u64 v[34:35], v[62:63], 0, v[64:65]
	s_waitcnt vmcnt(4)
	v_mfma_f32_16x16x16_f16 v[46:49], v[42:43], v[66:67], v[46:49]
	s_nop 1
	v_pk_mul_f32 v[84:85], s[8:9], v[90:91] op_sel_hi:[0,1]
	global_load_dwordx4 v[14:17], v[10:11], off
	s_nop 0
	global_load_dwordx4 v[10:13], v[10:11], off offset:16
	s_nop 0
	global_load_dwordx4 v[6:9], v[2:3], off
	s_nop 0
	global_load_dwordx4 v[2:5], v[2:3], off offset:16
	v_mfma_f32_16x16x16_f16 v[42:45], v[44:45], v[68:69], v[46:49]
	v_lshl_add_u64 v[50:51], v[62:63], 0, v[50:51]
	v_lshl_add_u64 v[58:59], v[62:63], 0, v[58:59]
	v_mfma_f32_16x16x16_f16 v[42:45], v[70:71], v[38:39], v[42:45]
	v_pk_mul_f32 v[70:71], s[8:9], v[88:89] op_sel_hi:[0,1]
	v_mfma_f32_16x16x16_f16 v[38:41], v[72:73], v[40:41], v[42:45]
	s_nop 6
	v_pk_mul_f32 v[72:73], s[8:9], v[38:39] op_sel_hi:[0,1]
	v_and_b32_e32 v38, 0xc0, v0
	v_add_u32_e32 v38, s18, v38
	v_lshl_or_b32 v38, v86, 2, v38
	v_pk_mul_f32 v[66:67], s[8:9], v[40:41] op_sel_hi:[0,1]
	v_or_b32_e32 v41, 1, v38
	v_mov_b32_e32 v39, 0xff7fffff
	v_cmp_gt_i32_e64 s[28:29], s33, v38
	v_cmp_gt_i32_e64 s[30:31], s33, v41
	v_or_b32_e32 v42, 3, v38
	v_cndmask_b32_e64 v40, v39, v60, s[28:29]
	v_cndmask_b32_e64 v41, v39, v61, s[30:31]
	v_max3_f32 v40, v40, s41, v41
	v_or_b32_e32 v41, 2, v38
	v_cmp_gt_i32_e64 s[34:35], s33, v41
	v_cmp_gt_i32_e64 s[36:37], s33, v42
	s_nop 0
	v_cndmask_b32_e64 v41, v39, v82, s[34:35]
	v_cndmask_b32_e64 v42, v39, v83, s[36:37]
	v_max3_f32 v40, v40, v41, v42
	v_or_b32_e32 v41, 16, v38
	v_or_b32_e32 v42, 17, v38
	v_cmp_gt_i32_e64 s[22:23], s33, v41
	v_cmp_gt_i32_e64 s[24:25], s33, v42
	s_nop 0
	v_cndmask_b32_e64 v41, v39, v70, s[22:23]
	v_cndmask_b32_e64 v42, v39, v71, s[24:25]
	v_max3_f32 v40, v40, v41, v42
	v_or_b32_e32 v41, 18, v38
	;; [unrolled: 8-line block ×6, first 2 shown]
	v_or_b32_e32 v38, 51, v38
	v_cmp_gt_i32_e32 vcc, s33, v41
	v_cmp_gt_i32_e64 s[4:5], s33, v38
	s_nop 0
	v_cndmask_b32_e32 v41, v39, v66, vcc
	v_cndmask_b32_e64 v38, v39, v67, s[4:5]
	v_max3_f32 v52, v40, v41, v38
	v_mbcnt_lo_u32_b32 v38, -1, 0
	v_mbcnt_hi_u32_b32 v53, -1, v38
	v_and_b32_e32 v38, 64, v53
	v_add_u32_e32 v54, 64, v38
	v_xor_b32_e32 v38, 32, v53
	v_cmp_lt_i32_e64 s[38:39], v38, v54
	s_nop 1
	v_cndmask_b32_e64 v38, v53, v38, s[38:39]
	v_lshlrev_b32_e32 v89, 2, v38
	ds_bpermute_b32 v55, v89, v52
	global_load_dwordx4 v[46:49], v[34:35], off
	global_load_dwordx4 v[38:41], v[34:35], off offset:16
	v_lshl_add_u64 v[34:35], v[62:63], 0, v[36:37]
	global_load_dwordx4 v[42:45], v[34:35], off
	s_nop 0
	global_load_dwordx4 v[34:37], v[34:35], off offset:16
	s_waitcnt lgkmcnt(0)
	v_max_f32_e32 v55, v55, v55
	v_max_f32_e32 v64, v52, v55
	v_xor_b32_e32 v52, 16, v53
	v_cmp_lt_i32_e64 s[38:39], v52, v54
	s_nop 1
	v_cndmask_b32_e64 v52, v53, v52, s[38:39]
	v_lshlrev_b32_e32 v90, 2, v52
	ds_bpermute_b32 v65, v90, v64
	global_load_dwordx4 v[54:57], v[50:51], off
	s_nop 0
	global_load_dwordx4 v[50:53], v[50:51], off offset:16
	s_waitcnt lgkmcnt(0)
	v_max_f32_e32 v62, v65, v65
	v_max_f32_e32 v88, v64, v62
	v_sub_f32_e32 v60, v60, v88
	v_mul_f32_e32 v60, 0x3fb8aa3b, v60
	v_exp_f32_e32 v68, v60
	v_sub_f32_e32 v60, v61, v88
	v_mul_f32_e32 v60, 0x3fb8aa3b, v60
	v_exp_f32_e32 v69, v60
	global_load_dwordx4 v[62:65], v[58:59], off
	s_nop 0
	global_load_dwordx4 v[58:61], v[58:59], off offset:16
	v_sub_f32_e32 v82, v82, v88
	v_mul_f32_e32 v82, 0x3fb8aa3b, v82
	v_sub_f32_e32 v83, v83, v88
	v_exp_f32_e32 v82, v82
	v_mul_f32_e32 v83, 0x3fb8aa3b, v83
	v_sub_f32_e32 v70, v70, v88
	v_exp_f32_e32 v83, v83
	v_mul_f32_e32 v70, 0x3fb8aa3b, v70
	v_sub_f32_e32 v71, v71, v88
	v_cndmask_b32_e64 v68, 0, v68, s[28:29]
	v_exp_f32_e32 v70, v70
	v_mul_f32_e32 v71, 0x3fb8aa3b, v71
	v_sub_f32_e32 v84, v84, v88
	v_add_f32_e32 v91, 0, v68
	v_cndmask_b32_e64 v69, 0, v69, s[30:31]
	v_exp_f32_e32 v71, v71
	v_mul_f32_e32 v84, 0x3fb8aa3b, v84
	v_sub_f32_e32 v85, v85, v88
	v_add_f32_e32 v91, v91, v69
	;; [unrolled: 5-line block ×10, first 2 shown]
	v_cndmask_b32_e64 v78, 0, v78, s[10:11]
	v_exp_f32_e32 v66, v66
	v_mul_f32_e32 v67, 0x3fb8aa3b, v67
	v_add_f32_e32 v91, v91, v78
	v_cndmask_b32_e64 v79, 0, v79, s[12:13]
	v_exp_f32_e32 v67, v67
	v_add_f32_e32 v91, v91, v79
	v_cndmask_b32_e64 v72, 0, v72, s[6:7]
	v_add_f32_e32 v91, v91, v72
	v_cndmask_b32_e64 v73, 0, v73, s[8:9]
	v_add_f32_e32 v91, v91, v73
	v_cndmask_b32_e32 v66, 0, v66, vcc
	v_add_f32_e32 v91, v91, v66
	v_cndmask_b32_e64 v67, 0, v67, s[4:5]
	v_add_f32_e32 v91, v91, v67
	ds_bpermute_b32 v89, v89, v91
	v_cmp_gt_u32_e32 vcc, 16, v87
	s_waitcnt lgkmcnt(0)
	s_barrier
	v_add_f32_e32 v89, v91, v89
	ds_bpermute_b32 v90, v90, v89
	s_and_saveexec_b64 s[4:5], vcc
	s_cbranch_execz .LBB293_13
; %bb.12:
	s_waitcnt lgkmcnt(0)
	v_add_f32_e32 v87, v89, v90
	v_lshlrev_b32_e32 v75, 2, v75
	ds_write2st64_b32 v75, v88, v87 offset1:1
.LBB293_13:
	s_or_b64 exec, exec, s[4:5]
	v_lshlrev_b32_e32 v75, 2, v76
	s_load_dword s6, s[0:1], 0x94
	s_waitcnt lgkmcnt(0)
	s_barrier
	ds_read2_b32 v[88:89], v75 offset1:16
	ds_read2_b32 v[90:91], v75 offset0:32 offset1:48
	ds_read2_b32 v[92:93], v75 offset0:64 offset1:80
	;; [unrolled: 1-line block ×3, first 2 shown]
	s_waitcnt lgkmcnt(0)
	v_max3_f32 v87, v88, s41, v89
	v_max3_f32 v87, v87, v90, v91
	v_sub_f32_e32 v88, v88, v87
	v_mul_f32_e32 v88, 0x3fb8aa3b, v88
	v_exp_f32_e32 v1, v88
	v_sub_f32_e32 v88, v89, v87
	v_mul_f32_e32 v88, 0x3fb8aa3b, v88
	v_exp_f32_e32 v89, v88
	v_sub_f32_e32 v88, v90, v87
	v_mul_f32_e32 v88, 0x3fb8aa3b, v88
	v_sub_f32_e32 v75, v91, v87
	v_exp_f32_e32 v90, v88
	v_mul_f32_e32 v75, 0x3fb8aa3b, v75
	v_exp_f32_e32 v75, v75
	v_fma_f32 v88, v1, v92, 0
	v_fmac_f32_e32 v88, v89, v93
	v_fmac_f32_e32 v88, v90, v94
	v_fmac_f32_e32 v88, v75, v95
	v_add_f32_e32 v91, 0x358637bd, v88
	v_div_scale_f32 v92, s[4:5], v91, v91, 1.0
	v_rcp_f32_e32 v93, v92
	s_barrier
	s_mul_i32 s7, s27, 10
	v_fma_f32 v94, -v92, v93, 1.0
	v_fmac_f32_e32 v93, v94, v93
	v_div_scale_f32 v94, vcc, 1.0, v91, 1.0
	v_mul_f32_e32 v95, v94, v93
	v_fma_f32 v86, -v92, v95, v94
	v_fmac_f32_e32 v95, v86, v93
	v_fma_f32 v86, -v92, v95, v94
	v_div_fmas_f32 v86, v86, v93, v95
	v_cmp_eq_u32_e32 vcc, 1, v77
	v_div_fixup_f32 v86, v86, v91, 1.0
	s_nop 0
	v_cndmask_b32_e32 v1, v1, v89, vcc
	v_cmp_eq_u32_e32 vcc, 2, v77
	s_nop 1
	v_cndmask_b32_e32 v1, v1, v90, vcc
	v_cmp_eq_u32_e32 vcc, 3, v77
	s_nop 1
	v_cndmask_b32_e32 v1, v1, v75, vcc
	v_mul_f32_e32 v90, v1, v86
	v_pk_mul_f32 v[82:83], v[90:91], v[82:83] op_sel_hi:[0,1]
	v_pk_mul_f32 v[68:69], v[90:91], v[68:69] op_sel_hi:[0,1]
	v_cvt_f16_f32_e32 v1, v68
	v_cvt_f16_f32_e32 v68, v69
	;; [unrolled: 1-line block ×4, first 2 shown]
	v_pk_mul_f32 v[84:85], v[90:91], v[84:85] op_sel_hi:[0,1]
	v_pk_mul_f32 v[70:71], v[90:91], v[70:71] op_sel_hi:[0,1]
	v_bfe_u32 v86, v0, 4, 2
	v_pack_b32_f16 v83, v69, v75
	v_cvt_f16_f32_e32 v69, v70
	v_cvt_f16_f32_e32 v70, v71
	;; [unrolled: 1-line block ×4, first 2 shown]
	v_pack_b32_f16 v82, v1, v68
	v_lshlrev_b32_e32 v1, 3, v86
	v_lshlrev_b32_e32 v68, 5, v76
	;; [unrolled: 1-line block ×3, first 2 shown]
	v_or3_b32 v75, v75, v68, v1
	v_pack_b32_f16 v70, v69, v70
	v_pack_b32_f16 v71, v71, v84
	ds_write2st64_b64 v75, v[82:83], v[70:71] offset1:1
	v_pk_mul_f32 v[70:71], v[90:91], v[78:79] op_sel_hi:[0,1]
	v_pk_mul_f32 v[78:79], v[90:91], v[80:81] op_sel_hi:[0,1]
	v_cvt_f16_f32_e32 v1, v78
	v_cvt_f16_f32_e32 v77, v70
	;; [unrolled: 1-line block ×3, first 2 shown]
	v_pk_mul_f32 v[66:67], v[90:91], v[66:67] op_sel_hi:[0,1]
	v_pk_mul_f32 v[70:71], v[90:91], v[72:73] op_sel_hi:[0,1]
	v_cvt_f16_f32_e32 v69, v79
	v_cvt_f16_f32_e32 v70, v70
	v_cvt_f16_f32_e32 v71, v71
	v_cvt_f16_f32_e32 v72, v66
	v_cvt_f16_f32_e32 v73, v67
	v_pack_b32_f16 v66, v1, v69
	v_pack_b32_f16 v67, v77, v78
	;; [unrolled: 1-line block ×4, first 2 shown]
	v_cmp_gt_u32_e32 vcc, 10, v0
	ds_write2st64_b64 v75, v[66:67], v[70:71] offset0:2 offset1:3
	s_and_saveexec_b64 s[4:5], vcc
	s_cbranch_execz .LBB293_15
; %bb.14:
	s_mov_b32 s41, 0
	v_mov_b32_e32 v77, 0
	v_lshl_add_u64 v[66:67], s[40:41], 0, v[76:77]
	v_mov_b32_e32 v1, s7
	v_mad_u64_u32 v[66:67], s[12:13], s2, v1, v[66:67]
	s_mul_i32 s3, s3, s7
	v_mov_b32_e32 v70, s26
	v_mov_b32_e32 v71, v77
	s_load_dwordx4 s[8:11], s[0:1], 0x58
	v_add_u32_e32 v1, s3, v67
	v_mad_u64_u32 v[66:67], s[12:13], v66, s6, v[70:71]
	v_mov_b32_e32 v70, v67
	v_mad_u64_u32 v[70:71], s[12:13], v1, s6, v[70:71]
	v_mov_b32_e32 v67, v70
	v_lshlrev_b64 v[66:67], 2, v[66:67]
	s_waitcnt lgkmcnt(0)
	v_lshl_add_u64 v[70:71], s[10:11], 0, v[66:67]
	v_lshl_add_u64 v[66:67], s[8:9], 0, v[66:67]
	global_store_dword v[70:71], v87, off
	global_store_dword v[66:67], v88, off
.LBB293_15:
	s_or_b64 exec, exec, s[4:5]
	v_lshl_or_b32 v1, v86, 9, v68
	s_waitcnt lgkmcnt(0)
	s_barrier
	ds_read_b128 v[70:73], v1
	ds_read_b128 v[66:69], v1 offset:16
	s_waitcnt vmcnt(15) lgkmcnt(1)
	v_mfma_f32_16x16x16_f16 v[78:81], v[30:31], v[70:71], 0
	s_mov_b32 s3, 0
	v_cmp_gt_u32_e32 vcc, 64, v0
	v_mfma_f32_16x16x16_f16 v[30:33], v[32:33], v[72:73], v[78:81]
	s_waitcnt vmcnt(14) lgkmcnt(0)
	v_mfma_f32_16x16x16_f16 v[30:33], v[26:27], v[66:67], v[30:33]
	v_mfma_f32_16x16x16_f16 v[26:29], v[28:29], v[68:69], v[30:33]
	s_nop 5
	ds_read_b128 v[30:33], v1 offset:2048
	ds_read_b128 v[78:81], v1 offset:2064
	s_waitcnt vmcnt(13) lgkmcnt(1)
	v_mfma_f32_16x16x16_f16 v[26:29], v[22:23], v[30:31], v[26:29]
	v_mfma_f32_16x16x16_f16 v[22:25], v[24:25], v[32:33], v[26:29]
	s_waitcnt vmcnt(12) lgkmcnt(0)
	v_mfma_f32_16x16x16_f16 v[22:25], v[18:19], v[78:79], v[22:25]
	v_mfma_f32_16x16x16_f16 v[18:21], v[20:21], v[80:81], v[22:25]
	s_nop 5
	ds_read_b128 v[22:25], v1 offset:4096
	ds_read_b128 v[26:29], v1 offset:4112
	s_waitcnt vmcnt(11) lgkmcnt(1)
	v_mfma_f32_16x16x16_f16 v[18:21], v[14:15], v[22:23], v[18:21]
	v_mfma_f32_16x16x16_f16 v[14:17], v[16:17], v[24:25], v[18:21]
	s_waitcnt vmcnt(10) lgkmcnt(0)
	v_mfma_f32_16x16x16_f16 v[14:17], v[10:11], v[26:27], v[14:17]
	v_mfma_f32_16x16x16_f16 v[10:13], v[12:13], v[28:29], v[14:17]
	s_nop 5
	ds_read_b128 v[14:17], v1 offset:6144
	ds_read_b128 v[18:21], v1 offset:6160
	s_waitcnt lgkmcnt(0)
	s_barrier
	s_waitcnt vmcnt(9)
	v_mfma_f32_16x16x16_f16 v[10:13], v[6:7], v[14:15], v[10:13]
	v_mfma_f32_16x16x16_f16 v[6:9], v[8:9], v[16:17], v[10:13]
	s_waitcnt vmcnt(8)
	v_mfma_f32_16x16x16_f16 v[6:9], v[2:3], v[18:19], v[6:9]
	v_mfma_f32_16x16x16_f16 v[2:5], v[4:5], v[20:21], v[6:9]
	;; [unrolled: 3-line block ×3, first 2 shown]
	s_nop 3
	v_cvt_f16_f32_e32 v1, v2
	v_cvt_f16_f32_e32 v10, v3
	;; [unrolled: 1-line block ×3, first 2 shown]
	s_waitcnt vmcnt(6)
	v_mfma_f32_16x16x16_f16 v[6:9], v[38:39], v[66:67], v[6:9]
	v_cvt_f16_f32_e32 v12, v5
	v_mfma_f32_16x16x16_f16 v[6:9], v[40:41], v[68:69], v[6:9]
	s_waitcnt vmcnt(5)
	v_mfma_f32_16x16x16_f16 v[6:9], v[42:43], v[30:31], v[6:9]
	v_mfma_f32_16x16x16_f16 v[6:9], v[44:45], v[32:33], v[6:9]
	s_waitcnt vmcnt(4)
	v_mfma_f32_16x16x16_f16 v[6:9], v[34:35], v[78:79], v[6:9]
	;; [unrolled: 3-line block ×6, first 2 shown]
	v_mfma_f32_16x16x16_f16 v[2:5], v[60:61], v[20:21], v[6:9]
	s_nop 6
	v_cvt_f16_f32_e32 v6, v2
	v_cvt_f16_f32_e32 v7, v3
	v_cvt_f16_f32_e32 v8, v4
	v_cvt_f16_f32_e32 v5, v5
	v_pack_b32_f16 v2, v1, v10
	v_pack_b32_f16 v3, v11, v12
	;; [unrolled: 1-line block ×4, first 2 shown]
	ds_write2st64_b64 v75, v[2:3], v[4:5] offset1:1
	s_waitcnt lgkmcnt(0)
	s_barrier
	s_and_saveexec_b64 s[4:5], vcc
	s_cbranch_execz .LBB293_18
; %bb.16:
	s_load_dwordx2 s[4:5], s[0:1], 0x68
	s_lshl_b32 s0, s6, 7
	s_mul_i32 s1, s7, s2
	v_lshlrev_b32_e32 v3, 6, v76
	s_mul_hi_u32 s7, s1, s0
	s_mul_i32 s6, s1, s0
	v_lshlrev_b32_e32 v2, 4, v0
	v_lshl_or_b32 v0, v0, 10, v3
	s_lshl_b64 s[6:7], s[6:7], 1
	v_lshlrev_b32_e32 v1, 5, v86
	v_and_b32_e32 v2, 16, v2
	v_and_b32_e32 v0, 0x1a00, v0
	s_waitcnt lgkmcnt(0)
	s_add_u32 s1, s4, s6
	v_or3_b32 v2, v0, v1, v2
	s_addc_u32 s4, s5, s7
	s_lshl_b32 s2, s26, 7
	s_lshl_b64 s[2:3], s[2:3], 1
	ds_read_b128 v[4:7], v2 offset:128
	ds_read_b128 v[8:11], v2
	s_add_u32 s2, s1, s2
	s_addc_u32 s3, s4, s3
	v_mov_b32_e32 v75, 0
	v_add_u32_e32 v14, s40, v86
	v_lshl_add_u64 v[0:1], s[2:3], 0, v[74:75]
	v_mad_u64_u32 v[12:13], s[2:3], v14, s0, 0
	v_lshl_add_u64 v[12:13], v[12:13], 1, v[0:1]
	s_waitcnt lgkmcnt(0)
	global_store_dwordx4 v[12:13], v[8:11], off
	v_or_b32_e32 v3, 8, v86
	v_cmp_gt_u32_e32 vcc, 10, v3
	v_add_u32_e32 v8, 4, v14
	v_mad_u64_u32 v[8:9], s[2:3], v8, s0, 0
	v_lshl_add_u64 v[8:9], v[8:9], 1, v[0:1]
	global_store_dwordx4 v[8:9], v[4:7], off
	s_and_b64 exec, exec, vcc
	s_cbranch_execz .LBB293_18
; %bb.17:
	ds_read_b128 v[4:7], v2 offset:256
	v_add_u32_e32 v2, s40, v3
	v_mad_u64_u32 v[2:3], s[0:1], v2, s0, 0
	v_lshl_add_u64 v[0:1], v[2:3], 1, v[0:1]
	s_waitcnt lgkmcnt(0)
	global_store_dwordx4 v[0:1], v[4:7], off
.LBB293_18:
	s_endpgm
	.section	.rodata,"a",@progbits
	.p2align	6, 0x0
	.amdhsa_kernel _Z39paged_attention_ll4mi_QKV_mfma16_kernelIDF16_DF16_LN4vllm18Fp8KVCacheDataTypeE0EDF16_Li16ELi128ELi256ELb0ELi10EEvPKT_PKT0_S7_ifPKiS9_S9_iPKfiiiPfSC_PS2_PT2_iSB_SB_
		.amdhsa_group_segment_fixed_size 8192
		.amdhsa_private_segment_fixed_size 0
		.amdhsa_kernarg_size 400
		.amdhsa_user_sgpr_count 2
		.amdhsa_user_sgpr_dispatch_ptr 0
		.amdhsa_user_sgpr_queue_ptr 0
		.amdhsa_user_sgpr_kernarg_segment_ptr 1
		.amdhsa_user_sgpr_dispatch_id 0
		.amdhsa_user_sgpr_kernarg_preload_length 0
		.amdhsa_user_sgpr_kernarg_preload_offset 0
		.amdhsa_user_sgpr_private_segment_size 0
		.amdhsa_uses_dynamic_stack 0
		.amdhsa_enable_private_segment 0
		.amdhsa_system_sgpr_workgroup_id_x 1
		.amdhsa_system_sgpr_workgroup_id_y 1
		.amdhsa_system_sgpr_workgroup_id_z 1
		.amdhsa_system_sgpr_workgroup_info 0
		.amdhsa_system_vgpr_workitem_id 0
		.amdhsa_next_free_vgpr 96
		.amdhsa_next_free_sgpr 42
		.amdhsa_accum_offset 96
		.amdhsa_reserve_vcc 1
		.amdhsa_float_round_mode_32 0
		.amdhsa_float_round_mode_16_64 0
		.amdhsa_float_denorm_mode_32 3
		.amdhsa_float_denorm_mode_16_64 3
		.amdhsa_dx10_clamp 1
		.amdhsa_ieee_mode 1
		.amdhsa_fp16_overflow 0
		.amdhsa_tg_split 0
		.amdhsa_exception_fp_ieee_invalid_op 0
		.amdhsa_exception_fp_denorm_src 0
		.amdhsa_exception_fp_ieee_div_zero 0
		.amdhsa_exception_fp_ieee_overflow 0
		.amdhsa_exception_fp_ieee_underflow 0
		.amdhsa_exception_fp_ieee_inexact 0
		.amdhsa_exception_int_div_zero 0
	.end_amdhsa_kernel
	.section	.text._Z39paged_attention_ll4mi_QKV_mfma16_kernelIDF16_DF16_LN4vllm18Fp8KVCacheDataTypeE0EDF16_Li16ELi128ELi256ELb0ELi10EEvPKT_PKT0_S7_ifPKiS9_S9_iPKfiiiPfSC_PS2_PT2_iSB_SB_,"axG",@progbits,_Z39paged_attention_ll4mi_QKV_mfma16_kernelIDF16_DF16_LN4vllm18Fp8KVCacheDataTypeE0EDF16_Li16ELi128ELi256ELb0ELi10EEvPKT_PKT0_S7_ifPKiS9_S9_iPKfiiiPfSC_PS2_PT2_iSB_SB_,comdat
.Lfunc_end293:
	.size	_Z39paged_attention_ll4mi_QKV_mfma16_kernelIDF16_DF16_LN4vllm18Fp8KVCacheDataTypeE0EDF16_Li16ELi128ELi256ELb0ELi10EEvPKT_PKT0_S7_ifPKiS9_S9_iPKfiiiPfSC_PS2_PT2_iSB_SB_, .Lfunc_end293-_Z39paged_attention_ll4mi_QKV_mfma16_kernelIDF16_DF16_LN4vllm18Fp8KVCacheDataTypeE0EDF16_Li16ELi128ELi256ELb0ELi10EEvPKT_PKT0_S7_ifPKiS9_S9_iPKfiiiPfSC_PS2_PT2_iSB_SB_
                                        ; -- End function
	.section	.AMDGPU.csdata,"",@progbits
; Kernel info:
; codeLenInByte = 4416
; NumSgprs: 48
; NumVgprs: 96
; NumAgprs: 0
; TotalNumVgprs: 96
; ScratchSize: 0
; MemoryBound: 0
; FloatMode: 240
; IeeeMode: 1
; LDSByteSize: 8192 bytes/workgroup (compile time only)
; SGPRBlocks: 5
; VGPRBlocks: 11
; NumSGPRsForWavesPerEU: 48
; NumVGPRsForWavesPerEU: 96
; AccumOffset: 96
; Occupancy: 5
; WaveLimiterHint : 1
; COMPUTE_PGM_RSRC2:SCRATCH_EN: 0
; COMPUTE_PGM_RSRC2:USER_SGPR: 2
; COMPUTE_PGM_RSRC2:TRAP_HANDLER: 0
; COMPUTE_PGM_RSRC2:TGID_X_EN: 1
; COMPUTE_PGM_RSRC2:TGID_Y_EN: 1
; COMPUTE_PGM_RSRC2:TGID_Z_EN: 1
; COMPUTE_PGM_RSRC2:TIDIG_COMP_CNT: 0
; COMPUTE_PGM_RSRC3_GFX90A:ACCUM_OFFSET: 23
; COMPUTE_PGM_RSRC3_GFX90A:TG_SPLIT: 0
	.section	.text._Z39paged_attention_ll4mi_QKV_mfma16_kernelIDF16_DF16_LN4vllm18Fp8KVCacheDataTypeE0EDF16_Li16ELi128ELi256ELb0ELi11EEvPKT_PKT0_S7_ifPKiS9_S9_iPKfiiiPfSC_PS2_PT2_iSB_SB_,"axG",@progbits,_Z39paged_attention_ll4mi_QKV_mfma16_kernelIDF16_DF16_LN4vllm18Fp8KVCacheDataTypeE0EDF16_Li16ELi128ELi256ELb0ELi11EEvPKT_PKT0_S7_ifPKiS9_S9_iPKfiiiPfSC_PS2_PT2_iSB_SB_,comdat
	.protected	_Z39paged_attention_ll4mi_QKV_mfma16_kernelIDF16_DF16_LN4vllm18Fp8KVCacheDataTypeE0EDF16_Li16ELi128ELi256ELb0ELi11EEvPKT_PKT0_S7_ifPKiS9_S9_iPKfiiiPfSC_PS2_PT2_iSB_SB_ ; -- Begin function _Z39paged_attention_ll4mi_QKV_mfma16_kernelIDF16_DF16_LN4vllm18Fp8KVCacheDataTypeE0EDF16_Li16ELi128ELi256ELb0ELi11EEvPKT_PKT0_S7_ifPKiS9_S9_iPKfiiiPfSC_PS2_PT2_iSB_SB_
	.globl	_Z39paged_attention_ll4mi_QKV_mfma16_kernelIDF16_DF16_LN4vllm18Fp8KVCacheDataTypeE0EDF16_Li16ELi128ELi256ELb0ELi11EEvPKT_PKT0_S7_ifPKiS9_S9_iPKfiiiPfSC_PS2_PT2_iSB_SB_
	.p2align	8
	.type	_Z39paged_attention_ll4mi_QKV_mfma16_kernelIDF16_DF16_LN4vllm18Fp8KVCacheDataTypeE0EDF16_Li16ELi128ELi256ELb0ELi11EEvPKT_PKT0_S7_ifPKiS9_S9_iPKfiiiPfSC_PS2_PT2_iSB_SB_,@function
_Z39paged_attention_ll4mi_QKV_mfma16_kernelIDF16_DF16_LN4vllm18Fp8KVCacheDataTypeE0EDF16_Li16ELi128ELi256ELb0ELi11EEvPKT_PKT0_S7_ifPKiS9_S9_iPKfiiiPfSC_PS2_PT2_iSB_SB_: ; @_Z39paged_attention_ll4mi_QKV_mfma16_kernelIDF16_DF16_LN4vllm18Fp8KVCacheDataTypeE0EDF16_Li16ELi128ELi256ELb0ELi11EEvPKT_PKT0_S7_ifPKiS9_S9_iPKfiiiPfSC_PS2_PT2_iSB_SB_
; %bb.0:
	s_load_dwordx2 s[8:9], s[0:1], 0x30
	s_mov_b32 s26, s3
	s_mov_b64 s[6:7], 0
	s_waitcnt lgkmcnt(0)
	s_cmp_lg_u64 s[8:9], 0
	s_cselect_b64 s[10:11], -1, 0
	s_and_b64 vcc, exec, s[10:11]
	s_cbranch_vccz .LBB294_7
; %bb.1:
	s_add_i32 s12, s2, 1
	s_mov_b32 s13, 0
	s_lshl_b64 s[14:15], s[12:13], 2
	s_add_u32 s14, s8, s14
	s_mov_b32 s3, s13
	s_addc_u32 s15, s9, s15
	s_lshl_b64 s[12:13], s[2:3], 2
	s_add_u32 s12, s8, s12
	s_addc_u32 s13, s9, s13
	s_load_dword s5, s[14:15], 0x0
	s_load_dword s16, s[12:13], 0x0
	s_waitcnt lgkmcnt(0)
	s_sub_i32 s5, s5, s16
	s_cmp_eq_u32 s5, 1
	s_cselect_b64 s[12:13], -1, 0
	s_andn2_b64 vcc, exec, s[6:7]
	s_cbranch_vccnz .LBB294_3
.LBB294_2:
	s_mov_b32 s3, 0
	s_mov_b64 s[12:13], -1
.LBB294_3:
	s_andn2_b64 vcc, exec, s[12:13]
	s_cbranch_vccnz .LBB294_18
; %bb.4:
	s_load_dwordx2 s[6:7], s[0:1], 0x28
	s_lshl_b64 s[16:17], s[2:3], 2
	s_waitcnt lgkmcnt(0)
	s_add_u32 s6, s6, s16
	s_addc_u32 s7, s7, s17
	s_load_dword s33, s[6:7], 0x0
	s_lshl_b32 s18, s26, 8
	s_waitcnt lgkmcnt(0)
	s_cmp_ge_i32 s18, s33
	s_cbranch_scc1 .LBB294_18
; %bb.5:
	s_load_dwordx2 s[6:7], s[0:1], 0x20
	s_load_dword s5, s[0:1], 0x38
	s_add_i32 s12, s33, 15
	s_ashr_i32 s13, s12, 31
	v_and_b32_e32 v1, 0xcf, v0
	s_lshr_b32 s13, s13, 28
	v_add_u32_e32 v1, s18, v1
	s_add_i32 s12, s12, s13
	v_ashrrev_i32_e32 v2, 31, v1
	s_ashr_i32 s19, s12, 4
	v_lshrrev_b32_e32 v4, 28, v2
	s_add_i32 s19, s19, -1
	s_waitcnt lgkmcnt(0)
	s_mul_i32 s12, s2, s5
	s_mov_b32 s13, 0
	v_add_u32_e32 v2, v1, v4
	s_lshl_b64 s[12:13], s[12:13], 2
	v_ashrrev_i32_e32 v2, 4, v2
	v_mov_b32_e32 v5, s19
	v_cmp_gt_i32_e32 vcc, s33, v1
	s_add_u32 s6, s6, s12
	s_addc_u32 s7, s7, s13
	v_cndmask_b32_e32 v2, v5, v2, vcc
	v_ashrrev_i32_e32 v3, 31, v2
	v_lshl_add_u64 v[6:7], v[2:3], 2, s[6:7]
	v_or_b32_e32 v2, 16, v1
	v_add_u32_e32 v3, v2, v4
	v_ashrrev_i32_e32 v3, 4, v3
	v_cmp_gt_i32_e32 vcc, s33, v2
	s_load_dwordx4 s[12:15], s[0:1], 0x8
	s_nop 0
	v_cndmask_b32_e32 v2, v5, v3, vcc
	v_ashrrev_i32_e32 v3, 31, v2
	v_lshl_add_u64 v[8:9], v[2:3], 2, s[6:7]
	v_or_b32_e32 v2, 32, v1
	v_add_u32_e32 v3, v2, v4
	v_ashrrev_i32_e32 v3, 4, v3
	v_cmp_gt_i32_e32 vcc, s33, v2
	v_or_b32_e32 v1, 48, v1
	s_nop 0
	v_cndmask_b32_e32 v2, v5, v3, vcc
	v_ashrrev_i32_e32 v3, 31, v2
	v_lshl_add_u64 v[10:11], v[2:3], 2, s[6:7]
	v_add_u32_e32 v2, v1, v4
	v_ashrrev_i32_e32 v2, 4, v2
	v_cmp_gt_i32_e32 vcc, s33, v1
	s_nop 1
	v_cndmask_b32_e32 v2, v5, v2, vcc
	v_ashrrev_i32_e32 v3, 31, v2
	v_lshl_add_u64 v[12:13], v[2:3], 2, s[6:7]
	global_load_dword v4, v[6:7], off
	global_load_dword v3, v[8:9], off
	;; [unrolled: 1-line block ×4, first 2 shown]
	s_andn2_b64 vcc, exec, s[10:11]
	s_cbranch_vccnz .LBB294_8
; %bb.6:
	s_add_u32 s8, s8, s16
	s_addc_u32 s9, s9, s17
	s_load_dword s5, s[8:9], 0x0
	s_branch .LBB294_9
.LBB294_7:
	s_mov_b64 s[12:13], 0
	s_branch .LBB294_2
.LBB294_8:
	s_mov_b32 s5, s2
.LBB294_9:
	s_load_dwordx4 s[8:11], s[0:1], 0x48
	v_lshrrev_b32_e32 v77, 6, v0
	v_bfe_u32 v86, v0, 4, 2
	v_and_b32_e32 v76, 15, v0
	v_lshl_or_b32 v1, v77, 2, v86
	v_lshlrev_b32_e32 v5, 3, v76
	v_and_b32_e32 v87, 63, v0
	s_mul_i32 s40, s4, 11
	v_cmp_gt_u32_e32 vcc, 11, v1
	v_lshlrev_b32_e32 v74, 1, v5
	s_and_saveexec_b64 s[16:17], vcc
	s_cbranch_execz .LBB294_11
; %bb.10:
	s_load_dwordx2 s[20:21], s[0:1], 0x0
	s_waitcnt lgkmcnt(0)
	s_ashr_i32 s11, s8, 31
	s_mul_hi_u32 s22, s5, s8
	s_mul_i32 s11, s5, s11
	s_add_i32 s23, s22, s11
	s_mul_i32 s22, s5, s8
	s_lshl_b64 s[22:23], s[22:23], 1
	s_add_u32 s20, s20, s22
	v_add_lshl_u32 v6, v1, s40, 7
	s_addc_u32 s21, s21, s23
	v_ashrrev_i32_e32 v7, 31, v6
	v_lshl_add_u64 v[6:7], v[6:7], 1, s[20:21]
	v_mov_b32_e32 v75, 0
	v_lshl_add_u64 v[6:7], v[6:7], 0, v[74:75]
	global_load_dwordx4 v[6:9], v[6:7], off
	v_and_b32_e32 v5, 3, v0
	v_lshlrev_b32_e32 v10, 9, v76
	v_lshlrev_b32_e32 v1, 5, v1
	;; [unrolled: 1-line block ×3, first 2 shown]
	v_and_b32_e32 v10, 0x1800, v10
	v_or3_b32 v1, v10, v5, v1
	s_waitcnt vmcnt(0)
	ds_write_b128 v1, v[6:9]
.LBB294_11:
	s_or_b64 exec, exec, s[16:17]
	s_waitcnt lgkmcnt(0)
	s_mul_i32 s4, s4, s10
	s_mov_b32 s5, 0
	s_lshl_b64 s[4:5], s[4:5], 1
	s_add_u32 s10, s12, s4
	v_lshlrev_b32_e32 v1, 4, v0
	s_addc_u32 s11, s13, s5
	v_and_b32_e32 v34, 0xf0, v1
	v_mov_b32_e32 v35, 0
	v_lshl_add_u64 v[30:31], s[10:11], 0, v[34:35]
	s_waitcnt vmcnt(3)
	v_mad_i64_i32 v[4:5], s[10:11], v4, s9, 0
	v_lshl_add_u64 v[4:5], v[4:5], 1, v[30:31]
	v_and_b32_e32 v34, 0x300, v1
	v_lshl_add_u64 v[32:33], v[4:5], 0, v[34:35]
	s_load_dword s27, s[0:1], 0x98
	s_load_dword s8, s[0:1], 0x1c
	s_waitcnt lgkmcnt(0)
	s_barrier
	global_load_dwordx4 v[6:9], v[32:33], off
	global_load_dwordx4 v[18:21], v[32:33], off offset:1024
	s_waitcnt vmcnt(4)
	v_mad_i64_i32 v[4:5], s[10:11], v3, s9, 0
	s_waitcnt vmcnt(3)
	v_mad_i64_i32 v[2:3], s[10:11], v2, s9, 0
	v_lshl_add_u64 v[4:5], v[4:5], 1, v[30:31]
	v_lshl_add_u64 v[2:3], v[2:3], 1, v[30:31]
	;; [unrolled: 1-line block ×4, first 2 shown]
	global_load_dwordx4 v[14:17], v[36:37], off
	global_load_dwordx4 v[22:25], v[36:37], off offset:1024
	global_load_dwordx4 v[26:29], v[38:39], off
	global_load_dwordx4 v[46:49], v[38:39], off offset:1024
	v_add_u32_e32 v2, -11, v76
	v_cmp_gt_u32_e32 vcc, 11, v76
	global_load_dwordx4 v[54:57], v[32:33], off offset:2048
	global_load_dwordx4 v[62:65], v[36:37], off offset:2048
	v_cndmask_b32_e32 v2, v2, v76, vcc
	v_lshlrev_b32_e32 v2, 5, v2
	v_lshl_add_u32 v41, v86, 9, v2
	ds_read_b128 v[10:13], v41
	ds_read_b128 v[2:5], v41 offset:2048
	v_mov_b32_e32 v70, s19
	s_add_u32 s4, s14, s4
	s_addc_u32 s5, s15, s5
	s_mov_b32 s41, 0xff7fffff
	s_waitcnt vmcnt(7) lgkmcnt(1)
	v_mfma_f32_16x16x16_f16 v[42:45], v[6:7], v[10:11], 0
	v_mfma_f32_16x16x16_f16 v[6:9], v[8:9], v[12:13], v[42:45]
	s_nop 5
	global_load_dwordx4 v[42:45], v[38:39], off offset:2048
	s_waitcnt vmcnt(6)
	v_mfma_f32_16x16x16_f16 v[50:53], v[14:15], v[10:11], 0
	s_waitcnt vmcnt(4)
	v_mfma_f32_16x16x16_f16 v[58:61], v[26:27], v[10:11], 0
	v_mfma_f32_16x16x16_f16 v[14:17], v[16:17], v[12:13], v[50:53]
	;; [unrolled: 1-line block ×3, first 2 shown]
	s_nop 2
	global_load_dwordx4 v[50:53], v[32:33], off offset:3072
	v_mad_i64_i32 v[32:33], s[10:11], v40, s9, 0
	s_waitcnt lgkmcnt(0)
	v_mfma_f32_16x16x16_f16 v[6:9], v[18:19], v[2:3], v[6:9]
	v_and_or_b32 v40, v0, 48, s18
	v_ashrrev_i32_e32 v58, 4, v40
	v_cmp_gt_i32_e32 vcc, s33, v40
	v_mfma_f32_16x16x16_f16 v[14:17], v[22:23], v[2:3], v[14:17]
	v_or_b32_e32 v66, 64, v40
	v_cndmask_b32_e32 v22, v70, v58, vcc
	v_ashrrev_i32_e32 v23, 31, v22
	s_waitcnt vmcnt(4)
	v_mfma_f32_16x16x16_f16 v[26:29], v[46:47], v[2:3], v[26:29]
	v_or_b32_e32 v71, 0x80, v40
	v_or_b32_e32 v72, 0xc0, v40
	v_ashrrev_i32_e32 v40, 4, v66
	v_mfma_f32_16x16x16_f16 v[6:9], v[20:21], v[4:5], v[6:9]
	global_load_dwordx4 v[18:21], v[38:39], off offset:3072
	v_cmp_gt_i32_e32 vcc, s33, v66
	v_lshl_add_u64 v[22:23], v[22:23], 2, s[6:7]
	global_load_dwordx4 v[58:61], v[36:37], off offset:3072
	v_cndmask_b32_e32 v36, v70, v40, vcc
	v_mfma_f32_16x16x16_f16 v[14:17], v[24:25], v[4:5], v[14:17]
	global_load_dword v78, v[22:23], off
	ds_read_b128 v[66:69], v41 offset:4096
	v_ashrrev_i32_e32 v37, 31, v36
	v_mfma_f32_16x16x16_f16 v[22:25], v[48:49], v[4:5], v[26:29]
	v_ashrrev_i32_e32 v73, 4, v71
	v_cmp_gt_i32_e32 vcc, s33, v71
	v_ashrrev_i32_e32 v75, 4, v72
	v_lshl_add_u64 v[26:27], v[32:33], 1, v[30:31]
	v_lshl_add_u64 v[26:27], v[26:27], 0, v[34:35]
	;; [unrolled: 1-line block ×3, first 2 shown]
	global_load_dwordx4 v[46:49], v[26:27], off
	global_load_dword v36, v[28:29], off
	s_waitcnt vmcnt(8) lgkmcnt(0)
	v_mfma_f32_16x16x16_f16 v[6:9], v[54:55], v[66:67], v[6:9]
	v_cndmask_b32_e32 v28, v70, v73, vcc
	v_ashrrev_i32_e32 v29, 31, v28
	v_lshl_add_u64 v[28:29], v[28:29], 2, s[6:7]
	v_mfma_f32_16x16x16_f16 v[6:9], v[56:57], v[68:69], v[6:9]
	global_load_dwordx4 v[54:57], v[26:27], off offset:1024
	v_cmp_gt_i32_e32 vcc, s33, v72
	global_load_dword v82, v[28:29], off
	ds_read_b128 v[38:41], v41 offset:6144
	v_cndmask_b32_e32 v28, v70, v75, vcc
	v_ashrrev_i32_e32 v29, 31, v28
	v_lshl_add_u64 v[28:29], v[28:29], 2, s[6:7]
	global_load_dword v83, v[28:29], off
	s_waitcnt vmcnt(10)
	v_mfma_f32_16x16x16_f16 v[14:17], v[62:63], v[66:67], v[14:17]
	v_lshl_or_b32 v75, v77, 4, v76
	v_lshlrev_b32_e32 v34, 5, v75
	v_lshl_add_u64 v[62:63], s[4:5], 0, v[34:35]
	v_mfma_f32_16x16x16_f16 v[14:17], v[64:65], v[68:69], v[14:17]
	v_or_b32_e32 v34, 0x800, v34
	global_load_dwordx4 v[70:73], v[26:27], off offset:3072
	s_waitcnt vmcnt(10)
	v_mfma_f32_16x16x16_f16 v[22:25], v[42:43], v[66:67], v[22:25]
	v_mfma_f32_16x16x16_f16 v[22:25], v[44:45], v[68:69], v[22:25]
	global_load_dwordx4 v[42:45], v[26:27], off offset:2048
	s_waitcnt vmcnt(10) lgkmcnt(0)
	v_mfma_f32_16x16x16_f16 v[6:9], v[50:51], v[38:39], v[6:9]
	s_waitcnt vmcnt(9)
	v_mfma_f32_16x16x16_f16 v[22:25], v[18:19], v[38:39], v[22:25]
	s_waitcnt vmcnt(7)
	v_mad_i64_i32 v[18:19], s[6:7], v78, s9, 0
	v_lshlrev_b64 v[64:65], 1, v[18:19]
	v_mfma_f32_16x16x16_f16 v[78:81], v[52:53], v[40:41], v[6:9]
	s_nop 2
	v_lshl_add_u64 v[6:7], v[62:63], 0, v[64:65]
	global_load_dwordx4 v[30:33], v[6:7], off
	global_load_dwordx4 v[26:29], v[6:7], off offset:16
	v_mfma_f32_16x16x16_f16 v[92:95], v[20:21], v[40:41], v[22:25]
	s_waitcnt vmcnt(7)
	v_mad_i64_i32 v[6:7], s[6:7], v36, s9, 0
	v_lshlrev_b64 v[36:37], 1, v[6:7]
	v_lshl_add_u64 v[6:7], v[62:63], 0, v[36:37]
	global_load_dwordx4 v[22:25], v[6:7], off
	global_load_dwordx4 v[18:21], v[6:7], off offset:16
	v_mfma_f32_16x16x16_f16 v[6:9], v[46:47], v[10:11], 0
	s_waitcnt vmcnt(7)
	v_mad_i64_i32 v[10:11], s[6:7], v82, s9, 0
	v_mfma_f32_16x16x16_f16 v[6:9], v[48:49], v[12:13], v[6:9]
	v_lshlrev_b64 v[50:51], 1, v[10:11]
	v_lshl_add_u64 v[10:11], v[62:63], 0, v[50:51]
	v_mfma_f32_16x16x16_f16 v[6:9], v[54:55], v[2:3], v[6:9]
	s_waitcnt vmcnt(6)
	v_mad_i64_i32 v[2:3], s[6:7], v83, s9, 0
	v_pk_mul_f32 v[82:83], s[8:9], v[80:81] op_sel_hi:[0,1]
	v_mfma_f32_16x16x16_f16 v[46:49], v[56:57], v[4:5], v[6:9]
	v_pk_mul_f32 v[80:81], s[8:9], v[92:93] op_sel_hi:[0,1]
	v_mfma_f32_16x16x16_f16 v[14:17], v[58:59], v[38:39], v[14:17]
	v_lshlrev_b64 v[58:59], 1, v[2:3]
	v_lshl_add_u64 v[2:3], v[62:63], 0, v[58:59]
	v_lshl_add_u64 v[62:63], s[4:5], 0, v[34:35]
	v_mfma_f32_16x16x16_f16 v[88:91], v[60:61], v[40:41], v[14:17]
	v_pk_mul_f32 v[60:61], s[8:9], v[78:79] op_sel_hi:[0,1]
	v_pk_mul_f32 v[78:79], s[8:9], v[94:95] op_sel_hi:[0,1]
	v_lshl_add_u64 v[34:35], v[62:63], 0, v[64:65]
	s_waitcnt vmcnt(4)
	v_mfma_f32_16x16x16_f16 v[46:49], v[42:43], v[66:67], v[46:49]
	s_nop 1
	v_pk_mul_f32 v[84:85], s[8:9], v[90:91] op_sel_hi:[0,1]
	global_load_dwordx4 v[14:17], v[10:11], off
	s_nop 0
	global_load_dwordx4 v[10:13], v[10:11], off offset:16
	s_nop 0
	global_load_dwordx4 v[6:9], v[2:3], off
	s_nop 0
	global_load_dwordx4 v[2:5], v[2:3], off offset:16
	v_mfma_f32_16x16x16_f16 v[42:45], v[44:45], v[68:69], v[46:49]
	v_lshl_add_u64 v[50:51], v[62:63], 0, v[50:51]
	v_lshl_add_u64 v[58:59], v[62:63], 0, v[58:59]
	v_mfma_f32_16x16x16_f16 v[42:45], v[70:71], v[38:39], v[42:45]
	v_pk_mul_f32 v[70:71], s[8:9], v[88:89] op_sel_hi:[0,1]
	v_mfma_f32_16x16x16_f16 v[38:41], v[72:73], v[40:41], v[42:45]
	s_nop 6
	v_pk_mul_f32 v[72:73], s[8:9], v[38:39] op_sel_hi:[0,1]
	v_and_b32_e32 v38, 0xc0, v0
	v_add_u32_e32 v38, s18, v38
	v_lshl_or_b32 v38, v86, 2, v38
	v_pk_mul_f32 v[66:67], s[8:9], v[40:41] op_sel_hi:[0,1]
	v_or_b32_e32 v41, 1, v38
	v_mov_b32_e32 v39, 0xff7fffff
	v_cmp_gt_i32_e64 s[28:29], s33, v38
	v_cmp_gt_i32_e64 s[30:31], s33, v41
	v_or_b32_e32 v42, 3, v38
	v_cndmask_b32_e64 v40, v39, v60, s[28:29]
	v_cndmask_b32_e64 v41, v39, v61, s[30:31]
	v_max3_f32 v40, v40, s41, v41
	v_or_b32_e32 v41, 2, v38
	v_cmp_gt_i32_e64 s[34:35], s33, v41
	v_cmp_gt_i32_e64 s[36:37], s33, v42
	s_nop 0
	v_cndmask_b32_e64 v41, v39, v82, s[34:35]
	v_cndmask_b32_e64 v42, v39, v83, s[36:37]
	v_max3_f32 v40, v40, v41, v42
	v_or_b32_e32 v41, 16, v38
	v_or_b32_e32 v42, 17, v38
	v_cmp_gt_i32_e64 s[22:23], s33, v41
	v_cmp_gt_i32_e64 s[24:25], s33, v42
	s_nop 0
	v_cndmask_b32_e64 v41, v39, v70, s[22:23]
	v_cndmask_b32_e64 v42, v39, v71, s[24:25]
	v_max3_f32 v40, v40, v41, v42
	v_or_b32_e32 v41, 18, v38
	v_or_b32_e32 v42, 19, v38
	v_cmp_gt_i32_e64 s[18:19], s33, v41
	v_cmp_gt_i32_e64 s[20:21], s33, v42
	s_nop 0
	v_cndmask_b32_e64 v41, v39, v84, s[18:19]
	v_cndmask_b32_e64 v42, v39, v85, s[20:21]
	v_max3_f32 v40, v40, v41, v42
	v_or_b32_e32 v41, 32, v38
	v_or_b32_e32 v42, 33, v38
	v_cmp_gt_i32_e64 s[14:15], s33, v41
	v_cmp_gt_i32_e64 s[16:17], s33, v42
	s_nop 0
	v_cndmask_b32_e64 v41, v39, v80, s[14:15]
	v_cndmask_b32_e64 v42, v39, v81, s[16:17]
	v_max3_f32 v40, v40, v41, v42
	v_or_b32_e32 v41, 34, v38
	v_or_b32_e32 v42, 35, v38
	v_cmp_gt_i32_e64 s[10:11], s33, v41
	v_cmp_gt_i32_e64 s[12:13], s33, v42
	s_nop 0
	v_cndmask_b32_e64 v41, v39, v78, s[10:11]
	v_cndmask_b32_e64 v42, v39, v79, s[12:13]
	v_max3_f32 v40, v40, v41, v42
	v_or_b32_e32 v41, 48, v38
	v_or_b32_e32 v42, 49, v38
	v_cmp_gt_i32_e64 s[6:7], s33, v41
	v_cmp_gt_i32_e64 s[8:9], s33, v42
	s_nop 0
	v_cndmask_b32_e64 v41, v39, v72, s[6:7]
	v_cndmask_b32_e64 v42, v39, v73, s[8:9]
	v_max3_f32 v40, v40, v41, v42
	v_or_b32_e32 v41, 50, v38
	v_or_b32_e32 v38, 51, v38
	v_cmp_gt_i32_e32 vcc, s33, v41
	v_cmp_gt_i32_e64 s[4:5], s33, v38
	s_nop 0
	v_cndmask_b32_e32 v41, v39, v66, vcc
	v_cndmask_b32_e64 v38, v39, v67, s[4:5]
	v_max3_f32 v52, v40, v41, v38
	v_mbcnt_lo_u32_b32 v38, -1, 0
	v_mbcnt_hi_u32_b32 v53, -1, v38
	v_and_b32_e32 v38, 64, v53
	v_add_u32_e32 v54, 64, v38
	v_xor_b32_e32 v38, 32, v53
	v_cmp_lt_i32_e64 s[38:39], v38, v54
	s_nop 1
	v_cndmask_b32_e64 v38, v53, v38, s[38:39]
	v_lshlrev_b32_e32 v89, 2, v38
	ds_bpermute_b32 v55, v89, v52
	global_load_dwordx4 v[46:49], v[34:35], off
	global_load_dwordx4 v[38:41], v[34:35], off offset:16
	v_lshl_add_u64 v[34:35], v[62:63], 0, v[36:37]
	global_load_dwordx4 v[42:45], v[34:35], off
	s_nop 0
	global_load_dwordx4 v[34:37], v[34:35], off offset:16
	s_waitcnt lgkmcnt(0)
	v_max_f32_e32 v55, v55, v55
	v_max_f32_e32 v64, v52, v55
	v_xor_b32_e32 v52, 16, v53
	v_cmp_lt_i32_e64 s[38:39], v52, v54
	s_nop 1
	v_cndmask_b32_e64 v52, v53, v52, s[38:39]
	v_lshlrev_b32_e32 v90, 2, v52
	ds_bpermute_b32 v65, v90, v64
	global_load_dwordx4 v[54:57], v[50:51], off
	s_nop 0
	global_load_dwordx4 v[50:53], v[50:51], off offset:16
	s_waitcnt lgkmcnt(0)
	v_max_f32_e32 v62, v65, v65
	v_max_f32_e32 v88, v64, v62
	v_sub_f32_e32 v60, v60, v88
	v_mul_f32_e32 v60, 0x3fb8aa3b, v60
	v_exp_f32_e32 v68, v60
	v_sub_f32_e32 v60, v61, v88
	v_mul_f32_e32 v60, 0x3fb8aa3b, v60
	v_exp_f32_e32 v69, v60
	global_load_dwordx4 v[62:65], v[58:59], off
	s_nop 0
	global_load_dwordx4 v[58:61], v[58:59], off offset:16
	v_sub_f32_e32 v82, v82, v88
	v_mul_f32_e32 v82, 0x3fb8aa3b, v82
	v_sub_f32_e32 v83, v83, v88
	v_exp_f32_e32 v82, v82
	v_mul_f32_e32 v83, 0x3fb8aa3b, v83
	v_sub_f32_e32 v70, v70, v88
	v_exp_f32_e32 v83, v83
	v_mul_f32_e32 v70, 0x3fb8aa3b, v70
	v_sub_f32_e32 v71, v71, v88
	v_cndmask_b32_e64 v68, 0, v68, s[28:29]
	v_exp_f32_e32 v70, v70
	v_mul_f32_e32 v71, 0x3fb8aa3b, v71
	v_sub_f32_e32 v84, v84, v88
	v_add_f32_e32 v91, 0, v68
	v_cndmask_b32_e64 v69, 0, v69, s[30:31]
	v_exp_f32_e32 v71, v71
	v_mul_f32_e32 v84, 0x3fb8aa3b, v84
	v_sub_f32_e32 v85, v85, v88
	v_add_f32_e32 v91, v91, v69
	;; [unrolled: 5-line block ×10, first 2 shown]
	v_cndmask_b32_e64 v78, 0, v78, s[10:11]
	v_exp_f32_e32 v66, v66
	v_mul_f32_e32 v67, 0x3fb8aa3b, v67
	v_add_f32_e32 v91, v91, v78
	v_cndmask_b32_e64 v79, 0, v79, s[12:13]
	v_exp_f32_e32 v67, v67
	v_add_f32_e32 v91, v91, v79
	v_cndmask_b32_e64 v72, 0, v72, s[6:7]
	v_add_f32_e32 v91, v91, v72
	v_cndmask_b32_e64 v73, 0, v73, s[8:9]
	v_add_f32_e32 v91, v91, v73
	v_cndmask_b32_e32 v66, 0, v66, vcc
	v_add_f32_e32 v91, v91, v66
	v_cndmask_b32_e64 v67, 0, v67, s[4:5]
	v_add_f32_e32 v91, v91, v67
	ds_bpermute_b32 v89, v89, v91
	v_cmp_gt_u32_e32 vcc, 16, v87
	s_waitcnt lgkmcnt(0)
	s_barrier
	v_add_f32_e32 v89, v91, v89
	ds_bpermute_b32 v90, v90, v89
	s_and_saveexec_b64 s[4:5], vcc
	s_cbranch_execz .LBB294_13
; %bb.12:
	s_waitcnt lgkmcnt(0)
	v_add_f32_e32 v87, v89, v90
	v_lshlrev_b32_e32 v75, 2, v75
	ds_write2st64_b32 v75, v88, v87 offset1:1
.LBB294_13:
	s_or_b64 exec, exec, s[4:5]
	v_lshlrev_b32_e32 v75, 2, v76
	s_load_dword s6, s[0:1], 0x94
	s_waitcnt lgkmcnt(0)
	s_barrier
	ds_read2_b32 v[88:89], v75 offset1:16
	ds_read2_b32 v[90:91], v75 offset0:32 offset1:48
	ds_read2_b32 v[92:93], v75 offset0:64 offset1:80
	;; [unrolled: 1-line block ×3, first 2 shown]
	s_waitcnt lgkmcnt(0)
	v_max3_f32 v87, v88, s41, v89
	v_max3_f32 v87, v87, v90, v91
	v_sub_f32_e32 v88, v88, v87
	v_mul_f32_e32 v88, 0x3fb8aa3b, v88
	v_exp_f32_e32 v1, v88
	v_sub_f32_e32 v88, v89, v87
	v_mul_f32_e32 v88, 0x3fb8aa3b, v88
	v_exp_f32_e32 v89, v88
	v_sub_f32_e32 v88, v90, v87
	v_mul_f32_e32 v88, 0x3fb8aa3b, v88
	v_sub_f32_e32 v75, v91, v87
	v_exp_f32_e32 v90, v88
	v_mul_f32_e32 v75, 0x3fb8aa3b, v75
	v_exp_f32_e32 v75, v75
	v_fma_f32 v88, v1, v92, 0
	v_fmac_f32_e32 v88, v89, v93
	v_fmac_f32_e32 v88, v90, v94
	;; [unrolled: 1-line block ×3, first 2 shown]
	v_add_f32_e32 v91, 0x358637bd, v88
	v_div_scale_f32 v92, s[4:5], v91, v91, 1.0
	v_rcp_f32_e32 v93, v92
	s_barrier
	s_mul_i32 s7, s27, 11
	v_fma_f32 v94, -v92, v93, 1.0
	v_fmac_f32_e32 v93, v94, v93
	v_div_scale_f32 v94, vcc, 1.0, v91, 1.0
	v_mul_f32_e32 v95, v94, v93
	v_fma_f32 v86, -v92, v95, v94
	v_fmac_f32_e32 v95, v86, v93
	v_fma_f32 v86, -v92, v95, v94
	v_div_fmas_f32 v86, v86, v93, v95
	v_cmp_eq_u32_e32 vcc, 1, v77
	v_div_fixup_f32 v86, v86, v91, 1.0
	s_nop 0
	v_cndmask_b32_e32 v1, v1, v89, vcc
	v_cmp_eq_u32_e32 vcc, 2, v77
	s_nop 1
	v_cndmask_b32_e32 v1, v1, v90, vcc
	v_cmp_eq_u32_e32 vcc, 3, v77
	s_nop 1
	v_cndmask_b32_e32 v1, v1, v75, vcc
	v_mul_f32_e32 v90, v1, v86
	v_pk_mul_f32 v[82:83], v[90:91], v[82:83] op_sel_hi:[0,1]
	v_pk_mul_f32 v[68:69], v[90:91], v[68:69] op_sel_hi:[0,1]
	v_cvt_f16_f32_e32 v1, v68
	v_cvt_f16_f32_e32 v68, v69
	;; [unrolled: 1-line block ×4, first 2 shown]
	v_pk_mul_f32 v[84:85], v[90:91], v[84:85] op_sel_hi:[0,1]
	v_pk_mul_f32 v[70:71], v[90:91], v[70:71] op_sel_hi:[0,1]
	v_bfe_u32 v86, v0, 4, 2
	v_pack_b32_f16 v83, v69, v75
	v_cvt_f16_f32_e32 v69, v70
	v_cvt_f16_f32_e32 v70, v71
	;; [unrolled: 1-line block ×4, first 2 shown]
	v_pack_b32_f16 v82, v1, v68
	v_lshlrev_b32_e32 v1, 3, v86
	v_lshlrev_b32_e32 v68, 5, v76
	;; [unrolled: 1-line block ×3, first 2 shown]
	v_or3_b32 v75, v75, v68, v1
	v_pack_b32_f16 v70, v69, v70
	v_pack_b32_f16 v71, v71, v84
	ds_write2st64_b64 v75, v[82:83], v[70:71] offset1:1
	v_pk_mul_f32 v[70:71], v[90:91], v[78:79] op_sel_hi:[0,1]
	v_pk_mul_f32 v[78:79], v[90:91], v[80:81] op_sel_hi:[0,1]
	v_cvt_f16_f32_e32 v1, v78
	v_cvt_f16_f32_e32 v77, v70
	;; [unrolled: 1-line block ×3, first 2 shown]
	v_pk_mul_f32 v[66:67], v[90:91], v[66:67] op_sel_hi:[0,1]
	v_pk_mul_f32 v[70:71], v[90:91], v[72:73] op_sel_hi:[0,1]
	v_cvt_f16_f32_e32 v69, v79
	v_cvt_f16_f32_e32 v70, v70
	;; [unrolled: 1-line block ×5, first 2 shown]
	v_pack_b32_f16 v66, v1, v69
	v_pack_b32_f16 v67, v77, v78
	;; [unrolled: 1-line block ×4, first 2 shown]
	v_cmp_gt_u32_e32 vcc, 11, v0
	ds_write2st64_b64 v75, v[66:67], v[70:71] offset0:2 offset1:3
	s_and_saveexec_b64 s[4:5], vcc
	s_cbranch_execz .LBB294_15
; %bb.14:
	s_mov_b32 s41, 0
	v_mov_b32_e32 v77, 0
	v_lshl_add_u64 v[66:67], s[40:41], 0, v[76:77]
	v_mov_b32_e32 v1, s7
	v_mad_u64_u32 v[66:67], s[12:13], s2, v1, v[66:67]
	s_mul_i32 s3, s3, s7
	v_mov_b32_e32 v70, s26
	v_mov_b32_e32 v71, v77
	s_load_dwordx4 s[8:11], s[0:1], 0x58
	v_add_u32_e32 v1, s3, v67
	v_mad_u64_u32 v[66:67], s[12:13], v66, s6, v[70:71]
	v_mov_b32_e32 v70, v67
	v_mad_u64_u32 v[70:71], s[12:13], v1, s6, v[70:71]
	v_mov_b32_e32 v67, v70
	v_lshlrev_b64 v[66:67], 2, v[66:67]
	s_waitcnt lgkmcnt(0)
	v_lshl_add_u64 v[70:71], s[10:11], 0, v[66:67]
	v_lshl_add_u64 v[66:67], s[8:9], 0, v[66:67]
	global_store_dword v[70:71], v87, off
	global_store_dword v[66:67], v88, off
.LBB294_15:
	s_or_b64 exec, exec, s[4:5]
	v_lshl_or_b32 v1, v86, 9, v68
	s_waitcnt lgkmcnt(0)
	s_barrier
	ds_read_b128 v[70:73], v1
	ds_read_b128 v[66:69], v1 offset:16
	s_waitcnt vmcnt(15) lgkmcnt(1)
	v_mfma_f32_16x16x16_f16 v[78:81], v[30:31], v[70:71], 0
	s_mov_b32 s3, 0
	v_cmp_gt_u32_e32 vcc, 64, v0
	v_mfma_f32_16x16x16_f16 v[30:33], v[32:33], v[72:73], v[78:81]
	s_waitcnt vmcnt(14) lgkmcnt(0)
	v_mfma_f32_16x16x16_f16 v[30:33], v[26:27], v[66:67], v[30:33]
	v_mfma_f32_16x16x16_f16 v[26:29], v[28:29], v[68:69], v[30:33]
	s_nop 5
	ds_read_b128 v[30:33], v1 offset:2048
	ds_read_b128 v[78:81], v1 offset:2064
	s_waitcnt vmcnt(13) lgkmcnt(1)
	v_mfma_f32_16x16x16_f16 v[26:29], v[22:23], v[30:31], v[26:29]
	v_mfma_f32_16x16x16_f16 v[22:25], v[24:25], v[32:33], v[26:29]
	s_waitcnt vmcnt(12) lgkmcnt(0)
	v_mfma_f32_16x16x16_f16 v[22:25], v[18:19], v[78:79], v[22:25]
	v_mfma_f32_16x16x16_f16 v[18:21], v[20:21], v[80:81], v[22:25]
	s_nop 5
	ds_read_b128 v[22:25], v1 offset:4096
	ds_read_b128 v[26:29], v1 offset:4112
	s_waitcnt vmcnt(11) lgkmcnt(1)
	v_mfma_f32_16x16x16_f16 v[18:21], v[14:15], v[22:23], v[18:21]
	v_mfma_f32_16x16x16_f16 v[14:17], v[16:17], v[24:25], v[18:21]
	s_waitcnt vmcnt(10) lgkmcnt(0)
	v_mfma_f32_16x16x16_f16 v[14:17], v[10:11], v[26:27], v[14:17]
	v_mfma_f32_16x16x16_f16 v[10:13], v[12:13], v[28:29], v[14:17]
	s_nop 5
	ds_read_b128 v[14:17], v1 offset:6144
	ds_read_b128 v[18:21], v1 offset:6160
	s_waitcnt lgkmcnt(0)
	s_barrier
	s_waitcnt vmcnt(9)
	v_mfma_f32_16x16x16_f16 v[10:13], v[6:7], v[14:15], v[10:13]
	v_mfma_f32_16x16x16_f16 v[6:9], v[8:9], v[16:17], v[10:13]
	s_waitcnt vmcnt(8)
	v_mfma_f32_16x16x16_f16 v[6:9], v[2:3], v[18:19], v[6:9]
	v_mfma_f32_16x16x16_f16 v[2:5], v[4:5], v[20:21], v[6:9]
	;; [unrolled: 3-line block ×3, first 2 shown]
	s_nop 3
	v_cvt_f16_f32_e32 v1, v2
	v_cvt_f16_f32_e32 v10, v3
	;; [unrolled: 1-line block ×3, first 2 shown]
	s_waitcnt vmcnt(6)
	v_mfma_f32_16x16x16_f16 v[6:9], v[38:39], v[66:67], v[6:9]
	v_cvt_f16_f32_e32 v12, v5
	v_mfma_f32_16x16x16_f16 v[6:9], v[40:41], v[68:69], v[6:9]
	s_waitcnt vmcnt(5)
	v_mfma_f32_16x16x16_f16 v[6:9], v[42:43], v[30:31], v[6:9]
	v_mfma_f32_16x16x16_f16 v[6:9], v[44:45], v[32:33], v[6:9]
	s_waitcnt vmcnt(4)
	v_mfma_f32_16x16x16_f16 v[6:9], v[34:35], v[78:79], v[6:9]
	;; [unrolled: 3-line block ×6, first 2 shown]
	v_mfma_f32_16x16x16_f16 v[2:5], v[60:61], v[20:21], v[6:9]
	s_nop 6
	v_cvt_f16_f32_e32 v6, v2
	v_cvt_f16_f32_e32 v7, v3
	;; [unrolled: 1-line block ×4, first 2 shown]
	v_pack_b32_f16 v2, v1, v10
	v_pack_b32_f16 v3, v11, v12
	;; [unrolled: 1-line block ×4, first 2 shown]
	ds_write2st64_b64 v75, v[2:3], v[4:5] offset1:1
	s_waitcnt lgkmcnt(0)
	s_barrier
	s_and_saveexec_b64 s[4:5], vcc
	s_cbranch_execz .LBB294_18
; %bb.16:
	s_load_dwordx2 s[4:5], s[0:1], 0x68
	s_lshl_b32 s0, s6, 7
	s_mul_i32 s1, s7, s2
	v_lshlrev_b32_e32 v3, 6, v76
	s_mul_hi_u32 s7, s1, s0
	s_mul_i32 s6, s1, s0
	v_lshlrev_b32_e32 v2, 4, v0
	v_lshl_or_b32 v0, v0, 10, v3
	s_lshl_b64 s[6:7], s[6:7], 1
	v_lshlrev_b32_e32 v1, 5, v86
	v_and_b32_e32 v2, 16, v2
	v_and_b32_e32 v0, 0x1a00, v0
	s_waitcnt lgkmcnt(0)
	s_add_u32 s1, s4, s6
	v_or3_b32 v2, v0, v1, v2
	s_addc_u32 s4, s5, s7
	s_lshl_b32 s2, s26, 7
	s_lshl_b64 s[2:3], s[2:3], 1
	ds_read_b128 v[4:7], v2 offset:128
	ds_read_b128 v[8:11], v2
	s_add_u32 s2, s1, s2
	s_addc_u32 s3, s4, s3
	v_mov_b32_e32 v75, 0
	v_add_u32_e32 v3, s40, v86
	v_lshl_add_u64 v[0:1], s[2:3], 0, v[74:75]
	v_mad_u64_u32 v[12:13], s[2:3], v3, s0, 0
	v_lshl_add_u64 v[12:13], v[12:13], 1, v[0:1]
	v_add_u32_e32 v3, 4, v3
	s_waitcnt lgkmcnt(0)
	global_store_dwordx4 v[12:13], v[8:11], off
	v_cmp_ne_u32_e32 vcc, 3, v86
	s_nop 0
	v_mad_u64_u32 v[8:9], s[2:3], v3, s0, 0
	v_lshl_add_u64 v[8:9], v[8:9], 1, v[0:1]
	global_store_dwordx4 v[8:9], v[4:7], off
	s_and_b64 exec, exec, vcc
	s_cbranch_execz .LBB294_18
; %bb.17:
	ds_read_b128 v[2:5], v2 offset:256
	v_add3_u32 v6, s40, v86, 8
	v_mad_u64_u32 v[6:7], s[0:1], v6, s0, 0
	v_lshl_add_u64 v[0:1], v[6:7], 1, v[0:1]
	s_waitcnt lgkmcnt(0)
	global_store_dwordx4 v[0:1], v[2:5], off
.LBB294_18:
	s_endpgm
	.section	.rodata,"a",@progbits
	.p2align	6, 0x0
	.amdhsa_kernel _Z39paged_attention_ll4mi_QKV_mfma16_kernelIDF16_DF16_LN4vllm18Fp8KVCacheDataTypeE0EDF16_Li16ELi128ELi256ELb0ELi11EEvPKT_PKT0_S7_ifPKiS9_S9_iPKfiiiPfSC_PS2_PT2_iSB_SB_
		.amdhsa_group_segment_fixed_size 8192
		.amdhsa_private_segment_fixed_size 0
		.amdhsa_kernarg_size 400
		.amdhsa_user_sgpr_count 2
		.amdhsa_user_sgpr_dispatch_ptr 0
		.amdhsa_user_sgpr_queue_ptr 0
		.amdhsa_user_sgpr_kernarg_segment_ptr 1
		.amdhsa_user_sgpr_dispatch_id 0
		.amdhsa_user_sgpr_kernarg_preload_length 0
		.amdhsa_user_sgpr_kernarg_preload_offset 0
		.amdhsa_user_sgpr_private_segment_size 0
		.amdhsa_uses_dynamic_stack 0
		.amdhsa_enable_private_segment 0
		.amdhsa_system_sgpr_workgroup_id_x 1
		.amdhsa_system_sgpr_workgroup_id_y 1
		.amdhsa_system_sgpr_workgroup_id_z 1
		.amdhsa_system_sgpr_workgroup_info 0
		.amdhsa_system_vgpr_workitem_id 0
		.amdhsa_next_free_vgpr 96
		.amdhsa_next_free_sgpr 42
		.amdhsa_accum_offset 96
		.amdhsa_reserve_vcc 1
		.amdhsa_float_round_mode_32 0
		.amdhsa_float_round_mode_16_64 0
		.amdhsa_float_denorm_mode_32 3
		.amdhsa_float_denorm_mode_16_64 3
		.amdhsa_dx10_clamp 1
		.amdhsa_ieee_mode 1
		.amdhsa_fp16_overflow 0
		.amdhsa_tg_split 0
		.amdhsa_exception_fp_ieee_invalid_op 0
		.amdhsa_exception_fp_denorm_src 0
		.amdhsa_exception_fp_ieee_div_zero 0
		.amdhsa_exception_fp_ieee_overflow 0
		.amdhsa_exception_fp_ieee_underflow 0
		.amdhsa_exception_fp_ieee_inexact 0
		.amdhsa_exception_int_div_zero 0
	.end_amdhsa_kernel
	.section	.text._Z39paged_attention_ll4mi_QKV_mfma16_kernelIDF16_DF16_LN4vllm18Fp8KVCacheDataTypeE0EDF16_Li16ELi128ELi256ELb0ELi11EEvPKT_PKT0_S7_ifPKiS9_S9_iPKfiiiPfSC_PS2_PT2_iSB_SB_,"axG",@progbits,_Z39paged_attention_ll4mi_QKV_mfma16_kernelIDF16_DF16_LN4vllm18Fp8KVCacheDataTypeE0EDF16_Li16ELi128ELi256ELb0ELi11EEvPKT_PKT0_S7_ifPKiS9_S9_iPKfiiiPfSC_PS2_PT2_iSB_SB_,comdat
.Lfunc_end294:
	.size	_Z39paged_attention_ll4mi_QKV_mfma16_kernelIDF16_DF16_LN4vllm18Fp8KVCacheDataTypeE0EDF16_Li16ELi128ELi256ELb0ELi11EEvPKT_PKT0_S7_ifPKiS9_S9_iPKfiiiPfSC_PS2_PT2_iSB_SB_, .Lfunc_end294-_Z39paged_attention_ll4mi_QKV_mfma16_kernelIDF16_DF16_LN4vllm18Fp8KVCacheDataTypeE0EDF16_Li16ELi128ELi256ELb0ELi11EEvPKT_PKT0_S7_ifPKiS9_S9_iPKfiiiPfSC_PS2_PT2_iSB_SB_
                                        ; -- End function
	.section	.AMDGPU.csdata,"",@progbits
; Kernel info:
; codeLenInByte = 4420
; NumSgprs: 48
; NumVgprs: 96
; NumAgprs: 0
; TotalNumVgprs: 96
; ScratchSize: 0
; MemoryBound: 0
; FloatMode: 240
; IeeeMode: 1
; LDSByteSize: 8192 bytes/workgroup (compile time only)
; SGPRBlocks: 5
; VGPRBlocks: 11
; NumSGPRsForWavesPerEU: 48
; NumVGPRsForWavesPerEU: 96
; AccumOffset: 96
; Occupancy: 5
; WaveLimiterHint : 1
; COMPUTE_PGM_RSRC2:SCRATCH_EN: 0
; COMPUTE_PGM_RSRC2:USER_SGPR: 2
; COMPUTE_PGM_RSRC2:TRAP_HANDLER: 0
; COMPUTE_PGM_RSRC2:TGID_X_EN: 1
; COMPUTE_PGM_RSRC2:TGID_Y_EN: 1
; COMPUTE_PGM_RSRC2:TGID_Z_EN: 1
; COMPUTE_PGM_RSRC2:TIDIG_COMP_CNT: 0
; COMPUTE_PGM_RSRC3_GFX90A:ACCUM_OFFSET: 23
; COMPUTE_PGM_RSRC3_GFX90A:TG_SPLIT: 0
	.section	.text._Z39paged_attention_ll4mi_QKV_mfma16_kernelIDF16_DF16_LN4vllm18Fp8KVCacheDataTypeE0EDF16_Li16ELi128ELi256ELb0ELi12EEvPKT_PKT0_S7_ifPKiS9_S9_iPKfiiiPfSC_PS2_PT2_iSB_SB_,"axG",@progbits,_Z39paged_attention_ll4mi_QKV_mfma16_kernelIDF16_DF16_LN4vllm18Fp8KVCacheDataTypeE0EDF16_Li16ELi128ELi256ELb0ELi12EEvPKT_PKT0_S7_ifPKiS9_S9_iPKfiiiPfSC_PS2_PT2_iSB_SB_,comdat
	.protected	_Z39paged_attention_ll4mi_QKV_mfma16_kernelIDF16_DF16_LN4vllm18Fp8KVCacheDataTypeE0EDF16_Li16ELi128ELi256ELb0ELi12EEvPKT_PKT0_S7_ifPKiS9_S9_iPKfiiiPfSC_PS2_PT2_iSB_SB_ ; -- Begin function _Z39paged_attention_ll4mi_QKV_mfma16_kernelIDF16_DF16_LN4vllm18Fp8KVCacheDataTypeE0EDF16_Li16ELi128ELi256ELb0ELi12EEvPKT_PKT0_S7_ifPKiS9_S9_iPKfiiiPfSC_PS2_PT2_iSB_SB_
	.globl	_Z39paged_attention_ll4mi_QKV_mfma16_kernelIDF16_DF16_LN4vllm18Fp8KVCacheDataTypeE0EDF16_Li16ELi128ELi256ELb0ELi12EEvPKT_PKT0_S7_ifPKiS9_S9_iPKfiiiPfSC_PS2_PT2_iSB_SB_
	.p2align	8
	.type	_Z39paged_attention_ll4mi_QKV_mfma16_kernelIDF16_DF16_LN4vllm18Fp8KVCacheDataTypeE0EDF16_Li16ELi128ELi256ELb0ELi12EEvPKT_PKT0_S7_ifPKiS9_S9_iPKfiiiPfSC_PS2_PT2_iSB_SB_,@function
_Z39paged_attention_ll4mi_QKV_mfma16_kernelIDF16_DF16_LN4vllm18Fp8KVCacheDataTypeE0EDF16_Li16ELi128ELi256ELb0ELi12EEvPKT_PKT0_S7_ifPKiS9_S9_iPKfiiiPfSC_PS2_PT2_iSB_SB_: ; @_Z39paged_attention_ll4mi_QKV_mfma16_kernelIDF16_DF16_LN4vllm18Fp8KVCacheDataTypeE0EDF16_Li16ELi128ELi256ELb0ELi12EEvPKT_PKT0_S7_ifPKiS9_S9_iPKfiiiPfSC_PS2_PT2_iSB_SB_
; %bb.0:
	s_load_dwordx2 s[8:9], s[0:1], 0x30
	s_mov_b32 s26, s3
	s_mov_b64 s[6:7], 0
	s_waitcnt lgkmcnt(0)
	s_cmp_lg_u64 s[8:9], 0
	s_cselect_b64 s[10:11], -1, 0
	s_and_b64 vcc, exec, s[10:11]
	s_cbranch_vccz .LBB295_7
; %bb.1:
	s_add_i32 s12, s2, 1
	s_mov_b32 s13, 0
	s_lshl_b64 s[14:15], s[12:13], 2
	s_add_u32 s14, s8, s14
	s_mov_b32 s3, s13
	s_addc_u32 s15, s9, s15
	s_lshl_b64 s[12:13], s[2:3], 2
	s_add_u32 s12, s8, s12
	s_addc_u32 s13, s9, s13
	s_load_dword s5, s[14:15], 0x0
	s_load_dword s16, s[12:13], 0x0
	s_waitcnt lgkmcnt(0)
	s_sub_i32 s5, s5, s16
	s_cmp_eq_u32 s5, 1
	s_cselect_b64 s[12:13], -1, 0
	s_andn2_b64 vcc, exec, s[6:7]
	s_cbranch_vccnz .LBB295_3
.LBB295_2:
	s_mov_b32 s3, 0
	s_mov_b64 s[12:13], -1
.LBB295_3:
	s_andn2_b64 vcc, exec, s[12:13]
	s_cbranch_vccnz .LBB295_17
; %bb.4:
	s_load_dwordx2 s[6:7], s[0:1], 0x28
	s_lshl_b64 s[16:17], s[2:3], 2
	s_waitcnt lgkmcnt(0)
	s_add_u32 s6, s6, s16
	s_addc_u32 s7, s7, s17
	s_load_dword s33, s[6:7], 0x0
	s_lshl_b32 s18, s26, 8
	s_waitcnt lgkmcnt(0)
	s_cmp_ge_i32 s18, s33
	s_cbranch_scc1 .LBB295_17
; %bb.5:
	s_load_dwordx2 s[6:7], s[0:1], 0x20
	s_load_dword s5, s[0:1], 0x38
	s_add_i32 s12, s33, 15
	s_ashr_i32 s13, s12, 31
	v_and_b32_e32 v1, 0xcf, v0
	s_lshr_b32 s13, s13, 28
	v_add_u32_e32 v1, s18, v1
	s_add_i32 s12, s12, s13
	v_ashrrev_i32_e32 v2, 31, v1
	s_ashr_i32 s19, s12, 4
	v_lshrrev_b32_e32 v4, 28, v2
	s_add_i32 s19, s19, -1
	s_waitcnt lgkmcnt(0)
	s_mul_i32 s12, s2, s5
	s_mov_b32 s13, 0
	v_add_u32_e32 v2, v1, v4
	s_lshl_b64 s[12:13], s[12:13], 2
	v_ashrrev_i32_e32 v2, 4, v2
	v_mov_b32_e32 v5, s19
	v_cmp_gt_i32_e32 vcc, s33, v1
	s_add_u32 s6, s6, s12
	s_addc_u32 s7, s7, s13
	v_cndmask_b32_e32 v2, v5, v2, vcc
	v_ashrrev_i32_e32 v3, 31, v2
	v_lshl_add_u64 v[6:7], v[2:3], 2, s[6:7]
	v_or_b32_e32 v2, 16, v1
	v_add_u32_e32 v3, v2, v4
	v_ashrrev_i32_e32 v3, 4, v3
	v_cmp_gt_i32_e32 vcc, s33, v2
	s_load_dwordx4 s[12:15], s[0:1], 0x8
	s_nop 0
	v_cndmask_b32_e32 v2, v5, v3, vcc
	v_ashrrev_i32_e32 v3, 31, v2
	v_lshl_add_u64 v[8:9], v[2:3], 2, s[6:7]
	v_or_b32_e32 v2, 32, v1
	v_add_u32_e32 v3, v2, v4
	v_ashrrev_i32_e32 v3, 4, v3
	v_cmp_gt_i32_e32 vcc, s33, v2
	v_or_b32_e32 v1, 48, v1
	s_nop 0
	v_cndmask_b32_e32 v2, v5, v3, vcc
	v_ashrrev_i32_e32 v3, 31, v2
	v_lshl_add_u64 v[10:11], v[2:3], 2, s[6:7]
	v_add_u32_e32 v2, v1, v4
	v_ashrrev_i32_e32 v2, 4, v2
	v_cmp_gt_i32_e32 vcc, s33, v1
	s_nop 1
	v_cndmask_b32_e32 v2, v5, v2, vcc
	v_ashrrev_i32_e32 v3, 31, v2
	v_lshl_add_u64 v[12:13], v[2:3], 2, s[6:7]
	global_load_dword v4, v[6:7], off
	global_load_dword v3, v[8:9], off
	;; [unrolled: 1-line block ×4, first 2 shown]
	s_andn2_b64 vcc, exec, s[10:11]
	s_cbranch_vccnz .LBB295_8
; %bb.6:
	s_add_u32 s8, s8, s16
	s_addc_u32 s9, s9, s17
	s_load_dword s5, s[8:9], 0x0
	s_branch .LBB295_9
.LBB295_7:
	s_mov_b64 s[12:13], 0
	s_branch .LBB295_2
.LBB295_8:
	s_mov_b32 s5, s2
.LBB295_9:
	s_load_dwordx4 s[8:11], s[0:1], 0x48
	v_and_b32_e32 v76, 15, v0
	v_lshlrev_b32_e32 v5, 3, v76
	s_waitcnt lgkmcnt(0)
	s_movk_i32 s11, 0xc0
	v_lshrrev_b32_e32 v77, 6, v0
	v_and_b32_e32 v86, 63, v0
	v_bfe_u32 v1, v0, 4, 2
	s_mul_i32 s40, s4, 12
	v_cmp_gt_u32_e32 vcc, s11, v0
	v_lshlrev_b32_e32 v74, 1, v5
	s_and_saveexec_b64 s[16:17], vcc
	s_cbranch_execz .LBB295_11
; %bb.10:
	s_load_dwordx2 s[20:21], s[0:1], 0x0
	s_ashr_i32 s11, s8, 31
	s_mul_hi_u32 s22, s5, s8
	s_mul_i32 s11, s5, s11
	s_add_i32 s23, s22, s11
	s_mul_i32 s22, s5, s8
	v_lshl_or_b32 v5, v77, 2, v1
	s_lshl_b64 s[22:23], s[22:23], 1
	s_waitcnt lgkmcnt(0)
	s_add_u32 s20, s20, s22
	v_add_lshl_u32 v6, v5, s40, 7
	s_addc_u32 s21, s21, s23
	v_ashrrev_i32_e32 v7, 31, v6
	v_lshl_add_u64 v[6:7], v[6:7], 1, s[20:21]
	v_mov_b32_e32 v75, 0
	v_lshl_add_u64 v[6:7], v[6:7], 0, v[74:75]
	global_load_dwordx4 v[6:9], v[6:7], off
	v_and_b32_e32 v10, 3, v0
	v_lshlrev_b32_e32 v11, 9, v76
	v_lshlrev_b32_e32 v5, 5, v5
	;; [unrolled: 1-line block ×3, first 2 shown]
	v_and_b32_e32 v11, 0x1800, v11
	v_or3_b32 v5, v11, v10, v5
	s_waitcnt vmcnt(0)
	ds_write_b128 v5, v[6:9]
.LBB295_11:
	s_or_b64 exec, exec, s[16:17]
	s_mul_i32 s4, s4, s10
	s_mov_b32 s5, 0
	s_lshl_b64 s[4:5], s[4:5], 1
	s_add_u32 s10, s12, s4
	v_lshlrev_b32_e32 v6, 4, v0
	s_addc_u32 s11, s13, s5
	v_and_b32_e32 v34, 0xf0, v6
	v_mov_b32_e32 v35, 0
	v_lshl_add_u64 v[30:31], s[10:11], 0, v[34:35]
	s_waitcnt vmcnt(3)
	v_mad_i64_i32 v[4:5], s[10:11], v4, s9, 0
	v_lshl_add_u64 v[4:5], v[4:5], 1, v[30:31]
	v_and_b32_e32 v34, 0x300, v6
	v_lshl_add_u64 v[32:33], v[4:5], 0, v[34:35]
	s_load_dword s27, s[0:1], 0x98
	s_load_dword s8, s[0:1], 0x1c
	s_waitcnt lgkmcnt(0)
	s_barrier
	global_load_dwordx4 v[6:9], v[32:33], off
	global_load_dwordx4 v[18:21], v[32:33], off offset:1024
	s_waitcnt vmcnt(4)
	v_mad_i64_i32 v[4:5], s[10:11], v3, s9, 0
	s_waitcnt vmcnt(3)
	v_mad_i64_i32 v[2:3], s[10:11], v2, s9, 0
	v_lshl_add_u64 v[4:5], v[4:5], 1, v[30:31]
	v_lshl_add_u64 v[2:3], v[2:3], 1, v[30:31]
	;; [unrolled: 1-line block ×4, first 2 shown]
	global_load_dwordx4 v[14:17], v[36:37], off
	global_load_dwordx4 v[22:25], v[36:37], off offset:1024
	global_load_dwordx4 v[26:29], v[38:39], off
	global_load_dwordx4 v[46:49], v[38:39], off offset:1024
	v_add_u32_e32 v2, -12, v76
	v_cmp_gt_u32_e32 vcc, 12, v76
	global_load_dwordx4 v[54:57], v[32:33], off offset:2048
	global_load_dwordx4 v[62:65], v[36:37], off offset:2048
	v_cndmask_b32_e32 v2, v2, v76, vcc
	v_lshlrev_b32_e32 v2, 5, v2
	v_lshl_add_u32 v41, v1, 9, v2
	ds_read_b128 v[10:13], v41
	ds_read_b128 v[2:5], v41 offset:2048
	v_mov_b32_e32 v70, s19
	v_lshl_or_b32 v87, v77, 4, v76
	s_add_u32 s4, s14, s4
	s_addc_u32 s5, s15, s5
	s_mov_b32 s41, 0xff7fffff
	s_waitcnt vmcnt(7) lgkmcnt(1)
	v_mfma_f32_16x16x16_f16 v[42:45], v[6:7], v[10:11], 0
	v_mfma_f32_16x16x16_f16 v[6:9], v[8:9], v[12:13], v[42:45]
	s_nop 5
	global_load_dwordx4 v[42:45], v[38:39], off offset:2048
	s_waitcnt vmcnt(6)
	v_mfma_f32_16x16x16_f16 v[50:53], v[14:15], v[10:11], 0
	s_waitcnt vmcnt(4)
	v_mfma_f32_16x16x16_f16 v[58:61], v[26:27], v[10:11], 0
	v_mfma_f32_16x16x16_f16 v[14:17], v[16:17], v[12:13], v[50:53]
	;; [unrolled: 1-line block ×3, first 2 shown]
	s_nop 2
	global_load_dwordx4 v[50:53], v[32:33], off offset:3072
	v_mad_i64_i32 v[32:33], s[10:11], v40, s9, 0
	s_waitcnt lgkmcnt(0)
	v_mfma_f32_16x16x16_f16 v[6:9], v[18:19], v[2:3], v[6:9]
	v_and_or_b32 v40, v0, 48, s18
	v_ashrrev_i32_e32 v58, 4, v40
	v_cmp_gt_i32_e32 vcc, s33, v40
	v_mfma_f32_16x16x16_f16 v[14:17], v[22:23], v[2:3], v[14:17]
	v_or_b32_e32 v66, 64, v40
	v_cndmask_b32_e32 v22, v70, v58, vcc
	v_ashrrev_i32_e32 v23, 31, v22
	s_waitcnt vmcnt(4)
	v_mfma_f32_16x16x16_f16 v[26:29], v[46:47], v[2:3], v[26:29]
	v_or_b32_e32 v71, 0x80, v40
	v_or_b32_e32 v72, 0xc0, v40
	v_ashrrev_i32_e32 v40, 4, v66
	v_mfma_f32_16x16x16_f16 v[6:9], v[20:21], v[4:5], v[6:9]
	global_load_dwordx4 v[18:21], v[38:39], off offset:3072
	v_cmp_gt_i32_e32 vcc, s33, v66
	v_lshl_add_u64 v[22:23], v[22:23], 2, s[6:7]
	global_load_dwordx4 v[58:61], v[36:37], off offset:3072
	v_cndmask_b32_e32 v36, v70, v40, vcc
	v_mfma_f32_16x16x16_f16 v[14:17], v[24:25], v[4:5], v[14:17]
	global_load_dword v79, v[22:23], off
	ds_read_b128 v[66:69], v41 offset:4096
	v_ashrrev_i32_e32 v37, 31, v36
	v_mfma_f32_16x16x16_f16 v[22:25], v[48:49], v[4:5], v[26:29]
	v_ashrrev_i32_e32 v73, 4, v71
	v_cmp_gt_i32_e32 vcc, s33, v71
	v_ashrrev_i32_e32 v78, 4, v72
	v_lshl_add_u64 v[26:27], v[32:33], 1, v[30:31]
	v_lshl_add_u64 v[26:27], v[26:27], 0, v[34:35]
	;; [unrolled: 1-line block ×3, first 2 shown]
	global_load_dwordx4 v[46:49], v[26:27], off
	global_load_dword v36, v[28:29], off
	s_waitcnt vmcnt(8) lgkmcnt(0)
	v_mfma_f32_16x16x16_f16 v[6:9], v[54:55], v[66:67], v[6:9]
	v_cndmask_b32_e32 v28, v70, v73, vcc
	v_ashrrev_i32_e32 v29, 31, v28
	v_lshl_add_u64 v[28:29], v[28:29], 2, s[6:7]
	v_mfma_f32_16x16x16_f16 v[6:9], v[56:57], v[68:69], v[6:9]
	global_load_dwordx4 v[54:57], v[26:27], off offset:1024
	v_cmp_gt_i32_e32 vcc, s33, v72
	global_load_dword v82, v[28:29], off
	ds_read_b128 v[38:41], v41 offset:6144
	v_cndmask_b32_e32 v28, v70, v78, vcc
	v_ashrrev_i32_e32 v29, 31, v28
	v_lshl_add_u64 v[28:29], v[28:29], 2, s[6:7]
	global_load_dword v83, v[28:29], off
	s_waitcnt vmcnt(10)
	v_mfma_f32_16x16x16_f16 v[14:17], v[62:63], v[66:67], v[14:17]
	v_lshlrev_b32_e32 v34, 5, v87
	v_lshl_add_u64 v[62:63], s[4:5], 0, v[34:35]
	v_or_b32_e32 v34, 0x800, v34
	v_mfma_f32_16x16x16_f16 v[14:17], v[64:65], v[68:69], v[14:17]
	global_load_dwordx4 v[70:73], v[26:27], off offset:3072
	s_waitcnt vmcnt(10)
	v_mfma_f32_16x16x16_f16 v[22:25], v[42:43], v[66:67], v[22:25]
	v_mfma_f32_16x16x16_f16 v[22:25], v[44:45], v[68:69], v[22:25]
	global_load_dwordx4 v[42:45], v[26:27], off offset:2048
	s_waitcnt vmcnt(10) lgkmcnt(0)
	v_mfma_f32_16x16x16_f16 v[6:9], v[50:51], v[38:39], v[6:9]
	s_waitcnt vmcnt(9)
	v_mfma_f32_16x16x16_f16 v[22:25], v[18:19], v[38:39], v[22:25]
	s_waitcnt vmcnt(7)
	v_mad_i64_i32 v[18:19], s[6:7], v79, s9, 0
	v_lshlrev_b64 v[64:65], 1, v[18:19]
	v_mfma_f32_16x16x16_f16 v[78:81], v[52:53], v[40:41], v[6:9]
	s_nop 2
	v_lshl_add_u64 v[6:7], v[62:63], 0, v[64:65]
	global_load_dwordx4 v[30:33], v[6:7], off
	global_load_dwordx4 v[26:29], v[6:7], off offset:16
	v_mfma_f32_16x16x16_f16 v[92:95], v[20:21], v[40:41], v[22:25]
	s_waitcnt vmcnt(7)
	v_mad_i64_i32 v[6:7], s[6:7], v36, s9, 0
	v_lshlrev_b64 v[36:37], 1, v[6:7]
	v_lshl_add_u64 v[6:7], v[62:63], 0, v[36:37]
	global_load_dwordx4 v[22:25], v[6:7], off
	global_load_dwordx4 v[18:21], v[6:7], off offset:16
	v_mfma_f32_16x16x16_f16 v[6:9], v[46:47], v[10:11], 0
	s_waitcnt vmcnt(7)
	v_mad_i64_i32 v[10:11], s[6:7], v82, s9, 0
	v_mfma_f32_16x16x16_f16 v[6:9], v[48:49], v[12:13], v[6:9]
	v_lshlrev_b64 v[50:51], 1, v[10:11]
	v_lshl_add_u64 v[10:11], v[62:63], 0, v[50:51]
	v_mfma_f32_16x16x16_f16 v[6:9], v[54:55], v[2:3], v[6:9]
	s_waitcnt vmcnt(6)
	v_mad_i64_i32 v[2:3], s[6:7], v83, s9, 0
	v_pk_mul_f32 v[82:83], s[8:9], v[80:81] op_sel_hi:[0,1]
	v_mfma_f32_16x16x16_f16 v[46:49], v[56:57], v[4:5], v[6:9]
	v_pk_mul_f32 v[80:81], s[8:9], v[92:93] op_sel_hi:[0,1]
	v_mfma_f32_16x16x16_f16 v[14:17], v[58:59], v[38:39], v[14:17]
	v_lshlrev_b64 v[58:59], 1, v[2:3]
	v_lshl_add_u64 v[2:3], v[62:63], 0, v[58:59]
	v_lshl_add_u64 v[62:63], s[4:5], 0, v[34:35]
	v_mfma_f32_16x16x16_f16 v[88:91], v[60:61], v[40:41], v[14:17]
	v_pk_mul_f32 v[60:61], s[8:9], v[78:79] op_sel_hi:[0,1]
	v_pk_mul_f32 v[78:79], s[8:9], v[94:95] op_sel_hi:[0,1]
	v_lshl_add_u64 v[34:35], v[62:63], 0, v[64:65]
	s_waitcnt vmcnt(4)
	v_mfma_f32_16x16x16_f16 v[46:49], v[42:43], v[66:67], v[46:49]
	s_nop 1
	v_pk_mul_f32 v[84:85], s[8:9], v[90:91] op_sel_hi:[0,1]
	global_load_dwordx4 v[14:17], v[10:11], off
	s_nop 0
	global_load_dwordx4 v[10:13], v[10:11], off offset:16
	s_nop 0
	global_load_dwordx4 v[6:9], v[2:3], off
	s_nop 0
	global_load_dwordx4 v[2:5], v[2:3], off offset:16
	v_mfma_f32_16x16x16_f16 v[42:45], v[44:45], v[68:69], v[46:49]
	v_lshl_add_u64 v[50:51], v[62:63], 0, v[50:51]
	v_lshl_add_u64 v[58:59], v[62:63], 0, v[58:59]
	v_mfma_f32_16x16x16_f16 v[42:45], v[70:71], v[38:39], v[42:45]
	v_pk_mul_f32 v[70:71], s[8:9], v[88:89] op_sel_hi:[0,1]
	v_mfma_f32_16x16x16_f16 v[38:41], v[72:73], v[40:41], v[42:45]
	s_nop 6
	v_pk_mul_f32 v[72:73], s[8:9], v[38:39] op_sel_hi:[0,1]
	v_and_b32_e32 v38, 0xc0, v0
	v_add_u32_e32 v38, s18, v38
	v_lshl_or_b32 v38, v1, 2, v38
	v_pk_mul_f32 v[66:67], s[8:9], v[40:41] op_sel_hi:[0,1]
	v_or_b32_e32 v41, 1, v38
	v_mov_b32_e32 v39, 0xff7fffff
	v_cmp_gt_i32_e64 s[28:29], s33, v38
	v_cmp_gt_i32_e64 s[30:31], s33, v41
	v_or_b32_e32 v42, 3, v38
	v_cndmask_b32_e64 v40, v39, v60, s[28:29]
	v_cndmask_b32_e64 v41, v39, v61, s[30:31]
	v_max3_f32 v40, v40, s41, v41
	v_or_b32_e32 v41, 2, v38
	v_cmp_gt_i32_e64 s[34:35], s33, v41
	v_cmp_gt_i32_e64 s[36:37], s33, v42
	s_nop 0
	v_cndmask_b32_e64 v41, v39, v82, s[34:35]
	v_cndmask_b32_e64 v42, v39, v83, s[36:37]
	v_max3_f32 v40, v40, v41, v42
	v_or_b32_e32 v41, 16, v38
	v_or_b32_e32 v42, 17, v38
	v_cmp_gt_i32_e64 s[22:23], s33, v41
	v_cmp_gt_i32_e64 s[24:25], s33, v42
	s_nop 0
	v_cndmask_b32_e64 v41, v39, v70, s[22:23]
	v_cndmask_b32_e64 v42, v39, v71, s[24:25]
	v_max3_f32 v40, v40, v41, v42
	v_or_b32_e32 v41, 18, v38
	;; [unrolled: 8-line block ×6, first 2 shown]
	v_or_b32_e32 v38, 51, v38
	v_cmp_gt_i32_e32 vcc, s33, v41
	v_cmp_gt_i32_e64 s[4:5], s33, v38
	s_nop 0
	v_cndmask_b32_e32 v41, v39, v66, vcc
	v_cndmask_b32_e64 v38, v39, v67, s[4:5]
	v_max3_f32 v52, v40, v41, v38
	v_mbcnt_lo_u32_b32 v38, -1, 0
	v_mbcnt_hi_u32_b32 v53, -1, v38
	v_and_b32_e32 v38, 64, v53
	v_add_u32_e32 v54, 64, v38
	v_xor_b32_e32 v38, 32, v53
	v_cmp_lt_i32_e64 s[38:39], v38, v54
	s_nop 1
	v_cndmask_b32_e64 v38, v53, v38, s[38:39]
	v_lshlrev_b32_e32 v89, 2, v38
	ds_bpermute_b32 v55, v89, v52
	global_load_dwordx4 v[46:49], v[34:35], off
	global_load_dwordx4 v[38:41], v[34:35], off offset:16
	v_lshl_add_u64 v[34:35], v[62:63], 0, v[36:37]
	global_load_dwordx4 v[42:45], v[34:35], off
	s_nop 0
	global_load_dwordx4 v[34:37], v[34:35], off offset:16
	s_waitcnt lgkmcnt(0)
	v_max_f32_e32 v55, v55, v55
	v_max_f32_e32 v64, v52, v55
	v_xor_b32_e32 v52, 16, v53
	v_cmp_lt_i32_e64 s[38:39], v52, v54
	s_nop 1
	v_cndmask_b32_e64 v52, v53, v52, s[38:39]
	v_lshlrev_b32_e32 v90, 2, v52
	ds_bpermute_b32 v65, v90, v64
	global_load_dwordx4 v[54:57], v[50:51], off
	s_nop 0
	global_load_dwordx4 v[50:53], v[50:51], off offset:16
	s_waitcnt lgkmcnt(0)
	v_max_f32_e32 v62, v65, v65
	v_max_f32_e32 v88, v64, v62
	v_sub_f32_e32 v60, v60, v88
	v_mul_f32_e32 v60, 0x3fb8aa3b, v60
	v_exp_f32_e32 v68, v60
	v_sub_f32_e32 v60, v61, v88
	v_mul_f32_e32 v60, 0x3fb8aa3b, v60
	v_exp_f32_e32 v69, v60
	global_load_dwordx4 v[62:65], v[58:59], off
	s_nop 0
	global_load_dwordx4 v[58:61], v[58:59], off offset:16
	v_sub_f32_e32 v82, v82, v88
	v_mul_f32_e32 v82, 0x3fb8aa3b, v82
	v_sub_f32_e32 v83, v83, v88
	v_exp_f32_e32 v82, v82
	v_mul_f32_e32 v83, 0x3fb8aa3b, v83
	v_sub_f32_e32 v70, v70, v88
	v_exp_f32_e32 v83, v83
	v_mul_f32_e32 v70, 0x3fb8aa3b, v70
	v_sub_f32_e32 v71, v71, v88
	v_cndmask_b32_e64 v68, 0, v68, s[28:29]
	v_exp_f32_e32 v70, v70
	v_mul_f32_e32 v71, 0x3fb8aa3b, v71
	v_sub_f32_e32 v84, v84, v88
	v_add_f32_e32 v91, 0, v68
	v_cndmask_b32_e64 v69, 0, v69, s[30:31]
	v_exp_f32_e32 v71, v71
	v_mul_f32_e32 v84, 0x3fb8aa3b, v84
	v_sub_f32_e32 v85, v85, v88
	v_add_f32_e32 v91, v91, v69
	;; [unrolled: 5-line block ×10, first 2 shown]
	v_cndmask_b32_e64 v78, 0, v78, s[10:11]
	v_exp_f32_e32 v66, v66
	v_mul_f32_e32 v67, 0x3fb8aa3b, v67
	v_add_f32_e32 v91, v91, v78
	v_cndmask_b32_e64 v79, 0, v79, s[12:13]
	v_exp_f32_e32 v67, v67
	v_add_f32_e32 v91, v91, v79
	v_cndmask_b32_e64 v72, 0, v72, s[6:7]
	v_add_f32_e32 v91, v91, v72
	v_cndmask_b32_e64 v73, 0, v73, s[8:9]
	v_add_f32_e32 v91, v91, v73
	v_cndmask_b32_e32 v66, 0, v66, vcc
	v_add_f32_e32 v91, v91, v66
	v_cndmask_b32_e64 v67, 0, v67, s[4:5]
	v_add_f32_e32 v91, v91, v67
	ds_bpermute_b32 v89, v89, v91
	v_cmp_gt_u32_e32 vcc, 16, v86
	s_waitcnt lgkmcnt(0)
	s_barrier
	v_add_f32_e32 v89, v91, v89
	ds_bpermute_b32 v90, v90, v89
	s_and_saveexec_b64 s[4:5], vcc
	s_cbranch_execz .LBB295_13
; %bb.12:
	s_waitcnt lgkmcnt(0)
	v_add_f32_e32 v86, v89, v90
	v_lshlrev_b32_e32 v87, 2, v87
	ds_write2st64_b32 v87, v88, v86 offset1:1
.LBB295_13:
	s_or_b64 exec, exec, s[4:5]
	v_lshlrev_b32_e32 v87, 2, v76
	s_load_dword s6, s[0:1], 0x94
	s_waitcnt lgkmcnt(0)
	s_barrier
	ds_read2_b32 v[88:89], v87 offset1:16
	ds_read2_b32 v[90:91], v87 offset0:32 offset1:48
	ds_read2_b32 v[92:93], v87 offset0:64 offset1:80
	s_mul_i32 s7, s27, 12
	s_waitcnt lgkmcnt(2)
	v_max3_f32 v86, v88, s41, v89
	s_waitcnt lgkmcnt(1)
	v_max3_f32 v86, v86, v90, v91
	v_sub_f32_e32 v88, v88, v86
	v_mul_f32_e32 v88, 0x3fb8aa3b, v88
	v_exp_f32_e32 v94, v88
	v_sub_f32_e32 v88, v89, v86
	v_mul_f32_e32 v88, 0x3fb8aa3b, v88
	v_exp_f32_e32 v95, v88
	;; [unrolled: 3-line block ×3, first 2 shown]
	ds_read2_b32 v[88:89], v87 offset0:96 offset1:112
	v_sub_f32_e32 v87, v91, v86
	v_mul_f32_e32 v87, 0x3fb8aa3b, v87
	v_exp_f32_e32 v91, v87
	s_waitcnt lgkmcnt(1)
	v_fma_f32 v87, v94, v92, 0
	v_fmac_f32_e32 v87, v95, v93
	s_waitcnt lgkmcnt(0)
	v_fmac_f32_e32 v87, v90, v88
	v_fmac_f32_e32 v87, v91, v89
	v_add_f32_e32 v88, 0x358637bd, v87
	v_div_scale_f32 v89, s[4:5], v88, v88, 1.0
	v_rcp_f32_e32 v92, v89
	s_barrier
	v_fma_f32 v93, -v89, v92, 1.0
	v_fmac_f32_e32 v92, v93, v92
	v_div_scale_f32 v93, vcc, 1.0, v88, 1.0
	v_mul_f32_e32 v75, v93, v92
	v_fma_f32 v1, -v89, v75, v93
	v_fmac_f32_e32 v75, v1, v92
	v_fma_f32 v1, -v89, v75, v93
	v_div_fmas_f32 v1, v1, v92, v75
	v_cmp_eq_u32_e32 vcc, 1, v77
	v_div_fixup_f32 v1, v1, v88, 1.0
	s_nop 0
	v_cndmask_b32_e32 v75, v94, v95, vcc
	v_cmp_eq_u32_e32 vcc, 2, v77
	s_nop 1
	v_cndmask_b32_e32 v75, v75, v90, vcc
	v_cmp_eq_u32_e32 vcc, 3, v77
	v_lshlrev_b32_e32 v77, 11, v77
	s_nop 0
	v_cndmask_b32_e32 v75, v75, v91, vcc
	v_mul_f32_e32 v88, v75, v1
	v_pk_mul_f32 v[82:83], v[88:89], v[82:83] op_sel_hi:[0,1]
	v_pk_mul_f32 v[68:69], v[88:89], v[68:69] op_sel_hi:[0,1]
	v_cvt_f16_f32_e32 v1, v68
	v_cvt_f16_f32_e32 v68, v69
	;; [unrolled: 1-line block ×4, first 2 shown]
	v_bfe_u32 v89, v0, 4, 2
	v_pk_mul_f32 v[82:83], v[88:89], v[84:85] op_sel_hi:[0,1]
	v_pk_mul_f32 v[70:71], v[88:89], v[70:71] op_sel_hi:[0,1]
	v_pack_b32_f16 v91, v69, v75
	v_cvt_f16_f32_e32 v69, v70
	v_cvt_f16_f32_e32 v70, v71
	;; [unrolled: 1-line block ×4, first 2 shown]
	v_pack_b32_f16 v90, v1, v68
	v_lshlrev_b32_e32 v1, 3, v89
	v_lshlrev_b32_e32 v68, 5, v76
	v_or3_b32 v82, v77, v68, v1
	v_pack_b32_f16 v70, v69, v70
	v_pack_b32_f16 v71, v71, v75
	ds_write2st64_b64 v82, v[90:91], v[70:71] offset1:1
	v_pk_mul_f32 v[70:71], v[88:89], v[78:79] op_sel_hi:[0,1]
	v_pk_mul_f32 v[78:79], v[88:89], v[80:81] op_sel_hi:[0,1]
	v_cvt_f16_f32_e32 v75, v70
	v_cvt_f16_f32_e32 v77, v71
	v_pk_mul_f32 v[66:67], v[88:89], v[66:67] op_sel_hi:[0,1]
	v_pk_mul_f32 v[70:71], v[88:89], v[72:73] op_sel_hi:[0,1]
	v_cvt_f16_f32_e32 v1, v78
	v_cvt_f16_f32_e32 v69, v79
	v_cvt_f16_f32_e32 v70, v70
	v_cvt_f16_f32_e32 v71, v71
	v_cvt_f16_f32_e32 v72, v66
	v_cvt_f16_f32_e32 v73, v67
	v_pack_b32_f16 v66, v1, v69
	v_pack_b32_f16 v67, v75, v77
	;; [unrolled: 1-line block ×4, first 2 shown]
	v_cmp_gt_u32_e32 vcc, 12, v0
	ds_write2st64_b64 v82, v[66:67], v[70:71] offset0:2 offset1:3
	s_and_saveexec_b64 s[4:5], vcc
	s_cbranch_execz .LBB295_15
; %bb.14:
	s_mov_b32 s41, 0
	v_mov_b32_e32 v77, 0
	v_lshl_add_u64 v[66:67], s[40:41], 0, v[76:77]
	v_mov_b32_e32 v1, s7
	v_mad_u64_u32 v[66:67], s[12:13], s2, v1, v[66:67]
	s_mul_i32 s3, s3, s7
	v_mov_b32_e32 v70, s26
	v_mov_b32_e32 v71, v77
	s_load_dwordx4 s[8:11], s[0:1], 0x58
	v_add_u32_e32 v1, s3, v67
	v_mad_u64_u32 v[66:67], s[12:13], v66, s6, v[70:71]
	v_mov_b32_e32 v70, v67
	v_mad_u64_u32 v[70:71], s[12:13], v1, s6, v[70:71]
	v_mov_b32_e32 v67, v70
	v_lshlrev_b64 v[66:67], 2, v[66:67]
	s_waitcnt lgkmcnt(0)
	v_lshl_add_u64 v[70:71], s[10:11], 0, v[66:67]
	v_lshl_add_u64 v[66:67], s[8:9], 0, v[66:67]
	global_store_dword v[70:71], v86, off
	global_store_dword v[66:67], v87, off
.LBB295_15:
	s_or_b64 exec, exec, s[4:5]
	v_lshl_or_b32 v1, v89, 9, v68
	s_waitcnt lgkmcnt(0)
	s_barrier
	ds_read_b128 v[70:73], v1
	ds_read_b128 v[66:69], v1 offset:16
	s_waitcnt vmcnt(15) lgkmcnt(1)
	v_mfma_f32_16x16x16_f16 v[78:81], v[30:31], v[70:71], 0
	s_mov_b32 s3, 0
	v_cmp_gt_u32_e32 vcc, 64, v0
	v_mfma_f32_16x16x16_f16 v[30:33], v[32:33], v[72:73], v[78:81]
	s_waitcnt vmcnt(14) lgkmcnt(0)
	v_mfma_f32_16x16x16_f16 v[30:33], v[26:27], v[66:67], v[30:33]
	v_mfma_f32_16x16x16_f16 v[26:29], v[28:29], v[68:69], v[30:33]
	s_nop 5
	ds_read_b128 v[30:33], v1 offset:2048
	ds_read_b128 v[78:81], v1 offset:2064
	s_waitcnt vmcnt(13) lgkmcnt(1)
	v_mfma_f32_16x16x16_f16 v[26:29], v[22:23], v[30:31], v[26:29]
	v_mfma_f32_16x16x16_f16 v[22:25], v[24:25], v[32:33], v[26:29]
	s_waitcnt vmcnt(12) lgkmcnt(0)
	v_mfma_f32_16x16x16_f16 v[22:25], v[18:19], v[78:79], v[22:25]
	v_mfma_f32_16x16x16_f16 v[18:21], v[20:21], v[80:81], v[22:25]
	s_nop 5
	ds_read_b128 v[22:25], v1 offset:4096
	ds_read_b128 v[26:29], v1 offset:4112
	s_waitcnt vmcnt(11) lgkmcnt(1)
	v_mfma_f32_16x16x16_f16 v[18:21], v[14:15], v[22:23], v[18:21]
	v_mfma_f32_16x16x16_f16 v[14:17], v[16:17], v[24:25], v[18:21]
	s_waitcnt vmcnt(10) lgkmcnt(0)
	v_mfma_f32_16x16x16_f16 v[14:17], v[10:11], v[26:27], v[14:17]
	v_mfma_f32_16x16x16_f16 v[10:13], v[12:13], v[28:29], v[14:17]
	s_nop 5
	ds_read_b128 v[14:17], v1 offset:6144
	ds_read_b128 v[18:21], v1 offset:6160
	s_waitcnt lgkmcnt(0)
	s_barrier
	s_waitcnt vmcnt(9)
	v_mfma_f32_16x16x16_f16 v[10:13], v[6:7], v[14:15], v[10:13]
	v_mfma_f32_16x16x16_f16 v[6:9], v[8:9], v[16:17], v[10:13]
	s_waitcnt vmcnt(8)
	v_mfma_f32_16x16x16_f16 v[6:9], v[2:3], v[18:19], v[6:9]
	v_mfma_f32_16x16x16_f16 v[2:5], v[4:5], v[20:21], v[6:9]
	s_waitcnt vmcnt(7)
	v_mfma_f32_16x16x16_f16 v[6:9], v[46:47], v[70:71], 0
	v_mfma_f32_16x16x16_f16 v[6:9], v[48:49], v[72:73], v[6:9]
	s_nop 3
	v_cvt_f16_f32_e32 v1, v2
	v_cvt_f16_f32_e32 v10, v3
	;; [unrolled: 1-line block ×3, first 2 shown]
	s_waitcnt vmcnt(6)
	v_mfma_f32_16x16x16_f16 v[6:9], v[38:39], v[66:67], v[6:9]
	v_cvt_f16_f32_e32 v12, v5
	v_mfma_f32_16x16x16_f16 v[6:9], v[40:41], v[68:69], v[6:9]
	s_waitcnt vmcnt(5)
	v_mfma_f32_16x16x16_f16 v[6:9], v[42:43], v[30:31], v[6:9]
	v_mfma_f32_16x16x16_f16 v[6:9], v[44:45], v[32:33], v[6:9]
	s_waitcnt vmcnt(4)
	v_mfma_f32_16x16x16_f16 v[6:9], v[34:35], v[78:79], v[6:9]
	v_mfma_f32_16x16x16_f16 v[6:9], v[36:37], v[80:81], v[6:9]
	s_waitcnt vmcnt(3)
	v_mfma_f32_16x16x16_f16 v[6:9], v[54:55], v[22:23], v[6:9]
	v_mfma_f32_16x16x16_f16 v[6:9], v[56:57], v[24:25], v[6:9]
	s_waitcnt vmcnt(2)
	v_mfma_f32_16x16x16_f16 v[6:9], v[50:51], v[26:27], v[6:9]
	v_mfma_f32_16x16x16_f16 v[6:9], v[52:53], v[28:29], v[6:9]
	s_waitcnt vmcnt(1)
	v_mfma_f32_16x16x16_f16 v[6:9], v[62:63], v[14:15], v[6:9]
	v_mfma_f32_16x16x16_f16 v[6:9], v[64:65], v[16:17], v[6:9]
	s_waitcnt vmcnt(0)
	v_mfma_f32_16x16x16_f16 v[6:9], v[58:59], v[18:19], v[6:9]
	v_mfma_f32_16x16x16_f16 v[2:5], v[60:61], v[20:21], v[6:9]
	s_nop 6
	v_cvt_f16_f32_e32 v6, v2
	v_cvt_f16_f32_e32 v7, v3
	;; [unrolled: 1-line block ×4, first 2 shown]
	v_pack_b32_f16 v2, v1, v10
	v_pack_b32_f16 v3, v11, v12
	;; [unrolled: 1-line block ×4, first 2 shown]
	ds_write2st64_b64 v82, v[2:3], v[4:5] offset1:1
	s_waitcnt lgkmcnt(0)
	s_barrier
	s_and_saveexec_b64 s[4:5], vcc
	s_cbranch_execz .LBB295_17
; %bb.16:
	s_load_dwordx2 s[0:1], s[0:1], 0x68
	s_lshl_b32 s6, s6, 7
	s_mul_i32 s2, s7, s2
	s_mul_hi_u32 s5, s2, s6
	s_mul_i32 s4, s2, s6
	s_lshl_b64 s[4:5], s[4:5], 1
	v_lshlrev_b32_e32 v3, 6, v76
	s_waitcnt lgkmcnt(0)
	s_add_u32 s4, s0, s4
	v_lshlrev_b32_e32 v2, 4, v0
	v_lshl_or_b32 v0, v0, 10, v3
	s_addc_u32 s5, s1, s5
	s_lshl_b32 s2, s26, 7
	v_lshlrev_b32_e32 v1, 5, v89
	v_and_b32_e32 v2, 16, v2
	v_and_b32_e32 v0, 0x1a00, v0
	s_lshl_b64 s[0:1], s[2:3], 1
	v_or3_b32 v0, v0, v1, v2
	s_add_u32 s0, s4, s0
	ds_read_b128 v[2:5], v0
	ds_read_b128 v[6:9], v0 offset:128
	ds_read_b128 v[10:13], v0 offset:256
	s_addc_u32 s1, s5, s1
	v_or_b32_e32 v16, s40, v89
	v_mov_b32_e32 v75, 0
	v_lshl_add_u64 v[0:1], s[0:1], 0, v[74:75]
	v_mad_u64_u32 v[14:15], s[0:1], v16, s6, 0
	v_lshl_add_u64 v[14:15], v[14:15], 1, v[0:1]
	s_waitcnt lgkmcnt(2)
	global_store_dwordx4 v[14:15], v[2:5], off
	s_nop 1
	v_add_u32_e32 v2, 4, v16
	v_mad_u64_u32 v[2:3], s[0:1], v2, s6, 0
	v_lshl_add_u64 v[2:3], v[2:3], 1, v[0:1]
	s_waitcnt lgkmcnt(1)
	global_store_dwordx4 v[2:3], v[6:9], off
	v_add_u32_e32 v2, 8, v16
	v_mad_u64_u32 v[2:3], s[0:1], v2, s6, 0
	v_lshl_add_u64 v[0:1], v[2:3], 1, v[0:1]
	s_waitcnt lgkmcnt(0)
	global_store_dwordx4 v[0:1], v[10:13], off
.LBB295_17:
	s_endpgm
	.section	.rodata,"a",@progbits
	.p2align	6, 0x0
	.amdhsa_kernel _Z39paged_attention_ll4mi_QKV_mfma16_kernelIDF16_DF16_LN4vllm18Fp8KVCacheDataTypeE0EDF16_Li16ELi128ELi256ELb0ELi12EEvPKT_PKT0_S7_ifPKiS9_S9_iPKfiiiPfSC_PS2_PT2_iSB_SB_
		.amdhsa_group_segment_fixed_size 8192
		.amdhsa_private_segment_fixed_size 0
		.amdhsa_kernarg_size 400
		.amdhsa_user_sgpr_count 2
		.amdhsa_user_sgpr_dispatch_ptr 0
		.amdhsa_user_sgpr_queue_ptr 0
		.amdhsa_user_sgpr_kernarg_segment_ptr 1
		.amdhsa_user_sgpr_dispatch_id 0
		.amdhsa_user_sgpr_kernarg_preload_length 0
		.amdhsa_user_sgpr_kernarg_preload_offset 0
		.amdhsa_user_sgpr_private_segment_size 0
		.amdhsa_uses_dynamic_stack 0
		.amdhsa_enable_private_segment 0
		.amdhsa_system_sgpr_workgroup_id_x 1
		.amdhsa_system_sgpr_workgroup_id_y 1
		.amdhsa_system_sgpr_workgroup_id_z 1
		.amdhsa_system_sgpr_workgroup_info 0
		.amdhsa_system_vgpr_workitem_id 0
		.amdhsa_next_free_vgpr 96
		.amdhsa_next_free_sgpr 42
		.amdhsa_accum_offset 96
		.amdhsa_reserve_vcc 1
		.amdhsa_float_round_mode_32 0
		.amdhsa_float_round_mode_16_64 0
		.amdhsa_float_denorm_mode_32 3
		.amdhsa_float_denorm_mode_16_64 3
		.amdhsa_dx10_clamp 1
		.amdhsa_ieee_mode 1
		.amdhsa_fp16_overflow 0
		.amdhsa_tg_split 0
		.amdhsa_exception_fp_ieee_invalid_op 0
		.amdhsa_exception_fp_denorm_src 0
		.amdhsa_exception_fp_ieee_div_zero 0
		.amdhsa_exception_fp_ieee_overflow 0
		.amdhsa_exception_fp_ieee_underflow 0
		.amdhsa_exception_fp_ieee_inexact 0
		.amdhsa_exception_int_div_zero 0
	.end_amdhsa_kernel
	.section	.text._Z39paged_attention_ll4mi_QKV_mfma16_kernelIDF16_DF16_LN4vllm18Fp8KVCacheDataTypeE0EDF16_Li16ELi128ELi256ELb0ELi12EEvPKT_PKT0_S7_ifPKiS9_S9_iPKfiiiPfSC_PS2_PT2_iSB_SB_,"axG",@progbits,_Z39paged_attention_ll4mi_QKV_mfma16_kernelIDF16_DF16_LN4vllm18Fp8KVCacheDataTypeE0EDF16_Li16ELi128ELi256ELb0ELi12EEvPKT_PKT0_S7_ifPKiS9_S9_iPKfiiiPfSC_PS2_PT2_iSB_SB_,comdat
.Lfunc_end295:
	.size	_Z39paged_attention_ll4mi_QKV_mfma16_kernelIDF16_DF16_LN4vllm18Fp8KVCacheDataTypeE0EDF16_Li16ELi128ELi256ELb0ELi12EEvPKT_PKT0_S7_ifPKiS9_S9_iPKfiiiPfSC_PS2_PT2_iSB_SB_, .Lfunc_end295-_Z39paged_attention_ll4mi_QKV_mfma16_kernelIDF16_DF16_LN4vllm18Fp8KVCacheDataTypeE0EDF16_Li16ELi128ELi256ELb0ELi12EEvPKT_PKT0_S7_ifPKiS9_S9_iPKfiiiPfSC_PS2_PT2_iSB_SB_
                                        ; -- End function
	.section	.AMDGPU.csdata,"",@progbits
; Kernel info:
; codeLenInByte = 4424
; NumSgprs: 48
; NumVgprs: 96
; NumAgprs: 0
; TotalNumVgprs: 96
; ScratchSize: 0
; MemoryBound: 0
; FloatMode: 240
; IeeeMode: 1
; LDSByteSize: 8192 bytes/workgroup (compile time only)
; SGPRBlocks: 5
; VGPRBlocks: 11
; NumSGPRsForWavesPerEU: 48
; NumVGPRsForWavesPerEU: 96
; AccumOffset: 96
; Occupancy: 5
; WaveLimiterHint : 1
; COMPUTE_PGM_RSRC2:SCRATCH_EN: 0
; COMPUTE_PGM_RSRC2:USER_SGPR: 2
; COMPUTE_PGM_RSRC2:TRAP_HANDLER: 0
; COMPUTE_PGM_RSRC2:TGID_X_EN: 1
; COMPUTE_PGM_RSRC2:TGID_Y_EN: 1
; COMPUTE_PGM_RSRC2:TGID_Z_EN: 1
; COMPUTE_PGM_RSRC2:TIDIG_COMP_CNT: 0
; COMPUTE_PGM_RSRC3_GFX90A:ACCUM_OFFSET: 23
; COMPUTE_PGM_RSRC3_GFX90A:TG_SPLIT: 0
	.section	.text._Z39paged_attention_ll4mi_QKV_mfma16_kernelIDF16_DF16_LN4vllm18Fp8KVCacheDataTypeE0EDF16_Li16ELi128ELi256ELb0ELi13EEvPKT_PKT0_S7_ifPKiS9_S9_iPKfiiiPfSC_PS2_PT2_iSB_SB_,"axG",@progbits,_Z39paged_attention_ll4mi_QKV_mfma16_kernelIDF16_DF16_LN4vllm18Fp8KVCacheDataTypeE0EDF16_Li16ELi128ELi256ELb0ELi13EEvPKT_PKT0_S7_ifPKiS9_S9_iPKfiiiPfSC_PS2_PT2_iSB_SB_,comdat
	.protected	_Z39paged_attention_ll4mi_QKV_mfma16_kernelIDF16_DF16_LN4vllm18Fp8KVCacheDataTypeE0EDF16_Li16ELi128ELi256ELb0ELi13EEvPKT_PKT0_S7_ifPKiS9_S9_iPKfiiiPfSC_PS2_PT2_iSB_SB_ ; -- Begin function _Z39paged_attention_ll4mi_QKV_mfma16_kernelIDF16_DF16_LN4vllm18Fp8KVCacheDataTypeE0EDF16_Li16ELi128ELi256ELb0ELi13EEvPKT_PKT0_S7_ifPKiS9_S9_iPKfiiiPfSC_PS2_PT2_iSB_SB_
	.globl	_Z39paged_attention_ll4mi_QKV_mfma16_kernelIDF16_DF16_LN4vllm18Fp8KVCacheDataTypeE0EDF16_Li16ELi128ELi256ELb0ELi13EEvPKT_PKT0_S7_ifPKiS9_S9_iPKfiiiPfSC_PS2_PT2_iSB_SB_
	.p2align	8
	.type	_Z39paged_attention_ll4mi_QKV_mfma16_kernelIDF16_DF16_LN4vllm18Fp8KVCacheDataTypeE0EDF16_Li16ELi128ELi256ELb0ELi13EEvPKT_PKT0_S7_ifPKiS9_S9_iPKfiiiPfSC_PS2_PT2_iSB_SB_,@function
_Z39paged_attention_ll4mi_QKV_mfma16_kernelIDF16_DF16_LN4vllm18Fp8KVCacheDataTypeE0EDF16_Li16ELi128ELi256ELb0ELi13EEvPKT_PKT0_S7_ifPKiS9_S9_iPKfiiiPfSC_PS2_PT2_iSB_SB_: ; @_Z39paged_attention_ll4mi_QKV_mfma16_kernelIDF16_DF16_LN4vllm18Fp8KVCacheDataTypeE0EDF16_Li16ELi128ELi256ELb0ELi13EEvPKT_PKT0_S7_ifPKiS9_S9_iPKfiiiPfSC_PS2_PT2_iSB_SB_
; %bb.0:
	s_load_dwordx2 s[8:9], s[0:1], 0x30
	s_mov_b32 s26, s3
	s_mov_b64 s[6:7], 0
	s_waitcnt lgkmcnt(0)
	s_cmp_lg_u64 s[8:9], 0
	s_cselect_b64 s[10:11], -1, 0
	s_and_b64 vcc, exec, s[10:11]
	s_cbranch_vccz .LBB296_7
; %bb.1:
	s_add_i32 s12, s2, 1
	s_mov_b32 s13, 0
	s_lshl_b64 s[14:15], s[12:13], 2
	s_add_u32 s14, s8, s14
	s_mov_b32 s3, s13
	s_addc_u32 s15, s9, s15
	s_lshl_b64 s[12:13], s[2:3], 2
	s_add_u32 s12, s8, s12
	s_addc_u32 s13, s9, s13
	s_load_dword s5, s[14:15], 0x0
	s_load_dword s16, s[12:13], 0x0
	s_waitcnt lgkmcnt(0)
	s_sub_i32 s5, s5, s16
	s_cmp_eq_u32 s5, 1
	s_cselect_b64 s[12:13], -1, 0
	s_andn2_b64 vcc, exec, s[6:7]
	s_cbranch_vccnz .LBB296_3
.LBB296_2:
	s_mov_b32 s3, 0
	s_mov_b64 s[12:13], -1
.LBB296_3:
	s_andn2_b64 vcc, exec, s[12:13]
	s_cbranch_vccnz .LBB296_18
; %bb.4:
	s_load_dwordx2 s[6:7], s[0:1], 0x28
	s_lshl_b64 s[16:17], s[2:3], 2
	s_waitcnt lgkmcnt(0)
	s_add_u32 s6, s6, s16
	s_addc_u32 s7, s7, s17
	s_load_dword s33, s[6:7], 0x0
	s_lshl_b32 s18, s26, 8
	s_waitcnt lgkmcnt(0)
	s_cmp_ge_i32 s18, s33
	s_cbranch_scc1 .LBB296_18
; %bb.5:
	s_load_dwordx2 s[6:7], s[0:1], 0x20
	s_load_dword s5, s[0:1], 0x38
	s_add_i32 s12, s33, 15
	s_ashr_i32 s13, s12, 31
	v_and_b32_e32 v1, 0xcf, v0
	s_lshr_b32 s13, s13, 28
	v_add_u32_e32 v1, s18, v1
	s_add_i32 s12, s12, s13
	v_ashrrev_i32_e32 v2, 31, v1
	s_ashr_i32 s19, s12, 4
	v_lshrrev_b32_e32 v4, 28, v2
	s_add_i32 s19, s19, -1
	s_waitcnt lgkmcnt(0)
	s_mul_i32 s12, s2, s5
	s_mov_b32 s13, 0
	v_add_u32_e32 v2, v1, v4
	s_lshl_b64 s[12:13], s[12:13], 2
	v_ashrrev_i32_e32 v2, 4, v2
	v_mov_b32_e32 v5, s19
	v_cmp_gt_i32_e32 vcc, s33, v1
	s_add_u32 s6, s6, s12
	s_addc_u32 s7, s7, s13
	v_cndmask_b32_e32 v2, v5, v2, vcc
	v_ashrrev_i32_e32 v3, 31, v2
	v_lshl_add_u64 v[6:7], v[2:3], 2, s[6:7]
	v_or_b32_e32 v2, 16, v1
	v_add_u32_e32 v3, v2, v4
	v_ashrrev_i32_e32 v3, 4, v3
	v_cmp_gt_i32_e32 vcc, s33, v2
	s_load_dwordx4 s[12:15], s[0:1], 0x8
	s_nop 0
	v_cndmask_b32_e32 v2, v5, v3, vcc
	v_ashrrev_i32_e32 v3, 31, v2
	v_lshl_add_u64 v[8:9], v[2:3], 2, s[6:7]
	v_or_b32_e32 v2, 32, v1
	v_add_u32_e32 v3, v2, v4
	v_ashrrev_i32_e32 v3, 4, v3
	v_cmp_gt_i32_e32 vcc, s33, v2
	v_or_b32_e32 v1, 48, v1
	s_nop 0
	v_cndmask_b32_e32 v2, v5, v3, vcc
	v_ashrrev_i32_e32 v3, 31, v2
	v_lshl_add_u64 v[10:11], v[2:3], 2, s[6:7]
	v_add_u32_e32 v2, v1, v4
	v_ashrrev_i32_e32 v2, 4, v2
	v_cmp_gt_i32_e32 vcc, s33, v1
	s_nop 1
	v_cndmask_b32_e32 v2, v5, v2, vcc
	v_ashrrev_i32_e32 v3, 31, v2
	v_lshl_add_u64 v[12:13], v[2:3], 2, s[6:7]
	global_load_dword v4, v[6:7], off
	global_load_dword v3, v[8:9], off
	;; [unrolled: 1-line block ×4, first 2 shown]
	s_andn2_b64 vcc, exec, s[10:11]
	s_cbranch_vccnz .LBB296_8
; %bb.6:
	s_add_u32 s8, s8, s16
	s_addc_u32 s9, s9, s17
	s_load_dword s5, s[8:9], 0x0
	s_branch .LBB296_9
.LBB296_7:
	s_mov_b64 s[12:13], 0
	s_branch .LBB296_2
.LBB296_8:
	s_mov_b32 s5, s2
.LBB296_9:
	s_load_dwordx4 s[8:11], s[0:1], 0x48
	v_lshrrev_b32_e32 v77, 6, v0
	v_bfe_u32 v86, v0, 4, 2
	v_and_b32_e32 v76, 15, v0
	v_lshl_or_b32 v1, v77, 2, v86
	v_lshlrev_b32_e32 v5, 3, v76
	v_and_b32_e32 v87, 63, v0
	s_mul_i32 s40, s4, 13
	v_cmp_gt_u32_e32 vcc, 13, v1
	v_lshlrev_b32_e32 v74, 1, v5
	s_and_saveexec_b64 s[16:17], vcc
	s_cbranch_execz .LBB296_11
; %bb.10:
	s_load_dwordx2 s[20:21], s[0:1], 0x0
	s_waitcnt lgkmcnt(0)
	s_ashr_i32 s11, s8, 31
	s_mul_hi_u32 s22, s5, s8
	s_mul_i32 s11, s5, s11
	s_add_i32 s23, s22, s11
	s_mul_i32 s22, s5, s8
	s_lshl_b64 s[22:23], s[22:23], 1
	s_add_u32 s20, s20, s22
	v_add_lshl_u32 v6, v1, s40, 7
	s_addc_u32 s21, s21, s23
	v_ashrrev_i32_e32 v7, 31, v6
	v_lshl_add_u64 v[6:7], v[6:7], 1, s[20:21]
	v_mov_b32_e32 v75, 0
	v_lshl_add_u64 v[6:7], v[6:7], 0, v[74:75]
	global_load_dwordx4 v[6:9], v[6:7], off
	v_and_b32_e32 v5, 3, v0
	v_lshlrev_b32_e32 v10, 9, v76
	v_lshlrev_b32_e32 v1, 5, v1
	;; [unrolled: 1-line block ×3, first 2 shown]
	v_and_b32_e32 v10, 0x1800, v10
	v_or3_b32 v1, v10, v5, v1
	s_waitcnt vmcnt(0)
	ds_write_b128 v1, v[6:9]
.LBB296_11:
	s_or_b64 exec, exec, s[16:17]
	s_waitcnt lgkmcnt(0)
	s_mul_i32 s4, s4, s10
	s_mov_b32 s5, 0
	s_lshl_b64 s[4:5], s[4:5], 1
	s_add_u32 s10, s12, s4
	v_lshlrev_b32_e32 v1, 4, v0
	s_addc_u32 s11, s13, s5
	v_and_b32_e32 v34, 0xf0, v1
	v_mov_b32_e32 v35, 0
	v_lshl_add_u64 v[30:31], s[10:11], 0, v[34:35]
	s_waitcnt vmcnt(3)
	v_mad_i64_i32 v[4:5], s[10:11], v4, s9, 0
	v_lshl_add_u64 v[4:5], v[4:5], 1, v[30:31]
	v_and_b32_e32 v34, 0x300, v1
	v_lshl_add_u64 v[32:33], v[4:5], 0, v[34:35]
	s_load_dword s27, s[0:1], 0x98
	s_load_dword s8, s[0:1], 0x1c
	s_waitcnt lgkmcnt(0)
	s_barrier
	global_load_dwordx4 v[6:9], v[32:33], off
	global_load_dwordx4 v[18:21], v[32:33], off offset:1024
	s_waitcnt vmcnt(4)
	v_mad_i64_i32 v[4:5], s[10:11], v3, s9, 0
	s_waitcnt vmcnt(3)
	v_mad_i64_i32 v[2:3], s[10:11], v2, s9, 0
	v_lshl_add_u64 v[4:5], v[4:5], 1, v[30:31]
	v_lshl_add_u64 v[2:3], v[2:3], 1, v[30:31]
	;; [unrolled: 1-line block ×4, first 2 shown]
	global_load_dwordx4 v[14:17], v[36:37], off
	global_load_dwordx4 v[22:25], v[36:37], off offset:1024
	global_load_dwordx4 v[26:29], v[38:39], off
	global_load_dwordx4 v[46:49], v[38:39], off offset:1024
	v_add_u32_e32 v2, -13, v76
	v_cmp_gt_u32_e32 vcc, 13, v76
	global_load_dwordx4 v[54:57], v[32:33], off offset:2048
	global_load_dwordx4 v[62:65], v[36:37], off offset:2048
	v_cndmask_b32_e32 v2, v2, v76, vcc
	v_lshlrev_b32_e32 v2, 5, v2
	v_lshl_add_u32 v41, v86, 9, v2
	ds_read_b128 v[10:13], v41
	ds_read_b128 v[2:5], v41 offset:2048
	v_mov_b32_e32 v70, s19
	s_add_u32 s4, s14, s4
	s_addc_u32 s5, s15, s5
	s_mov_b32 s41, 0xff7fffff
	s_waitcnt vmcnt(7) lgkmcnt(1)
	v_mfma_f32_16x16x16_f16 v[42:45], v[6:7], v[10:11], 0
	v_mfma_f32_16x16x16_f16 v[6:9], v[8:9], v[12:13], v[42:45]
	s_nop 5
	global_load_dwordx4 v[42:45], v[38:39], off offset:2048
	s_waitcnt vmcnt(6)
	v_mfma_f32_16x16x16_f16 v[50:53], v[14:15], v[10:11], 0
	s_waitcnt vmcnt(4)
	v_mfma_f32_16x16x16_f16 v[58:61], v[26:27], v[10:11], 0
	v_mfma_f32_16x16x16_f16 v[14:17], v[16:17], v[12:13], v[50:53]
	;; [unrolled: 1-line block ×3, first 2 shown]
	s_nop 2
	global_load_dwordx4 v[50:53], v[32:33], off offset:3072
	v_mad_i64_i32 v[32:33], s[10:11], v40, s9, 0
	s_waitcnt lgkmcnt(0)
	v_mfma_f32_16x16x16_f16 v[6:9], v[18:19], v[2:3], v[6:9]
	v_and_or_b32 v40, v0, 48, s18
	v_ashrrev_i32_e32 v58, 4, v40
	v_cmp_gt_i32_e32 vcc, s33, v40
	v_mfma_f32_16x16x16_f16 v[14:17], v[22:23], v[2:3], v[14:17]
	v_or_b32_e32 v66, 64, v40
	v_cndmask_b32_e32 v22, v70, v58, vcc
	v_ashrrev_i32_e32 v23, 31, v22
	s_waitcnt vmcnt(4)
	v_mfma_f32_16x16x16_f16 v[26:29], v[46:47], v[2:3], v[26:29]
	v_or_b32_e32 v71, 0x80, v40
	v_or_b32_e32 v72, 0xc0, v40
	v_ashrrev_i32_e32 v40, 4, v66
	v_mfma_f32_16x16x16_f16 v[6:9], v[20:21], v[4:5], v[6:9]
	global_load_dwordx4 v[18:21], v[38:39], off offset:3072
	v_cmp_gt_i32_e32 vcc, s33, v66
	v_lshl_add_u64 v[22:23], v[22:23], 2, s[6:7]
	global_load_dwordx4 v[58:61], v[36:37], off offset:3072
	v_cndmask_b32_e32 v36, v70, v40, vcc
	v_mfma_f32_16x16x16_f16 v[14:17], v[24:25], v[4:5], v[14:17]
	global_load_dword v78, v[22:23], off
	ds_read_b128 v[66:69], v41 offset:4096
	v_ashrrev_i32_e32 v37, 31, v36
	v_mfma_f32_16x16x16_f16 v[22:25], v[48:49], v[4:5], v[26:29]
	v_ashrrev_i32_e32 v73, 4, v71
	v_cmp_gt_i32_e32 vcc, s33, v71
	v_ashrrev_i32_e32 v75, 4, v72
	v_lshl_add_u64 v[26:27], v[32:33], 1, v[30:31]
	v_lshl_add_u64 v[26:27], v[26:27], 0, v[34:35]
	v_lshl_add_u64 v[28:29], v[36:37], 2, s[6:7]
	global_load_dwordx4 v[46:49], v[26:27], off
	global_load_dword v36, v[28:29], off
	s_waitcnt vmcnt(8) lgkmcnt(0)
	v_mfma_f32_16x16x16_f16 v[6:9], v[54:55], v[66:67], v[6:9]
	v_cndmask_b32_e32 v28, v70, v73, vcc
	v_ashrrev_i32_e32 v29, 31, v28
	v_lshl_add_u64 v[28:29], v[28:29], 2, s[6:7]
	v_mfma_f32_16x16x16_f16 v[6:9], v[56:57], v[68:69], v[6:9]
	global_load_dwordx4 v[54:57], v[26:27], off offset:1024
	v_cmp_gt_i32_e32 vcc, s33, v72
	global_load_dword v82, v[28:29], off
	ds_read_b128 v[38:41], v41 offset:6144
	v_cndmask_b32_e32 v28, v70, v75, vcc
	v_ashrrev_i32_e32 v29, 31, v28
	v_lshl_add_u64 v[28:29], v[28:29], 2, s[6:7]
	global_load_dword v83, v[28:29], off
	s_waitcnt vmcnt(10)
	v_mfma_f32_16x16x16_f16 v[14:17], v[62:63], v[66:67], v[14:17]
	v_lshl_or_b32 v75, v77, 4, v76
	v_lshlrev_b32_e32 v34, 5, v75
	v_lshl_add_u64 v[62:63], s[4:5], 0, v[34:35]
	v_mfma_f32_16x16x16_f16 v[14:17], v[64:65], v[68:69], v[14:17]
	v_or_b32_e32 v34, 0x800, v34
	global_load_dwordx4 v[70:73], v[26:27], off offset:3072
	s_waitcnt vmcnt(10)
	v_mfma_f32_16x16x16_f16 v[22:25], v[42:43], v[66:67], v[22:25]
	v_mfma_f32_16x16x16_f16 v[22:25], v[44:45], v[68:69], v[22:25]
	global_load_dwordx4 v[42:45], v[26:27], off offset:2048
	s_waitcnt vmcnt(10) lgkmcnt(0)
	v_mfma_f32_16x16x16_f16 v[6:9], v[50:51], v[38:39], v[6:9]
	s_waitcnt vmcnt(9)
	v_mfma_f32_16x16x16_f16 v[22:25], v[18:19], v[38:39], v[22:25]
	s_waitcnt vmcnt(7)
	v_mad_i64_i32 v[18:19], s[6:7], v78, s9, 0
	v_lshlrev_b64 v[64:65], 1, v[18:19]
	v_mfma_f32_16x16x16_f16 v[78:81], v[52:53], v[40:41], v[6:9]
	s_nop 2
	v_lshl_add_u64 v[6:7], v[62:63], 0, v[64:65]
	global_load_dwordx4 v[30:33], v[6:7], off
	global_load_dwordx4 v[26:29], v[6:7], off offset:16
	v_mfma_f32_16x16x16_f16 v[92:95], v[20:21], v[40:41], v[22:25]
	s_waitcnt vmcnt(7)
	v_mad_i64_i32 v[6:7], s[6:7], v36, s9, 0
	v_lshlrev_b64 v[36:37], 1, v[6:7]
	v_lshl_add_u64 v[6:7], v[62:63], 0, v[36:37]
	global_load_dwordx4 v[22:25], v[6:7], off
	global_load_dwordx4 v[18:21], v[6:7], off offset:16
	v_mfma_f32_16x16x16_f16 v[6:9], v[46:47], v[10:11], 0
	s_waitcnt vmcnt(7)
	v_mad_i64_i32 v[10:11], s[6:7], v82, s9, 0
	v_mfma_f32_16x16x16_f16 v[6:9], v[48:49], v[12:13], v[6:9]
	v_lshlrev_b64 v[50:51], 1, v[10:11]
	v_lshl_add_u64 v[10:11], v[62:63], 0, v[50:51]
	v_mfma_f32_16x16x16_f16 v[6:9], v[54:55], v[2:3], v[6:9]
	s_waitcnt vmcnt(6)
	v_mad_i64_i32 v[2:3], s[6:7], v83, s9, 0
	v_pk_mul_f32 v[82:83], s[8:9], v[80:81] op_sel_hi:[0,1]
	v_mfma_f32_16x16x16_f16 v[46:49], v[56:57], v[4:5], v[6:9]
	v_pk_mul_f32 v[80:81], s[8:9], v[92:93] op_sel_hi:[0,1]
	v_mfma_f32_16x16x16_f16 v[14:17], v[58:59], v[38:39], v[14:17]
	v_lshlrev_b64 v[58:59], 1, v[2:3]
	v_lshl_add_u64 v[2:3], v[62:63], 0, v[58:59]
	v_lshl_add_u64 v[62:63], s[4:5], 0, v[34:35]
	v_mfma_f32_16x16x16_f16 v[88:91], v[60:61], v[40:41], v[14:17]
	v_pk_mul_f32 v[60:61], s[8:9], v[78:79] op_sel_hi:[0,1]
	v_pk_mul_f32 v[78:79], s[8:9], v[94:95] op_sel_hi:[0,1]
	v_lshl_add_u64 v[34:35], v[62:63], 0, v[64:65]
	s_waitcnt vmcnt(4)
	v_mfma_f32_16x16x16_f16 v[46:49], v[42:43], v[66:67], v[46:49]
	s_nop 1
	v_pk_mul_f32 v[84:85], s[8:9], v[90:91] op_sel_hi:[0,1]
	global_load_dwordx4 v[14:17], v[10:11], off
	s_nop 0
	global_load_dwordx4 v[10:13], v[10:11], off offset:16
	s_nop 0
	global_load_dwordx4 v[6:9], v[2:3], off
	s_nop 0
	global_load_dwordx4 v[2:5], v[2:3], off offset:16
	v_mfma_f32_16x16x16_f16 v[42:45], v[44:45], v[68:69], v[46:49]
	v_lshl_add_u64 v[50:51], v[62:63], 0, v[50:51]
	v_lshl_add_u64 v[58:59], v[62:63], 0, v[58:59]
	v_mfma_f32_16x16x16_f16 v[42:45], v[70:71], v[38:39], v[42:45]
	v_pk_mul_f32 v[70:71], s[8:9], v[88:89] op_sel_hi:[0,1]
	v_mfma_f32_16x16x16_f16 v[38:41], v[72:73], v[40:41], v[42:45]
	s_nop 6
	v_pk_mul_f32 v[72:73], s[8:9], v[38:39] op_sel_hi:[0,1]
	v_and_b32_e32 v38, 0xc0, v0
	v_add_u32_e32 v38, s18, v38
	v_lshl_or_b32 v38, v86, 2, v38
	v_pk_mul_f32 v[66:67], s[8:9], v[40:41] op_sel_hi:[0,1]
	v_or_b32_e32 v41, 1, v38
	v_mov_b32_e32 v39, 0xff7fffff
	v_cmp_gt_i32_e64 s[28:29], s33, v38
	v_cmp_gt_i32_e64 s[30:31], s33, v41
	v_or_b32_e32 v42, 3, v38
	v_cndmask_b32_e64 v40, v39, v60, s[28:29]
	v_cndmask_b32_e64 v41, v39, v61, s[30:31]
	v_max3_f32 v40, v40, s41, v41
	v_or_b32_e32 v41, 2, v38
	v_cmp_gt_i32_e64 s[34:35], s33, v41
	v_cmp_gt_i32_e64 s[36:37], s33, v42
	s_nop 0
	v_cndmask_b32_e64 v41, v39, v82, s[34:35]
	v_cndmask_b32_e64 v42, v39, v83, s[36:37]
	v_max3_f32 v40, v40, v41, v42
	v_or_b32_e32 v41, 16, v38
	v_or_b32_e32 v42, 17, v38
	v_cmp_gt_i32_e64 s[22:23], s33, v41
	v_cmp_gt_i32_e64 s[24:25], s33, v42
	s_nop 0
	v_cndmask_b32_e64 v41, v39, v70, s[22:23]
	v_cndmask_b32_e64 v42, v39, v71, s[24:25]
	v_max3_f32 v40, v40, v41, v42
	v_or_b32_e32 v41, 18, v38
	;; [unrolled: 8-line block ×6, first 2 shown]
	v_or_b32_e32 v38, 51, v38
	v_cmp_gt_i32_e32 vcc, s33, v41
	v_cmp_gt_i32_e64 s[4:5], s33, v38
	s_nop 0
	v_cndmask_b32_e32 v41, v39, v66, vcc
	v_cndmask_b32_e64 v38, v39, v67, s[4:5]
	v_max3_f32 v52, v40, v41, v38
	v_mbcnt_lo_u32_b32 v38, -1, 0
	v_mbcnt_hi_u32_b32 v53, -1, v38
	v_and_b32_e32 v38, 64, v53
	v_add_u32_e32 v54, 64, v38
	v_xor_b32_e32 v38, 32, v53
	v_cmp_lt_i32_e64 s[38:39], v38, v54
	s_nop 1
	v_cndmask_b32_e64 v38, v53, v38, s[38:39]
	v_lshlrev_b32_e32 v89, 2, v38
	ds_bpermute_b32 v55, v89, v52
	global_load_dwordx4 v[46:49], v[34:35], off
	global_load_dwordx4 v[38:41], v[34:35], off offset:16
	v_lshl_add_u64 v[34:35], v[62:63], 0, v[36:37]
	global_load_dwordx4 v[42:45], v[34:35], off
	s_nop 0
	global_load_dwordx4 v[34:37], v[34:35], off offset:16
	s_waitcnt lgkmcnt(0)
	v_max_f32_e32 v55, v55, v55
	v_max_f32_e32 v64, v52, v55
	v_xor_b32_e32 v52, 16, v53
	v_cmp_lt_i32_e64 s[38:39], v52, v54
	s_nop 1
	v_cndmask_b32_e64 v52, v53, v52, s[38:39]
	v_lshlrev_b32_e32 v90, 2, v52
	ds_bpermute_b32 v65, v90, v64
	global_load_dwordx4 v[54:57], v[50:51], off
	s_nop 0
	global_load_dwordx4 v[50:53], v[50:51], off offset:16
	s_waitcnt lgkmcnt(0)
	v_max_f32_e32 v62, v65, v65
	v_max_f32_e32 v88, v64, v62
	v_sub_f32_e32 v60, v60, v88
	v_mul_f32_e32 v60, 0x3fb8aa3b, v60
	v_exp_f32_e32 v68, v60
	v_sub_f32_e32 v60, v61, v88
	v_mul_f32_e32 v60, 0x3fb8aa3b, v60
	v_exp_f32_e32 v69, v60
	global_load_dwordx4 v[62:65], v[58:59], off
	s_nop 0
	global_load_dwordx4 v[58:61], v[58:59], off offset:16
	v_sub_f32_e32 v82, v82, v88
	v_mul_f32_e32 v82, 0x3fb8aa3b, v82
	v_sub_f32_e32 v83, v83, v88
	v_exp_f32_e32 v82, v82
	v_mul_f32_e32 v83, 0x3fb8aa3b, v83
	v_sub_f32_e32 v70, v70, v88
	v_exp_f32_e32 v83, v83
	v_mul_f32_e32 v70, 0x3fb8aa3b, v70
	v_sub_f32_e32 v71, v71, v88
	v_cndmask_b32_e64 v68, 0, v68, s[28:29]
	v_exp_f32_e32 v70, v70
	v_mul_f32_e32 v71, 0x3fb8aa3b, v71
	v_sub_f32_e32 v84, v84, v88
	v_add_f32_e32 v91, 0, v68
	v_cndmask_b32_e64 v69, 0, v69, s[30:31]
	v_exp_f32_e32 v71, v71
	v_mul_f32_e32 v84, 0x3fb8aa3b, v84
	v_sub_f32_e32 v85, v85, v88
	v_add_f32_e32 v91, v91, v69
	;; [unrolled: 5-line block ×10, first 2 shown]
	v_cndmask_b32_e64 v78, 0, v78, s[10:11]
	v_exp_f32_e32 v66, v66
	v_mul_f32_e32 v67, 0x3fb8aa3b, v67
	v_add_f32_e32 v91, v91, v78
	v_cndmask_b32_e64 v79, 0, v79, s[12:13]
	v_exp_f32_e32 v67, v67
	v_add_f32_e32 v91, v91, v79
	v_cndmask_b32_e64 v72, 0, v72, s[6:7]
	v_add_f32_e32 v91, v91, v72
	v_cndmask_b32_e64 v73, 0, v73, s[8:9]
	v_add_f32_e32 v91, v91, v73
	v_cndmask_b32_e32 v66, 0, v66, vcc
	v_add_f32_e32 v91, v91, v66
	v_cndmask_b32_e64 v67, 0, v67, s[4:5]
	v_add_f32_e32 v91, v91, v67
	ds_bpermute_b32 v89, v89, v91
	v_cmp_gt_u32_e64 s[4:5], 16, v87
	s_waitcnt lgkmcnt(0)
	s_barrier
	v_add_f32_e32 v89, v91, v89
	ds_bpermute_b32 v90, v90, v89
	s_and_saveexec_b64 s[6:7], s[4:5]
	s_cbranch_execz .LBB296_13
; %bb.12:
	s_waitcnt lgkmcnt(0)
	v_add_f32_e32 v87, v89, v90
	v_lshlrev_b32_e32 v75, 2, v75
	ds_write2st64_b32 v75, v88, v87 offset1:1
.LBB296_13:
	s_or_b64 exec, exec, s[6:7]
	v_lshlrev_b32_e32 v75, 2, v76
	s_load_dword s8, s[0:1], 0x94
	s_waitcnt lgkmcnt(0)
	s_barrier
	ds_read2_b32 v[88:89], v75 offset1:16
	ds_read2_b32 v[90:91], v75 offset0:32 offset1:48
	ds_read2_b32 v[92:93], v75 offset0:64 offset1:80
	;; [unrolled: 1-line block ×3, first 2 shown]
	s_waitcnt lgkmcnt(0)
	v_max3_f32 v87, v88, s41, v89
	v_max3_f32 v87, v87, v90, v91
	v_sub_f32_e32 v88, v88, v87
	v_mul_f32_e32 v88, 0x3fb8aa3b, v88
	v_exp_f32_e32 v1, v88
	v_sub_f32_e32 v88, v89, v87
	v_mul_f32_e32 v88, 0x3fb8aa3b, v88
	v_exp_f32_e32 v89, v88
	v_sub_f32_e32 v88, v90, v87
	v_mul_f32_e32 v88, 0x3fb8aa3b, v88
	v_sub_f32_e32 v75, v91, v87
	v_exp_f32_e32 v90, v88
	v_mul_f32_e32 v75, 0x3fb8aa3b, v75
	v_exp_f32_e32 v75, v75
	v_fma_f32 v88, v1, v92, 0
	v_fmac_f32_e32 v88, v89, v93
	v_fmac_f32_e32 v88, v90, v94
	;; [unrolled: 1-line block ×3, first 2 shown]
	v_add_f32_e32 v91, 0x358637bd, v88
	v_div_scale_f32 v92, s[6:7], v91, v91, 1.0
	v_rcp_f32_e32 v93, v92
	s_barrier
	s_mul_i32 s9, s27, 13
	v_fma_f32 v94, -v92, v93, 1.0
	v_fmac_f32_e32 v93, v94, v93
	v_div_scale_f32 v94, vcc, 1.0, v91, 1.0
	v_mul_f32_e32 v95, v94, v93
	v_fma_f32 v86, -v92, v95, v94
	v_fmac_f32_e32 v95, v86, v93
	v_fma_f32 v86, -v92, v95, v94
	v_div_fmas_f32 v86, v86, v93, v95
	v_cmp_eq_u32_e32 vcc, 1, v77
	v_div_fixup_f32 v86, v86, v91, 1.0
	s_nop 0
	v_cndmask_b32_e32 v1, v1, v89, vcc
	v_cmp_eq_u32_e32 vcc, 2, v77
	s_nop 1
	v_cndmask_b32_e32 v1, v1, v90, vcc
	v_cmp_eq_u32_e32 vcc, 3, v77
	s_nop 1
	v_cndmask_b32_e32 v1, v1, v75, vcc
	v_mul_f32_e32 v90, v1, v86
	v_pk_mul_f32 v[82:83], v[90:91], v[82:83] op_sel_hi:[0,1]
	v_pk_mul_f32 v[68:69], v[90:91], v[68:69] op_sel_hi:[0,1]
	v_cvt_f16_f32_e32 v1, v68
	v_cvt_f16_f32_e32 v68, v69
	;; [unrolled: 1-line block ×4, first 2 shown]
	v_pk_mul_f32 v[84:85], v[90:91], v[84:85] op_sel_hi:[0,1]
	v_pk_mul_f32 v[70:71], v[90:91], v[70:71] op_sel_hi:[0,1]
	v_bfe_u32 v86, v0, 4, 2
	v_pack_b32_f16 v83, v69, v75
	v_cvt_f16_f32_e32 v69, v70
	v_cvt_f16_f32_e32 v70, v71
	;; [unrolled: 1-line block ×4, first 2 shown]
	v_pack_b32_f16 v82, v1, v68
	v_lshlrev_b32_e32 v1, 3, v86
	v_lshlrev_b32_e32 v68, 5, v76
	;; [unrolled: 1-line block ×3, first 2 shown]
	v_or3_b32 v75, v75, v68, v1
	v_pack_b32_f16 v70, v69, v70
	v_pack_b32_f16 v71, v71, v84
	ds_write2st64_b64 v75, v[82:83], v[70:71] offset1:1
	v_pk_mul_f32 v[70:71], v[90:91], v[78:79] op_sel_hi:[0,1]
	v_pk_mul_f32 v[78:79], v[90:91], v[80:81] op_sel_hi:[0,1]
	v_cvt_f16_f32_e32 v1, v78
	v_cvt_f16_f32_e32 v77, v70
	;; [unrolled: 1-line block ×3, first 2 shown]
	v_pk_mul_f32 v[66:67], v[90:91], v[66:67] op_sel_hi:[0,1]
	v_pk_mul_f32 v[70:71], v[90:91], v[72:73] op_sel_hi:[0,1]
	v_cvt_f16_f32_e32 v69, v79
	v_cvt_f16_f32_e32 v70, v70
	;; [unrolled: 1-line block ×5, first 2 shown]
	v_pack_b32_f16 v66, v1, v69
	v_pack_b32_f16 v67, v77, v78
	;; [unrolled: 1-line block ×4, first 2 shown]
	v_cmp_gt_u32_e32 vcc, 13, v0
	ds_write2st64_b64 v75, v[66:67], v[70:71] offset0:2 offset1:3
	s_and_saveexec_b64 s[6:7], vcc
	s_cbranch_execz .LBB296_15
; %bb.14:
	s_mov_b32 s41, 0
	v_mov_b32_e32 v77, 0
	v_lshl_add_u64 v[66:67], s[40:41], 0, v[76:77]
	v_mov_b32_e32 v1, s9
	v_mad_u64_u32 v[66:67], s[10:11], s2, v1, v[66:67]
	s_mul_i32 s3, s3, s9
	v_mov_b32_e32 v70, s26
	v_mov_b32_e32 v71, v77
	s_load_dwordx4 s[12:15], s[0:1], 0x58
	v_add_u32_e32 v1, s3, v67
	v_mad_u64_u32 v[66:67], s[10:11], v66, s8, v[70:71]
	v_mov_b32_e32 v70, v67
	v_mad_u64_u32 v[70:71], s[10:11], v1, s8, v[70:71]
	v_mov_b32_e32 v67, v70
	v_lshlrev_b64 v[66:67], 2, v[66:67]
	s_waitcnt lgkmcnt(0)
	v_lshl_add_u64 v[70:71], s[14:15], 0, v[66:67]
	v_lshl_add_u64 v[66:67], s[12:13], 0, v[66:67]
	global_store_dword v[70:71], v87, off
	global_store_dword v[66:67], v88, off
.LBB296_15:
	s_or_b64 exec, exec, s[6:7]
	v_lshl_or_b32 v1, v86, 9, v68
	s_waitcnt lgkmcnt(0)
	s_barrier
	ds_read_b128 v[70:73], v1
	ds_read_b128 v[66:69], v1 offset:16
	s_waitcnt vmcnt(15) lgkmcnt(1)
	v_mfma_f32_16x16x16_f16 v[78:81], v[30:31], v[70:71], 0
	s_mov_b32 s3, 0
	v_cmp_gt_u32_e32 vcc, 64, v0
	v_mfma_f32_16x16x16_f16 v[30:33], v[32:33], v[72:73], v[78:81]
	s_waitcnt vmcnt(14) lgkmcnt(0)
	v_mfma_f32_16x16x16_f16 v[30:33], v[26:27], v[66:67], v[30:33]
	v_mfma_f32_16x16x16_f16 v[26:29], v[28:29], v[68:69], v[30:33]
	s_nop 5
	ds_read_b128 v[30:33], v1 offset:2048
	ds_read_b128 v[78:81], v1 offset:2064
	s_waitcnt vmcnt(13) lgkmcnt(1)
	v_mfma_f32_16x16x16_f16 v[26:29], v[22:23], v[30:31], v[26:29]
	v_mfma_f32_16x16x16_f16 v[22:25], v[24:25], v[32:33], v[26:29]
	s_waitcnt vmcnt(12) lgkmcnt(0)
	v_mfma_f32_16x16x16_f16 v[22:25], v[18:19], v[78:79], v[22:25]
	v_mfma_f32_16x16x16_f16 v[18:21], v[20:21], v[80:81], v[22:25]
	s_nop 5
	ds_read_b128 v[22:25], v1 offset:4096
	ds_read_b128 v[26:29], v1 offset:4112
	s_waitcnt vmcnt(11) lgkmcnt(1)
	v_mfma_f32_16x16x16_f16 v[18:21], v[14:15], v[22:23], v[18:21]
	v_mfma_f32_16x16x16_f16 v[14:17], v[16:17], v[24:25], v[18:21]
	s_waitcnt vmcnt(10) lgkmcnt(0)
	v_mfma_f32_16x16x16_f16 v[14:17], v[10:11], v[26:27], v[14:17]
	v_mfma_f32_16x16x16_f16 v[10:13], v[12:13], v[28:29], v[14:17]
	s_nop 5
	ds_read_b128 v[14:17], v1 offset:6144
	ds_read_b128 v[18:21], v1 offset:6160
	s_waitcnt lgkmcnt(0)
	s_barrier
	s_waitcnt vmcnt(9)
	v_mfma_f32_16x16x16_f16 v[10:13], v[6:7], v[14:15], v[10:13]
	v_mfma_f32_16x16x16_f16 v[6:9], v[8:9], v[16:17], v[10:13]
	s_waitcnt vmcnt(8)
	v_mfma_f32_16x16x16_f16 v[6:9], v[2:3], v[18:19], v[6:9]
	v_mfma_f32_16x16x16_f16 v[2:5], v[4:5], v[20:21], v[6:9]
	;; [unrolled: 3-line block ×3, first 2 shown]
	s_nop 3
	v_cvt_f16_f32_e32 v1, v2
	v_cvt_f16_f32_e32 v10, v3
	;; [unrolled: 1-line block ×3, first 2 shown]
	s_waitcnt vmcnt(6)
	v_mfma_f32_16x16x16_f16 v[6:9], v[38:39], v[66:67], v[6:9]
	v_cvt_f16_f32_e32 v12, v5
	v_mfma_f32_16x16x16_f16 v[6:9], v[40:41], v[68:69], v[6:9]
	s_waitcnt vmcnt(5)
	v_mfma_f32_16x16x16_f16 v[6:9], v[42:43], v[30:31], v[6:9]
	v_mfma_f32_16x16x16_f16 v[6:9], v[44:45], v[32:33], v[6:9]
	s_waitcnt vmcnt(4)
	v_mfma_f32_16x16x16_f16 v[6:9], v[34:35], v[78:79], v[6:9]
	;; [unrolled: 3-line block ×6, first 2 shown]
	v_mfma_f32_16x16x16_f16 v[2:5], v[60:61], v[20:21], v[6:9]
	s_nop 6
	v_cvt_f16_f32_e32 v6, v2
	v_cvt_f16_f32_e32 v7, v3
	;; [unrolled: 1-line block ×4, first 2 shown]
	v_pack_b32_f16 v2, v1, v10
	v_pack_b32_f16 v3, v11, v12
	;; [unrolled: 1-line block ×4, first 2 shown]
	ds_write2st64_b64 v75, v[2:3], v[4:5] offset1:1
	s_waitcnt lgkmcnt(0)
	s_barrier
	s_and_saveexec_b64 s[6:7], vcc
	s_cbranch_execz .LBB296_18
; %bb.16:
	s_load_dwordx2 s[6:7], s[0:1], 0x68
	s_lshl_b32 s0, s8, 7
	s_mul_i32 s1, s9, s2
	v_lshlrev_b32_e32 v3, 6, v76
	s_mul_hi_u32 s9, s1, s0
	s_mul_i32 s8, s1, s0
	v_lshlrev_b32_e32 v2, 4, v0
	v_lshl_or_b32 v0, v0, 10, v3
	s_lshl_b64 s[8:9], s[8:9], 1
	v_lshlrev_b32_e32 v1, 5, v86
	v_and_b32_e32 v2, 16, v2
	v_and_b32_e32 v0, 0x1a00, v0
	s_waitcnt lgkmcnt(0)
	s_add_u32 s1, s6, s8
	v_or3_b32 v2, v0, v1, v2
	s_addc_u32 s6, s7, s9
	s_lshl_b32 s2, s26, 7
	ds_read_b128 v[4:7], v2 offset:256
	s_lshl_b64 s[2:3], s[2:3], 1
	ds_read_b128 v[8:11], v2 offset:128
	ds_read_b128 v[12:15], v2
	s_add_u32 s2, s1, s2
	s_addc_u32 s3, s6, s3
	v_mov_b32_e32 v75, 0
	v_add_u32_e32 v3, s40, v86
	v_lshl_add_u64 v[0:1], s[2:3], 0, v[74:75]
	v_mad_u64_u32 v[16:17], s[2:3], v3, s0, 0
	v_lshl_add_u64 v[16:17], v[16:17], 1, v[0:1]
	s_waitcnt lgkmcnt(0)
	global_store_dwordx4 v[16:17], v[12:15], off
	s_nop 1
	v_add_u32_e32 v12, 4, v3
	v_mad_u64_u32 v[12:13], s[2:3], v12, s0, 0
	v_lshl_add_u64 v[12:13], v[12:13], 1, v[0:1]
	v_add_u32_e32 v3, 8, v3
	global_store_dwordx4 v[12:13], v[8:11], off
	s_nop 1
	v_mad_u64_u32 v[8:9], s[2:3], v3, s0, 0
	v_lshl_add_u64 v[8:9], v[8:9], 1, v[0:1]
	global_store_dwordx4 v[8:9], v[4:7], off
	s_and_b64 exec, exec, s[4:5]
	s_cbranch_execz .LBB296_18
; %bb.17:
	ds_read_b128 v[2:5], v2 offset:384
	v_add3_u32 v6, s40, v86, 12
	v_mad_u64_u32 v[6:7], s[0:1], v6, s0, 0
	v_lshl_add_u64 v[0:1], v[6:7], 1, v[0:1]
	s_waitcnt lgkmcnt(0)
	global_store_dwordx4 v[0:1], v[2:5], off
.LBB296_18:
	s_endpgm
	.section	.rodata,"a",@progbits
	.p2align	6, 0x0
	.amdhsa_kernel _Z39paged_attention_ll4mi_QKV_mfma16_kernelIDF16_DF16_LN4vllm18Fp8KVCacheDataTypeE0EDF16_Li16ELi128ELi256ELb0ELi13EEvPKT_PKT0_S7_ifPKiS9_S9_iPKfiiiPfSC_PS2_PT2_iSB_SB_
		.amdhsa_group_segment_fixed_size 8192
		.amdhsa_private_segment_fixed_size 0
		.amdhsa_kernarg_size 400
		.amdhsa_user_sgpr_count 2
		.amdhsa_user_sgpr_dispatch_ptr 0
		.amdhsa_user_sgpr_queue_ptr 0
		.amdhsa_user_sgpr_kernarg_segment_ptr 1
		.amdhsa_user_sgpr_dispatch_id 0
		.amdhsa_user_sgpr_kernarg_preload_length 0
		.amdhsa_user_sgpr_kernarg_preload_offset 0
		.amdhsa_user_sgpr_private_segment_size 0
		.amdhsa_uses_dynamic_stack 0
		.amdhsa_enable_private_segment 0
		.amdhsa_system_sgpr_workgroup_id_x 1
		.amdhsa_system_sgpr_workgroup_id_y 1
		.amdhsa_system_sgpr_workgroup_id_z 1
		.amdhsa_system_sgpr_workgroup_info 0
		.amdhsa_system_vgpr_workitem_id 0
		.amdhsa_next_free_vgpr 96
		.amdhsa_next_free_sgpr 42
		.amdhsa_accum_offset 96
		.amdhsa_reserve_vcc 1
		.amdhsa_float_round_mode_32 0
		.amdhsa_float_round_mode_16_64 0
		.amdhsa_float_denorm_mode_32 3
		.amdhsa_float_denorm_mode_16_64 3
		.amdhsa_dx10_clamp 1
		.amdhsa_ieee_mode 1
		.amdhsa_fp16_overflow 0
		.amdhsa_tg_split 0
		.amdhsa_exception_fp_ieee_invalid_op 0
		.amdhsa_exception_fp_denorm_src 0
		.amdhsa_exception_fp_ieee_div_zero 0
		.amdhsa_exception_fp_ieee_overflow 0
		.amdhsa_exception_fp_ieee_underflow 0
		.amdhsa_exception_fp_ieee_inexact 0
		.amdhsa_exception_int_div_zero 0
	.end_amdhsa_kernel
	.section	.text._Z39paged_attention_ll4mi_QKV_mfma16_kernelIDF16_DF16_LN4vllm18Fp8KVCacheDataTypeE0EDF16_Li16ELi128ELi256ELb0ELi13EEvPKT_PKT0_S7_ifPKiS9_S9_iPKfiiiPfSC_PS2_PT2_iSB_SB_,"axG",@progbits,_Z39paged_attention_ll4mi_QKV_mfma16_kernelIDF16_DF16_LN4vllm18Fp8KVCacheDataTypeE0EDF16_Li16ELi128ELi256ELb0ELi13EEvPKT_PKT0_S7_ifPKiS9_S9_iPKfiiiPfSC_PS2_PT2_iSB_SB_,comdat
.Lfunc_end296:
	.size	_Z39paged_attention_ll4mi_QKV_mfma16_kernelIDF16_DF16_LN4vllm18Fp8KVCacheDataTypeE0EDF16_Li16ELi128ELi256ELb0ELi13EEvPKT_PKT0_S7_ifPKiS9_S9_iPKfiiiPfSC_PS2_PT2_iSB_SB_, .Lfunc_end296-_Z39paged_attention_ll4mi_QKV_mfma16_kernelIDF16_DF16_LN4vllm18Fp8KVCacheDataTypeE0EDF16_Li16ELi128ELi256ELb0ELi13EEvPKT_PKT0_S7_ifPKiS9_S9_iPKfiiiPfSC_PS2_PT2_iSB_SB_
                                        ; -- End function
	.section	.AMDGPU.csdata,"",@progbits
; Kernel info:
; codeLenInByte = 4460
; NumSgprs: 48
; NumVgprs: 96
; NumAgprs: 0
; TotalNumVgprs: 96
; ScratchSize: 0
; MemoryBound: 0
; FloatMode: 240
; IeeeMode: 1
; LDSByteSize: 8192 bytes/workgroup (compile time only)
; SGPRBlocks: 5
; VGPRBlocks: 11
; NumSGPRsForWavesPerEU: 48
; NumVGPRsForWavesPerEU: 96
; AccumOffset: 96
; Occupancy: 5
; WaveLimiterHint : 1
; COMPUTE_PGM_RSRC2:SCRATCH_EN: 0
; COMPUTE_PGM_RSRC2:USER_SGPR: 2
; COMPUTE_PGM_RSRC2:TRAP_HANDLER: 0
; COMPUTE_PGM_RSRC2:TGID_X_EN: 1
; COMPUTE_PGM_RSRC2:TGID_Y_EN: 1
; COMPUTE_PGM_RSRC2:TGID_Z_EN: 1
; COMPUTE_PGM_RSRC2:TIDIG_COMP_CNT: 0
; COMPUTE_PGM_RSRC3_GFX90A:ACCUM_OFFSET: 23
; COMPUTE_PGM_RSRC3_GFX90A:TG_SPLIT: 0
	.section	.text._Z39paged_attention_ll4mi_QKV_mfma16_kernelIDF16_DF16_LN4vllm18Fp8KVCacheDataTypeE0EDF16_Li16ELi128ELi256ELb0ELi14EEvPKT_PKT0_S7_ifPKiS9_S9_iPKfiiiPfSC_PS2_PT2_iSB_SB_,"axG",@progbits,_Z39paged_attention_ll4mi_QKV_mfma16_kernelIDF16_DF16_LN4vllm18Fp8KVCacheDataTypeE0EDF16_Li16ELi128ELi256ELb0ELi14EEvPKT_PKT0_S7_ifPKiS9_S9_iPKfiiiPfSC_PS2_PT2_iSB_SB_,comdat
	.protected	_Z39paged_attention_ll4mi_QKV_mfma16_kernelIDF16_DF16_LN4vllm18Fp8KVCacheDataTypeE0EDF16_Li16ELi128ELi256ELb0ELi14EEvPKT_PKT0_S7_ifPKiS9_S9_iPKfiiiPfSC_PS2_PT2_iSB_SB_ ; -- Begin function _Z39paged_attention_ll4mi_QKV_mfma16_kernelIDF16_DF16_LN4vllm18Fp8KVCacheDataTypeE0EDF16_Li16ELi128ELi256ELb0ELi14EEvPKT_PKT0_S7_ifPKiS9_S9_iPKfiiiPfSC_PS2_PT2_iSB_SB_
	.globl	_Z39paged_attention_ll4mi_QKV_mfma16_kernelIDF16_DF16_LN4vllm18Fp8KVCacheDataTypeE0EDF16_Li16ELi128ELi256ELb0ELi14EEvPKT_PKT0_S7_ifPKiS9_S9_iPKfiiiPfSC_PS2_PT2_iSB_SB_
	.p2align	8
	.type	_Z39paged_attention_ll4mi_QKV_mfma16_kernelIDF16_DF16_LN4vllm18Fp8KVCacheDataTypeE0EDF16_Li16ELi128ELi256ELb0ELi14EEvPKT_PKT0_S7_ifPKiS9_S9_iPKfiiiPfSC_PS2_PT2_iSB_SB_,@function
_Z39paged_attention_ll4mi_QKV_mfma16_kernelIDF16_DF16_LN4vllm18Fp8KVCacheDataTypeE0EDF16_Li16ELi128ELi256ELb0ELi14EEvPKT_PKT0_S7_ifPKiS9_S9_iPKfiiiPfSC_PS2_PT2_iSB_SB_: ; @_Z39paged_attention_ll4mi_QKV_mfma16_kernelIDF16_DF16_LN4vllm18Fp8KVCacheDataTypeE0EDF16_Li16ELi128ELi256ELb0ELi14EEvPKT_PKT0_S7_ifPKiS9_S9_iPKfiiiPfSC_PS2_PT2_iSB_SB_
; %bb.0:
	s_load_dwordx2 s[8:9], s[0:1], 0x30
	s_mov_b32 s26, s3
	s_mov_b64 s[6:7], 0
	s_waitcnt lgkmcnt(0)
	s_cmp_lg_u64 s[8:9], 0
	s_cselect_b64 s[10:11], -1, 0
	s_and_b64 vcc, exec, s[10:11]
	s_cbranch_vccz .LBB297_7
; %bb.1:
	s_add_i32 s12, s2, 1
	s_mov_b32 s13, 0
	s_lshl_b64 s[14:15], s[12:13], 2
	s_add_u32 s14, s8, s14
	s_mov_b32 s3, s13
	s_addc_u32 s15, s9, s15
	s_lshl_b64 s[12:13], s[2:3], 2
	s_add_u32 s12, s8, s12
	s_addc_u32 s13, s9, s13
	s_load_dword s5, s[14:15], 0x0
	s_load_dword s16, s[12:13], 0x0
	s_waitcnt lgkmcnt(0)
	s_sub_i32 s5, s5, s16
	s_cmp_eq_u32 s5, 1
	s_cselect_b64 s[12:13], -1, 0
	s_andn2_b64 vcc, exec, s[6:7]
	s_cbranch_vccnz .LBB297_3
.LBB297_2:
	s_mov_b32 s3, 0
	s_mov_b64 s[12:13], -1
.LBB297_3:
	s_andn2_b64 vcc, exec, s[12:13]
	s_cbranch_vccnz .LBB297_18
; %bb.4:
	s_load_dwordx2 s[6:7], s[0:1], 0x28
	s_lshl_b64 s[16:17], s[2:3], 2
	s_waitcnt lgkmcnt(0)
	s_add_u32 s6, s6, s16
	s_addc_u32 s7, s7, s17
	s_load_dword s33, s[6:7], 0x0
	s_lshl_b32 s18, s26, 8
	s_waitcnt lgkmcnt(0)
	s_cmp_ge_i32 s18, s33
	s_cbranch_scc1 .LBB297_18
; %bb.5:
	s_load_dwordx2 s[6:7], s[0:1], 0x20
	s_load_dword s5, s[0:1], 0x38
	s_add_i32 s12, s33, 15
	s_ashr_i32 s13, s12, 31
	v_and_b32_e32 v1, 0xcf, v0
	s_lshr_b32 s13, s13, 28
	v_add_u32_e32 v1, s18, v1
	s_add_i32 s12, s12, s13
	v_ashrrev_i32_e32 v2, 31, v1
	s_ashr_i32 s19, s12, 4
	v_lshrrev_b32_e32 v4, 28, v2
	s_add_i32 s19, s19, -1
	s_waitcnt lgkmcnt(0)
	s_mul_i32 s12, s2, s5
	s_mov_b32 s13, 0
	v_add_u32_e32 v2, v1, v4
	s_lshl_b64 s[12:13], s[12:13], 2
	v_ashrrev_i32_e32 v2, 4, v2
	v_mov_b32_e32 v5, s19
	v_cmp_gt_i32_e32 vcc, s33, v1
	s_add_u32 s6, s6, s12
	s_addc_u32 s7, s7, s13
	v_cndmask_b32_e32 v2, v5, v2, vcc
	v_ashrrev_i32_e32 v3, 31, v2
	v_lshl_add_u64 v[6:7], v[2:3], 2, s[6:7]
	v_or_b32_e32 v2, 16, v1
	v_add_u32_e32 v3, v2, v4
	v_ashrrev_i32_e32 v3, 4, v3
	v_cmp_gt_i32_e32 vcc, s33, v2
	s_load_dwordx4 s[12:15], s[0:1], 0x8
	s_nop 0
	v_cndmask_b32_e32 v2, v5, v3, vcc
	v_ashrrev_i32_e32 v3, 31, v2
	v_lshl_add_u64 v[8:9], v[2:3], 2, s[6:7]
	v_or_b32_e32 v2, 32, v1
	v_add_u32_e32 v3, v2, v4
	v_ashrrev_i32_e32 v3, 4, v3
	v_cmp_gt_i32_e32 vcc, s33, v2
	v_or_b32_e32 v1, 48, v1
	s_nop 0
	v_cndmask_b32_e32 v2, v5, v3, vcc
	v_ashrrev_i32_e32 v3, 31, v2
	v_lshl_add_u64 v[10:11], v[2:3], 2, s[6:7]
	v_add_u32_e32 v2, v1, v4
	v_ashrrev_i32_e32 v2, 4, v2
	v_cmp_gt_i32_e32 vcc, s33, v1
	s_nop 1
	v_cndmask_b32_e32 v2, v5, v2, vcc
	v_ashrrev_i32_e32 v3, 31, v2
	v_lshl_add_u64 v[12:13], v[2:3], 2, s[6:7]
	global_load_dword v4, v[6:7], off
	global_load_dword v3, v[8:9], off
	global_load_dword v2, v[10:11], off
	global_load_dword v40, v[12:13], off
	s_andn2_b64 vcc, exec, s[10:11]
	s_cbranch_vccnz .LBB297_8
; %bb.6:
	s_add_u32 s8, s8, s16
	s_addc_u32 s9, s9, s17
	s_load_dword s5, s[8:9], 0x0
	s_branch .LBB297_9
.LBB297_7:
	s_mov_b64 s[12:13], 0
	s_branch .LBB297_2
.LBB297_8:
	s_mov_b32 s5, s2
.LBB297_9:
	s_load_dwordx4 s[8:11], s[0:1], 0x48
	v_lshrrev_b32_e32 v77, 6, v0
	v_bfe_u32 v86, v0, 4, 2
	v_and_b32_e32 v76, 15, v0
	v_lshl_or_b32 v1, v77, 2, v86
	v_lshlrev_b32_e32 v5, 3, v76
	v_and_b32_e32 v87, 63, v0
	s_mul_i32 s40, s4, 14
	v_cmp_gt_u32_e32 vcc, 14, v1
	v_lshlrev_b32_e32 v74, 1, v5
	s_and_saveexec_b64 s[16:17], vcc
	s_cbranch_execz .LBB297_11
; %bb.10:
	s_load_dwordx2 s[20:21], s[0:1], 0x0
	s_waitcnt lgkmcnt(0)
	s_ashr_i32 s11, s8, 31
	s_mul_hi_u32 s22, s5, s8
	s_mul_i32 s11, s5, s11
	s_add_i32 s23, s22, s11
	s_mul_i32 s22, s5, s8
	s_lshl_b64 s[22:23], s[22:23], 1
	s_add_u32 s20, s20, s22
	v_add_lshl_u32 v6, v1, s40, 7
	s_addc_u32 s21, s21, s23
	v_ashrrev_i32_e32 v7, 31, v6
	v_lshl_add_u64 v[6:7], v[6:7], 1, s[20:21]
	v_mov_b32_e32 v75, 0
	v_lshl_add_u64 v[6:7], v[6:7], 0, v[74:75]
	global_load_dwordx4 v[6:9], v[6:7], off
	v_and_b32_e32 v5, 3, v0
	v_lshlrev_b32_e32 v10, 9, v76
	v_lshlrev_b32_e32 v1, 5, v1
	;; [unrolled: 1-line block ×3, first 2 shown]
	v_and_b32_e32 v10, 0x1800, v10
	v_or3_b32 v1, v10, v5, v1
	s_waitcnt vmcnt(0)
	ds_write_b128 v1, v[6:9]
.LBB297_11:
	s_or_b64 exec, exec, s[16:17]
	s_waitcnt lgkmcnt(0)
	s_mul_i32 s4, s4, s10
	s_mov_b32 s5, 0
	s_lshl_b64 s[4:5], s[4:5], 1
	s_add_u32 s10, s12, s4
	v_lshlrev_b32_e32 v1, 4, v0
	s_addc_u32 s11, s13, s5
	v_and_b32_e32 v34, 0xf0, v1
	v_mov_b32_e32 v35, 0
	v_lshl_add_u64 v[30:31], s[10:11], 0, v[34:35]
	s_waitcnt vmcnt(3)
	v_mad_i64_i32 v[4:5], s[10:11], v4, s9, 0
	v_lshl_add_u64 v[4:5], v[4:5], 1, v[30:31]
	v_and_b32_e32 v34, 0x300, v1
	v_lshl_add_u64 v[32:33], v[4:5], 0, v[34:35]
	s_load_dword s27, s[0:1], 0x98
	s_load_dword s8, s[0:1], 0x1c
	s_waitcnt lgkmcnt(0)
	s_barrier
	global_load_dwordx4 v[6:9], v[32:33], off
	global_load_dwordx4 v[18:21], v[32:33], off offset:1024
	s_waitcnt vmcnt(4)
	v_mad_i64_i32 v[4:5], s[10:11], v3, s9, 0
	s_waitcnt vmcnt(3)
	v_mad_i64_i32 v[2:3], s[10:11], v2, s9, 0
	v_lshl_add_u64 v[4:5], v[4:5], 1, v[30:31]
	v_lshl_add_u64 v[2:3], v[2:3], 1, v[30:31]
	;; [unrolled: 1-line block ×4, first 2 shown]
	global_load_dwordx4 v[14:17], v[36:37], off
	global_load_dwordx4 v[22:25], v[36:37], off offset:1024
	global_load_dwordx4 v[26:29], v[38:39], off
	global_load_dwordx4 v[46:49], v[38:39], off offset:1024
	v_add_u32_e32 v2, -14, v76
	v_cmp_gt_u32_e32 vcc, 14, v76
	global_load_dwordx4 v[54:57], v[32:33], off offset:2048
	global_load_dwordx4 v[62:65], v[36:37], off offset:2048
	v_cndmask_b32_e32 v2, v2, v76, vcc
	v_lshlrev_b32_e32 v2, 5, v2
	v_lshl_add_u32 v41, v86, 9, v2
	ds_read_b128 v[10:13], v41
	ds_read_b128 v[2:5], v41 offset:2048
	v_mov_b32_e32 v70, s19
	s_add_u32 s4, s14, s4
	s_addc_u32 s5, s15, s5
	s_mov_b32 s41, 0xff7fffff
	s_waitcnt vmcnt(7) lgkmcnt(1)
	v_mfma_f32_16x16x16_f16 v[42:45], v[6:7], v[10:11], 0
	v_mfma_f32_16x16x16_f16 v[6:9], v[8:9], v[12:13], v[42:45]
	s_nop 5
	global_load_dwordx4 v[42:45], v[38:39], off offset:2048
	s_waitcnt vmcnt(6)
	v_mfma_f32_16x16x16_f16 v[50:53], v[14:15], v[10:11], 0
	s_waitcnt vmcnt(4)
	v_mfma_f32_16x16x16_f16 v[58:61], v[26:27], v[10:11], 0
	v_mfma_f32_16x16x16_f16 v[14:17], v[16:17], v[12:13], v[50:53]
	;; [unrolled: 1-line block ×3, first 2 shown]
	s_nop 2
	global_load_dwordx4 v[50:53], v[32:33], off offset:3072
	v_mad_i64_i32 v[32:33], s[10:11], v40, s9, 0
	s_waitcnt lgkmcnt(0)
	v_mfma_f32_16x16x16_f16 v[6:9], v[18:19], v[2:3], v[6:9]
	v_and_or_b32 v40, v0, 48, s18
	v_ashrrev_i32_e32 v58, 4, v40
	v_cmp_gt_i32_e32 vcc, s33, v40
	v_mfma_f32_16x16x16_f16 v[14:17], v[22:23], v[2:3], v[14:17]
	v_or_b32_e32 v66, 64, v40
	v_cndmask_b32_e32 v22, v70, v58, vcc
	v_ashrrev_i32_e32 v23, 31, v22
	s_waitcnt vmcnt(4)
	v_mfma_f32_16x16x16_f16 v[26:29], v[46:47], v[2:3], v[26:29]
	v_or_b32_e32 v71, 0x80, v40
	v_or_b32_e32 v72, 0xc0, v40
	v_ashrrev_i32_e32 v40, 4, v66
	v_mfma_f32_16x16x16_f16 v[6:9], v[20:21], v[4:5], v[6:9]
	global_load_dwordx4 v[18:21], v[38:39], off offset:3072
	v_cmp_gt_i32_e32 vcc, s33, v66
	v_lshl_add_u64 v[22:23], v[22:23], 2, s[6:7]
	global_load_dwordx4 v[58:61], v[36:37], off offset:3072
	v_cndmask_b32_e32 v36, v70, v40, vcc
	v_mfma_f32_16x16x16_f16 v[14:17], v[24:25], v[4:5], v[14:17]
	global_load_dword v78, v[22:23], off
	ds_read_b128 v[66:69], v41 offset:4096
	v_ashrrev_i32_e32 v37, 31, v36
	v_mfma_f32_16x16x16_f16 v[22:25], v[48:49], v[4:5], v[26:29]
	v_ashrrev_i32_e32 v73, 4, v71
	v_cmp_gt_i32_e32 vcc, s33, v71
	v_ashrrev_i32_e32 v75, 4, v72
	v_lshl_add_u64 v[26:27], v[32:33], 1, v[30:31]
	v_lshl_add_u64 v[26:27], v[26:27], 0, v[34:35]
	;; [unrolled: 1-line block ×3, first 2 shown]
	global_load_dwordx4 v[46:49], v[26:27], off
	global_load_dword v36, v[28:29], off
	s_waitcnt vmcnt(8) lgkmcnt(0)
	v_mfma_f32_16x16x16_f16 v[6:9], v[54:55], v[66:67], v[6:9]
	v_cndmask_b32_e32 v28, v70, v73, vcc
	v_ashrrev_i32_e32 v29, 31, v28
	v_lshl_add_u64 v[28:29], v[28:29], 2, s[6:7]
	v_mfma_f32_16x16x16_f16 v[6:9], v[56:57], v[68:69], v[6:9]
	global_load_dwordx4 v[54:57], v[26:27], off offset:1024
	v_cmp_gt_i32_e32 vcc, s33, v72
	global_load_dword v82, v[28:29], off
	ds_read_b128 v[38:41], v41 offset:6144
	v_cndmask_b32_e32 v28, v70, v75, vcc
	v_ashrrev_i32_e32 v29, 31, v28
	v_lshl_add_u64 v[28:29], v[28:29], 2, s[6:7]
	global_load_dword v83, v[28:29], off
	s_waitcnt vmcnt(10)
	v_mfma_f32_16x16x16_f16 v[14:17], v[62:63], v[66:67], v[14:17]
	v_lshl_or_b32 v75, v77, 4, v76
	v_lshlrev_b32_e32 v34, 5, v75
	v_lshl_add_u64 v[62:63], s[4:5], 0, v[34:35]
	v_mfma_f32_16x16x16_f16 v[14:17], v[64:65], v[68:69], v[14:17]
	v_or_b32_e32 v34, 0x800, v34
	global_load_dwordx4 v[70:73], v[26:27], off offset:3072
	s_waitcnt vmcnt(10)
	v_mfma_f32_16x16x16_f16 v[22:25], v[42:43], v[66:67], v[22:25]
	v_mfma_f32_16x16x16_f16 v[22:25], v[44:45], v[68:69], v[22:25]
	global_load_dwordx4 v[42:45], v[26:27], off offset:2048
	s_waitcnt vmcnt(10) lgkmcnt(0)
	v_mfma_f32_16x16x16_f16 v[6:9], v[50:51], v[38:39], v[6:9]
	s_waitcnt vmcnt(9)
	v_mfma_f32_16x16x16_f16 v[22:25], v[18:19], v[38:39], v[22:25]
	s_waitcnt vmcnt(7)
	v_mad_i64_i32 v[18:19], s[6:7], v78, s9, 0
	v_lshlrev_b64 v[64:65], 1, v[18:19]
	v_mfma_f32_16x16x16_f16 v[78:81], v[52:53], v[40:41], v[6:9]
	s_nop 2
	v_lshl_add_u64 v[6:7], v[62:63], 0, v[64:65]
	global_load_dwordx4 v[30:33], v[6:7], off
	global_load_dwordx4 v[26:29], v[6:7], off offset:16
	v_mfma_f32_16x16x16_f16 v[92:95], v[20:21], v[40:41], v[22:25]
	s_waitcnt vmcnt(7)
	v_mad_i64_i32 v[6:7], s[6:7], v36, s9, 0
	v_lshlrev_b64 v[36:37], 1, v[6:7]
	v_lshl_add_u64 v[6:7], v[62:63], 0, v[36:37]
	global_load_dwordx4 v[22:25], v[6:7], off
	global_load_dwordx4 v[18:21], v[6:7], off offset:16
	v_mfma_f32_16x16x16_f16 v[6:9], v[46:47], v[10:11], 0
	s_waitcnt vmcnt(7)
	v_mad_i64_i32 v[10:11], s[6:7], v82, s9, 0
	v_mfma_f32_16x16x16_f16 v[6:9], v[48:49], v[12:13], v[6:9]
	v_lshlrev_b64 v[50:51], 1, v[10:11]
	v_lshl_add_u64 v[10:11], v[62:63], 0, v[50:51]
	v_mfma_f32_16x16x16_f16 v[6:9], v[54:55], v[2:3], v[6:9]
	s_waitcnt vmcnt(6)
	v_mad_i64_i32 v[2:3], s[6:7], v83, s9, 0
	v_pk_mul_f32 v[82:83], s[8:9], v[80:81] op_sel_hi:[0,1]
	v_mfma_f32_16x16x16_f16 v[46:49], v[56:57], v[4:5], v[6:9]
	v_pk_mul_f32 v[80:81], s[8:9], v[92:93] op_sel_hi:[0,1]
	v_mfma_f32_16x16x16_f16 v[14:17], v[58:59], v[38:39], v[14:17]
	v_lshlrev_b64 v[58:59], 1, v[2:3]
	v_lshl_add_u64 v[2:3], v[62:63], 0, v[58:59]
	v_lshl_add_u64 v[62:63], s[4:5], 0, v[34:35]
	v_mfma_f32_16x16x16_f16 v[88:91], v[60:61], v[40:41], v[14:17]
	v_pk_mul_f32 v[60:61], s[8:9], v[78:79] op_sel_hi:[0,1]
	v_pk_mul_f32 v[78:79], s[8:9], v[94:95] op_sel_hi:[0,1]
	v_lshl_add_u64 v[34:35], v[62:63], 0, v[64:65]
	s_waitcnt vmcnt(4)
	v_mfma_f32_16x16x16_f16 v[46:49], v[42:43], v[66:67], v[46:49]
	s_nop 1
	v_pk_mul_f32 v[84:85], s[8:9], v[90:91] op_sel_hi:[0,1]
	global_load_dwordx4 v[14:17], v[10:11], off
	s_nop 0
	global_load_dwordx4 v[10:13], v[10:11], off offset:16
	s_nop 0
	global_load_dwordx4 v[6:9], v[2:3], off
	s_nop 0
	global_load_dwordx4 v[2:5], v[2:3], off offset:16
	v_mfma_f32_16x16x16_f16 v[42:45], v[44:45], v[68:69], v[46:49]
	v_lshl_add_u64 v[50:51], v[62:63], 0, v[50:51]
	v_lshl_add_u64 v[58:59], v[62:63], 0, v[58:59]
	v_mfma_f32_16x16x16_f16 v[42:45], v[70:71], v[38:39], v[42:45]
	v_pk_mul_f32 v[70:71], s[8:9], v[88:89] op_sel_hi:[0,1]
	v_mfma_f32_16x16x16_f16 v[38:41], v[72:73], v[40:41], v[42:45]
	s_nop 6
	v_pk_mul_f32 v[72:73], s[8:9], v[38:39] op_sel_hi:[0,1]
	v_and_b32_e32 v38, 0xc0, v0
	v_add_u32_e32 v38, s18, v38
	v_lshl_or_b32 v38, v86, 2, v38
	v_pk_mul_f32 v[66:67], s[8:9], v[40:41] op_sel_hi:[0,1]
	v_or_b32_e32 v41, 1, v38
	v_mov_b32_e32 v39, 0xff7fffff
	v_cmp_gt_i32_e64 s[28:29], s33, v38
	v_cmp_gt_i32_e64 s[30:31], s33, v41
	v_or_b32_e32 v42, 3, v38
	v_cndmask_b32_e64 v40, v39, v60, s[28:29]
	v_cndmask_b32_e64 v41, v39, v61, s[30:31]
	v_max3_f32 v40, v40, s41, v41
	v_or_b32_e32 v41, 2, v38
	v_cmp_gt_i32_e64 s[34:35], s33, v41
	v_cmp_gt_i32_e64 s[36:37], s33, v42
	s_nop 0
	v_cndmask_b32_e64 v41, v39, v82, s[34:35]
	v_cndmask_b32_e64 v42, v39, v83, s[36:37]
	v_max3_f32 v40, v40, v41, v42
	v_or_b32_e32 v41, 16, v38
	v_or_b32_e32 v42, 17, v38
	v_cmp_gt_i32_e64 s[22:23], s33, v41
	v_cmp_gt_i32_e64 s[24:25], s33, v42
	s_nop 0
	v_cndmask_b32_e64 v41, v39, v70, s[22:23]
	v_cndmask_b32_e64 v42, v39, v71, s[24:25]
	v_max3_f32 v40, v40, v41, v42
	v_or_b32_e32 v41, 18, v38
	;; [unrolled: 8-line block ×6, first 2 shown]
	v_or_b32_e32 v38, 51, v38
	v_cmp_gt_i32_e32 vcc, s33, v41
	v_cmp_gt_i32_e64 s[4:5], s33, v38
	s_nop 0
	v_cndmask_b32_e32 v41, v39, v66, vcc
	v_cndmask_b32_e64 v38, v39, v67, s[4:5]
	v_max3_f32 v52, v40, v41, v38
	v_mbcnt_lo_u32_b32 v38, -1, 0
	v_mbcnt_hi_u32_b32 v53, -1, v38
	v_and_b32_e32 v38, 64, v53
	v_add_u32_e32 v54, 64, v38
	v_xor_b32_e32 v38, 32, v53
	v_cmp_lt_i32_e64 s[38:39], v38, v54
	s_nop 1
	v_cndmask_b32_e64 v38, v53, v38, s[38:39]
	v_lshlrev_b32_e32 v89, 2, v38
	ds_bpermute_b32 v55, v89, v52
	global_load_dwordx4 v[46:49], v[34:35], off
	global_load_dwordx4 v[38:41], v[34:35], off offset:16
	v_lshl_add_u64 v[34:35], v[62:63], 0, v[36:37]
	global_load_dwordx4 v[42:45], v[34:35], off
	s_nop 0
	global_load_dwordx4 v[34:37], v[34:35], off offset:16
	s_waitcnt lgkmcnt(0)
	v_max_f32_e32 v55, v55, v55
	v_max_f32_e32 v64, v52, v55
	v_xor_b32_e32 v52, 16, v53
	v_cmp_lt_i32_e64 s[38:39], v52, v54
	s_nop 1
	v_cndmask_b32_e64 v52, v53, v52, s[38:39]
	v_lshlrev_b32_e32 v90, 2, v52
	ds_bpermute_b32 v65, v90, v64
	global_load_dwordx4 v[54:57], v[50:51], off
	s_nop 0
	global_load_dwordx4 v[50:53], v[50:51], off offset:16
	s_waitcnt lgkmcnt(0)
	v_max_f32_e32 v62, v65, v65
	v_max_f32_e32 v88, v64, v62
	v_sub_f32_e32 v60, v60, v88
	v_mul_f32_e32 v60, 0x3fb8aa3b, v60
	v_exp_f32_e32 v68, v60
	v_sub_f32_e32 v60, v61, v88
	v_mul_f32_e32 v60, 0x3fb8aa3b, v60
	v_exp_f32_e32 v69, v60
	global_load_dwordx4 v[62:65], v[58:59], off
	s_nop 0
	global_load_dwordx4 v[58:61], v[58:59], off offset:16
	v_sub_f32_e32 v82, v82, v88
	v_mul_f32_e32 v82, 0x3fb8aa3b, v82
	v_sub_f32_e32 v83, v83, v88
	v_exp_f32_e32 v82, v82
	v_mul_f32_e32 v83, 0x3fb8aa3b, v83
	v_sub_f32_e32 v70, v70, v88
	v_exp_f32_e32 v83, v83
	v_mul_f32_e32 v70, 0x3fb8aa3b, v70
	v_sub_f32_e32 v71, v71, v88
	v_cndmask_b32_e64 v68, 0, v68, s[28:29]
	v_exp_f32_e32 v70, v70
	v_mul_f32_e32 v71, 0x3fb8aa3b, v71
	v_sub_f32_e32 v84, v84, v88
	v_add_f32_e32 v91, 0, v68
	v_cndmask_b32_e64 v69, 0, v69, s[30:31]
	v_exp_f32_e32 v71, v71
	v_mul_f32_e32 v84, 0x3fb8aa3b, v84
	v_sub_f32_e32 v85, v85, v88
	v_add_f32_e32 v91, v91, v69
	;; [unrolled: 5-line block ×10, first 2 shown]
	v_cndmask_b32_e64 v78, 0, v78, s[10:11]
	v_exp_f32_e32 v66, v66
	v_mul_f32_e32 v67, 0x3fb8aa3b, v67
	v_add_f32_e32 v91, v91, v78
	v_cndmask_b32_e64 v79, 0, v79, s[12:13]
	v_exp_f32_e32 v67, v67
	v_add_f32_e32 v91, v91, v79
	v_cndmask_b32_e64 v72, 0, v72, s[6:7]
	v_add_f32_e32 v91, v91, v72
	v_cndmask_b32_e64 v73, 0, v73, s[8:9]
	v_add_f32_e32 v91, v91, v73
	v_cndmask_b32_e32 v66, 0, v66, vcc
	v_add_f32_e32 v91, v91, v66
	v_cndmask_b32_e64 v67, 0, v67, s[4:5]
	v_add_f32_e32 v91, v91, v67
	ds_bpermute_b32 v89, v89, v91
	v_cmp_gt_u32_e32 vcc, 16, v87
	s_waitcnt lgkmcnt(0)
	s_barrier
	v_add_f32_e32 v89, v91, v89
	ds_bpermute_b32 v90, v90, v89
	s_and_saveexec_b64 s[4:5], vcc
	s_cbranch_execz .LBB297_13
; %bb.12:
	s_waitcnt lgkmcnt(0)
	v_add_f32_e32 v87, v89, v90
	v_lshlrev_b32_e32 v75, 2, v75
	ds_write2st64_b32 v75, v88, v87 offset1:1
.LBB297_13:
	s_or_b64 exec, exec, s[4:5]
	v_lshlrev_b32_e32 v75, 2, v76
	s_load_dword s6, s[0:1], 0x94
	s_waitcnt lgkmcnt(0)
	s_barrier
	ds_read2_b32 v[88:89], v75 offset1:16
	ds_read2_b32 v[90:91], v75 offset0:32 offset1:48
	ds_read2_b32 v[92:93], v75 offset0:64 offset1:80
	;; [unrolled: 1-line block ×3, first 2 shown]
	s_waitcnt lgkmcnt(0)
	v_max3_f32 v87, v88, s41, v89
	v_max3_f32 v87, v87, v90, v91
	v_sub_f32_e32 v88, v88, v87
	v_mul_f32_e32 v88, 0x3fb8aa3b, v88
	v_exp_f32_e32 v1, v88
	v_sub_f32_e32 v88, v89, v87
	v_mul_f32_e32 v88, 0x3fb8aa3b, v88
	v_exp_f32_e32 v89, v88
	v_sub_f32_e32 v88, v90, v87
	v_mul_f32_e32 v88, 0x3fb8aa3b, v88
	v_sub_f32_e32 v75, v91, v87
	v_exp_f32_e32 v90, v88
	v_mul_f32_e32 v75, 0x3fb8aa3b, v75
	v_exp_f32_e32 v75, v75
	v_fma_f32 v88, v1, v92, 0
	v_fmac_f32_e32 v88, v89, v93
	v_fmac_f32_e32 v88, v90, v94
	;; [unrolled: 1-line block ×3, first 2 shown]
	v_add_f32_e32 v91, 0x358637bd, v88
	v_div_scale_f32 v92, s[4:5], v91, v91, 1.0
	v_rcp_f32_e32 v93, v92
	s_barrier
	s_mul_i32 s7, s27, 14
	v_fma_f32 v94, -v92, v93, 1.0
	v_fmac_f32_e32 v93, v94, v93
	v_div_scale_f32 v94, vcc, 1.0, v91, 1.0
	v_mul_f32_e32 v95, v94, v93
	v_fma_f32 v86, -v92, v95, v94
	v_fmac_f32_e32 v95, v86, v93
	v_fma_f32 v86, -v92, v95, v94
	v_div_fmas_f32 v86, v86, v93, v95
	v_cmp_eq_u32_e32 vcc, 1, v77
	v_div_fixup_f32 v86, v86, v91, 1.0
	s_nop 0
	v_cndmask_b32_e32 v1, v1, v89, vcc
	v_cmp_eq_u32_e32 vcc, 2, v77
	s_nop 1
	v_cndmask_b32_e32 v1, v1, v90, vcc
	v_cmp_eq_u32_e32 vcc, 3, v77
	s_nop 1
	v_cndmask_b32_e32 v1, v1, v75, vcc
	v_mul_f32_e32 v90, v1, v86
	v_pk_mul_f32 v[82:83], v[90:91], v[82:83] op_sel_hi:[0,1]
	v_pk_mul_f32 v[68:69], v[90:91], v[68:69] op_sel_hi:[0,1]
	v_cvt_f16_f32_e32 v1, v68
	v_cvt_f16_f32_e32 v68, v69
	;; [unrolled: 1-line block ×4, first 2 shown]
	v_pk_mul_f32 v[84:85], v[90:91], v[84:85] op_sel_hi:[0,1]
	v_pk_mul_f32 v[70:71], v[90:91], v[70:71] op_sel_hi:[0,1]
	v_bfe_u32 v86, v0, 4, 2
	v_pack_b32_f16 v83, v69, v75
	v_cvt_f16_f32_e32 v69, v70
	v_cvt_f16_f32_e32 v70, v71
	;; [unrolled: 1-line block ×4, first 2 shown]
	v_pack_b32_f16 v82, v1, v68
	v_lshlrev_b32_e32 v1, 3, v86
	v_lshlrev_b32_e32 v68, 5, v76
	;; [unrolled: 1-line block ×3, first 2 shown]
	v_or3_b32 v75, v75, v68, v1
	v_pack_b32_f16 v70, v69, v70
	v_pack_b32_f16 v71, v71, v84
	ds_write2st64_b64 v75, v[82:83], v[70:71] offset1:1
	v_pk_mul_f32 v[70:71], v[90:91], v[78:79] op_sel_hi:[0,1]
	v_pk_mul_f32 v[78:79], v[90:91], v[80:81] op_sel_hi:[0,1]
	v_cvt_f16_f32_e32 v1, v78
	v_cvt_f16_f32_e32 v77, v70
	;; [unrolled: 1-line block ×3, first 2 shown]
	v_pk_mul_f32 v[66:67], v[90:91], v[66:67] op_sel_hi:[0,1]
	v_pk_mul_f32 v[70:71], v[90:91], v[72:73] op_sel_hi:[0,1]
	v_cvt_f16_f32_e32 v69, v79
	v_cvt_f16_f32_e32 v70, v70
	;; [unrolled: 1-line block ×5, first 2 shown]
	v_pack_b32_f16 v66, v1, v69
	v_pack_b32_f16 v67, v77, v78
	;; [unrolled: 1-line block ×4, first 2 shown]
	v_cmp_gt_u32_e32 vcc, 14, v0
	ds_write2st64_b64 v75, v[66:67], v[70:71] offset0:2 offset1:3
	s_and_saveexec_b64 s[4:5], vcc
	s_cbranch_execz .LBB297_15
; %bb.14:
	s_mov_b32 s41, 0
	v_mov_b32_e32 v77, 0
	v_lshl_add_u64 v[66:67], s[40:41], 0, v[76:77]
	v_mov_b32_e32 v1, s7
	v_mad_u64_u32 v[66:67], s[12:13], s2, v1, v[66:67]
	s_mul_i32 s3, s3, s7
	v_mov_b32_e32 v70, s26
	v_mov_b32_e32 v71, v77
	s_load_dwordx4 s[8:11], s[0:1], 0x58
	v_add_u32_e32 v1, s3, v67
	v_mad_u64_u32 v[66:67], s[12:13], v66, s6, v[70:71]
	v_mov_b32_e32 v70, v67
	v_mad_u64_u32 v[70:71], s[12:13], v1, s6, v[70:71]
	v_mov_b32_e32 v67, v70
	v_lshlrev_b64 v[66:67], 2, v[66:67]
	s_waitcnt lgkmcnt(0)
	v_lshl_add_u64 v[70:71], s[10:11], 0, v[66:67]
	v_lshl_add_u64 v[66:67], s[8:9], 0, v[66:67]
	global_store_dword v[70:71], v87, off
	global_store_dword v[66:67], v88, off
.LBB297_15:
	s_or_b64 exec, exec, s[4:5]
	v_lshl_or_b32 v1, v86, 9, v68
	s_waitcnt lgkmcnt(0)
	s_barrier
	ds_read_b128 v[70:73], v1
	ds_read_b128 v[66:69], v1 offset:16
	s_waitcnt vmcnt(15) lgkmcnt(1)
	v_mfma_f32_16x16x16_f16 v[78:81], v[30:31], v[70:71], 0
	s_mov_b32 s3, 0
	v_cmp_gt_u32_e32 vcc, 64, v0
	v_mfma_f32_16x16x16_f16 v[30:33], v[32:33], v[72:73], v[78:81]
	s_waitcnt vmcnt(14) lgkmcnt(0)
	v_mfma_f32_16x16x16_f16 v[30:33], v[26:27], v[66:67], v[30:33]
	v_mfma_f32_16x16x16_f16 v[26:29], v[28:29], v[68:69], v[30:33]
	s_nop 5
	ds_read_b128 v[30:33], v1 offset:2048
	ds_read_b128 v[78:81], v1 offset:2064
	s_waitcnt vmcnt(13) lgkmcnt(1)
	v_mfma_f32_16x16x16_f16 v[26:29], v[22:23], v[30:31], v[26:29]
	v_mfma_f32_16x16x16_f16 v[22:25], v[24:25], v[32:33], v[26:29]
	s_waitcnt vmcnt(12) lgkmcnt(0)
	v_mfma_f32_16x16x16_f16 v[22:25], v[18:19], v[78:79], v[22:25]
	v_mfma_f32_16x16x16_f16 v[18:21], v[20:21], v[80:81], v[22:25]
	s_nop 5
	ds_read_b128 v[22:25], v1 offset:4096
	ds_read_b128 v[26:29], v1 offset:4112
	s_waitcnt vmcnt(11) lgkmcnt(1)
	v_mfma_f32_16x16x16_f16 v[18:21], v[14:15], v[22:23], v[18:21]
	v_mfma_f32_16x16x16_f16 v[14:17], v[16:17], v[24:25], v[18:21]
	s_waitcnt vmcnt(10) lgkmcnt(0)
	v_mfma_f32_16x16x16_f16 v[14:17], v[10:11], v[26:27], v[14:17]
	v_mfma_f32_16x16x16_f16 v[10:13], v[12:13], v[28:29], v[14:17]
	s_nop 5
	ds_read_b128 v[14:17], v1 offset:6144
	ds_read_b128 v[18:21], v1 offset:6160
	s_waitcnt lgkmcnt(0)
	s_barrier
	s_waitcnt vmcnt(9)
	v_mfma_f32_16x16x16_f16 v[10:13], v[6:7], v[14:15], v[10:13]
	v_mfma_f32_16x16x16_f16 v[6:9], v[8:9], v[16:17], v[10:13]
	s_waitcnt vmcnt(8)
	v_mfma_f32_16x16x16_f16 v[6:9], v[2:3], v[18:19], v[6:9]
	v_mfma_f32_16x16x16_f16 v[2:5], v[4:5], v[20:21], v[6:9]
	;; [unrolled: 3-line block ×3, first 2 shown]
	s_nop 3
	v_cvt_f16_f32_e32 v1, v2
	v_cvt_f16_f32_e32 v10, v3
	;; [unrolled: 1-line block ×3, first 2 shown]
	s_waitcnt vmcnt(6)
	v_mfma_f32_16x16x16_f16 v[6:9], v[38:39], v[66:67], v[6:9]
	v_cvt_f16_f32_e32 v12, v5
	v_mfma_f32_16x16x16_f16 v[6:9], v[40:41], v[68:69], v[6:9]
	s_waitcnt vmcnt(5)
	v_mfma_f32_16x16x16_f16 v[6:9], v[42:43], v[30:31], v[6:9]
	v_mfma_f32_16x16x16_f16 v[6:9], v[44:45], v[32:33], v[6:9]
	s_waitcnt vmcnt(4)
	v_mfma_f32_16x16x16_f16 v[6:9], v[34:35], v[78:79], v[6:9]
	;; [unrolled: 3-line block ×6, first 2 shown]
	v_mfma_f32_16x16x16_f16 v[2:5], v[60:61], v[20:21], v[6:9]
	s_nop 6
	v_cvt_f16_f32_e32 v6, v2
	v_cvt_f16_f32_e32 v7, v3
	;; [unrolled: 1-line block ×4, first 2 shown]
	v_pack_b32_f16 v2, v1, v10
	v_pack_b32_f16 v3, v11, v12
	;; [unrolled: 1-line block ×4, first 2 shown]
	ds_write2st64_b64 v75, v[2:3], v[4:5] offset1:1
	s_waitcnt lgkmcnt(0)
	s_barrier
	s_and_saveexec_b64 s[4:5], vcc
	s_cbranch_execz .LBB297_18
; %bb.16:
	s_load_dwordx2 s[4:5], s[0:1], 0x68
	s_lshl_b32 s0, s6, 7
	s_mul_i32 s1, s7, s2
	v_lshlrev_b32_e32 v3, 6, v76
	s_mul_hi_u32 s7, s1, s0
	s_mul_i32 s6, s1, s0
	v_lshlrev_b32_e32 v2, 4, v0
	v_lshl_or_b32 v0, v0, 10, v3
	s_lshl_b64 s[6:7], s[6:7], 1
	v_lshlrev_b32_e32 v1, 5, v86
	v_and_b32_e32 v2, 16, v2
	v_and_b32_e32 v0, 0x1a00, v0
	s_waitcnt lgkmcnt(0)
	s_add_u32 s1, s4, s6
	v_or3_b32 v2, v0, v1, v2
	s_addc_u32 s4, s5, s7
	s_lshl_b32 s2, s26, 7
	ds_read_b128 v[4:7], v2 offset:256
	s_lshl_b64 s[2:3], s[2:3], 1
	ds_read_b128 v[8:11], v2 offset:128
	ds_read_b128 v[12:15], v2
	s_add_u32 s2, s1, s2
	s_addc_u32 s3, s4, s3
	v_mov_b32_e32 v75, 0
	v_add_u32_e32 v18, s40, v86
	v_lshl_add_u64 v[0:1], s[2:3], 0, v[74:75]
	v_mad_u64_u32 v[16:17], s[2:3], v18, s0, 0
	v_lshl_add_u64 v[16:17], v[16:17], 1, v[0:1]
	s_waitcnt lgkmcnt(0)
	global_store_dwordx4 v[16:17], v[12:15], off
	v_or_b32_e32 v3, 12, v86
	v_cmp_gt_u32_e32 vcc, 14, v3
	v_add_u32_e32 v12, 4, v18
	v_mad_u64_u32 v[12:13], s[2:3], v12, s0, 0
	v_lshl_add_u64 v[12:13], v[12:13], 1, v[0:1]
	global_store_dwordx4 v[12:13], v[8:11], off
	s_nop 1
	v_add_u32_e32 v8, 8, v18
	v_mad_u64_u32 v[8:9], s[2:3], v8, s0, 0
	v_lshl_add_u64 v[8:9], v[8:9], 1, v[0:1]
	global_store_dwordx4 v[8:9], v[4:7], off
	s_and_b64 exec, exec, vcc
	s_cbranch_execz .LBB297_18
; %bb.17:
	ds_read_b128 v[4:7], v2 offset:384
	v_add_u32_e32 v2, s40, v3
	v_mad_u64_u32 v[2:3], s[0:1], v2, s0, 0
	v_lshl_add_u64 v[0:1], v[2:3], 1, v[0:1]
	s_waitcnt lgkmcnt(0)
	global_store_dwordx4 v[0:1], v[4:7], off
.LBB297_18:
	s_endpgm
	.section	.rodata,"a",@progbits
	.p2align	6, 0x0
	.amdhsa_kernel _Z39paged_attention_ll4mi_QKV_mfma16_kernelIDF16_DF16_LN4vllm18Fp8KVCacheDataTypeE0EDF16_Li16ELi128ELi256ELb0ELi14EEvPKT_PKT0_S7_ifPKiS9_S9_iPKfiiiPfSC_PS2_PT2_iSB_SB_
		.amdhsa_group_segment_fixed_size 8192
		.amdhsa_private_segment_fixed_size 0
		.amdhsa_kernarg_size 400
		.amdhsa_user_sgpr_count 2
		.amdhsa_user_sgpr_dispatch_ptr 0
		.amdhsa_user_sgpr_queue_ptr 0
		.amdhsa_user_sgpr_kernarg_segment_ptr 1
		.amdhsa_user_sgpr_dispatch_id 0
		.amdhsa_user_sgpr_kernarg_preload_length 0
		.amdhsa_user_sgpr_kernarg_preload_offset 0
		.amdhsa_user_sgpr_private_segment_size 0
		.amdhsa_uses_dynamic_stack 0
		.amdhsa_enable_private_segment 0
		.amdhsa_system_sgpr_workgroup_id_x 1
		.amdhsa_system_sgpr_workgroup_id_y 1
		.amdhsa_system_sgpr_workgroup_id_z 1
		.amdhsa_system_sgpr_workgroup_info 0
		.amdhsa_system_vgpr_workitem_id 0
		.amdhsa_next_free_vgpr 96
		.amdhsa_next_free_sgpr 42
		.amdhsa_accum_offset 96
		.amdhsa_reserve_vcc 1
		.amdhsa_float_round_mode_32 0
		.amdhsa_float_round_mode_16_64 0
		.amdhsa_float_denorm_mode_32 3
		.amdhsa_float_denorm_mode_16_64 3
		.amdhsa_dx10_clamp 1
		.amdhsa_ieee_mode 1
		.amdhsa_fp16_overflow 0
		.amdhsa_tg_split 0
		.amdhsa_exception_fp_ieee_invalid_op 0
		.amdhsa_exception_fp_denorm_src 0
		.amdhsa_exception_fp_ieee_div_zero 0
		.amdhsa_exception_fp_ieee_overflow 0
		.amdhsa_exception_fp_ieee_underflow 0
		.amdhsa_exception_fp_ieee_inexact 0
		.amdhsa_exception_int_div_zero 0
	.end_amdhsa_kernel
	.section	.text._Z39paged_attention_ll4mi_QKV_mfma16_kernelIDF16_DF16_LN4vllm18Fp8KVCacheDataTypeE0EDF16_Li16ELi128ELi256ELb0ELi14EEvPKT_PKT0_S7_ifPKiS9_S9_iPKfiiiPfSC_PS2_PT2_iSB_SB_,"axG",@progbits,_Z39paged_attention_ll4mi_QKV_mfma16_kernelIDF16_DF16_LN4vllm18Fp8KVCacheDataTypeE0EDF16_Li16ELi128ELi256ELb0ELi14EEvPKT_PKT0_S7_ifPKiS9_S9_iPKfiiiPfSC_PS2_PT2_iSB_SB_,comdat
.Lfunc_end297:
	.size	_Z39paged_attention_ll4mi_QKV_mfma16_kernelIDF16_DF16_LN4vllm18Fp8KVCacheDataTypeE0EDF16_Li16ELi128ELi256ELb0ELi14EEvPKT_PKT0_S7_ifPKiS9_S9_iPKfiiiPfSC_PS2_PT2_iSB_SB_, .Lfunc_end297-_Z39paged_attention_ll4mi_QKV_mfma16_kernelIDF16_DF16_LN4vllm18Fp8KVCacheDataTypeE0EDF16_Li16ELi128ELi256ELb0ELi14EEvPKT_PKT0_S7_ifPKiS9_S9_iPKfiiiPfSC_PS2_PT2_iSB_SB_
                                        ; -- End function
	.section	.AMDGPU.csdata,"",@progbits
; Kernel info:
; codeLenInByte = 4456
; NumSgprs: 48
; NumVgprs: 96
; NumAgprs: 0
; TotalNumVgprs: 96
; ScratchSize: 0
; MemoryBound: 0
; FloatMode: 240
; IeeeMode: 1
; LDSByteSize: 8192 bytes/workgroup (compile time only)
; SGPRBlocks: 5
; VGPRBlocks: 11
; NumSGPRsForWavesPerEU: 48
; NumVGPRsForWavesPerEU: 96
; AccumOffset: 96
; Occupancy: 5
; WaveLimiterHint : 1
; COMPUTE_PGM_RSRC2:SCRATCH_EN: 0
; COMPUTE_PGM_RSRC2:USER_SGPR: 2
; COMPUTE_PGM_RSRC2:TRAP_HANDLER: 0
; COMPUTE_PGM_RSRC2:TGID_X_EN: 1
; COMPUTE_PGM_RSRC2:TGID_Y_EN: 1
; COMPUTE_PGM_RSRC2:TGID_Z_EN: 1
; COMPUTE_PGM_RSRC2:TIDIG_COMP_CNT: 0
; COMPUTE_PGM_RSRC3_GFX90A:ACCUM_OFFSET: 23
; COMPUTE_PGM_RSRC3_GFX90A:TG_SPLIT: 0
	.section	.text._Z39paged_attention_ll4mi_QKV_mfma16_kernelIDF16_DF16_LN4vllm18Fp8KVCacheDataTypeE0EDF16_Li16ELi128ELi256ELb0ELi15EEvPKT_PKT0_S7_ifPKiS9_S9_iPKfiiiPfSC_PS2_PT2_iSB_SB_,"axG",@progbits,_Z39paged_attention_ll4mi_QKV_mfma16_kernelIDF16_DF16_LN4vllm18Fp8KVCacheDataTypeE0EDF16_Li16ELi128ELi256ELb0ELi15EEvPKT_PKT0_S7_ifPKiS9_S9_iPKfiiiPfSC_PS2_PT2_iSB_SB_,comdat
	.protected	_Z39paged_attention_ll4mi_QKV_mfma16_kernelIDF16_DF16_LN4vllm18Fp8KVCacheDataTypeE0EDF16_Li16ELi128ELi256ELb0ELi15EEvPKT_PKT0_S7_ifPKiS9_S9_iPKfiiiPfSC_PS2_PT2_iSB_SB_ ; -- Begin function _Z39paged_attention_ll4mi_QKV_mfma16_kernelIDF16_DF16_LN4vllm18Fp8KVCacheDataTypeE0EDF16_Li16ELi128ELi256ELb0ELi15EEvPKT_PKT0_S7_ifPKiS9_S9_iPKfiiiPfSC_PS2_PT2_iSB_SB_
	.globl	_Z39paged_attention_ll4mi_QKV_mfma16_kernelIDF16_DF16_LN4vllm18Fp8KVCacheDataTypeE0EDF16_Li16ELi128ELi256ELb0ELi15EEvPKT_PKT0_S7_ifPKiS9_S9_iPKfiiiPfSC_PS2_PT2_iSB_SB_
	.p2align	8
	.type	_Z39paged_attention_ll4mi_QKV_mfma16_kernelIDF16_DF16_LN4vllm18Fp8KVCacheDataTypeE0EDF16_Li16ELi128ELi256ELb0ELi15EEvPKT_PKT0_S7_ifPKiS9_S9_iPKfiiiPfSC_PS2_PT2_iSB_SB_,@function
_Z39paged_attention_ll4mi_QKV_mfma16_kernelIDF16_DF16_LN4vllm18Fp8KVCacheDataTypeE0EDF16_Li16ELi128ELi256ELb0ELi15EEvPKT_PKT0_S7_ifPKiS9_S9_iPKfiiiPfSC_PS2_PT2_iSB_SB_: ; @_Z39paged_attention_ll4mi_QKV_mfma16_kernelIDF16_DF16_LN4vllm18Fp8KVCacheDataTypeE0EDF16_Li16ELi128ELi256ELb0ELi15EEvPKT_PKT0_S7_ifPKiS9_S9_iPKfiiiPfSC_PS2_PT2_iSB_SB_
; %bb.0:
	s_load_dwordx2 s[8:9], s[0:1], 0x30
	s_mov_b32 s26, s3
	s_mov_b64 s[6:7], 0
	s_waitcnt lgkmcnt(0)
	s_cmp_lg_u64 s[8:9], 0
	s_cselect_b64 s[10:11], -1, 0
	s_and_b64 vcc, exec, s[10:11]
	s_cbranch_vccz .LBB298_7
; %bb.1:
	s_add_i32 s12, s2, 1
	s_mov_b32 s13, 0
	s_lshl_b64 s[14:15], s[12:13], 2
	s_add_u32 s14, s8, s14
	s_mov_b32 s3, s13
	s_addc_u32 s15, s9, s15
	s_lshl_b64 s[12:13], s[2:3], 2
	s_add_u32 s12, s8, s12
	s_addc_u32 s13, s9, s13
	s_load_dword s5, s[14:15], 0x0
	s_load_dword s16, s[12:13], 0x0
	s_waitcnt lgkmcnt(0)
	s_sub_i32 s5, s5, s16
	s_cmp_eq_u32 s5, 1
	s_cselect_b64 s[12:13], -1, 0
	s_andn2_b64 vcc, exec, s[6:7]
	s_cbranch_vccnz .LBB298_3
.LBB298_2:
	s_mov_b32 s3, 0
	s_mov_b64 s[12:13], -1
.LBB298_3:
	s_andn2_b64 vcc, exec, s[12:13]
	s_cbranch_vccnz .LBB298_18
; %bb.4:
	s_load_dwordx2 s[6:7], s[0:1], 0x28
	s_lshl_b64 s[16:17], s[2:3], 2
	s_waitcnt lgkmcnt(0)
	s_add_u32 s6, s6, s16
	s_addc_u32 s7, s7, s17
	s_load_dword s33, s[6:7], 0x0
	s_lshl_b32 s18, s26, 8
	s_waitcnt lgkmcnt(0)
	s_cmp_ge_i32 s18, s33
	s_cbranch_scc1 .LBB298_18
; %bb.5:
	s_load_dwordx2 s[6:7], s[0:1], 0x20
	s_load_dword s5, s[0:1], 0x38
	s_add_i32 s12, s33, 15
	s_ashr_i32 s13, s12, 31
	v_and_b32_e32 v1, 0xcf, v0
	s_lshr_b32 s13, s13, 28
	v_add_u32_e32 v1, s18, v1
	s_add_i32 s12, s12, s13
	v_ashrrev_i32_e32 v2, 31, v1
	s_ashr_i32 s19, s12, 4
	v_lshrrev_b32_e32 v4, 28, v2
	s_add_i32 s19, s19, -1
	s_waitcnt lgkmcnt(0)
	s_mul_i32 s12, s2, s5
	s_mov_b32 s13, 0
	v_add_u32_e32 v2, v1, v4
	s_lshl_b64 s[12:13], s[12:13], 2
	v_ashrrev_i32_e32 v2, 4, v2
	v_mov_b32_e32 v5, s19
	v_cmp_gt_i32_e32 vcc, s33, v1
	s_add_u32 s6, s6, s12
	s_addc_u32 s7, s7, s13
	v_cndmask_b32_e32 v2, v5, v2, vcc
	v_ashrrev_i32_e32 v3, 31, v2
	v_lshl_add_u64 v[6:7], v[2:3], 2, s[6:7]
	v_or_b32_e32 v2, 16, v1
	v_add_u32_e32 v3, v2, v4
	v_ashrrev_i32_e32 v3, 4, v3
	v_cmp_gt_i32_e32 vcc, s33, v2
	s_load_dwordx4 s[12:15], s[0:1], 0x8
	s_nop 0
	v_cndmask_b32_e32 v2, v5, v3, vcc
	v_ashrrev_i32_e32 v3, 31, v2
	v_lshl_add_u64 v[8:9], v[2:3], 2, s[6:7]
	v_or_b32_e32 v2, 32, v1
	v_add_u32_e32 v3, v2, v4
	v_ashrrev_i32_e32 v3, 4, v3
	v_cmp_gt_i32_e32 vcc, s33, v2
	v_or_b32_e32 v1, 48, v1
	s_nop 0
	v_cndmask_b32_e32 v2, v5, v3, vcc
	v_ashrrev_i32_e32 v3, 31, v2
	v_lshl_add_u64 v[10:11], v[2:3], 2, s[6:7]
	v_add_u32_e32 v2, v1, v4
	v_ashrrev_i32_e32 v2, 4, v2
	v_cmp_gt_i32_e32 vcc, s33, v1
	s_nop 1
	v_cndmask_b32_e32 v2, v5, v2, vcc
	v_ashrrev_i32_e32 v3, 31, v2
	v_lshl_add_u64 v[12:13], v[2:3], 2, s[6:7]
	global_load_dword v4, v[6:7], off
	global_load_dword v3, v[8:9], off
	;; [unrolled: 1-line block ×4, first 2 shown]
	s_andn2_b64 vcc, exec, s[10:11]
	s_cbranch_vccnz .LBB298_8
; %bb.6:
	s_add_u32 s8, s8, s16
	s_addc_u32 s9, s9, s17
	s_load_dword s5, s[8:9], 0x0
	s_branch .LBB298_9
.LBB298_7:
	s_mov_b64 s[12:13], 0
	s_branch .LBB298_2
.LBB298_8:
	s_mov_b32 s5, s2
.LBB298_9:
	s_load_dwordx4 s[8:11], s[0:1], 0x48
	v_lshrrev_b32_e32 v77, 6, v0
	v_bfe_u32 v86, v0, 4, 2
	v_and_b32_e32 v76, 15, v0
	v_lshl_or_b32 v1, v77, 2, v86
	v_lshlrev_b32_e32 v5, 3, v76
	v_and_b32_e32 v87, 63, v0
	s_mul_i32 s40, s4, 15
	v_cmp_gt_u32_e32 vcc, 15, v1
	v_lshlrev_b32_e32 v74, 1, v5
	s_and_saveexec_b64 s[16:17], vcc
	s_cbranch_execz .LBB298_11
; %bb.10:
	s_load_dwordx2 s[20:21], s[0:1], 0x0
	s_waitcnt lgkmcnt(0)
	s_ashr_i32 s11, s8, 31
	s_mul_hi_u32 s22, s5, s8
	s_mul_i32 s11, s5, s11
	s_add_i32 s23, s22, s11
	s_mul_i32 s22, s5, s8
	s_lshl_b64 s[22:23], s[22:23], 1
	s_add_u32 s20, s20, s22
	v_add_lshl_u32 v6, v1, s40, 7
	s_addc_u32 s21, s21, s23
	v_ashrrev_i32_e32 v7, 31, v6
	v_lshl_add_u64 v[6:7], v[6:7], 1, s[20:21]
	v_mov_b32_e32 v75, 0
	v_lshl_add_u64 v[6:7], v[6:7], 0, v[74:75]
	global_load_dwordx4 v[6:9], v[6:7], off
	v_and_b32_e32 v5, 3, v0
	v_lshlrev_b32_e32 v10, 9, v76
	v_lshlrev_b32_e32 v1, 5, v1
	;; [unrolled: 1-line block ×3, first 2 shown]
	v_and_b32_e32 v10, 0x1800, v10
	v_or3_b32 v1, v10, v5, v1
	s_waitcnt vmcnt(0)
	ds_write_b128 v1, v[6:9]
.LBB298_11:
	s_or_b64 exec, exec, s[16:17]
	s_waitcnt lgkmcnt(0)
	s_mov_b32 s5, 0
	s_mul_i32 s4, s4, s10
	s_lshl_b64 s[4:5], s[4:5], 1
	s_add_u32 s10, s12, s4
	v_lshlrev_b32_e32 v1, 4, v0
	v_mov_b32_e32 v35, 0
	s_addc_u32 s11, s13, s5
	v_and_b32_e32 v34, 0xf0, v1
	v_lshl_add_u64 v[30:31], s[10:11], 0, v[34:35]
	s_waitcnt vmcnt(3)
	v_mad_i64_i32 v[4:5], s[10:11], v4, s9, 0
	v_lshl_add_u64 v[4:5], v[4:5], 1, v[30:31]
	v_and_b32_e32 v34, 0x300, v1
	v_lshl_add_u64 v[32:33], v[4:5], 0, v[34:35]
	s_load_dword s27, s[0:1], 0x98
	s_load_dword s8, s[0:1], 0x1c
	s_waitcnt lgkmcnt(0)
	s_barrier
	global_load_dwordx4 v[6:9], v[32:33], off
	global_load_dwordx4 v[22:25], v[32:33], off offset:1024
	s_waitcnt vmcnt(4)
	v_mad_i64_i32 v[4:5], s[10:11], v3, s9, 0
	s_waitcnt vmcnt(3)
	v_mad_i64_i32 v[2:3], s[10:11], v2, s9, 0
	v_lshl_add_u64 v[4:5], v[4:5], 1, v[30:31]
	v_lshl_add_u64 v[2:3], v[2:3], 1, v[30:31]
	;; [unrolled: 1-line block ×4, first 2 shown]
	global_load_dwordx4 v[14:17], v[36:37], off
	global_load_dwordx4 v[18:21], v[36:37], off offset:1024
	global_load_dwordx4 v[26:29], v[38:39], off
	global_load_dwordx4 v[46:49], v[38:39], off offset:1024
	v_cmp_ne_u32_e32 vcc, 15, v76
	global_load_dwordx4 v[54:57], v[32:33], off offset:2048
	v_mov_b32_e32 v75, s19
	v_cndmask_b32_e32 v2, 0, v76, vcc
	v_lshlrev_b32_e32 v2, 5, v2
	v_lshl_or_b32 v41, v86, 9, v2
	ds_read_b128 v[10:13], v41
	ds_read_b128 v[2:5], v41 offset:2048
	global_load_dwordx4 v[62:65], v[36:37], off offset:2048
	s_add_u32 s4, s14, s4
	s_addc_u32 s5, s15, s5
	s_mov_b32 s41, 0xff7fffff
	s_waitcnt vmcnt(7) lgkmcnt(1)
	v_mfma_f32_16x16x16_f16 v[42:45], v[6:7], v[10:11], 0
	v_mfma_f32_16x16x16_f16 v[6:9], v[8:9], v[12:13], v[42:45]
	s_nop 5
	global_load_dwordx4 v[42:45], v[38:39], off offset:2048
	s_waitcnt vmcnt(6)
	v_mfma_f32_16x16x16_f16 v[50:53], v[14:15], v[10:11], 0
	s_waitcnt vmcnt(4)
	v_mfma_f32_16x16x16_f16 v[58:61], v[26:27], v[10:11], 0
	v_mfma_f32_16x16x16_f16 v[14:17], v[16:17], v[12:13], v[50:53]
	v_mfma_f32_16x16x16_f16 v[26:29], v[28:29], v[12:13], v[58:61]
	s_nop 2
	global_load_dwordx4 v[50:53], v[32:33], off offset:3072
	v_mad_i64_i32 v[32:33], s[10:11], v40, s9, 0
	global_load_dwordx4 v[58:61], v[36:37], off offset:3072
	v_and_or_b32 v40, v0, 48, s18
	s_waitcnt lgkmcnt(0)
	v_mfma_f32_16x16x16_f16 v[6:9], v[22:23], v[2:3], v[6:9]
	v_ashrrev_i32_e32 v22, 4, v40
	v_cmp_gt_i32_e32 vcc, s33, v40
	v_or_b32_e32 v78, 64, v40
	v_mfma_f32_16x16x16_f16 v[14:17], v[18:19], v[2:3], v[14:17]
	v_cndmask_b32_e32 v18, v75, v22, vcc
	v_or_b32_e32 v79, 0x80, v40
	v_or_b32_e32 v80, 0xc0, v40
	s_waitcnt vmcnt(5)
	v_mfma_f32_16x16x16_f16 v[26:29], v[46:47], v[2:3], v[26:29]
	v_ashrrev_i32_e32 v40, 4, v78
	v_ashrrev_i32_e32 v19, 31, v18
	v_cmp_gt_i32_e32 vcc, s33, v78
	v_ashrrev_i32_e32 v46, 4, v79
	v_lshl_add_u64 v[18:19], v[18:19], 2, s[6:7]
	v_cndmask_b32_e32 v36, v75, v40, vcc
	v_cmp_gt_i32_e32 vcc, s33, v79
	ds_read_b128 v[66:69], v41 offset:4096
	ds_read_b128 v[70:73], v41 offset:6144
	v_mfma_f32_16x16x16_f16 v[14:17], v[20:21], v[4:5], v[14:17]
	global_load_dword v78, v[18:19], off
	v_ashrrev_i32_e32 v37, 31, v36
	v_mfma_f32_16x16x16_f16 v[18:21], v[48:49], v[4:5], v[26:29]
	s_nop 2
	v_cndmask_b32_e32 v28, v75, v46, vcc
	v_mfma_f32_16x16x16_f16 v[6:9], v[24:25], v[4:5], v[6:9]
	global_load_dwordx4 v[22:25], v[38:39], off offset:3072
	v_ashrrev_i32_e32 v29, 31, v28
	v_lshl_add_u64 v[26:27], v[36:37], 2, s[6:7]
	v_lshl_add_u64 v[28:29], v[28:29], 2, s[6:7]
	global_load_dword v36, v[26:27], off
	global_load_dword v82, v[28:29], off
	v_lshl_add_u64 v[26:27], v[32:33], 1, v[30:31]
	v_lshl_add_u64 v[26:27], v[26:27], 0, v[34:35]
	global_load_dwordx4 v[38:41], v[26:27], off
	global_load_dwordx4 v[46:49], v[26:27], off offset:1024
	s_waitcnt vmcnt(10) lgkmcnt(1)
	v_mfma_f32_16x16x16_f16 v[6:9], v[54:55], v[66:67], v[6:9]
	v_ashrrev_i32_e32 v37, 4, v80
	v_cmp_gt_i32_e32 vcc, s33, v80
	v_mfma_f32_16x16x16_f16 v[6:9], v[56:57], v[68:69], v[6:9]
	s_nop 0
	v_cndmask_b32_e32 v28, v75, v37, vcc
	v_ashrrev_i32_e32 v29, 31, v28
	v_lshl_add_u64 v[28:29], v[28:29], 2, s[6:7]
	global_load_dword v83, v[28:29], off
	s_waitcnt vmcnt(10)
	v_mfma_f32_16x16x16_f16 v[14:17], v[62:63], v[66:67], v[14:17]
	v_lshl_or_b32 v75, v77, 4, v76
	v_lshlrev_b32_e32 v34, 5, v75
	v_lshl_add_u64 v[62:63], s[4:5], 0, v[34:35]
	s_waitcnt vmcnt(9)
	v_mfma_f32_16x16x16_f16 v[18:21], v[42:43], v[66:67], v[18:21]
	global_load_dwordx4 v[54:57], v[26:27], off offset:3072
	v_or_b32_e32 v34, 0x800, v34
	v_mfma_f32_16x16x16_f16 v[18:21], v[44:45], v[68:69], v[18:21]
	global_load_dwordx4 v[42:45], v[26:27], off offset:2048
	s_waitcnt vmcnt(10) lgkmcnt(0)
	v_mfma_f32_16x16x16_f16 v[6:9], v[50:51], v[70:71], v[6:9]
	s_waitcnt vmcnt(7)
	v_mfma_f32_16x16x16_f16 v[18:21], v[22:23], v[70:71], v[18:21]
	v_mad_i64_i32 v[22:23], s[6:7], v78, s9, 0
	v_mfma_f32_16x16x16_f16 v[78:81], v[52:53], v[72:73], v[6:9]
	s_waitcnt vmcnt(6)
	s_nop 1
	v_mad_i64_i32 v[6:7], s[6:7], v36, s9, 0
	v_mfma_f32_16x16x16_f16 v[14:17], v[64:65], v[68:69], v[14:17]
	v_lshlrev_b64 v[64:65], 1, v[22:23]
	v_lshlrev_b64 v[36:37], 1, v[6:7]
	v_lshl_add_u64 v[8:9], v[62:63], 0, v[64:65]
	v_lshl_add_u64 v[6:7], v[62:63], 0, v[36:37]
	global_load_dwordx4 v[30:33], v[8:9], off
	global_load_dwordx4 v[26:29], v[8:9], off offset:16
	v_mfma_f32_16x16x16_f16 v[92:95], v[24:25], v[72:73], v[18:21]
	global_load_dwordx4 v[22:25], v[6:7], off
	s_nop 1
	global_load_dwordx4 v[18:21], v[6:7], off offset:16
	s_waitcnt vmcnt(8)
	v_mfma_f32_16x16x16_f16 v[6:9], v[38:39], v[10:11], 0
	v_mad_i64_i32 v[10:11], s[6:7], v82, s9, 0
	v_lshlrev_b64 v[50:51], 1, v[10:11]
	v_mfma_f32_16x16x16_f16 v[6:9], v[40:41], v[12:13], v[6:9]
	v_lshl_add_u64 v[10:11], v[62:63], 0, v[50:51]
	s_waitcnt vmcnt(7)
	v_mfma_f32_16x16x16_f16 v[6:9], v[46:47], v[2:3], v[6:9]
	s_waitcnt vmcnt(6)
	v_mad_i64_i32 v[2:3], s[6:7], v83, s9, 0
	v_pk_mul_f32 v[82:83], s[8:9], v[80:81] op_sel_hi:[0,1]
	v_mfma_f32_16x16x16_f16 v[38:41], v[48:49], v[4:5], v[6:9]
	v_pk_mul_f32 v[80:81], s[8:9], v[92:93] op_sel_hi:[0,1]
	s_waitcnt vmcnt(4)
	v_mfma_f32_16x16x16_f16 v[38:41], v[42:43], v[66:67], v[38:41]
	v_mfma_f32_16x16x16_f16 v[38:41], v[44:45], v[68:69], v[38:41]
	;; [unrolled: 1-line block ×4, first 2 shown]
	v_lshlrev_b64 v[58:59], 1, v[2:3]
	v_lshl_add_u64 v[2:3], v[62:63], 0, v[58:59]
	v_lshl_add_u64 v[62:63], s[4:5], 0, v[34:35]
	v_mfma_f32_16x16x16_f16 v[38:41], v[56:57], v[72:73], v[38:41]
	v_lshl_add_u64 v[34:35], v[62:63], 0, v[64:65]
	v_lshl_add_u64 v[50:51], v[62:63], 0, v[50:51]
	;; [unrolled: 1-line block ×3, first 2 shown]
	v_mfma_f32_16x16x16_f16 v[88:91], v[60:61], v[72:73], v[14:17]
	v_pk_mul_f32 v[60:61], s[8:9], v[78:79] op_sel_hi:[0,1]
	s_nop 1
	v_pk_mul_f32 v[72:73], s[8:9], v[38:39] op_sel_hi:[0,1]
	v_and_b32_e32 v38, 0xc0, v0
	v_add_u32_e32 v38, s18, v38
	v_lshl_or_b32 v38, v86, 2, v38
	v_pk_mul_f32 v[66:67], s[8:9], v[40:41] op_sel_hi:[0,1]
	v_or_b32_e32 v41, 1, v38
	v_mov_b32_e32 v39, 0xff7fffff
	v_cmp_gt_i32_e64 s[28:29], s33, v38
	v_cmp_gt_i32_e64 s[30:31], s33, v41
	v_or_b32_e32 v42, 3, v38
	v_cndmask_b32_e64 v40, v39, v60, s[28:29]
	v_cndmask_b32_e64 v41, v39, v61, s[30:31]
	v_max3_f32 v40, v40, s41, v41
	v_or_b32_e32 v41, 2, v38
	v_cmp_gt_i32_e64 s[34:35], s33, v41
	v_cmp_gt_i32_e64 s[36:37], s33, v42
	v_pk_mul_f32 v[70:71], s[8:9], v[88:89] op_sel_hi:[0,1]
	v_cndmask_b32_e64 v41, v39, v82, s[34:35]
	v_cndmask_b32_e64 v42, v39, v83, s[36:37]
	v_max3_f32 v40, v40, v41, v42
	v_or_b32_e32 v41, 16, v38
	v_or_b32_e32 v42, 17, v38
	v_cmp_gt_i32_e64 s[22:23], s33, v41
	v_cmp_gt_i32_e64 s[24:25], s33, v42
	v_pk_mul_f32 v[84:85], s[8:9], v[90:91] op_sel_hi:[0,1]
	v_cndmask_b32_e64 v41, v39, v70, s[22:23]
	v_cndmask_b32_e64 v42, v39, v71, s[24:25]
	v_max3_f32 v40, v40, v41, v42
	v_or_b32_e32 v41, 18, v38
	;; [unrolled: 8-line block ×3, first 2 shown]
	v_or_b32_e32 v42, 33, v38
	v_cmp_gt_i32_e64 s[14:15], s33, v41
	v_cmp_gt_i32_e64 s[16:17], s33, v42
	global_load_dwordx4 v[14:17], v[10:11], off
	s_nop 0
	global_load_dwordx4 v[10:13], v[10:11], off offset:16
	v_cndmask_b32_e64 v41, v39, v80, s[14:15]
	v_cndmask_b32_e64 v42, v39, v81, s[16:17]
	v_max3_f32 v40, v40, v41, v42
	v_or_b32_e32 v41, 34, v38
	v_or_b32_e32 v42, 35, v38
	v_cmp_gt_i32_e64 s[10:11], s33, v41
	v_cmp_gt_i32_e64 s[12:13], s33, v42
	global_load_dwordx4 v[6:9], v[2:3], off
	s_nop 0
	global_load_dwordx4 v[2:5], v[2:3], off offset:16
	v_cndmask_b32_e64 v41, v39, v78, s[10:11]
	v_cndmask_b32_e64 v42, v39, v79, s[12:13]
	v_max3_f32 v40, v40, v41, v42
	v_or_b32_e32 v41, 48, v38
	v_or_b32_e32 v42, 49, v38
	v_cmp_gt_i32_e64 s[6:7], s33, v41
	v_cmp_gt_i32_e64 s[8:9], s33, v42
	s_nop 0
	v_cndmask_b32_e64 v41, v39, v72, s[6:7]
	v_cndmask_b32_e64 v42, v39, v73, s[8:9]
	v_max3_f32 v40, v40, v41, v42
	v_or_b32_e32 v41, 50, v38
	v_or_b32_e32 v38, 51, v38
	v_cmp_gt_i32_e32 vcc, s33, v41
	v_cmp_gt_i32_e64 s[4:5], s33, v38
	s_nop 0
	v_cndmask_b32_e32 v41, v39, v66, vcc
	v_cndmask_b32_e64 v38, v39, v67, s[4:5]
	v_max3_f32 v52, v40, v41, v38
	v_mbcnt_lo_u32_b32 v38, -1, 0
	v_mbcnt_hi_u32_b32 v53, -1, v38
	v_and_b32_e32 v38, 64, v53
	v_add_u32_e32 v54, 64, v38
	v_xor_b32_e32 v38, 32, v53
	v_cmp_lt_i32_e64 s[38:39], v38, v54
	s_nop 1
	v_cndmask_b32_e64 v38, v53, v38, s[38:39]
	v_lshlrev_b32_e32 v89, 2, v38
	ds_bpermute_b32 v55, v89, v52
	global_load_dwordx4 v[46:49], v[34:35], off
	global_load_dwordx4 v[38:41], v[34:35], off offset:16
	v_lshl_add_u64 v[34:35], v[62:63], 0, v[36:37]
	global_load_dwordx4 v[42:45], v[34:35], off
	s_nop 0
	global_load_dwordx4 v[34:37], v[34:35], off offset:16
	s_waitcnt lgkmcnt(0)
	v_max_f32_e32 v55, v55, v55
	v_max_f32_e32 v64, v52, v55
	v_xor_b32_e32 v52, 16, v53
	v_cmp_lt_i32_e64 s[38:39], v52, v54
	s_nop 1
	v_cndmask_b32_e64 v52, v53, v52, s[38:39]
	v_lshlrev_b32_e32 v90, 2, v52
	ds_bpermute_b32 v65, v90, v64
	global_load_dwordx4 v[54:57], v[50:51], off
	s_nop 0
	global_load_dwordx4 v[50:53], v[50:51], off offset:16
	s_waitcnt lgkmcnt(0)
	v_max_f32_e32 v62, v65, v65
	v_max_f32_e32 v88, v64, v62
	v_sub_f32_e32 v60, v60, v88
	v_mul_f32_e32 v60, 0x3fb8aa3b, v60
	v_exp_f32_e32 v68, v60
	v_sub_f32_e32 v60, v61, v88
	v_mul_f32_e32 v60, 0x3fb8aa3b, v60
	v_exp_f32_e32 v69, v60
	global_load_dwordx4 v[62:65], v[58:59], off
	s_nop 0
	global_load_dwordx4 v[58:61], v[58:59], off offset:16
	v_sub_f32_e32 v82, v82, v88
	v_mul_f32_e32 v82, 0x3fb8aa3b, v82
	v_sub_f32_e32 v83, v83, v88
	v_exp_f32_e32 v82, v82
	v_mul_f32_e32 v83, 0x3fb8aa3b, v83
	v_sub_f32_e32 v70, v70, v88
	v_exp_f32_e32 v83, v83
	v_mul_f32_e32 v70, 0x3fb8aa3b, v70
	v_sub_f32_e32 v71, v71, v88
	v_cndmask_b32_e64 v68, 0, v68, s[28:29]
	v_exp_f32_e32 v70, v70
	v_mul_f32_e32 v71, 0x3fb8aa3b, v71
	v_sub_f32_e32 v84, v84, v88
	v_add_f32_e32 v91, 0, v68
	v_cndmask_b32_e64 v69, 0, v69, s[30:31]
	v_exp_f32_e32 v71, v71
	v_mul_f32_e32 v84, 0x3fb8aa3b, v84
	v_sub_f32_e32 v85, v85, v88
	v_add_f32_e32 v91, v91, v69
	;; [unrolled: 5-line block ×10, first 2 shown]
	v_cndmask_b32_e64 v78, 0, v78, s[10:11]
	v_exp_f32_e32 v66, v66
	v_mul_f32_e32 v67, 0x3fb8aa3b, v67
	v_add_f32_e32 v91, v91, v78
	v_cndmask_b32_e64 v79, 0, v79, s[12:13]
	v_exp_f32_e32 v67, v67
	v_add_f32_e32 v91, v91, v79
	v_cndmask_b32_e64 v72, 0, v72, s[6:7]
	v_add_f32_e32 v91, v91, v72
	v_cndmask_b32_e64 v73, 0, v73, s[8:9]
	v_add_f32_e32 v91, v91, v73
	v_cndmask_b32_e32 v66, 0, v66, vcc
	v_add_f32_e32 v91, v91, v66
	v_cndmask_b32_e64 v67, 0, v67, s[4:5]
	v_add_f32_e32 v91, v91, v67
	ds_bpermute_b32 v89, v89, v91
	v_cmp_gt_u32_e32 vcc, 16, v87
	s_waitcnt lgkmcnt(0)
	s_barrier
	v_add_f32_e32 v89, v91, v89
	ds_bpermute_b32 v90, v90, v89
	s_and_saveexec_b64 s[4:5], vcc
	s_cbranch_execz .LBB298_13
; %bb.12:
	s_waitcnt lgkmcnt(0)
	v_add_f32_e32 v87, v89, v90
	v_lshlrev_b32_e32 v75, 2, v75
	ds_write2st64_b32 v75, v88, v87 offset1:1
.LBB298_13:
	s_or_b64 exec, exec, s[4:5]
	v_lshlrev_b32_e32 v75, 2, v76
	s_load_dword s6, s[0:1], 0x94
	s_waitcnt lgkmcnt(0)
	s_barrier
	ds_read2_b32 v[88:89], v75 offset1:16
	ds_read2_b32 v[90:91], v75 offset0:32 offset1:48
	ds_read2_b32 v[92:93], v75 offset0:64 offset1:80
	;; [unrolled: 1-line block ×3, first 2 shown]
	s_waitcnt lgkmcnt(0)
	v_max3_f32 v87, v88, s41, v89
	v_max3_f32 v87, v87, v90, v91
	v_sub_f32_e32 v88, v88, v87
	v_mul_f32_e32 v88, 0x3fb8aa3b, v88
	v_exp_f32_e32 v1, v88
	v_sub_f32_e32 v88, v89, v87
	v_mul_f32_e32 v88, 0x3fb8aa3b, v88
	v_exp_f32_e32 v89, v88
	v_sub_f32_e32 v88, v90, v87
	v_mul_f32_e32 v88, 0x3fb8aa3b, v88
	v_sub_f32_e32 v75, v91, v87
	v_exp_f32_e32 v90, v88
	v_mul_f32_e32 v75, 0x3fb8aa3b, v75
	v_exp_f32_e32 v75, v75
	v_fma_f32 v88, v1, v92, 0
	v_fmac_f32_e32 v88, v89, v93
	v_fmac_f32_e32 v88, v90, v94
	;; [unrolled: 1-line block ×3, first 2 shown]
	v_add_f32_e32 v91, 0x358637bd, v88
	v_div_scale_f32 v92, s[4:5], v91, v91, 1.0
	v_rcp_f32_e32 v93, v92
	s_barrier
	s_mul_i32 s7, s27, 15
	v_fma_f32 v94, -v92, v93, 1.0
	v_fmac_f32_e32 v93, v94, v93
	v_div_scale_f32 v94, vcc, 1.0, v91, 1.0
	v_mul_f32_e32 v95, v94, v93
	v_fma_f32 v86, -v92, v95, v94
	v_fmac_f32_e32 v95, v86, v93
	v_fma_f32 v86, -v92, v95, v94
	v_div_fmas_f32 v86, v86, v93, v95
	v_cmp_eq_u32_e32 vcc, 1, v77
	v_div_fixup_f32 v86, v86, v91, 1.0
	s_nop 0
	v_cndmask_b32_e32 v1, v1, v89, vcc
	v_cmp_eq_u32_e32 vcc, 2, v77
	s_nop 1
	v_cndmask_b32_e32 v1, v1, v90, vcc
	v_cmp_eq_u32_e32 vcc, 3, v77
	s_nop 1
	v_cndmask_b32_e32 v1, v1, v75, vcc
	v_mul_f32_e32 v90, v1, v86
	v_pk_mul_f32 v[82:83], v[90:91], v[82:83] op_sel_hi:[0,1]
	v_pk_mul_f32 v[68:69], v[90:91], v[68:69] op_sel_hi:[0,1]
	v_cvt_f16_f32_e32 v1, v68
	v_cvt_f16_f32_e32 v68, v69
	;; [unrolled: 1-line block ×4, first 2 shown]
	v_pk_mul_f32 v[84:85], v[90:91], v[84:85] op_sel_hi:[0,1]
	v_pk_mul_f32 v[70:71], v[90:91], v[70:71] op_sel_hi:[0,1]
	v_bfe_u32 v86, v0, 4, 2
	v_pack_b32_f16 v83, v69, v75
	v_cvt_f16_f32_e32 v69, v70
	v_cvt_f16_f32_e32 v70, v71
	;; [unrolled: 1-line block ×4, first 2 shown]
	v_pack_b32_f16 v82, v1, v68
	v_lshlrev_b32_e32 v1, 3, v86
	v_lshlrev_b32_e32 v68, 5, v76
	;; [unrolled: 1-line block ×3, first 2 shown]
	v_or3_b32 v75, v75, v68, v1
	v_pack_b32_f16 v70, v69, v70
	v_pack_b32_f16 v71, v71, v84
	ds_write2st64_b64 v75, v[82:83], v[70:71] offset1:1
	v_pk_mul_f32 v[70:71], v[90:91], v[78:79] op_sel_hi:[0,1]
	v_pk_mul_f32 v[78:79], v[90:91], v[80:81] op_sel_hi:[0,1]
	v_cvt_f16_f32_e32 v1, v78
	v_cvt_f16_f32_e32 v77, v70
	;; [unrolled: 1-line block ×3, first 2 shown]
	v_pk_mul_f32 v[66:67], v[90:91], v[66:67] op_sel_hi:[0,1]
	v_pk_mul_f32 v[70:71], v[90:91], v[72:73] op_sel_hi:[0,1]
	v_cvt_f16_f32_e32 v69, v79
	v_cvt_f16_f32_e32 v70, v70
	;; [unrolled: 1-line block ×5, first 2 shown]
	v_pack_b32_f16 v66, v1, v69
	v_pack_b32_f16 v67, v77, v78
	;; [unrolled: 1-line block ×4, first 2 shown]
	v_cmp_gt_u32_e32 vcc, 15, v0
	ds_write2st64_b64 v75, v[66:67], v[70:71] offset0:2 offset1:3
	s_and_saveexec_b64 s[4:5], vcc
	s_cbranch_execz .LBB298_15
; %bb.14:
	s_mov_b32 s41, 0
	v_mov_b32_e32 v77, 0
	v_lshl_add_u64 v[66:67], s[40:41], 0, v[76:77]
	v_mov_b32_e32 v1, s7
	v_mad_u64_u32 v[66:67], s[12:13], s2, v1, v[66:67]
	s_mul_i32 s3, s3, s7
	v_mov_b32_e32 v70, s26
	v_mov_b32_e32 v71, v77
	s_load_dwordx4 s[8:11], s[0:1], 0x58
	v_add_u32_e32 v1, s3, v67
	v_mad_u64_u32 v[66:67], s[12:13], v66, s6, v[70:71]
	v_mov_b32_e32 v70, v67
	v_mad_u64_u32 v[70:71], s[12:13], v1, s6, v[70:71]
	v_mov_b32_e32 v67, v70
	v_lshlrev_b64 v[66:67], 2, v[66:67]
	s_waitcnt lgkmcnt(0)
	v_lshl_add_u64 v[70:71], s[10:11], 0, v[66:67]
	v_lshl_add_u64 v[66:67], s[8:9], 0, v[66:67]
	global_store_dword v[70:71], v87, off
	global_store_dword v[66:67], v88, off
.LBB298_15:
	s_or_b64 exec, exec, s[4:5]
	v_lshl_or_b32 v1, v86, 9, v68
	s_waitcnt lgkmcnt(0)
	s_barrier
	ds_read_b128 v[70:73], v1
	ds_read_b128 v[66:69], v1 offset:16
	s_waitcnt vmcnt(15) lgkmcnt(1)
	v_mfma_f32_16x16x16_f16 v[78:81], v[30:31], v[70:71], 0
	s_mov_b32 s3, 0
	v_cmp_gt_u32_e32 vcc, 64, v0
	v_mfma_f32_16x16x16_f16 v[30:33], v[32:33], v[72:73], v[78:81]
	s_waitcnt vmcnt(14) lgkmcnt(0)
	v_mfma_f32_16x16x16_f16 v[30:33], v[26:27], v[66:67], v[30:33]
	v_mfma_f32_16x16x16_f16 v[26:29], v[28:29], v[68:69], v[30:33]
	s_nop 5
	ds_read_b128 v[30:33], v1 offset:2048
	ds_read_b128 v[78:81], v1 offset:2064
	s_waitcnt vmcnt(13) lgkmcnt(1)
	v_mfma_f32_16x16x16_f16 v[26:29], v[22:23], v[30:31], v[26:29]
	v_mfma_f32_16x16x16_f16 v[22:25], v[24:25], v[32:33], v[26:29]
	s_waitcnt vmcnt(12) lgkmcnt(0)
	v_mfma_f32_16x16x16_f16 v[22:25], v[18:19], v[78:79], v[22:25]
	v_mfma_f32_16x16x16_f16 v[18:21], v[20:21], v[80:81], v[22:25]
	s_nop 5
	ds_read_b128 v[22:25], v1 offset:4096
	ds_read_b128 v[26:29], v1 offset:4112
	s_waitcnt vmcnt(11) lgkmcnt(1)
	v_mfma_f32_16x16x16_f16 v[18:21], v[14:15], v[22:23], v[18:21]
	v_mfma_f32_16x16x16_f16 v[14:17], v[16:17], v[24:25], v[18:21]
	s_waitcnt vmcnt(10) lgkmcnt(0)
	v_mfma_f32_16x16x16_f16 v[14:17], v[10:11], v[26:27], v[14:17]
	v_mfma_f32_16x16x16_f16 v[10:13], v[12:13], v[28:29], v[14:17]
	s_nop 5
	ds_read_b128 v[14:17], v1 offset:6144
	ds_read_b128 v[18:21], v1 offset:6160
	s_waitcnt lgkmcnt(0)
	s_barrier
	s_waitcnt vmcnt(9)
	v_mfma_f32_16x16x16_f16 v[10:13], v[6:7], v[14:15], v[10:13]
	v_mfma_f32_16x16x16_f16 v[6:9], v[8:9], v[16:17], v[10:13]
	s_waitcnt vmcnt(8)
	v_mfma_f32_16x16x16_f16 v[6:9], v[2:3], v[18:19], v[6:9]
	v_mfma_f32_16x16x16_f16 v[2:5], v[4:5], v[20:21], v[6:9]
	;; [unrolled: 3-line block ×3, first 2 shown]
	s_nop 3
	v_cvt_f16_f32_e32 v1, v2
	v_cvt_f16_f32_e32 v10, v3
	;; [unrolled: 1-line block ×3, first 2 shown]
	s_waitcnt vmcnt(6)
	v_mfma_f32_16x16x16_f16 v[6:9], v[38:39], v[66:67], v[6:9]
	v_cvt_f16_f32_e32 v12, v5
	v_mfma_f32_16x16x16_f16 v[6:9], v[40:41], v[68:69], v[6:9]
	s_waitcnt vmcnt(5)
	v_mfma_f32_16x16x16_f16 v[6:9], v[42:43], v[30:31], v[6:9]
	v_mfma_f32_16x16x16_f16 v[6:9], v[44:45], v[32:33], v[6:9]
	s_waitcnt vmcnt(4)
	v_mfma_f32_16x16x16_f16 v[6:9], v[34:35], v[78:79], v[6:9]
	;; [unrolled: 3-line block ×6, first 2 shown]
	v_mfma_f32_16x16x16_f16 v[2:5], v[60:61], v[20:21], v[6:9]
	s_nop 6
	v_cvt_f16_f32_e32 v6, v2
	v_cvt_f16_f32_e32 v7, v3
	;; [unrolled: 1-line block ×4, first 2 shown]
	v_pack_b32_f16 v2, v1, v10
	v_pack_b32_f16 v3, v11, v12
	v_pack_b32_f16 v4, v6, v7
	v_pack_b32_f16 v5, v8, v5
	ds_write2st64_b64 v75, v[2:3], v[4:5] offset1:1
	s_waitcnt lgkmcnt(0)
	s_barrier
	s_and_saveexec_b64 s[4:5], vcc
	s_cbranch_execz .LBB298_18
; %bb.16:
	s_load_dwordx2 s[4:5], s[0:1], 0x68
	s_lshl_b32 s0, s6, 7
	s_mul_i32 s1, s7, s2
	v_lshlrev_b32_e32 v3, 6, v76
	s_mul_hi_u32 s7, s1, s0
	s_mul_i32 s6, s1, s0
	v_lshlrev_b32_e32 v2, 4, v0
	v_lshl_or_b32 v0, v0, 10, v3
	s_lshl_b64 s[6:7], s[6:7], 1
	v_lshlrev_b32_e32 v1, 5, v86
	v_and_b32_e32 v2, 16, v2
	v_and_b32_e32 v0, 0x1a00, v0
	s_waitcnt lgkmcnt(0)
	s_add_u32 s1, s4, s6
	v_or3_b32 v2, v0, v1, v2
	s_addc_u32 s4, s5, s7
	s_lshl_b32 s2, s26, 7
	ds_read_b128 v[4:7], v2 offset:256
	s_lshl_b64 s[2:3], s[2:3], 1
	ds_read_b128 v[8:11], v2 offset:128
	ds_read_b128 v[12:15], v2
	s_add_u32 s2, s1, s2
	s_addc_u32 s3, s4, s3
	v_mov_b32_e32 v75, 0
	v_add_u32_e32 v3, s40, v86
	v_lshl_add_u64 v[0:1], s[2:3], 0, v[74:75]
	v_mad_u64_u32 v[16:17], s[2:3], v3, s0, 0
	v_lshl_add_u64 v[16:17], v[16:17], 1, v[0:1]
	s_waitcnt lgkmcnt(0)
	global_store_dwordx4 v[16:17], v[12:15], off
	v_cmp_ne_u32_e32 vcc, 3, v86
	s_nop 0
	v_add_u32_e32 v12, 4, v3
	v_mad_u64_u32 v[12:13], s[2:3], v12, s0, 0
	v_lshl_add_u64 v[12:13], v[12:13], 1, v[0:1]
	v_add_u32_e32 v3, 8, v3
	global_store_dwordx4 v[12:13], v[8:11], off
	s_nop 1
	v_mad_u64_u32 v[8:9], s[2:3], v3, s0, 0
	v_lshl_add_u64 v[8:9], v[8:9], 1, v[0:1]
	global_store_dwordx4 v[8:9], v[4:7], off
	s_and_b64 exec, exec, vcc
	s_cbranch_execz .LBB298_18
; %bb.17:
	ds_read_b128 v[2:5], v2 offset:384
	v_add3_u32 v6, s40, v86, 12
	v_mad_u64_u32 v[6:7], s[0:1], v6, s0, 0
	v_lshl_add_u64 v[0:1], v[6:7], 1, v[0:1]
	s_waitcnt lgkmcnt(0)
	global_store_dwordx4 v[0:1], v[2:5], off
.LBB298_18:
	s_endpgm
	.section	.rodata,"a",@progbits
	.p2align	6, 0x0
	.amdhsa_kernel _Z39paged_attention_ll4mi_QKV_mfma16_kernelIDF16_DF16_LN4vllm18Fp8KVCacheDataTypeE0EDF16_Li16ELi128ELi256ELb0ELi15EEvPKT_PKT0_S7_ifPKiS9_S9_iPKfiiiPfSC_PS2_PT2_iSB_SB_
		.amdhsa_group_segment_fixed_size 8192
		.amdhsa_private_segment_fixed_size 0
		.amdhsa_kernarg_size 400
		.amdhsa_user_sgpr_count 2
		.amdhsa_user_sgpr_dispatch_ptr 0
		.amdhsa_user_sgpr_queue_ptr 0
		.amdhsa_user_sgpr_kernarg_segment_ptr 1
		.amdhsa_user_sgpr_dispatch_id 0
		.amdhsa_user_sgpr_kernarg_preload_length 0
		.amdhsa_user_sgpr_kernarg_preload_offset 0
		.amdhsa_user_sgpr_private_segment_size 0
		.amdhsa_uses_dynamic_stack 0
		.amdhsa_enable_private_segment 0
		.amdhsa_system_sgpr_workgroup_id_x 1
		.amdhsa_system_sgpr_workgroup_id_y 1
		.amdhsa_system_sgpr_workgroup_id_z 1
		.amdhsa_system_sgpr_workgroup_info 0
		.amdhsa_system_vgpr_workitem_id 0
		.amdhsa_next_free_vgpr 96
		.amdhsa_next_free_sgpr 42
		.amdhsa_accum_offset 96
		.amdhsa_reserve_vcc 1
		.amdhsa_float_round_mode_32 0
		.amdhsa_float_round_mode_16_64 0
		.amdhsa_float_denorm_mode_32 3
		.amdhsa_float_denorm_mode_16_64 3
		.amdhsa_dx10_clamp 1
		.amdhsa_ieee_mode 1
		.amdhsa_fp16_overflow 0
		.amdhsa_tg_split 0
		.amdhsa_exception_fp_ieee_invalid_op 0
		.amdhsa_exception_fp_denorm_src 0
		.amdhsa_exception_fp_ieee_div_zero 0
		.amdhsa_exception_fp_ieee_overflow 0
		.amdhsa_exception_fp_ieee_underflow 0
		.amdhsa_exception_fp_ieee_inexact 0
		.amdhsa_exception_int_div_zero 0
	.end_amdhsa_kernel
	.section	.text._Z39paged_attention_ll4mi_QKV_mfma16_kernelIDF16_DF16_LN4vllm18Fp8KVCacheDataTypeE0EDF16_Li16ELi128ELi256ELb0ELi15EEvPKT_PKT0_S7_ifPKiS9_S9_iPKfiiiPfSC_PS2_PT2_iSB_SB_,"axG",@progbits,_Z39paged_attention_ll4mi_QKV_mfma16_kernelIDF16_DF16_LN4vllm18Fp8KVCacheDataTypeE0EDF16_Li16ELi128ELi256ELb0ELi15EEvPKT_PKT0_S7_ifPKiS9_S9_iPKfiiiPfSC_PS2_PT2_iSB_SB_,comdat
.Lfunc_end298:
	.size	_Z39paged_attention_ll4mi_QKV_mfma16_kernelIDF16_DF16_LN4vllm18Fp8KVCacheDataTypeE0EDF16_Li16ELi128ELi256ELb0ELi15EEvPKT_PKT0_S7_ifPKiS9_S9_iPKfiiiPfSC_PS2_PT2_iSB_SB_, .Lfunc_end298-_Z39paged_attention_ll4mi_QKV_mfma16_kernelIDF16_DF16_LN4vllm18Fp8KVCacheDataTypeE0EDF16_Li16ELi128ELi256ELb0ELi15EEvPKT_PKT0_S7_ifPKiS9_S9_iPKfiiiPfSC_PS2_PT2_iSB_SB_
                                        ; -- End function
	.section	.AMDGPU.csdata,"",@progbits
; Kernel info:
; codeLenInByte = 4440
; NumSgprs: 48
; NumVgprs: 96
; NumAgprs: 0
; TotalNumVgprs: 96
; ScratchSize: 0
; MemoryBound: 0
; FloatMode: 240
; IeeeMode: 1
; LDSByteSize: 8192 bytes/workgroup (compile time only)
; SGPRBlocks: 5
; VGPRBlocks: 11
; NumSGPRsForWavesPerEU: 48
; NumVGPRsForWavesPerEU: 96
; AccumOffset: 96
; Occupancy: 5
; WaveLimiterHint : 1
; COMPUTE_PGM_RSRC2:SCRATCH_EN: 0
; COMPUTE_PGM_RSRC2:USER_SGPR: 2
; COMPUTE_PGM_RSRC2:TRAP_HANDLER: 0
; COMPUTE_PGM_RSRC2:TGID_X_EN: 1
; COMPUTE_PGM_RSRC2:TGID_Y_EN: 1
; COMPUTE_PGM_RSRC2:TGID_Z_EN: 1
; COMPUTE_PGM_RSRC2:TIDIG_COMP_CNT: 0
; COMPUTE_PGM_RSRC3_GFX90A:ACCUM_OFFSET: 23
; COMPUTE_PGM_RSRC3_GFX90A:TG_SPLIT: 0
	.section	.text._Z39paged_attention_ll4mi_QKV_mfma16_kernelIDF16_DF16_LN4vllm18Fp8KVCacheDataTypeE0EDF16_Li16ELi128ELi256ELb0ELi16EEvPKT_PKT0_S7_ifPKiS9_S9_iPKfiiiPfSC_PS2_PT2_iSB_SB_,"axG",@progbits,_Z39paged_attention_ll4mi_QKV_mfma16_kernelIDF16_DF16_LN4vllm18Fp8KVCacheDataTypeE0EDF16_Li16ELi128ELi256ELb0ELi16EEvPKT_PKT0_S7_ifPKiS9_S9_iPKfiiiPfSC_PS2_PT2_iSB_SB_,comdat
	.protected	_Z39paged_attention_ll4mi_QKV_mfma16_kernelIDF16_DF16_LN4vllm18Fp8KVCacheDataTypeE0EDF16_Li16ELi128ELi256ELb0ELi16EEvPKT_PKT0_S7_ifPKiS9_S9_iPKfiiiPfSC_PS2_PT2_iSB_SB_ ; -- Begin function _Z39paged_attention_ll4mi_QKV_mfma16_kernelIDF16_DF16_LN4vllm18Fp8KVCacheDataTypeE0EDF16_Li16ELi128ELi256ELb0ELi16EEvPKT_PKT0_S7_ifPKiS9_S9_iPKfiiiPfSC_PS2_PT2_iSB_SB_
	.globl	_Z39paged_attention_ll4mi_QKV_mfma16_kernelIDF16_DF16_LN4vllm18Fp8KVCacheDataTypeE0EDF16_Li16ELi128ELi256ELb0ELi16EEvPKT_PKT0_S7_ifPKiS9_S9_iPKfiiiPfSC_PS2_PT2_iSB_SB_
	.p2align	8
	.type	_Z39paged_attention_ll4mi_QKV_mfma16_kernelIDF16_DF16_LN4vllm18Fp8KVCacheDataTypeE0EDF16_Li16ELi128ELi256ELb0ELi16EEvPKT_PKT0_S7_ifPKiS9_S9_iPKfiiiPfSC_PS2_PT2_iSB_SB_,@function
_Z39paged_attention_ll4mi_QKV_mfma16_kernelIDF16_DF16_LN4vllm18Fp8KVCacheDataTypeE0EDF16_Li16ELi128ELi256ELb0ELi16EEvPKT_PKT0_S7_ifPKiS9_S9_iPKfiiiPfSC_PS2_PT2_iSB_SB_: ; @_Z39paged_attention_ll4mi_QKV_mfma16_kernelIDF16_DF16_LN4vllm18Fp8KVCacheDataTypeE0EDF16_Li16ELi128ELi256ELb0ELi16EEvPKT_PKT0_S7_ifPKiS9_S9_iPKfiiiPfSC_PS2_PT2_iSB_SB_
; %bb.0:
	s_load_dwordx2 s[8:9], s[0:1], 0x30
	s_mov_b32 s26, s3
	s_mov_b64 s[6:7], 0
	s_waitcnt lgkmcnt(0)
	s_cmp_lg_u64 s[8:9], 0
	s_cselect_b64 s[10:11], -1, 0
	s_and_b64 vcc, exec, s[10:11]
	s_cbranch_vccz .LBB299_7
; %bb.1:
	s_add_i32 s12, s2, 1
	s_mov_b32 s13, 0
	s_lshl_b64 s[14:15], s[12:13], 2
	s_add_u32 s14, s8, s14
	s_mov_b32 s3, s13
	s_addc_u32 s15, s9, s15
	s_lshl_b64 s[12:13], s[2:3], 2
	s_add_u32 s12, s8, s12
	s_addc_u32 s13, s9, s13
	s_load_dword s5, s[14:15], 0x0
	s_load_dword s16, s[12:13], 0x0
	s_waitcnt lgkmcnt(0)
	s_sub_i32 s5, s5, s16
	s_cmp_eq_u32 s5, 1
	s_cselect_b64 s[12:13], -1, 0
	s_andn2_b64 vcc, exec, s[6:7]
	s_cbranch_vccnz .LBB299_3
.LBB299_2:
	s_mov_b32 s3, 0
	s_mov_b64 s[12:13], -1
.LBB299_3:
	s_andn2_b64 vcc, exec, s[12:13]
	s_cbranch_vccnz .LBB299_17
; %bb.4:
	s_load_dwordx2 s[6:7], s[0:1], 0x28
	s_lshl_b64 s[16:17], s[2:3], 2
	s_waitcnt lgkmcnt(0)
	s_add_u32 s6, s6, s16
	s_addc_u32 s7, s7, s17
	s_load_dword s38, s[6:7], 0x0
	s_lshl_b32 s18, s26, 8
	s_waitcnt lgkmcnt(0)
	s_cmp_ge_i32 s18, s38
	s_cbranch_scc1 .LBB299_17
; %bb.5:
	s_load_dwordx2 s[6:7], s[0:1], 0x20
	s_load_dword s5, s[0:1], 0x38
	s_add_i32 s12, s38, 15
	s_ashr_i32 s13, s12, 31
	v_and_b32_e32 v1, 0xcf, v0
	s_lshr_b32 s13, s13, 28
	v_add_u32_e32 v1, s18, v1
	s_add_i32 s12, s12, s13
	v_ashrrev_i32_e32 v2, 31, v1
	s_ashr_i32 s19, s12, 4
	v_lshrrev_b32_e32 v4, 28, v2
	s_add_i32 s19, s19, -1
	s_waitcnt lgkmcnt(0)
	s_mul_i32 s12, s2, s5
	s_mov_b32 s13, 0
	v_add_u32_e32 v2, v1, v4
	s_lshl_b64 s[12:13], s[12:13], 2
	v_ashrrev_i32_e32 v2, 4, v2
	v_mov_b32_e32 v5, s19
	v_cmp_gt_i32_e32 vcc, s38, v1
	s_add_u32 s6, s6, s12
	s_addc_u32 s7, s7, s13
	v_cndmask_b32_e32 v2, v5, v2, vcc
	v_ashrrev_i32_e32 v3, 31, v2
	v_lshl_add_u64 v[6:7], v[2:3], 2, s[6:7]
	v_or_b32_e32 v2, 16, v1
	v_add_u32_e32 v3, v2, v4
	v_ashrrev_i32_e32 v3, 4, v3
	v_cmp_gt_i32_e32 vcc, s38, v2
	s_load_dwordx4 s[12:15], s[0:1], 0x8
	s_nop 0
	v_cndmask_b32_e32 v2, v5, v3, vcc
	v_ashrrev_i32_e32 v3, 31, v2
	v_lshl_add_u64 v[8:9], v[2:3], 2, s[6:7]
	v_or_b32_e32 v2, 32, v1
	v_add_u32_e32 v3, v2, v4
	v_ashrrev_i32_e32 v3, 4, v3
	v_cmp_gt_i32_e32 vcc, s38, v2
	v_or_b32_e32 v1, 48, v1
	s_nop 0
	v_cndmask_b32_e32 v2, v5, v3, vcc
	v_ashrrev_i32_e32 v3, 31, v2
	v_lshl_add_u64 v[10:11], v[2:3], 2, s[6:7]
	v_add_u32_e32 v2, v1, v4
	v_ashrrev_i32_e32 v2, 4, v2
	v_cmp_gt_i32_e32 vcc, s38, v1
	s_nop 1
	v_cndmask_b32_e32 v2, v5, v2, vcc
	v_ashrrev_i32_e32 v3, 31, v2
	v_lshl_add_u64 v[12:13], v[2:3], 2, s[6:7]
	global_load_dword v4, v[6:7], off
	global_load_dword v3, v[8:9], off
	;; [unrolled: 1-line block ×4, first 2 shown]
	s_andn2_b64 vcc, exec, s[10:11]
	s_cbranch_vccnz .LBB299_8
; %bb.6:
	s_add_u32 s8, s8, s16
	s_addc_u32 s9, s9, s17
	s_load_dword s5, s[8:9], 0x0
	s_branch .LBB299_9
.LBB299_7:
	s_mov_b64 s[12:13], 0
	s_branch .LBB299_2
.LBB299_8:
	s_mov_b32 s5, s2
.LBB299_9:
	s_load_dwordx4 s[8:11], s[0:1], 0x48
	v_and_b32_e32 v84, 15, v0
	v_lshlrev_b32_e32 v5, 3, v84
	s_waitcnt lgkmcnt(0)
	s_movk_i32 s11, 0x100
	v_lshrrev_b32_e32 v86, 6, v0
	v_and_b32_e32 v87, 63, v0
	v_bfe_u32 v1, v0, 4, 2
	s_lshl_b32 s27, s4, 4
	v_cmp_gt_u32_e32 vcc, s11, v0
	v_lshlrev_b32_e32 v94, 1, v5
	s_and_saveexec_b64 s[16:17], vcc
	s_cbranch_execz .LBB299_11
; %bb.10:
	s_load_dwordx2 s[20:21], s[0:1], 0x0
	s_ashr_i32 s11, s8, 31
	s_mul_hi_u32 s22, s5, s8
	s_mul_i32 s11, s5, s11
	s_add_i32 s23, s22, s11
	s_mul_i32 s22, s5, s8
	v_lshl_or_b32 v5, v86, 2, v1
	s_lshl_b64 s[22:23], s[22:23], 1
	s_waitcnt lgkmcnt(0)
	s_add_u32 s20, s20, s22
	v_add_lshl_u32 v6, v5, s27, 7
	s_addc_u32 s21, s21, s23
	v_ashrrev_i32_e32 v7, 31, v6
	v_lshl_add_u64 v[6:7], v[6:7], 1, s[20:21]
	v_mov_b32_e32 v95, 0
	v_lshl_add_u64 v[6:7], v[6:7], 0, v[94:95]
	global_load_dwordx4 v[6:9], v[6:7], off
	v_and_b32_e32 v10, 3, v0
	v_lshlrev_b32_e32 v11, 9, v84
	v_lshlrev_b32_e32 v5, 5, v5
	;; [unrolled: 1-line block ×3, first 2 shown]
	v_and_b32_e32 v11, 0x1800, v11
	v_or3_b32 v5, v11, v10, v5
	s_waitcnt vmcnt(0)
	ds_write_b128 v5, v[6:9]
.LBB299_11:
	s_or_b64 exec, exec, s[16:17]
	s_mul_i32 s4, s4, s10
	s_mov_b32 s5, 0
	s_lshl_b64 s[4:5], s[4:5], 1
	s_add_u32 s10, s12, s4
	v_lshlrev_b32_e32 v6, 4, v0
	s_addc_u32 s11, s13, s5
	v_and_b32_e32 v38, 0xf0, v6
	v_mov_b32_e32 v39, 0
	v_lshl_add_u64 v[30:31], s[10:11], 0, v[38:39]
	s_waitcnt vmcnt(3)
	v_mad_i64_i32 v[4:5], s[10:11], v4, s9, 0
	v_lshl_add_u64 v[4:5], v[4:5], 1, v[30:31]
	v_and_b32_e32 v38, 0x300, v6
	v_lshl_add_u64 v[32:33], v[4:5], 0, v[38:39]
	s_load_dword s33, s[0:1], 0x98
	s_load_dword s8, s[0:1], 0x1c
	s_waitcnt lgkmcnt(0)
	s_barrier
	global_load_dwordx4 v[10:13], v[32:33], off
	global_load_dwordx4 v[22:25], v[32:33], off offset:1024
	s_waitcnt vmcnt(4)
	v_mad_i64_i32 v[4:5], s[10:11], v3, s9, 0
	s_waitcnt vmcnt(3)
	v_mad_i64_i32 v[2:3], s[10:11], v2, s9, 0
	v_lshl_add_u64 v[4:5], v[4:5], 1, v[30:31]
	v_lshl_add_u64 v[2:3], v[2:3], 1, v[30:31]
	;; [unrolled: 1-line block ×4, first 2 shown]
	global_load_dwordx4 v[14:17], v[40:41], off
	global_load_dwordx4 v[18:21], v[40:41], off offset:1024
	global_load_dwordx4 v[26:29], v[42:43], off
	global_load_dwordx4 v[64:67], v[40:41], off offset:2048
	global_load_dwordx4 v[48:51], v[42:43], off offset:1024
	v_lshlrev_b32_e32 v2, 5, v84
	v_lshl_or_b32 v85, v1, 9, v2
	ds_read_b128 v[6:9], v85
	scratch_store_dword off, v2, off        ; 4-byte Folded Spill
	ds_read_b128 v[2:5], v85 offset:2048
	global_load_dwordx4 v[56:59], v[32:33], off offset:2048
	v_mov_b32_e32 v72, s19
	v_lshl_or_b32 v89, v86, 4, v84
	s_add_u32 s4, s14, s4
	s_addc_u32 s5, s15, s5
	s_mov_b32 s40, 0xff7fffff
	s_waitcnt vmcnt(8) lgkmcnt(1)
	v_mfma_f32_16x16x16_f16 v[44:47], v[10:11], v[6:7], 0
	v_mfma_f32_16x16x16_f16 v[10:13], v[12:13], v[8:9], v[44:47]
	s_nop 5
	global_load_dwordx4 v[44:47], v[42:43], off offset:2048
	s_waitcnt vmcnt(7)
	v_mfma_f32_16x16x16_f16 v[52:55], v[14:15], v[6:7], 0
	s_waitcnt vmcnt(5)
	v_mfma_f32_16x16x16_f16 v[60:63], v[26:27], v[6:7], 0
	v_mfma_f32_16x16x16_f16 v[14:17], v[16:17], v[8:9], v[52:55]
	s_nop 3
	global_load_dwordx4 v[52:55], v[32:33], off offset:3072
	v_mfma_f32_16x16x16_f16 v[26:29], v[28:29], v[8:9], v[60:63]
	v_mad_i64_i32 v[32:33], s[10:11], v34, s9, 0
	ds_read_b128 v[68:71], v85 offset:4096
	ds_read_b128 v[34:37], v85 offset:6144
	s_waitcnt lgkmcnt(2)
	v_mfma_f32_16x16x16_f16 v[10:13], v[22:23], v[2:3], v[10:13]
	v_and_or_b32 v60, v0, 48, s18
	v_ashrrev_i32_e32 v22, 4, v60
	v_cmp_gt_i32_e32 vcc, s38, v60
	v_mfma_f32_16x16x16_f16 v[14:17], v[18:19], v[2:3], v[14:17]
	v_or_b32_e32 v73, 64, v60
	v_cndmask_b32_e32 v18, v72, v22, vcc
	v_or_b32_e32 v74, 0x80, v60
	s_waitcnt vmcnt(4)
	v_mfma_f32_16x16x16_f16 v[26:29], v[48:49], v[2:3], v[26:29]
	v_or_b32_e32 v75, 0xc0, v60
	global_load_dwordx4 v[60:63], v[40:41], off offset:3072
	v_ashrrev_i32_e32 v19, 31, v18
	v_mfma_f32_16x16x16_f16 v[10:13], v[24:25], v[4:5], v[10:13]
	global_load_dwordx4 v[22:25], v[42:43], off offset:3072
	v_ashrrev_i32_e32 v40, 4, v73
	v_cmp_gt_i32_e32 vcc, s38, v73
	v_ashrrev_i32_e32 v48, 4, v74
	v_lshl_add_u64 v[18:19], v[18:19], 2, s[6:7]
	v_cndmask_b32_e32 v40, v72, v40, vcc
	v_cmp_gt_i32_e32 vcc, s38, v74
	v_mfma_f32_16x16x16_f16 v[14:17], v[20:21], v[4:5], v[14:17]
	global_load_dword v42, v[18:19], off
	v_ashrrev_i32_e32 v41, 31, v40
	v_mfma_f32_16x16x16_f16 v[18:21], v[50:51], v[4:5], v[26:29]
	s_nop 2
	v_cndmask_b32_e32 v28, v72, v48, vcc
	v_ashrrev_i32_e32 v29, 31, v28
	v_lshl_add_u64 v[26:27], v[40:41], 2, s[6:7]
	v_lshl_add_u64 v[28:29], v[28:29], 2, s[6:7]
	global_load_dword v43, v[26:27], off
	global_load_dword v50, v[28:29], off
	v_lshl_add_u64 v[26:27], v[32:33], 1, v[30:31]
	v_lshl_add_u64 v[26:27], v[26:27], 0, v[38:39]
	global_load_dwordx4 v[76:79], v[26:27], off
	global_load_dwordx4 v[80:83], v[26:27], off offset:1024
	v_ashrrev_i32_e32 v40, 4, v75
	v_cmp_gt_i32_e32 vcc, s38, v75
	s_waitcnt lgkmcnt(1)
	v_mfma_f32_16x16x16_f16 v[14:17], v[64:65], v[68:69], v[14:17]
	v_lshlrev_b32_e32 v38, 5, v89
	v_cndmask_b32_e32 v28, v72, v40, vcc
	v_ashrrev_i32_e32 v29, 31, v28
	v_lshl_add_u64 v[28:29], v[28:29], 2, s[6:7]
	s_waitcnt vmcnt(9)
	v_mfma_f32_16x16x16_f16 v[10:13], v[56:57], v[68:69], v[10:13]
	global_load_dword v56, v[28:29], off
	v_lshl_add_u64 v[40:41], s[4:5], 0, v[38:39]
	v_or_b32_e32 v38, 0x800, v38
	v_mfma_f32_16x16x16_f16 v[14:17], v[66:67], v[70:71], v[14:17]
	global_load_dwordx4 v[64:67], v[26:27], off offset:3072
	s_waitcnt vmcnt(10)
	v_mfma_f32_16x16x16_f16 v[18:21], v[44:45], v[68:69], v[18:21]
	v_mfma_f32_16x16x16_f16 v[18:21], v[46:47], v[70:71], v[18:21]
	global_load_dwordx4 v[44:47], v[26:27], off offset:2048
	v_mfma_f32_16x16x16_f16 v[10:13], v[58:59], v[70:71], v[10:13]
	s_waitcnt vmcnt(10) lgkmcnt(0)
	v_mfma_f32_16x16x16_f16 v[10:13], v[52:53], v[34:35], v[10:13]
	s_waitcnt vmcnt(8)
	v_mfma_f32_16x16x16_f16 v[18:21], v[22:23], v[34:35], v[18:21]
	s_waitcnt vmcnt(7)
	v_mad_i64_i32 v[22:23], s[6:7], v42, s9, 0
	v_mfma_f32_16x16x16_f16 v[52:55], v[54:55], v[36:37], v[10:13]
	v_lshlrev_b64 v[48:49], 1, v[22:23]
	s_nop 1
	v_lshl_add_u64 v[12:13], v[40:41], 0, v[48:49]
	global_load_dwordx4 v[30:33], v[12:13], off
	global_load_dwordx4 v[26:29], v[12:13], off offset:16
	v_mfma_f32_16x16x16_f16 v[72:75], v[24:25], v[36:37], v[18:21]
	s_waitcnt vmcnt(8)
	v_mad_i64_i32 v[10:11], s[6:7], v43, s9, 0
	v_lshlrev_b64 v[42:43], 1, v[10:11]
	v_lshl_add_u64 v[10:11], v[40:41], 0, v[42:43]
	global_load_dwordx4 v[22:25], v[10:11], off
	global_load_dwordx4 v[18:21], v[10:11], off offset:16
	s_waitcnt vmcnt(8)
	v_mfma_f32_16x16x16_f16 v[10:13], v[76:77], v[6:7], 0
	v_mad_i64_i32 v[6:7], s[6:7], v50, s9, 0
	v_lshlrev_b64 v[50:51], 1, v[6:7]
	v_mfma_f32_16x16x16_f16 v[6:9], v[78:79], v[8:9], v[10:13]
	v_mfma_f32_16x16x16_f16 v[14:17], v[60:61], v[34:35], v[14:17]
	s_nop 2
	v_lshl_add_u64 v[10:11], v[40:41], 0, v[50:51]
	s_waitcnt vmcnt(7)
	v_mfma_f32_16x16x16_f16 v[6:9], v[80:81], v[2:3], v[6:9]
	s_waitcnt vmcnt(6)
	v_mad_i64_i32 v[2:3], s[6:7], v56, s9, 0
	v_lshlrev_b64 v[58:59], 1, v[2:3]
	v_mfma_f32_16x16x16_f16 v[90:93], v[62:63], v[36:37], v[14:17]
	v_lshl_add_u64 v[2:3], v[40:41], 0, v[58:59]
	v_pk_mul_f32 v[80:81], s[8:9], v[54:55] op_sel_hi:[0,1]
	s_nop 0
	global_load_dwordx4 v[14:17], v[10:11], off
	s_nop 0
	global_load_dwordx4 v[10:13], v[10:11], off offset:16
	v_mfma_f32_16x16x16_f16 v[60:63], v[82:83], v[4:5], v[6:9]
	v_pk_mul_f32 v[82:83], s[8:9], v[92:93] op_sel_hi:[0,1]
	s_nop 1
	global_load_dwordx4 v[6:9], v[2:3], off
	s_nop 0
	global_load_dwordx4 v[2:5], v[2:3], off offset:16
	s_waitcnt vmcnt(8)
	v_mfma_f32_16x16x16_f16 v[76:79], v[44:45], v[68:69], v[60:63]
	s_nop 2
	v_lshl_add_u64 v[62:63], s[4:5], 0, v[38:39]
	v_pk_mul_f32 v[60:61], s[8:9], v[52:53] op_sel_hi:[0,1]
	v_lshl_add_u64 v[44:45], v[62:63], 0, v[48:49]
	v_mfma_f32_16x16x16_f16 v[38:41], v[46:47], v[70:71], v[76:79]
	v_pk_mul_f32 v[70:71], s[8:9], v[90:91] op_sel_hi:[0,1]
	v_lshl_add_u64 v[50:51], v[62:63], 0, v[50:51]
	v_lshl_add_u64 v[58:59], v[62:63], 0, v[58:59]
	v_mfma_f32_16x16x16_f16 v[38:41], v[64:65], v[34:35], v[38:41]
	v_pk_mul_f32 v[78:79], s[8:9], v[72:73] op_sel_hi:[0,1]
	v_pk_mul_f32 v[76:77], s[8:9], v[74:75] op_sel_hi:[0,1]
	v_mfma_f32_16x16x16_f16 v[34:37], v[66:67], v[36:37], v[38:41]
	s_nop 6
	v_pk_mul_f32 v[72:73], s[8:9], v[34:35] op_sel_hi:[0,1]
	v_and_b32_e32 v34, 0xc0, v0
	v_add_u32_e32 v34, s18, v34
	v_lshl_or_b32 v34, v1, 2, v34
	v_pk_mul_f32 v[66:67], s[8:9], v[36:37] op_sel_hi:[0,1]
	v_or_b32_e32 v37, 1, v34
	v_mov_b32_e32 v35, 0xff7fffff
	v_cmp_gt_i32_e64 s[28:29], s38, v34
	v_cmp_gt_i32_e64 s[30:31], s38, v37
	v_or_b32_e32 v38, 3, v34
	v_cndmask_b32_e64 v36, v35, v60, s[28:29]
	v_cndmask_b32_e64 v37, v35, v61, s[30:31]
	v_max3_f32 v36, v36, s40, v37
	v_or_b32_e32 v37, 2, v34
	v_cmp_gt_i32_e64 s[34:35], s38, v37
	v_cmp_gt_i32_e64 s[36:37], s38, v38
	s_nop 0
	v_cndmask_b32_e64 v37, v35, v80, s[34:35]
	v_cndmask_b32_e64 v38, v35, v81, s[36:37]
	v_max3_f32 v36, v36, v37, v38
	v_or_b32_e32 v37, 16, v34
	v_or_b32_e32 v38, 17, v34
	v_cmp_gt_i32_e64 s[22:23], s38, v37
	v_cmp_gt_i32_e64 s[24:25], s38, v38
	s_nop 0
	v_cndmask_b32_e64 v37, v35, v70, s[22:23]
	v_cndmask_b32_e64 v38, v35, v71, s[24:25]
	v_max3_f32 v36, v36, v37, v38
	v_or_b32_e32 v37, 18, v34
	;; [unrolled: 8-line block ×6, first 2 shown]
	v_or_b32_e32 v34, 51, v34
	v_cmp_gt_i32_e32 vcc, s38, v37
	v_cmp_gt_i32_e64 s[4:5], s38, v34
	global_load_dwordx4 v[46:49], v[44:45], off
	global_load_dwordx4 v[38:41], v[44:45], off offset:16
	v_cndmask_b32_e32 v37, v35, v66, vcc
	v_cndmask_b32_e64 v34, v35, v67, s[4:5]
	v_max3_f32 v52, v36, v37, v34
	v_mbcnt_lo_u32_b32 v34, -1, 0
	v_mbcnt_hi_u32_b32 v53, -1, v34
	v_and_b32_e32 v34, 64, v53
	v_add_u32_e32 v54, 64, v34
	v_xor_b32_e32 v34, 32, v53
	v_cmp_lt_i32_e64 s[38:39], v34, v54
	s_nop 1
	v_cndmask_b32_e64 v34, v53, v34, s[38:39]
	v_lshlrev_b32_e32 v74, 2, v34
	ds_bpermute_b32 v55, v74, v52
	v_lshl_add_u64 v[34:35], v[62:63], 0, v[42:43]
	global_load_dwordx4 v[42:45], v[34:35], off
	s_nop 0
	global_load_dwordx4 v[34:37], v[34:35], off offset:16
	s_waitcnt lgkmcnt(0)
	v_max_f32_e32 v55, v55, v55
	v_max_f32_e32 v64, v52, v55
	v_xor_b32_e32 v52, 16, v53
	v_cmp_lt_i32_e64 s[38:39], v52, v54
	s_nop 1
	v_cndmask_b32_e64 v52, v53, v52, s[38:39]
	v_lshlrev_b32_e32 v75, 2, v52
	ds_bpermute_b32 v65, v75, v64
	global_load_dwordx4 v[54:57], v[50:51], off
	s_nop 0
	global_load_dwordx4 v[50:53], v[50:51], off offset:16
	s_waitcnt lgkmcnt(0)
	v_max_f32_e32 v62, v65, v65
	v_max_f32_e32 v90, v64, v62
	v_sub_f32_e32 v60, v60, v90
	v_mul_f32_e32 v60, 0x3fb8aa3b, v60
	v_exp_f32_e32 v68, v60
	v_sub_f32_e32 v60, v61, v90
	v_mul_f32_e32 v60, 0x3fb8aa3b, v60
	v_exp_f32_e32 v69, v60
	global_load_dwordx4 v[62:65], v[58:59], off
	s_nop 0
	global_load_dwordx4 v[58:61], v[58:59], off offset:16
	v_sub_f32_e32 v80, v80, v90
	v_mul_f32_e32 v80, 0x3fb8aa3b, v80
	v_sub_f32_e32 v81, v81, v90
	v_exp_f32_e32 v80, v80
	v_mul_f32_e32 v81, 0x3fb8aa3b, v81
	v_sub_f32_e32 v70, v70, v90
	v_exp_f32_e32 v81, v81
	v_mul_f32_e32 v70, 0x3fb8aa3b, v70
	v_sub_f32_e32 v71, v71, v90
	v_cndmask_b32_e64 v68, 0, v68, s[28:29]
	v_exp_f32_e32 v70, v70
	v_mul_f32_e32 v71, 0x3fb8aa3b, v71
	v_sub_f32_e32 v82, v82, v90
	v_add_f32_e32 v91, 0, v68
	v_cndmask_b32_e64 v69, 0, v69, s[30:31]
	v_exp_f32_e32 v71, v71
	v_mul_f32_e32 v82, 0x3fb8aa3b, v82
	v_sub_f32_e32 v83, v83, v90
	v_add_f32_e32 v91, v91, v69
	;; [unrolled: 5-line block ×10, first 2 shown]
	v_cndmask_b32_e64 v76, 0, v76, s[10:11]
	v_exp_f32_e32 v66, v66
	v_mul_f32_e32 v67, 0x3fb8aa3b, v67
	v_add_f32_e32 v91, v91, v76
	v_cndmask_b32_e64 v77, 0, v77, s[12:13]
	v_exp_f32_e32 v67, v67
	v_add_f32_e32 v91, v91, v77
	v_cndmask_b32_e64 v72, 0, v72, s[6:7]
	v_add_f32_e32 v91, v91, v72
	v_cndmask_b32_e64 v73, 0, v73, s[8:9]
	v_add_f32_e32 v91, v91, v73
	v_cndmask_b32_e32 v66, 0, v66, vcc
	v_add_f32_e32 v91, v91, v66
	v_cndmask_b32_e64 v67, 0, v67, s[4:5]
	v_add_f32_e32 v91, v91, v67
	ds_bpermute_b32 v74, v74, v91
	v_cmp_gt_u32_e32 vcc, 16, v87
	s_waitcnt lgkmcnt(0)
	s_barrier
	v_add_f32_e32 v91, v91, v74
	ds_bpermute_b32 v92, v75, v91
	s_and_saveexec_b64 s[4:5], vcc
	s_cbranch_execz .LBB299_13
; %bb.12:
	s_waitcnt lgkmcnt(0)
	v_add_f32_e32 v74, v91, v92
	v_lshlrev_b32_e32 v75, 2, v89
	ds_write2st64_b32 v75, v90, v74 offset1:1
.LBB299_13:
	s_or_b64 exec, exec, s[4:5]
	v_lshlrev_b32_e32 v89, 2, v84
	s_load_dword s6, s[0:1], 0x94
	s_waitcnt lgkmcnt(0)
	s_barrier
	ds_read2_b32 v[74:75], v89 offset1:16
	ds_read2_b32 v[90:91], v89 offset0:32 offset1:48
	ds_read2_b32 v[92:93], v89 offset0:64 offset1:80
	s_lshl_b32 s7, s33, 4
	s_waitcnt lgkmcnt(2)
	v_max3_f32 v87, v74, s40, v75
	s_waitcnt lgkmcnt(1)
	v_max3_f32 v87, v87, v90, v91
	v_sub_f32_e32 v74, v74, v87
	v_mul_f32_e32 v74, 0x3fb8aa3b, v74
	v_exp_f32_e32 v95, v74
	v_sub_f32_e32 v74, v75, v87
	v_mul_f32_e32 v74, 0x3fb8aa3b, v74
	v_exp_f32_e32 v1, v74
	;; [unrolled: 3-line block ×3, first 2 shown]
	ds_read2_b32 v[74:75], v89 offset0:96 offset1:112
	v_sub_f32_e32 v89, v91, v87
	v_mul_f32_e32 v89, 0x3fb8aa3b, v89
	v_exp_f32_e32 v91, v89
	s_waitcnt lgkmcnt(1)
	v_fma_f32 v89, v95, v92, 0
	v_fmac_f32_e32 v89, v1, v93
	s_waitcnt lgkmcnt(0)
	v_fmac_f32_e32 v89, v90, v74
	v_fmac_f32_e32 v89, v91, v75
	v_add_f32_e32 v74, 0x358637bd, v89
	v_div_scale_f32 v75, s[4:5], v74, v74, 1.0
	v_rcp_f32_e32 v92, v75
	s_barrier
	v_fma_f32 v93, -v75, v92, 1.0
	v_fmac_f32_e32 v92, v93, v92
	v_div_scale_f32 v93, vcc, 1.0, v74, 1.0
	v_mul_f32_e32 v88, v93, v92
	v_fma_f32 v84, -v75, v88, v93
	v_fmac_f32_e32 v88, v84, v92
	v_fma_f32 v75, -v75, v88, v93
	v_div_fmas_f32 v75, v75, v92, v88
	v_cmp_eq_u32_e32 vcc, 1, v86
	v_div_fixup_f32 v74, v75, v74, 1.0
	v_bfe_u32 v84, v0, 4, 2
	v_cndmask_b32_e32 v1, v95, v1, vcc
	v_cmp_eq_u32_e32 vcc, 2, v86
	s_nop 1
	v_cndmask_b32_e32 v1, v1, v90, vcc
	v_cmp_eq_u32_e32 vcc, 3, v86
	s_nop 1
	v_cndmask_b32_e32 v1, v1, v91, vcc
	v_mul_f32_e32 v74, v1, v74
	v_pk_mul_f32 v[80:81], v[74:75], v[80:81] op_sel_hi:[0,1]
	v_pk_mul_f32 v[68:69], v[74:75], v[68:69] op_sel_hi:[0,1]
	v_cvt_f16_f32_e32 v75, v81
	v_cvt_f16_f32_e32 v1, v68
	;; [unrolled: 1-line block ×4, first 2 shown]
	v_pk_mul_f32 v[80:81], v[74:75], v[82:83] op_sel_hi:[0,1]
	scratch_load_dword v82, off, off        ; 4-byte Folded Reload
	v_pk_mul_f32 v[70:71], v[74:75], v[70:71] op_sel_hi:[0,1]
	v_pack_b32_f16 v69, v69, v75
	v_cvt_f16_f32_e32 v70, v70
	v_cvt_f16_f32_e32 v71, v71
	;; [unrolled: 1-line block ×4, first 2 shown]
	v_pack_b32_f16 v68, v1, v68
	v_lshlrev_b32_e32 v1, 3, v84
	v_lshlrev_b32_e32 v80, 11, v86
	v_pack_b32_f16 v70, v70, v71
	v_pack_b32_f16 v71, v75, v81
	v_cmp_gt_u32_e32 vcc, 16, v0
	s_waitcnt vmcnt(0)
	v_or3_b32 v80, v80, v82, v1
	ds_write2st64_b64 v80, v[68:69], v[70:71] offset1:1
	v_pk_mul_f32 v[68:69], v[74:75], v[76:77] op_sel_hi:[0,1]
	v_pk_mul_f32 v[70:71], v[74:75], v[78:79] op_sel_hi:[0,1]
	v_cvt_f16_f32_e32 v75, v69
	v_cvt_f16_f32_e32 v1, v70
	;; [unrolled: 1-line block ×4, first 2 shown]
	v_pk_mul_f32 v[66:67], v[74:75], v[66:67] op_sel_hi:[0,1]
	v_pk_mul_f32 v[68:69], v[74:75], v[72:73] op_sel_hi:[0,1]
	v_cvt_f16_f32_e32 v68, v68
	v_cvt_f16_f32_e32 v69, v69
	;; [unrolled: 1-line block ×4, first 2 shown]
	v_pack_b32_f16 v66, v1, v70
	v_pack_b32_f16 v67, v71, v75
	;; [unrolled: 1-line block ×4, first 2 shown]
	ds_write2st64_b64 v80, v[66:67], v[68:69] offset0:2 offset1:3
	s_and_saveexec_b64 s[4:5], vcc
	s_cbranch_execz .LBB299_15
; %bb.14:
	v_or_b32_e32 v66, s27, v0
	v_mov_b32_e32 v67, 0
	v_mov_b32_e32 v1, s7
	v_mad_u64_u32 v[68:69], s[12:13], s2, v1, v[66:67]
	v_mov_b32_e32 v66, s26
	s_load_dwordx4 s[8:11], s[0:1], 0x58
	s_mul_i32 s3, s3, s7
	v_mad_u64_u32 v[66:67], s[12:13], v68, s6, v[66:67]
	v_add_u32_e32 v1, s3, v69
	v_mov_b32_e32 v68, v67
	v_mad_u64_u32 v[68:69], s[12:13], v1, s6, v[68:69]
	v_mov_b32_e32 v67, v68
	v_lshlrev_b64 v[66:67], 2, v[66:67]
	s_waitcnt lgkmcnt(0)
	v_lshl_add_u64 v[68:69], s[10:11], 0, v[66:67]
	v_lshl_add_u64 v[66:67], s[8:9], 0, v[66:67]
	global_store_dword v[68:69], v87, off
	global_store_dword v[66:67], v89, off
.LBB299_15:
	s_or_b64 exec, exec, s[4:5]
	s_waitcnt lgkmcnt(0)
	s_barrier
	ds_read_b128 v[70:73], v85
	ds_read_b128 v[66:69], v85 offset:16
	s_waitcnt lgkmcnt(1)
	v_mfma_f32_16x16x16_f16 v[74:77], v[30:31], v[70:71], 0
	s_mov_b32 s3, 0
	v_cmp_gt_u32_e32 vcc, 64, v0
	v_mfma_f32_16x16x16_f16 v[30:33], v[32:33], v[72:73], v[74:77]
	s_waitcnt lgkmcnt(0)
	v_mfma_f32_16x16x16_f16 v[30:33], v[26:27], v[66:67], v[30:33]
	v_mfma_f32_16x16x16_f16 v[26:29], v[28:29], v[68:69], v[30:33]
	s_nop 5
	ds_read_b128 v[30:33], v85 offset:2048
	ds_read_b128 v[74:77], v85 offset:2064
	s_waitcnt lgkmcnt(1)
	v_mfma_f32_16x16x16_f16 v[26:29], v[22:23], v[30:31], v[26:29]
	v_mfma_f32_16x16x16_f16 v[22:25], v[24:25], v[32:33], v[26:29]
	s_waitcnt lgkmcnt(0)
	v_mfma_f32_16x16x16_f16 v[22:25], v[18:19], v[74:75], v[22:25]
	v_mfma_f32_16x16x16_f16 v[18:21], v[20:21], v[76:77], v[22:25]
	s_nop 5
	ds_read_b128 v[22:25], v85 offset:4096
	ds_read_b128 v[26:29], v85 offset:4112
	s_waitcnt lgkmcnt(1)
	v_mfma_f32_16x16x16_f16 v[18:21], v[14:15], v[22:23], v[18:21]
	v_mfma_f32_16x16x16_f16 v[14:17], v[16:17], v[24:25], v[18:21]
	s_waitcnt lgkmcnt(0)
	v_mfma_f32_16x16x16_f16 v[14:17], v[10:11], v[26:27], v[14:17]
	v_mfma_f32_16x16x16_f16 v[10:13], v[12:13], v[28:29], v[14:17]
	s_nop 5
	ds_read_b128 v[14:17], v85 offset:6144
	ds_read_b128 v[18:21], v85 offset:6160
	s_waitcnt lgkmcnt(0)
	s_barrier
	v_mfma_f32_16x16x16_f16 v[10:13], v[6:7], v[14:15], v[10:13]
	v_mfma_f32_16x16x16_f16 v[6:9], v[8:9], v[16:17], v[10:13]
	;; [unrolled: 1-line block ×6, first 2 shown]
	s_nop 4
	v_cvt_f16_f32_e32 v1, v2
	v_cvt_f16_f32_e32 v10, v3
	;; [unrolled: 1-line block ×3, first 2 shown]
	v_mfma_f32_16x16x16_f16 v[6:9], v[38:39], v[66:67], v[6:9]
	v_cvt_f16_f32_e32 v12, v5
	v_mfma_f32_16x16x16_f16 v[6:9], v[40:41], v[68:69], v[6:9]
	v_mfma_f32_16x16x16_f16 v[6:9], v[42:43], v[30:31], v[6:9]
	;; [unrolled: 1-line block ×13, first 2 shown]
	s_nop 6
	v_cvt_f16_f32_e32 v6, v2
	v_cvt_f16_f32_e32 v7, v3
	;; [unrolled: 1-line block ×4, first 2 shown]
	v_pack_b32_f16 v2, v1, v10
	v_pack_b32_f16 v3, v11, v12
	;; [unrolled: 1-line block ×4, first 2 shown]
	ds_write2st64_b64 v80, v[2:3], v[4:5] offset1:1
	s_waitcnt lgkmcnt(0)
	s_barrier
	s_and_saveexec_b64 s[4:5], vcc
	s_cbranch_execz .LBB299_17
; %bb.16:
	s_load_dwordx2 s[0:1], s[0:1], 0x68
	s_lshl_b32 s6, s6, 7
	s_mul_i32 s2, s7, s2
	s_mul_hi_u32 s5, s2, s6
	s_mul_i32 s4, s2, s6
	s_lshl_b64 s[4:5], s[4:5], 1
	v_and_b32_e32 v3, 15, v0
	s_waitcnt lgkmcnt(0)
	s_add_u32 s4, s0, s4
	v_lshlrev_b32_e32 v3, 6, v3
	s_addc_u32 s5, s1, s5
	s_lshl_b32 s2, s26, 7
	v_lshlrev_b32_e32 v2, 4, v0
	v_lshl_or_b32 v0, v0, 10, v3
	s_lshl_b64 s[0:1], s[2:3], 1
	v_lshlrev_b32_e32 v1, 5, v84
	v_and_b32_e32 v2, 16, v2
	v_and_b32_e32 v0, 0x1a00, v0
	s_add_u32 s0, s4, s0
	v_or3_b32 v0, v0, v1, v2
	s_addc_u32 s1, s5, s1
	v_mov_b32_e32 v95, 0
	v_or_b32_e32 v20, s27, v84
	ds_read_b128 v[2:5], v0
	ds_read_b128 v[6:9], v0 offset:128
	ds_read_b128 v[10:13], v0 offset:256
	;; [unrolled: 1-line block ×3, first 2 shown]
	v_lshl_add_u64 v[18:19], s[0:1], 0, v[94:95]
	v_mad_u64_u32 v[0:1], s[0:1], v20, s6, 0
	v_lshl_add_u64 v[0:1], v[0:1], 1, v[18:19]
	s_waitcnt lgkmcnt(3)
	global_store_dwordx4 v[0:1], v[2:5], off
	v_or_b32_e32 v0, 4, v20
	v_mad_u64_u32 v[0:1], s[0:1], v0, s6, 0
	v_lshl_add_u64 v[0:1], v[0:1], 1, v[18:19]
	s_waitcnt lgkmcnt(2)
	global_store_dwordx4 v[0:1], v[6:9], off
	v_or_b32_e32 v0, 8, v20
	;; [unrolled: 5-line block ×3, first 2 shown]
	v_mad_u64_u32 v[0:1], s[0:1], v0, s6, 0
	v_lshl_add_u64 v[0:1], v[0:1], 1, v[18:19]
	s_waitcnt lgkmcnt(0)
	global_store_dwordx4 v[0:1], v[14:17], off
.LBB299_17:
	s_endpgm
	.section	.rodata,"a",@progbits
	.p2align	6, 0x0
	.amdhsa_kernel _Z39paged_attention_ll4mi_QKV_mfma16_kernelIDF16_DF16_LN4vllm18Fp8KVCacheDataTypeE0EDF16_Li16ELi128ELi256ELb0ELi16EEvPKT_PKT0_S7_ifPKiS9_S9_iPKfiiiPfSC_PS2_PT2_iSB_SB_
		.amdhsa_group_segment_fixed_size 8192
		.amdhsa_private_segment_fixed_size 8
		.amdhsa_kernarg_size 400
		.amdhsa_user_sgpr_count 2
		.amdhsa_user_sgpr_dispatch_ptr 0
		.amdhsa_user_sgpr_queue_ptr 0
		.amdhsa_user_sgpr_kernarg_segment_ptr 1
		.amdhsa_user_sgpr_dispatch_id 0
		.amdhsa_user_sgpr_kernarg_preload_length 0
		.amdhsa_user_sgpr_kernarg_preload_offset 0
		.amdhsa_user_sgpr_private_segment_size 0
		.amdhsa_uses_dynamic_stack 0
		.amdhsa_enable_private_segment 1
		.amdhsa_system_sgpr_workgroup_id_x 1
		.amdhsa_system_sgpr_workgroup_id_y 1
		.amdhsa_system_sgpr_workgroup_id_z 1
		.amdhsa_system_sgpr_workgroup_info 0
		.amdhsa_system_vgpr_workitem_id 0
		.amdhsa_next_free_vgpr 96
		.amdhsa_next_free_sgpr 41
		.amdhsa_accum_offset 96
		.amdhsa_reserve_vcc 1
		.amdhsa_float_round_mode_32 0
		.amdhsa_float_round_mode_16_64 0
		.amdhsa_float_denorm_mode_32 3
		.amdhsa_float_denorm_mode_16_64 3
		.amdhsa_dx10_clamp 1
		.amdhsa_ieee_mode 1
		.amdhsa_fp16_overflow 0
		.amdhsa_tg_split 0
		.amdhsa_exception_fp_ieee_invalid_op 0
		.amdhsa_exception_fp_denorm_src 0
		.amdhsa_exception_fp_ieee_div_zero 0
		.amdhsa_exception_fp_ieee_overflow 0
		.amdhsa_exception_fp_ieee_underflow 0
		.amdhsa_exception_fp_ieee_inexact 0
		.amdhsa_exception_int_div_zero 0
	.end_amdhsa_kernel
	.section	.text._Z39paged_attention_ll4mi_QKV_mfma16_kernelIDF16_DF16_LN4vllm18Fp8KVCacheDataTypeE0EDF16_Li16ELi128ELi256ELb0ELi16EEvPKT_PKT0_S7_ifPKiS9_S9_iPKfiiiPfSC_PS2_PT2_iSB_SB_,"axG",@progbits,_Z39paged_attention_ll4mi_QKV_mfma16_kernelIDF16_DF16_LN4vllm18Fp8KVCacheDataTypeE0EDF16_Li16ELi128ELi256ELb0ELi16EEvPKT_PKT0_S7_ifPKiS9_S9_iPKfiiiPfSC_PS2_PT2_iSB_SB_,comdat
.Lfunc_end299:
	.size	_Z39paged_attention_ll4mi_QKV_mfma16_kernelIDF16_DF16_LN4vllm18Fp8KVCacheDataTypeE0EDF16_Li16ELi128ELi256ELb0ELi16EEvPKT_PKT0_S7_ifPKiS9_S9_iPKfiiiPfSC_PS2_PT2_iSB_SB_, .Lfunc_end299-_Z39paged_attention_ll4mi_QKV_mfma16_kernelIDF16_DF16_LN4vllm18Fp8KVCacheDataTypeE0EDF16_Li16ELi128ELi256ELb0ELi16EEvPKT_PKT0_S7_ifPKiS9_S9_iPKfiiiPfSC_PS2_PT2_iSB_SB_
                                        ; -- End function
	.section	.AMDGPU.csdata,"",@progbits
; Kernel info:
; codeLenInByte = 4416
; NumSgprs: 47
; NumVgprs: 96
; NumAgprs: 0
; TotalNumVgprs: 96
; ScratchSize: 8
; MemoryBound: 0
; FloatMode: 240
; IeeeMode: 1
; LDSByteSize: 8192 bytes/workgroup (compile time only)
; SGPRBlocks: 5
; VGPRBlocks: 11
; NumSGPRsForWavesPerEU: 47
; NumVGPRsForWavesPerEU: 96
; AccumOffset: 96
; Occupancy: 5
; WaveLimiterHint : 1
; COMPUTE_PGM_RSRC2:SCRATCH_EN: 1
; COMPUTE_PGM_RSRC2:USER_SGPR: 2
; COMPUTE_PGM_RSRC2:TRAP_HANDLER: 0
; COMPUTE_PGM_RSRC2:TGID_X_EN: 1
; COMPUTE_PGM_RSRC2:TGID_Y_EN: 1
; COMPUTE_PGM_RSRC2:TGID_Z_EN: 1
; COMPUTE_PGM_RSRC2:TIDIG_COMP_CNT: 0
; COMPUTE_PGM_RSRC3_GFX90A:ACCUM_OFFSET: 23
; COMPUTE_PGM_RSRC3_GFX90A:TG_SPLIT: 0
	.section	.text._Z39paged_attention_ll4mi_QKV_mfma16_kernelIDF16_DF16_LN4vllm18Fp8KVCacheDataTypeE0EDF16_Li16ELi128ELi256ELb0ELi1EEvPKT_PKT0_S7_ifPKiS9_S9_iPKfiiiPfSC_PS2_PT2_iSB_SB_,"axG",@progbits,_Z39paged_attention_ll4mi_QKV_mfma16_kernelIDF16_DF16_LN4vllm18Fp8KVCacheDataTypeE0EDF16_Li16ELi128ELi256ELb0ELi1EEvPKT_PKT0_S7_ifPKiS9_S9_iPKfiiiPfSC_PS2_PT2_iSB_SB_,comdat
	.protected	_Z39paged_attention_ll4mi_QKV_mfma16_kernelIDF16_DF16_LN4vllm18Fp8KVCacheDataTypeE0EDF16_Li16ELi128ELi256ELb0ELi1EEvPKT_PKT0_S7_ifPKiS9_S9_iPKfiiiPfSC_PS2_PT2_iSB_SB_ ; -- Begin function _Z39paged_attention_ll4mi_QKV_mfma16_kernelIDF16_DF16_LN4vllm18Fp8KVCacheDataTypeE0EDF16_Li16ELi128ELi256ELb0ELi1EEvPKT_PKT0_S7_ifPKiS9_S9_iPKfiiiPfSC_PS2_PT2_iSB_SB_
	.globl	_Z39paged_attention_ll4mi_QKV_mfma16_kernelIDF16_DF16_LN4vllm18Fp8KVCacheDataTypeE0EDF16_Li16ELi128ELi256ELb0ELi1EEvPKT_PKT0_S7_ifPKiS9_S9_iPKfiiiPfSC_PS2_PT2_iSB_SB_
	.p2align	8
	.type	_Z39paged_attention_ll4mi_QKV_mfma16_kernelIDF16_DF16_LN4vllm18Fp8KVCacheDataTypeE0EDF16_Li16ELi128ELi256ELb0ELi1EEvPKT_PKT0_S7_ifPKiS9_S9_iPKfiiiPfSC_PS2_PT2_iSB_SB_,@function
_Z39paged_attention_ll4mi_QKV_mfma16_kernelIDF16_DF16_LN4vllm18Fp8KVCacheDataTypeE0EDF16_Li16ELi128ELi256ELb0ELi1EEvPKT_PKT0_S7_ifPKiS9_S9_iPKfiiiPfSC_PS2_PT2_iSB_SB_: ; @_Z39paged_attention_ll4mi_QKV_mfma16_kernelIDF16_DF16_LN4vllm18Fp8KVCacheDataTypeE0EDF16_Li16ELi128ELi256ELb0ELi1EEvPKT_PKT0_S7_ifPKiS9_S9_iPKfiiiPfSC_PS2_PT2_iSB_SB_
; %bb.0:
	s_load_dwordx2 s[8:9], s[0:1], 0x30
	s_mov_b32 s5, s3
	s_mov_b64 s[6:7], 0
	s_waitcnt lgkmcnt(0)
	s_cmp_lg_u64 s[8:9], 0
	s_cselect_b64 s[10:11], -1, 0
	s_and_b64 vcc, exec, s[10:11]
	s_cbranch_vccz .LBB300_7
; %bb.1:
	s_add_i32 s12, s2, 1
	s_mov_b32 s13, 0
	s_lshl_b64 s[14:15], s[12:13], 2
	s_add_u32 s14, s8, s14
	s_mov_b32 s3, s13
	s_addc_u32 s15, s9, s15
	s_lshl_b64 s[12:13], s[2:3], 2
	s_add_u32 s12, s8, s12
	s_addc_u32 s13, s9, s13
	s_load_dword s16, s[14:15], 0x0
	s_load_dword s17, s[12:13], 0x0
	s_waitcnt lgkmcnt(0)
	s_sub_i32 s12, s16, s17
	s_cmp_eq_u32 s12, 1
	s_cselect_b64 s[12:13], -1, 0
	s_andn2_b64 vcc, exec, s[6:7]
	s_cbranch_vccnz .LBB300_3
.LBB300_2:
	s_mov_b32 s3, 0
	s_mov_b64 s[12:13], -1
.LBB300_3:
	s_andn2_b64 vcc, exec, s[12:13]
	s_cbranch_vccnz .LBB300_17
; %bb.4:
	s_load_dwordx2 s[6:7], s[0:1], 0x28
	s_lshl_b64 s[16:17], s[2:3], 2
	s_waitcnt lgkmcnt(0)
	s_add_u32 s6, s6, s16
	s_addc_u32 s7, s7, s17
	s_load_dword s26, s[6:7], 0x0
	s_lshl_b32 s18, s5, 8
	s_waitcnt lgkmcnt(0)
	s_cmp_ge_i32 s18, s26
	s_cbranch_scc1 .LBB300_17
; %bb.5:
	s_load_dwordx2 s[6:7], s[0:1], 0x20
	s_load_dword s12, s[0:1], 0x38
	s_add_i32 s13, s26, 15
	s_ashr_i32 s14, s13, 31
	v_and_b32_e32 v1, 0xcf, v0
	s_lshr_b32 s14, s14, 28
	v_add_u32_e32 v1, s18, v1
	s_add_i32 s13, s13, s14
	v_ashrrev_i32_e32 v2, 31, v1
	s_ashr_i32 s19, s13, 4
	v_lshrrev_b32_e32 v4, 28, v2
	s_add_i32 s19, s19, -1
	s_waitcnt lgkmcnt(0)
	s_mul_i32 s12, s2, s12
	s_mov_b32 s13, 0
	v_add_u32_e32 v2, v1, v4
	s_lshl_b64 s[12:13], s[12:13], 2
	v_ashrrev_i32_e32 v2, 4, v2
	v_mov_b32_e32 v5, s19
	v_cmp_gt_i32_e32 vcc, s26, v1
	s_add_u32 s6, s6, s12
	s_addc_u32 s7, s7, s13
	v_cndmask_b32_e32 v2, v5, v2, vcc
	v_ashrrev_i32_e32 v3, 31, v2
	v_lshl_add_u64 v[6:7], v[2:3], 2, s[6:7]
	v_or_b32_e32 v2, 16, v1
	v_add_u32_e32 v3, v2, v4
	v_ashrrev_i32_e32 v3, 4, v3
	v_cmp_gt_i32_e32 vcc, s26, v2
	s_load_dwordx4 s[12:15], s[0:1], 0x8
	s_nop 0
	v_cndmask_b32_e32 v2, v5, v3, vcc
	v_ashrrev_i32_e32 v3, 31, v2
	v_lshl_add_u64 v[8:9], v[2:3], 2, s[6:7]
	v_or_b32_e32 v2, 32, v1
	v_add_u32_e32 v3, v2, v4
	v_ashrrev_i32_e32 v3, 4, v3
	v_cmp_gt_i32_e32 vcc, s26, v2
	v_or_b32_e32 v1, 48, v1
	s_nop 0
	v_cndmask_b32_e32 v2, v5, v3, vcc
	v_ashrrev_i32_e32 v3, 31, v2
	v_lshl_add_u64 v[10:11], v[2:3], 2, s[6:7]
	v_add_u32_e32 v2, v1, v4
	v_ashrrev_i32_e32 v2, 4, v2
	v_cmp_gt_i32_e32 vcc, s26, v1
	s_nop 1
	v_cndmask_b32_e32 v2, v5, v2, vcc
	v_ashrrev_i32_e32 v3, 31, v2
	v_lshl_add_u64 v[12:13], v[2:3], 2, s[6:7]
	global_load_dword v4, v[6:7], off
	global_load_dword v3, v[8:9], off
	;; [unrolled: 1-line block ×4, first 2 shown]
	s_andn2_b64 vcc, exec, s[10:11]
	s_cbranch_vccnz .LBB300_8
; %bb.6:
	s_add_u32 s8, s8, s16
	s_addc_u32 s9, s9, s17
	s_load_dword s20, s[8:9], 0x0
	s_branch .LBB300_9
.LBB300_7:
	s_mov_b64 s[12:13], 0
	s_branch .LBB300_2
.LBB300_8:
	s_mov_b32 s20, s2
.LBB300_9:
	s_load_dwordx4 s[8:11], s[0:1], 0x48
	v_lshrrev_b32_e32 v79, 6, v0
	v_bfe_u32 v84, v0, 4, 2
	v_and_b32_e32 v83, 15, v0
	v_lshl_or_b32 v1, v79, 2, v84
	v_lshlrev_b32_e32 v5, 3, v83
	v_and_b32_e32 v88, 63, v0
	v_cmp_eq_u32_e32 vcc, 0, v1
	v_lshlrev_b32_e32 v1, 1, v5
	scratch_store_dword off, v1, off        ; 4-byte Folded Spill
	s_and_saveexec_b64 s[16:17], vcc
	s_cbranch_execz .LBB300_11
; %bb.10:
	scratch_load_dword v1, off, off         ; 4-byte Folded Reload
	s_load_dwordx2 s[22:23], s[0:1], 0x0
	s_waitcnt lgkmcnt(0)
	s_ashr_i32 s11, s8, 31
	s_mul_hi_u32 s21, s20, s8
	s_mul_i32 s11, s20, s11
	s_add_i32 s21, s21, s11
	s_mul_i32 s20, s20, s8
	s_lshl_b64 s[20:21], s[20:21], 1
	s_add_u32 s8, s22, s20
	s_addc_u32 s11, s23, s21
	s_lshl_b32 s20, s4, 7
	s_ashr_i32 s21, s20, 31
	s_lshl_b64 s[20:21], s[20:21], 1
	s_add_u32 s20, s8, s20
	s_addc_u32 s21, s11, s21
	v_lshlrev_b32_e32 v5, 9, v83
	s_movk_i32 s8, 0x1800
	s_waitcnt vmcnt(0)
	global_load_dwordx4 v[6:9], v1, s[20:21]
	v_and_b32_e32 v1, 3, v0
	v_lshlrev_b32_e32 v1, 9, v1
	v_and_or_b32 v1, v5, s8, v1
	s_waitcnt vmcnt(0)
	ds_write_b128 v1, v[6:9]
.LBB300_11:
	s_or_b64 exec, exec, s[16:17]
	s_waitcnt lgkmcnt(0)
	s_mul_i32 s10, s4, s10
	s_mov_b32 s11, 0
	s_lshl_b64 s[10:11], s[10:11], 1
	s_add_u32 s12, s12, s10
	v_lshlrev_b32_e32 v1, 4, v0
	s_addc_u32 s13, s13, s11
	v_and_b32_e32 v66, 0xf0, v1
	v_mov_b32_e32 v67, 0
	v_lshl_add_u64 v[30:31], s[12:13], 0, v[66:67]
	s_waitcnt vmcnt(4)
	v_mad_i64_i32 v[4:5], s[12:13], v4, s9, 0
	v_lshl_add_u64 v[4:5], v[4:5], 1, v[30:31]
	v_and_b32_e32 v66, 0x300, v1
	v_lshl_add_u64 v[32:33], v[4:5], 0, v[66:67]
	s_waitcnt vmcnt(3)
	v_mad_i64_i32 v[4:5], s[12:13], v3, s9, 0
	s_barrier
	global_load_dwordx4 v[10:13], v[32:33], off
	v_lshl_add_u64 v[4:5], v[4:5], 1, v[30:31]
	v_lshl_add_u64 v[42:43], v[4:5], 0, v[66:67]
	global_load_dwordx4 v[14:17], v[42:43], off
	s_waitcnt vmcnt(4)
	v_mad_i64_i32 v[2:3], s[12:13], v2, s9, 0
	v_lshl_add_u64 v[2:3], v[2:3], 1, v[30:31]
	v_lshl_add_u64 v[44:45], v[2:3], 0, v[66:67]
	global_load_dwordx4 v[26:29], v[44:45], off
	global_load_dwordx4 v[22:25], v[32:33], off offset:1024
	global_load_dwordx4 v[18:21], v[42:43], off offset:1024
	;; [unrolled: 1-line block ×6, first 2 shown]
	v_lshlrev_b32_e32 v35, 9, v84
	ds_read_b128 v[6:9], v35
	ds_read_b128 v[2:5], v35 offset:2048
	v_and_or_b32 v74, v0, 48, s18
	v_mov_b32_e32 v76, s19
	v_or_b32_e32 v75, 64, v74
	v_cmp_gt_i32_e32 vcc, s26, v74
	s_waitcnt vmcnt(10)
	v_mad_i64_i32 v[72:73], s[12:13], v34, s9, 0
	v_or_b32_e32 v77, 0x80, v74
	v_or_b32_e32 v78, 0xc0, v74
	v_lshl_or_b32 v89, v79, 4, v83
	s_add_u32 s10, s14, s10
	v_mov_b32_e32 v95, v79
	s_addc_u32 s11, s15, s11
	v_mov_b32_e32 v1, v84
	s_mov_b32 s33, 0xff7fffff
	s_waitcnt vmcnt(6) lgkmcnt(1)
	v_mfma_f32_16x16x16_f16 v[58:61], v[26:27], v[6:7], 0
	v_mfma_f32_16x16x16_f16 v[36:39], v[10:11], v[6:7], 0
	;; [unrolled: 1-line block ×4, first 2 shown]
	s_nop 4
	ds_read_b128 v[38:41], v35 offset:4096
	ds_read_b128 v[34:37], v35 offset:6144
	v_mfma_f32_16x16x16_f16 v[14:17], v[16:17], v[8:9], v[50:53]
	s_waitcnt vmcnt(5) lgkmcnt(2)
	v_mfma_f32_16x16x16_f16 v[10:13], v[22:23], v[2:3], v[10:13]
	s_nop 0
	global_load_dwordx4 v[50:53], v[32:33], off offset:3072
	v_ashrrev_i32_e32 v22, 4, v75
	v_mfma_f32_16x16x16_f16 v[26:29], v[28:29], v[8:9], v[58:61]
	s_nop 2
	v_ashrrev_i32_e32 v58, 4, v74
	s_waitcnt vmcnt(5)
	v_mfma_f32_16x16x16_f16 v[14:17], v[18:19], v[2:3], v[14:17]
	v_cndmask_b32_e32 v18, v76, v58, vcc
	global_load_dwordx4 v[58:61], v[42:43], off offset:3072
	v_cmp_gt_i32_e32 vcc, s26, v75
	v_ashrrev_i32_e32 v32, 4, v77
	v_mfma_f32_16x16x16_f16 v[10:13], v[24:25], v[4:5], v[10:13]
	v_cndmask_b32_e32 v22, v76, v22, vcc
	v_cmp_gt_i32_e32 vcc, s26, v77
	global_load_dwordx4 v[42:45], v[44:45], off offset:3072
	s_waitcnt vmcnt(5)
	v_mfma_f32_16x16x16_f16 v[26:29], v[46:47], v[2:3], v[26:29]
	v_cndmask_b32_e32 v24, v76, v32, vcc
	v_ashrrev_i32_e32 v19, 31, v18
	v_ashrrev_i32_e32 v25, 31, v24
	v_lshl_add_u64 v[18:19], v[18:19], 2, s[6:7]
	v_ashrrev_i32_e32 v23, 31, v22
	v_lshl_add_u64 v[24:25], v[24:25], 2, s[6:7]
	global_load_dword v33, v[18:19], off
	global_load_dword v81, v[24:25], off
	v_lshl_add_u64 v[18:19], v[22:23], 2, s[6:7]
	v_lshl_add_u64 v[22:23], v[72:73], 1, v[30:31]
	;; [unrolled: 1-line block ×3, first 2 shown]
	v_mfma_f32_16x16x16_f16 v[14:17], v[20:21], v[4:5], v[14:17]
	global_load_dword v80, v[18:19], off
	global_load_dwordx4 v[72:75], v[22:23], off offset:1024
	v_cmp_gt_i32_e32 vcc, s26, v78
	v_mfma_f32_16x16x16_f16 v[18:21], v[48:49], v[4:5], v[26:29]
	global_load_dwordx4 v[46:49], v[22:23], off
	v_lshlrev_b32_e32 v66, 5, v89
	s_waitcnt lgkmcnt(1)
	v_mfma_f32_16x16x16_f16 v[10:13], v[54:55], v[38:39], v[10:13]
	v_ashrrev_i32_e32 v26, 4, v78
	v_cndmask_b32_e32 v24, v76, v26, vcc
	v_ashrrev_i32_e32 v25, 31, v24
	v_mfma_f32_16x16x16_f16 v[10:13], v[56:57], v[40:41], v[10:13]
	global_load_dwordx4 v[54:57], v[22:23], off offset:2048
	v_lshl_add_u64 v[24:25], v[24:25], 2, s[6:7]
	global_load_dword v82, v[24:25], off
	s_waitcnt vmcnt(10)
	v_mfma_f32_16x16x16_f16 v[18:21], v[68:69], v[38:39], v[18:21]
	s_load_dword s6, s[0:1], 0x1c
	v_mfma_f32_16x16x16_f16 v[18:21], v[70:71], v[40:41], v[18:21]
	global_load_dwordx4 v[68:71], v[22:23], off offset:3072
	s_waitcnt vmcnt(7)
	v_mad_i64_i32 v[22:23], s[12:13], v33, s9, 0
	s_waitcnt lgkmcnt(0)
	v_mfma_f32_16x16x16_f16 v[10:13], v[50:51], v[34:35], v[10:13]
	v_mfma_f32_16x16x16_f16 v[14:17], v[62:63], v[38:39], v[14:17]
	v_lshl_add_u64 v[62:63], s[10:11], 0, v[66:67]
	v_or_b32_e32 v66, 0x800, v66
	v_mfma_f32_16x16x16_f16 v[18:21], v[42:43], v[34:35], v[18:21]
	v_mfma_f32_16x16x16_f16 v[76:79], v[52:53], v[36:37], v[10:13]
	s_waitcnt vmcnt(5)
	s_nop 1
	v_mad_i64_i32 v[10:11], s[12:13], v80, s9, 0
	v_mfma_f32_16x16x16_f16 v[14:17], v[64:65], v[40:41], v[14:17]
	v_lshlrev_b64 v[64:65], 1, v[22:23]
	v_lshlrev_b64 v[42:43], 1, v[10:11]
	v_lshl_add_u64 v[12:13], v[62:63], 0, v[64:65]
	v_lshl_add_u64 v[10:11], v[62:63], 0, v[42:43]
	global_load_dwordx4 v[30:33], v[12:13], off
	global_load_dwordx4 v[26:29], v[12:13], off offset:16
	v_mfma_f32_16x16x16_f16 v[84:87], v[44:45], v[36:37], v[18:21]
	global_load_dwordx4 v[22:25], v[10:11], off
	s_nop 1
	global_load_dwordx4 v[18:21], v[10:11], off offset:16
	s_waitcnt vmcnt(7)
	v_mfma_f32_16x16x16_f16 v[10:13], v[46:47], v[6:7], 0
	v_mad_i64_i32 v[6:7], s[12:13], v81, s9, 0
	v_lshlrev_b64 v[50:51], 1, v[6:7]
	v_mfma_f32_16x16x16_f16 v[6:9], v[48:49], v[8:9], v[10:13]
	v_pk_mul_f32 v[80:81], s[6:7], v[78:79] op_sel_hi:[0,1]
	v_pk_mul_f32 v[78:79], s[6:7], v[84:85] op_sel_hi:[0,1]
	v_mfma_f32_16x16x16_f16 v[6:9], v[72:73], v[2:3], v[6:9]
	s_waitcnt vmcnt(5)
	v_mad_i64_i32 v[2:3], s[8:9], v82, s9, 0
	v_lshl_add_u64 v[10:11], v[62:63], 0, v[50:51]
	v_mfma_f32_16x16x16_f16 v[44:47], v[74:75], v[4:5], v[6:9]
	v_mfma_f32_16x16x16_f16 v[44:47], v[54:55], v[38:39], v[44:47]
	;; [unrolled: 1-line block ×4, first 2 shown]
	v_lshlrev_b64 v[58:59], 1, v[2:3]
	v_lshl_add_u64 v[2:3], v[62:63], 0, v[58:59]
	v_lshl_add_u64 v[62:63], s[10:11], 0, v[66:67]
	s_waitcnt vmcnt(4)
	v_mfma_f32_16x16x16_f16 v[38:41], v[68:69], v[34:35], v[38:41]
	v_lshl_add_u64 v[52:53], v[62:63], 0, v[64:65]
	v_lshl_add_u64 v[50:51], v[62:63], 0, v[50:51]
	;; [unrolled: 1-line block ×3, first 2 shown]
	v_mfma_f32_16x16x16_f16 v[90:93], v[60:61], v[36:37], v[14:17]
	v_pk_mul_f32 v[60:61], s[6:7], v[76:77] op_sel_hi:[0,1]
	v_pk_mul_f32 v[76:77], s[6:7], v[86:87] op_sel_hi:[0,1]
	s_nop 0
	global_load_dwordx4 v[14:17], v[10:11], off
	s_nop 0
	global_load_dwordx4 v[10:13], v[10:11], off offset:16
	v_mfma_f32_16x16x16_f16 v[34:37], v[70:71], v[36:37], v[38:41]
	v_pk_mul_f32 v[72:73], s[6:7], v[90:91] op_sel_hi:[0,1]
	v_pk_mul_f32 v[82:83], s[6:7], v[92:93] op_sel_hi:[0,1]
	global_load_dwordx4 v[6:9], v[2:3], off
	s_nop 0
	global_load_dwordx4 v[2:5], v[2:3], off offset:16
	s_nop 1
	v_pk_mul_f32 v[74:75], s[6:7], v[34:35] op_sel_hi:[0,1]
	v_and_b32_e32 v34, 0xc0, v0
	v_add_u32_e32 v34, s18, v34
	v_lshl_or_b32 v34, v1, 2, v34
	v_pk_mul_f32 v[68:69], s[6:7], v[36:37] op_sel_hi:[0,1]
	v_or_b32_e32 v37, 1, v34
	v_mov_b32_e32 v35, 0xff7fffff
	v_cmp_gt_i32_e64 s[28:29], s26, v34
	v_cmp_gt_i32_e64 s[30:31], s26, v37
	v_or_b32_e32 v38, 3, v34
	v_cndmask_b32_e64 v36, v35, v60, s[28:29]
	v_cndmask_b32_e64 v37, v35, v61, s[30:31]
	v_max3_f32 v36, v36, s33, v37
	v_or_b32_e32 v37, 2, v34
	v_cmp_gt_i32_e64 s[34:35], s26, v37
	v_cmp_gt_i32_e64 s[36:37], s26, v38
	s_nop 0
	v_cndmask_b32_e64 v37, v35, v80, s[34:35]
	v_cndmask_b32_e64 v38, v35, v81, s[36:37]
	v_max3_f32 v36, v36, v37, v38
	v_or_b32_e32 v37, 16, v34
	v_or_b32_e32 v38, 17, v34
	v_cmp_gt_i32_e64 s[22:23], s26, v37
	v_cmp_gt_i32_e64 s[24:25], s26, v38
	s_nop 0
	v_cndmask_b32_e64 v37, v35, v72, s[22:23]
	v_cndmask_b32_e64 v38, v35, v73, s[24:25]
	v_max3_f32 v36, v36, v37, v38
	v_or_b32_e32 v37, 18, v34
	;; [unrolled: 8-line block ×6, first 2 shown]
	v_or_b32_e32 v34, 51, v34
	v_cmp_gt_i32_e32 vcc, s26, v37
	v_cmp_gt_i32_e64 s[26:27], s26, v34
	global_load_dwordx4 v[46:49], v[52:53], off
	global_load_dwordx4 v[38:41], v[52:53], off offset:16
	v_cndmask_b32_e32 v37, v35, v68, vcc
	v_cndmask_b32_e64 v34, v35, v69, s[26:27]
	v_max3_f32 v54, v36, v37, v34
	v_mbcnt_lo_u32_b32 v34, -1, 0
	v_mbcnt_hi_u32_b32 v55, -1, v34
	v_and_b32_e32 v34, 64, v55
	v_add_u32_e32 v56, 64, v34
	v_xor_b32_e32 v34, 32, v55
	v_cmp_lt_i32_e64 s[38:39], v34, v56
	s_nop 1
	v_cndmask_b32_e64 v34, v55, v34, s[38:39]
	v_lshlrev_b32_e32 v84, 2, v34
	ds_bpermute_b32 v57, v84, v54
	v_lshl_add_u64 v[34:35], v[62:63], 0, v[42:43]
	global_load_dwordx4 v[42:45], v[34:35], off
	s_nop 0
	global_load_dwordx4 v[34:37], v[34:35], off offset:16
	s_waitcnt lgkmcnt(0)
	v_max_f32_e32 v52, v57, v57
	v_max_f32_e32 v64, v54, v52
	v_xor_b32_e32 v52, 16, v55
	v_cmp_lt_i32_e64 s[38:39], v52, v56
	s_nop 1
	v_cndmask_b32_e64 v52, v55, v52, s[38:39]
	v_lshlrev_b32_e32 v85, 2, v52
	ds_bpermute_b32 v65, v85, v64
	global_load_dwordx4 v[54:57], v[50:51], off
	s_nop 0
	global_load_dwordx4 v[50:53], v[50:51], off offset:16
	s_waitcnt lgkmcnt(0)
	v_max_f32_e32 v62, v65, v65
	v_max_f32_e32 v66, v64, v62
	v_sub_f32_e32 v60, v60, v66
	v_mul_f32_e32 v60, 0x3fb8aa3b, v60
	v_exp_f32_e32 v70, v60
	v_sub_f32_e32 v60, v61, v66
	v_mul_f32_e32 v60, 0x3fb8aa3b, v60
	v_exp_f32_e32 v71, v60
	global_load_dwordx4 v[62:65], v[58:59], off
	s_nop 0
	global_load_dwordx4 v[58:61], v[58:59], off offset:16
	v_sub_f32_e32 v80, v80, v66
	v_mul_f32_e32 v80, 0x3fb8aa3b, v80
	v_sub_f32_e32 v81, v81, v66
	v_exp_f32_e32 v80, v80
	v_mul_f32_e32 v81, 0x3fb8aa3b, v81
	v_sub_f32_e32 v72, v72, v66
	v_exp_f32_e32 v81, v81
	v_mul_f32_e32 v72, 0x3fb8aa3b, v72
	v_sub_f32_e32 v73, v73, v66
	v_cndmask_b32_e64 v70, 0, v70, s[28:29]
	v_exp_f32_e32 v72, v72
	v_mul_f32_e32 v73, 0x3fb8aa3b, v73
	v_sub_f32_e32 v82, v82, v66
	v_add_f32_e32 v86, 0, v70
	v_cndmask_b32_e64 v71, 0, v71, s[30:31]
	v_exp_f32_e32 v73, v73
	v_mul_f32_e32 v82, 0x3fb8aa3b, v82
	v_sub_f32_e32 v83, v83, v66
	v_add_f32_e32 v86, v86, v71
	;; [unrolled: 5-line block ×10, first 2 shown]
	v_cndmask_b32_e64 v76, 0, v76, s[10:11]
	v_exp_f32_e32 v68, v68
	v_mul_f32_e32 v69, 0x3fb8aa3b, v69
	v_add_f32_e32 v86, v86, v76
	v_cndmask_b32_e64 v77, 0, v77, s[12:13]
	v_exp_f32_e32 v69, v69
	v_add_f32_e32 v86, v86, v77
	v_cndmask_b32_e64 v74, 0, v74, s[6:7]
	v_add_f32_e32 v86, v86, v74
	v_cndmask_b32_e64 v75, 0, v75, s[8:9]
	v_add_f32_e32 v86, v86, v75
	v_cndmask_b32_e32 v68, 0, v68, vcc
	v_add_f32_e32 v86, v86, v68
	v_cndmask_b32_e64 v69, 0, v69, s[26:27]
	v_add_f32_e32 v86, v86, v69
	ds_bpermute_b32 v84, v84, v86
	v_cmp_lt_u32_e64 s[6:7], 15, v88
	v_cmp_gt_u32_e32 vcc, 16, v88
	s_waitcnt lgkmcnt(0)
	s_barrier
	v_add_f32_e32 v90, v86, v84
	ds_bpermute_b32 v91, v85, v90
	s_waitcnt lgkmcnt(0)
	s_and_saveexec_b64 s[8:9], vcc
	s_cbranch_execz .LBB300_13
; %bb.12:
	v_add_f32_e32 v84, v90, v91
	v_lshlrev_b32_e32 v85, 2, v89
	ds_write2st64_b32 v85, v66, v84 offset1:1
.LBB300_13:
	s_or_b64 exec, exec, s[8:9]
	v_and_b32_e32 v94, 15, v0
	v_lshlrev_b32_e32 v66, 2, v94
	s_load_dwordx2 s[8:9], s[0:1], 0x94
	s_waitcnt lgkmcnt(0)
	s_barrier
	ds_read2_b32 v[84:85], v66 offset1:16
	ds_read2_b32 v[86:87], v66 offset0:32 offset1:48
	ds_read2_b32 v[90:91], v66 offset0:64 offset1:80
	s_waitcnt lgkmcnt(2)
	v_max3_f32 v88, v84, s33, v85
	s_waitcnt lgkmcnt(1)
	v_max3_f32 v88, v88, v86, v87
	v_sub_f32_e32 v84, v84, v88
	v_mul_f32_e32 v84, 0x3fb8aa3b, v84
	v_exp_f32_e32 v92, v84
	v_sub_f32_e32 v84, v85, v88
	v_mul_f32_e32 v84, 0x3fb8aa3b, v84
	v_exp_f32_e32 v93, v84
	v_sub_f32_e32 v84, v86, v88
	v_mul_f32_e32 v84, 0x3fb8aa3b, v84
	v_exp_f32_e32 v86, v84
	ds_read2_b32 v[84:85], v66 offset0:96 offset1:112
	v_sub_f32_e32 v66, v87, v88
	v_mul_f32_e32 v66, 0x3fb8aa3b, v66
	v_exp_f32_e32 v66, v66
	s_waitcnt lgkmcnt(1)
	v_fma_f32 v89, v92, v90, 0
	v_fmac_f32_e32 v89, v93, v91
	s_waitcnt lgkmcnt(0)
	v_fmac_f32_e32 v89, v86, v84
	v_fmac_f32_e32 v89, v66, v85
	v_add_f32_e32 v84, 0x358637bd, v89
	v_div_scale_f32 v85, s[10:11], v84, v84, 1.0
	v_rcp_f32_e32 v87, v85
	s_barrier
	v_fma_f32 v90, -v85, v87, 1.0
	v_fmac_f32_e32 v87, v90, v87
	v_div_scale_f32 v90, vcc, 1.0, v84, 1.0
	v_mul_f32_e32 v91, v90, v87
	v_fma_f32 v1, -v85, v91, v90
	v_fmac_f32_e32 v91, v1, v87
	v_fma_f32 v1, -v85, v91, v90
	v_div_fmas_f32 v1, v1, v87, v91
	v_cmp_eq_u32_e32 vcc, 1, v95
	v_div_fixup_f32 v1, v1, v84, 1.0
	s_nop 0
	v_cndmask_b32_e32 v84, v92, v93, vcc
	v_cmp_eq_u32_e32 vcc, 2, v95
	s_nop 1
	v_cndmask_b32_e32 v84, v84, v86, vcc
	v_cmp_eq_u32_e32 vcc, 3, v95
	s_nop 1
	v_cndmask_b32_e32 v66, v84, v66, vcc
	v_mul_f32_e32 v84, v66, v1
	v_pk_mul_f32 v[80:81], v[84:85], v[80:81] op_sel_hi:[0,1]
	v_pk_mul_f32 v[70:71], v[84:85], v[70:71] op_sel_hi:[0,1]
	v_cvt_f16_f32_e32 v66, v71
	v_cvt_f16_f32_e32 v71, v80
	;; [unrolled: 1-line block ×3, first 2 shown]
	v_bfe_u32 v85, v0, 4, 2
	v_cvt_f16_f32_e32 v1, v70
	v_pk_mul_f32 v[72:73], v[84:85], v[72:73] op_sel_hi:[0,1]
	v_pack_b32_f16 v71, v71, v80
	v_pk_mul_f32 v[80:81], v[84:85], v[82:83] op_sel_hi:[0,1]
	v_cvt_f16_f32_e32 v72, v72
	v_cvt_f16_f32_e32 v73, v73
	;; [unrolled: 1-line block ×4, first 2 shown]
	v_pack_b32_f16 v70, v1, v66
	v_lshlrev_b32_e32 v1, 3, v85
	v_lshlrev_b32_e32 v66, 5, v94
	;; [unrolled: 1-line block ×3, first 2 shown]
	v_or3_b32 v80, v80, v66, v1
	v_pack_b32_f16 v72, v72, v73
	v_pack_b32_f16 v73, v82, v81
	ds_write2st64_b64 v80, v[70:71], v[72:73] offset1:1
	v_pk_mul_f32 v[70:71], v[84:85], v[76:77] op_sel_hi:[0,1]
	v_pk_mul_f32 v[72:73], v[84:85], v[78:79] op_sel_hi:[0,1]
	v_cvt_f16_f32_e32 v1, v72
	v_cvt_f16_f32_e32 v72, v73
	;; [unrolled: 1-line block ×4, first 2 shown]
	v_pk_mul_f32 v[68:69], v[84:85], v[68:69] op_sel_hi:[0,1]
	v_pk_mul_f32 v[70:71], v[84:85], v[74:75] op_sel_hi:[0,1]
	v_cvt_f16_f32_e32 v70, v70
	v_cvt_f16_f32_e32 v71, v71
	;; [unrolled: 1-line block ×4, first 2 shown]
	v_pack_b32_f16 v68, v1, v72
	v_pack_b32_f16 v69, v73, v76
	;; [unrolled: 1-line block ×4, first 2 shown]
	v_cmp_eq_u32_e32 vcc, 0, v0
	ds_write2st64_b64 v80, v[68:69], v[70:71] offset0:2 offset1:3
	s_and_saveexec_b64 s[10:11], vcc
	s_cbranch_execz .LBB300_15
; %bb.14:
	s_mul_i32 s3, s3, s9
	s_mul_hi_u32 s16, s2, s9
	s_add_i32 s16, s16, s3
	s_mul_i32 s3, s2, s9
	s_add_u32 s3, s3, s4
	s_addc_u32 s16, s16, 0
	s_load_dwordx4 s[12:15], s[0:1], 0x58
	s_mul_i32 s16, s16, s8
	s_mul_hi_u32 s17, s3, s8
	s_add_i32 s17, s17, s16
	s_mul_i32 s3, s3, s8
	s_add_u32 s16, s3, s5
	s_addc_u32 s17, s17, 0
	s_lshl_b64 s[16:17], s[16:17], 2
	s_waitcnt lgkmcnt(0)
	s_add_u32 s14, s14, s16
	s_addc_u32 s15, s15, s17
	s_add_u32 s12, s12, s16
	s_addc_u32 s13, s13, s17
	global_store_dword v67, v88, s[14:15]
	global_store_dword v67, v89, s[12:13]
.LBB300_15:
	s_or_b64 exec, exec, s[10:11]
	v_lshl_or_b32 v1, v85, 9, v66
	s_waitcnt lgkmcnt(0)
	s_barrier
	ds_read_b128 v[70:73], v1
	ds_read_b128 v[66:69], v1 offset:16
	s_waitcnt vmcnt(15) lgkmcnt(1)
	v_mfma_f32_16x16x16_f16 v[74:77], v[30:31], v[70:71], 0
	v_cmp_gt_u32_e32 vcc, 64, v0
	s_xor_b64 s[6:7], s[6:7], -1
	s_mov_b32 s3, 0
	v_mfma_f32_16x16x16_f16 v[30:33], v[32:33], v[72:73], v[74:77]
	s_and_b64 s[6:7], vcc, s[6:7]
	s_waitcnt vmcnt(14) lgkmcnt(0)
	v_mfma_f32_16x16x16_f16 v[30:33], v[26:27], v[66:67], v[30:33]
	v_mfma_f32_16x16x16_f16 v[26:29], v[28:29], v[68:69], v[30:33]
	s_nop 5
	ds_read_b128 v[30:33], v1 offset:2048
	ds_read_b128 v[74:77], v1 offset:2064
	s_waitcnt vmcnt(13) lgkmcnt(1)
	v_mfma_f32_16x16x16_f16 v[26:29], v[22:23], v[30:31], v[26:29]
	v_mfma_f32_16x16x16_f16 v[22:25], v[24:25], v[32:33], v[26:29]
	s_waitcnt vmcnt(12) lgkmcnt(0)
	v_mfma_f32_16x16x16_f16 v[22:25], v[18:19], v[74:75], v[22:25]
	v_mfma_f32_16x16x16_f16 v[18:21], v[20:21], v[76:77], v[22:25]
	s_nop 5
	ds_read_b128 v[22:25], v1 offset:4096
	ds_read_b128 v[26:29], v1 offset:4112
	s_waitcnt vmcnt(11) lgkmcnt(1)
	v_mfma_f32_16x16x16_f16 v[18:21], v[14:15], v[22:23], v[18:21]
	v_mfma_f32_16x16x16_f16 v[14:17], v[16:17], v[24:25], v[18:21]
	s_waitcnt vmcnt(10) lgkmcnt(0)
	v_mfma_f32_16x16x16_f16 v[14:17], v[10:11], v[26:27], v[14:17]
	v_mfma_f32_16x16x16_f16 v[10:13], v[12:13], v[28:29], v[14:17]
	s_nop 5
	ds_read_b128 v[14:17], v1 offset:6144
	ds_read_b128 v[18:21], v1 offset:6160
	s_waitcnt lgkmcnt(0)
	s_barrier
	s_waitcnt vmcnt(9)
	v_mfma_f32_16x16x16_f16 v[10:13], v[6:7], v[14:15], v[10:13]
	v_mfma_f32_16x16x16_f16 v[6:9], v[8:9], v[16:17], v[10:13]
	s_waitcnt vmcnt(8)
	v_mfma_f32_16x16x16_f16 v[6:9], v[2:3], v[18:19], v[6:9]
	v_mfma_f32_16x16x16_f16 v[2:5], v[4:5], v[20:21], v[6:9]
	;; [unrolled: 3-line block ×3, first 2 shown]
	s_nop 3
	v_cvt_f16_f32_e32 v1, v2
	v_cvt_f16_f32_e32 v10, v3
	;; [unrolled: 1-line block ×3, first 2 shown]
	s_waitcnt vmcnt(6)
	v_mfma_f32_16x16x16_f16 v[6:9], v[38:39], v[66:67], v[6:9]
	v_cvt_f16_f32_e32 v12, v5
	v_mfma_f32_16x16x16_f16 v[6:9], v[40:41], v[68:69], v[6:9]
	s_waitcnt vmcnt(5)
	v_mfma_f32_16x16x16_f16 v[6:9], v[42:43], v[30:31], v[6:9]
	v_mfma_f32_16x16x16_f16 v[6:9], v[44:45], v[32:33], v[6:9]
	s_waitcnt vmcnt(4)
	v_mfma_f32_16x16x16_f16 v[6:9], v[34:35], v[74:75], v[6:9]
	;; [unrolled: 3-line block ×6, first 2 shown]
	v_mfma_f32_16x16x16_f16 v[2:5], v[60:61], v[20:21], v[6:9]
	s_nop 6
	v_cvt_f16_f32_e32 v6, v2
	v_cvt_f16_f32_e32 v7, v3
	v_cvt_f16_f32_e32 v8, v4
	v_cvt_f16_f32_e32 v5, v5
	v_pack_b32_f16 v2, v1, v10
	v_pack_b32_f16 v3, v11, v12
	;; [unrolled: 1-line block ×4, first 2 shown]
	ds_write2st64_b64 v80, v[2:3], v[4:5] offset1:1
	s_waitcnt lgkmcnt(0)
	s_barrier
	s_and_saveexec_b64 s[10:11], s[6:7]
	s_cbranch_execz .LBB300_17
; %bb.16:
	scratch_load_dword v4, off, off         ; 4-byte Folded Reload
	s_load_dwordx2 s[0:1], s[0:1], 0x68
	s_mul_i32 s2, s9, s2
	s_lshl_b32 s8, s8, 7
	v_and_b32_e32 v3, 15, v0
	s_mul_hi_u32 s7, s2, s8
	s_mul_i32 s6, s2, s8
	v_lshlrev_b32_e32 v3, 6, v3
	s_lshl_b64 s[6:7], s[6:7], 1
	v_lshlrev_b32_e32 v2, 4, v0
	v_lshl_or_b32 v0, v0, 10, v3
	s_waitcnt lgkmcnt(0)
	s_add_u32 s6, s0, s6
	v_lshlrev_b32_e32 v1, 5, v85
	v_and_b32_e32 v2, 16, v2
	v_and_b32_e32 v0, 0x1a00, v0
	s_addc_u32 s7, s1, s7
	s_lshl_b32 s2, s5, 7
	v_or3_b32 v0, v0, v1, v2
	s_lshl_b64 s[0:1], s[2:3], 1
	ds_read_b128 v[0:3], v0
	s_add_u32 s2, s6, s0
	s_addc_u32 s3, s7, s1
	s_mul_hi_u32 s1, s8, s4
	s_mul_i32 s0, s8, s4
	s_lshl_b64 s[0:1], s[0:1], 1
	s_add_u32 s0, s2, s0
	s_addc_u32 s1, s3, s1
	s_waitcnt vmcnt(0) lgkmcnt(0)
	global_store_dwordx4 v4, v[0:3], s[0:1]
.LBB300_17:
	s_endpgm
	.section	.rodata,"a",@progbits
	.p2align	6, 0x0
	.amdhsa_kernel _Z39paged_attention_ll4mi_QKV_mfma16_kernelIDF16_DF16_LN4vllm18Fp8KVCacheDataTypeE0EDF16_Li16ELi128ELi256ELb0ELi1EEvPKT_PKT0_S7_ifPKiS9_S9_iPKfiiiPfSC_PS2_PT2_iSB_SB_
		.amdhsa_group_segment_fixed_size 8192
		.amdhsa_private_segment_fixed_size 8
		.amdhsa_kernarg_size 400
		.amdhsa_user_sgpr_count 2
		.amdhsa_user_sgpr_dispatch_ptr 0
		.amdhsa_user_sgpr_queue_ptr 0
		.amdhsa_user_sgpr_kernarg_segment_ptr 1
		.amdhsa_user_sgpr_dispatch_id 0
		.amdhsa_user_sgpr_kernarg_preload_length 0
		.amdhsa_user_sgpr_kernarg_preload_offset 0
		.amdhsa_user_sgpr_private_segment_size 0
		.amdhsa_uses_dynamic_stack 0
		.amdhsa_enable_private_segment 1
		.amdhsa_system_sgpr_workgroup_id_x 1
		.amdhsa_system_sgpr_workgroup_id_y 1
		.amdhsa_system_sgpr_workgroup_id_z 1
		.amdhsa_system_sgpr_workgroup_info 0
		.amdhsa_system_vgpr_workitem_id 0
		.amdhsa_next_free_vgpr 96
		.amdhsa_next_free_sgpr 40
		.amdhsa_accum_offset 96
		.amdhsa_reserve_vcc 1
		.amdhsa_float_round_mode_32 0
		.amdhsa_float_round_mode_16_64 0
		.amdhsa_float_denorm_mode_32 3
		.amdhsa_float_denorm_mode_16_64 3
		.amdhsa_dx10_clamp 1
		.amdhsa_ieee_mode 1
		.amdhsa_fp16_overflow 0
		.amdhsa_tg_split 0
		.amdhsa_exception_fp_ieee_invalid_op 0
		.amdhsa_exception_fp_denorm_src 0
		.amdhsa_exception_fp_ieee_div_zero 0
		.amdhsa_exception_fp_ieee_overflow 0
		.amdhsa_exception_fp_ieee_underflow 0
		.amdhsa_exception_fp_ieee_inexact 0
		.amdhsa_exception_int_div_zero 0
	.end_amdhsa_kernel
	.section	.text._Z39paged_attention_ll4mi_QKV_mfma16_kernelIDF16_DF16_LN4vllm18Fp8KVCacheDataTypeE0EDF16_Li16ELi128ELi256ELb0ELi1EEvPKT_PKT0_S7_ifPKiS9_S9_iPKfiiiPfSC_PS2_PT2_iSB_SB_,"axG",@progbits,_Z39paged_attention_ll4mi_QKV_mfma16_kernelIDF16_DF16_LN4vllm18Fp8KVCacheDataTypeE0EDF16_Li16ELi128ELi256ELb0ELi1EEvPKT_PKT0_S7_ifPKiS9_S9_iPKfiiiPfSC_PS2_PT2_iSB_SB_,comdat
.Lfunc_end300:
	.size	_Z39paged_attention_ll4mi_QKV_mfma16_kernelIDF16_DF16_LN4vllm18Fp8KVCacheDataTypeE0EDF16_Li16ELi128ELi256ELb0ELi1EEvPKT_PKT0_S7_ifPKiS9_S9_iPKfiiiPfSC_PS2_PT2_iSB_SB_, .Lfunc_end300-_Z39paged_attention_ll4mi_QKV_mfma16_kernelIDF16_DF16_LN4vllm18Fp8KVCacheDataTypeE0EDF16_Li16ELi128ELi256ELb0ELi1EEvPKT_PKT0_S7_ifPKiS9_S9_iPKfiiiPfSC_PS2_PT2_iSB_SB_
                                        ; -- End function
	.section	.AMDGPU.csdata,"",@progbits
; Kernel info:
; codeLenInByte = 4292
; NumSgprs: 46
; NumVgprs: 96
; NumAgprs: 0
; TotalNumVgprs: 96
; ScratchSize: 8
; MemoryBound: 0
; FloatMode: 240
; IeeeMode: 1
; LDSByteSize: 8192 bytes/workgroup (compile time only)
; SGPRBlocks: 5
; VGPRBlocks: 11
; NumSGPRsForWavesPerEU: 46
; NumVGPRsForWavesPerEU: 96
; AccumOffset: 96
; Occupancy: 5
; WaveLimiterHint : 1
; COMPUTE_PGM_RSRC2:SCRATCH_EN: 1
; COMPUTE_PGM_RSRC2:USER_SGPR: 2
; COMPUTE_PGM_RSRC2:TRAP_HANDLER: 0
; COMPUTE_PGM_RSRC2:TGID_X_EN: 1
; COMPUTE_PGM_RSRC2:TGID_Y_EN: 1
; COMPUTE_PGM_RSRC2:TGID_Z_EN: 1
; COMPUTE_PGM_RSRC2:TIDIG_COMP_CNT: 0
; COMPUTE_PGM_RSRC3_GFX90A:ACCUM_OFFSET: 23
; COMPUTE_PGM_RSRC3_GFX90A:TG_SPLIT: 0
	.section	.text._Z39paged_attention_ll4mi_QKV_mfma16_kernelIDF16_DF16_LN4vllm18Fp8KVCacheDataTypeE0EDF16_Li16ELi128ELi256ELb0ELi2EEvPKT_PKT0_S7_ifPKiS9_S9_iPKfiiiPfSC_PS2_PT2_iSB_SB_,"axG",@progbits,_Z39paged_attention_ll4mi_QKV_mfma16_kernelIDF16_DF16_LN4vllm18Fp8KVCacheDataTypeE0EDF16_Li16ELi128ELi256ELb0ELi2EEvPKT_PKT0_S7_ifPKiS9_S9_iPKfiiiPfSC_PS2_PT2_iSB_SB_,comdat
	.protected	_Z39paged_attention_ll4mi_QKV_mfma16_kernelIDF16_DF16_LN4vllm18Fp8KVCacheDataTypeE0EDF16_Li16ELi128ELi256ELb0ELi2EEvPKT_PKT0_S7_ifPKiS9_S9_iPKfiiiPfSC_PS2_PT2_iSB_SB_ ; -- Begin function _Z39paged_attention_ll4mi_QKV_mfma16_kernelIDF16_DF16_LN4vllm18Fp8KVCacheDataTypeE0EDF16_Li16ELi128ELi256ELb0ELi2EEvPKT_PKT0_S7_ifPKiS9_S9_iPKfiiiPfSC_PS2_PT2_iSB_SB_
	.globl	_Z39paged_attention_ll4mi_QKV_mfma16_kernelIDF16_DF16_LN4vllm18Fp8KVCacheDataTypeE0EDF16_Li16ELi128ELi256ELb0ELi2EEvPKT_PKT0_S7_ifPKiS9_S9_iPKfiiiPfSC_PS2_PT2_iSB_SB_
	.p2align	8
	.type	_Z39paged_attention_ll4mi_QKV_mfma16_kernelIDF16_DF16_LN4vllm18Fp8KVCacheDataTypeE0EDF16_Li16ELi128ELi256ELb0ELi2EEvPKT_PKT0_S7_ifPKiS9_S9_iPKfiiiPfSC_PS2_PT2_iSB_SB_,@function
_Z39paged_attention_ll4mi_QKV_mfma16_kernelIDF16_DF16_LN4vllm18Fp8KVCacheDataTypeE0EDF16_Li16ELi128ELi256ELb0ELi2EEvPKT_PKT0_S7_ifPKiS9_S9_iPKfiiiPfSC_PS2_PT2_iSB_SB_: ; @_Z39paged_attention_ll4mi_QKV_mfma16_kernelIDF16_DF16_LN4vllm18Fp8KVCacheDataTypeE0EDF16_Li16ELi128ELi256ELb0ELi2EEvPKT_PKT0_S7_ifPKiS9_S9_iPKfiiiPfSC_PS2_PT2_iSB_SB_
; %bb.0:
	s_load_dwordx2 s[8:9], s[0:1], 0x30
	s_mov_b32 s26, s3
	s_mov_b64 s[6:7], 0
	s_waitcnt lgkmcnt(0)
	s_cmp_lg_u64 s[8:9], 0
	s_cselect_b64 s[10:11], -1, 0
	s_and_b64 vcc, exec, s[10:11]
	s_cbranch_vccz .LBB301_7
; %bb.1:
	s_add_i32 s12, s2, 1
	s_mov_b32 s13, 0
	s_lshl_b64 s[14:15], s[12:13], 2
	s_add_u32 s14, s8, s14
	s_mov_b32 s3, s13
	s_addc_u32 s15, s9, s15
	s_lshl_b64 s[12:13], s[2:3], 2
	s_add_u32 s12, s8, s12
	s_addc_u32 s13, s9, s13
	s_load_dword s5, s[14:15], 0x0
	s_load_dword s16, s[12:13], 0x0
	s_waitcnt lgkmcnt(0)
	s_sub_i32 s5, s5, s16
	s_cmp_eq_u32 s5, 1
	s_cselect_b64 s[12:13], -1, 0
	s_andn2_b64 vcc, exec, s[6:7]
	s_cbranch_vccnz .LBB301_3
.LBB301_2:
	s_mov_b32 s3, 0
	s_mov_b64 s[12:13], -1
.LBB301_3:
	s_andn2_b64 vcc, exec, s[12:13]
	s_cbranch_vccnz .LBB301_17
; %bb.4:
	s_load_dwordx2 s[6:7], s[0:1], 0x28
	s_lshl_b64 s[16:17], s[2:3], 2
	s_waitcnt lgkmcnt(0)
	s_add_u32 s6, s6, s16
	s_addc_u32 s7, s7, s17
	s_load_dword s38, s[6:7], 0x0
	s_lshl_b32 s18, s26, 8
	s_waitcnt lgkmcnt(0)
	s_cmp_ge_i32 s18, s38
	s_cbranch_scc1 .LBB301_17
; %bb.5:
	s_load_dwordx2 s[6:7], s[0:1], 0x20
	s_load_dword s5, s[0:1], 0x38
	s_add_i32 s12, s38, 15
	s_ashr_i32 s13, s12, 31
	v_and_b32_e32 v1, 0xcf, v0
	s_lshr_b32 s13, s13, 28
	v_add_u32_e32 v1, s18, v1
	s_add_i32 s12, s12, s13
	v_ashrrev_i32_e32 v2, 31, v1
	s_ashr_i32 s19, s12, 4
	v_lshrrev_b32_e32 v4, 28, v2
	s_add_i32 s19, s19, -1
	s_waitcnt lgkmcnt(0)
	s_mul_i32 s12, s2, s5
	s_mov_b32 s13, 0
	v_add_u32_e32 v2, v1, v4
	s_lshl_b64 s[12:13], s[12:13], 2
	v_ashrrev_i32_e32 v2, 4, v2
	v_mov_b32_e32 v5, s19
	v_cmp_gt_i32_e32 vcc, s38, v1
	s_add_u32 s6, s6, s12
	s_addc_u32 s7, s7, s13
	v_cndmask_b32_e32 v2, v5, v2, vcc
	v_ashrrev_i32_e32 v3, 31, v2
	v_lshl_add_u64 v[6:7], v[2:3], 2, s[6:7]
	v_or_b32_e32 v2, 16, v1
	v_add_u32_e32 v3, v2, v4
	v_ashrrev_i32_e32 v3, 4, v3
	v_cmp_gt_i32_e32 vcc, s38, v2
	s_load_dwordx4 s[12:15], s[0:1], 0x8
	s_nop 0
	v_cndmask_b32_e32 v2, v5, v3, vcc
	v_ashrrev_i32_e32 v3, 31, v2
	v_lshl_add_u64 v[8:9], v[2:3], 2, s[6:7]
	v_or_b32_e32 v2, 32, v1
	v_add_u32_e32 v3, v2, v4
	v_ashrrev_i32_e32 v3, 4, v3
	v_cmp_gt_i32_e32 vcc, s38, v2
	v_or_b32_e32 v1, 48, v1
	s_nop 0
	v_cndmask_b32_e32 v2, v5, v3, vcc
	v_ashrrev_i32_e32 v3, 31, v2
	v_lshl_add_u64 v[10:11], v[2:3], 2, s[6:7]
	v_add_u32_e32 v2, v1, v4
	v_ashrrev_i32_e32 v2, 4, v2
	v_cmp_gt_i32_e32 vcc, s38, v1
	s_nop 1
	v_cndmask_b32_e32 v2, v5, v2, vcc
	v_ashrrev_i32_e32 v3, 31, v2
	v_lshl_add_u64 v[12:13], v[2:3], 2, s[6:7]
	global_load_dword v4, v[6:7], off
	global_load_dword v3, v[8:9], off
	;; [unrolled: 1-line block ×4, first 2 shown]
	s_andn2_b64 vcc, exec, s[10:11]
	s_cbranch_vccnz .LBB301_8
; %bb.6:
	s_add_u32 s8, s8, s16
	s_addc_u32 s9, s9, s17
	s_load_dword s5, s[8:9], 0x0
	s_branch .LBB301_9
.LBB301_7:
	s_mov_b64 s[12:13], 0
	s_branch .LBB301_2
.LBB301_8:
	s_mov_b32 s5, s2
.LBB301_9:
	s_load_dwordx4 s[8:11], s[0:1], 0x48
	v_lshrrev_b32_e32 v86, 6, v0
	v_bfe_u32 v1, v0, 4, 2
	v_and_b32_e32 v84, 15, v0
	v_lshl_or_b32 v5, v86, 2, v1
	v_lshlrev_b32_e32 v6, 3, v84
	s_lshl_b32 s27, s4, 1
	v_cmp_gt_u32_e32 vcc, 2, v5
	v_lshlrev_b32_e32 v74, 1, v6
	s_and_saveexec_b64 s[16:17], vcc
	s_cbranch_execz .LBB301_11
; %bb.10:
	s_load_dwordx2 s[20:21], s[0:1], 0x0
	s_waitcnt lgkmcnt(0)
	s_ashr_i32 s11, s8, 31
	s_mul_hi_u32 s22, s5, s8
	s_mul_i32 s11, s5, s11
	s_add_i32 s23, s22, s11
	s_mul_i32 s22, s5, s8
	s_lshl_b64 s[22:23], s[22:23], 1
	s_add_u32 s20, s20, s22
	v_add_lshl_u32 v6, v1, s27, 7
	s_addc_u32 s21, s21, s23
	v_ashrrev_i32_e32 v7, 31, v6
	v_lshl_add_u64 v[6:7], v[6:7], 1, s[20:21]
	v_mov_b32_e32 v75, 0
	v_lshl_add_u64 v[6:7], v[6:7], 0, v[74:75]
	global_load_dwordx4 v[6:9], v[6:7], off
	v_and_b32_e32 v10, 3, v0
	v_lshlrev_b32_e32 v11, 9, v84
	v_lshlrev_b32_e32 v5, 5, v5
	;; [unrolled: 1-line block ×3, first 2 shown]
	v_and_b32_e32 v11, 0x1800, v11
	v_or3_b32 v5, v11, v10, v5
	s_waitcnt vmcnt(0)
	ds_write_b128 v5, v[6:9]
.LBB301_11:
	s_or_b64 exec, exec, s[16:17]
	s_waitcnt lgkmcnt(0)
	s_mul_i32 s4, s4, s10
	s_mov_b32 s5, 0
	s_lshl_b64 s[4:5], s[4:5], 1
	s_add_u32 s10, s12, s4
	v_lshlrev_b32_e32 v6, 4, v0
	s_addc_u32 s11, s13, s5
	v_and_b32_e32 v34, 0xf0, v6
	v_mov_b32_e32 v35, 0
	v_lshl_add_u64 v[30:31], s[10:11], 0, v[34:35]
	s_waitcnt vmcnt(3)
	v_mad_i64_i32 v[4:5], s[10:11], v4, s9, 0
	v_lshl_add_u64 v[4:5], v[4:5], 1, v[30:31]
	v_and_b32_e32 v34, 0x300, v6
	v_lshl_add_u64 v[32:33], v[4:5], 0, v[34:35]
	s_load_dword s33, s[0:1], 0x98
	s_load_dword s8, s[0:1], 0x1c
	s_waitcnt lgkmcnt(0)
	s_barrier
	global_load_dwordx4 v[10:13], v[32:33], off
	global_load_dwordx4 v[22:25], v[32:33], off offset:1024
	s_waitcnt vmcnt(4)
	v_mad_i64_i32 v[4:5], s[10:11], v3, s9, 0
	s_waitcnt vmcnt(3)
	v_mad_i64_i32 v[2:3], s[10:11], v2, s9, 0
	v_lshl_add_u64 v[4:5], v[4:5], 1, v[30:31]
	v_lshl_add_u64 v[2:3], v[2:3], 1, v[30:31]
	;; [unrolled: 1-line block ×4, first 2 shown]
	global_load_dwordx4 v[14:17], v[36:37], off
	global_load_dwordx4 v[18:21], v[36:37], off offset:1024
	global_load_dwordx4 v[26:29], v[38:39], off
	global_load_dwordx4 v[46:49], v[38:39], off offset:1024
	v_and_b32_e32 v2, 1, v0
	v_lshlrev_b32_e32 v2, 5, v2
	v_lshl_or_b32 v41, v1, 9, v2
	ds_read_b128 v[6:9], v41
	ds_read_b128 v[2:5], v41 offset:2048
	global_load_dwordx4 v[54:57], v[32:33], off offset:2048
	v_mov_b32_e32 v76, s19
	global_load_dwordx4 v[62:65], v[36:37], off offset:2048
	v_lshl_or_b32 v87, v86, 4, v84
	s_add_u32 s4, s14, s4
	s_addc_u32 s5, s15, s5
	s_mov_b32 s40, 0xff7fffff
	s_waitcnt vmcnt(7) lgkmcnt(1)
	v_mfma_f32_16x16x16_f16 v[42:45], v[10:11], v[6:7], 0
	v_mfma_f32_16x16x16_f16 v[10:13], v[12:13], v[8:9], v[42:45]
	s_nop 5
	global_load_dwordx4 v[42:45], v[38:39], off offset:2048
	s_waitcnt vmcnt(6)
	v_mfma_f32_16x16x16_f16 v[50:53], v[14:15], v[6:7], 0
	s_waitcnt vmcnt(4)
	v_mfma_f32_16x16x16_f16 v[58:61], v[26:27], v[6:7], 0
	v_mfma_f32_16x16x16_f16 v[14:17], v[16:17], v[8:9], v[50:53]
	;; [unrolled: 1-line block ×3, first 2 shown]
	s_nop 2
	global_load_dwordx4 v[50:53], v[32:33], off offset:3072
	v_mad_i64_i32 v[32:33], s[10:11], v40, s9, 0
	global_load_dwordx4 v[58:61], v[36:37], off offset:3072
	v_and_or_b32 v40, v0, 48, s18
	s_waitcnt lgkmcnt(0)
	v_mfma_f32_16x16x16_f16 v[10:13], v[22:23], v[2:3], v[10:13]
	v_ashrrev_i32_e32 v22, 4, v40
	v_cmp_gt_i32_e32 vcc, s38, v40
	v_or_b32_e32 v77, 64, v40
	v_mfma_f32_16x16x16_f16 v[14:17], v[18:19], v[2:3], v[14:17]
	v_cndmask_b32_e32 v18, v76, v22, vcc
	v_or_b32_e32 v78, 0x80, v40
	v_or_b32_e32 v79, 0xc0, v40
	s_waitcnt vmcnt(5)
	v_mfma_f32_16x16x16_f16 v[26:29], v[46:47], v[2:3], v[26:29]
	v_ashrrev_i32_e32 v40, 4, v77
	v_ashrrev_i32_e32 v19, 31, v18
	v_cmp_gt_i32_e32 vcc, s38, v77
	v_ashrrev_i32_e32 v46, 4, v78
	v_lshl_add_u64 v[18:19], v[18:19], 2, s[6:7]
	v_cndmask_b32_e32 v36, v76, v40, vcc
	v_cmp_gt_i32_e32 vcc, s38, v78
	ds_read_b128 v[66:69], v41 offset:4096
	ds_read_b128 v[70:73], v41 offset:6144
	v_mfma_f32_16x16x16_f16 v[14:17], v[20:21], v[4:5], v[14:17]
	global_load_dword v77, v[18:19], off
	v_ashrrev_i32_e32 v37, 31, v36
	v_mfma_f32_16x16x16_f16 v[18:21], v[48:49], v[4:5], v[26:29]
	s_nop 2
	v_cndmask_b32_e32 v28, v76, v46, vcc
	v_mfma_f32_16x16x16_f16 v[10:13], v[24:25], v[4:5], v[10:13]
	global_load_dwordx4 v[22:25], v[38:39], off offset:3072
	v_ashrrev_i32_e32 v29, 31, v28
	v_lshl_add_u64 v[26:27], v[36:37], 2, s[6:7]
	v_lshl_add_u64 v[28:29], v[28:29], 2, s[6:7]
	global_load_dword v36, v[26:27], off
	global_load_dword v80, v[28:29], off
	v_lshl_add_u64 v[26:27], v[32:33], 1, v[30:31]
	v_lshl_add_u64 v[26:27], v[26:27], 0, v[34:35]
	global_load_dwordx4 v[38:41], v[26:27], off
	global_load_dwordx4 v[46:49], v[26:27], off offset:1024
	s_waitcnt vmcnt(10) lgkmcnt(1)
	v_mfma_f32_16x16x16_f16 v[10:13], v[54:55], v[66:67], v[10:13]
	v_ashrrev_i32_e32 v37, 4, v79
	v_cmp_gt_i32_e32 vcc, s38, v79
	v_lshlrev_b32_e32 v34, 5, v87
	v_mfma_f32_16x16x16_f16 v[10:13], v[56:57], v[68:69], v[10:13]
	v_cndmask_b32_e32 v28, v76, v37, vcc
	v_ashrrev_i32_e32 v29, 31, v28
	v_lshl_add_u64 v[28:29], v[28:29], 2, s[6:7]
	global_load_dword v81, v[28:29], off
	s_waitcnt vmcnt(10)
	v_mfma_f32_16x16x16_f16 v[14:17], v[62:63], v[66:67], v[14:17]
	v_lshl_add_u64 v[62:63], s[4:5], 0, v[34:35]
	v_or_b32_e32 v34, 0x800, v34
	global_load_dwordx4 v[54:57], v[26:27], off offset:3072
	s_waitcnt vmcnt(10)
	v_mfma_f32_16x16x16_f16 v[18:21], v[42:43], v[66:67], v[18:21]
	v_mfma_f32_16x16x16_f16 v[18:21], v[44:45], v[68:69], v[18:21]
	global_load_dwordx4 v[42:45], v[26:27], off offset:2048
	s_waitcnt vmcnt(10) lgkmcnt(0)
	v_mfma_f32_16x16x16_f16 v[10:13], v[50:51], v[70:71], v[10:13]
	s_waitcnt vmcnt(7)
	v_mfma_f32_16x16x16_f16 v[18:21], v[22:23], v[70:71], v[18:21]
	v_mad_i64_i32 v[22:23], s[6:7], v77, s9, 0
	v_mfma_f32_16x16x16_f16 v[76:79], v[52:53], v[72:73], v[10:13]
	s_waitcnt vmcnt(6)
	s_nop 1
	v_mad_i64_i32 v[10:11], s[6:7], v36, s9, 0
	v_mfma_f32_16x16x16_f16 v[14:17], v[64:65], v[68:69], v[14:17]
	v_lshlrev_b64 v[64:65], 1, v[22:23]
	v_lshlrev_b64 v[36:37], 1, v[10:11]
	v_lshl_add_u64 v[12:13], v[62:63], 0, v[64:65]
	v_lshl_add_u64 v[10:11], v[62:63], 0, v[36:37]
	global_load_dwordx4 v[30:33], v[12:13], off
	global_load_dwordx4 v[26:29], v[12:13], off offset:16
	v_mfma_f32_16x16x16_f16 v[92:95], v[24:25], v[72:73], v[18:21]
	global_load_dwordx4 v[22:25], v[10:11], off
	s_nop 1
	global_load_dwordx4 v[18:21], v[10:11], off offset:16
	s_waitcnt vmcnt(8)
	v_mfma_f32_16x16x16_f16 v[10:13], v[38:39], v[6:7], 0
	v_mad_i64_i32 v[6:7], s[6:7], v80, s9, 0
	v_lshlrev_b64 v[50:51], 1, v[6:7]
	v_mfma_f32_16x16x16_f16 v[6:9], v[40:41], v[8:9], v[10:13]
	s_waitcnt vmcnt(7)
	v_mfma_f32_16x16x16_f16 v[6:9], v[46:47], v[2:3], v[6:9]
	s_waitcnt vmcnt(6)
	v_mad_i64_i32 v[2:3], s[6:7], v81, s9, 0
	v_pk_mul_f32 v[80:81], s[8:9], v[78:79] op_sel_hi:[0,1]
	v_mfma_f32_16x16x16_f16 v[38:41], v[48:49], v[4:5], v[6:9]
	v_pk_mul_f32 v[78:79], s[8:9], v[92:93] op_sel_hi:[0,1]
	v_lshl_add_u64 v[10:11], v[62:63], 0, v[50:51]
	s_waitcnt vmcnt(4)
	v_mfma_f32_16x16x16_f16 v[38:41], v[42:43], v[66:67], v[38:41]
	v_mfma_f32_16x16x16_f16 v[38:41], v[44:45], v[68:69], v[38:41]
	;; [unrolled: 1-line block ×4, first 2 shown]
	v_lshlrev_b64 v[58:59], 1, v[2:3]
	v_lshl_add_u64 v[2:3], v[62:63], 0, v[58:59]
	v_lshl_add_u64 v[62:63], s[4:5], 0, v[34:35]
	v_mfma_f32_16x16x16_f16 v[38:41], v[56:57], v[72:73], v[38:41]
	v_lshl_add_u64 v[34:35], v[62:63], 0, v[64:65]
	v_lshl_add_u64 v[50:51], v[62:63], 0, v[50:51]
	;; [unrolled: 1-line block ×3, first 2 shown]
	v_mfma_f32_16x16x16_f16 v[88:91], v[60:61], v[72:73], v[14:17]
	v_pk_mul_f32 v[60:61], s[8:9], v[76:77] op_sel_hi:[0,1]
	s_nop 1
	v_pk_mul_f32 v[72:73], s[8:9], v[38:39] op_sel_hi:[0,1]
	v_and_b32_e32 v38, 0xc0, v0
	v_add_u32_e32 v38, s18, v38
	v_lshl_or_b32 v38, v1, 2, v38
	v_pk_mul_f32 v[66:67], s[8:9], v[40:41] op_sel_hi:[0,1]
	v_or_b32_e32 v41, 1, v38
	v_mov_b32_e32 v39, 0xff7fffff
	v_cmp_gt_i32_e64 s[28:29], s38, v38
	v_cmp_gt_i32_e64 s[30:31], s38, v41
	v_or_b32_e32 v42, 3, v38
	v_cndmask_b32_e64 v40, v39, v60, s[28:29]
	v_cndmask_b32_e64 v41, v39, v61, s[30:31]
	v_max3_f32 v40, v40, s40, v41
	v_or_b32_e32 v41, 2, v38
	v_cmp_gt_i32_e64 s[34:35], s38, v41
	v_cmp_gt_i32_e64 s[36:37], s38, v42
	v_pk_mul_f32 v[70:71], s[8:9], v[88:89] op_sel_hi:[0,1]
	v_cndmask_b32_e64 v41, v39, v80, s[34:35]
	v_cndmask_b32_e64 v42, v39, v81, s[36:37]
	v_max3_f32 v40, v40, v41, v42
	v_or_b32_e32 v41, 16, v38
	v_or_b32_e32 v42, 17, v38
	v_cmp_gt_i32_e64 s[22:23], s38, v41
	v_cmp_gt_i32_e64 s[24:25], s38, v42
	v_pk_mul_f32 v[82:83], s[8:9], v[90:91] op_sel_hi:[0,1]
	v_cndmask_b32_e64 v41, v39, v70, s[22:23]
	v_cndmask_b32_e64 v42, v39, v71, s[24:25]
	v_max3_f32 v40, v40, v41, v42
	v_or_b32_e32 v41, 18, v38
	;; [unrolled: 8-line block ×3, first 2 shown]
	v_or_b32_e32 v42, 33, v38
	v_cmp_gt_i32_e64 s[14:15], s38, v41
	v_cmp_gt_i32_e64 s[16:17], s38, v42
	global_load_dwordx4 v[14:17], v[10:11], off
	s_nop 0
	global_load_dwordx4 v[10:13], v[10:11], off offset:16
	v_cndmask_b32_e64 v41, v39, v78, s[14:15]
	v_cndmask_b32_e64 v42, v39, v79, s[16:17]
	v_max3_f32 v40, v40, v41, v42
	v_or_b32_e32 v41, 34, v38
	v_or_b32_e32 v42, 35, v38
	v_cmp_gt_i32_e64 s[10:11], s38, v41
	v_cmp_gt_i32_e64 s[12:13], s38, v42
	global_load_dwordx4 v[6:9], v[2:3], off
	s_nop 0
	global_load_dwordx4 v[2:5], v[2:3], off offset:16
	v_cndmask_b32_e64 v41, v39, v76, s[10:11]
	v_cndmask_b32_e64 v42, v39, v77, s[12:13]
	v_max3_f32 v40, v40, v41, v42
	v_or_b32_e32 v41, 48, v38
	v_or_b32_e32 v42, 49, v38
	v_cmp_gt_i32_e64 s[6:7], s38, v41
	v_cmp_gt_i32_e64 s[8:9], s38, v42
	v_and_b32_e32 v1, 63, v0
	v_cndmask_b32_e64 v41, v39, v72, s[6:7]
	v_cndmask_b32_e64 v42, v39, v73, s[8:9]
	v_max3_f32 v40, v40, v41, v42
	v_or_b32_e32 v41, 50, v38
	v_or_b32_e32 v38, 51, v38
	v_cmp_gt_i32_e32 vcc, s38, v41
	v_cmp_gt_i32_e64 s[4:5], s38, v38
	s_nop 0
	v_cndmask_b32_e32 v41, v39, v66, vcc
	v_cndmask_b32_e64 v38, v39, v67, s[4:5]
	v_max3_f32 v52, v40, v41, v38
	v_mbcnt_lo_u32_b32 v38, -1, 0
	v_mbcnt_hi_u32_b32 v53, -1, v38
	v_and_b32_e32 v38, 64, v53
	v_add_u32_e32 v54, 64, v38
	v_xor_b32_e32 v38, 32, v53
	v_cmp_lt_i32_e64 s[38:39], v38, v54
	s_nop 1
	v_cndmask_b32_e64 v38, v53, v38, s[38:39]
	v_lshlrev_b32_e32 v89, 2, v38
	ds_bpermute_b32 v55, v89, v52
	global_load_dwordx4 v[46:49], v[34:35], off
	global_load_dwordx4 v[38:41], v[34:35], off offset:16
	v_lshl_add_u64 v[34:35], v[62:63], 0, v[36:37]
	global_load_dwordx4 v[42:45], v[34:35], off
	s_nop 0
	global_load_dwordx4 v[34:37], v[34:35], off offset:16
	s_waitcnt lgkmcnt(0)
	v_max_f32_e32 v55, v55, v55
	v_max_f32_e32 v64, v52, v55
	v_xor_b32_e32 v52, 16, v53
	v_cmp_lt_i32_e64 s[38:39], v52, v54
	s_nop 1
	v_cndmask_b32_e64 v52, v53, v52, s[38:39]
	v_lshlrev_b32_e32 v90, 2, v52
	ds_bpermute_b32 v65, v90, v64
	global_load_dwordx4 v[54:57], v[50:51], off
	s_nop 0
	global_load_dwordx4 v[50:53], v[50:51], off offset:16
	s_waitcnt lgkmcnt(0)
	v_max_f32_e32 v62, v65, v65
	v_max_f32_e32 v88, v64, v62
	v_sub_f32_e32 v60, v60, v88
	v_mul_f32_e32 v60, 0x3fb8aa3b, v60
	v_exp_f32_e32 v68, v60
	v_sub_f32_e32 v60, v61, v88
	v_mul_f32_e32 v60, 0x3fb8aa3b, v60
	v_exp_f32_e32 v69, v60
	global_load_dwordx4 v[62:65], v[58:59], off
	s_nop 0
	global_load_dwordx4 v[58:61], v[58:59], off offset:16
	v_sub_f32_e32 v80, v80, v88
	v_mul_f32_e32 v80, 0x3fb8aa3b, v80
	v_sub_f32_e32 v81, v81, v88
	v_exp_f32_e32 v80, v80
	v_mul_f32_e32 v81, 0x3fb8aa3b, v81
	v_sub_f32_e32 v70, v70, v88
	v_exp_f32_e32 v81, v81
	v_mul_f32_e32 v70, 0x3fb8aa3b, v70
	v_sub_f32_e32 v71, v71, v88
	v_cndmask_b32_e64 v68, 0, v68, s[28:29]
	v_exp_f32_e32 v70, v70
	v_mul_f32_e32 v71, 0x3fb8aa3b, v71
	v_sub_f32_e32 v82, v82, v88
	v_add_f32_e32 v91, 0, v68
	v_cndmask_b32_e64 v69, 0, v69, s[30:31]
	v_exp_f32_e32 v71, v71
	v_mul_f32_e32 v82, 0x3fb8aa3b, v82
	v_sub_f32_e32 v83, v83, v88
	v_add_f32_e32 v91, v91, v69
	;; [unrolled: 5-line block ×10, first 2 shown]
	v_cndmask_b32_e64 v76, 0, v76, s[10:11]
	v_exp_f32_e32 v66, v66
	v_mul_f32_e32 v67, 0x3fb8aa3b, v67
	v_add_f32_e32 v91, v91, v76
	v_cndmask_b32_e64 v77, 0, v77, s[12:13]
	v_exp_f32_e32 v67, v67
	v_add_f32_e32 v91, v91, v77
	v_cndmask_b32_e64 v72, 0, v72, s[6:7]
	v_add_f32_e32 v91, v91, v72
	v_cndmask_b32_e64 v73, 0, v73, s[8:9]
	v_add_f32_e32 v91, v91, v73
	v_cndmask_b32_e32 v66, 0, v66, vcc
	v_add_f32_e32 v91, v91, v66
	v_cndmask_b32_e64 v67, 0, v67, s[4:5]
	v_add_f32_e32 v91, v91, v67
	ds_bpermute_b32 v89, v89, v91
	v_cmp_gt_u32_e32 vcc, 16, v1
	s_waitcnt lgkmcnt(0)
	s_barrier
	v_add_f32_e32 v89, v91, v89
	ds_bpermute_b32 v90, v90, v89
	s_and_saveexec_b64 s[4:5], vcc
	s_cbranch_execz .LBB301_13
; %bb.12:
	s_waitcnt lgkmcnt(0)
	v_add_f32_e32 v89, v89, v90
	v_lshlrev_b32_e32 v87, 2, v87
	ds_write2st64_b32 v87, v88, v89 offset1:1
.LBB301_13:
	s_or_b64 exec, exec, s[4:5]
	v_lshlrev_b32_e32 v94, 2, v84
	s_load_dword s6, s[0:1], 0x94
	s_waitcnt lgkmcnt(0)
	s_barrier
	ds_read2_b32 v[88:89], v94 offset1:16
	ds_read2_b32 v[90:91], v94 offset0:32 offset1:48
	ds_read2_b32 v[92:93], v94 offset0:64 offset1:80
	ds_read2_b32 v[94:95], v94 offset0:96 offset1:112
	v_mov_b32_e32 v1, v84
	s_waitcnt lgkmcnt(3)
	v_max3_f32 v87, v88, s40, v89
	s_waitcnt lgkmcnt(2)
	v_max3_f32 v87, v87, v90, v91
	v_sub_f32_e32 v88, v88, v87
	v_mul_f32_e32 v88, 0x3fb8aa3b, v88
	v_exp_f32_e32 v85, v88
	v_sub_f32_e32 v88, v89, v87
	v_mul_f32_e32 v88, 0x3fb8aa3b, v88
	v_exp_f32_e32 v89, v88
	;; [unrolled: 3-line block ×4, first 2 shown]
	s_waitcnt lgkmcnt(1)
	v_fma_f32 v88, v85, v92, 0
	v_fmac_f32_e32 v88, v89, v93
	s_waitcnt lgkmcnt(0)
	v_fmac_f32_e32 v88, v90, v94
	v_fmac_f32_e32 v88, v91, v95
	v_add_f32_e32 v92, 0x358637bd, v88
	v_div_scale_f32 v93, s[4:5], v92, v92, 1.0
	v_rcp_f32_e32 v94, v93
	s_barrier
	v_fma_f32 v95, -v93, v94, 1.0
	v_fmac_f32_e32 v94, v95, v94
	v_div_scale_f32 v95, vcc, 1.0, v92, 1.0
	v_mul_f32_e32 v75, v95, v94
	v_fma_f32 v84, -v93, v75, v95
	v_fmac_f32_e32 v75, v84, v94
	v_fma_f32 v84, -v93, v75, v95
	v_div_fmas_f32 v75, v84, v94, v75
	v_cmp_eq_u32_e32 vcc, 1, v86
	v_div_fixup_f32 v75, v75, v92, 1.0
	s_lshl_b32 s7, s33, 1
	v_cndmask_b32_e32 v84, v85, v89, vcc
	v_cmp_eq_u32_e32 vcc, 2, v86
	s_nop 1
	v_cndmask_b32_e32 v84, v84, v90, vcc
	v_cmp_eq_u32_e32 vcc, 3, v86
	s_nop 1
	v_cndmask_b32_e32 v84, v84, v91, vcc
	v_mul_f32_e32 v90, v84, v75
	v_pk_mul_f32 v[80:81], v[90:91], v[80:81] op_sel_hi:[0,1]
	v_cvt_f16_f32_e32 v75, v80
	v_cvt_f16_f32_e32 v80, v81
	v_pk_mul_f32 v[68:69], v[90:91], v[68:69] op_sel_hi:[0,1]
	v_cvt_f16_f32_e32 v68, v68
	v_cvt_f16_f32_e32 v69, v69
	v_pack_b32_f16 v93, v75, v80
	v_pk_mul_f32 v[80:81], v[90:91], v[82:83] op_sel_hi:[0,1]
	v_pk_mul_f32 v[70:71], v[90:91], v[70:71] op_sel_hi:[0,1]
	v_cvt_f16_f32_e32 v70, v70
	v_cvt_f16_f32_e32 v71, v71
	;; [unrolled: 1-line block ×4, first 2 shown]
	v_mov_b32_e32 v84, v1
	v_bfe_u32 v1, v0, 4, 2
	v_pack_b32_f16 v92, v68, v69
	v_lshlrev_b32_e32 v69, 3, v1
	v_lshlrev_b32_e32 v68, 5, v84
	;; [unrolled: 1-line block ×3, first 2 shown]
	v_or3_b32 v80, v80, v68, v69
	v_pack_b32_f16 v70, v70, v71
	v_pack_b32_f16 v71, v75, v81
	ds_write2st64_b64 v80, v[92:93], v[70:71] offset1:1
	v_pk_mul_f32 v[70:71], v[90:91], v[76:77] op_sel_hi:[0,1]
	v_pk_mul_f32 v[76:77], v[90:91], v[78:79] op_sel_hi:[0,1]
	v_cvt_f16_f32_e32 v69, v76
	v_cvt_f16_f32_e32 v75, v77
	;; [unrolled: 1-line block ×4, first 2 shown]
	v_pk_mul_f32 v[66:67], v[90:91], v[66:67] op_sel_hi:[0,1]
	v_pk_mul_f32 v[70:71], v[90:91], v[72:73] op_sel_hi:[0,1]
	v_cvt_f16_f32_e32 v70, v70
	v_cvt_f16_f32_e32 v71, v71
	;; [unrolled: 1-line block ×4, first 2 shown]
	v_pack_b32_f16 v66, v69, v75
	v_pack_b32_f16 v67, v76, v77
	;; [unrolled: 1-line block ×4, first 2 shown]
	v_cmp_gt_u32_e32 vcc, 2, v0
	ds_write2st64_b64 v80, v[66:67], v[70:71] offset0:2 offset1:3
	s_and_saveexec_b64 s[4:5], vcc
	s_cbranch_execz .LBB301_15
; %bb.14:
	v_or_b32_e32 v66, s27, v0
	v_mov_b32_e32 v67, 0
	v_mov_b32_e32 v69, s7
	v_mad_u64_u32 v[70:71], s[12:13], s2, v69, v[66:67]
	v_mov_b32_e32 v66, s26
	s_load_dwordx4 s[8:11], s[0:1], 0x58
	s_mul_i32 s3, s3, s7
	v_mad_u64_u32 v[66:67], s[12:13], v70, s6, v[66:67]
	v_add_u32_e32 v69, s3, v71
	v_mov_b32_e32 v70, v67
	v_mad_u64_u32 v[70:71], s[12:13], v69, s6, v[70:71]
	v_mov_b32_e32 v67, v70
	v_lshlrev_b64 v[66:67], 2, v[66:67]
	s_waitcnt lgkmcnt(0)
	v_lshl_add_u64 v[70:71], s[10:11], 0, v[66:67]
	v_lshl_add_u64 v[66:67], s[8:9], 0, v[66:67]
	global_store_dword v[70:71], v87, off
	global_store_dword v[66:67], v88, off
.LBB301_15:
	s_or_b64 exec, exec, s[4:5]
	v_lshl_or_b32 v75, v1, 9, v68
	s_waitcnt lgkmcnt(0)
	s_barrier
	ds_read_b128 v[70:73], v75
	ds_read_b128 v[66:69], v75 offset:16
	s_waitcnt vmcnt(15) lgkmcnt(1)
	v_mfma_f32_16x16x16_f16 v[76:79], v[30:31], v[70:71], 0
	v_cmp_gt_u32_e32 vcc, 64, v0
	s_mov_b32 s3, 0
	v_mfma_f32_16x16x16_f16 v[30:33], v[32:33], v[72:73], v[76:79]
	s_waitcnt vmcnt(14) lgkmcnt(0)
	v_mfma_f32_16x16x16_f16 v[30:33], v[26:27], v[66:67], v[30:33]
	v_mfma_f32_16x16x16_f16 v[26:29], v[28:29], v[68:69], v[30:33]
	s_nop 5
	ds_read_b128 v[30:33], v75 offset:2048
	ds_read_b128 v[76:79], v75 offset:2064
	s_waitcnt vmcnt(13) lgkmcnt(1)
	v_mfma_f32_16x16x16_f16 v[26:29], v[22:23], v[30:31], v[26:29]
	v_mfma_f32_16x16x16_f16 v[22:25], v[24:25], v[32:33], v[26:29]
	s_waitcnt vmcnt(12) lgkmcnt(0)
	v_mfma_f32_16x16x16_f16 v[22:25], v[18:19], v[76:77], v[22:25]
	v_mfma_f32_16x16x16_f16 v[18:21], v[20:21], v[78:79], v[22:25]
	s_nop 5
	ds_read_b128 v[22:25], v75 offset:4096
	ds_read_b128 v[26:29], v75 offset:4112
	s_waitcnt vmcnt(11) lgkmcnt(1)
	v_mfma_f32_16x16x16_f16 v[18:21], v[14:15], v[22:23], v[18:21]
	v_mfma_f32_16x16x16_f16 v[14:17], v[16:17], v[24:25], v[18:21]
	s_waitcnt vmcnt(10) lgkmcnt(0)
	v_mfma_f32_16x16x16_f16 v[14:17], v[10:11], v[26:27], v[14:17]
	v_mfma_f32_16x16x16_f16 v[10:13], v[12:13], v[28:29], v[14:17]
	s_nop 5
	ds_read_b128 v[14:17], v75 offset:6144
	ds_read_b128 v[18:21], v75 offset:6160
	s_waitcnt lgkmcnt(0)
	s_barrier
	s_waitcnt vmcnt(9)
	v_mfma_f32_16x16x16_f16 v[10:13], v[6:7], v[14:15], v[10:13]
	v_mfma_f32_16x16x16_f16 v[6:9], v[8:9], v[16:17], v[10:13]
	s_waitcnt vmcnt(8)
	v_mfma_f32_16x16x16_f16 v[6:9], v[2:3], v[18:19], v[6:9]
	v_mfma_f32_16x16x16_f16 v[2:5], v[4:5], v[20:21], v[6:9]
	;; [unrolled: 3-line block ×3, first 2 shown]
	s_nop 3
	v_cvt_f16_f32_e32 v10, v2
	v_cvt_f16_f32_e32 v11, v3
	;; [unrolled: 1-line block ×3, first 2 shown]
	s_waitcnt vmcnt(6)
	v_mfma_f32_16x16x16_f16 v[6:9], v[38:39], v[66:67], v[6:9]
	v_cvt_f16_f32_e32 v13, v5
	v_mfma_f32_16x16x16_f16 v[6:9], v[40:41], v[68:69], v[6:9]
	s_waitcnt vmcnt(5)
	v_mfma_f32_16x16x16_f16 v[6:9], v[42:43], v[30:31], v[6:9]
	v_mfma_f32_16x16x16_f16 v[6:9], v[44:45], v[32:33], v[6:9]
	s_waitcnt vmcnt(4)
	v_mfma_f32_16x16x16_f16 v[6:9], v[34:35], v[76:77], v[6:9]
	;; [unrolled: 3-line block ×6, first 2 shown]
	v_mfma_f32_16x16x16_f16 v[2:5], v[60:61], v[20:21], v[6:9]
	s_nop 6
	v_cvt_f16_f32_e32 v6, v2
	v_cvt_f16_f32_e32 v7, v3
	;; [unrolled: 1-line block ×4, first 2 shown]
	v_pack_b32_f16 v2, v10, v11
	v_pack_b32_f16 v3, v12, v13
	;; [unrolled: 1-line block ×4, first 2 shown]
	ds_write2st64_b64 v80, v[2:3], v[4:5] offset1:1
	v_and_b32_e32 v2, 63, v0
	v_cmp_gt_u32_e64 s[4:5], 32, v2
	s_and_b64 s[4:5], vcc, s[4:5]
	s_waitcnt lgkmcnt(0)
	s_barrier
	s_and_saveexec_b64 s[8:9], s[4:5]
	s_cbranch_execz .LBB301_17
; %bb.16:
	s_load_dwordx2 s[0:1], s[0:1], 0x68
	s_mul_i32 s2, s7, s2
	s_lshl_b32 s6, s6, 7
	v_lshlrev_b32_e32 v4, 6, v84
	s_mul_hi_u32 s5, s2, s6
	s_mul_i32 s4, s2, s6
	v_lshlrev_b32_e32 v3, 4, v0
	v_lshl_or_b32 v0, v0, 10, v4
	s_lshl_b64 s[4:5], s[4:5], 1
	v_lshlrev_b32_e32 v2, 5, v1
	v_and_b32_e32 v3, 16, v3
	v_and_b32_e32 v0, 0x1a00, v0
	s_waitcnt lgkmcnt(0)
	s_add_u32 s4, s0, s4
	v_or3_b32 v0, v0, v2, v3
	s_addc_u32 s5, s1, s5
	s_lshl_b32 s2, s26, 7
	ds_read_b128 v[2:5], v0
	s_lshl_b64 s[0:1], s[2:3], 1
	s_add_u32 s0, s4, s0
	v_or_b32_e32 v0, s27, v1
	s_addc_u32 s1, s5, s1
	v_mad_u64_u32 v[0:1], s[2:3], s6, v0, 0
	v_lshl_add_u64 v[0:1], v[0:1], 1, s[0:1]
	v_mov_b32_e32 v75, 0
	v_lshl_add_u64 v[0:1], v[0:1], 0, v[74:75]
	s_waitcnt lgkmcnt(0)
	global_store_dwordx4 v[0:1], v[2:5], off
.LBB301_17:
	s_endpgm
	.section	.rodata,"a",@progbits
	.p2align	6, 0x0
	.amdhsa_kernel _Z39paged_attention_ll4mi_QKV_mfma16_kernelIDF16_DF16_LN4vllm18Fp8KVCacheDataTypeE0EDF16_Li16ELi128ELi256ELb0ELi2EEvPKT_PKT0_S7_ifPKiS9_S9_iPKfiiiPfSC_PS2_PT2_iSB_SB_
		.amdhsa_group_segment_fixed_size 8192
		.amdhsa_private_segment_fixed_size 0
		.amdhsa_kernarg_size 400
		.amdhsa_user_sgpr_count 2
		.amdhsa_user_sgpr_dispatch_ptr 0
		.amdhsa_user_sgpr_queue_ptr 0
		.amdhsa_user_sgpr_kernarg_segment_ptr 1
		.amdhsa_user_sgpr_dispatch_id 0
		.amdhsa_user_sgpr_kernarg_preload_length 0
		.amdhsa_user_sgpr_kernarg_preload_offset 0
		.amdhsa_user_sgpr_private_segment_size 0
		.amdhsa_uses_dynamic_stack 0
		.amdhsa_enable_private_segment 0
		.amdhsa_system_sgpr_workgroup_id_x 1
		.amdhsa_system_sgpr_workgroup_id_y 1
		.amdhsa_system_sgpr_workgroup_id_z 1
		.amdhsa_system_sgpr_workgroup_info 0
		.amdhsa_system_vgpr_workitem_id 0
		.amdhsa_next_free_vgpr 96
		.amdhsa_next_free_sgpr 41
		.amdhsa_accum_offset 96
		.amdhsa_reserve_vcc 1
		.amdhsa_float_round_mode_32 0
		.amdhsa_float_round_mode_16_64 0
		.amdhsa_float_denorm_mode_32 3
		.amdhsa_float_denorm_mode_16_64 3
		.amdhsa_dx10_clamp 1
		.amdhsa_ieee_mode 1
		.amdhsa_fp16_overflow 0
		.amdhsa_tg_split 0
		.amdhsa_exception_fp_ieee_invalid_op 0
		.amdhsa_exception_fp_denorm_src 0
		.amdhsa_exception_fp_ieee_div_zero 0
		.amdhsa_exception_fp_ieee_overflow 0
		.amdhsa_exception_fp_ieee_underflow 0
		.amdhsa_exception_fp_ieee_inexact 0
		.amdhsa_exception_int_div_zero 0
	.end_amdhsa_kernel
	.section	.text._Z39paged_attention_ll4mi_QKV_mfma16_kernelIDF16_DF16_LN4vllm18Fp8KVCacheDataTypeE0EDF16_Li16ELi128ELi256ELb0ELi2EEvPKT_PKT0_S7_ifPKiS9_S9_iPKfiiiPfSC_PS2_PT2_iSB_SB_,"axG",@progbits,_Z39paged_attention_ll4mi_QKV_mfma16_kernelIDF16_DF16_LN4vllm18Fp8KVCacheDataTypeE0EDF16_Li16ELi128ELi256ELb0ELi2EEvPKT_PKT0_S7_ifPKiS9_S9_iPKfiiiPfSC_PS2_PT2_iSB_SB_,comdat
.Lfunc_end301:
	.size	_Z39paged_attention_ll4mi_QKV_mfma16_kernelIDF16_DF16_LN4vllm18Fp8KVCacheDataTypeE0EDF16_Li16ELi128ELi256ELb0ELi2EEvPKT_PKT0_S7_ifPKiS9_S9_iPKfiiiPfSC_PS2_PT2_iSB_SB_, .Lfunc_end301-_Z39paged_attention_ll4mi_QKV_mfma16_kernelIDF16_DF16_LN4vllm18Fp8KVCacheDataTypeE0EDF16_Li16ELi128ELi256ELb0ELi2EEvPKT_PKT0_S7_ifPKiS9_S9_iPKfiiiPfSC_PS2_PT2_iSB_SB_
                                        ; -- End function
	.section	.AMDGPU.csdata,"",@progbits
; Kernel info:
; codeLenInByte = 4312
; NumSgprs: 47
; NumVgprs: 96
; NumAgprs: 0
; TotalNumVgprs: 96
; ScratchSize: 0
; MemoryBound: 0
; FloatMode: 240
; IeeeMode: 1
; LDSByteSize: 8192 bytes/workgroup (compile time only)
; SGPRBlocks: 5
; VGPRBlocks: 11
; NumSGPRsForWavesPerEU: 47
; NumVGPRsForWavesPerEU: 96
; AccumOffset: 96
; Occupancy: 5
; WaveLimiterHint : 1
; COMPUTE_PGM_RSRC2:SCRATCH_EN: 0
; COMPUTE_PGM_RSRC2:USER_SGPR: 2
; COMPUTE_PGM_RSRC2:TRAP_HANDLER: 0
; COMPUTE_PGM_RSRC2:TGID_X_EN: 1
; COMPUTE_PGM_RSRC2:TGID_Y_EN: 1
; COMPUTE_PGM_RSRC2:TGID_Z_EN: 1
; COMPUTE_PGM_RSRC2:TIDIG_COMP_CNT: 0
; COMPUTE_PGM_RSRC3_GFX90A:ACCUM_OFFSET: 23
; COMPUTE_PGM_RSRC3_GFX90A:TG_SPLIT: 0
	.section	.text._Z39paged_attention_ll4mi_QKV_mfma16_kernelIDF16_DF16_LN4vllm18Fp8KVCacheDataTypeE0EDF16_Li16ELi128ELi256ELb0ELi3EEvPKT_PKT0_S7_ifPKiS9_S9_iPKfiiiPfSC_PS2_PT2_iSB_SB_,"axG",@progbits,_Z39paged_attention_ll4mi_QKV_mfma16_kernelIDF16_DF16_LN4vllm18Fp8KVCacheDataTypeE0EDF16_Li16ELi128ELi256ELb0ELi3EEvPKT_PKT0_S7_ifPKiS9_S9_iPKfiiiPfSC_PS2_PT2_iSB_SB_,comdat
	.protected	_Z39paged_attention_ll4mi_QKV_mfma16_kernelIDF16_DF16_LN4vllm18Fp8KVCacheDataTypeE0EDF16_Li16ELi128ELi256ELb0ELi3EEvPKT_PKT0_S7_ifPKiS9_S9_iPKfiiiPfSC_PS2_PT2_iSB_SB_ ; -- Begin function _Z39paged_attention_ll4mi_QKV_mfma16_kernelIDF16_DF16_LN4vllm18Fp8KVCacheDataTypeE0EDF16_Li16ELi128ELi256ELb0ELi3EEvPKT_PKT0_S7_ifPKiS9_S9_iPKfiiiPfSC_PS2_PT2_iSB_SB_
	.globl	_Z39paged_attention_ll4mi_QKV_mfma16_kernelIDF16_DF16_LN4vllm18Fp8KVCacheDataTypeE0EDF16_Li16ELi128ELi256ELb0ELi3EEvPKT_PKT0_S7_ifPKiS9_S9_iPKfiiiPfSC_PS2_PT2_iSB_SB_
	.p2align	8
	.type	_Z39paged_attention_ll4mi_QKV_mfma16_kernelIDF16_DF16_LN4vllm18Fp8KVCacheDataTypeE0EDF16_Li16ELi128ELi256ELb0ELi3EEvPKT_PKT0_S7_ifPKiS9_S9_iPKfiiiPfSC_PS2_PT2_iSB_SB_,@function
_Z39paged_attention_ll4mi_QKV_mfma16_kernelIDF16_DF16_LN4vllm18Fp8KVCacheDataTypeE0EDF16_Li16ELi128ELi256ELb0ELi3EEvPKT_PKT0_S7_ifPKiS9_S9_iPKfiiiPfSC_PS2_PT2_iSB_SB_: ; @_Z39paged_attention_ll4mi_QKV_mfma16_kernelIDF16_DF16_LN4vllm18Fp8KVCacheDataTypeE0EDF16_Li16ELi128ELi256ELb0ELi3EEvPKT_PKT0_S7_ifPKiS9_S9_iPKfiiiPfSC_PS2_PT2_iSB_SB_
; %bb.0:
	s_load_dwordx2 s[8:9], s[0:1], 0x30
	s_mov_b32 s26, s3
	s_mov_b64 s[6:7], 0
	s_waitcnt lgkmcnt(0)
	s_cmp_lg_u64 s[8:9], 0
	s_cselect_b64 s[10:11], -1, 0
	s_and_b64 vcc, exec, s[10:11]
	s_cbranch_vccz .LBB302_7
; %bb.1:
	s_add_i32 s12, s2, 1
	s_mov_b32 s13, 0
	s_lshl_b64 s[14:15], s[12:13], 2
	s_add_u32 s14, s8, s14
	s_mov_b32 s3, s13
	s_addc_u32 s15, s9, s15
	s_lshl_b64 s[12:13], s[2:3], 2
	s_add_u32 s12, s8, s12
	s_addc_u32 s13, s9, s13
	s_load_dword s5, s[14:15], 0x0
	s_load_dword s16, s[12:13], 0x0
	s_waitcnt lgkmcnt(0)
	s_sub_i32 s5, s5, s16
	s_cmp_eq_u32 s5, 1
	s_cselect_b64 s[12:13], -1, 0
	s_andn2_b64 vcc, exec, s[6:7]
	s_cbranch_vccnz .LBB302_3
.LBB302_2:
	s_mov_b32 s3, 0
	s_mov_b64 s[12:13], -1
.LBB302_3:
	s_andn2_b64 vcc, exec, s[12:13]
	s_cbranch_vccnz .LBB302_17
; %bb.4:
	s_load_dwordx2 s[6:7], s[0:1], 0x28
	s_lshl_b64 s[16:17], s[2:3], 2
	s_waitcnt lgkmcnt(0)
	s_add_u32 s6, s6, s16
	s_addc_u32 s7, s7, s17
	s_load_dword s33, s[6:7], 0x0
	s_lshl_b32 s18, s26, 8
	s_waitcnt lgkmcnt(0)
	s_cmp_ge_i32 s18, s33
	s_cbranch_scc1 .LBB302_17
; %bb.5:
	s_load_dwordx2 s[6:7], s[0:1], 0x20
	s_load_dword s5, s[0:1], 0x38
	s_add_i32 s12, s33, 15
	s_ashr_i32 s13, s12, 31
	v_and_b32_e32 v1, 0xcf, v0
	s_lshr_b32 s13, s13, 28
	v_add_u32_e32 v1, s18, v1
	s_add_i32 s12, s12, s13
	v_ashrrev_i32_e32 v2, 31, v1
	s_ashr_i32 s19, s12, 4
	v_lshrrev_b32_e32 v4, 28, v2
	s_add_i32 s19, s19, -1
	s_waitcnt lgkmcnt(0)
	s_mul_i32 s12, s2, s5
	s_mov_b32 s13, 0
	v_add_u32_e32 v2, v1, v4
	s_lshl_b64 s[12:13], s[12:13], 2
	v_ashrrev_i32_e32 v2, 4, v2
	v_mov_b32_e32 v5, s19
	v_cmp_gt_i32_e32 vcc, s33, v1
	s_add_u32 s6, s6, s12
	s_addc_u32 s7, s7, s13
	v_cndmask_b32_e32 v2, v5, v2, vcc
	v_ashrrev_i32_e32 v3, 31, v2
	v_lshl_add_u64 v[6:7], v[2:3], 2, s[6:7]
	v_or_b32_e32 v2, 16, v1
	v_add_u32_e32 v3, v2, v4
	v_ashrrev_i32_e32 v3, 4, v3
	v_cmp_gt_i32_e32 vcc, s33, v2
	s_load_dwordx4 s[12:15], s[0:1], 0x8
	s_nop 0
	v_cndmask_b32_e32 v2, v5, v3, vcc
	v_ashrrev_i32_e32 v3, 31, v2
	v_lshl_add_u64 v[8:9], v[2:3], 2, s[6:7]
	v_or_b32_e32 v2, 32, v1
	v_add_u32_e32 v3, v2, v4
	v_ashrrev_i32_e32 v3, 4, v3
	v_cmp_gt_i32_e32 vcc, s33, v2
	v_or_b32_e32 v1, 48, v1
	s_nop 0
	v_cndmask_b32_e32 v2, v5, v3, vcc
	v_ashrrev_i32_e32 v3, 31, v2
	v_lshl_add_u64 v[10:11], v[2:3], 2, s[6:7]
	v_add_u32_e32 v2, v1, v4
	v_ashrrev_i32_e32 v2, 4, v2
	v_cmp_gt_i32_e32 vcc, s33, v1
	s_nop 1
	v_cndmask_b32_e32 v2, v5, v2, vcc
	v_ashrrev_i32_e32 v3, 31, v2
	v_lshl_add_u64 v[12:13], v[2:3], 2, s[6:7]
	global_load_dword v4, v[6:7], off
	global_load_dword v3, v[8:9], off
	;; [unrolled: 1-line block ×4, first 2 shown]
	s_andn2_b64 vcc, exec, s[10:11]
	s_cbranch_vccnz .LBB302_8
; %bb.6:
	s_add_u32 s8, s8, s16
	s_addc_u32 s9, s9, s17
	s_load_dword s5, s[8:9], 0x0
	s_branch .LBB302_9
.LBB302_7:
	s_mov_b64 s[12:13], 0
	s_branch .LBB302_2
.LBB302_8:
	s_mov_b32 s5, s2
.LBB302_9:
	s_load_dwordx4 s[8:11], s[0:1], 0x48
	v_bfe_u32 v94, v0, 4, 2
	s_mul_i32 s40, s4, 3
	v_lshrrev_b32_e32 v77, 6, v0
	v_add_u32_e32 v1, s40, v94
	v_and_b32_e32 v76, 15, v0
	v_lshl_or_b32 v5, v77, 2, v94
	scratch_store_dword off, v1, off offset:8 ; 4-byte Folded Spill
	v_lshlrev_b32_e32 v1, 3, v76
	v_and_b32_e32 v74, 63, v0
	v_cmp_gt_u32_e32 vcc, 3, v5
	v_lshlrev_b32_e32 v6, 1, v1
	scratch_store_dwordx2 off, v[6:7], off  ; 8-byte Folded Spill
	s_and_saveexec_b64 s[16:17], vcc
	s_cbranch_execz .LBB302_11
; %bb.10:
	scratch_load_dword v1, off, off offset:8 ; 4-byte Folded Reload
	scratch_load_dwordx2 v[8:9], off, off   ; 8-byte Folded Reload
	s_load_dwordx2 s[20:21], s[0:1], 0x0
	s_waitcnt lgkmcnt(0)
	s_ashr_i32 s11, s8, 31
	s_mul_hi_u32 s22, s5, s8
	s_mul_i32 s11, s5, s11
	s_add_i32 s23, s22, s11
	s_mul_i32 s22, s5, s8
	s_lshl_b64 s[22:23], s[22:23], 1
	s_add_u32 s20, s20, s22
	s_addc_u32 s21, s21, s23
	v_mov_b32_e32 v11, 0
	v_lshlrev_b32_e32 v5, 5, v5
	s_waitcnt vmcnt(1)
	v_lshlrev_b32_e32 v6, 7, v1
	v_ashrrev_i32_e32 v7, 31, v6
	v_lshl_add_u64 v[6:7], v[6:7], 1, s[20:21]
	s_waitcnt vmcnt(0)
	v_mov_b32_e32 v10, v8
	v_lshl_add_u64 v[6:7], v[6:7], 0, v[10:11]
	scratch_store_dwordx2 off, v[8:9], off  ; 8-byte Folded Spill
	global_load_dwordx4 v[6:9], v[6:7], off
	v_and_b32_e32 v1, 3, v0
	v_lshlrev_b32_e32 v10, 9, v76
	v_lshlrev_b32_e32 v1, 9, v1
	v_and_b32_e32 v10, 0x1800, v10
	v_or3_b32 v1, v10, v1, v5
	s_waitcnt vmcnt(0)
	ds_write_b128 v1, v[6:9]
.LBB302_11:
	s_or_b64 exec, exec, s[16:17]
	s_waitcnt lgkmcnt(0)
	s_mul_i32 s4, s4, s10
	s_mov_b32 s5, 0
	s_lshl_b64 s[4:5], s[4:5], 1
	s_add_u32 s10, s12, s4
	v_lshlrev_b32_e32 v1, 4, v0
	s_addc_u32 s11, s13, s5
	v_and_b32_e32 v34, 0xf0, v1
	v_mov_b32_e32 v35, 0
	v_lshl_add_u64 v[30:31], s[10:11], 0, v[34:35]
	s_waitcnt vmcnt(5)
	v_mad_i64_i32 v[4:5], s[10:11], v4, s9, 0
	v_lshl_add_u64 v[4:5], v[4:5], 1, v[30:31]
	v_and_b32_e32 v34, 0x300, v1
	v_lshl_add_u64 v[32:33], v[4:5], 0, v[34:35]
	s_load_dword s27, s[0:1], 0x98
	s_load_dword s8, s[0:1], 0x1c
	s_waitcnt lgkmcnt(0)
	s_barrier
	global_load_dwordx4 v[6:9], v[32:33], off
	global_load_dwordx4 v[18:21], v[32:33], off offset:1024
	s_waitcnt vmcnt(6)
	v_mad_i64_i32 v[4:5], s[10:11], v3, s9, 0
	v_lshl_add_u64 v[4:5], v[4:5], 1, v[30:31]
	v_lshl_add_u64 v[36:37], v[4:5], 0, v[34:35]
	global_load_dwordx4 v[14:17], v[36:37], off
	global_load_dwordx4 v[22:25], v[36:37], off offset:1024
	s_waitcnt vmcnt(7)
	v_mad_i64_i32 v[2:3], s[10:11], v2, s9, 0
	v_lshl_add_u64 v[2:3], v[2:3], 1, v[30:31]
	v_lshl_add_u64 v[38:39], v[2:3], 0, v[34:35]
	global_load_dwordx4 v[26:29], v[38:39], off
	global_load_dwordx4 v[46:49], v[38:39], off offset:1024
	v_mul_lo_u16_e32 v1, 0x56, v76
	v_mov_b32_e32 v2, 3
	v_mul_lo_u16_sdwa v1, v1, v2 dst_sel:DWORD dst_unused:UNUSED_PAD src0_sel:BYTE_1 src1_sel:DWORD
	v_mov_b32_e32 v3, 5
	v_sub_u16_e32 v1, v76, v1
	v_lshlrev_b32_sdwa v1, v3, v1 dst_sel:DWORD dst_unused:UNUSED_PAD src0_sel:DWORD src1_sel:BYTE_0
	v_lshl_add_u32 v41, v94, 9, v1
	ds_read_b128 v[10:13], v41
	ds_read_b128 v[2:5], v41 offset:2048
	global_load_dwordx4 v[54:57], v[32:33], off offset:2048
	global_load_dwordx4 v[62:65], v[36:37], off offset:2048
	v_and_or_b32 v1, v0, 48, s18
	v_mov_b32_e32 v70, s19
	v_cmp_gt_i32_e32 vcc, s33, v1
	v_or_b32_e32 v66, 64, v1
	v_or_b32_e32 v71, 0x80, v1
	;; [unrolled: 1-line block ×3, first 2 shown]
	v_ashrrev_i32_e32 v73, 4, v71
	v_ashrrev_i32_e32 v75, 4, v72
	s_add_u32 s4, s14, s4
	s_addc_u32 s5, s15, s5
	s_mov_b32 s41, 0xff7fffff
	s_waitcnt vmcnt(7) lgkmcnt(1)
	v_mfma_f32_16x16x16_f16 v[42:45], v[6:7], v[10:11], 0
	v_mfma_f32_16x16x16_f16 v[6:9], v[8:9], v[12:13], v[42:45]
	s_nop 5
	global_load_dwordx4 v[42:45], v[38:39], off offset:2048
	s_waitcnt vmcnt(6)
	v_mfma_f32_16x16x16_f16 v[50:53], v[14:15], v[10:11], 0
	s_waitcnt vmcnt(4)
	v_mfma_f32_16x16x16_f16 v[58:61], v[26:27], v[10:11], 0
	v_mfma_f32_16x16x16_f16 v[14:17], v[16:17], v[12:13], v[50:53]
	s_nop 3
	global_load_dwordx4 v[50:53], v[32:33], off offset:3072
	v_mfma_f32_16x16x16_f16 v[26:29], v[28:29], v[12:13], v[58:61]
	v_mad_i64_i32 v[32:33], s[10:11], v40, s9, 0
	v_ashrrev_i32_e32 v40, 4, v1
	s_waitcnt lgkmcnt(0)
	v_mfma_f32_16x16x16_f16 v[14:17], v[22:23], v[2:3], v[14:17]
	global_load_dwordx4 v[58:61], v[36:37], off offset:3072
	v_ashrrev_i32_e32 v1, 4, v66
	v_mfma_f32_16x16x16_f16 v[6:9], v[18:19], v[2:3], v[6:9]
	v_cndmask_b32_e32 v18, v70, v40, vcc
	v_ashrrev_i32_e32 v19, 31, v18
	v_lshl_add_u64 v[18:19], v[18:19], 2, s[6:7]
	s_waitcnt vmcnt(5)
	v_mfma_f32_16x16x16_f16 v[26:29], v[46:47], v[2:3], v[26:29]
	global_load_dword v82, v[18:19], off
	v_cmp_gt_i32_e32 vcc, s33, v66
	ds_read_b128 v[66:69], v41 offset:4096
	v_mfma_f32_16x16x16_f16 v[14:17], v[24:25], v[4:5], v[14:17]
	global_load_dwordx4 v[22:25], v[38:39], off offset:3072
	v_cndmask_b32_e32 v36, v70, v1, vcc
	v_ashrrev_i32_e32 v37, 31, v36
	v_mfma_f32_16x16x16_f16 v[6:9], v[20:21], v[4:5], v[6:9]
	v_cmp_gt_i32_e32 vcc, s33, v71
	ds_read_b128 v[38:41], v41 offset:6144
	v_lshl_or_b32 v1, v77, 4, v76
	v_mfma_f32_16x16x16_f16 v[18:21], v[48:49], v[4:5], v[26:29]
	s_nop 2
	v_lshl_add_u64 v[26:27], v[32:33], 1, v[30:31]
	v_lshl_add_u64 v[26:27], v[26:27], 0, v[34:35]
	;; [unrolled: 1-line block ×3, first 2 shown]
	global_load_dwordx4 v[46:49], v[26:27], off
	global_load_dword v36, v[28:29], off
	s_waitcnt vmcnt(8) lgkmcnt(1)
	v_mfma_f32_16x16x16_f16 v[6:9], v[54:55], v[66:67], v[6:9]
	v_cndmask_b32_e32 v28, v70, v73, vcc
	v_ashrrev_i32_e32 v29, 31, v28
	v_lshl_add_u64 v[28:29], v[28:29], 2, s[6:7]
	v_mfma_f32_16x16x16_f16 v[6:9], v[56:57], v[68:69], v[6:9]
	global_load_dwordx4 v[54:57], v[26:27], off offset:1024
	v_cmp_gt_i32_e32 vcc, s33, v72
	global_load_dword v83, v[28:29], off
	s_waitcnt vmcnt(9)
	v_mfma_f32_16x16x16_f16 v[14:17], v[62:63], v[66:67], v[14:17]
	v_cndmask_b32_e32 v28, v70, v75, vcc
	v_ashrrev_i32_e32 v29, 31, v28
	v_lshl_add_u64 v[28:29], v[28:29], 2, s[6:7]
	v_mfma_f32_16x16x16_f16 v[14:17], v[64:65], v[68:69], v[14:17]
	global_load_dword v64, v[28:29], off
	v_lshlrev_b32_e32 v34, 5, v1
	v_lshl_add_u64 v[62:63], s[4:5], 0, v[34:35]
	v_or_b32_e32 v34, 0x800, v34
	s_waitcnt vmcnt(9)
	v_mfma_f32_16x16x16_f16 v[18:21], v[42:43], v[66:67], v[18:21]
	global_load_dwordx4 v[70:73], v[26:27], off offset:3072
	v_mfma_f32_16x16x16_f16 v[18:21], v[44:45], v[68:69], v[18:21]
	global_load_dwordx4 v[42:45], v[26:27], off offset:2048
	s_waitcnt vmcnt(10) lgkmcnt(0)
	v_mfma_f32_16x16x16_f16 v[6:9], v[50:51], v[38:39], v[6:9]
	v_mfma_f32_16x16x16_f16 v[78:81], v[52:53], v[40:41], v[6:9]
	s_waitcnt vmcnt(9)
	v_mfma_f32_16x16x16_f16 v[14:17], v[58:59], v[38:39], v[14:17]
	s_waitcnt vmcnt(8)
	s_nop 2
	v_mad_i64_i32 v[6:7], s[6:7], v82, s9, 0
	v_lshlrev_b64 v[52:53], 1, v[6:7]
	v_lshl_add_u64 v[6:7], v[62:63], 0, v[52:53]
	global_load_dwordx4 v[30:33], v[6:7], off
	global_load_dwordx4 v[26:29], v[6:7], off offset:16
	s_waitcnt vmcnt(9)
	v_mfma_f32_16x16x16_f16 v[6:9], v[22:23], v[38:39], v[18:21]
	v_mfma_f32_16x16x16_f16 v[90:93], v[60:61], v[40:41], v[14:17]
	v_pk_mul_f32 v[60:61], s[8:9], v[78:79] op_sel_hi:[0,1]
	v_mfma_f32_16x16x16_f16 v[86:89], v[24:25], v[40:41], v[6:9]
	s_waitcnt vmcnt(7)
	v_mad_i64_i32 v[14:15], s[6:7], v36, s9, 0
	v_lshlrev_b64 v[36:37], 1, v[14:15]
	s_nop 0
	v_lshl_add_u64 v[6:7], v[62:63], 0, v[36:37]
	global_load_dwordx4 v[22:25], v[6:7], off
	global_load_dwordx4 v[18:21], v[6:7], off offset:16
	v_mfma_f32_16x16x16_f16 v[6:9], v[46:47], v[10:11], 0
	v_pk_mul_f32 v[84:85], s[8:9], v[92:93] op_sel_hi:[0,1]
	v_pk_mul_f32 v[78:79], s[8:9], v[88:89] op_sel_hi:[0,1]
	s_waitcnt vmcnt(7)
	v_mad_i64_i32 v[10:11], s[6:7], v83, s9, 0
	v_mfma_f32_16x16x16_f16 v[6:9], v[48:49], v[12:13], v[6:9]
	v_pk_mul_f32 v[82:83], s[8:9], v[80:81] op_sel_hi:[0,1]
	v_pk_mul_f32 v[80:81], s[8:9], v[86:87] op_sel_hi:[0,1]
	v_lshlrev_b64 v[50:51], 1, v[10:11]
	v_mfma_f32_16x16x16_f16 v[6:9], v[54:55], v[2:3], v[6:9]
	s_waitcnt vmcnt(6)
	v_mad_i64_i32 v[2:3], s[6:7], v64, s9, 0
	v_lshlrev_b64 v[58:59], 1, v[2:3]
	v_mfma_f32_16x16x16_f16 v[46:49], v[56:57], v[4:5], v[6:9]
	v_lshl_add_u64 v[10:11], v[62:63], 0, v[50:51]
	v_lshl_add_u64 v[2:3], v[62:63], 0, v[58:59]
	;; [unrolled: 1-line block ×4, first 2 shown]
	global_load_dwordx4 v[14:17], v[10:11], off
	s_nop 0
	global_load_dwordx4 v[10:13], v[10:11], off offset:16
	s_nop 0
	global_load_dwordx4 v[6:9], v[2:3], off
	s_nop 0
	global_load_dwordx4 v[2:5], v[2:3], off offset:16
	v_lshl_add_u64 v[50:51], v[62:63], 0, v[50:51]
	v_lshl_add_u64 v[58:59], v[62:63], 0, v[58:59]
	s_waitcnt vmcnt(8)
	v_mfma_f32_16x16x16_f16 v[46:49], v[42:43], v[66:67], v[46:49]
	v_mfma_f32_16x16x16_f16 v[42:45], v[44:45], v[68:69], v[46:49]
	;; [unrolled: 1-line block ×3, first 2 shown]
	v_pk_mul_f32 v[70:71], s[8:9], v[90:91] op_sel_hi:[0,1]
	v_mfma_f32_16x16x16_f16 v[38:41], v[72:73], v[40:41], v[42:45]
	s_nop 6
	v_pk_mul_f32 v[72:73], s[8:9], v[38:39] op_sel_hi:[0,1]
	v_and_b32_e32 v38, 0xc0, v0
	v_add_u32_e32 v38, s18, v38
	v_lshl_or_b32 v38, v94, 2, v38
	v_pk_mul_f32 v[66:67], s[8:9], v[40:41] op_sel_hi:[0,1]
	v_or_b32_e32 v41, 1, v38
	v_mov_b32_e32 v39, 0xff7fffff
	v_cmp_gt_i32_e64 s[28:29], s33, v38
	v_cmp_gt_i32_e64 s[30:31], s33, v41
	v_or_b32_e32 v42, 3, v38
	v_cndmask_b32_e64 v40, v39, v60, s[28:29]
	v_cndmask_b32_e64 v41, v39, v61, s[30:31]
	v_max3_f32 v40, v40, s41, v41
	v_or_b32_e32 v41, 2, v38
	v_cmp_gt_i32_e64 s[34:35], s33, v41
	v_cmp_gt_i32_e64 s[36:37], s33, v42
	s_nop 0
	v_cndmask_b32_e64 v41, v39, v82, s[34:35]
	v_cndmask_b32_e64 v42, v39, v83, s[36:37]
	v_max3_f32 v40, v40, v41, v42
	v_or_b32_e32 v41, 16, v38
	v_or_b32_e32 v42, 17, v38
	v_cmp_gt_i32_e64 s[22:23], s33, v41
	v_cmp_gt_i32_e64 s[24:25], s33, v42
	s_nop 0
	v_cndmask_b32_e64 v41, v39, v70, s[22:23]
	v_cndmask_b32_e64 v42, v39, v71, s[24:25]
	v_max3_f32 v40, v40, v41, v42
	v_or_b32_e32 v41, 18, v38
	;; [unrolled: 8-line block ×6, first 2 shown]
	v_or_b32_e32 v38, 51, v38
	v_cmp_gt_i32_e32 vcc, s33, v41
	v_cmp_gt_i32_e64 s[4:5], s33, v38
	s_nop 0
	v_cndmask_b32_e32 v41, v39, v66, vcc
	v_cndmask_b32_e64 v38, v39, v67, s[4:5]
	v_max3_f32 v52, v40, v41, v38
	v_mbcnt_lo_u32_b32 v38, -1, 0
	v_mbcnt_hi_u32_b32 v53, -1, v38
	v_and_b32_e32 v38, 64, v53
	v_add_u32_e32 v54, 64, v38
	v_xor_b32_e32 v38, 32, v53
	v_cmp_lt_i32_e64 s[38:39], v38, v54
	s_nop 1
	v_cndmask_b32_e64 v38, v53, v38, s[38:39]
	v_lshlrev_b32_e32 v75, 2, v38
	ds_bpermute_b32 v55, v75, v52
	global_load_dwordx4 v[46:49], v[34:35], off
	global_load_dwordx4 v[38:41], v[34:35], off offset:16
	v_lshl_add_u64 v[34:35], v[62:63], 0, v[36:37]
	global_load_dwordx4 v[42:45], v[34:35], off
	s_nop 0
	global_load_dwordx4 v[34:37], v[34:35], off offset:16
	s_waitcnt lgkmcnt(0)
	v_max_f32_e32 v55, v55, v55
	v_max_f32_e32 v64, v52, v55
	v_xor_b32_e32 v52, 16, v53
	v_cmp_lt_i32_e64 s[38:39], v52, v54
	s_nop 1
	v_cndmask_b32_e64 v52, v53, v52, s[38:39]
	v_lshlrev_b32_e32 v86, 2, v52
	ds_bpermute_b32 v65, v86, v64
	global_load_dwordx4 v[54:57], v[50:51], off
	s_nop 0
	global_load_dwordx4 v[50:53], v[50:51], off offset:16
	s_waitcnt lgkmcnt(0)
	v_max_f32_e32 v62, v65, v65
	v_max_f32_e32 v89, v64, v62
	v_sub_f32_e32 v60, v60, v89
	v_mul_f32_e32 v60, 0x3fb8aa3b, v60
	v_exp_f32_e32 v68, v60
	v_sub_f32_e32 v60, v61, v89
	v_mul_f32_e32 v60, 0x3fb8aa3b, v60
	v_exp_f32_e32 v69, v60
	global_load_dwordx4 v[62:65], v[58:59], off
	s_nop 0
	global_load_dwordx4 v[58:61], v[58:59], off offset:16
	v_sub_f32_e32 v82, v82, v89
	v_mul_f32_e32 v82, 0x3fb8aa3b, v82
	v_sub_f32_e32 v83, v83, v89
	v_exp_f32_e32 v82, v82
	v_mul_f32_e32 v83, 0x3fb8aa3b, v83
	v_sub_f32_e32 v70, v70, v89
	v_exp_f32_e32 v83, v83
	v_mul_f32_e32 v70, 0x3fb8aa3b, v70
	v_sub_f32_e32 v71, v71, v89
	v_cndmask_b32_e64 v68, 0, v68, s[28:29]
	v_exp_f32_e32 v70, v70
	v_mul_f32_e32 v71, 0x3fb8aa3b, v71
	v_sub_f32_e32 v84, v84, v89
	v_add_f32_e32 v87, 0, v68
	v_cndmask_b32_e64 v69, 0, v69, s[30:31]
	v_exp_f32_e32 v71, v71
	v_mul_f32_e32 v84, 0x3fb8aa3b, v84
	v_sub_f32_e32 v85, v85, v89
	v_add_f32_e32 v87, v87, v69
	;; [unrolled: 5-line block ×10, first 2 shown]
	v_cndmask_b32_e64 v78, 0, v78, s[10:11]
	v_exp_f32_e32 v66, v66
	v_mul_f32_e32 v67, 0x3fb8aa3b, v67
	v_add_f32_e32 v87, v87, v78
	v_cndmask_b32_e64 v79, 0, v79, s[12:13]
	v_exp_f32_e32 v67, v67
	v_add_f32_e32 v87, v87, v79
	v_cndmask_b32_e64 v72, 0, v72, s[6:7]
	v_add_f32_e32 v87, v87, v72
	v_cndmask_b32_e64 v73, 0, v73, s[8:9]
	v_add_f32_e32 v87, v87, v73
	v_cndmask_b32_e32 v66, 0, v66, vcc
	v_add_f32_e32 v87, v87, v66
	v_cndmask_b32_e64 v67, 0, v67, s[4:5]
	v_add_f32_e32 v87, v87, v67
	ds_bpermute_b32 v75, v75, v87
	v_cmp_gt_u32_e32 vcc, 16, v74
	s_waitcnt lgkmcnt(0)
	s_barrier
	v_add_f32_e32 v90, v87, v75
	ds_bpermute_b32 v91, v86, v90
	s_and_saveexec_b64 s[4:5], vcc
	s_cbranch_execz .LBB302_13
; %bb.12:
	s_waitcnt lgkmcnt(0)
	v_add_f32_e32 v74, v90, v91
	v_lshlrev_b32_e32 v1, 2, v1
	ds_write2st64_b32 v1, v89, v74 offset1:1
.LBB302_13:
	s_or_b64 exec, exec, s[4:5]
	v_lshlrev_b32_e32 v1, 2, v76
	s_load_dword s6, s[0:1], 0x94
	s_waitcnt lgkmcnt(0)
	s_barrier
	ds_read2_b32 v[88:89], v1 offset1:16
	ds_read2_b32 v[90:91], v1 offset0:32 offset1:48
	ds_read2_b32 v[92:93], v1 offset0:64 offset1:80
	s_mul_i32 s7, s27, 3
	s_waitcnt lgkmcnt(2)
	v_max3_f32 v74, v88, s41, v89
	s_waitcnt lgkmcnt(1)
	v_max3_f32 v87, v74, v90, v91
	v_sub_f32_e32 v74, v88, v87
	v_mul_f32_e32 v74, 0x3fb8aa3b, v74
	v_exp_f32_e32 v86, v74
	v_sub_f32_e32 v74, v89, v87
	v_mul_f32_e32 v74, 0x3fb8aa3b, v74
	v_exp_f32_e32 v89, v74
	v_sub_f32_e32 v74, v90, v87
	v_mul_f32_e32 v74, 0x3fb8aa3b, v74
	v_exp_f32_e32 v90, v74
	ds_read2_b32 v[74:75], v1 offset0:96 offset1:112
	v_sub_f32_e32 v1, v91, v87
	v_mul_f32_e32 v1, 0x3fb8aa3b, v1
	v_exp_f32_e32 v1, v1
	s_waitcnt lgkmcnt(1)
	v_fma_f32 v88, v86, v92, 0
	v_fmac_f32_e32 v88, v89, v93
	s_waitcnt lgkmcnt(0)
	v_fmac_f32_e32 v88, v90, v74
	v_fmac_f32_e32 v88, v1, v75
	v_add_f32_e32 v74, 0x358637bd, v88
	v_div_scale_f32 v75, s[4:5], v74, v74, 1.0
	v_rcp_f32_e32 v91, v75
	s_barrier
	v_fma_f32 v92, -v75, v91, 1.0
	v_fmac_f32_e32 v91, v92, v91
	v_div_scale_f32 v92, vcc, 1.0, v74, 1.0
	v_mul_f32_e32 v93, v92, v91
	v_fma_f32 v95, -v75, v93, v92
	v_fmac_f32_e32 v93, v95, v91
	v_fma_f32 v75, -v75, v93, v92
	v_div_fmas_f32 v75, v75, v91, v93
	v_cmp_eq_u32_e32 vcc, 1, v77
	v_div_fixup_f32 v74, v75, v74, 1.0
	s_nop 0
	v_cndmask_b32_e32 v75, v86, v89, vcc
	v_cmp_eq_u32_e32 vcc, 2, v77
	s_nop 1
	v_cndmask_b32_e32 v75, v75, v90, vcc
	v_cmp_eq_u32_e32 vcc, 3, v77
	v_lshlrev_b32_e32 v77, 11, v77
	s_nop 0
	v_cndmask_b32_e32 v1, v75, v1, vcc
	v_mul_f32_e32 v74, v1, v74
	v_pk_mul_f32 v[82:83], v[74:75], v[82:83] op_sel_hi:[0,1]
	v_pk_mul_f32 v[68:69], v[74:75], v[68:69] op_sel_hi:[0,1]
	v_cvt_f16_f32_e32 v75, v83
	v_cvt_f16_f32_e32 v1, v68
	;; [unrolled: 1-line block ×4, first 2 shown]
	v_pk_mul_f32 v[82:83], v[74:75], v[84:85] op_sel_hi:[0,1]
	v_pk_mul_f32 v[70:71], v[74:75], v[70:71] op_sel_hi:[0,1]
	v_pack_b32_f16 v90, v1, v68
	v_pack_b32_f16 v91, v69, v75
	v_cvt_f16_f32_e32 v69, v70
	v_cvt_f16_f32_e32 v70, v71
	;; [unrolled: 1-line block ×4, first 2 shown]
	v_lshlrev_b32_e32 v1, 3, v94
	v_lshlrev_b32_e32 v68, 5, v76
	v_or3_b32 v82, v77, v68, v1
	v_pack_b32_f16 v70, v69, v70
	v_pack_b32_f16 v71, v71, v75
	ds_write2st64_b64 v82, v[90:91], v[70:71] offset1:1
	v_pk_mul_f32 v[70:71], v[74:75], v[78:79] op_sel_hi:[0,1]
	v_pk_mul_f32 v[78:79], v[74:75], v[80:81] op_sel_hi:[0,1]
	v_cvt_f16_f32_e32 v75, v70
	v_cvt_f16_f32_e32 v77, v71
	;; [unrolled: 1-line block ×4, first 2 shown]
	v_pk_mul_f32 v[66:67], v[74:75], v[66:67] op_sel_hi:[0,1]
	v_pk_mul_f32 v[70:71], v[74:75], v[72:73] op_sel_hi:[0,1]
	v_cvt_f16_f32_e32 v70, v70
	v_cvt_f16_f32_e32 v71, v71
	;; [unrolled: 1-line block ×4, first 2 shown]
	v_pack_b32_f16 v66, v1, v69
	v_pack_b32_f16 v67, v75, v77
	;; [unrolled: 1-line block ×4, first 2 shown]
	v_cmp_gt_u32_e32 vcc, 3, v0
	ds_write2st64_b64 v82, v[66:67], v[70:71] offset0:2 offset1:3
	s_and_saveexec_b64 s[4:5], vcc
	s_cbranch_execz .LBB302_15
; %bb.14:
	s_mov_b32 s41, 0
	v_mov_b32_e32 v77, 0
	v_lshl_add_u64 v[66:67], s[40:41], 0, v[76:77]
	v_mov_b32_e32 v1, s7
	v_mad_u64_u32 v[66:67], s[12:13], s2, v1, v[66:67]
	s_mul_i32 s3, s3, s7
	v_mov_b32_e32 v70, s26
	v_mov_b32_e32 v71, v77
	s_load_dwordx4 s[8:11], s[0:1], 0x58
	v_add_u32_e32 v1, s3, v67
	v_mad_u64_u32 v[66:67], s[12:13], v66, s6, v[70:71]
	v_mov_b32_e32 v70, v67
	v_mad_u64_u32 v[70:71], s[12:13], v1, s6, v[70:71]
	v_mov_b32_e32 v67, v70
	v_lshlrev_b64 v[66:67], 2, v[66:67]
	s_waitcnt lgkmcnt(0)
	v_lshl_add_u64 v[70:71], s[10:11], 0, v[66:67]
	v_lshl_add_u64 v[66:67], s[8:9], 0, v[66:67]
	global_store_dword v[70:71], v87, off
	global_store_dword v[66:67], v88, off
.LBB302_15:
	s_or_b64 exec, exec, s[4:5]
	v_lshl_or_b32 v1, v94, 9, v68
	s_waitcnt lgkmcnt(0)
	s_barrier
	ds_read_b128 v[70:73], v1
	ds_read_b128 v[66:69], v1 offset:16
	s_waitcnt vmcnt(15) lgkmcnt(1)
	v_mfma_f32_16x16x16_f16 v[78:81], v[30:31], v[70:71], 0
	v_cmp_gt_u32_e32 vcc, 64, v0
	v_cmp_ne_u32_e64 s[4:5], 3, v94
	s_mov_b32 s3, 0
	v_mfma_f32_16x16x16_f16 v[30:33], v[32:33], v[72:73], v[78:81]
	s_and_b64 s[4:5], vcc, s[4:5]
	s_waitcnt vmcnt(14) lgkmcnt(0)
	v_mfma_f32_16x16x16_f16 v[30:33], v[26:27], v[66:67], v[30:33]
	v_mfma_f32_16x16x16_f16 v[26:29], v[28:29], v[68:69], v[30:33]
	s_nop 5
	ds_read_b128 v[30:33], v1 offset:2048
	ds_read_b128 v[78:81], v1 offset:2064
	s_waitcnt vmcnt(13) lgkmcnt(1)
	v_mfma_f32_16x16x16_f16 v[26:29], v[22:23], v[30:31], v[26:29]
	v_mfma_f32_16x16x16_f16 v[22:25], v[24:25], v[32:33], v[26:29]
	s_waitcnt vmcnt(12) lgkmcnt(0)
	v_mfma_f32_16x16x16_f16 v[22:25], v[18:19], v[78:79], v[22:25]
	v_mfma_f32_16x16x16_f16 v[18:21], v[20:21], v[80:81], v[22:25]
	s_nop 5
	ds_read_b128 v[22:25], v1 offset:4096
	ds_read_b128 v[26:29], v1 offset:4112
	s_waitcnt vmcnt(11) lgkmcnt(1)
	v_mfma_f32_16x16x16_f16 v[18:21], v[14:15], v[22:23], v[18:21]
	v_mfma_f32_16x16x16_f16 v[14:17], v[16:17], v[24:25], v[18:21]
	s_waitcnt vmcnt(10) lgkmcnt(0)
	v_mfma_f32_16x16x16_f16 v[14:17], v[10:11], v[26:27], v[14:17]
	v_mfma_f32_16x16x16_f16 v[10:13], v[12:13], v[28:29], v[14:17]
	s_nop 5
	ds_read_b128 v[14:17], v1 offset:6144
	ds_read_b128 v[18:21], v1 offset:6160
	s_waitcnt lgkmcnt(0)
	s_barrier
	s_waitcnt vmcnt(9)
	v_mfma_f32_16x16x16_f16 v[10:13], v[6:7], v[14:15], v[10:13]
	v_mfma_f32_16x16x16_f16 v[6:9], v[8:9], v[16:17], v[10:13]
	s_waitcnt vmcnt(8)
	v_mfma_f32_16x16x16_f16 v[6:9], v[2:3], v[18:19], v[6:9]
	v_mfma_f32_16x16x16_f16 v[2:5], v[4:5], v[20:21], v[6:9]
	;; [unrolled: 3-line block ×3, first 2 shown]
	s_nop 3
	v_cvt_f16_f32_e32 v1, v2
	v_cvt_f16_f32_e32 v10, v3
	v_cvt_f16_f32_e32 v11, v4
	s_waitcnt vmcnt(6)
	v_mfma_f32_16x16x16_f16 v[6:9], v[38:39], v[66:67], v[6:9]
	v_cvt_f16_f32_e32 v12, v5
	v_mfma_f32_16x16x16_f16 v[6:9], v[40:41], v[68:69], v[6:9]
	s_waitcnt vmcnt(5)
	v_mfma_f32_16x16x16_f16 v[6:9], v[42:43], v[30:31], v[6:9]
	v_mfma_f32_16x16x16_f16 v[6:9], v[44:45], v[32:33], v[6:9]
	s_waitcnt vmcnt(4)
	v_mfma_f32_16x16x16_f16 v[6:9], v[34:35], v[78:79], v[6:9]
	v_mfma_f32_16x16x16_f16 v[6:9], v[36:37], v[80:81], v[6:9]
	s_waitcnt vmcnt(3)
	v_mfma_f32_16x16x16_f16 v[6:9], v[54:55], v[22:23], v[6:9]
	v_mfma_f32_16x16x16_f16 v[6:9], v[56:57], v[24:25], v[6:9]
	s_waitcnt vmcnt(2)
	v_mfma_f32_16x16x16_f16 v[6:9], v[50:51], v[26:27], v[6:9]
	v_mfma_f32_16x16x16_f16 v[6:9], v[52:53], v[28:29], v[6:9]
	s_waitcnt vmcnt(1)
	v_mfma_f32_16x16x16_f16 v[6:9], v[62:63], v[14:15], v[6:9]
	v_mfma_f32_16x16x16_f16 v[6:9], v[64:65], v[16:17], v[6:9]
	s_waitcnt vmcnt(0)
	v_mfma_f32_16x16x16_f16 v[6:9], v[58:59], v[18:19], v[6:9]
	v_mfma_f32_16x16x16_f16 v[2:5], v[60:61], v[20:21], v[6:9]
	s_nop 6
	v_cvt_f16_f32_e32 v6, v2
	v_cvt_f16_f32_e32 v7, v3
	;; [unrolled: 1-line block ×4, first 2 shown]
	v_pack_b32_f16 v2, v1, v10
	v_pack_b32_f16 v3, v11, v12
	v_pack_b32_f16 v4, v6, v7
	v_pack_b32_f16 v5, v8, v5
	ds_write2st64_b64 v82, v[2:3], v[4:5] offset1:1
	s_waitcnt lgkmcnt(0)
	s_barrier
	s_and_saveexec_b64 s[8:9], s[4:5]
	s_cbranch_execz .LBB302_17
; %bb.16:
	scratch_load_dword v4, off, off offset:8 ; 4-byte Folded Reload
	scratch_load_dwordx2 v[6:7], off, off   ; 8-byte Folded Reload
	s_load_dwordx2 s[0:1], s[0:1], 0x68
	s_mul_i32 s2, s7, s2
	s_lshl_b32 s6, s6, 7
	v_lshlrev_b32_e32 v3, 6, v76
	s_mul_hi_u32 s5, s2, s6
	s_mul_i32 s4, s2, s6
	v_lshlrev_b32_e32 v2, 4, v0
	v_lshl_or_b32 v0, v0, 10, v3
	s_lshl_b64 s[4:5], s[4:5], 1
	v_lshlrev_b32_e32 v1, 5, v94
	v_and_b32_e32 v2, 16, v2
	v_and_b32_e32 v0, 0x1a00, v0
	s_waitcnt lgkmcnt(0)
	s_add_u32 s4, s0, s4
	v_or3_b32 v0, v0, v1, v2
	s_addc_u32 s5, s1, s5
	s_lshl_b32 s2, s26, 7
	ds_read_b128 v[0:3], v0
	s_lshl_b64 s[0:1], s[2:3], 1
	s_add_u32 s0, s4, s0
	s_addc_u32 s1, s5, s1
	s_waitcnt vmcnt(0)
	v_mov_b32_e32 v7, 0
	v_mad_u64_u32 v[4:5], s[2:3], s6, v4, 0
	v_lshl_add_u64 v[4:5], v[4:5], 1, s[0:1]
	v_lshl_add_u64 v[4:5], v[4:5], 0, v[6:7]
	s_waitcnt lgkmcnt(0)
	global_store_dwordx4 v[4:5], v[0:3], off
.LBB302_17:
	s_endpgm
	.section	.rodata,"a",@progbits
	.p2align	6, 0x0
	.amdhsa_kernel _Z39paged_attention_ll4mi_QKV_mfma16_kernelIDF16_DF16_LN4vllm18Fp8KVCacheDataTypeE0EDF16_Li16ELi128ELi256ELb0ELi3EEvPKT_PKT0_S7_ifPKiS9_S9_iPKfiiiPfSC_PS2_PT2_iSB_SB_
		.amdhsa_group_segment_fixed_size 8192
		.amdhsa_private_segment_fixed_size 16
		.amdhsa_kernarg_size 400
		.amdhsa_user_sgpr_count 2
		.amdhsa_user_sgpr_dispatch_ptr 0
		.amdhsa_user_sgpr_queue_ptr 0
		.amdhsa_user_sgpr_kernarg_segment_ptr 1
		.amdhsa_user_sgpr_dispatch_id 0
		.amdhsa_user_sgpr_kernarg_preload_length 0
		.amdhsa_user_sgpr_kernarg_preload_offset 0
		.amdhsa_user_sgpr_private_segment_size 0
		.amdhsa_uses_dynamic_stack 0
		.amdhsa_enable_private_segment 1
		.amdhsa_system_sgpr_workgroup_id_x 1
		.amdhsa_system_sgpr_workgroup_id_y 1
		.amdhsa_system_sgpr_workgroup_id_z 1
		.amdhsa_system_sgpr_workgroup_info 0
		.amdhsa_system_vgpr_workitem_id 0
		.amdhsa_next_free_vgpr 96
		.amdhsa_next_free_sgpr 42
		.amdhsa_accum_offset 96
		.amdhsa_reserve_vcc 1
		.amdhsa_float_round_mode_32 0
		.amdhsa_float_round_mode_16_64 0
		.amdhsa_float_denorm_mode_32 3
		.amdhsa_float_denorm_mode_16_64 3
		.amdhsa_dx10_clamp 1
		.amdhsa_ieee_mode 1
		.amdhsa_fp16_overflow 0
		.amdhsa_tg_split 0
		.amdhsa_exception_fp_ieee_invalid_op 0
		.amdhsa_exception_fp_denorm_src 0
		.amdhsa_exception_fp_ieee_div_zero 0
		.amdhsa_exception_fp_ieee_overflow 0
		.amdhsa_exception_fp_ieee_underflow 0
		.amdhsa_exception_fp_ieee_inexact 0
		.amdhsa_exception_int_div_zero 0
	.end_amdhsa_kernel
	.section	.text._Z39paged_attention_ll4mi_QKV_mfma16_kernelIDF16_DF16_LN4vllm18Fp8KVCacheDataTypeE0EDF16_Li16ELi128ELi256ELb0ELi3EEvPKT_PKT0_S7_ifPKiS9_S9_iPKfiiiPfSC_PS2_PT2_iSB_SB_,"axG",@progbits,_Z39paged_attention_ll4mi_QKV_mfma16_kernelIDF16_DF16_LN4vllm18Fp8KVCacheDataTypeE0EDF16_Li16ELi128ELi256ELb0ELi3EEvPKT_PKT0_S7_ifPKiS9_S9_iPKfiiiPfSC_PS2_PT2_iSB_SB_,comdat
.Lfunc_end302:
	.size	_Z39paged_attention_ll4mi_QKV_mfma16_kernelIDF16_DF16_LN4vllm18Fp8KVCacheDataTypeE0EDF16_Li16ELi128ELi256ELb0ELi3EEvPKT_PKT0_S7_ifPKiS9_S9_iPKfiiiPfSC_PS2_PT2_iSB_SB_, .Lfunc_end302-_Z39paged_attention_ll4mi_QKV_mfma16_kernelIDF16_DF16_LN4vllm18Fp8KVCacheDataTypeE0EDF16_Li16ELi128ELi256ELb0ELi3EEvPKT_PKT0_S7_ifPKiS9_S9_iPKfiiiPfSC_PS2_PT2_iSB_SB_
                                        ; -- End function
	.section	.AMDGPU.csdata,"",@progbits
; Kernel info:
; codeLenInByte = 4436
; NumSgprs: 48
; NumVgprs: 96
; NumAgprs: 0
; TotalNumVgprs: 96
; ScratchSize: 16
; MemoryBound: 0
; FloatMode: 240
; IeeeMode: 1
; LDSByteSize: 8192 bytes/workgroup (compile time only)
; SGPRBlocks: 5
; VGPRBlocks: 11
; NumSGPRsForWavesPerEU: 48
; NumVGPRsForWavesPerEU: 96
; AccumOffset: 96
; Occupancy: 5
; WaveLimiterHint : 1
; COMPUTE_PGM_RSRC2:SCRATCH_EN: 1
; COMPUTE_PGM_RSRC2:USER_SGPR: 2
; COMPUTE_PGM_RSRC2:TRAP_HANDLER: 0
; COMPUTE_PGM_RSRC2:TGID_X_EN: 1
; COMPUTE_PGM_RSRC2:TGID_Y_EN: 1
; COMPUTE_PGM_RSRC2:TGID_Z_EN: 1
; COMPUTE_PGM_RSRC2:TIDIG_COMP_CNT: 0
; COMPUTE_PGM_RSRC3_GFX90A:ACCUM_OFFSET: 23
; COMPUTE_PGM_RSRC3_GFX90A:TG_SPLIT: 0
	.section	.text._Z39paged_attention_ll4mi_QKV_mfma16_kernelIDF16_DF16_LN4vllm18Fp8KVCacheDataTypeE0EDF16_Li16ELi128ELi256ELb0ELi4EEvPKT_PKT0_S7_ifPKiS9_S9_iPKfiiiPfSC_PS2_PT2_iSB_SB_,"axG",@progbits,_Z39paged_attention_ll4mi_QKV_mfma16_kernelIDF16_DF16_LN4vllm18Fp8KVCacheDataTypeE0EDF16_Li16ELi128ELi256ELb0ELi4EEvPKT_PKT0_S7_ifPKiS9_S9_iPKfiiiPfSC_PS2_PT2_iSB_SB_,comdat
	.protected	_Z39paged_attention_ll4mi_QKV_mfma16_kernelIDF16_DF16_LN4vllm18Fp8KVCacheDataTypeE0EDF16_Li16ELi128ELi256ELb0ELi4EEvPKT_PKT0_S7_ifPKiS9_S9_iPKfiiiPfSC_PS2_PT2_iSB_SB_ ; -- Begin function _Z39paged_attention_ll4mi_QKV_mfma16_kernelIDF16_DF16_LN4vllm18Fp8KVCacheDataTypeE0EDF16_Li16ELi128ELi256ELb0ELi4EEvPKT_PKT0_S7_ifPKiS9_S9_iPKfiiiPfSC_PS2_PT2_iSB_SB_
	.globl	_Z39paged_attention_ll4mi_QKV_mfma16_kernelIDF16_DF16_LN4vllm18Fp8KVCacheDataTypeE0EDF16_Li16ELi128ELi256ELb0ELi4EEvPKT_PKT0_S7_ifPKiS9_S9_iPKfiiiPfSC_PS2_PT2_iSB_SB_
	.p2align	8
	.type	_Z39paged_attention_ll4mi_QKV_mfma16_kernelIDF16_DF16_LN4vllm18Fp8KVCacheDataTypeE0EDF16_Li16ELi128ELi256ELb0ELi4EEvPKT_PKT0_S7_ifPKiS9_S9_iPKfiiiPfSC_PS2_PT2_iSB_SB_,@function
_Z39paged_attention_ll4mi_QKV_mfma16_kernelIDF16_DF16_LN4vllm18Fp8KVCacheDataTypeE0EDF16_Li16ELi128ELi256ELb0ELi4EEvPKT_PKT0_S7_ifPKiS9_S9_iPKfiiiPfSC_PS2_PT2_iSB_SB_: ; @_Z39paged_attention_ll4mi_QKV_mfma16_kernelIDF16_DF16_LN4vllm18Fp8KVCacheDataTypeE0EDF16_Li16ELi128ELi256ELb0ELi4EEvPKT_PKT0_S7_ifPKiS9_S9_iPKfiiiPfSC_PS2_PT2_iSB_SB_
; %bb.0:
	s_load_dwordx2 s[8:9], s[0:1], 0x30
	s_mov_b32 s28, s3
	s_mov_b64 s[6:7], 0
	s_waitcnt lgkmcnt(0)
	s_cmp_lg_u64 s[8:9], 0
	s_cselect_b64 s[10:11], -1, 0
	s_and_b64 vcc, exec, s[10:11]
	s_cbranch_vccz .LBB303_7
; %bb.1:
	s_add_i32 s12, s2, 1
	s_mov_b32 s13, 0
	s_lshl_b64 s[14:15], s[12:13], 2
	s_add_u32 s14, s8, s14
	s_mov_b32 s3, s13
	s_addc_u32 s15, s9, s15
	s_lshl_b64 s[12:13], s[2:3], 2
	s_add_u32 s12, s8, s12
	s_addc_u32 s13, s9, s13
	s_load_dword s5, s[14:15], 0x0
	s_load_dword s16, s[12:13], 0x0
	s_waitcnt lgkmcnt(0)
	s_sub_i32 s5, s5, s16
	s_cmp_eq_u32 s5, 1
	s_cselect_b64 s[12:13], -1, 0
	s_andn2_b64 vcc, exec, s[6:7]
	s_cbranch_vccnz .LBB303_3
.LBB303_2:
	s_mov_b32 s3, 0
	s_mov_b64 s[12:13], -1
.LBB303_3:
	s_andn2_b64 vcc, exec, s[12:13]
	s_cbranch_vccnz .LBB303_17
; %bb.4:
	s_load_dwordx2 s[6:7], s[0:1], 0x28
	s_lshl_b64 s[16:17], s[2:3], 2
	s_waitcnt lgkmcnt(0)
	s_add_u32 s6, s6, s16
	s_addc_u32 s7, s7, s17
	s_load_dword s40, s[6:7], 0x0
	s_lshl_b32 s18, s28, 8
	s_waitcnt lgkmcnt(0)
	s_cmp_ge_i32 s18, s40
	s_cbranch_scc1 .LBB303_17
; %bb.5:
	s_load_dwordx2 s[6:7], s[0:1], 0x20
	s_load_dword s5, s[0:1], 0x38
	s_add_i32 s12, s40, 15
	s_ashr_i32 s13, s12, 31
	v_and_b32_e32 v1, 0xcf, v0
	s_lshr_b32 s13, s13, 28
	v_add_u32_e32 v1, s18, v1
	s_add_i32 s12, s12, s13
	v_ashrrev_i32_e32 v2, 31, v1
	s_ashr_i32 s19, s12, 4
	v_lshrrev_b32_e32 v4, 28, v2
	s_add_i32 s19, s19, -1
	s_waitcnt lgkmcnt(0)
	s_mul_i32 s12, s2, s5
	s_mov_b32 s13, 0
	v_add_u32_e32 v2, v1, v4
	s_lshl_b64 s[12:13], s[12:13], 2
	v_ashrrev_i32_e32 v2, 4, v2
	v_mov_b32_e32 v5, s19
	v_cmp_gt_i32_e32 vcc, s40, v1
	s_add_u32 s6, s6, s12
	s_addc_u32 s7, s7, s13
	v_cndmask_b32_e32 v2, v5, v2, vcc
	v_ashrrev_i32_e32 v3, 31, v2
	v_lshl_add_u64 v[6:7], v[2:3], 2, s[6:7]
	v_or_b32_e32 v2, 16, v1
	v_add_u32_e32 v3, v2, v4
	v_ashrrev_i32_e32 v3, 4, v3
	v_cmp_gt_i32_e32 vcc, s40, v2
	s_load_dwordx4 s[12:15], s[0:1], 0x8
	s_nop 0
	v_cndmask_b32_e32 v2, v5, v3, vcc
	v_ashrrev_i32_e32 v3, 31, v2
	v_lshl_add_u64 v[8:9], v[2:3], 2, s[6:7]
	v_or_b32_e32 v2, 32, v1
	v_add_u32_e32 v3, v2, v4
	v_ashrrev_i32_e32 v3, 4, v3
	v_cmp_gt_i32_e32 vcc, s40, v2
	v_or_b32_e32 v1, 48, v1
	s_nop 0
	v_cndmask_b32_e32 v2, v5, v3, vcc
	v_ashrrev_i32_e32 v3, 31, v2
	v_lshl_add_u64 v[10:11], v[2:3], 2, s[6:7]
	v_add_u32_e32 v2, v1, v4
	v_ashrrev_i32_e32 v2, 4, v2
	v_cmp_gt_i32_e32 vcc, s40, v1
	s_nop 1
	v_cndmask_b32_e32 v2, v5, v2, vcc
	v_ashrrev_i32_e32 v3, 31, v2
	v_lshl_add_u64 v[12:13], v[2:3], 2, s[6:7]
	global_load_dword v5, v[6:7], off
	global_load_dword v4, v[8:9], off
	;; [unrolled: 1-line block ×4, first 2 shown]
	s_andn2_b64 vcc, exec, s[10:11]
	s_cbranch_vccnz .LBB303_8
; %bb.6:
	s_add_u32 s8, s8, s16
	s_addc_u32 s9, s9, s17
	s_load_dword s5, s[8:9], 0x0
	s_branch .LBB303_9
.LBB303_7:
	s_mov_b64 s[12:13], 0
	s_branch .LBB303_2
.LBB303_8:
	s_mov_b32 s5, s2
.LBB303_9:
	s_load_dwordx4 s[8:11], s[0:1], 0x48
	v_bfe_u32 v86, v0, 4, 2
	s_lshl_b32 s29, s4, 2
	v_and_b32_e32 v94, 15, v0
	v_or_b32_e32 v1, s29, v86
	v_lshlrev_b32_e32 v6, 3, v94
	v_lshrrev_b32_e32 v87, 6, v0
	v_and_b32_e32 v88, 63, v0
	scratch_store_dword off, v1, off offset:8 ; 4-byte Folded Spill
	v_and_b32_e32 v3, 3, v0
	v_cmp_gt_u32_e64 s[30:31], 64, v0
	v_lshlrev_b32_e32 v6, 1, v6
	v_lshlrev_b32_e32 v1, 5, v86
	scratch_store_dwordx2 off, v[6:7], off  ; 8-byte Folded Spill
	scratch_store_dword off, v1, off offset:12 ; 4-byte Folded Spill
	s_and_saveexec_b64 s[16:17], s[30:31]
	s_cbranch_execz .LBB303_11
; %bb.10:
	scratch_load_dword v1, off, off offset:8 ; 4-byte Folded Reload
	scratch_load_dwordx2 v[8:9], off, off   ; 8-byte Folded Reload
	s_load_dwordx2 s[20:21], s[0:1], 0x0
	s_waitcnt lgkmcnt(0)
	s_ashr_i32 s11, s8, 31
	s_mul_hi_u32 s22, s5, s8
	s_mul_i32 s11, s5, s11
	s_add_i32 s23, s22, s11
	s_mul_i32 s22, s5, s8
	s_lshl_b64 s[22:23], s[22:23], 1
	s_add_u32 s20, s20, s22
	s_addc_u32 s21, s21, s23
	v_mov_b32_e32 v11, 0
	v_lshlrev_b32_e32 v12, 9, v94
	v_and_b32_e32 v12, 0x1800, v12
	s_waitcnt vmcnt(1)
	v_lshlrev_b32_e32 v6, 7, v1
	v_ashrrev_i32_e32 v7, 31, v6
	v_lshl_add_u64 v[6:7], v[6:7], 1, s[20:21]
	s_waitcnt vmcnt(0)
	v_mov_b32_e32 v10, v8
	v_lshl_add_u64 v[6:7], v[6:7], 0, v[10:11]
	scratch_store_dwordx2 off, v[8:9], off  ; 8-byte Folded Spill
	global_load_dwordx4 v[6:9], v[6:7], off
	v_lshlrev_b32_e32 v1, 5, v86
	v_lshl_or_b32 v10, v87, 7, v1
	v_lshlrev_b32_e32 v11, 9, v3
	v_or3_b32 v10, v12, v11, v10
	s_waitcnt vmcnt(0)
	ds_write_b128 v10, v[6:9]
.LBB303_11:
	s_or_b64 exec, exec, s[16:17]
	s_waitcnt lgkmcnt(0)
	s_mul_i32 s4, s4, s10
	s_mov_b32 s5, 0
	s_lshl_b64 s[4:5], s[4:5], 1
	s_add_u32 s10, s12, s4
	v_lshlrev_b32_e32 v1, 4, v0
	s_addc_u32 s11, s13, s5
	v_and_b32_e32 v38, 0xf0, v1
	v_mov_b32_e32 v39, 0
	v_lshl_add_u64 v[30:31], s[10:11], 0, v[38:39]
	s_waitcnt vmcnt(6)
	v_mad_i64_i32 v[6:7], s[10:11], v5, s9, 0
	v_lshl_add_u64 v[6:7], v[6:7], 1, v[30:31]
	v_and_b32_e32 v38, 0x300, v1
	v_lshl_add_u64 v[32:33], v[6:7], 0, v[38:39]
	s_load_dword s33, s[0:1], 0x98
	s_load_dword s8, s[0:1], 0x1c
	s_waitcnt lgkmcnt(0)
	s_barrier
	global_load_dwordx4 v[10:13], v[32:33], off
	global_load_dwordx4 v[22:25], v[32:33], off offset:1024
	s_waitcnt vmcnt(7)
	v_mad_i64_i32 v[4:5], s[10:11], v4, s9, 0
	v_lshl_add_u64 v[4:5], v[4:5], 1, v[30:31]
	v_lshl_add_u64 v[40:41], v[4:5], 0, v[38:39]
	s_waitcnt vmcnt(6)
	v_mad_i64_i32 v[4:5], s[10:11], v2, s9, 0
	v_lshl_add_u64 v[4:5], v[4:5], 1, v[30:31]
	v_lshl_add_u64 v[42:43], v[4:5], 0, v[38:39]
	global_load_dwordx4 v[14:17], v[40:41], off
	global_load_dwordx4 v[18:21], v[40:41], off offset:1024
	global_load_dwordx4 v[26:29], v[42:43], off
	global_load_dwordx4 v[64:67], v[40:41], off offset:2048
	global_load_dwordx4 v[48:51], v[42:43], off offset:1024
	v_lshlrev_b32_e32 v2, 5, v3
	v_lshl_or_b32 v35, v86, 9, v2
	ds_read_b128 v[6:9], v35
	ds_read_b128 v[2:5], v35 offset:2048
	global_load_dwordx4 v[56:59], v[32:33], off offset:2048
	v_mov_b32_e32 v72, s19
	v_lshl_or_b32 v89, v87, 4, v94
	s_add_u32 s4, s14, s4
	s_addc_u32 s5, s15, s5
	s_mov_b32 s42, 0xff7fffff
	s_waitcnt vmcnt(7) lgkmcnt(1)
	v_mfma_f32_16x16x16_f16 v[44:47], v[10:11], v[6:7], 0
	v_mfma_f32_16x16x16_f16 v[10:13], v[12:13], v[8:9], v[44:47]
	s_nop 5
	global_load_dwordx4 v[44:47], v[42:43], off offset:2048
	s_waitcnt vmcnt(6)
	v_mfma_f32_16x16x16_f16 v[52:55], v[14:15], v[6:7], 0
	s_waitcnt vmcnt(4)
	v_mfma_f32_16x16x16_f16 v[60:63], v[26:27], v[6:7], 0
	v_mfma_f32_16x16x16_f16 v[14:17], v[16:17], v[8:9], v[52:55]
	s_nop 3
	global_load_dwordx4 v[52:55], v[32:33], off offset:3072
	v_mfma_f32_16x16x16_f16 v[26:29], v[28:29], v[8:9], v[60:63]
	v_mad_i64_i32 v[32:33], s[10:11], v34, s9, 0
	ds_read_b128 v[68:71], v35 offset:4096
	ds_read_b128 v[34:37], v35 offset:6144
	s_waitcnt lgkmcnt(2)
	v_mfma_f32_16x16x16_f16 v[10:13], v[22:23], v[2:3], v[10:13]
	v_and_or_b32 v60, v0, 48, s18
	v_ashrrev_i32_e32 v22, 4, v60
	v_cmp_gt_i32_e32 vcc, s40, v60
	v_mfma_f32_16x16x16_f16 v[14:17], v[18:19], v[2:3], v[14:17]
	v_or_b32_e32 v73, 64, v60
	v_cndmask_b32_e32 v18, v72, v22, vcc
	v_or_b32_e32 v74, 0x80, v60
	s_waitcnt vmcnt(3)
	v_mfma_f32_16x16x16_f16 v[26:29], v[48:49], v[2:3], v[26:29]
	v_or_b32_e32 v75, 0xc0, v60
	global_load_dwordx4 v[60:63], v[40:41], off offset:3072
	v_ashrrev_i32_e32 v19, 31, v18
	v_mfma_f32_16x16x16_f16 v[10:13], v[24:25], v[4:5], v[10:13]
	global_load_dwordx4 v[22:25], v[42:43], off offset:3072
	v_ashrrev_i32_e32 v40, 4, v73
	v_cmp_gt_i32_e32 vcc, s40, v73
	v_ashrrev_i32_e32 v48, 4, v74
	v_lshl_add_u64 v[18:19], v[18:19], 2, s[6:7]
	v_cndmask_b32_e32 v40, v72, v40, vcc
	v_cmp_gt_i32_e32 vcc, s40, v74
	v_mfma_f32_16x16x16_f16 v[14:17], v[20:21], v[4:5], v[14:17]
	global_load_dword v42, v[18:19], off
	v_ashrrev_i32_e32 v41, 31, v40
	v_mfma_f32_16x16x16_f16 v[18:21], v[50:51], v[4:5], v[26:29]
	s_nop 2
	v_cndmask_b32_e32 v28, v72, v48, vcc
	v_ashrrev_i32_e32 v29, 31, v28
	v_lshl_add_u64 v[26:27], v[40:41], 2, s[6:7]
	v_lshl_add_u64 v[28:29], v[28:29], 2, s[6:7]
	global_load_dword v43, v[26:27], off
	global_load_dword v50, v[28:29], off
	v_lshl_add_u64 v[26:27], v[32:33], 1, v[30:31]
	v_lshl_add_u64 v[26:27], v[26:27], 0, v[38:39]
	global_load_dwordx4 v[76:79], v[26:27], off
	global_load_dwordx4 v[80:83], v[26:27], off offset:1024
	v_ashrrev_i32_e32 v40, 4, v75
	v_cmp_gt_i32_e32 vcc, s40, v75
	s_waitcnt lgkmcnt(1)
	v_mfma_f32_16x16x16_f16 v[14:17], v[64:65], v[68:69], v[14:17]
	v_lshlrev_b32_e32 v38, 5, v89
	v_cndmask_b32_e32 v28, v72, v40, vcc
	v_ashrrev_i32_e32 v29, 31, v28
	v_lshl_add_u64 v[28:29], v[28:29], 2, s[6:7]
	s_waitcnt vmcnt(9)
	v_mfma_f32_16x16x16_f16 v[10:13], v[56:57], v[68:69], v[10:13]
	global_load_dword v56, v[28:29], off
	v_lshl_add_u64 v[40:41], s[4:5], 0, v[38:39]
	v_or_b32_e32 v38, 0x800, v38
	v_mfma_f32_16x16x16_f16 v[14:17], v[66:67], v[70:71], v[14:17]
	global_load_dwordx4 v[64:67], v[26:27], off offset:3072
	s_waitcnt vmcnt(10)
	v_mfma_f32_16x16x16_f16 v[18:21], v[44:45], v[68:69], v[18:21]
	v_mfma_f32_16x16x16_f16 v[18:21], v[46:47], v[70:71], v[18:21]
	global_load_dwordx4 v[44:47], v[26:27], off offset:2048
	v_mfma_f32_16x16x16_f16 v[10:13], v[58:59], v[70:71], v[10:13]
	s_waitcnt vmcnt(10) lgkmcnt(0)
	v_mfma_f32_16x16x16_f16 v[10:13], v[52:53], v[34:35], v[10:13]
	s_waitcnt vmcnt(8)
	v_mfma_f32_16x16x16_f16 v[18:21], v[22:23], v[34:35], v[18:21]
	s_waitcnt vmcnt(7)
	v_mad_i64_i32 v[22:23], s[6:7], v42, s9, 0
	v_mfma_f32_16x16x16_f16 v[52:55], v[54:55], v[36:37], v[10:13]
	v_lshlrev_b64 v[48:49], 1, v[22:23]
	s_nop 1
	v_lshl_add_u64 v[12:13], v[40:41], 0, v[48:49]
	global_load_dwordx4 v[30:33], v[12:13], off
	global_load_dwordx4 v[26:29], v[12:13], off offset:16
	v_mfma_f32_16x16x16_f16 v[72:75], v[24:25], v[36:37], v[18:21]
	s_waitcnt vmcnt(8)
	v_mad_i64_i32 v[10:11], s[6:7], v43, s9, 0
	v_lshlrev_b64 v[42:43], 1, v[10:11]
	v_lshl_add_u64 v[10:11], v[40:41], 0, v[42:43]
	global_load_dwordx4 v[22:25], v[10:11], off
	global_load_dwordx4 v[18:21], v[10:11], off offset:16
	s_waitcnt vmcnt(8)
	v_mfma_f32_16x16x16_f16 v[10:13], v[76:77], v[6:7], 0
	v_mad_i64_i32 v[6:7], s[6:7], v50, s9, 0
	v_lshlrev_b64 v[50:51], 1, v[6:7]
	v_mfma_f32_16x16x16_f16 v[6:9], v[78:79], v[8:9], v[10:13]
	v_mfma_f32_16x16x16_f16 v[14:17], v[60:61], v[34:35], v[14:17]
	s_nop 2
	v_lshl_add_u64 v[10:11], v[40:41], 0, v[50:51]
	s_waitcnt vmcnt(7)
	v_mfma_f32_16x16x16_f16 v[6:9], v[80:81], v[2:3], v[6:9]
	s_waitcnt vmcnt(6)
	v_mad_i64_i32 v[2:3], s[6:7], v56, s9, 0
	v_lshlrev_b64 v[58:59], 1, v[2:3]
	v_mfma_f32_16x16x16_f16 v[90:93], v[62:63], v[36:37], v[14:17]
	v_lshl_add_u64 v[2:3], v[40:41], 0, v[58:59]
	v_pk_mul_f32 v[80:81], s[8:9], v[54:55] op_sel_hi:[0,1]
	s_nop 0
	global_load_dwordx4 v[14:17], v[10:11], off
	s_nop 0
	global_load_dwordx4 v[10:13], v[10:11], off offset:16
	v_mfma_f32_16x16x16_f16 v[60:63], v[82:83], v[4:5], v[6:9]
	v_pk_mul_f32 v[82:83], s[8:9], v[92:93] op_sel_hi:[0,1]
	s_nop 1
	global_load_dwordx4 v[6:9], v[2:3], off
	s_nop 0
	global_load_dwordx4 v[2:5], v[2:3], off offset:16
	s_waitcnt vmcnt(8)
	v_mfma_f32_16x16x16_f16 v[76:79], v[44:45], v[68:69], v[60:63]
	s_nop 2
	v_lshl_add_u64 v[62:63], s[4:5], 0, v[38:39]
	v_pk_mul_f32 v[60:61], s[8:9], v[52:53] op_sel_hi:[0,1]
	v_lshl_add_u64 v[44:45], v[62:63], 0, v[48:49]
	v_mfma_f32_16x16x16_f16 v[38:41], v[46:47], v[70:71], v[76:79]
	v_pk_mul_f32 v[70:71], s[8:9], v[90:91] op_sel_hi:[0,1]
	v_lshl_add_u64 v[50:51], v[62:63], 0, v[50:51]
	v_lshl_add_u64 v[58:59], v[62:63], 0, v[58:59]
	v_mfma_f32_16x16x16_f16 v[38:41], v[64:65], v[34:35], v[38:41]
	v_pk_mul_f32 v[78:79], s[8:9], v[72:73] op_sel_hi:[0,1]
	v_pk_mul_f32 v[76:77], s[8:9], v[74:75] op_sel_hi:[0,1]
	v_mfma_f32_16x16x16_f16 v[34:37], v[66:67], v[36:37], v[38:41]
	s_nop 6
	v_pk_mul_f32 v[72:73], s[8:9], v[34:35] op_sel_hi:[0,1]
	v_and_b32_e32 v34, 0xc0, v0
	v_add_u32_e32 v34, s18, v34
	v_lshl_or_b32 v34, v86, 2, v34
	v_pk_mul_f32 v[66:67], s[8:9], v[36:37] op_sel_hi:[0,1]
	v_or_b32_e32 v37, 1, v34
	v_mov_b32_e32 v35, 0xff7fffff
	v_cmp_gt_i32_e64 s[4:5], s40, v34
	v_cmp_gt_i32_e64 s[34:35], s40, v37
	v_or_b32_e32 v38, 3, v34
	v_cndmask_b32_e64 v36, v35, v60, s[4:5]
	v_cndmask_b32_e64 v37, v35, v61, s[34:35]
	v_max3_f32 v36, v36, s42, v37
	v_or_b32_e32 v37, 2, v34
	v_cmp_gt_i32_e64 s[36:37], s40, v37
	v_cmp_gt_i32_e64 s[38:39], s40, v38
	s_nop 0
	v_cndmask_b32_e64 v37, v35, v80, s[36:37]
	v_cndmask_b32_e64 v38, v35, v81, s[38:39]
	v_max3_f32 v36, v36, v37, v38
	v_or_b32_e32 v37, 16, v34
	v_or_b32_e32 v38, 17, v34
	v_cmp_gt_i32_e64 s[24:25], s40, v37
	v_cmp_gt_i32_e64 s[26:27], s40, v38
	s_nop 0
	v_cndmask_b32_e64 v37, v35, v70, s[24:25]
	v_cndmask_b32_e64 v38, v35, v71, s[26:27]
	v_max3_f32 v36, v36, v37, v38
	v_or_b32_e32 v37, 18, v34
	;; [unrolled: 8-line block ×6, first 2 shown]
	v_or_b32_e32 v34, 51, v34
	v_cmp_gt_i32_e32 vcc, s40, v37
	v_cmp_gt_i32_e64 s[6:7], s40, v34
	global_load_dwordx4 v[46:49], v[44:45], off
	global_load_dwordx4 v[38:41], v[44:45], off offset:16
	v_cndmask_b32_e32 v37, v35, v66, vcc
	v_cndmask_b32_e64 v34, v35, v67, s[6:7]
	v_max3_f32 v52, v36, v37, v34
	v_mbcnt_lo_u32_b32 v34, -1, 0
	v_mbcnt_hi_u32_b32 v53, -1, v34
	v_and_b32_e32 v34, 64, v53
	v_add_u32_e32 v54, 64, v34
	v_xor_b32_e32 v34, 32, v53
	v_cmp_lt_i32_e64 s[40:41], v34, v54
	s_nop 1
	v_cndmask_b32_e64 v34, v53, v34, s[40:41]
	v_lshlrev_b32_e32 v74, 2, v34
	ds_bpermute_b32 v55, v74, v52
	v_lshl_add_u64 v[34:35], v[62:63], 0, v[42:43]
	global_load_dwordx4 v[42:45], v[34:35], off
	s_nop 0
	global_load_dwordx4 v[34:37], v[34:35], off offset:16
	s_waitcnt lgkmcnt(0)
	v_max_f32_e32 v55, v55, v55
	v_max_f32_e32 v64, v52, v55
	v_xor_b32_e32 v52, 16, v53
	v_cmp_lt_i32_e64 s[40:41], v52, v54
	s_nop 1
	v_cndmask_b32_e64 v52, v53, v52, s[40:41]
	v_lshlrev_b32_e32 v75, 2, v52
	ds_bpermute_b32 v65, v75, v64
	global_load_dwordx4 v[54:57], v[50:51], off
	s_nop 0
	global_load_dwordx4 v[50:53], v[50:51], off offset:16
	s_waitcnt lgkmcnt(0)
	v_max_f32_e32 v62, v65, v65
	v_max_f32_e32 v90, v64, v62
	v_sub_f32_e32 v60, v60, v90
	v_mul_f32_e32 v60, 0x3fb8aa3b, v60
	v_exp_f32_e32 v68, v60
	v_sub_f32_e32 v60, v61, v90
	v_mul_f32_e32 v60, 0x3fb8aa3b, v60
	v_exp_f32_e32 v69, v60
	global_load_dwordx4 v[62:65], v[58:59], off
	s_nop 0
	global_load_dwordx4 v[58:61], v[58:59], off offset:16
	v_sub_f32_e32 v80, v80, v90
	v_mul_f32_e32 v80, 0x3fb8aa3b, v80
	v_sub_f32_e32 v81, v81, v90
	v_exp_f32_e32 v80, v80
	v_mul_f32_e32 v81, 0x3fb8aa3b, v81
	v_sub_f32_e32 v70, v70, v90
	v_exp_f32_e32 v81, v81
	v_mul_f32_e32 v70, 0x3fb8aa3b, v70
	v_sub_f32_e32 v71, v71, v90
	v_cndmask_b32_e64 v68, 0, v68, s[4:5]
	v_exp_f32_e32 v70, v70
	v_mul_f32_e32 v71, 0x3fb8aa3b, v71
	v_sub_f32_e32 v82, v82, v90
	v_add_f32_e32 v91, 0, v68
	v_cndmask_b32_e64 v69, 0, v69, s[34:35]
	v_exp_f32_e32 v71, v71
	v_mul_f32_e32 v82, 0x3fb8aa3b, v82
	v_sub_f32_e32 v83, v83, v90
	v_add_f32_e32 v91, v91, v69
	;; [unrolled: 5-line block ×10, first 2 shown]
	v_cndmask_b32_e64 v76, 0, v76, s[12:13]
	v_exp_f32_e32 v66, v66
	v_mul_f32_e32 v67, 0x3fb8aa3b, v67
	v_add_f32_e32 v91, v91, v76
	v_cndmask_b32_e64 v77, 0, v77, s[14:15]
	v_exp_f32_e32 v67, v67
	v_add_f32_e32 v91, v91, v77
	v_cndmask_b32_e64 v72, 0, v72, s[8:9]
	v_add_f32_e32 v91, v91, v72
	v_cndmask_b32_e64 v73, 0, v73, s[10:11]
	v_add_f32_e32 v91, v91, v73
	v_cndmask_b32_e32 v66, 0, v66, vcc
	v_add_f32_e32 v91, v91, v66
	v_cndmask_b32_e64 v67, 0, v67, s[6:7]
	v_add_f32_e32 v91, v91, v67
	ds_bpermute_b32 v74, v74, v91
	v_cmp_gt_u32_e32 vcc, 16, v88
	s_waitcnt lgkmcnt(0)
	s_barrier
	v_add_f32_e32 v91, v91, v74
	ds_bpermute_b32 v92, v75, v91
	s_and_saveexec_b64 s[4:5], vcc
	s_cbranch_execz .LBB303_13
; %bb.12:
	s_waitcnt lgkmcnt(0)
	v_add_f32_e32 v74, v91, v92
	v_lshlrev_b32_e32 v75, 2, v89
	ds_write2st64_b32 v75, v90, v74 offset1:1
.LBB303_13:
	s_or_b64 exec, exec, s[4:5]
	v_lshlrev_b32_e32 v89, 2, v94
	s_load_dword s6, s[0:1], 0x94
	s_waitcnt lgkmcnt(0)
	s_barrier
	ds_read2_b32 v[74:75], v89 offset1:16
	ds_read2_b32 v[90:91], v89 offset0:32 offset1:48
	ds_read2_b32 v[92:93], v89 offset0:64 offset1:80
	s_lshl_b32 s7, s33, 2
	s_waitcnt lgkmcnt(2)
	v_max3_f32 v88, v74, s42, v75
	s_waitcnt lgkmcnt(1)
	v_max3_f32 v88, v88, v90, v91
	v_sub_f32_e32 v74, v74, v88
	v_mul_f32_e32 v74, 0x3fb8aa3b, v74
	v_exp_f32_e32 v1, v74
	v_sub_f32_e32 v74, v75, v88
	v_mul_f32_e32 v74, 0x3fb8aa3b, v74
	v_exp_f32_e32 v85, v74
	;; [unrolled: 3-line block ×3, first 2 shown]
	ds_read2_b32 v[74:75], v89 offset0:96 offset1:112
	v_sub_f32_e32 v89, v91, v88
	v_mul_f32_e32 v89, 0x3fb8aa3b, v89
	v_exp_f32_e32 v91, v89
	s_waitcnt lgkmcnt(1)
	v_fma_f32 v89, v1, v92, 0
	v_fmac_f32_e32 v89, v85, v93
	s_waitcnt lgkmcnt(0)
	v_fmac_f32_e32 v89, v90, v74
	v_fmac_f32_e32 v89, v91, v75
	v_add_f32_e32 v74, 0x358637bd, v89
	v_div_scale_f32 v75, s[4:5], v74, v74, 1.0
	v_rcp_f32_e32 v92, v75
	s_barrier
	v_fma_f32 v93, -v75, v92, 1.0
	v_fmac_f32_e32 v92, v93, v92
	v_div_scale_f32 v93, vcc, 1.0, v74, 1.0
	v_mul_f32_e32 v95, v93, v92
	v_fma_f32 v84, -v75, v95, v93
	v_fmac_f32_e32 v95, v84, v92
	v_fma_f32 v75, -v75, v95, v93
	v_div_fmas_f32 v75, v75, v92, v95
	v_cmp_eq_u32_e32 vcc, 1, v87
	v_div_fixup_f32 v74, v75, v74, 1.0
	s_nop 0
	v_cndmask_b32_e32 v1, v1, v85, vcc
	v_cmp_eq_u32_e32 vcc, 2, v87
	s_nop 1
	v_cndmask_b32_e32 v1, v1, v90, vcc
	v_cmp_eq_u32_e32 vcc, 3, v87
	s_nop 1
	v_cndmask_b32_e32 v1, v1, v91, vcc
	v_mul_f32_e32 v74, v1, v74
	v_pk_mul_f32 v[80:81], v[74:75], v[80:81] op_sel_hi:[0,1]
	v_pk_mul_f32 v[68:69], v[74:75], v[68:69] op_sel_hi:[0,1]
	v_cvt_f16_f32_e32 v75, v81
	v_cvt_f16_f32_e32 v1, v68
	;; [unrolled: 1-line block ×4, first 2 shown]
	v_pk_mul_f32 v[80:81], v[74:75], v[82:83] op_sel_hi:[0,1]
	v_pk_mul_f32 v[70:71], v[74:75], v[70:71] op_sel_hi:[0,1]
	v_pack_b32_f16 v90, v1, v68
	v_pack_b32_f16 v91, v69, v75
	v_cvt_f16_f32_e32 v69, v70
	v_cvt_f16_f32_e32 v70, v71
	;; [unrolled: 1-line block ×4, first 2 shown]
	v_lshlrev_b32_e32 v1, 3, v86
	v_lshlrev_b32_e32 v68, 5, v94
	;; [unrolled: 1-line block ×3, first 2 shown]
	v_or3_b32 v80, v80, v68, v1
	v_pack_b32_f16 v70, v69, v70
	v_pack_b32_f16 v71, v71, v75
	ds_write2st64_b64 v80, v[90:91], v[70:71] offset1:1
	v_pk_mul_f32 v[70:71], v[74:75], v[76:77] op_sel_hi:[0,1]
	v_pk_mul_f32 v[76:77], v[74:75], v[78:79] op_sel_hi:[0,1]
	v_cvt_f16_f32_e32 v75, v70
	v_cvt_f16_f32_e32 v1, v76
	;; [unrolled: 1-line block ×4, first 2 shown]
	v_pk_mul_f32 v[66:67], v[74:75], v[66:67] op_sel_hi:[0,1]
	v_pk_mul_f32 v[70:71], v[74:75], v[72:73] op_sel_hi:[0,1]
	v_cvt_f16_f32_e32 v70, v70
	v_cvt_f16_f32_e32 v71, v71
	;; [unrolled: 1-line block ×4, first 2 shown]
	v_pack_b32_f16 v66, v1, v69
	v_pack_b32_f16 v67, v75, v76
	;; [unrolled: 1-line block ×4, first 2 shown]
	v_cmp_gt_u32_e32 vcc, 4, v0
	ds_write2st64_b64 v80, v[66:67], v[70:71] offset0:2 offset1:3
	s_and_saveexec_b64 s[4:5], vcc
	s_cbranch_execz .LBB303_15
; %bb.14:
	v_or_b32_e32 v66, s29, v0
	v_mov_b32_e32 v67, 0
	v_mov_b32_e32 v1, s7
	v_mad_u64_u32 v[70:71], s[12:13], s2, v1, v[66:67]
	v_mov_b32_e32 v66, s28
	s_load_dwordx4 s[8:11], s[0:1], 0x58
	s_mul_i32 s3, s3, s7
	v_mad_u64_u32 v[66:67], s[12:13], v70, s6, v[66:67]
	v_add_u32_e32 v1, s3, v71
	v_mov_b32_e32 v70, v67
	v_mad_u64_u32 v[70:71], s[12:13], v1, s6, v[70:71]
	v_mov_b32_e32 v67, v70
	v_lshlrev_b64 v[66:67], 2, v[66:67]
	s_waitcnt lgkmcnt(0)
	v_lshl_add_u64 v[70:71], s[10:11], 0, v[66:67]
	v_lshl_add_u64 v[66:67], s[8:9], 0, v[66:67]
	global_store_dword v[70:71], v88, off
	global_store_dword v[66:67], v89, off
.LBB303_15:
	s_or_b64 exec, exec, s[4:5]
	v_lshl_or_b32 v1, v86, 9, v68
	s_waitcnt lgkmcnt(0)
	s_barrier
	ds_read_b128 v[70:73], v1
	ds_read_b128 v[66:69], v1 offset:16
	s_waitcnt vmcnt(15) lgkmcnt(1)
	v_mfma_f32_16x16x16_f16 v[74:77], v[30:31], v[70:71], 0
	s_mov_b32 s3, 0
	v_mfma_f32_16x16x16_f16 v[30:33], v[32:33], v[72:73], v[74:77]
	s_waitcnt vmcnt(14) lgkmcnt(0)
	v_mfma_f32_16x16x16_f16 v[30:33], v[26:27], v[66:67], v[30:33]
	v_mfma_f32_16x16x16_f16 v[26:29], v[28:29], v[68:69], v[30:33]
	s_nop 5
	ds_read_b128 v[30:33], v1 offset:2048
	ds_read_b128 v[74:77], v1 offset:2064
	s_waitcnt vmcnt(13) lgkmcnt(1)
	v_mfma_f32_16x16x16_f16 v[26:29], v[22:23], v[30:31], v[26:29]
	v_mfma_f32_16x16x16_f16 v[22:25], v[24:25], v[32:33], v[26:29]
	s_waitcnt vmcnt(12) lgkmcnt(0)
	v_mfma_f32_16x16x16_f16 v[22:25], v[18:19], v[74:75], v[22:25]
	v_mfma_f32_16x16x16_f16 v[18:21], v[20:21], v[76:77], v[22:25]
	s_nop 5
	ds_read_b128 v[22:25], v1 offset:4096
	ds_read_b128 v[26:29], v1 offset:4112
	s_waitcnt vmcnt(11) lgkmcnt(1)
	v_mfma_f32_16x16x16_f16 v[18:21], v[14:15], v[22:23], v[18:21]
	v_mfma_f32_16x16x16_f16 v[14:17], v[16:17], v[24:25], v[18:21]
	s_waitcnt vmcnt(10) lgkmcnt(0)
	v_mfma_f32_16x16x16_f16 v[14:17], v[10:11], v[26:27], v[14:17]
	v_mfma_f32_16x16x16_f16 v[10:13], v[12:13], v[28:29], v[14:17]
	s_nop 5
	ds_read_b128 v[14:17], v1 offset:6144
	ds_read_b128 v[18:21], v1 offset:6160
	s_waitcnt lgkmcnt(0)
	s_barrier
	s_waitcnt vmcnt(9)
	v_mfma_f32_16x16x16_f16 v[10:13], v[6:7], v[14:15], v[10:13]
	v_mfma_f32_16x16x16_f16 v[6:9], v[8:9], v[16:17], v[10:13]
	s_waitcnt vmcnt(8)
	v_mfma_f32_16x16x16_f16 v[6:9], v[2:3], v[18:19], v[6:9]
	v_mfma_f32_16x16x16_f16 v[2:5], v[4:5], v[20:21], v[6:9]
	;; [unrolled: 3-line block ×3, first 2 shown]
	s_nop 3
	v_cvt_f16_f32_e32 v1, v2
	v_cvt_f16_f32_e32 v10, v3
	;; [unrolled: 1-line block ×3, first 2 shown]
	s_waitcnt vmcnt(6)
	v_mfma_f32_16x16x16_f16 v[6:9], v[38:39], v[66:67], v[6:9]
	v_cvt_f16_f32_e32 v12, v5
	v_mfma_f32_16x16x16_f16 v[6:9], v[40:41], v[68:69], v[6:9]
	s_waitcnt vmcnt(5)
	v_mfma_f32_16x16x16_f16 v[6:9], v[42:43], v[30:31], v[6:9]
	v_mfma_f32_16x16x16_f16 v[6:9], v[44:45], v[32:33], v[6:9]
	s_waitcnt vmcnt(4)
	v_mfma_f32_16x16x16_f16 v[6:9], v[34:35], v[74:75], v[6:9]
	;; [unrolled: 3-line block ×6, first 2 shown]
	v_mfma_f32_16x16x16_f16 v[2:5], v[60:61], v[20:21], v[6:9]
	s_nop 6
	v_cvt_f16_f32_e32 v6, v2
	v_cvt_f16_f32_e32 v7, v3
	;; [unrolled: 1-line block ×4, first 2 shown]
	v_pack_b32_f16 v2, v1, v10
	v_pack_b32_f16 v3, v11, v12
	v_pack_b32_f16 v4, v6, v7
	v_pack_b32_f16 v5, v8, v5
	ds_write2st64_b64 v80, v[2:3], v[4:5] offset1:1
	s_waitcnt lgkmcnt(0)
	s_barrier
	s_and_saveexec_b64 s[4:5], s[30:31]
	s_cbranch_execz .LBB303_17
; %bb.16:
	v_lshlrev_b32_e32 v2, 6, v94
	v_lshlrev_b32_e32 v1, 4, v0
	v_lshl_or_b32 v0, v0, 10, v2
	scratch_load_dword v2, off, off offset:12 ; 4-byte Folded Reload
	v_and_b32_e32 v1, 16, v1
	v_and_b32_e32 v0, 0x1a00, v0
	s_load_dwordx2 s[0:1], s[0:1], 0x68
	s_lshl_b32 s6, s6, 7
	s_mul_i32 s2, s7, s2
	s_mul_hi_u32 s5, s2, s6
	s_mul_i32 s4, s2, s6
	s_lshl_b64 s[4:5], s[4:5], 1
	s_waitcnt lgkmcnt(0)
	s_add_u32 s4, s0, s4
	s_addc_u32 s5, s1, s5
	s_lshl_b32 s2, s28, 7
	s_lshl_b64 s[0:1], s[2:3], 1
	s_add_u32 s0, s4, s0
	s_addc_u32 s1, s5, s1
	scratch_load_dwordx2 v[6:7], off, off   ; 8-byte Folded Reload
	s_waitcnt vmcnt(0)
	v_mov_b32_e32 v7, 0
	v_or3_b32 v0, v0, v2, v1
	ds_read_b128 v[2:5], v0
	scratch_load_dword v0, off, off offset:8 ; 4-byte Folded Reload
	s_waitcnt vmcnt(0)
	v_mad_u64_u32 v[0:1], s[2:3], s6, v0, 0
	v_lshl_add_u64 v[0:1], v[0:1], 1, s[0:1]
	v_lshl_add_u64 v[0:1], v[0:1], 0, v[6:7]
	s_waitcnt lgkmcnt(0)
	global_store_dwordx4 v[0:1], v[2:5], off
.LBB303_17:
	s_endpgm
	.section	.rodata,"a",@progbits
	.p2align	6, 0x0
	.amdhsa_kernel _Z39paged_attention_ll4mi_QKV_mfma16_kernelIDF16_DF16_LN4vllm18Fp8KVCacheDataTypeE0EDF16_Li16ELi128ELi256ELb0ELi4EEvPKT_PKT0_S7_ifPKiS9_S9_iPKfiiiPfSC_PS2_PT2_iSB_SB_
		.amdhsa_group_segment_fixed_size 8192
		.amdhsa_private_segment_fixed_size 20
		.amdhsa_kernarg_size 400
		.amdhsa_user_sgpr_count 2
		.amdhsa_user_sgpr_dispatch_ptr 0
		.amdhsa_user_sgpr_queue_ptr 0
		.amdhsa_user_sgpr_kernarg_segment_ptr 1
		.amdhsa_user_sgpr_dispatch_id 0
		.amdhsa_user_sgpr_kernarg_preload_length 0
		.amdhsa_user_sgpr_kernarg_preload_offset 0
		.amdhsa_user_sgpr_private_segment_size 0
		.amdhsa_uses_dynamic_stack 0
		.amdhsa_enable_private_segment 1
		.amdhsa_system_sgpr_workgroup_id_x 1
		.amdhsa_system_sgpr_workgroup_id_y 1
		.amdhsa_system_sgpr_workgroup_id_z 1
		.amdhsa_system_sgpr_workgroup_info 0
		.amdhsa_system_vgpr_workitem_id 0
		.amdhsa_next_free_vgpr 96
		.amdhsa_next_free_sgpr 43
		.amdhsa_accum_offset 96
		.amdhsa_reserve_vcc 1
		.amdhsa_float_round_mode_32 0
		.amdhsa_float_round_mode_16_64 0
		.amdhsa_float_denorm_mode_32 3
		.amdhsa_float_denorm_mode_16_64 3
		.amdhsa_dx10_clamp 1
		.amdhsa_ieee_mode 1
		.amdhsa_fp16_overflow 0
		.amdhsa_tg_split 0
		.amdhsa_exception_fp_ieee_invalid_op 0
		.amdhsa_exception_fp_denorm_src 0
		.amdhsa_exception_fp_ieee_div_zero 0
		.amdhsa_exception_fp_ieee_overflow 0
		.amdhsa_exception_fp_ieee_underflow 0
		.amdhsa_exception_fp_ieee_inexact 0
		.amdhsa_exception_int_div_zero 0
	.end_amdhsa_kernel
	.section	.text._Z39paged_attention_ll4mi_QKV_mfma16_kernelIDF16_DF16_LN4vllm18Fp8KVCacheDataTypeE0EDF16_Li16ELi128ELi256ELb0ELi4EEvPKT_PKT0_S7_ifPKiS9_S9_iPKfiiiPfSC_PS2_PT2_iSB_SB_,"axG",@progbits,_Z39paged_attention_ll4mi_QKV_mfma16_kernelIDF16_DF16_LN4vllm18Fp8KVCacheDataTypeE0EDF16_Li16ELi128ELi256ELb0ELi4EEvPKT_PKT0_S7_ifPKiS9_S9_iPKfiiiPfSC_PS2_PT2_iSB_SB_,comdat
.Lfunc_end303:
	.size	_Z39paged_attention_ll4mi_QKV_mfma16_kernelIDF16_DF16_LN4vllm18Fp8KVCacheDataTypeE0EDF16_Li16ELi128ELi256ELb0ELi4EEvPKT_PKT0_S7_ifPKiS9_S9_iPKfiiiPfSC_PS2_PT2_iSB_SB_, .Lfunc_end303-_Z39paged_attention_ll4mi_QKV_mfma16_kernelIDF16_DF16_LN4vllm18Fp8KVCacheDataTypeE0EDF16_Li16ELi128ELi256ELb0ELi4EEvPKT_PKT0_S7_ifPKiS9_S9_iPKfiiiPfSC_PS2_PT2_iSB_SB_
                                        ; -- End function
	.section	.AMDGPU.csdata,"",@progbits
; Kernel info:
; codeLenInByte = 4404
; NumSgprs: 49
; NumVgprs: 96
; NumAgprs: 0
; TotalNumVgprs: 96
; ScratchSize: 20
; MemoryBound: 0
; FloatMode: 240
; IeeeMode: 1
; LDSByteSize: 8192 bytes/workgroup (compile time only)
; SGPRBlocks: 6
; VGPRBlocks: 11
; NumSGPRsForWavesPerEU: 49
; NumVGPRsForWavesPerEU: 96
; AccumOffset: 96
; Occupancy: 5
; WaveLimiterHint : 1
; COMPUTE_PGM_RSRC2:SCRATCH_EN: 1
; COMPUTE_PGM_RSRC2:USER_SGPR: 2
; COMPUTE_PGM_RSRC2:TRAP_HANDLER: 0
; COMPUTE_PGM_RSRC2:TGID_X_EN: 1
; COMPUTE_PGM_RSRC2:TGID_Y_EN: 1
; COMPUTE_PGM_RSRC2:TGID_Z_EN: 1
; COMPUTE_PGM_RSRC2:TIDIG_COMP_CNT: 0
; COMPUTE_PGM_RSRC3_GFX90A:ACCUM_OFFSET: 23
; COMPUTE_PGM_RSRC3_GFX90A:TG_SPLIT: 0
	.section	.text._Z38paged_attention_ll4mi_QKV_mfma4_kernelIDF16_DF16_LN4vllm18Fp8KVCacheDataTypeE0EhLi32ELi128ELi256ELb1ELi1EEvPKT_PKT0_S7_ifPKiS9_S9_iPKfiiiPfSC_PS2_PT2_iSB_SB_,"axG",@progbits,_Z38paged_attention_ll4mi_QKV_mfma4_kernelIDF16_DF16_LN4vllm18Fp8KVCacheDataTypeE0EhLi32ELi128ELi256ELb1ELi1EEvPKT_PKT0_S7_ifPKiS9_S9_iPKfiiiPfSC_PS2_PT2_iSB_SB_,comdat
	.protected	_Z38paged_attention_ll4mi_QKV_mfma4_kernelIDF16_DF16_LN4vllm18Fp8KVCacheDataTypeE0EhLi32ELi128ELi256ELb1ELi1EEvPKT_PKT0_S7_ifPKiS9_S9_iPKfiiiPfSC_PS2_PT2_iSB_SB_ ; -- Begin function _Z38paged_attention_ll4mi_QKV_mfma4_kernelIDF16_DF16_LN4vllm18Fp8KVCacheDataTypeE0EhLi32ELi128ELi256ELb1ELi1EEvPKT_PKT0_S7_ifPKiS9_S9_iPKfiiiPfSC_PS2_PT2_iSB_SB_
	.globl	_Z38paged_attention_ll4mi_QKV_mfma4_kernelIDF16_DF16_LN4vllm18Fp8KVCacheDataTypeE0EhLi32ELi128ELi256ELb1ELi1EEvPKT_PKT0_S7_ifPKiS9_S9_iPKfiiiPfSC_PS2_PT2_iSB_SB_
	.p2align	8
	.type	_Z38paged_attention_ll4mi_QKV_mfma4_kernelIDF16_DF16_LN4vllm18Fp8KVCacheDataTypeE0EhLi32ELi128ELi256ELb1ELi1EEvPKT_PKT0_S7_ifPKiS9_S9_iPKfiiiPfSC_PS2_PT2_iSB_SB_,@function
_Z38paged_attention_ll4mi_QKV_mfma4_kernelIDF16_DF16_LN4vllm18Fp8KVCacheDataTypeE0EhLi32ELi128ELi256ELb1ELi1EEvPKT_PKT0_S7_ifPKiS9_S9_iPKfiiiPfSC_PS2_PT2_iSB_SB_: ; @_Z38paged_attention_ll4mi_QKV_mfma4_kernelIDF16_DF16_LN4vllm18Fp8KVCacheDataTypeE0EhLi32ELi128ELi256ELb1ELi1EEvPKT_PKT0_S7_ifPKiS9_S9_iPKfiiiPfSC_PS2_PT2_iSB_SB_
; %bb.0:
	s_load_dwordx2 s[8:9], s[0:1], 0x30
	s_mov_b32 s16, s3
	s_mov_b64 s[6:7], 0
	s_waitcnt lgkmcnt(0)
	s_cmp_lg_u64 s[8:9], 0
	s_cselect_b64 s[10:11], -1, 0
	s_and_b64 vcc, exec, s[10:11]
	s_cbranch_vccz .LBB304_10
; %bb.1:
	s_add_i32 s12, s2, 1
	s_mov_b32 s13, 0
	s_lshl_b64 s[14:15], s[12:13], 2
	s_add_u32 s14, s8, s14
	s_mov_b32 s3, s13
	s_addc_u32 s15, s9, s15
	s_lshl_b64 s[12:13], s[2:3], 2
	s_add_u32 s12, s8, s12
	s_addc_u32 s13, s9, s13
	s_load_dword s5, s[14:15], 0x0
	s_load_dword s17, s[12:13], 0x0
	s_waitcnt lgkmcnt(0)
	s_sub_i32 s5, s5, s17
	s_cmp_eq_u32 s5, 1
	s_cselect_b64 s[12:13], -1, 0
	s_andn2_b64 vcc, exec, s[6:7]
	s_cbranch_vccnz .LBB304_3
.LBB304_2:
	s_mov_b32 s3, 0
	s_mov_b64 s[12:13], -1
.LBB304_3:
	s_andn2_b64 vcc, exec, s[12:13]
	s_cbranch_vccnz .LBB304_27
; %bb.4:
	s_load_dword s5, s[0:1], 0x9c
	s_load_dwordx2 s[6:7], s[0:1], 0x28
	s_add_u32 s20, s0, 0x90
	s_addc_u32 s21, s1, 0
	s_lshl_b64 s[24:25], s[2:3], 2
	s_waitcnt lgkmcnt(0)
	s_and_b32 s5, s5, 0xffff
	s_add_u32 s6, s6, s24
	s_addc_u32 s7, s7, s25
	s_load_dword s3, s[6:7], 0x0
	s_mul_i32 s5, s16, s5
	s_waitcnt lgkmcnt(0)
	s_cmp_ge_i32 s5, s3
	s_cbranch_scc1 .LBB304_27
; %bb.5:
	v_and_b32_e32 v1, 0xc0, v0
	v_add_u32_e32 v2, s5, v1
	v_lshrrev_b32_e32 v82, 6, v0
	v_cmp_le_i32_e64 s[6:7], s3, v2
                                        ; implicit-def: $sgpr26
                                        ; implicit-def: $sgpr17
	s_and_saveexec_b64 s[12:13], s[6:7]
	s_xor_b64 s[12:13], exec, s[12:13]
	s_cbranch_execz .LBB304_7
; %bb.6:
	v_mul_u32_u24_e32 v1, 20, v82
	v_or_b32_e32 v1, 0x1400, v1
	v_mov_b32_e32 v2, 0x1450
	v_mov_b32_e32 v3, 0xff7fffff
	v_mad_u32_u24 v2, v82, 20, v2
	ds_write2_b32 v1, v3, v3 offset1:1
	v_mov_b32_e32 v1, 0
	ds_write2_b32 v2, v1, v1 offset1:1
	v_mov_b32_e32 v2, 0x1408
	s_mov_b32 s17, 0xff7fffff
	s_mov_b32 s26, 0
	v_mad_u32_u24 v2, v82, 20, v2
	v_mov_b32_e32 v4, 0x1458
	v_mad_u32_u24 v4, v82, 20, v4
	ds_write2_b32 v2, v3, v3 offset1:1
	ds_write2_b32 v4, v1, v1 offset1:1
                                        ; implicit-def: $vgpr2
.LBB304_7:
	s_or_saveexec_b64 s[22:23], s[12:13]
	s_load_dwordx2 s[18:19], s[0:1], 0x68
	s_load_dwordx4 s[12:15], s[0:1], 0x58
	s_load_dword s33, s[20:21], 0x4
	v_and_b32_e32 v1, 63, v0
	v_and_b32_e32 v83, 3, v0
	v_mov_b32_e32 v69, s26
	v_mov_b32_e32 v70, s17
	;; [unrolled: 1-line block ×5, first 2 shown]
                                        ; implicit-def: $vgpr15
                                        ; implicit-def: $vgpr3
                                        ; implicit-def: $vgpr7
                                        ; implicit-def: $vgpr11
                                        ; implicit-def: $vgpr19
                                        ; implicit-def: $vgpr23
                                        ; implicit-def: $vgpr27
                                        ; implicit-def: $vgpr39
                                        ; implicit-def: $vgpr31
                                        ; implicit-def: $vgpr35
                                        ; implicit-def: $vgpr43
                                        ; implicit-def: $vgpr47
                                        ; implicit-def: $vgpr51
                                        ; implicit-def: $vgpr55
                                        ; implicit-def: $vgpr59
                                        ; implicit-def: $vgpr63
	s_xor_b64 exec, exec, s[22:23]
	s_cbranch_execz .LBB304_19
; %bb.8:
	s_add_i32 s28, s3, 31
	s_ashr_i32 s29, s28, 31
	s_lshr_b32 s29, s29, 27
	v_add_u32_e32 v84, s5, v0
	s_add_i32 s28, s28, s29
	v_ashrrev_i32_e32 v3, 31, v84
	s_load_dwordx2 s[26:27], s[0:1], 0x20
	s_load_dword s17, s[0:1], 0x38
	s_ashr_i32 s28, s28, 5
	v_lshrrev_b32_e32 v3, 27, v3
	s_add_i32 s30, s28, -1
	v_add_u32_e32 v3, v84, v3
	v_ashrrev_i32_e32 v3, 5, v3
	v_mov_b32_e32 v4, s30
	v_cmp_gt_i32_e32 vcc, s3, v84
	s_waitcnt lgkmcnt(0)
	s_mul_i32 s28, s2, s17
	s_mov_b32 s29, 0
	v_cndmask_b32_e32 v4, v4, v3, vcc
	v_ashrrev_i32_e32 v3, 31, v2
	v_lshrrev_b32_e32 v3, 27, v3
	v_add_u32_e32 v2, v2, v3
	s_lshl_b64 s[28:29], s[28:29], 2
	v_ashrrev_i32_e32 v8, 5, v2
	s_add_u32 s26, s26, s28
	v_min_i32_e32 v2, s30, v8
	s_addc_u32 s27, s27, s29
	v_ashrrev_i32_e32 v3, 31, v2
	v_lshl_add_u64 v[6:7], v[2:3], 2, s[26:27]
	v_add_u32_e32 v2, 1, v8
	v_ashrrev_i32_e32 v5, 31, v4
	v_min_i32_e32 v2, s30, v2
	v_lshl_add_u64 v[4:5], v[4:5], 2, s[26:27]
	v_ashrrev_i32_e32 v3, 31, v2
	v_lshl_add_u64 v[8:9], v[2:3], 2, s[26:27]
	global_load_dword v2, v[4:5], off
	global_load_dword v34, v[6:7], off
	global_load_dword v54, v[8:9], off
	s_load_dwordx2 s[28:29], s[0:1], 0x8
	s_andn2_b64 vcc, exec, s[10:11]
	s_cbranch_vccnz .LBB304_11
; %bb.9:
	s_add_u32 s8, s8, s24
	s_addc_u32 s9, s9, s25
	s_load_dword s5, s[8:9], 0x0
	s_branch .LBB304_12
.LBB304_10:
	s_mov_b64 s[12:13], 0
	s_branch .LBB304_2
.LBB304_11:
	s_mov_b32 s5, s2
.LBB304_12:
	s_load_dwordx2 s[24:25], s[0:1], 0x10
	s_load_dwordx4 s[8:11], s[0:1], 0x48
	v_cmp_eq_u32_e32 vcc, 0, v83
	s_mov_b32 s27, 0
	v_mov_b32_e32 v81, 0
	v_mov_b32_e32 v56, 0
	;; [unrolled: 1-line block ×5, first 2 shown]
	s_and_saveexec_b64 s[30:31], vcc
	s_cbranch_execz .LBB304_14
; %bb.13:
	s_load_dwordx2 s[34:35], s[0:1], 0x0
	s_waitcnt lgkmcnt(0)
	s_ashr_i32 s11, s8, 31
	s_mul_hi_u32 s17, s5, s8
	s_mul_i32 s11, s5, s11
	s_add_i32 s37, s17, s11
	s_mul_i32 s36, s5, s8
	s_lshl_b64 s[36:37], s[36:37], 1
	s_add_u32 s5, s34, s36
	s_addc_u32 s8, s35, s37
	s_lshl_b32 s26, s4, 7
	s_lshl_b64 s[34:35], s[26:27], 1
	s_add_u32 s34, s5, s34
	s_addc_u32 s35, s8, s35
	v_lshlrev_b32_e32 v3, 2, v1
	global_load_dwordx4 v[56:59], v3, s[34:35]
.LBB304_14:
	s_or_b64 exec, exec, s[30:31]
	s_waitcnt lgkmcnt(0)
	s_mul_i32 s26, s4, s10
	s_lshl_b64 s[10:11], s[26:27], 1
	s_add_u32 s28, s10, s28
	s_waitcnt vmcnt(2)
	v_mad_i64_i32 v[2:3], s[30:31], v2, s9, 0
	s_addc_u32 s29, s11, s29
	v_lshl_add_u64 v[44:45], v[2:3], 1, s[28:29]
	v_and_b32_e32 v2, 31, v0
	v_lshlrev_b32_e32 v80, 4, v2
	v_lshl_add_u64 v[22:23], v[44:45], 0, v[80:81]
	global_load_dwordx4 v[40:43], v[22:23], off
	global_load_dwordx4 v[30:33], v[22:23], off offset:512
	global_load_dwordx4 v[14:17], v[22:23], off offset:1024
	;; [unrolled: 1-line block ×7, first 2 shown]
	v_or_b32_e32 v22, 0x1000, v80
	v_mov_b32_e32 v23, v81
	v_lshl_add_u64 v[46:47], v[44:45], 0, v[22:23]
	v_or_b32_e32 v22, 0x1200, v80
	v_lshl_add_u64 v[48:49], v[44:45], 0, v[22:23]
	global_load_dwordx4 v[36:39], v[46:47], off
	global_load_dwordx4 v[22:25], v[48:49], off
	v_or_b32_e32 v46, 0x1400, v80
	v_mov_b32_e32 v47, v81
	v_lshl_add_u64 v[46:47], v[44:45], 0, v[46:47]
	v_or_b32_e32 v48, 0x1600, v80
	v_mov_b32_e32 v49, v81
	v_lshl_add_u64 v[48:49], v[44:45], 0, v[48:49]
	global_load_dwordx4 v[60:63], v[46:47], off
	global_load_dwordx4 v[50:53], v[48:49], off
	v_or_b32_e32 v46, 0x1800, v80
	v_mov_b32_e32 v47, v81
	v_lshl_add_u64 v[46:47], v[44:45], 0, v[46:47]
	v_or_b32_e32 v48, 0x1a00, v80
	v_mov_b32_e32 v49, v81
	v_or_b32_e32 v80, 0x1c00, v80
	v_mov_b32_e32 v35, 0x1e00
	v_lshl_add_u64 v[48:49], v[44:45], 0, v[48:49]
	global_load_dwordx4 v[72:75], v[46:47], off
	global_load_dwordx4 v[64:67], v[48:49], off
	v_lshl_add_u64 v[46:47], v[44:45], 0, v[80:81]
	v_lshl_or_b32 v80, v0, 4, v35
	v_lshl_add_u64 v[44:45], v[44:45], 0, v[80:81]
	global_load_dwordx4 v[76:79], v[46:47], off
	global_load_dwordx4 v[68:71], v[44:45], off
	v_mov_b32_e32 v80, 0
	s_and_saveexec_b64 s[28:29], vcc
	s_cbranch_execz .LBB304_16
; %bb.15:
	s_load_dwordx2 s[30:31], s[0:1], 0x40
	s_mov_b32 s5, s27
	s_lshl_b64 s[26:27], s[4:5], 2
	v_mov_b32_e32 v81, 1.0
	s_waitcnt lgkmcnt(0)
	s_add_u32 s26, s30, s26
	s_addc_u32 s27, s31, s27
	s_load_dword s5, s[26:27], 0x0
	s_waitcnt lgkmcnt(0)
	v_mov_b32_e32 v80, s5
.LBB304_16:
	s_or_b64 exec, exec, s[28:29]
	s_waitcnt vmcnt(15)
	v_mfma_f32_4x4x4_16b_f16 a[0:3], v[56:57], v[40:41], 0 cbsz:4
	v_mul_hi_i32 v35, v34, s9
	s_add_u32 s10, s24, s10
	v_mfma_f32_4x4x4_16b_f16 a[0:3], v[58:59], v[42:43], a[0:3] cbsz:4
	v_mov_b32_e32 v41, 0
	s_addc_u32 s11, s25, s11
	s_waitcnt vmcnt(14)
	v_mfma_f32_4x4x4_16b_f16 a[0:3], v[56:57], v[30:31], a[0:3] cbsz:4 abid:1
	v_ashrrev_i32_e32 v30, 31, v35
	v_lshrrev_b32_e32 v40, 29, v30
	v_mfma_f32_4x4x4_16b_f16 a[0:3], v[58:59], v[32:33], a[0:3] cbsz:4 abid:1
	v_mov_b32_e32 v87, v41
	s_load_dword s0, s[0:1], 0x1c
	s_waitcnt vmcnt(13)
	v_mfma_f32_4x4x4_16b_f16 a[0:3], v[56:57], v[14:15], a[0:3] cbsz:4 abid:2
	v_mad_i64_i32 v[14:15], s[24:25], v34, s9, v[40:41]
	s_nop 0
	v_mfma_f32_4x4x4_16b_f16 a[0:3], v[58:59], v[16:17], a[0:3] cbsz:4 abid:2
	v_lshlrev_b32_e32 v40, 6, v1
	v_or_b32_e32 v86, 0x1000, v40
	s_waitcnt vmcnt(12)
	v_mfma_f32_4x4x4_16b_f16 a[0:3], v[56:57], v[10:11], a[0:3] cbsz:4 abid:3
	v_lshlrev_b64 v[10:11], 1, v[14:15]
	v_and_b32_e32 v10, -16, v10
	v_mfma_f32_4x4x4_16b_f16 a[0:3], v[58:59], v[12:13], a[0:3] cbsz:4 abid:3
	v_lshl_add_u64 v[30:31], s[10:11], 0, v[10:11]
	v_lshl_add_u64 v[32:33], v[30:31], 0, v[40:41]
	s_waitcnt vmcnt(11)
	v_mfma_f32_4x4x4_16b_f16 a[0:3], v[56:57], v[6:7], a[0:3] cbsz:4 abid:4
	v_cmp_eq_u32_e32 vcc, 1, v83
	s_nop 0
	v_mfma_f32_4x4x4_16b_f16 a[0:3], v[58:59], v[8:9], a[0:3] cbsz:4 abid:4
	s_waitcnt vmcnt(10)
	s_nop 0
	v_mfma_f32_4x4x4_16b_f16 a[0:3], v[56:57], v[2:3], a[0:3] cbsz:4 abid:5
	s_nop 1
	v_mfma_f32_4x4x4_16b_f16 a[0:3], v[58:59], v[4:5], a[0:3] cbsz:4 abid:5
	global_load_dwordx4 v[14:17], v[32:33], off
	global_load_dwordx4 v[2:5], v[32:33], off offset:16
	s_waitcnt vmcnt(11)
	v_mfma_f32_4x4x4_16b_f16 a[0:3], v[56:57], v[26:27], a[0:3] cbsz:4 abid:6
	global_load_dwordx4 v[6:9], v[32:33], off offset:32
	global_load_dwordx4 v[10:13], v[32:33], off offset:48
	v_mfma_f32_4x4x4_16b_f16 a[0:3], v[58:59], v[28:29], a[0:3] cbsz:4 abid:6
	s_waitcnt vmcnt(12)
	s_nop 0
	v_mfma_f32_4x4x4_16b_f16 a[0:3], v[56:57], v[18:19], a[0:3] cbsz:4 abid:7
	v_lshl_add_u64 v[18:19], v[30:31], 0, v[86:87]
	s_nop 0
	v_mfma_f32_4x4x4_16b_f16 a[0:3], v[58:59], v[20:21], a[0:3] cbsz:4 abid:7
	s_waitcnt vmcnt(11)
	s_nop 0
	v_mfma_f32_4x4x4_16b_f16 a[0:3], v[56:57], v[36:37], a[0:3] cbsz:4 abid:8
	global_load_dwordx4 v[30:33], v[18:19], off
	global_load_dwordx4 v[34:37], v[18:19], off offset:16
	v_mfma_f32_4x4x4_16b_f16 a[0:3], v[58:59], v[38:39], a[0:3] cbsz:4 abid:8
	global_load_dwordx4 v[42:45], v[18:19], off offset:32
	global_load_dwordx4 v[46:49], v[18:19], off offset:48
	s_waitcnt vmcnt(14)
	v_mfma_f32_4x4x4_16b_f16 a[0:3], v[56:57], v[22:23], a[0:3] cbsz:4 abid:9
	v_mul_hi_i32 v18, v54, s9
	v_ashrrev_i32_e32 v18, 31, v18
	v_mfma_f32_4x4x4_16b_f16 a[0:3], v[58:59], v[24:25], a[0:3] cbsz:4 abid:9
	v_lshrrev_b32_e32 v18, 29, v18
	v_mov_b32_e32 v19, v41
	s_waitcnt vmcnt(13)
	v_mfma_f32_4x4x4_16b_f16 a[0:3], v[56:57], v[60:61], a[0:3] cbsz:4 abid:10
	v_mad_i64_i32 v[18:19], s[8:9], v54, s9, v[18:19]
	s_nop 0
	v_mfma_f32_4x4x4_16b_f16 a[0:3], v[58:59], v[62:63], a[0:3] cbsz:4 abid:10
	v_lshlrev_b64 v[18:19], 1, v[18:19]
	v_and_b32_e32 v18, -16, v18
	s_waitcnt vmcnt(12)
	v_mfma_f32_4x4x4_16b_f16 a[0:3], v[56:57], v[50:51], a[0:3] cbsz:4 abid:11
	v_lshl_add_u64 v[50:51], s[10:11], 0, v[18:19]
	s_nop 0
	v_mfma_f32_4x4x4_16b_f16 a[0:3], v[58:59], v[52:53], a[0:3] cbsz:4 abid:11
	v_lshl_add_u64 v[52:53], v[50:51], 0, v[40:41]
	global_load_dwordx4 v[18:21], v[52:53], off
	global_load_dwordx4 v[22:25], v[52:53], off offset:16
	s_waitcnt vmcnt(13)
	v_mfma_f32_4x4x4_16b_f16 a[0:3], v[56:57], v[72:73], a[0:3] cbsz:4 abid:12
	global_load_dwordx4 v[26:29], v[52:53], off offset:32
	global_load_dwordx4 v[38:41], v[52:53], off offset:48
	v_mfma_f32_4x4x4_16b_f16 a[0:3], v[58:59], v[74:75], a[0:3] cbsz:4 abid:12
	v_mov_b32_e32 v73, 0xff7fffff
	s_waitcnt vmcnt(14)
	v_mfma_f32_4x4x4_16b_f16 a[0:3], v[56:57], v[64:65], a[0:3] cbsz:4 abid:13
	s_nop 1
	v_mfma_f32_4x4x4_16b_f16 a[0:3], v[58:59], v[66:67], a[0:3] cbsz:4 abid:13
	v_lshl_add_u64 v[66:67], v[50:51], 0, v[86:87]
	s_waitcnt vmcnt(13)
	v_mfma_f32_4x4x4_16b_f16 a[0:3], v[56:57], v[76:77], a[0:3] cbsz:4 abid:14
	s_nop 1
	v_mfma_f32_4x4x4_16b_f16 a[0:3], v[58:59], v[78:79], a[0:3] cbsz:4 abid:14
	s_waitcnt vmcnt(12)
	s_nop 0
	v_mfma_f32_4x4x4_16b_f16 a[0:3], v[56:57], v[68:69], a[0:3] cbsz:4 abid:15
	global_load_dwordx4 v[50:53], v[66:67], off
	global_load_dwordx4 v[54:57], v[66:67], off offset:16
	v_mfma_f32_4x4x4_16b_f16 a[0:3], v[58:59], v[70:71], a[0:3] cbsz:4 abid:15
	s_nop 4
	v_accvgpr_read_b32 v59, a1
	v_accvgpr_read_b32 v58, a0
	s_waitcnt lgkmcnt(0)
	v_pk_mul_f32 v[68:69], s[0:1], v[58:59] op_sel_hi:[0,1]
	global_load_dwordx4 v[58:61], v[66:67], off offset:32
	global_load_dwordx4 v[62:65], v[66:67], off offset:48
	v_accvgpr_read_b32 v67, a3
	v_accvgpr_read_b32 v66, a2
	v_pk_mul_f32 v[66:67], s[0:1], v[66:67] op_sel_hi:[0,1]
	v_mfma_f32_4x4x1_16b_f32 a[0:3], v68, v81, 0
	v_cndmask_b32_e64 v68, 0, 1.0, vcc
	v_cmp_eq_u32_e32 vcc, 2, v83
	s_nop 0
	v_mfma_f32_4x4x1_16b_f32 a[0:3], v69, v68, a[0:3]
	v_cndmask_b32_e64 v68, 0, 1.0, vcc
	v_cmp_eq_u32_e32 vcc, 3, v83
	s_nop 0
	v_mfma_f32_4x4x1_16b_f32 a[0:3], v66, v68, a[0:3]
	v_cndmask_b32_e64 v66, 0, 1.0, vcc
	s_nop 1
	v_mfma_f32_4x4x1_16b_f32 a[0:3], v67, v66, a[0:3]
	v_and_b32_e32 v66, -4, v84
	v_subrev_u32_e32 v67, s3, v66
	v_add_u32_e32 v68, 1, v67
	v_cvt_f32_i32_e32 v68, v68
	v_add_u32_e32 v69, 2, v67
	v_cvt_f32_i32_e32 v69, v69
	v_accvgpr_read_b32 v70, a0
	v_fma_f32 v68, v80, v68, v70
	v_accvgpr_read_b32 v70, a1
	v_fma_f32 v69, v80, v69, v70
	v_add_u32_e32 v70, 3, v67
	v_cvt_f32_i32_e32 v70, v70
	v_accvgpr_read_b32 v71, a2
	v_add_u32_e32 v67, 4, v67
	v_cmp_gt_i32_e32 vcc, s3, v66
	v_fma_f32 v71, v80, v70, v71
	v_max_f32_e32 v70, 0xff7fffff, v68
	v_cvt_f32_i32_e32 v67, v67
	v_cndmask_b32_e32 v70, v73, v70, vcc
	v_or_b32_e32 v73, 1, v66
	v_max_f32_e32 v74, v70, v69
	v_cmp_gt_i32_e64 s[0:1], s3, v73
	v_or_b32_e32 v66, 2, v66
	v_accvgpr_read_b32 v72, a3
	v_cndmask_b32_e64 v70, v70, v74, s[0:1]
	v_max_f32_e32 v73, v70, v71
	v_cmp_gt_i32_e64 s[8:9], s3, v66
	v_fmac_f32_e32 v72, v80, v67
	v_lshlrev_b32_e32 v67, 2, v0
	v_cndmask_b32_e64 v66, v70, v73, s[8:9]
	v_or_b32_e32 v70, 3, v84
	v_max_f32_e32 v73, v66, v72
	v_cmp_gt_i32_e64 s[10:11], s3, v70
	v_and_or_b32 v67, v67, 48, v83
	s_nop 0
	v_cndmask_b32_e64 v66, v66, v73, s[10:11]
	;;#ASMSTART
	v_nop
 v_nop
 v_max_f32_dpp v66, v66, v66 row_ror:4
	;;#ASMEND
	v_lshlrev_b32_e32 v73, 2, v67
	;;#ASMSTART
	v_nop
 v_nop
 v_max_f32_dpp v66, v66, v66 row_ror:8
	;;#ASMEND
	ds_bpermute_b32 v66, v73, v66
	s_waitcnt lgkmcnt(0)
	;;#ASMSTART
	v_nop
 v_nop
 v_max_f32_dpp v66, v66, v66 row_ror:4
	;;#ASMEND
	s_nop 0
	;;#ASMSTART
	v_nop
 v_nop
 v_max_f32_dpp v70, v66, v66 row_ror:8
	;;#ASMEND
	s_nop 0
	v_sub_f32_e32 v66, v68, v70
	v_mul_f32_e32 v66, 0x3fb8aa3b, v66
	v_sub_f32_e32 v67, v69, v70
	v_exp_f32_e32 v66, v66
	v_mul_f32_e32 v67, 0x3fb8aa3b, v67
	v_sub_f32_e32 v69, v71, v70
	v_exp_f32_e32 v67, v67
	;; [unrolled: 3-line block ×3, first 2 shown]
	v_mul_f32_e32 v71, 0x3fb8aa3b, v71
	v_exp_f32_e32 v71, v71
	v_cndmask_b32_e32 v66, 0, v66, vcc
	v_add_f32_e32 v68, 0, v66
	v_cndmask_b32_e64 v67, 0, v67, s[0:1]
	v_add_f32_e32 v72, v68, v67
	v_cndmask_b32_e64 v68, 0, v69, s[8:9]
	v_add_f32_e32 v72, v72, v68
	v_cndmask_b32_e64 v69, 0, v71, s[10:11]
	v_add_f32_e32 v71, v72, v69
	;;#ASMSTART
	v_nop
 v_nop
 v_add_f32_dpp v71, v71, v71 row_ror:4
	;;#ASMEND
	v_cmp_gt_u32_e32 vcc, 4, v1
	;;#ASMSTART
	v_nop
 v_nop
 v_add_f32_dpp v71, v71, v71 row_ror:8
	;;#ASMEND
	ds_bpermute_b32 v71, v73, v71
	s_waitcnt lgkmcnt(0)
	;;#ASMSTART
	v_nop
 v_nop
 v_add_f32_dpp v71, v71, v71 row_ror:4
	;;#ASMEND
	s_nop 0
	;;#ASMSTART
	v_nop
 v_nop
 v_add_f32_dpp v71, v71, v71 row_ror:8
	;;#ASMEND
	s_and_saveexec_b64 s[0:1], vcc
	s_cbranch_execz .LBB304_18
; %bb.17:
	v_mul_u32_u24_e32 v72, 20, v82
	v_lshl_add_u32 v72, v83, 2, v72
	v_add_u32_e32 v72, 0x1400, v72
	ds_write2_b32 v72, v70, v71 offset1:20
.LBB304_18:
	s_or_b64 exec, exec, s[0:1]
.LBB304_19:
	s_or_b64 exec, exec, s[22:23]
	s_waitcnt lgkmcnt(0)
	s_barrier
	s_load_dword s0, s[20:21], 0x8
	v_lshlrev_b32_e32 v71, 2, v83
	v_add_u32_e32 v73, 0x1400, v71
	ds_read2_b32 v[74:75], v73 offset1:5
	ds_read2_b32 v[76:77], v73 offset0:10 offset1:15
	s_mul_i32 s1, s33, s2
	s_waitcnt lgkmcnt(0)
	s_mul_i32 s0, s1, s0
	s_mov_b32 s1, 0xff7fffff
	v_max3_f32 v71, v74, s1, v75
	v_max3_f32 v72, v71, v76, v77
	v_sub_f32_e32 v71, v74, v72
	v_sub_f32_e32 v74, v75, v72
	v_mul_f32_e32 v74, 0x3fb8aa3b, v74
	ds_read2_b32 v[78:79], v73 offset0:20 offset1:25
	v_mul_f32_e32 v71, 0x3fb8aa3b, v71
	v_exp_f32_e32 v81, v74
	ds_read2_b32 v[74:75], v73 offset0:30 offset1:35
	v_sub_f32_e32 v73, v76, v72
	v_exp_f32_e32 v80, v71
	v_mul_f32_e32 v73, 0x3fb8aa3b, v73
	v_exp_f32_e32 v76, v73
	v_sub_f32_e32 v73, v77, v72
	v_mul_f32_e32 v73, 0x3fb8aa3b, v73
	v_exp_f32_e32 v77, v73
	s_waitcnt lgkmcnt(1)
	v_fma_f32 v73, v80, v78, 0
	v_fmac_f32_e32 v73, v81, v79
	s_waitcnt lgkmcnt(0)
	v_fmac_f32_e32 v73, v76, v74
	v_mov_b32_e32 v71, 0
	v_fmac_f32_e32 v73, v77, v75
	s_mov_b32 s1, 0
	v_cmp_eq_u32_e32 vcc, 0, v83
	s_and_saveexec_b64 s[2:3], vcc
	s_cbranch_execz .LBB304_21
; %bb.20:
	s_lshl_b64 s[8:9], s[0:1], 2
	s_add_u32 s5, s12, s8
	s_mov_b32 s17, s1
	s_addc_u32 s12, s13, s9
	s_lshl_b64 s[10:11], s[16:17], 2
	s_add_u32 s5, s5, s10
	s_addc_u32 s12, s12, s11
	s_add_u32 s8, s14, s8
	s_addc_u32 s9, s15, s9
	;; [unrolled: 2-line block ×3, first 2 shown]
	s_mul_i32 s8, s33, s4
	s_mov_b32 s9, s1
	s_lshl_b64 s[8:9], s[8:9], 2
	s_add_u32 s10, s5, s8
	s_addc_u32 s11, s12, s9
	s_add_u32 s8, s13, s8
	s_addc_u32 s9, s14, s9
	global_store_dword v71, v72, s[8:9]
	global_store_dword v71, v73, s[10:11]
.LBB304_21:
	s_or_b64 exec, exec, s[2:3]
	v_lshlrev_b32_e32 v71, 3, v82
	s_and_saveexec_b64 s[2:3], s[6:7]
	s_xor_b64 s[2:3], exec, s[2:3]
	s_cbranch_execz .LBB304_23
; %bb.22:
	s_mov_b32 s6, 0
	s_mov_b32 s7, s6
	s_waitcnt vmcnt(14)
	v_mad_u32_u24 v4, v1, 40, v71
	v_mov_b64_e32 v[2:3], s[6:7]
	ds_write2st64_b64 v4, v[2:3], v[2:3] offset1:5
                                        ; implicit-def: $vgpr69
                                        ; implicit-def: $vgpr67
                                        ; implicit-def: $vgpr15
                                        ; implicit-def: $vgpr3
                                        ; implicit-def: $vgpr7
                                        ; implicit-def: $vgpr11
                                        ; implicit-def: $vgpr19
                                        ; implicit-def: $vgpr23
                                        ; implicit-def: $vgpr27
                                        ; implicit-def: $vgpr39
                                        ; implicit-def: $vgpr31
                                        ; implicit-def: $vgpr35
                                        ; implicit-def: $vgpr43
                                        ; implicit-def: $vgpr47
                                        ; implicit-def: $vgpr51
                                        ; implicit-def: $vgpr55
                                        ; implicit-def: $vgpr59
                                        ; implicit-def: $vgpr63
                                        ; implicit-def: $vgpr70
                                        ; implicit-def: $vgpr72
                                        ; implicit-def: $vgpr73
                                        ; implicit-def: $vgpr71
.LBB304_23:
	s_andn2_saveexec_b64 s[2:3], s[2:3]
	s_cbranch_execz .LBB304_25
; %bb.24:
	v_add_f32_e32 v73, 0x358637bd, v73
	v_div_scale_f32 v74, s[6:7], v73, v73, 1.0
	v_rcp_f32_e32 v75, v74
	v_sub_f32_e32 v70, v70, v72
	v_mul_f32_e32 v70, 0x3fb8aa3b, v70
	v_exp_f32_e32 v70, v70
	v_fma_f32 v72, -v74, v75, 1.0
	v_fmac_f32_e32 v75, v72, v75
	v_div_scale_f32 v72, vcc, 1.0, v73, 1.0
	v_mul_f32_e32 v76, v72, v75
	v_fma_f32 v77, -v74, v76, v72
	v_fmac_f32_e32 v76, v77, v75
	v_fma_f32 v72, -v74, v76, v72
	v_div_fmas_f32 v72, v72, v75, v76
	v_div_fixup_f32 v72, v72, v73, 1.0
	v_mul_f32_e32 v70, v70, v72
	v_pk_mul_f32 v[68:69], v[68:69], v[70:71] op_sel_hi:[1,0]
	v_pk_mul_f32 v[66:67], v[66:67], v[70:71] op_sel_hi:[1,0]
	v_cvt_f16_f32_e32 v68, v68
	v_cvt_f16_f32_e32 v66, v66
	;; [unrolled: 1-line block ×4, first 2 shown]
	v_pack_b32_f16 v66, v66, v67
	v_pack_b32_f16 v67, v68, v69
	s_waitcnt vmcnt(15)
	s_nop 0
	v_mfma_f32_4x4x4_16b_f16 a[0:3], v[66:67], v[14:15], 0 cbsz:4
	s_nop 1
	v_mfma_f32_4x4x4_16b_f16 a[0:3], v[66:67], v[16:17], a[0:3] cbsz:4 abid:1
	s_waitcnt vmcnt(11)
	v_mfma_f32_4x4x4_16b_f16 a[4:7], v[66:67], v[30:31], 0 cbsz:4
	v_mfma_f32_4x4x4_16b_f16 a[0:3], v[66:67], v[2:3], a[0:3] cbsz:4 abid:2
	s_nop 0
	v_mfma_f32_4x4x4_16b_f16 a[4:7], v[66:67], v[32:33], a[4:7] cbsz:4 abid:1
	v_mfma_f32_4x4x4_16b_f16 a[0:3], v[66:67], v[4:5], a[0:3] cbsz:4 abid:3
	s_waitcnt vmcnt(10)
	v_mfma_f32_4x4x4_16b_f16 a[4:7], v[66:67], v[34:35], a[4:7] cbsz:4 abid:2
	v_mfma_f32_4x4x4_16b_f16 a[0:3], v[66:67], v[6:7], a[0:3] cbsz:4 abid:4
	s_nop 0
	v_mfma_f32_4x4x4_16b_f16 a[4:7], v[66:67], v[36:37], a[4:7] cbsz:4 abid:3
	v_mfma_f32_4x4x4_16b_f16 a[0:3], v[66:67], v[8:9], a[0:3] cbsz:4 abid:5
	v_mad_u32_u24 v9, v1, 40, v71
	s_waitcnt vmcnt(9)
	v_mfma_f32_4x4x4_16b_f16 a[4:7], v[66:67], v[42:43], a[4:7] cbsz:4 abid:4
	v_mfma_f32_4x4x4_16b_f16 a[0:3], v[66:67], v[10:11], a[0:3] cbsz:4 abid:6
	s_nop 0
	v_mfma_f32_4x4x4_16b_f16 a[4:7], v[66:67], v[44:45], a[4:7] cbsz:4 abid:5
	v_mfma_f32_4x4x4_16b_f16 a[0:3], v[66:67], v[12:13], a[0:3] cbsz:4 abid:7
	s_waitcnt vmcnt(8)
	v_mfma_f32_4x4x4_16b_f16 a[4:7], v[66:67], v[46:47], a[4:7] cbsz:4 abid:6
	s_waitcnt vmcnt(7)
	v_mfma_f32_4x4x4_16b_f16 a[0:3], v[66:67], v[18:19], a[0:3] cbsz:4 abid:8
	v_mfma_f32_4x4x4_16b_f16 a[4:7], v[66:67], v[48:49], a[4:7] cbsz:4 abid:7
	s_nop 0
	v_mfma_f32_4x4x4_16b_f16 a[0:3], v[66:67], v[20:21], a[0:3] cbsz:4 abid:9
	s_waitcnt vmcnt(3)
	v_mfma_f32_4x4x4_16b_f16 a[4:7], v[66:67], v[50:51], a[4:7] cbsz:4 abid:8
	v_mfma_f32_4x4x4_16b_f16 a[0:3], v[66:67], v[22:23], a[0:3] cbsz:4 abid:10
	s_nop 0
	v_mfma_f32_4x4x4_16b_f16 a[4:7], v[66:67], v[52:53], a[4:7] cbsz:4 abid:9
	v_mfma_f32_4x4x4_16b_f16 a[0:3], v[66:67], v[24:25], a[0:3] cbsz:4 abid:11
	s_waitcnt vmcnt(2)
	v_mfma_f32_4x4x4_16b_f16 a[4:7], v[66:67], v[54:55], a[4:7] cbsz:4 abid:10
	v_mfma_f32_4x4x4_16b_f16 a[0:3], v[66:67], v[26:27], a[0:3] cbsz:4 abid:12
	s_nop 0
	v_mfma_f32_4x4x4_16b_f16 a[4:7], v[66:67], v[56:57], a[4:7] cbsz:4 abid:11
	;; [unrolled: 6-line block ×3, first 2 shown]
	s_nop 4
	v_accvgpr_read_b32 v2, a0
	v_accvgpr_read_b32 v3, a1
	;; [unrolled: 1-line block ×4, first 2 shown]
	v_mfma_f32_4x4x4_16b_f16 a[0:3], v[66:67], v[60:61], a[4:7] cbsz:4 abid:13
	v_cvt_f16_f32_e32 v2, v2
	v_cvt_f16_f32_e32 v3, v3
	s_waitcnt vmcnt(0)
	v_mfma_f32_4x4x4_16b_f16 a[0:3], v[66:67], v[62:63], a[0:3] cbsz:4 abid:14
	v_pack_b32_f16 v2, v2, v3
	s_nop 0
	v_mfma_f32_4x4x4_16b_f16 a[0:3], v[66:67], v[64:65], a[0:3] cbsz:4 abid:15
	v_cvt_f16_f32_e32 v3, v4
	v_cvt_f16_f32_e32 v4, v5
	v_pack_b32_f16 v3, v3, v4
	s_nop 1
	v_accvgpr_read_b32 v5, a0
	v_accvgpr_read_b32 v6, a1
	;; [unrolled: 1-line block ×4, first 2 shown]
	v_cvt_f16_f32_e32 v5, v5
	v_cvt_f16_f32_e32 v6, v6
	;; [unrolled: 1-line block ×4, first 2 shown]
	v_pack_b32_f16 v4, v5, v6
	v_pack_b32_f16 v5, v7, v8
	ds_write2st64_b64 v9, v[2:3], v[4:5] offset1:5
.LBB304_25:
	s_or_b64 exec, exec, s[2:3]
	v_cmp_gt_u32_e32 vcc, 64, v0
	s_waitcnt lgkmcnt(0)
	s_barrier
	s_and_saveexec_b64 s[2:3], vcc
	s_cbranch_execz .LBB304_27
; %bb.26:
	s_waitcnt vmcnt(14)
	v_mov_b32_e32 v2, 0xa00
	v_mad_u32_u24 v2, v1, 40, v2
	s_waitcnt vmcnt(13)
	v_mov_b32_e32 v6, 0xa10
	ds_read2_b64 v[2:5], v2 offset1:1
	s_waitcnt lgkmcnt(0)
	v_mad_u32_u24 v3, v1, 40, v6
	ds_read2_b64 v[6:9], v3 offset1:1
	v_mul_u32_u24_e32 v1, 40, v1
	s_lshl_b32 s0, s0, 7
	v_pk_add_f16 v2, v2, 0
	s_lshl_b64 s[2:3], s[0:1], 1
	v_pk_add_f16 v2, v2, v4
	s_add_u32 s2, s18, s2
	s_waitcnt lgkmcnt(0)
	v_pk_add_f16 v2, v2, v6
	s_addc_u32 s3, s19, s3
	s_waitcnt vmcnt(12)
	v_pk_add_f16 v10, v2, v8
	ds_read2_b64 v[2:5], v1 offset1:1
	ds_read2_b64 v[6:9], v1 offset0:2 offset1:3
	s_lshl_b32 s0, s16, 7
	s_lshl_b64 s[0:1], s[0:1], 1
	s_add_u32 s0, s2, s0
	s_waitcnt lgkmcnt(1)
	v_pk_add_f16 v2, v2, 0
	s_mul_i32 s2, s4, s33
	v_pk_add_f16 v2, v2, v4
	s_addc_u32 s1, s3, s1
	v_lshl_or_b32 v0, s2, 7, v0
	v_mov_b32_e32 v1, 0
	s_waitcnt lgkmcnt(0)
	v_pk_add_f16 v2, v2, v6
	v_lshl_add_u64 v[0:1], v[0:1], 1, s[0:1]
	v_pk_add_f16 v2, v2, v8
	global_store_short v[0:1], v2, off
	global_store_short v[0:1], v10, off offset:128
.LBB304_27:
	s_endpgm
	.section	.rodata,"a",@progbits
	.p2align	6, 0x0
	.amdhsa_kernel _Z38paged_attention_ll4mi_QKV_mfma4_kernelIDF16_DF16_LN4vllm18Fp8KVCacheDataTypeE0EhLi32ELi128ELi256ELb1ELi1EEvPKT_PKT0_S7_ifPKiS9_S9_iPKfiiiPfSC_PS2_PT2_iSB_SB_
		.amdhsa_group_segment_fixed_size 5280
		.amdhsa_private_segment_fixed_size 0
		.amdhsa_kernarg_size 400
		.amdhsa_user_sgpr_count 2
		.amdhsa_user_sgpr_dispatch_ptr 0
		.amdhsa_user_sgpr_queue_ptr 0
		.amdhsa_user_sgpr_kernarg_segment_ptr 1
		.amdhsa_user_sgpr_dispatch_id 0
		.amdhsa_user_sgpr_kernarg_preload_length 0
		.amdhsa_user_sgpr_kernarg_preload_offset 0
		.amdhsa_user_sgpr_private_segment_size 0
		.amdhsa_uses_dynamic_stack 0
		.amdhsa_enable_private_segment 0
		.amdhsa_system_sgpr_workgroup_id_x 1
		.amdhsa_system_sgpr_workgroup_id_y 1
		.amdhsa_system_sgpr_workgroup_id_z 1
		.amdhsa_system_sgpr_workgroup_info 0
		.amdhsa_system_vgpr_workitem_id 0
		.amdhsa_next_free_vgpr 96
		.amdhsa_next_free_sgpr 38
		.amdhsa_accum_offset 88
		.amdhsa_reserve_vcc 1
		.amdhsa_float_round_mode_32 0
		.amdhsa_float_round_mode_16_64 0
		.amdhsa_float_denorm_mode_32 3
		.amdhsa_float_denorm_mode_16_64 3
		.amdhsa_dx10_clamp 1
		.amdhsa_ieee_mode 1
		.amdhsa_fp16_overflow 0
		.amdhsa_tg_split 0
		.amdhsa_exception_fp_ieee_invalid_op 0
		.amdhsa_exception_fp_denorm_src 0
		.amdhsa_exception_fp_ieee_div_zero 0
		.amdhsa_exception_fp_ieee_overflow 0
		.amdhsa_exception_fp_ieee_underflow 0
		.amdhsa_exception_fp_ieee_inexact 0
		.amdhsa_exception_int_div_zero 0
	.end_amdhsa_kernel
	.section	.text._Z38paged_attention_ll4mi_QKV_mfma4_kernelIDF16_DF16_LN4vllm18Fp8KVCacheDataTypeE0EhLi32ELi128ELi256ELb1ELi1EEvPKT_PKT0_S7_ifPKiS9_S9_iPKfiiiPfSC_PS2_PT2_iSB_SB_,"axG",@progbits,_Z38paged_attention_ll4mi_QKV_mfma4_kernelIDF16_DF16_LN4vllm18Fp8KVCacheDataTypeE0EhLi32ELi128ELi256ELb1ELi1EEvPKT_PKT0_S7_ifPKiS9_S9_iPKfiiiPfSC_PS2_PT2_iSB_SB_,comdat
.Lfunc_end304:
	.size	_Z38paged_attention_ll4mi_QKV_mfma4_kernelIDF16_DF16_LN4vllm18Fp8KVCacheDataTypeE0EhLi32ELi128ELi256ELb1ELi1EEvPKT_PKT0_S7_ifPKiS9_S9_iPKfiiiPfSC_PS2_PT2_iSB_SB_, .Lfunc_end304-_Z38paged_attention_ll4mi_QKV_mfma4_kernelIDF16_DF16_LN4vllm18Fp8KVCacheDataTypeE0EhLi32ELi128ELi256ELb1ELi1EEvPKT_PKT0_S7_ifPKiS9_S9_iPKfiiiPfSC_PS2_PT2_iSB_SB_
                                        ; -- End function
	.section	.AMDGPU.csdata,"",@progbits
; Kernel info:
; codeLenInByte = 3828
; NumSgprs: 44
; NumVgprs: 88
; NumAgprs: 8
; TotalNumVgprs: 96
; ScratchSize: 0
; MemoryBound: 0
; FloatMode: 240
; IeeeMode: 1
; LDSByteSize: 5280 bytes/workgroup (compile time only)
; SGPRBlocks: 5
; VGPRBlocks: 11
; NumSGPRsForWavesPerEU: 44
; NumVGPRsForWavesPerEU: 96
; AccumOffset: 88
; Occupancy: 5
; WaveLimiterHint : 1
; COMPUTE_PGM_RSRC2:SCRATCH_EN: 0
; COMPUTE_PGM_RSRC2:USER_SGPR: 2
; COMPUTE_PGM_RSRC2:TRAP_HANDLER: 0
; COMPUTE_PGM_RSRC2:TGID_X_EN: 1
; COMPUTE_PGM_RSRC2:TGID_Y_EN: 1
; COMPUTE_PGM_RSRC2:TGID_Z_EN: 1
; COMPUTE_PGM_RSRC2:TIDIG_COMP_CNT: 0
; COMPUTE_PGM_RSRC3_GFX90A:ACCUM_OFFSET: 21
; COMPUTE_PGM_RSRC3_GFX90A:TG_SPLIT: 0
	.section	.text._Z38paged_attention_ll4mi_QKV_mfma4_kernelIDF16_DF16_LN4vllm18Fp8KVCacheDataTypeE0EhLi32ELi128ELi256ELb1ELi2EEvPKT_PKT0_S7_ifPKiS9_S9_iPKfiiiPfSC_PS2_PT2_iSB_SB_,"axG",@progbits,_Z38paged_attention_ll4mi_QKV_mfma4_kernelIDF16_DF16_LN4vllm18Fp8KVCacheDataTypeE0EhLi32ELi128ELi256ELb1ELi2EEvPKT_PKT0_S7_ifPKiS9_S9_iPKfiiiPfSC_PS2_PT2_iSB_SB_,comdat
	.protected	_Z38paged_attention_ll4mi_QKV_mfma4_kernelIDF16_DF16_LN4vllm18Fp8KVCacheDataTypeE0EhLi32ELi128ELi256ELb1ELi2EEvPKT_PKT0_S7_ifPKiS9_S9_iPKfiiiPfSC_PS2_PT2_iSB_SB_ ; -- Begin function _Z38paged_attention_ll4mi_QKV_mfma4_kernelIDF16_DF16_LN4vllm18Fp8KVCacheDataTypeE0EhLi32ELi128ELi256ELb1ELi2EEvPKT_PKT0_S7_ifPKiS9_S9_iPKfiiiPfSC_PS2_PT2_iSB_SB_
	.globl	_Z38paged_attention_ll4mi_QKV_mfma4_kernelIDF16_DF16_LN4vllm18Fp8KVCacheDataTypeE0EhLi32ELi128ELi256ELb1ELi2EEvPKT_PKT0_S7_ifPKiS9_S9_iPKfiiiPfSC_PS2_PT2_iSB_SB_
	.p2align	8
	.type	_Z38paged_attention_ll4mi_QKV_mfma4_kernelIDF16_DF16_LN4vllm18Fp8KVCacheDataTypeE0EhLi32ELi128ELi256ELb1ELi2EEvPKT_PKT0_S7_ifPKiS9_S9_iPKfiiiPfSC_PS2_PT2_iSB_SB_,@function
_Z38paged_attention_ll4mi_QKV_mfma4_kernelIDF16_DF16_LN4vllm18Fp8KVCacheDataTypeE0EhLi32ELi128ELi256ELb1ELi2EEvPKT_PKT0_S7_ifPKiS9_S9_iPKfiiiPfSC_PS2_PT2_iSB_SB_: ; @_Z38paged_attention_ll4mi_QKV_mfma4_kernelIDF16_DF16_LN4vllm18Fp8KVCacheDataTypeE0EhLi32ELi128ELi256ELb1ELi2EEvPKT_PKT0_S7_ifPKiS9_S9_iPKfiiiPfSC_PS2_PT2_iSB_SB_
; %bb.0:
	s_load_dwordx2 s[8:9], s[0:1], 0x30
	s_mov_b32 s16, s3
	s_mov_b64 s[6:7], 0
	s_waitcnt lgkmcnt(0)
	s_cmp_lg_u64 s[8:9], 0
	s_cselect_b64 s[10:11], -1, 0
	s_and_b64 vcc, exec, s[10:11]
	s_cbranch_vccz .LBB305_10
; %bb.1:
	s_add_i32 s12, s2, 1
	s_mov_b32 s13, 0
	s_lshl_b64 s[14:15], s[12:13], 2
	s_add_u32 s14, s8, s14
	s_mov_b32 s3, s13
	s_addc_u32 s15, s9, s15
	s_lshl_b64 s[12:13], s[2:3], 2
	s_add_u32 s12, s8, s12
	s_addc_u32 s13, s9, s13
	s_load_dword s5, s[14:15], 0x0
	s_load_dword s17, s[12:13], 0x0
	s_waitcnt lgkmcnt(0)
	s_sub_i32 s5, s5, s17
	s_cmp_eq_u32 s5, 1
	s_cselect_b64 s[12:13], -1, 0
	s_andn2_b64 vcc, exec, s[6:7]
	s_cbranch_vccnz .LBB305_3
.LBB305_2:
	s_mov_b32 s3, 0
	s_mov_b64 s[12:13], -1
.LBB305_3:
	s_andn2_b64 vcc, exec, s[12:13]
	s_cbranch_vccnz .LBB305_27
; %bb.4:
	s_load_dword s5, s[0:1], 0x9c
	s_load_dwordx2 s[6:7], s[0:1], 0x28
	s_add_u32 s20, s0, 0x90
	s_addc_u32 s21, s1, 0
	s_lshl_b64 s[24:25], s[2:3], 2
	s_waitcnt lgkmcnt(0)
	s_and_b32 s5, s5, 0xffff
	s_add_u32 s6, s6, s24
	s_addc_u32 s7, s7, s25
	s_load_dword s3, s[6:7], 0x0
	s_mul_i32 s5, s16, s5
	s_waitcnt lgkmcnt(0)
	s_cmp_ge_i32 s5, s3
	s_cbranch_scc1 .LBB305_27
; %bb.5:
	v_and_b32_e32 v1, 0xc0, v0
	v_add_u32_e32 v2, s5, v1
	v_lshrrev_b32_e32 v80, 6, v0
	v_cmp_le_i32_e64 s[6:7], s3, v2
                                        ; implicit-def: $sgpr26
                                        ; implicit-def: $sgpr17
	s_and_saveexec_b64 s[12:13], s[6:7]
	s_xor_b64 s[12:13], exec, s[12:13]
	s_cbranch_execz .LBB305_7
; %bb.6:
	v_mul_u32_u24_e32 v1, 20, v80
	v_or_b32_e32 v1, 0x1400, v1
	v_mov_b32_e32 v2, 0x1450
	v_mov_b32_e32 v3, 0xff7fffff
	v_mad_u32_u24 v2, v80, 20, v2
	ds_write2_b32 v1, v3, v3 offset1:1
	v_mov_b32_e32 v1, 0
	ds_write2_b32 v2, v1, v1 offset1:1
	v_mov_b32_e32 v2, 0x1408
	s_mov_b32 s17, 0xff7fffff
	s_mov_b32 s26, 0
	v_mad_u32_u24 v2, v80, 20, v2
	v_mov_b32_e32 v4, 0x1458
	v_mad_u32_u24 v4, v80, 20, v4
	ds_write2_b32 v2, v3, v3 offset1:1
	ds_write2_b32 v4, v1, v1 offset1:1
                                        ; implicit-def: $vgpr2
.LBB305_7:
	s_or_saveexec_b64 s[22:23], s[12:13]
	s_load_dwordx2 s[18:19], s[0:1], 0x68
	s_load_dwordx4 s[12:15], s[0:1], 0x58
	s_load_dword s33, s[20:21], 0x4
	v_and_b32_e32 v1, 63, v0
	v_and_b32_e32 v81, 3, v0
	s_lshl_b32 s34, s4, 1
	v_mov_b32_e32 v69, s26
	v_mov_b32_e32 v70, s17
	;; [unrolled: 1-line block ×5, first 2 shown]
                                        ; implicit-def: $vgpr15
                                        ; implicit-def: $vgpr3
                                        ; implicit-def: $vgpr7
                                        ; implicit-def: $vgpr11
                                        ; implicit-def: $vgpr19
                                        ; implicit-def: $vgpr23
                                        ; implicit-def: $vgpr27
                                        ; implicit-def: $vgpr39
                                        ; implicit-def: $vgpr31
                                        ; implicit-def: $vgpr35
                                        ; implicit-def: $vgpr43
                                        ; implicit-def: $vgpr47
                                        ; implicit-def: $vgpr55
                                        ; implicit-def: $vgpr63
                                        ; implicit-def: $vgpr51
                                        ; implicit-def: $vgpr59
	s_xor_b64 exec, exec, s[22:23]
	s_cbranch_execz .LBB305_19
; %bb.8:
	s_add_i32 s28, s3, 31
	s_ashr_i32 s29, s28, 31
	s_lshr_b32 s29, s29, 27
	v_add_u32_e32 v82, s5, v0
	s_add_i32 s28, s28, s29
	v_ashrrev_i32_e32 v3, 31, v82
	s_load_dwordx2 s[26:27], s[0:1], 0x20
	s_load_dword s17, s[0:1], 0x38
	s_ashr_i32 s28, s28, 5
	v_lshrrev_b32_e32 v3, 27, v3
	s_add_i32 s30, s28, -1
	v_add_u32_e32 v3, v82, v3
	v_ashrrev_i32_e32 v3, 5, v3
	v_mov_b32_e32 v4, s30
	v_cmp_gt_i32_e32 vcc, s3, v82
	s_waitcnt lgkmcnt(0)
	s_mul_i32 s28, s2, s17
	s_mov_b32 s29, 0
	v_cndmask_b32_e32 v4, v4, v3, vcc
	v_ashrrev_i32_e32 v3, 31, v2
	v_lshrrev_b32_e32 v3, 27, v3
	v_add_u32_e32 v2, v2, v3
	s_lshl_b64 s[28:29], s[28:29], 2
	v_ashrrev_i32_e32 v8, 5, v2
	s_add_u32 s26, s26, s28
	v_min_i32_e32 v2, s30, v8
	s_addc_u32 s27, s27, s29
	v_ashrrev_i32_e32 v3, 31, v2
	v_lshl_add_u64 v[6:7], v[2:3], 2, s[26:27]
	v_add_u32_e32 v2, 1, v8
	v_ashrrev_i32_e32 v5, 31, v4
	v_min_i32_e32 v2, s30, v2
	v_lshl_add_u64 v[4:5], v[4:5], 2, s[26:27]
	v_ashrrev_i32_e32 v3, 31, v2
	v_lshl_add_u64 v[8:9], v[2:3], 2, s[26:27]
	global_load_dword v3, v[4:5], off
	global_load_dword v2, v[6:7], off
	;; [unrolled: 1-line block ×3, first 2 shown]
	s_load_dwordx2 s[26:27], s[0:1], 0x8
	s_andn2_b64 vcc, exec, s[10:11]
	s_cbranch_vccnz .LBB305_11
; %bb.9:
	s_add_u32 s8, s8, s24
	s_addc_u32 s9, s9, s25
	s_load_dword s5, s[8:9], 0x0
	s_branch .LBB305_12
.LBB305_10:
	s_mov_b64 s[12:13], 0
	s_branch .LBB305_2
.LBB305_11:
	s_mov_b32 s5, s2
.LBB305_12:
	s_load_dwordx2 s[24:25], s[0:1], 0x10
	s_load_dwordx4 s[8:11], s[0:1], 0x48
	v_cmp_gt_u32_e32 vcc, 2, v81
	s_mov_b32 s29, 0
	v_mov_b32_e32 v79, 0
	v_mov_b32_e32 v66, 0
	;; [unrolled: 1-line block ×5, first 2 shown]
	s_and_saveexec_b64 s[30:31], vcc
	s_cbranch_execz .LBB305_14
; %bb.13:
	s_load_dwordx2 s[36:37], s[0:1], 0x0
	s_waitcnt lgkmcnt(0)
	s_ashr_i32 s11, s8, 31
	s_mul_hi_u32 s17, s5, s8
	s_mul_i32 s11, s5, s11
	s_add_i32 s39, s17, s11
	s_mul_i32 s38, s5, s8
	s_lshl_b64 s[38:39], s[38:39], 1
	s_add_u32 s5, s36, s38
	s_addc_u32 s8, s37, s39
	s_lshl_b32 s28, s4, 8
	s_lshl_b64 s[36:37], s[28:29], 1
	v_lshlrev_b32_e32 v4, 2, v1
	s_add_u32 s36, s5, s36
	v_and_b32_e32 v4, 0xf0, v4
	s_addc_u32 s37, s8, s37
	v_lshl_or_b32 v4, v81, 8, v4
	global_load_dwordx4 v[66:69], v4, s[36:37]
.LBB305_14:
	s_or_b64 exec, exec, s[30:31]
	s_waitcnt lgkmcnt(0)
	s_mul_i32 s28, s4, s10
	s_lshl_b64 s[4:5], s[28:29], 1
	s_add_u32 s10, s4, s26
	s_waitcnt vmcnt(2)
	v_mad_i64_i32 v[4:5], s[30:31], v3, s9, 0
	s_addc_u32 s11, s5, s27
	v_and_b32_e32 v3, 31, v0
	v_lshl_add_u64 v[16:17], v[4:5], 1, s[10:11]
	v_lshlrev_b32_e32 v78, 4, v3
	v_lshl_add_u64 v[22:23], v[16:17], 0, v[78:79]
	global_load_dwordx4 v[42:45], v[22:23], off
	global_load_dwordx4 v[34:37], v[22:23], off offset:512
	global_load_dwordx4 v[30:33], v[22:23], off offset:1024
	;; [unrolled: 1-line block ×7, first 2 shown]
	v_or_b32_e32 v22, 0x1000, v78
	v_mov_b32_e32 v23, v79
	v_lshl_add_u64 v[46:47], v[16:17], 0, v[22:23]
	v_or_b32_e32 v22, 0x1200, v78
	v_lshl_add_u64 v[48:49], v[16:17], 0, v[22:23]
	global_load_dwordx4 v[38:41], v[46:47], off
	global_load_dwordx4 v[22:25], v[48:49], off
	v_or_b32_e32 v46, 0x1400, v78
	v_mov_b32_e32 v47, v79
	v_lshl_add_u64 v[46:47], v[16:17], 0, v[46:47]
	v_or_b32_e32 v48, 0x1600, v78
	v_mov_b32_e32 v49, v79
	v_lshl_add_u64 v[48:49], v[16:17], 0, v[48:49]
	global_load_dwordx4 v[54:57], v[46:47], off
	global_load_dwordx4 v[50:53], v[48:49], off
	v_or_b32_e32 v46, 0x1800, v78
	v_mov_b32_e32 v47, v79
	v_lshl_add_u64 v[46:47], v[16:17], 0, v[46:47]
	v_or_b32_e32 v48, 0x1a00, v78
	v_mov_b32_e32 v49, v79
	v_or_b32_e32 v78, 0x1c00, v78
	v_mov_b32_e32 v3, 0x1e00
	v_lshl_add_u64 v[48:49], v[16:17], 0, v[48:49]
	global_load_dwordx4 v[62:65], v[46:47], off
	global_load_dwordx4 v[58:61], v[48:49], off
	v_lshl_add_u64 v[46:47], v[16:17], 0, v[78:79]
	v_lshl_or_b32 v78, v0, 4, v3
	v_lshl_add_u64 v[16:17], v[16:17], 0, v[78:79]
	global_load_dwordx4 v[74:77], v[46:47], off
	global_load_dwordx4 v[70:73], v[16:17], off
	s_and_saveexec_b64 s[10:11], vcc
	s_cbranch_execz .LBB305_16
; %bb.15:
	s_load_dwordx2 s[26:27], s[0:1], 0x40
	v_or_b32_e32 v16, s34, v81
	v_mov_b32_e32 v17, 0
	s_waitcnt lgkmcnt(0)
	v_lshl_add_u64 v[16:17], v[16:17], 2, s[26:27]
	global_load_dword v79, v[16:17], off
.LBB305_16:
	s_or_b64 exec, exec, s[10:11]
	s_waitcnt vmcnt(15)
	v_mfma_f32_4x4x4_16b_f16 a[0:3], v[66:67], v[42:43], 0 cbsz:4
	v_mul_hi_i32 v3, v2, s9
	v_ashrrev_i32_e32 v3, 31, v3
	v_mfma_f32_4x4x4_16b_f16 a[0:3], v[68:69], v[44:45], a[0:3] cbsz:4
	v_lshrrev_b32_e32 v84, 29, v3
	v_mov_b32_e32 v85, 0
	s_waitcnt vmcnt(14)
	v_mfma_f32_4x4x4_16b_f16 a[0:3], v[66:67], v[34:35], a[0:3] cbsz:4 abid:1
	v_mad_i64_i32 v[2:3], s[10:11], v2, s9, v[84:85]
	s_nop 0
	v_mfma_f32_4x4x4_16b_f16 a[0:3], v[68:69], v[36:37], a[0:3] cbsz:4 abid:1
	s_add_u32 s4, s24, s4
	v_lshlrev_b64 v[2:3], 1, v[2:3]
	s_waitcnt vmcnt(13)
	v_mfma_f32_4x4x4_16b_f16 a[0:3], v[66:67], v[30:31], a[0:3] cbsz:4 abid:2
	s_addc_u32 s5, s25, s5
	v_and_b32_e32 v2, -16, v2
	v_mfma_f32_4x4x4_16b_f16 a[0:3], v[68:69], v[32:33], a[0:3] cbsz:4 abid:2
	v_lshlrev_b32_e32 v84, 6, v1
	v_lshl_add_u64 v[30:31], s[4:5], 0, v[2:3]
	s_waitcnt vmcnt(12)
	v_mfma_f32_4x4x4_16b_f16 a[0:3], v[66:67], v[12:13], a[0:3] cbsz:4 abid:3
	v_or_b32_e32 v86, 0x1000, v84
	v_mov_b32_e32 v87, v85
	v_mfma_f32_4x4x4_16b_f16 a[0:3], v[68:69], v[14:15], a[0:3] cbsz:4 abid:3
	v_lshl_add_u64 v[32:33], v[30:31], 0, v[84:85]
	s_load_dword s0, s[0:1], 0x1c
	s_waitcnt vmcnt(11)
	v_mfma_f32_4x4x4_16b_f16 a[0:3], v[66:67], v[8:9], a[0:3] cbsz:4 abid:4
	v_cmp_eq_u32_e32 vcc, 0, v81
	s_nop 0
	v_mfma_f32_4x4x4_16b_f16 a[0:3], v[68:69], v[10:11], a[0:3] cbsz:4 abid:4
	s_waitcnt vmcnt(10)
	s_nop 0
	v_mfma_f32_4x4x4_16b_f16 a[0:3], v[66:67], v[4:5], a[0:3] cbsz:4 abid:5
	global_load_dwordx4 v[14:17], v[32:33], off
	global_load_dwordx4 v[2:5], v[32:33], off offset:16
	v_mfma_f32_4x4x4_16b_f16 a[0:3], v[68:69], v[6:7], a[0:3] cbsz:4 abid:5
	global_load_dwordx4 v[6:9], v[32:33], off offset:32
	global_load_dwordx4 v[10:13], v[32:33], off offset:48
	s_waitcnt vmcnt(13)
	v_mfma_f32_4x4x4_16b_f16 a[0:3], v[66:67], v[26:27], a[0:3] cbsz:4 abid:6
	s_nop 1
	v_mfma_f32_4x4x4_16b_f16 a[0:3], v[68:69], v[28:29], a[0:3] cbsz:4 abid:6
	s_waitcnt vmcnt(12)
	s_nop 0
	v_mfma_f32_4x4x4_16b_f16 a[0:3], v[66:67], v[18:19], a[0:3] cbsz:4 abid:7
	v_lshl_add_u64 v[18:19], v[30:31], 0, v[86:87]
	global_load_dwordx4 v[30:33], v[18:19], off
	global_load_dwordx4 v[34:37], v[18:19], off offset:16
	v_mfma_f32_4x4x4_16b_f16 a[0:3], v[68:69], v[20:21], a[0:3] cbsz:4 abid:7
	global_load_dwordx4 v[42:45], v[18:19], off offset:32
	global_load_dwordx4 v[46:49], v[18:19], off offset:48
	s_waitcnt vmcnt(15)
	v_mfma_f32_4x4x4_16b_f16 a[0:3], v[66:67], v[38:39], a[0:3] cbsz:4 abid:8
	v_mul_hi_i32 v18, v83, s9
	v_ashrrev_i32_e32 v18, 31, v18
	v_mfma_f32_4x4x4_16b_f16 a[0:3], v[68:69], v[40:41], a[0:3] cbsz:4 abid:8
	v_lshrrev_b32_e32 v18, 29, v18
	v_mov_b32_e32 v19, v85
	s_waitcnt vmcnt(14)
	v_mfma_f32_4x4x4_16b_f16 a[0:3], v[66:67], v[22:23], a[0:3] cbsz:4 abid:9
	v_mad_i64_i32 v[18:19], s[8:9], v83, s9, v[18:19]
	s_nop 0
	v_mfma_f32_4x4x4_16b_f16 a[0:3], v[68:69], v[24:25], a[0:3] cbsz:4 abid:9
	v_lshlrev_b64 v[18:19], 1, v[18:19]
	v_and_b32_e32 v18, -16, v18
	s_waitcnt vmcnt(13)
	v_mfma_f32_4x4x4_16b_f16 a[0:3], v[66:67], v[54:55], a[0:3] cbsz:4 abid:10
	s_nop 1
	v_mfma_f32_4x4x4_16b_f16 a[0:3], v[68:69], v[56:57], a[0:3] cbsz:4 abid:10
	s_waitcnt vmcnt(12)
	s_nop 0
	v_mfma_f32_4x4x4_16b_f16 a[0:3], v[66:67], v[50:51], a[0:3] cbsz:4 abid:11
	v_lshl_add_u64 v[50:51], s[4:5], 0, v[18:19]
	s_nop 0
	v_mfma_f32_4x4x4_16b_f16 a[0:3], v[68:69], v[52:53], a[0:3] cbsz:4 abid:11
	v_lshl_add_u64 v[52:53], v[50:51], 0, v[84:85]
	global_load_dwordx4 v[18:21], v[52:53], off
	global_load_dwordx4 v[22:25], v[52:53], off offset:16
	s_waitcnt vmcnt(13)
	v_mfma_f32_4x4x4_16b_f16 a[0:3], v[66:67], v[62:63], a[0:3] cbsz:4 abid:12
	global_load_dwordx4 v[26:29], v[52:53], off offset:32
	global_load_dwordx4 v[38:41], v[52:53], off offset:48
	v_mfma_f32_4x4x4_16b_f16 a[0:3], v[68:69], v[64:65], a[0:3] cbsz:4 abid:12
	s_waitcnt vmcnt(14)
	s_nop 0
	v_mfma_f32_4x4x4_16b_f16 a[0:3], v[66:67], v[58:59], a[0:3] cbsz:4 abid:13
	s_nop 1
	v_mfma_f32_4x4x4_16b_f16 a[0:3], v[68:69], v[60:61], a[0:3] cbsz:4 abid:13
	s_waitcnt vmcnt(13)
	s_nop 0
	v_mfma_f32_4x4x4_16b_f16 a[0:3], v[66:67], v[74:75], a[0:3] cbsz:4 abid:14
	v_lshl_add_u64 v[74:75], v[50:51], 0, v[86:87]
	global_load_dwordx4 v[54:57], v[74:75], off
	global_load_dwordx4 v[62:65], v[74:75], off offset:16
	global_load_dwordx4 v[50:53], v[74:75], off offset:32
	;; [unrolled: 1-line block ×3, first 2 shown]
	v_mfma_f32_4x4x4_16b_f16 a[0:3], v[68:69], v[76:77], a[0:3] cbsz:4 abid:14
	s_waitcnt vmcnt(16)
	s_nop 0
	v_mfma_f32_4x4x4_16b_f16 a[0:3], v[66:67], v[70:71], a[0:3] cbsz:4 abid:15
	v_cndmask_b32_e64 v70, 0, 1.0, vcc
	v_cmp_eq_u32_e32 vcc, 1, v81
	v_mfma_f32_4x4x4_16b_f16 a[0:3], v[68:69], v[72:73], a[0:3] cbsz:4 abid:15
	v_mov_b32_e32 v73, 0xff7fffff
	s_nop 3
	v_accvgpr_read_b32 v69, a1
	v_accvgpr_read_b32 v68, a0
	s_waitcnt lgkmcnt(0)
	v_pk_mul_f32 v[68:69], s[0:1], v[68:69] op_sel_hi:[0,1]
	v_accvgpr_read_b32 v67, a3
	v_accvgpr_read_b32 v66, a2
	v_pk_mul_f32 v[66:67], s[0:1], v[66:67] op_sel_hi:[0,1]
	v_mfma_f32_4x4x1_16b_f32 a[0:3], v68, v70, 0
	v_cndmask_b32_e64 v68, 0, 1.0, vcc
	v_cmp_eq_u32_e32 vcc, 2, v81
	s_nop 0
	v_mfma_f32_4x4x1_16b_f32 a[0:3], v69, v68, a[0:3]
	v_cndmask_b32_e64 v68, 0, 1.0, vcc
	v_cmp_eq_u32_e32 vcc, 3, v81
	s_nop 0
	v_mfma_f32_4x4x1_16b_f32 a[0:3], v66, v68, a[0:3]
	v_cndmask_b32_e64 v66, 0, 1.0, vcc
	s_nop 1
	v_mfma_f32_4x4x1_16b_f32 a[0:3], v67, v66, a[0:3]
	v_and_b32_e32 v66, -4, v82
	v_subrev_u32_e32 v67, s3, v66
	v_add_u32_e32 v68, 1, v67
	v_cvt_f32_i32_e32 v68, v68
	v_add_u32_e32 v69, 2, v67
	v_cvt_f32_i32_e32 v69, v69
	v_accvgpr_read_b32 v70, a0
	v_fma_f32 v68, v79, v68, v70
	v_accvgpr_read_b32 v70, a1
	v_fma_f32 v69, v79, v69, v70
	v_add_u32_e32 v70, 3, v67
	v_cvt_f32_i32_e32 v70, v70
	v_accvgpr_read_b32 v71, a2
	v_add_u32_e32 v67, 4, v67
	v_cmp_gt_i32_e32 vcc, s3, v66
	v_fma_f32 v71, v79, v70, v71
	v_max_f32_e32 v70, 0xff7fffff, v68
	v_cvt_f32_i32_e32 v67, v67
	v_cndmask_b32_e32 v70, v73, v70, vcc
	v_or_b32_e32 v73, 1, v66
	v_max_f32_e32 v74, v70, v69
	v_cmp_gt_i32_e64 s[0:1], s3, v73
	v_or_b32_e32 v66, 2, v66
	v_accvgpr_read_b32 v72, a3
	v_cndmask_b32_e64 v70, v70, v74, s[0:1]
	v_max_f32_e32 v73, v70, v71
	v_cmp_gt_i32_e64 s[4:5], s3, v66
	v_fmac_f32_e32 v72, v79, v67
	v_lshlrev_b32_e32 v67, 2, v0
	v_cndmask_b32_e64 v66, v70, v73, s[4:5]
	v_or_b32_e32 v70, 3, v82
	v_max_f32_e32 v73, v66, v72
	v_cmp_gt_i32_e64 s[8:9], s3, v70
	v_and_or_b32 v67, v67, 48, v81
	s_nop 0
	v_cndmask_b32_e64 v66, v66, v73, s[8:9]
	;;#ASMSTART
	v_nop
 v_nop
 v_max_f32_dpp v66, v66, v66 row_ror:4
	;;#ASMEND
	v_lshlrev_b32_e32 v73, 2, v67
	;;#ASMSTART
	v_nop
 v_nop
 v_max_f32_dpp v66, v66, v66 row_ror:8
	;;#ASMEND
	ds_bpermute_b32 v66, v73, v66
	s_waitcnt lgkmcnt(0)
	;;#ASMSTART
	v_nop
 v_nop
 v_max_f32_dpp v66, v66, v66 row_ror:4
	;;#ASMEND
	s_nop 0
	;;#ASMSTART
	v_nop
 v_nop
 v_max_f32_dpp v70, v66, v66 row_ror:8
	;;#ASMEND
	s_nop 0
	v_sub_f32_e32 v66, v68, v70
	v_mul_f32_e32 v66, 0x3fb8aa3b, v66
	v_sub_f32_e32 v67, v69, v70
	v_exp_f32_e32 v66, v66
	v_mul_f32_e32 v67, 0x3fb8aa3b, v67
	v_sub_f32_e32 v69, v71, v70
	v_exp_f32_e32 v67, v67
	;; [unrolled: 3-line block ×3, first 2 shown]
	v_mul_f32_e32 v71, 0x3fb8aa3b, v71
	v_exp_f32_e32 v71, v71
	v_cndmask_b32_e32 v66, 0, v66, vcc
	v_add_f32_e32 v68, 0, v66
	v_cndmask_b32_e64 v67, 0, v67, s[0:1]
	v_add_f32_e32 v72, v68, v67
	v_cndmask_b32_e64 v68, 0, v69, s[4:5]
	;; [unrolled: 2-line block ×3, first 2 shown]
	v_add_f32_e32 v71, v72, v69
	;;#ASMSTART
	v_nop
 v_nop
 v_add_f32_dpp v71, v71, v71 row_ror:4
	;;#ASMEND
	v_cmp_gt_u32_e32 vcc, 4, v1
	;;#ASMSTART
	v_nop
 v_nop
 v_add_f32_dpp v71, v71, v71 row_ror:8
	;;#ASMEND
	ds_bpermute_b32 v71, v73, v71
	s_waitcnt lgkmcnt(0)
	;;#ASMSTART
	v_nop
 v_nop
 v_add_f32_dpp v71, v71, v71 row_ror:4
	;;#ASMEND
	s_nop 0
	;;#ASMSTART
	v_nop
 v_nop
 v_add_f32_dpp v71, v71, v71 row_ror:8
	;;#ASMEND
	s_and_saveexec_b64 s[0:1], vcc
	s_cbranch_execz .LBB305_18
; %bb.17:
	v_mul_u32_u24_e32 v72, 20, v80
	v_lshl_add_u32 v72, v81, 2, v72
	v_add_u32_e32 v72, 0x1400, v72
	ds_write2_b32 v72, v70, v71 offset1:20
.LBB305_18:
	s_or_b64 exec, exec, s[0:1]
.LBB305_19:
	s_or_b64 exec, exec, s[22:23]
	s_waitcnt lgkmcnt(0)
	s_barrier
	s_load_dword s0, s[20:21], 0x8
	v_lshlrev_b32_e32 v71, 2, v81
	v_add_u32_e32 v71, 0x1400, v71
	ds_read2_b32 v[74:75], v71 offset1:5
	ds_read2_b32 v[76:77], v71 offset0:10 offset1:15
	s_mul_i32 s1, s2, s33
	s_waitcnt lgkmcnt(0)
	s_mul_i32 s1, s1, s0
	s_lshl_b32 s0, s1, 1
	s_mov_b32 s1, 0xff7fffff
	v_max3_f32 v72, v74, s1, v75
	v_max3_f32 v72, v72, v76, v77
	v_sub_f32_e32 v73, v74, v72
	v_sub_f32_e32 v74, v75, v72
	ds_read2_b32 v[78:79], v71 offset0:20 offset1:25
	v_mul_f32_e32 v73, 0x3fb8aa3b, v73
	v_mul_f32_e32 v74, 0x3fb8aa3b, v74
	v_exp_f32_e32 v73, v73
	v_exp_f32_e32 v82, v74
	ds_read2_b32 v[74:75], v71 offset0:30 offset1:35
	v_sub_f32_e32 v71, v76, v72
	v_mul_f32_e32 v71, 0x3fb8aa3b, v71
	v_sub_f32_e32 v76, v77, v72
	v_exp_f32_e32 v71, v71
	v_mul_f32_e32 v76, 0x3fb8aa3b, v76
	v_exp_f32_e32 v76, v76
	s_waitcnt lgkmcnt(1)
	v_fma_f32 v73, v73, v78, 0
	v_fmac_f32_e32 v73, v82, v79
	s_waitcnt lgkmcnt(0)
	v_fmac_f32_e32 v73, v71, v74
	v_fmac_f32_e32 v73, v76, v75
	v_cmp_gt_u32_e32 vcc, 2, v81
	s_and_saveexec_b64 s[2:3], vcc
	s_cbranch_execz .LBB305_21
; %bb.20:
	s_mov_b32 s1, 0
	s_lshl_b64 s[4:5], s[0:1], 2
	s_add_u32 s10, s12, s4
	s_mov_b32 s17, s1
	s_addc_u32 s11, s13, s5
	s_lshl_b64 s[8:9], s[16:17], 2
	s_add_u32 s10, s10, s8
	s_addc_u32 s11, s11, s9
	s_add_u32 s1, s14, s4
	s_addc_u32 s5, s15, s5
	v_or_b32_e32 v71, s34, v81
	s_add_u32 s4, s1, s8
	v_mul_lo_u32 v74, s33, v71
	v_mov_b32_e32 v75, 0
	s_addc_u32 s5, s5, s9
	v_lshlrev_b64 v[74:75], 2, v[74:75]
	v_lshl_add_u64 v[76:77], s[10:11], 0, v[74:75]
	v_lshl_add_u64 v[74:75], s[4:5], 0, v[74:75]
	global_store_dword v[74:75], v72, off
	global_store_dword v[76:77], v73, off
.LBB305_21:
	s_or_b64 exec, exec, s[2:3]
	v_lshlrev_b32_e32 v71, 3, v80
	s_and_saveexec_b64 s[2:3], s[6:7]
	s_xor_b64 s[2:3], exec, s[2:3]
	s_cbranch_execz .LBB305_23
; %bb.22:
	s_mov_b32 s4, 0
	s_mov_b32 s5, s4
	s_waitcnt vmcnt(14)
	v_mad_u32_u24 v4, v1, 40, v71
	v_mov_b64_e32 v[2:3], s[4:5]
	ds_write2st64_b64 v4, v[2:3], v[2:3] offset1:5
                                        ; implicit-def: $vgpr69
                                        ; implicit-def: $vgpr67
                                        ; implicit-def: $vgpr15
                                        ; implicit-def: $vgpr3
                                        ; implicit-def: $vgpr7
                                        ; implicit-def: $vgpr11
                                        ; implicit-def: $vgpr19
                                        ; implicit-def: $vgpr23
                                        ; implicit-def: $vgpr27
                                        ; implicit-def: $vgpr39
                                        ; implicit-def: $vgpr31
                                        ; implicit-def: $vgpr35
                                        ; implicit-def: $vgpr43
                                        ; implicit-def: $vgpr47
                                        ; implicit-def: $vgpr55
                                        ; implicit-def: $vgpr63
                                        ; implicit-def: $vgpr51
                                        ; implicit-def: $vgpr59
                                        ; implicit-def: $vgpr70
                                        ; implicit-def: $vgpr72
                                        ; implicit-def: $vgpr73
                                        ; implicit-def: $vgpr71
.LBB305_23:
	s_andn2_saveexec_b64 s[2:3], s[2:3]
	s_cbranch_execz .LBB305_25
; %bb.24:
	v_add_f32_e32 v73, 0x358637bd, v73
	v_div_scale_f32 v74, s[4:5], v73, v73, 1.0
	v_rcp_f32_e32 v75, v74
	v_sub_f32_e32 v70, v70, v72
	v_mul_f32_e32 v70, 0x3fb8aa3b, v70
	v_exp_f32_e32 v70, v70
	v_fma_f32 v72, -v74, v75, 1.0
	v_fmac_f32_e32 v75, v72, v75
	v_div_scale_f32 v72, vcc, 1.0, v73, 1.0
	v_mul_f32_e32 v76, v72, v75
	v_fma_f32 v77, -v74, v76, v72
	v_fmac_f32_e32 v76, v77, v75
	v_fma_f32 v72, -v74, v76, v72
	v_div_fmas_f32 v72, v72, v75, v76
	v_div_fixup_f32 v72, v72, v73, 1.0
	v_mul_f32_e32 v70, v70, v72
	v_pk_mul_f32 v[68:69], v[68:69], v[70:71] op_sel_hi:[1,0]
	v_pk_mul_f32 v[66:67], v[66:67], v[70:71] op_sel_hi:[1,0]
	v_cvt_f16_f32_e32 v68, v68
	v_cvt_f16_f32_e32 v66, v66
	;; [unrolled: 1-line block ×4, first 2 shown]
	v_pack_b32_f16 v66, v66, v67
	v_pack_b32_f16 v67, v68, v69
	s_waitcnt vmcnt(15)
	s_nop 0
	v_mfma_f32_4x4x4_16b_f16 a[0:3], v[66:67], v[14:15], 0 cbsz:4
	s_nop 1
	v_mfma_f32_4x4x4_16b_f16 a[0:3], v[66:67], v[16:17], a[0:3] cbsz:4 abid:1
	s_waitcnt vmcnt(11)
	v_mfma_f32_4x4x4_16b_f16 a[4:7], v[66:67], v[30:31], 0 cbsz:4
	v_mfma_f32_4x4x4_16b_f16 a[0:3], v[66:67], v[2:3], a[0:3] cbsz:4 abid:2
	s_nop 0
	v_mfma_f32_4x4x4_16b_f16 a[4:7], v[66:67], v[32:33], a[4:7] cbsz:4 abid:1
	v_mfma_f32_4x4x4_16b_f16 a[0:3], v[66:67], v[4:5], a[0:3] cbsz:4 abid:3
	s_waitcnt vmcnt(10)
	v_mfma_f32_4x4x4_16b_f16 a[4:7], v[66:67], v[34:35], a[4:7] cbsz:4 abid:2
	v_mfma_f32_4x4x4_16b_f16 a[0:3], v[66:67], v[6:7], a[0:3] cbsz:4 abid:4
	s_nop 0
	v_mfma_f32_4x4x4_16b_f16 a[4:7], v[66:67], v[36:37], a[4:7] cbsz:4 abid:3
	v_mfma_f32_4x4x4_16b_f16 a[0:3], v[66:67], v[8:9], a[0:3] cbsz:4 abid:5
	v_mad_u32_u24 v9, v1, 40, v71
	s_waitcnt vmcnt(9)
	v_mfma_f32_4x4x4_16b_f16 a[4:7], v[66:67], v[42:43], a[4:7] cbsz:4 abid:4
	v_mfma_f32_4x4x4_16b_f16 a[0:3], v[66:67], v[10:11], a[0:3] cbsz:4 abid:6
	s_nop 0
	v_mfma_f32_4x4x4_16b_f16 a[4:7], v[66:67], v[44:45], a[4:7] cbsz:4 abid:5
	v_mfma_f32_4x4x4_16b_f16 a[0:3], v[66:67], v[12:13], a[0:3] cbsz:4 abid:7
	s_waitcnt vmcnt(8)
	v_mfma_f32_4x4x4_16b_f16 a[4:7], v[66:67], v[46:47], a[4:7] cbsz:4 abid:6
	s_waitcnt vmcnt(7)
	v_mfma_f32_4x4x4_16b_f16 a[0:3], v[66:67], v[18:19], a[0:3] cbsz:4 abid:8
	v_mfma_f32_4x4x4_16b_f16 a[4:7], v[66:67], v[48:49], a[4:7] cbsz:4 abid:7
	s_nop 0
	v_mfma_f32_4x4x4_16b_f16 a[0:3], v[66:67], v[20:21], a[0:3] cbsz:4 abid:9
	s_waitcnt vmcnt(3)
	v_mfma_f32_4x4x4_16b_f16 a[4:7], v[66:67], v[54:55], a[4:7] cbsz:4 abid:8
	v_mfma_f32_4x4x4_16b_f16 a[0:3], v[66:67], v[22:23], a[0:3] cbsz:4 abid:10
	s_nop 0
	v_mfma_f32_4x4x4_16b_f16 a[4:7], v[66:67], v[56:57], a[4:7] cbsz:4 abid:9
	v_mfma_f32_4x4x4_16b_f16 a[0:3], v[66:67], v[24:25], a[0:3] cbsz:4 abid:11
	s_waitcnt vmcnt(2)
	v_mfma_f32_4x4x4_16b_f16 a[4:7], v[66:67], v[62:63], a[4:7] cbsz:4 abid:10
	v_mfma_f32_4x4x4_16b_f16 a[0:3], v[66:67], v[26:27], a[0:3] cbsz:4 abid:12
	s_nop 0
	v_mfma_f32_4x4x4_16b_f16 a[4:7], v[66:67], v[64:65], a[4:7] cbsz:4 abid:11
	;; [unrolled: 6-line block ×3, first 2 shown]
	s_nop 4
	v_accvgpr_read_b32 v2, a0
	v_accvgpr_read_b32 v3, a1
	;; [unrolled: 1-line block ×4, first 2 shown]
	v_mfma_f32_4x4x4_16b_f16 a[0:3], v[66:67], v[52:53], a[4:7] cbsz:4 abid:13
	v_cvt_f16_f32_e32 v2, v2
	v_cvt_f16_f32_e32 v3, v3
	s_waitcnt vmcnt(0)
	v_mfma_f32_4x4x4_16b_f16 a[0:3], v[66:67], v[58:59], a[0:3] cbsz:4 abid:14
	v_pack_b32_f16 v2, v2, v3
	s_nop 0
	v_mfma_f32_4x4x4_16b_f16 a[0:3], v[66:67], v[60:61], a[0:3] cbsz:4 abid:15
	v_cvt_f16_f32_e32 v3, v4
	v_cvt_f16_f32_e32 v4, v5
	v_pack_b32_f16 v3, v3, v4
	s_nop 1
	v_accvgpr_read_b32 v5, a0
	v_accvgpr_read_b32 v6, a1
	;; [unrolled: 1-line block ×4, first 2 shown]
	v_cvt_f16_f32_e32 v5, v5
	v_cvt_f16_f32_e32 v6, v6
	;; [unrolled: 1-line block ×4, first 2 shown]
	v_pack_b32_f16 v4, v5, v6
	v_pack_b32_f16 v5, v7, v8
	ds_write2st64_b64 v9, v[2:3], v[4:5] offset1:5
.LBB305_25:
	s_or_b64 exec, exec, s[2:3]
	v_cmp_gt_u32_e32 vcc, 64, v0
	s_waitcnt lgkmcnt(0)
	s_barrier
	s_and_saveexec_b64 s[2:3], vcc
	s_cbranch_execz .LBB305_27
; %bb.26:
	s_waitcnt vmcnt(13)
	v_mul_u32_u24_e32 v6, 40, v1
	ds_read2_b64 v[2:5], v6 offset1:1
	s_mov_b32 s1, 0
	s_waitcnt lgkmcnt(0)
	v_mov_b32_e32 v3, 0xa00
	s_lshl_b32 s0, s0, 7
	ds_read2_b64 v[6:9], v6 offset0:2 offset1:3
	v_mad_u32_u24 v3, v1, 40, v3
	v_pk_add_f16 v2, v2, 0
	s_lshl_b64 s[2:3], s[0:1], 1
	s_waitcnt lgkmcnt(0)
	v_pk_add_f16 v7, v2, v4
	v_mov_b32_e32 v9, 0xa10
	ds_read2_b64 v[2:5], v3 offset1:1
	s_add_u32 s2, s18, s2
	v_mad_u32_u24 v1, v1, 40, v9
	s_waitcnt vmcnt(12)
	ds_read2_b64 v[10:13], v1 offset1:1
	s_addc_u32 s3, s19, s3
	s_lshl_b32 s0, s16, 7
	s_lshl_b64 s[0:1], s[0:1], 1
	s_add_u32 s0, s2, s0
	v_pk_add_f16 v1, v7, v6
	s_addc_u32 s1, s3, s1
	s_lshl_b32 s2, s33, 7
	v_pk_add_f16 v6, v1, v8
	s_waitcnt lgkmcnt(1)
	v_pk_add_f16 v1, v2, 0
	s_mul_i32 s3, s2, s34
	v_pk_add_f16 v1, v1, v4
	v_or_b32_e32 v2, s3, v0
	v_mov_b32_e32 v3, 0
	s_add_i32 s3, s3, s2
	s_waitcnt lgkmcnt(0)
	v_pk_add_f16 v1, v1, v10
	v_lshl_add_u64 v[4:5], v[2:3], 1, s[0:1]
	v_or_b32_e32 v2, s3, v0
	v_pk_add_f16 v7, v1, v12
	v_lshl_add_u64 v[0:1], v[2:3], 1, s[0:1]
	global_store_short v[4:5], v6, off
	global_store_short_d16_hi v[0:1], v6, off
	global_store_short v[4:5], v7, off offset:128
	global_store_short_d16_hi v[0:1], v7, off offset:128
.LBB305_27:
	s_endpgm
	.section	.rodata,"a",@progbits
	.p2align	6, 0x0
	.amdhsa_kernel _Z38paged_attention_ll4mi_QKV_mfma4_kernelIDF16_DF16_LN4vllm18Fp8KVCacheDataTypeE0EhLi32ELi128ELi256ELb1ELi2EEvPKT_PKT0_S7_ifPKiS9_S9_iPKfiiiPfSC_PS2_PT2_iSB_SB_
		.amdhsa_group_segment_fixed_size 5280
		.amdhsa_private_segment_fixed_size 0
		.amdhsa_kernarg_size 400
		.amdhsa_user_sgpr_count 2
		.amdhsa_user_sgpr_dispatch_ptr 0
		.amdhsa_user_sgpr_queue_ptr 0
		.amdhsa_user_sgpr_kernarg_segment_ptr 1
		.amdhsa_user_sgpr_dispatch_id 0
		.amdhsa_user_sgpr_kernarg_preload_length 0
		.amdhsa_user_sgpr_kernarg_preload_offset 0
		.amdhsa_user_sgpr_private_segment_size 0
		.amdhsa_uses_dynamic_stack 0
		.amdhsa_enable_private_segment 0
		.amdhsa_system_sgpr_workgroup_id_x 1
		.amdhsa_system_sgpr_workgroup_id_y 1
		.amdhsa_system_sgpr_workgroup_id_z 1
		.amdhsa_system_sgpr_workgroup_info 0
		.amdhsa_system_vgpr_workitem_id 0
		.amdhsa_next_free_vgpr 96
		.amdhsa_next_free_sgpr 40
		.amdhsa_accum_offset 88
		.amdhsa_reserve_vcc 1
		.amdhsa_float_round_mode_32 0
		.amdhsa_float_round_mode_16_64 0
		.amdhsa_float_denorm_mode_32 3
		.amdhsa_float_denorm_mode_16_64 3
		.amdhsa_dx10_clamp 1
		.amdhsa_ieee_mode 1
		.amdhsa_fp16_overflow 0
		.amdhsa_tg_split 0
		.amdhsa_exception_fp_ieee_invalid_op 0
		.amdhsa_exception_fp_denorm_src 0
		.amdhsa_exception_fp_ieee_div_zero 0
		.amdhsa_exception_fp_ieee_overflow 0
		.amdhsa_exception_fp_ieee_underflow 0
		.amdhsa_exception_fp_ieee_inexact 0
		.amdhsa_exception_int_div_zero 0
	.end_amdhsa_kernel
	.section	.text._Z38paged_attention_ll4mi_QKV_mfma4_kernelIDF16_DF16_LN4vllm18Fp8KVCacheDataTypeE0EhLi32ELi128ELi256ELb1ELi2EEvPKT_PKT0_S7_ifPKiS9_S9_iPKfiiiPfSC_PS2_PT2_iSB_SB_,"axG",@progbits,_Z38paged_attention_ll4mi_QKV_mfma4_kernelIDF16_DF16_LN4vllm18Fp8KVCacheDataTypeE0EhLi32ELi128ELi256ELb1ELi2EEvPKT_PKT0_S7_ifPKiS9_S9_iPKfiiiPfSC_PS2_PT2_iSB_SB_,comdat
.Lfunc_end305:
	.size	_Z38paged_attention_ll4mi_QKV_mfma4_kernelIDF16_DF16_LN4vllm18Fp8KVCacheDataTypeE0EhLi32ELi128ELi256ELb1ELi2EEvPKT_PKT0_S7_ifPKiS9_S9_iPKfiiiPfSC_PS2_PT2_iSB_SB_, .Lfunc_end305-_Z38paged_attention_ll4mi_QKV_mfma4_kernelIDF16_DF16_LN4vllm18Fp8KVCacheDataTypeE0EhLi32ELi128ELi256ELb1ELi2EEvPKT_PKT0_S7_ifPKiS9_S9_iPKfiiiPfSC_PS2_PT2_iSB_SB_
                                        ; -- End function
	.section	.AMDGPU.csdata,"",@progbits
; Kernel info:
; codeLenInByte = 3892
; NumSgprs: 46
; NumVgprs: 88
; NumAgprs: 8
; TotalNumVgprs: 96
; ScratchSize: 0
; MemoryBound: 0
; FloatMode: 240
; IeeeMode: 1
; LDSByteSize: 5280 bytes/workgroup (compile time only)
; SGPRBlocks: 5
; VGPRBlocks: 11
; NumSGPRsForWavesPerEU: 46
; NumVGPRsForWavesPerEU: 96
; AccumOffset: 88
; Occupancy: 5
; WaveLimiterHint : 1
; COMPUTE_PGM_RSRC2:SCRATCH_EN: 0
; COMPUTE_PGM_RSRC2:USER_SGPR: 2
; COMPUTE_PGM_RSRC2:TRAP_HANDLER: 0
; COMPUTE_PGM_RSRC2:TGID_X_EN: 1
; COMPUTE_PGM_RSRC2:TGID_Y_EN: 1
; COMPUTE_PGM_RSRC2:TGID_Z_EN: 1
; COMPUTE_PGM_RSRC2:TIDIG_COMP_CNT: 0
; COMPUTE_PGM_RSRC3_GFX90A:ACCUM_OFFSET: 21
; COMPUTE_PGM_RSRC3_GFX90A:TG_SPLIT: 0
	.section	.text._Z38paged_attention_ll4mi_QKV_mfma4_kernelIDF16_DF16_LN4vllm18Fp8KVCacheDataTypeE0EhLi32ELi128ELi256ELb1ELi3EEvPKT_PKT0_S7_ifPKiS9_S9_iPKfiiiPfSC_PS2_PT2_iSB_SB_,"axG",@progbits,_Z38paged_attention_ll4mi_QKV_mfma4_kernelIDF16_DF16_LN4vllm18Fp8KVCacheDataTypeE0EhLi32ELi128ELi256ELb1ELi3EEvPKT_PKT0_S7_ifPKiS9_S9_iPKfiiiPfSC_PS2_PT2_iSB_SB_,comdat
	.protected	_Z38paged_attention_ll4mi_QKV_mfma4_kernelIDF16_DF16_LN4vllm18Fp8KVCacheDataTypeE0EhLi32ELi128ELi256ELb1ELi3EEvPKT_PKT0_S7_ifPKiS9_S9_iPKfiiiPfSC_PS2_PT2_iSB_SB_ ; -- Begin function _Z38paged_attention_ll4mi_QKV_mfma4_kernelIDF16_DF16_LN4vllm18Fp8KVCacheDataTypeE0EhLi32ELi128ELi256ELb1ELi3EEvPKT_PKT0_S7_ifPKiS9_S9_iPKfiiiPfSC_PS2_PT2_iSB_SB_
	.globl	_Z38paged_attention_ll4mi_QKV_mfma4_kernelIDF16_DF16_LN4vllm18Fp8KVCacheDataTypeE0EhLi32ELi128ELi256ELb1ELi3EEvPKT_PKT0_S7_ifPKiS9_S9_iPKfiiiPfSC_PS2_PT2_iSB_SB_
	.p2align	8
	.type	_Z38paged_attention_ll4mi_QKV_mfma4_kernelIDF16_DF16_LN4vllm18Fp8KVCacheDataTypeE0EhLi32ELi128ELi256ELb1ELi3EEvPKT_PKT0_S7_ifPKiS9_S9_iPKfiiiPfSC_PS2_PT2_iSB_SB_,@function
_Z38paged_attention_ll4mi_QKV_mfma4_kernelIDF16_DF16_LN4vllm18Fp8KVCacheDataTypeE0EhLi32ELi128ELi256ELb1ELi3EEvPKT_PKT0_S7_ifPKiS9_S9_iPKfiiiPfSC_PS2_PT2_iSB_SB_: ; @_Z38paged_attention_ll4mi_QKV_mfma4_kernelIDF16_DF16_LN4vllm18Fp8KVCacheDataTypeE0EhLi32ELi128ELi256ELb1ELi3EEvPKT_PKT0_S7_ifPKiS9_S9_iPKfiiiPfSC_PS2_PT2_iSB_SB_
; %bb.0:
	s_load_dwordx2 s[8:9], s[0:1], 0x30
	s_mov_b32 s16, s3
	s_mov_b64 s[6:7], 0
	s_waitcnt lgkmcnt(0)
	s_cmp_lg_u64 s[8:9], 0
	s_cselect_b64 s[10:11], -1, 0
	s_and_b64 vcc, exec, s[10:11]
	s_cbranch_vccz .LBB306_10
; %bb.1:
	s_add_i32 s12, s2, 1
	s_mov_b32 s13, 0
	s_lshl_b64 s[14:15], s[12:13], 2
	s_add_u32 s14, s8, s14
	s_mov_b32 s3, s13
	s_addc_u32 s15, s9, s15
	s_lshl_b64 s[12:13], s[2:3], 2
	s_add_u32 s12, s8, s12
	s_addc_u32 s13, s9, s13
	s_load_dword s5, s[14:15], 0x0
	s_load_dword s17, s[12:13], 0x0
	s_waitcnt lgkmcnt(0)
	s_sub_i32 s5, s5, s17
	s_cmp_eq_u32 s5, 1
	s_cselect_b64 s[12:13], -1, 0
	s_andn2_b64 vcc, exec, s[6:7]
	s_cbranch_vccnz .LBB306_3
.LBB306_2:
	s_mov_b32 s3, 0
	s_mov_b64 s[12:13], -1
.LBB306_3:
	s_andn2_b64 vcc, exec, s[12:13]
	s_cbranch_vccnz .LBB306_27
; %bb.4:
	s_load_dword s5, s[0:1], 0x9c
	s_load_dwordx2 s[6:7], s[0:1], 0x28
	s_add_u32 s20, s0, 0x90
	s_addc_u32 s21, s1, 0
	s_lshl_b64 s[24:25], s[2:3], 2
	s_waitcnt lgkmcnt(0)
	s_and_b32 s5, s5, 0xffff
	s_add_u32 s6, s6, s24
	s_addc_u32 s7, s7, s25
	s_load_dword s3, s[6:7], 0x0
	s_mul_i32 s5, s16, s5
	s_waitcnt lgkmcnt(0)
	s_cmp_ge_i32 s5, s3
	s_cbranch_scc1 .LBB306_27
; %bb.5:
	v_and_b32_e32 v1, 0xc0, v0
	v_add_u32_e32 v2, s5, v1
	v_lshrrev_b32_e32 v84, 6, v0
	v_cmp_le_i32_e64 s[6:7], s3, v2
                                        ; implicit-def: $sgpr26
                                        ; implicit-def: $sgpr17
	s_and_saveexec_b64 s[12:13], s[6:7]
	s_xor_b64 s[12:13], exec, s[12:13]
	s_cbranch_execz .LBB306_7
; %bb.6:
	v_mul_u32_u24_e32 v1, 20, v84
	v_or_b32_e32 v1, 0x1400, v1
	v_mov_b32_e32 v2, 0x1450
	v_mov_b32_e32 v3, 0xff7fffff
	v_mad_u32_u24 v2, v84, 20, v2
	ds_write2_b32 v1, v3, v3 offset1:1
	v_mov_b32_e32 v1, 0
	ds_write2_b32 v2, v1, v1 offset1:1
	v_mov_b32_e32 v2, 0x1408
	s_mov_b32 s17, 0xff7fffff
	s_mov_b32 s26, 0
	v_mad_u32_u24 v2, v84, 20, v2
	v_mov_b32_e32 v4, 0x1458
	v_mad_u32_u24 v4, v84, 20, v4
	ds_write2_b32 v2, v3, v3 offset1:1
	ds_write2_b32 v4, v1, v1 offset1:1
                                        ; implicit-def: $vgpr2
.LBB306_7:
	s_or_saveexec_b64 s[22:23], s[12:13]
	s_load_dwordx2 s[18:19], s[0:1], 0x68
	s_load_dwordx4 s[12:15], s[0:1], 0x58
	s_load_dword s33, s[20:21], 0x4
	v_and_b32_e32 v1, 63, v0
	v_and_b32_e32 v85, 3, v0
	s_mul_i32 s34, s4, 3
	v_mov_b32_e32 v69, s26
	v_mov_b32_e32 v70, s17
	;; [unrolled: 1-line block ×5, first 2 shown]
                                        ; implicit-def: $vgpr15
                                        ; implicit-def: $vgpr3
                                        ; implicit-def: $vgpr7
                                        ; implicit-def: $vgpr11
                                        ; implicit-def: $vgpr19
                                        ; implicit-def: $vgpr23
                                        ; implicit-def: $vgpr27
                                        ; implicit-def: $vgpr39
                                        ; implicit-def: $vgpr31
                                        ; implicit-def: $vgpr35
                                        ; implicit-def: $vgpr43
                                        ; implicit-def: $vgpr47
                                        ; implicit-def: $vgpr51
                                        ; implicit-def: $vgpr55
                                        ; implicit-def: $vgpr59
                                        ; implicit-def: $vgpr63
	s_xor_b64 exec, exec, s[22:23]
	s_cbranch_execz .LBB306_19
; %bb.8:
	s_add_i32 s28, s3, 31
	s_ashr_i32 s29, s28, 31
	s_lshr_b32 s29, s29, 27
	v_add_u32_e32 v86, s5, v0
	s_add_i32 s28, s28, s29
	v_ashrrev_i32_e32 v3, 31, v86
	s_load_dwordx2 s[26:27], s[0:1], 0x20
	s_load_dword s17, s[0:1], 0x38
	s_ashr_i32 s28, s28, 5
	v_lshrrev_b32_e32 v3, 27, v3
	s_add_i32 s30, s28, -1
	v_add_u32_e32 v3, v86, v3
	v_ashrrev_i32_e32 v3, 5, v3
	v_mov_b32_e32 v4, s30
	v_cmp_gt_i32_e32 vcc, s3, v86
	s_waitcnt lgkmcnt(0)
	s_mul_i32 s28, s2, s17
	s_mov_b32 s29, 0
	v_cndmask_b32_e32 v4, v4, v3, vcc
	v_ashrrev_i32_e32 v3, 31, v2
	v_lshrrev_b32_e32 v3, 27, v3
	v_add_u32_e32 v2, v2, v3
	s_lshl_b64 s[28:29], s[28:29], 2
	v_ashrrev_i32_e32 v8, 5, v2
	s_add_u32 s26, s26, s28
	v_min_i32_e32 v2, s30, v8
	s_addc_u32 s27, s27, s29
	v_ashrrev_i32_e32 v3, 31, v2
	v_lshl_add_u64 v[6:7], v[2:3], 2, s[26:27]
	v_add_u32_e32 v2, 1, v8
	v_ashrrev_i32_e32 v5, 31, v4
	v_min_i32_e32 v2, s30, v2
	v_lshl_add_u64 v[4:5], v[4:5], 2, s[26:27]
	v_ashrrev_i32_e32 v3, 31, v2
	v_lshl_add_u64 v[8:9], v[2:3], 2, s[26:27]
	global_load_dword v2, v[4:5], off
	global_load_dword v34, v[6:7], off
	;; [unrolled: 1-line block ×3, first 2 shown]
	s_load_dwordx2 s[26:27], s[0:1], 0x8
	s_andn2_b64 vcc, exec, s[10:11]
	s_cbranch_vccnz .LBB306_11
; %bb.9:
	s_add_u32 s8, s8, s24
	s_addc_u32 s9, s9, s25
	s_load_dword s5, s[8:9], 0x0
	s_branch .LBB306_12
.LBB306_10:
	s_mov_b64 s[12:13], 0
	s_branch .LBB306_2
.LBB306_11:
	s_mov_b32 s5, s2
.LBB306_12:
	s_load_dwordx2 s[24:25], s[0:1], 0x10
	s_load_dwordx4 s[8:11], s[0:1], 0x48
	v_cmp_ne_u32_e32 vcc, 3, v85
	s_mov_b32 s29, 0
	v_mov_b32_e32 v81, 0
	v_mov_b32_e32 v56, 0
	;; [unrolled: 1-line block ×5, first 2 shown]
	s_and_saveexec_b64 s[30:31], vcc
	s_cbranch_execz .LBB306_14
; %bb.13:
	s_load_dwordx2 s[36:37], s[0:1], 0x0
	s_waitcnt lgkmcnt(0)
	s_ashr_i32 s11, s8, 31
	s_mul_hi_u32 s17, s5, s8
	s_mul_i32 s11, s5, s11
	s_add_i32 s39, s17, s11
	s_mul_i32 s38, s5, s8
	s_lshl_b64 s[38:39], s[38:39], 1
	s_add_u32 s5, s36, s38
	s_mul_i32 s28, s4, 0x180
	s_addc_u32 s8, s37, s39
	s_lshl_b64 s[36:37], s[28:29], 1
	v_lshlrev_b32_e32 v3, 2, v1
	s_add_u32 s36, s5, s36
	v_and_b32_e32 v3, 0xf0, v3
	s_addc_u32 s37, s8, s37
	v_lshl_or_b32 v3, v85, 8, v3
	global_load_dwordx4 v[56:59], v3, s[36:37]
.LBB306_14:
	s_or_b64 exec, exec, s[30:31]
	s_waitcnt lgkmcnt(0)
	s_mul_i32 s28, s4, s10
	s_lshl_b64 s[4:5], s[28:29], 1
	s_add_u32 s10, s4, s26
	s_waitcnt vmcnt(2)
	v_mad_i64_i32 v[2:3], s[30:31], v2, s9, 0
	s_addc_u32 s11, s5, s27
	v_lshl_add_u64 v[44:45], v[2:3], 1, s[10:11]
	v_and_b32_e32 v2, 31, v0
	v_lshlrev_b32_e32 v80, 4, v2
	v_lshl_add_u64 v[22:23], v[44:45], 0, v[80:81]
	global_load_dwordx4 v[40:43], v[22:23], off
	global_load_dwordx4 v[30:33], v[22:23], off offset:512
	global_load_dwordx4 v[14:17], v[22:23], off offset:1024
	;; [unrolled: 1-line block ×7, first 2 shown]
	v_or_b32_e32 v22, 0x1000, v80
	v_mov_b32_e32 v23, v81
	v_lshl_add_u64 v[46:47], v[44:45], 0, v[22:23]
	v_or_b32_e32 v22, 0x1200, v80
	v_lshl_add_u64 v[48:49], v[44:45], 0, v[22:23]
	global_load_dwordx4 v[36:39], v[46:47], off
	global_load_dwordx4 v[22:25], v[48:49], off
	v_or_b32_e32 v46, 0x1400, v80
	v_mov_b32_e32 v47, v81
	v_lshl_add_u64 v[46:47], v[44:45], 0, v[46:47]
	v_or_b32_e32 v48, 0x1600, v80
	v_mov_b32_e32 v49, v81
	v_lshl_add_u64 v[48:49], v[44:45], 0, v[48:49]
	global_load_dwordx4 v[60:63], v[46:47], off
	global_load_dwordx4 v[50:53], v[48:49], off
	v_or_b32_e32 v46, 0x1800, v80
	v_mov_b32_e32 v47, v81
	v_lshl_add_u64 v[46:47], v[44:45], 0, v[46:47]
	v_or_b32_e32 v48, 0x1a00, v80
	v_mov_b32_e32 v49, v81
	v_or_b32_e32 v80, 0x1c00, v80
	v_mov_b32_e32 v35, 0x1e00
	v_lshl_add_u64 v[48:49], v[44:45], 0, v[48:49]
	global_load_dwordx4 v[72:75], v[46:47], off
	global_load_dwordx4 v[64:67], v[48:49], off
	v_lshl_add_u64 v[46:47], v[44:45], 0, v[80:81]
	v_lshl_or_b32 v80, v0, 4, v35
	v_lshl_add_u64 v[44:45], v[44:45], 0, v[80:81]
	global_load_dwordx4 v[76:79], v[46:47], off
	global_load_dwordx4 v[68:71], v[44:45], off
	v_mov_b32_e32 v83, 1.0
	s_and_saveexec_b64 s[10:11], vcc
	s_cbranch_execz .LBB306_16
; %bb.15:
	s_load_dwordx2 s[26:27], s[0:1], 0x40
	v_add_u32_e32 v82, s34, v85
	v_mov_b32_e32 v83, 0
	s_waitcnt lgkmcnt(0)
	v_lshl_add_u64 v[44:45], v[82:83], 2, s[26:27]
	global_load_dword v81, v[44:45], off
.LBB306_16:
	s_or_b64 exec, exec, s[10:11]
	s_waitcnt vmcnt(15)
	v_mfma_f32_4x4x4_16b_f16 a[0:3], v[56:57], v[40:41], 0 cbsz:4
	v_mul_hi_i32 v35, v34, s9
	s_load_dword s0, s[0:1], 0x1c
	v_mfma_f32_4x4x4_16b_f16 a[0:3], v[58:59], v[42:43], a[0:3] cbsz:4
	v_mov_b32_e32 v41, 0
	s_add_u32 s4, s24, s4
	s_waitcnt vmcnt(14)
	v_mfma_f32_4x4x4_16b_f16 a[0:3], v[56:57], v[30:31], a[0:3] cbsz:4 abid:1
	v_ashrrev_i32_e32 v30, 31, v35
	v_lshrrev_b32_e32 v40, 29, v30
	v_mfma_f32_4x4x4_16b_f16 a[0:3], v[58:59], v[32:33], a[0:3] cbsz:4 abid:1
	s_addc_u32 s5, s25, s5
	v_mov_b32_e32 v89, v41
	s_waitcnt vmcnt(13)
	v_mfma_f32_4x4x4_16b_f16 a[0:3], v[56:57], v[14:15], a[0:3] cbsz:4 abid:2
	v_mad_i64_i32 v[14:15], s[10:11], v34, s9, v[40:41]
	s_nop 0
	v_mfma_f32_4x4x4_16b_f16 a[0:3], v[58:59], v[16:17], a[0:3] cbsz:4 abid:2
	v_lshlrev_b32_e32 v40, 6, v1
	v_or_b32_e32 v88, 0x1000, v40
	s_waitcnt vmcnt(12)
	v_mfma_f32_4x4x4_16b_f16 a[0:3], v[56:57], v[10:11], a[0:3] cbsz:4 abid:3
	v_lshlrev_b64 v[10:11], 1, v[14:15]
	v_and_b32_e32 v10, -16, v10
	v_mfma_f32_4x4x4_16b_f16 a[0:3], v[58:59], v[12:13], a[0:3] cbsz:4 abid:3
	v_lshl_add_u64 v[30:31], s[4:5], 0, v[10:11]
	v_lshl_add_u64 v[32:33], v[30:31], 0, v[40:41]
	s_waitcnt vmcnt(11)
	v_mfma_f32_4x4x4_16b_f16 a[0:3], v[56:57], v[6:7], a[0:3] cbsz:4 abid:4
	v_cmp_eq_u32_e32 vcc, 0, v85
	s_nop 0
	v_mfma_f32_4x4x4_16b_f16 a[0:3], v[58:59], v[8:9], a[0:3] cbsz:4 abid:4
	s_waitcnt vmcnt(10)
	s_nop 0
	v_mfma_f32_4x4x4_16b_f16 a[0:3], v[56:57], v[2:3], a[0:3] cbsz:4 abid:5
	s_nop 1
	v_mfma_f32_4x4x4_16b_f16 a[0:3], v[58:59], v[4:5], a[0:3] cbsz:4 abid:5
	global_load_dwordx4 v[14:17], v[32:33], off
	global_load_dwordx4 v[2:5], v[32:33], off offset:16
	s_waitcnt vmcnt(11)
	v_mfma_f32_4x4x4_16b_f16 a[0:3], v[56:57], v[26:27], a[0:3] cbsz:4 abid:6
	global_load_dwordx4 v[6:9], v[32:33], off offset:32
	global_load_dwordx4 v[10:13], v[32:33], off offset:48
	v_mfma_f32_4x4x4_16b_f16 a[0:3], v[58:59], v[28:29], a[0:3] cbsz:4 abid:6
	s_waitcnt vmcnt(12)
	s_nop 0
	v_mfma_f32_4x4x4_16b_f16 a[0:3], v[56:57], v[18:19], a[0:3] cbsz:4 abid:7
	v_lshl_add_u64 v[18:19], v[30:31], 0, v[88:89]
	s_nop 0
	v_mfma_f32_4x4x4_16b_f16 a[0:3], v[58:59], v[20:21], a[0:3] cbsz:4 abid:7
	s_waitcnt vmcnt(11)
	s_nop 0
	v_mfma_f32_4x4x4_16b_f16 a[0:3], v[56:57], v[36:37], a[0:3] cbsz:4 abid:8
	global_load_dwordx4 v[30:33], v[18:19], off
	global_load_dwordx4 v[34:37], v[18:19], off offset:16
	v_mfma_f32_4x4x4_16b_f16 a[0:3], v[58:59], v[38:39], a[0:3] cbsz:4 abid:8
	global_load_dwordx4 v[42:45], v[18:19], off offset:32
	global_load_dwordx4 v[46:49], v[18:19], off offset:48
	s_waitcnt vmcnt(14)
	v_mfma_f32_4x4x4_16b_f16 a[0:3], v[56:57], v[22:23], a[0:3] cbsz:4 abid:9
	v_mul_hi_i32 v18, v54, s9
	v_ashrrev_i32_e32 v18, 31, v18
	v_mfma_f32_4x4x4_16b_f16 a[0:3], v[58:59], v[24:25], a[0:3] cbsz:4 abid:9
	v_lshrrev_b32_e32 v18, 29, v18
	v_mov_b32_e32 v19, v41
	s_waitcnt vmcnt(13)
	v_mfma_f32_4x4x4_16b_f16 a[0:3], v[56:57], v[60:61], a[0:3] cbsz:4 abid:10
	v_mad_i64_i32 v[18:19], s[8:9], v54, s9, v[18:19]
	s_nop 0
	v_mfma_f32_4x4x4_16b_f16 a[0:3], v[58:59], v[62:63], a[0:3] cbsz:4 abid:10
	v_lshlrev_b64 v[18:19], 1, v[18:19]
	v_and_b32_e32 v18, -16, v18
	s_waitcnt vmcnt(12)
	v_mfma_f32_4x4x4_16b_f16 a[0:3], v[56:57], v[50:51], a[0:3] cbsz:4 abid:11
	v_lshl_add_u64 v[50:51], s[4:5], 0, v[18:19]
	s_nop 0
	v_mfma_f32_4x4x4_16b_f16 a[0:3], v[58:59], v[52:53], a[0:3] cbsz:4 abid:11
	v_lshl_add_u64 v[52:53], v[50:51], 0, v[40:41]
	global_load_dwordx4 v[18:21], v[52:53], off
	global_load_dwordx4 v[22:25], v[52:53], off offset:16
	s_waitcnt vmcnt(13)
	v_mfma_f32_4x4x4_16b_f16 a[0:3], v[56:57], v[72:73], a[0:3] cbsz:4 abid:12
	global_load_dwordx4 v[26:29], v[52:53], off offset:32
	global_load_dwordx4 v[38:41], v[52:53], off offset:48
	v_mfma_f32_4x4x4_16b_f16 a[0:3], v[58:59], v[74:75], a[0:3] cbsz:4 abid:12
	v_mov_b32_e32 v73, 0xff7fffff
	s_waitcnt vmcnt(14)
	v_mfma_f32_4x4x4_16b_f16 a[0:3], v[56:57], v[64:65], a[0:3] cbsz:4 abid:13
	s_nop 1
	v_mfma_f32_4x4x4_16b_f16 a[0:3], v[58:59], v[66:67], a[0:3] cbsz:4 abid:13
	v_lshl_add_u64 v[66:67], v[50:51], 0, v[88:89]
	s_waitcnt vmcnt(13)
	v_mfma_f32_4x4x4_16b_f16 a[0:3], v[56:57], v[76:77], a[0:3] cbsz:4 abid:14
	s_nop 1
	v_mfma_f32_4x4x4_16b_f16 a[0:3], v[58:59], v[78:79], a[0:3] cbsz:4 abid:14
	s_waitcnt vmcnt(12)
	s_nop 0
	v_mfma_f32_4x4x4_16b_f16 a[0:3], v[56:57], v[68:69], a[0:3] cbsz:4 abid:15
	global_load_dwordx4 v[50:53], v[66:67], off
	global_load_dwordx4 v[54:57], v[66:67], off offset:16
	v_mfma_f32_4x4x4_16b_f16 a[0:3], v[58:59], v[70:71], a[0:3] cbsz:4 abid:15
	s_nop 4
	v_accvgpr_read_b32 v61, a1
	v_accvgpr_read_b32 v60, a0
	s_waitcnt lgkmcnt(0)
	v_pk_mul_f32 v[60:61], s[0:1], v[60:61] op_sel_hi:[0,1]
	v_accvgpr_read_b32 v59, a3
	v_accvgpr_read_b32 v58, a2
	v_pk_mul_f32 v[68:69], s[0:1], v[58:59] op_sel_hi:[0,1]
	v_cndmask_b32_e64 v58, 0, 1.0, vcc
	v_cmp_eq_u32_e32 vcc, 1, v85
	s_nop 0
	v_mfma_f32_4x4x1_16b_f32 a[0:3], v60, v58, 0
	v_cndmask_b32_e64 v58, 0, 1.0, vcc
	v_cmp_eq_u32_e32 vcc, 2, v85
	s_nop 0
	v_mfma_f32_4x4x1_16b_f32 a[0:3], v61, v58, a[0:3]
	v_cndmask_b32_e64 v58, 0, 1.0, vcc
	s_nop 1
	v_mfma_f32_4x4x1_16b_f32 a[0:3], v68, v58, a[0:3]
	global_load_dwordx4 v[58:61], v[66:67], off offset:32
	global_load_dwordx4 v[62:65], v[66:67], off offset:48
	v_and_b32_e32 v66, -4, v86
	v_subrev_u32_e32 v67, s3, v66
	v_add_u32_e32 v68, 1, v67
	v_mfma_f32_4x4x1_16b_f32 a[0:3], v69, v83, a[0:3]
	v_cvt_f32_i32_e32 v68, v68
	v_add_u32_e32 v69, 2, v67
	v_cvt_f32_i32_e32 v69, v69
	v_cmp_gt_i32_e32 vcc, s3, v66
	v_accvgpr_read_b32 v70, a0
	v_fma_f32 v68, v81, v68, v70
	v_accvgpr_read_b32 v70, a1
	v_fma_f32 v69, v81, v69, v70
	v_add_u32_e32 v70, 3, v67
	v_cvt_f32_i32_e32 v70, v70
	v_accvgpr_read_b32 v71, a2
	v_add_u32_e32 v67, 4, v67
	v_cvt_f32_i32_e32 v67, v67
	v_fma_f32 v71, v81, v70, v71
	v_max_f32_e32 v70, 0xff7fffff, v68
	v_cndmask_b32_e32 v70, v73, v70, vcc
	v_or_b32_e32 v73, 1, v66
	v_max_f32_e32 v74, v70, v69
	v_cmp_gt_i32_e64 s[0:1], s3, v73
	v_or_b32_e32 v66, 2, v66
	v_accvgpr_read_b32 v72, a3
	v_cndmask_b32_e64 v70, v70, v74, s[0:1]
	v_max_f32_e32 v73, v70, v71
	v_cmp_gt_i32_e64 s[4:5], s3, v66
	v_fmac_f32_e32 v72, v81, v67
	v_lshlrev_b32_e32 v67, 2, v0
	v_cndmask_b32_e64 v66, v70, v73, s[4:5]
	v_or_b32_e32 v70, 3, v86
	v_max_f32_e32 v73, v66, v72
	v_cmp_gt_i32_e64 s[8:9], s3, v70
	v_and_or_b32 v67, v67, 48, v85
	s_nop 0
	v_cndmask_b32_e64 v66, v66, v73, s[8:9]
	;;#ASMSTART
	v_nop
 v_nop
 v_max_f32_dpp v66, v66, v66 row_ror:4
	;;#ASMEND
	v_lshlrev_b32_e32 v73, 2, v67
	;;#ASMSTART
	v_nop
 v_nop
 v_max_f32_dpp v66, v66, v66 row_ror:8
	;;#ASMEND
	ds_bpermute_b32 v66, v73, v66
	s_waitcnt lgkmcnt(0)
	;;#ASMSTART
	v_nop
 v_nop
 v_max_f32_dpp v66, v66, v66 row_ror:4
	;;#ASMEND
	s_nop 0
	;;#ASMSTART
	v_nop
 v_nop
 v_max_f32_dpp v70, v66, v66 row_ror:8
	;;#ASMEND
	s_nop 0
	v_sub_f32_e32 v66, v68, v70
	v_mul_f32_e32 v66, 0x3fb8aa3b, v66
	v_sub_f32_e32 v67, v69, v70
	v_exp_f32_e32 v66, v66
	v_mul_f32_e32 v67, 0x3fb8aa3b, v67
	v_sub_f32_e32 v69, v71, v70
	v_exp_f32_e32 v67, v67
	;; [unrolled: 3-line block ×3, first 2 shown]
	v_mul_f32_e32 v71, 0x3fb8aa3b, v71
	v_exp_f32_e32 v71, v71
	v_cndmask_b32_e32 v66, 0, v66, vcc
	v_add_f32_e32 v68, 0, v66
	v_cndmask_b32_e64 v67, 0, v67, s[0:1]
	v_add_f32_e32 v72, v68, v67
	v_cndmask_b32_e64 v68, 0, v69, s[4:5]
	;; [unrolled: 2-line block ×3, first 2 shown]
	v_add_f32_e32 v71, v72, v69
	;;#ASMSTART
	v_nop
 v_nop
 v_add_f32_dpp v71, v71, v71 row_ror:4
	;;#ASMEND
	v_cmp_gt_u32_e32 vcc, 4, v1
	;;#ASMSTART
	v_nop
 v_nop
 v_add_f32_dpp v71, v71, v71 row_ror:8
	;;#ASMEND
	ds_bpermute_b32 v71, v73, v71
	s_waitcnt lgkmcnt(0)
	;;#ASMSTART
	v_nop
 v_nop
 v_add_f32_dpp v71, v71, v71 row_ror:4
	;;#ASMEND
	s_nop 0
	;;#ASMSTART
	v_nop
 v_nop
 v_add_f32_dpp v71, v71, v71 row_ror:8
	;;#ASMEND
	s_and_saveexec_b64 s[0:1], vcc
	s_cbranch_execz .LBB306_18
; %bb.17:
	v_mul_u32_u24_e32 v72, 20, v84
	v_lshl_add_u32 v72, v85, 2, v72
	v_add_u32_e32 v72, 0x1400, v72
	ds_write2_b32 v72, v70, v71 offset1:20
.LBB306_18:
	s_or_b64 exec, exec, s[0:1]
.LBB306_19:
	s_or_b64 exec, exec, s[22:23]
	s_waitcnt lgkmcnt(0)
	s_barrier
	s_load_dword s0, s[20:21], 0x8
	v_lshlrev_b32_e32 v71, 2, v85
	v_add_u32_e32 v71, 0x1400, v71
	ds_read2_b32 v[74:75], v71 offset1:5
	ds_read2_b32 v[76:77], v71 offset0:10 offset1:15
	s_mul_i32 s1, s2, s33
	s_waitcnt lgkmcnt(0)
	s_mul_i32 s0, s1, s0
	s_mov_b32 s1, 0xff7fffff
	v_max3_f32 v72, v74, s1, v75
	v_max3_f32 v72, v72, v76, v77
	v_sub_f32_e32 v73, v74, v72
	v_sub_f32_e32 v74, v75, v72
	ds_read2_b32 v[78:79], v71 offset0:20 offset1:25
	v_mul_f32_e32 v73, 0x3fb8aa3b, v73
	v_mul_f32_e32 v74, 0x3fb8aa3b, v74
	v_exp_f32_e32 v73, v73
	v_exp_f32_e32 v80, v74
	ds_read2_b32 v[74:75], v71 offset0:30 offset1:35
	v_sub_f32_e32 v71, v76, v72
	v_mul_f32_e32 v71, 0x3fb8aa3b, v71
	v_sub_f32_e32 v76, v77, v72
	v_exp_f32_e32 v71, v71
	v_mul_f32_e32 v76, 0x3fb8aa3b, v76
	v_exp_f32_e32 v76, v76
	s_waitcnt lgkmcnt(1)
	v_fma_f32 v73, v73, v78, 0
	v_fmac_f32_e32 v73, v80, v79
	s_waitcnt lgkmcnt(0)
	v_fmac_f32_e32 v73, v71, v74
	s_mul_i32 s0, s0, 3
	v_fmac_f32_e32 v73, v76, v75
	v_cmp_ne_u32_e32 vcc, 3, v85
	s_and_saveexec_b64 s[2:3], vcc
	s_cbranch_execz .LBB306_21
; %bb.20:
	s_mov_b32 s1, 0
	s_lshl_b64 s[4:5], s[0:1], 2
	s_add_u32 s10, s12, s4
	s_mov_b32 s17, s1
	s_addc_u32 s11, s13, s5
	s_lshl_b64 s[8:9], s[16:17], 2
	s_add_u32 s10, s10, s8
	s_addc_u32 s11, s11, s9
	s_add_u32 s1, s14, s4
	s_addc_u32 s5, s15, s5
	v_add_u32_e32 v71, s34, v85
	s_add_u32 s4, s1, s8
	v_mul_lo_u32 v74, s33, v71
	v_mov_b32_e32 v75, 0
	s_addc_u32 s5, s5, s9
	v_lshlrev_b64 v[74:75], 2, v[74:75]
	v_lshl_add_u64 v[76:77], s[10:11], 0, v[74:75]
	v_lshl_add_u64 v[74:75], s[4:5], 0, v[74:75]
	global_store_dword v[74:75], v72, off
	global_store_dword v[76:77], v73, off
.LBB306_21:
	s_or_b64 exec, exec, s[2:3]
	v_lshlrev_b32_e32 v71, 3, v84
	s_and_saveexec_b64 s[2:3], s[6:7]
	s_xor_b64 s[2:3], exec, s[2:3]
	s_cbranch_execz .LBB306_23
; %bb.22:
	s_mov_b32 s4, 0
	s_mov_b32 s5, s4
	s_waitcnt vmcnt(14)
	v_mad_u32_u24 v4, v1, 40, v71
	v_mov_b64_e32 v[2:3], s[4:5]
	ds_write2st64_b64 v4, v[2:3], v[2:3] offset1:5
                                        ; implicit-def: $vgpr69
                                        ; implicit-def: $vgpr67
                                        ; implicit-def: $vgpr15
                                        ; implicit-def: $vgpr3
                                        ; implicit-def: $vgpr7
                                        ; implicit-def: $vgpr11
                                        ; implicit-def: $vgpr19
                                        ; implicit-def: $vgpr23
                                        ; implicit-def: $vgpr27
                                        ; implicit-def: $vgpr39
                                        ; implicit-def: $vgpr31
                                        ; implicit-def: $vgpr35
                                        ; implicit-def: $vgpr43
                                        ; implicit-def: $vgpr47
                                        ; implicit-def: $vgpr51
                                        ; implicit-def: $vgpr55
                                        ; implicit-def: $vgpr59
                                        ; implicit-def: $vgpr63
                                        ; implicit-def: $vgpr70
                                        ; implicit-def: $vgpr72
                                        ; implicit-def: $vgpr73
                                        ; implicit-def: $vgpr71
.LBB306_23:
	s_andn2_saveexec_b64 s[2:3], s[2:3]
	s_cbranch_execz .LBB306_25
; %bb.24:
	v_add_f32_e32 v73, 0x358637bd, v73
	v_div_scale_f32 v74, s[4:5], v73, v73, 1.0
	v_rcp_f32_e32 v75, v74
	v_sub_f32_e32 v70, v70, v72
	v_mul_f32_e32 v70, 0x3fb8aa3b, v70
	v_exp_f32_e32 v70, v70
	v_fma_f32 v72, -v74, v75, 1.0
	v_fmac_f32_e32 v75, v72, v75
	v_div_scale_f32 v72, vcc, 1.0, v73, 1.0
	v_mul_f32_e32 v76, v72, v75
	v_fma_f32 v77, -v74, v76, v72
	v_fmac_f32_e32 v76, v77, v75
	v_fma_f32 v72, -v74, v76, v72
	v_div_fmas_f32 v72, v72, v75, v76
	v_div_fixup_f32 v72, v72, v73, 1.0
	v_mul_f32_e32 v70, v70, v72
	v_pk_mul_f32 v[68:69], v[68:69], v[70:71] op_sel_hi:[1,0]
	v_pk_mul_f32 v[66:67], v[66:67], v[70:71] op_sel_hi:[1,0]
	v_cvt_f16_f32_e32 v68, v68
	v_cvt_f16_f32_e32 v66, v66
	;; [unrolled: 1-line block ×4, first 2 shown]
	v_pack_b32_f16 v66, v66, v67
	v_pack_b32_f16 v67, v68, v69
	s_waitcnt vmcnt(15)
	s_nop 0
	v_mfma_f32_4x4x4_16b_f16 a[0:3], v[66:67], v[14:15], 0 cbsz:4
	s_nop 1
	v_mfma_f32_4x4x4_16b_f16 a[0:3], v[66:67], v[16:17], a[0:3] cbsz:4 abid:1
	s_waitcnt vmcnt(11)
	v_mfma_f32_4x4x4_16b_f16 a[4:7], v[66:67], v[30:31], 0 cbsz:4
	v_mfma_f32_4x4x4_16b_f16 a[0:3], v[66:67], v[2:3], a[0:3] cbsz:4 abid:2
	s_nop 0
	v_mfma_f32_4x4x4_16b_f16 a[4:7], v[66:67], v[32:33], a[4:7] cbsz:4 abid:1
	v_mfma_f32_4x4x4_16b_f16 a[0:3], v[66:67], v[4:5], a[0:3] cbsz:4 abid:3
	s_waitcnt vmcnt(10)
	v_mfma_f32_4x4x4_16b_f16 a[4:7], v[66:67], v[34:35], a[4:7] cbsz:4 abid:2
	v_mfma_f32_4x4x4_16b_f16 a[0:3], v[66:67], v[6:7], a[0:3] cbsz:4 abid:4
	s_nop 0
	v_mfma_f32_4x4x4_16b_f16 a[4:7], v[66:67], v[36:37], a[4:7] cbsz:4 abid:3
	v_mfma_f32_4x4x4_16b_f16 a[0:3], v[66:67], v[8:9], a[0:3] cbsz:4 abid:5
	v_mad_u32_u24 v9, v1, 40, v71
	s_waitcnt vmcnt(9)
	v_mfma_f32_4x4x4_16b_f16 a[4:7], v[66:67], v[42:43], a[4:7] cbsz:4 abid:4
	v_mfma_f32_4x4x4_16b_f16 a[0:3], v[66:67], v[10:11], a[0:3] cbsz:4 abid:6
	s_nop 0
	v_mfma_f32_4x4x4_16b_f16 a[4:7], v[66:67], v[44:45], a[4:7] cbsz:4 abid:5
	v_mfma_f32_4x4x4_16b_f16 a[0:3], v[66:67], v[12:13], a[0:3] cbsz:4 abid:7
	s_waitcnt vmcnt(8)
	v_mfma_f32_4x4x4_16b_f16 a[4:7], v[66:67], v[46:47], a[4:7] cbsz:4 abid:6
	s_waitcnt vmcnt(7)
	v_mfma_f32_4x4x4_16b_f16 a[0:3], v[66:67], v[18:19], a[0:3] cbsz:4 abid:8
	v_mfma_f32_4x4x4_16b_f16 a[4:7], v[66:67], v[48:49], a[4:7] cbsz:4 abid:7
	s_nop 0
	v_mfma_f32_4x4x4_16b_f16 a[0:3], v[66:67], v[20:21], a[0:3] cbsz:4 abid:9
	s_waitcnt vmcnt(3)
	v_mfma_f32_4x4x4_16b_f16 a[4:7], v[66:67], v[50:51], a[4:7] cbsz:4 abid:8
	v_mfma_f32_4x4x4_16b_f16 a[0:3], v[66:67], v[22:23], a[0:3] cbsz:4 abid:10
	s_nop 0
	v_mfma_f32_4x4x4_16b_f16 a[4:7], v[66:67], v[52:53], a[4:7] cbsz:4 abid:9
	v_mfma_f32_4x4x4_16b_f16 a[0:3], v[66:67], v[24:25], a[0:3] cbsz:4 abid:11
	s_waitcnt vmcnt(2)
	v_mfma_f32_4x4x4_16b_f16 a[4:7], v[66:67], v[54:55], a[4:7] cbsz:4 abid:10
	v_mfma_f32_4x4x4_16b_f16 a[0:3], v[66:67], v[26:27], a[0:3] cbsz:4 abid:12
	s_nop 0
	v_mfma_f32_4x4x4_16b_f16 a[4:7], v[66:67], v[56:57], a[4:7] cbsz:4 abid:11
	v_mfma_f32_4x4x4_16b_f16 a[0:3], v[66:67], v[28:29], a[0:3] cbsz:4 abid:13
	s_waitcnt vmcnt(1)
	v_mfma_f32_4x4x4_16b_f16 a[4:7], v[66:67], v[58:59], a[4:7] cbsz:4 abid:12
	v_mfma_f32_4x4x4_16b_f16 a[0:3], v[66:67], v[38:39], a[0:3] cbsz:4 abid:14
	s_nop 1
	v_mfma_f32_4x4x4_16b_f16 a[0:3], v[66:67], v[40:41], a[0:3] cbsz:4 abid:15
	s_nop 4
	v_accvgpr_read_b32 v2, a0
	v_accvgpr_read_b32 v3, a1
	;; [unrolled: 1-line block ×4, first 2 shown]
	v_mfma_f32_4x4x4_16b_f16 a[0:3], v[66:67], v[60:61], a[4:7] cbsz:4 abid:13
	v_cvt_f16_f32_e32 v2, v2
	v_cvt_f16_f32_e32 v3, v3
	s_waitcnt vmcnt(0)
	v_mfma_f32_4x4x4_16b_f16 a[0:3], v[66:67], v[62:63], a[0:3] cbsz:4 abid:14
	v_pack_b32_f16 v2, v2, v3
	s_nop 0
	v_mfma_f32_4x4x4_16b_f16 a[0:3], v[66:67], v[64:65], a[0:3] cbsz:4 abid:15
	v_cvt_f16_f32_e32 v3, v4
	v_cvt_f16_f32_e32 v4, v5
	v_pack_b32_f16 v3, v3, v4
	s_nop 1
	v_accvgpr_read_b32 v5, a0
	v_accvgpr_read_b32 v6, a1
	;; [unrolled: 1-line block ×4, first 2 shown]
	v_cvt_f16_f32_e32 v5, v5
	v_cvt_f16_f32_e32 v6, v6
	;; [unrolled: 1-line block ×4, first 2 shown]
	v_pack_b32_f16 v4, v5, v6
	v_pack_b32_f16 v5, v7, v8
	ds_write2st64_b64 v9, v[2:3], v[4:5] offset1:5
.LBB306_25:
	s_or_b64 exec, exec, s[2:3]
	v_cmp_gt_u32_e32 vcc, 64, v0
	s_waitcnt lgkmcnt(0)
	s_barrier
	s_and_saveexec_b64 s[2:3], vcc
	s_cbranch_execz .LBB306_27
; %bb.26:
	s_waitcnt vmcnt(13)
	v_mul_u32_u24_e32 v6, 40, v1
	ds_read2_b64 v[2:5], v6 offset1:1
	ds_read2_b64 v[6:9], v6 offset0:2 offset1:3
	s_mov_b32 s1, 0
	s_lshl_b32 s0, s0, 7
	s_lshl_b64 s[2:3], s[0:1], 1
	s_waitcnt lgkmcnt(1)
	v_pk_add_f16 v2, v2, 0
	v_pk_add_f16 v3, v3, 0
	v_pk_add_f16 v2, v2, v4
	v_pk_add_f16 v3, v3, v5
	s_waitcnt lgkmcnt(0)
	v_pk_add_f16 v2, v2, v6
	v_pk_add_f16 v6, v3, v7
	s_waitcnt vmcnt(12)
	v_pk_add_f16 v10, v2, v8
	v_mov_b32_e32 v2, 0xa00
	v_mad_u32_u24 v2, v1, 40, v2
	ds_read2_b64 v[2:5], v2 offset1:1
	v_pk_add_f16 v11, v6, v9
	v_mov_b32_e32 v6, 0xa10
	v_mad_u32_u24 v1, v1, 40, v6
	ds_read2_b64 v[6:9], v1 offset1:1
	s_add_u32 s2, s18, s2
	s_addc_u32 s3, s19, s3
	s_lshl_b32 s0, s16, 7
	s_lshl_b64 s[0:1], s[0:1], 1
	s_waitcnt lgkmcnt(1)
	v_pk_add_f16 v1, v2, 0
	v_pk_add_f16 v2, v3, 0
	s_add_u32 s0, s2, s0
	v_pk_add_f16 v2, v2, v5
	s_addc_u32 s1, s3, s1
	s_lshl_b32 s2, s33, 7
	s_waitcnt lgkmcnt(0)
	v_pk_add_f16 v2, v2, v7
	s_mul_i32 s3, s2, s34
	v_pk_add_f16 v9, v2, v9
	v_or_b32_e32 v2, s3, v0
	v_mov_b32_e32 v3, 0
	s_add_i32 s3, s3, s2
	v_pk_add_f16 v1, v1, v4
	v_lshl_add_u64 v[4:5], v[2:3], 1, s[0:1]
	v_or_b32_e32 v2, s3, v0
	s_add_i32 s3, s3, s2
	v_pk_add_f16 v1, v1, v6
	v_lshl_add_u64 v[6:7], v[2:3], 1, s[0:1]
	v_or_b32_e32 v2, s3, v0
	v_pk_add_f16 v8, v1, v8
	v_lshl_add_u64 v[0:1], v[2:3], 1, s[0:1]
	global_store_short v[4:5], v10, off
	global_store_short_d16_hi v[6:7], v10, off
	global_store_short v[0:1], v11, off
	global_store_short v[4:5], v8, off offset:128
	global_store_short_d16_hi v[6:7], v8, off offset:128
	global_store_short v[0:1], v9, off offset:128
.LBB306_27:
	s_endpgm
	.section	.rodata,"a",@progbits
	.p2align	6, 0x0
	.amdhsa_kernel _Z38paged_attention_ll4mi_QKV_mfma4_kernelIDF16_DF16_LN4vllm18Fp8KVCacheDataTypeE0EhLi32ELi128ELi256ELb1ELi3EEvPKT_PKT0_S7_ifPKiS9_S9_iPKfiiiPfSC_PS2_PT2_iSB_SB_
		.amdhsa_group_segment_fixed_size 5280
		.amdhsa_private_segment_fixed_size 0
		.amdhsa_kernarg_size 400
		.amdhsa_user_sgpr_count 2
		.amdhsa_user_sgpr_dispatch_ptr 0
		.amdhsa_user_sgpr_queue_ptr 0
		.amdhsa_user_sgpr_kernarg_segment_ptr 1
		.amdhsa_user_sgpr_dispatch_id 0
		.amdhsa_user_sgpr_kernarg_preload_length 0
		.amdhsa_user_sgpr_kernarg_preload_offset 0
		.amdhsa_user_sgpr_private_segment_size 0
		.amdhsa_uses_dynamic_stack 0
		.amdhsa_enable_private_segment 0
		.amdhsa_system_sgpr_workgroup_id_x 1
		.amdhsa_system_sgpr_workgroup_id_y 1
		.amdhsa_system_sgpr_workgroup_id_z 1
		.amdhsa_system_sgpr_workgroup_info 0
		.amdhsa_system_vgpr_workitem_id 0
		.amdhsa_next_free_vgpr 100
		.amdhsa_next_free_sgpr 40
		.amdhsa_accum_offset 92
		.amdhsa_reserve_vcc 1
		.amdhsa_float_round_mode_32 0
		.amdhsa_float_round_mode_16_64 0
		.amdhsa_float_denorm_mode_32 3
		.amdhsa_float_denorm_mode_16_64 3
		.amdhsa_dx10_clamp 1
		.amdhsa_ieee_mode 1
		.amdhsa_fp16_overflow 0
		.amdhsa_tg_split 0
		.amdhsa_exception_fp_ieee_invalid_op 0
		.amdhsa_exception_fp_denorm_src 0
		.amdhsa_exception_fp_ieee_div_zero 0
		.amdhsa_exception_fp_ieee_overflow 0
		.amdhsa_exception_fp_ieee_underflow 0
		.amdhsa_exception_fp_ieee_inexact 0
		.amdhsa_exception_int_div_zero 0
	.end_amdhsa_kernel
	.section	.text._Z38paged_attention_ll4mi_QKV_mfma4_kernelIDF16_DF16_LN4vllm18Fp8KVCacheDataTypeE0EhLi32ELi128ELi256ELb1ELi3EEvPKT_PKT0_S7_ifPKiS9_S9_iPKfiiiPfSC_PS2_PT2_iSB_SB_,"axG",@progbits,_Z38paged_attention_ll4mi_QKV_mfma4_kernelIDF16_DF16_LN4vllm18Fp8KVCacheDataTypeE0EhLi32ELi128ELi256ELb1ELi3EEvPKT_PKT0_S7_ifPKiS9_S9_iPKfiiiPfSC_PS2_PT2_iSB_SB_,comdat
.Lfunc_end306:
	.size	_Z38paged_attention_ll4mi_QKV_mfma4_kernelIDF16_DF16_LN4vllm18Fp8KVCacheDataTypeE0EhLi32ELi128ELi256ELb1ELi3EEvPKT_PKT0_S7_ifPKiS9_S9_iPKfiiiPfSC_PS2_PT2_iSB_SB_, .Lfunc_end306-_Z38paged_attention_ll4mi_QKV_mfma4_kernelIDF16_DF16_LN4vllm18Fp8KVCacheDataTypeE0EhLi32ELi128ELi256ELb1ELi3EEvPKT_PKT0_S7_ifPKiS9_S9_iPKfiiiPfSC_PS2_PT2_iSB_SB_
                                        ; -- End function
	.section	.AMDGPU.csdata,"",@progbits
; Kernel info:
; codeLenInByte = 3980
; NumSgprs: 46
; NumVgprs: 90
; NumAgprs: 8
; TotalNumVgprs: 100
; ScratchSize: 0
; MemoryBound: 0
; FloatMode: 240
; IeeeMode: 1
; LDSByteSize: 5280 bytes/workgroup (compile time only)
; SGPRBlocks: 5
; VGPRBlocks: 12
; NumSGPRsForWavesPerEU: 46
; NumVGPRsForWavesPerEU: 100
; AccumOffset: 92
; Occupancy: 4
; WaveLimiterHint : 1
; COMPUTE_PGM_RSRC2:SCRATCH_EN: 0
; COMPUTE_PGM_RSRC2:USER_SGPR: 2
; COMPUTE_PGM_RSRC2:TRAP_HANDLER: 0
; COMPUTE_PGM_RSRC2:TGID_X_EN: 1
; COMPUTE_PGM_RSRC2:TGID_Y_EN: 1
; COMPUTE_PGM_RSRC2:TGID_Z_EN: 1
; COMPUTE_PGM_RSRC2:TIDIG_COMP_CNT: 0
; COMPUTE_PGM_RSRC3_GFX90A:ACCUM_OFFSET: 22
; COMPUTE_PGM_RSRC3_GFX90A:TG_SPLIT: 0
	.section	.text._Z38paged_attention_ll4mi_QKV_mfma4_kernelIDF16_DF16_LN4vllm18Fp8KVCacheDataTypeE0EhLi32ELi128ELi256ELb1ELi4EEvPKT_PKT0_S7_ifPKiS9_S9_iPKfiiiPfSC_PS2_PT2_iSB_SB_,"axG",@progbits,_Z38paged_attention_ll4mi_QKV_mfma4_kernelIDF16_DF16_LN4vllm18Fp8KVCacheDataTypeE0EhLi32ELi128ELi256ELb1ELi4EEvPKT_PKT0_S7_ifPKiS9_S9_iPKfiiiPfSC_PS2_PT2_iSB_SB_,comdat
	.protected	_Z38paged_attention_ll4mi_QKV_mfma4_kernelIDF16_DF16_LN4vllm18Fp8KVCacheDataTypeE0EhLi32ELi128ELi256ELb1ELi4EEvPKT_PKT0_S7_ifPKiS9_S9_iPKfiiiPfSC_PS2_PT2_iSB_SB_ ; -- Begin function _Z38paged_attention_ll4mi_QKV_mfma4_kernelIDF16_DF16_LN4vllm18Fp8KVCacheDataTypeE0EhLi32ELi128ELi256ELb1ELi4EEvPKT_PKT0_S7_ifPKiS9_S9_iPKfiiiPfSC_PS2_PT2_iSB_SB_
	.globl	_Z38paged_attention_ll4mi_QKV_mfma4_kernelIDF16_DF16_LN4vllm18Fp8KVCacheDataTypeE0EhLi32ELi128ELi256ELb1ELi4EEvPKT_PKT0_S7_ifPKiS9_S9_iPKfiiiPfSC_PS2_PT2_iSB_SB_
	.p2align	8
	.type	_Z38paged_attention_ll4mi_QKV_mfma4_kernelIDF16_DF16_LN4vllm18Fp8KVCacheDataTypeE0EhLi32ELi128ELi256ELb1ELi4EEvPKT_PKT0_S7_ifPKiS9_S9_iPKfiiiPfSC_PS2_PT2_iSB_SB_,@function
_Z38paged_attention_ll4mi_QKV_mfma4_kernelIDF16_DF16_LN4vllm18Fp8KVCacheDataTypeE0EhLi32ELi128ELi256ELb1ELi4EEvPKT_PKT0_S7_ifPKiS9_S9_iPKfiiiPfSC_PS2_PT2_iSB_SB_: ; @_Z38paged_attention_ll4mi_QKV_mfma4_kernelIDF16_DF16_LN4vllm18Fp8KVCacheDataTypeE0EhLi32ELi128ELi256ELb1ELi4EEvPKT_PKT0_S7_ifPKiS9_S9_iPKfiiiPfSC_PS2_PT2_iSB_SB_
; %bb.0:
	s_load_dwordx2 s[8:9], s[0:1], 0x30
	s_mov_b32 s20, s3
	s_mov_b64 s[6:7], 0
	s_waitcnt lgkmcnt(0)
	s_cmp_lg_u64 s[8:9], 0
	s_cselect_b64 s[10:11], -1, 0
	s_and_b64 vcc, exec, s[10:11]
	s_cbranch_vccz .LBB307_20
; %bb.1:
	s_add_i32 s12, s2, 1
	s_mov_b32 s13, 0
	s_lshl_b64 s[14:15], s[12:13], 2
	s_add_u32 s14, s8, s14
	s_mov_b32 s3, s13
	s_addc_u32 s15, s9, s15
	s_lshl_b64 s[12:13], s[2:3], 2
	s_add_u32 s12, s8, s12
	s_addc_u32 s13, s9, s13
	s_load_dword s5, s[14:15], 0x0
	s_load_dword s16, s[12:13], 0x0
	s_mov_b64 s[34:35], s[2:3]
	s_waitcnt lgkmcnt(0)
	s_sub_i32 s5, s5, s16
	s_cmp_eq_u32 s5, 1
	s_cselect_b64 s[12:13], -1, 0
	s_andn2_b64 vcc, exec, s[6:7]
	s_cbranch_vccnz .LBB307_3
.LBB307_2:
	s_mov_b32 s3, 0
	s_mov_b64 s[12:13], -1
	s_mov_b64 s[34:35], s[2:3]
.LBB307_3:
	s_andn2_b64 vcc, exec, s[12:13]
	s_cbranch_vccnz .LBB307_19
; %bb.4:
	s_load_dword s3, s[0:1], 0x9c
	s_load_dwordx2 s[6:7], s[0:1], 0x28
	s_add_u32 s24, s0, 0x90
	s_addc_u32 s25, s1, 0
	s_lshl_b64 s[36:37], s[34:35], 2
	s_waitcnt lgkmcnt(0)
	s_and_b32 s5, s3, 0xffff
	s_add_u32 s6, s6, s36
	s_addc_u32 s7, s7, s37
	s_load_dword s3, s[6:7], 0x0
	s_mul_i32 s5, s20, s5
	s_waitcnt lgkmcnt(0)
	s_cmp_ge_i32 s5, s3
	s_cbranch_scc1 .LBB307_19
; %bb.5:
	v_and_b32_e32 v1, 0xc0, v0
	v_and_b32_e32 v73, 3, v0
	s_lshl_b32 s33, s4, 2
	v_add_u32_e32 v2, s5, v1
	v_lshrrev_b32_e32 v72, 6, v0
	v_cmp_le_i32_e64 s[6:7], s3, v2
	v_or_b32_e32 v66, s33, v73
                                        ; implicit-def: $sgpr17
                                        ; implicit-def: $sgpr16
	s_and_saveexec_b64 s[12:13], s[6:7]
	s_xor_b64 s[12:13], exec, s[12:13]
	s_cbranch_execz .LBB307_7
; %bb.6:
	v_mul_u32_u24_e32 v1, 20, v72
	v_or_b32_e32 v1, 0x1400, v1
	v_mov_b32_e32 v2, 0x1450
	v_mov_b32_e32 v3, 0xff7fffff
	v_mad_u32_u24 v2, v72, 20, v2
	ds_write2_b32 v1, v3, v3 offset1:1
	v_mov_b32_e32 v1, 0
	ds_write2_b32 v2, v1, v1 offset1:1
	v_mov_b32_e32 v2, 0x1408
	s_mov_b32 s16, 0xff7fffff
	s_mov_b32 s17, 0
	v_mad_u32_u24 v2, v72, 20, v2
	v_mov_b32_e32 v4, 0x1458
	v_or_b32_e32 v66, s33, v73
	v_mad_u32_u24 v4, v72, 20, v4
	ds_write2_b32 v2, v3, v3 offset1:1
	ds_write2_b32 v4, v1, v1 offset1:1
                                        ; implicit-def: $vgpr2
.LBB307_7:
	s_or_saveexec_b64 s[26:27], s[12:13]
	s_load_dwordx2 s[22:23], s[0:1], 0x68
	s_load_dwordx4 s[12:15], s[0:1], 0x58
	s_load_dword s40, s[24:25], 0x4
	v_and_b32_e32 v1, 63, v0
	v_mov_b32_e32 v71, s17
	v_mov_b32_e32 v67, s16
	;; [unrolled: 1-line block ×5, first 2 shown]
                                        ; implicit-def: $vgpr31
                                        ; implicit-def: $vgpr19
                                        ; implicit-def: $vgpr23
                                        ; implicit-def: $vgpr27
                                        ; implicit-def: $vgpr3
                                        ; implicit-def: $vgpr7
                                        ; implicit-def: $vgpr11
                                        ; implicit-def: $vgpr15
                                        ; implicit-def: $vgpr51
                                        ; implicit-def: $vgpr55
                                        ; implicit-def: $vgpr59
                                        ; implicit-def: $vgpr63
                                        ; implicit-def: $vgpr39
                                        ; implicit-def: $vgpr47
                                        ; implicit-def: $vgpr35
                                        ; implicit-def: $vgpr43
	s_xor_b64 exec, exec, s[26:27]
	s_cbranch_execz .LBB307_13
; %bb.8:
	s_add_i32 s19, s3, 31
	s_load_dwordx2 s[16:17], s[0:1], 0x20
	s_load_dword s18, s[0:1], 0x38
	s_ashr_i32 s21, s19, 31
	s_lshr_b32 s21, s21, 27
	v_add_u32_e32 v68, s5, v0
	s_add_i32 s19, s19, s21
	v_ashrrev_i32_e32 v3, 31, v68
	s_ashr_i32 s19, s19, 5
	v_lshrrev_b32_e32 v3, 27, v3
	s_add_i32 s21, s19, -1
	v_add_u32_e32 v3, v68, v3
	s_waitcnt lgkmcnt(0)
	s_mul_i32 s38, s2, s18
	s_mov_b32 s39, 0
	v_ashrrev_i32_e32 v3, 5, v3
	v_mov_b32_e32 v4, s21
	v_cmp_gt_i32_e32 vcc, s3, v68
	s_lshl_b64 s[18:19], s[38:39], 2
	s_add_u32 s16, s16, s18
	v_cndmask_b32_e32 v4, v4, v3, vcc
	v_ashrrev_i32_e32 v3, 31, v2
	v_lshrrev_b32_e32 v3, 27, v3
	s_addc_u32 s17, s17, s19
	v_ashrrev_i32_e32 v5, 31, v4
	v_add_u32_e32 v2, v2, v3
	v_lshl_add_u64 v[6:7], v[4:5], 2, s[16:17]
	v_ashrrev_i32_e32 v4, 5, v2
	v_min_i32_e32 v2, s21, v4
	v_ashrrev_i32_e32 v3, 31, v2
	v_lshl_add_u64 v[8:9], v[2:3], 2, s[16:17]
	v_add_u32_e32 v2, 1, v4
	v_min_i32_e32 v2, s21, v2
	v_ashrrev_i32_e32 v3, 31, v2
	v_lshl_add_u64 v[10:11], v[2:3], 2, s[16:17]
	global_load_dword v2, v[6:7], off
	global_load_dword v4, v[8:9], off
	;; [unrolled: 1-line block ×3, first 2 shown]
	s_load_dwordx2 s[30:31], s[0:1], 0x40
	s_load_dwordx4 s[16:19], s[0:1], 0x0
	s_load_dwordx2 s[28:29], s[0:1], 0x10
	s_andn2_b64 vcc, exec, s[10:11]
	s_cbranch_vccnz .LBB307_10
; %bb.9:
	s_add_u32 s8, s8, s36
	s_addc_u32 s9, s9, s37
	s_load_dword s38, s[8:9], 0x0
	s_waitcnt lgkmcnt(0)
	s_mov_b64 s[34:35], s[38:39]
.LBB307_10:
	s_load_dwordx4 s[8:11], s[0:1], 0x48
	v_lshlrev_b32_e32 v3, 2, v1
	v_and_b32_e32 v3, 0xf0, v3
	v_lshl_or_b32 v3, v73, 8, v3
	v_and_b32_e32 v6, 31, v0
	s_waitcnt lgkmcnt(0)
	s_ashr_i32 s5, s8, 31
	s_mul_hi_u32 s11, s34, s8
	s_mul_i32 s5, s34, s5
	s_mul_i32 s21, s35, s8
	s_add_i32 s5, s11, s5
	s_mul_i32 s36, s34, s8
	s_add_i32 s37, s5, s21
	s_lshl_b64 s[34:35], s[36:37], 1
	s_add_u32 s5, s16, s34
	s_addc_u32 s8, s17, s35
	s_lshl_b32 s38, s4, 9
	s_lshl_b64 s[16:17], s[38:39], 1
	s_add_u32 s16, s5, s16
	s_addc_u32 s17, s8, s17
	global_load_dwordx4 v[74:77], v3, s[16:17]
	s_mul_i32 s38, s4, s10
	s_lshl_b64 s[4:5], s[38:39], 1
	s_add_u32 s10, s4, s18
	s_waitcnt vmcnt(3)
	v_mad_i64_i32 v[2:3], s[16:17], v2, s9, 0
	s_addc_u32 s11, s5, s19
	v_lshl_add_u64 v[2:3], v[2:3], 1, s[10:11]
	v_lshlrev_b32_e32 v18, 4, v6
	v_mov_b32_e32 v19, 0
	v_lshl_add_u64 v[36:37], v[2:3], 0, v[18:19]
	global_load_dwordx4 v[6:9], v[36:37], off
	global_load_dwordx4 v[10:13], v[36:37], off offset:512
	global_load_dwordx4 v[14:17], v[36:37], off offset:1024
	;; [unrolled: 1-line block ×6, first 2 shown]
	v_mov_b32_e32 v41, v19
	global_load_dwordx4 v[36:39], v[36:37], off offset:3584
	v_or_b32_e32 v40, 0x1000, v18
	v_lshl_add_u64 v[40:41], v[2:3], 0, v[40:41]
	global_load_dwordx4 v[40:43], v[40:41], off
	v_mov_b32_e32 v45, v19
	v_or_b32_e32 v44, 0x1200, v18
	v_lshl_add_u64 v[44:45], v[2:3], 0, v[44:45]
	global_load_dwordx4 v[44:47], v[44:45], off
	v_mov_b32_e32 v49, v19
	;; [unrolled: 4-line block ×5, first 2 shown]
	v_or_b32_e32 v60, 0x1a00, v18
	v_lshl_add_u64 v[60:61], v[2:3], 0, v[60:61]
	global_load_dwordx4 v[60:63], v[60:61], off
	v_or_b32_e32 v18, 0x1c00, v18
	v_lshl_add_u64 v[64:65], v[2:3], 0, v[18:19]
	global_load_dwordx4 v[78:81], v[64:65], off
	v_mov_b32_e32 v67, 0x1e00
	v_lshl_or_b32 v18, v0, 4, v67
	v_lshl_add_u64 v[2:3], v[2:3], 0, v[18:19]
	global_load_dwordx4 v[82:85], v[2:3], off
	v_mov_b32_e32 v67, v19
	v_lshl_add_u64 v[70:71], v[66:67], 2, s[30:31]
	global_load_dword v93, v[70:71], off
	v_and_b32_e32 v89, -4, v68
	v_subrev_u32_e32 v2, s3, v89
	v_add_u32_e32 v67, 1, v2
	v_add_u32_e32 v90, 2, v2
	;; [unrolled: 1-line block ×4, first 2 shown]
	s_waitcnt vmcnt(19)
	v_mul_hi_i32 v2, v4, s9
	v_mov_b32_e32 v3, v19
	s_add_u32 s4, s28, s4
	s_addc_u32 s5, s29, s5
	v_mov_b32_e32 v65, v19
	s_load_dword s0, s[0:1], 0x1c
	v_cmp_eq_u32_e32 vcc, 0, v73
	v_cvt_f32_i32_e32 v67, v67
	v_or_b32_e32 v68, 3, v68
	v_cndmask_b32_e64 v69, 0, 1.0, vcc
	v_cmp_eq_u32_e32 vcc, 1, v73
	s_waitcnt vmcnt(16)
	v_mfma_f32_4x4x4_16b_f16 a[0:3], v[74:75], v[6:7], 0 cbsz:4
	v_mul_hi_i32 v6, v5, s9
	s_nop 0
	v_mfma_f32_4x4x4_16b_f16 a[0:3], v[76:77], v[8:9], a[0:3] cbsz:4
	v_ashrrev_i32_e32 v7, 31, v2
	v_ashrrev_i32_e32 v2, 31, v6
	s_waitcnt vmcnt(15)
	v_mfma_f32_4x4x4_16b_f16 a[0:3], v[74:75], v[10:11], a[0:3] cbsz:4 abid:1
	v_lshrrev_b32_e32 v2, 29, v2
	v_mad_i64_i32 v[2:3], s[10:11], v5, s9, v[2:3]
	v_mfma_f32_4x4x4_16b_f16 a[0:3], v[76:77], v[12:13], a[0:3] cbsz:4 abid:1
	v_lshlrev_b64 v[2:3], 1, v[2:3]
	v_and_b32_e32 v2, -16, v2
	s_waitcnt vmcnt(14)
	v_mfma_f32_4x4x4_16b_f16 a[0:3], v[74:75], v[14:15], a[0:3] cbsz:4 abid:2
	v_lshrrev_b32_e32 v18, 29, v7
	v_cndmask_b32_e64 v86, 0, 1.0, vcc
	v_mfma_f32_4x4x4_16b_f16 a[0:3], v[76:77], v[16:17], a[0:3] cbsz:4 abid:2
	v_cmp_eq_u32_e32 vcc, 2, v73
	s_waitcnt vmcnt(13)
	v_mfma_f32_4x4x4_16b_f16 a[0:3], v[74:75], v[20:21], a[0:3] cbsz:4 abid:3
	v_lshl_add_u64 v[20:21], s[4:5], 0, v[2:3]
	v_mad_i64_i32 v[2:3], s[8:9], v4, s9, v[18:19]
	v_mfma_f32_4x4x4_16b_f16 a[0:3], v[76:77], v[22:23], a[0:3] cbsz:4 abid:3
	v_lshlrev_b64 v[22:23], 1, v[2:3]
	v_lshlrev_b32_e32 v18, 6, v1
	s_waitcnt vmcnt(12)
	v_mfma_f32_4x4x4_16b_f16 a[0:3], v[74:75], v[24:25], a[0:3] cbsz:4 abid:4
	v_and_b32_e32 v22, -16, v22
	v_or_b32_e32 v64, 0x1000, v18
	v_mfma_f32_4x4x4_16b_f16 a[0:3], v[76:77], v[26:27], a[0:3] cbsz:4 abid:4
	v_lshl_add_u64 v[22:23], s[4:5], 0, v[22:23]
	v_lshl_add_u64 v[24:25], v[20:21], 0, v[18:19]
	s_waitcnt vmcnt(11)
	v_mfma_f32_4x4x4_16b_f16 a[0:3], v[74:75], v[28:29], a[0:3] cbsz:4 abid:5
	v_lshl_add_u64 v[20:21], v[20:21], 0, v[64:65]
	v_lshl_add_u64 v[70:71], v[22:23], 0, v[64:65]
	v_mfma_f32_4x4x4_16b_f16 a[0:3], v[76:77], v[30:31], a[0:3] cbsz:4 abid:5
	global_load_dwordx4 v[2:5], v[24:25], off
	global_load_dwordx4 v[6:9], v[24:25], off offset:16
	s_waitcnt vmcnt(12)
	v_mfma_f32_4x4x4_16b_f16 a[0:3], v[74:75], v[32:33], a[0:3] cbsz:4 abid:6
	global_load_dwordx4 v[10:13], v[24:25], off offset:32
	global_load_dwordx4 v[14:17], v[24:25], off offset:48
	v_mfma_f32_4x4x4_16b_f16 a[0:3], v[76:77], v[34:35], a[0:3] cbsz:4 abid:6
	v_cndmask_b32_e64 v87, 0, 1.0, vcc
	v_cmp_eq_u32_e32 vcc, 3, v73
	s_waitcnt vmcnt(13)
	v_mfma_f32_4x4x4_16b_f16 a[0:3], v[74:75], v[36:37], a[0:3] cbsz:4 abid:7
	v_cmp_gt_i32_e64 s[8:9], s3, v68
	v_cndmask_b32_e64 v88, 0, 1.0, vcc
	v_mfma_f32_4x4x4_16b_f16 a[0:3], v[76:77], v[38:39], a[0:3] cbsz:4 abid:7
	v_cmp_gt_i32_e32 vcc, s3, v89
	s_waitcnt vmcnt(12)
	v_mfma_f32_4x4x4_16b_f16 a[0:3], v[74:75], v[40:41], a[0:3] cbsz:4 abid:8
	s_nop 1
	v_mfma_f32_4x4x4_16b_f16 a[0:3], v[76:77], v[42:43], a[0:3] cbsz:4 abid:8
	s_waitcnt vmcnt(11)
	s_nop 0
	v_mfma_f32_4x4x4_16b_f16 a[0:3], v[74:75], v[44:45], a[0:3] cbsz:4 abid:9
	s_nop 1
	v_mfma_f32_4x4x4_16b_f16 a[0:3], v[76:77], v[46:47], a[0:3] cbsz:4 abid:9
	s_waitcnt vmcnt(10)
	s_nop 0
	v_mfma_f32_4x4x4_16b_f16 a[0:3], v[74:75], v[48:49], a[0:3] cbsz:4 abid:10
	global_load_dwordx4 v[38:41], v[20:21], off
	global_load_dwordx4 v[46:49], v[20:21], off offset:16
	v_mfma_f32_4x4x4_16b_f16 a[0:3], v[76:77], v[50:51], a[0:3] cbsz:4 abid:10
	v_lshl_add_u64 v[50:51], v[22:23], 0, v[18:19]
	global_load_dwordx4 v[34:37], v[20:21], off offset:32
	global_load_dwordx4 v[42:45], v[20:21], off offset:48
	s_waitcnt vmcnt(13)
	v_mfma_f32_4x4x4_16b_f16 a[0:3], v[74:75], v[52:53], a[0:3] cbsz:4 abid:11
	global_load_dwordx4 v[30:33], v[50:51], off
	global_load_dwordx4 v[18:21], v[50:51], off offset:16
	v_mfma_f32_4x4x4_16b_f16 a[0:3], v[76:77], v[54:55], a[0:3] cbsz:4 abid:11
	global_load_dwordx4 v[22:25], v[50:51], off offset:32
	global_load_dwordx4 v[26:29], v[50:51], off offset:48
	s_waitcnt vmcnt(16)
	v_mfma_f32_4x4x4_16b_f16 a[0:3], v[74:75], v[56:57], a[0:3] cbsz:4 abid:12
	global_load_dwordx4 v[50:53], v[70:71], off
	global_load_dwordx4 v[54:57], v[70:71], off offset:16
	v_mfma_f32_4x4x4_16b_f16 a[0:3], v[76:77], v[58:59], a[0:3] cbsz:4 abid:12
	s_waitcnt vmcnt(17)
	s_nop 0
	v_mfma_f32_4x4x4_16b_f16 a[0:3], v[74:75], v[60:61], a[0:3] cbsz:4 abid:13
	s_nop 1
	v_mfma_f32_4x4x4_16b_f16 a[0:3], v[76:77], v[62:63], a[0:3] cbsz:4 abid:13
	global_load_dwordx4 v[58:61], v[70:71], off offset:32
	global_load_dwordx4 v[62:65], v[70:71], off offset:48
	s_waitcnt vmcnt(18)
	v_mfma_f32_4x4x4_16b_f16 a[0:3], v[74:75], v[78:79], a[0:3] cbsz:4 abid:14
	s_nop 1
	v_mfma_f32_4x4x4_16b_f16 a[0:3], v[76:77], v[80:81], a[0:3] cbsz:4 abid:14
	s_waitcnt vmcnt(17)
	s_nop 0
	v_mfma_f32_4x4x4_16b_f16 a[0:3], v[74:75], v[82:83], a[0:3] cbsz:4 abid:15
	s_nop 1
	v_mfma_f32_4x4x4_16b_f16 a[0:3], v[76:77], v[84:85], a[0:3] cbsz:4 abid:15
	s_nop 4
	v_accvgpr_read_b32 v71, a1
	v_accvgpr_read_b32 v70, a0
	s_waitcnt lgkmcnt(0)
	v_pk_mul_f32 v[70:71], s[0:1], v[70:71] op_sel_hi:[0,1]
	v_accvgpr_read_b32 v75, a3
	v_accvgpr_read_b32 v74, a2
	v_pk_mul_f32 v[74:75], s[0:1], v[74:75] op_sel_hi:[0,1]
	v_mfma_f32_4x4x1_16b_f32 a[0:3], v70, v69, 0
	v_cvt_f32_i32_e32 v69, v90
	s_nop 0
	v_mfma_f32_4x4x1_16b_f32 a[0:3], v71, v86, a[0:3]
	v_cvt_f32_i32_e32 v70, v91
	v_cvt_f32_i32_e32 v71, v92
	v_mfma_f32_4x4x1_16b_f32 a[0:3], v74, v87, a[0:3]
	s_nop 1
	v_mfma_f32_4x4x1_16b_f32 a[0:3], v75, v88, a[0:3]
	s_nop 3
	v_accvgpr_read_b32 v74, a0
	v_accvgpr_read_b32 v75, a1
	;; [unrolled: 1-line block ×3, first 2 shown]
	s_waitcnt vmcnt(16)
	v_fma_f32 v74, v93, v67, v74
	v_fma_f32 v69, v93, v69, v75
	v_accvgpr_read_b32 v75, a3
	v_fma_f32 v70, v93, v70, v76
	v_fmac_f32_e32 v75, v93, v71
	v_max_f32_e32 v71, 0xff7fffff, v74
	v_mov_b32_e32 v76, 0xff7fffff
	v_cndmask_b32_e32 v71, v76, v71, vcc
	v_or_b32_e32 v76, 1, v89
	v_max_f32_e32 v77, v71, v69
	v_cmp_gt_i32_e64 s[0:1], s3, v76
	v_or_b32_e32 v76, 2, v89
	v_cmp_gt_i32_e64 s[4:5], s3, v76
	v_cndmask_b32_e64 v71, v71, v77, s[0:1]
	v_max_f32_e32 v77, v71, v70
	v_lshlrev_b32_e32 v67, 2, v0
	v_cndmask_b32_e64 v71, v71, v77, s[4:5]
	v_and_or_b32 v67, v67, 48, v73
	v_max_f32_e32 v76, v71, v75
	v_cndmask_b32_e64 v68, v71, v76, s[8:9]
	v_lshlrev_b32_e32 v76, 2, v67
	;;#ASMSTART
	v_nop
 v_nop
 v_max_f32_dpp v67, v68, v68 row_ror:4
	;;#ASMEND
	s_nop 0
	;;#ASMSTART
	v_nop
 v_nop
 v_max_f32_dpp v67, v67, v67 row_ror:8
	;;#ASMEND
	ds_bpermute_b32 v67, v76, v67
	s_waitcnt lgkmcnt(0)
	;;#ASMSTART
	v_nop
 v_nop
 v_max_f32_dpp v67, v67, v67 row_ror:4
	;;#ASMEND
	s_nop 0
	;;#ASMSTART
	v_nop
 v_nop
 v_max_f32_dpp v67, v67, v67 row_ror:8
	;;#ASMEND
	s_nop 0
	v_sub_f32_e32 v68, v74, v67
	v_mul_f32_e32 v68, 0x3fb8aa3b, v68
	v_sub_f32_e32 v69, v69, v67
	v_exp_f32_e32 v68, v68
	v_mul_f32_e32 v69, 0x3fb8aa3b, v69
	v_sub_f32_e32 v70, v70, v67
	v_exp_f32_e32 v69, v69
	;; [unrolled: 3-line block ×3, first 2 shown]
	v_mul_f32_e32 v74, 0x3fb8aa3b, v74
	v_exp_f32_e32 v74, v74
	v_cndmask_b32_e32 v68, 0, v68, vcc
	v_add_f32_e32 v71, 0, v68
	v_cndmask_b32_e64 v69, 0, v69, s[0:1]
	v_add_f32_e32 v71, v71, v69
	v_cndmask_b32_e64 v70, 0, v70, s[4:5]
	;; [unrolled: 2-line block ×3, first 2 shown]
	v_add_f32_e32 v74, v75, v71
	;;#ASMSTART
	v_nop
 v_nop
 v_add_f32_dpp v74, v74, v74 row_ror:4
	;;#ASMEND
	v_cmp_gt_u32_e32 vcc, 4, v1
	;;#ASMSTART
	v_nop
 v_nop
 v_add_f32_dpp v74, v74, v74 row_ror:8
	;;#ASMEND
	ds_bpermute_b32 v74, v76, v74
	s_waitcnt lgkmcnt(0)
	;;#ASMSTART
	v_nop
 v_nop
 v_add_f32_dpp v74, v74, v74 row_ror:4
	;;#ASMEND
	s_nop 0
	;;#ASMSTART
	v_nop
 v_nop
 v_add_f32_dpp v74, v74, v74 row_ror:8
	;;#ASMEND
	s_and_saveexec_b64 s[0:1], vcc
	s_cbranch_execz .LBB307_12
; %bb.11:
	v_mul_u32_u24_e32 v75, 20, v72
	v_lshl_add_u32 v75, v73, 2, v75
	v_add_u32_e32 v75, 0x1400, v75
	ds_write2_b32 v75, v67, v74 offset1:20
.LBB307_12:
	s_or_b64 exec, exec, s[0:1]
.LBB307_13:
	s_or_b64 exec, exec, s[26:27]
	v_lshlrev_b32_e32 v73, 2, v73
	v_add_u32_e32 v80, 0x1400, v73
	s_waitcnt lgkmcnt(0)
	s_barrier
	s_load_dword s0, s[24:25], 0x8
	ds_read2_b32 v[74:75], v80 offset1:5
	ds_read2_b32 v[76:77], v80 offset0:10 offset1:15
	s_mov_b32 s4, 0xff7fffff
	s_mul_i32 s1, s2, s40
	ds_read2_b32 v[78:79], v80 offset0:20 offset1:25
	s_waitcnt lgkmcnt(0)
	v_max3_f32 v73, v74, s4, v75
	v_max3_f32 v73, v73, v76, v77
	s_mul_i32 s1, s1, s0
	v_sub_f32_e32 v74, v74, v73
	s_lshl_b32 s0, s1, 2
	s_mov_b32 s1, 0
	v_mul_f32_e32 v74, 0x3fb8aa3b, v74
	v_sub_f32_e32 v75, v75, v73
	s_lshl_b64 s[2:3], s[0:1], 2
	v_exp_f32_e32 v74, v74
	v_mul_f32_e32 v75, 0x3fb8aa3b, v75
	v_sub_f32_e32 v76, v76, v73
	s_add_u32 s8, s12, s2
	v_exp_f32_e32 v75, v75
	ds_read2_b32 v[80:81], v80 offset0:30 offset1:35
	v_mul_f32_e32 v76, 0x3fb8aa3b, v76
	v_sub_f32_e32 v77, v77, v73
	s_addc_u32 s9, s13, s3
	v_exp_f32_e32 v76, v76
	v_mul_f32_e32 v77, 0x3fb8aa3b, v77
	s_mov_b32 s21, s1
	s_add_u32 s4, s14, s2
	v_exp_f32_e32 v77, v77
	s_addc_u32 s5, s15, s3
	s_lshl_b64 s[2:3], s[20:21], 2
	v_fma_f32 v74, v74, v78, 0
	s_add_u32 s4, s4, s2
	v_fmac_f32_e32 v74, v75, v79
	s_addc_u32 s5, s5, s3
	s_waitcnt lgkmcnt(0)
	v_fmac_f32_e32 v74, v76, v80
	v_fmac_f32_e32 v74, v77, v81
	s_add_u32 s2, s8, s2
	v_mul_lo_u32 v76, s40, v66
	v_mov_b32_e32 v77, 0
	s_addc_u32 s3, s9, s3
	v_lshlrev_b64 v[76:77], 2, v[76:77]
	v_lshl_add_u64 v[78:79], s[4:5], 0, v[76:77]
	v_lshl_add_u64 v[76:77], s[2:3], 0, v[76:77]
	v_lshlrev_b32_e32 v66, 3, v72
	global_store_dword v[78:79], v73, off
	global_store_dword v[76:77], v74, off
	s_and_saveexec_b64 s[2:3], s[6:7]
	s_xor_b64 s[2:3], exec, s[2:3]
	s_cbranch_execz .LBB307_15
; %bb.14:
	s_mov_b32 s4, s1
	s_mov_b32 s5, s1
	s_waitcnt vmcnt(17)
	v_mad_u32_u24 v4, v1, 40, v66
	v_mov_b64_e32 v[2:3], s[4:5]
	ds_write2st64_b64 v4, v[2:3], v[2:3] offset1:5
                                        ; implicit-def: $vgpr71
                                        ; implicit-def: $vgpr69
                                        ; implicit-def: $vgpr31
                                        ; implicit-def: $vgpr19
                                        ; implicit-def: $vgpr23
                                        ; implicit-def: $vgpr27
                                        ; implicit-def: $vgpr3
                                        ; implicit-def: $vgpr7
                                        ; implicit-def: $vgpr11
                                        ; implicit-def: $vgpr15
                                        ; implicit-def: $vgpr51
                                        ; implicit-def: $vgpr55
                                        ; implicit-def: $vgpr59
                                        ; implicit-def: $vgpr63
                                        ; implicit-def: $vgpr39
                                        ; implicit-def: $vgpr47
                                        ; implicit-def: $vgpr35
                                        ; implicit-def: $vgpr43
                                        ; implicit-def: $vgpr67
                                        ; implicit-def: $vgpr73
                                        ; implicit-def: $vgpr74
                                        ; implicit-def: $vgpr66
.LBB307_15:
	s_andn2_saveexec_b64 s[2:3], s[2:3]
	s_cbranch_execz .LBB307_17
; %bb.16:
	v_add_f32_e32 v72, 0x358637bd, v74
	v_div_scale_f32 v74, s[4:5], v72, v72, 1.0
	v_rcp_f32_e32 v75, v74
	v_sub_f32_e32 v67, v67, v73
	v_mul_f32_e32 v67, 0x3fb8aa3b, v67
	v_exp_f32_e32 v67, v67
	v_fma_f32 v73, -v74, v75, 1.0
	v_fmac_f32_e32 v75, v73, v75
	v_div_scale_f32 v73, vcc, 1.0, v72, 1.0
	v_mul_f32_e32 v76, v73, v75
	v_fma_f32 v77, -v74, v76, v73
	v_fmac_f32_e32 v76, v77, v75
	v_fma_f32 v73, -v74, v76, v73
	v_div_fmas_f32 v73, v73, v75, v76
	v_div_fixup_f32 v72, v73, v72, 1.0
	v_mul_f32_e32 v72, v67, v72
	v_pk_mul_f32 v[70:71], v[70:71], v[72:73] op_sel_hi:[1,0]
	v_pk_mul_f32 v[68:69], v[68:69], v[72:73] op_sel_hi:[1,0]
	s_nop 0
	v_cvt_f16_f32_e32 v67, v68
	v_cvt_f16_f32_e32 v68, v69
	;; [unrolled: 1-line block ×4, first 2 shown]
	v_pack_b32_f16 v68, v67, v68
	v_pack_b32_f16 v69, v69, v70
	s_waitcnt vmcnt(9)
	s_nop 0
	v_mfma_f32_4x4x4_16b_f16 a[0:3], v[68:69], v[30:31], 0 cbsz:4
	s_nop 1
	v_mfma_f32_4x4x4_16b_f16 a[0:3], v[68:69], v[32:33], a[0:3] cbsz:4 abid:1
	s_waitcnt vmcnt(5)
	v_mfma_f32_4x4x4_16b_f16 a[4:7], v[68:69], v[50:51], 0 cbsz:4
	v_mfma_f32_4x4x4_16b_f16 a[0:3], v[68:69], v[18:19], a[0:3] cbsz:4 abid:2
	s_nop 0
	v_mfma_f32_4x4x4_16b_f16 a[4:7], v[68:69], v[52:53], a[4:7] cbsz:4 abid:1
	v_mfma_f32_4x4x4_16b_f16 a[0:3], v[68:69], v[20:21], a[0:3] cbsz:4 abid:3
	s_waitcnt vmcnt(4)
	v_mfma_f32_4x4x4_16b_f16 a[4:7], v[68:69], v[54:55], a[4:7] cbsz:4 abid:2
	v_mfma_f32_4x4x4_16b_f16 a[0:3], v[68:69], v[22:23], a[0:3] cbsz:4 abid:4
	s_nop 0
	v_mfma_f32_4x4x4_16b_f16 a[4:7], v[68:69], v[56:57], a[4:7] cbsz:4 abid:3
	v_mfma_f32_4x4x4_16b_f16 a[0:3], v[68:69], v[24:25], a[0:3] cbsz:4 abid:5
	s_waitcnt vmcnt(3)
	v_mfma_f32_4x4x4_16b_f16 a[4:7], v[68:69], v[58:59], a[4:7] cbsz:4 abid:4
	;; [unrolled: 6-line block ×3, first 2 shown]
	v_mfma_f32_4x4x4_16b_f16 a[0:3], v[68:69], v[2:3], a[0:3] cbsz:4 abid:8
	s_nop 0
	v_mfma_f32_4x4x4_16b_f16 a[4:7], v[68:69], v[64:65], a[4:7] cbsz:4 abid:7
	v_mfma_f32_4x4x4_16b_f16 a[0:3], v[68:69], v[4:5], a[0:3] cbsz:4 abid:9
	s_nop 0
	v_mfma_f32_4x4x4_16b_f16 a[4:7], v[68:69], v[38:39], a[4:7] cbsz:4 abid:8
	;; [unrolled: 3-line block ×3, first 2 shown]
	v_mfma_f32_4x4x4_16b_f16 a[0:3], v[68:69], v[8:9], a[0:3] cbsz:4 abid:11
	v_mad_u32_u24 v9, v1, 40, v66
	v_mfma_f32_4x4x4_16b_f16 a[4:7], v[68:69], v[46:47], a[4:7] cbsz:4 abid:10
	v_mfma_f32_4x4x4_16b_f16 a[0:3], v[68:69], v[10:11], a[0:3] cbsz:4 abid:12
	s_nop 0
	v_mfma_f32_4x4x4_16b_f16 a[4:7], v[68:69], v[48:49], a[4:7] cbsz:4 abid:11
	v_mfma_f32_4x4x4_16b_f16 a[0:3], v[68:69], v[12:13], a[0:3] cbsz:4 abid:13
	s_nop 0
	;; [unrolled: 3-line block ×3, first 2 shown]
	v_mfma_f32_4x4x4_16b_f16 a[0:3], v[68:69], v[16:17], a[0:3] cbsz:4 abid:15
	s_nop 4
	v_accvgpr_read_b32 v2, a0
	v_accvgpr_read_b32 v3, a1
	;; [unrolled: 1-line block ×4, first 2 shown]
	v_mfma_f32_4x4x4_16b_f16 a[0:3], v[68:69], v[36:37], a[4:7] cbsz:4 abid:13
	v_cvt_f16_f32_e32 v2, v2
	v_cvt_f16_f32_e32 v3, v3
	v_mfma_f32_4x4x4_16b_f16 a[0:3], v[68:69], v[42:43], a[0:3] cbsz:4 abid:14
	v_pack_b32_f16 v2, v2, v3
	s_nop 0
	v_mfma_f32_4x4x4_16b_f16 a[0:3], v[68:69], v[44:45], a[0:3] cbsz:4 abid:15
	v_cvt_f16_f32_e32 v3, v4
	v_cvt_f16_f32_e32 v4, v5
	v_pack_b32_f16 v3, v3, v4
	s_nop 1
	v_accvgpr_read_b32 v5, a0
	v_accvgpr_read_b32 v6, a1
	;; [unrolled: 1-line block ×4, first 2 shown]
	v_cvt_f16_f32_e32 v5, v5
	v_cvt_f16_f32_e32 v6, v6
	;; [unrolled: 1-line block ×4, first 2 shown]
	v_pack_b32_f16 v4, v5, v6
	v_pack_b32_f16 v5, v7, v8
	ds_write2st64_b64 v9, v[2:3], v[4:5] offset1:5
.LBB307_17:
	s_or_b64 exec, exec, s[2:3]
	v_cmp_gt_u32_e32 vcc, 64, v0
	s_waitcnt lgkmcnt(0)
	s_barrier
	s_and_saveexec_b64 s[2:3], vcc
	s_cbranch_execz .LBB307_19
; %bb.18:
	s_waitcnt vmcnt(16)
	v_mul_u32_u24_e32 v6, 40, v1
	ds_read2_b64 v[2:5], v6 offset1:1
	ds_read2_b64 v[6:9], v6 offset0:2 offset1:3
	s_lshl_b32 s0, s0, 7
	s_lshl_b64 s[2:3], s[0:1], 1
	s_add_u32 s2, s22, s2
	s_waitcnt lgkmcnt(1)
	v_pk_add_f16 v2, v2, 0
	v_pk_add_f16 v3, v3, 0
	;; [unrolled: 1-line block ×4, first 2 shown]
	s_waitcnt lgkmcnt(0)
	v_pk_add_f16 v2, v2, v6
	v_pk_add_f16 v6, v3, v7
	s_waitcnt vmcnt(15)
	v_pk_add_f16 v10, v2, v8
	v_mov_b32_e32 v2, 0xa00
	v_mad_u32_u24 v2, v1, 40, v2
	ds_read2_b64 v[2:5], v2 offset1:1
	v_pk_add_f16 v11, v6, v9
	v_mov_b32_e32 v6, 0xa10
	v_mad_u32_u24 v1, v1, 40, v6
	ds_read2_b64 v[6:9], v1 offset1:1
	s_addc_u32 s3, s23, s3
	s_lshl_b32 s0, s20, 7
	s_lshl_b64 s[0:1], s[0:1], 1
	s_waitcnt lgkmcnt(1)
	v_pk_add_f16 v1, v2, 0
	v_pk_add_f16 v2, v3, 0
	s_add_u32 s0, s2, s0
	v_pk_add_f16 v2, v2, v5
	s_addc_u32 s1, s3, s1
	s_lshl_b32 s2, s40, 7
	s_waitcnt lgkmcnt(0)
	v_pk_add_f16 v2, v2, v7
	s_mul_i32 s3, s2, s33
	v_pk_add_f16 v13, v2, v9
	v_or_b32_e32 v2, s3, v0
	v_mov_b32_e32 v3, 0
	s_add_i32 s3, s3, s2
	v_pk_add_f16 v1, v1, v4
	v_lshl_add_u64 v[4:5], v[2:3], 1, s[0:1]
	v_or_b32_e32 v2, s3, v0
	s_add_i32 s3, s3, s2
	v_pk_add_f16 v1, v1, v6
	v_lshl_add_u64 v[6:7], v[2:3], 1, s[0:1]
	v_or_b32_e32 v2, s3, v0
	;; [unrolled: 4-line block ×3, first 2 shown]
	v_lshl_add_u64 v[0:1], v[2:3], 1, s[0:1]
	global_store_short v[4:5], v10, off
	global_store_short_d16_hi v[6:7], v10, off
	global_store_short v[8:9], v11, off
	global_store_short_d16_hi v[0:1], v11, off
	global_store_short v[4:5], v12, off offset:128
	global_store_short_d16_hi v[6:7], v12, off offset:128
	global_store_short v[8:9], v13, off offset:128
	global_store_short_d16_hi v[0:1], v13, off offset:128
.LBB307_19:
	s_endpgm
.LBB307_20:
	s_mov_b64 s[12:13], 0
                                        ; implicit-def: $sgpr34_sgpr35
	s_branch .LBB307_2
	.section	.rodata,"a",@progbits
	.p2align	6, 0x0
	.amdhsa_kernel _Z38paged_attention_ll4mi_QKV_mfma4_kernelIDF16_DF16_LN4vllm18Fp8KVCacheDataTypeE0EhLi32ELi128ELi256ELb1ELi4EEvPKT_PKT0_S7_ifPKiS9_S9_iPKfiiiPfSC_PS2_PT2_iSB_SB_
		.amdhsa_group_segment_fixed_size 5280
		.amdhsa_private_segment_fixed_size 0
		.amdhsa_kernarg_size 400
		.amdhsa_user_sgpr_count 2
		.amdhsa_user_sgpr_dispatch_ptr 0
		.amdhsa_user_sgpr_queue_ptr 0
		.amdhsa_user_sgpr_kernarg_segment_ptr 1
		.amdhsa_user_sgpr_dispatch_id 0
		.amdhsa_user_sgpr_kernarg_preload_length 0
		.amdhsa_user_sgpr_kernarg_preload_offset 0
		.amdhsa_user_sgpr_private_segment_size 0
		.amdhsa_uses_dynamic_stack 0
		.amdhsa_enable_private_segment 0
		.amdhsa_system_sgpr_workgroup_id_x 1
		.amdhsa_system_sgpr_workgroup_id_y 1
		.amdhsa_system_sgpr_workgroup_id_z 1
		.amdhsa_system_sgpr_workgroup_info 0
		.amdhsa_system_vgpr_workitem_id 0
		.amdhsa_next_free_vgpr 104
		.amdhsa_next_free_sgpr 41
		.amdhsa_accum_offset 96
		.amdhsa_reserve_vcc 1
		.amdhsa_float_round_mode_32 0
		.amdhsa_float_round_mode_16_64 0
		.amdhsa_float_denorm_mode_32 3
		.amdhsa_float_denorm_mode_16_64 3
		.amdhsa_dx10_clamp 1
		.amdhsa_ieee_mode 1
		.amdhsa_fp16_overflow 0
		.amdhsa_tg_split 0
		.amdhsa_exception_fp_ieee_invalid_op 0
		.amdhsa_exception_fp_denorm_src 0
		.amdhsa_exception_fp_ieee_div_zero 0
		.amdhsa_exception_fp_ieee_overflow 0
		.amdhsa_exception_fp_ieee_underflow 0
		.amdhsa_exception_fp_ieee_inexact 0
		.amdhsa_exception_int_div_zero 0
	.end_amdhsa_kernel
	.section	.text._Z38paged_attention_ll4mi_QKV_mfma4_kernelIDF16_DF16_LN4vllm18Fp8KVCacheDataTypeE0EhLi32ELi128ELi256ELb1ELi4EEvPKT_PKT0_S7_ifPKiS9_S9_iPKfiiiPfSC_PS2_PT2_iSB_SB_,"axG",@progbits,_Z38paged_attention_ll4mi_QKV_mfma4_kernelIDF16_DF16_LN4vllm18Fp8KVCacheDataTypeE0EhLi32ELi128ELi256ELb1ELi4EEvPKT_PKT0_S7_ifPKiS9_S9_iPKfiiiPfSC_PS2_PT2_iSB_SB_,comdat
.Lfunc_end307:
	.size	_Z38paged_attention_ll4mi_QKV_mfma4_kernelIDF16_DF16_LN4vllm18Fp8KVCacheDataTypeE0EhLi32ELi128ELi256ELb1ELi4EEvPKT_PKT0_S7_ifPKiS9_S9_iPKfiiiPfSC_PS2_PT2_iSB_SB_, .Lfunc_end307-_Z38paged_attention_ll4mi_QKV_mfma4_kernelIDF16_DF16_LN4vllm18Fp8KVCacheDataTypeE0EhLi32ELi128ELi256ELb1ELi4EEvPKT_PKT0_S7_ifPKiS9_S9_iPKfiiiPfSC_PS2_PT2_iSB_SB_
                                        ; -- End function
	.section	.AMDGPU.csdata,"",@progbits
; Kernel info:
; codeLenInByte = 3936
; NumSgprs: 47
; NumVgprs: 94
; NumAgprs: 8
; TotalNumVgprs: 104
; ScratchSize: 0
; MemoryBound: 0
; FloatMode: 240
; IeeeMode: 1
; LDSByteSize: 5280 bytes/workgroup (compile time only)
; SGPRBlocks: 5
; VGPRBlocks: 12
; NumSGPRsForWavesPerEU: 47
; NumVGPRsForWavesPerEU: 104
; AccumOffset: 96
; Occupancy: 4
; WaveLimiterHint : 1
; COMPUTE_PGM_RSRC2:SCRATCH_EN: 0
; COMPUTE_PGM_RSRC2:USER_SGPR: 2
; COMPUTE_PGM_RSRC2:TRAP_HANDLER: 0
; COMPUTE_PGM_RSRC2:TGID_X_EN: 1
; COMPUTE_PGM_RSRC2:TGID_Y_EN: 1
; COMPUTE_PGM_RSRC2:TGID_Z_EN: 1
; COMPUTE_PGM_RSRC2:TIDIG_COMP_CNT: 0
; COMPUTE_PGM_RSRC3_GFX90A:ACCUM_OFFSET: 23
; COMPUTE_PGM_RSRC3_GFX90A:TG_SPLIT: 0
	.section	.text._Z39paged_attention_ll4mi_QKV_mfma16_kernelIDF16_DF16_LN4vllm18Fp8KVCacheDataTypeE0EhLi32ELi128ELi256ELb1ELi5EEvPKT_PKT0_S7_ifPKiS9_S9_iPKfiiiPfSC_PS2_PT2_iSB_SB_,"axG",@progbits,_Z39paged_attention_ll4mi_QKV_mfma16_kernelIDF16_DF16_LN4vllm18Fp8KVCacheDataTypeE0EhLi32ELi128ELi256ELb1ELi5EEvPKT_PKT0_S7_ifPKiS9_S9_iPKfiiiPfSC_PS2_PT2_iSB_SB_,comdat
	.protected	_Z39paged_attention_ll4mi_QKV_mfma16_kernelIDF16_DF16_LN4vllm18Fp8KVCacheDataTypeE0EhLi32ELi128ELi256ELb1ELi5EEvPKT_PKT0_S7_ifPKiS9_S9_iPKfiiiPfSC_PS2_PT2_iSB_SB_ ; -- Begin function _Z39paged_attention_ll4mi_QKV_mfma16_kernelIDF16_DF16_LN4vllm18Fp8KVCacheDataTypeE0EhLi32ELi128ELi256ELb1ELi5EEvPKT_PKT0_S7_ifPKiS9_S9_iPKfiiiPfSC_PS2_PT2_iSB_SB_
	.globl	_Z39paged_attention_ll4mi_QKV_mfma16_kernelIDF16_DF16_LN4vllm18Fp8KVCacheDataTypeE0EhLi32ELi128ELi256ELb1ELi5EEvPKT_PKT0_S7_ifPKiS9_S9_iPKfiiiPfSC_PS2_PT2_iSB_SB_
	.p2align	8
	.type	_Z39paged_attention_ll4mi_QKV_mfma16_kernelIDF16_DF16_LN4vllm18Fp8KVCacheDataTypeE0EhLi32ELi128ELi256ELb1ELi5EEvPKT_PKT0_S7_ifPKiS9_S9_iPKfiiiPfSC_PS2_PT2_iSB_SB_,@function
_Z39paged_attention_ll4mi_QKV_mfma16_kernelIDF16_DF16_LN4vllm18Fp8KVCacheDataTypeE0EhLi32ELi128ELi256ELb1ELi5EEvPKT_PKT0_S7_ifPKiS9_S9_iPKfiiiPfSC_PS2_PT2_iSB_SB_: ; @_Z39paged_attention_ll4mi_QKV_mfma16_kernelIDF16_DF16_LN4vllm18Fp8KVCacheDataTypeE0EhLi32ELi128ELi256ELb1ELi5EEvPKT_PKT0_S7_ifPKiS9_S9_iPKfiiiPfSC_PS2_PT2_iSB_SB_
; %bb.0:
	s_load_dwordx2 s[8:9], s[0:1], 0x30
	s_mov_b32 s26, s3
	s_mov_b64 s[6:7], 0
	s_waitcnt lgkmcnt(0)
	s_cmp_lg_u64 s[8:9], 0
	s_cselect_b64 s[10:11], -1, 0
	s_and_b64 vcc, exec, s[10:11]
	s_cbranch_vccz .LBB308_7
; %bb.1:
	s_add_i32 s12, s2, 1
	s_mov_b32 s13, 0
	s_lshl_b64 s[14:15], s[12:13], 2
	s_add_u32 s14, s8, s14
	s_mov_b32 s3, s13
	s_addc_u32 s15, s9, s15
	s_lshl_b64 s[12:13], s[2:3], 2
	s_add_u32 s12, s8, s12
	s_addc_u32 s13, s9, s13
	s_load_dword s5, s[14:15], 0x0
	s_load_dword s16, s[12:13], 0x0
	s_waitcnt lgkmcnt(0)
	s_sub_i32 s5, s5, s16
	s_cmp_eq_u32 s5, 1
	s_cselect_b64 s[12:13], -1, 0
	s_andn2_b64 vcc, exec, s[6:7]
	s_cbranch_vccnz .LBB308_3
.LBB308_2:
	s_mov_b32 s3, 0
	s_mov_b64 s[12:13], -1
.LBB308_3:
	s_andn2_b64 vcc, exec, s[12:13]
	s_cbranch_vccnz .LBB308_22
; %bb.4:
	s_load_dwordx2 s[6:7], s[0:1], 0x28
	s_lshl_b64 s[12:13], s[2:3], 2
	s_waitcnt lgkmcnt(0)
	s_add_u32 s6, s6, s12
	s_addc_u32 s7, s7, s13
	s_load_dword s27, s[6:7], 0x0
	s_lshl_b32 s18, s26, 8
	s_waitcnt lgkmcnt(0)
	s_cmp_ge_i32 s18, s27
	s_cbranch_scc1 .LBB308_22
; %bb.5:
	s_load_dwordx2 s[6:7], s[0:1], 0x20
	s_load_dword s5, s[0:1], 0x38
	s_add_i32 s14, s27, 31
	s_ashr_i32 s15, s14, 31
	v_and_b32_e32 v1, 0xcf, v0
	s_lshr_b32 s15, s15, 27
	v_add_u32_e32 v1, s18, v1
	s_add_i32 s14, s14, s15
	v_ashrrev_i32_e32 v2, 31, v1
	s_ashr_i32 s19, s14, 5
	v_lshrrev_b32_e32 v4, 27, v2
	s_add_i32 s19, s19, -1
	s_waitcnt lgkmcnt(0)
	s_mul_i32 s14, s2, s5
	s_mov_b32 s15, 0
	v_add_u32_e32 v2, v1, v4
	s_lshl_b64 s[14:15], s[14:15], 2
	v_ashrrev_i32_e32 v2, 5, v2
	v_mov_b32_e32 v5, s19
	v_cmp_gt_i32_e32 vcc, s27, v1
	s_add_u32 s6, s6, s14
	s_addc_u32 s7, s7, s15
	v_cndmask_b32_e32 v2, v5, v2, vcc
	v_ashrrev_i32_e32 v3, 31, v2
	v_lshl_add_u64 v[6:7], v[2:3], 2, s[6:7]
	v_or_b32_e32 v2, 16, v1
	v_add_u32_e32 v3, v2, v4
	v_ashrrev_i32_e32 v3, 5, v3
	v_cmp_gt_i32_e32 vcc, s27, v2
	s_nop 1
	v_cndmask_b32_e32 v2, v5, v3, vcc
	v_ashrrev_i32_e32 v3, 31, v2
	v_lshl_add_u64 v[8:9], v[2:3], 2, s[6:7]
	v_or_b32_e32 v2, 32, v1
	v_add_u32_e32 v3, v2, v4
	v_ashrrev_i32_e32 v3, 5, v3
	v_cmp_gt_i32_e32 vcc, s27, v2
	v_or_b32_e32 v1, 48, v1
	s_nop 0
	v_cndmask_b32_e32 v2, v5, v3, vcc
	v_ashrrev_i32_e32 v3, 31, v2
	v_lshl_add_u64 v[10:11], v[2:3], 2, s[6:7]
	v_add_u32_e32 v2, v1, v4
	v_ashrrev_i32_e32 v2, 5, v2
	v_cmp_gt_i32_e32 vcc, s27, v1
	s_nop 1
	v_cndmask_b32_e32 v2, v5, v2, vcc
	v_ashrrev_i32_e32 v3, 31, v2
	v_lshl_add_u64 v[12:13], v[2:3], 2, s[6:7]
	global_load_dword v5, v[6:7], off
	global_load_dword v4, v[8:9], off
	;; [unrolled: 1-line block ×4, first 2 shown]
	s_andn2_b64 vcc, exec, s[10:11]
	s_cbranch_vccnz .LBB308_8
; %bb.6:
	s_add_u32 s8, s8, s12
	s_addc_u32 s9, s9, s13
	s_load_dword s5, s[8:9], 0x0
	s_branch .LBB308_9
.LBB308_7:
	s_mov_b64 s[12:13], 0
	s_branch .LBB308_2
.LBB308_8:
	s_mov_b32 s5, s2
.LBB308_9:
	s_load_dwordx2 s[14:15], s[0:1], 0x8
	s_load_dwordx4 s[8:11], s[0:1], 0x48
	v_lshrrev_b32_e32 v88, 6, v0
	v_bfe_u32 v1, v0, 4, 2
	v_lshl_or_b32 v6, v88, 2, v1
	v_and_b32_e32 v84, 15, v0
	v_lshlrev_b32_e32 v82, 3, v84
	v_cmp_lt_u32_e32 vcc, 4, v6
	s_and_saveexec_b64 s[12:13], vcc
	s_xor_b64 s[12:13], exec, s[12:13]
; %bb.10:
	v_mov_b32_e32 v83, 0
                                        ; implicit-def: $vgpr6
; %bb.11:
	s_or_saveexec_b64 s[16:17], s[12:13]
	s_load_dwordx2 s[12:13], s[0:1], 0x10
	s_mul_i32 s40, s4, 5
	s_xor_b64 exec, exec, s[16:17]
	s_cbranch_execz .LBB308_13
; %bb.12:
	s_load_dwordx2 s[20:21], s[0:1], 0x0
	s_waitcnt lgkmcnt(0)
	s_ashr_i32 s11, s8, 31
	s_mul_hi_u32 s22, s5, s8
	s_mul_i32 s11, s5, s11
	s_add_i32 s23, s22, s11
	s_mul_i32 s22, s5, s8
	s_lshl_b64 s[22:23], s[22:23], 1
	s_add_u32 s20, s20, s22
	v_add_lshl_u32 v8, v6, s40, 7
	s_addc_u32 s21, s21, s23
	v_ashrrev_i32_e32 v9, 31, v8
	v_mov_b32_e32 v83, 0
	v_lshl_add_u64 v[8:9], v[8:9], 1, s[20:21]
	v_lshlrev_b32_e32 v10, 1, v82
	v_mov_b32_e32 v11, v83
	v_lshl_add_u64 v[8:9], v[8:9], 0, v[10:11]
	global_load_dwordx4 v[8:11], v[8:9], off
	v_and_b32_e32 v7, 3, v0
	v_lshlrev_b32_e32 v12, 9, v84
	v_lshlrev_b32_e32 v6, 5, v6
	;; [unrolled: 1-line block ×3, first 2 shown]
	v_and_b32_e32 v12, 0x1800, v12
	v_or3_b32 v6, v12, v7, v6
	s_waitcnt vmcnt(0)
	ds_write_b128 v6, v[8:11]
.LBB308_13:
	s_or_b64 exec, exec, s[16:17]
	s_waitcnt lgkmcnt(0)
	s_mul_i32 s4, s4, s10
	s_mov_b32 s5, 0
	s_lshl_b64 s[4:5], s[4:5], 1
	s_add_u32 s10, s14, s4
	s_addc_u32 s11, s15, s5
	s_waitcnt vmcnt(3)
	v_mad_i64_i32 v[6:7], s[14:15], v5, s9, 0
	v_lshl_add_u64 v[6:7], v[6:7], 1, s[10:11]
	v_lshlrev_b64 v[8:9], 1, v[82:83]
	v_lshlrev_b32_e32 v86, 9, v1
	v_lshl_add_u64 v[6:7], v[6:7], 0, v[8:9]
	v_mov_b32_e32 v87, 0
	v_lshl_add_u64 v[10:11], v[6:7], 0, v[86:87]
	v_or_b32_e32 v14, 0x1000, v86
	v_mov_b32_e32 v15, v87
	v_or_b32_e32 v16, 0x1800, v86
	v_mov_b32_e32 v17, v87
	s_barrier
	global_load_dwordx4 v[66:69], v[10:11], off
	global_load_dwordx4 v[62:65], v[10:11], off offset:2048
	v_lshl_add_u64 v[10:11], v[6:7], 0, v[14:15]
	v_lshl_add_u64 v[6:7], v[6:7], 0, v[16:17]
	global_load_dwordx4 v[78:81], v[10:11], off
	global_load_dwordx4 v[74:77], v[6:7], off
	s_waitcnt vmcnt(6)
	v_mad_i64_i32 v[4:5], s[14:15], v4, s9, 0
	v_mov_b32_e32 v6, 0x100
	v_lshl_add_u64 v[4:5], v[4:5], 1, s[10:11]
	v_lshl_or_b32 v6, v84, 4, v6
	v_mov_b32_e32 v7, v87
	v_lshl_add_u64 v[4:5], v[4:5], 0, v[6:7]
	v_lshl_add_u64 v[10:11], v[4:5], 0, v[86:87]
	global_load_dwordx4 v[70:73], v[10:11], off
	global_load_dwordx4 v[58:61], v[10:11], off offset:2048
	v_lshl_add_u64 v[10:11], v[4:5], 0, v[14:15]
	v_lshl_add_u64 v[4:5], v[4:5], 0, v[16:17]
	global_load_dwordx4 v[54:57], v[10:11], off
	global_load_dwordx4 v[30:33], v[4:5], off
	s_waitcnt vmcnt(9)
	v_mad_i64_i32 v[4:5], s[14:15], v3, s9, 0
	v_lshl_add_u64 v[4:5], v[4:5], 1, s[10:11]
	s_waitcnt vmcnt(8)
	v_mad_i64_i32 v[2:3], s[14:15], v2, s9, 0
	v_lshl_add_u64 v[4:5], v[4:5], 0, v[8:9]
	v_lshl_add_u64 v[2:3], v[2:3], 1, s[10:11]
	;; [unrolled: 1-line block ×4, first 2 shown]
	global_load_dwordx4 v[26:29], v[8:9], off
	global_load_dwordx4 v[22:25], v[8:9], off offset:2048
	v_lshl_add_u64 v[8:9], v[4:5], 0, v[14:15]
	v_lshl_add_u64 v[4:5], v[4:5], 0, v[16:17]
	;; [unrolled: 1-line block ×4, first 2 shown]
	global_load_dwordx4 v[18:21], v[8:9], off
	global_load_dwordx4 v[10:13], v[4:5], off
	s_nop 0
	global_load_dwordx4 v[6:9], v[2:3], off
	s_nop 0
	global_load_dwordx4 v[2:5], v[2:3], off offset:2048
	v_lshl_add_u64 v[16:17], v[34:35], 0, v[16:17]
	global_load_dwordx4 v[38:41], v[14:15], off
	global_load_dwordx4 v[34:37], v[16:17], off
	v_mul_lo_u16_e32 v14, 52, v84
	v_mov_b32_e32 v15, 5
	v_mul_lo_u16_sdwa v14, v14, v15 dst_sel:DWORD dst_unused:UNUSED_PAD src0_sel:BYTE_1 src1_sel:DWORD
	v_sub_u16_e32 v14, v84, v14
	v_and_b32_e32 v14, 0xff, v14
	v_lshl_add_u32 v42, v14, 5, v86
	ds_read_b128 v[14:17], v42
	ds_read_b128 v[50:53], v42 offset:2048
	ds_read_b128 v[46:49], v42 offset:4096
	;; [unrolled: 1-line block ×3, first 2 shown]
	v_and_b32_e32 v85, 63, v0
	v_cmp_gt_u32_e32 vcc, 5, v84
	v_mov_b32_e32 v89, 0
	s_and_saveexec_b64 s[10:11], vcc
	s_cbranch_execz .LBB308_15
; %bb.14:
	s_load_dwordx2 s[14:15], s[0:1], 0x40
	v_add_u32_e32 v90, s40, v84
	v_ashrrev_i32_e32 v91, 31, v90
	s_waitcnt lgkmcnt(0)
	v_lshl_add_u64 v[90:91], v[90:91], 2, s[14:15]
	global_load_dword v89, v[90:91], off
.LBB308_15:
	s_or_b64 exec, exec, s[10:11]
	s_waitcnt vmcnt(15) lgkmcnt(3)
	v_mfma_f32_16x16x16_f16 v[90:93], v[66:67], v[14:15], 0
	s_ashr_i32 s8, s18, 31
	s_lshr_b32 s8, s8, 27
	s_add_u32 s4, s12, s4
	v_mfma_f32_16x16x16_f16 v[66:69], v[68:69], v[16:17], v[90:93]
	s_addc_u32 s5, s13, s5
	s_mov_b32 s33, 0xff7fffff
	s_waitcnt vmcnt(14) lgkmcnt(2)
	v_mfma_f32_16x16x16_f16 v[66:69], v[62:63], v[50:51], v[66:69]
	v_lshl_or_b32 v90, v88, 4, v84
	v_mfma_f32_16x16x16_f16 v[62:65], v[64:65], v[52:53], v[66:69]
	s_waitcnt vmcnt(13) lgkmcnt(1)
	v_mfma_f32_16x16x16_f16 v[62:65], v[78:79], v[46:47], v[62:65]
	v_mfma_f32_16x16x16_f16 v[62:65], v[80:81], v[48:49], v[62:65]
	s_waitcnt vmcnt(12) lgkmcnt(0)
	v_mfma_f32_16x16x16_f16 v[62:65], v[74:75], v[42:43], v[62:65]
	v_and_or_b32 v74, v0, 48, s18
	v_add_u32_e32 v66, s8, v74
	v_ashrrev_i32_e32 v75, 5, v66
	s_waitcnt vmcnt(11)
	v_mfma_f32_16x16x16_f16 v[66:69], v[70:71], v[14:15], 0
	v_cmp_gt_i32_e32 vcc, s27, v74
	v_mfma_f32_16x16x16_f16 v[66:69], v[72:73], v[16:17], v[66:69]
	v_or_b32_e32 v72, 64, v74
	v_add_u32_e32 v73, s8, v72
	s_waitcnt vmcnt(10)
	v_mfma_f32_16x16x16_f16 v[66:69], v[58:59], v[50:51], v[66:69]
	v_ashrrev_i32_e32 v58, 5, v73
	v_mfma_f32_16x16x16_f16 v[62:65], v[76:77], v[44:45], v[62:65]
	v_mov_b32_e32 v76, s19
	v_cndmask_b32_e32 v70, v76, v75, vcc
	v_cmp_gt_i32_e32 vcc, s27, v72
	v_ashrrev_i32_e32 v71, 31, v70
	v_lshl_add_u64 v[70:71], v[70:71], 2, s[6:7]
	v_cndmask_b32_e32 v72, v76, v58, vcc
	v_mfma_f32_16x16x16_f16 v[58:61], v[60:61], v[52:53], v[66:69]
	v_ashrrev_i32_e32 v73, 31, v72
	s_waitcnt vmcnt(9)
	v_mfma_f32_16x16x16_f16 v[58:61], v[54:55], v[46:47], v[58:61]
	v_lshl_add_u64 v[66:67], v[72:73], 2, s[6:7]
	global_load_dword v72, v[70:71], off
	global_load_dword v75, v[66:67], off
	v_or_b32_e32 v66, 0x80, v74
	v_add_u32_e32 v67, s8, v66
	v_mfma_f32_16x16x16_f16 v[54:57], v[56:57], v[48:49], v[58:61]
	v_cmp_gt_i32_e32 vcc, s27, v66
	s_nop 1
	v_ashrrev_i32_e32 v58, 5, v67
	v_cndmask_b32_e32 v58, v76, v58, vcc
	v_ashrrev_i32_e32 v59, 31, v58
	s_waitcnt vmcnt(10)
	v_mfma_f32_16x16x16_f16 v[54:57], v[30:31], v[42:43], v[54:57]
	v_lshl_add_u64 v[30:31], v[58:59], 2, s[6:7]
	global_load_dword v58, v[30:31], off
	v_mfma_f32_16x16x16_f16 v[66:69], v[32:33], v[44:45], v[54:57]
	s_nop 3
	v_or_b32_e32 v54, 0xc0, v74
	v_add_u32_e32 v30, s8, v54
	v_ashrrev_i32_e32 v55, 5, v30
	v_cmp_gt_i32_e32 vcc, s27, v54
	s_waitcnt vmcnt(10)
	v_mfma_f32_16x16x16_f16 v[30:33], v[26:27], v[14:15], 0
	v_cndmask_b32_e32 v26, v76, v55, vcc
	v_ashrrev_i32_e32 v27, 31, v26
	v_lshl_add_u64 v[54:55], v[26:27], 2, s[6:7]
	global_load_dword v59, v[54:55], off
	v_mfma_f32_16x16x16_f16 v[26:29], v[28:29], v[16:17], v[30:33]
	s_load_dword s6, s[0:1], 0x1c
	s_waitcnt lgkmcnt(0)
	v_pk_mul_f32 v[76:77], s[6:7], v[66:67] op_sel_hi:[0,1]
	s_waitcnt vmcnt(10)
	v_mfma_f32_16x16x16_f16 v[26:29], v[22:23], v[50:51], v[26:29]
	v_and_b32_e32 v30, 16, v0
	v_lshlrev_b32_e32 v86, 1, v30
	v_lshl_add_u64 v[60:61], s[4:5], 0, v[86:87]
	v_mfma_f32_16x16x16_f16 v[22:25], v[24:25], v[52:53], v[26:29]
	v_lshlrev_b32_e32 v86, 6, v90
	v_lshl_add_u64 v[70:71], v[60:61], 0, v[86:87]
	v_or_b32_e32 v86, 0x1000, v86
	s_waitcnt vmcnt(9)
	v_mfma_f32_16x16x16_f16 v[22:25], v[18:19], v[46:47], v[22:25]
	v_lshl_add_u64 v[80:81], v[60:61], 0, v[86:87]
	v_pk_mul_f32 v[78:79], s[6:7], v[64:65] op_sel_hi:[0,1]
	v_pk_mul_f32 v[60:61], s[6:7], v[62:63] op_sel_hi:[0,1]
	v_mfma_f32_16x16x16_f16 v[18:21], v[20:21], v[48:49], v[22:25]
	s_waitcnt vmcnt(8)
	v_mfma_f32_16x16x16_f16 v[18:21], v[10:11], v[42:43], v[18:21]
	s_waitcnt vmcnt(3)
	v_mad_i64_i32 v[22:23], s[4:5], v72, s9, 0
	s_waitcnt vmcnt(2)
	v_mad_i64_i32 v[10:11], s[4:5], v75, s9, 0
	v_lshlrev_b64 v[72:73], 1, v[22:23]
	v_lshlrev_b64 v[54:55], 1, v[10:11]
	v_lshl_add_u64 v[22:23], v[70:71], 0, v[72:73]
	v_lshl_add_u64 v[10:11], v[70:71], 0, v[54:55]
	global_load_dwordx4 v[30:33], v[22:23], off
	global_load_dwordx4 v[26:29], v[22:23], off offset:16
	v_mfma_f32_16x16x16_f16 v[92:95], v[12:13], v[44:45], v[18:21]
	global_load_dwordx4 v[22:25], v[10:11], off
	s_nop 1
	global_load_dwordx4 v[18:21], v[10:11], off offset:16
	v_pk_mul_f32 v[74:75], s[6:7], v[68:69] op_sel_hi:[0,1]
	v_mfma_f32_16x16x16_f16 v[10:13], v[6:7], v[14:15], 0
	s_waitcnt vmcnt(5)
	v_mad_i64_i32 v[6:7], s[4:5], v58, s9, 0
	v_lshlrev_b64 v[56:57], 1, v[6:7]
	v_mfma_f32_16x16x16_f16 v[6:9], v[8:9], v[16:17], v[10:13]
	v_mfma_f32_16x16x16_f16 v[6:9], v[2:3], v[50:51], v[6:9]
	s_nop 1
	v_lshl_add_u64 v[10:11], v[70:71], 0, v[56:57]
	global_load_dwordx4 v[14:17], v[10:11], off
	s_nop 0
	global_load_dwordx4 v[10:13], v[10:11], off offset:16
	s_waitcnt vmcnt(6)
	v_mad_i64_i32 v[2:3], s[4:5], v59, s9, 0
	v_mfma_f32_16x16x16_f16 v[50:53], v[4:5], v[52:53], v[6:9]
	v_lshlrev_b64 v[58:59], 1, v[2:3]
	v_lshl_add_u64 v[2:3], v[70:71], 0, v[58:59]
	v_pk_mul_f32 v[70:71], s[6:7], v[94:95] op_sel_hi:[0,1]
	v_mfma_f32_16x16x16_f16 v[50:53], v[38:39], v[46:47], v[50:53]
	v_lshl_add_u64 v[38:39], v[80:81], 0, v[72:73]
	v_pk_mul_f32 v[72:73], s[6:7], v[92:93] op_sel_hi:[0,1]
	v_lshl_add_u64 v[58:59], v[80:81], 0, v[58:59]
	v_mfma_f32_16x16x16_f16 v[46:49], v[40:41], v[48:49], v[50:53]
	global_load_dwordx4 v[6:9], v[2:3], off
	s_nop 0
	global_load_dwordx4 v[2:5], v[2:3], off offset:16
	v_mfma_f32_16x16x16_f16 v[40:43], v[34:35], v[42:43], v[46:49]
	v_mfma_f32_16x16x16_f16 v[34:37], v[36:37], v[44:45], v[40:43]
	s_nop 6
	v_pk_mul_f32 v[68:69], s[6:7], v[34:35] op_sel_hi:[0,1]
	v_and_b32_e32 v34, 0xc0, v0
	v_add_u32_e32 v34, s18, v34
	v_lshl_or_b32 v34, v1, 2, v34
	v_or_b32_e32 v35, 1, v34
	v_pk_mul_f32 v[66:67], s[6:7], v[36:37] op_sel_hi:[0,1]
	v_subrev_u32_e32 v36, s27, v35
	v_add_u32_e32 v40, 1, v36
	v_add_u32_e32 v41, 2, v36
	v_cvt_f32_i32_e32 v37, v36
	v_cvt_f32_i32_e32 v40, v40
	;; [unrolled: 1-line block ×3, first 2 shown]
	v_add_u32_e32 v42, 3, v36
	v_fma_f32 v60, v89, v37, v60
	v_fmac_f32_e32 v61, v89, v40
	v_fma_f32 v78, v89, v41, v78
	v_add_u32_e32 v37, 16, v36
	v_add_u32_e32 v40, 17, v36
	v_add_u32_e32 v41, 18, v36
	v_cvt_f32_i32_e32 v42, v42
	v_cvt_f32_i32_e32 v37, v37
	;; [unrolled: 1-line block ×4, first 2 shown]
	v_fmac_f32_e32 v79, v89, v42
	v_add_u32_e32 v42, 19, v36
	v_fma_f32 v76, v89, v37, v76
	v_fmac_f32_e32 v77, v89, v40
	v_fma_f32 v74, v89, v41, v74
	v_add_u32_e32 v37, 32, v36
	v_add_u32_e32 v40, 33, v36
	;; [unrolled: 1-line block ×3, first 2 shown]
	v_cvt_f32_i32_e32 v42, v42
	v_cvt_f32_i32_e32 v37, v37
	;; [unrolled: 1-line block ×4, first 2 shown]
	v_fmac_f32_e32 v75, v89, v42
	v_add_u32_e32 v42, 35, v36
	v_fma_f32 v72, v89, v37, v72
	v_fmac_f32_e32 v73, v89, v40
	v_fma_f32 v70, v89, v41, v70
	v_add_u32_e32 v37, 48, v36
	v_add_u32_e32 v40, 49, v36
	;; [unrolled: 1-line block ×4, first 2 shown]
	v_cvt_f32_i32_e32 v36, v36
	v_cvt_f32_i32_e32 v37, v37
	;; [unrolled: 1-line block ×3, first 2 shown]
	v_cmp_gt_i32_e64 s[28:29], s27, v34
	v_fmac_f32_e32 v67, v89, v36
	v_mov_b32_e32 v36, 0xff7fffff
	v_cmp_gt_i32_e64 s[30:31], s27, v35
	v_fma_f32 v68, v89, v37, v68
	v_cndmask_b32_e64 v37, v36, v60, s[28:29]
	v_cndmask_b32_e64 v35, v36, v61, s[30:31]
	v_fmac_f32_e32 v69, v89, v40
	v_max3_f32 v35, v37, s33, v35
	v_or_b32_e32 v37, 2, v34
	v_or_b32_e32 v40, 3, v34
	v_cmp_gt_i32_e64 s[34:35], s27, v37
	v_cmp_gt_i32_e64 s[36:37], s27, v40
	v_cvt_f32_i32_e32 v42, v42
	v_cndmask_b32_e64 v37, v36, v78, s[34:35]
	v_cndmask_b32_e64 v40, v36, v79, s[36:37]
	v_max3_f32 v35, v35, v37, v40
	v_or_b32_e32 v37, 16, v34
	v_or_b32_e32 v40, 17, v34
	v_cmp_gt_i32_e64 s[22:23], s27, v37
	v_cmp_gt_i32_e64 s[24:25], s27, v40
	v_fmac_f32_e32 v71, v89, v42
	v_cndmask_b32_e64 v37, v36, v76, s[22:23]
	v_cndmask_b32_e64 v40, v36, v77, s[24:25]
	v_max3_f32 v35, v35, v37, v40
	v_or_b32_e32 v37, 18, v34
	v_or_b32_e32 v40, 19, v34
	v_cmp_gt_i32_e64 s[18:19], s27, v37
	v_cmp_gt_i32_e64 s[20:21], s27, v40
	v_cvt_f32_i32_e32 v41, v41
	v_cndmask_b32_e64 v37, v36, v74, s[18:19]
	v_cndmask_b32_e64 v40, v36, v75, s[20:21]
	v_max3_f32 v35, v35, v37, v40
	v_or_b32_e32 v37, 32, v34
	v_or_b32_e32 v40, 33, v34
	v_cmp_gt_i32_e64 s[14:15], s27, v37
	v_cmp_gt_i32_e64 s[16:17], s27, v40
	v_fma_f32 v66, v89, v41, v66
	v_cndmask_b32_e64 v37, v36, v72, s[14:15]
	v_cndmask_b32_e64 v40, v36, v73, s[16:17]
	v_max3_f32 v35, v35, v37, v40
	v_or_b32_e32 v37, 34, v34
	v_or_b32_e32 v40, 35, v34
	v_cmp_gt_i32_e64 s[10:11], s27, v37
	v_cmp_gt_i32_e64 s[12:13], s27, v40
	s_nop 0
	v_cndmask_b32_e64 v37, v36, v70, s[10:11]
	v_cndmask_b32_e64 v40, v36, v71, s[12:13]
	v_max3_f32 v35, v35, v37, v40
	v_or_b32_e32 v37, 48, v34
	v_or_b32_e32 v40, 49, v34
	v_cmp_gt_i32_e64 s[6:7], s27, v37
	v_cmp_gt_i32_e64 s[8:9], s27, v40
	s_nop 0
	v_cndmask_b32_e64 v37, v36, v68, s[6:7]
	v_cndmask_b32_e64 v40, v36, v69, s[8:9]
	v_max3_f32 v35, v35, v37, v40
	v_or_b32_e32 v37, 50, v34
	v_or_b32_e32 v34, 51, v34
	v_cmp_gt_i32_e32 vcc, s27, v37
	v_cmp_gt_i32_e64 s[4:5], s27, v34
	global_load_dwordx4 v[46:49], v[38:39], off
	s_nop 0
	global_load_dwordx4 v[38:41], v[38:39], off offset:16
	v_cndmask_b32_e32 v37, v36, v66, vcc
	v_cndmask_b32_e64 v34, v36, v67, s[4:5]
	v_max3_f32 v50, v35, v37, v34
	v_mbcnt_lo_u32_b32 v34, -1, 0
	v_mbcnt_hi_u32_b32 v51, -1, v34
	v_and_b32_e32 v34, 64, v51
	v_add_u32_e32 v52, 64, v34
	v_xor_b32_e32 v34, 32, v51
	v_cmp_lt_i32_e64 s[38:39], v34, v52
	s_nop 1
	v_cndmask_b32_e64 v34, v51, v34, s[38:39]
	v_lshlrev_b32_e32 v87, 2, v34
	ds_bpermute_b32 v53, v87, v50
	v_lshl_add_u64 v[34:35], v[80:81], 0, v[54:55]
	global_load_dwordx4 v[42:45], v[34:35], off
	s_nop 0
	global_load_dwordx4 v[34:37], v[34:35], off offset:16
	s_waitcnt lgkmcnt(0)
	v_max_f32_e32 v53, v53, v53
	v_max_f32_e32 v62, v50, v53
	v_xor_b32_e32 v50, 16, v51
	v_cmp_lt_i32_e64 s[38:39], v50, v52
	s_nop 1
	v_cndmask_b32_e64 v50, v51, v50, s[38:39]
	v_lshlrev_b32_e32 v89, 2, v50
	ds_bpermute_b32 v63, v89, v62
	v_lshl_add_u64 v[50:51], v[80:81], 0, v[56:57]
	global_load_dwordx4 v[54:57], v[50:51], off
	s_nop 0
	global_load_dwordx4 v[50:53], v[50:51], off offset:16
	s_waitcnt lgkmcnt(0)
	v_max_f32_e32 v63, v63, v63
	v_max_f32_e32 v86, v62, v63
	v_sub_f32_e32 v60, v60, v86
	v_mul_f32_e32 v60, 0x3fb8aa3b, v60
	v_exp_f32_e32 v80, v60
	v_sub_f32_e32 v60, v61, v86
	v_mul_f32_e32 v60, 0x3fb8aa3b, v60
	v_exp_f32_e32 v81, v60
	global_load_dwordx4 v[62:65], v[58:59], off
	s_nop 0
	global_load_dwordx4 v[58:61], v[58:59], off offset:16
	v_sub_f32_e32 v78, v78, v86
	v_mul_f32_e32 v78, 0x3fb8aa3b, v78
	v_sub_f32_e32 v79, v79, v86
	v_exp_f32_e32 v78, v78
	v_mul_f32_e32 v79, 0x3fb8aa3b, v79
	v_sub_f32_e32 v76, v76, v86
	v_exp_f32_e32 v79, v79
	v_mul_f32_e32 v76, 0x3fb8aa3b, v76
	v_sub_f32_e32 v77, v77, v86
	v_cndmask_b32_e64 v80, 0, v80, s[28:29]
	v_exp_f32_e32 v76, v76
	v_mul_f32_e32 v77, 0x3fb8aa3b, v77
	v_sub_f32_e32 v74, v74, v86
	v_add_f32_e32 v91, 0, v80
	v_cndmask_b32_e64 v81, 0, v81, s[30:31]
	v_exp_f32_e32 v77, v77
	v_mul_f32_e32 v74, 0x3fb8aa3b, v74
	v_sub_f32_e32 v75, v75, v86
	v_add_f32_e32 v91, v91, v81
	;; [unrolled: 5-line block ×10, first 2 shown]
	v_cndmask_b32_e64 v70, 0, v70, s[10:11]
	v_exp_f32_e32 v66, v66
	v_mul_f32_e32 v67, 0x3fb8aa3b, v67
	v_add_f32_e32 v91, v91, v70
	v_cndmask_b32_e64 v71, 0, v71, s[12:13]
	v_exp_f32_e32 v67, v67
	v_add_f32_e32 v91, v91, v71
	v_cndmask_b32_e64 v68, 0, v68, s[6:7]
	v_add_f32_e32 v91, v91, v68
	v_cndmask_b32_e64 v69, 0, v69, s[8:9]
	v_add_f32_e32 v91, v91, v69
	v_cndmask_b32_e32 v66, 0, v66, vcc
	v_add_f32_e32 v91, v91, v66
	v_cndmask_b32_e64 v67, 0, v67, s[4:5]
	v_add_f32_e32 v91, v91, v67
	ds_bpermute_b32 v87, v87, v91
	s_load_dword s9, s[0:1], 0x98
	v_cmp_gt_u32_e64 s[4:5], 16, v85
	s_waitcnt lgkmcnt(0)
	s_barrier
	v_add_f32_e32 v87, v91, v87
	ds_bpermute_b32 v89, v89, v87
	s_waitcnt lgkmcnt(0)
	s_and_saveexec_b64 s[6:7], s[4:5]
	s_cbranch_execz .LBB308_17
; %bb.16:
	v_add_f32_e32 v85, v87, v89
	v_lshlrev_b32_e32 v87, 2, v90
	ds_write2st64_b32 v87, v86, v85 offset1:1
.LBB308_17:
	s_or_b64 exec, exec, s[6:7]
	v_lshlrev_b32_e32 v85, 2, v84
	s_load_dword s8, s[0:1], 0x94
	s_waitcnt lgkmcnt(0)
	s_barrier
	ds_read2_b32 v[90:91], v85 offset1:16
	ds_read2_b32 v[92:93], v85 offset0:32 offset1:48
	ds_read2_b32 v[94:95], v85 offset0:64 offset1:80
	s_mul_i32 s9, s9, 5
	s_waitcnt lgkmcnt(2)
	v_max3_f32 v86, v90, s33, v91
	s_waitcnt lgkmcnt(1)
	v_max3_f32 v86, v86, v92, v93
	v_sub_f32_e32 v87, v90, v86
	v_mul_f32_e32 v87, 0x3fb8aa3b, v87
	v_exp_f32_e32 v89, v87
	v_sub_f32_e32 v87, v91, v86
	v_mul_f32_e32 v87, 0x3fb8aa3b, v87
	v_exp_f32_e32 v88, v87
	v_sub_f32_e32 v87, v92, v86
	v_mul_f32_e32 v87, 0x3fb8aa3b, v87
	ds_read2_b32 v[90:91], v85 offset0:96 offset1:112
	v_sub_f32_e32 v85, v93, v86
	v_exp_f32_e32 v92, v87
	v_mul_f32_e32 v85, 0x3fb8aa3b, v85
	v_exp_f32_e32 v85, v85
	s_waitcnt lgkmcnt(1)
	v_fma_f32 v87, v89, v94, 0
	v_fmac_f32_e32 v87, v88, v95
	s_waitcnt lgkmcnt(0)
	v_fmac_f32_e32 v87, v92, v90
	v_fmac_f32_e32 v87, v85, v91
	v_add_f32_e32 v90, 0x358637bd, v87
	v_div_scale_f32 v91, s[6:7], v90, v90, 1.0
	v_rcp_f32_e32 v93, v91
	s_barrier
	v_fma_f32 v94, -v91, v93, 1.0
	v_fmac_f32_e32 v93, v94, v93
	v_div_scale_f32 v94, vcc, 1.0, v90, 1.0
	v_mul_f32_e32 v95, v94, v93
	v_fma_f32 v1, -v91, v95, v94
	v_fmac_f32_e32 v95, v1, v93
	v_fma_f32 v1, -v91, v95, v94
	v_lshrrev_b32_e32 v91, 6, v0
	v_div_fmas_f32 v1, v1, v93, v95
	v_cmp_eq_u32_e32 vcc, 1, v91
	v_div_fixup_f32 v1, v1, v90, 1.0
	s_nop 0
	v_cndmask_b32_e32 v88, v89, v88, vcc
	v_cmp_eq_u32_e32 vcc, 2, v91
	s_nop 1
	v_cndmask_b32_e32 v88, v88, v92, vcc
	v_cmp_eq_u32_e32 vcc, 3, v91
	s_nop 1
	v_cndmask_b32_e32 v85, v88, v85, vcc
	v_mul_f32_e32 v90, v85, v1
	v_pk_mul_f32 v[78:79], v[90:91], v[78:79] op_sel_hi:[0,1]
	v_cvt_f16_f32_e32 v78, v78
	v_cvt_f16_f32_e32 v79, v79
	v_pk_mul_f32 v[80:81], v[90:91], v[80:81] op_sel_hi:[0,1]
	v_cvt_f16_f32_e32 v1, v80
	v_cvt_f16_f32_e32 v80, v81
	v_pk_mul_f32 v[74:75], v[90:91], v[74:75] op_sel_hi:[0,1]
	v_pk_mul_f32 v[76:77], v[90:91], v[76:77] op_sel_hi:[0,1]
	v_pack_b32_f16 v81, v78, v79
	v_cvt_f16_f32_e32 v76, v76
	v_cvt_f16_f32_e32 v77, v77
	v_cvt_f16_f32_e32 v79, v74
	v_cvt_f16_f32_e32 v75, v75
	v_bfe_u32 v88, v0, 4, 2
	v_pack_b32_f16 v80, v1, v80
	v_lshlrev_b32_e32 v1, 3, v88
	v_lshlrev_b32_e32 v78, 5, v84
	v_lshlrev_b32_e32 v74, 11, v91
	v_or3_b32 v1, v74, v78, v1
	v_pack_b32_f16 v74, v76, v77
	v_pack_b32_f16 v75, v79, v75
	v_pk_mul_f32 v[70:71], v[90:91], v[70:71] op_sel_hi:[0,1]
	v_pk_mul_f32 v[72:73], v[90:91], v[72:73] op_sel_hi:[0,1]
	;; [unrolled: 1-line block ×4, first 2 shown]
	ds_write2st64_b64 v1, v[80:81], v[74:75] offset1:1
	v_cvt_f16_f32_e32 v72, v72
	v_cvt_f16_f32_e32 v73, v73
	;; [unrolled: 1-line block ×8, first 2 shown]
	v_pack_b32_f16 v66, v72, v73
	v_pack_b32_f16 v67, v70, v71
	;; [unrolled: 1-line block ×4, first 2 shown]
	v_cmp_gt_u32_e32 vcc, 5, v0
	ds_write2st64_b64 v1, v[66:67], v[68:69] offset0:2 offset1:3
	s_and_saveexec_b64 s[6:7], vcc
	s_cbranch_execz .LBB308_19
; %bb.18:
	s_mov_b32 s41, 0
	v_mov_b32_e32 v85, 0
	v_lshl_add_u64 v[66:67], s[40:41], 0, v[84:85]
	v_mov_b32_e32 v68, s9
	v_mad_u64_u32 v[66:67], s[10:11], s2, v68, v[66:67]
	s_mul_i32 s3, s3, s9
	v_mov_b32_e32 v68, s26
	v_mov_b32_e32 v69, v85
	s_load_dwordx4 s[12:15], s[0:1], 0x58
	v_add_u32_e32 v70, s3, v67
	v_mad_u64_u32 v[66:67], s[10:11], v66, s8, v[68:69]
	v_mov_b32_e32 v68, v67
	v_mad_u64_u32 v[68:69], s[10:11], v70, s8, v[68:69]
	v_mov_b32_e32 v67, v68
	v_lshlrev_b64 v[66:67], 2, v[66:67]
	s_waitcnt lgkmcnt(0)
	v_lshl_add_u64 v[68:69], s[14:15], 0, v[66:67]
	v_lshl_add_u64 v[66:67], s[12:13], 0, v[66:67]
	global_store_dword v[68:69], v86, off
	global_store_dword v[66:67], v87, off
.LBB308_19:
	s_or_b64 exec, exec, s[6:7]
	v_lshl_or_b32 v78, v88, 9, v78
	s_waitcnt lgkmcnt(0)
	s_barrier
	ds_read_b128 v[70:73], v78
	ds_read_b128 v[66:69], v78 offset:16
	s_waitcnt vmcnt(15) lgkmcnt(1)
	v_mfma_f32_16x16x16_f16 v[74:77], v[30:31], v[70:71], 0
	s_mov_b32 s3, 0
	v_cmp_gt_u32_e32 vcc, 64, v0
	v_mfma_f32_16x16x16_f16 v[30:33], v[32:33], v[72:73], v[74:77]
	s_waitcnt vmcnt(14) lgkmcnt(0)
	v_mfma_f32_16x16x16_f16 v[30:33], v[26:27], v[66:67], v[30:33]
	v_mfma_f32_16x16x16_f16 v[26:29], v[28:29], v[68:69], v[30:33]
	s_nop 5
	ds_read_b128 v[30:33], v78 offset:2048
	ds_read_b128 v[74:77], v78 offset:2064
	s_waitcnt vmcnt(13) lgkmcnt(1)
	v_mfma_f32_16x16x16_f16 v[26:29], v[22:23], v[30:31], v[26:29]
	v_mfma_f32_16x16x16_f16 v[22:25], v[24:25], v[32:33], v[26:29]
	s_waitcnt vmcnt(12) lgkmcnt(0)
	v_mfma_f32_16x16x16_f16 v[22:25], v[18:19], v[74:75], v[22:25]
	v_mfma_f32_16x16x16_f16 v[18:21], v[20:21], v[76:77], v[22:25]
	s_nop 5
	ds_read_b128 v[22:25], v78 offset:4096
	ds_read_b128 v[26:29], v78 offset:4112
	s_waitcnt vmcnt(11) lgkmcnt(1)
	v_mfma_f32_16x16x16_f16 v[18:21], v[14:15], v[22:23], v[18:21]
	v_mfma_f32_16x16x16_f16 v[14:17], v[16:17], v[24:25], v[18:21]
	s_waitcnt vmcnt(10) lgkmcnt(0)
	v_mfma_f32_16x16x16_f16 v[14:17], v[10:11], v[26:27], v[14:17]
	v_mfma_f32_16x16x16_f16 v[10:13], v[12:13], v[28:29], v[14:17]
	s_nop 5
	ds_read_b128 v[14:17], v78 offset:6144
	ds_read_b128 v[18:21], v78 offset:6160
	s_waitcnt lgkmcnt(0)
	s_barrier
	s_waitcnt vmcnt(9)
	v_mfma_f32_16x16x16_f16 v[10:13], v[6:7], v[14:15], v[10:13]
	v_mfma_f32_16x16x16_f16 v[6:9], v[8:9], v[16:17], v[10:13]
	s_waitcnt vmcnt(8)
	v_mfma_f32_16x16x16_f16 v[6:9], v[2:3], v[18:19], v[6:9]
	v_mfma_f32_16x16x16_f16 v[2:5], v[4:5], v[20:21], v[6:9]
	;; [unrolled: 3-line block ×3, first 2 shown]
	s_nop 3
	v_cvt_f16_f32_e32 v10, v2
	v_cvt_f16_f32_e32 v11, v3
	;; [unrolled: 1-line block ×3, first 2 shown]
	s_waitcnt vmcnt(6)
	v_mfma_f32_16x16x16_f16 v[6:9], v[38:39], v[66:67], v[6:9]
	v_cvt_f16_f32_e32 v13, v5
	v_mfma_f32_16x16x16_f16 v[6:9], v[40:41], v[68:69], v[6:9]
	s_waitcnt vmcnt(5)
	v_mfma_f32_16x16x16_f16 v[6:9], v[42:43], v[30:31], v[6:9]
	v_mfma_f32_16x16x16_f16 v[6:9], v[44:45], v[32:33], v[6:9]
	s_waitcnt vmcnt(4)
	v_mfma_f32_16x16x16_f16 v[6:9], v[34:35], v[74:75], v[6:9]
	;; [unrolled: 3-line block ×6, first 2 shown]
	v_mfma_f32_16x16x16_f16 v[2:5], v[60:61], v[20:21], v[6:9]
	s_nop 6
	v_cvt_f16_f32_e32 v6, v2
	v_cvt_f16_f32_e32 v7, v3
	;; [unrolled: 1-line block ×4, first 2 shown]
	v_pack_b32_f16 v2, v10, v11
	v_pack_b32_f16 v3, v12, v13
	;; [unrolled: 1-line block ×4, first 2 shown]
	ds_write2st64_b64 v1, v[2:3], v[4:5] offset1:1
	s_waitcnt lgkmcnt(0)
	s_barrier
	s_and_saveexec_b64 s[6:7], vcc
	s_cbranch_execz .LBB308_22
; %bb.20:
	s_load_dwordx2 s[6:7], s[0:1], 0x68
	s_lshl_b32 s0, s8, 7
	s_mul_i32 s1, s9, s2
	v_lshlrev_b32_e32 v3, 6, v84
	s_mul_hi_u32 s9, s1, s0
	s_mul_i32 s8, s1, s0
	v_lshlrev_b32_e32 v2, 4, v0
	v_lshl_or_b32 v0, v0, 10, v3
	s_lshl_b64 s[8:9], s[8:9], 1
	v_lshlrev_b32_e32 v1, 5, v88
	v_and_b32_e32 v2, 16, v2
	v_and_b32_e32 v0, 0x1a00, v0
	s_waitcnt lgkmcnt(0)
	s_add_u32 s1, s6, s8
	v_or3_b32 v2, v0, v1, v2
	s_addc_u32 s6, s7, s9
	s_lshl_b32 s2, s26, 7
	s_lshl_b64 s[2:3], s[2:3], 1
	ds_read_b128 v[4:7], v2
	s_add_u32 s2, s1, s2
	s_addc_u32 s3, s6, s3
	v_add_u32_e32 v3, s40, v88
	v_lshl_add_u64 v[0:1], v[82:83], 1, s[2:3]
	v_mad_u64_u32 v[8:9], s[2:3], v3, s0, 0
	v_lshl_add_u64 v[8:9], v[8:9], 1, v[0:1]
	s_waitcnt lgkmcnt(0)
	global_store_dwordx4 v[8:9], v[4:7], off
	s_and_b64 exec, exec, s[4:5]
	s_cbranch_execz .LBB308_22
; %bb.21:
	ds_read_b128 v[2:5], v2 offset:128
	v_add3_u32 v6, s40, v88, 4
	v_mad_u64_u32 v[6:7], s[0:1], v6, s0, 0
	v_lshl_add_u64 v[0:1], v[6:7], 1, v[0:1]
	s_waitcnt lgkmcnt(0)
	global_store_dwordx4 v[0:1], v[2:5], off
.LBB308_22:
	s_endpgm
	.section	.rodata,"a",@progbits
	.p2align	6, 0x0
	.amdhsa_kernel _Z39paged_attention_ll4mi_QKV_mfma16_kernelIDF16_DF16_LN4vllm18Fp8KVCacheDataTypeE0EhLi32ELi128ELi256ELb1ELi5EEvPKT_PKT0_S7_ifPKiS9_S9_iPKfiiiPfSC_PS2_PT2_iSB_SB_
		.amdhsa_group_segment_fixed_size 8192
		.amdhsa_private_segment_fixed_size 0
		.amdhsa_kernarg_size 400
		.amdhsa_user_sgpr_count 2
		.amdhsa_user_sgpr_dispatch_ptr 0
		.amdhsa_user_sgpr_queue_ptr 0
		.amdhsa_user_sgpr_kernarg_segment_ptr 1
		.amdhsa_user_sgpr_dispatch_id 0
		.amdhsa_user_sgpr_kernarg_preload_length 0
		.amdhsa_user_sgpr_kernarg_preload_offset 0
		.amdhsa_user_sgpr_private_segment_size 0
		.amdhsa_uses_dynamic_stack 0
		.amdhsa_enable_private_segment 0
		.amdhsa_system_sgpr_workgroup_id_x 1
		.amdhsa_system_sgpr_workgroup_id_y 1
		.amdhsa_system_sgpr_workgroup_id_z 1
		.amdhsa_system_sgpr_workgroup_info 0
		.amdhsa_system_vgpr_workitem_id 0
		.amdhsa_next_free_vgpr 96
		.amdhsa_next_free_sgpr 42
		.amdhsa_accum_offset 96
		.amdhsa_reserve_vcc 1
		.amdhsa_float_round_mode_32 0
		.amdhsa_float_round_mode_16_64 0
		.amdhsa_float_denorm_mode_32 3
		.amdhsa_float_denorm_mode_16_64 3
		.amdhsa_dx10_clamp 1
		.amdhsa_ieee_mode 1
		.amdhsa_fp16_overflow 0
		.amdhsa_tg_split 0
		.amdhsa_exception_fp_ieee_invalid_op 0
		.amdhsa_exception_fp_denorm_src 0
		.amdhsa_exception_fp_ieee_div_zero 0
		.amdhsa_exception_fp_ieee_overflow 0
		.amdhsa_exception_fp_ieee_underflow 0
		.amdhsa_exception_fp_ieee_inexact 0
		.amdhsa_exception_int_div_zero 0
	.end_amdhsa_kernel
	.section	.text._Z39paged_attention_ll4mi_QKV_mfma16_kernelIDF16_DF16_LN4vllm18Fp8KVCacheDataTypeE0EhLi32ELi128ELi256ELb1ELi5EEvPKT_PKT0_S7_ifPKiS9_S9_iPKfiiiPfSC_PS2_PT2_iSB_SB_,"axG",@progbits,_Z39paged_attention_ll4mi_QKV_mfma16_kernelIDF16_DF16_LN4vllm18Fp8KVCacheDataTypeE0EhLi32ELi128ELi256ELb1ELi5EEvPKT_PKT0_S7_ifPKiS9_S9_iPKfiiiPfSC_PS2_PT2_iSB_SB_,comdat
.Lfunc_end308:
	.size	_Z39paged_attention_ll4mi_QKV_mfma16_kernelIDF16_DF16_LN4vllm18Fp8KVCacheDataTypeE0EhLi32ELi128ELi256ELb1ELi5EEvPKT_PKT0_S7_ifPKiS9_S9_iPKfiiiPfSC_PS2_PT2_iSB_SB_, .Lfunc_end308-_Z39paged_attention_ll4mi_QKV_mfma16_kernelIDF16_DF16_LN4vllm18Fp8KVCacheDataTypeE0EhLi32ELi128ELi256ELb1ELi5EEvPKT_PKT0_S7_ifPKiS9_S9_iPKfiiiPfSC_PS2_PT2_iSB_SB_
                                        ; -- End function
	.section	.AMDGPU.csdata,"",@progbits
; Kernel info:
; codeLenInByte = 4872
; NumSgprs: 48
; NumVgprs: 96
; NumAgprs: 0
; TotalNumVgprs: 96
; ScratchSize: 0
; MemoryBound: 0
; FloatMode: 240
; IeeeMode: 1
; LDSByteSize: 8192 bytes/workgroup (compile time only)
; SGPRBlocks: 5
; VGPRBlocks: 11
; NumSGPRsForWavesPerEU: 48
; NumVGPRsForWavesPerEU: 96
; AccumOffset: 96
; Occupancy: 5
; WaveLimiterHint : 1
; COMPUTE_PGM_RSRC2:SCRATCH_EN: 0
; COMPUTE_PGM_RSRC2:USER_SGPR: 2
; COMPUTE_PGM_RSRC2:TRAP_HANDLER: 0
; COMPUTE_PGM_RSRC2:TGID_X_EN: 1
; COMPUTE_PGM_RSRC2:TGID_Y_EN: 1
; COMPUTE_PGM_RSRC2:TGID_Z_EN: 1
; COMPUTE_PGM_RSRC2:TIDIG_COMP_CNT: 0
; COMPUTE_PGM_RSRC3_GFX90A:ACCUM_OFFSET: 23
; COMPUTE_PGM_RSRC3_GFX90A:TG_SPLIT: 0
	.section	.text._Z39paged_attention_ll4mi_QKV_mfma16_kernelIDF16_DF16_LN4vllm18Fp8KVCacheDataTypeE0EhLi32ELi128ELi256ELb1ELi6EEvPKT_PKT0_S7_ifPKiS9_S9_iPKfiiiPfSC_PS2_PT2_iSB_SB_,"axG",@progbits,_Z39paged_attention_ll4mi_QKV_mfma16_kernelIDF16_DF16_LN4vllm18Fp8KVCacheDataTypeE0EhLi32ELi128ELi256ELb1ELi6EEvPKT_PKT0_S7_ifPKiS9_S9_iPKfiiiPfSC_PS2_PT2_iSB_SB_,comdat
	.protected	_Z39paged_attention_ll4mi_QKV_mfma16_kernelIDF16_DF16_LN4vllm18Fp8KVCacheDataTypeE0EhLi32ELi128ELi256ELb1ELi6EEvPKT_PKT0_S7_ifPKiS9_S9_iPKfiiiPfSC_PS2_PT2_iSB_SB_ ; -- Begin function _Z39paged_attention_ll4mi_QKV_mfma16_kernelIDF16_DF16_LN4vllm18Fp8KVCacheDataTypeE0EhLi32ELi128ELi256ELb1ELi6EEvPKT_PKT0_S7_ifPKiS9_S9_iPKfiiiPfSC_PS2_PT2_iSB_SB_
	.globl	_Z39paged_attention_ll4mi_QKV_mfma16_kernelIDF16_DF16_LN4vllm18Fp8KVCacheDataTypeE0EhLi32ELi128ELi256ELb1ELi6EEvPKT_PKT0_S7_ifPKiS9_S9_iPKfiiiPfSC_PS2_PT2_iSB_SB_
	.p2align	8
	.type	_Z39paged_attention_ll4mi_QKV_mfma16_kernelIDF16_DF16_LN4vllm18Fp8KVCacheDataTypeE0EhLi32ELi128ELi256ELb1ELi6EEvPKT_PKT0_S7_ifPKiS9_S9_iPKfiiiPfSC_PS2_PT2_iSB_SB_,@function
_Z39paged_attention_ll4mi_QKV_mfma16_kernelIDF16_DF16_LN4vllm18Fp8KVCacheDataTypeE0EhLi32ELi128ELi256ELb1ELi6EEvPKT_PKT0_S7_ifPKiS9_S9_iPKfiiiPfSC_PS2_PT2_iSB_SB_: ; @_Z39paged_attention_ll4mi_QKV_mfma16_kernelIDF16_DF16_LN4vllm18Fp8KVCacheDataTypeE0EhLi32ELi128ELi256ELb1ELi6EEvPKT_PKT0_S7_ifPKiS9_S9_iPKfiiiPfSC_PS2_PT2_iSB_SB_
; %bb.0:
	s_load_dwordx2 s[8:9], s[0:1], 0x30
	s_mov_b32 s26, s3
	s_mov_b64 s[6:7], 0
	s_waitcnt lgkmcnt(0)
	s_cmp_lg_u64 s[8:9], 0
	s_cselect_b64 s[10:11], -1, 0
	s_and_b64 vcc, exec, s[10:11]
	s_cbranch_vccz .LBB309_7
; %bb.1:
	s_add_i32 s12, s2, 1
	s_mov_b32 s13, 0
	s_lshl_b64 s[14:15], s[12:13], 2
	s_add_u32 s14, s8, s14
	s_mov_b32 s3, s13
	s_addc_u32 s15, s9, s15
	s_lshl_b64 s[12:13], s[2:3], 2
	s_add_u32 s12, s8, s12
	s_addc_u32 s13, s9, s13
	s_load_dword s5, s[14:15], 0x0
	s_load_dword s16, s[12:13], 0x0
	s_waitcnt lgkmcnt(0)
	s_sub_i32 s5, s5, s16
	s_cmp_eq_u32 s5, 1
	s_cselect_b64 s[12:13], -1, 0
	s_andn2_b64 vcc, exec, s[6:7]
	s_cbranch_vccnz .LBB309_3
.LBB309_2:
	s_mov_b32 s3, 0
	s_mov_b64 s[12:13], -1
.LBB309_3:
	s_andn2_b64 vcc, exec, s[12:13]
	s_cbranch_vccnz .LBB309_22
; %bb.4:
	s_load_dwordx2 s[6:7], s[0:1], 0x28
	s_lshl_b64 s[12:13], s[2:3], 2
	s_waitcnt lgkmcnt(0)
	s_add_u32 s6, s6, s12
	s_addc_u32 s7, s7, s13
	s_load_dword s27, s[6:7], 0x0
	s_lshl_b32 s18, s26, 8
	s_waitcnt lgkmcnt(0)
	s_cmp_ge_i32 s18, s27
	s_cbranch_scc1 .LBB309_22
; %bb.5:
	s_load_dwordx2 s[6:7], s[0:1], 0x20
	s_load_dword s5, s[0:1], 0x38
	s_add_i32 s14, s27, 31
	s_ashr_i32 s15, s14, 31
	v_and_b32_e32 v1, 0xcf, v0
	s_lshr_b32 s15, s15, 27
	v_add_u32_e32 v1, s18, v1
	s_add_i32 s14, s14, s15
	v_ashrrev_i32_e32 v2, 31, v1
	s_ashr_i32 s19, s14, 5
	v_lshrrev_b32_e32 v4, 27, v2
	s_add_i32 s19, s19, -1
	s_waitcnt lgkmcnt(0)
	s_mul_i32 s14, s2, s5
	s_mov_b32 s15, 0
	v_add_u32_e32 v2, v1, v4
	s_lshl_b64 s[14:15], s[14:15], 2
	v_ashrrev_i32_e32 v2, 5, v2
	v_mov_b32_e32 v5, s19
	v_cmp_gt_i32_e32 vcc, s27, v1
	s_add_u32 s6, s6, s14
	s_addc_u32 s7, s7, s15
	v_cndmask_b32_e32 v2, v5, v2, vcc
	v_ashrrev_i32_e32 v3, 31, v2
	v_lshl_add_u64 v[6:7], v[2:3], 2, s[6:7]
	v_or_b32_e32 v2, 16, v1
	v_add_u32_e32 v3, v2, v4
	v_ashrrev_i32_e32 v3, 5, v3
	v_cmp_gt_i32_e32 vcc, s27, v2
	s_nop 1
	v_cndmask_b32_e32 v2, v5, v3, vcc
	v_ashrrev_i32_e32 v3, 31, v2
	v_lshl_add_u64 v[8:9], v[2:3], 2, s[6:7]
	v_or_b32_e32 v2, 32, v1
	v_add_u32_e32 v3, v2, v4
	v_ashrrev_i32_e32 v3, 5, v3
	v_cmp_gt_i32_e32 vcc, s27, v2
	v_or_b32_e32 v1, 48, v1
	s_nop 0
	v_cndmask_b32_e32 v2, v5, v3, vcc
	v_ashrrev_i32_e32 v3, 31, v2
	v_lshl_add_u64 v[10:11], v[2:3], 2, s[6:7]
	v_add_u32_e32 v2, v1, v4
	v_ashrrev_i32_e32 v2, 5, v2
	v_cmp_gt_i32_e32 vcc, s27, v1
	s_nop 1
	v_cndmask_b32_e32 v2, v5, v2, vcc
	v_ashrrev_i32_e32 v3, 31, v2
	v_lshl_add_u64 v[12:13], v[2:3], 2, s[6:7]
	global_load_dword v5, v[6:7], off
	global_load_dword v4, v[8:9], off
	;; [unrolled: 1-line block ×4, first 2 shown]
	s_andn2_b64 vcc, exec, s[10:11]
	s_cbranch_vccnz .LBB309_8
; %bb.6:
	s_add_u32 s8, s8, s12
	s_addc_u32 s9, s9, s13
	s_load_dword s5, s[8:9], 0x0
	s_branch .LBB309_9
.LBB309_7:
	s_mov_b64 s[12:13], 0
	s_branch .LBB309_2
.LBB309_8:
	s_mov_b32 s5, s2
.LBB309_9:
	s_load_dwordx2 s[14:15], s[0:1], 0x8
	s_load_dwordx4 s[8:11], s[0:1], 0x48
	v_lshrrev_b32_e32 v88, 6, v0
	v_bfe_u32 v1, v0, 4, 2
	v_lshl_or_b32 v6, v88, 2, v1
	v_and_b32_e32 v84, 15, v0
	v_lshlrev_b32_e32 v82, 3, v84
	v_cmp_lt_u32_e32 vcc, 5, v6
	s_and_saveexec_b64 s[12:13], vcc
	s_xor_b64 s[12:13], exec, s[12:13]
; %bb.10:
	v_mov_b32_e32 v83, 0
                                        ; implicit-def: $vgpr6
; %bb.11:
	s_or_saveexec_b64 s[16:17], s[12:13]
	s_load_dwordx2 s[12:13], s[0:1], 0x10
	s_mul_i32 s40, s4, 6
	s_xor_b64 exec, exec, s[16:17]
	s_cbranch_execz .LBB309_13
; %bb.12:
	s_load_dwordx2 s[20:21], s[0:1], 0x0
	s_waitcnt lgkmcnt(0)
	s_ashr_i32 s11, s8, 31
	s_mul_hi_u32 s22, s5, s8
	s_mul_i32 s11, s5, s11
	s_add_i32 s23, s22, s11
	s_mul_i32 s22, s5, s8
	s_lshl_b64 s[22:23], s[22:23], 1
	s_add_u32 s20, s20, s22
	v_add_lshl_u32 v8, v6, s40, 7
	s_addc_u32 s21, s21, s23
	v_ashrrev_i32_e32 v9, 31, v8
	v_mov_b32_e32 v83, 0
	v_lshl_add_u64 v[8:9], v[8:9], 1, s[20:21]
	v_lshlrev_b32_e32 v10, 1, v82
	v_mov_b32_e32 v11, v83
	v_lshl_add_u64 v[8:9], v[8:9], 0, v[10:11]
	global_load_dwordx4 v[8:11], v[8:9], off
	v_and_b32_e32 v7, 3, v0
	v_lshlrev_b32_e32 v12, 9, v84
	v_lshlrev_b32_e32 v6, 5, v6
	;; [unrolled: 1-line block ×3, first 2 shown]
	v_and_b32_e32 v12, 0x1800, v12
	v_or3_b32 v6, v12, v7, v6
	s_waitcnt vmcnt(0)
	ds_write_b128 v6, v[8:11]
.LBB309_13:
	s_or_b64 exec, exec, s[16:17]
	s_waitcnt lgkmcnt(0)
	s_mul_i32 s4, s4, s10
	s_mov_b32 s5, 0
	s_lshl_b64 s[4:5], s[4:5], 1
	s_add_u32 s10, s14, s4
	s_addc_u32 s11, s15, s5
	s_waitcnt vmcnt(3)
	v_mad_i64_i32 v[6:7], s[14:15], v5, s9, 0
	v_lshl_add_u64 v[6:7], v[6:7], 1, s[10:11]
	v_lshlrev_b64 v[8:9], 1, v[82:83]
	v_lshlrev_b32_e32 v86, 9, v1
	v_lshl_add_u64 v[6:7], v[6:7], 0, v[8:9]
	v_mov_b32_e32 v87, 0
	v_lshl_add_u64 v[10:11], v[6:7], 0, v[86:87]
	v_or_b32_e32 v14, 0x1000, v86
	v_mov_b32_e32 v15, v87
	v_or_b32_e32 v16, 0x1800, v86
	v_mov_b32_e32 v17, v87
	s_barrier
	global_load_dwordx4 v[66:69], v[10:11], off
	global_load_dwordx4 v[62:65], v[10:11], off offset:2048
	v_lshl_add_u64 v[10:11], v[6:7], 0, v[14:15]
	v_lshl_add_u64 v[6:7], v[6:7], 0, v[16:17]
	global_load_dwordx4 v[78:81], v[10:11], off
	global_load_dwordx4 v[74:77], v[6:7], off
	s_waitcnt vmcnt(6)
	v_mad_i64_i32 v[4:5], s[14:15], v4, s9, 0
	v_mov_b32_e32 v6, 0x100
	v_lshl_add_u64 v[4:5], v[4:5], 1, s[10:11]
	v_lshl_or_b32 v6, v84, 4, v6
	v_mov_b32_e32 v7, v87
	v_lshl_add_u64 v[4:5], v[4:5], 0, v[6:7]
	v_lshl_add_u64 v[10:11], v[4:5], 0, v[86:87]
	global_load_dwordx4 v[70:73], v[10:11], off
	global_load_dwordx4 v[58:61], v[10:11], off offset:2048
	v_lshl_add_u64 v[10:11], v[4:5], 0, v[14:15]
	v_lshl_add_u64 v[4:5], v[4:5], 0, v[16:17]
	global_load_dwordx4 v[54:57], v[10:11], off
	global_load_dwordx4 v[30:33], v[4:5], off
	s_waitcnt vmcnt(9)
	v_mad_i64_i32 v[4:5], s[14:15], v3, s9, 0
	v_lshl_add_u64 v[4:5], v[4:5], 1, s[10:11]
	s_waitcnt vmcnt(8)
	v_mad_i64_i32 v[2:3], s[14:15], v2, s9, 0
	v_lshl_add_u64 v[4:5], v[4:5], 0, v[8:9]
	v_lshl_add_u64 v[2:3], v[2:3], 1, s[10:11]
	;; [unrolled: 1-line block ×4, first 2 shown]
	global_load_dwordx4 v[26:29], v[8:9], off
	global_load_dwordx4 v[22:25], v[8:9], off offset:2048
	v_lshl_add_u64 v[8:9], v[4:5], 0, v[14:15]
	v_lshl_add_u64 v[4:5], v[4:5], 0, v[16:17]
	;; [unrolled: 1-line block ×4, first 2 shown]
	global_load_dwordx4 v[18:21], v[8:9], off
	global_load_dwordx4 v[10:13], v[4:5], off
	s_nop 0
	global_load_dwordx4 v[6:9], v[2:3], off
	s_nop 0
	global_load_dwordx4 v[2:5], v[2:3], off offset:2048
	v_lshl_add_u64 v[16:17], v[34:35], 0, v[16:17]
	global_load_dwordx4 v[38:41], v[14:15], off
	global_load_dwordx4 v[34:37], v[16:17], off
	v_mul_lo_u16_e32 v14, 43, v84
	v_mov_b32_e32 v15, 6
	v_mul_lo_u16_sdwa v14, v14, v15 dst_sel:DWORD dst_unused:UNUSED_PAD src0_sel:BYTE_1 src1_sel:DWORD
	v_sub_u16_e32 v14, v84, v14
	v_and_b32_e32 v14, 0xff, v14
	v_lshl_add_u32 v42, v14, 5, v86
	ds_read_b128 v[14:17], v42
	ds_read_b128 v[50:53], v42 offset:2048
	ds_read_b128 v[46:49], v42 offset:4096
	ds_read_b128 v[42:45], v42 offset:6144
	v_and_b32_e32 v85, 63, v0
	v_cmp_gt_u32_e32 vcc, 6, v84
	v_mov_b32_e32 v89, 0
	s_and_saveexec_b64 s[10:11], vcc
	s_cbranch_execz .LBB309_15
; %bb.14:
	s_load_dwordx2 s[14:15], s[0:1], 0x40
	v_add_u32_e32 v90, s40, v84
	v_ashrrev_i32_e32 v91, 31, v90
	s_waitcnt lgkmcnt(0)
	v_lshl_add_u64 v[90:91], v[90:91], 2, s[14:15]
	global_load_dword v89, v[90:91], off
.LBB309_15:
	s_or_b64 exec, exec, s[10:11]
	s_waitcnt vmcnt(15) lgkmcnt(3)
	v_mfma_f32_16x16x16_f16 v[90:93], v[66:67], v[14:15], 0
	s_ashr_i32 s8, s18, 31
	s_lshr_b32 s8, s8, 27
	s_add_u32 s4, s12, s4
	v_mfma_f32_16x16x16_f16 v[66:69], v[68:69], v[16:17], v[90:93]
	s_addc_u32 s5, s13, s5
	s_mov_b32 s33, 0xff7fffff
	s_waitcnt vmcnt(14) lgkmcnt(2)
	v_mfma_f32_16x16x16_f16 v[66:69], v[62:63], v[50:51], v[66:69]
	v_lshl_or_b32 v90, v88, 4, v84
	v_mfma_f32_16x16x16_f16 v[62:65], v[64:65], v[52:53], v[66:69]
	s_waitcnt vmcnt(13) lgkmcnt(1)
	v_mfma_f32_16x16x16_f16 v[62:65], v[78:79], v[46:47], v[62:65]
	v_mfma_f32_16x16x16_f16 v[62:65], v[80:81], v[48:49], v[62:65]
	s_waitcnt vmcnt(12) lgkmcnt(0)
	v_mfma_f32_16x16x16_f16 v[62:65], v[74:75], v[42:43], v[62:65]
	v_and_or_b32 v74, v0, 48, s18
	v_add_u32_e32 v66, s8, v74
	v_ashrrev_i32_e32 v75, 5, v66
	s_waitcnt vmcnt(11)
	v_mfma_f32_16x16x16_f16 v[66:69], v[70:71], v[14:15], 0
	v_cmp_gt_i32_e32 vcc, s27, v74
	v_mfma_f32_16x16x16_f16 v[66:69], v[72:73], v[16:17], v[66:69]
	v_or_b32_e32 v72, 64, v74
	v_add_u32_e32 v73, s8, v72
	s_waitcnt vmcnt(10)
	v_mfma_f32_16x16x16_f16 v[66:69], v[58:59], v[50:51], v[66:69]
	v_ashrrev_i32_e32 v58, 5, v73
	v_mfma_f32_16x16x16_f16 v[62:65], v[76:77], v[44:45], v[62:65]
	v_mov_b32_e32 v76, s19
	v_cndmask_b32_e32 v70, v76, v75, vcc
	v_cmp_gt_i32_e32 vcc, s27, v72
	v_ashrrev_i32_e32 v71, 31, v70
	v_lshl_add_u64 v[70:71], v[70:71], 2, s[6:7]
	v_cndmask_b32_e32 v72, v76, v58, vcc
	v_mfma_f32_16x16x16_f16 v[58:61], v[60:61], v[52:53], v[66:69]
	v_ashrrev_i32_e32 v73, 31, v72
	s_waitcnt vmcnt(9)
	v_mfma_f32_16x16x16_f16 v[58:61], v[54:55], v[46:47], v[58:61]
	v_lshl_add_u64 v[66:67], v[72:73], 2, s[6:7]
	global_load_dword v72, v[70:71], off
	global_load_dword v75, v[66:67], off
	v_or_b32_e32 v66, 0x80, v74
	v_add_u32_e32 v67, s8, v66
	v_mfma_f32_16x16x16_f16 v[54:57], v[56:57], v[48:49], v[58:61]
	v_cmp_gt_i32_e32 vcc, s27, v66
	s_nop 1
	v_ashrrev_i32_e32 v58, 5, v67
	v_cndmask_b32_e32 v58, v76, v58, vcc
	v_ashrrev_i32_e32 v59, 31, v58
	s_waitcnt vmcnt(10)
	v_mfma_f32_16x16x16_f16 v[54:57], v[30:31], v[42:43], v[54:57]
	v_lshl_add_u64 v[30:31], v[58:59], 2, s[6:7]
	global_load_dword v58, v[30:31], off
	v_mfma_f32_16x16x16_f16 v[66:69], v[32:33], v[44:45], v[54:57]
	s_nop 3
	v_or_b32_e32 v54, 0xc0, v74
	v_add_u32_e32 v30, s8, v54
	v_ashrrev_i32_e32 v55, 5, v30
	v_cmp_gt_i32_e32 vcc, s27, v54
	s_waitcnt vmcnt(10)
	v_mfma_f32_16x16x16_f16 v[30:33], v[26:27], v[14:15], 0
	v_cndmask_b32_e32 v26, v76, v55, vcc
	v_ashrrev_i32_e32 v27, 31, v26
	v_lshl_add_u64 v[54:55], v[26:27], 2, s[6:7]
	global_load_dword v59, v[54:55], off
	v_mfma_f32_16x16x16_f16 v[26:29], v[28:29], v[16:17], v[30:33]
	s_load_dword s6, s[0:1], 0x1c
	s_waitcnt lgkmcnt(0)
	v_pk_mul_f32 v[76:77], s[6:7], v[66:67] op_sel_hi:[0,1]
	s_waitcnt vmcnt(10)
	v_mfma_f32_16x16x16_f16 v[26:29], v[22:23], v[50:51], v[26:29]
	v_and_b32_e32 v30, 16, v0
	v_lshlrev_b32_e32 v86, 1, v30
	v_lshl_add_u64 v[60:61], s[4:5], 0, v[86:87]
	v_mfma_f32_16x16x16_f16 v[22:25], v[24:25], v[52:53], v[26:29]
	v_lshlrev_b32_e32 v86, 6, v90
	v_lshl_add_u64 v[70:71], v[60:61], 0, v[86:87]
	v_or_b32_e32 v86, 0x1000, v86
	s_waitcnt vmcnt(9)
	v_mfma_f32_16x16x16_f16 v[22:25], v[18:19], v[46:47], v[22:25]
	v_lshl_add_u64 v[80:81], v[60:61], 0, v[86:87]
	v_pk_mul_f32 v[78:79], s[6:7], v[64:65] op_sel_hi:[0,1]
	v_pk_mul_f32 v[60:61], s[6:7], v[62:63] op_sel_hi:[0,1]
	v_mfma_f32_16x16x16_f16 v[18:21], v[20:21], v[48:49], v[22:25]
	s_waitcnt vmcnt(8)
	v_mfma_f32_16x16x16_f16 v[18:21], v[10:11], v[42:43], v[18:21]
	s_waitcnt vmcnt(3)
	v_mad_i64_i32 v[22:23], s[4:5], v72, s9, 0
	s_waitcnt vmcnt(2)
	v_mad_i64_i32 v[10:11], s[4:5], v75, s9, 0
	v_lshlrev_b64 v[72:73], 1, v[22:23]
	v_lshlrev_b64 v[54:55], 1, v[10:11]
	v_lshl_add_u64 v[22:23], v[70:71], 0, v[72:73]
	v_lshl_add_u64 v[10:11], v[70:71], 0, v[54:55]
	global_load_dwordx4 v[30:33], v[22:23], off
	global_load_dwordx4 v[26:29], v[22:23], off offset:16
	v_mfma_f32_16x16x16_f16 v[92:95], v[12:13], v[44:45], v[18:21]
	global_load_dwordx4 v[22:25], v[10:11], off
	s_nop 1
	global_load_dwordx4 v[18:21], v[10:11], off offset:16
	v_pk_mul_f32 v[74:75], s[6:7], v[68:69] op_sel_hi:[0,1]
	v_mfma_f32_16x16x16_f16 v[10:13], v[6:7], v[14:15], 0
	s_waitcnt vmcnt(5)
	v_mad_i64_i32 v[6:7], s[4:5], v58, s9, 0
	v_lshlrev_b64 v[56:57], 1, v[6:7]
	v_mfma_f32_16x16x16_f16 v[6:9], v[8:9], v[16:17], v[10:13]
	v_mfma_f32_16x16x16_f16 v[6:9], v[2:3], v[50:51], v[6:9]
	s_nop 1
	v_lshl_add_u64 v[10:11], v[70:71], 0, v[56:57]
	global_load_dwordx4 v[14:17], v[10:11], off
	s_nop 0
	global_load_dwordx4 v[10:13], v[10:11], off offset:16
	s_waitcnt vmcnt(6)
	v_mad_i64_i32 v[2:3], s[4:5], v59, s9, 0
	v_mfma_f32_16x16x16_f16 v[50:53], v[4:5], v[52:53], v[6:9]
	v_lshlrev_b64 v[58:59], 1, v[2:3]
	v_lshl_add_u64 v[2:3], v[70:71], 0, v[58:59]
	v_pk_mul_f32 v[70:71], s[6:7], v[94:95] op_sel_hi:[0,1]
	v_mfma_f32_16x16x16_f16 v[50:53], v[38:39], v[46:47], v[50:53]
	v_lshl_add_u64 v[38:39], v[80:81], 0, v[72:73]
	v_pk_mul_f32 v[72:73], s[6:7], v[92:93] op_sel_hi:[0,1]
	v_lshl_add_u64 v[58:59], v[80:81], 0, v[58:59]
	v_mfma_f32_16x16x16_f16 v[46:49], v[40:41], v[48:49], v[50:53]
	global_load_dwordx4 v[6:9], v[2:3], off
	s_nop 0
	global_load_dwordx4 v[2:5], v[2:3], off offset:16
	v_mfma_f32_16x16x16_f16 v[40:43], v[34:35], v[42:43], v[46:49]
	v_mfma_f32_16x16x16_f16 v[34:37], v[36:37], v[44:45], v[40:43]
	s_nop 6
	v_pk_mul_f32 v[68:69], s[6:7], v[34:35] op_sel_hi:[0,1]
	v_and_b32_e32 v34, 0xc0, v0
	v_add_u32_e32 v34, s18, v34
	v_lshl_or_b32 v34, v1, 2, v34
	v_or_b32_e32 v35, 1, v34
	v_pk_mul_f32 v[66:67], s[6:7], v[36:37] op_sel_hi:[0,1]
	v_subrev_u32_e32 v36, s27, v35
	v_add_u32_e32 v40, 1, v36
	v_add_u32_e32 v41, 2, v36
	v_cvt_f32_i32_e32 v37, v36
	v_cvt_f32_i32_e32 v40, v40
	;; [unrolled: 1-line block ×3, first 2 shown]
	v_add_u32_e32 v42, 3, v36
	v_fma_f32 v60, v89, v37, v60
	v_fmac_f32_e32 v61, v89, v40
	v_fma_f32 v78, v89, v41, v78
	v_add_u32_e32 v37, 16, v36
	v_add_u32_e32 v40, 17, v36
	;; [unrolled: 1-line block ×3, first 2 shown]
	v_cvt_f32_i32_e32 v42, v42
	v_cvt_f32_i32_e32 v37, v37
	;; [unrolled: 1-line block ×4, first 2 shown]
	v_fmac_f32_e32 v79, v89, v42
	v_add_u32_e32 v42, 19, v36
	v_fma_f32 v76, v89, v37, v76
	v_fmac_f32_e32 v77, v89, v40
	v_fma_f32 v74, v89, v41, v74
	v_add_u32_e32 v37, 32, v36
	v_add_u32_e32 v40, 33, v36
	;; [unrolled: 1-line block ×3, first 2 shown]
	v_cvt_f32_i32_e32 v42, v42
	v_cvt_f32_i32_e32 v37, v37
	;; [unrolled: 1-line block ×4, first 2 shown]
	v_fmac_f32_e32 v75, v89, v42
	v_add_u32_e32 v42, 35, v36
	v_fma_f32 v72, v89, v37, v72
	v_fmac_f32_e32 v73, v89, v40
	v_fma_f32 v70, v89, v41, v70
	v_add_u32_e32 v37, 48, v36
	v_add_u32_e32 v40, 49, v36
	;; [unrolled: 1-line block ×4, first 2 shown]
	v_cvt_f32_i32_e32 v36, v36
	v_cvt_f32_i32_e32 v37, v37
	;; [unrolled: 1-line block ×3, first 2 shown]
	v_cmp_gt_i32_e64 s[28:29], s27, v34
	v_fmac_f32_e32 v67, v89, v36
	v_mov_b32_e32 v36, 0xff7fffff
	v_cmp_gt_i32_e64 s[30:31], s27, v35
	v_fma_f32 v68, v89, v37, v68
	v_cndmask_b32_e64 v37, v36, v60, s[28:29]
	v_cndmask_b32_e64 v35, v36, v61, s[30:31]
	v_fmac_f32_e32 v69, v89, v40
	v_max3_f32 v35, v37, s33, v35
	v_or_b32_e32 v37, 2, v34
	v_or_b32_e32 v40, 3, v34
	v_cmp_gt_i32_e64 s[34:35], s27, v37
	v_cmp_gt_i32_e64 s[36:37], s27, v40
	v_cvt_f32_i32_e32 v42, v42
	v_cndmask_b32_e64 v37, v36, v78, s[34:35]
	v_cndmask_b32_e64 v40, v36, v79, s[36:37]
	v_max3_f32 v35, v35, v37, v40
	v_or_b32_e32 v37, 16, v34
	v_or_b32_e32 v40, 17, v34
	v_cmp_gt_i32_e64 s[22:23], s27, v37
	v_cmp_gt_i32_e64 s[24:25], s27, v40
	v_fmac_f32_e32 v71, v89, v42
	v_cndmask_b32_e64 v37, v36, v76, s[22:23]
	v_cndmask_b32_e64 v40, v36, v77, s[24:25]
	v_max3_f32 v35, v35, v37, v40
	v_or_b32_e32 v37, 18, v34
	v_or_b32_e32 v40, 19, v34
	v_cmp_gt_i32_e64 s[18:19], s27, v37
	v_cmp_gt_i32_e64 s[20:21], s27, v40
	v_cvt_f32_i32_e32 v41, v41
	v_cndmask_b32_e64 v37, v36, v74, s[18:19]
	v_cndmask_b32_e64 v40, v36, v75, s[20:21]
	v_max3_f32 v35, v35, v37, v40
	v_or_b32_e32 v37, 32, v34
	v_or_b32_e32 v40, 33, v34
	v_cmp_gt_i32_e64 s[14:15], s27, v37
	v_cmp_gt_i32_e64 s[16:17], s27, v40
	v_fma_f32 v66, v89, v41, v66
	v_cndmask_b32_e64 v37, v36, v72, s[14:15]
	v_cndmask_b32_e64 v40, v36, v73, s[16:17]
	v_max3_f32 v35, v35, v37, v40
	v_or_b32_e32 v37, 34, v34
	v_or_b32_e32 v40, 35, v34
	v_cmp_gt_i32_e64 s[10:11], s27, v37
	v_cmp_gt_i32_e64 s[12:13], s27, v40
	s_nop 0
	v_cndmask_b32_e64 v37, v36, v70, s[10:11]
	v_cndmask_b32_e64 v40, v36, v71, s[12:13]
	v_max3_f32 v35, v35, v37, v40
	v_or_b32_e32 v37, 48, v34
	v_or_b32_e32 v40, 49, v34
	v_cmp_gt_i32_e64 s[6:7], s27, v37
	v_cmp_gt_i32_e64 s[8:9], s27, v40
	s_nop 0
	v_cndmask_b32_e64 v37, v36, v68, s[6:7]
	v_cndmask_b32_e64 v40, v36, v69, s[8:9]
	v_max3_f32 v35, v35, v37, v40
	v_or_b32_e32 v37, 50, v34
	v_or_b32_e32 v34, 51, v34
	v_cmp_gt_i32_e32 vcc, s27, v37
	v_cmp_gt_i32_e64 s[4:5], s27, v34
	global_load_dwordx4 v[46:49], v[38:39], off
	s_nop 0
	global_load_dwordx4 v[38:41], v[38:39], off offset:16
	v_cndmask_b32_e32 v37, v36, v66, vcc
	v_cndmask_b32_e64 v34, v36, v67, s[4:5]
	v_max3_f32 v50, v35, v37, v34
	v_mbcnt_lo_u32_b32 v34, -1, 0
	v_mbcnt_hi_u32_b32 v51, -1, v34
	v_and_b32_e32 v34, 64, v51
	v_add_u32_e32 v52, 64, v34
	v_xor_b32_e32 v34, 32, v51
	v_cmp_lt_i32_e64 s[38:39], v34, v52
	s_nop 1
	v_cndmask_b32_e64 v34, v51, v34, s[38:39]
	v_lshlrev_b32_e32 v87, 2, v34
	ds_bpermute_b32 v53, v87, v50
	v_lshl_add_u64 v[34:35], v[80:81], 0, v[54:55]
	global_load_dwordx4 v[42:45], v[34:35], off
	s_nop 0
	global_load_dwordx4 v[34:37], v[34:35], off offset:16
	s_waitcnt lgkmcnt(0)
	v_max_f32_e32 v53, v53, v53
	v_max_f32_e32 v62, v50, v53
	v_xor_b32_e32 v50, 16, v51
	v_cmp_lt_i32_e64 s[38:39], v50, v52
	s_nop 1
	v_cndmask_b32_e64 v50, v51, v50, s[38:39]
	v_lshlrev_b32_e32 v89, 2, v50
	ds_bpermute_b32 v63, v89, v62
	v_lshl_add_u64 v[50:51], v[80:81], 0, v[56:57]
	global_load_dwordx4 v[54:57], v[50:51], off
	s_nop 0
	global_load_dwordx4 v[50:53], v[50:51], off offset:16
	s_waitcnt lgkmcnt(0)
	v_max_f32_e32 v63, v63, v63
	v_max_f32_e32 v86, v62, v63
	v_sub_f32_e32 v60, v60, v86
	v_mul_f32_e32 v60, 0x3fb8aa3b, v60
	v_exp_f32_e32 v80, v60
	v_sub_f32_e32 v60, v61, v86
	v_mul_f32_e32 v60, 0x3fb8aa3b, v60
	v_exp_f32_e32 v81, v60
	global_load_dwordx4 v[62:65], v[58:59], off
	s_nop 0
	global_load_dwordx4 v[58:61], v[58:59], off offset:16
	v_sub_f32_e32 v78, v78, v86
	v_mul_f32_e32 v78, 0x3fb8aa3b, v78
	v_sub_f32_e32 v79, v79, v86
	v_exp_f32_e32 v78, v78
	v_mul_f32_e32 v79, 0x3fb8aa3b, v79
	v_sub_f32_e32 v76, v76, v86
	v_exp_f32_e32 v79, v79
	v_mul_f32_e32 v76, 0x3fb8aa3b, v76
	v_sub_f32_e32 v77, v77, v86
	v_cndmask_b32_e64 v80, 0, v80, s[28:29]
	v_exp_f32_e32 v76, v76
	v_mul_f32_e32 v77, 0x3fb8aa3b, v77
	v_sub_f32_e32 v74, v74, v86
	v_add_f32_e32 v91, 0, v80
	v_cndmask_b32_e64 v81, 0, v81, s[30:31]
	v_exp_f32_e32 v77, v77
	v_mul_f32_e32 v74, 0x3fb8aa3b, v74
	v_sub_f32_e32 v75, v75, v86
	v_add_f32_e32 v91, v91, v81
	;; [unrolled: 5-line block ×10, first 2 shown]
	v_cndmask_b32_e64 v70, 0, v70, s[10:11]
	v_exp_f32_e32 v66, v66
	v_mul_f32_e32 v67, 0x3fb8aa3b, v67
	v_add_f32_e32 v91, v91, v70
	v_cndmask_b32_e64 v71, 0, v71, s[12:13]
	v_exp_f32_e32 v67, v67
	v_add_f32_e32 v91, v91, v71
	v_cndmask_b32_e64 v68, 0, v68, s[6:7]
	v_add_f32_e32 v91, v91, v68
	v_cndmask_b32_e64 v69, 0, v69, s[8:9]
	v_add_f32_e32 v91, v91, v69
	v_cndmask_b32_e32 v66, 0, v66, vcc
	v_add_f32_e32 v91, v91, v66
	v_cndmask_b32_e64 v67, 0, v67, s[4:5]
	v_add_f32_e32 v91, v91, v67
	ds_bpermute_b32 v87, v87, v91
	s_load_dword s7, s[0:1], 0x98
	v_cmp_gt_u32_e32 vcc, 16, v85
	s_waitcnt lgkmcnt(0)
	s_barrier
	v_add_f32_e32 v87, v91, v87
	ds_bpermute_b32 v89, v89, v87
	s_waitcnt lgkmcnt(0)
	s_and_saveexec_b64 s[4:5], vcc
	s_cbranch_execz .LBB309_17
; %bb.16:
	v_add_f32_e32 v85, v87, v89
	v_lshlrev_b32_e32 v87, 2, v90
	ds_write2st64_b32 v87, v86, v85 offset1:1
.LBB309_17:
	s_or_b64 exec, exec, s[4:5]
	v_lshlrev_b32_e32 v85, 2, v84
	s_load_dword s6, s[0:1], 0x94
	s_waitcnt lgkmcnt(0)
	s_barrier
	ds_read2_b32 v[90:91], v85 offset1:16
	ds_read2_b32 v[92:93], v85 offset0:32 offset1:48
	ds_read2_b32 v[94:95], v85 offset0:64 offset1:80
	s_mul_i32 s7, s7, 6
	s_waitcnt lgkmcnt(2)
	v_max3_f32 v86, v90, s33, v91
	s_waitcnt lgkmcnt(1)
	v_max3_f32 v86, v86, v92, v93
	v_sub_f32_e32 v87, v90, v86
	v_mul_f32_e32 v87, 0x3fb8aa3b, v87
	v_exp_f32_e32 v89, v87
	v_sub_f32_e32 v87, v91, v86
	v_mul_f32_e32 v87, 0x3fb8aa3b, v87
	v_exp_f32_e32 v88, v87
	v_sub_f32_e32 v87, v92, v86
	v_mul_f32_e32 v87, 0x3fb8aa3b, v87
	ds_read2_b32 v[90:91], v85 offset0:96 offset1:112
	v_sub_f32_e32 v85, v93, v86
	v_exp_f32_e32 v92, v87
	v_mul_f32_e32 v85, 0x3fb8aa3b, v85
	v_exp_f32_e32 v85, v85
	s_waitcnt lgkmcnt(1)
	v_fma_f32 v87, v89, v94, 0
	v_fmac_f32_e32 v87, v88, v95
	s_waitcnt lgkmcnt(0)
	v_fmac_f32_e32 v87, v92, v90
	v_fmac_f32_e32 v87, v85, v91
	v_add_f32_e32 v90, 0x358637bd, v87
	v_div_scale_f32 v91, s[4:5], v90, v90, 1.0
	v_rcp_f32_e32 v93, v91
	s_barrier
	v_fma_f32 v94, -v91, v93, 1.0
	v_fmac_f32_e32 v93, v94, v93
	v_div_scale_f32 v94, vcc, 1.0, v90, 1.0
	v_mul_f32_e32 v95, v94, v93
	v_fma_f32 v1, -v91, v95, v94
	v_fmac_f32_e32 v95, v1, v93
	v_fma_f32 v1, -v91, v95, v94
	v_lshrrev_b32_e32 v91, 6, v0
	v_div_fmas_f32 v1, v1, v93, v95
	v_cmp_eq_u32_e32 vcc, 1, v91
	v_div_fixup_f32 v1, v1, v90, 1.0
	s_nop 0
	v_cndmask_b32_e32 v88, v89, v88, vcc
	v_cmp_eq_u32_e32 vcc, 2, v91
	s_nop 1
	v_cndmask_b32_e32 v88, v88, v92, vcc
	v_cmp_eq_u32_e32 vcc, 3, v91
	s_nop 1
	v_cndmask_b32_e32 v85, v88, v85, vcc
	v_mul_f32_e32 v90, v85, v1
	v_pk_mul_f32 v[78:79], v[90:91], v[78:79] op_sel_hi:[0,1]
	v_cvt_f16_f32_e32 v78, v78
	v_cvt_f16_f32_e32 v79, v79
	v_pk_mul_f32 v[80:81], v[90:91], v[80:81] op_sel_hi:[0,1]
	v_cvt_f16_f32_e32 v1, v80
	v_cvt_f16_f32_e32 v80, v81
	v_pk_mul_f32 v[74:75], v[90:91], v[74:75] op_sel_hi:[0,1]
	v_pk_mul_f32 v[76:77], v[90:91], v[76:77] op_sel_hi:[0,1]
	v_pack_b32_f16 v81, v78, v79
	v_cvt_f16_f32_e32 v76, v76
	v_cvt_f16_f32_e32 v77, v77
	;; [unrolled: 1-line block ×4, first 2 shown]
	v_bfe_u32 v88, v0, 4, 2
	v_pack_b32_f16 v80, v1, v80
	v_lshlrev_b32_e32 v1, 3, v88
	v_lshlrev_b32_e32 v78, 5, v84
	;; [unrolled: 1-line block ×3, first 2 shown]
	v_or3_b32 v1, v74, v78, v1
	v_pack_b32_f16 v74, v76, v77
	v_pack_b32_f16 v75, v79, v75
	v_pk_mul_f32 v[70:71], v[90:91], v[70:71] op_sel_hi:[0,1]
	v_pk_mul_f32 v[72:73], v[90:91], v[72:73] op_sel_hi:[0,1]
	;; [unrolled: 1-line block ×4, first 2 shown]
	ds_write2st64_b64 v1, v[80:81], v[74:75] offset1:1
	v_cvt_f16_f32_e32 v72, v72
	v_cvt_f16_f32_e32 v73, v73
	;; [unrolled: 1-line block ×8, first 2 shown]
	v_pack_b32_f16 v66, v72, v73
	v_pack_b32_f16 v67, v70, v71
	;; [unrolled: 1-line block ×4, first 2 shown]
	v_cmp_gt_u32_e32 vcc, 6, v0
	ds_write2st64_b64 v1, v[66:67], v[68:69] offset0:2 offset1:3
	s_and_saveexec_b64 s[4:5], vcc
	s_cbranch_execz .LBB309_19
; %bb.18:
	s_mov_b32 s41, 0
	v_mov_b32_e32 v85, 0
	v_lshl_add_u64 v[66:67], s[40:41], 0, v[84:85]
	v_mov_b32_e32 v68, s7
	v_mad_u64_u32 v[66:67], s[12:13], s2, v68, v[66:67]
	s_mul_i32 s3, s3, s7
	v_mov_b32_e32 v68, s26
	v_mov_b32_e32 v69, v85
	s_load_dwordx4 s[8:11], s[0:1], 0x58
	v_add_u32_e32 v70, s3, v67
	v_mad_u64_u32 v[66:67], s[12:13], v66, s6, v[68:69]
	v_mov_b32_e32 v68, v67
	v_mad_u64_u32 v[68:69], s[12:13], v70, s6, v[68:69]
	v_mov_b32_e32 v67, v68
	v_lshlrev_b64 v[66:67], 2, v[66:67]
	s_waitcnt lgkmcnt(0)
	v_lshl_add_u64 v[68:69], s[10:11], 0, v[66:67]
	v_lshl_add_u64 v[66:67], s[8:9], 0, v[66:67]
	global_store_dword v[68:69], v86, off
	global_store_dword v[66:67], v87, off
.LBB309_19:
	s_or_b64 exec, exec, s[4:5]
	v_lshl_or_b32 v78, v88, 9, v78
	s_waitcnt lgkmcnt(0)
	s_barrier
	ds_read_b128 v[70:73], v78
	ds_read_b128 v[66:69], v78 offset:16
	s_waitcnt vmcnt(15) lgkmcnt(1)
	v_mfma_f32_16x16x16_f16 v[74:77], v[30:31], v[70:71], 0
	s_mov_b32 s3, 0
	v_cmp_gt_u32_e32 vcc, 64, v0
	v_mfma_f32_16x16x16_f16 v[30:33], v[32:33], v[72:73], v[74:77]
	s_waitcnt vmcnt(14) lgkmcnt(0)
	v_mfma_f32_16x16x16_f16 v[30:33], v[26:27], v[66:67], v[30:33]
	v_mfma_f32_16x16x16_f16 v[26:29], v[28:29], v[68:69], v[30:33]
	s_nop 5
	ds_read_b128 v[30:33], v78 offset:2048
	ds_read_b128 v[74:77], v78 offset:2064
	s_waitcnt vmcnt(13) lgkmcnt(1)
	v_mfma_f32_16x16x16_f16 v[26:29], v[22:23], v[30:31], v[26:29]
	v_mfma_f32_16x16x16_f16 v[22:25], v[24:25], v[32:33], v[26:29]
	s_waitcnt vmcnt(12) lgkmcnt(0)
	v_mfma_f32_16x16x16_f16 v[22:25], v[18:19], v[74:75], v[22:25]
	v_mfma_f32_16x16x16_f16 v[18:21], v[20:21], v[76:77], v[22:25]
	s_nop 5
	ds_read_b128 v[22:25], v78 offset:4096
	ds_read_b128 v[26:29], v78 offset:4112
	s_waitcnt vmcnt(11) lgkmcnt(1)
	v_mfma_f32_16x16x16_f16 v[18:21], v[14:15], v[22:23], v[18:21]
	v_mfma_f32_16x16x16_f16 v[14:17], v[16:17], v[24:25], v[18:21]
	s_waitcnt vmcnt(10) lgkmcnt(0)
	v_mfma_f32_16x16x16_f16 v[14:17], v[10:11], v[26:27], v[14:17]
	v_mfma_f32_16x16x16_f16 v[10:13], v[12:13], v[28:29], v[14:17]
	s_nop 5
	ds_read_b128 v[14:17], v78 offset:6144
	ds_read_b128 v[18:21], v78 offset:6160
	s_waitcnt lgkmcnt(0)
	s_barrier
	s_waitcnt vmcnt(9)
	v_mfma_f32_16x16x16_f16 v[10:13], v[6:7], v[14:15], v[10:13]
	v_mfma_f32_16x16x16_f16 v[6:9], v[8:9], v[16:17], v[10:13]
	s_waitcnt vmcnt(8)
	v_mfma_f32_16x16x16_f16 v[6:9], v[2:3], v[18:19], v[6:9]
	v_mfma_f32_16x16x16_f16 v[2:5], v[4:5], v[20:21], v[6:9]
	;; [unrolled: 3-line block ×3, first 2 shown]
	s_nop 3
	v_cvt_f16_f32_e32 v10, v2
	v_cvt_f16_f32_e32 v11, v3
	;; [unrolled: 1-line block ×3, first 2 shown]
	s_waitcnt vmcnt(6)
	v_mfma_f32_16x16x16_f16 v[6:9], v[38:39], v[66:67], v[6:9]
	v_cvt_f16_f32_e32 v13, v5
	v_mfma_f32_16x16x16_f16 v[6:9], v[40:41], v[68:69], v[6:9]
	s_waitcnt vmcnt(5)
	v_mfma_f32_16x16x16_f16 v[6:9], v[42:43], v[30:31], v[6:9]
	v_mfma_f32_16x16x16_f16 v[6:9], v[44:45], v[32:33], v[6:9]
	s_waitcnt vmcnt(4)
	v_mfma_f32_16x16x16_f16 v[6:9], v[34:35], v[74:75], v[6:9]
	;; [unrolled: 3-line block ×6, first 2 shown]
	v_mfma_f32_16x16x16_f16 v[2:5], v[60:61], v[20:21], v[6:9]
	s_nop 6
	v_cvt_f16_f32_e32 v6, v2
	v_cvt_f16_f32_e32 v7, v3
	v_cvt_f16_f32_e32 v8, v4
	v_cvt_f16_f32_e32 v5, v5
	v_pack_b32_f16 v2, v10, v11
	v_pack_b32_f16 v3, v12, v13
	;; [unrolled: 1-line block ×4, first 2 shown]
	ds_write2st64_b64 v1, v[2:3], v[4:5] offset1:1
	s_waitcnt lgkmcnt(0)
	s_barrier
	s_and_saveexec_b64 s[4:5], vcc
	s_cbranch_execz .LBB309_22
; %bb.20:
	s_load_dwordx2 s[4:5], s[0:1], 0x68
	s_lshl_b32 s0, s6, 7
	s_mul_i32 s1, s7, s2
	v_lshlrev_b32_e32 v4, 6, v84
	s_mul_hi_u32 s7, s1, s0
	s_mul_i32 s6, s1, s0
	v_lshlrev_b32_e32 v3, 4, v0
	v_lshl_or_b32 v0, v0, 10, v4
	s_lshl_b64 s[6:7], s[6:7], 1
	v_lshlrev_b32_e32 v1, 5, v88
	v_and_b32_e32 v3, 16, v3
	v_and_b32_e32 v0, 0x1a00, v0
	s_waitcnt lgkmcnt(0)
	s_add_u32 s1, s4, s6
	v_or3_b32 v3, v0, v1, v3
	s_addc_u32 s4, s5, s7
	s_lshl_b32 s2, s26, 7
	s_lshl_b64 s[2:3], s[2:3], 1
	ds_read_b128 v[4:7], v3
	s_add_u32 s2, s1, s2
	s_addc_u32 s3, s4, s3
	v_add_u32_e32 v8, s40, v88
	v_or_b32_e32 v2, 4, v88
	v_lshl_add_u64 v[0:1], v[82:83], 1, s[2:3]
	v_mad_u64_u32 v[8:9], s[2:3], v8, s0, 0
	v_lshl_add_u64 v[8:9], v[8:9], 1, v[0:1]
	v_cmp_gt_u32_e32 vcc, 6, v2
	s_waitcnt lgkmcnt(0)
	global_store_dwordx4 v[8:9], v[4:7], off
	s_and_b64 exec, exec, vcc
	s_cbranch_execz .LBB309_22
; %bb.21:
	ds_read_b128 v[4:7], v3 offset:128
	v_add_u32_e32 v2, s40, v2
	v_mad_u64_u32 v[2:3], s[0:1], v2, s0, 0
	v_lshl_add_u64 v[0:1], v[2:3], 1, v[0:1]
	s_waitcnt lgkmcnt(0)
	global_store_dwordx4 v[0:1], v[4:7], off
.LBB309_22:
	s_endpgm
	.section	.rodata,"a",@progbits
	.p2align	6, 0x0
	.amdhsa_kernel _Z39paged_attention_ll4mi_QKV_mfma16_kernelIDF16_DF16_LN4vllm18Fp8KVCacheDataTypeE0EhLi32ELi128ELi256ELb1ELi6EEvPKT_PKT0_S7_ifPKiS9_S9_iPKfiiiPfSC_PS2_PT2_iSB_SB_
		.amdhsa_group_segment_fixed_size 8192
		.amdhsa_private_segment_fixed_size 0
		.amdhsa_kernarg_size 400
		.amdhsa_user_sgpr_count 2
		.amdhsa_user_sgpr_dispatch_ptr 0
		.amdhsa_user_sgpr_queue_ptr 0
		.amdhsa_user_sgpr_kernarg_segment_ptr 1
		.amdhsa_user_sgpr_dispatch_id 0
		.amdhsa_user_sgpr_kernarg_preload_length 0
		.amdhsa_user_sgpr_kernarg_preload_offset 0
		.amdhsa_user_sgpr_private_segment_size 0
		.amdhsa_uses_dynamic_stack 0
		.amdhsa_enable_private_segment 0
		.amdhsa_system_sgpr_workgroup_id_x 1
		.amdhsa_system_sgpr_workgroup_id_y 1
		.amdhsa_system_sgpr_workgroup_id_z 1
		.amdhsa_system_sgpr_workgroup_info 0
		.amdhsa_system_vgpr_workitem_id 0
		.amdhsa_next_free_vgpr 96
		.amdhsa_next_free_sgpr 42
		.amdhsa_accum_offset 96
		.amdhsa_reserve_vcc 1
		.amdhsa_float_round_mode_32 0
		.amdhsa_float_round_mode_16_64 0
		.amdhsa_float_denorm_mode_32 3
		.amdhsa_float_denorm_mode_16_64 3
		.amdhsa_dx10_clamp 1
		.amdhsa_ieee_mode 1
		.amdhsa_fp16_overflow 0
		.amdhsa_tg_split 0
		.amdhsa_exception_fp_ieee_invalid_op 0
		.amdhsa_exception_fp_denorm_src 0
		.amdhsa_exception_fp_ieee_div_zero 0
		.amdhsa_exception_fp_ieee_overflow 0
		.amdhsa_exception_fp_ieee_underflow 0
		.amdhsa_exception_fp_ieee_inexact 0
		.amdhsa_exception_int_div_zero 0
	.end_amdhsa_kernel
	.section	.text._Z39paged_attention_ll4mi_QKV_mfma16_kernelIDF16_DF16_LN4vllm18Fp8KVCacheDataTypeE0EhLi32ELi128ELi256ELb1ELi6EEvPKT_PKT0_S7_ifPKiS9_S9_iPKfiiiPfSC_PS2_PT2_iSB_SB_,"axG",@progbits,_Z39paged_attention_ll4mi_QKV_mfma16_kernelIDF16_DF16_LN4vllm18Fp8KVCacheDataTypeE0EhLi32ELi128ELi256ELb1ELi6EEvPKT_PKT0_S7_ifPKiS9_S9_iPKfiiiPfSC_PS2_PT2_iSB_SB_,comdat
.Lfunc_end309:
	.size	_Z39paged_attention_ll4mi_QKV_mfma16_kernelIDF16_DF16_LN4vllm18Fp8KVCacheDataTypeE0EhLi32ELi128ELi256ELb1ELi6EEvPKT_PKT0_S7_ifPKiS9_S9_iPKfiiiPfSC_PS2_PT2_iSB_SB_, .Lfunc_end309-_Z39paged_attention_ll4mi_QKV_mfma16_kernelIDF16_DF16_LN4vllm18Fp8KVCacheDataTypeE0EhLi32ELi128ELi256ELb1ELi6EEvPKT_PKT0_S7_ifPKiS9_S9_iPKfiiiPfSC_PS2_PT2_iSB_SB_
                                        ; -- End function
	.section	.AMDGPU.csdata,"",@progbits
; Kernel info:
; codeLenInByte = 4872
; NumSgprs: 48
; NumVgprs: 96
; NumAgprs: 0
; TotalNumVgprs: 96
; ScratchSize: 0
; MemoryBound: 0
; FloatMode: 240
; IeeeMode: 1
; LDSByteSize: 8192 bytes/workgroup (compile time only)
; SGPRBlocks: 5
; VGPRBlocks: 11
; NumSGPRsForWavesPerEU: 48
; NumVGPRsForWavesPerEU: 96
; AccumOffset: 96
; Occupancy: 5
; WaveLimiterHint : 1
; COMPUTE_PGM_RSRC2:SCRATCH_EN: 0
; COMPUTE_PGM_RSRC2:USER_SGPR: 2
; COMPUTE_PGM_RSRC2:TRAP_HANDLER: 0
; COMPUTE_PGM_RSRC2:TGID_X_EN: 1
; COMPUTE_PGM_RSRC2:TGID_Y_EN: 1
; COMPUTE_PGM_RSRC2:TGID_Z_EN: 1
; COMPUTE_PGM_RSRC2:TIDIG_COMP_CNT: 0
; COMPUTE_PGM_RSRC3_GFX90A:ACCUM_OFFSET: 23
; COMPUTE_PGM_RSRC3_GFX90A:TG_SPLIT: 0
	.section	.text._Z39paged_attention_ll4mi_QKV_mfma16_kernelIDF16_DF16_LN4vllm18Fp8KVCacheDataTypeE0EhLi32ELi128ELi256ELb1ELi7EEvPKT_PKT0_S7_ifPKiS9_S9_iPKfiiiPfSC_PS2_PT2_iSB_SB_,"axG",@progbits,_Z39paged_attention_ll4mi_QKV_mfma16_kernelIDF16_DF16_LN4vllm18Fp8KVCacheDataTypeE0EhLi32ELi128ELi256ELb1ELi7EEvPKT_PKT0_S7_ifPKiS9_S9_iPKfiiiPfSC_PS2_PT2_iSB_SB_,comdat
	.protected	_Z39paged_attention_ll4mi_QKV_mfma16_kernelIDF16_DF16_LN4vllm18Fp8KVCacheDataTypeE0EhLi32ELi128ELi256ELb1ELi7EEvPKT_PKT0_S7_ifPKiS9_S9_iPKfiiiPfSC_PS2_PT2_iSB_SB_ ; -- Begin function _Z39paged_attention_ll4mi_QKV_mfma16_kernelIDF16_DF16_LN4vllm18Fp8KVCacheDataTypeE0EhLi32ELi128ELi256ELb1ELi7EEvPKT_PKT0_S7_ifPKiS9_S9_iPKfiiiPfSC_PS2_PT2_iSB_SB_
	.globl	_Z39paged_attention_ll4mi_QKV_mfma16_kernelIDF16_DF16_LN4vllm18Fp8KVCacheDataTypeE0EhLi32ELi128ELi256ELb1ELi7EEvPKT_PKT0_S7_ifPKiS9_S9_iPKfiiiPfSC_PS2_PT2_iSB_SB_
	.p2align	8
	.type	_Z39paged_attention_ll4mi_QKV_mfma16_kernelIDF16_DF16_LN4vllm18Fp8KVCacheDataTypeE0EhLi32ELi128ELi256ELb1ELi7EEvPKT_PKT0_S7_ifPKiS9_S9_iPKfiiiPfSC_PS2_PT2_iSB_SB_,@function
_Z39paged_attention_ll4mi_QKV_mfma16_kernelIDF16_DF16_LN4vllm18Fp8KVCacheDataTypeE0EhLi32ELi128ELi256ELb1ELi7EEvPKT_PKT0_S7_ifPKiS9_S9_iPKfiiiPfSC_PS2_PT2_iSB_SB_: ; @_Z39paged_attention_ll4mi_QKV_mfma16_kernelIDF16_DF16_LN4vllm18Fp8KVCacheDataTypeE0EhLi32ELi128ELi256ELb1ELi7EEvPKT_PKT0_S7_ifPKiS9_S9_iPKfiiiPfSC_PS2_PT2_iSB_SB_
; %bb.0:
	s_load_dwordx2 s[8:9], s[0:1], 0x30
	s_mov_b32 s26, s3
	s_mov_b64 s[6:7], 0
	s_waitcnt lgkmcnt(0)
	s_cmp_lg_u64 s[8:9], 0
	s_cselect_b64 s[10:11], -1, 0
	s_and_b64 vcc, exec, s[10:11]
	s_cbranch_vccz .LBB310_7
; %bb.1:
	s_add_i32 s12, s2, 1
	s_mov_b32 s13, 0
	s_lshl_b64 s[14:15], s[12:13], 2
	s_add_u32 s14, s8, s14
	s_mov_b32 s3, s13
	s_addc_u32 s15, s9, s15
	s_lshl_b64 s[12:13], s[2:3], 2
	s_add_u32 s12, s8, s12
	s_addc_u32 s13, s9, s13
	s_load_dword s5, s[14:15], 0x0
	s_load_dword s16, s[12:13], 0x0
	s_waitcnt lgkmcnt(0)
	s_sub_i32 s5, s5, s16
	s_cmp_eq_u32 s5, 1
	s_cselect_b64 s[12:13], -1, 0
	s_andn2_b64 vcc, exec, s[6:7]
	s_cbranch_vccnz .LBB310_3
.LBB310_2:
	s_mov_b32 s3, 0
	s_mov_b64 s[12:13], -1
.LBB310_3:
	s_andn2_b64 vcc, exec, s[12:13]
	s_cbranch_vccnz .LBB310_22
; %bb.4:
	s_load_dwordx2 s[6:7], s[0:1], 0x28
	s_lshl_b64 s[12:13], s[2:3], 2
	s_waitcnt lgkmcnt(0)
	s_add_u32 s6, s6, s12
	s_addc_u32 s7, s7, s13
	s_load_dword s27, s[6:7], 0x0
	s_lshl_b32 s18, s26, 8
	s_waitcnt lgkmcnt(0)
	s_cmp_ge_i32 s18, s27
	s_cbranch_scc1 .LBB310_22
; %bb.5:
	s_load_dwordx2 s[6:7], s[0:1], 0x20
	s_load_dword s5, s[0:1], 0x38
	s_add_i32 s14, s27, 31
	s_ashr_i32 s15, s14, 31
	v_and_b32_e32 v1, 0xcf, v0
	s_lshr_b32 s15, s15, 27
	v_add_u32_e32 v1, s18, v1
	s_add_i32 s14, s14, s15
	v_ashrrev_i32_e32 v2, 31, v1
	s_ashr_i32 s19, s14, 5
	v_lshrrev_b32_e32 v4, 27, v2
	s_add_i32 s19, s19, -1
	s_waitcnt lgkmcnt(0)
	s_mul_i32 s14, s2, s5
	s_mov_b32 s15, 0
	v_add_u32_e32 v2, v1, v4
	s_lshl_b64 s[14:15], s[14:15], 2
	v_ashrrev_i32_e32 v2, 5, v2
	v_mov_b32_e32 v5, s19
	v_cmp_gt_i32_e32 vcc, s27, v1
	s_add_u32 s6, s6, s14
	s_addc_u32 s7, s7, s15
	v_cndmask_b32_e32 v2, v5, v2, vcc
	v_ashrrev_i32_e32 v3, 31, v2
	v_lshl_add_u64 v[6:7], v[2:3], 2, s[6:7]
	v_or_b32_e32 v2, 16, v1
	v_add_u32_e32 v3, v2, v4
	v_ashrrev_i32_e32 v3, 5, v3
	v_cmp_gt_i32_e32 vcc, s27, v2
	s_nop 1
	v_cndmask_b32_e32 v2, v5, v3, vcc
	v_ashrrev_i32_e32 v3, 31, v2
	v_lshl_add_u64 v[8:9], v[2:3], 2, s[6:7]
	v_or_b32_e32 v2, 32, v1
	v_add_u32_e32 v3, v2, v4
	v_ashrrev_i32_e32 v3, 5, v3
	v_cmp_gt_i32_e32 vcc, s27, v2
	v_or_b32_e32 v1, 48, v1
	s_nop 0
	v_cndmask_b32_e32 v2, v5, v3, vcc
	v_ashrrev_i32_e32 v3, 31, v2
	v_lshl_add_u64 v[10:11], v[2:3], 2, s[6:7]
	v_add_u32_e32 v2, v1, v4
	v_ashrrev_i32_e32 v2, 5, v2
	v_cmp_gt_i32_e32 vcc, s27, v1
	s_nop 1
	v_cndmask_b32_e32 v2, v5, v2, vcc
	v_ashrrev_i32_e32 v3, 31, v2
	v_lshl_add_u64 v[12:13], v[2:3], 2, s[6:7]
	global_load_dword v5, v[6:7], off
	global_load_dword v4, v[8:9], off
	;; [unrolled: 1-line block ×4, first 2 shown]
	s_andn2_b64 vcc, exec, s[10:11]
	s_cbranch_vccnz .LBB310_8
; %bb.6:
	s_add_u32 s8, s8, s12
	s_addc_u32 s9, s9, s13
	s_load_dword s5, s[8:9], 0x0
	s_branch .LBB310_9
.LBB310_7:
	s_mov_b64 s[12:13], 0
	s_branch .LBB310_2
.LBB310_8:
	s_mov_b32 s5, s2
.LBB310_9:
	s_load_dwordx2 s[14:15], s[0:1], 0x8
	s_load_dwordx4 s[8:11], s[0:1], 0x48
	v_lshrrev_b32_e32 v88, 6, v0
	v_bfe_u32 v1, v0, 4, 2
	v_lshl_or_b32 v6, v88, 2, v1
	v_and_b32_e32 v84, 15, v0
	v_lshlrev_b32_e32 v82, 3, v84
	v_cmp_lt_u32_e32 vcc, 6, v6
	s_and_saveexec_b64 s[12:13], vcc
	s_xor_b64 s[12:13], exec, s[12:13]
; %bb.10:
	v_mov_b32_e32 v83, 0
                                        ; implicit-def: $vgpr6
; %bb.11:
	s_or_saveexec_b64 s[16:17], s[12:13]
	s_load_dwordx2 s[12:13], s[0:1], 0x10
	s_mul_i32 s40, s4, 7
	s_xor_b64 exec, exec, s[16:17]
	s_cbranch_execz .LBB310_13
; %bb.12:
	s_load_dwordx2 s[20:21], s[0:1], 0x0
	s_waitcnt lgkmcnt(0)
	s_ashr_i32 s11, s8, 31
	s_mul_hi_u32 s22, s5, s8
	s_mul_i32 s11, s5, s11
	s_add_i32 s23, s22, s11
	s_mul_i32 s22, s5, s8
	s_lshl_b64 s[22:23], s[22:23], 1
	s_add_u32 s20, s20, s22
	v_add_lshl_u32 v8, v6, s40, 7
	s_addc_u32 s21, s21, s23
	v_ashrrev_i32_e32 v9, 31, v8
	v_mov_b32_e32 v83, 0
	v_lshl_add_u64 v[8:9], v[8:9], 1, s[20:21]
	v_lshlrev_b32_e32 v10, 1, v82
	v_mov_b32_e32 v11, v83
	v_lshl_add_u64 v[8:9], v[8:9], 0, v[10:11]
	global_load_dwordx4 v[8:11], v[8:9], off
	v_and_b32_e32 v7, 3, v0
	v_lshlrev_b32_e32 v12, 9, v84
	v_lshlrev_b32_e32 v6, 5, v6
	;; [unrolled: 1-line block ×3, first 2 shown]
	v_and_b32_e32 v12, 0x1800, v12
	v_or3_b32 v6, v12, v7, v6
	s_waitcnt vmcnt(0)
	ds_write_b128 v6, v[8:11]
.LBB310_13:
	s_or_b64 exec, exec, s[16:17]
	s_waitcnt lgkmcnt(0)
	s_mul_i32 s4, s4, s10
	s_mov_b32 s5, 0
	s_lshl_b64 s[4:5], s[4:5], 1
	s_add_u32 s10, s14, s4
	s_addc_u32 s11, s15, s5
	s_waitcnt vmcnt(3)
	v_mad_i64_i32 v[6:7], s[14:15], v5, s9, 0
	v_lshl_add_u64 v[6:7], v[6:7], 1, s[10:11]
	v_lshlrev_b64 v[8:9], 1, v[82:83]
	v_lshlrev_b32_e32 v86, 9, v1
	v_lshl_add_u64 v[6:7], v[6:7], 0, v[8:9]
	v_mov_b32_e32 v87, 0
	v_lshl_add_u64 v[10:11], v[6:7], 0, v[86:87]
	v_or_b32_e32 v14, 0x1000, v86
	v_mov_b32_e32 v15, v87
	v_or_b32_e32 v16, 0x1800, v86
	v_mov_b32_e32 v17, v87
	s_barrier
	global_load_dwordx4 v[66:69], v[10:11], off
	global_load_dwordx4 v[62:65], v[10:11], off offset:2048
	v_lshl_add_u64 v[10:11], v[6:7], 0, v[14:15]
	v_lshl_add_u64 v[6:7], v[6:7], 0, v[16:17]
	global_load_dwordx4 v[78:81], v[10:11], off
	global_load_dwordx4 v[74:77], v[6:7], off
	s_waitcnt vmcnt(6)
	v_mad_i64_i32 v[4:5], s[14:15], v4, s9, 0
	v_mov_b32_e32 v6, 0x100
	v_lshl_add_u64 v[4:5], v[4:5], 1, s[10:11]
	v_lshl_or_b32 v6, v84, 4, v6
	v_mov_b32_e32 v7, v87
	v_lshl_add_u64 v[4:5], v[4:5], 0, v[6:7]
	v_lshl_add_u64 v[10:11], v[4:5], 0, v[86:87]
	global_load_dwordx4 v[70:73], v[10:11], off
	global_load_dwordx4 v[58:61], v[10:11], off offset:2048
	v_lshl_add_u64 v[10:11], v[4:5], 0, v[14:15]
	v_lshl_add_u64 v[4:5], v[4:5], 0, v[16:17]
	global_load_dwordx4 v[54:57], v[10:11], off
	global_load_dwordx4 v[30:33], v[4:5], off
	s_waitcnt vmcnt(9)
	v_mad_i64_i32 v[4:5], s[14:15], v3, s9, 0
	v_lshl_add_u64 v[4:5], v[4:5], 1, s[10:11]
	s_waitcnt vmcnt(8)
	v_mad_i64_i32 v[2:3], s[14:15], v2, s9, 0
	v_lshl_add_u64 v[4:5], v[4:5], 0, v[8:9]
	v_lshl_add_u64 v[2:3], v[2:3], 1, s[10:11]
	;; [unrolled: 1-line block ×4, first 2 shown]
	global_load_dwordx4 v[26:29], v[8:9], off
	global_load_dwordx4 v[22:25], v[8:9], off offset:2048
	v_lshl_add_u64 v[8:9], v[4:5], 0, v[14:15]
	v_lshl_add_u64 v[4:5], v[4:5], 0, v[16:17]
	;; [unrolled: 1-line block ×4, first 2 shown]
	global_load_dwordx4 v[18:21], v[8:9], off
	global_load_dwordx4 v[10:13], v[4:5], off
	s_nop 0
	global_load_dwordx4 v[6:9], v[2:3], off
	s_nop 0
	global_load_dwordx4 v[2:5], v[2:3], off offset:2048
	v_lshl_add_u64 v[16:17], v[34:35], 0, v[16:17]
	global_load_dwordx4 v[38:41], v[14:15], off
	global_load_dwordx4 v[34:37], v[16:17], off
	v_mul_lo_u16_e32 v14, 37, v84
	v_mov_b32_e32 v15, 7
	v_mul_lo_u16_sdwa v14, v14, v15 dst_sel:DWORD dst_unused:UNUSED_PAD src0_sel:BYTE_1 src1_sel:DWORD
	v_sub_u16_e32 v14, v84, v14
	v_and_b32_e32 v14, 0xff, v14
	v_lshl_add_u32 v42, v14, 5, v86
	ds_read_b128 v[14:17], v42
	ds_read_b128 v[50:53], v42 offset:2048
	ds_read_b128 v[46:49], v42 offset:4096
	;; [unrolled: 1-line block ×3, first 2 shown]
	v_and_b32_e32 v85, 63, v0
	v_cmp_gt_u32_e32 vcc, 7, v84
	v_mov_b32_e32 v89, 0
	s_and_saveexec_b64 s[10:11], vcc
	s_cbranch_execz .LBB310_15
; %bb.14:
	s_load_dwordx2 s[14:15], s[0:1], 0x40
	v_add_u32_e32 v90, s40, v84
	v_ashrrev_i32_e32 v91, 31, v90
	s_waitcnt lgkmcnt(0)
	v_lshl_add_u64 v[90:91], v[90:91], 2, s[14:15]
	global_load_dword v89, v[90:91], off
.LBB310_15:
	s_or_b64 exec, exec, s[10:11]
	s_waitcnt vmcnt(15) lgkmcnt(3)
	v_mfma_f32_16x16x16_f16 v[90:93], v[66:67], v[14:15], 0
	s_ashr_i32 s8, s18, 31
	s_lshr_b32 s8, s8, 27
	s_add_u32 s4, s12, s4
	v_mfma_f32_16x16x16_f16 v[66:69], v[68:69], v[16:17], v[90:93]
	s_addc_u32 s5, s13, s5
	s_mov_b32 s33, 0xff7fffff
	s_waitcnt vmcnt(14) lgkmcnt(2)
	v_mfma_f32_16x16x16_f16 v[66:69], v[62:63], v[50:51], v[66:69]
	v_lshl_or_b32 v90, v88, 4, v84
	v_mfma_f32_16x16x16_f16 v[62:65], v[64:65], v[52:53], v[66:69]
	s_waitcnt vmcnt(13) lgkmcnt(1)
	v_mfma_f32_16x16x16_f16 v[62:65], v[78:79], v[46:47], v[62:65]
	v_mfma_f32_16x16x16_f16 v[62:65], v[80:81], v[48:49], v[62:65]
	s_waitcnt vmcnt(12) lgkmcnt(0)
	v_mfma_f32_16x16x16_f16 v[62:65], v[74:75], v[42:43], v[62:65]
	v_and_or_b32 v74, v0, 48, s18
	v_add_u32_e32 v66, s8, v74
	v_ashrrev_i32_e32 v75, 5, v66
	s_waitcnt vmcnt(11)
	v_mfma_f32_16x16x16_f16 v[66:69], v[70:71], v[14:15], 0
	v_cmp_gt_i32_e32 vcc, s27, v74
	v_mfma_f32_16x16x16_f16 v[66:69], v[72:73], v[16:17], v[66:69]
	v_or_b32_e32 v72, 64, v74
	v_add_u32_e32 v73, s8, v72
	s_waitcnt vmcnt(10)
	v_mfma_f32_16x16x16_f16 v[66:69], v[58:59], v[50:51], v[66:69]
	v_ashrrev_i32_e32 v58, 5, v73
	v_mfma_f32_16x16x16_f16 v[62:65], v[76:77], v[44:45], v[62:65]
	v_mov_b32_e32 v76, s19
	v_cndmask_b32_e32 v70, v76, v75, vcc
	v_cmp_gt_i32_e32 vcc, s27, v72
	v_ashrrev_i32_e32 v71, 31, v70
	v_lshl_add_u64 v[70:71], v[70:71], 2, s[6:7]
	v_cndmask_b32_e32 v72, v76, v58, vcc
	v_mfma_f32_16x16x16_f16 v[58:61], v[60:61], v[52:53], v[66:69]
	v_ashrrev_i32_e32 v73, 31, v72
	s_waitcnt vmcnt(9)
	v_mfma_f32_16x16x16_f16 v[58:61], v[54:55], v[46:47], v[58:61]
	v_lshl_add_u64 v[66:67], v[72:73], 2, s[6:7]
	global_load_dword v72, v[70:71], off
	global_load_dword v75, v[66:67], off
	v_or_b32_e32 v66, 0x80, v74
	v_add_u32_e32 v67, s8, v66
	v_mfma_f32_16x16x16_f16 v[54:57], v[56:57], v[48:49], v[58:61]
	v_cmp_gt_i32_e32 vcc, s27, v66
	s_nop 1
	v_ashrrev_i32_e32 v58, 5, v67
	v_cndmask_b32_e32 v58, v76, v58, vcc
	v_ashrrev_i32_e32 v59, 31, v58
	s_waitcnt vmcnt(10)
	v_mfma_f32_16x16x16_f16 v[54:57], v[30:31], v[42:43], v[54:57]
	v_lshl_add_u64 v[30:31], v[58:59], 2, s[6:7]
	global_load_dword v58, v[30:31], off
	v_mfma_f32_16x16x16_f16 v[66:69], v[32:33], v[44:45], v[54:57]
	s_nop 3
	v_or_b32_e32 v54, 0xc0, v74
	v_add_u32_e32 v30, s8, v54
	v_ashrrev_i32_e32 v55, 5, v30
	v_cmp_gt_i32_e32 vcc, s27, v54
	s_waitcnt vmcnt(10)
	v_mfma_f32_16x16x16_f16 v[30:33], v[26:27], v[14:15], 0
	v_cndmask_b32_e32 v26, v76, v55, vcc
	v_ashrrev_i32_e32 v27, 31, v26
	v_lshl_add_u64 v[54:55], v[26:27], 2, s[6:7]
	global_load_dword v59, v[54:55], off
	v_mfma_f32_16x16x16_f16 v[26:29], v[28:29], v[16:17], v[30:33]
	s_load_dword s6, s[0:1], 0x1c
	s_waitcnt lgkmcnt(0)
	v_pk_mul_f32 v[76:77], s[6:7], v[66:67] op_sel_hi:[0,1]
	s_waitcnt vmcnt(10)
	v_mfma_f32_16x16x16_f16 v[26:29], v[22:23], v[50:51], v[26:29]
	v_and_b32_e32 v30, 16, v0
	v_lshlrev_b32_e32 v86, 1, v30
	v_lshl_add_u64 v[60:61], s[4:5], 0, v[86:87]
	v_mfma_f32_16x16x16_f16 v[22:25], v[24:25], v[52:53], v[26:29]
	v_lshlrev_b32_e32 v86, 6, v90
	v_lshl_add_u64 v[70:71], v[60:61], 0, v[86:87]
	v_or_b32_e32 v86, 0x1000, v86
	s_waitcnt vmcnt(9)
	v_mfma_f32_16x16x16_f16 v[22:25], v[18:19], v[46:47], v[22:25]
	v_lshl_add_u64 v[80:81], v[60:61], 0, v[86:87]
	v_pk_mul_f32 v[78:79], s[6:7], v[64:65] op_sel_hi:[0,1]
	v_pk_mul_f32 v[60:61], s[6:7], v[62:63] op_sel_hi:[0,1]
	v_mfma_f32_16x16x16_f16 v[18:21], v[20:21], v[48:49], v[22:25]
	s_waitcnt vmcnt(8)
	v_mfma_f32_16x16x16_f16 v[18:21], v[10:11], v[42:43], v[18:21]
	s_waitcnt vmcnt(3)
	v_mad_i64_i32 v[22:23], s[4:5], v72, s9, 0
	s_waitcnt vmcnt(2)
	v_mad_i64_i32 v[10:11], s[4:5], v75, s9, 0
	v_lshlrev_b64 v[72:73], 1, v[22:23]
	v_lshlrev_b64 v[54:55], 1, v[10:11]
	v_lshl_add_u64 v[22:23], v[70:71], 0, v[72:73]
	v_lshl_add_u64 v[10:11], v[70:71], 0, v[54:55]
	global_load_dwordx4 v[30:33], v[22:23], off
	global_load_dwordx4 v[26:29], v[22:23], off offset:16
	v_mfma_f32_16x16x16_f16 v[92:95], v[12:13], v[44:45], v[18:21]
	global_load_dwordx4 v[22:25], v[10:11], off
	s_nop 1
	global_load_dwordx4 v[18:21], v[10:11], off offset:16
	v_pk_mul_f32 v[74:75], s[6:7], v[68:69] op_sel_hi:[0,1]
	v_mfma_f32_16x16x16_f16 v[10:13], v[6:7], v[14:15], 0
	s_waitcnt vmcnt(5)
	v_mad_i64_i32 v[6:7], s[4:5], v58, s9, 0
	v_lshlrev_b64 v[56:57], 1, v[6:7]
	v_mfma_f32_16x16x16_f16 v[6:9], v[8:9], v[16:17], v[10:13]
	v_mfma_f32_16x16x16_f16 v[6:9], v[2:3], v[50:51], v[6:9]
	s_nop 1
	v_lshl_add_u64 v[10:11], v[70:71], 0, v[56:57]
	global_load_dwordx4 v[14:17], v[10:11], off
	s_nop 0
	global_load_dwordx4 v[10:13], v[10:11], off offset:16
	s_waitcnt vmcnt(6)
	v_mad_i64_i32 v[2:3], s[4:5], v59, s9, 0
	v_mfma_f32_16x16x16_f16 v[50:53], v[4:5], v[52:53], v[6:9]
	v_lshlrev_b64 v[58:59], 1, v[2:3]
	v_lshl_add_u64 v[2:3], v[70:71], 0, v[58:59]
	v_pk_mul_f32 v[70:71], s[6:7], v[94:95] op_sel_hi:[0,1]
	v_mfma_f32_16x16x16_f16 v[50:53], v[38:39], v[46:47], v[50:53]
	v_lshl_add_u64 v[38:39], v[80:81], 0, v[72:73]
	v_pk_mul_f32 v[72:73], s[6:7], v[92:93] op_sel_hi:[0,1]
	v_lshl_add_u64 v[58:59], v[80:81], 0, v[58:59]
	v_mfma_f32_16x16x16_f16 v[46:49], v[40:41], v[48:49], v[50:53]
	global_load_dwordx4 v[6:9], v[2:3], off
	s_nop 0
	global_load_dwordx4 v[2:5], v[2:3], off offset:16
	v_mfma_f32_16x16x16_f16 v[40:43], v[34:35], v[42:43], v[46:49]
	v_mfma_f32_16x16x16_f16 v[34:37], v[36:37], v[44:45], v[40:43]
	s_nop 6
	v_pk_mul_f32 v[68:69], s[6:7], v[34:35] op_sel_hi:[0,1]
	v_and_b32_e32 v34, 0xc0, v0
	v_add_u32_e32 v34, s18, v34
	v_lshl_or_b32 v34, v1, 2, v34
	v_or_b32_e32 v35, 1, v34
	v_pk_mul_f32 v[66:67], s[6:7], v[36:37] op_sel_hi:[0,1]
	v_subrev_u32_e32 v36, s27, v35
	v_add_u32_e32 v40, 1, v36
	v_add_u32_e32 v41, 2, v36
	v_cvt_f32_i32_e32 v37, v36
	v_cvt_f32_i32_e32 v40, v40
	;; [unrolled: 1-line block ×3, first 2 shown]
	v_add_u32_e32 v42, 3, v36
	v_fma_f32 v60, v89, v37, v60
	v_fmac_f32_e32 v61, v89, v40
	v_fma_f32 v78, v89, v41, v78
	v_add_u32_e32 v37, 16, v36
	v_add_u32_e32 v40, 17, v36
	;; [unrolled: 1-line block ×3, first 2 shown]
	v_cvt_f32_i32_e32 v42, v42
	v_cvt_f32_i32_e32 v37, v37
	;; [unrolled: 1-line block ×4, first 2 shown]
	v_fmac_f32_e32 v79, v89, v42
	v_add_u32_e32 v42, 19, v36
	v_fma_f32 v76, v89, v37, v76
	v_fmac_f32_e32 v77, v89, v40
	v_fma_f32 v74, v89, v41, v74
	v_add_u32_e32 v37, 32, v36
	v_add_u32_e32 v40, 33, v36
	;; [unrolled: 1-line block ×3, first 2 shown]
	v_cvt_f32_i32_e32 v42, v42
	v_cvt_f32_i32_e32 v37, v37
	;; [unrolled: 1-line block ×4, first 2 shown]
	v_fmac_f32_e32 v75, v89, v42
	v_add_u32_e32 v42, 35, v36
	v_fma_f32 v72, v89, v37, v72
	v_fmac_f32_e32 v73, v89, v40
	v_fma_f32 v70, v89, v41, v70
	v_add_u32_e32 v37, 48, v36
	v_add_u32_e32 v40, 49, v36
	;; [unrolled: 1-line block ×4, first 2 shown]
	v_cvt_f32_i32_e32 v36, v36
	v_cvt_f32_i32_e32 v37, v37
	;; [unrolled: 1-line block ×3, first 2 shown]
	v_cmp_gt_i32_e64 s[28:29], s27, v34
	v_fmac_f32_e32 v67, v89, v36
	v_mov_b32_e32 v36, 0xff7fffff
	v_cmp_gt_i32_e64 s[30:31], s27, v35
	v_fma_f32 v68, v89, v37, v68
	v_cndmask_b32_e64 v37, v36, v60, s[28:29]
	v_cndmask_b32_e64 v35, v36, v61, s[30:31]
	v_fmac_f32_e32 v69, v89, v40
	v_max3_f32 v35, v37, s33, v35
	v_or_b32_e32 v37, 2, v34
	v_or_b32_e32 v40, 3, v34
	v_cmp_gt_i32_e64 s[34:35], s27, v37
	v_cmp_gt_i32_e64 s[36:37], s27, v40
	v_cvt_f32_i32_e32 v42, v42
	v_cndmask_b32_e64 v37, v36, v78, s[34:35]
	v_cndmask_b32_e64 v40, v36, v79, s[36:37]
	v_max3_f32 v35, v35, v37, v40
	v_or_b32_e32 v37, 16, v34
	v_or_b32_e32 v40, 17, v34
	v_cmp_gt_i32_e64 s[22:23], s27, v37
	v_cmp_gt_i32_e64 s[24:25], s27, v40
	v_fmac_f32_e32 v71, v89, v42
	v_cndmask_b32_e64 v37, v36, v76, s[22:23]
	v_cndmask_b32_e64 v40, v36, v77, s[24:25]
	v_max3_f32 v35, v35, v37, v40
	v_or_b32_e32 v37, 18, v34
	v_or_b32_e32 v40, 19, v34
	v_cmp_gt_i32_e64 s[18:19], s27, v37
	v_cmp_gt_i32_e64 s[20:21], s27, v40
	v_cvt_f32_i32_e32 v41, v41
	v_cndmask_b32_e64 v37, v36, v74, s[18:19]
	v_cndmask_b32_e64 v40, v36, v75, s[20:21]
	v_max3_f32 v35, v35, v37, v40
	v_or_b32_e32 v37, 32, v34
	v_or_b32_e32 v40, 33, v34
	v_cmp_gt_i32_e64 s[14:15], s27, v37
	v_cmp_gt_i32_e64 s[16:17], s27, v40
	v_fma_f32 v66, v89, v41, v66
	v_cndmask_b32_e64 v37, v36, v72, s[14:15]
	v_cndmask_b32_e64 v40, v36, v73, s[16:17]
	v_max3_f32 v35, v35, v37, v40
	v_or_b32_e32 v37, 34, v34
	v_or_b32_e32 v40, 35, v34
	v_cmp_gt_i32_e64 s[10:11], s27, v37
	v_cmp_gt_i32_e64 s[12:13], s27, v40
	s_nop 0
	v_cndmask_b32_e64 v37, v36, v70, s[10:11]
	v_cndmask_b32_e64 v40, v36, v71, s[12:13]
	v_max3_f32 v35, v35, v37, v40
	v_or_b32_e32 v37, 48, v34
	v_or_b32_e32 v40, 49, v34
	v_cmp_gt_i32_e64 s[6:7], s27, v37
	v_cmp_gt_i32_e64 s[8:9], s27, v40
	s_nop 0
	v_cndmask_b32_e64 v37, v36, v68, s[6:7]
	v_cndmask_b32_e64 v40, v36, v69, s[8:9]
	v_max3_f32 v35, v35, v37, v40
	v_or_b32_e32 v37, 50, v34
	v_or_b32_e32 v34, 51, v34
	v_cmp_gt_i32_e32 vcc, s27, v37
	v_cmp_gt_i32_e64 s[4:5], s27, v34
	global_load_dwordx4 v[46:49], v[38:39], off
	s_nop 0
	global_load_dwordx4 v[38:41], v[38:39], off offset:16
	v_cndmask_b32_e32 v37, v36, v66, vcc
	v_cndmask_b32_e64 v34, v36, v67, s[4:5]
	v_max3_f32 v50, v35, v37, v34
	v_mbcnt_lo_u32_b32 v34, -1, 0
	v_mbcnt_hi_u32_b32 v51, -1, v34
	v_and_b32_e32 v34, 64, v51
	v_add_u32_e32 v52, 64, v34
	v_xor_b32_e32 v34, 32, v51
	v_cmp_lt_i32_e64 s[38:39], v34, v52
	s_nop 1
	v_cndmask_b32_e64 v34, v51, v34, s[38:39]
	v_lshlrev_b32_e32 v87, 2, v34
	ds_bpermute_b32 v53, v87, v50
	v_lshl_add_u64 v[34:35], v[80:81], 0, v[54:55]
	global_load_dwordx4 v[42:45], v[34:35], off
	s_nop 0
	global_load_dwordx4 v[34:37], v[34:35], off offset:16
	s_waitcnt lgkmcnt(0)
	v_max_f32_e32 v53, v53, v53
	v_max_f32_e32 v62, v50, v53
	v_xor_b32_e32 v50, 16, v51
	v_cmp_lt_i32_e64 s[38:39], v50, v52
	s_nop 1
	v_cndmask_b32_e64 v50, v51, v50, s[38:39]
	v_lshlrev_b32_e32 v89, 2, v50
	ds_bpermute_b32 v63, v89, v62
	v_lshl_add_u64 v[50:51], v[80:81], 0, v[56:57]
	global_load_dwordx4 v[54:57], v[50:51], off
	s_nop 0
	global_load_dwordx4 v[50:53], v[50:51], off offset:16
	s_waitcnt lgkmcnt(0)
	v_max_f32_e32 v63, v63, v63
	v_max_f32_e32 v86, v62, v63
	v_sub_f32_e32 v60, v60, v86
	v_mul_f32_e32 v60, 0x3fb8aa3b, v60
	v_exp_f32_e32 v80, v60
	v_sub_f32_e32 v60, v61, v86
	v_mul_f32_e32 v60, 0x3fb8aa3b, v60
	v_exp_f32_e32 v81, v60
	global_load_dwordx4 v[62:65], v[58:59], off
	s_nop 0
	global_load_dwordx4 v[58:61], v[58:59], off offset:16
	v_sub_f32_e32 v78, v78, v86
	v_mul_f32_e32 v78, 0x3fb8aa3b, v78
	v_sub_f32_e32 v79, v79, v86
	v_exp_f32_e32 v78, v78
	v_mul_f32_e32 v79, 0x3fb8aa3b, v79
	v_sub_f32_e32 v76, v76, v86
	v_exp_f32_e32 v79, v79
	v_mul_f32_e32 v76, 0x3fb8aa3b, v76
	v_sub_f32_e32 v77, v77, v86
	v_cndmask_b32_e64 v80, 0, v80, s[28:29]
	v_exp_f32_e32 v76, v76
	v_mul_f32_e32 v77, 0x3fb8aa3b, v77
	v_sub_f32_e32 v74, v74, v86
	v_add_f32_e32 v91, 0, v80
	v_cndmask_b32_e64 v81, 0, v81, s[30:31]
	v_exp_f32_e32 v77, v77
	v_mul_f32_e32 v74, 0x3fb8aa3b, v74
	v_sub_f32_e32 v75, v75, v86
	v_add_f32_e32 v91, v91, v81
	;; [unrolled: 5-line block ×10, first 2 shown]
	v_cndmask_b32_e64 v70, 0, v70, s[10:11]
	v_exp_f32_e32 v66, v66
	v_mul_f32_e32 v67, 0x3fb8aa3b, v67
	v_add_f32_e32 v91, v91, v70
	v_cndmask_b32_e64 v71, 0, v71, s[12:13]
	v_exp_f32_e32 v67, v67
	v_add_f32_e32 v91, v91, v71
	v_cndmask_b32_e64 v68, 0, v68, s[6:7]
	v_add_f32_e32 v91, v91, v68
	v_cndmask_b32_e64 v69, 0, v69, s[8:9]
	v_add_f32_e32 v91, v91, v69
	v_cndmask_b32_e32 v66, 0, v66, vcc
	v_add_f32_e32 v91, v91, v66
	v_cndmask_b32_e64 v67, 0, v67, s[4:5]
	v_add_f32_e32 v91, v91, v67
	ds_bpermute_b32 v87, v87, v91
	s_load_dword s7, s[0:1], 0x98
	v_cmp_gt_u32_e32 vcc, 16, v85
	s_waitcnt lgkmcnt(0)
	s_barrier
	v_add_f32_e32 v87, v91, v87
	ds_bpermute_b32 v89, v89, v87
	s_waitcnt lgkmcnt(0)
	s_and_saveexec_b64 s[4:5], vcc
	s_cbranch_execz .LBB310_17
; %bb.16:
	v_add_f32_e32 v85, v87, v89
	v_lshlrev_b32_e32 v87, 2, v90
	ds_write2st64_b32 v87, v86, v85 offset1:1
.LBB310_17:
	s_or_b64 exec, exec, s[4:5]
	v_lshlrev_b32_e32 v85, 2, v84
	s_load_dword s6, s[0:1], 0x94
	s_waitcnt lgkmcnt(0)
	s_barrier
	ds_read2_b32 v[90:91], v85 offset1:16
	ds_read2_b32 v[92:93], v85 offset0:32 offset1:48
	ds_read2_b32 v[94:95], v85 offset0:64 offset1:80
	s_mul_i32 s7, s7, 7
	s_waitcnt lgkmcnt(2)
	v_max3_f32 v86, v90, s33, v91
	s_waitcnt lgkmcnt(1)
	v_max3_f32 v86, v86, v92, v93
	v_sub_f32_e32 v87, v90, v86
	v_mul_f32_e32 v87, 0x3fb8aa3b, v87
	v_exp_f32_e32 v89, v87
	v_sub_f32_e32 v87, v91, v86
	v_mul_f32_e32 v87, 0x3fb8aa3b, v87
	v_exp_f32_e32 v88, v87
	v_sub_f32_e32 v87, v92, v86
	v_mul_f32_e32 v87, 0x3fb8aa3b, v87
	ds_read2_b32 v[90:91], v85 offset0:96 offset1:112
	v_sub_f32_e32 v85, v93, v86
	v_exp_f32_e32 v92, v87
	v_mul_f32_e32 v85, 0x3fb8aa3b, v85
	v_exp_f32_e32 v85, v85
	s_waitcnt lgkmcnt(1)
	v_fma_f32 v87, v89, v94, 0
	v_fmac_f32_e32 v87, v88, v95
	s_waitcnt lgkmcnt(0)
	v_fmac_f32_e32 v87, v92, v90
	v_fmac_f32_e32 v87, v85, v91
	v_add_f32_e32 v90, 0x358637bd, v87
	v_div_scale_f32 v91, s[4:5], v90, v90, 1.0
	v_rcp_f32_e32 v93, v91
	s_barrier
	v_fma_f32 v94, -v91, v93, 1.0
	v_fmac_f32_e32 v93, v94, v93
	v_div_scale_f32 v94, vcc, 1.0, v90, 1.0
	v_mul_f32_e32 v95, v94, v93
	v_fma_f32 v1, -v91, v95, v94
	v_fmac_f32_e32 v95, v1, v93
	v_fma_f32 v1, -v91, v95, v94
	v_lshrrev_b32_e32 v91, 6, v0
	v_div_fmas_f32 v1, v1, v93, v95
	v_cmp_eq_u32_e32 vcc, 1, v91
	v_div_fixup_f32 v1, v1, v90, 1.0
	s_nop 0
	v_cndmask_b32_e32 v88, v89, v88, vcc
	v_cmp_eq_u32_e32 vcc, 2, v91
	s_nop 1
	v_cndmask_b32_e32 v88, v88, v92, vcc
	v_cmp_eq_u32_e32 vcc, 3, v91
	s_nop 1
	v_cndmask_b32_e32 v85, v88, v85, vcc
	v_mul_f32_e32 v90, v85, v1
	v_pk_mul_f32 v[78:79], v[90:91], v[78:79] op_sel_hi:[0,1]
	v_cvt_f16_f32_e32 v78, v78
	v_cvt_f16_f32_e32 v79, v79
	v_pk_mul_f32 v[80:81], v[90:91], v[80:81] op_sel_hi:[0,1]
	v_cvt_f16_f32_e32 v1, v80
	v_cvt_f16_f32_e32 v80, v81
	v_pk_mul_f32 v[74:75], v[90:91], v[74:75] op_sel_hi:[0,1]
	v_pk_mul_f32 v[76:77], v[90:91], v[76:77] op_sel_hi:[0,1]
	v_pack_b32_f16 v81, v78, v79
	v_cvt_f16_f32_e32 v76, v76
	v_cvt_f16_f32_e32 v77, v77
	;; [unrolled: 1-line block ×4, first 2 shown]
	v_bfe_u32 v88, v0, 4, 2
	v_pack_b32_f16 v80, v1, v80
	v_lshlrev_b32_e32 v1, 3, v88
	v_lshlrev_b32_e32 v78, 5, v84
	;; [unrolled: 1-line block ×3, first 2 shown]
	v_or3_b32 v1, v74, v78, v1
	v_pack_b32_f16 v74, v76, v77
	v_pack_b32_f16 v75, v79, v75
	v_pk_mul_f32 v[70:71], v[90:91], v[70:71] op_sel_hi:[0,1]
	v_pk_mul_f32 v[72:73], v[90:91], v[72:73] op_sel_hi:[0,1]
	;; [unrolled: 1-line block ×4, first 2 shown]
	ds_write2st64_b64 v1, v[80:81], v[74:75] offset1:1
	v_cvt_f16_f32_e32 v72, v72
	v_cvt_f16_f32_e32 v73, v73
	;; [unrolled: 1-line block ×8, first 2 shown]
	v_pack_b32_f16 v66, v72, v73
	v_pack_b32_f16 v67, v70, v71
	;; [unrolled: 1-line block ×4, first 2 shown]
	v_cmp_gt_u32_e32 vcc, 7, v0
	ds_write2st64_b64 v1, v[66:67], v[68:69] offset0:2 offset1:3
	s_and_saveexec_b64 s[4:5], vcc
	s_cbranch_execz .LBB310_19
; %bb.18:
	s_mov_b32 s41, 0
	v_mov_b32_e32 v85, 0
	v_lshl_add_u64 v[66:67], s[40:41], 0, v[84:85]
	v_mov_b32_e32 v68, s7
	v_mad_u64_u32 v[66:67], s[12:13], s2, v68, v[66:67]
	s_mul_i32 s3, s3, s7
	v_mov_b32_e32 v68, s26
	v_mov_b32_e32 v69, v85
	s_load_dwordx4 s[8:11], s[0:1], 0x58
	v_add_u32_e32 v70, s3, v67
	v_mad_u64_u32 v[66:67], s[12:13], v66, s6, v[68:69]
	v_mov_b32_e32 v68, v67
	v_mad_u64_u32 v[68:69], s[12:13], v70, s6, v[68:69]
	v_mov_b32_e32 v67, v68
	v_lshlrev_b64 v[66:67], 2, v[66:67]
	s_waitcnt lgkmcnt(0)
	v_lshl_add_u64 v[68:69], s[10:11], 0, v[66:67]
	v_lshl_add_u64 v[66:67], s[8:9], 0, v[66:67]
	global_store_dword v[68:69], v86, off
	global_store_dword v[66:67], v87, off
.LBB310_19:
	s_or_b64 exec, exec, s[4:5]
	v_lshl_or_b32 v78, v88, 9, v78
	s_waitcnt lgkmcnt(0)
	s_barrier
	ds_read_b128 v[70:73], v78
	ds_read_b128 v[66:69], v78 offset:16
	s_waitcnt vmcnt(15) lgkmcnt(1)
	v_mfma_f32_16x16x16_f16 v[74:77], v[30:31], v[70:71], 0
	s_mov_b32 s3, 0
	v_cmp_gt_u32_e32 vcc, 64, v0
	v_mfma_f32_16x16x16_f16 v[30:33], v[32:33], v[72:73], v[74:77]
	s_waitcnt vmcnt(14) lgkmcnt(0)
	v_mfma_f32_16x16x16_f16 v[30:33], v[26:27], v[66:67], v[30:33]
	v_mfma_f32_16x16x16_f16 v[26:29], v[28:29], v[68:69], v[30:33]
	s_nop 5
	ds_read_b128 v[30:33], v78 offset:2048
	ds_read_b128 v[74:77], v78 offset:2064
	s_waitcnt vmcnt(13) lgkmcnt(1)
	v_mfma_f32_16x16x16_f16 v[26:29], v[22:23], v[30:31], v[26:29]
	v_mfma_f32_16x16x16_f16 v[22:25], v[24:25], v[32:33], v[26:29]
	s_waitcnt vmcnt(12) lgkmcnt(0)
	v_mfma_f32_16x16x16_f16 v[22:25], v[18:19], v[74:75], v[22:25]
	v_mfma_f32_16x16x16_f16 v[18:21], v[20:21], v[76:77], v[22:25]
	s_nop 5
	ds_read_b128 v[22:25], v78 offset:4096
	ds_read_b128 v[26:29], v78 offset:4112
	s_waitcnt vmcnt(11) lgkmcnt(1)
	v_mfma_f32_16x16x16_f16 v[18:21], v[14:15], v[22:23], v[18:21]
	v_mfma_f32_16x16x16_f16 v[14:17], v[16:17], v[24:25], v[18:21]
	s_waitcnt vmcnt(10) lgkmcnt(0)
	v_mfma_f32_16x16x16_f16 v[14:17], v[10:11], v[26:27], v[14:17]
	v_mfma_f32_16x16x16_f16 v[10:13], v[12:13], v[28:29], v[14:17]
	s_nop 5
	ds_read_b128 v[14:17], v78 offset:6144
	ds_read_b128 v[18:21], v78 offset:6160
	s_waitcnt lgkmcnt(0)
	s_barrier
	s_waitcnt vmcnt(9)
	v_mfma_f32_16x16x16_f16 v[10:13], v[6:7], v[14:15], v[10:13]
	v_mfma_f32_16x16x16_f16 v[6:9], v[8:9], v[16:17], v[10:13]
	s_waitcnt vmcnt(8)
	v_mfma_f32_16x16x16_f16 v[6:9], v[2:3], v[18:19], v[6:9]
	v_mfma_f32_16x16x16_f16 v[2:5], v[4:5], v[20:21], v[6:9]
	;; [unrolled: 3-line block ×3, first 2 shown]
	s_nop 3
	v_cvt_f16_f32_e32 v10, v2
	v_cvt_f16_f32_e32 v11, v3
	;; [unrolled: 1-line block ×3, first 2 shown]
	s_waitcnt vmcnt(6)
	v_mfma_f32_16x16x16_f16 v[6:9], v[38:39], v[66:67], v[6:9]
	v_cvt_f16_f32_e32 v13, v5
	v_mfma_f32_16x16x16_f16 v[6:9], v[40:41], v[68:69], v[6:9]
	s_waitcnt vmcnt(5)
	v_mfma_f32_16x16x16_f16 v[6:9], v[42:43], v[30:31], v[6:9]
	v_mfma_f32_16x16x16_f16 v[6:9], v[44:45], v[32:33], v[6:9]
	s_waitcnt vmcnt(4)
	v_mfma_f32_16x16x16_f16 v[6:9], v[34:35], v[74:75], v[6:9]
	;; [unrolled: 3-line block ×6, first 2 shown]
	v_mfma_f32_16x16x16_f16 v[2:5], v[60:61], v[20:21], v[6:9]
	s_nop 6
	v_cvt_f16_f32_e32 v6, v2
	v_cvt_f16_f32_e32 v7, v3
	;; [unrolled: 1-line block ×4, first 2 shown]
	v_pack_b32_f16 v2, v10, v11
	v_pack_b32_f16 v3, v12, v13
	;; [unrolled: 1-line block ×4, first 2 shown]
	ds_write2st64_b64 v1, v[2:3], v[4:5] offset1:1
	s_waitcnt lgkmcnt(0)
	s_barrier
	s_and_saveexec_b64 s[4:5], vcc
	s_cbranch_execz .LBB310_22
; %bb.20:
	s_load_dwordx2 s[4:5], s[0:1], 0x68
	s_lshl_b32 s0, s6, 7
	s_mul_i32 s1, s7, s2
	v_lshlrev_b32_e32 v3, 6, v84
	s_mul_hi_u32 s7, s1, s0
	s_mul_i32 s6, s1, s0
	v_lshlrev_b32_e32 v2, 4, v0
	v_lshl_or_b32 v0, v0, 10, v3
	s_lshl_b64 s[6:7], s[6:7], 1
	v_lshlrev_b32_e32 v1, 5, v88
	v_and_b32_e32 v2, 16, v2
	v_and_b32_e32 v0, 0x1a00, v0
	s_waitcnt lgkmcnt(0)
	s_add_u32 s1, s4, s6
	v_or3_b32 v2, v0, v1, v2
	s_addc_u32 s4, s5, s7
	s_lshl_b32 s2, s26, 7
	s_lshl_b64 s[2:3], s[2:3], 1
	ds_read_b128 v[4:7], v2
	s_add_u32 s2, s1, s2
	s_addc_u32 s3, s4, s3
	v_add_u32_e32 v3, s40, v88
	v_lshl_add_u64 v[0:1], v[82:83], 1, s[2:3]
	v_mad_u64_u32 v[8:9], s[2:3], v3, s0, 0
	v_lshl_add_u64 v[8:9], v[8:9], 1, v[0:1]
	v_cmp_ne_u32_e32 vcc, 3, v88
	s_waitcnt lgkmcnt(0)
	global_store_dwordx4 v[8:9], v[4:7], off
	s_and_b64 exec, exec, vcc
	s_cbranch_execz .LBB310_22
; %bb.21:
	ds_read_b128 v[2:5], v2 offset:128
	v_add3_u32 v6, s40, v88, 4
	v_mad_u64_u32 v[6:7], s[0:1], v6, s0, 0
	v_lshl_add_u64 v[0:1], v[6:7], 1, v[0:1]
	s_waitcnt lgkmcnt(0)
	global_store_dwordx4 v[0:1], v[2:5], off
.LBB310_22:
	s_endpgm
	.section	.rodata,"a",@progbits
	.p2align	6, 0x0
	.amdhsa_kernel _Z39paged_attention_ll4mi_QKV_mfma16_kernelIDF16_DF16_LN4vllm18Fp8KVCacheDataTypeE0EhLi32ELi128ELi256ELb1ELi7EEvPKT_PKT0_S7_ifPKiS9_S9_iPKfiiiPfSC_PS2_PT2_iSB_SB_
		.amdhsa_group_segment_fixed_size 8192
		.amdhsa_private_segment_fixed_size 0
		.amdhsa_kernarg_size 400
		.amdhsa_user_sgpr_count 2
		.amdhsa_user_sgpr_dispatch_ptr 0
		.amdhsa_user_sgpr_queue_ptr 0
		.amdhsa_user_sgpr_kernarg_segment_ptr 1
		.amdhsa_user_sgpr_dispatch_id 0
		.amdhsa_user_sgpr_kernarg_preload_length 0
		.amdhsa_user_sgpr_kernarg_preload_offset 0
		.amdhsa_user_sgpr_private_segment_size 0
		.amdhsa_uses_dynamic_stack 0
		.amdhsa_enable_private_segment 0
		.amdhsa_system_sgpr_workgroup_id_x 1
		.amdhsa_system_sgpr_workgroup_id_y 1
		.amdhsa_system_sgpr_workgroup_id_z 1
		.amdhsa_system_sgpr_workgroup_info 0
		.amdhsa_system_vgpr_workitem_id 0
		.amdhsa_next_free_vgpr 96
		.amdhsa_next_free_sgpr 42
		.amdhsa_accum_offset 96
		.amdhsa_reserve_vcc 1
		.amdhsa_float_round_mode_32 0
		.amdhsa_float_round_mode_16_64 0
		.amdhsa_float_denorm_mode_32 3
		.amdhsa_float_denorm_mode_16_64 3
		.amdhsa_dx10_clamp 1
		.amdhsa_ieee_mode 1
		.amdhsa_fp16_overflow 0
		.amdhsa_tg_split 0
		.amdhsa_exception_fp_ieee_invalid_op 0
		.amdhsa_exception_fp_denorm_src 0
		.amdhsa_exception_fp_ieee_div_zero 0
		.amdhsa_exception_fp_ieee_overflow 0
		.amdhsa_exception_fp_ieee_underflow 0
		.amdhsa_exception_fp_ieee_inexact 0
		.amdhsa_exception_int_div_zero 0
	.end_amdhsa_kernel
	.section	.text._Z39paged_attention_ll4mi_QKV_mfma16_kernelIDF16_DF16_LN4vllm18Fp8KVCacheDataTypeE0EhLi32ELi128ELi256ELb1ELi7EEvPKT_PKT0_S7_ifPKiS9_S9_iPKfiiiPfSC_PS2_PT2_iSB_SB_,"axG",@progbits,_Z39paged_attention_ll4mi_QKV_mfma16_kernelIDF16_DF16_LN4vllm18Fp8KVCacheDataTypeE0EhLi32ELi128ELi256ELb1ELi7EEvPKT_PKT0_S7_ifPKiS9_S9_iPKfiiiPfSC_PS2_PT2_iSB_SB_,comdat
.Lfunc_end310:
	.size	_Z39paged_attention_ll4mi_QKV_mfma16_kernelIDF16_DF16_LN4vllm18Fp8KVCacheDataTypeE0EhLi32ELi128ELi256ELb1ELi7EEvPKT_PKT0_S7_ifPKiS9_S9_iPKfiiiPfSC_PS2_PT2_iSB_SB_, .Lfunc_end310-_Z39paged_attention_ll4mi_QKV_mfma16_kernelIDF16_DF16_LN4vllm18Fp8KVCacheDataTypeE0EhLi32ELi128ELi256ELb1ELi7EEvPKT_PKT0_S7_ifPKiS9_S9_iPKfiiiPfSC_PS2_PT2_iSB_SB_
                                        ; -- End function
	.section	.AMDGPU.csdata,"",@progbits
; Kernel info:
; codeLenInByte = 4872
; NumSgprs: 48
; NumVgprs: 96
; NumAgprs: 0
; TotalNumVgprs: 96
; ScratchSize: 0
; MemoryBound: 0
; FloatMode: 240
; IeeeMode: 1
; LDSByteSize: 8192 bytes/workgroup (compile time only)
; SGPRBlocks: 5
; VGPRBlocks: 11
; NumSGPRsForWavesPerEU: 48
; NumVGPRsForWavesPerEU: 96
; AccumOffset: 96
; Occupancy: 5
; WaveLimiterHint : 1
; COMPUTE_PGM_RSRC2:SCRATCH_EN: 0
; COMPUTE_PGM_RSRC2:USER_SGPR: 2
; COMPUTE_PGM_RSRC2:TRAP_HANDLER: 0
; COMPUTE_PGM_RSRC2:TGID_X_EN: 1
; COMPUTE_PGM_RSRC2:TGID_Y_EN: 1
; COMPUTE_PGM_RSRC2:TGID_Z_EN: 1
; COMPUTE_PGM_RSRC2:TIDIG_COMP_CNT: 0
; COMPUTE_PGM_RSRC3_GFX90A:ACCUM_OFFSET: 23
; COMPUTE_PGM_RSRC3_GFX90A:TG_SPLIT: 0
	.section	.text._Z39paged_attention_ll4mi_QKV_mfma16_kernelIDF16_DF16_LN4vllm18Fp8KVCacheDataTypeE0EhLi32ELi128ELi256ELb1ELi8EEvPKT_PKT0_S7_ifPKiS9_S9_iPKfiiiPfSC_PS2_PT2_iSB_SB_,"axG",@progbits,_Z39paged_attention_ll4mi_QKV_mfma16_kernelIDF16_DF16_LN4vllm18Fp8KVCacheDataTypeE0EhLi32ELi128ELi256ELb1ELi8EEvPKT_PKT0_S7_ifPKiS9_S9_iPKfiiiPfSC_PS2_PT2_iSB_SB_,comdat
	.protected	_Z39paged_attention_ll4mi_QKV_mfma16_kernelIDF16_DF16_LN4vllm18Fp8KVCacheDataTypeE0EhLi32ELi128ELi256ELb1ELi8EEvPKT_PKT0_S7_ifPKiS9_S9_iPKfiiiPfSC_PS2_PT2_iSB_SB_ ; -- Begin function _Z39paged_attention_ll4mi_QKV_mfma16_kernelIDF16_DF16_LN4vllm18Fp8KVCacheDataTypeE0EhLi32ELi128ELi256ELb1ELi8EEvPKT_PKT0_S7_ifPKiS9_S9_iPKfiiiPfSC_PS2_PT2_iSB_SB_
	.globl	_Z39paged_attention_ll4mi_QKV_mfma16_kernelIDF16_DF16_LN4vllm18Fp8KVCacheDataTypeE0EhLi32ELi128ELi256ELb1ELi8EEvPKT_PKT0_S7_ifPKiS9_S9_iPKfiiiPfSC_PS2_PT2_iSB_SB_
	.p2align	8
	.type	_Z39paged_attention_ll4mi_QKV_mfma16_kernelIDF16_DF16_LN4vllm18Fp8KVCacheDataTypeE0EhLi32ELi128ELi256ELb1ELi8EEvPKT_PKT0_S7_ifPKiS9_S9_iPKfiiiPfSC_PS2_PT2_iSB_SB_,@function
_Z39paged_attention_ll4mi_QKV_mfma16_kernelIDF16_DF16_LN4vllm18Fp8KVCacheDataTypeE0EhLi32ELi128ELi256ELb1ELi8EEvPKT_PKT0_S7_ifPKiS9_S9_iPKfiiiPfSC_PS2_PT2_iSB_SB_: ; @_Z39paged_attention_ll4mi_QKV_mfma16_kernelIDF16_DF16_LN4vllm18Fp8KVCacheDataTypeE0EhLi32ELi128ELi256ELb1ELi8EEvPKT_PKT0_S7_ifPKiS9_S9_iPKfiiiPfSC_PS2_PT2_iSB_SB_
; %bb.0:
	s_load_dwordx2 s[8:9], s[0:1], 0x30
	s_mov_b32 s26, s3
	s_mov_b64 s[6:7], 0
	s_waitcnt lgkmcnt(0)
	s_cmp_lg_u64 s[8:9], 0
	s_cselect_b64 s[10:11], -1, 0
	s_and_b64 vcc, exec, s[10:11]
	s_cbranch_vccz .LBB311_7
; %bb.1:
	s_add_i32 s12, s2, 1
	s_mov_b32 s13, 0
	s_lshl_b64 s[14:15], s[12:13], 2
	s_add_u32 s14, s8, s14
	s_mov_b32 s3, s13
	s_addc_u32 s15, s9, s15
	s_lshl_b64 s[12:13], s[2:3], 2
	s_add_u32 s12, s8, s12
	s_addc_u32 s13, s9, s13
	s_load_dword s5, s[14:15], 0x0
	s_load_dword s16, s[12:13], 0x0
	s_waitcnt lgkmcnt(0)
	s_sub_i32 s5, s5, s16
	s_cmp_eq_u32 s5, 1
	s_cselect_b64 s[12:13], -1, 0
	s_andn2_b64 vcc, exec, s[6:7]
	s_cbranch_vccnz .LBB311_3
.LBB311_2:
	s_mov_b32 s3, 0
	s_mov_b64 s[12:13], -1
.LBB311_3:
	s_andn2_b64 vcc, exec, s[12:13]
	s_cbranch_vccnz .LBB311_21
; %bb.4:
	s_load_dwordx2 s[6:7], s[0:1], 0x28
	s_lshl_b64 s[12:13], s[2:3], 2
	s_waitcnt lgkmcnt(0)
	s_add_u32 s6, s6, s12
	s_addc_u32 s7, s7, s13
	s_load_dword s33, s[6:7], 0x0
	s_lshl_b32 s18, s26, 8
	s_waitcnt lgkmcnt(0)
	s_cmp_ge_i32 s18, s33
	s_cbranch_scc1 .LBB311_21
; %bb.5:
	s_load_dwordx2 s[6:7], s[0:1], 0x20
	s_load_dword s5, s[0:1], 0x38
	s_add_i32 s14, s33, 31
	s_ashr_i32 s15, s14, 31
	v_and_b32_e32 v1, 0xcf, v0
	s_lshr_b32 s15, s15, 27
	v_add_u32_e32 v1, s18, v1
	s_add_i32 s14, s14, s15
	v_ashrrev_i32_e32 v2, 31, v1
	s_ashr_i32 s19, s14, 5
	v_lshrrev_b32_e32 v4, 27, v2
	s_add_i32 s19, s19, -1
	s_waitcnt lgkmcnt(0)
	s_mul_i32 s14, s2, s5
	s_mov_b32 s15, 0
	v_add_u32_e32 v2, v1, v4
	s_lshl_b64 s[14:15], s[14:15], 2
	v_ashrrev_i32_e32 v2, 5, v2
	v_mov_b32_e32 v5, s19
	v_cmp_gt_i32_e32 vcc, s33, v1
	s_add_u32 s6, s6, s14
	s_addc_u32 s7, s7, s15
	v_cndmask_b32_e32 v2, v5, v2, vcc
	v_ashrrev_i32_e32 v3, 31, v2
	v_lshl_add_u64 v[6:7], v[2:3], 2, s[6:7]
	v_or_b32_e32 v2, 16, v1
	v_add_u32_e32 v3, v2, v4
	v_ashrrev_i32_e32 v3, 5, v3
	v_cmp_gt_i32_e32 vcc, s33, v2
	s_nop 1
	v_cndmask_b32_e32 v2, v5, v3, vcc
	v_ashrrev_i32_e32 v3, 31, v2
	v_lshl_add_u64 v[8:9], v[2:3], 2, s[6:7]
	v_or_b32_e32 v2, 32, v1
	v_add_u32_e32 v3, v2, v4
	v_ashrrev_i32_e32 v3, 5, v3
	v_cmp_gt_i32_e32 vcc, s33, v2
	v_or_b32_e32 v1, 48, v1
	s_nop 0
	v_cndmask_b32_e32 v2, v5, v3, vcc
	v_ashrrev_i32_e32 v3, 31, v2
	v_lshl_add_u64 v[10:11], v[2:3], 2, s[6:7]
	v_add_u32_e32 v2, v1, v4
	v_ashrrev_i32_e32 v2, 5, v2
	v_cmp_gt_i32_e32 vcc, s33, v1
	s_nop 1
	v_cndmask_b32_e32 v2, v5, v2, vcc
	v_ashrrev_i32_e32 v3, 31, v2
	v_lshl_add_u64 v[12:13], v[2:3], 2, s[6:7]
	global_load_dword v5, v[6:7], off
	global_load_dword v4, v[8:9], off
	;; [unrolled: 1-line block ×4, first 2 shown]
	s_andn2_b64 vcc, exec, s[10:11]
	s_cbranch_vccnz .LBB311_8
; %bb.6:
	s_add_u32 s8, s8, s12
	s_addc_u32 s9, s9, s13
	s_load_dword s5, s[8:9], 0x0
	s_branch .LBB311_9
.LBB311_7:
	s_mov_b64 s[12:13], 0
	s_branch .LBB311_2
.LBB311_8:
	s_mov_b32 s5, s2
.LBB311_9:
	s_load_dwordx2 s[14:15], s[0:1], 0x8
	s_load_dwordx4 s[8:11], s[0:1], 0x48
	v_and_b32_e32 v1, 15, v0
	s_waitcnt lgkmcnt(0)
	s_movk_i32 s11, 0x7f
	v_lshlrev_b32_e32 v82, 3, v1
	v_cmp_lt_u32_e32 vcc, s11, v0
	s_and_saveexec_b64 s[12:13], vcc
	s_xor_b64 s[12:13], exec, s[12:13]
; %bb.10:
	v_mov_b32_e32 v83, 0
; %bb.11:
	s_or_saveexec_b64 s[16:17], s[12:13]
	s_load_dwordx2 s[12:13], s[0:1], 0x10
	v_lshrrev_b32_e32 v87, 6, v0
	s_lshl_b32 s27, s4, 3
	v_bfe_u32 v86, v0, 4, 2
	s_xor_b64 exec, exec, s[16:17]
	s_cbranch_execz .LBB311_13
; %bb.12:
	s_load_dwordx2 s[20:21], s[0:1], 0x0
	s_ashr_i32 s11, s8, 31
	s_mul_hi_u32 s22, s5, s8
	s_mul_i32 s11, s5, s11
	s_add_i32 s23, s22, s11
	s_mul_i32 s22, s5, s8
	v_lshl_or_b32 v10, v87, 2, v86
	s_lshl_b64 s[22:23], s[22:23], 1
	s_waitcnt lgkmcnt(0)
	s_add_u32 s20, s20, s22
	v_add_lshl_u32 v6, v10, s27, 7
	s_addc_u32 s21, s21, s23
	v_ashrrev_i32_e32 v7, 31, v6
	v_mov_b32_e32 v83, 0
	v_lshl_add_u64 v[6:7], v[6:7], 1, s[20:21]
	v_lshlrev_b32_e32 v8, 1, v82
	v_mov_b32_e32 v9, v83
	v_lshl_add_u64 v[6:7], v[6:7], 0, v[8:9]
	global_load_dwordx4 v[6:9], v[6:7], off
	v_and_b32_e32 v11, 3, v0
	v_lshlrev_b32_e32 v12, 9, v1
	v_lshlrev_b32_e32 v10, 5, v10
	;; [unrolled: 1-line block ×3, first 2 shown]
	v_and_b32_e32 v12, 0x1800, v12
	v_or3_b32 v10, v12, v11, v10
	s_waitcnt vmcnt(0)
	ds_write_b128 v10, v[6:9]
.LBB311_13:
	s_or_b64 exec, exec, s[16:17]
	s_mul_i32 s4, s4, s10
	s_mov_b32 s5, 0
	s_lshl_b64 s[4:5], s[4:5], 1
	s_add_u32 s10, s14, s4
	s_addc_u32 s11, s15, s5
	s_waitcnt vmcnt(3)
	v_mad_i64_i32 v[6:7], s[14:15], v5, s9, 0
	v_lshl_add_u64 v[6:7], v[6:7], 1, s[10:11]
	v_lshlrev_b64 v[8:9], 1, v[82:83]
	v_lshlrev_b32_e32 v84, 9, v86
	v_lshl_add_u64 v[6:7], v[6:7], 0, v[8:9]
	v_mov_b32_e32 v85, 0
	v_lshl_add_u64 v[10:11], v[6:7], 0, v[84:85]
	v_or_b32_e32 v14, 0x1000, v84
	v_mov_b32_e32 v15, v85
	v_or_b32_e32 v16, 0x1800, v84
	v_mov_b32_e32 v17, v85
	s_waitcnt lgkmcnt(0)
	s_barrier
	global_load_dwordx4 v[66:69], v[10:11], off
	global_load_dwordx4 v[62:65], v[10:11], off offset:2048
	v_lshl_add_u64 v[10:11], v[6:7], 0, v[14:15]
	v_lshl_add_u64 v[6:7], v[6:7], 0, v[16:17]
	global_load_dwordx4 v[78:81], v[10:11], off
	global_load_dwordx4 v[74:77], v[6:7], off
	s_waitcnt vmcnt(6)
	v_mad_i64_i32 v[4:5], s[14:15], v4, s9, 0
	v_mov_b32_e32 v6, 0x100
	v_lshl_add_u64 v[4:5], v[4:5], 1, s[10:11]
	v_lshl_or_b32 v6, v1, 4, v6
	v_mov_b32_e32 v7, v85
	v_lshl_add_u64 v[4:5], v[4:5], 0, v[6:7]
	v_lshl_add_u64 v[10:11], v[4:5], 0, v[84:85]
	global_load_dwordx4 v[70:73], v[10:11], off
	global_load_dwordx4 v[58:61], v[10:11], off offset:2048
	v_lshl_add_u64 v[10:11], v[4:5], 0, v[14:15]
	v_lshl_add_u64 v[4:5], v[4:5], 0, v[16:17]
	global_load_dwordx4 v[54:57], v[10:11], off
	global_load_dwordx4 v[30:33], v[4:5], off
	s_waitcnt vmcnt(9)
	v_mad_i64_i32 v[4:5], s[14:15], v3, s9, 0
	v_lshl_add_u64 v[4:5], v[4:5], 1, s[10:11]
	s_waitcnt vmcnt(8)
	v_mad_i64_i32 v[2:3], s[14:15], v2, s9, 0
	v_lshl_add_u64 v[4:5], v[4:5], 0, v[8:9]
	v_lshl_add_u64 v[2:3], v[2:3], 1, s[10:11]
	;; [unrolled: 1-line block ×4, first 2 shown]
	global_load_dwordx4 v[26:29], v[8:9], off
	global_load_dwordx4 v[22:25], v[8:9], off offset:2048
	v_lshl_add_u64 v[8:9], v[4:5], 0, v[14:15]
	v_lshl_add_u64 v[4:5], v[4:5], 0, v[16:17]
	;; [unrolled: 1-line block ×4, first 2 shown]
	global_load_dwordx4 v[18:21], v[8:9], off
	global_load_dwordx4 v[10:13], v[4:5], off
	s_nop 0
	global_load_dwordx4 v[6:9], v[2:3], off
	s_nop 0
	global_load_dwordx4 v[2:5], v[2:3], off offset:2048
	v_lshl_add_u64 v[16:17], v[34:35], 0, v[16:17]
	global_load_dwordx4 v[42:45], v[14:15], off
	global_load_dwordx4 v[34:37], v[16:17], off
	v_and_b32_e32 v14, 7, v0
	v_lshl_or_b32 v38, v14, 5, v84
	ds_read_b128 v[14:17], v38
	ds_read_b128 v[50:53], v38 offset:2048
	ds_read_b128 v[46:49], v38 offset:4096
	;; [unrolled: 1-line block ×3, first 2 shown]
	v_and_b32_e32 v88, 63, v0
	v_cmp_gt_u32_e32 vcc, 8, v1
	v_mov_b32_e32 v89, 0
	s_and_saveexec_b64 s[10:11], vcc
	s_cbranch_execz .LBB311_15
; %bb.14:
	s_load_dwordx2 s[14:15], s[0:1], 0x40
	v_or_b32_e32 v90, s27, v1
	v_ashrrev_i32_e32 v91, 31, v90
	s_waitcnt lgkmcnt(0)
	v_lshl_add_u64 v[90:91], v[90:91], 2, s[14:15]
	global_load_dword v89, v[90:91], off
.LBB311_15:
	s_or_b64 exec, exec, s[10:11]
	s_waitcnt vmcnt(15) lgkmcnt(3)
	v_mfma_f32_16x16x16_f16 v[90:93], v[66:67], v[14:15], 0
	s_ashr_i32 s8, s18, 31
	s_lshr_b32 s8, s8, 27
	s_add_u32 s4, s12, s4
	v_mfma_f32_16x16x16_f16 v[66:69], v[68:69], v[16:17], v[90:93]
	s_addc_u32 s5, s13, s5
	s_mov_b32 s40, 0xff7fffff
	s_waitcnt vmcnt(14) lgkmcnt(2)
	v_mfma_f32_16x16x16_f16 v[66:69], v[62:63], v[50:51], v[66:69]
	v_lshl_or_b32 v90, v87, 4, v1
	v_mfma_f32_16x16x16_f16 v[62:65], v[64:65], v[52:53], v[66:69]
	s_waitcnt vmcnt(13) lgkmcnt(1)
	v_mfma_f32_16x16x16_f16 v[62:65], v[78:79], v[46:47], v[62:65]
	v_mfma_f32_16x16x16_f16 v[62:65], v[80:81], v[48:49], v[62:65]
	s_waitcnt vmcnt(12) lgkmcnt(0)
	v_mfma_f32_16x16x16_f16 v[62:65], v[74:75], v[38:39], v[62:65]
	v_and_or_b32 v74, v0, 48, s18
	v_add_u32_e32 v66, s8, v74
	v_ashrrev_i32_e32 v75, 5, v66
	s_waitcnt vmcnt(11)
	v_mfma_f32_16x16x16_f16 v[66:69], v[70:71], v[14:15], 0
	v_cmp_gt_i32_e32 vcc, s33, v74
	v_mfma_f32_16x16x16_f16 v[66:69], v[72:73], v[16:17], v[66:69]
	v_or_b32_e32 v72, 64, v74
	v_add_u32_e32 v73, s8, v72
	s_waitcnt vmcnt(10)
	v_mfma_f32_16x16x16_f16 v[66:69], v[58:59], v[50:51], v[66:69]
	v_ashrrev_i32_e32 v58, 5, v73
	v_mfma_f32_16x16x16_f16 v[62:65], v[76:77], v[40:41], v[62:65]
	v_mov_b32_e32 v76, s19
	v_cndmask_b32_e32 v70, v76, v75, vcc
	v_cmp_gt_i32_e32 vcc, s33, v72
	v_ashrrev_i32_e32 v71, 31, v70
	v_lshl_add_u64 v[70:71], v[70:71], 2, s[6:7]
	v_cndmask_b32_e32 v72, v76, v58, vcc
	v_mfma_f32_16x16x16_f16 v[58:61], v[60:61], v[52:53], v[66:69]
	v_ashrrev_i32_e32 v73, 31, v72
	s_waitcnt vmcnt(9)
	v_mfma_f32_16x16x16_f16 v[58:61], v[54:55], v[46:47], v[58:61]
	v_lshl_add_u64 v[66:67], v[72:73], 2, s[6:7]
	global_load_dword v72, v[70:71], off
	global_load_dword v75, v[66:67], off
	v_or_b32_e32 v66, 0x80, v74
	v_add_u32_e32 v67, s8, v66
	v_mfma_f32_16x16x16_f16 v[54:57], v[56:57], v[48:49], v[58:61]
	v_cmp_gt_i32_e32 vcc, s33, v66
	s_nop 1
	v_ashrrev_i32_e32 v58, 5, v67
	v_cndmask_b32_e32 v58, v76, v58, vcc
	v_ashrrev_i32_e32 v59, 31, v58
	s_waitcnt vmcnt(10)
	v_mfma_f32_16x16x16_f16 v[54:57], v[30:31], v[38:39], v[54:57]
	v_lshl_add_u64 v[30:31], v[58:59], 2, s[6:7]
	global_load_dword v58, v[30:31], off
	v_mfma_f32_16x16x16_f16 v[66:69], v[32:33], v[40:41], v[54:57]
	s_nop 3
	v_or_b32_e32 v54, 0xc0, v74
	v_add_u32_e32 v30, s8, v54
	v_ashrrev_i32_e32 v55, 5, v30
	v_cmp_gt_i32_e32 vcc, s33, v54
	s_waitcnt vmcnt(10)
	v_mfma_f32_16x16x16_f16 v[30:33], v[26:27], v[14:15], 0
	v_cndmask_b32_e32 v26, v76, v55, vcc
	v_ashrrev_i32_e32 v27, 31, v26
	v_lshl_add_u64 v[54:55], v[26:27], 2, s[6:7]
	global_load_dword v59, v[54:55], off
	v_mfma_f32_16x16x16_f16 v[26:29], v[28:29], v[16:17], v[30:33]
	s_load_dword s6, s[0:1], 0x1c
	s_waitcnt lgkmcnt(0)
	v_pk_mul_f32 v[76:77], s[6:7], v[66:67] op_sel_hi:[0,1]
	s_waitcnt vmcnt(10)
	v_mfma_f32_16x16x16_f16 v[26:29], v[22:23], v[50:51], v[26:29]
	v_and_b32_e32 v30, 16, v0
	v_lshlrev_b32_e32 v84, 1, v30
	v_lshl_add_u64 v[60:61], s[4:5], 0, v[84:85]
	v_mfma_f32_16x16x16_f16 v[22:25], v[24:25], v[52:53], v[26:29]
	v_lshlrev_b32_e32 v84, 6, v90
	v_lshl_add_u64 v[70:71], v[60:61], 0, v[84:85]
	v_or_b32_e32 v84, 0x1000, v84
	s_waitcnt vmcnt(9)
	v_mfma_f32_16x16x16_f16 v[22:25], v[18:19], v[46:47], v[22:25]
	v_lshl_add_u64 v[80:81], v[60:61], 0, v[84:85]
	v_pk_mul_f32 v[78:79], s[6:7], v[64:65] op_sel_hi:[0,1]
	v_pk_mul_f32 v[60:61], s[6:7], v[62:63] op_sel_hi:[0,1]
	v_mfma_f32_16x16x16_f16 v[18:21], v[20:21], v[48:49], v[22:25]
	s_waitcnt vmcnt(8)
	v_mfma_f32_16x16x16_f16 v[18:21], v[10:11], v[38:39], v[18:21]
	s_waitcnt vmcnt(3)
	v_mad_i64_i32 v[22:23], s[4:5], v72, s9, 0
	s_waitcnt vmcnt(2)
	v_mad_i64_i32 v[10:11], s[4:5], v75, s9, 0
	v_lshlrev_b64 v[72:73], 1, v[22:23]
	v_lshlrev_b64 v[54:55], 1, v[10:11]
	v_lshl_add_u64 v[22:23], v[70:71], 0, v[72:73]
	v_lshl_add_u64 v[10:11], v[70:71], 0, v[54:55]
	global_load_dwordx4 v[30:33], v[22:23], off
	global_load_dwordx4 v[26:29], v[22:23], off offset:16
	v_mfma_f32_16x16x16_f16 v[92:95], v[12:13], v[40:41], v[18:21]
	global_load_dwordx4 v[22:25], v[10:11], off
	s_nop 1
	global_load_dwordx4 v[18:21], v[10:11], off offset:16
	v_pk_mul_f32 v[74:75], s[6:7], v[68:69] op_sel_hi:[0,1]
	v_mfma_f32_16x16x16_f16 v[10:13], v[6:7], v[14:15], 0
	s_waitcnt vmcnt(5)
	v_mad_i64_i32 v[6:7], s[4:5], v58, s9, 0
	v_lshlrev_b64 v[56:57], 1, v[6:7]
	v_mfma_f32_16x16x16_f16 v[6:9], v[8:9], v[16:17], v[10:13]
	v_mfma_f32_16x16x16_f16 v[6:9], v[2:3], v[50:51], v[6:9]
	s_nop 1
	v_lshl_add_u64 v[10:11], v[70:71], 0, v[56:57]
	global_load_dwordx4 v[14:17], v[10:11], off
	s_nop 0
	global_load_dwordx4 v[10:13], v[10:11], off offset:16
	s_waitcnt vmcnt(6)
	v_mad_i64_i32 v[2:3], s[4:5], v59, s9, 0
	v_mfma_f32_16x16x16_f16 v[50:53], v[4:5], v[52:53], v[6:9]
	v_lshlrev_b64 v[58:59], 1, v[2:3]
	v_lshl_add_u64 v[2:3], v[70:71], 0, v[58:59]
	v_pk_mul_f32 v[70:71], s[6:7], v[94:95] op_sel_hi:[0,1]
	v_mfma_f32_16x16x16_f16 v[50:53], v[42:43], v[46:47], v[50:53]
	v_lshl_add_u64 v[42:43], v[80:81], 0, v[72:73]
	v_pk_mul_f32 v[72:73], s[6:7], v[92:93] op_sel_hi:[0,1]
	v_lshl_add_u64 v[58:59], v[80:81], 0, v[58:59]
	v_mfma_f32_16x16x16_f16 v[44:47], v[44:45], v[48:49], v[50:53]
	global_load_dwordx4 v[6:9], v[2:3], off
	s_nop 0
	global_load_dwordx4 v[2:5], v[2:3], off offset:16
	v_mfma_f32_16x16x16_f16 v[44:47], v[34:35], v[38:39], v[44:47]
	v_mfma_f32_16x16x16_f16 v[34:37], v[36:37], v[40:41], v[44:47]
	s_nop 6
	v_pk_mul_f32 v[68:69], s[6:7], v[34:35] op_sel_hi:[0,1]
	v_and_b32_e32 v34, 0xc0, v0
	v_add_u32_e32 v34, s18, v34
	v_lshl_or_b32 v34, v86, 2, v34
	v_or_b32_e32 v35, 1, v34
	v_pk_mul_f32 v[66:67], s[6:7], v[36:37] op_sel_hi:[0,1]
	v_subrev_u32_e32 v36, s33, v35
	v_add_u32_e32 v38, 1, v36
	v_add_u32_e32 v39, 2, v36
	v_cvt_f32_i32_e32 v37, v36
	v_cvt_f32_i32_e32 v38, v38
	;; [unrolled: 1-line block ×3, first 2 shown]
	v_add_u32_e32 v40, 3, v36
	v_fma_f32 v60, v89, v37, v60
	v_fmac_f32_e32 v61, v89, v38
	v_fma_f32 v78, v89, v39, v78
	v_add_u32_e32 v37, 16, v36
	v_add_u32_e32 v38, 17, v36
	;; [unrolled: 1-line block ×3, first 2 shown]
	v_cvt_f32_i32_e32 v40, v40
	v_cvt_f32_i32_e32 v37, v37
	v_cvt_f32_i32_e32 v38, v38
	v_cvt_f32_i32_e32 v39, v39
	v_fmac_f32_e32 v79, v89, v40
	v_add_u32_e32 v40, 19, v36
	v_fma_f32 v76, v89, v37, v76
	v_fmac_f32_e32 v77, v89, v38
	v_fma_f32 v74, v89, v39, v74
	v_add_u32_e32 v37, 32, v36
	v_add_u32_e32 v38, 33, v36
	;; [unrolled: 1-line block ×3, first 2 shown]
	v_cvt_f32_i32_e32 v40, v40
	v_cvt_f32_i32_e32 v37, v37
	;; [unrolled: 1-line block ×4, first 2 shown]
	v_fmac_f32_e32 v75, v89, v40
	v_add_u32_e32 v40, 35, v36
	v_fma_f32 v72, v89, v37, v72
	v_fmac_f32_e32 v73, v89, v38
	v_fma_f32 v70, v89, v39, v70
	v_add_u32_e32 v37, 48, v36
	v_add_u32_e32 v38, 49, v36
	v_add_u32_e32 v39, 50, v36
	v_add_u32_e32 v36, 51, v36
	v_cvt_f32_i32_e32 v36, v36
	v_cvt_f32_i32_e32 v37, v37
	;; [unrolled: 1-line block ×3, first 2 shown]
	v_cmp_gt_i32_e64 s[28:29], s33, v34
	v_fmac_f32_e32 v67, v89, v36
	v_mov_b32_e32 v36, 0xff7fffff
	v_cmp_gt_i32_e64 s[30:31], s33, v35
	v_fma_f32 v68, v89, v37, v68
	v_cndmask_b32_e64 v37, v36, v60, s[28:29]
	v_cndmask_b32_e64 v35, v36, v61, s[30:31]
	v_fmac_f32_e32 v69, v89, v38
	v_max3_f32 v35, v37, s40, v35
	v_or_b32_e32 v37, 2, v34
	v_or_b32_e32 v38, 3, v34
	v_cmp_gt_i32_e64 s[34:35], s33, v37
	v_cmp_gt_i32_e64 s[36:37], s33, v38
	v_cvt_f32_i32_e32 v40, v40
	v_cndmask_b32_e64 v37, v36, v78, s[34:35]
	v_cndmask_b32_e64 v38, v36, v79, s[36:37]
	v_max3_f32 v35, v35, v37, v38
	v_or_b32_e32 v37, 16, v34
	v_or_b32_e32 v38, 17, v34
	v_cmp_gt_i32_e64 s[22:23], s33, v37
	v_cmp_gt_i32_e64 s[24:25], s33, v38
	v_fmac_f32_e32 v71, v89, v40
	v_cndmask_b32_e64 v37, v36, v76, s[22:23]
	v_cndmask_b32_e64 v38, v36, v77, s[24:25]
	v_max3_f32 v35, v35, v37, v38
	v_or_b32_e32 v37, 18, v34
	v_or_b32_e32 v38, 19, v34
	v_cmp_gt_i32_e64 s[18:19], s33, v37
	v_cmp_gt_i32_e64 s[20:21], s33, v38
	v_cvt_f32_i32_e32 v39, v39
	v_cndmask_b32_e64 v37, v36, v74, s[18:19]
	v_cndmask_b32_e64 v38, v36, v75, s[20:21]
	v_max3_f32 v35, v35, v37, v38
	v_or_b32_e32 v37, 32, v34
	v_or_b32_e32 v38, 33, v34
	v_cmp_gt_i32_e64 s[14:15], s33, v37
	v_cmp_gt_i32_e64 s[16:17], s33, v38
	v_fma_f32 v66, v89, v39, v66
	v_cndmask_b32_e64 v37, v36, v72, s[14:15]
	v_cndmask_b32_e64 v38, v36, v73, s[16:17]
	v_max3_f32 v35, v35, v37, v38
	v_or_b32_e32 v37, 34, v34
	v_or_b32_e32 v38, 35, v34
	v_cmp_gt_i32_e64 s[10:11], s33, v37
	v_cmp_gt_i32_e64 s[12:13], s33, v38
	s_nop 0
	v_cndmask_b32_e64 v37, v36, v70, s[10:11]
	v_cndmask_b32_e64 v38, v36, v71, s[12:13]
	v_max3_f32 v35, v35, v37, v38
	v_or_b32_e32 v37, 48, v34
	v_or_b32_e32 v38, 49, v34
	v_cmp_gt_i32_e64 s[6:7], s33, v37
	v_cmp_gt_i32_e64 s[8:9], s33, v38
	s_nop 0
	v_cndmask_b32_e64 v37, v36, v68, s[6:7]
	v_cndmask_b32_e64 v38, v36, v69, s[8:9]
	v_max3_f32 v35, v35, v37, v38
	v_or_b32_e32 v37, 50, v34
	v_or_b32_e32 v34, 51, v34
	v_cmp_gt_i32_e32 vcc, s33, v37
	v_cmp_gt_i32_e64 s[4:5], s33, v34
	global_load_dwordx4 v[46:49], v[42:43], off
	global_load_dwordx4 v[38:41], v[42:43], off offset:16
	v_cndmask_b32_e32 v37, v36, v66, vcc
	v_cndmask_b32_e64 v34, v36, v67, s[4:5]
	v_max3_f32 v50, v35, v37, v34
	v_mbcnt_lo_u32_b32 v34, -1, 0
	v_mbcnt_hi_u32_b32 v51, -1, v34
	v_and_b32_e32 v34, 64, v51
	v_add_u32_e32 v52, 64, v34
	v_xor_b32_e32 v34, 32, v51
	v_cmp_lt_i32_e64 s[38:39], v34, v52
	s_nop 1
	v_cndmask_b32_e64 v34, v51, v34, s[38:39]
	v_lshlrev_b32_e32 v85, 2, v34
	ds_bpermute_b32 v53, v85, v50
	v_lshl_add_u64 v[34:35], v[80:81], 0, v[54:55]
	global_load_dwordx4 v[42:45], v[34:35], off
	s_nop 0
	global_load_dwordx4 v[34:37], v[34:35], off offset:16
	s_waitcnt lgkmcnt(0)
	v_max_f32_e32 v53, v53, v53
	v_max_f32_e32 v62, v50, v53
	v_xor_b32_e32 v50, 16, v51
	v_cmp_lt_i32_e64 s[38:39], v50, v52
	s_nop 1
	v_cndmask_b32_e64 v50, v51, v50, s[38:39]
	v_lshlrev_b32_e32 v89, 2, v50
	ds_bpermute_b32 v63, v89, v62
	v_lshl_add_u64 v[50:51], v[80:81], 0, v[56:57]
	global_load_dwordx4 v[54:57], v[50:51], off
	s_nop 0
	global_load_dwordx4 v[50:53], v[50:51], off offset:16
	s_waitcnt lgkmcnt(0)
	v_max_f32_e32 v63, v63, v63
	v_max_f32_e32 v84, v62, v63
	v_sub_f32_e32 v60, v60, v84
	v_mul_f32_e32 v60, 0x3fb8aa3b, v60
	v_exp_f32_e32 v80, v60
	v_sub_f32_e32 v60, v61, v84
	v_mul_f32_e32 v60, 0x3fb8aa3b, v60
	v_exp_f32_e32 v81, v60
	global_load_dwordx4 v[62:65], v[58:59], off
	s_nop 0
	global_load_dwordx4 v[58:61], v[58:59], off offset:16
	v_sub_f32_e32 v78, v78, v84
	v_mul_f32_e32 v78, 0x3fb8aa3b, v78
	v_sub_f32_e32 v79, v79, v84
	v_exp_f32_e32 v78, v78
	v_mul_f32_e32 v79, 0x3fb8aa3b, v79
	v_sub_f32_e32 v76, v76, v84
	v_exp_f32_e32 v79, v79
	v_mul_f32_e32 v76, 0x3fb8aa3b, v76
	v_sub_f32_e32 v77, v77, v84
	v_cndmask_b32_e64 v80, 0, v80, s[28:29]
	v_exp_f32_e32 v76, v76
	v_mul_f32_e32 v77, 0x3fb8aa3b, v77
	v_sub_f32_e32 v74, v74, v84
	v_add_f32_e32 v91, 0, v80
	v_cndmask_b32_e64 v81, 0, v81, s[30:31]
	v_exp_f32_e32 v77, v77
	v_mul_f32_e32 v74, 0x3fb8aa3b, v74
	v_sub_f32_e32 v75, v75, v84
	v_add_f32_e32 v91, v91, v81
	v_cndmask_b32_e64 v78, 0, v78, s[34:35]
	v_exp_f32_e32 v74, v74
	v_mul_f32_e32 v75, 0x3fb8aa3b, v75
	v_sub_f32_e32 v72, v72, v84
	v_add_f32_e32 v91, v91, v78
	v_cndmask_b32_e64 v79, 0, v79, s[36:37]
	v_exp_f32_e32 v75, v75
	v_mul_f32_e32 v72, 0x3fb8aa3b, v72
	v_sub_f32_e32 v73, v73, v84
	v_add_f32_e32 v91, v91, v79
	v_cndmask_b32_e64 v76, 0, v76, s[22:23]
	v_exp_f32_e32 v72, v72
	v_mul_f32_e32 v73, 0x3fb8aa3b, v73
	v_sub_f32_e32 v70, v70, v84
	v_add_f32_e32 v91, v91, v76
	v_cndmask_b32_e64 v77, 0, v77, s[24:25]
	v_exp_f32_e32 v73, v73
	v_mul_f32_e32 v70, 0x3fb8aa3b, v70
	v_sub_f32_e32 v71, v71, v84
	v_add_f32_e32 v91, v91, v77
	v_cndmask_b32_e64 v74, 0, v74, s[18:19]
	v_exp_f32_e32 v70, v70
	v_mul_f32_e32 v71, 0x3fb8aa3b, v71
	v_sub_f32_e32 v68, v68, v84
	v_add_f32_e32 v91, v91, v74
	v_cndmask_b32_e64 v75, 0, v75, s[20:21]
	v_exp_f32_e32 v71, v71
	v_mul_f32_e32 v68, 0x3fb8aa3b, v68
	v_sub_f32_e32 v69, v69, v84
	v_add_f32_e32 v91, v91, v75
	v_cndmask_b32_e64 v72, 0, v72, s[14:15]
	v_exp_f32_e32 v68, v68
	v_mul_f32_e32 v69, 0x3fb8aa3b, v69
	v_sub_f32_e32 v66, v66, v84
	v_add_f32_e32 v91, v91, v72
	v_cndmask_b32_e64 v73, 0, v73, s[16:17]
	v_exp_f32_e32 v69, v69
	v_mul_f32_e32 v66, 0x3fb8aa3b, v66
	v_sub_f32_e32 v67, v67, v84
	v_add_f32_e32 v91, v91, v73
	v_cndmask_b32_e64 v70, 0, v70, s[10:11]
	v_exp_f32_e32 v66, v66
	v_mul_f32_e32 v67, 0x3fb8aa3b, v67
	v_add_f32_e32 v91, v91, v70
	v_cndmask_b32_e64 v71, 0, v71, s[12:13]
	v_exp_f32_e32 v67, v67
	v_add_f32_e32 v91, v91, v71
	v_cndmask_b32_e64 v68, 0, v68, s[6:7]
	v_add_f32_e32 v91, v91, v68
	v_cndmask_b32_e64 v69, 0, v69, s[8:9]
	v_add_f32_e32 v91, v91, v69
	v_cndmask_b32_e32 v66, 0, v66, vcc
	v_add_f32_e32 v91, v91, v66
	v_cndmask_b32_e64 v67, 0, v67, s[4:5]
	v_add_f32_e32 v91, v91, v67
	ds_bpermute_b32 v85, v85, v91
	s_load_dword s7, s[0:1], 0x98
	v_cmp_gt_u32_e32 vcc, 16, v88
	s_waitcnt lgkmcnt(0)
	s_barrier
	v_add_f32_e32 v85, v91, v85
	ds_bpermute_b32 v89, v89, v85
	s_waitcnt lgkmcnt(0)
	s_and_saveexec_b64 s[4:5], vcc
	s_cbranch_execz .LBB311_17
; %bb.16:
	v_add_f32_e32 v85, v85, v89
	v_lshlrev_b32_e32 v88, 2, v90
	ds_write2st64_b32 v88, v84, v85 offset1:1
.LBB311_17:
	s_or_b64 exec, exec, s[4:5]
	v_lshlrev_b32_e32 v85, 2, v1
	s_load_dword s6, s[0:1], 0x94
	s_waitcnt lgkmcnt(0)
	s_barrier
	ds_read2_b32 v[88:89], v85 offset1:16
	ds_read2_b32 v[90:91], v85 offset0:32 offset1:48
	ds_read2_b32 v[92:93], v85 offset0:64 offset1:80
	v_mov_b32_e32 v87, v1
	s_lshl_b32 s7, s7, 3
	s_waitcnt lgkmcnt(2)
	v_max3_f32 v84, v88, s40, v89
	s_waitcnt lgkmcnt(1)
	v_max3_f32 v84, v84, v90, v91
	v_sub_f32_e32 v88, v88, v84
	v_mul_f32_e32 v88, 0x3fb8aa3b, v88
	v_exp_f32_e32 v94, v88
	v_sub_f32_e32 v88, v89, v84
	v_mul_f32_e32 v88, 0x3fb8aa3b, v88
	v_exp_f32_e32 v95, v88
	;; [unrolled: 3-line block ×3, first 2 shown]
	ds_read2_b32 v[88:89], v85 offset0:96 offset1:112
	v_sub_f32_e32 v85, v91, v84
	v_mul_f32_e32 v85, 0x3fb8aa3b, v85
	v_exp_f32_e32 v91, v85
	s_waitcnt lgkmcnt(1)
	v_fma_f32 v85, v94, v92, 0
	v_fmac_f32_e32 v85, v95, v93
	s_waitcnt lgkmcnt(0)
	v_fmac_f32_e32 v85, v90, v88
	v_fmac_f32_e32 v85, v91, v89
	v_add_f32_e32 v88, 0x358637bd, v85
	v_div_scale_f32 v89, s[4:5], v88, v88, 1.0
	v_rcp_f32_e32 v92, v89
	s_barrier
	v_fma_f32 v93, -v89, v92, 1.0
	v_fmac_f32_e32 v92, v93, v92
	v_div_scale_f32 v93, vcc, 1.0, v88, 1.0
	v_mul_f32_e32 v86, v93, v92
	v_fma_f32 v1, -v89, v86, v93
	v_fmac_f32_e32 v86, v1, v92
	v_fma_f32 v1, -v89, v86, v93
	v_lshrrev_b32_e32 v89, 6, v0
	v_div_fmas_f32 v1, v1, v92, v86
	v_cmp_eq_u32_e32 vcc, 1, v89
	v_div_fixup_f32 v1, v1, v88, 1.0
	s_nop 0
	v_cndmask_b32_e32 v86, v94, v95, vcc
	v_cmp_eq_u32_e32 vcc, 2, v89
	s_nop 1
	v_cndmask_b32_e32 v86, v86, v90, vcc
	v_cmp_eq_u32_e32 vcc, 3, v89
	s_nop 1
	v_cndmask_b32_e32 v86, v86, v91, vcc
	v_mul_f32_e32 v88, v86, v1
	v_pk_mul_f32 v[78:79], v[88:89], v[78:79] op_sel_hi:[0,1]
	v_cvt_f16_f32_e32 v78, v78
	v_cvt_f16_f32_e32 v79, v79
	v_pk_mul_f32 v[80:81], v[88:89], v[80:81] op_sel_hi:[0,1]
	v_cvt_f16_f32_e32 v1, v80
	v_cvt_f16_f32_e32 v80, v81
	v_pk_mul_f32 v[74:75], v[88:89], v[74:75] op_sel_hi:[0,1]
	v_pk_mul_f32 v[76:77], v[88:89], v[76:77] op_sel_hi:[0,1]
	v_pack_b32_f16 v81, v78, v79
	v_cvt_f16_f32_e32 v76, v76
	v_cvt_f16_f32_e32 v77, v77
	;; [unrolled: 1-line block ×4, first 2 shown]
	v_mov_b32_e32 v86, v87
	v_bfe_u32 v87, v0, 4, 2
	v_pack_b32_f16 v80, v1, v80
	v_lshlrev_b32_e32 v1, 3, v87
	v_lshlrev_b32_e32 v78, 5, v86
	;; [unrolled: 1-line block ×3, first 2 shown]
	v_pk_mul_f32 v[70:71], v[88:89], v[70:71] op_sel_hi:[0,1]
	v_pk_mul_f32 v[72:73], v[88:89], v[72:73] op_sel_hi:[0,1]
	;; [unrolled: 1-line block ×4, first 2 shown]
	v_or3_b32 v74, v74, v78, v1
	v_pack_b32_f16 v76, v76, v77
	v_pack_b32_f16 v77, v79, v75
	v_cvt_f16_f32_e32 v1, v72
	v_cvt_f16_f32_e32 v72, v73
	;; [unrolled: 1-line block ×8, first 2 shown]
	v_pack_b32_f16 v66, v1, v72
	v_pack_b32_f16 v67, v70, v71
	;; [unrolled: 1-line block ×4, first 2 shown]
	v_cmp_gt_u32_e32 vcc, 8, v0
	ds_write2st64_b64 v74, v[80:81], v[76:77] offset1:1
	ds_write2st64_b64 v74, v[66:67], v[68:69] offset0:2 offset1:3
	s_and_saveexec_b64 s[4:5], vcc
	s_cbranch_execz .LBB311_19
; %bb.18:
	v_or_b32_e32 v66, s27, v0
	v_mov_b32_e32 v67, 0
	v_mov_b32_e32 v1, s7
	v_mad_u64_u32 v[68:69], s[12:13], s2, v1, v[66:67]
	v_mov_b32_e32 v66, s26
	s_load_dwordx4 s[8:11], s[0:1], 0x58
	s_mul_i32 s3, s3, s7
	v_mad_u64_u32 v[66:67], s[12:13], v68, s6, v[66:67]
	v_add_u32_e32 v1, s3, v69
	v_mov_b32_e32 v68, v67
	v_mad_u64_u32 v[68:69], s[12:13], v1, s6, v[68:69]
	v_mov_b32_e32 v67, v68
	v_lshlrev_b64 v[66:67], 2, v[66:67]
	s_waitcnt lgkmcnt(0)
	v_lshl_add_u64 v[68:69], s[10:11], 0, v[66:67]
	v_lshl_add_u64 v[66:67], s[8:9], 0, v[66:67]
	global_store_dword v[68:69], v84, off
	global_store_dword v[66:67], v85, off
.LBB311_19:
	s_or_b64 exec, exec, s[4:5]
	v_lshl_or_b32 v1, v87, 9, v78
	s_waitcnt lgkmcnt(0)
	s_barrier
	ds_read_b128 v[70:73], v1
	ds_read_b128 v[66:69], v1 offset:16
	s_waitcnt vmcnt(15) lgkmcnt(1)
	v_mfma_f32_16x16x16_f16 v[76:79], v[30:31], v[70:71], 0
	s_mov_b32 s3, 0
	v_cmp_gt_u32_e32 vcc, 64, v0
	v_mfma_f32_16x16x16_f16 v[30:33], v[32:33], v[72:73], v[76:79]
	s_waitcnt vmcnt(14) lgkmcnt(0)
	v_mfma_f32_16x16x16_f16 v[30:33], v[26:27], v[66:67], v[30:33]
	v_mfma_f32_16x16x16_f16 v[26:29], v[28:29], v[68:69], v[30:33]
	s_nop 5
	ds_read_b128 v[30:33], v1 offset:2048
	ds_read_b128 v[76:79], v1 offset:2064
	s_waitcnt vmcnt(13) lgkmcnt(1)
	v_mfma_f32_16x16x16_f16 v[26:29], v[22:23], v[30:31], v[26:29]
	v_mfma_f32_16x16x16_f16 v[22:25], v[24:25], v[32:33], v[26:29]
	s_waitcnt vmcnt(12) lgkmcnt(0)
	v_mfma_f32_16x16x16_f16 v[22:25], v[18:19], v[76:77], v[22:25]
	v_mfma_f32_16x16x16_f16 v[18:21], v[20:21], v[78:79], v[22:25]
	s_nop 5
	ds_read_b128 v[22:25], v1 offset:4096
	ds_read_b128 v[26:29], v1 offset:4112
	s_waitcnt vmcnt(11) lgkmcnt(1)
	v_mfma_f32_16x16x16_f16 v[18:21], v[14:15], v[22:23], v[18:21]
	v_mfma_f32_16x16x16_f16 v[14:17], v[16:17], v[24:25], v[18:21]
	s_waitcnt vmcnt(10) lgkmcnt(0)
	v_mfma_f32_16x16x16_f16 v[14:17], v[10:11], v[26:27], v[14:17]
	v_mfma_f32_16x16x16_f16 v[10:13], v[12:13], v[28:29], v[14:17]
	s_nop 5
	ds_read_b128 v[14:17], v1 offset:6144
	ds_read_b128 v[18:21], v1 offset:6160
	s_waitcnt lgkmcnt(0)
	s_barrier
	s_waitcnt vmcnt(9)
	v_mfma_f32_16x16x16_f16 v[10:13], v[6:7], v[14:15], v[10:13]
	v_mfma_f32_16x16x16_f16 v[6:9], v[8:9], v[16:17], v[10:13]
	s_waitcnt vmcnt(8)
	v_mfma_f32_16x16x16_f16 v[6:9], v[2:3], v[18:19], v[6:9]
	v_mfma_f32_16x16x16_f16 v[2:5], v[4:5], v[20:21], v[6:9]
	;; [unrolled: 3-line block ×3, first 2 shown]
	s_nop 3
	v_cvt_f16_f32_e32 v1, v2
	v_cvt_f16_f32_e32 v10, v3
	;; [unrolled: 1-line block ×3, first 2 shown]
	s_waitcnt vmcnt(6)
	v_mfma_f32_16x16x16_f16 v[6:9], v[38:39], v[66:67], v[6:9]
	v_cvt_f16_f32_e32 v12, v5
	v_mfma_f32_16x16x16_f16 v[6:9], v[40:41], v[68:69], v[6:9]
	s_waitcnt vmcnt(5)
	v_mfma_f32_16x16x16_f16 v[6:9], v[42:43], v[30:31], v[6:9]
	v_mfma_f32_16x16x16_f16 v[6:9], v[44:45], v[32:33], v[6:9]
	s_waitcnt vmcnt(4)
	v_mfma_f32_16x16x16_f16 v[6:9], v[34:35], v[76:77], v[6:9]
	;; [unrolled: 3-line block ×6, first 2 shown]
	v_mfma_f32_16x16x16_f16 v[2:5], v[60:61], v[20:21], v[6:9]
	s_nop 6
	v_cvt_f16_f32_e32 v6, v2
	v_cvt_f16_f32_e32 v7, v3
	;; [unrolled: 1-line block ×4, first 2 shown]
	v_pack_b32_f16 v2, v1, v10
	v_pack_b32_f16 v3, v11, v12
	;; [unrolled: 1-line block ×4, first 2 shown]
	ds_write2st64_b64 v74, v[2:3], v[4:5] offset1:1
	s_waitcnt lgkmcnt(0)
	s_barrier
	s_and_saveexec_b64 s[4:5], vcc
	s_cbranch_execz .LBB311_21
; %bb.20:
	s_load_dwordx2 s[0:1], s[0:1], 0x68
	s_lshl_b32 s6, s6, 7
	s_mul_i32 s2, s7, s2
	s_mul_hi_u32 s5, s2, s6
	s_mul_i32 s4, s2, s6
	v_lshlrev_b32_e32 v3, 6, v86
	s_lshl_b64 s[4:5], s[4:5], 1
	v_lshlrev_b32_e32 v2, 4, v0
	v_lshl_or_b32 v0, v0, 10, v3
	s_waitcnt lgkmcnt(0)
	s_add_u32 s4, s0, s4
	v_lshlrev_b32_e32 v1, 5, v87
	v_and_b32_e32 v2, 16, v2
	v_and_b32_e32 v0, 0x1a00, v0
	s_addc_u32 s5, s1, s5
	s_lshl_b32 s2, s26, 7
	v_or3_b32 v4, v0, v1, v2
	s_lshl_b64 s[0:1], s[2:3], 1
	ds_read_b128 v[0:3], v4
	ds_read_b128 v[4:7], v4 offset:128
	s_add_u32 s0, s4, s0
	s_addc_u32 s1, s5, s1
	v_or_b32_e32 v12, s27, v87
	v_lshl_add_u64 v[8:9], v[82:83], 1, s[0:1]
	v_mad_u64_u32 v[10:11], s[0:1], v12, s6, 0
	v_lshl_add_u64 v[10:11], v[10:11], 1, v[8:9]
	s_waitcnt lgkmcnt(1)
	global_store_dwordx4 v[10:11], v[0:3], off
	s_nop 1
	v_or_b32_e32 v0, 4, v12
	v_mad_u64_u32 v[0:1], s[0:1], v0, s6, 0
	v_lshl_add_u64 v[0:1], v[0:1], 1, v[8:9]
	s_waitcnt lgkmcnt(0)
	global_store_dwordx4 v[0:1], v[4:7], off
.LBB311_21:
	s_endpgm
	.section	.rodata,"a",@progbits
	.p2align	6, 0x0
	.amdhsa_kernel _Z39paged_attention_ll4mi_QKV_mfma16_kernelIDF16_DF16_LN4vllm18Fp8KVCacheDataTypeE0EhLi32ELi128ELi256ELb1ELi8EEvPKT_PKT0_S7_ifPKiS9_S9_iPKfiiiPfSC_PS2_PT2_iSB_SB_
		.amdhsa_group_segment_fixed_size 8192
		.amdhsa_private_segment_fixed_size 0
		.amdhsa_kernarg_size 400
		.amdhsa_user_sgpr_count 2
		.amdhsa_user_sgpr_dispatch_ptr 0
		.amdhsa_user_sgpr_queue_ptr 0
		.amdhsa_user_sgpr_kernarg_segment_ptr 1
		.amdhsa_user_sgpr_dispatch_id 0
		.amdhsa_user_sgpr_kernarg_preload_length 0
		.amdhsa_user_sgpr_kernarg_preload_offset 0
		.amdhsa_user_sgpr_private_segment_size 0
		.amdhsa_uses_dynamic_stack 0
		.amdhsa_enable_private_segment 0
		.amdhsa_system_sgpr_workgroup_id_x 1
		.amdhsa_system_sgpr_workgroup_id_y 1
		.amdhsa_system_sgpr_workgroup_id_z 1
		.amdhsa_system_sgpr_workgroup_info 0
		.amdhsa_system_vgpr_workitem_id 0
		.amdhsa_next_free_vgpr 96
		.amdhsa_next_free_sgpr 41
		.amdhsa_accum_offset 96
		.amdhsa_reserve_vcc 1
		.amdhsa_float_round_mode_32 0
		.amdhsa_float_round_mode_16_64 0
		.amdhsa_float_denorm_mode_32 3
		.amdhsa_float_denorm_mode_16_64 3
		.amdhsa_dx10_clamp 1
		.amdhsa_ieee_mode 1
		.amdhsa_fp16_overflow 0
		.amdhsa_tg_split 0
		.amdhsa_exception_fp_ieee_invalid_op 0
		.amdhsa_exception_fp_denorm_src 0
		.amdhsa_exception_fp_ieee_div_zero 0
		.amdhsa_exception_fp_ieee_overflow 0
		.amdhsa_exception_fp_ieee_underflow 0
		.amdhsa_exception_fp_ieee_inexact 0
		.amdhsa_exception_int_div_zero 0
	.end_amdhsa_kernel
	.section	.text._Z39paged_attention_ll4mi_QKV_mfma16_kernelIDF16_DF16_LN4vllm18Fp8KVCacheDataTypeE0EhLi32ELi128ELi256ELb1ELi8EEvPKT_PKT0_S7_ifPKiS9_S9_iPKfiiiPfSC_PS2_PT2_iSB_SB_,"axG",@progbits,_Z39paged_attention_ll4mi_QKV_mfma16_kernelIDF16_DF16_LN4vllm18Fp8KVCacheDataTypeE0EhLi32ELi128ELi256ELb1ELi8EEvPKT_PKT0_S7_ifPKiS9_S9_iPKfiiiPfSC_PS2_PT2_iSB_SB_,comdat
.Lfunc_end311:
	.size	_Z39paged_attention_ll4mi_QKV_mfma16_kernelIDF16_DF16_LN4vllm18Fp8KVCacheDataTypeE0EhLi32ELi128ELi256ELb1ELi8EEvPKT_PKT0_S7_ifPKiS9_S9_iPKfiiiPfSC_PS2_PT2_iSB_SB_, .Lfunc_end311-_Z39paged_attention_ll4mi_QKV_mfma16_kernelIDF16_DF16_LN4vllm18Fp8KVCacheDataTypeE0EhLi32ELi128ELi256ELb1ELi8EEvPKT_PKT0_S7_ifPKiS9_S9_iPKfiiiPfSC_PS2_PT2_iSB_SB_
                                        ; -- End function
	.section	.AMDGPU.csdata,"",@progbits
; Kernel info:
; codeLenInByte = 4836
; NumSgprs: 47
; NumVgprs: 96
; NumAgprs: 0
; TotalNumVgprs: 96
; ScratchSize: 0
; MemoryBound: 0
; FloatMode: 240
; IeeeMode: 1
; LDSByteSize: 8192 bytes/workgroup (compile time only)
; SGPRBlocks: 5
; VGPRBlocks: 11
; NumSGPRsForWavesPerEU: 47
; NumVGPRsForWavesPerEU: 96
; AccumOffset: 96
; Occupancy: 5
; WaveLimiterHint : 1
; COMPUTE_PGM_RSRC2:SCRATCH_EN: 0
; COMPUTE_PGM_RSRC2:USER_SGPR: 2
; COMPUTE_PGM_RSRC2:TRAP_HANDLER: 0
; COMPUTE_PGM_RSRC2:TGID_X_EN: 1
; COMPUTE_PGM_RSRC2:TGID_Y_EN: 1
; COMPUTE_PGM_RSRC2:TGID_Z_EN: 1
; COMPUTE_PGM_RSRC2:TIDIG_COMP_CNT: 0
; COMPUTE_PGM_RSRC3_GFX90A:ACCUM_OFFSET: 23
; COMPUTE_PGM_RSRC3_GFX90A:TG_SPLIT: 0
	.section	.text._Z39paged_attention_ll4mi_QKV_mfma16_kernelIDF16_DF16_LN4vllm18Fp8KVCacheDataTypeE0EhLi32ELi128ELi256ELb1ELi9EEvPKT_PKT0_S7_ifPKiS9_S9_iPKfiiiPfSC_PS2_PT2_iSB_SB_,"axG",@progbits,_Z39paged_attention_ll4mi_QKV_mfma16_kernelIDF16_DF16_LN4vllm18Fp8KVCacheDataTypeE0EhLi32ELi128ELi256ELb1ELi9EEvPKT_PKT0_S7_ifPKiS9_S9_iPKfiiiPfSC_PS2_PT2_iSB_SB_,comdat
	.protected	_Z39paged_attention_ll4mi_QKV_mfma16_kernelIDF16_DF16_LN4vllm18Fp8KVCacheDataTypeE0EhLi32ELi128ELi256ELb1ELi9EEvPKT_PKT0_S7_ifPKiS9_S9_iPKfiiiPfSC_PS2_PT2_iSB_SB_ ; -- Begin function _Z39paged_attention_ll4mi_QKV_mfma16_kernelIDF16_DF16_LN4vllm18Fp8KVCacheDataTypeE0EhLi32ELi128ELi256ELb1ELi9EEvPKT_PKT0_S7_ifPKiS9_S9_iPKfiiiPfSC_PS2_PT2_iSB_SB_
	.globl	_Z39paged_attention_ll4mi_QKV_mfma16_kernelIDF16_DF16_LN4vllm18Fp8KVCacheDataTypeE0EhLi32ELi128ELi256ELb1ELi9EEvPKT_PKT0_S7_ifPKiS9_S9_iPKfiiiPfSC_PS2_PT2_iSB_SB_
	.p2align	8
	.type	_Z39paged_attention_ll4mi_QKV_mfma16_kernelIDF16_DF16_LN4vllm18Fp8KVCacheDataTypeE0EhLi32ELi128ELi256ELb1ELi9EEvPKT_PKT0_S7_ifPKiS9_S9_iPKfiiiPfSC_PS2_PT2_iSB_SB_,@function
_Z39paged_attention_ll4mi_QKV_mfma16_kernelIDF16_DF16_LN4vllm18Fp8KVCacheDataTypeE0EhLi32ELi128ELi256ELb1ELi9EEvPKT_PKT0_S7_ifPKiS9_S9_iPKfiiiPfSC_PS2_PT2_iSB_SB_: ; @_Z39paged_attention_ll4mi_QKV_mfma16_kernelIDF16_DF16_LN4vllm18Fp8KVCacheDataTypeE0EhLi32ELi128ELi256ELb1ELi9EEvPKT_PKT0_S7_ifPKiS9_S9_iPKfiiiPfSC_PS2_PT2_iSB_SB_
; %bb.0:
	s_load_dwordx2 s[8:9], s[0:1], 0x30
	s_mov_b32 s26, s3
	s_mov_b64 s[6:7], 0
	s_waitcnt lgkmcnt(0)
	s_cmp_lg_u64 s[8:9], 0
	s_cselect_b64 s[10:11], -1, 0
	s_and_b64 vcc, exec, s[10:11]
	s_cbranch_vccz .LBB312_7
; %bb.1:
	s_add_i32 s12, s2, 1
	s_mov_b32 s13, 0
	s_lshl_b64 s[14:15], s[12:13], 2
	s_add_u32 s14, s8, s14
	s_mov_b32 s3, s13
	s_addc_u32 s15, s9, s15
	s_lshl_b64 s[12:13], s[2:3], 2
	s_add_u32 s12, s8, s12
	s_addc_u32 s13, s9, s13
	s_load_dword s5, s[14:15], 0x0
	s_load_dword s16, s[12:13], 0x0
	s_waitcnt lgkmcnt(0)
	s_sub_i32 s5, s5, s16
	s_cmp_eq_u32 s5, 1
	s_cselect_b64 s[12:13], -1, 0
	s_andn2_b64 vcc, exec, s[6:7]
	s_cbranch_vccnz .LBB312_3
.LBB312_2:
	s_mov_b32 s3, 0
	s_mov_b64 s[12:13], -1
.LBB312_3:
	s_andn2_b64 vcc, exec, s[12:13]
	s_cbranch_vccnz .LBB312_22
; %bb.4:
	s_load_dwordx2 s[6:7], s[0:1], 0x28
	s_lshl_b64 s[12:13], s[2:3], 2
	s_waitcnt lgkmcnt(0)
	s_add_u32 s6, s6, s12
	s_addc_u32 s7, s7, s13
	s_load_dword s27, s[6:7], 0x0
	s_lshl_b32 s18, s26, 8
	s_waitcnt lgkmcnt(0)
	s_cmp_ge_i32 s18, s27
	s_cbranch_scc1 .LBB312_22
; %bb.5:
	s_load_dwordx2 s[6:7], s[0:1], 0x20
	s_load_dword s5, s[0:1], 0x38
	s_add_i32 s14, s27, 31
	s_ashr_i32 s15, s14, 31
	v_and_b32_e32 v1, 0xcf, v0
	s_lshr_b32 s15, s15, 27
	v_add_u32_e32 v1, s18, v1
	s_add_i32 s14, s14, s15
	v_ashrrev_i32_e32 v2, 31, v1
	s_ashr_i32 s19, s14, 5
	v_lshrrev_b32_e32 v4, 27, v2
	s_add_i32 s19, s19, -1
	s_waitcnt lgkmcnt(0)
	s_mul_i32 s14, s2, s5
	s_mov_b32 s15, 0
	v_add_u32_e32 v2, v1, v4
	s_lshl_b64 s[14:15], s[14:15], 2
	v_ashrrev_i32_e32 v2, 5, v2
	v_mov_b32_e32 v5, s19
	v_cmp_gt_i32_e32 vcc, s27, v1
	s_add_u32 s6, s6, s14
	s_addc_u32 s7, s7, s15
	v_cndmask_b32_e32 v2, v5, v2, vcc
	v_ashrrev_i32_e32 v3, 31, v2
	v_lshl_add_u64 v[6:7], v[2:3], 2, s[6:7]
	v_or_b32_e32 v2, 16, v1
	v_add_u32_e32 v3, v2, v4
	v_ashrrev_i32_e32 v3, 5, v3
	v_cmp_gt_i32_e32 vcc, s27, v2
	s_nop 1
	v_cndmask_b32_e32 v2, v5, v3, vcc
	v_ashrrev_i32_e32 v3, 31, v2
	v_lshl_add_u64 v[8:9], v[2:3], 2, s[6:7]
	v_or_b32_e32 v2, 32, v1
	v_add_u32_e32 v3, v2, v4
	v_ashrrev_i32_e32 v3, 5, v3
	v_cmp_gt_i32_e32 vcc, s27, v2
	v_or_b32_e32 v1, 48, v1
	s_nop 0
	v_cndmask_b32_e32 v2, v5, v3, vcc
	v_ashrrev_i32_e32 v3, 31, v2
	v_lshl_add_u64 v[10:11], v[2:3], 2, s[6:7]
	v_add_u32_e32 v2, v1, v4
	v_ashrrev_i32_e32 v2, 5, v2
	v_cmp_gt_i32_e32 vcc, s27, v1
	s_nop 1
	v_cndmask_b32_e32 v2, v5, v2, vcc
	v_ashrrev_i32_e32 v3, 31, v2
	v_lshl_add_u64 v[12:13], v[2:3], 2, s[6:7]
	global_load_dword v5, v[6:7], off
	global_load_dword v4, v[8:9], off
	;; [unrolled: 1-line block ×4, first 2 shown]
	s_andn2_b64 vcc, exec, s[10:11]
	s_cbranch_vccnz .LBB312_8
; %bb.6:
	s_add_u32 s8, s8, s12
	s_addc_u32 s9, s9, s13
	s_load_dword s5, s[8:9], 0x0
	s_branch .LBB312_9
.LBB312_7:
	s_mov_b64 s[12:13], 0
	s_branch .LBB312_2
.LBB312_8:
	s_mov_b32 s5, s2
.LBB312_9:
	s_load_dwordx2 s[14:15], s[0:1], 0x8
	s_load_dwordx4 s[8:11], s[0:1], 0x48
	v_lshrrev_b32_e32 v88, 6, v0
	v_bfe_u32 v1, v0, 4, 2
	v_lshl_or_b32 v6, v88, 2, v1
	v_and_b32_e32 v84, 15, v0
	v_lshlrev_b32_e32 v82, 3, v84
	v_cmp_lt_u32_e32 vcc, 8, v6
	s_and_saveexec_b64 s[12:13], vcc
	s_xor_b64 s[12:13], exec, s[12:13]
; %bb.10:
	v_mov_b32_e32 v83, 0
                                        ; implicit-def: $vgpr6
; %bb.11:
	s_or_saveexec_b64 s[16:17], s[12:13]
	s_load_dwordx2 s[12:13], s[0:1], 0x10
	s_mul_i32 s40, s4, 9
	s_xor_b64 exec, exec, s[16:17]
	s_cbranch_execz .LBB312_13
; %bb.12:
	s_load_dwordx2 s[20:21], s[0:1], 0x0
	s_waitcnt lgkmcnt(0)
	s_ashr_i32 s11, s8, 31
	s_mul_hi_u32 s22, s5, s8
	s_mul_i32 s11, s5, s11
	s_add_i32 s23, s22, s11
	s_mul_i32 s22, s5, s8
	s_lshl_b64 s[22:23], s[22:23], 1
	s_add_u32 s20, s20, s22
	v_add_lshl_u32 v8, v6, s40, 7
	s_addc_u32 s21, s21, s23
	v_ashrrev_i32_e32 v9, 31, v8
	v_mov_b32_e32 v83, 0
	v_lshl_add_u64 v[8:9], v[8:9], 1, s[20:21]
	v_lshlrev_b32_e32 v10, 1, v82
	v_mov_b32_e32 v11, v83
	v_lshl_add_u64 v[8:9], v[8:9], 0, v[10:11]
	global_load_dwordx4 v[8:11], v[8:9], off
	v_and_b32_e32 v7, 3, v0
	v_lshlrev_b32_e32 v12, 9, v84
	v_lshlrev_b32_e32 v6, 5, v6
	;; [unrolled: 1-line block ×3, first 2 shown]
	v_and_b32_e32 v12, 0x1800, v12
	v_or3_b32 v6, v12, v7, v6
	s_waitcnt vmcnt(0)
	ds_write_b128 v6, v[8:11]
.LBB312_13:
	s_or_b64 exec, exec, s[16:17]
	s_waitcnt lgkmcnt(0)
	s_mul_i32 s4, s4, s10
	s_mov_b32 s5, 0
	s_lshl_b64 s[4:5], s[4:5], 1
	s_add_u32 s10, s14, s4
	s_addc_u32 s11, s15, s5
	s_waitcnt vmcnt(3)
	v_mad_i64_i32 v[6:7], s[14:15], v5, s9, 0
	v_lshl_add_u64 v[6:7], v[6:7], 1, s[10:11]
	v_lshlrev_b64 v[8:9], 1, v[82:83]
	v_lshlrev_b32_e32 v86, 9, v1
	v_lshl_add_u64 v[6:7], v[6:7], 0, v[8:9]
	v_mov_b32_e32 v87, 0
	v_lshl_add_u64 v[10:11], v[6:7], 0, v[86:87]
	v_or_b32_e32 v14, 0x1000, v86
	v_mov_b32_e32 v15, v87
	v_or_b32_e32 v16, 0x1800, v86
	v_mov_b32_e32 v17, v87
	s_barrier
	global_load_dwordx4 v[66:69], v[10:11], off
	global_load_dwordx4 v[62:65], v[10:11], off offset:2048
	v_lshl_add_u64 v[10:11], v[6:7], 0, v[14:15]
	v_lshl_add_u64 v[6:7], v[6:7], 0, v[16:17]
	global_load_dwordx4 v[78:81], v[10:11], off
	global_load_dwordx4 v[74:77], v[6:7], off
	s_waitcnt vmcnt(6)
	v_mad_i64_i32 v[4:5], s[14:15], v4, s9, 0
	v_mov_b32_e32 v6, 0x100
	v_lshl_add_u64 v[4:5], v[4:5], 1, s[10:11]
	v_lshl_or_b32 v6, v84, 4, v6
	v_mov_b32_e32 v7, v87
	v_lshl_add_u64 v[4:5], v[4:5], 0, v[6:7]
	v_lshl_add_u64 v[10:11], v[4:5], 0, v[86:87]
	global_load_dwordx4 v[70:73], v[10:11], off
	global_load_dwordx4 v[58:61], v[10:11], off offset:2048
	v_lshl_add_u64 v[10:11], v[4:5], 0, v[14:15]
	v_lshl_add_u64 v[4:5], v[4:5], 0, v[16:17]
	global_load_dwordx4 v[54:57], v[10:11], off
	global_load_dwordx4 v[30:33], v[4:5], off
	s_waitcnt vmcnt(9)
	v_mad_i64_i32 v[4:5], s[14:15], v3, s9, 0
	v_lshl_add_u64 v[4:5], v[4:5], 1, s[10:11]
	s_waitcnt vmcnt(8)
	v_mad_i64_i32 v[2:3], s[14:15], v2, s9, 0
	v_lshl_add_u64 v[4:5], v[4:5], 0, v[8:9]
	v_lshl_add_u64 v[2:3], v[2:3], 1, s[10:11]
	;; [unrolled: 1-line block ×4, first 2 shown]
	global_load_dwordx4 v[26:29], v[8:9], off
	global_load_dwordx4 v[22:25], v[8:9], off offset:2048
	v_lshl_add_u64 v[8:9], v[4:5], 0, v[14:15]
	v_lshl_add_u64 v[4:5], v[4:5], 0, v[16:17]
	;; [unrolled: 1-line block ×4, first 2 shown]
	global_load_dwordx4 v[18:21], v[8:9], off
	global_load_dwordx4 v[10:13], v[4:5], off
	s_nop 0
	global_load_dwordx4 v[6:9], v[2:3], off
	s_nop 0
	global_load_dwordx4 v[2:5], v[2:3], off offset:2048
	v_lshl_add_u64 v[16:17], v[34:35], 0, v[16:17]
	global_load_dwordx4 v[38:41], v[14:15], off
	global_load_dwordx4 v[34:37], v[16:17], off
	v_add_u32_e32 v14, -9, v84
	v_cmp_gt_u32_e32 vcc, 9, v84
	v_and_b32_e32 v85, 63, v0
	v_mov_b32_e32 v89, 0
	v_cndmask_b32_e32 v14, v14, v84, vcc
	v_lshl_add_u32 v42, v14, 5, v86
	ds_read_b128 v[14:17], v42
	ds_read_b128 v[50:53], v42 offset:2048
	ds_read_b128 v[46:49], v42 offset:4096
	;; [unrolled: 1-line block ×3, first 2 shown]
	s_and_saveexec_b64 s[10:11], vcc
	s_cbranch_execz .LBB312_15
; %bb.14:
	s_load_dwordx2 s[14:15], s[0:1], 0x40
	v_add_u32_e32 v90, s40, v84
	v_ashrrev_i32_e32 v91, 31, v90
	s_waitcnt lgkmcnt(0)
	v_lshl_add_u64 v[90:91], v[90:91], 2, s[14:15]
	global_load_dword v89, v[90:91], off
.LBB312_15:
	s_or_b64 exec, exec, s[10:11]
	s_waitcnt vmcnt(15) lgkmcnt(3)
	v_mfma_f32_16x16x16_f16 v[90:93], v[66:67], v[14:15], 0
	s_ashr_i32 s8, s18, 31
	s_lshr_b32 s8, s8, 27
	s_add_u32 s4, s12, s4
	v_mfma_f32_16x16x16_f16 v[66:69], v[68:69], v[16:17], v[90:93]
	s_addc_u32 s5, s13, s5
	s_mov_b32 s33, 0xff7fffff
	s_waitcnt vmcnt(14) lgkmcnt(2)
	v_mfma_f32_16x16x16_f16 v[66:69], v[62:63], v[50:51], v[66:69]
	v_lshl_or_b32 v90, v88, 4, v84
	v_mfma_f32_16x16x16_f16 v[62:65], v[64:65], v[52:53], v[66:69]
	s_waitcnt vmcnt(13) lgkmcnt(1)
	v_mfma_f32_16x16x16_f16 v[62:65], v[78:79], v[46:47], v[62:65]
	v_mfma_f32_16x16x16_f16 v[62:65], v[80:81], v[48:49], v[62:65]
	s_waitcnt vmcnt(12) lgkmcnt(0)
	v_mfma_f32_16x16x16_f16 v[62:65], v[74:75], v[42:43], v[62:65]
	v_and_or_b32 v74, v0, 48, s18
	v_add_u32_e32 v66, s8, v74
	v_ashrrev_i32_e32 v75, 5, v66
	s_waitcnt vmcnt(11)
	v_mfma_f32_16x16x16_f16 v[66:69], v[70:71], v[14:15], 0
	v_cmp_gt_i32_e32 vcc, s27, v74
	v_mfma_f32_16x16x16_f16 v[66:69], v[72:73], v[16:17], v[66:69]
	v_or_b32_e32 v72, 64, v74
	v_add_u32_e32 v73, s8, v72
	s_waitcnt vmcnt(10)
	v_mfma_f32_16x16x16_f16 v[66:69], v[58:59], v[50:51], v[66:69]
	v_ashrrev_i32_e32 v58, 5, v73
	v_mfma_f32_16x16x16_f16 v[62:65], v[76:77], v[44:45], v[62:65]
	v_mov_b32_e32 v76, s19
	v_cndmask_b32_e32 v70, v76, v75, vcc
	v_cmp_gt_i32_e32 vcc, s27, v72
	v_ashrrev_i32_e32 v71, 31, v70
	v_lshl_add_u64 v[70:71], v[70:71], 2, s[6:7]
	v_cndmask_b32_e32 v72, v76, v58, vcc
	v_mfma_f32_16x16x16_f16 v[58:61], v[60:61], v[52:53], v[66:69]
	v_ashrrev_i32_e32 v73, 31, v72
	s_waitcnt vmcnt(9)
	v_mfma_f32_16x16x16_f16 v[58:61], v[54:55], v[46:47], v[58:61]
	v_lshl_add_u64 v[66:67], v[72:73], 2, s[6:7]
	global_load_dword v72, v[70:71], off
	global_load_dword v75, v[66:67], off
	v_or_b32_e32 v66, 0x80, v74
	v_add_u32_e32 v67, s8, v66
	v_mfma_f32_16x16x16_f16 v[54:57], v[56:57], v[48:49], v[58:61]
	v_cmp_gt_i32_e32 vcc, s27, v66
	s_nop 1
	v_ashrrev_i32_e32 v58, 5, v67
	v_cndmask_b32_e32 v58, v76, v58, vcc
	v_ashrrev_i32_e32 v59, 31, v58
	s_waitcnt vmcnt(10)
	v_mfma_f32_16x16x16_f16 v[54:57], v[30:31], v[42:43], v[54:57]
	v_lshl_add_u64 v[30:31], v[58:59], 2, s[6:7]
	global_load_dword v58, v[30:31], off
	v_mfma_f32_16x16x16_f16 v[66:69], v[32:33], v[44:45], v[54:57]
	s_nop 3
	v_or_b32_e32 v54, 0xc0, v74
	v_add_u32_e32 v30, s8, v54
	v_ashrrev_i32_e32 v55, 5, v30
	v_cmp_gt_i32_e32 vcc, s27, v54
	s_waitcnt vmcnt(10)
	v_mfma_f32_16x16x16_f16 v[30:33], v[26:27], v[14:15], 0
	v_cndmask_b32_e32 v26, v76, v55, vcc
	v_ashrrev_i32_e32 v27, 31, v26
	v_lshl_add_u64 v[54:55], v[26:27], 2, s[6:7]
	global_load_dword v59, v[54:55], off
	v_mfma_f32_16x16x16_f16 v[26:29], v[28:29], v[16:17], v[30:33]
	s_load_dword s6, s[0:1], 0x1c
	s_waitcnt lgkmcnt(0)
	v_pk_mul_f32 v[76:77], s[6:7], v[66:67] op_sel_hi:[0,1]
	s_waitcnt vmcnt(10)
	v_mfma_f32_16x16x16_f16 v[26:29], v[22:23], v[50:51], v[26:29]
	v_and_b32_e32 v30, 16, v0
	v_lshlrev_b32_e32 v86, 1, v30
	v_lshl_add_u64 v[60:61], s[4:5], 0, v[86:87]
	v_mfma_f32_16x16x16_f16 v[22:25], v[24:25], v[52:53], v[26:29]
	v_lshlrev_b32_e32 v86, 6, v90
	v_lshl_add_u64 v[70:71], v[60:61], 0, v[86:87]
	v_or_b32_e32 v86, 0x1000, v86
	s_waitcnt vmcnt(9)
	v_mfma_f32_16x16x16_f16 v[22:25], v[18:19], v[46:47], v[22:25]
	v_lshl_add_u64 v[80:81], v[60:61], 0, v[86:87]
	v_pk_mul_f32 v[78:79], s[6:7], v[64:65] op_sel_hi:[0,1]
	v_pk_mul_f32 v[60:61], s[6:7], v[62:63] op_sel_hi:[0,1]
	v_mfma_f32_16x16x16_f16 v[18:21], v[20:21], v[48:49], v[22:25]
	s_waitcnt vmcnt(8)
	v_mfma_f32_16x16x16_f16 v[18:21], v[10:11], v[42:43], v[18:21]
	s_waitcnt vmcnt(3)
	v_mad_i64_i32 v[22:23], s[4:5], v72, s9, 0
	s_waitcnt vmcnt(2)
	v_mad_i64_i32 v[10:11], s[4:5], v75, s9, 0
	v_lshlrev_b64 v[72:73], 1, v[22:23]
	v_lshlrev_b64 v[54:55], 1, v[10:11]
	v_lshl_add_u64 v[22:23], v[70:71], 0, v[72:73]
	v_lshl_add_u64 v[10:11], v[70:71], 0, v[54:55]
	global_load_dwordx4 v[30:33], v[22:23], off
	global_load_dwordx4 v[26:29], v[22:23], off offset:16
	v_mfma_f32_16x16x16_f16 v[92:95], v[12:13], v[44:45], v[18:21]
	global_load_dwordx4 v[22:25], v[10:11], off
	s_nop 1
	global_load_dwordx4 v[18:21], v[10:11], off offset:16
	v_pk_mul_f32 v[74:75], s[6:7], v[68:69] op_sel_hi:[0,1]
	v_mfma_f32_16x16x16_f16 v[10:13], v[6:7], v[14:15], 0
	s_waitcnt vmcnt(5)
	v_mad_i64_i32 v[6:7], s[4:5], v58, s9, 0
	v_lshlrev_b64 v[56:57], 1, v[6:7]
	v_mfma_f32_16x16x16_f16 v[6:9], v[8:9], v[16:17], v[10:13]
	v_mfma_f32_16x16x16_f16 v[6:9], v[2:3], v[50:51], v[6:9]
	s_nop 1
	v_lshl_add_u64 v[10:11], v[70:71], 0, v[56:57]
	global_load_dwordx4 v[14:17], v[10:11], off
	s_nop 0
	global_load_dwordx4 v[10:13], v[10:11], off offset:16
	s_waitcnt vmcnt(6)
	v_mad_i64_i32 v[2:3], s[4:5], v59, s9, 0
	v_mfma_f32_16x16x16_f16 v[50:53], v[4:5], v[52:53], v[6:9]
	v_lshlrev_b64 v[58:59], 1, v[2:3]
	v_lshl_add_u64 v[2:3], v[70:71], 0, v[58:59]
	v_pk_mul_f32 v[70:71], s[6:7], v[94:95] op_sel_hi:[0,1]
	v_mfma_f32_16x16x16_f16 v[50:53], v[38:39], v[46:47], v[50:53]
	v_lshl_add_u64 v[38:39], v[80:81], 0, v[72:73]
	v_pk_mul_f32 v[72:73], s[6:7], v[92:93] op_sel_hi:[0,1]
	v_lshl_add_u64 v[58:59], v[80:81], 0, v[58:59]
	v_mfma_f32_16x16x16_f16 v[46:49], v[40:41], v[48:49], v[50:53]
	global_load_dwordx4 v[6:9], v[2:3], off
	s_nop 0
	global_load_dwordx4 v[2:5], v[2:3], off offset:16
	v_mfma_f32_16x16x16_f16 v[40:43], v[34:35], v[42:43], v[46:49]
	v_mfma_f32_16x16x16_f16 v[34:37], v[36:37], v[44:45], v[40:43]
	s_nop 6
	v_pk_mul_f32 v[68:69], s[6:7], v[34:35] op_sel_hi:[0,1]
	v_and_b32_e32 v34, 0xc0, v0
	v_add_u32_e32 v34, s18, v34
	v_lshl_or_b32 v34, v1, 2, v34
	v_or_b32_e32 v35, 1, v34
	v_pk_mul_f32 v[66:67], s[6:7], v[36:37] op_sel_hi:[0,1]
	v_subrev_u32_e32 v36, s27, v35
	v_add_u32_e32 v40, 1, v36
	v_add_u32_e32 v41, 2, v36
	v_cvt_f32_i32_e32 v37, v36
	v_cvt_f32_i32_e32 v40, v40
	;; [unrolled: 1-line block ×3, first 2 shown]
	v_add_u32_e32 v42, 3, v36
	v_fma_f32 v60, v89, v37, v60
	v_fmac_f32_e32 v61, v89, v40
	v_fma_f32 v78, v89, v41, v78
	v_add_u32_e32 v37, 16, v36
	v_add_u32_e32 v40, 17, v36
	;; [unrolled: 1-line block ×3, first 2 shown]
	v_cvt_f32_i32_e32 v42, v42
	v_cvt_f32_i32_e32 v37, v37
	;; [unrolled: 1-line block ×4, first 2 shown]
	v_fmac_f32_e32 v79, v89, v42
	v_add_u32_e32 v42, 19, v36
	v_fma_f32 v76, v89, v37, v76
	v_fmac_f32_e32 v77, v89, v40
	v_fma_f32 v74, v89, v41, v74
	v_add_u32_e32 v37, 32, v36
	v_add_u32_e32 v40, 33, v36
	;; [unrolled: 1-line block ×3, first 2 shown]
	v_cvt_f32_i32_e32 v42, v42
	v_cvt_f32_i32_e32 v37, v37
	;; [unrolled: 1-line block ×4, first 2 shown]
	v_fmac_f32_e32 v75, v89, v42
	v_add_u32_e32 v42, 35, v36
	v_fma_f32 v72, v89, v37, v72
	v_fmac_f32_e32 v73, v89, v40
	v_fma_f32 v70, v89, v41, v70
	v_add_u32_e32 v37, 48, v36
	v_add_u32_e32 v40, 49, v36
	;; [unrolled: 1-line block ×4, first 2 shown]
	v_cvt_f32_i32_e32 v36, v36
	v_cvt_f32_i32_e32 v37, v37
	v_cvt_f32_i32_e32 v40, v40
	v_cmp_gt_i32_e64 s[28:29], s27, v34
	v_fmac_f32_e32 v67, v89, v36
	v_mov_b32_e32 v36, 0xff7fffff
	v_cmp_gt_i32_e64 s[30:31], s27, v35
	v_fma_f32 v68, v89, v37, v68
	v_cndmask_b32_e64 v37, v36, v60, s[28:29]
	v_cndmask_b32_e64 v35, v36, v61, s[30:31]
	v_fmac_f32_e32 v69, v89, v40
	v_max3_f32 v35, v37, s33, v35
	v_or_b32_e32 v37, 2, v34
	v_or_b32_e32 v40, 3, v34
	v_cmp_gt_i32_e64 s[34:35], s27, v37
	v_cmp_gt_i32_e64 s[36:37], s27, v40
	v_cvt_f32_i32_e32 v42, v42
	v_cndmask_b32_e64 v37, v36, v78, s[34:35]
	v_cndmask_b32_e64 v40, v36, v79, s[36:37]
	v_max3_f32 v35, v35, v37, v40
	v_or_b32_e32 v37, 16, v34
	v_or_b32_e32 v40, 17, v34
	v_cmp_gt_i32_e64 s[22:23], s27, v37
	v_cmp_gt_i32_e64 s[24:25], s27, v40
	v_fmac_f32_e32 v71, v89, v42
	v_cndmask_b32_e64 v37, v36, v76, s[22:23]
	v_cndmask_b32_e64 v40, v36, v77, s[24:25]
	v_max3_f32 v35, v35, v37, v40
	v_or_b32_e32 v37, 18, v34
	v_or_b32_e32 v40, 19, v34
	v_cmp_gt_i32_e64 s[18:19], s27, v37
	v_cmp_gt_i32_e64 s[20:21], s27, v40
	v_cvt_f32_i32_e32 v41, v41
	v_cndmask_b32_e64 v37, v36, v74, s[18:19]
	v_cndmask_b32_e64 v40, v36, v75, s[20:21]
	v_max3_f32 v35, v35, v37, v40
	v_or_b32_e32 v37, 32, v34
	v_or_b32_e32 v40, 33, v34
	v_cmp_gt_i32_e64 s[14:15], s27, v37
	v_cmp_gt_i32_e64 s[16:17], s27, v40
	v_fma_f32 v66, v89, v41, v66
	v_cndmask_b32_e64 v37, v36, v72, s[14:15]
	v_cndmask_b32_e64 v40, v36, v73, s[16:17]
	v_max3_f32 v35, v35, v37, v40
	v_or_b32_e32 v37, 34, v34
	v_or_b32_e32 v40, 35, v34
	v_cmp_gt_i32_e64 s[10:11], s27, v37
	v_cmp_gt_i32_e64 s[12:13], s27, v40
	s_nop 0
	v_cndmask_b32_e64 v37, v36, v70, s[10:11]
	v_cndmask_b32_e64 v40, v36, v71, s[12:13]
	v_max3_f32 v35, v35, v37, v40
	v_or_b32_e32 v37, 48, v34
	v_or_b32_e32 v40, 49, v34
	v_cmp_gt_i32_e64 s[6:7], s27, v37
	v_cmp_gt_i32_e64 s[8:9], s27, v40
	s_nop 0
	v_cndmask_b32_e64 v37, v36, v68, s[6:7]
	v_cndmask_b32_e64 v40, v36, v69, s[8:9]
	v_max3_f32 v35, v35, v37, v40
	v_or_b32_e32 v37, 50, v34
	v_or_b32_e32 v34, 51, v34
	v_cmp_gt_i32_e32 vcc, s27, v37
	v_cmp_gt_i32_e64 s[4:5], s27, v34
	global_load_dwordx4 v[46:49], v[38:39], off
	s_nop 0
	global_load_dwordx4 v[38:41], v[38:39], off offset:16
	v_cndmask_b32_e32 v37, v36, v66, vcc
	v_cndmask_b32_e64 v34, v36, v67, s[4:5]
	v_max3_f32 v50, v35, v37, v34
	v_mbcnt_lo_u32_b32 v34, -1, 0
	v_mbcnt_hi_u32_b32 v51, -1, v34
	v_and_b32_e32 v34, 64, v51
	v_add_u32_e32 v52, 64, v34
	v_xor_b32_e32 v34, 32, v51
	v_cmp_lt_i32_e64 s[38:39], v34, v52
	s_nop 1
	v_cndmask_b32_e64 v34, v51, v34, s[38:39]
	v_lshlrev_b32_e32 v87, 2, v34
	ds_bpermute_b32 v53, v87, v50
	v_lshl_add_u64 v[34:35], v[80:81], 0, v[54:55]
	global_load_dwordx4 v[42:45], v[34:35], off
	s_nop 0
	global_load_dwordx4 v[34:37], v[34:35], off offset:16
	s_waitcnt lgkmcnt(0)
	v_max_f32_e32 v53, v53, v53
	v_max_f32_e32 v62, v50, v53
	v_xor_b32_e32 v50, 16, v51
	v_cmp_lt_i32_e64 s[38:39], v50, v52
	s_nop 1
	v_cndmask_b32_e64 v50, v51, v50, s[38:39]
	v_lshlrev_b32_e32 v89, 2, v50
	ds_bpermute_b32 v63, v89, v62
	v_lshl_add_u64 v[50:51], v[80:81], 0, v[56:57]
	global_load_dwordx4 v[54:57], v[50:51], off
	s_nop 0
	global_load_dwordx4 v[50:53], v[50:51], off offset:16
	s_waitcnt lgkmcnt(0)
	v_max_f32_e32 v63, v63, v63
	v_max_f32_e32 v86, v62, v63
	v_sub_f32_e32 v60, v60, v86
	v_mul_f32_e32 v60, 0x3fb8aa3b, v60
	v_exp_f32_e32 v80, v60
	v_sub_f32_e32 v60, v61, v86
	v_mul_f32_e32 v60, 0x3fb8aa3b, v60
	v_exp_f32_e32 v81, v60
	global_load_dwordx4 v[62:65], v[58:59], off
	s_nop 0
	global_load_dwordx4 v[58:61], v[58:59], off offset:16
	v_sub_f32_e32 v78, v78, v86
	v_mul_f32_e32 v78, 0x3fb8aa3b, v78
	v_sub_f32_e32 v79, v79, v86
	v_exp_f32_e32 v78, v78
	v_mul_f32_e32 v79, 0x3fb8aa3b, v79
	v_sub_f32_e32 v76, v76, v86
	v_exp_f32_e32 v79, v79
	v_mul_f32_e32 v76, 0x3fb8aa3b, v76
	v_sub_f32_e32 v77, v77, v86
	v_cndmask_b32_e64 v80, 0, v80, s[28:29]
	v_exp_f32_e32 v76, v76
	v_mul_f32_e32 v77, 0x3fb8aa3b, v77
	v_sub_f32_e32 v74, v74, v86
	v_add_f32_e32 v91, 0, v80
	v_cndmask_b32_e64 v81, 0, v81, s[30:31]
	v_exp_f32_e32 v77, v77
	v_mul_f32_e32 v74, 0x3fb8aa3b, v74
	v_sub_f32_e32 v75, v75, v86
	v_add_f32_e32 v91, v91, v81
	;; [unrolled: 5-line block ×10, first 2 shown]
	v_cndmask_b32_e64 v70, 0, v70, s[10:11]
	v_exp_f32_e32 v66, v66
	v_mul_f32_e32 v67, 0x3fb8aa3b, v67
	v_add_f32_e32 v91, v91, v70
	v_cndmask_b32_e64 v71, 0, v71, s[12:13]
	v_exp_f32_e32 v67, v67
	v_add_f32_e32 v91, v91, v71
	v_cndmask_b32_e64 v68, 0, v68, s[6:7]
	v_add_f32_e32 v91, v91, v68
	v_cndmask_b32_e64 v69, 0, v69, s[8:9]
	v_add_f32_e32 v91, v91, v69
	v_cndmask_b32_e32 v66, 0, v66, vcc
	v_add_f32_e32 v91, v91, v66
	v_cndmask_b32_e64 v67, 0, v67, s[4:5]
	v_add_f32_e32 v91, v91, v67
	ds_bpermute_b32 v87, v87, v91
	s_load_dword s9, s[0:1], 0x98
	v_cmp_gt_u32_e64 s[4:5], 16, v85
	s_waitcnt lgkmcnt(0)
	s_barrier
	v_add_f32_e32 v87, v91, v87
	ds_bpermute_b32 v89, v89, v87
	s_waitcnt lgkmcnt(0)
	s_and_saveexec_b64 s[6:7], s[4:5]
	s_cbranch_execz .LBB312_17
; %bb.16:
	v_add_f32_e32 v85, v87, v89
	v_lshlrev_b32_e32 v87, 2, v90
	ds_write2st64_b32 v87, v86, v85 offset1:1
.LBB312_17:
	s_or_b64 exec, exec, s[6:7]
	v_lshlrev_b32_e32 v85, 2, v84
	s_load_dword s8, s[0:1], 0x94
	s_waitcnt lgkmcnt(0)
	s_barrier
	ds_read2_b32 v[90:91], v85 offset1:16
	ds_read2_b32 v[92:93], v85 offset0:32 offset1:48
	ds_read2_b32 v[94:95], v85 offset0:64 offset1:80
	s_mul_i32 s9, s9, 9
	s_waitcnt lgkmcnt(2)
	v_max3_f32 v86, v90, s33, v91
	s_waitcnt lgkmcnt(1)
	v_max3_f32 v86, v86, v92, v93
	v_sub_f32_e32 v87, v90, v86
	v_mul_f32_e32 v87, 0x3fb8aa3b, v87
	v_exp_f32_e32 v89, v87
	v_sub_f32_e32 v87, v91, v86
	v_mul_f32_e32 v87, 0x3fb8aa3b, v87
	v_exp_f32_e32 v88, v87
	v_sub_f32_e32 v87, v92, v86
	v_mul_f32_e32 v87, 0x3fb8aa3b, v87
	ds_read2_b32 v[90:91], v85 offset0:96 offset1:112
	v_sub_f32_e32 v85, v93, v86
	v_exp_f32_e32 v92, v87
	v_mul_f32_e32 v85, 0x3fb8aa3b, v85
	v_exp_f32_e32 v85, v85
	s_waitcnt lgkmcnt(1)
	v_fma_f32 v87, v89, v94, 0
	v_fmac_f32_e32 v87, v88, v95
	s_waitcnt lgkmcnt(0)
	v_fmac_f32_e32 v87, v92, v90
	v_fmac_f32_e32 v87, v85, v91
	v_add_f32_e32 v90, 0x358637bd, v87
	v_div_scale_f32 v91, s[6:7], v90, v90, 1.0
	v_rcp_f32_e32 v93, v91
	s_barrier
	v_fma_f32 v94, -v91, v93, 1.0
	v_fmac_f32_e32 v93, v94, v93
	v_div_scale_f32 v94, vcc, 1.0, v90, 1.0
	v_mul_f32_e32 v95, v94, v93
	v_fma_f32 v1, -v91, v95, v94
	v_fmac_f32_e32 v95, v1, v93
	v_fma_f32 v1, -v91, v95, v94
	v_lshrrev_b32_e32 v91, 6, v0
	v_div_fmas_f32 v1, v1, v93, v95
	v_cmp_eq_u32_e32 vcc, 1, v91
	v_div_fixup_f32 v1, v1, v90, 1.0
	s_nop 0
	v_cndmask_b32_e32 v88, v89, v88, vcc
	v_cmp_eq_u32_e32 vcc, 2, v91
	s_nop 1
	v_cndmask_b32_e32 v88, v88, v92, vcc
	v_cmp_eq_u32_e32 vcc, 3, v91
	s_nop 1
	v_cndmask_b32_e32 v85, v88, v85, vcc
	v_mul_f32_e32 v90, v85, v1
	v_pk_mul_f32 v[78:79], v[90:91], v[78:79] op_sel_hi:[0,1]
	v_cvt_f16_f32_e32 v78, v78
	v_cvt_f16_f32_e32 v79, v79
	v_pk_mul_f32 v[80:81], v[90:91], v[80:81] op_sel_hi:[0,1]
	v_cvt_f16_f32_e32 v1, v80
	v_cvt_f16_f32_e32 v80, v81
	v_pk_mul_f32 v[74:75], v[90:91], v[74:75] op_sel_hi:[0,1]
	v_pk_mul_f32 v[76:77], v[90:91], v[76:77] op_sel_hi:[0,1]
	v_pack_b32_f16 v81, v78, v79
	v_cvt_f16_f32_e32 v76, v76
	v_cvt_f16_f32_e32 v77, v77
	;; [unrolled: 1-line block ×4, first 2 shown]
	v_bfe_u32 v88, v0, 4, 2
	v_pack_b32_f16 v80, v1, v80
	v_lshlrev_b32_e32 v1, 3, v88
	v_lshlrev_b32_e32 v78, 5, v84
	v_lshlrev_b32_e32 v74, 11, v91
	v_or3_b32 v1, v74, v78, v1
	v_pack_b32_f16 v74, v76, v77
	v_pack_b32_f16 v75, v79, v75
	v_pk_mul_f32 v[70:71], v[90:91], v[70:71] op_sel_hi:[0,1]
	v_pk_mul_f32 v[72:73], v[90:91], v[72:73] op_sel_hi:[0,1]
	;; [unrolled: 1-line block ×4, first 2 shown]
	ds_write2st64_b64 v1, v[80:81], v[74:75] offset1:1
	v_cvt_f16_f32_e32 v72, v72
	v_cvt_f16_f32_e32 v73, v73
	;; [unrolled: 1-line block ×8, first 2 shown]
	v_pack_b32_f16 v66, v72, v73
	v_pack_b32_f16 v67, v70, v71
	;; [unrolled: 1-line block ×4, first 2 shown]
	v_cmp_gt_u32_e32 vcc, 9, v0
	ds_write2st64_b64 v1, v[66:67], v[68:69] offset0:2 offset1:3
	s_and_saveexec_b64 s[6:7], vcc
	s_cbranch_execz .LBB312_19
; %bb.18:
	s_mov_b32 s41, 0
	v_mov_b32_e32 v85, 0
	v_lshl_add_u64 v[66:67], s[40:41], 0, v[84:85]
	v_mov_b32_e32 v68, s9
	v_mad_u64_u32 v[66:67], s[10:11], s2, v68, v[66:67]
	s_mul_i32 s3, s3, s9
	v_mov_b32_e32 v68, s26
	v_mov_b32_e32 v69, v85
	s_load_dwordx4 s[12:15], s[0:1], 0x58
	v_add_u32_e32 v70, s3, v67
	v_mad_u64_u32 v[66:67], s[10:11], v66, s8, v[68:69]
	v_mov_b32_e32 v68, v67
	v_mad_u64_u32 v[68:69], s[10:11], v70, s8, v[68:69]
	v_mov_b32_e32 v67, v68
	v_lshlrev_b64 v[66:67], 2, v[66:67]
	s_waitcnt lgkmcnt(0)
	v_lshl_add_u64 v[68:69], s[14:15], 0, v[66:67]
	v_lshl_add_u64 v[66:67], s[12:13], 0, v[66:67]
	global_store_dword v[68:69], v86, off
	global_store_dword v[66:67], v87, off
.LBB312_19:
	s_or_b64 exec, exec, s[6:7]
	v_lshl_or_b32 v78, v88, 9, v78
	s_waitcnt lgkmcnt(0)
	s_barrier
	ds_read_b128 v[70:73], v78
	ds_read_b128 v[66:69], v78 offset:16
	s_waitcnt vmcnt(15) lgkmcnt(1)
	v_mfma_f32_16x16x16_f16 v[74:77], v[30:31], v[70:71], 0
	s_mov_b32 s3, 0
	v_cmp_gt_u32_e32 vcc, 64, v0
	v_mfma_f32_16x16x16_f16 v[30:33], v[32:33], v[72:73], v[74:77]
	s_waitcnt vmcnt(14) lgkmcnt(0)
	v_mfma_f32_16x16x16_f16 v[30:33], v[26:27], v[66:67], v[30:33]
	v_mfma_f32_16x16x16_f16 v[26:29], v[28:29], v[68:69], v[30:33]
	s_nop 5
	ds_read_b128 v[30:33], v78 offset:2048
	ds_read_b128 v[74:77], v78 offset:2064
	s_waitcnt vmcnt(13) lgkmcnt(1)
	v_mfma_f32_16x16x16_f16 v[26:29], v[22:23], v[30:31], v[26:29]
	v_mfma_f32_16x16x16_f16 v[22:25], v[24:25], v[32:33], v[26:29]
	s_waitcnt vmcnt(12) lgkmcnt(0)
	v_mfma_f32_16x16x16_f16 v[22:25], v[18:19], v[74:75], v[22:25]
	v_mfma_f32_16x16x16_f16 v[18:21], v[20:21], v[76:77], v[22:25]
	s_nop 5
	ds_read_b128 v[22:25], v78 offset:4096
	ds_read_b128 v[26:29], v78 offset:4112
	s_waitcnt vmcnt(11) lgkmcnt(1)
	v_mfma_f32_16x16x16_f16 v[18:21], v[14:15], v[22:23], v[18:21]
	v_mfma_f32_16x16x16_f16 v[14:17], v[16:17], v[24:25], v[18:21]
	s_waitcnt vmcnt(10) lgkmcnt(0)
	v_mfma_f32_16x16x16_f16 v[14:17], v[10:11], v[26:27], v[14:17]
	v_mfma_f32_16x16x16_f16 v[10:13], v[12:13], v[28:29], v[14:17]
	s_nop 5
	ds_read_b128 v[14:17], v78 offset:6144
	ds_read_b128 v[18:21], v78 offset:6160
	s_waitcnt lgkmcnt(0)
	s_barrier
	s_waitcnt vmcnt(9)
	v_mfma_f32_16x16x16_f16 v[10:13], v[6:7], v[14:15], v[10:13]
	v_mfma_f32_16x16x16_f16 v[6:9], v[8:9], v[16:17], v[10:13]
	s_waitcnt vmcnt(8)
	v_mfma_f32_16x16x16_f16 v[6:9], v[2:3], v[18:19], v[6:9]
	v_mfma_f32_16x16x16_f16 v[2:5], v[4:5], v[20:21], v[6:9]
	s_waitcnt vmcnt(7)
	v_mfma_f32_16x16x16_f16 v[6:9], v[46:47], v[70:71], 0
	v_mfma_f32_16x16x16_f16 v[6:9], v[48:49], v[72:73], v[6:9]
	s_nop 3
	v_cvt_f16_f32_e32 v10, v2
	v_cvt_f16_f32_e32 v11, v3
	;; [unrolled: 1-line block ×3, first 2 shown]
	s_waitcnt vmcnt(6)
	v_mfma_f32_16x16x16_f16 v[6:9], v[38:39], v[66:67], v[6:9]
	v_cvt_f16_f32_e32 v13, v5
	v_mfma_f32_16x16x16_f16 v[6:9], v[40:41], v[68:69], v[6:9]
	s_waitcnt vmcnt(5)
	v_mfma_f32_16x16x16_f16 v[6:9], v[42:43], v[30:31], v[6:9]
	v_mfma_f32_16x16x16_f16 v[6:9], v[44:45], v[32:33], v[6:9]
	s_waitcnt vmcnt(4)
	v_mfma_f32_16x16x16_f16 v[6:9], v[34:35], v[74:75], v[6:9]
	;; [unrolled: 3-line block ×6, first 2 shown]
	v_mfma_f32_16x16x16_f16 v[2:5], v[60:61], v[20:21], v[6:9]
	s_nop 6
	v_cvt_f16_f32_e32 v6, v2
	v_cvt_f16_f32_e32 v7, v3
	;; [unrolled: 1-line block ×4, first 2 shown]
	v_pack_b32_f16 v2, v10, v11
	v_pack_b32_f16 v3, v12, v13
	;; [unrolled: 1-line block ×4, first 2 shown]
	ds_write2st64_b64 v1, v[2:3], v[4:5] offset1:1
	s_waitcnt lgkmcnt(0)
	s_barrier
	s_and_saveexec_b64 s[6:7], vcc
	s_cbranch_execz .LBB312_22
; %bb.20:
	s_load_dwordx2 s[6:7], s[0:1], 0x68
	s_lshl_b32 s0, s8, 7
	s_mul_i32 s1, s9, s2
	v_lshlrev_b32_e32 v3, 6, v84
	s_mul_hi_u32 s9, s1, s0
	s_mul_i32 s8, s1, s0
	v_lshlrev_b32_e32 v2, 4, v0
	v_lshl_or_b32 v0, v0, 10, v3
	s_lshl_b64 s[8:9], s[8:9], 1
	v_lshlrev_b32_e32 v1, 5, v88
	v_and_b32_e32 v2, 16, v2
	v_and_b32_e32 v0, 0x1a00, v0
	s_waitcnt lgkmcnt(0)
	s_add_u32 s1, s6, s8
	v_or3_b32 v2, v0, v1, v2
	s_addc_u32 s6, s7, s9
	s_lshl_b32 s2, s26, 7
	s_lshl_b64 s[2:3], s[2:3], 1
	ds_read_b128 v[4:7], v2 offset:128
	ds_read_b128 v[8:11], v2
	s_add_u32 s2, s1, s2
	s_addc_u32 s3, s6, s3
	v_add_u32_e32 v3, s40, v88
	v_lshl_add_u64 v[0:1], v[82:83], 1, s[2:3]
	v_mad_u64_u32 v[12:13], s[2:3], v3, s0, 0
	v_lshl_add_u64 v[12:13], v[12:13], 1, v[0:1]
	v_add_u32_e32 v3, 4, v3
	s_waitcnt lgkmcnt(0)
	global_store_dwordx4 v[12:13], v[8:11], off
	s_nop 1
	v_mad_u64_u32 v[8:9], s[2:3], v3, s0, 0
	v_lshl_add_u64 v[8:9], v[8:9], 1, v[0:1]
	global_store_dwordx4 v[8:9], v[4:7], off
	s_and_b64 exec, exec, s[4:5]
	s_cbranch_execz .LBB312_22
; %bb.21:
	ds_read_b128 v[2:5], v2 offset:256
	v_add3_u32 v6, s40, v88, 8
	v_mad_u64_u32 v[6:7], s[0:1], v6, s0, 0
	v_lshl_add_u64 v[0:1], v[6:7], 1, v[0:1]
	s_waitcnt lgkmcnt(0)
	global_store_dwordx4 v[0:1], v[2:5], off
.LBB312_22:
	s_endpgm
	.section	.rodata,"a",@progbits
	.p2align	6, 0x0
	.amdhsa_kernel _Z39paged_attention_ll4mi_QKV_mfma16_kernelIDF16_DF16_LN4vllm18Fp8KVCacheDataTypeE0EhLi32ELi128ELi256ELb1ELi9EEvPKT_PKT0_S7_ifPKiS9_S9_iPKfiiiPfSC_PS2_PT2_iSB_SB_
		.amdhsa_group_segment_fixed_size 8192
		.amdhsa_private_segment_fixed_size 0
		.amdhsa_kernarg_size 400
		.amdhsa_user_sgpr_count 2
		.amdhsa_user_sgpr_dispatch_ptr 0
		.amdhsa_user_sgpr_queue_ptr 0
		.amdhsa_user_sgpr_kernarg_segment_ptr 1
		.amdhsa_user_sgpr_dispatch_id 0
		.amdhsa_user_sgpr_kernarg_preload_length 0
		.amdhsa_user_sgpr_kernarg_preload_offset 0
		.amdhsa_user_sgpr_private_segment_size 0
		.amdhsa_uses_dynamic_stack 0
		.amdhsa_enable_private_segment 0
		.amdhsa_system_sgpr_workgroup_id_x 1
		.amdhsa_system_sgpr_workgroup_id_y 1
		.amdhsa_system_sgpr_workgroup_id_z 1
		.amdhsa_system_sgpr_workgroup_info 0
		.amdhsa_system_vgpr_workitem_id 0
		.amdhsa_next_free_vgpr 96
		.amdhsa_next_free_sgpr 42
		.amdhsa_accum_offset 96
		.amdhsa_reserve_vcc 1
		.amdhsa_float_round_mode_32 0
		.amdhsa_float_round_mode_16_64 0
		.amdhsa_float_denorm_mode_32 3
		.amdhsa_float_denorm_mode_16_64 3
		.amdhsa_dx10_clamp 1
		.amdhsa_ieee_mode 1
		.amdhsa_fp16_overflow 0
		.amdhsa_tg_split 0
		.amdhsa_exception_fp_ieee_invalid_op 0
		.amdhsa_exception_fp_denorm_src 0
		.amdhsa_exception_fp_ieee_div_zero 0
		.amdhsa_exception_fp_ieee_overflow 0
		.amdhsa_exception_fp_ieee_underflow 0
		.amdhsa_exception_fp_ieee_inexact 0
		.amdhsa_exception_int_div_zero 0
	.end_amdhsa_kernel
	.section	.text._Z39paged_attention_ll4mi_QKV_mfma16_kernelIDF16_DF16_LN4vllm18Fp8KVCacheDataTypeE0EhLi32ELi128ELi256ELb1ELi9EEvPKT_PKT0_S7_ifPKiS9_S9_iPKfiiiPfSC_PS2_PT2_iSB_SB_,"axG",@progbits,_Z39paged_attention_ll4mi_QKV_mfma16_kernelIDF16_DF16_LN4vllm18Fp8KVCacheDataTypeE0EhLi32ELi128ELi256ELb1ELi9EEvPKT_PKT0_S7_ifPKiS9_S9_iPKfiiiPfSC_PS2_PT2_iSB_SB_,comdat
.Lfunc_end312:
	.size	_Z39paged_attention_ll4mi_QKV_mfma16_kernelIDF16_DF16_LN4vllm18Fp8KVCacheDataTypeE0EhLi32ELi128ELi256ELb1ELi9EEvPKT_PKT0_S7_ifPKiS9_S9_iPKfiiiPfSC_PS2_PT2_iSB_SB_, .Lfunc_end312-_Z39paged_attention_ll4mi_QKV_mfma16_kernelIDF16_DF16_LN4vllm18Fp8KVCacheDataTypeE0EhLi32ELi128ELi256ELb1ELi9EEvPKT_PKT0_S7_ifPKiS9_S9_iPKfiiiPfSC_PS2_PT2_iSB_SB_
                                        ; -- End function
	.section	.AMDGPU.csdata,"",@progbits
; Kernel info:
; codeLenInByte = 4892
; NumSgprs: 48
; NumVgprs: 96
; NumAgprs: 0
; TotalNumVgprs: 96
; ScratchSize: 0
; MemoryBound: 0
; FloatMode: 240
; IeeeMode: 1
; LDSByteSize: 8192 bytes/workgroup (compile time only)
; SGPRBlocks: 5
; VGPRBlocks: 11
; NumSGPRsForWavesPerEU: 48
; NumVGPRsForWavesPerEU: 96
; AccumOffset: 96
; Occupancy: 5
; WaveLimiterHint : 1
; COMPUTE_PGM_RSRC2:SCRATCH_EN: 0
; COMPUTE_PGM_RSRC2:USER_SGPR: 2
; COMPUTE_PGM_RSRC2:TRAP_HANDLER: 0
; COMPUTE_PGM_RSRC2:TGID_X_EN: 1
; COMPUTE_PGM_RSRC2:TGID_Y_EN: 1
; COMPUTE_PGM_RSRC2:TGID_Z_EN: 1
; COMPUTE_PGM_RSRC2:TIDIG_COMP_CNT: 0
; COMPUTE_PGM_RSRC3_GFX90A:ACCUM_OFFSET: 23
; COMPUTE_PGM_RSRC3_GFX90A:TG_SPLIT: 0
	.section	.text._Z39paged_attention_ll4mi_QKV_mfma16_kernelIDF16_DF16_LN4vllm18Fp8KVCacheDataTypeE0EhLi32ELi128ELi256ELb1ELi10EEvPKT_PKT0_S7_ifPKiS9_S9_iPKfiiiPfSC_PS2_PT2_iSB_SB_,"axG",@progbits,_Z39paged_attention_ll4mi_QKV_mfma16_kernelIDF16_DF16_LN4vllm18Fp8KVCacheDataTypeE0EhLi32ELi128ELi256ELb1ELi10EEvPKT_PKT0_S7_ifPKiS9_S9_iPKfiiiPfSC_PS2_PT2_iSB_SB_,comdat
	.protected	_Z39paged_attention_ll4mi_QKV_mfma16_kernelIDF16_DF16_LN4vllm18Fp8KVCacheDataTypeE0EhLi32ELi128ELi256ELb1ELi10EEvPKT_PKT0_S7_ifPKiS9_S9_iPKfiiiPfSC_PS2_PT2_iSB_SB_ ; -- Begin function _Z39paged_attention_ll4mi_QKV_mfma16_kernelIDF16_DF16_LN4vllm18Fp8KVCacheDataTypeE0EhLi32ELi128ELi256ELb1ELi10EEvPKT_PKT0_S7_ifPKiS9_S9_iPKfiiiPfSC_PS2_PT2_iSB_SB_
	.globl	_Z39paged_attention_ll4mi_QKV_mfma16_kernelIDF16_DF16_LN4vllm18Fp8KVCacheDataTypeE0EhLi32ELi128ELi256ELb1ELi10EEvPKT_PKT0_S7_ifPKiS9_S9_iPKfiiiPfSC_PS2_PT2_iSB_SB_
	.p2align	8
	.type	_Z39paged_attention_ll4mi_QKV_mfma16_kernelIDF16_DF16_LN4vllm18Fp8KVCacheDataTypeE0EhLi32ELi128ELi256ELb1ELi10EEvPKT_PKT0_S7_ifPKiS9_S9_iPKfiiiPfSC_PS2_PT2_iSB_SB_,@function
_Z39paged_attention_ll4mi_QKV_mfma16_kernelIDF16_DF16_LN4vllm18Fp8KVCacheDataTypeE0EhLi32ELi128ELi256ELb1ELi10EEvPKT_PKT0_S7_ifPKiS9_S9_iPKfiiiPfSC_PS2_PT2_iSB_SB_: ; @_Z39paged_attention_ll4mi_QKV_mfma16_kernelIDF16_DF16_LN4vllm18Fp8KVCacheDataTypeE0EhLi32ELi128ELi256ELb1ELi10EEvPKT_PKT0_S7_ifPKiS9_S9_iPKfiiiPfSC_PS2_PT2_iSB_SB_
; %bb.0:
	s_load_dwordx2 s[8:9], s[0:1], 0x30
	s_mov_b32 s26, s3
	s_mov_b64 s[6:7], 0
	s_waitcnt lgkmcnt(0)
	s_cmp_lg_u64 s[8:9], 0
	s_cselect_b64 s[10:11], -1, 0
	s_and_b64 vcc, exec, s[10:11]
	s_cbranch_vccz .LBB313_7
; %bb.1:
	s_add_i32 s12, s2, 1
	s_mov_b32 s13, 0
	s_lshl_b64 s[14:15], s[12:13], 2
	s_add_u32 s14, s8, s14
	s_mov_b32 s3, s13
	s_addc_u32 s15, s9, s15
	s_lshl_b64 s[12:13], s[2:3], 2
	s_add_u32 s12, s8, s12
	s_addc_u32 s13, s9, s13
	s_load_dword s5, s[14:15], 0x0
	s_load_dword s16, s[12:13], 0x0
	s_waitcnt lgkmcnt(0)
	s_sub_i32 s5, s5, s16
	s_cmp_eq_u32 s5, 1
	s_cselect_b64 s[12:13], -1, 0
	s_andn2_b64 vcc, exec, s[6:7]
	s_cbranch_vccnz .LBB313_3
.LBB313_2:
	s_mov_b32 s3, 0
	s_mov_b64 s[12:13], -1
.LBB313_3:
	s_andn2_b64 vcc, exec, s[12:13]
	s_cbranch_vccnz .LBB313_22
; %bb.4:
	s_load_dwordx2 s[6:7], s[0:1], 0x28
	s_lshl_b64 s[12:13], s[2:3], 2
	s_waitcnt lgkmcnt(0)
	s_add_u32 s6, s6, s12
	s_addc_u32 s7, s7, s13
	s_load_dword s27, s[6:7], 0x0
	s_lshl_b32 s18, s26, 8
	s_waitcnt lgkmcnt(0)
	s_cmp_ge_i32 s18, s27
	s_cbranch_scc1 .LBB313_22
; %bb.5:
	s_load_dwordx2 s[6:7], s[0:1], 0x20
	s_load_dword s5, s[0:1], 0x38
	s_add_i32 s14, s27, 31
	s_ashr_i32 s15, s14, 31
	v_and_b32_e32 v1, 0xcf, v0
	s_lshr_b32 s15, s15, 27
	v_add_u32_e32 v1, s18, v1
	s_add_i32 s14, s14, s15
	v_ashrrev_i32_e32 v2, 31, v1
	s_ashr_i32 s19, s14, 5
	v_lshrrev_b32_e32 v4, 27, v2
	s_add_i32 s19, s19, -1
	s_waitcnt lgkmcnt(0)
	s_mul_i32 s14, s2, s5
	s_mov_b32 s15, 0
	v_add_u32_e32 v2, v1, v4
	s_lshl_b64 s[14:15], s[14:15], 2
	v_ashrrev_i32_e32 v2, 5, v2
	v_mov_b32_e32 v5, s19
	v_cmp_gt_i32_e32 vcc, s27, v1
	s_add_u32 s6, s6, s14
	s_addc_u32 s7, s7, s15
	v_cndmask_b32_e32 v2, v5, v2, vcc
	v_ashrrev_i32_e32 v3, 31, v2
	v_lshl_add_u64 v[6:7], v[2:3], 2, s[6:7]
	v_or_b32_e32 v2, 16, v1
	v_add_u32_e32 v3, v2, v4
	v_ashrrev_i32_e32 v3, 5, v3
	v_cmp_gt_i32_e32 vcc, s27, v2
	s_nop 1
	v_cndmask_b32_e32 v2, v5, v3, vcc
	v_ashrrev_i32_e32 v3, 31, v2
	v_lshl_add_u64 v[8:9], v[2:3], 2, s[6:7]
	v_or_b32_e32 v2, 32, v1
	v_add_u32_e32 v3, v2, v4
	v_ashrrev_i32_e32 v3, 5, v3
	v_cmp_gt_i32_e32 vcc, s27, v2
	v_or_b32_e32 v1, 48, v1
	s_nop 0
	v_cndmask_b32_e32 v2, v5, v3, vcc
	v_ashrrev_i32_e32 v3, 31, v2
	v_lshl_add_u64 v[10:11], v[2:3], 2, s[6:7]
	v_add_u32_e32 v2, v1, v4
	v_ashrrev_i32_e32 v2, 5, v2
	v_cmp_gt_i32_e32 vcc, s27, v1
	s_nop 1
	v_cndmask_b32_e32 v2, v5, v2, vcc
	v_ashrrev_i32_e32 v3, 31, v2
	v_lshl_add_u64 v[12:13], v[2:3], 2, s[6:7]
	global_load_dword v5, v[6:7], off
	global_load_dword v4, v[8:9], off
	;; [unrolled: 1-line block ×4, first 2 shown]
	s_andn2_b64 vcc, exec, s[10:11]
	s_cbranch_vccnz .LBB313_8
; %bb.6:
	s_add_u32 s8, s8, s12
	s_addc_u32 s9, s9, s13
	s_load_dword s5, s[8:9], 0x0
	s_branch .LBB313_9
.LBB313_7:
	s_mov_b64 s[12:13], 0
	s_branch .LBB313_2
.LBB313_8:
	s_mov_b32 s5, s2
.LBB313_9:
	s_load_dwordx2 s[14:15], s[0:1], 0x8
	s_load_dwordx4 s[8:11], s[0:1], 0x48
	v_lshrrev_b32_e32 v88, 6, v0
	v_bfe_u32 v1, v0, 4, 2
	v_lshl_or_b32 v6, v88, 2, v1
	v_and_b32_e32 v84, 15, v0
	v_lshlrev_b32_e32 v82, 3, v84
	v_cmp_lt_u32_e32 vcc, 9, v6
	s_and_saveexec_b64 s[12:13], vcc
	s_xor_b64 s[12:13], exec, s[12:13]
; %bb.10:
	v_mov_b32_e32 v83, 0
                                        ; implicit-def: $vgpr6
; %bb.11:
	s_or_saveexec_b64 s[16:17], s[12:13]
	s_load_dwordx2 s[12:13], s[0:1], 0x10
	s_mul_i32 s40, s4, 10
	s_xor_b64 exec, exec, s[16:17]
	s_cbranch_execz .LBB313_13
; %bb.12:
	s_load_dwordx2 s[20:21], s[0:1], 0x0
	s_waitcnt lgkmcnt(0)
	s_ashr_i32 s11, s8, 31
	s_mul_hi_u32 s22, s5, s8
	s_mul_i32 s11, s5, s11
	s_add_i32 s23, s22, s11
	s_mul_i32 s22, s5, s8
	s_lshl_b64 s[22:23], s[22:23], 1
	s_add_u32 s20, s20, s22
	v_add_lshl_u32 v8, v6, s40, 7
	s_addc_u32 s21, s21, s23
	v_ashrrev_i32_e32 v9, 31, v8
	v_mov_b32_e32 v83, 0
	v_lshl_add_u64 v[8:9], v[8:9], 1, s[20:21]
	v_lshlrev_b32_e32 v10, 1, v82
	v_mov_b32_e32 v11, v83
	v_lshl_add_u64 v[8:9], v[8:9], 0, v[10:11]
	global_load_dwordx4 v[8:11], v[8:9], off
	v_and_b32_e32 v7, 3, v0
	v_lshlrev_b32_e32 v12, 9, v84
	v_lshlrev_b32_e32 v6, 5, v6
	;; [unrolled: 1-line block ×3, first 2 shown]
	v_and_b32_e32 v12, 0x1800, v12
	v_or3_b32 v6, v12, v7, v6
	s_waitcnt vmcnt(0)
	ds_write_b128 v6, v[8:11]
.LBB313_13:
	s_or_b64 exec, exec, s[16:17]
	s_waitcnt lgkmcnt(0)
	s_mul_i32 s4, s4, s10
	s_mov_b32 s5, 0
	s_lshl_b64 s[4:5], s[4:5], 1
	s_add_u32 s10, s14, s4
	s_addc_u32 s11, s15, s5
	s_waitcnt vmcnt(3)
	v_mad_i64_i32 v[6:7], s[14:15], v5, s9, 0
	v_lshl_add_u64 v[6:7], v[6:7], 1, s[10:11]
	v_lshlrev_b64 v[8:9], 1, v[82:83]
	v_lshlrev_b32_e32 v86, 9, v1
	v_lshl_add_u64 v[6:7], v[6:7], 0, v[8:9]
	v_mov_b32_e32 v87, 0
	v_lshl_add_u64 v[10:11], v[6:7], 0, v[86:87]
	v_or_b32_e32 v14, 0x1000, v86
	v_mov_b32_e32 v15, v87
	v_or_b32_e32 v16, 0x1800, v86
	v_mov_b32_e32 v17, v87
	s_barrier
	global_load_dwordx4 v[66:69], v[10:11], off
	global_load_dwordx4 v[62:65], v[10:11], off offset:2048
	v_lshl_add_u64 v[10:11], v[6:7], 0, v[14:15]
	v_lshl_add_u64 v[6:7], v[6:7], 0, v[16:17]
	global_load_dwordx4 v[78:81], v[10:11], off
	global_load_dwordx4 v[74:77], v[6:7], off
	s_waitcnt vmcnt(6)
	v_mad_i64_i32 v[4:5], s[14:15], v4, s9, 0
	v_mov_b32_e32 v6, 0x100
	v_lshl_add_u64 v[4:5], v[4:5], 1, s[10:11]
	v_lshl_or_b32 v6, v84, 4, v6
	v_mov_b32_e32 v7, v87
	v_lshl_add_u64 v[4:5], v[4:5], 0, v[6:7]
	v_lshl_add_u64 v[10:11], v[4:5], 0, v[86:87]
	global_load_dwordx4 v[70:73], v[10:11], off
	global_load_dwordx4 v[58:61], v[10:11], off offset:2048
	v_lshl_add_u64 v[10:11], v[4:5], 0, v[14:15]
	v_lshl_add_u64 v[4:5], v[4:5], 0, v[16:17]
	global_load_dwordx4 v[54:57], v[10:11], off
	global_load_dwordx4 v[30:33], v[4:5], off
	s_waitcnt vmcnt(9)
	v_mad_i64_i32 v[4:5], s[14:15], v3, s9, 0
	v_lshl_add_u64 v[4:5], v[4:5], 1, s[10:11]
	s_waitcnt vmcnt(8)
	v_mad_i64_i32 v[2:3], s[14:15], v2, s9, 0
	v_lshl_add_u64 v[4:5], v[4:5], 0, v[8:9]
	v_lshl_add_u64 v[2:3], v[2:3], 1, s[10:11]
	;; [unrolled: 1-line block ×4, first 2 shown]
	global_load_dwordx4 v[26:29], v[8:9], off
	global_load_dwordx4 v[22:25], v[8:9], off offset:2048
	v_lshl_add_u64 v[8:9], v[4:5], 0, v[14:15]
	v_lshl_add_u64 v[4:5], v[4:5], 0, v[16:17]
	;; [unrolled: 1-line block ×4, first 2 shown]
	global_load_dwordx4 v[18:21], v[8:9], off
	global_load_dwordx4 v[10:13], v[4:5], off
	s_nop 0
	global_load_dwordx4 v[6:9], v[2:3], off
	s_nop 0
	global_load_dwordx4 v[2:5], v[2:3], off offset:2048
	v_lshl_add_u64 v[16:17], v[34:35], 0, v[16:17]
	global_load_dwordx4 v[38:41], v[14:15], off
	global_load_dwordx4 v[34:37], v[16:17], off
	v_add_u32_e32 v14, -10, v84
	v_cmp_gt_u32_e32 vcc, 10, v84
	v_and_b32_e32 v85, 63, v0
	v_mov_b32_e32 v89, 0
	v_cndmask_b32_e32 v14, v14, v84, vcc
	v_lshl_add_u32 v42, v14, 5, v86
	ds_read_b128 v[14:17], v42
	ds_read_b128 v[50:53], v42 offset:2048
	ds_read_b128 v[46:49], v42 offset:4096
	;; [unrolled: 1-line block ×3, first 2 shown]
	s_and_saveexec_b64 s[10:11], vcc
	s_cbranch_execz .LBB313_15
; %bb.14:
	s_load_dwordx2 s[14:15], s[0:1], 0x40
	v_add_u32_e32 v90, s40, v84
	v_ashrrev_i32_e32 v91, 31, v90
	s_waitcnt lgkmcnt(0)
	v_lshl_add_u64 v[90:91], v[90:91], 2, s[14:15]
	global_load_dword v89, v[90:91], off
.LBB313_15:
	s_or_b64 exec, exec, s[10:11]
	s_waitcnt vmcnt(15) lgkmcnt(3)
	v_mfma_f32_16x16x16_f16 v[90:93], v[66:67], v[14:15], 0
	s_ashr_i32 s8, s18, 31
	s_lshr_b32 s8, s8, 27
	s_add_u32 s4, s12, s4
	v_mfma_f32_16x16x16_f16 v[66:69], v[68:69], v[16:17], v[90:93]
	s_addc_u32 s5, s13, s5
	s_mov_b32 s33, 0xff7fffff
	s_waitcnt vmcnt(14) lgkmcnt(2)
	v_mfma_f32_16x16x16_f16 v[66:69], v[62:63], v[50:51], v[66:69]
	v_lshl_or_b32 v90, v88, 4, v84
	v_mfma_f32_16x16x16_f16 v[62:65], v[64:65], v[52:53], v[66:69]
	s_waitcnt vmcnt(13) lgkmcnt(1)
	v_mfma_f32_16x16x16_f16 v[62:65], v[78:79], v[46:47], v[62:65]
	v_mfma_f32_16x16x16_f16 v[62:65], v[80:81], v[48:49], v[62:65]
	s_waitcnt vmcnt(12) lgkmcnt(0)
	v_mfma_f32_16x16x16_f16 v[62:65], v[74:75], v[42:43], v[62:65]
	v_and_or_b32 v74, v0, 48, s18
	v_add_u32_e32 v66, s8, v74
	v_ashrrev_i32_e32 v75, 5, v66
	s_waitcnt vmcnt(11)
	v_mfma_f32_16x16x16_f16 v[66:69], v[70:71], v[14:15], 0
	v_cmp_gt_i32_e32 vcc, s27, v74
	v_mfma_f32_16x16x16_f16 v[66:69], v[72:73], v[16:17], v[66:69]
	v_or_b32_e32 v72, 64, v74
	v_add_u32_e32 v73, s8, v72
	s_waitcnt vmcnt(10)
	v_mfma_f32_16x16x16_f16 v[66:69], v[58:59], v[50:51], v[66:69]
	v_ashrrev_i32_e32 v58, 5, v73
	v_mfma_f32_16x16x16_f16 v[62:65], v[76:77], v[44:45], v[62:65]
	v_mov_b32_e32 v76, s19
	v_cndmask_b32_e32 v70, v76, v75, vcc
	v_cmp_gt_i32_e32 vcc, s27, v72
	v_ashrrev_i32_e32 v71, 31, v70
	v_lshl_add_u64 v[70:71], v[70:71], 2, s[6:7]
	v_cndmask_b32_e32 v72, v76, v58, vcc
	v_mfma_f32_16x16x16_f16 v[58:61], v[60:61], v[52:53], v[66:69]
	v_ashrrev_i32_e32 v73, 31, v72
	s_waitcnt vmcnt(9)
	v_mfma_f32_16x16x16_f16 v[58:61], v[54:55], v[46:47], v[58:61]
	v_lshl_add_u64 v[66:67], v[72:73], 2, s[6:7]
	global_load_dword v72, v[70:71], off
	global_load_dword v75, v[66:67], off
	v_or_b32_e32 v66, 0x80, v74
	v_add_u32_e32 v67, s8, v66
	v_mfma_f32_16x16x16_f16 v[54:57], v[56:57], v[48:49], v[58:61]
	v_cmp_gt_i32_e32 vcc, s27, v66
	s_nop 1
	v_ashrrev_i32_e32 v58, 5, v67
	v_cndmask_b32_e32 v58, v76, v58, vcc
	v_ashrrev_i32_e32 v59, 31, v58
	s_waitcnt vmcnt(10)
	v_mfma_f32_16x16x16_f16 v[54:57], v[30:31], v[42:43], v[54:57]
	v_lshl_add_u64 v[30:31], v[58:59], 2, s[6:7]
	global_load_dword v58, v[30:31], off
	v_mfma_f32_16x16x16_f16 v[66:69], v[32:33], v[44:45], v[54:57]
	s_nop 3
	v_or_b32_e32 v54, 0xc0, v74
	v_add_u32_e32 v30, s8, v54
	v_ashrrev_i32_e32 v55, 5, v30
	v_cmp_gt_i32_e32 vcc, s27, v54
	s_waitcnt vmcnt(10)
	v_mfma_f32_16x16x16_f16 v[30:33], v[26:27], v[14:15], 0
	v_cndmask_b32_e32 v26, v76, v55, vcc
	v_ashrrev_i32_e32 v27, 31, v26
	v_lshl_add_u64 v[54:55], v[26:27], 2, s[6:7]
	global_load_dword v59, v[54:55], off
	v_mfma_f32_16x16x16_f16 v[26:29], v[28:29], v[16:17], v[30:33]
	s_load_dword s6, s[0:1], 0x1c
	s_waitcnt lgkmcnt(0)
	v_pk_mul_f32 v[76:77], s[6:7], v[66:67] op_sel_hi:[0,1]
	s_waitcnt vmcnt(10)
	v_mfma_f32_16x16x16_f16 v[26:29], v[22:23], v[50:51], v[26:29]
	v_and_b32_e32 v30, 16, v0
	v_lshlrev_b32_e32 v86, 1, v30
	v_lshl_add_u64 v[60:61], s[4:5], 0, v[86:87]
	v_mfma_f32_16x16x16_f16 v[22:25], v[24:25], v[52:53], v[26:29]
	v_lshlrev_b32_e32 v86, 6, v90
	v_lshl_add_u64 v[70:71], v[60:61], 0, v[86:87]
	v_or_b32_e32 v86, 0x1000, v86
	s_waitcnt vmcnt(9)
	v_mfma_f32_16x16x16_f16 v[22:25], v[18:19], v[46:47], v[22:25]
	v_lshl_add_u64 v[80:81], v[60:61], 0, v[86:87]
	v_pk_mul_f32 v[78:79], s[6:7], v[64:65] op_sel_hi:[0,1]
	v_pk_mul_f32 v[60:61], s[6:7], v[62:63] op_sel_hi:[0,1]
	v_mfma_f32_16x16x16_f16 v[18:21], v[20:21], v[48:49], v[22:25]
	s_waitcnt vmcnt(8)
	v_mfma_f32_16x16x16_f16 v[18:21], v[10:11], v[42:43], v[18:21]
	s_waitcnt vmcnt(3)
	v_mad_i64_i32 v[22:23], s[4:5], v72, s9, 0
	s_waitcnt vmcnt(2)
	v_mad_i64_i32 v[10:11], s[4:5], v75, s9, 0
	v_lshlrev_b64 v[72:73], 1, v[22:23]
	v_lshlrev_b64 v[54:55], 1, v[10:11]
	v_lshl_add_u64 v[22:23], v[70:71], 0, v[72:73]
	v_lshl_add_u64 v[10:11], v[70:71], 0, v[54:55]
	global_load_dwordx4 v[30:33], v[22:23], off
	global_load_dwordx4 v[26:29], v[22:23], off offset:16
	v_mfma_f32_16x16x16_f16 v[92:95], v[12:13], v[44:45], v[18:21]
	global_load_dwordx4 v[22:25], v[10:11], off
	s_nop 1
	global_load_dwordx4 v[18:21], v[10:11], off offset:16
	v_pk_mul_f32 v[74:75], s[6:7], v[68:69] op_sel_hi:[0,1]
	v_mfma_f32_16x16x16_f16 v[10:13], v[6:7], v[14:15], 0
	s_waitcnt vmcnt(5)
	v_mad_i64_i32 v[6:7], s[4:5], v58, s9, 0
	v_lshlrev_b64 v[56:57], 1, v[6:7]
	v_mfma_f32_16x16x16_f16 v[6:9], v[8:9], v[16:17], v[10:13]
	v_mfma_f32_16x16x16_f16 v[6:9], v[2:3], v[50:51], v[6:9]
	s_nop 1
	v_lshl_add_u64 v[10:11], v[70:71], 0, v[56:57]
	global_load_dwordx4 v[14:17], v[10:11], off
	s_nop 0
	global_load_dwordx4 v[10:13], v[10:11], off offset:16
	s_waitcnt vmcnt(6)
	v_mad_i64_i32 v[2:3], s[4:5], v59, s9, 0
	v_mfma_f32_16x16x16_f16 v[50:53], v[4:5], v[52:53], v[6:9]
	v_lshlrev_b64 v[58:59], 1, v[2:3]
	v_lshl_add_u64 v[2:3], v[70:71], 0, v[58:59]
	v_pk_mul_f32 v[70:71], s[6:7], v[94:95] op_sel_hi:[0,1]
	v_mfma_f32_16x16x16_f16 v[50:53], v[38:39], v[46:47], v[50:53]
	v_lshl_add_u64 v[38:39], v[80:81], 0, v[72:73]
	v_pk_mul_f32 v[72:73], s[6:7], v[92:93] op_sel_hi:[0,1]
	v_lshl_add_u64 v[58:59], v[80:81], 0, v[58:59]
	v_mfma_f32_16x16x16_f16 v[46:49], v[40:41], v[48:49], v[50:53]
	global_load_dwordx4 v[6:9], v[2:3], off
	s_nop 0
	global_load_dwordx4 v[2:5], v[2:3], off offset:16
	v_mfma_f32_16x16x16_f16 v[40:43], v[34:35], v[42:43], v[46:49]
	v_mfma_f32_16x16x16_f16 v[34:37], v[36:37], v[44:45], v[40:43]
	s_nop 6
	v_pk_mul_f32 v[68:69], s[6:7], v[34:35] op_sel_hi:[0,1]
	v_and_b32_e32 v34, 0xc0, v0
	v_add_u32_e32 v34, s18, v34
	v_lshl_or_b32 v34, v1, 2, v34
	v_or_b32_e32 v35, 1, v34
	v_pk_mul_f32 v[66:67], s[6:7], v[36:37] op_sel_hi:[0,1]
	v_subrev_u32_e32 v36, s27, v35
	v_add_u32_e32 v40, 1, v36
	v_add_u32_e32 v41, 2, v36
	v_cvt_f32_i32_e32 v37, v36
	v_cvt_f32_i32_e32 v40, v40
	;; [unrolled: 1-line block ×3, first 2 shown]
	v_add_u32_e32 v42, 3, v36
	v_fma_f32 v60, v89, v37, v60
	v_fmac_f32_e32 v61, v89, v40
	v_fma_f32 v78, v89, v41, v78
	v_add_u32_e32 v37, 16, v36
	v_add_u32_e32 v40, 17, v36
	;; [unrolled: 1-line block ×3, first 2 shown]
	v_cvt_f32_i32_e32 v42, v42
	v_cvt_f32_i32_e32 v37, v37
	;; [unrolled: 1-line block ×4, first 2 shown]
	v_fmac_f32_e32 v79, v89, v42
	v_add_u32_e32 v42, 19, v36
	v_fma_f32 v76, v89, v37, v76
	v_fmac_f32_e32 v77, v89, v40
	v_fma_f32 v74, v89, v41, v74
	v_add_u32_e32 v37, 32, v36
	v_add_u32_e32 v40, 33, v36
	;; [unrolled: 1-line block ×3, first 2 shown]
	v_cvt_f32_i32_e32 v42, v42
	v_cvt_f32_i32_e32 v37, v37
	;; [unrolled: 1-line block ×4, first 2 shown]
	v_fmac_f32_e32 v75, v89, v42
	v_add_u32_e32 v42, 35, v36
	v_fma_f32 v72, v89, v37, v72
	v_fmac_f32_e32 v73, v89, v40
	v_fma_f32 v70, v89, v41, v70
	v_add_u32_e32 v37, 48, v36
	v_add_u32_e32 v40, 49, v36
	;; [unrolled: 1-line block ×4, first 2 shown]
	v_cvt_f32_i32_e32 v36, v36
	v_cvt_f32_i32_e32 v37, v37
	;; [unrolled: 1-line block ×3, first 2 shown]
	v_cmp_gt_i32_e64 s[28:29], s27, v34
	v_fmac_f32_e32 v67, v89, v36
	v_mov_b32_e32 v36, 0xff7fffff
	v_cmp_gt_i32_e64 s[30:31], s27, v35
	v_fma_f32 v68, v89, v37, v68
	v_cndmask_b32_e64 v37, v36, v60, s[28:29]
	v_cndmask_b32_e64 v35, v36, v61, s[30:31]
	v_fmac_f32_e32 v69, v89, v40
	v_max3_f32 v35, v37, s33, v35
	v_or_b32_e32 v37, 2, v34
	v_or_b32_e32 v40, 3, v34
	v_cmp_gt_i32_e64 s[34:35], s27, v37
	v_cmp_gt_i32_e64 s[36:37], s27, v40
	v_cvt_f32_i32_e32 v42, v42
	v_cndmask_b32_e64 v37, v36, v78, s[34:35]
	v_cndmask_b32_e64 v40, v36, v79, s[36:37]
	v_max3_f32 v35, v35, v37, v40
	v_or_b32_e32 v37, 16, v34
	v_or_b32_e32 v40, 17, v34
	v_cmp_gt_i32_e64 s[22:23], s27, v37
	v_cmp_gt_i32_e64 s[24:25], s27, v40
	v_fmac_f32_e32 v71, v89, v42
	v_cndmask_b32_e64 v37, v36, v76, s[22:23]
	v_cndmask_b32_e64 v40, v36, v77, s[24:25]
	v_max3_f32 v35, v35, v37, v40
	v_or_b32_e32 v37, 18, v34
	v_or_b32_e32 v40, 19, v34
	v_cmp_gt_i32_e64 s[18:19], s27, v37
	v_cmp_gt_i32_e64 s[20:21], s27, v40
	v_cvt_f32_i32_e32 v41, v41
	v_cndmask_b32_e64 v37, v36, v74, s[18:19]
	v_cndmask_b32_e64 v40, v36, v75, s[20:21]
	v_max3_f32 v35, v35, v37, v40
	v_or_b32_e32 v37, 32, v34
	v_or_b32_e32 v40, 33, v34
	v_cmp_gt_i32_e64 s[14:15], s27, v37
	v_cmp_gt_i32_e64 s[16:17], s27, v40
	v_fma_f32 v66, v89, v41, v66
	v_cndmask_b32_e64 v37, v36, v72, s[14:15]
	v_cndmask_b32_e64 v40, v36, v73, s[16:17]
	v_max3_f32 v35, v35, v37, v40
	v_or_b32_e32 v37, 34, v34
	v_or_b32_e32 v40, 35, v34
	v_cmp_gt_i32_e64 s[10:11], s27, v37
	v_cmp_gt_i32_e64 s[12:13], s27, v40
	s_nop 0
	v_cndmask_b32_e64 v37, v36, v70, s[10:11]
	v_cndmask_b32_e64 v40, v36, v71, s[12:13]
	v_max3_f32 v35, v35, v37, v40
	v_or_b32_e32 v37, 48, v34
	v_or_b32_e32 v40, 49, v34
	v_cmp_gt_i32_e64 s[6:7], s27, v37
	v_cmp_gt_i32_e64 s[8:9], s27, v40
	s_nop 0
	v_cndmask_b32_e64 v37, v36, v68, s[6:7]
	v_cndmask_b32_e64 v40, v36, v69, s[8:9]
	v_max3_f32 v35, v35, v37, v40
	v_or_b32_e32 v37, 50, v34
	v_or_b32_e32 v34, 51, v34
	v_cmp_gt_i32_e32 vcc, s27, v37
	v_cmp_gt_i32_e64 s[4:5], s27, v34
	global_load_dwordx4 v[46:49], v[38:39], off
	s_nop 0
	global_load_dwordx4 v[38:41], v[38:39], off offset:16
	v_cndmask_b32_e32 v37, v36, v66, vcc
	v_cndmask_b32_e64 v34, v36, v67, s[4:5]
	v_max3_f32 v50, v35, v37, v34
	v_mbcnt_lo_u32_b32 v34, -1, 0
	v_mbcnt_hi_u32_b32 v51, -1, v34
	v_and_b32_e32 v34, 64, v51
	v_add_u32_e32 v52, 64, v34
	v_xor_b32_e32 v34, 32, v51
	v_cmp_lt_i32_e64 s[38:39], v34, v52
	s_nop 1
	v_cndmask_b32_e64 v34, v51, v34, s[38:39]
	v_lshlrev_b32_e32 v87, 2, v34
	ds_bpermute_b32 v53, v87, v50
	v_lshl_add_u64 v[34:35], v[80:81], 0, v[54:55]
	global_load_dwordx4 v[42:45], v[34:35], off
	s_nop 0
	global_load_dwordx4 v[34:37], v[34:35], off offset:16
	s_waitcnt lgkmcnt(0)
	v_max_f32_e32 v53, v53, v53
	v_max_f32_e32 v62, v50, v53
	v_xor_b32_e32 v50, 16, v51
	v_cmp_lt_i32_e64 s[38:39], v50, v52
	s_nop 1
	v_cndmask_b32_e64 v50, v51, v50, s[38:39]
	v_lshlrev_b32_e32 v89, 2, v50
	ds_bpermute_b32 v63, v89, v62
	v_lshl_add_u64 v[50:51], v[80:81], 0, v[56:57]
	global_load_dwordx4 v[54:57], v[50:51], off
	s_nop 0
	global_load_dwordx4 v[50:53], v[50:51], off offset:16
	s_waitcnt lgkmcnt(0)
	v_max_f32_e32 v63, v63, v63
	v_max_f32_e32 v86, v62, v63
	v_sub_f32_e32 v60, v60, v86
	v_mul_f32_e32 v60, 0x3fb8aa3b, v60
	v_exp_f32_e32 v80, v60
	v_sub_f32_e32 v60, v61, v86
	v_mul_f32_e32 v60, 0x3fb8aa3b, v60
	v_exp_f32_e32 v81, v60
	global_load_dwordx4 v[62:65], v[58:59], off
	s_nop 0
	global_load_dwordx4 v[58:61], v[58:59], off offset:16
	v_sub_f32_e32 v78, v78, v86
	v_mul_f32_e32 v78, 0x3fb8aa3b, v78
	v_sub_f32_e32 v79, v79, v86
	v_exp_f32_e32 v78, v78
	v_mul_f32_e32 v79, 0x3fb8aa3b, v79
	v_sub_f32_e32 v76, v76, v86
	v_exp_f32_e32 v79, v79
	v_mul_f32_e32 v76, 0x3fb8aa3b, v76
	v_sub_f32_e32 v77, v77, v86
	v_cndmask_b32_e64 v80, 0, v80, s[28:29]
	v_exp_f32_e32 v76, v76
	v_mul_f32_e32 v77, 0x3fb8aa3b, v77
	v_sub_f32_e32 v74, v74, v86
	v_add_f32_e32 v91, 0, v80
	v_cndmask_b32_e64 v81, 0, v81, s[30:31]
	v_exp_f32_e32 v77, v77
	v_mul_f32_e32 v74, 0x3fb8aa3b, v74
	v_sub_f32_e32 v75, v75, v86
	v_add_f32_e32 v91, v91, v81
	;; [unrolled: 5-line block ×10, first 2 shown]
	v_cndmask_b32_e64 v70, 0, v70, s[10:11]
	v_exp_f32_e32 v66, v66
	v_mul_f32_e32 v67, 0x3fb8aa3b, v67
	v_add_f32_e32 v91, v91, v70
	v_cndmask_b32_e64 v71, 0, v71, s[12:13]
	v_exp_f32_e32 v67, v67
	v_add_f32_e32 v91, v91, v71
	v_cndmask_b32_e64 v68, 0, v68, s[6:7]
	v_add_f32_e32 v91, v91, v68
	v_cndmask_b32_e64 v69, 0, v69, s[8:9]
	v_add_f32_e32 v91, v91, v69
	v_cndmask_b32_e32 v66, 0, v66, vcc
	v_add_f32_e32 v91, v91, v66
	v_cndmask_b32_e64 v67, 0, v67, s[4:5]
	v_add_f32_e32 v91, v91, v67
	ds_bpermute_b32 v87, v87, v91
	s_load_dword s7, s[0:1], 0x98
	v_cmp_gt_u32_e32 vcc, 16, v85
	s_waitcnt lgkmcnt(0)
	s_barrier
	v_add_f32_e32 v87, v91, v87
	ds_bpermute_b32 v89, v89, v87
	s_waitcnt lgkmcnt(0)
	s_and_saveexec_b64 s[4:5], vcc
	s_cbranch_execz .LBB313_17
; %bb.16:
	v_add_f32_e32 v85, v87, v89
	v_lshlrev_b32_e32 v87, 2, v90
	ds_write2st64_b32 v87, v86, v85 offset1:1
.LBB313_17:
	s_or_b64 exec, exec, s[4:5]
	v_lshlrev_b32_e32 v85, 2, v84
	s_load_dword s6, s[0:1], 0x94
	s_waitcnt lgkmcnt(0)
	s_barrier
	ds_read2_b32 v[90:91], v85 offset1:16
	ds_read2_b32 v[92:93], v85 offset0:32 offset1:48
	ds_read2_b32 v[94:95], v85 offset0:64 offset1:80
	s_mul_i32 s7, s7, 10
	s_waitcnt lgkmcnt(2)
	v_max3_f32 v86, v90, s33, v91
	s_waitcnt lgkmcnt(1)
	v_max3_f32 v86, v86, v92, v93
	v_sub_f32_e32 v87, v90, v86
	v_mul_f32_e32 v87, 0x3fb8aa3b, v87
	v_exp_f32_e32 v89, v87
	v_sub_f32_e32 v87, v91, v86
	v_mul_f32_e32 v87, 0x3fb8aa3b, v87
	v_exp_f32_e32 v88, v87
	v_sub_f32_e32 v87, v92, v86
	v_mul_f32_e32 v87, 0x3fb8aa3b, v87
	ds_read2_b32 v[90:91], v85 offset0:96 offset1:112
	v_sub_f32_e32 v85, v93, v86
	v_exp_f32_e32 v92, v87
	v_mul_f32_e32 v85, 0x3fb8aa3b, v85
	v_exp_f32_e32 v85, v85
	s_waitcnt lgkmcnt(1)
	v_fma_f32 v87, v89, v94, 0
	v_fmac_f32_e32 v87, v88, v95
	s_waitcnt lgkmcnt(0)
	v_fmac_f32_e32 v87, v92, v90
	v_fmac_f32_e32 v87, v85, v91
	v_add_f32_e32 v90, 0x358637bd, v87
	v_div_scale_f32 v91, s[4:5], v90, v90, 1.0
	v_rcp_f32_e32 v93, v91
	s_barrier
	v_fma_f32 v94, -v91, v93, 1.0
	v_fmac_f32_e32 v93, v94, v93
	v_div_scale_f32 v94, vcc, 1.0, v90, 1.0
	v_mul_f32_e32 v95, v94, v93
	v_fma_f32 v1, -v91, v95, v94
	v_fmac_f32_e32 v95, v1, v93
	v_fma_f32 v1, -v91, v95, v94
	v_lshrrev_b32_e32 v91, 6, v0
	v_div_fmas_f32 v1, v1, v93, v95
	v_cmp_eq_u32_e32 vcc, 1, v91
	v_div_fixup_f32 v1, v1, v90, 1.0
	s_nop 0
	v_cndmask_b32_e32 v88, v89, v88, vcc
	v_cmp_eq_u32_e32 vcc, 2, v91
	s_nop 1
	v_cndmask_b32_e32 v88, v88, v92, vcc
	v_cmp_eq_u32_e32 vcc, 3, v91
	s_nop 1
	v_cndmask_b32_e32 v85, v88, v85, vcc
	v_mul_f32_e32 v90, v85, v1
	v_pk_mul_f32 v[78:79], v[90:91], v[78:79] op_sel_hi:[0,1]
	v_cvt_f16_f32_e32 v78, v78
	v_cvt_f16_f32_e32 v79, v79
	v_pk_mul_f32 v[80:81], v[90:91], v[80:81] op_sel_hi:[0,1]
	v_cvt_f16_f32_e32 v1, v80
	v_cvt_f16_f32_e32 v80, v81
	v_pk_mul_f32 v[74:75], v[90:91], v[74:75] op_sel_hi:[0,1]
	v_pk_mul_f32 v[76:77], v[90:91], v[76:77] op_sel_hi:[0,1]
	v_pack_b32_f16 v81, v78, v79
	v_cvt_f16_f32_e32 v76, v76
	v_cvt_f16_f32_e32 v77, v77
	;; [unrolled: 1-line block ×4, first 2 shown]
	v_bfe_u32 v88, v0, 4, 2
	v_pack_b32_f16 v80, v1, v80
	v_lshlrev_b32_e32 v1, 3, v88
	v_lshlrev_b32_e32 v78, 5, v84
	;; [unrolled: 1-line block ×3, first 2 shown]
	v_or3_b32 v1, v74, v78, v1
	v_pack_b32_f16 v74, v76, v77
	v_pack_b32_f16 v75, v79, v75
	v_pk_mul_f32 v[70:71], v[90:91], v[70:71] op_sel_hi:[0,1]
	v_pk_mul_f32 v[72:73], v[90:91], v[72:73] op_sel_hi:[0,1]
	;; [unrolled: 1-line block ×4, first 2 shown]
	ds_write2st64_b64 v1, v[80:81], v[74:75] offset1:1
	v_cvt_f16_f32_e32 v72, v72
	v_cvt_f16_f32_e32 v73, v73
	;; [unrolled: 1-line block ×8, first 2 shown]
	v_pack_b32_f16 v66, v72, v73
	v_pack_b32_f16 v67, v70, v71
	;; [unrolled: 1-line block ×4, first 2 shown]
	v_cmp_gt_u32_e32 vcc, 10, v0
	ds_write2st64_b64 v1, v[66:67], v[68:69] offset0:2 offset1:3
	s_and_saveexec_b64 s[4:5], vcc
	s_cbranch_execz .LBB313_19
; %bb.18:
	s_mov_b32 s41, 0
	v_mov_b32_e32 v85, 0
	v_lshl_add_u64 v[66:67], s[40:41], 0, v[84:85]
	v_mov_b32_e32 v68, s7
	v_mad_u64_u32 v[66:67], s[12:13], s2, v68, v[66:67]
	s_mul_i32 s3, s3, s7
	v_mov_b32_e32 v68, s26
	v_mov_b32_e32 v69, v85
	s_load_dwordx4 s[8:11], s[0:1], 0x58
	v_add_u32_e32 v70, s3, v67
	v_mad_u64_u32 v[66:67], s[12:13], v66, s6, v[68:69]
	v_mov_b32_e32 v68, v67
	v_mad_u64_u32 v[68:69], s[12:13], v70, s6, v[68:69]
	v_mov_b32_e32 v67, v68
	v_lshlrev_b64 v[66:67], 2, v[66:67]
	s_waitcnt lgkmcnt(0)
	v_lshl_add_u64 v[68:69], s[10:11], 0, v[66:67]
	v_lshl_add_u64 v[66:67], s[8:9], 0, v[66:67]
	global_store_dword v[68:69], v86, off
	global_store_dword v[66:67], v87, off
.LBB313_19:
	s_or_b64 exec, exec, s[4:5]
	v_lshl_or_b32 v78, v88, 9, v78
	s_waitcnt lgkmcnt(0)
	s_barrier
	ds_read_b128 v[70:73], v78
	ds_read_b128 v[66:69], v78 offset:16
	s_waitcnt vmcnt(15) lgkmcnt(1)
	v_mfma_f32_16x16x16_f16 v[74:77], v[30:31], v[70:71], 0
	s_mov_b32 s3, 0
	v_cmp_gt_u32_e32 vcc, 64, v0
	v_mfma_f32_16x16x16_f16 v[30:33], v[32:33], v[72:73], v[74:77]
	s_waitcnt vmcnt(14) lgkmcnt(0)
	v_mfma_f32_16x16x16_f16 v[30:33], v[26:27], v[66:67], v[30:33]
	v_mfma_f32_16x16x16_f16 v[26:29], v[28:29], v[68:69], v[30:33]
	s_nop 5
	ds_read_b128 v[30:33], v78 offset:2048
	ds_read_b128 v[74:77], v78 offset:2064
	s_waitcnt vmcnt(13) lgkmcnt(1)
	v_mfma_f32_16x16x16_f16 v[26:29], v[22:23], v[30:31], v[26:29]
	v_mfma_f32_16x16x16_f16 v[22:25], v[24:25], v[32:33], v[26:29]
	s_waitcnt vmcnt(12) lgkmcnt(0)
	v_mfma_f32_16x16x16_f16 v[22:25], v[18:19], v[74:75], v[22:25]
	v_mfma_f32_16x16x16_f16 v[18:21], v[20:21], v[76:77], v[22:25]
	s_nop 5
	ds_read_b128 v[22:25], v78 offset:4096
	ds_read_b128 v[26:29], v78 offset:4112
	s_waitcnt vmcnt(11) lgkmcnt(1)
	v_mfma_f32_16x16x16_f16 v[18:21], v[14:15], v[22:23], v[18:21]
	v_mfma_f32_16x16x16_f16 v[14:17], v[16:17], v[24:25], v[18:21]
	s_waitcnt vmcnt(10) lgkmcnt(0)
	v_mfma_f32_16x16x16_f16 v[14:17], v[10:11], v[26:27], v[14:17]
	v_mfma_f32_16x16x16_f16 v[10:13], v[12:13], v[28:29], v[14:17]
	s_nop 5
	ds_read_b128 v[14:17], v78 offset:6144
	ds_read_b128 v[18:21], v78 offset:6160
	s_waitcnt lgkmcnt(0)
	s_barrier
	s_waitcnt vmcnt(9)
	v_mfma_f32_16x16x16_f16 v[10:13], v[6:7], v[14:15], v[10:13]
	v_mfma_f32_16x16x16_f16 v[6:9], v[8:9], v[16:17], v[10:13]
	s_waitcnt vmcnt(8)
	v_mfma_f32_16x16x16_f16 v[6:9], v[2:3], v[18:19], v[6:9]
	v_mfma_f32_16x16x16_f16 v[2:5], v[4:5], v[20:21], v[6:9]
	;; [unrolled: 3-line block ×3, first 2 shown]
	s_nop 3
	v_cvt_f16_f32_e32 v10, v2
	v_cvt_f16_f32_e32 v11, v3
	;; [unrolled: 1-line block ×3, first 2 shown]
	s_waitcnt vmcnt(6)
	v_mfma_f32_16x16x16_f16 v[6:9], v[38:39], v[66:67], v[6:9]
	v_cvt_f16_f32_e32 v13, v5
	v_mfma_f32_16x16x16_f16 v[6:9], v[40:41], v[68:69], v[6:9]
	s_waitcnt vmcnt(5)
	v_mfma_f32_16x16x16_f16 v[6:9], v[42:43], v[30:31], v[6:9]
	v_mfma_f32_16x16x16_f16 v[6:9], v[44:45], v[32:33], v[6:9]
	s_waitcnt vmcnt(4)
	v_mfma_f32_16x16x16_f16 v[6:9], v[34:35], v[74:75], v[6:9]
	;; [unrolled: 3-line block ×6, first 2 shown]
	v_mfma_f32_16x16x16_f16 v[2:5], v[60:61], v[20:21], v[6:9]
	s_nop 6
	v_cvt_f16_f32_e32 v6, v2
	v_cvt_f16_f32_e32 v7, v3
	;; [unrolled: 1-line block ×4, first 2 shown]
	v_pack_b32_f16 v2, v10, v11
	v_pack_b32_f16 v3, v12, v13
	;; [unrolled: 1-line block ×4, first 2 shown]
	ds_write2st64_b64 v1, v[2:3], v[4:5] offset1:1
	s_waitcnt lgkmcnt(0)
	s_barrier
	s_and_saveexec_b64 s[4:5], vcc
	s_cbranch_execz .LBB313_22
; %bb.20:
	s_load_dwordx2 s[4:5], s[0:1], 0x68
	s_lshl_b32 s0, s6, 7
	s_mul_i32 s1, s7, s2
	v_lshlrev_b32_e32 v3, 6, v84
	s_mul_hi_u32 s7, s1, s0
	s_mul_i32 s6, s1, s0
	v_lshlrev_b32_e32 v2, 4, v0
	v_lshl_or_b32 v0, v0, 10, v3
	s_lshl_b64 s[6:7], s[6:7], 1
	v_lshlrev_b32_e32 v1, 5, v88
	v_and_b32_e32 v2, 16, v2
	v_and_b32_e32 v0, 0x1a00, v0
	s_waitcnt lgkmcnt(0)
	s_add_u32 s1, s4, s6
	v_or3_b32 v2, v0, v1, v2
	s_addc_u32 s4, s5, s7
	s_lshl_b32 s2, s26, 7
	s_lshl_b64 s[2:3], s[2:3], 1
	ds_read_b128 v[4:7], v2 offset:128
	ds_read_b128 v[8:11], v2
	s_add_u32 s2, s1, s2
	s_addc_u32 s3, s4, s3
	v_add_u32_e32 v14, s40, v88
	v_lshl_add_u64 v[0:1], v[82:83], 1, s[2:3]
	v_mad_u64_u32 v[12:13], s[2:3], v14, s0, 0
	v_lshl_add_u64 v[12:13], v[12:13], 1, v[0:1]
	s_waitcnt lgkmcnt(0)
	global_store_dwordx4 v[12:13], v[8:11], off
	v_or_b32_e32 v3, 8, v88
	v_cmp_gt_u32_e32 vcc, 10, v3
	v_add_u32_e32 v8, 4, v14
	v_mad_u64_u32 v[8:9], s[2:3], v8, s0, 0
	v_lshl_add_u64 v[8:9], v[8:9], 1, v[0:1]
	global_store_dwordx4 v[8:9], v[4:7], off
	s_and_b64 exec, exec, vcc
	s_cbranch_execz .LBB313_22
; %bb.21:
	ds_read_b128 v[4:7], v2 offset:256
	v_add_u32_e32 v2, s40, v3
	v_mad_u64_u32 v[2:3], s[0:1], v2, s0, 0
	v_lshl_add_u64 v[0:1], v[2:3], 1, v[0:1]
	s_waitcnt lgkmcnt(0)
	global_store_dwordx4 v[0:1], v[4:7], off
.LBB313_22:
	s_endpgm
	.section	.rodata,"a",@progbits
	.p2align	6, 0x0
	.amdhsa_kernel _Z39paged_attention_ll4mi_QKV_mfma16_kernelIDF16_DF16_LN4vllm18Fp8KVCacheDataTypeE0EhLi32ELi128ELi256ELb1ELi10EEvPKT_PKT0_S7_ifPKiS9_S9_iPKfiiiPfSC_PS2_PT2_iSB_SB_
		.amdhsa_group_segment_fixed_size 8192
		.amdhsa_private_segment_fixed_size 0
		.amdhsa_kernarg_size 400
		.amdhsa_user_sgpr_count 2
		.amdhsa_user_sgpr_dispatch_ptr 0
		.amdhsa_user_sgpr_queue_ptr 0
		.amdhsa_user_sgpr_kernarg_segment_ptr 1
		.amdhsa_user_sgpr_dispatch_id 0
		.amdhsa_user_sgpr_kernarg_preload_length 0
		.amdhsa_user_sgpr_kernarg_preload_offset 0
		.amdhsa_user_sgpr_private_segment_size 0
		.amdhsa_uses_dynamic_stack 0
		.amdhsa_enable_private_segment 0
		.amdhsa_system_sgpr_workgroup_id_x 1
		.amdhsa_system_sgpr_workgroup_id_y 1
		.amdhsa_system_sgpr_workgroup_id_z 1
		.amdhsa_system_sgpr_workgroup_info 0
		.amdhsa_system_vgpr_workitem_id 0
		.amdhsa_next_free_vgpr 96
		.amdhsa_next_free_sgpr 42
		.amdhsa_accum_offset 96
		.amdhsa_reserve_vcc 1
		.amdhsa_float_round_mode_32 0
		.amdhsa_float_round_mode_16_64 0
		.amdhsa_float_denorm_mode_32 3
		.amdhsa_float_denorm_mode_16_64 3
		.amdhsa_dx10_clamp 1
		.amdhsa_ieee_mode 1
		.amdhsa_fp16_overflow 0
		.amdhsa_tg_split 0
		.amdhsa_exception_fp_ieee_invalid_op 0
		.amdhsa_exception_fp_denorm_src 0
		.amdhsa_exception_fp_ieee_div_zero 0
		.amdhsa_exception_fp_ieee_overflow 0
		.amdhsa_exception_fp_ieee_underflow 0
		.amdhsa_exception_fp_ieee_inexact 0
		.amdhsa_exception_int_div_zero 0
	.end_amdhsa_kernel
	.section	.text._Z39paged_attention_ll4mi_QKV_mfma16_kernelIDF16_DF16_LN4vllm18Fp8KVCacheDataTypeE0EhLi32ELi128ELi256ELb1ELi10EEvPKT_PKT0_S7_ifPKiS9_S9_iPKfiiiPfSC_PS2_PT2_iSB_SB_,"axG",@progbits,_Z39paged_attention_ll4mi_QKV_mfma16_kernelIDF16_DF16_LN4vllm18Fp8KVCacheDataTypeE0EhLi32ELi128ELi256ELb1ELi10EEvPKT_PKT0_S7_ifPKiS9_S9_iPKfiiiPfSC_PS2_PT2_iSB_SB_,comdat
.Lfunc_end313:
	.size	_Z39paged_attention_ll4mi_QKV_mfma16_kernelIDF16_DF16_LN4vllm18Fp8KVCacheDataTypeE0EhLi32ELi128ELi256ELb1ELi10EEvPKT_PKT0_S7_ifPKiS9_S9_iPKfiiiPfSC_PS2_PT2_iSB_SB_, .Lfunc_end313-_Z39paged_attention_ll4mi_QKV_mfma16_kernelIDF16_DF16_LN4vllm18Fp8KVCacheDataTypeE0EhLi32ELi128ELi256ELb1ELi10EEvPKT_PKT0_S7_ifPKiS9_S9_iPKfiiiPfSC_PS2_PT2_iSB_SB_
                                        ; -- End function
	.section	.AMDGPU.csdata,"",@progbits
; Kernel info:
; codeLenInByte = 4888
; NumSgprs: 48
; NumVgprs: 96
; NumAgprs: 0
; TotalNumVgprs: 96
; ScratchSize: 0
; MemoryBound: 0
; FloatMode: 240
; IeeeMode: 1
; LDSByteSize: 8192 bytes/workgroup (compile time only)
; SGPRBlocks: 5
; VGPRBlocks: 11
; NumSGPRsForWavesPerEU: 48
; NumVGPRsForWavesPerEU: 96
; AccumOffset: 96
; Occupancy: 5
; WaveLimiterHint : 1
; COMPUTE_PGM_RSRC2:SCRATCH_EN: 0
; COMPUTE_PGM_RSRC2:USER_SGPR: 2
; COMPUTE_PGM_RSRC2:TRAP_HANDLER: 0
; COMPUTE_PGM_RSRC2:TGID_X_EN: 1
; COMPUTE_PGM_RSRC2:TGID_Y_EN: 1
; COMPUTE_PGM_RSRC2:TGID_Z_EN: 1
; COMPUTE_PGM_RSRC2:TIDIG_COMP_CNT: 0
; COMPUTE_PGM_RSRC3_GFX90A:ACCUM_OFFSET: 23
; COMPUTE_PGM_RSRC3_GFX90A:TG_SPLIT: 0
	.section	.text._Z39paged_attention_ll4mi_QKV_mfma16_kernelIDF16_DF16_LN4vllm18Fp8KVCacheDataTypeE0EhLi32ELi128ELi256ELb1ELi11EEvPKT_PKT0_S7_ifPKiS9_S9_iPKfiiiPfSC_PS2_PT2_iSB_SB_,"axG",@progbits,_Z39paged_attention_ll4mi_QKV_mfma16_kernelIDF16_DF16_LN4vllm18Fp8KVCacheDataTypeE0EhLi32ELi128ELi256ELb1ELi11EEvPKT_PKT0_S7_ifPKiS9_S9_iPKfiiiPfSC_PS2_PT2_iSB_SB_,comdat
	.protected	_Z39paged_attention_ll4mi_QKV_mfma16_kernelIDF16_DF16_LN4vllm18Fp8KVCacheDataTypeE0EhLi32ELi128ELi256ELb1ELi11EEvPKT_PKT0_S7_ifPKiS9_S9_iPKfiiiPfSC_PS2_PT2_iSB_SB_ ; -- Begin function _Z39paged_attention_ll4mi_QKV_mfma16_kernelIDF16_DF16_LN4vllm18Fp8KVCacheDataTypeE0EhLi32ELi128ELi256ELb1ELi11EEvPKT_PKT0_S7_ifPKiS9_S9_iPKfiiiPfSC_PS2_PT2_iSB_SB_
	.globl	_Z39paged_attention_ll4mi_QKV_mfma16_kernelIDF16_DF16_LN4vllm18Fp8KVCacheDataTypeE0EhLi32ELi128ELi256ELb1ELi11EEvPKT_PKT0_S7_ifPKiS9_S9_iPKfiiiPfSC_PS2_PT2_iSB_SB_
	.p2align	8
	.type	_Z39paged_attention_ll4mi_QKV_mfma16_kernelIDF16_DF16_LN4vllm18Fp8KVCacheDataTypeE0EhLi32ELi128ELi256ELb1ELi11EEvPKT_PKT0_S7_ifPKiS9_S9_iPKfiiiPfSC_PS2_PT2_iSB_SB_,@function
_Z39paged_attention_ll4mi_QKV_mfma16_kernelIDF16_DF16_LN4vllm18Fp8KVCacheDataTypeE0EhLi32ELi128ELi256ELb1ELi11EEvPKT_PKT0_S7_ifPKiS9_S9_iPKfiiiPfSC_PS2_PT2_iSB_SB_: ; @_Z39paged_attention_ll4mi_QKV_mfma16_kernelIDF16_DF16_LN4vllm18Fp8KVCacheDataTypeE0EhLi32ELi128ELi256ELb1ELi11EEvPKT_PKT0_S7_ifPKiS9_S9_iPKfiiiPfSC_PS2_PT2_iSB_SB_
; %bb.0:
	s_load_dwordx2 s[8:9], s[0:1], 0x30
	s_mov_b32 s26, s3
	s_mov_b64 s[6:7], 0
	s_waitcnt lgkmcnt(0)
	s_cmp_lg_u64 s[8:9], 0
	s_cselect_b64 s[10:11], -1, 0
	s_and_b64 vcc, exec, s[10:11]
	s_cbranch_vccz .LBB314_7
; %bb.1:
	s_add_i32 s12, s2, 1
	s_mov_b32 s13, 0
	s_lshl_b64 s[14:15], s[12:13], 2
	s_add_u32 s14, s8, s14
	s_mov_b32 s3, s13
	s_addc_u32 s15, s9, s15
	s_lshl_b64 s[12:13], s[2:3], 2
	s_add_u32 s12, s8, s12
	s_addc_u32 s13, s9, s13
	s_load_dword s5, s[14:15], 0x0
	s_load_dword s16, s[12:13], 0x0
	s_waitcnt lgkmcnt(0)
	s_sub_i32 s5, s5, s16
	s_cmp_eq_u32 s5, 1
	s_cselect_b64 s[12:13], -1, 0
	s_andn2_b64 vcc, exec, s[6:7]
	s_cbranch_vccnz .LBB314_3
.LBB314_2:
	s_mov_b32 s3, 0
	s_mov_b64 s[12:13], -1
.LBB314_3:
	s_andn2_b64 vcc, exec, s[12:13]
	s_cbranch_vccnz .LBB314_22
; %bb.4:
	s_load_dwordx2 s[6:7], s[0:1], 0x28
	s_lshl_b64 s[12:13], s[2:3], 2
	s_waitcnt lgkmcnt(0)
	s_add_u32 s6, s6, s12
	s_addc_u32 s7, s7, s13
	s_load_dword s27, s[6:7], 0x0
	s_lshl_b32 s18, s26, 8
	s_waitcnt lgkmcnt(0)
	s_cmp_ge_i32 s18, s27
	s_cbranch_scc1 .LBB314_22
; %bb.5:
	s_load_dwordx2 s[6:7], s[0:1], 0x20
	s_load_dword s5, s[0:1], 0x38
	s_add_i32 s14, s27, 31
	s_ashr_i32 s15, s14, 31
	v_and_b32_e32 v1, 0xcf, v0
	s_lshr_b32 s15, s15, 27
	v_add_u32_e32 v1, s18, v1
	s_add_i32 s14, s14, s15
	v_ashrrev_i32_e32 v2, 31, v1
	s_ashr_i32 s19, s14, 5
	v_lshrrev_b32_e32 v4, 27, v2
	s_add_i32 s19, s19, -1
	s_waitcnt lgkmcnt(0)
	s_mul_i32 s14, s2, s5
	s_mov_b32 s15, 0
	v_add_u32_e32 v2, v1, v4
	s_lshl_b64 s[14:15], s[14:15], 2
	v_ashrrev_i32_e32 v2, 5, v2
	v_mov_b32_e32 v5, s19
	v_cmp_gt_i32_e32 vcc, s27, v1
	s_add_u32 s6, s6, s14
	s_addc_u32 s7, s7, s15
	v_cndmask_b32_e32 v2, v5, v2, vcc
	v_ashrrev_i32_e32 v3, 31, v2
	v_lshl_add_u64 v[6:7], v[2:3], 2, s[6:7]
	v_or_b32_e32 v2, 16, v1
	v_add_u32_e32 v3, v2, v4
	v_ashrrev_i32_e32 v3, 5, v3
	v_cmp_gt_i32_e32 vcc, s27, v2
	s_nop 1
	v_cndmask_b32_e32 v2, v5, v3, vcc
	v_ashrrev_i32_e32 v3, 31, v2
	v_lshl_add_u64 v[8:9], v[2:3], 2, s[6:7]
	v_or_b32_e32 v2, 32, v1
	v_add_u32_e32 v3, v2, v4
	v_ashrrev_i32_e32 v3, 5, v3
	v_cmp_gt_i32_e32 vcc, s27, v2
	v_or_b32_e32 v1, 48, v1
	s_nop 0
	v_cndmask_b32_e32 v2, v5, v3, vcc
	v_ashrrev_i32_e32 v3, 31, v2
	v_lshl_add_u64 v[10:11], v[2:3], 2, s[6:7]
	v_add_u32_e32 v2, v1, v4
	v_ashrrev_i32_e32 v2, 5, v2
	v_cmp_gt_i32_e32 vcc, s27, v1
	s_nop 1
	v_cndmask_b32_e32 v2, v5, v2, vcc
	v_ashrrev_i32_e32 v3, 31, v2
	v_lshl_add_u64 v[12:13], v[2:3], 2, s[6:7]
	global_load_dword v5, v[6:7], off
	global_load_dword v4, v[8:9], off
	;; [unrolled: 1-line block ×4, first 2 shown]
	s_andn2_b64 vcc, exec, s[10:11]
	s_cbranch_vccnz .LBB314_8
; %bb.6:
	s_add_u32 s8, s8, s12
	s_addc_u32 s9, s9, s13
	s_load_dword s5, s[8:9], 0x0
	s_branch .LBB314_9
.LBB314_7:
	s_mov_b64 s[12:13], 0
	s_branch .LBB314_2
.LBB314_8:
	s_mov_b32 s5, s2
.LBB314_9:
	s_load_dwordx2 s[14:15], s[0:1], 0x8
	s_load_dwordx4 s[8:11], s[0:1], 0x48
	v_lshrrev_b32_e32 v88, 6, v0
	v_bfe_u32 v1, v0, 4, 2
	v_lshl_or_b32 v6, v88, 2, v1
	v_and_b32_e32 v84, 15, v0
	v_lshlrev_b32_e32 v82, 3, v84
	v_cmp_lt_u32_e32 vcc, 10, v6
	s_and_saveexec_b64 s[12:13], vcc
	s_xor_b64 s[12:13], exec, s[12:13]
; %bb.10:
	v_mov_b32_e32 v83, 0
                                        ; implicit-def: $vgpr6
; %bb.11:
	s_or_saveexec_b64 s[16:17], s[12:13]
	s_load_dwordx2 s[12:13], s[0:1], 0x10
	s_mul_i32 s40, s4, 11
	s_xor_b64 exec, exec, s[16:17]
	s_cbranch_execz .LBB314_13
; %bb.12:
	s_load_dwordx2 s[20:21], s[0:1], 0x0
	s_waitcnt lgkmcnt(0)
	s_ashr_i32 s11, s8, 31
	s_mul_hi_u32 s22, s5, s8
	s_mul_i32 s11, s5, s11
	s_add_i32 s23, s22, s11
	s_mul_i32 s22, s5, s8
	s_lshl_b64 s[22:23], s[22:23], 1
	s_add_u32 s20, s20, s22
	v_add_lshl_u32 v8, v6, s40, 7
	s_addc_u32 s21, s21, s23
	v_ashrrev_i32_e32 v9, 31, v8
	v_mov_b32_e32 v83, 0
	v_lshl_add_u64 v[8:9], v[8:9], 1, s[20:21]
	v_lshlrev_b32_e32 v10, 1, v82
	v_mov_b32_e32 v11, v83
	v_lshl_add_u64 v[8:9], v[8:9], 0, v[10:11]
	global_load_dwordx4 v[8:11], v[8:9], off
	v_and_b32_e32 v7, 3, v0
	v_lshlrev_b32_e32 v12, 9, v84
	v_lshlrev_b32_e32 v6, 5, v6
	;; [unrolled: 1-line block ×3, first 2 shown]
	v_and_b32_e32 v12, 0x1800, v12
	v_or3_b32 v6, v12, v7, v6
	s_waitcnt vmcnt(0)
	ds_write_b128 v6, v[8:11]
.LBB314_13:
	s_or_b64 exec, exec, s[16:17]
	s_waitcnt lgkmcnt(0)
	s_mul_i32 s4, s4, s10
	s_mov_b32 s5, 0
	s_lshl_b64 s[4:5], s[4:5], 1
	s_add_u32 s10, s14, s4
	s_addc_u32 s11, s15, s5
	s_waitcnt vmcnt(3)
	v_mad_i64_i32 v[6:7], s[14:15], v5, s9, 0
	v_lshl_add_u64 v[6:7], v[6:7], 1, s[10:11]
	v_lshlrev_b64 v[8:9], 1, v[82:83]
	v_lshlrev_b32_e32 v86, 9, v1
	v_lshl_add_u64 v[6:7], v[6:7], 0, v[8:9]
	v_mov_b32_e32 v87, 0
	v_lshl_add_u64 v[10:11], v[6:7], 0, v[86:87]
	v_or_b32_e32 v14, 0x1000, v86
	v_mov_b32_e32 v15, v87
	v_or_b32_e32 v16, 0x1800, v86
	v_mov_b32_e32 v17, v87
	s_barrier
	global_load_dwordx4 v[66:69], v[10:11], off
	global_load_dwordx4 v[62:65], v[10:11], off offset:2048
	v_lshl_add_u64 v[10:11], v[6:7], 0, v[14:15]
	v_lshl_add_u64 v[6:7], v[6:7], 0, v[16:17]
	global_load_dwordx4 v[78:81], v[10:11], off
	global_load_dwordx4 v[74:77], v[6:7], off
	s_waitcnt vmcnt(6)
	v_mad_i64_i32 v[4:5], s[14:15], v4, s9, 0
	v_mov_b32_e32 v6, 0x100
	v_lshl_add_u64 v[4:5], v[4:5], 1, s[10:11]
	v_lshl_or_b32 v6, v84, 4, v6
	v_mov_b32_e32 v7, v87
	v_lshl_add_u64 v[4:5], v[4:5], 0, v[6:7]
	v_lshl_add_u64 v[10:11], v[4:5], 0, v[86:87]
	global_load_dwordx4 v[70:73], v[10:11], off
	global_load_dwordx4 v[58:61], v[10:11], off offset:2048
	v_lshl_add_u64 v[10:11], v[4:5], 0, v[14:15]
	v_lshl_add_u64 v[4:5], v[4:5], 0, v[16:17]
	global_load_dwordx4 v[54:57], v[10:11], off
	global_load_dwordx4 v[30:33], v[4:5], off
	s_waitcnt vmcnt(9)
	v_mad_i64_i32 v[4:5], s[14:15], v3, s9, 0
	v_lshl_add_u64 v[4:5], v[4:5], 1, s[10:11]
	s_waitcnt vmcnt(8)
	v_mad_i64_i32 v[2:3], s[14:15], v2, s9, 0
	v_lshl_add_u64 v[4:5], v[4:5], 0, v[8:9]
	v_lshl_add_u64 v[2:3], v[2:3], 1, s[10:11]
	v_lshl_add_u64 v[8:9], v[4:5], 0, v[86:87]
	v_lshl_add_u64 v[34:35], v[2:3], 0, v[6:7]
	global_load_dwordx4 v[26:29], v[8:9], off
	global_load_dwordx4 v[22:25], v[8:9], off offset:2048
	v_lshl_add_u64 v[8:9], v[4:5], 0, v[14:15]
	v_lshl_add_u64 v[4:5], v[4:5], 0, v[16:17]
	;; [unrolled: 1-line block ×4, first 2 shown]
	global_load_dwordx4 v[18:21], v[8:9], off
	global_load_dwordx4 v[10:13], v[4:5], off
	s_nop 0
	global_load_dwordx4 v[6:9], v[2:3], off
	s_nop 0
	global_load_dwordx4 v[2:5], v[2:3], off offset:2048
	v_lshl_add_u64 v[16:17], v[34:35], 0, v[16:17]
	global_load_dwordx4 v[38:41], v[14:15], off
	global_load_dwordx4 v[34:37], v[16:17], off
	v_add_u32_e32 v14, -11, v84
	v_cmp_gt_u32_e32 vcc, 11, v84
	v_and_b32_e32 v85, 63, v0
	v_mov_b32_e32 v89, 0
	v_cndmask_b32_e32 v14, v14, v84, vcc
	v_lshl_add_u32 v42, v14, 5, v86
	ds_read_b128 v[14:17], v42
	ds_read_b128 v[50:53], v42 offset:2048
	ds_read_b128 v[46:49], v42 offset:4096
	;; [unrolled: 1-line block ×3, first 2 shown]
	s_and_saveexec_b64 s[10:11], vcc
	s_cbranch_execz .LBB314_15
; %bb.14:
	s_load_dwordx2 s[14:15], s[0:1], 0x40
	v_add_u32_e32 v90, s40, v84
	v_ashrrev_i32_e32 v91, 31, v90
	s_waitcnt lgkmcnt(0)
	v_lshl_add_u64 v[90:91], v[90:91], 2, s[14:15]
	global_load_dword v89, v[90:91], off
.LBB314_15:
	s_or_b64 exec, exec, s[10:11]
	s_waitcnt vmcnt(15) lgkmcnt(3)
	v_mfma_f32_16x16x16_f16 v[90:93], v[66:67], v[14:15], 0
	s_ashr_i32 s8, s18, 31
	s_lshr_b32 s8, s8, 27
	s_add_u32 s4, s12, s4
	v_mfma_f32_16x16x16_f16 v[66:69], v[68:69], v[16:17], v[90:93]
	s_addc_u32 s5, s13, s5
	s_mov_b32 s33, 0xff7fffff
	s_waitcnt vmcnt(14) lgkmcnt(2)
	v_mfma_f32_16x16x16_f16 v[66:69], v[62:63], v[50:51], v[66:69]
	v_lshl_or_b32 v90, v88, 4, v84
	v_mfma_f32_16x16x16_f16 v[62:65], v[64:65], v[52:53], v[66:69]
	s_waitcnt vmcnt(13) lgkmcnt(1)
	v_mfma_f32_16x16x16_f16 v[62:65], v[78:79], v[46:47], v[62:65]
	v_mfma_f32_16x16x16_f16 v[62:65], v[80:81], v[48:49], v[62:65]
	s_waitcnt vmcnt(12) lgkmcnt(0)
	v_mfma_f32_16x16x16_f16 v[62:65], v[74:75], v[42:43], v[62:65]
	v_and_or_b32 v74, v0, 48, s18
	v_add_u32_e32 v66, s8, v74
	v_ashrrev_i32_e32 v75, 5, v66
	s_waitcnt vmcnt(11)
	v_mfma_f32_16x16x16_f16 v[66:69], v[70:71], v[14:15], 0
	v_cmp_gt_i32_e32 vcc, s27, v74
	v_mfma_f32_16x16x16_f16 v[66:69], v[72:73], v[16:17], v[66:69]
	v_or_b32_e32 v72, 64, v74
	v_add_u32_e32 v73, s8, v72
	s_waitcnt vmcnt(10)
	v_mfma_f32_16x16x16_f16 v[66:69], v[58:59], v[50:51], v[66:69]
	v_ashrrev_i32_e32 v58, 5, v73
	v_mfma_f32_16x16x16_f16 v[62:65], v[76:77], v[44:45], v[62:65]
	v_mov_b32_e32 v76, s19
	v_cndmask_b32_e32 v70, v76, v75, vcc
	v_cmp_gt_i32_e32 vcc, s27, v72
	v_ashrrev_i32_e32 v71, 31, v70
	v_lshl_add_u64 v[70:71], v[70:71], 2, s[6:7]
	v_cndmask_b32_e32 v72, v76, v58, vcc
	v_mfma_f32_16x16x16_f16 v[58:61], v[60:61], v[52:53], v[66:69]
	v_ashrrev_i32_e32 v73, 31, v72
	s_waitcnt vmcnt(9)
	v_mfma_f32_16x16x16_f16 v[58:61], v[54:55], v[46:47], v[58:61]
	v_lshl_add_u64 v[66:67], v[72:73], 2, s[6:7]
	global_load_dword v72, v[70:71], off
	global_load_dword v75, v[66:67], off
	v_or_b32_e32 v66, 0x80, v74
	v_add_u32_e32 v67, s8, v66
	v_mfma_f32_16x16x16_f16 v[54:57], v[56:57], v[48:49], v[58:61]
	v_cmp_gt_i32_e32 vcc, s27, v66
	s_nop 1
	v_ashrrev_i32_e32 v58, 5, v67
	v_cndmask_b32_e32 v58, v76, v58, vcc
	v_ashrrev_i32_e32 v59, 31, v58
	s_waitcnt vmcnt(10)
	v_mfma_f32_16x16x16_f16 v[54:57], v[30:31], v[42:43], v[54:57]
	v_lshl_add_u64 v[30:31], v[58:59], 2, s[6:7]
	global_load_dword v58, v[30:31], off
	v_mfma_f32_16x16x16_f16 v[66:69], v[32:33], v[44:45], v[54:57]
	s_nop 3
	v_or_b32_e32 v54, 0xc0, v74
	v_add_u32_e32 v30, s8, v54
	v_ashrrev_i32_e32 v55, 5, v30
	v_cmp_gt_i32_e32 vcc, s27, v54
	s_waitcnt vmcnt(10)
	v_mfma_f32_16x16x16_f16 v[30:33], v[26:27], v[14:15], 0
	v_cndmask_b32_e32 v26, v76, v55, vcc
	v_ashrrev_i32_e32 v27, 31, v26
	v_lshl_add_u64 v[54:55], v[26:27], 2, s[6:7]
	global_load_dword v59, v[54:55], off
	v_mfma_f32_16x16x16_f16 v[26:29], v[28:29], v[16:17], v[30:33]
	s_load_dword s6, s[0:1], 0x1c
	s_waitcnt lgkmcnt(0)
	v_pk_mul_f32 v[76:77], s[6:7], v[66:67] op_sel_hi:[0,1]
	s_waitcnt vmcnt(10)
	v_mfma_f32_16x16x16_f16 v[26:29], v[22:23], v[50:51], v[26:29]
	v_and_b32_e32 v30, 16, v0
	v_lshlrev_b32_e32 v86, 1, v30
	v_lshl_add_u64 v[60:61], s[4:5], 0, v[86:87]
	v_mfma_f32_16x16x16_f16 v[22:25], v[24:25], v[52:53], v[26:29]
	v_lshlrev_b32_e32 v86, 6, v90
	v_lshl_add_u64 v[70:71], v[60:61], 0, v[86:87]
	v_or_b32_e32 v86, 0x1000, v86
	s_waitcnt vmcnt(9)
	v_mfma_f32_16x16x16_f16 v[22:25], v[18:19], v[46:47], v[22:25]
	v_lshl_add_u64 v[80:81], v[60:61], 0, v[86:87]
	v_pk_mul_f32 v[78:79], s[6:7], v[64:65] op_sel_hi:[0,1]
	v_pk_mul_f32 v[60:61], s[6:7], v[62:63] op_sel_hi:[0,1]
	v_mfma_f32_16x16x16_f16 v[18:21], v[20:21], v[48:49], v[22:25]
	s_waitcnt vmcnt(8)
	v_mfma_f32_16x16x16_f16 v[18:21], v[10:11], v[42:43], v[18:21]
	s_waitcnt vmcnt(3)
	v_mad_i64_i32 v[22:23], s[4:5], v72, s9, 0
	s_waitcnt vmcnt(2)
	v_mad_i64_i32 v[10:11], s[4:5], v75, s9, 0
	v_lshlrev_b64 v[72:73], 1, v[22:23]
	v_lshlrev_b64 v[54:55], 1, v[10:11]
	v_lshl_add_u64 v[22:23], v[70:71], 0, v[72:73]
	v_lshl_add_u64 v[10:11], v[70:71], 0, v[54:55]
	global_load_dwordx4 v[30:33], v[22:23], off
	global_load_dwordx4 v[26:29], v[22:23], off offset:16
	v_mfma_f32_16x16x16_f16 v[92:95], v[12:13], v[44:45], v[18:21]
	global_load_dwordx4 v[22:25], v[10:11], off
	s_nop 1
	global_load_dwordx4 v[18:21], v[10:11], off offset:16
	v_pk_mul_f32 v[74:75], s[6:7], v[68:69] op_sel_hi:[0,1]
	v_mfma_f32_16x16x16_f16 v[10:13], v[6:7], v[14:15], 0
	s_waitcnt vmcnt(5)
	v_mad_i64_i32 v[6:7], s[4:5], v58, s9, 0
	v_lshlrev_b64 v[56:57], 1, v[6:7]
	v_mfma_f32_16x16x16_f16 v[6:9], v[8:9], v[16:17], v[10:13]
	v_mfma_f32_16x16x16_f16 v[6:9], v[2:3], v[50:51], v[6:9]
	s_nop 1
	v_lshl_add_u64 v[10:11], v[70:71], 0, v[56:57]
	global_load_dwordx4 v[14:17], v[10:11], off
	s_nop 0
	global_load_dwordx4 v[10:13], v[10:11], off offset:16
	s_waitcnt vmcnt(6)
	v_mad_i64_i32 v[2:3], s[4:5], v59, s9, 0
	v_mfma_f32_16x16x16_f16 v[50:53], v[4:5], v[52:53], v[6:9]
	v_lshlrev_b64 v[58:59], 1, v[2:3]
	v_lshl_add_u64 v[2:3], v[70:71], 0, v[58:59]
	v_pk_mul_f32 v[70:71], s[6:7], v[94:95] op_sel_hi:[0,1]
	v_mfma_f32_16x16x16_f16 v[50:53], v[38:39], v[46:47], v[50:53]
	v_lshl_add_u64 v[38:39], v[80:81], 0, v[72:73]
	v_pk_mul_f32 v[72:73], s[6:7], v[92:93] op_sel_hi:[0,1]
	v_lshl_add_u64 v[58:59], v[80:81], 0, v[58:59]
	v_mfma_f32_16x16x16_f16 v[46:49], v[40:41], v[48:49], v[50:53]
	global_load_dwordx4 v[6:9], v[2:3], off
	s_nop 0
	global_load_dwordx4 v[2:5], v[2:3], off offset:16
	v_mfma_f32_16x16x16_f16 v[40:43], v[34:35], v[42:43], v[46:49]
	v_mfma_f32_16x16x16_f16 v[34:37], v[36:37], v[44:45], v[40:43]
	s_nop 6
	v_pk_mul_f32 v[68:69], s[6:7], v[34:35] op_sel_hi:[0,1]
	v_and_b32_e32 v34, 0xc0, v0
	v_add_u32_e32 v34, s18, v34
	v_lshl_or_b32 v34, v1, 2, v34
	v_or_b32_e32 v35, 1, v34
	v_pk_mul_f32 v[66:67], s[6:7], v[36:37] op_sel_hi:[0,1]
	v_subrev_u32_e32 v36, s27, v35
	v_add_u32_e32 v40, 1, v36
	v_add_u32_e32 v41, 2, v36
	v_cvt_f32_i32_e32 v37, v36
	v_cvt_f32_i32_e32 v40, v40
	;; [unrolled: 1-line block ×3, first 2 shown]
	v_add_u32_e32 v42, 3, v36
	v_fma_f32 v60, v89, v37, v60
	v_fmac_f32_e32 v61, v89, v40
	v_fma_f32 v78, v89, v41, v78
	v_add_u32_e32 v37, 16, v36
	v_add_u32_e32 v40, 17, v36
	;; [unrolled: 1-line block ×3, first 2 shown]
	v_cvt_f32_i32_e32 v42, v42
	v_cvt_f32_i32_e32 v37, v37
	;; [unrolled: 1-line block ×4, first 2 shown]
	v_fmac_f32_e32 v79, v89, v42
	v_add_u32_e32 v42, 19, v36
	v_fma_f32 v76, v89, v37, v76
	v_fmac_f32_e32 v77, v89, v40
	v_fma_f32 v74, v89, v41, v74
	v_add_u32_e32 v37, 32, v36
	v_add_u32_e32 v40, 33, v36
	;; [unrolled: 1-line block ×3, first 2 shown]
	v_cvt_f32_i32_e32 v42, v42
	v_cvt_f32_i32_e32 v37, v37
	;; [unrolled: 1-line block ×4, first 2 shown]
	v_fmac_f32_e32 v75, v89, v42
	v_add_u32_e32 v42, 35, v36
	v_fma_f32 v72, v89, v37, v72
	v_fmac_f32_e32 v73, v89, v40
	v_fma_f32 v70, v89, v41, v70
	v_add_u32_e32 v37, 48, v36
	v_add_u32_e32 v40, 49, v36
	;; [unrolled: 1-line block ×4, first 2 shown]
	v_cvt_f32_i32_e32 v36, v36
	v_cvt_f32_i32_e32 v37, v37
	;; [unrolled: 1-line block ×3, first 2 shown]
	v_cmp_gt_i32_e64 s[28:29], s27, v34
	v_fmac_f32_e32 v67, v89, v36
	v_mov_b32_e32 v36, 0xff7fffff
	v_cmp_gt_i32_e64 s[30:31], s27, v35
	v_fma_f32 v68, v89, v37, v68
	v_cndmask_b32_e64 v37, v36, v60, s[28:29]
	v_cndmask_b32_e64 v35, v36, v61, s[30:31]
	v_fmac_f32_e32 v69, v89, v40
	v_max3_f32 v35, v37, s33, v35
	v_or_b32_e32 v37, 2, v34
	v_or_b32_e32 v40, 3, v34
	v_cmp_gt_i32_e64 s[34:35], s27, v37
	v_cmp_gt_i32_e64 s[36:37], s27, v40
	v_cvt_f32_i32_e32 v42, v42
	v_cndmask_b32_e64 v37, v36, v78, s[34:35]
	v_cndmask_b32_e64 v40, v36, v79, s[36:37]
	v_max3_f32 v35, v35, v37, v40
	v_or_b32_e32 v37, 16, v34
	v_or_b32_e32 v40, 17, v34
	v_cmp_gt_i32_e64 s[22:23], s27, v37
	v_cmp_gt_i32_e64 s[24:25], s27, v40
	v_fmac_f32_e32 v71, v89, v42
	v_cndmask_b32_e64 v37, v36, v76, s[22:23]
	v_cndmask_b32_e64 v40, v36, v77, s[24:25]
	v_max3_f32 v35, v35, v37, v40
	v_or_b32_e32 v37, 18, v34
	v_or_b32_e32 v40, 19, v34
	v_cmp_gt_i32_e64 s[18:19], s27, v37
	v_cmp_gt_i32_e64 s[20:21], s27, v40
	v_cvt_f32_i32_e32 v41, v41
	v_cndmask_b32_e64 v37, v36, v74, s[18:19]
	v_cndmask_b32_e64 v40, v36, v75, s[20:21]
	v_max3_f32 v35, v35, v37, v40
	v_or_b32_e32 v37, 32, v34
	v_or_b32_e32 v40, 33, v34
	v_cmp_gt_i32_e64 s[14:15], s27, v37
	v_cmp_gt_i32_e64 s[16:17], s27, v40
	v_fma_f32 v66, v89, v41, v66
	v_cndmask_b32_e64 v37, v36, v72, s[14:15]
	v_cndmask_b32_e64 v40, v36, v73, s[16:17]
	v_max3_f32 v35, v35, v37, v40
	v_or_b32_e32 v37, 34, v34
	v_or_b32_e32 v40, 35, v34
	v_cmp_gt_i32_e64 s[10:11], s27, v37
	v_cmp_gt_i32_e64 s[12:13], s27, v40
	s_nop 0
	v_cndmask_b32_e64 v37, v36, v70, s[10:11]
	v_cndmask_b32_e64 v40, v36, v71, s[12:13]
	v_max3_f32 v35, v35, v37, v40
	v_or_b32_e32 v37, 48, v34
	v_or_b32_e32 v40, 49, v34
	v_cmp_gt_i32_e64 s[6:7], s27, v37
	v_cmp_gt_i32_e64 s[8:9], s27, v40
	s_nop 0
	v_cndmask_b32_e64 v37, v36, v68, s[6:7]
	v_cndmask_b32_e64 v40, v36, v69, s[8:9]
	v_max3_f32 v35, v35, v37, v40
	v_or_b32_e32 v37, 50, v34
	v_or_b32_e32 v34, 51, v34
	v_cmp_gt_i32_e32 vcc, s27, v37
	v_cmp_gt_i32_e64 s[4:5], s27, v34
	global_load_dwordx4 v[46:49], v[38:39], off
	s_nop 0
	global_load_dwordx4 v[38:41], v[38:39], off offset:16
	v_cndmask_b32_e32 v37, v36, v66, vcc
	v_cndmask_b32_e64 v34, v36, v67, s[4:5]
	v_max3_f32 v50, v35, v37, v34
	v_mbcnt_lo_u32_b32 v34, -1, 0
	v_mbcnt_hi_u32_b32 v51, -1, v34
	v_and_b32_e32 v34, 64, v51
	v_add_u32_e32 v52, 64, v34
	v_xor_b32_e32 v34, 32, v51
	v_cmp_lt_i32_e64 s[38:39], v34, v52
	s_nop 1
	v_cndmask_b32_e64 v34, v51, v34, s[38:39]
	v_lshlrev_b32_e32 v87, 2, v34
	ds_bpermute_b32 v53, v87, v50
	v_lshl_add_u64 v[34:35], v[80:81], 0, v[54:55]
	global_load_dwordx4 v[42:45], v[34:35], off
	s_nop 0
	global_load_dwordx4 v[34:37], v[34:35], off offset:16
	s_waitcnt lgkmcnt(0)
	v_max_f32_e32 v53, v53, v53
	v_max_f32_e32 v62, v50, v53
	v_xor_b32_e32 v50, 16, v51
	v_cmp_lt_i32_e64 s[38:39], v50, v52
	s_nop 1
	v_cndmask_b32_e64 v50, v51, v50, s[38:39]
	v_lshlrev_b32_e32 v89, 2, v50
	ds_bpermute_b32 v63, v89, v62
	v_lshl_add_u64 v[50:51], v[80:81], 0, v[56:57]
	global_load_dwordx4 v[54:57], v[50:51], off
	s_nop 0
	global_load_dwordx4 v[50:53], v[50:51], off offset:16
	s_waitcnt lgkmcnt(0)
	v_max_f32_e32 v63, v63, v63
	v_max_f32_e32 v86, v62, v63
	v_sub_f32_e32 v60, v60, v86
	v_mul_f32_e32 v60, 0x3fb8aa3b, v60
	v_exp_f32_e32 v80, v60
	v_sub_f32_e32 v60, v61, v86
	v_mul_f32_e32 v60, 0x3fb8aa3b, v60
	v_exp_f32_e32 v81, v60
	global_load_dwordx4 v[62:65], v[58:59], off
	s_nop 0
	global_load_dwordx4 v[58:61], v[58:59], off offset:16
	v_sub_f32_e32 v78, v78, v86
	v_mul_f32_e32 v78, 0x3fb8aa3b, v78
	v_sub_f32_e32 v79, v79, v86
	v_exp_f32_e32 v78, v78
	v_mul_f32_e32 v79, 0x3fb8aa3b, v79
	v_sub_f32_e32 v76, v76, v86
	v_exp_f32_e32 v79, v79
	v_mul_f32_e32 v76, 0x3fb8aa3b, v76
	v_sub_f32_e32 v77, v77, v86
	v_cndmask_b32_e64 v80, 0, v80, s[28:29]
	v_exp_f32_e32 v76, v76
	v_mul_f32_e32 v77, 0x3fb8aa3b, v77
	v_sub_f32_e32 v74, v74, v86
	v_add_f32_e32 v91, 0, v80
	v_cndmask_b32_e64 v81, 0, v81, s[30:31]
	v_exp_f32_e32 v77, v77
	v_mul_f32_e32 v74, 0x3fb8aa3b, v74
	v_sub_f32_e32 v75, v75, v86
	v_add_f32_e32 v91, v91, v81
	;; [unrolled: 5-line block ×10, first 2 shown]
	v_cndmask_b32_e64 v70, 0, v70, s[10:11]
	v_exp_f32_e32 v66, v66
	v_mul_f32_e32 v67, 0x3fb8aa3b, v67
	v_add_f32_e32 v91, v91, v70
	v_cndmask_b32_e64 v71, 0, v71, s[12:13]
	v_exp_f32_e32 v67, v67
	v_add_f32_e32 v91, v91, v71
	v_cndmask_b32_e64 v68, 0, v68, s[6:7]
	v_add_f32_e32 v91, v91, v68
	v_cndmask_b32_e64 v69, 0, v69, s[8:9]
	v_add_f32_e32 v91, v91, v69
	v_cndmask_b32_e32 v66, 0, v66, vcc
	v_add_f32_e32 v91, v91, v66
	v_cndmask_b32_e64 v67, 0, v67, s[4:5]
	v_add_f32_e32 v91, v91, v67
	ds_bpermute_b32 v87, v87, v91
	s_load_dword s7, s[0:1], 0x98
	v_cmp_gt_u32_e32 vcc, 16, v85
	s_waitcnt lgkmcnt(0)
	s_barrier
	v_add_f32_e32 v87, v91, v87
	ds_bpermute_b32 v89, v89, v87
	s_waitcnt lgkmcnt(0)
	s_and_saveexec_b64 s[4:5], vcc
	s_cbranch_execz .LBB314_17
; %bb.16:
	v_add_f32_e32 v85, v87, v89
	v_lshlrev_b32_e32 v87, 2, v90
	ds_write2st64_b32 v87, v86, v85 offset1:1
.LBB314_17:
	s_or_b64 exec, exec, s[4:5]
	v_lshlrev_b32_e32 v85, 2, v84
	s_load_dword s6, s[0:1], 0x94
	s_waitcnt lgkmcnt(0)
	s_barrier
	ds_read2_b32 v[90:91], v85 offset1:16
	ds_read2_b32 v[92:93], v85 offset0:32 offset1:48
	ds_read2_b32 v[94:95], v85 offset0:64 offset1:80
	s_mul_i32 s7, s7, 11
	s_waitcnt lgkmcnt(2)
	v_max3_f32 v86, v90, s33, v91
	s_waitcnt lgkmcnt(1)
	v_max3_f32 v86, v86, v92, v93
	v_sub_f32_e32 v87, v90, v86
	v_mul_f32_e32 v87, 0x3fb8aa3b, v87
	v_exp_f32_e32 v89, v87
	v_sub_f32_e32 v87, v91, v86
	v_mul_f32_e32 v87, 0x3fb8aa3b, v87
	v_exp_f32_e32 v88, v87
	v_sub_f32_e32 v87, v92, v86
	v_mul_f32_e32 v87, 0x3fb8aa3b, v87
	ds_read2_b32 v[90:91], v85 offset0:96 offset1:112
	v_sub_f32_e32 v85, v93, v86
	v_exp_f32_e32 v92, v87
	v_mul_f32_e32 v85, 0x3fb8aa3b, v85
	v_exp_f32_e32 v85, v85
	s_waitcnt lgkmcnt(1)
	v_fma_f32 v87, v89, v94, 0
	v_fmac_f32_e32 v87, v88, v95
	s_waitcnt lgkmcnt(0)
	v_fmac_f32_e32 v87, v92, v90
	v_fmac_f32_e32 v87, v85, v91
	v_add_f32_e32 v90, 0x358637bd, v87
	v_div_scale_f32 v91, s[4:5], v90, v90, 1.0
	v_rcp_f32_e32 v93, v91
	s_barrier
	v_fma_f32 v94, -v91, v93, 1.0
	v_fmac_f32_e32 v93, v94, v93
	v_div_scale_f32 v94, vcc, 1.0, v90, 1.0
	v_mul_f32_e32 v95, v94, v93
	v_fma_f32 v1, -v91, v95, v94
	v_fmac_f32_e32 v95, v1, v93
	v_fma_f32 v1, -v91, v95, v94
	v_lshrrev_b32_e32 v91, 6, v0
	v_div_fmas_f32 v1, v1, v93, v95
	v_cmp_eq_u32_e32 vcc, 1, v91
	v_div_fixup_f32 v1, v1, v90, 1.0
	s_nop 0
	v_cndmask_b32_e32 v88, v89, v88, vcc
	v_cmp_eq_u32_e32 vcc, 2, v91
	s_nop 1
	v_cndmask_b32_e32 v88, v88, v92, vcc
	v_cmp_eq_u32_e32 vcc, 3, v91
	s_nop 1
	v_cndmask_b32_e32 v85, v88, v85, vcc
	v_mul_f32_e32 v90, v85, v1
	v_pk_mul_f32 v[78:79], v[90:91], v[78:79] op_sel_hi:[0,1]
	v_cvt_f16_f32_e32 v78, v78
	v_cvt_f16_f32_e32 v79, v79
	v_pk_mul_f32 v[80:81], v[90:91], v[80:81] op_sel_hi:[0,1]
	v_cvt_f16_f32_e32 v1, v80
	v_cvt_f16_f32_e32 v80, v81
	v_pk_mul_f32 v[74:75], v[90:91], v[74:75] op_sel_hi:[0,1]
	v_pk_mul_f32 v[76:77], v[90:91], v[76:77] op_sel_hi:[0,1]
	v_pack_b32_f16 v81, v78, v79
	v_cvt_f16_f32_e32 v76, v76
	v_cvt_f16_f32_e32 v77, v77
	;; [unrolled: 1-line block ×4, first 2 shown]
	v_bfe_u32 v88, v0, 4, 2
	v_pack_b32_f16 v80, v1, v80
	v_lshlrev_b32_e32 v1, 3, v88
	v_lshlrev_b32_e32 v78, 5, v84
	;; [unrolled: 1-line block ×3, first 2 shown]
	v_or3_b32 v1, v74, v78, v1
	v_pack_b32_f16 v74, v76, v77
	v_pack_b32_f16 v75, v79, v75
	v_pk_mul_f32 v[70:71], v[90:91], v[70:71] op_sel_hi:[0,1]
	v_pk_mul_f32 v[72:73], v[90:91], v[72:73] op_sel_hi:[0,1]
	v_pk_mul_f32 v[66:67], v[90:91], v[66:67] op_sel_hi:[0,1]
	v_pk_mul_f32 v[68:69], v[90:91], v[68:69] op_sel_hi:[0,1]
	ds_write2st64_b64 v1, v[80:81], v[74:75] offset1:1
	v_cvt_f16_f32_e32 v72, v72
	v_cvt_f16_f32_e32 v73, v73
	;; [unrolled: 1-line block ×8, first 2 shown]
	v_pack_b32_f16 v66, v72, v73
	v_pack_b32_f16 v67, v70, v71
	;; [unrolled: 1-line block ×4, first 2 shown]
	v_cmp_gt_u32_e32 vcc, 11, v0
	ds_write2st64_b64 v1, v[66:67], v[68:69] offset0:2 offset1:3
	s_and_saveexec_b64 s[4:5], vcc
	s_cbranch_execz .LBB314_19
; %bb.18:
	s_mov_b32 s41, 0
	v_mov_b32_e32 v85, 0
	v_lshl_add_u64 v[66:67], s[40:41], 0, v[84:85]
	v_mov_b32_e32 v68, s7
	v_mad_u64_u32 v[66:67], s[12:13], s2, v68, v[66:67]
	s_mul_i32 s3, s3, s7
	v_mov_b32_e32 v68, s26
	v_mov_b32_e32 v69, v85
	s_load_dwordx4 s[8:11], s[0:1], 0x58
	v_add_u32_e32 v70, s3, v67
	v_mad_u64_u32 v[66:67], s[12:13], v66, s6, v[68:69]
	v_mov_b32_e32 v68, v67
	v_mad_u64_u32 v[68:69], s[12:13], v70, s6, v[68:69]
	v_mov_b32_e32 v67, v68
	v_lshlrev_b64 v[66:67], 2, v[66:67]
	s_waitcnt lgkmcnt(0)
	v_lshl_add_u64 v[68:69], s[10:11], 0, v[66:67]
	v_lshl_add_u64 v[66:67], s[8:9], 0, v[66:67]
	global_store_dword v[68:69], v86, off
	global_store_dword v[66:67], v87, off
.LBB314_19:
	s_or_b64 exec, exec, s[4:5]
	v_lshl_or_b32 v78, v88, 9, v78
	s_waitcnt lgkmcnt(0)
	s_barrier
	ds_read_b128 v[70:73], v78
	ds_read_b128 v[66:69], v78 offset:16
	s_waitcnt vmcnt(15) lgkmcnt(1)
	v_mfma_f32_16x16x16_f16 v[74:77], v[30:31], v[70:71], 0
	s_mov_b32 s3, 0
	v_cmp_gt_u32_e32 vcc, 64, v0
	v_mfma_f32_16x16x16_f16 v[30:33], v[32:33], v[72:73], v[74:77]
	s_waitcnt vmcnt(14) lgkmcnt(0)
	v_mfma_f32_16x16x16_f16 v[30:33], v[26:27], v[66:67], v[30:33]
	v_mfma_f32_16x16x16_f16 v[26:29], v[28:29], v[68:69], v[30:33]
	s_nop 5
	ds_read_b128 v[30:33], v78 offset:2048
	ds_read_b128 v[74:77], v78 offset:2064
	s_waitcnt vmcnt(13) lgkmcnt(1)
	v_mfma_f32_16x16x16_f16 v[26:29], v[22:23], v[30:31], v[26:29]
	v_mfma_f32_16x16x16_f16 v[22:25], v[24:25], v[32:33], v[26:29]
	s_waitcnt vmcnt(12) lgkmcnt(0)
	v_mfma_f32_16x16x16_f16 v[22:25], v[18:19], v[74:75], v[22:25]
	v_mfma_f32_16x16x16_f16 v[18:21], v[20:21], v[76:77], v[22:25]
	s_nop 5
	ds_read_b128 v[22:25], v78 offset:4096
	ds_read_b128 v[26:29], v78 offset:4112
	s_waitcnt vmcnt(11) lgkmcnt(1)
	v_mfma_f32_16x16x16_f16 v[18:21], v[14:15], v[22:23], v[18:21]
	v_mfma_f32_16x16x16_f16 v[14:17], v[16:17], v[24:25], v[18:21]
	s_waitcnt vmcnt(10) lgkmcnt(0)
	v_mfma_f32_16x16x16_f16 v[14:17], v[10:11], v[26:27], v[14:17]
	v_mfma_f32_16x16x16_f16 v[10:13], v[12:13], v[28:29], v[14:17]
	s_nop 5
	ds_read_b128 v[14:17], v78 offset:6144
	ds_read_b128 v[18:21], v78 offset:6160
	s_waitcnt lgkmcnt(0)
	s_barrier
	s_waitcnt vmcnt(9)
	v_mfma_f32_16x16x16_f16 v[10:13], v[6:7], v[14:15], v[10:13]
	v_mfma_f32_16x16x16_f16 v[6:9], v[8:9], v[16:17], v[10:13]
	s_waitcnt vmcnt(8)
	v_mfma_f32_16x16x16_f16 v[6:9], v[2:3], v[18:19], v[6:9]
	v_mfma_f32_16x16x16_f16 v[2:5], v[4:5], v[20:21], v[6:9]
	;; [unrolled: 3-line block ×3, first 2 shown]
	s_nop 3
	v_cvt_f16_f32_e32 v10, v2
	v_cvt_f16_f32_e32 v11, v3
	;; [unrolled: 1-line block ×3, first 2 shown]
	s_waitcnt vmcnt(6)
	v_mfma_f32_16x16x16_f16 v[6:9], v[38:39], v[66:67], v[6:9]
	v_cvt_f16_f32_e32 v13, v5
	v_mfma_f32_16x16x16_f16 v[6:9], v[40:41], v[68:69], v[6:9]
	s_waitcnt vmcnt(5)
	v_mfma_f32_16x16x16_f16 v[6:9], v[42:43], v[30:31], v[6:9]
	v_mfma_f32_16x16x16_f16 v[6:9], v[44:45], v[32:33], v[6:9]
	s_waitcnt vmcnt(4)
	v_mfma_f32_16x16x16_f16 v[6:9], v[34:35], v[74:75], v[6:9]
	;; [unrolled: 3-line block ×6, first 2 shown]
	v_mfma_f32_16x16x16_f16 v[2:5], v[60:61], v[20:21], v[6:9]
	s_nop 6
	v_cvt_f16_f32_e32 v6, v2
	v_cvt_f16_f32_e32 v7, v3
	;; [unrolled: 1-line block ×4, first 2 shown]
	v_pack_b32_f16 v2, v10, v11
	v_pack_b32_f16 v3, v12, v13
	;; [unrolled: 1-line block ×4, first 2 shown]
	ds_write2st64_b64 v1, v[2:3], v[4:5] offset1:1
	s_waitcnt lgkmcnt(0)
	s_barrier
	s_and_saveexec_b64 s[4:5], vcc
	s_cbranch_execz .LBB314_22
; %bb.20:
	s_load_dwordx2 s[4:5], s[0:1], 0x68
	s_lshl_b32 s0, s6, 7
	s_mul_i32 s1, s7, s2
	v_lshlrev_b32_e32 v3, 6, v84
	s_mul_hi_u32 s7, s1, s0
	s_mul_i32 s6, s1, s0
	v_lshlrev_b32_e32 v2, 4, v0
	v_lshl_or_b32 v0, v0, 10, v3
	s_lshl_b64 s[6:7], s[6:7], 1
	v_lshlrev_b32_e32 v1, 5, v88
	v_and_b32_e32 v2, 16, v2
	v_and_b32_e32 v0, 0x1a00, v0
	s_waitcnt lgkmcnt(0)
	s_add_u32 s1, s4, s6
	v_or3_b32 v2, v0, v1, v2
	s_addc_u32 s4, s5, s7
	s_lshl_b32 s2, s26, 7
	s_lshl_b64 s[2:3], s[2:3], 1
	ds_read_b128 v[4:7], v2 offset:128
	ds_read_b128 v[8:11], v2
	s_add_u32 s2, s1, s2
	s_addc_u32 s3, s4, s3
	v_add_u32_e32 v3, s40, v88
	v_lshl_add_u64 v[0:1], v[82:83], 1, s[2:3]
	v_mad_u64_u32 v[12:13], s[2:3], v3, s0, 0
	v_lshl_add_u64 v[12:13], v[12:13], 1, v[0:1]
	v_add_u32_e32 v3, 4, v3
	s_waitcnt lgkmcnt(0)
	global_store_dwordx4 v[12:13], v[8:11], off
	v_cmp_ne_u32_e32 vcc, 3, v88
	s_nop 0
	v_mad_u64_u32 v[8:9], s[2:3], v3, s0, 0
	v_lshl_add_u64 v[8:9], v[8:9], 1, v[0:1]
	global_store_dwordx4 v[8:9], v[4:7], off
	s_and_b64 exec, exec, vcc
	s_cbranch_execz .LBB314_22
; %bb.21:
	ds_read_b128 v[2:5], v2 offset:256
	v_add3_u32 v6, s40, v88, 8
	v_mad_u64_u32 v[6:7], s[0:1], v6, s0, 0
	v_lshl_add_u64 v[0:1], v[6:7], 1, v[0:1]
	s_waitcnt lgkmcnt(0)
	global_store_dwordx4 v[0:1], v[2:5], off
.LBB314_22:
	s_endpgm
	.section	.rodata,"a",@progbits
	.p2align	6, 0x0
	.amdhsa_kernel _Z39paged_attention_ll4mi_QKV_mfma16_kernelIDF16_DF16_LN4vllm18Fp8KVCacheDataTypeE0EhLi32ELi128ELi256ELb1ELi11EEvPKT_PKT0_S7_ifPKiS9_S9_iPKfiiiPfSC_PS2_PT2_iSB_SB_
		.amdhsa_group_segment_fixed_size 8192
		.amdhsa_private_segment_fixed_size 0
		.amdhsa_kernarg_size 400
		.amdhsa_user_sgpr_count 2
		.amdhsa_user_sgpr_dispatch_ptr 0
		.amdhsa_user_sgpr_queue_ptr 0
		.amdhsa_user_sgpr_kernarg_segment_ptr 1
		.amdhsa_user_sgpr_dispatch_id 0
		.amdhsa_user_sgpr_kernarg_preload_length 0
		.amdhsa_user_sgpr_kernarg_preload_offset 0
		.amdhsa_user_sgpr_private_segment_size 0
		.amdhsa_uses_dynamic_stack 0
		.amdhsa_enable_private_segment 0
		.amdhsa_system_sgpr_workgroup_id_x 1
		.amdhsa_system_sgpr_workgroup_id_y 1
		.amdhsa_system_sgpr_workgroup_id_z 1
		.amdhsa_system_sgpr_workgroup_info 0
		.amdhsa_system_vgpr_workitem_id 0
		.amdhsa_next_free_vgpr 96
		.amdhsa_next_free_sgpr 42
		.amdhsa_accum_offset 96
		.amdhsa_reserve_vcc 1
		.amdhsa_float_round_mode_32 0
		.amdhsa_float_round_mode_16_64 0
		.amdhsa_float_denorm_mode_32 3
		.amdhsa_float_denorm_mode_16_64 3
		.amdhsa_dx10_clamp 1
		.amdhsa_ieee_mode 1
		.amdhsa_fp16_overflow 0
		.amdhsa_tg_split 0
		.amdhsa_exception_fp_ieee_invalid_op 0
		.amdhsa_exception_fp_denorm_src 0
		.amdhsa_exception_fp_ieee_div_zero 0
		.amdhsa_exception_fp_ieee_overflow 0
		.amdhsa_exception_fp_ieee_underflow 0
		.amdhsa_exception_fp_ieee_inexact 0
		.amdhsa_exception_int_div_zero 0
	.end_amdhsa_kernel
	.section	.text._Z39paged_attention_ll4mi_QKV_mfma16_kernelIDF16_DF16_LN4vllm18Fp8KVCacheDataTypeE0EhLi32ELi128ELi256ELb1ELi11EEvPKT_PKT0_S7_ifPKiS9_S9_iPKfiiiPfSC_PS2_PT2_iSB_SB_,"axG",@progbits,_Z39paged_attention_ll4mi_QKV_mfma16_kernelIDF16_DF16_LN4vllm18Fp8KVCacheDataTypeE0EhLi32ELi128ELi256ELb1ELi11EEvPKT_PKT0_S7_ifPKiS9_S9_iPKfiiiPfSC_PS2_PT2_iSB_SB_,comdat
.Lfunc_end314:
	.size	_Z39paged_attention_ll4mi_QKV_mfma16_kernelIDF16_DF16_LN4vllm18Fp8KVCacheDataTypeE0EhLi32ELi128ELi256ELb1ELi11EEvPKT_PKT0_S7_ifPKiS9_S9_iPKfiiiPfSC_PS2_PT2_iSB_SB_, .Lfunc_end314-_Z39paged_attention_ll4mi_QKV_mfma16_kernelIDF16_DF16_LN4vllm18Fp8KVCacheDataTypeE0EhLi32ELi128ELi256ELb1ELi11EEvPKT_PKT0_S7_ifPKiS9_S9_iPKfiiiPfSC_PS2_PT2_iSB_SB_
                                        ; -- End function
	.section	.AMDGPU.csdata,"",@progbits
; Kernel info:
; codeLenInByte = 4892
; NumSgprs: 48
; NumVgprs: 96
; NumAgprs: 0
; TotalNumVgprs: 96
; ScratchSize: 0
; MemoryBound: 0
; FloatMode: 240
; IeeeMode: 1
; LDSByteSize: 8192 bytes/workgroup (compile time only)
; SGPRBlocks: 5
; VGPRBlocks: 11
; NumSGPRsForWavesPerEU: 48
; NumVGPRsForWavesPerEU: 96
; AccumOffset: 96
; Occupancy: 5
; WaveLimiterHint : 1
; COMPUTE_PGM_RSRC2:SCRATCH_EN: 0
; COMPUTE_PGM_RSRC2:USER_SGPR: 2
; COMPUTE_PGM_RSRC2:TRAP_HANDLER: 0
; COMPUTE_PGM_RSRC2:TGID_X_EN: 1
; COMPUTE_PGM_RSRC2:TGID_Y_EN: 1
; COMPUTE_PGM_RSRC2:TGID_Z_EN: 1
; COMPUTE_PGM_RSRC2:TIDIG_COMP_CNT: 0
; COMPUTE_PGM_RSRC3_GFX90A:ACCUM_OFFSET: 23
; COMPUTE_PGM_RSRC3_GFX90A:TG_SPLIT: 0
	.section	.text._Z39paged_attention_ll4mi_QKV_mfma16_kernelIDF16_DF16_LN4vllm18Fp8KVCacheDataTypeE0EhLi32ELi128ELi256ELb1ELi12EEvPKT_PKT0_S7_ifPKiS9_S9_iPKfiiiPfSC_PS2_PT2_iSB_SB_,"axG",@progbits,_Z39paged_attention_ll4mi_QKV_mfma16_kernelIDF16_DF16_LN4vllm18Fp8KVCacheDataTypeE0EhLi32ELi128ELi256ELb1ELi12EEvPKT_PKT0_S7_ifPKiS9_S9_iPKfiiiPfSC_PS2_PT2_iSB_SB_,comdat
	.protected	_Z39paged_attention_ll4mi_QKV_mfma16_kernelIDF16_DF16_LN4vllm18Fp8KVCacheDataTypeE0EhLi32ELi128ELi256ELb1ELi12EEvPKT_PKT0_S7_ifPKiS9_S9_iPKfiiiPfSC_PS2_PT2_iSB_SB_ ; -- Begin function _Z39paged_attention_ll4mi_QKV_mfma16_kernelIDF16_DF16_LN4vllm18Fp8KVCacheDataTypeE0EhLi32ELi128ELi256ELb1ELi12EEvPKT_PKT0_S7_ifPKiS9_S9_iPKfiiiPfSC_PS2_PT2_iSB_SB_
	.globl	_Z39paged_attention_ll4mi_QKV_mfma16_kernelIDF16_DF16_LN4vllm18Fp8KVCacheDataTypeE0EhLi32ELi128ELi256ELb1ELi12EEvPKT_PKT0_S7_ifPKiS9_S9_iPKfiiiPfSC_PS2_PT2_iSB_SB_
	.p2align	8
	.type	_Z39paged_attention_ll4mi_QKV_mfma16_kernelIDF16_DF16_LN4vllm18Fp8KVCacheDataTypeE0EhLi32ELi128ELi256ELb1ELi12EEvPKT_PKT0_S7_ifPKiS9_S9_iPKfiiiPfSC_PS2_PT2_iSB_SB_,@function
_Z39paged_attention_ll4mi_QKV_mfma16_kernelIDF16_DF16_LN4vllm18Fp8KVCacheDataTypeE0EhLi32ELi128ELi256ELb1ELi12EEvPKT_PKT0_S7_ifPKiS9_S9_iPKfiiiPfSC_PS2_PT2_iSB_SB_: ; @_Z39paged_attention_ll4mi_QKV_mfma16_kernelIDF16_DF16_LN4vllm18Fp8KVCacheDataTypeE0EhLi32ELi128ELi256ELb1ELi12EEvPKT_PKT0_S7_ifPKiS9_S9_iPKfiiiPfSC_PS2_PT2_iSB_SB_
; %bb.0:
	s_load_dwordx2 s[8:9], s[0:1], 0x30
	s_mov_b32 s26, s3
	s_mov_b64 s[6:7], 0
	s_waitcnt lgkmcnt(0)
	s_cmp_lg_u64 s[8:9], 0
	s_cselect_b64 s[10:11], -1, 0
	s_and_b64 vcc, exec, s[10:11]
	s_cbranch_vccz .LBB315_7
; %bb.1:
	s_add_i32 s12, s2, 1
	s_mov_b32 s13, 0
	s_lshl_b64 s[14:15], s[12:13], 2
	s_add_u32 s14, s8, s14
	s_mov_b32 s3, s13
	s_addc_u32 s15, s9, s15
	s_lshl_b64 s[12:13], s[2:3], 2
	s_add_u32 s12, s8, s12
	s_addc_u32 s13, s9, s13
	s_load_dword s5, s[14:15], 0x0
	s_load_dword s16, s[12:13], 0x0
	s_waitcnt lgkmcnt(0)
	s_sub_i32 s5, s5, s16
	s_cmp_eq_u32 s5, 1
	s_cselect_b64 s[12:13], -1, 0
	s_andn2_b64 vcc, exec, s[6:7]
	s_cbranch_vccnz .LBB315_3
.LBB315_2:
	s_mov_b32 s3, 0
	s_mov_b64 s[12:13], -1
.LBB315_3:
	s_andn2_b64 vcc, exec, s[12:13]
	s_cbranch_vccnz .LBB315_21
; %bb.4:
	s_load_dwordx2 s[6:7], s[0:1], 0x28
	s_lshl_b64 s[12:13], s[2:3], 2
	s_waitcnt lgkmcnt(0)
	s_add_u32 s6, s6, s12
	s_addc_u32 s7, s7, s13
	s_load_dword s27, s[6:7], 0x0
	s_lshl_b32 s18, s26, 8
	s_waitcnt lgkmcnt(0)
	s_cmp_ge_i32 s18, s27
	s_cbranch_scc1 .LBB315_21
; %bb.5:
	s_load_dwordx2 s[6:7], s[0:1], 0x20
	s_load_dword s5, s[0:1], 0x38
	s_add_i32 s14, s27, 31
	s_ashr_i32 s15, s14, 31
	v_and_b32_e32 v1, 0xcf, v0
	s_lshr_b32 s15, s15, 27
	v_add_u32_e32 v1, s18, v1
	s_add_i32 s14, s14, s15
	v_ashrrev_i32_e32 v2, 31, v1
	s_ashr_i32 s19, s14, 5
	v_lshrrev_b32_e32 v4, 27, v2
	s_add_i32 s19, s19, -1
	s_waitcnt lgkmcnt(0)
	s_mul_i32 s14, s2, s5
	s_mov_b32 s15, 0
	v_add_u32_e32 v2, v1, v4
	s_lshl_b64 s[14:15], s[14:15], 2
	v_ashrrev_i32_e32 v2, 5, v2
	v_mov_b32_e32 v5, s19
	v_cmp_gt_i32_e32 vcc, s27, v1
	s_add_u32 s6, s6, s14
	s_addc_u32 s7, s7, s15
	v_cndmask_b32_e32 v2, v5, v2, vcc
	v_ashrrev_i32_e32 v3, 31, v2
	v_lshl_add_u64 v[6:7], v[2:3], 2, s[6:7]
	v_or_b32_e32 v2, 16, v1
	v_add_u32_e32 v3, v2, v4
	v_ashrrev_i32_e32 v3, 5, v3
	v_cmp_gt_i32_e32 vcc, s27, v2
	s_nop 1
	v_cndmask_b32_e32 v2, v5, v3, vcc
	v_ashrrev_i32_e32 v3, 31, v2
	v_lshl_add_u64 v[8:9], v[2:3], 2, s[6:7]
	v_or_b32_e32 v2, 32, v1
	v_add_u32_e32 v3, v2, v4
	v_ashrrev_i32_e32 v3, 5, v3
	v_cmp_gt_i32_e32 vcc, s27, v2
	v_or_b32_e32 v1, 48, v1
	s_nop 0
	v_cndmask_b32_e32 v2, v5, v3, vcc
	v_ashrrev_i32_e32 v3, 31, v2
	v_lshl_add_u64 v[10:11], v[2:3], 2, s[6:7]
	v_add_u32_e32 v2, v1, v4
	v_ashrrev_i32_e32 v2, 5, v2
	v_cmp_gt_i32_e32 vcc, s27, v1
	s_nop 1
	v_cndmask_b32_e32 v2, v5, v2, vcc
	v_ashrrev_i32_e32 v3, 31, v2
	v_lshl_add_u64 v[12:13], v[2:3], 2, s[6:7]
	global_load_dword v5, v[6:7], off
	global_load_dword v4, v[8:9], off
	;; [unrolled: 1-line block ×4, first 2 shown]
	s_andn2_b64 vcc, exec, s[10:11]
	s_cbranch_vccnz .LBB315_8
; %bb.6:
	s_add_u32 s8, s8, s12
	s_addc_u32 s9, s9, s13
	s_load_dword s5, s[8:9], 0x0
	s_branch .LBB315_9
.LBB315_7:
	s_mov_b64 s[12:13], 0
	s_branch .LBB315_2
.LBB315_8:
	s_mov_b32 s5, s2
.LBB315_9:
	s_load_dwordx2 s[14:15], s[0:1], 0x8
	s_load_dwordx4 s[8:11], s[0:1], 0x48
	v_and_b32_e32 v84, 15, v0
	s_waitcnt lgkmcnt(0)
	s_movk_i32 s11, 0xbf
	v_lshlrev_b32_e32 v82, 3, v84
	v_cmp_lt_u32_e32 vcc, s11, v0
	s_and_saveexec_b64 s[12:13], vcc
	s_xor_b64 s[12:13], exec, s[12:13]
; %bb.10:
	v_mov_b32_e32 v83, 0
; %bb.11:
	s_or_saveexec_b64 s[16:17], s[12:13]
	s_load_dwordx2 s[12:13], s[0:1], 0x10
	v_lshrrev_b32_e32 v85, 6, v0
	v_bfe_u32 v1, v0, 4, 2
	s_mul_i32 s40, s4, 12
	s_xor_b64 exec, exec, s[16:17]
	s_cbranch_execz .LBB315_13
; %bb.12:
	s_load_dwordx2 s[20:21], s[0:1], 0x0
	s_ashr_i32 s11, s8, 31
	s_mul_hi_u32 s22, s5, s8
	s_mul_i32 s11, s5, s11
	s_add_i32 s23, s22, s11
	s_mul_i32 s22, s5, s8
	v_lshl_or_b32 v10, v85, 2, v1
	s_lshl_b64 s[22:23], s[22:23], 1
	s_waitcnt lgkmcnt(0)
	s_add_u32 s20, s20, s22
	v_add_lshl_u32 v6, v10, s40, 7
	s_addc_u32 s21, s21, s23
	v_ashrrev_i32_e32 v7, 31, v6
	v_mov_b32_e32 v83, 0
	v_lshl_add_u64 v[6:7], v[6:7], 1, s[20:21]
	v_lshlrev_b32_e32 v8, 1, v82
	v_mov_b32_e32 v9, v83
	v_lshl_add_u64 v[6:7], v[6:7], 0, v[8:9]
	global_load_dwordx4 v[6:9], v[6:7], off
	v_and_b32_e32 v11, 3, v0
	v_lshlrev_b32_e32 v12, 9, v84
	v_lshlrev_b32_e32 v10, 5, v10
	;; [unrolled: 1-line block ×3, first 2 shown]
	v_and_b32_e32 v12, 0x1800, v12
	v_or3_b32 v10, v12, v11, v10
	s_waitcnt vmcnt(0)
	ds_write_b128 v10, v[6:9]
.LBB315_13:
	s_or_b64 exec, exec, s[16:17]
	s_mul_i32 s4, s4, s10
	s_mov_b32 s5, 0
	s_lshl_b64 s[4:5], s[4:5], 1
	s_add_u32 s10, s14, s4
	s_addc_u32 s11, s15, s5
	s_waitcnt vmcnt(3)
	v_mad_i64_i32 v[6:7], s[14:15], v5, s9, 0
	v_lshl_add_u64 v[6:7], v[6:7], 1, s[10:11]
	v_lshlrev_b64 v[8:9], 1, v[82:83]
	v_lshlrev_b32_e32 v86, 9, v1
	v_lshl_add_u64 v[6:7], v[6:7], 0, v[8:9]
	v_mov_b32_e32 v87, 0
	v_lshl_add_u64 v[10:11], v[6:7], 0, v[86:87]
	v_or_b32_e32 v14, 0x1000, v86
	v_mov_b32_e32 v15, v87
	v_or_b32_e32 v16, 0x1800, v86
	v_mov_b32_e32 v17, v87
	s_waitcnt lgkmcnt(0)
	s_barrier
	global_load_dwordx4 v[66:69], v[10:11], off
	global_load_dwordx4 v[62:65], v[10:11], off offset:2048
	v_lshl_add_u64 v[10:11], v[6:7], 0, v[14:15]
	v_lshl_add_u64 v[6:7], v[6:7], 0, v[16:17]
	global_load_dwordx4 v[78:81], v[10:11], off
	global_load_dwordx4 v[74:77], v[6:7], off
	s_waitcnt vmcnt(6)
	v_mad_i64_i32 v[4:5], s[14:15], v4, s9, 0
	v_mov_b32_e32 v6, 0x100
	v_lshl_add_u64 v[4:5], v[4:5], 1, s[10:11]
	v_lshl_or_b32 v6, v84, 4, v6
	v_mov_b32_e32 v7, v87
	v_lshl_add_u64 v[4:5], v[4:5], 0, v[6:7]
	v_lshl_add_u64 v[10:11], v[4:5], 0, v[86:87]
	global_load_dwordx4 v[70:73], v[10:11], off
	global_load_dwordx4 v[58:61], v[10:11], off offset:2048
	v_lshl_add_u64 v[10:11], v[4:5], 0, v[14:15]
	v_lshl_add_u64 v[4:5], v[4:5], 0, v[16:17]
	global_load_dwordx4 v[54:57], v[10:11], off
	global_load_dwordx4 v[30:33], v[4:5], off
	s_waitcnt vmcnt(9)
	v_mad_i64_i32 v[4:5], s[14:15], v3, s9, 0
	v_lshl_add_u64 v[4:5], v[4:5], 1, s[10:11]
	s_waitcnt vmcnt(8)
	v_mad_i64_i32 v[2:3], s[14:15], v2, s9, 0
	v_lshl_add_u64 v[4:5], v[4:5], 0, v[8:9]
	v_lshl_add_u64 v[2:3], v[2:3], 1, s[10:11]
	;; [unrolled: 1-line block ×4, first 2 shown]
	global_load_dwordx4 v[26:29], v[8:9], off
	global_load_dwordx4 v[22:25], v[8:9], off offset:2048
	v_lshl_add_u64 v[8:9], v[4:5], 0, v[14:15]
	v_lshl_add_u64 v[4:5], v[4:5], 0, v[16:17]
	;; [unrolled: 1-line block ×4, first 2 shown]
	global_load_dwordx4 v[18:21], v[8:9], off
	global_load_dwordx4 v[10:13], v[4:5], off
	s_nop 0
	global_load_dwordx4 v[6:9], v[2:3], off
	s_nop 0
	global_load_dwordx4 v[2:5], v[2:3], off offset:2048
	v_lshl_add_u64 v[16:17], v[34:35], 0, v[16:17]
	global_load_dwordx4 v[38:41], v[14:15], off
	global_load_dwordx4 v[34:37], v[16:17], off
	v_add_u32_e32 v14, -12, v84
	v_cmp_gt_u32_e32 vcc, 12, v84
	v_and_b32_e32 v88, 63, v0
	v_mov_b32_e32 v89, 0
	v_cndmask_b32_e32 v14, v14, v84, vcc
	v_lshl_add_u32 v42, v14, 5, v86
	ds_read_b128 v[14:17], v42
	ds_read_b128 v[50:53], v42 offset:2048
	ds_read_b128 v[46:49], v42 offset:4096
	;; [unrolled: 1-line block ×3, first 2 shown]
	s_and_saveexec_b64 s[10:11], vcc
	s_cbranch_execz .LBB315_15
; %bb.14:
	s_load_dwordx2 s[14:15], s[0:1], 0x40
	v_add_u32_e32 v90, s40, v84
	v_ashrrev_i32_e32 v91, 31, v90
	s_waitcnt lgkmcnt(0)
	v_lshl_add_u64 v[90:91], v[90:91], 2, s[14:15]
	global_load_dword v89, v[90:91], off
.LBB315_15:
	s_or_b64 exec, exec, s[10:11]
	s_waitcnt vmcnt(15) lgkmcnt(3)
	v_mfma_f32_16x16x16_f16 v[90:93], v[66:67], v[14:15], 0
	s_ashr_i32 s8, s18, 31
	s_lshr_b32 s8, s8, 27
	s_add_u32 s4, s12, s4
	v_mfma_f32_16x16x16_f16 v[66:69], v[68:69], v[16:17], v[90:93]
	s_addc_u32 s5, s13, s5
	s_mov_b32 s33, 0xff7fffff
	s_waitcnt vmcnt(14) lgkmcnt(2)
	v_mfma_f32_16x16x16_f16 v[66:69], v[62:63], v[50:51], v[66:69]
	v_lshl_or_b32 v90, v85, 4, v84
	v_mfma_f32_16x16x16_f16 v[62:65], v[64:65], v[52:53], v[66:69]
	s_waitcnt vmcnt(13) lgkmcnt(1)
	v_mfma_f32_16x16x16_f16 v[62:65], v[78:79], v[46:47], v[62:65]
	v_mfma_f32_16x16x16_f16 v[62:65], v[80:81], v[48:49], v[62:65]
	s_waitcnt vmcnt(12) lgkmcnt(0)
	v_mfma_f32_16x16x16_f16 v[62:65], v[74:75], v[42:43], v[62:65]
	v_and_or_b32 v74, v0, 48, s18
	v_add_u32_e32 v66, s8, v74
	v_ashrrev_i32_e32 v75, 5, v66
	s_waitcnt vmcnt(11)
	v_mfma_f32_16x16x16_f16 v[66:69], v[70:71], v[14:15], 0
	v_cmp_gt_i32_e32 vcc, s27, v74
	v_mfma_f32_16x16x16_f16 v[66:69], v[72:73], v[16:17], v[66:69]
	v_or_b32_e32 v72, 64, v74
	v_add_u32_e32 v73, s8, v72
	s_waitcnt vmcnt(10)
	v_mfma_f32_16x16x16_f16 v[66:69], v[58:59], v[50:51], v[66:69]
	v_ashrrev_i32_e32 v58, 5, v73
	v_mfma_f32_16x16x16_f16 v[62:65], v[76:77], v[44:45], v[62:65]
	v_mov_b32_e32 v76, s19
	v_cndmask_b32_e32 v70, v76, v75, vcc
	v_cmp_gt_i32_e32 vcc, s27, v72
	v_ashrrev_i32_e32 v71, 31, v70
	v_lshl_add_u64 v[70:71], v[70:71], 2, s[6:7]
	v_cndmask_b32_e32 v72, v76, v58, vcc
	v_mfma_f32_16x16x16_f16 v[58:61], v[60:61], v[52:53], v[66:69]
	v_ashrrev_i32_e32 v73, 31, v72
	s_waitcnt vmcnt(9)
	v_mfma_f32_16x16x16_f16 v[58:61], v[54:55], v[46:47], v[58:61]
	v_lshl_add_u64 v[66:67], v[72:73], 2, s[6:7]
	global_load_dword v72, v[70:71], off
	global_load_dword v75, v[66:67], off
	v_or_b32_e32 v66, 0x80, v74
	v_add_u32_e32 v67, s8, v66
	v_mfma_f32_16x16x16_f16 v[54:57], v[56:57], v[48:49], v[58:61]
	v_cmp_gt_i32_e32 vcc, s27, v66
	s_nop 1
	v_ashrrev_i32_e32 v58, 5, v67
	v_cndmask_b32_e32 v58, v76, v58, vcc
	v_ashrrev_i32_e32 v59, 31, v58
	s_waitcnt vmcnt(10)
	v_mfma_f32_16x16x16_f16 v[54:57], v[30:31], v[42:43], v[54:57]
	v_lshl_add_u64 v[30:31], v[58:59], 2, s[6:7]
	global_load_dword v58, v[30:31], off
	v_mfma_f32_16x16x16_f16 v[66:69], v[32:33], v[44:45], v[54:57]
	s_nop 3
	v_or_b32_e32 v54, 0xc0, v74
	v_add_u32_e32 v30, s8, v54
	v_ashrrev_i32_e32 v55, 5, v30
	v_cmp_gt_i32_e32 vcc, s27, v54
	s_waitcnt vmcnt(10)
	v_mfma_f32_16x16x16_f16 v[30:33], v[26:27], v[14:15], 0
	v_cndmask_b32_e32 v26, v76, v55, vcc
	v_ashrrev_i32_e32 v27, 31, v26
	v_lshl_add_u64 v[54:55], v[26:27], 2, s[6:7]
	global_load_dword v59, v[54:55], off
	v_mfma_f32_16x16x16_f16 v[26:29], v[28:29], v[16:17], v[30:33]
	s_load_dword s6, s[0:1], 0x1c
	s_waitcnt lgkmcnt(0)
	v_pk_mul_f32 v[76:77], s[6:7], v[66:67] op_sel_hi:[0,1]
	s_waitcnt vmcnt(10)
	v_mfma_f32_16x16x16_f16 v[26:29], v[22:23], v[50:51], v[26:29]
	v_and_b32_e32 v30, 16, v0
	v_lshlrev_b32_e32 v86, 1, v30
	v_lshl_add_u64 v[60:61], s[4:5], 0, v[86:87]
	v_mfma_f32_16x16x16_f16 v[22:25], v[24:25], v[52:53], v[26:29]
	v_lshlrev_b32_e32 v86, 6, v90
	v_lshl_add_u64 v[70:71], v[60:61], 0, v[86:87]
	v_or_b32_e32 v86, 0x1000, v86
	s_waitcnt vmcnt(9)
	v_mfma_f32_16x16x16_f16 v[22:25], v[18:19], v[46:47], v[22:25]
	v_lshl_add_u64 v[80:81], v[60:61], 0, v[86:87]
	v_pk_mul_f32 v[78:79], s[6:7], v[64:65] op_sel_hi:[0,1]
	v_pk_mul_f32 v[60:61], s[6:7], v[62:63] op_sel_hi:[0,1]
	v_mfma_f32_16x16x16_f16 v[18:21], v[20:21], v[48:49], v[22:25]
	s_waitcnt vmcnt(8)
	v_mfma_f32_16x16x16_f16 v[18:21], v[10:11], v[42:43], v[18:21]
	s_waitcnt vmcnt(3)
	v_mad_i64_i32 v[22:23], s[4:5], v72, s9, 0
	s_waitcnt vmcnt(2)
	v_mad_i64_i32 v[10:11], s[4:5], v75, s9, 0
	v_lshlrev_b64 v[72:73], 1, v[22:23]
	v_lshlrev_b64 v[54:55], 1, v[10:11]
	v_lshl_add_u64 v[22:23], v[70:71], 0, v[72:73]
	v_lshl_add_u64 v[10:11], v[70:71], 0, v[54:55]
	global_load_dwordx4 v[30:33], v[22:23], off
	global_load_dwordx4 v[26:29], v[22:23], off offset:16
	v_mfma_f32_16x16x16_f16 v[92:95], v[12:13], v[44:45], v[18:21]
	global_load_dwordx4 v[22:25], v[10:11], off
	s_nop 1
	global_load_dwordx4 v[18:21], v[10:11], off offset:16
	v_pk_mul_f32 v[74:75], s[6:7], v[68:69] op_sel_hi:[0,1]
	v_mfma_f32_16x16x16_f16 v[10:13], v[6:7], v[14:15], 0
	s_waitcnt vmcnt(5)
	v_mad_i64_i32 v[6:7], s[4:5], v58, s9, 0
	v_lshlrev_b64 v[56:57], 1, v[6:7]
	v_mfma_f32_16x16x16_f16 v[6:9], v[8:9], v[16:17], v[10:13]
	v_mfma_f32_16x16x16_f16 v[6:9], v[2:3], v[50:51], v[6:9]
	s_nop 1
	v_lshl_add_u64 v[10:11], v[70:71], 0, v[56:57]
	global_load_dwordx4 v[14:17], v[10:11], off
	s_nop 0
	global_load_dwordx4 v[10:13], v[10:11], off offset:16
	s_waitcnt vmcnt(6)
	v_mad_i64_i32 v[2:3], s[4:5], v59, s9, 0
	v_mfma_f32_16x16x16_f16 v[50:53], v[4:5], v[52:53], v[6:9]
	v_lshlrev_b64 v[58:59], 1, v[2:3]
	v_lshl_add_u64 v[2:3], v[70:71], 0, v[58:59]
	v_pk_mul_f32 v[70:71], s[6:7], v[94:95] op_sel_hi:[0,1]
	v_mfma_f32_16x16x16_f16 v[50:53], v[38:39], v[46:47], v[50:53]
	v_lshl_add_u64 v[38:39], v[80:81], 0, v[72:73]
	v_pk_mul_f32 v[72:73], s[6:7], v[92:93] op_sel_hi:[0,1]
	v_lshl_add_u64 v[58:59], v[80:81], 0, v[58:59]
	v_mfma_f32_16x16x16_f16 v[46:49], v[40:41], v[48:49], v[50:53]
	global_load_dwordx4 v[6:9], v[2:3], off
	s_nop 0
	global_load_dwordx4 v[2:5], v[2:3], off offset:16
	v_mfma_f32_16x16x16_f16 v[40:43], v[34:35], v[42:43], v[46:49]
	v_mfma_f32_16x16x16_f16 v[34:37], v[36:37], v[44:45], v[40:43]
	s_nop 6
	v_pk_mul_f32 v[68:69], s[6:7], v[34:35] op_sel_hi:[0,1]
	v_and_b32_e32 v34, 0xc0, v0
	v_add_u32_e32 v34, s18, v34
	v_lshl_or_b32 v34, v1, 2, v34
	v_or_b32_e32 v35, 1, v34
	v_pk_mul_f32 v[66:67], s[6:7], v[36:37] op_sel_hi:[0,1]
	v_subrev_u32_e32 v36, s27, v35
	v_add_u32_e32 v40, 1, v36
	v_add_u32_e32 v41, 2, v36
	v_cvt_f32_i32_e32 v37, v36
	v_cvt_f32_i32_e32 v40, v40
	v_cvt_f32_i32_e32 v41, v41
	v_add_u32_e32 v42, 3, v36
	v_fma_f32 v60, v89, v37, v60
	v_fmac_f32_e32 v61, v89, v40
	v_fma_f32 v78, v89, v41, v78
	v_add_u32_e32 v37, 16, v36
	v_add_u32_e32 v40, 17, v36
	;; [unrolled: 1-line block ×3, first 2 shown]
	v_cvt_f32_i32_e32 v42, v42
	v_cvt_f32_i32_e32 v37, v37
	;; [unrolled: 1-line block ×4, first 2 shown]
	v_fmac_f32_e32 v79, v89, v42
	v_add_u32_e32 v42, 19, v36
	v_fma_f32 v76, v89, v37, v76
	v_fmac_f32_e32 v77, v89, v40
	v_fma_f32 v74, v89, v41, v74
	v_add_u32_e32 v37, 32, v36
	v_add_u32_e32 v40, 33, v36
	;; [unrolled: 1-line block ×3, first 2 shown]
	v_cvt_f32_i32_e32 v42, v42
	v_cvt_f32_i32_e32 v37, v37
	;; [unrolled: 1-line block ×4, first 2 shown]
	v_fmac_f32_e32 v75, v89, v42
	v_add_u32_e32 v42, 35, v36
	v_fma_f32 v72, v89, v37, v72
	v_fmac_f32_e32 v73, v89, v40
	v_fma_f32 v70, v89, v41, v70
	v_add_u32_e32 v37, 48, v36
	v_add_u32_e32 v40, 49, v36
	;; [unrolled: 1-line block ×4, first 2 shown]
	v_cvt_f32_i32_e32 v36, v36
	v_cvt_f32_i32_e32 v37, v37
	;; [unrolled: 1-line block ×3, first 2 shown]
	v_cmp_gt_i32_e64 s[28:29], s27, v34
	v_fmac_f32_e32 v67, v89, v36
	v_mov_b32_e32 v36, 0xff7fffff
	v_cmp_gt_i32_e64 s[30:31], s27, v35
	v_fma_f32 v68, v89, v37, v68
	v_cndmask_b32_e64 v37, v36, v60, s[28:29]
	v_cndmask_b32_e64 v35, v36, v61, s[30:31]
	v_fmac_f32_e32 v69, v89, v40
	v_max3_f32 v35, v37, s33, v35
	v_or_b32_e32 v37, 2, v34
	v_or_b32_e32 v40, 3, v34
	v_cmp_gt_i32_e64 s[34:35], s27, v37
	v_cmp_gt_i32_e64 s[36:37], s27, v40
	v_cvt_f32_i32_e32 v42, v42
	v_cndmask_b32_e64 v37, v36, v78, s[34:35]
	v_cndmask_b32_e64 v40, v36, v79, s[36:37]
	v_max3_f32 v35, v35, v37, v40
	v_or_b32_e32 v37, 16, v34
	v_or_b32_e32 v40, 17, v34
	v_cmp_gt_i32_e64 s[22:23], s27, v37
	v_cmp_gt_i32_e64 s[24:25], s27, v40
	v_fmac_f32_e32 v71, v89, v42
	v_cndmask_b32_e64 v37, v36, v76, s[22:23]
	v_cndmask_b32_e64 v40, v36, v77, s[24:25]
	v_max3_f32 v35, v35, v37, v40
	v_or_b32_e32 v37, 18, v34
	v_or_b32_e32 v40, 19, v34
	v_cmp_gt_i32_e64 s[18:19], s27, v37
	v_cmp_gt_i32_e64 s[20:21], s27, v40
	v_cvt_f32_i32_e32 v41, v41
	v_cndmask_b32_e64 v37, v36, v74, s[18:19]
	v_cndmask_b32_e64 v40, v36, v75, s[20:21]
	v_max3_f32 v35, v35, v37, v40
	v_or_b32_e32 v37, 32, v34
	v_or_b32_e32 v40, 33, v34
	v_cmp_gt_i32_e64 s[14:15], s27, v37
	v_cmp_gt_i32_e64 s[16:17], s27, v40
	v_fma_f32 v66, v89, v41, v66
	v_cndmask_b32_e64 v37, v36, v72, s[14:15]
	v_cndmask_b32_e64 v40, v36, v73, s[16:17]
	v_max3_f32 v35, v35, v37, v40
	v_or_b32_e32 v37, 34, v34
	v_or_b32_e32 v40, 35, v34
	v_cmp_gt_i32_e64 s[10:11], s27, v37
	v_cmp_gt_i32_e64 s[12:13], s27, v40
	s_nop 0
	v_cndmask_b32_e64 v37, v36, v70, s[10:11]
	v_cndmask_b32_e64 v40, v36, v71, s[12:13]
	v_max3_f32 v35, v35, v37, v40
	v_or_b32_e32 v37, 48, v34
	v_or_b32_e32 v40, 49, v34
	v_cmp_gt_i32_e64 s[6:7], s27, v37
	v_cmp_gt_i32_e64 s[8:9], s27, v40
	s_nop 0
	v_cndmask_b32_e64 v37, v36, v68, s[6:7]
	v_cndmask_b32_e64 v40, v36, v69, s[8:9]
	v_max3_f32 v35, v35, v37, v40
	v_or_b32_e32 v37, 50, v34
	v_or_b32_e32 v34, 51, v34
	v_cmp_gt_i32_e32 vcc, s27, v37
	v_cmp_gt_i32_e64 s[4:5], s27, v34
	global_load_dwordx4 v[46:49], v[38:39], off
	s_nop 0
	global_load_dwordx4 v[38:41], v[38:39], off offset:16
	v_cndmask_b32_e32 v37, v36, v66, vcc
	v_cndmask_b32_e64 v34, v36, v67, s[4:5]
	v_max3_f32 v50, v35, v37, v34
	v_mbcnt_lo_u32_b32 v34, -1, 0
	v_mbcnt_hi_u32_b32 v51, -1, v34
	v_and_b32_e32 v34, 64, v51
	v_add_u32_e32 v52, 64, v34
	v_xor_b32_e32 v34, 32, v51
	v_cmp_lt_i32_e64 s[38:39], v34, v52
	s_nop 1
	v_cndmask_b32_e64 v34, v51, v34, s[38:39]
	v_lshlrev_b32_e32 v87, 2, v34
	ds_bpermute_b32 v53, v87, v50
	v_lshl_add_u64 v[34:35], v[80:81], 0, v[54:55]
	global_load_dwordx4 v[42:45], v[34:35], off
	s_nop 0
	global_load_dwordx4 v[34:37], v[34:35], off offset:16
	s_waitcnt lgkmcnt(0)
	v_max_f32_e32 v53, v53, v53
	v_max_f32_e32 v62, v50, v53
	v_xor_b32_e32 v50, 16, v51
	v_cmp_lt_i32_e64 s[38:39], v50, v52
	s_nop 1
	v_cndmask_b32_e64 v50, v51, v50, s[38:39]
	v_lshlrev_b32_e32 v89, 2, v50
	ds_bpermute_b32 v63, v89, v62
	v_lshl_add_u64 v[50:51], v[80:81], 0, v[56:57]
	global_load_dwordx4 v[54:57], v[50:51], off
	s_nop 0
	global_load_dwordx4 v[50:53], v[50:51], off offset:16
	s_waitcnt lgkmcnt(0)
	v_max_f32_e32 v63, v63, v63
	v_max_f32_e32 v86, v62, v63
	v_sub_f32_e32 v60, v60, v86
	v_mul_f32_e32 v60, 0x3fb8aa3b, v60
	v_exp_f32_e32 v80, v60
	v_sub_f32_e32 v60, v61, v86
	v_mul_f32_e32 v60, 0x3fb8aa3b, v60
	v_exp_f32_e32 v81, v60
	global_load_dwordx4 v[62:65], v[58:59], off
	s_nop 0
	global_load_dwordx4 v[58:61], v[58:59], off offset:16
	v_sub_f32_e32 v78, v78, v86
	v_mul_f32_e32 v78, 0x3fb8aa3b, v78
	v_sub_f32_e32 v79, v79, v86
	v_exp_f32_e32 v78, v78
	v_mul_f32_e32 v79, 0x3fb8aa3b, v79
	v_sub_f32_e32 v76, v76, v86
	v_exp_f32_e32 v79, v79
	v_mul_f32_e32 v76, 0x3fb8aa3b, v76
	v_sub_f32_e32 v77, v77, v86
	v_cndmask_b32_e64 v80, 0, v80, s[28:29]
	v_exp_f32_e32 v76, v76
	v_mul_f32_e32 v77, 0x3fb8aa3b, v77
	v_sub_f32_e32 v74, v74, v86
	v_add_f32_e32 v91, 0, v80
	v_cndmask_b32_e64 v81, 0, v81, s[30:31]
	v_exp_f32_e32 v77, v77
	v_mul_f32_e32 v74, 0x3fb8aa3b, v74
	v_sub_f32_e32 v75, v75, v86
	v_add_f32_e32 v91, v91, v81
	;; [unrolled: 5-line block ×10, first 2 shown]
	v_cndmask_b32_e64 v70, 0, v70, s[10:11]
	v_exp_f32_e32 v66, v66
	v_mul_f32_e32 v67, 0x3fb8aa3b, v67
	v_add_f32_e32 v91, v91, v70
	v_cndmask_b32_e64 v71, 0, v71, s[12:13]
	v_exp_f32_e32 v67, v67
	v_add_f32_e32 v91, v91, v71
	v_cndmask_b32_e64 v68, 0, v68, s[6:7]
	v_add_f32_e32 v91, v91, v68
	v_cndmask_b32_e64 v69, 0, v69, s[8:9]
	v_add_f32_e32 v91, v91, v69
	v_cndmask_b32_e32 v66, 0, v66, vcc
	v_add_f32_e32 v91, v91, v66
	v_cndmask_b32_e64 v67, 0, v67, s[4:5]
	v_add_f32_e32 v91, v91, v67
	ds_bpermute_b32 v87, v87, v91
	s_load_dword s7, s[0:1], 0x98
	v_cmp_gt_u32_e32 vcc, 16, v88
	s_waitcnt lgkmcnt(0)
	s_barrier
	v_add_f32_e32 v87, v91, v87
	ds_bpermute_b32 v89, v89, v87
	s_waitcnt lgkmcnt(0)
	s_and_saveexec_b64 s[4:5], vcc
	s_cbranch_execz .LBB315_17
; %bb.16:
	v_add_f32_e32 v87, v87, v89
	v_lshlrev_b32_e32 v88, 2, v90
	ds_write2st64_b32 v88, v86, v87 offset1:1
.LBB315_17:
	s_or_b64 exec, exec, s[4:5]
	v_lshlrev_b32_e32 v87, 2, v84
	s_load_dword s6, s[0:1], 0x94
	s_waitcnt lgkmcnt(0)
	s_barrier
	ds_read2_b32 v[88:89], v87 offset1:16
	ds_read2_b32 v[90:91], v87 offset0:32 offset1:48
	ds_read2_b32 v[92:93], v87 offset0:64 offset1:80
	s_mul_i32 s7, s7, 12
	s_waitcnt lgkmcnt(2)
	v_max3_f32 v86, v88, s33, v89
	s_waitcnt lgkmcnt(1)
	v_max3_f32 v86, v86, v90, v91
	v_sub_f32_e32 v88, v88, v86
	v_mul_f32_e32 v88, 0x3fb8aa3b, v88
	v_exp_f32_e32 v94, v88
	v_sub_f32_e32 v88, v89, v86
	v_mul_f32_e32 v88, 0x3fb8aa3b, v88
	v_exp_f32_e32 v95, v88
	;; [unrolled: 3-line block ×3, first 2 shown]
	ds_read2_b32 v[88:89], v87 offset0:96 offset1:112
	v_sub_f32_e32 v87, v91, v86
	v_mul_f32_e32 v87, 0x3fb8aa3b, v87
	v_exp_f32_e32 v91, v87
	s_waitcnt lgkmcnt(1)
	v_fma_f32 v87, v94, v92, 0
	v_fmac_f32_e32 v87, v95, v93
	s_waitcnt lgkmcnt(0)
	v_fmac_f32_e32 v87, v90, v88
	v_fmac_f32_e32 v87, v91, v89
	v_add_f32_e32 v88, 0x358637bd, v87
	v_div_scale_f32 v89, s[4:5], v88, v88, 1.0
	v_rcp_f32_e32 v92, v89
	s_barrier
	v_fma_f32 v93, -v89, v92, 1.0
	v_fmac_f32_e32 v92, v93, v92
	v_div_scale_f32 v93, vcc, 1.0, v88, 1.0
	v_mul_f32_e32 v1, v93, v92
	v_fma_f32 v85, -v89, v1, v93
	v_fmac_f32_e32 v1, v85, v92
	v_fma_f32 v85, -v89, v1, v93
	v_lshrrev_b32_e32 v89, 6, v0
	v_div_fmas_f32 v1, v85, v92, v1
	v_cmp_eq_u32_e32 vcc, 1, v89
	v_div_fixup_f32 v1, v1, v88, 1.0
	s_nop 0
	v_cndmask_b32_e32 v85, v94, v95, vcc
	v_cmp_eq_u32_e32 vcc, 2, v89
	s_nop 1
	v_cndmask_b32_e32 v85, v85, v90, vcc
	v_cmp_eq_u32_e32 vcc, 3, v89
	s_nop 1
	v_cndmask_b32_e32 v85, v85, v91, vcc
	v_mul_f32_e32 v88, v85, v1
	v_pk_mul_f32 v[78:79], v[88:89], v[78:79] op_sel_hi:[0,1]
	v_cvt_f16_f32_e32 v78, v78
	v_cvt_f16_f32_e32 v79, v79
	v_pk_mul_f32 v[80:81], v[88:89], v[80:81] op_sel_hi:[0,1]
	v_cvt_f16_f32_e32 v1, v80
	v_cvt_f16_f32_e32 v80, v81
	v_pk_mul_f32 v[74:75], v[88:89], v[74:75] op_sel_hi:[0,1]
	v_pk_mul_f32 v[76:77], v[88:89], v[76:77] op_sel_hi:[0,1]
	v_pack_b32_f16 v81, v78, v79
	v_cvt_f16_f32_e32 v76, v76
	v_cvt_f16_f32_e32 v77, v77
	;; [unrolled: 1-line block ×4, first 2 shown]
	v_bfe_u32 v85, v0, 4, 2
	v_pack_b32_f16 v80, v1, v80
	v_lshlrev_b32_e32 v1, 3, v85
	v_lshlrev_b32_e32 v78, 5, v84
	;; [unrolled: 1-line block ×3, first 2 shown]
	v_pk_mul_f32 v[70:71], v[88:89], v[70:71] op_sel_hi:[0,1]
	v_pk_mul_f32 v[72:73], v[88:89], v[72:73] op_sel_hi:[0,1]
	;; [unrolled: 1-line block ×4, first 2 shown]
	v_or3_b32 v74, v74, v78, v1
	v_pack_b32_f16 v76, v76, v77
	v_pack_b32_f16 v77, v79, v75
	v_cvt_f16_f32_e32 v1, v72
	v_cvt_f16_f32_e32 v72, v73
	;; [unrolled: 1-line block ×8, first 2 shown]
	v_pack_b32_f16 v66, v1, v72
	v_pack_b32_f16 v67, v70, v71
	;; [unrolled: 1-line block ×4, first 2 shown]
	v_cmp_gt_u32_e32 vcc, 12, v0
	ds_write2st64_b64 v74, v[80:81], v[76:77] offset1:1
	ds_write2st64_b64 v74, v[66:67], v[68:69] offset0:2 offset1:3
	s_and_saveexec_b64 s[4:5], vcc
	s_cbranch_execz .LBB315_19
; %bb.18:
	s_mov_b32 s41, 0
	v_mov_b32_e32 v85, 0
	v_lshl_add_u64 v[66:67], s[40:41], 0, v[84:85]
	v_mov_b32_e32 v1, s7
	v_mad_u64_u32 v[66:67], s[12:13], s2, v1, v[66:67]
	s_mul_i32 s3, s3, s7
	v_mov_b32_e32 v68, s26
	v_mov_b32_e32 v69, v85
	s_load_dwordx4 s[8:11], s[0:1], 0x58
	v_add_u32_e32 v1, s3, v67
	v_mad_u64_u32 v[66:67], s[12:13], v66, s6, v[68:69]
	v_mov_b32_e32 v68, v67
	v_mad_u64_u32 v[68:69], s[12:13], v1, s6, v[68:69]
	v_mov_b32_e32 v67, v68
	v_lshlrev_b64 v[66:67], 2, v[66:67]
	v_bfe_u32 v85, v0, 4, 2
	s_waitcnt lgkmcnt(0)
	v_lshl_add_u64 v[68:69], s[10:11], 0, v[66:67]
	v_lshl_add_u64 v[66:67], s[8:9], 0, v[66:67]
	global_store_dword v[68:69], v86, off
	global_store_dword v[66:67], v87, off
.LBB315_19:
	s_or_b64 exec, exec, s[4:5]
	v_lshl_or_b32 v1, v85, 9, v78
	s_waitcnt lgkmcnt(0)
	s_barrier
	ds_read_b128 v[70:73], v1
	ds_read_b128 v[66:69], v1 offset:16
	s_waitcnt vmcnt(15) lgkmcnt(1)
	v_mfma_f32_16x16x16_f16 v[76:79], v[30:31], v[70:71], 0
	s_mov_b32 s3, 0
	v_cmp_gt_u32_e32 vcc, 64, v0
	v_mfma_f32_16x16x16_f16 v[30:33], v[32:33], v[72:73], v[76:79]
	s_waitcnt vmcnt(14) lgkmcnt(0)
	v_mfma_f32_16x16x16_f16 v[30:33], v[26:27], v[66:67], v[30:33]
	v_mfma_f32_16x16x16_f16 v[26:29], v[28:29], v[68:69], v[30:33]
	s_nop 5
	ds_read_b128 v[30:33], v1 offset:2048
	ds_read_b128 v[76:79], v1 offset:2064
	s_waitcnt vmcnt(13) lgkmcnt(1)
	v_mfma_f32_16x16x16_f16 v[26:29], v[22:23], v[30:31], v[26:29]
	v_mfma_f32_16x16x16_f16 v[22:25], v[24:25], v[32:33], v[26:29]
	s_waitcnt vmcnt(12) lgkmcnt(0)
	v_mfma_f32_16x16x16_f16 v[22:25], v[18:19], v[76:77], v[22:25]
	v_mfma_f32_16x16x16_f16 v[18:21], v[20:21], v[78:79], v[22:25]
	s_nop 5
	ds_read_b128 v[22:25], v1 offset:4096
	ds_read_b128 v[26:29], v1 offset:4112
	s_waitcnt vmcnt(11) lgkmcnt(1)
	v_mfma_f32_16x16x16_f16 v[18:21], v[14:15], v[22:23], v[18:21]
	v_mfma_f32_16x16x16_f16 v[14:17], v[16:17], v[24:25], v[18:21]
	s_waitcnt vmcnt(10) lgkmcnt(0)
	v_mfma_f32_16x16x16_f16 v[14:17], v[10:11], v[26:27], v[14:17]
	v_mfma_f32_16x16x16_f16 v[10:13], v[12:13], v[28:29], v[14:17]
	s_nop 5
	ds_read_b128 v[14:17], v1 offset:6144
	ds_read_b128 v[18:21], v1 offset:6160
	s_waitcnt lgkmcnt(0)
	s_barrier
	s_waitcnt vmcnt(9)
	v_mfma_f32_16x16x16_f16 v[10:13], v[6:7], v[14:15], v[10:13]
	v_mfma_f32_16x16x16_f16 v[6:9], v[8:9], v[16:17], v[10:13]
	s_waitcnt vmcnt(8)
	v_mfma_f32_16x16x16_f16 v[6:9], v[2:3], v[18:19], v[6:9]
	v_mfma_f32_16x16x16_f16 v[2:5], v[4:5], v[20:21], v[6:9]
	;; [unrolled: 3-line block ×3, first 2 shown]
	s_nop 3
	v_cvt_f16_f32_e32 v1, v2
	v_cvt_f16_f32_e32 v10, v3
	;; [unrolled: 1-line block ×3, first 2 shown]
	s_waitcnt vmcnt(6)
	v_mfma_f32_16x16x16_f16 v[6:9], v[38:39], v[66:67], v[6:9]
	v_cvt_f16_f32_e32 v12, v5
	v_mfma_f32_16x16x16_f16 v[6:9], v[40:41], v[68:69], v[6:9]
	s_waitcnt vmcnt(5)
	v_mfma_f32_16x16x16_f16 v[6:9], v[42:43], v[30:31], v[6:9]
	v_mfma_f32_16x16x16_f16 v[6:9], v[44:45], v[32:33], v[6:9]
	s_waitcnt vmcnt(4)
	v_mfma_f32_16x16x16_f16 v[6:9], v[34:35], v[76:77], v[6:9]
	;; [unrolled: 3-line block ×6, first 2 shown]
	v_mfma_f32_16x16x16_f16 v[2:5], v[60:61], v[20:21], v[6:9]
	s_nop 6
	v_cvt_f16_f32_e32 v6, v2
	v_cvt_f16_f32_e32 v7, v3
	v_cvt_f16_f32_e32 v8, v4
	v_cvt_f16_f32_e32 v5, v5
	v_pack_b32_f16 v2, v1, v10
	v_pack_b32_f16 v3, v11, v12
	v_pack_b32_f16 v4, v6, v7
	v_pack_b32_f16 v5, v8, v5
	ds_write2st64_b64 v74, v[2:3], v[4:5] offset1:1
	s_waitcnt lgkmcnt(0)
	s_barrier
	s_and_saveexec_b64 s[4:5], vcc
	s_cbranch_execz .LBB315_21
; %bb.20:
	s_load_dwordx2 s[0:1], s[0:1], 0x68
	s_lshl_b32 s6, s6, 7
	s_mul_i32 s2, s7, s2
	s_mul_hi_u32 s5, s2, s6
	s_mul_i32 s4, s2, s6
	s_lshl_b64 s[4:5], s[4:5], 1
	v_lshlrev_b32_e32 v3, 6, v84
	s_waitcnt lgkmcnt(0)
	s_add_u32 s4, s0, s4
	v_lshlrev_b32_e32 v2, 4, v0
	v_lshl_or_b32 v0, v0, 10, v3
	s_addc_u32 s5, s1, s5
	s_lshl_b32 s2, s26, 7
	v_lshlrev_b32_e32 v1, 5, v85
	v_and_b32_e32 v2, 16, v2
	v_and_b32_e32 v0, 0x1a00, v0
	s_lshl_b64 s[0:1], s[2:3], 1
	v_or3_b32 v0, v0, v1, v2
	s_add_u32 s0, s4, s0
	ds_read_b128 v[2:5], v0
	ds_read_b128 v[6:9], v0 offset:128
	ds_read_b128 v[10:13], v0 offset:256
	s_addc_u32 s1, s5, s1
	v_or_b32_e32 v16, s40, v85
	v_lshl_add_u64 v[0:1], v[82:83], 1, s[0:1]
	v_mad_u64_u32 v[14:15], s[0:1], v16, s6, 0
	v_lshl_add_u64 v[14:15], v[14:15], 1, v[0:1]
	s_waitcnt lgkmcnt(2)
	global_store_dwordx4 v[14:15], v[2:5], off
	s_nop 1
	v_add_u32_e32 v2, 4, v16
	v_mad_u64_u32 v[2:3], s[0:1], v2, s6, 0
	v_lshl_add_u64 v[2:3], v[2:3], 1, v[0:1]
	s_waitcnt lgkmcnt(1)
	global_store_dwordx4 v[2:3], v[6:9], off
	v_add_u32_e32 v2, 8, v16
	v_mad_u64_u32 v[2:3], s[0:1], v2, s6, 0
	v_lshl_add_u64 v[0:1], v[2:3], 1, v[0:1]
	s_waitcnt lgkmcnt(0)
	global_store_dwordx4 v[0:1], v[10:13], off
.LBB315_21:
	s_endpgm
	.section	.rodata,"a",@progbits
	.p2align	6, 0x0
	.amdhsa_kernel _Z39paged_attention_ll4mi_QKV_mfma16_kernelIDF16_DF16_LN4vllm18Fp8KVCacheDataTypeE0EhLi32ELi128ELi256ELb1ELi12EEvPKT_PKT0_S7_ifPKiS9_S9_iPKfiiiPfSC_PS2_PT2_iSB_SB_
		.amdhsa_group_segment_fixed_size 8192
		.amdhsa_private_segment_fixed_size 0
		.amdhsa_kernarg_size 400
		.amdhsa_user_sgpr_count 2
		.amdhsa_user_sgpr_dispatch_ptr 0
		.amdhsa_user_sgpr_queue_ptr 0
		.amdhsa_user_sgpr_kernarg_segment_ptr 1
		.amdhsa_user_sgpr_dispatch_id 0
		.amdhsa_user_sgpr_kernarg_preload_length 0
		.amdhsa_user_sgpr_kernarg_preload_offset 0
		.amdhsa_user_sgpr_private_segment_size 0
		.amdhsa_uses_dynamic_stack 0
		.amdhsa_enable_private_segment 0
		.amdhsa_system_sgpr_workgroup_id_x 1
		.amdhsa_system_sgpr_workgroup_id_y 1
		.amdhsa_system_sgpr_workgroup_id_z 1
		.amdhsa_system_sgpr_workgroup_info 0
		.amdhsa_system_vgpr_workitem_id 0
		.amdhsa_next_free_vgpr 96
		.amdhsa_next_free_sgpr 42
		.amdhsa_accum_offset 96
		.amdhsa_reserve_vcc 1
		.amdhsa_float_round_mode_32 0
		.amdhsa_float_round_mode_16_64 0
		.amdhsa_float_denorm_mode_32 3
		.amdhsa_float_denorm_mode_16_64 3
		.amdhsa_dx10_clamp 1
		.amdhsa_ieee_mode 1
		.amdhsa_fp16_overflow 0
		.amdhsa_tg_split 0
		.amdhsa_exception_fp_ieee_invalid_op 0
		.amdhsa_exception_fp_denorm_src 0
		.amdhsa_exception_fp_ieee_div_zero 0
		.amdhsa_exception_fp_ieee_overflow 0
		.amdhsa_exception_fp_ieee_underflow 0
		.amdhsa_exception_fp_ieee_inexact 0
		.amdhsa_exception_int_div_zero 0
	.end_amdhsa_kernel
	.section	.text._Z39paged_attention_ll4mi_QKV_mfma16_kernelIDF16_DF16_LN4vllm18Fp8KVCacheDataTypeE0EhLi32ELi128ELi256ELb1ELi12EEvPKT_PKT0_S7_ifPKiS9_S9_iPKfiiiPfSC_PS2_PT2_iSB_SB_,"axG",@progbits,_Z39paged_attention_ll4mi_QKV_mfma16_kernelIDF16_DF16_LN4vllm18Fp8KVCacheDataTypeE0EhLi32ELi128ELi256ELb1ELi12EEvPKT_PKT0_S7_ifPKiS9_S9_iPKfiiiPfSC_PS2_PT2_iSB_SB_,comdat
.Lfunc_end315:
	.size	_Z39paged_attention_ll4mi_QKV_mfma16_kernelIDF16_DF16_LN4vllm18Fp8KVCacheDataTypeE0EhLi32ELi128ELi256ELb1ELi12EEvPKT_PKT0_S7_ifPKiS9_S9_iPKfiiiPfSC_PS2_PT2_iSB_SB_, .Lfunc_end315-_Z39paged_attention_ll4mi_QKV_mfma16_kernelIDF16_DF16_LN4vllm18Fp8KVCacheDataTypeE0EhLi32ELi128ELi256ELb1ELi12EEvPKT_PKT0_S7_ifPKiS9_S9_iPKfiiiPfSC_PS2_PT2_iSB_SB_
                                        ; -- End function
	.section	.AMDGPU.csdata,"",@progbits
; Kernel info:
; codeLenInByte = 4896
; NumSgprs: 48
; NumVgprs: 96
; NumAgprs: 0
; TotalNumVgprs: 96
; ScratchSize: 0
; MemoryBound: 0
; FloatMode: 240
; IeeeMode: 1
; LDSByteSize: 8192 bytes/workgroup (compile time only)
; SGPRBlocks: 5
; VGPRBlocks: 11
; NumSGPRsForWavesPerEU: 48
; NumVGPRsForWavesPerEU: 96
; AccumOffset: 96
; Occupancy: 5
; WaveLimiterHint : 1
; COMPUTE_PGM_RSRC2:SCRATCH_EN: 0
; COMPUTE_PGM_RSRC2:USER_SGPR: 2
; COMPUTE_PGM_RSRC2:TRAP_HANDLER: 0
; COMPUTE_PGM_RSRC2:TGID_X_EN: 1
; COMPUTE_PGM_RSRC2:TGID_Y_EN: 1
; COMPUTE_PGM_RSRC2:TGID_Z_EN: 1
; COMPUTE_PGM_RSRC2:TIDIG_COMP_CNT: 0
; COMPUTE_PGM_RSRC3_GFX90A:ACCUM_OFFSET: 23
; COMPUTE_PGM_RSRC3_GFX90A:TG_SPLIT: 0
	.section	.text._Z39paged_attention_ll4mi_QKV_mfma16_kernelIDF16_DF16_LN4vllm18Fp8KVCacheDataTypeE0EhLi32ELi128ELi256ELb1ELi13EEvPKT_PKT0_S7_ifPKiS9_S9_iPKfiiiPfSC_PS2_PT2_iSB_SB_,"axG",@progbits,_Z39paged_attention_ll4mi_QKV_mfma16_kernelIDF16_DF16_LN4vllm18Fp8KVCacheDataTypeE0EhLi32ELi128ELi256ELb1ELi13EEvPKT_PKT0_S7_ifPKiS9_S9_iPKfiiiPfSC_PS2_PT2_iSB_SB_,comdat
	.protected	_Z39paged_attention_ll4mi_QKV_mfma16_kernelIDF16_DF16_LN4vllm18Fp8KVCacheDataTypeE0EhLi32ELi128ELi256ELb1ELi13EEvPKT_PKT0_S7_ifPKiS9_S9_iPKfiiiPfSC_PS2_PT2_iSB_SB_ ; -- Begin function _Z39paged_attention_ll4mi_QKV_mfma16_kernelIDF16_DF16_LN4vllm18Fp8KVCacheDataTypeE0EhLi32ELi128ELi256ELb1ELi13EEvPKT_PKT0_S7_ifPKiS9_S9_iPKfiiiPfSC_PS2_PT2_iSB_SB_
	.globl	_Z39paged_attention_ll4mi_QKV_mfma16_kernelIDF16_DF16_LN4vllm18Fp8KVCacheDataTypeE0EhLi32ELi128ELi256ELb1ELi13EEvPKT_PKT0_S7_ifPKiS9_S9_iPKfiiiPfSC_PS2_PT2_iSB_SB_
	.p2align	8
	.type	_Z39paged_attention_ll4mi_QKV_mfma16_kernelIDF16_DF16_LN4vllm18Fp8KVCacheDataTypeE0EhLi32ELi128ELi256ELb1ELi13EEvPKT_PKT0_S7_ifPKiS9_S9_iPKfiiiPfSC_PS2_PT2_iSB_SB_,@function
_Z39paged_attention_ll4mi_QKV_mfma16_kernelIDF16_DF16_LN4vllm18Fp8KVCacheDataTypeE0EhLi32ELi128ELi256ELb1ELi13EEvPKT_PKT0_S7_ifPKiS9_S9_iPKfiiiPfSC_PS2_PT2_iSB_SB_: ; @_Z39paged_attention_ll4mi_QKV_mfma16_kernelIDF16_DF16_LN4vllm18Fp8KVCacheDataTypeE0EhLi32ELi128ELi256ELb1ELi13EEvPKT_PKT0_S7_ifPKiS9_S9_iPKfiiiPfSC_PS2_PT2_iSB_SB_
; %bb.0:
	s_load_dwordx2 s[8:9], s[0:1], 0x30
	s_mov_b32 s26, s3
	s_mov_b64 s[6:7], 0
	s_waitcnt lgkmcnt(0)
	s_cmp_lg_u64 s[8:9], 0
	s_cselect_b64 s[10:11], -1, 0
	s_and_b64 vcc, exec, s[10:11]
	s_cbranch_vccz .LBB316_7
; %bb.1:
	s_add_i32 s12, s2, 1
	s_mov_b32 s13, 0
	s_lshl_b64 s[14:15], s[12:13], 2
	s_add_u32 s14, s8, s14
	s_mov_b32 s3, s13
	s_addc_u32 s15, s9, s15
	s_lshl_b64 s[12:13], s[2:3], 2
	s_add_u32 s12, s8, s12
	s_addc_u32 s13, s9, s13
	s_load_dword s5, s[14:15], 0x0
	s_load_dword s16, s[12:13], 0x0
	s_waitcnt lgkmcnt(0)
	s_sub_i32 s5, s5, s16
	s_cmp_eq_u32 s5, 1
	s_cselect_b64 s[12:13], -1, 0
	s_andn2_b64 vcc, exec, s[6:7]
	s_cbranch_vccnz .LBB316_3
.LBB316_2:
	s_mov_b32 s3, 0
	s_mov_b64 s[12:13], -1
.LBB316_3:
	s_andn2_b64 vcc, exec, s[12:13]
	s_cbranch_vccnz .LBB316_22
; %bb.4:
	s_load_dwordx2 s[6:7], s[0:1], 0x28
	s_lshl_b64 s[12:13], s[2:3], 2
	s_waitcnt lgkmcnt(0)
	s_add_u32 s6, s6, s12
	s_addc_u32 s7, s7, s13
	s_load_dword s27, s[6:7], 0x0
	s_lshl_b32 s18, s26, 8
	s_waitcnt lgkmcnt(0)
	s_cmp_ge_i32 s18, s27
	s_cbranch_scc1 .LBB316_22
; %bb.5:
	s_load_dwordx2 s[6:7], s[0:1], 0x20
	s_load_dword s5, s[0:1], 0x38
	s_add_i32 s14, s27, 31
	s_ashr_i32 s15, s14, 31
	v_and_b32_e32 v1, 0xcf, v0
	s_lshr_b32 s15, s15, 27
	v_add_u32_e32 v1, s18, v1
	s_add_i32 s14, s14, s15
	v_ashrrev_i32_e32 v2, 31, v1
	s_ashr_i32 s19, s14, 5
	v_lshrrev_b32_e32 v4, 27, v2
	s_add_i32 s19, s19, -1
	s_waitcnt lgkmcnt(0)
	s_mul_i32 s14, s2, s5
	s_mov_b32 s15, 0
	v_add_u32_e32 v2, v1, v4
	s_lshl_b64 s[14:15], s[14:15], 2
	v_ashrrev_i32_e32 v2, 5, v2
	v_mov_b32_e32 v5, s19
	v_cmp_gt_i32_e32 vcc, s27, v1
	s_add_u32 s6, s6, s14
	s_addc_u32 s7, s7, s15
	v_cndmask_b32_e32 v2, v5, v2, vcc
	v_ashrrev_i32_e32 v3, 31, v2
	v_lshl_add_u64 v[6:7], v[2:3], 2, s[6:7]
	v_or_b32_e32 v2, 16, v1
	v_add_u32_e32 v3, v2, v4
	v_ashrrev_i32_e32 v3, 5, v3
	v_cmp_gt_i32_e32 vcc, s27, v2
	s_nop 1
	v_cndmask_b32_e32 v2, v5, v3, vcc
	v_ashrrev_i32_e32 v3, 31, v2
	v_lshl_add_u64 v[8:9], v[2:3], 2, s[6:7]
	v_or_b32_e32 v2, 32, v1
	v_add_u32_e32 v3, v2, v4
	v_ashrrev_i32_e32 v3, 5, v3
	v_cmp_gt_i32_e32 vcc, s27, v2
	v_or_b32_e32 v1, 48, v1
	s_nop 0
	v_cndmask_b32_e32 v2, v5, v3, vcc
	v_ashrrev_i32_e32 v3, 31, v2
	v_lshl_add_u64 v[10:11], v[2:3], 2, s[6:7]
	v_add_u32_e32 v2, v1, v4
	v_ashrrev_i32_e32 v2, 5, v2
	v_cmp_gt_i32_e32 vcc, s27, v1
	s_nop 1
	v_cndmask_b32_e32 v2, v5, v2, vcc
	v_ashrrev_i32_e32 v3, 31, v2
	v_lshl_add_u64 v[12:13], v[2:3], 2, s[6:7]
	global_load_dword v5, v[6:7], off
	global_load_dword v4, v[8:9], off
	;; [unrolled: 1-line block ×4, first 2 shown]
	s_andn2_b64 vcc, exec, s[10:11]
	s_cbranch_vccnz .LBB316_8
; %bb.6:
	s_add_u32 s8, s8, s12
	s_addc_u32 s9, s9, s13
	s_load_dword s5, s[8:9], 0x0
	s_branch .LBB316_9
.LBB316_7:
	s_mov_b64 s[12:13], 0
	s_branch .LBB316_2
.LBB316_8:
	s_mov_b32 s5, s2
.LBB316_9:
	s_load_dwordx2 s[14:15], s[0:1], 0x8
	s_load_dwordx4 s[8:11], s[0:1], 0x48
	v_lshrrev_b32_e32 v88, 6, v0
	v_bfe_u32 v1, v0, 4, 2
	v_lshl_or_b32 v6, v88, 2, v1
	v_and_b32_e32 v84, 15, v0
	v_lshlrev_b32_e32 v82, 3, v84
	v_cmp_lt_u32_e32 vcc, 12, v6
	s_and_saveexec_b64 s[12:13], vcc
	s_xor_b64 s[12:13], exec, s[12:13]
; %bb.10:
	v_mov_b32_e32 v83, 0
                                        ; implicit-def: $vgpr6
; %bb.11:
	s_or_saveexec_b64 s[16:17], s[12:13]
	s_load_dwordx2 s[12:13], s[0:1], 0x10
	s_mul_i32 s40, s4, 13
	s_xor_b64 exec, exec, s[16:17]
	s_cbranch_execz .LBB316_13
; %bb.12:
	s_load_dwordx2 s[20:21], s[0:1], 0x0
	s_waitcnt lgkmcnt(0)
	s_ashr_i32 s11, s8, 31
	s_mul_hi_u32 s22, s5, s8
	s_mul_i32 s11, s5, s11
	s_add_i32 s23, s22, s11
	s_mul_i32 s22, s5, s8
	s_lshl_b64 s[22:23], s[22:23], 1
	s_add_u32 s20, s20, s22
	v_add_lshl_u32 v8, v6, s40, 7
	s_addc_u32 s21, s21, s23
	v_ashrrev_i32_e32 v9, 31, v8
	v_mov_b32_e32 v83, 0
	v_lshl_add_u64 v[8:9], v[8:9], 1, s[20:21]
	v_lshlrev_b32_e32 v10, 1, v82
	v_mov_b32_e32 v11, v83
	v_lshl_add_u64 v[8:9], v[8:9], 0, v[10:11]
	global_load_dwordx4 v[8:11], v[8:9], off
	v_and_b32_e32 v7, 3, v0
	v_lshlrev_b32_e32 v12, 9, v84
	v_lshlrev_b32_e32 v6, 5, v6
	;; [unrolled: 1-line block ×3, first 2 shown]
	v_and_b32_e32 v12, 0x1800, v12
	v_or3_b32 v6, v12, v7, v6
	s_waitcnt vmcnt(0)
	ds_write_b128 v6, v[8:11]
.LBB316_13:
	s_or_b64 exec, exec, s[16:17]
	s_waitcnt lgkmcnt(0)
	s_mul_i32 s4, s4, s10
	s_mov_b32 s5, 0
	s_lshl_b64 s[4:5], s[4:5], 1
	s_add_u32 s10, s14, s4
	s_addc_u32 s11, s15, s5
	s_waitcnt vmcnt(3)
	v_mad_i64_i32 v[6:7], s[14:15], v5, s9, 0
	v_lshl_add_u64 v[6:7], v[6:7], 1, s[10:11]
	v_lshlrev_b64 v[8:9], 1, v[82:83]
	v_lshlrev_b32_e32 v86, 9, v1
	v_lshl_add_u64 v[6:7], v[6:7], 0, v[8:9]
	v_mov_b32_e32 v87, 0
	v_lshl_add_u64 v[10:11], v[6:7], 0, v[86:87]
	v_or_b32_e32 v14, 0x1000, v86
	v_mov_b32_e32 v15, v87
	v_or_b32_e32 v16, 0x1800, v86
	v_mov_b32_e32 v17, v87
	s_barrier
	global_load_dwordx4 v[66:69], v[10:11], off
	global_load_dwordx4 v[62:65], v[10:11], off offset:2048
	v_lshl_add_u64 v[10:11], v[6:7], 0, v[14:15]
	v_lshl_add_u64 v[6:7], v[6:7], 0, v[16:17]
	global_load_dwordx4 v[78:81], v[10:11], off
	global_load_dwordx4 v[74:77], v[6:7], off
	s_waitcnt vmcnt(6)
	v_mad_i64_i32 v[4:5], s[14:15], v4, s9, 0
	v_mov_b32_e32 v6, 0x100
	v_lshl_add_u64 v[4:5], v[4:5], 1, s[10:11]
	v_lshl_or_b32 v6, v84, 4, v6
	v_mov_b32_e32 v7, v87
	v_lshl_add_u64 v[4:5], v[4:5], 0, v[6:7]
	v_lshl_add_u64 v[10:11], v[4:5], 0, v[86:87]
	global_load_dwordx4 v[70:73], v[10:11], off
	global_load_dwordx4 v[58:61], v[10:11], off offset:2048
	v_lshl_add_u64 v[10:11], v[4:5], 0, v[14:15]
	v_lshl_add_u64 v[4:5], v[4:5], 0, v[16:17]
	global_load_dwordx4 v[54:57], v[10:11], off
	global_load_dwordx4 v[30:33], v[4:5], off
	s_waitcnt vmcnt(9)
	v_mad_i64_i32 v[4:5], s[14:15], v3, s9, 0
	v_lshl_add_u64 v[4:5], v[4:5], 1, s[10:11]
	s_waitcnt vmcnt(8)
	v_mad_i64_i32 v[2:3], s[14:15], v2, s9, 0
	v_lshl_add_u64 v[4:5], v[4:5], 0, v[8:9]
	v_lshl_add_u64 v[2:3], v[2:3], 1, s[10:11]
	;; [unrolled: 1-line block ×4, first 2 shown]
	global_load_dwordx4 v[26:29], v[8:9], off
	global_load_dwordx4 v[22:25], v[8:9], off offset:2048
	v_lshl_add_u64 v[8:9], v[4:5], 0, v[14:15]
	v_lshl_add_u64 v[4:5], v[4:5], 0, v[16:17]
	v_lshl_add_u64 v[2:3], v[34:35], 0, v[86:87]
	v_lshl_add_u64 v[14:15], v[34:35], 0, v[14:15]
	global_load_dwordx4 v[18:21], v[8:9], off
	global_load_dwordx4 v[10:13], v[4:5], off
	s_nop 0
	global_load_dwordx4 v[6:9], v[2:3], off
	s_nop 0
	global_load_dwordx4 v[2:5], v[2:3], off offset:2048
	v_lshl_add_u64 v[16:17], v[34:35], 0, v[16:17]
	global_load_dwordx4 v[38:41], v[14:15], off
	global_load_dwordx4 v[34:37], v[16:17], off
	v_add_u32_e32 v14, -13, v84
	v_cmp_gt_u32_e32 vcc, 13, v84
	v_and_b32_e32 v85, 63, v0
	v_mov_b32_e32 v89, 0
	v_cndmask_b32_e32 v14, v14, v84, vcc
	v_lshl_add_u32 v42, v14, 5, v86
	ds_read_b128 v[14:17], v42
	ds_read_b128 v[50:53], v42 offset:2048
	ds_read_b128 v[46:49], v42 offset:4096
	;; [unrolled: 1-line block ×3, first 2 shown]
	s_and_saveexec_b64 s[10:11], vcc
	s_cbranch_execz .LBB316_15
; %bb.14:
	s_load_dwordx2 s[14:15], s[0:1], 0x40
	v_add_u32_e32 v90, s40, v84
	v_ashrrev_i32_e32 v91, 31, v90
	s_waitcnt lgkmcnt(0)
	v_lshl_add_u64 v[90:91], v[90:91], 2, s[14:15]
	global_load_dword v89, v[90:91], off
.LBB316_15:
	s_or_b64 exec, exec, s[10:11]
	s_waitcnt vmcnt(15) lgkmcnt(3)
	v_mfma_f32_16x16x16_f16 v[90:93], v[66:67], v[14:15], 0
	s_ashr_i32 s8, s18, 31
	s_lshr_b32 s8, s8, 27
	s_add_u32 s4, s12, s4
	v_mfma_f32_16x16x16_f16 v[66:69], v[68:69], v[16:17], v[90:93]
	s_addc_u32 s5, s13, s5
	s_mov_b32 s33, 0xff7fffff
	s_waitcnt vmcnt(14) lgkmcnt(2)
	v_mfma_f32_16x16x16_f16 v[66:69], v[62:63], v[50:51], v[66:69]
	v_lshl_or_b32 v90, v88, 4, v84
	v_mfma_f32_16x16x16_f16 v[62:65], v[64:65], v[52:53], v[66:69]
	s_waitcnt vmcnt(13) lgkmcnt(1)
	v_mfma_f32_16x16x16_f16 v[62:65], v[78:79], v[46:47], v[62:65]
	v_mfma_f32_16x16x16_f16 v[62:65], v[80:81], v[48:49], v[62:65]
	s_waitcnt vmcnt(12) lgkmcnt(0)
	v_mfma_f32_16x16x16_f16 v[62:65], v[74:75], v[42:43], v[62:65]
	v_and_or_b32 v74, v0, 48, s18
	v_add_u32_e32 v66, s8, v74
	v_ashrrev_i32_e32 v75, 5, v66
	s_waitcnt vmcnt(11)
	v_mfma_f32_16x16x16_f16 v[66:69], v[70:71], v[14:15], 0
	v_cmp_gt_i32_e32 vcc, s27, v74
	v_mfma_f32_16x16x16_f16 v[66:69], v[72:73], v[16:17], v[66:69]
	v_or_b32_e32 v72, 64, v74
	v_add_u32_e32 v73, s8, v72
	s_waitcnt vmcnt(10)
	v_mfma_f32_16x16x16_f16 v[66:69], v[58:59], v[50:51], v[66:69]
	v_ashrrev_i32_e32 v58, 5, v73
	v_mfma_f32_16x16x16_f16 v[62:65], v[76:77], v[44:45], v[62:65]
	v_mov_b32_e32 v76, s19
	v_cndmask_b32_e32 v70, v76, v75, vcc
	v_cmp_gt_i32_e32 vcc, s27, v72
	v_ashrrev_i32_e32 v71, 31, v70
	v_lshl_add_u64 v[70:71], v[70:71], 2, s[6:7]
	v_cndmask_b32_e32 v72, v76, v58, vcc
	v_mfma_f32_16x16x16_f16 v[58:61], v[60:61], v[52:53], v[66:69]
	v_ashrrev_i32_e32 v73, 31, v72
	s_waitcnt vmcnt(9)
	v_mfma_f32_16x16x16_f16 v[58:61], v[54:55], v[46:47], v[58:61]
	v_lshl_add_u64 v[66:67], v[72:73], 2, s[6:7]
	global_load_dword v72, v[70:71], off
	global_load_dword v75, v[66:67], off
	v_or_b32_e32 v66, 0x80, v74
	v_add_u32_e32 v67, s8, v66
	v_mfma_f32_16x16x16_f16 v[54:57], v[56:57], v[48:49], v[58:61]
	v_cmp_gt_i32_e32 vcc, s27, v66
	s_nop 1
	v_ashrrev_i32_e32 v58, 5, v67
	v_cndmask_b32_e32 v58, v76, v58, vcc
	v_ashrrev_i32_e32 v59, 31, v58
	s_waitcnt vmcnt(10)
	v_mfma_f32_16x16x16_f16 v[54:57], v[30:31], v[42:43], v[54:57]
	v_lshl_add_u64 v[30:31], v[58:59], 2, s[6:7]
	global_load_dword v58, v[30:31], off
	v_mfma_f32_16x16x16_f16 v[66:69], v[32:33], v[44:45], v[54:57]
	s_nop 3
	v_or_b32_e32 v54, 0xc0, v74
	v_add_u32_e32 v30, s8, v54
	v_ashrrev_i32_e32 v55, 5, v30
	v_cmp_gt_i32_e32 vcc, s27, v54
	s_waitcnt vmcnt(10)
	v_mfma_f32_16x16x16_f16 v[30:33], v[26:27], v[14:15], 0
	v_cndmask_b32_e32 v26, v76, v55, vcc
	v_ashrrev_i32_e32 v27, 31, v26
	v_lshl_add_u64 v[54:55], v[26:27], 2, s[6:7]
	global_load_dword v59, v[54:55], off
	v_mfma_f32_16x16x16_f16 v[26:29], v[28:29], v[16:17], v[30:33]
	s_load_dword s6, s[0:1], 0x1c
	s_waitcnt lgkmcnt(0)
	v_pk_mul_f32 v[76:77], s[6:7], v[66:67] op_sel_hi:[0,1]
	s_waitcnt vmcnt(10)
	v_mfma_f32_16x16x16_f16 v[26:29], v[22:23], v[50:51], v[26:29]
	v_and_b32_e32 v30, 16, v0
	v_lshlrev_b32_e32 v86, 1, v30
	v_lshl_add_u64 v[60:61], s[4:5], 0, v[86:87]
	v_mfma_f32_16x16x16_f16 v[22:25], v[24:25], v[52:53], v[26:29]
	v_lshlrev_b32_e32 v86, 6, v90
	v_lshl_add_u64 v[70:71], v[60:61], 0, v[86:87]
	v_or_b32_e32 v86, 0x1000, v86
	s_waitcnt vmcnt(9)
	v_mfma_f32_16x16x16_f16 v[22:25], v[18:19], v[46:47], v[22:25]
	v_lshl_add_u64 v[80:81], v[60:61], 0, v[86:87]
	v_pk_mul_f32 v[78:79], s[6:7], v[64:65] op_sel_hi:[0,1]
	v_pk_mul_f32 v[60:61], s[6:7], v[62:63] op_sel_hi:[0,1]
	v_mfma_f32_16x16x16_f16 v[18:21], v[20:21], v[48:49], v[22:25]
	s_waitcnt vmcnt(8)
	v_mfma_f32_16x16x16_f16 v[18:21], v[10:11], v[42:43], v[18:21]
	s_waitcnt vmcnt(3)
	v_mad_i64_i32 v[22:23], s[4:5], v72, s9, 0
	s_waitcnt vmcnt(2)
	v_mad_i64_i32 v[10:11], s[4:5], v75, s9, 0
	v_lshlrev_b64 v[72:73], 1, v[22:23]
	v_lshlrev_b64 v[54:55], 1, v[10:11]
	v_lshl_add_u64 v[22:23], v[70:71], 0, v[72:73]
	v_lshl_add_u64 v[10:11], v[70:71], 0, v[54:55]
	global_load_dwordx4 v[30:33], v[22:23], off
	global_load_dwordx4 v[26:29], v[22:23], off offset:16
	v_mfma_f32_16x16x16_f16 v[92:95], v[12:13], v[44:45], v[18:21]
	global_load_dwordx4 v[22:25], v[10:11], off
	s_nop 1
	global_load_dwordx4 v[18:21], v[10:11], off offset:16
	v_pk_mul_f32 v[74:75], s[6:7], v[68:69] op_sel_hi:[0,1]
	v_mfma_f32_16x16x16_f16 v[10:13], v[6:7], v[14:15], 0
	s_waitcnt vmcnt(5)
	v_mad_i64_i32 v[6:7], s[4:5], v58, s9, 0
	v_lshlrev_b64 v[56:57], 1, v[6:7]
	v_mfma_f32_16x16x16_f16 v[6:9], v[8:9], v[16:17], v[10:13]
	v_mfma_f32_16x16x16_f16 v[6:9], v[2:3], v[50:51], v[6:9]
	s_nop 1
	v_lshl_add_u64 v[10:11], v[70:71], 0, v[56:57]
	global_load_dwordx4 v[14:17], v[10:11], off
	s_nop 0
	global_load_dwordx4 v[10:13], v[10:11], off offset:16
	s_waitcnt vmcnt(6)
	v_mad_i64_i32 v[2:3], s[4:5], v59, s9, 0
	v_mfma_f32_16x16x16_f16 v[50:53], v[4:5], v[52:53], v[6:9]
	v_lshlrev_b64 v[58:59], 1, v[2:3]
	v_lshl_add_u64 v[2:3], v[70:71], 0, v[58:59]
	v_pk_mul_f32 v[70:71], s[6:7], v[94:95] op_sel_hi:[0,1]
	v_mfma_f32_16x16x16_f16 v[50:53], v[38:39], v[46:47], v[50:53]
	v_lshl_add_u64 v[38:39], v[80:81], 0, v[72:73]
	v_pk_mul_f32 v[72:73], s[6:7], v[92:93] op_sel_hi:[0,1]
	v_lshl_add_u64 v[58:59], v[80:81], 0, v[58:59]
	v_mfma_f32_16x16x16_f16 v[46:49], v[40:41], v[48:49], v[50:53]
	global_load_dwordx4 v[6:9], v[2:3], off
	s_nop 0
	global_load_dwordx4 v[2:5], v[2:3], off offset:16
	v_mfma_f32_16x16x16_f16 v[40:43], v[34:35], v[42:43], v[46:49]
	v_mfma_f32_16x16x16_f16 v[34:37], v[36:37], v[44:45], v[40:43]
	s_nop 6
	v_pk_mul_f32 v[68:69], s[6:7], v[34:35] op_sel_hi:[0,1]
	v_and_b32_e32 v34, 0xc0, v0
	v_add_u32_e32 v34, s18, v34
	v_lshl_or_b32 v34, v1, 2, v34
	v_or_b32_e32 v35, 1, v34
	v_pk_mul_f32 v[66:67], s[6:7], v[36:37] op_sel_hi:[0,1]
	v_subrev_u32_e32 v36, s27, v35
	v_add_u32_e32 v40, 1, v36
	v_add_u32_e32 v41, 2, v36
	v_cvt_f32_i32_e32 v37, v36
	v_cvt_f32_i32_e32 v40, v40
	;; [unrolled: 1-line block ×3, first 2 shown]
	v_add_u32_e32 v42, 3, v36
	v_fma_f32 v60, v89, v37, v60
	v_fmac_f32_e32 v61, v89, v40
	v_fma_f32 v78, v89, v41, v78
	v_add_u32_e32 v37, 16, v36
	v_add_u32_e32 v40, 17, v36
	v_add_u32_e32 v41, 18, v36
	v_cvt_f32_i32_e32 v42, v42
	v_cvt_f32_i32_e32 v37, v37
	;; [unrolled: 1-line block ×4, first 2 shown]
	v_fmac_f32_e32 v79, v89, v42
	v_add_u32_e32 v42, 19, v36
	v_fma_f32 v76, v89, v37, v76
	v_fmac_f32_e32 v77, v89, v40
	v_fma_f32 v74, v89, v41, v74
	v_add_u32_e32 v37, 32, v36
	v_add_u32_e32 v40, 33, v36
	;; [unrolled: 1-line block ×3, first 2 shown]
	v_cvt_f32_i32_e32 v42, v42
	v_cvt_f32_i32_e32 v37, v37
	;; [unrolled: 1-line block ×4, first 2 shown]
	v_fmac_f32_e32 v75, v89, v42
	v_add_u32_e32 v42, 35, v36
	v_fma_f32 v72, v89, v37, v72
	v_fmac_f32_e32 v73, v89, v40
	v_fma_f32 v70, v89, v41, v70
	v_add_u32_e32 v37, 48, v36
	v_add_u32_e32 v40, 49, v36
	;; [unrolled: 1-line block ×4, first 2 shown]
	v_cvt_f32_i32_e32 v36, v36
	v_cvt_f32_i32_e32 v37, v37
	;; [unrolled: 1-line block ×3, first 2 shown]
	v_cmp_gt_i32_e64 s[28:29], s27, v34
	v_fmac_f32_e32 v67, v89, v36
	v_mov_b32_e32 v36, 0xff7fffff
	v_cmp_gt_i32_e64 s[30:31], s27, v35
	v_fma_f32 v68, v89, v37, v68
	v_cndmask_b32_e64 v37, v36, v60, s[28:29]
	v_cndmask_b32_e64 v35, v36, v61, s[30:31]
	v_fmac_f32_e32 v69, v89, v40
	v_max3_f32 v35, v37, s33, v35
	v_or_b32_e32 v37, 2, v34
	v_or_b32_e32 v40, 3, v34
	v_cmp_gt_i32_e64 s[34:35], s27, v37
	v_cmp_gt_i32_e64 s[36:37], s27, v40
	v_cvt_f32_i32_e32 v42, v42
	v_cndmask_b32_e64 v37, v36, v78, s[34:35]
	v_cndmask_b32_e64 v40, v36, v79, s[36:37]
	v_max3_f32 v35, v35, v37, v40
	v_or_b32_e32 v37, 16, v34
	v_or_b32_e32 v40, 17, v34
	v_cmp_gt_i32_e64 s[22:23], s27, v37
	v_cmp_gt_i32_e64 s[24:25], s27, v40
	v_fmac_f32_e32 v71, v89, v42
	v_cndmask_b32_e64 v37, v36, v76, s[22:23]
	v_cndmask_b32_e64 v40, v36, v77, s[24:25]
	v_max3_f32 v35, v35, v37, v40
	v_or_b32_e32 v37, 18, v34
	v_or_b32_e32 v40, 19, v34
	v_cmp_gt_i32_e64 s[18:19], s27, v37
	v_cmp_gt_i32_e64 s[20:21], s27, v40
	v_cvt_f32_i32_e32 v41, v41
	v_cndmask_b32_e64 v37, v36, v74, s[18:19]
	v_cndmask_b32_e64 v40, v36, v75, s[20:21]
	v_max3_f32 v35, v35, v37, v40
	v_or_b32_e32 v37, 32, v34
	v_or_b32_e32 v40, 33, v34
	v_cmp_gt_i32_e64 s[14:15], s27, v37
	v_cmp_gt_i32_e64 s[16:17], s27, v40
	v_fma_f32 v66, v89, v41, v66
	v_cndmask_b32_e64 v37, v36, v72, s[14:15]
	v_cndmask_b32_e64 v40, v36, v73, s[16:17]
	v_max3_f32 v35, v35, v37, v40
	v_or_b32_e32 v37, 34, v34
	v_or_b32_e32 v40, 35, v34
	v_cmp_gt_i32_e64 s[10:11], s27, v37
	v_cmp_gt_i32_e64 s[12:13], s27, v40
	s_nop 0
	v_cndmask_b32_e64 v37, v36, v70, s[10:11]
	v_cndmask_b32_e64 v40, v36, v71, s[12:13]
	v_max3_f32 v35, v35, v37, v40
	v_or_b32_e32 v37, 48, v34
	v_or_b32_e32 v40, 49, v34
	v_cmp_gt_i32_e64 s[6:7], s27, v37
	v_cmp_gt_i32_e64 s[8:9], s27, v40
	s_nop 0
	v_cndmask_b32_e64 v37, v36, v68, s[6:7]
	v_cndmask_b32_e64 v40, v36, v69, s[8:9]
	v_max3_f32 v35, v35, v37, v40
	v_or_b32_e32 v37, 50, v34
	v_or_b32_e32 v34, 51, v34
	v_cmp_gt_i32_e32 vcc, s27, v37
	v_cmp_gt_i32_e64 s[4:5], s27, v34
	global_load_dwordx4 v[46:49], v[38:39], off
	s_nop 0
	global_load_dwordx4 v[38:41], v[38:39], off offset:16
	v_cndmask_b32_e32 v37, v36, v66, vcc
	v_cndmask_b32_e64 v34, v36, v67, s[4:5]
	v_max3_f32 v50, v35, v37, v34
	v_mbcnt_lo_u32_b32 v34, -1, 0
	v_mbcnt_hi_u32_b32 v51, -1, v34
	v_and_b32_e32 v34, 64, v51
	v_add_u32_e32 v52, 64, v34
	v_xor_b32_e32 v34, 32, v51
	v_cmp_lt_i32_e64 s[38:39], v34, v52
	s_nop 1
	v_cndmask_b32_e64 v34, v51, v34, s[38:39]
	v_lshlrev_b32_e32 v87, 2, v34
	ds_bpermute_b32 v53, v87, v50
	v_lshl_add_u64 v[34:35], v[80:81], 0, v[54:55]
	global_load_dwordx4 v[42:45], v[34:35], off
	s_nop 0
	global_load_dwordx4 v[34:37], v[34:35], off offset:16
	s_waitcnt lgkmcnt(0)
	v_max_f32_e32 v53, v53, v53
	v_max_f32_e32 v62, v50, v53
	v_xor_b32_e32 v50, 16, v51
	v_cmp_lt_i32_e64 s[38:39], v50, v52
	s_nop 1
	v_cndmask_b32_e64 v50, v51, v50, s[38:39]
	v_lshlrev_b32_e32 v89, 2, v50
	ds_bpermute_b32 v63, v89, v62
	v_lshl_add_u64 v[50:51], v[80:81], 0, v[56:57]
	global_load_dwordx4 v[54:57], v[50:51], off
	s_nop 0
	global_load_dwordx4 v[50:53], v[50:51], off offset:16
	s_waitcnt lgkmcnt(0)
	v_max_f32_e32 v63, v63, v63
	v_max_f32_e32 v86, v62, v63
	v_sub_f32_e32 v60, v60, v86
	v_mul_f32_e32 v60, 0x3fb8aa3b, v60
	v_exp_f32_e32 v80, v60
	v_sub_f32_e32 v60, v61, v86
	v_mul_f32_e32 v60, 0x3fb8aa3b, v60
	v_exp_f32_e32 v81, v60
	global_load_dwordx4 v[62:65], v[58:59], off
	s_nop 0
	global_load_dwordx4 v[58:61], v[58:59], off offset:16
	v_sub_f32_e32 v78, v78, v86
	v_mul_f32_e32 v78, 0x3fb8aa3b, v78
	v_sub_f32_e32 v79, v79, v86
	v_exp_f32_e32 v78, v78
	v_mul_f32_e32 v79, 0x3fb8aa3b, v79
	v_sub_f32_e32 v76, v76, v86
	v_exp_f32_e32 v79, v79
	v_mul_f32_e32 v76, 0x3fb8aa3b, v76
	v_sub_f32_e32 v77, v77, v86
	v_cndmask_b32_e64 v80, 0, v80, s[28:29]
	v_exp_f32_e32 v76, v76
	v_mul_f32_e32 v77, 0x3fb8aa3b, v77
	v_sub_f32_e32 v74, v74, v86
	v_add_f32_e32 v91, 0, v80
	v_cndmask_b32_e64 v81, 0, v81, s[30:31]
	v_exp_f32_e32 v77, v77
	v_mul_f32_e32 v74, 0x3fb8aa3b, v74
	v_sub_f32_e32 v75, v75, v86
	v_add_f32_e32 v91, v91, v81
	;; [unrolled: 5-line block ×10, first 2 shown]
	v_cndmask_b32_e64 v70, 0, v70, s[10:11]
	v_exp_f32_e32 v66, v66
	v_mul_f32_e32 v67, 0x3fb8aa3b, v67
	v_add_f32_e32 v91, v91, v70
	v_cndmask_b32_e64 v71, 0, v71, s[12:13]
	v_exp_f32_e32 v67, v67
	v_add_f32_e32 v91, v91, v71
	v_cndmask_b32_e64 v68, 0, v68, s[6:7]
	v_add_f32_e32 v91, v91, v68
	v_cndmask_b32_e64 v69, 0, v69, s[8:9]
	v_add_f32_e32 v91, v91, v69
	v_cndmask_b32_e32 v66, 0, v66, vcc
	v_add_f32_e32 v91, v91, v66
	v_cndmask_b32_e64 v67, 0, v67, s[4:5]
	v_add_f32_e32 v91, v91, v67
	ds_bpermute_b32 v87, v87, v91
	s_load_dword s9, s[0:1], 0x98
	v_cmp_gt_u32_e64 s[4:5], 16, v85
	s_waitcnt lgkmcnt(0)
	s_barrier
	v_add_f32_e32 v87, v91, v87
	ds_bpermute_b32 v89, v89, v87
	s_waitcnt lgkmcnt(0)
	s_and_saveexec_b64 s[6:7], s[4:5]
	s_cbranch_execz .LBB316_17
; %bb.16:
	v_add_f32_e32 v85, v87, v89
	v_lshlrev_b32_e32 v87, 2, v90
	ds_write2st64_b32 v87, v86, v85 offset1:1
.LBB316_17:
	s_or_b64 exec, exec, s[6:7]
	v_lshlrev_b32_e32 v85, 2, v84
	s_load_dword s8, s[0:1], 0x94
	s_waitcnt lgkmcnt(0)
	s_barrier
	ds_read2_b32 v[90:91], v85 offset1:16
	ds_read2_b32 v[92:93], v85 offset0:32 offset1:48
	ds_read2_b32 v[94:95], v85 offset0:64 offset1:80
	s_mul_i32 s9, s9, 13
	s_waitcnt lgkmcnt(2)
	v_max3_f32 v86, v90, s33, v91
	s_waitcnt lgkmcnt(1)
	v_max3_f32 v86, v86, v92, v93
	v_sub_f32_e32 v87, v90, v86
	v_mul_f32_e32 v87, 0x3fb8aa3b, v87
	v_exp_f32_e32 v89, v87
	v_sub_f32_e32 v87, v91, v86
	v_mul_f32_e32 v87, 0x3fb8aa3b, v87
	v_exp_f32_e32 v88, v87
	v_sub_f32_e32 v87, v92, v86
	v_mul_f32_e32 v87, 0x3fb8aa3b, v87
	ds_read2_b32 v[90:91], v85 offset0:96 offset1:112
	v_sub_f32_e32 v85, v93, v86
	v_exp_f32_e32 v92, v87
	v_mul_f32_e32 v85, 0x3fb8aa3b, v85
	v_exp_f32_e32 v85, v85
	s_waitcnt lgkmcnt(1)
	v_fma_f32 v87, v89, v94, 0
	v_fmac_f32_e32 v87, v88, v95
	s_waitcnt lgkmcnt(0)
	v_fmac_f32_e32 v87, v92, v90
	v_fmac_f32_e32 v87, v85, v91
	v_add_f32_e32 v90, 0x358637bd, v87
	v_div_scale_f32 v91, s[6:7], v90, v90, 1.0
	v_rcp_f32_e32 v93, v91
	s_barrier
	v_fma_f32 v94, -v91, v93, 1.0
	v_fmac_f32_e32 v93, v94, v93
	v_div_scale_f32 v94, vcc, 1.0, v90, 1.0
	v_mul_f32_e32 v95, v94, v93
	v_fma_f32 v1, -v91, v95, v94
	v_fmac_f32_e32 v95, v1, v93
	v_fma_f32 v1, -v91, v95, v94
	v_lshrrev_b32_e32 v91, 6, v0
	v_div_fmas_f32 v1, v1, v93, v95
	v_cmp_eq_u32_e32 vcc, 1, v91
	v_div_fixup_f32 v1, v1, v90, 1.0
	s_nop 0
	v_cndmask_b32_e32 v88, v89, v88, vcc
	v_cmp_eq_u32_e32 vcc, 2, v91
	s_nop 1
	v_cndmask_b32_e32 v88, v88, v92, vcc
	v_cmp_eq_u32_e32 vcc, 3, v91
	s_nop 1
	v_cndmask_b32_e32 v85, v88, v85, vcc
	v_mul_f32_e32 v90, v85, v1
	v_pk_mul_f32 v[78:79], v[90:91], v[78:79] op_sel_hi:[0,1]
	v_cvt_f16_f32_e32 v78, v78
	v_cvt_f16_f32_e32 v79, v79
	v_pk_mul_f32 v[80:81], v[90:91], v[80:81] op_sel_hi:[0,1]
	v_cvt_f16_f32_e32 v1, v80
	v_cvt_f16_f32_e32 v80, v81
	v_pk_mul_f32 v[74:75], v[90:91], v[74:75] op_sel_hi:[0,1]
	v_pk_mul_f32 v[76:77], v[90:91], v[76:77] op_sel_hi:[0,1]
	v_pack_b32_f16 v81, v78, v79
	v_cvt_f16_f32_e32 v76, v76
	v_cvt_f16_f32_e32 v77, v77
	v_cvt_f16_f32_e32 v79, v74
	v_cvt_f16_f32_e32 v75, v75
	v_bfe_u32 v88, v0, 4, 2
	v_pack_b32_f16 v80, v1, v80
	v_lshlrev_b32_e32 v1, 3, v88
	v_lshlrev_b32_e32 v78, 5, v84
	;; [unrolled: 1-line block ×3, first 2 shown]
	v_or3_b32 v1, v74, v78, v1
	v_pack_b32_f16 v74, v76, v77
	v_pack_b32_f16 v75, v79, v75
	v_pk_mul_f32 v[70:71], v[90:91], v[70:71] op_sel_hi:[0,1]
	v_pk_mul_f32 v[72:73], v[90:91], v[72:73] op_sel_hi:[0,1]
	;; [unrolled: 1-line block ×4, first 2 shown]
	ds_write2st64_b64 v1, v[80:81], v[74:75] offset1:1
	v_cvt_f16_f32_e32 v72, v72
	v_cvt_f16_f32_e32 v73, v73
	;; [unrolled: 1-line block ×8, first 2 shown]
	v_pack_b32_f16 v66, v72, v73
	v_pack_b32_f16 v67, v70, v71
	;; [unrolled: 1-line block ×4, first 2 shown]
	v_cmp_gt_u32_e32 vcc, 13, v0
	ds_write2st64_b64 v1, v[66:67], v[68:69] offset0:2 offset1:3
	s_and_saveexec_b64 s[6:7], vcc
	s_cbranch_execz .LBB316_19
; %bb.18:
	s_mov_b32 s41, 0
	v_mov_b32_e32 v85, 0
	v_lshl_add_u64 v[66:67], s[40:41], 0, v[84:85]
	v_mov_b32_e32 v68, s9
	v_mad_u64_u32 v[66:67], s[10:11], s2, v68, v[66:67]
	s_mul_i32 s3, s3, s9
	v_mov_b32_e32 v68, s26
	v_mov_b32_e32 v69, v85
	s_load_dwordx4 s[12:15], s[0:1], 0x58
	v_add_u32_e32 v70, s3, v67
	v_mad_u64_u32 v[66:67], s[10:11], v66, s8, v[68:69]
	v_mov_b32_e32 v68, v67
	v_mad_u64_u32 v[68:69], s[10:11], v70, s8, v[68:69]
	v_mov_b32_e32 v67, v68
	v_lshlrev_b64 v[66:67], 2, v[66:67]
	s_waitcnt lgkmcnt(0)
	v_lshl_add_u64 v[68:69], s[14:15], 0, v[66:67]
	v_lshl_add_u64 v[66:67], s[12:13], 0, v[66:67]
	global_store_dword v[68:69], v86, off
	global_store_dword v[66:67], v87, off
.LBB316_19:
	s_or_b64 exec, exec, s[6:7]
	v_lshl_or_b32 v78, v88, 9, v78
	s_waitcnt lgkmcnt(0)
	s_barrier
	ds_read_b128 v[70:73], v78
	ds_read_b128 v[66:69], v78 offset:16
	s_waitcnt vmcnt(15) lgkmcnt(1)
	v_mfma_f32_16x16x16_f16 v[74:77], v[30:31], v[70:71], 0
	s_mov_b32 s3, 0
	v_cmp_gt_u32_e32 vcc, 64, v0
	v_mfma_f32_16x16x16_f16 v[30:33], v[32:33], v[72:73], v[74:77]
	s_waitcnt vmcnt(14) lgkmcnt(0)
	v_mfma_f32_16x16x16_f16 v[30:33], v[26:27], v[66:67], v[30:33]
	v_mfma_f32_16x16x16_f16 v[26:29], v[28:29], v[68:69], v[30:33]
	s_nop 5
	ds_read_b128 v[30:33], v78 offset:2048
	ds_read_b128 v[74:77], v78 offset:2064
	s_waitcnt vmcnt(13) lgkmcnt(1)
	v_mfma_f32_16x16x16_f16 v[26:29], v[22:23], v[30:31], v[26:29]
	v_mfma_f32_16x16x16_f16 v[22:25], v[24:25], v[32:33], v[26:29]
	s_waitcnt vmcnt(12) lgkmcnt(0)
	v_mfma_f32_16x16x16_f16 v[22:25], v[18:19], v[74:75], v[22:25]
	v_mfma_f32_16x16x16_f16 v[18:21], v[20:21], v[76:77], v[22:25]
	s_nop 5
	ds_read_b128 v[22:25], v78 offset:4096
	ds_read_b128 v[26:29], v78 offset:4112
	s_waitcnt vmcnt(11) lgkmcnt(1)
	v_mfma_f32_16x16x16_f16 v[18:21], v[14:15], v[22:23], v[18:21]
	v_mfma_f32_16x16x16_f16 v[14:17], v[16:17], v[24:25], v[18:21]
	s_waitcnt vmcnt(10) lgkmcnt(0)
	v_mfma_f32_16x16x16_f16 v[14:17], v[10:11], v[26:27], v[14:17]
	v_mfma_f32_16x16x16_f16 v[10:13], v[12:13], v[28:29], v[14:17]
	s_nop 5
	ds_read_b128 v[14:17], v78 offset:6144
	ds_read_b128 v[18:21], v78 offset:6160
	s_waitcnt lgkmcnt(0)
	s_barrier
	s_waitcnt vmcnt(9)
	v_mfma_f32_16x16x16_f16 v[10:13], v[6:7], v[14:15], v[10:13]
	v_mfma_f32_16x16x16_f16 v[6:9], v[8:9], v[16:17], v[10:13]
	s_waitcnt vmcnt(8)
	v_mfma_f32_16x16x16_f16 v[6:9], v[2:3], v[18:19], v[6:9]
	v_mfma_f32_16x16x16_f16 v[2:5], v[4:5], v[20:21], v[6:9]
	;; [unrolled: 3-line block ×3, first 2 shown]
	s_nop 3
	v_cvt_f16_f32_e32 v10, v2
	v_cvt_f16_f32_e32 v11, v3
	;; [unrolled: 1-line block ×3, first 2 shown]
	s_waitcnt vmcnt(6)
	v_mfma_f32_16x16x16_f16 v[6:9], v[38:39], v[66:67], v[6:9]
	v_cvt_f16_f32_e32 v13, v5
	v_mfma_f32_16x16x16_f16 v[6:9], v[40:41], v[68:69], v[6:9]
	s_waitcnt vmcnt(5)
	v_mfma_f32_16x16x16_f16 v[6:9], v[42:43], v[30:31], v[6:9]
	v_mfma_f32_16x16x16_f16 v[6:9], v[44:45], v[32:33], v[6:9]
	s_waitcnt vmcnt(4)
	v_mfma_f32_16x16x16_f16 v[6:9], v[34:35], v[74:75], v[6:9]
	v_mfma_f32_16x16x16_f16 v[6:9], v[36:37], v[76:77], v[6:9]
	s_waitcnt vmcnt(3)
	v_mfma_f32_16x16x16_f16 v[6:9], v[54:55], v[22:23], v[6:9]
	v_mfma_f32_16x16x16_f16 v[6:9], v[56:57], v[24:25], v[6:9]
	s_waitcnt vmcnt(2)
	v_mfma_f32_16x16x16_f16 v[6:9], v[50:51], v[26:27], v[6:9]
	v_mfma_f32_16x16x16_f16 v[6:9], v[52:53], v[28:29], v[6:9]
	s_waitcnt vmcnt(1)
	v_mfma_f32_16x16x16_f16 v[6:9], v[62:63], v[14:15], v[6:9]
	v_mfma_f32_16x16x16_f16 v[6:9], v[64:65], v[16:17], v[6:9]
	s_waitcnt vmcnt(0)
	v_mfma_f32_16x16x16_f16 v[6:9], v[58:59], v[18:19], v[6:9]
	v_mfma_f32_16x16x16_f16 v[2:5], v[60:61], v[20:21], v[6:9]
	s_nop 6
	v_cvt_f16_f32_e32 v6, v2
	v_cvt_f16_f32_e32 v7, v3
	;; [unrolled: 1-line block ×4, first 2 shown]
	v_pack_b32_f16 v2, v10, v11
	v_pack_b32_f16 v3, v12, v13
	;; [unrolled: 1-line block ×4, first 2 shown]
	ds_write2st64_b64 v1, v[2:3], v[4:5] offset1:1
	s_waitcnt lgkmcnt(0)
	s_barrier
	s_and_saveexec_b64 s[6:7], vcc
	s_cbranch_execz .LBB316_22
; %bb.20:
	s_load_dwordx2 s[6:7], s[0:1], 0x68
	s_lshl_b32 s0, s8, 7
	s_mul_i32 s1, s9, s2
	v_lshlrev_b32_e32 v3, 6, v84
	s_mul_hi_u32 s9, s1, s0
	s_mul_i32 s8, s1, s0
	v_lshlrev_b32_e32 v2, 4, v0
	v_lshl_or_b32 v0, v0, 10, v3
	s_lshl_b64 s[8:9], s[8:9], 1
	v_lshlrev_b32_e32 v1, 5, v88
	v_and_b32_e32 v2, 16, v2
	v_and_b32_e32 v0, 0x1a00, v0
	s_waitcnt lgkmcnt(0)
	s_add_u32 s1, s6, s8
	v_or3_b32 v2, v0, v1, v2
	s_addc_u32 s6, s7, s9
	s_lshl_b32 s2, s26, 7
	ds_read_b128 v[4:7], v2 offset:256
	s_lshl_b64 s[2:3], s[2:3], 1
	ds_read_b128 v[8:11], v2 offset:128
	ds_read_b128 v[12:15], v2
	s_add_u32 s2, s1, s2
	s_addc_u32 s3, s6, s3
	v_add_u32_e32 v3, s40, v88
	v_lshl_add_u64 v[0:1], v[82:83], 1, s[2:3]
	v_mad_u64_u32 v[16:17], s[2:3], v3, s0, 0
	v_lshl_add_u64 v[16:17], v[16:17], 1, v[0:1]
	s_waitcnt lgkmcnt(0)
	global_store_dwordx4 v[16:17], v[12:15], off
	s_nop 1
	v_add_u32_e32 v12, 4, v3
	v_mad_u64_u32 v[12:13], s[2:3], v12, s0, 0
	v_lshl_add_u64 v[12:13], v[12:13], 1, v[0:1]
	v_add_u32_e32 v3, 8, v3
	global_store_dwordx4 v[12:13], v[8:11], off
	s_nop 1
	v_mad_u64_u32 v[8:9], s[2:3], v3, s0, 0
	v_lshl_add_u64 v[8:9], v[8:9], 1, v[0:1]
	global_store_dwordx4 v[8:9], v[4:7], off
	s_and_b64 exec, exec, s[4:5]
	s_cbranch_execz .LBB316_22
; %bb.21:
	ds_read_b128 v[2:5], v2 offset:384
	v_add3_u32 v6, s40, v88, 12
	v_mad_u64_u32 v[6:7], s[0:1], v6, s0, 0
	v_lshl_add_u64 v[0:1], v[6:7], 1, v[0:1]
	s_waitcnt lgkmcnt(0)
	global_store_dwordx4 v[0:1], v[2:5], off
.LBB316_22:
	s_endpgm
	.section	.rodata,"a",@progbits
	.p2align	6, 0x0
	.amdhsa_kernel _Z39paged_attention_ll4mi_QKV_mfma16_kernelIDF16_DF16_LN4vllm18Fp8KVCacheDataTypeE0EhLi32ELi128ELi256ELb1ELi13EEvPKT_PKT0_S7_ifPKiS9_S9_iPKfiiiPfSC_PS2_PT2_iSB_SB_
		.amdhsa_group_segment_fixed_size 8192
		.amdhsa_private_segment_fixed_size 0
		.amdhsa_kernarg_size 400
		.amdhsa_user_sgpr_count 2
		.amdhsa_user_sgpr_dispatch_ptr 0
		.amdhsa_user_sgpr_queue_ptr 0
		.amdhsa_user_sgpr_kernarg_segment_ptr 1
		.amdhsa_user_sgpr_dispatch_id 0
		.amdhsa_user_sgpr_kernarg_preload_length 0
		.amdhsa_user_sgpr_kernarg_preload_offset 0
		.amdhsa_user_sgpr_private_segment_size 0
		.amdhsa_uses_dynamic_stack 0
		.amdhsa_enable_private_segment 0
		.amdhsa_system_sgpr_workgroup_id_x 1
		.amdhsa_system_sgpr_workgroup_id_y 1
		.amdhsa_system_sgpr_workgroup_id_z 1
		.amdhsa_system_sgpr_workgroup_info 0
		.amdhsa_system_vgpr_workitem_id 0
		.amdhsa_next_free_vgpr 96
		.amdhsa_next_free_sgpr 42
		.amdhsa_accum_offset 96
		.amdhsa_reserve_vcc 1
		.amdhsa_float_round_mode_32 0
		.amdhsa_float_round_mode_16_64 0
		.amdhsa_float_denorm_mode_32 3
		.amdhsa_float_denorm_mode_16_64 3
		.amdhsa_dx10_clamp 1
		.amdhsa_ieee_mode 1
		.amdhsa_fp16_overflow 0
		.amdhsa_tg_split 0
		.amdhsa_exception_fp_ieee_invalid_op 0
		.amdhsa_exception_fp_denorm_src 0
		.amdhsa_exception_fp_ieee_div_zero 0
		.amdhsa_exception_fp_ieee_overflow 0
		.amdhsa_exception_fp_ieee_underflow 0
		.amdhsa_exception_fp_ieee_inexact 0
		.amdhsa_exception_int_div_zero 0
	.end_amdhsa_kernel
	.section	.text._Z39paged_attention_ll4mi_QKV_mfma16_kernelIDF16_DF16_LN4vllm18Fp8KVCacheDataTypeE0EhLi32ELi128ELi256ELb1ELi13EEvPKT_PKT0_S7_ifPKiS9_S9_iPKfiiiPfSC_PS2_PT2_iSB_SB_,"axG",@progbits,_Z39paged_attention_ll4mi_QKV_mfma16_kernelIDF16_DF16_LN4vllm18Fp8KVCacheDataTypeE0EhLi32ELi128ELi256ELb1ELi13EEvPKT_PKT0_S7_ifPKiS9_S9_iPKfiiiPfSC_PS2_PT2_iSB_SB_,comdat
.Lfunc_end316:
	.size	_Z39paged_attention_ll4mi_QKV_mfma16_kernelIDF16_DF16_LN4vllm18Fp8KVCacheDataTypeE0EhLi32ELi128ELi256ELb1ELi13EEvPKT_PKT0_S7_ifPKiS9_S9_iPKfiiiPfSC_PS2_PT2_iSB_SB_, .Lfunc_end316-_Z39paged_attention_ll4mi_QKV_mfma16_kernelIDF16_DF16_LN4vllm18Fp8KVCacheDataTypeE0EhLi32ELi128ELi256ELb1ELi13EEvPKT_PKT0_S7_ifPKiS9_S9_iPKfiiiPfSC_PS2_PT2_iSB_SB_
                                        ; -- End function
	.section	.AMDGPU.csdata,"",@progbits
; Kernel info:
; codeLenInByte = 4932
; NumSgprs: 48
; NumVgprs: 96
; NumAgprs: 0
; TotalNumVgprs: 96
; ScratchSize: 0
; MemoryBound: 0
; FloatMode: 240
; IeeeMode: 1
; LDSByteSize: 8192 bytes/workgroup (compile time only)
; SGPRBlocks: 5
; VGPRBlocks: 11
; NumSGPRsForWavesPerEU: 48
; NumVGPRsForWavesPerEU: 96
; AccumOffset: 96
; Occupancy: 5
; WaveLimiterHint : 1
; COMPUTE_PGM_RSRC2:SCRATCH_EN: 0
; COMPUTE_PGM_RSRC2:USER_SGPR: 2
; COMPUTE_PGM_RSRC2:TRAP_HANDLER: 0
; COMPUTE_PGM_RSRC2:TGID_X_EN: 1
; COMPUTE_PGM_RSRC2:TGID_Y_EN: 1
; COMPUTE_PGM_RSRC2:TGID_Z_EN: 1
; COMPUTE_PGM_RSRC2:TIDIG_COMP_CNT: 0
; COMPUTE_PGM_RSRC3_GFX90A:ACCUM_OFFSET: 23
; COMPUTE_PGM_RSRC3_GFX90A:TG_SPLIT: 0
	.section	.text._Z39paged_attention_ll4mi_QKV_mfma16_kernelIDF16_DF16_LN4vllm18Fp8KVCacheDataTypeE0EhLi32ELi128ELi256ELb1ELi14EEvPKT_PKT0_S7_ifPKiS9_S9_iPKfiiiPfSC_PS2_PT2_iSB_SB_,"axG",@progbits,_Z39paged_attention_ll4mi_QKV_mfma16_kernelIDF16_DF16_LN4vllm18Fp8KVCacheDataTypeE0EhLi32ELi128ELi256ELb1ELi14EEvPKT_PKT0_S7_ifPKiS9_S9_iPKfiiiPfSC_PS2_PT2_iSB_SB_,comdat
	.protected	_Z39paged_attention_ll4mi_QKV_mfma16_kernelIDF16_DF16_LN4vllm18Fp8KVCacheDataTypeE0EhLi32ELi128ELi256ELb1ELi14EEvPKT_PKT0_S7_ifPKiS9_S9_iPKfiiiPfSC_PS2_PT2_iSB_SB_ ; -- Begin function _Z39paged_attention_ll4mi_QKV_mfma16_kernelIDF16_DF16_LN4vllm18Fp8KVCacheDataTypeE0EhLi32ELi128ELi256ELb1ELi14EEvPKT_PKT0_S7_ifPKiS9_S9_iPKfiiiPfSC_PS2_PT2_iSB_SB_
	.globl	_Z39paged_attention_ll4mi_QKV_mfma16_kernelIDF16_DF16_LN4vllm18Fp8KVCacheDataTypeE0EhLi32ELi128ELi256ELb1ELi14EEvPKT_PKT0_S7_ifPKiS9_S9_iPKfiiiPfSC_PS2_PT2_iSB_SB_
	.p2align	8
	.type	_Z39paged_attention_ll4mi_QKV_mfma16_kernelIDF16_DF16_LN4vllm18Fp8KVCacheDataTypeE0EhLi32ELi128ELi256ELb1ELi14EEvPKT_PKT0_S7_ifPKiS9_S9_iPKfiiiPfSC_PS2_PT2_iSB_SB_,@function
_Z39paged_attention_ll4mi_QKV_mfma16_kernelIDF16_DF16_LN4vllm18Fp8KVCacheDataTypeE0EhLi32ELi128ELi256ELb1ELi14EEvPKT_PKT0_S7_ifPKiS9_S9_iPKfiiiPfSC_PS2_PT2_iSB_SB_: ; @_Z39paged_attention_ll4mi_QKV_mfma16_kernelIDF16_DF16_LN4vllm18Fp8KVCacheDataTypeE0EhLi32ELi128ELi256ELb1ELi14EEvPKT_PKT0_S7_ifPKiS9_S9_iPKfiiiPfSC_PS2_PT2_iSB_SB_
; %bb.0:
	s_load_dwordx2 s[8:9], s[0:1], 0x30
	s_mov_b32 s26, s3
	s_mov_b64 s[6:7], 0
	s_waitcnt lgkmcnt(0)
	s_cmp_lg_u64 s[8:9], 0
	s_cselect_b64 s[10:11], -1, 0
	s_and_b64 vcc, exec, s[10:11]
	s_cbranch_vccz .LBB317_7
; %bb.1:
	s_add_i32 s12, s2, 1
	s_mov_b32 s13, 0
	s_lshl_b64 s[14:15], s[12:13], 2
	s_add_u32 s14, s8, s14
	s_mov_b32 s3, s13
	s_addc_u32 s15, s9, s15
	s_lshl_b64 s[12:13], s[2:3], 2
	s_add_u32 s12, s8, s12
	s_addc_u32 s13, s9, s13
	s_load_dword s5, s[14:15], 0x0
	s_load_dword s16, s[12:13], 0x0
	s_waitcnt lgkmcnt(0)
	s_sub_i32 s5, s5, s16
	s_cmp_eq_u32 s5, 1
	s_cselect_b64 s[12:13], -1, 0
	s_andn2_b64 vcc, exec, s[6:7]
	s_cbranch_vccnz .LBB317_3
.LBB317_2:
	s_mov_b32 s3, 0
	s_mov_b64 s[12:13], -1
.LBB317_3:
	s_andn2_b64 vcc, exec, s[12:13]
	s_cbranch_vccnz .LBB317_22
; %bb.4:
	s_load_dwordx2 s[6:7], s[0:1], 0x28
	s_lshl_b64 s[12:13], s[2:3], 2
	s_waitcnt lgkmcnt(0)
	s_add_u32 s6, s6, s12
	s_addc_u32 s7, s7, s13
	s_load_dword s27, s[6:7], 0x0
	s_lshl_b32 s18, s26, 8
	s_waitcnt lgkmcnt(0)
	s_cmp_ge_i32 s18, s27
	s_cbranch_scc1 .LBB317_22
; %bb.5:
	s_load_dwordx2 s[6:7], s[0:1], 0x20
	s_load_dword s5, s[0:1], 0x38
	s_add_i32 s14, s27, 31
	s_ashr_i32 s15, s14, 31
	v_and_b32_e32 v1, 0xcf, v0
	s_lshr_b32 s15, s15, 27
	v_add_u32_e32 v1, s18, v1
	s_add_i32 s14, s14, s15
	v_ashrrev_i32_e32 v2, 31, v1
	s_ashr_i32 s19, s14, 5
	v_lshrrev_b32_e32 v4, 27, v2
	s_add_i32 s19, s19, -1
	s_waitcnt lgkmcnt(0)
	s_mul_i32 s14, s2, s5
	s_mov_b32 s15, 0
	v_add_u32_e32 v2, v1, v4
	s_lshl_b64 s[14:15], s[14:15], 2
	v_ashrrev_i32_e32 v2, 5, v2
	v_mov_b32_e32 v5, s19
	v_cmp_gt_i32_e32 vcc, s27, v1
	s_add_u32 s6, s6, s14
	s_addc_u32 s7, s7, s15
	v_cndmask_b32_e32 v2, v5, v2, vcc
	v_ashrrev_i32_e32 v3, 31, v2
	v_lshl_add_u64 v[6:7], v[2:3], 2, s[6:7]
	v_or_b32_e32 v2, 16, v1
	v_add_u32_e32 v3, v2, v4
	v_ashrrev_i32_e32 v3, 5, v3
	v_cmp_gt_i32_e32 vcc, s27, v2
	s_nop 1
	v_cndmask_b32_e32 v2, v5, v3, vcc
	v_ashrrev_i32_e32 v3, 31, v2
	v_lshl_add_u64 v[8:9], v[2:3], 2, s[6:7]
	v_or_b32_e32 v2, 32, v1
	v_add_u32_e32 v3, v2, v4
	v_ashrrev_i32_e32 v3, 5, v3
	v_cmp_gt_i32_e32 vcc, s27, v2
	v_or_b32_e32 v1, 48, v1
	s_nop 0
	v_cndmask_b32_e32 v2, v5, v3, vcc
	v_ashrrev_i32_e32 v3, 31, v2
	v_lshl_add_u64 v[10:11], v[2:3], 2, s[6:7]
	v_add_u32_e32 v2, v1, v4
	v_ashrrev_i32_e32 v2, 5, v2
	v_cmp_gt_i32_e32 vcc, s27, v1
	s_nop 1
	v_cndmask_b32_e32 v2, v5, v2, vcc
	v_ashrrev_i32_e32 v3, 31, v2
	v_lshl_add_u64 v[12:13], v[2:3], 2, s[6:7]
	global_load_dword v5, v[6:7], off
	global_load_dword v4, v[8:9], off
	;; [unrolled: 1-line block ×4, first 2 shown]
	s_andn2_b64 vcc, exec, s[10:11]
	s_cbranch_vccnz .LBB317_8
; %bb.6:
	s_add_u32 s8, s8, s12
	s_addc_u32 s9, s9, s13
	s_load_dword s5, s[8:9], 0x0
	s_branch .LBB317_9
.LBB317_7:
	s_mov_b64 s[12:13], 0
	s_branch .LBB317_2
.LBB317_8:
	s_mov_b32 s5, s2
.LBB317_9:
	s_load_dwordx2 s[14:15], s[0:1], 0x8
	s_load_dwordx4 s[8:11], s[0:1], 0x48
	v_lshrrev_b32_e32 v88, 6, v0
	v_bfe_u32 v1, v0, 4, 2
	v_lshl_or_b32 v6, v88, 2, v1
	v_and_b32_e32 v84, 15, v0
	v_lshlrev_b32_e32 v82, 3, v84
	v_cmp_lt_u32_e32 vcc, 13, v6
	s_and_saveexec_b64 s[12:13], vcc
	s_xor_b64 s[12:13], exec, s[12:13]
; %bb.10:
	v_mov_b32_e32 v83, 0
                                        ; implicit-def: $vgpr6
; %bb.11:
	s_or_saveexec_b64 s[16:17], s[12:13]
	s_load_dwordx2 s[12:13], s[0:1], 0x10
	s_mul_i32 s40, s4, 14
	s_xor_b64 exec, exec, s[16:17]
	s_cbranch_execz .LBB317_13
; %bb.12:
	s_load_dwordx2 s[20:21], s[0:1], 0x0
	s_waitcnt lgkmcnt(0)
	s_ashr_i32 s11, s8, 31
	s_mul_hi_u32 s22, s5, s8
	s_mul_i32 s11, s5, s11
	s_add_i32 s23, s22, s11
	s_mul_i32 s22, s5, s8
	s_lshl_b64 s[22:23], s[22:23], 1
	s_add_u32 s20, s20, s22
	v_add_lshl_u32 v8, v6, s40, 7
	s_addc_u32 s21, s21, s23
	v_ashrrev_i32_e32 v9, 31, v8
	v_mov_b32_e32 v83, 0
	v_lshl_add_u64 v[8:9], v[8:9], 1, s[20:21]
	v_lshlrev_b32_e32 v10, 1, v82
	v_mov_b32_e32 v11, v83
	v_lshl_add_u64 v[8:9], v[8:9], 0, v[10:11]
	global_load_dwordx4 v[8:11], v[8:9], off
	v_and_b32_e32 v7, 3, v0
	v_lshlrev_b32_e32 v12, 9, v84
	v_lshlrev_b32_e32 v6, 5, v6
	;; [unrolled: 1-line block ×3, first 2 shown]
	v_and_b32_e32 v12, 0x1800, v12
	v_or3_b32 v6, v12, v7, v6
	s_waitcnt vmcnt(0)
	ds_write_b128 v6, v[8:11]
.LBB317_13:
	s_or_b64 exec, exec, s[16:17]
	s_waitcnt lgkmcnt(0)
	s_mul_i32 s4, s4, s10
	s_mov_b32 s5, 0
	s_lshl_b64 s[4:5], s[4:5], 1
	s_add_u32 s10, s14, s4
	s_addc_u32 s11, s15, s5
	s_waitcnt vmcnt(3)
	v_mad_i64_i32 v[6:7], s[14:15], v5, s9, 0
	v_lshl_add_u64 v[6:7], v[6:7], 1, s[10:11]
	v_lshlrev_b64 v[8:9], 1, v[82:83]
	v_lshlrev_b32_e32 v86, 9, v1
	v_lshl_add_u64 v[6:7], v[6:7], 0, v[8:9]
	v_mov_b32_e32 v87, 0
	v_lshl_add_u64 v[10:11], v[6:7], 0, v[86:87]
	v_or_b32_e32 v14, 0x1000, v86
	v_mov_b32_e32 v15, v87
	v_or_b32_e32 v16, 0x1800, v86
	v_mov_b32_e32 v17, v87
	s_barrier
	global_load_dwordx4 v[66:69], v[10:11], off
	global_load_dwordx4 v[62:65], v[10:11], off offset:2048
	v_lshl_add_u64 v[10:11], v[6:7], 0, v[14:15]
	v_lshl_add_u64 v[6:7], v[6:7], 0, v[16:17]
	global_load_dwordx4 v[78:81], v[10:11], off
	global_load_dwordx4 v[74:77], v[6:7], off
	s_waitcnt vmcnt(6)
	v_mad_i64_i32 v[4:5], s[14:15], v4, s9, 0
	v_mov_b32_e32 v6, 0x100
	v_lshl_add_u64 v[4:5], v[4:5], 1, s[10:11]
	v_lshl_or_b32 v6, v84, 4, v6
	v_mov_b32_e32 v7, v87
	v_lshl_add_u64 v[4:5], v[4:5], 0, v[6:7]
	v_lshl_add_u64 v[10:11], v[4:5], 0, v[86:87]
	global_load_dwordx4 v[70:73], v[10:11], off
	global_load_dwordx4 v[58:61], v[10:11], off offset:2048
	v_lshl_add_u64 v[10:11], v[4:5], 0, v[14:15]
	v_lshl_add_u64 v[4:5], v[4:5], 0, v[16:17]
	global_load_dwordx4 v[54:57], v[10:11], off
	global_load_dwordx4 v[30:33], v[4:5], off
	s_waitcnt vmcnt(9)
	v_mad_i64_i32 v[4:5], s[14:15], v3, s9, 0
	v_lshl_add_u64 v[4:5], v[4:5], 1, s[10:11]
	s_waitcnt vmcnt(8)
	v_mad_i64_i32 v[2:3], s[14:15], v2, s9, 0
	v_lshl_add_u64 v[4:5], v[4:5], 0, v[8:9]
	v_lshl_add_u64 v[2:3], v[2:3], 1, s[10:11]
	;; [unrolled: 1-line block ×4, first 2 shown]
	global_load_dwordx4 v[26:29], v[8:9], off
	global_load_dwordx4 v[22:25], v[8:9], off offset:2048
	v_lshl_add_u64 v[8:9], v[4:5], 0, v[14:15]
	v_lshl_add_u64 v[4:5], v[4:5], 0, v[16:17]
	;; [unrolled: 1-line block ×4, first 2 shown]
	global_load_dwordx4 v[18:21], v[8:9], off
	global_load_dwordx4 v[10:13], v[4:5], off
	s_nop 0
	global_load_dwordx4 v[6:9], v[2:3], off
	s_nop 0
	global_load_dwordx4 v[2:5], v[2:3], off offset:2048
	v_lshl_add_u64 v[16:17], v[34:35], 0, v[16:17]
	global_load_dwordx4 v[38:41], v[14:15], off
	global_load_dwordx4 v[34:37], v[16:17], off
	v_add_u32_e32 v14, -14, v84
	v_cmp_gt_u32_e32 vcc, 14, v84
	v_and_b32_e32 v85, 63, v0
	v_mov_b32_e32 v89, 0
	v_cndmask_b32_e32 v14, v14, v84, vcc
	v_lshl_add_u32 v42, v14, 5, v86
	ds_read_b128 v[14:17], v42
	ds_read_b128 v[50:53], v42 offset:2048
	ds_read_b128 v[46:49], v42 offset:4096
	ds_read_b128 v[42:45], v42 offset:6144
	s_and_saveexec_b64 s[10:11], vcc
	s_cbranch_execz .LBB317_15
; %bb.14:
	s_load_dwordx2 s[14:15], s[0:1], 0x40
	v_add_u32_e32 v90, s40, v84
	v_ashrrev_i32_e32 v91, 31, v90
	s_waitcnt lgkmcnt(0)
	v_lshl_add_u64 v[90:91], v[90:91], 2, s[14:15]
	global_load_dword v89, v[90:91], off
.LBB317_15:
	s_or_b64 exec, exec, s[10:11]
	s_waitcnt vmcnt(15) lgkmcnt(3)
	v_mfma_f32_16x16x16_f16 v[90:93], v[66:67], v[14:15], 0
	s_ashr_i32 s8, s18, 31
	s_lshr_b32 s8, s8, 27
	s_add_u32 s4, s12, s4
	v_mfma_f32_16x16x16_f16 v[66:69], v[68:69], v[16:17], v[90:93]
	s_addc_u32 s5, s13, s5
	s_mov_b32 s33, 0xff7fffff
	s_waitcnt vmcnt(14) lgkmcnt(2)
	v_mfma_f32_16x16x16_f16 v[66:69], v[62:63], v[50:51], v[66:69]
	v_lshl_or_b32 v90, v88, 4, v84
	v_mfma_f32_16x16x16_f16 v[62:65], v[64:65], v[52:53], v[66:69]
	s_waitcnt vmcnt(13) lgkmcnt(1)
	v_mfma_f32_16x16x16_f16 v[62:65], v[78:79], v[46:47], v[62:65]
	v_mfma_f32_16x16x16_f16 v[62:65], v[80:81], v[48:49], v[62:65]
	s_waitcnt vmcnt(12) lgkmcnt(0)
	v_mfma_f32_16x16x16_f16 v[62:65], v[74:75], v[42:43], v[62:65]
	v_and_or_b32 v74, v0, 48, s18
	v_add_u32_e32 v66, s8, v74
	v_ashrrev_i32_e32 v75, 5, v66
	s_waitcnt vmcnt(11)
	v_mfma_f32_16x16x16_f16 v[66:69], v[70:71], v[14:15], 0
	v_cmp_gt_i32_e32 vcc, s27, v74
	v_mfma_f32_16x16x16_f16 v[66:69], v[72:73], v[16:17], v[66:69]
	v_or_b32_e32 v72, 64, v74
	v_add_u32_e32 v73, s8, v72
	s_waitcnt vmcnt(10)
	v_mfma_f32_16x16x16_f16 v[66:69], v[58:59], v[50:51], v[66:69]
	v_ashrrev_i32_e32 v58, 5, v73
	v_mfma_f32_16x16x16_f16 v[62:65], v[76:77], v[44:45], v[62:65]
	v_mov_b32_e32 v76, s19
	v_cndmask_b32_e32 v70, v76, v75, vcc
	v_cmp_gt_i32_e32 vcc, s27, v72
	v_ashrrev_i32_e32 v71, 31, v70
	v_lshl_add_u64 v[70:71], v[70:71], 2, s[6:7]
	v_cndmask_b32_e32 v72, v76, v58, vcc
	v_mfma_f32_16x16x16_f16 v[58:61], v[60:61], v[52:53], v[66:69]
	v_ashrrev_i32_e32 v73, 31, v72
	s_waitcnt vmcnt(9)
	v_mfma_f32_16x16x16_f16 v[58:61], v[54:55], v[46:47], v[58:61]
	v_lshl_add_u64 v[66:67], v[72:73], 2, s[6:7]
	global_load_dword v72, v[70:71], off
	global_load_dword v75, v[66:67], off
	v_or_b32_e32 v66, 0x80, v74
	v_add_u32_e32 v67, s8, v66
	v_mfma_f32_16x16x16_f16 v[54:57], v[56:57], v[48:49], v[58:61]
	v_cmp_gt_i32_e32 vcc, s27, v66
	s_nop 1
	v_ashrrev_i32_e32 v58, 5, v67
	v_cndmask_b32_e32 v58, v76, v58, vcc
	v_ashrrev_i32_e32 v59, 31, v58
	s_waitcnt vmcnt(10)
	v_mfma_f32_16x16x16_f16 v[54:57], v[30:31], v[42:43], v[54:57]
	v_lshl_add_u64 v[30:31], v[58:59], 2, s[6:7]
	global_load_dword v58, v[30:31], off
	v_mfma_f32_16x16x16_f16 v[66:69], v[32:33], v[44:45], v[54:57]
	s_nop 3
	v_or_b32_e32 v54, 0xc0, v74
	v_add_u32_e32 v30, s8, v54
	v_ashrrev_i32_e32 v55, 5, v30
	v_cmp_gt_i32_e32 vcc, s27, v54
	s_waitcnt vmcnt(10)
	v_mfma_f32_16x16x16_f16 v[30:33], v[26:27], v[14:15], 0
	v_cndmask_b32_e32 v26, v76, v55, vcc
	v_ashrrev_i32_e32 v27, 31, v26
	v_lshl_add_u64 v[54:55], v[26:27], 2, s[6:7]
	global_load_dword v59, v[54:55], off
	v_mfma_f32_16x16x16_f16 v[26:29], v[28:29], v[16:17], v[30:33]
	s_load_dword s6, s[0:1], 0x1c
	s_waitcnt lgkmcnt(0)
	v_pk_mul_f32 v[76:77], s[6:7], v[66:67] op_sel_hi:[0,1]
	s_waitcnt vmcnt(10)
	v_mfma_f32_16x16x16_f16 v[26:29], v[22:23], v[50:51], v[26:29]
	v_and_b32_e32 v30, 16, v0
	v_lshlrev_b32_e32 v86, 1, v30
	v_lshl_add_u64 v[60:61], s[4:5], 0, v[86:87]
	v_mfma_f32_16x16x16_f16 v[22:25], v[24:25], v[52:53], v[26:29]
	v_lshlrev_b32_e32 v86, 6, v90
	v_lshl_add_u64 v[70:71], v[60:61], 0, v[86:87]
	v_or_b32_e32 v86, 0x1000, v86
	s_waitcnt vmcnt(9)
	v_mfma_f32_16x16x16_f16 v[22:25], v[18:19], v[46:47], v[22:25]
	v_lshl_add_u64 v[80:81], v[60:61], 0, v[86:87]
	v_pk_mul_f32 v[78:79], s[6:7], v[64:65] op_sel_hi:[0,1]
	v_pk_mul_f32 v[60:61], s[6:7], v[62:63] op_sel_hi:[0,1]
	v_mfma_f32_16x16x16_f16 v[18:21], v[20:21], v[48:49], v[22:25]
	s_waitcnt vmcnt(8)
	v_mfma_f32_16x16x16_f16 v[18:21], v[10:11], v[42:43], v[18:21]
	s_waitcnt vmcnt(3)
	v_mad_i64_i32 v[22:23], s[4:5], v72, s9, 0
	s_waitcnt vmcnt(2)
	v_mad_i64_i32 v[10:11], s[4:5], v75, s9, 0
	v_lshlrev_b64 v[72:73], 1, v[22:23]
	v_lshlrev_b64 v[54:55], 1, v[10:11]
	v_lshl_add_u64 v[22:23], v[70:71], 0, v[72:73]
	v_lshl_add_u64 v[10:11], v[70:71], 0, v[54:55]
	global_load_dwordx4 v[30:33], v[22:23], off
	global_load_dwordx4 v[26:29], v[22:23], off offset:16
	v_mfma_f32_16x16x16_f16 v[92:95], v[12:13], v[44:45], v[18:21]
	global_load_dwordx4 v[22:25], v[10:11], off
	s_nop 1
	global_load_dwordx4 v[18:21], v[10:11], off offset:16
	v_pk_mul_f32 v[74:75], s[6:7], v[68:69] op_sel_hi:[0,1]
	v_mfma_f32_16x16x16_f16 v[10:13], v[6:7], v[14:15], 0
	s_waitcnt vmcnt(5)
	v_mad_i64_i32 v[6:7], s[4:5], v58, s9, 0
	v_lshlrev_b64 v[56:57], 1, v[6:7]
	v_mfma_f32_16x16x16_f16 v[6:9], v[8:9], v[16:17], v[10:13]
	v_mfma_f32_16x16x16_f16 v[6:9], v[2:3], v[50:51], v[6:9]
	s_nop 1
	v_lshl_add_u64 v[10:11], v[70:71], 0, v[56:57]
	global_load_dwordx4 v[14:17], v[10:11], off
	s_nop 0
	global_load_dwordx4 v[10:13], v[10:11], off offset:16
	s_waitcnt vmcnt(6)
	v_mad_i64_i32 v[2:3], s[4:5], v59, s9, 0
	v_mfma_f32_16x16x16_f16 v[50:53], v[4:5], v[52:53], v[6:9]
	v_lshlrev_b64 v[58:59], 1, v[2:3]
	v_lshl_add_u64 v[2:3], v[70:71], 0, v[58:59]
	v_pk_mul_f32 v[70:71], s[6:7], v[94:95] op_sel_hi:[0,1]
	v_mfma_f32_16x16x16_f16 v[50:53], v[38:39], v[46:47], v[50:53]
	v_lshl_add_u64 v[38:39], v[80:81], 0, v[72:73]
	v_pk_mul_f32 v[72:73], s[6:7], v[92:93] op_sel_hi:[0,1]
	v_lshl_add_u64 v[58:59], v[80:81], 0, v[58:59]
	v_mfma_f32_16x16x16_f16 v[46:49], v[40:41], v[48:49], v[50:53]
	global_load_dwordx4 v[6:9], v[2:3], off
	s_nop 0
	global_load_dwordx4 v[2:5], v[2:3], off offset:16
	v_mfma_f32_16x16x16_f16 v[40:43], v[34:35], v[42:43], v[46:49]
	v_mfma_f32_16x16x16_f16 v[34:37], v[36:37], v[44:45], v[40:43]
	s_nop 6
	v_pk_mul_f32 v[68:69], s[6:7], v[34:35] op_sel_hi:[0,1]
	v_and_b32_e32 v34, 0xc0, v0
	v_add_u32_e32 v34, s18, v34
	v_lshl_or_b32 v34, v1, 2, v34
	v_or_b32_e32 v35, 1, v34
	v_pk_mul_f32 v[66:67], s[6:7], v[36:37] op_sel_hi:[0,1]
	v_subrev_u32_e32 v36, s27, v35
	v_add_u32_e32 v40, 1, v36
	v_add_u32_e32 v41, 2, v36
	v_cvt_f32_i32_e32 v37, v36
	v_cvt_f32_i32_e32 v40, v40
	;; [unrolled: 1-line block ×3, first 2 shown]
	v_add_u32_e32 v42, 3, v36
	v_fma_f32 v60, v89, v37, v60
	v_fmac_f32_e32 v61, v89, v40
	v_fma_f32 v78, v89, v41, v78
	v_add_u32_e32 v37, 16, v36
	v_add_u32_e32 v40, 17, v36
	;; [unrolled: 1-line block ×3, first 2 shown]
	v_cvt_f32_i32_e32 v42, v42
	v_cvt_f32_i32_e32 v37, v37
	;; [unrolled: 1-line block ×4, first 2 shown]
	v_fmac_f32_e32 v79, v89, v42
	v_add_u32_e32 v42, 19, v36
	v_fma_f32 v76, v89, v37, v76
	v_fmac_f32_e32 v77, v89, v40
	v_fma_f32 v74, v89, v41, v74
	v_add_u32_e32 v37, 32, v36
	v_add_u32_e32 v40, 33, v36
	;; [unrolled: 1-line block ×3, first 2 shown]
	v_cvt_f32_i32_e32 v42, v42
	v_cvt_f32_i32_e32 v37, v37
	;; [unrolled: 1-line block ×4, first 2 shown]
	v_fmac_f32_e32 v75, v89, v42
	v_add_u32_e32 v42, 35, v36
	v_fma_f32 v72, v89, v37, v72
	v_fmac_f32_e32 v73, v89, v40
	v_fma_f32 v70, v89, v41, v70
	v_add_u32_e32 v37, 48, v36
	v_add_u32_e32 v40, 49, v36
	v_add_u32_e32 v41, 50, v36
	v_add_u32_e32 v36, 51, v36
	v_cvt_f32_i32_e32 v36, v36
	v_cvt_f32_i32_e32 v37, v37
	;; [unrolled: 1-line block ×3, first 2 shown]
	v_cmp_gt_i32_e64 s[28:29], s27, v34
	v_fmac_f32_e32 v67, v89, v36
	v_mov_b32_e32 v36, 0xff7fffff
	v_cmp_gt_i32_e64 s[30:31], s27, v35
	v_fma_f32 v68, v89, v37, v68
	v_cndmask_b32_e64 v37, v36, v60, s[28:29]
	v_cndmask_b32_e64 v35, v36, v61, s[30:31]
	v_fmac_f32_e32 v69, v89, v40
	v_max3_f32 v35, v37, s33, v35
	v_or_b32_e32 v37, 2, v34
	v_or_b32_e32 v40, 3, v34
	v_cmp_gt_i32_e64 s[34:35], s27, v37
	v_cmp_gt_i32_e64 s[36:37], s27, v40
	v_cvt_f32_i32_e32 v42, v42
	v_cndmask_b32_e64 v37, v36, v78, s[34:35]
	v_cndmask_b32_e64 v40, v36, v79, s[36:37]
	v_max3_f32 v35, v35, v37, v40
	v_or_b32_e32 v37, 16, v34
	v_or_b32_e32 v40, 17, v34
	v_cmp_gt_i32_e64 s[22:23], s27, v37
	v_cmp_gt_i32_e64 s[24:25], s27, v40
	v_fmac_f32_e32 v71, v89, v42
	v_cndmask_b32_e64 v37, v36, v76, s[22:23]
	v_cndmask_b32_e64 v40, v36, v77, s[24:25]
	v_max3_f32 v35, v35, v37, v40
	v_or_b32_e32 v37, 18, v34
	v_or_b32_e32 v40, 19, v34
	v_cmp_gt_i32_e64 s[18:19], s27, v37
	v_cmp_gt_i32_e64 s[20:21], s27, v40
	v_cvt_f32_i32_e32 v41, v41
	v_cndmask_b32_e64 v37, v36, v74, s[18:19]
	v_cndmask_b32_e64 v40, v36, v75, s[20:21]
	v_max3_f32 v35, v35, v37, v40
	v_or_b32_e32 v37, 32, v34
	v_or_b32_e32 v40, 33, v34
	v_cmp_gt_i32_e64 s[14:15], s27, v37
	v_cmp_gt_i32_e64 s[16:17], s27, v40
	v_fma_f32 v66, v89, v41, v66
	v_cndmask_b32_e64 v37, v36, v72, s[14:15]
	v_cndmask_b32_e64 v40, v36, v73, s[16:17]
	v_max3_f32 v35, v35, v37, v40
	v_or_b32_e32 v37, 34, v34
	v_or_b32_e32 v40, 35, v34
	v_cmp_gt_i32_e64 s[10:11], s27, v37
	v_cmp_gt_i32_e64 s[12:13], s27, v40
	s_nop 0
	v_cndmask_b32_e64 v37, v36, v70, s[10:11]
	v_cndmask_b32_e64 v40, v36, v71, s[12:13]
	v_max3_f32 v35, v35, v37, v40
	v_or_b32_e32 v37, 48, v34
	v_or_b32_e32 v40, 49, v34
	v_cmp_gt_i32_e64 s[6:7], s27, v37
	v_cmp_gt_i32_e64 s[8:9], s27, v40
	s_nop 0
	v_cndmask_b32_e64 v37, v36, v68, s[6:7]
	v_cndmask_b32_e64 v40, v36, v69, s[8:9]
	v_max3_f32 v35, v35, v37, v40
	v_or_b32_e32 v37, 50, v34
	v_or_b32_e32 v34, 51, v34
	v_cmp_gt_i32_e32 vcc, s27, v37
	v_cmp_gt_i32_e64 s[4:5], s27, v34
	global_load_dwordx4 v[46:49], v[38:39], off
	s_nop 0
	global_load_dwordx4 v[38:41], v[38:39], off offset:16
	v_cndmask_b32_e32 v37, v36, v66, vcc
	v_cndmask_b32_e64 v34, v36, v67, s[4:5]
	v_max3_f32 v50, v35, v37, v34
	v_mbcnt_lo_u32_b32 v34, -1, 0
	v_mbcnt_hi_u32_b32 v51, -1, v34
	v_and_b32_e32 v34, 64, v51
	v_add_u32_e32 v52, 64, v34
	v_xor_b32_e32 v34, 32, v51
	v_cmp_lt_i32_e64 s[38:39], v34, v52
	s_nop 1
	v_cndmask_b32_e64 v34, v51, v34, s[38:39]
	v_lshlrev_b32_e32 v87, 2, v34
	ds_bpermute_b32 v53, v87, v50
	v_lshl_add_u64 v[34:35], v[80:81], 0, v[54:55]
	global_load_dwordx4 v[42:45], v[34:35], off
	s_nop 0
	global_load_dwordx4 v[34:37], v[34:35], off offset:16
	s_waitcnt lgkmcnt(0)
	v_max_f32_e32 v53, v53, v53
	v_max_f32_e32 v62, v50, v53
	v_xor_b32_e32 v50, 16, v51
	v_cmp_lt_i32_e64 s[38:39], v50, v52
	s_nop 1
	v_cndmask_b32_e64 v50, v51, v50, s[38:39]
	v_lshlrev_b32_e32 v89, 2, v50
	ds_bpermute_b32 v63, v89, v62
	v_lshl_add_u64 v[50:51], v[80:81], 0, v[56:57]
	global_load_dwordx4 v[54:57], v[50:51], off
	s_nop 0
	global_load_dwordx4 v[50:53], v[50:51], off offset:16
	s_waitcnt lgkmcnt(0)
	v_max_f32_e32 v63, v63, v63
	v_max_f32_e32 v86, v62, v63
	v_sub_f32_e32 v60, v60, v86
	v_mul_f32_e32 v60, 0x3fb8aa3b, v60
	v_exp_f32_e32 v80, v60
	v_sub_f32_e32 v60, v61, v86
	v_mul_f32_e32 v60, 0x3fb8aa3b, v60
	v_exp_f32_e32 v81, v60
	global_load_dwordx4 v[62:65], v[58:59], off
	s_nop 0
	global_load_dwordx4 v[58:61], v[58:59], off offset:16
	v_sub_f32_e32 v78, v78, v86
	v_mul_f32_e32 v78, 0x3fb8aa3b, v78
	v_sub_f32_e32 v79, v79, v86
	v_exp_f32_e32 v78, v78
	v_mul_f32_e32 v79, 0x3fb8aa3b, v79
	v_sub_f32_e32 v76, v76, v86
	v_exp_f32_e32 v79, v79
	v_mul_f32_e32 v76, 0x3fb8aa3b, v76
	v_sub_f32_e32 v77, v77, v86
	v_cndmask_b32_e64 v80, 0, v80, s[28:29]
	v_exp_f32_e32 v76, v76
	v_mul_f32_e32 v77, 0x3fb8aa3b, v77
	v_sub_f32_e32 v74, v74, v86
	v_add_f32_e32 v91, 0, v80
	v_cndmask_b32_e64 v81, 0, v81, s[30:31]
	v_exp_f32_e32 v77, v77
	v_mul_f32_e32 v74, 0x3fb8aa3b, v74
	v_sub_f32_e32 v75, v75, v86
	v_add_f32_e32 v91, v91, v81
	;; [unrolled: 5-line block ×10, first 2 shown]
	v_cndmask_b32_e64 v70, 0, v70, s[10:11]
	v_exp_f32_e32 v66, v66
	v_mul_f32_e32 v67, 0x3fb8aa3b, v67
	v_add_f32_e32 v91, v91, v70
	v_cndmask_b32_e64 v71, 0, v71, s[12:13]
	v_exp_f32_e32 v67, v67
	v_add_f32_e32 v91, v91, v71
	v_cndmask_b32_e64 v68, 0, v68, s[6:7]
	v_add_f32_e32 v91, v91, v68
	v_cndmask_b32_e64 v69, 0, v69, s[8:9]
	v_add_f32_e32 v91, v91, v69
	v_cndmask_b32_e32 v66, 0, v66, vcc
	v_add_f32_e32 v91, v91, v66
	v_cndmask_b32_e64 v67, 0, v67, s[4:5]
	v_add_f32_e32 v91, v91, v67
	ds_bpermute_b32 v87, v87, v91
	s_load_dword s7, s[0:1], 0x98
	v_cmp_gt_u32_e32 vcc, 16, v85
	s_waitcnt lgkmcnt(0)
	s_barrier
	v_add_f32_e32 v87, v91, v87
	ds_bpermute_b32 v89, v89, v87
	s_waitcnt lgkmcnt(0)
	s_and_saveexec_b64 s[4:5], vcc
	s_cbranch_execz .LBB317_17
; %bb.16:
	v_add_f32_e32 v85, v87, v89
	v_lshlrev_b32_e32 v87, 2, v90
	ds_write2st64_b32 v87, v86, v85 offset1:1
.LBB317_17:
	s_or_b64 exec, exec, s[4:5]
	v_lshlrev_b32_e32 v85, 2, v84
	s_load_dword s6, s[0:1], 0x94
	s_waitcnt lgkmcnt(0)
	s_barrier
	ds_read2_b32 v[90:91], v85 offset1:16
	ds_read2_b32 v[92:93], v85 offset0:32 offset1:48
	ds_read2_b32 v[94:95], v85 offset0:64 offset1:80
	s_mul_i32 s7, s7, 14
	s_waitcnt lgkmcnt(2)
	v_max3_f32 v86, v90, s33, v91
	s_waitcnt lgkmcnt(1)
	v_max3_f32 v86, v86, v92, v93
	v_sub_f32_e32 v87, v90, v86
	v_mul_f32_e32 v87, 0x3fb8aa3b, v87
	v_exp_f32_e32 v89, v87
	v_sub_f32_e32 v87, v91, v86
	v_mul_f32_e32 v87, 0x3fb8aa3b, v87
	v_exp_f32_e32 v88, v87
	v_sub_f32_e32 v87, v92, v86
	v_mul_f32_e32 v87, 0x3fb8aa3b, v87
	ds_read2_b32 v[90:91], v85 offset0:96 offset1:112
	v_sub_f32_e32 v85, v93, v86
	v_exp_f32_e32 v92, v87
	v_mul_f32_e32 v85, 0x3fb8aa3b, v85
	v_exp_f32_e32 v85, v85
	s_waitcnt lgkmcnt(1)
	v_fma_f32 v87, v89, v94, 0
	v_fmac_f32_e32 v87, v88, v95
	s_waitcnt lgkmcnt(0)
	v_fmac_f32_e32 v87, v92, v90
	v_fmac_f32_e32 v87, v85, v91
	v_add_f32_e32 v90, 0x358637bd, v87
	v_div_scale_f32 v91, s[4:5], v90, v90, 1.0
	v_rcp_f32_e32 v93, v91
	s_barrier
	v_fma_f32 v94, -v91, v93, 1.0
	v_fmac_f32_e32 v93, v94, v93
	v_div_scale_f32 v94, vcc, 1.0, v90, 1.0
	v_mul_f32_e32 v95, v94, v93
	v_fma_f32 v1, -v91, v95, v94
	v_fmac_f32_e32 v95, v1, v93
	v_fma_f32 v1, -v91, v95, v94
	v_lshrrev_b32_e32 v91, 6, v0
	v_div_fmas_f32 v1, v1, v93, v95
	v_cmp_eq_u32_e32 vcc, 1, v91
	v_div_fixup_f32 v1, v1, v90, 1.0
	s_nop 0
	v_cndmask_b32_e32 v88, v89, v88, vcc
	v_cmp_eq_u32_e32 vcc, 2, v91
	s_nop 1
	v_cndmask_b32_e32 v88, v88, v92, vcc
	v_cmp_eq_u32_e32 vcc, 3, v91
	s_nop 1
	v_cndmask_b32_e32 v85, v88, v85, vcc
	v_mul_f32_e32 v90, v85, v1
	v_pk_mul_f32 v[78:79], v[90:91], v[78:79] op_sel_hi:[0,1]
	v_cvt_f16_f32_e32 v78, v78
	v_cvt_f16_f32_e32 v79, v79
	v_pk_mul_f32 v[80:81], v[90:91], v[80:81] op_sel_hi:[0,1]
	v_cvt_f16_f32_e32 v1, v80
	v_cvt_f16_f32_e32 v80, v81
	v_pk_mul_f32 v[74:75], v[90:91], v[74:75] op_sel_hi:[0,1]
	v_pk_mul_f32 v[76:77], v[90:91], v[76:77] op_sel_hi:[0,1]
	v_pack_b32_f16 v81, v78, v79
	v_cvt_f16_f32_e32 v76, v76
	v_cvt_f16_f32_e32 v77, v77
	;; [unrolled: 1-line block ×4, first 2 shown]
	v_bfe_u32 v88, v0, 4, 2
	v_pack_b32_f16 v80, v1, v80
	v_lshlrev_b32_e32 v1, 3, v88
	v_lshlrev_b32_e32 v78, 5, v84
	;; [unrolled: 1-line block ×3, first 2 shown]
	v_or3_b32 v1, v74, v78, v1
	v_pack_b32_f16 v74, v76, v77
	v_pack_b32_f16 v75, v79, v75
	v_pk_mul_f32 v[70:71], v[90:91], v[70:71] op_sel_hi:[0,1]
	v_pk_mul_f32 v[72:73], v[90:91], v[72:73] op_sel_hi:[0,1]
	;; [unrolled: 1-line block ×4, first 2 shown]
	ds_write2st64_b64 v1, v[80:81], v[74:75] offset1:1
	v_cvt_f16_f32_e32 v72, v72
	v_cvt_f16_f32_e32 v73, v73
	;; [unrolled: 1-line block ×8, first 2 shown]
	v_pack_b32_f16 v66, v72, v73
	v_pack_b32_f16 v67, v70, v71
	;; [unrolled: 1-line block ×4, first 2 shown]
	v_cmp_gt_u32_e32 vcc, 14, v0
	ds_write2st64_b64 v1, v[66:67], v[68:69] offset0:2 offset1:3
	s_and_saveexec_b64 s[4:5], vcc
	s_cbranch_execz .LBB317_19
; %bb.18:
	s_mov_b32 s41, 0
	v_mov_b32_e32 v85, 0
	v_lshl_add_u64 v[66:67], s[40:41], 0, v[84:85]
	v_mov_b32_e32 v68, s7
	v_mad_u64_u32 v[66:67], s[12:13], s2, v68, v[66:67]
	s_mul_i32 s3, s3, s7
	v_mov_b32_e32 v68, s26
	v_mov_b32_e32 v69, v85
	s_load_dwordx4 s[8:11], s[0:1], 0x58
	v_add_u32_e32 v70, s3, v67
	v_mad_u64_u32 v[66:67], s[12:13], v66, s6, v[68:69]
	v_mov_b32_e32 v68, v67
	v_mad_u64_u32 v[68:69], s[12:13], v70, s6, v[68:69]
	v_mov_b32_e32 v67, v68
	v_lshlrev_b64 v[66:67], 2, v[66:67]
	s_waitcnt lgkmcnt(0)
	v_lshl_add_u64 v[68:69], s[10:11], 0, v[66:67]
	v_lshl_add_u64 v[66:67], s[8:9], 0, v[66:67]
	global_store_dword v[68:69], v86, off
	global_store_dword v[66:67], v87, off
.LBB317_19:
	s_or_b64 exec, exec, s[4:5]
	v_lshl_or_b32 v78, v88, 9, v78
	s_waitcnt lgkmcnt(0)
	s_barrier
	ds_read_b128 v[70:73], v78
	ds_read_b128 v[66:69], v78 offset:16
	s_waitcnt vmcnt(15) lgkmcnt(1)
	v_mfma_f32_16x16x16_f16 v[74:77], v[30:31], v[70:71], 0
	s_mov_b32 s3, 0
	v_cmp_gt_u32_e32 vcc, 64, v0
	v_mfma_f32_16x16x16_f16 v[30:33], v[32:33], v[72:73], v[74:77]
	s_waitcnt vmcnt(14) lgkmcnt(0)
	v_mfma_f32_16x16x16_f16 v[30:33], v[26:27], v[66:67], v[30:33]
	v_mfma_f32_16x16x16_f16 v[26:29], v[28:29], v[68:69], v[30:33]
	s_nop 5
	ds_read_b128 v[30:33], v78 offset:2048
	ds_read_b128 v[74:77], v78 offset:2064
	s_waitcnt vmcnt(13) lgkmcnt(1)
	v_mfma_f32_16x16x16_f16 v[26:29], v[22:23], v[30:31], v[26:29]
	v_mfma_f32_16x16x16_f16 v[22:25], v[24:25], v[32:33], v[26:29]
	s_waitcnt vmcnt(12) lgkmcnt(0)
	v_mfma_f32_16x16x16_f16 v[22:25], v[18:19], v[74:75], v[22:25]
	v_mfma_f32_16x16x16_f16 v[18:21], v[20:21], v[76:77], v[22:25]
	s_nop 5
	ds_read_b128 v[22:25], v78 offset:4096
	ds_read_b128 v[26:29], v78 offset:4112
	s_waitcnt vmcnt(11) lgkmcnt(1)
	v_mfma_f32_16x16x16_f16 v[18:21], v[14:15], v[22:23], v[18:21]
	v_mfma_f32_16x16x16_f16 v[14:17], v[16:17], v[24:25], v[18:21]
	s_waitcnt vmcnt(10) lgkmcnt(0)
	v_mfma_f32_16x16x16_f16 v[14:17], v[10:11], v[26:27], v[14:17]
	v_mfma_f32_16x16x16_f16 v[10:13], v[12:13], v[28:29], v[14:17]
	s_nop 5
	ds_read_b128 v[14:17], v78 offset:6144
	ds_read_b128 v[18:21], v78 offset:6160
	s_waitcnt lgkmcnt(0)
	s_barrier
	s_waitcnt vmcnt(9)
	v_mfma_f32_16x16x16_f16 v[10:13], v[6:7], v[14:15], v[10:13]
	v_mfma_f32_16x16x16_f16 v[6:9], v[8:9], v[16:17], v[10:13]
	s_waitcnt vmcnt(8)
	v_mfma_f32_16x16x16_f16 v[6:9], v[2:3], v[18:19], v[6:9]
	v_mfma_f32_16x16x16_f16 v[2:5], v[4:5], v[20:21], v[6:9]
	;; [unrolled: 3-line block ×3, first 2 shown]
	s_nop 3
	v_cvt_f16_f32_e32 v10, v2
	v_cvt_f16_f32_e32 v11, v3
	;; [unrolled: 1-line block ×3, first 2 shown]
	s_waitcnt vmcnt(6)
	v_mfma_f32_16x16x16_f16 v[6:9], v[38:39], v[66:67], v[6:9]
	v_cvt_f16_f32_e32 v13, v5
	v_mfma_f32_16x16x16_f16 v[6:9], v[40:41], v[68:69], v[6:9]
	s_waitcnt vmcnt(5)
	v_mfma_f32_16x16x16_f16 v[6:9], v[42:43], v[30:31], v[6:9]
	v_mfma_f32_16x16x16_f16 v[6:9], v[44:45], v[32:33], v[6:9]
	s_waitcnt vmcnt(4)
	v_mfma_f32_16x16x16_f16 v[6:9], v[34:35], v[74:75], v[6:9]
	;; [unrolled: 3-line block ×6, first 2 shown]
	v_mfma_f32_16x16x16_f16 v[2:5], v[60:61], v[20:21], v[6:9]
	s_nop 6
	v_cvt_f16_f32_e32 v6, v2
	v_cvt_f16_f32_e32 v7, v3
	;; [unrolled: 1-line block ×4, first 2 shown]
	v_pack_b32_f16 v2, v10, v11
	v_pack_b32_f16 v3, v12, v13
	;; [unrolled: 1-line block ×4, first 2 shown]
	ds_write2st64_b64 v1, v[2:3], v[4:5] offset1:1
	s_waitcnt lgkmcnt(0)
	s_barrier
	s_and_saveexec_b64 s[4:5], vcc
	s_cbranch_execz .LBB317_22
; %bb.20:
	s_load_dwordx2 s[4:5], s[0:1], 0x68
	s_lshl_b32 s0, s6, 7
	s_mul_i32 s1, s7, s2
	v_lshlrev_b32_e32 v3, 6, v84
	s_mul_hi_u32 s7, s1, s0
	s_mul_i32 s6, s1, s0
	v_lshlrev_b32_e32 v2, 4, v0
	v_lshl_or_b32 v0, v0, 10, v3
	s_lshl_b64 s[6:7], s[6:7], 1
	v_lshlrev_b32_e32 v1, 5, v88
	v_and_b32_e32 v2, 16, v2
	v_and_b32_e32 v0, 0x1a00, v0
	s_waitcnt lgkmcnt(0)
	s_add_u32 s1, s4, s6
	v_or3_b32 v2, v0, v1, v2
	s_addc_u32 s4, s5, s7
	s_lshl_b32 s2, s26, 7
	ds_read_b128 v[4:7], v2 offset:256
	s_lshl_b64 s[2:3], s[2:3], 1
	ds_read_b128 v[8:11], v2 offset:128
	ds_read_b128 v[12:15], v2
	s_add_u32 s2, s1, s2
	s_addc_u32 s3, s4, s3
	v_add_u32_e32 v18, s40, v88
	v_lshl_add_u64 v[0:1], v[82:83], 1, s[2:3]
	v_mad_u64_u32 v[16:17], s[2:3], v18, s0, 0
	v_lshl_add_u64 v[16:17], v[16:17], 1, v[0:1]
	s_waitcnt lgkmcnt(0)
	global_store_dwordx4 v[16:17], v[12:15], off
	v_or_b32_e32 v3, 12, v88
	v_cmp_gt_u32_e32 vcc, 14, v3
	v_add_u32_e32 v12, 4, v18
	v_mad_u64_u32 v[12:13], s[2:3], v12, s0, 0
	v_lshl_add_u64 v[12:13], v[12:13], 1, v[0:1]
	global_store_dwordx4 v[12:13], v[8:11], off
	s_nop 1
	v_add_u32_e32 v8, 8, v18
	v_mad_u64_u32 v[8:9], s[2:3], v8, s0, 0
	v_lshl_add_u64 v[8:9], v[8:9], 1, v[0:1]
	global_store_dwordx4 v[8:9], v[4:7], off
	s_and_b64 exec, exec, vcc
	s_cbranch_execz .LBB317_22
; %bb.21:
	ds_read_b128 v[4:7], v2 offset:384
	v_add_u32_e32 v2, s40, v3
	v_mad_u64_u32 v[2:3], s[0:1], v2, s0, 0
	v_lshl_add_u64 v[0:1], v[2:3], 1, v[0:1]
	s_waitcnt lgkmcnt(0)
	global_store_dwordx4 v[0:1], v[4:7], off
.LBB317_22:
	s_endpgm
	.section	.rodata,"a",@progbits
	.p2align	6, 0x0
	.amdhsa_kernel _Z39paged_attention_ll4mi_QKV_mfma16_kernelIDF16_DF16_LN4vllm18Fp8KVCacheDataTypeE0EhLi32ELi128ELi256ELb1ELi14EEvPKT_PKT0_S7_ifPKiS9_S9_iPKfiiiPfSC_PS2_PT2_iSB_SB_
		.amdhsa_group_segment_fixed_size 8192
		.amdhsa_private_segment_fixed_size 0
		.amdhsa_kernarg_size 400
		.amdhsa_user_sgpr_count 2
		.amdhsa_user_sgpr_dispatch_ptr 0
		.amdhsa_user_sgpr_queue_ptr 0
		.amdhsa_user_sgpr_kernarg_segment_ptr 1
		.amdhsa_user_sgpr_dispatch_id 0
		.amdhsa_user_sgpr_kernarg_preload_length 0
		.amdhsa_user_sgpr_kernarg_preload_offset 0
		.amdhsa_user_sgpr_private_segment_size 0
		.amdhsa_uses_dynamic_stack 0
		.amdhsa_enable_private_segment 0
		.amdhsa_system_sgpr_workgroup_id_x 1
		.amdhsa_system_sgpr_workgroup_id_y 1
		.amdhsa_system_sgpr_workgroup_id_z 1
		.amdhsa_system_sgpr_workgroup_info 0
		.amdhsa_system_vgpr_workitem_id 0
		.amdhsa_next_free_vgpr 96
		.amdhsa_next_free_sgpr 42
		.amdhsa_accum_offset 96
		.amdhsa_reserve_vcc 1
		.amdhsa_float_round_mode_32 0
		.amdhsa_float_round_mode_16_64 0
		.amdhsa_float_denorm_mode_32 3
		.amdhsa_float_denorm_mode_16_64 3
		.amdhsa_dx10_clamp 1
		.amdhsa_ieee_mode 1
		.amdhsa_fp16_overflow 0
		.amdhsa_tg_split 0
		.amdhsa_exception_fp_ieee_invalid_op 0
		.amdhsa_exception_fp_denorm_src 0
		.amdhsa_exception_fp_ieee_div_zero 0
		.amdhsa_exception_fp_ieee_overflow 0
		.amdhsa_exception_fp_ieee_underflow 0
		.amdhsa_exception_fp_ieee_inexact 0
		.amdhsa_exception_int_div_zero 0
	.end_amdhsa_kernel
	.section	.text._Z39paged_attention_ll4mi_QKV_mfma16_kernelIDF16_DF16_LN4vllm18Fp8KVCacheDataTypeE0EhLi32ELi128ELi256ELb1ELi14EEvPKT_PKT0_S7_ifPKiS9_S9_iPKfiiiPfSC_PS2_PT2_iSB_SB_,"axG",@progbits,_Z39paged_attention_ll4mi_QKV_mfma16_kernelIDF16_DF16_LN4vllm18Fp8KVCacheDataTypeE0EhLi32ELi128ELi256ELb1ELi14EEvPKT_PKT0_S7_ifPKiS9_S9_iPKfiiiPfSC_PS2_PT2_iSB_SB_,comdat
.Lfunc_end317:
	.size	_Z39paged_attention_ll4mi_QKV_mfma16_kernelIDF16_DF16_LN4vllm18Fp8KVCacheDataTypeE0EhLi32ELi128ELi256ELb1ELi14EEvPKT_PKT0_S7_ifPKiS9_S9_iPKfiiiPfSC_PS2_PT2_iSB_SB_, .Lfunc_end317-_Z39paged_attention_ll4mi_QKV_mfma16_kernelIDF16_DF16_LN4vllm18Fp8KVCacheDataTypeE0EhLi32ELi128ELi256ELb1ELi14EEvPKT_PKT0_S7_ifPKiS9_S9_iPKfiiiPfSC_PS2_PT2_iSB_SB_
                                        ; -- End function
	.section	.AMDGPU.csdata,"",@progbits
; Kernel info:
; codeLenInByte = 4928
; NumSgprs: 48
; NumVgprs: 96
; NumAgprs: 0
; TotalNumVgprs: 96
; ScratchSize: 0
; MemoryBound: 0
; FloatMode: 240
; IeeeMode: 1
; LDSByteSize: 8192 bytes/workgroup (compile time only)
; SGPRBlocks: 5
; VGPRBlocks: 11
; NumSGPRsForWavesPerEU: 48
; NumVGPRsForWavesPerEU: 96
; AccumOffset: 96
; Occupancy: 5
; WaveLimiterHint : 1
; COMPUTE_PGM_RSRC2:SCRATCH_EN: 0
; COMPUTE_PGM_RSRC2:USER_SGPR: 2
; COMPUTE_PGM_RSRC2:TRAP_HANDLER: 0
; COMPUTE_PGM_RSRC2:TGID_X_EN: 1
; COMPUTE_PGM_RSRC2:TGID_Y_EN: 1
; COMPUTE_PGM_RSRC2:TGID_Z_EN: 1
; COMPUTE_PGM_RSRC2:TIDIG_COMP_CNT: 0
; COMPUTE_PGM_RSRC3_GFX90A:ACCUM_OFFSET: 23
; COMPUTE_PGM_RSRC3_GFX90A:TG_SPLIT: 0
	.section	.text._Z39paged_attention_ll4mi_QKV_mfma16_kernelIDF16_DF16_LN4vllm18Fp8KVCacheDataTypeE0EhLi32ELi128ELi256ELb1ELi15EEvPKT_PKT0_S7_ifPKiS9_S9_iPKfiiiPfSC_PS2_PT2_iSB_SB_,"axG",@progbits,_Z39paged_attention_ll4mi_QKV_mfma16_kernelIDF16_DF16_LN4vllm18Fp8KVCacheDataTypeE0EhLi32ELi128ELi256ELb1ELi15EEvPKT_PKT0_S7_ifPKiS9_S9_iPKfiiiPfSC_PS2_PT2_iSB_SB_,comdat
	.protected	_Z39paged_attention_ll4mi_QKV_mfma16_kernelIDF16_DF16_LN4vllm18Fp8KVCacheDataTypeE0EhLi32ELi128ELi256ELb1ELi15EEvPKT_PKT0_S7_ifPKiS9_S9_iPKfiiiPfSC_PS2_PT2_iSB_SB_ ; -- Begin function _Z39paged_attention_ll4mi_QKV_mfma16_kernelIDF16_DF16_LN4vllm18Fp8KVCacheDataTypeE0EhLi32ELi128ELi256ELb1ELi15EEvPKT_PKT0_S7_ifPKiS9_S9_iPKfiiiPfSC_PS2_PT2_iSB_SB_
	.globl	_Z39paged_attention_ll4mi_QKV_mfma16_kernelIDF16_DF16_LN4vllm18Fp8KVCacheDataTypeE0EhLi32ELi128ELi256ELb1ELi15EEvPKT_PKT0_S7_ifPKiS9_S9_iPKfiiiPfSC_PS2_PT2_iSB_SB_
	.p2align	8
	.type	_Z39paged_attention_ll4mi_QKV_mfma16_kernelIDF16_DF16_LN4vllm18Fp8KVCacheDataTypeE0EhLi32ELi128ELi256ELb1ELi15EEvPKT_PKT0_S7_ifPKiS9_S9_iPKfiiiPfSC_PS2_PT2_iSB_SB_,@function
_Z39paged_attention_ll4mi_QKV_mfma16_kernelIDF16_DF16_LN4vllm18Fp8KVCacheDataTypeE0EhLi32ELi128ELi256ELb1ELi15EEvPKT_PKT0_S7_ifPKiS9_S9_iPKfiiiPfSC_PS2_PT2_iSB_SB_: ; @_Z39paged_attention_ll4mi_QKV_mfma16_kernelIDF16_DF16_LN4vllm18Fp8KVCacheDataTypeE0EhLi32ELi128ELi256ELb1ELi15EEvPKT_PKT0_S7_ifPKiS9_S9_iPKfiiiPfSC_PS2_PT2_iSB_SB_
; %bb.0:
	s_load_dwordx2 s[8:9], s[0:1], 0x30
	s_mov_b32 s26, s3
	s_mov_b64 s[6:7], 0
	s_waitcnt lgkmcnt(0)
	s_cmp_lg_u64 s[8:9], 0
	s_cselect_b64 s[10:11], -1, 0
	s_and_b64 vcc, exec, s[10:11]
	s_cbranch_vccz .LBB318_7
; %bb.1:
	s_add_i32 s12, s2, 1
	s_mov_b32 s13, 0
	s_lshl_b64 s[14:15], s[12:13], 2
	s_add_u32 s14, s8, s14
	s_mov_b32 s3, s13
	s_addc_u32 s15, s9, s15
	s_lshl_b64 s[12:13], s[2:3], 2
	s_add_u32 s12, s8, s12
	s_addc_u32 s13, s9, s13
	s_load_dword s5, s[14:15], 0x0
	s_load_dword s16, s[12:13], 0x0
	s_waitcnt lgkmcnt(0)
	s_sub_i32 s5, s5, s16
	s_cmp_eq_u32 s5, 1
	s_cselect_b64 s[12:13], -1, 0
	s_andn2_b64 vcc, exec, s[6:7]
	s_cbranch_vccnz .LBB318_3
.LBB318_2:
	s_mov_b32 s3, 0
	s_mov_b64 s[12:13], -1
.LBB318_3:
	s_andn2_b64 vcc, exec, s[12:13]
	s_cbranch_vccnz .LBB318_22
; %bb.4:
	s_load_dwordx2 s[6:7], s[0:1], 0x28
	s_lshl_b64 s[12:13], s[2:3], 2
	s_waitcnt lgkmcnt(0)
	s_add_u32 s6, s6, s12
	s_addc_u32 s7, s7, s13
	s_load_dword s27, s[6:7], 0x0
	s_lshl_b32 s18, s26, 8
	s_waitcnt lgkmcnt(0)
	s_cmp_ge_i32 s18, s27
	s_cbranch_scc1 .LBB318_22
; %bb.5:
	s_load_dwordx2 s[6:7], s[0:1], 0x20
	s_load_dword s5, s[0:1], 0x38
	s_add_i32 s14, s27, 31
	s_ashr_i32 s15, s14, 31
	v_and_b32_e32 v1, 0xcf, v0
	s_lshr_b32 s15, s15, 27
	v_add_u32_e32 v1, s18, v1
	s_add_i32 s14, s14, s15
	v_ashrrev_i32_e32 v2, 31, v1
	s_ashr_i32 s19, s14, 5
	v_lshrrev_b32_e32 v4, 27, v2
	s_add_i32 s19, s19, -1
	s_waitcnt lgkmcnt(0)
	s_mul_i32 s14, s2, s5
	s_mov_b32 s15, 0
	v_add_u32_e32 v2, v1, v4
	s_lshl_b64 s[14:15], s[14:15], 2
	v_ashrrev_i32_e32 v2, 5, v2
	v_mov_b32_e32 v5, s19
	v_cmp_gt_i32_e32 vcc, s27, v1
	s_add_u32 s6, s6, s14
	s_addc_u32 s7, s7, s15
	v_cndmask_b32_e32 v2, v5, v2, vcc
	v_ashrrev_i32_e32 v3, 31, v2
	v_lshl_add_u64 v[6:7], v[2:3], 2, s[6:7]
	v_or_b32_e32 v2, 16, v1
	v_add_u32_e32 v3, v2, v4
	v_ashrrev_i32_e32 v3, 5, v3
	v_cmp_gt_i32_e32 vcc, s27, v2
	s_nop 1
	v_cndmask_b32_e32 v2, v5, v3, vcc
	v_ashrrev_i32_e32 v3, 31, v2
	v_lshl_add_u64 v[8:9], v[2:3], 2, s[6:7]
	v_or_b32_e32 v2, 32, v1
	v_add_u32_e32 v3, v2, v4
	v_ashrrev_i32_e32 v3, 5, v3
	v_cmp_gt_i32_e32 vcc, s27, v2
	v_or_b32_e32 v1, 48, v1
	s_nop 0
	v_cndmask_b32_e32 v2, v5, v3, vcc
	v_ashrrev_i32_e32 v3, 31, v2
	v_lshl_add_u64 v[10:11], v[2:3], 2, s[6:7]
	v_add_u32_e32 v2, v1, v4
	v_ashrrev_i32_e32 v2, 5, v2
	v_cmp_gt_i32_e32 vcc, s27, v1
	s_nop 1
	v_cndmask_b32_e32 v2, v5, v2, vcc
	v_ashrrev_i32_e32 v3, 31, v2
	v_lshl_add_u64 v[12:13], v[2:3], 2, s[6:7]
	global_load_dword v5, v[6:7], off
	global_load_dword v4, v[8:9], off
	;; [unrolled: 1-line block ×4, first 2 shown]
	s_andn2_b64 vcc, exec, s[10:11]
	s_cbranch_vccnz .LBB318_8
; %bb.6:
	s_add_u32 s8, s8, s12
	s_addc_u32 s9, s9, s13
	s_load_dword s5, s[8:9], 0x0
	s_branch .LBB318_9
.LBB318_7:
	s_mov_b64 s[12:13], 0
	s_branch .LBB318_2
.LBB318_8:
	s_mov_b32 s5, s2
.LBB318_9:
	s_load_dwordx2 s[14:15], s[0:1], 0x8
	s_load_dwordx4 s[8:11], s[0:1], 0x48
	v_lshrrev_b32_e32 v88, 6, v0
	v_bfe_u32 v1, v0, 4, 2
	v_lshl_or_b32 v6, v88, 2, v1
	v_and_b32_e32 v84, 15, v0
	v_lshlrev_b32_e32 v82, 3, v84
	v_cmp_lt_u32_e32 vcc, 14, v6
	s_and_saveexec_b64 s[12:13], vcc
	s_xor_b64 s[12:13], exec, s[12:13]
; %bb.10:
	v_mov_b32_e32 v83, 0
                                        ; implicit-def: $vgpr6
; %bb.11:
	s_or_saveexec_b64 s[16:17], s[12:13]
	s_load_dwordx2 s[12:13], s[0:1], 0x10
	s_mul_i32 s40, s4, 15
	s_xor_b64 exec, exec, s[16:17]
	s_cbranch_execz .LBB318_13
; %bb.12:
	s_load_dwordx2 s[20:21], s[0:1], 0x0
	s_waitcnt lgkmcnt(0)
	s_ashr_i32 s11, s8, 31
	s_mul_hi_u32 s22, s5, s8
	s_mul_i32 s11, s5, s11
	s_add_i32 s23, s22, s11
	s_mul_i32 s22, s5, s8
	s_lshl_b64 s[22:23], s[22:23], 1
	s_add_u32 s20, s20, s22
	v_add_lshl_u32 v8, v6, s40, 7
	s_addc_u32 s21, s21, s23
	v_ashrrev_i32_e32 v9, 31, v8
	v_mov_b32_e32 v83, 0
	v_lshl_add_u64 v[8:9], v[8:9], 1, s[20:21]
	v_lshlrev_b32_e32 v10, 1, v82
	v_mov_b32_e32 v11, v83
	v_lshl_add_u64 v[8:9], v[8:9], 0, v[10:11]
	global_load_dwordx4 v[8:11], v[8:9], off
	v_and_b32_e32 v7, 3, v0
	v_lshlrev_b32_e32 v12, 9, v84
	v_lshlrev_b32_e32 v6, 5, v6
	;; [unrolled: 1-line block ×3, first 2 shown]
	v_and_b32_e32 v12, 0x1800, v12
	v_or3_b32 v6, v12, v7, v6
	s_waitcnt vmcnt(0)
	ds_write_b128 v6, v[8:11]
.LBB318_13:
	s_or_b64 exec, exec, s[16:17]
	s_waitcnt lgkmcnt(0)
	s_mov_b32 s5, 0
	s_mul_i32 s4, s4, s10
	s_lshl_b64 s[4:5], s[4:5], 1
	s_add_u32 s10, s14, s4
	s_addc_u32 s11, s15, s5
	s_waitcnt vmcnt(3)
	v_mad_i64_i32 v[6:7], s[14:15], v5, s9, 0
	v_lshl_add_u64 v[6:7], v[6:7], 1, s[10:11]
	v_lshlrev_b64 v[8:9], 1, v[82:83]
	v_mov_b32_e32 v87, 0
	v_lshlrev_b32_e32 v86, 9, v1
	v_lshl_add_u64 v[6:7], v[6:7], 0, v[8:9]
	v_lshl_add_u64 v[10:11], v[6:7], 0, v[86:87]
	v_or_b32_e32 v14, 0x1000, v86
	v_mov_b32_e32 v15, v87
	v_or_b32_e32 v16, 0x1800, v86
	v_mov_b32_e32 v17, v87
	s_barrier
	global_load_dwordx4 v[66:69], v[10:11], off
	global_load_dwordx4 v[62:65], v[10:11], off offset:2048
	v_lshl_add_u64 v[10:11], v[6:7], 0, v[14:15]
	v_lshl_add_u64 v[6:7], v[6:7], 0, v[16:17]
	global_load_dwordx4 v[78:81], v[10:11], off
	global_load_dwordx4 v[74:77], v[6:7], off
	s_waitcnt vmcnt(6)
	v_mad_i64_i32 v[4:5], s[14:15], v4, s9, 0
	v_mov_b32_e32 v6, 0x100
	v_lshl_add_u64 v[4:5], v[4:5], 1, s[10:11]
	v_lshl_or_b32 v6, v84, 4, v6
	v_mov_b32_e32 v7, v87
	v_lshl_add_u64 v[4:5], v[4:5], 0, v[6:7]
	v_lshl_add_u64 v[10:11], v[4:5], 0, v[86:87]
	global_load_dwordx4 v[70:73], v[10:11], off
	global_load_dwordx4 v[58:61], v[10:11], off offset:2048
	v_lshl_add_u64 v[10:11], v[4:5], 0, v[14:15]
	v_lshl_add_u64 v[4:5], v[4:5], 0, v[16:17]
	global_load_dwordx4 v[54:57], v[10:11], off
	global_load_dwordx4 v[30:33], v[4:5], off
	s_waitcnt vmcnt(9)
	v_mad_i64_i32 v[4:5], s[14:15], v3, s9, 0
	v_lshl_add_u64 v[4:5], v[4:5], 1, s[10:11]
	s_waitcnt vmcnt(8)
	v_mad_i64_i32 v[2:3], s[14:15], v2, s9, 0
	v_lshl_add_u64 v[4:5], v[4:5], 0, v[8:9]
	v_lshl_add_u64 v[2:3], v[2:3], 1, s[10:11]
	v_lshl_add_u64 v[8:9], v[4:5], 0, v[86:87]
	v_lshl_add_u64 v[34:35], v[2:3], 0, v[6:7]
	global_load_dwordx4 v[26:29], v[8:9], off
	global_load_dwordx4 v[22:25], v[8:9], off offset:2048
	v_lshl_add_u64 v[8:9], v[4:5], 0, v[14:15]
	v_lshl_add_u64 v[4:5], v[4:5], 0, v[16:17]
	;; [unrolled: 1-line block ×4, first 2 shown]
	global_load_dwordx4 v[18:21], v[8:9], off
	global_load_dwordx4 v[10:13], v[4:5], off
	s_nop 0
	global_load_dwordx4 v[6:9], v[2:3], off
	s_nop 0
	global_load_dwordx4 v[2:5], v[2:3], off offset:2048
	v_lshl_add_u64 v[16:17], v[34:35], 0, v[16:17]
	global_load_dwordx4 v[42:45], v[14:15], off
	global_load_dwordx4 v[34:37], v[16:17], off
	v_cmp_ne_u32_e32 vcc, 15, v84
	v_and_b32_e32 v85, 63, v0
	v_mov_b32_e32 v89, 0
	v_cndmask_b32_e32 v14, 0, v84, vcc
	v_lshl_or_b32 v38, v14, 5, v86
	ds_read_b128 v[14:17], v38
	ds_read_b128 v[50:53], v38 offset:2048
	ds_read_b128 v[46:49], v38 offset:4096
	;; [unrolled: 1-line block ×3, first 2 shown]
	s_and_saveexec_b64 s[10:11], vcc
	s_cbranch_execz .LBB318_15
; %bb.14:
	s_load_dwordx2 s[14:15], s[0:1], 0x40
	v_add_u32_e32 v90, s40, v84
	v_ashrrev_i32_e32 v91, 31, v90
	s_waitcnt lgkmcnt(0)
	v_lshl_add_u64 v[90:91], v[90:91], 2, s[14:15]
	global_load_dword v89, v[90:91], off
.LBB318_15:
	s_or_b64 exec, exec, s[10:11]
	s_waitcnt vmcnt(15) lgkmcnt(3)
	v_mfma_f32_16x16x16_f16 v[90:93], v[66:67], v[14:15], 0
	s_ashr_i32 s8, s18, 31
	s_lshr_b32 s8, s8, 27
	s_add_u32 s4, s12, s4
	v_mfma_f32_16x16x16_f16 v[66:69], v[68:69], v[16:17], v[90:93]
	s_addc_u32 s5, s13, s5
	s_mov_b32 s33, 0xff7fffff
	s_waitcnt vmcnt(14) lgkmcnt(2)
	v_mfma_f32_16x16x16_f16 v[66:69], v[62:63], v[50:51], v[66:69]
	v_lshl_or_b32 v90, v88, 4, v84
	v_mfma_f32_16x16x16_f16 v[62:65], v[64:65], v[52:53], v[66:69]
	s_waitcnt vmcnt(13) lgkmcnt(1)
	v_mfma_f32_16x16x16_f16 v[62:65], v[78:79], v[46:47], v[62:65]
	v_mfma_f32_16x16x16_f16 v[62:65], v[80:81], v[48:49], v[62:65]
	s_waitcnt vmcnt(12) lgkmcnt(0)
	v_mfma_f32_16x16x16_f16 v[62:65], v[74:75], v[38:39], v[62:65]
	v_and_or_b32 v74, v0, 48, s18
	v_add_u32_e32 v66, s8, v74
	v_ashrrev_i32_e32 v75, 5, v66
	s_waitcnt vmcnt(11)
	v_mfma_f32_16x16x16_f16 v[66:69], v[70:71], v[14:15], 0
	v_cmp_gt_i32_e32 vcc, s27, v74
	v_mfma_f32_16x16x16_f16 v[66:69], v[72:73], v[16:17], v[66:69]
	v_or_b32_e32 v72, 64, v74
	v_add_u32_e32 v73, s8, v72
	s_waitcnt vmcnt(10)
	v_mfma_f32_16x16x16_f16 v[66:69], v[58:59], v[50:51], v[66:69]
	v_ashrrev_i32_e32 v58, 5, v73
	v_mfma_f32_16x16x16_f16 v[62:65], v[76:77], v[40:41], v[62:65]
	v_mov_b32_e32 v76, s19
	v_cndmask_b32_e32 v70, v76, v75, vcc
	v_cmp_gt_i32_e32 vcc, s27, v72
	v_ashrrev_i32_e32 v71, 31, v70
	v_lshl_add_u64 v[70:71], v[70:71], 2, s[6:7]
	v_cndmask_b32_e32 v72, v76, v58, vcc
	v_mfma_f32_16x16x16_f16 v[58:61], v[60:61], v[52:53], v[66:69]
	v_ashrrev_i32_e32 v73, 31, v72
	s_waitcnt vmcnt(9)
	v_mfma_f32_16x16x16_f16 v[58:61], v[54:55], v[46:47], v[58:61]
	v_lshl_add_u64 v[66:67], v[72:73], 2, s[6:7]
	global_load_dword v72, v[70:71], off
	global_load_dword v75, v[66:67], off
	v_or_b32_e32 v66, 0x80, v74
	v_add_u32_e32 v67, s8, v66
	v_mfma_f32_16x16x16_f16 v[54:57], v[56:57], v[48:49], v[58:61]
	v_cmp_gt_i32_e32 vcc, s27, v66
	s_nop 1
	v_ashrrev_i32_e32 v58, 5, v67
	v_cndmask_b32_e32 v58, v76, v58, vcc
	v_ashrrev_i32_e32 v59, 31, v58
	s_waitcnt vmcnt(10)
	v_mfma_f32_16x16x16_f16 v[54:57], v[30:31], v[38:39], v[54:57]
	v_lshl_add_u64 v[30:31], v[58:59], 2, s[6:7]
	global_load_dword v58, v[30:31], off
	v_mfma_f32_16x16x16_f16 v[66:69], v[32:33], v[40:41], v[54:57]
	s_nop 3
	v_or_b32_e32 v54, 0xc0, v74
	v_add_u32_e32 v30, s8, v54
	v_ashrrev_i32_e32 v55, 5, v30
	v_cmp_gt_i32_e32 vcc, s27, v54
	s_waitcnt vmcnt(10)
	v_mfma_f32_16x16x16_f16 v[30:33], v[26:27], v[14:15], 0
	v_cndmask_b32_e32 v26, v76, v55, vcc
	v_ashrrev_i32_e32 v27, 31, v26
	v_lshl_add_u64 v[54:55], v[26:27], 2, s[6:7]
	global_load_dword v59, v[54:55], off
	v_mfma_f32_16x16x16_f16 v[26:29], v[28:29], v[16:17], v[30:33]
	s_load_dword s6, s[0:1], 0x1c
	s_waitcnt lgkmcnt(0)
	v_pk_mul_f32 v[76:77], s[6:7], v[66:67] op_sel_hi:[0,1]
	s_waitcnt vmcnt(10)
	v_mfma_f32_16x16x16_f16 v[26:29], v[22:23], v[50:51], v[26:29]
	v_and_b32_e32 v30, 16, v0
	v_lshlrev_b32_e32 v86, 1, v30
	v_lshl_add_u64 v[60:61], s[4:5], 0, v[86:87]
	v_mfma_f32_16x16x16_f16 v[22:25], v[24:25], v[52:53], v[26:29]
	v_lshlrev_b32_e32 v86, 6, v90
	v_lshl_add_u64 v[70:71], v[60:61], 0, v[86:87]
	v_or_b32_e32 v86, 0x1000, v86
	s_waitcnt vmcnt(9)
	v_mfma_f32_16x16x16_f16 v[22:25], v[18:19], v[46:47], v[22:25]
	v_lshl_add_u64 v[80:81], v[60:61], 0, v[86:87]
	v_pk_mul_f32 v[78:79], s[6:7], v[64:65] op_sel_hi:[0,1]
	v_pk_mul_f32 v[60:61], s[6:7], v[62:63] op_sel_hi:[0,1]
	v_mfma_f32_16x16x16_f16 v[18:21], v[20:21], v[48:49], v[22:25]
	s_waitcnt vmcnt(8)
	v_mfma_f32_16x16x16_f16 v[18:21], v[10:11], v[38:39], v[18:21]
	s_waitcnt vmcnt(3)
	v_mad_i64_i32 v[22:23], s[4:5], v72, s9, 0
	s_waitcnt vmcnt(2)
	v_mad_i64_i32 v[10:11], s[4:5], v75, s9, 0
	v_lshlrev_b64 v[72:73], 1, v[22:23]
	v_lshlrev_b64 v[54:55], 1, v[10:11]
	v_lshl_add_u64 v[22:23], v[70:71], 0, v[72:73]
	v_lshl_add_u64 v[10:11], v[70:71], 0, v[54:55]
	global_load_dwordx4 v[30:33], v[22:23], off
	global_load_dwordx4 v[26:29], v[22:23], off offset:16
	v_mfma_f32_16x16x16_f16 v[92:95], v[12:13], v[40:41], v[18:21]
	global_load_dwordx4 v[22:25], v[10:11], off
	s_nop 1
	global_load_dwordx4 v[18:21], v[10:11], off offset:16
	v_pk_mul_f32 v[74:75], s[6:7], v[68:69] op_sel_hi:[0,1]
	v_mfma_f32_16x16x16_f16 v[10:13], v[6:7], v[14:15], 0
	s_waitcnt vmcnt(5)
	v_mad_i64_i32 v[6:7], s[4:5], v58, s9, 0
	v_lshlrev_b64 v[56:57], 1, v[6:7]
	v_mfma_f32_16x16x16_f16 v[6:9], v[8:9], v[16:17], v[10:13]
	v_mfma_f32_16x16x16_f16 v[6:9], v[2:3], v[50:51], v[6:9]
	s_nop 1
	v_lshl_add_u64 v[10:11], v[70:71], 0, v[56:57]
	global_load_dwordx4 v[14:17], v[10:11], off
	s_nop 0
	global_load_dwordx4 v[10:13], v[10:11], off offset:16
	s_waitcnt vmcnt(6)
	v_mad_i64_i32 v[2:3], s[4:5], v59, s9, 0
	v_mfma_f32_16x16x16_f16 v[50:53], v[4:5], v[52:53], v[6:9]
	v_lshlrev_b64 v[58:59], 1, v[2:3]
	v_lshl_add_u64 v[2:3], v[70:71], 0, v[58:59]
	v_pk_mul_f32 v[70:71], s[6:7], v[94:95] op_sel_hi:[0,1]
	v_mfma_f32_16x16x16_f16 v[50:53], v[42:43], v[46:47], v[50:53]
	v_lshl_add_u64 v[42:43], v[80:81], 0, v[72:73]
	v_pk_mul_f32 v[72:73], s[6:7], v[92:93] op_sel_hi:[0,1]
	v_lshl_add_u64 v[58:59], v[80:81], 0, v[58:59]
	v_mfma_f32_16x16x16_f16 v[44:47], v[44:45], v[48:49], v[50:53]
	global_load_dwordx4 v[6:9], v[2:3], off
	s_nop 0
	global_load_dwordx4 v[2:5], v[2:3], off offset:16
	v_mfma_f32_16x16x16_f16 v[44:47], v[34:35], v[38:39], v[44:47]
	v_mfma_f32_16x16x16_f16 v[34:37], v[36:37], v[40:41], v[44:47]
	s_nop 6
	v_pk_mul_f32 v[68:69], s[6:7], v[34:35] op_sel_hi:[0,1]
	v_and_b32_e32 v34, 0xc0, v0
	v_add_u32_e32 v34, s18, v34
	v_lshl_or_b32 v34, v1, 2, v34
	v_or_b32_e32 v35, 1, v34
	v_pk_mul_f32 v[66:67], s[6:7], v[36:37] op_sel_hi:[0,1]
	v_subrev_u32_e32 v36, s27, v35
	v_add_u32_e32 v38, 1, v36
	v_add_u32_e32 v39, 2, v36
	v_cvt_f32_i32_e32 v37, v36
	v_cvt_f32_i32_e32 v38, v38
	;; [unrolled: 1-line block ×3, first 2 shown]
	v_add_u32_e32 v40, 3, v36
	v_fma_f32 v60, v89, v37, v60
	v_fmac_f32_e32 v61, v89, v38
	v_fma_f32 v78, v89, v39, v78
	v_add_u32_e32 v37, 16, v36
	v_add_u32_e32 v38, 17, v36
	;; [unrolled: 1-line block ×3, first 2 shown]
	v_cvt_f32_i32_e32 v40, v40
	v_cvt_f32_i32_e32 v37, v37
	;; [unrolled: 1-line block ×4, first 2 shown]
	v_fmac_f32_e32 v79, v89, v40
	v_add_u32_e32 v40, 19, v36
	v_fma_f32 v76, v89, v37, v76
	v_fmac_f32_e32 v77, v89, v38
	v_fma_f32 v74, v89, v39, v74
	v_add_u32_e32 v37, 32, v36
	v_add_u32_e32 v38, 33, v36
	;; [unrolled: 1-line block ×3, first 2 shown]
	v_cvt_f32_i32_e32 v40, v40
	v_cvt_f32_i32_e32 v37, v37
	;; [unrolled: 1-line block ×4, first 2 shown]
	v_fmac_f32_e32 v75, v89, v40
	v_add_u32_e32 v40, 35, v36
	v_fma_f32 v72, v89, v37, v72
	v_fmac_f32_e32 v73, v89, v38
	v_fma_f32 v70, v89, v39, v70
	v_add_u32_e32 v37, 48, v36
	v_add_u32_e32 v38, 49, v36
	;; [unrolled: 1-line block ×4, first 2 shown]
	v_cvt_f32_i32_e32 v36, v36
	v_cvt_f32_i32_e32 v37, v37
	;; [unrolled: 1-line block ×3, first 2 shown]
	v_cmp_gt_i32_e64 s[28:29], s27, v34
	v_fmac_f32_e32 v67, v89, v36
	v_mov_b32_e32 v36, 0xff7fffff
	v_cmp_gt_i32_e64 s[30:31], s27, v35
	v_fma_f32 v68, v89, v37, v68
	v_cndmask_b32_e64 v37, v36, v60, s[28:29]
	v_cndmask_b32_e64 v35, v36, v61, s[30:31]
	v_fmac_f32_e32 v69, v89, v38
	v_max3_f32 v35, v37, s33, v35
	v_or_b32_e32 v37, 2, v34
	v_or_b32_e32 v38, 3, v34
	v_cmp_gt_i32_e64 s[34:35], s27, v37
	v_cmp_gt_i32_e64 s[36:37], s27, v38
	v_cvt_f32_i32_e32 v40, v40
	v_cndmask_b32_e64 v37, v36, v78, s[34:35]
	v_cndmask_b32_e64 v38, v36, v79, s[36:37]
	v_max3_f32 v35, v35, v37, v38
	v_or_b32_e32 v37, 16, v34
	v_or_b32_e32 v38, 17, v34
	v_cmp_gt_i32_e64 s[22:23], s27, v37
	v_cmp_gt_i32_e64 s[24:25], s27, v38
	v_fmac_f32_e32 v71, v89, v40
	v_cndmask_b32_e64 v37, v36, v76, s[22:23]
	v_cndmask_b32_e64 v38, v36, v77, s[24:25]
	v_max3_f32 v35, v35, v37, v38
	v_or_b32_e32 v37, 18, v34
	v_or_b32_e32 v38, 19, v34
	v_cmp_gt_i32_e64 s[18:19], s27, v37
	v_cmp_gt_i32_e64 s[20:21], s27, v38
	v_cvt_f32_i32_e32 v39, v39
	v_cndmask_b32_e64 v37, v36, v74, s[18:19]
	v_cndmask_b32_e64 v38, v36, v75, s[20:21]
	v_max3_f32 v35, v35, v37, v38
	v_or_b32_e32 v37, 32, v34
	v_or_b32_e32 v38, 33, v34
	v_cmp_gt_i32_e64 s[14:15], s27, v37
	v_cmp_gt_i32_e64 s[16:17], s27, v38
	v_fma_f32 v66, v89, v39, v66
	v_cndmask_b32_e64 v37, v36, v72, s[14:15]
	v_cndmask_b32_e64 v38, v36, v73, s[16:17]
	v_max3_f32 v35, v35, v37, v38
	v_or_b32_e32 v37, 34, v34
	v_or_b32_e32 v38, 35, v34
	v_cmp_gt_i32_e64 s[10:11], s27, v37
	v_cmp_gt_i32_e64 s[12:13], s27, v38
	s_nop 0
	v_cndmask_b32_e64 v37, v36, v70, s[10:11]
	v_cndmask_b32_e64 v38, v36, v71, s[12:13]
	v_max3_f32 v35, v35, v37, v38
	v_or_b32_e32 v37, 48, v34
	v_or_b32_e32 v38, 49, v34
	v_cmp_gt_i32_e64 s[6:7], s27, v37
	v_cmp_gt_i32_e64 s[8:9], s27, v38
	s_nop 0
	v_cndmask_b32_e64 v37, v36, v68, s[6:7]
	v_cndmask_b32_e64 v38, v36, v69, s[8:9]
	v_max3_f32 v35, v35, v37, v38
	v_or_b32_e32 v37, 50, v34
	v_or_b32_e32 v34, 51, v34
	v_cmp_gt_i32_e32 vcc, s27, v37
	v_cmp_gt_i32_e64 s[4:5], s27, v34
	global_load_dwordx4 v[46:49], v[42:43], off
	global_load_dwordx4 v[38:41], v[42:43], off offset:16
	v_cndmask_b32_e32 v37, v36, v66, vcc
	v_cndmask_b32_e64 v34, v36, v67, s[4:5]
	v_max3_f32 v50, v35, v37, v34
	v_mbcnt_lo_u32_b32 v34, -1, 0
	v_mbcnt_hi_u32_b32 v51, -1, v34
	v_and_b32_e32 v34, 64, v51
	v_add_u32_e32 v52, 64, v34
	v_xor_b32_e32 v34, 32, v51
	v_cmp_lt_i32_e64 s[38:39], v34, v52
	s_nop 1
	v_cndmask_b32_e64 v34, v51, v34, s[38:39]
	v_lshlrev_b32_e32 v87, 2, v34
	ds_bpermute_b32 v53, v87, v50
	v_lshl_add_u64 v[34:35], v[80:81], 0, v[54:55]
	global_load_dwordx4 v[42:45], v[34:35], off
	s_nop 0
	global_load_dwordx4 v[34:37], v[34:35], off offset:16
	s_waitcnt lgkmcnt(0)
	v_max_f32_e32 v53, v53, v53
	v_max_f32_e32 v62, v50, v53
	v_xor_b32_e32 v50, 16, v51
	v_cmp_lt_i32_e64 s[38:39], v50, v52
	s_nop 1
	v_cndmask_b32_e64 v50, v51, v50, s[38:39]
	v_lshlrev_b32_e32 v89, 2, v50
	ds_bpermute_b32 v63, v89, v62
	v_lshl_add_u64 v[50:51], v[80:81], 0, v[56:57]
	global_load_dwordx4 v[54:57], v[50:51], off
	s_nop 0
	global_load_dwordx4 v[50:53], v[50:51], off offset:16
	s_waitcnt lgkmcnt(0)
	v_max_f32_e32 v63, v63, v63
	v_max_f32_e32 v86, v62, v63
	v_sub_f32_e32 v60, v60, v86
	v_mul_f32_e32 v60, 0x3fb8aa3b, v60
	v_exp_f32_e32 v80, v60
	v_sub_f32_e32 v60, v61, v86
	v_mul_f32_e32 v60, 0x3fb8aa3b, v60
	v_exp_f32_e32 v81, v60
	global_load_dwordx4 v[62:65], v[58:59], off
	s_nop 0
	global_load_dwordx4 v[58:61], v[58:59], off offset:16
	v_sub_f32_e32 v78, v78, v86
	v_mul_f32_e32 v78, 0x3fb8aa3b, v78
	v_sub_f32_e32 v79, v79, v86
	v_exp_f32_e32 v78, v78
	v_mul_f32_e32 v79, 0x3fb8aa3b, v79
	v_sub_f32_e32 v76, v76, v86
	v_exp_f32_e32 v79, v79
	v_mul_f32_e32 v76, 0x3fb8aa3b, v76
	v_sub_f32_e32 v77, v77, v86
	v_cndmask_b32_e64 v80, 0, v80, s[28:29]
	v_exp_f32_e32 v76, v76
	v_mul_f32_e32 v77, 0x3fb8aa3b, v77
	v_sub_f32_e32 v74, v74, v86
	v_add_f32_e32 v91, 0, v80
	v_cndmask_b32_e64 v81, 0, v81, s[30:31]
	v_exp_f32_e32 v77, v77
	v_mul_f32_e32 v74, 0x3fb8aa3b, v74
	v_sub_f32_e32 v75, v75, v86
	v_add_f32_e32 v91, v91, v81
	;; [unrolled: 5-line block ×10, first 2 shown]
	v_cndmask_b32_e64 v70, 0, v70, s[10:11]
	v_exp_f32_e32 v66, v66
	v_mul_f32_e32 v67, 0x3fb8aa3b, v67
	v_add_f32_e32 v91, v91, v70
	v_cndmask_b32_e64 v71, 0, v71, s[12:13]
	v_exp_f32_e32 v67, v67
	v_add_f32_e32 v91, v91, v71
	v_cndmask_b32_e64 v68, 0, v68, s[6:7]
	v_add_f32_e32 v91, v91, v68
	v_cndmask_b32_e64 v69, 0, v69, s[8:9]
	v_add_f32_e32 v91, v91, v69
	v_cndmask_b32_e32 v66, 0, v66, vcc
	v_add_f32_e32 v91, v91, v66
	v_cndmask_b32_e64 v67, 0, v67, s[4:5]
	v_add_f32_e32 v91, v91, v67
	ds_bpermute_b32 v87, v87, v91
	s_load_dword s7, s[0:1], 0x98
	v_cmp_gt_u32_e32 vcc, 16, v85
	s_waitcnt lgkmcnt(0)
	s_barrier
	v_add_f32_e32 v87, v91, v87
	ds_bpermute_b32 v89, v89, v87
	s_waitcnt lgkmcnt(0)
	s_and_saveexec_b64 s[4:5], vcc
	s_cbranch_execz .LBB318_17
; %bb.16:
	v_add_f32_e32 v85, v87, v89
	v_lshlrev_b32_e32 v87, 2, v90
	ds_write2st64_b32 v87, v86, v85 offset1:1
.LBB318_17:
	s_or_b64 exec, exec, s[4:5]
	v_lshlrev_b32_e32 v85, 2, v84
	s_load_dword s6, s[0:1], 0x94
	s_waitcnt lgkmcnt(0)
	s_barrier
	ds_read2_b32 v[90:91], v85 offset1:16
	ds_read2_b32 v[92:93], v85 offset0:32 offset1:48
	ds_read2_b32 v[94:95], v85 offset0:64 offset1:80
	s_mul_i32 s7, s7, 15
	s_waitcnt lgkmcnt(2)
	v_max3_f32 v86, v90, s33, v91
	s_waitcnt lgkmcnt(1)
	v_max3_f32 v86, v86, v92, v93
	v_sub_f32_e32 v87, v90, v86
	v_mul_f32_e32 v87, 0x3fb8aa3b, v87
	v_exp_f32_e32 v89, v87
	v_sub_f32_e32 v87, v91, v86
	v_mul_f32_e32 v87, 0x3fb8aa3b, v87
	v_exp_f32_e32 v88, v87
	v_sub_f32_e32 v87, v92, v86
	v_mul_f32_e32 v87, 0x3fb8aa3b, v87
	ds_read2_b32 v[90:91], v85 offset0:96 offset1:112
	v_sub_f32_e32 v85, v93, v86
	v_exp_f32_e32 v92, v87
	v_mul_f32_e32 v85, 0x3fb8aa3b, v85
	v_exp_f32_e32 v85, v85
	s_waitcnt lgkmcnt(1)
	v_fma_f32 v87, v89, v94, 0
	v_fmac_f32_e32 v87, v88, v95
	s_waitcnt lgkmcnt(0)
	v_fmac_f32_e32 v87, v92, v90
	v_fmac_f32_e32 v87, v85, v91
	v_add_f32_e32 v90, 0x358637bd, v87
	v_div_scale_f32 v91, s[4:5], v90, v90, 1.0
	v_rcp_f32_e32 v93, v91
	s_barrier
	v_fma_f32 v94, -v91, v93, 1.0
	v_fmac_f32_e32 v93, v94, v93
	v_div_scale_f32 v94, vcc, 1.0, v90, 1.0
	v_mul_f32_e32 v95, v94, v93
	v_fma_f32 v1, -v91, v95, v94
	v_fmac_f32_e32 v95, v1, v93
	v_fma_f32 v1, -v91, v95, v94
	v_lshrrev_b32_e32 v91, 6, v0
	v_div_fmas_f32 v1, v1, v93, v95
	v_cmp_eq_u32_e32 vcc, 1, v91
	v_div_fixup_f32 v1, v1, v90, 1.0
	s_nop 0
	v_cndmask_b32_e32 v88, v89, v88, vcc
	v_cmp_eq_u32_e32 vcc, 2, v91
	s_nop 1
	v_cndmask_b32_e32 v88, v88, v92, vcc
	v_cmp_eq_u32_e32 vcc, 3, v91
	s_nop 1
	v_cndmask_b32_e32 v85, v88, v85, vcc
	v_mul_f32_e32 v90, v85, v1
	v_pk_mul_f32 v[78:79], v[90:91], v[78:79] op_sel_hi:[0,1]
	v_cvt_f16_f32_e32 v78, v78
	v_cvt_f16_f32_e32 v79, v79
	v_pk_mul_f32 v[80:81], v[90:91], v[80:81] op_sel_hi:[0,1]
	v_cvt_f16_f32_e32 v1, v80
	v_cvt_f16_f32_e32 v80, v81
	v_pk_mul_f32 v[74:75], v[90:91], v[74:75] op_sel_hi:[0,1]
	v_pk_mul_f32 v[76:77], v[90:91], v[76:77] op_sel_hi:[0,1]
	v_pack_b32_f16 v81, v78, v79
	v_cvt_f16_f32_e32 v76, v76
	v_cvt_f16_f32_e32 v77, v77
	;; [unrolled: 1-line block ×4, first 2 shown]
	v_bfe_u32 v88, v0, 4, 2
	v_pack_b32_f16 v80, v1, v80
	v_lshlrev_b32_e32 v1, 3, v88
	v_lshlrev_b32_e32 v78, 5, v84
	;; [unrolled: 1-line block ×3, first 2 shown]
	v_or3_b32 v1, v74, v78, v1
	v_pack_b32_f16 v74, v76, v77
	v_pack_b32_f16 v75, v79, v75
	v_pk_mul_f32 v[70:71], v[90:91], v[70:71] op_sel_hi:[0,1]
	v_pk_mul_f32 v[72:73], v[90:91], v[72:73] op_sel_hi:[0,1]
	;; [unrolled: 1-line block ×4, first 2 shown]
	ds_write2st64_b64 v1, v[80:81], v[74:75] offset1:1
	v_cvt_f16_f32_e32 v72, v72
	v_cvt_f16_f32_e32 v73, v73
	v_cvt_f16_f32_e32 v70, v70
	v_cvt_f16_f32_e32 v71, v71
	v_cvt_f16_f32_e32 v68, v68
	v_cvt_f16_f32_e32 v69, v69
	v_cvt_f16_f32_e32 v74, v66
	v_cvt_f16_f32_e32 v75, v67
	v_pack_b32_f16 v66, v72, v73
	v_pack_b32_f16 v67, v70, v71
	;; [unrolled: 1-line block ×4, first 2 shown]
	v_cmp_gt_u32_e32 vcc, 15, v0
	ds_write2st64_b64 v1, v[66:67], v[68:69] offset0:2 offset1:3
	s_and_saveexec_b64 s[4:5], vcc
	s_cbranch_execz .LBB318_19
; %bb.18:
	s_mov_b32 s41, 0
	v_mov_b32_e32 v85, 0
	v_lshl_add_u64 v[66:67], s[40:41], 0, v[84:85]
	v_mov_b32_e32 v68, s7
	v_mad_u64_u32 v[66:67], s[12:13], s2, v68, v[66:67]
	s_mul_i32 s3, s3, s7
	v_mov_b32_e32 v68, s26
	v_mov_b32_e32 v69, v85
	s_load_dwordx4 s[8:11], s[0:1], 0x58
	v_add_u32_e32 v70, s3, v67
	v_mad_u64_u32 v[66:67], s[12:13], v66, s6, v[68:69]
	v_mov_b32_e32 v68, v67
	v_mad_u64_u32 v[68:69], s[12:13], v70, s6, v[68:69]
	v_mov_b32_e32 v67, v68
	v_lshlrev_b64 v[66:67], 2, v[66:67]
	s_waitcnt lgkmcnt(0)
	v_lshl_add_u64 v[68:69], s[10:11], 0, v[66:67]
	v_lshl_add_u64 v[66:67], s[8:9], 0, v[66:67]
	global_store_dword v[68:69], v86, off
	global_store_dword v[66:67], v87, off
.LBB318_19:
	s_or_b64 exec, exec, s[4:5]
	v_lshl_or_b32 v78, v88, 9, v78
	s_waitcnt lgkmcnt(0)
	s_barrier
	ds_read_b128 v[70:73], v78
	ds_read_b128 v[66:69], v78 offset:16
	s_waitcnt vmcnt(15) lgkmcnt(1)
	v_mfma_f32_16x16x16_f16 v[74:77], v[30:31], v[70:71], 0
	s_mov_b32 s3, 0
	v_cmp_gt_u32_e32 vcc, 64, v0
	v_mfma_f32_16x16x16_f16 v[30:33], v[32:33], v[72:73], v[74:77]
	s_waitcnt vmcnt(14) lgkmcnt(0)
	v_mfma_f32_16x16x16_f16 v[30:33], v[26:27], v[66:67], v[30:33]
	v_mfma_f32_16x16x16_f16 v[26:29], v[28:29], v[68:69], v[30:33]
	s_nop 5
	ds_read_b128 v[30:33], v78 offset:2048
	ds_read_b128 v[74:77], v78 offset:2064
	s_waitcnt vmcnt(13) lgkmcnt(1)
	v_mfma_f32_16x16x16_f16 v[26:29], v[22:23], v[30:31], v[26:29]
	v_mfma_f32_16x16x16_f16 v[22:25], v[24:25], v[32:33], v[26:29]
	s_waitcnt vmcnt(12) lgkmcnt(0)
	v_mfma_f32_16x16x16_f16 v[22:25], v[18:19], v[74:75], v[22:25]
	v_mfma_f32_16x16x16_f16 v[18:21], v[20:21], v[76:77], v[22:25]
	s_nop 5
	ds_read_b128 v[22:25], v78 offset:4096
	ds_read_b128 v[26:29], v78 offset:4112
	s_waitcnt vmcnt(11) lgkmcnt(1)
	v_mfma_f32_16x16x16_f16 v[18:21], v[14:15], v[22:23], v[18:21]
	v_mfma_f32_16x16x16_f16 v[14:17], v[16:17], v[24:25], v[18:21]
	s_waitcnt vmcnt(10) lgkmcnt(0)
	v_mfma_f32_16x16x16_f16 v[14:17], v[10:11], v[26:27], v[14:17]
	v_mfma_f32_16x16x16_f16 v[10:13], v[12:13], v[28:29], v[14:17]
	s_nop 5
	ds_read_b128 v[14:17], v78 offset:6144
	ds_read_b128 v[18:21], v78 offset:6160
	s_waitcnt lgkmcnt(0)
	s_barrier
	s_waitcnt vmcnt(9)
	v_mfma_f32_16x16x16_f16 v[10:13], v[6:7], v[14:15], v[10:13]
	v_mfma_f32_16x16x16_f16 v[6:9], v[8:9], v[16:17], v[10:13]
	s_waitcnt vmcnt(8)
	v_mfma_f32_16x16x16_f16 v[6:9], v[2:3], v[18:19], v[6:9]
	v_mfma_f32_16x16x16_f16 v[2:5], v[4:5], v[20:21], v[6:9]
	;; [unrolled: 3-line block ×3, first 2 shown]
	s_nop 3
	v_cvt_f16_f32_e32 v10, v2
	v_cvt_f16_f32_e32 v11, v3
	;; [unrolled: 1-line block ×3, first 2 shown]
	s_waitcnt vmcnt(6)
	v_mfma_f32_16x16x16_f16 v[6:9], v[38:39], v[66:67], v[6:9]
	v_cvt_f16_f32_e32 v13, v5
	v_mfma_f32_16x16x16_f16 v[6:9], v[40:41], v[68:69], v[6:9]
	s_waitcnt vmcnt(5)
	v_mfma_f32_16x16x16_f16 v[6:9], v[42:43], v[30:31], v[6:9]
	v_mfma_f32_16x16x16_f16 v[6:9], v[44:45], v[32:33], v[6:9]
	s_waitcnt vmcnt(4)
	v_mfma_f32_16x16x16_f16 v[6:9], v[34:35], v[74:75], v[6:9]
	;; [unrolled: 3-line block ×6, first 2 shown]
	v_mfma_f32_16x16x16_f16 v[2:5], v[60:61], v[20:21], v[6:9]
	s_nop 6
	v_cvt_f16_f32_e32 v6, v2
	v_cvt_f16_f32_e32 v7, v3
	;; [unrolled: 1-line block ×4, first 2 shown]
	v_pack_b32_f16 v2, v10, v11
	v_pack_b32_f16 v3, v12, v13
	;; [unrolled: 1-line block ×4, first 2 shown]
	ds_write2st64_b64 v1, v[2:3], v[4:5] offset1:1
	s_waitcnt lgkmcnt(0)
	s_barrier
	s_and_saveexec_b64 s[4:5], vcc
	s_cbranch_execz .LBB318_22
; %bb.20:
	s_load_dwordx2 s[4:5], s[0:1], 0x68
	s_lshl_b32 s0, s6, 7
	s_mul_i32 s1, s7, s2
	v_lshlrev_b32_e32 v3, 6, v84
	s_mul_hi_u32 s7, s1, s0
	s_mul_i32 s6, s1, s0
	v_lshlrev_b32_e32 v2, 4, v0
	v_lshl_or_b32 v0, v0, 10, v3
	s_lshl_b64 s[6:7], s[6:7], 1
	v_lshlrev_b32_e32 v1, 5, v88
	v_and_b32_e32 v2, 16, v2
	v_and_b32_e32 v0, 0x1a00, v0
	s_waitcnt lgkmcnt(0)
	s_add_u32 s1, s4, s6
	v_or3_b32 v2, v0, v1, v2
	s_addc_u32 s4, s5, s7
	s_lshl_b32 s2, s26, 7
	ds_read_b128 v[4:7], v2 offset:256
	s_lshl_b64 s[2:3], s[2:3], 1
	ds_read_b128 v[8:11], v2 offset:128
	ds_read_b128 v[12:15], v2
	s_add_u32 s2, s1, s2
	s_addc_u32 s3, s4, s3
	v_add_u32_e32 v3, s40, v88
	v_lshl_add_u64 v[0:1], v[82:83], 1, s[2:3]
	v_mad_u64_u32 v[16:17], s[2:3], v3, s0, 0
	v_lshl_add_u64 v[16:17], v[16:17], 1, v[0:1]
	s_waitcnt lgkmcnt(0)
	global_store_dwordx4 v[16:17], v[12:15], off
	v_cmp_ne_u32_e32 vcc, 3, v88
	s_nop 0
	v_add_u32_e32 v12, 4, v3
	v_mad_u64_u32 v[12:13], s[2:3], v12, s0, 0
	v_lshl_add_u64 v[12:13], v[12:13], 1, v[0:1]
	v_add_u32_e32 v3, 8, v3
	global_store_dwordx4 v[12:13], v[8:11], off
	s_nop 1
	v_mad_u64_u32 v[8:9], s[2:3], v3, s0, 0
	v_lshl_add_u64 v[8:9], v[8:9], 1, v[0:1]
	global_store_dwordx4 v[8:9], v[4:7], off
	s_and_b64 exec, exec, vcc
	s_cbranch_execz .LBB318_22
; %bb.21:
	ds_read_b128 v[2:5], v2 offset:384
	v_add3_u32 v6, s40, v88, 12
	v_mad_u64_u32 v[6:7], s[0:1], v6, s0, 0
	v_lshl_add_u64 v[0:1], v[6:7], 1, v[0:1]
	s_waitcnt lgkmcnt(0)
	global_store_dwordx4 v[0:1], v[2:5], off
.LBB318_22:
	s_endpgm
	.section	.rodata,"a",@progbits
	.p2align	6, 0x0
	.amdhsa_kernel _Z39paged_attention_ll4mi_QKV_mfma16_kernelIDF16_DF16_LN4vllm18Fp8KVCacheDataTypeE0EhLi32ELi128ELi256ELb1ELi15EEvPKT_PKT0_S7_ifPKiS9_S9_iPKfiiiPfSC_PS2_PT2_iSB_SB_
		.amdhsa_group_segment_fixed_size 8192
		.amdhsa_private_segment_fixed_size 0
		.amdhsa_kernarg_size 400
		.amdhsa_user_sgpr_count 2
		.amdhsa_user_sgpr_dispatch_ptr 0
		.amdhsa_user_sgpr_queue_ptr 0
		.amdhsa_user_sgpr_kernarg_segment_ptr 1
		.amdhsa_user_sgpr_dispatch_id 0
		.amdhsa_user_sgpr_kernarg_preload_length 0
		.amdhsa_user_sgpr_kernarg_preload_offset 0
		.amdhsa_user_sgpr_private_segment_size 0
		.amdhsa_uses_dynamic_stack 0
		.amdhsa_enable_private_segment 0
		.amdhsa_system_sgpr_workgroup_id_x 1
		.amdhsa_system_sgpr_workgroup_id_y 1
		.amdhsa_system_sgpr_workgroup_id_z 1
		.amdhsa_system_sgpr_workgroup_info 0
		.amdhsa_system_vgpr_workitem_id 0
		.amdhsa_next_free_vgpr 96
		.amdhsa_next_free_sgpr 42
		.amdhsa_accum_offset 96
		.amdhsa_reserve_vcc 1
		.amdhsa_float_round_mode_32 0
		.amdhsa_float_round_mode_16_64 0
		.amdhsa_float_denorm_mode_32 3
		.amdhsa_float_denorm_mode_16_64 3
		.amdhsa_dx10_clamp 1
		.amdhsa_ieee_mode 1
		.amdhsa_fp16_overflow 0
		.amdhsa_tg_split 0
		.amdhsa_exception_fp_ieee_invalid_op 0
		.amdhsa_exception_fp_denorm_src 0
		.amdhsa_exception_fp_ieee_div_zero 0
		.amdhsa_exception_fp_ieee_overflow 0
		.amdhsa_exception_fp_ieee_underflow 0
		.amdhsa_exception_fp_ieee_inexact 0
		.amdhsa_exception_int_div_zero 0
	.end_amdhsa_kernel
	.section	.text._Z39paged_attention_ll4mi_QKV_mfma16_kernelIDF16_DF16_LN4vllm18Fp8KVCacheDataTypeE0EhLi32ELi128ELi256ELb1ELi15EEvPKT_PKT0_S7_ifPKiS9_S9_iPKfiiiPfSC_PS2_PT2_iSB_SB_,"axG",@progbits,_Z39paged_attention_ll4mi_QKV_mfma16_kernelIDF16_DF16_LN4vllm18Fp8KVCacheDataTypeE0EhLi32ELi128ELi256ELb1ELi15EEvPKT_PKT0_S7_ifPKiS9_S9_iPKfiiiPfSC_PS2_PT2_iSB_SB_,comdat
.Lfunc_end318:
	.size	_Z39paged_attention_ll4mi_QKV_mfma16_kernelIDF16_DF16_LN4vllm18Fp8KVCacheDataTypeE0EhLi32ELi128ELi256ELb1ELi15EEvPKT_PKT0_S7_ifPKiS9_S9_iPKfiiiPfSC_PS2_PT2_iSB_SB_, .Lfunc_end318-_Z39paged_attention_ll4mi_QKV_mfma16_kernelIDF16_DF16_LN4vllm18Fp8KVCacheDataTypeE0EhLi32ELi128ELi256ELb1ELi15EEvPKT_PKT0_S7_ifPKiS9_S9_iPKfiiiPfSC_PS2_PT2_iSB_SB_
                                        ; -- End function
	.section	.AMDGPU.csdata,"",@progbits
; Kernel info:
; codeLenInByte = 4924
; NumSgprs: 48
; NumVgprs: 96
; NumAgprs: 0
; TotalNumVgprs: 96
; ScratchSize: 0
; MemoryBound: 0
; FloatMode: 240
; IeeeMode: 1
; LDSByteSize: 8192 bytes/workgroup (compile time only)
; SGPRBlocks: 5
; VGPRBlocks: 11
; NumSGPRsForWavesPerEU: 48
; NumVGPRsForWavesPerEU: 96
; AccumOffset: 96
; Occupancy: 5
; WaveLimiterHint : 1
; COMPUTE_PGM_RSRC2:SCRATCH_EN: 0
; COMPUTE_PGM_RSRC2:USER_SGPR: 2
; COMPUTE_PGM_RSRC2:TRAP_HANDLER: 0
; COMPUTE_PGM_RSRC2:TGID_X_EN: 1
; COMPUTE_PGM_RSRC2:TGID_Y_EN: 1
; COMPUTE_PGM_RSRC2:TGID_Z_EN: 1
; COMPUTE_PGM_RSRC2:TIDIG_COMP_CNT: 0
; COMPUTE_PGM_RSRC3_GFX90A:ACCUM_OFFSET: 23
; COMPUTE_PGM_RSRC3_GFX90A:TG_SPLIT: 0
	.section	.text._Z39paged_attention_ll4mi_QKV_mfma16_kernelIDF16_DF16_LN4vllm18Fp8KVCacheDataTypeE0EhLi32ELi128ELi256ELb1ELi16EEvPKT_PKT0_S7_ifPKiS9_S9_iPKfiiiPfSC_PS2_PT2_iSB_SB_,"axG",@progbits,_Z39paged_attention_ll4mi_QKV_mfma16_kernelIDF16_DF16_LN4vllm18Fp8KVCacheDataTypeE0EhLi32ELi128ELi256ELb1ELi16EEvPKT_PKT0_S7_ifPKiS9_S9_iPKfiiiPfSC_PS2_PT2_iSB_SB_,comdat
	.protected	_Z39paged_attention_ll4mi_QKV_mfma16_kernelIDF16_DF16_LN4vllm18Fp8KVCacheDataTypeE0EhLi32ELi128ELi256ELb1ELi16EEvPKT_PKT0_S7_ifPKiS9_S9_iPKfiiiPfSC_PS2_PT2_iSB_SB_ ; -- Begin function _Z39paged_attention_ll4mi_QKV_mfma16_kernelIDF16_DF16_LN4vllm18Fp8KVCacheDataTypeE0EhLi32ELi128ELi256ELb1ELi16EEvPKT_PKT0_S7_ifPKiS9_S9_iPKfiiiPfSC_PS2_PT2_iSB_SB_
	.globl	_Z39paged_attention_ll4mi_QKV_mfma16_kernelIDF16_DF16_LN4vllm18Fp8KVCacheDataTypeE0EhLi32ELi128ELi256ELb1ELi16EEvPKT_PKT0_S7_ifPKiS9_S9_iPKfiiiPfSC_PS2_PT2_iSB_SB_
	.p2align	8
	.type	_Z39paged_attention_ll4mi_QKV_mfma16_kernelIDF16_DF16_LN4vllm18Fp8KVCacheDataTypeE0EhLi32ELi128ELi256ELb1ELi16EEvPKT_PKT0_S7_ifPKiS9_S9_iPKfiiiPfSC_PS2_PT2_iSB_SB_,@function
_Z39paged_attention_ll4mi_QKV_mfma16_kernelIDF16_DF16_LN4vllm18Fp8KVCacheDataTypeE0EhLi32ELi128ELi256ELb1ELi16EEvPKT_PKT0_S7_ifPKiS9_S9_iPKfiiiPfSC_PS2_PT2_iSB_SB_: ; @_Z39paged_attention_ll4mi_QKV_mfma16_kernelIDF16_DF16_LN4vllm18Fp8KVCacheDataTypeE0EhLi32ELi128ELi256ELb1ELi16EEvPKT_PKT0_S7_ifPKiS9_S9_iPKfiiiPfSC_PS2_PT2_iSB_SB_
; %bb.0:
	s_load_dwordx2 s[8:9], s[0:1], 0x30
	s_mov_b32 s26, s3
	s_mov_b64 s[6:7], 0
	s_waitcnt lgkmcnt(0)
	s_cmp_lg_u64 s[8:9], 0
	s_cselect_b64 s[10:11], -1, 0
	s_and_b64 vcc, exec, s[10:11]
	s_cbranch_vccz .LBB319_7
; %bb.1:
	s_add_i32 s12, s2, 1
	s_mov_b32 s13, 0
	s_lshl_b64 s[14:15], s[12:13], 2
	s_add_u32 s14, s8, s14
	s_mov_b32 s3, s13
	s_addc_u32 s15, s9, s15
	s_lshl_b64 s[12:13], s[2:3], 2
	s_add_u32 s12, s8, s12
	s_addc_u32 s13, s9, s13
	s_load_dword s5, s[14:15], 0x0
	s_load_dword s16, s[12:13], 0x0
	s_waitcnt lgkmcnt(0)
	s_sub_i32 s5, s5, s16
	s_cmp_eq_u32 s5, 1
	s_cselect_b64 s[12:13], -1, 0
	s_andn2_b64 vcc, exec, s[6:7]
	s_cbranch_vccnz .LBB319_3
.LBB319_2:
	s_mov_b32 s3, 0
	s_mov_b64 s[12:13], -1
.LBB319_3:
	s_andn2_b64 vcc, exec, s[12:13]
	s_cbranch_vccnz .LBB319_19
; %bb.4:
	s_load_dwordx2 s[6:7], s[0:1], 0x28
	s_lshl_b64 s[12:13], s[2:3], 2
	s_waitcnt lgkmcnt(0)
	s_add_u32 s6, s6, s12
	s_addc_u32 s7, s7, s13
	s_load_dword s38, s[6:7], 0x0
	s_lshl_b32 s20, s26, 8
	s_waitcnt lgkmcnt(0)
	s_cmp_ge_i32 s20, s38
	s_cbranch_scc1 .LBB319_19
; %bb.5:
	s_load_dwordx2 s[6:7], s[0:1], 0x20
	s_load_dword s5, s[0:1], 0x38
	s_add_i32 s14, s38, 31
	s_ashr_i32 s15, s14, 31
	v_and_b32_e32 v1, 0xcf, v0
	s_lshr_b32 s15, s15, 27
	v_add_u32_e32 v1, s20, v1
	s_add_i32 s14, s14, s15
	v_ashrrev_i32_e32 v2, 31, v1
	s_ashr_i32 s21, s14, 5
	v_lshrrev_b32_e32 v10, 27, v2
	s_add_i32 s21, s21, -1
	s_waitcnt lgkmcnt(0)
	s_mul_i32 s14, s2, s5
	s_mov_b32 s15, 0
	v_add_u32_e32 v2, v1, v10
	s_lshl_b64 s[14:15], s[14:15], 2
	v_ashrrev_i32_e32 v2, 5, v2
	v_mov_b32_e32 v11, s21
	v_cmp_gt_i32_e32 vcc, s38, v1
	s_add_u32 s6, s6, s14
	s_addc_u32 s7, s7, s15
	v_cndmask_b32_e32 v2, v11, v2, vcc
	v_ashrrev_i32_e32 v3, 31, v2
	v_lshl_add_u64 v[4:5], v[2:3], 2, s[6:7]
	v_or_b32_e32 v2, 16, v1
	v_add_u32_e32 v3, v2, v10
	v_ashrrev_i32_e32 v3, 5, v3
	v_cmp_gt_i32_e32 vcc, s38, v2
	s_nop 1
	v_cndmask_b32_e32 v2, v11, v3, vcc
	v_ashrrev_i32_e32 v3, 31, v2
	v_lshl_add_u64 v[6:7], v[2:3], 2, s[6:7]
	v_or_b32_e32 v2, 32, v1
	v_add_u32_e32 v3, v2, v10
	v_ashrrev_i32_e32 v3, 5, v3
	v_cmp_gt_i32_e32 vcc, s38, v2
	v_or_b32_e32 v1, 48, v1
	s_nop 0
	v_cndmask_b32_e32 v2, v11, v3, vcc
	v_ashrrev_i32_e32 v3, 31, v2
	v_lshl_add_u64 v[8:9], v[2:3], 2, s[6:7]
	v_add_u32_e32 v2, v1, v10
	v_ashrrev_i32_e32 v2, 5, v2
	v_cmp_gt_i32_e32 vcc, s38, v1
	s_nop 1
	v_cndmask_b32_e32 v2, v11, v2, vcc
	v_ashrrev_i32_e32 v3, 31, v2
	v_lshl_add_u64 v[10:11], v[2:3], 2, s[6:7]
	global_load_dword v3, v[4:5], off
	global_load_dword v2, v[6:7], off
	;; [unrolled: 1-line block ×4, first 2 shown]
	s_andn2_b64 vcc, exec, s[10:11]
	s_cbranch_vccnz .LBB319_8
; %bb.6:
	s_add_u32 s8, s8, s12
	s_addc_u32 s9, s9, s13
	s_load_dword s5, s[8:9], 0x0
	s_branch .LBB319_9
.LBB319_7:
	s_mov_b64 s[12:13], 0
	s_branch .LBB319_2
.LBB319_8:
	s_mov_b32 s5, s2
.LBB319_9:
	s_load_dwordx2 s[16:17], s[0:1], 0x40
	s_load_dwordx4 s[12:15], s[0:1], 0x8
	s_load_dwordx4 s[8:11], s[0:1], 0x48
	v_and_b32_e32 v1, 15, v0
	s_waitcnt lgkmcnt(0)
	s_movk_i32 s11, 0xff
	v_lshlrev_b32_e32 v12, 3, v1
	v_cmp_lt_u32_e32 vcc, s11, v0
	s_and_saveexec_b64 s[18:19], vcc
	s_xor_b64 s[18:19], exec, s[18:19]
; %bb.10:
	v_mov_b32_e32 v13, 0
; %bb.11:
	s_or_saveexec_b64 s[18:19], s[18:19]
	v_lshrrev_b32_e32 v74, 6, v0
	v_and_b32_e32 v75, 63, v0
	s_lshl_b32 s27, s4, 4
	v_bfe_u32 v95, v0, 4, 2
	s_xor_b64 exec, exec, s[18:19]
	s_cbranch_execz .LBB319_13
; %bb.12:
	s_load_dwordx2 s[22:23], s[0:1], 0x0
	s_ashr_i32 s11, s8, 31
	s_mul_hi_u32 s24, s5, s8
	s_mul_i32 s11, s5, s11
	s_add_i32 s25, s24, s11
	s_mul_i32 s24, s5, s8
	v_lshl_or_b32 v8, v74, 2, v95
	s_lshl_b64 s[24:25], s[24:25], 1
	s_waitcnt lgkmcnt(0)
	s_add_u32 s22, s22, s24
	v_add_lshl_u32 v4, v8, s27, 7
	s_addc_u32 s23, s23, s25
	v_ashrrev_i32_e32 v5, 31, v4
	v_mov_b32_e32 v13, 0
	v_lshl_add_u64 v[4:5], v[4:5], 1, s[22:23]
	v_lshlrev_b32_e32 v6, 1, v12
	v_mov_b32_e32 v7, v13
	v_lshl_add_u64 v[4:5], v[4:5], 0, v[6:7]
	global_load_dwordx4 v[4:7], v[4:5], off
	v_and_b32_e32 v9, 3, v0
	v_lshlrev_b32_e32 v10, 9, v1
	v_lshlrev_b32_e32 v8, 5, v8
	;; [unrolled: 1-line block ×3, first 2 shown]
	v_and_b32_e32 v10, 0x1800, v10
	v_or3_b32 v8, v10, v9, v8
	s_waitcnt vmcnt(0)
	ds_write_b128 v8, v[4:7]
.LBB319_13:
	s_or_b64 exec, exec, s[18:19]
	s_mul_i32 s4, s4, s10
	s_mov_b32 s5, 0
	s_lshl_b64 s[4:5], s[4:5], 1
	s_add_u32 s10, s12, s4
	s_addc_u32 s11, s13, s5
	s_waitcnt vmcnt(3)
	v_mad_i64_i32 v[4:5], s[12:13], v3, s9, 0
	v_lshl_add_u64 v[4:5], v[4:5], 1, s[10:11]
	v_lshlrev_b64 v[58:59], 1, v[12:13]
	v_lshlrev_b32_e32 v50, 9, v95
	v_lshl_add_u64 v[4:5], v[4:5], 0, v[58:59]
	v_mov_b32_e32 v51, 0
	v_lshl_add_u64 v[6:7], v[4:5], 0, v[50:51]
	s_load_dword s33, s[0:1], 0x98
	s_load_dword s8, s[0:1], 0x1c
	s_waitcnt lgkmcnt(0)
	s_barrier
	global_load_dwordx4 v[26:29], v[6:7], off
	s_waitcnt vmcnt(3)
	v_mad_i64_i32 v[2:3], s[12:13], v2, s9, 0
	v_mov_b32_e32 v8, 0x100
	v_lshl_add_u64 v[2:3], v[2:3], 1, s[10:11]
	v_lshl_or_b32 v54, v1, 4, v8
	v_mov_b32_e32 v55, v51
	v_lshl_add_u64 v[14:15], v[2:3], 0, v[54:55]
	scratch_store_dwordx2 off, v[12:13], off offset:16 ; 8-byte Folded Spill
	v_lshl_add_u64 v[2:3], v[14:15], 0, v[50:51]
	global_load_dwordx4 v[30:33], v[2:3], off
	global_load_dwordx4 v[10:13], v[6:7], off offset:2048
	global_load_dwordx4 v[18:21], v[2:3], off offset:2048
	v_or_b32_e32 v56, 0x1000, v50
	v_mov_b32_e32 v57, v51
	v_lshl_add_u64 v[2:3], v[4:5], 0, v[56:57]
	global_load_dwordx4 v[6:9], v[2:3], off
	v_or_b32_e32 v52, 0x1800, v50
	v_mov_b32_e32 v53, v51
	v_lshl_add_u64 v[2:3], v[14:15], 0, v[56:57]
	v_lshl_add_u64 v[14:15], v[14:15], 0, v[52:53]
	global_load_dwordx4 v[22:25], v[2:3], off
	s_waitcnt vmcnt(8)
	v_mad_i64_i32 v[62:63], s[12:13], v35, s9, 0
	global_load_dwordx4 v[14:17], v[14:15], off
	v_lshl_add_u64 v[2:3], v[4:5], 0, v[52:53]
	global_load_dwordx4 v[2:5], v[2:3], off
	v_lshl_add_u64 v[62:63], v[62:63], 1, s[10:11]
	v_lshl_add_u64 v[70:71], v[62:63], 0, v[58:59]
	v_lshl_or_b32 v88, v1, 5, v50
	v_lshl_add_u64 v[72:73], v[70:71], 0, v[50:51]
	s_waitcnt vmcnt(9)
	v_mad_i64_i32 v[60:61], s[12:13], v34, s9, 0
	ds_read_b128 v[46:49], v88
	ds_read_b128 v[42:45], v88 offset:2048
	ds_read_b128 v[38:41], v88 offset:4096
	;; [unrolled: 1-line block ×3, first 2 shown]
	global_load_dwordx4 v[66:69], v[72:73], off
	s_ashr_i32 s12, s20, 31
	v_and_or_b32 v78, v0, 48, s20
	v_mov_b32_e32 v79, s21
	v_or_b32_e32 v82, 64, v78
	v_cmp_gt_i32_e32 vcc, s38, v78
	v_or_b32_e32 v83, 0x80, v78
	v_or_b32_e32 v84, 0xc0, v78
	s_mov_b32 s40, 0xff7fffff
	s_waitcnt vmcnt(9) lgkmcnt(3)
	v_mfma_f32_16x16x16_f16 v[62:65], v[26:27], v[46:47], 0
	v_lshl_add_u64 v[26:27], v[60:61], 1, s[10:11]
	v_lshl_add_u64 v[80:81], v[26:27], 0, v[54:55]
	s_lshr_b32 s10, s12, 27
	s_waitcnt vmcnt(7)
	v_mfma_f32_16x16x16_f16 v[58:61], v[30:31], v[46:47], 0
	v_lshl_add_u64 v[54:55], v[70:71], 0, v[56:57]
	v_add_u32_e32 v85, s10, v78
	v_add_u32_e32 v86, s10, v82
	v_mfma_f32_16x16x16_f16 v[26:29], v[28:29], v[48:49], v[62:65]
	v_lshl_add_u64 v[76:77], v[80:81], 0, v[56:57]
	v_add_u32_e32 v87, s10, v83
	v_add_u32_e32 v90, s10, v84
	v_mfma_f32_16x16x16_f16 v[30:33], v[32:33], v[48:49], v[58:61]
	v_lshl_add_u64 v[64:65], v[80:81], 0, v[50:51]
	v_ashrrev_i32_e32 v50, 5, v85
	v_lshl_add_u64 v[62:63], v[70:71], 0, v[52:53]
	global_load_dwordx4 v[58:61], v[72:73], off offset:2048
	s_waitcnt vmcnt(7) lgkmcnt(2)
	v_mfma_f32_16x16x16_f16 v[26:29], v[10:11], v[42:43], v[26:29]
	v_ashrrev_i32_e32 v70, 5, v86
	v_ashrrev_i32_e32 v71, 5, v87
	s_add_u32 s4, s14, s4
	v_mfma_f32_16x16x16_f16 v[10:13], v[12:13], v[44:45], v[26:29]
	s_addc_u32 s5, s15, s5
	s_waitcnt vmcnt(6)
	v_mfma_f32_16x16x16_f16 v[30:33], v[18:19], v[42:43], v[30:33]
	global_load_dwordx4 v[26:29], v[54:55], off
	v_cndmask_b32_e32 v54, v79, v50, vcc
	v_ashrrev_i32_e32 v55, 31, v54
	s_waitcnt vmcnt(6) lgkmcnt(1)
	v_mfma_f32_16x16x16_f16 v[10:13], v[6:7], v[38:39], v[10:13]
	v_cmp_gt_i32_e32 vcc, s38, v82
	v_mfma_f32_16x16x16_f16 v[18:21], v[20:21], v[44:45], v[30:33]
	s_nop 0
	v_cndmask_b32_e32 v6, v79, v70, vcc
	v_ashrrev_i32_e32 v7, 31, v6
	v_lshl_add_u64 v[6:7], v[6:7], 2, s[6:7]
	v_lshl_add_u64 v[30:31], v[54:55], 2, s[6:7]
	global_load_dword v30, v[30:31], off
	v_cmp_gt_i32_e32 vcc, s38, v83
	global_load_dword v82, v[6:7], off
	global_load_dwordx4 v[54:57], v[62:63], off
	v_mfma_f32_16x16x16_f16 v[6:9], v[8:9], v[40:41], v[10:13]
	s_nop 2
	global_load_dwordx4 v[10:13], v[64:65], off
	s_waitcnt vmcnt(9)
	v_mfma_f32_16x16x16_f16 v[18:21], v[22:23], v[38:39], v[18:21]
	global_load_dwordx4 v[62:65], v[64:65], off offset:2048
	v_ashrrev_i32_e32 v72, 5, v90
	v_cndmask_b32_e32 v22, v79, v71, vcc
	v_cmp_gt_i32_e32 vcc, s38, v84
	s_waitcnt vmcnt(8) lgkmcnt(0)
	v_mfma_f32_16x16x16_f16 v[6:9], v[2:3], v[34:35], v[6:9]
	v_ashrrev_i32_e32 v23, 31, v22
	v_cndmask_b32_e32 v2, v79, v72, vcc
	v_ashrrev_i32_e32 v3, 31, v2
	v_lshl_add_u64 v[22:23], v[22:23], 2, s[6:7]
	v_lshl_add_u64 v[2:3], v[2:3], 2, s[6:7]
	global_load_dword v83, v[22:23], off
	global_load_dword v89, v[2:3], off
	v_lshl_add_u64 v[2:3], v[80:81], 0, v[52:53]
	global_load_dwordx4 v[76:79], v[76:77], off
	v_mfma_f32_16x16x16_f16 v[70:73], v[4:5], v[36:37], v[6:9]
	global_load_dwordx4 v[84:87], v[2:3], off
	s_waitcnt vmcnt(11)
	v_mfma_f32_16x16x16_f16 v[2:5], v[66:67], v[46:47], 0
	v_or_b32_e32 v66, s27, v1
	v_ashrrev_i32_e32 v67, 31, v66
	v_lshl_add_u64 v[6:7], v[66:67], 2, s[16:17]
	global_load_dword v94, v[6:7], off
	v_mfma_f32_16x16x16_f16 v[2:5], v[68:69], v[48:49], v[2:5]
	v_and_b32_e32 v6, 16, v0
	v_lshlrev_b32_e32 v50, 1, v6
	v_lshl_or_b32 v67, v74, 4, v1
	v_mfma_f32_16x16x16_f16 v[18:21], v[24:25], v[40:41], v[18:21]
	v_lshl_add_u64 v[68:69], s[4:5], 0, v[50:51]
	v_lshlrev_b32_e32 v50, 6, v67
	s_waitcnt vmcnt(9)
	v_mad_i64_i32 v[6:7], s[4:5], v30, s9, 0
	v_mfma_f32_16x16x16_f16 v[2:5], v[58:59], v[42:43], v[2:5]
	v_lshlrev_b64 v[80:81], 1, v[6:7]
	v_mfma_f32_16x16x16_f16 v[2:5], v[60:61], v[44:45], v[2:5]
	v_lshl_add_u64 v[60:61], v[68:69], 0, v[50:51]
	v_lshl_add_u64 v[6:7], v[60:61], 0, v[80:81]
	v_or_b32_e32 v50, 0x1000, v50
	v_mfma_f32_16x16x16_f16 v[2:5], v[26:27], v[38:39], v[2:5]
	v_mfma_f32_16x16x16_f16 v[18:21], v[14:15], v[34:35], v[18:21]
	;; [unrolled: 1-line block ×3, first 2 shown]
	global_load_dwordx4 v[30:33], v[6:7], off
	global_load_dwordx4 v[26:29], v[6:7], off offset:16
	s_waitcnt vmcnt(10)
	v_mad_i64_i32 v[6:7], s[4:5], v82, s9, 0
	v_lshlrev_b64 v[52:53], 1, v[6:7]
	v_lshl_add_u64 v[6:7], v[60:61], 0, v[52:53]
	v_mfma_f32_16x16x16_f16 v[90:93], v[16:17], v[36:37], v[18:21]
	global_load_dwordx4 v[22:25], v[6:7], off
	s_nop 1
	global_load_dwordx4 v[18:21], v[6:7], off offset:16
	s_waitcnt vmcnt(10)
	v_mfma_f32_16x16x16_f16 v[6:9], v[10:11], v[46:47], 0
	s_waitcnt vmcnt(8)
	v_mad_i64_i32 v[10:11], s[4:5], v83, s9, 0
	v_pk_mul_f32 v[82:83], s[8:9], v[72:73] op_sel_hi:[0,1]
	v_mfma_f32_16x16x16_f16 v[6:9], v[12:13], v[48:49], v[6:9]
	v_mfma_f32_16x16x16_f16 v[6:9], v[62:63], v[42:43], v[6:9]
	s_waitcnt vmcnt(7)
	v_mad_i64_i32 v[42:43], s[4:5], v89, s9, 0
	v_lshlrev_b64 v[58:59], 1, v[42:43]
	v_mfma_f32_16x16x16_f16 v[2:5], v[54:55], v[34:35], v[2:5]
	v_lshlrev_b64 v[54:55], 1, v[10:11]
	v_lshl_add_u64 v[10:11], v[60:61], 0, v[54:55]
	v_lshl_add_u64 v[46:47], v[60:61], 0, v[58:59]
	global_load_dwordx4 v[14:17], v[10:11], off
	s_nop 0
	global_load_dwordx4 v[10:13], v[10:11], off offset:16
	v_mfma_f32_16x16x16_f16 v[42:45], v[64:65], v[44:45], v[6:9]
	s_nop 2
	global_load_dwordx4 v[6:9], v[46:47], off
	s_nop 0
	global_load_dwordx4 v[46:49], v[46:47], off offset:16
	v_pk_mul_f32 v[60:61], s[8:9], v[70:71] op_sel_hi:[0,1]
	v_lshl_add_u64 v[62:63], v[68:69], 0, v[50:51]
	s_waitcnt vmcnt(10)
	v_mfma_f32_16x16x16_f16 v[42:45], v[76:77], v[38:39], v[42:45]
	v_lshl_add_u64 v[38:39], v[62:63], 0, v[80:81]
	v_pk_mul_f32 v[80:81], s[8:9], v[90:91] op_sel_hi:[0,1]
	s_waitcnt vmcnt(0)
	scratch_store_dwordx4 off, v[46:49], off ; 16-byte Folded Spill
	v_mfma_f32_16x16x16_f16 v[40:43], v[78:79], v[40:41], v[42:45]
	v_pk_mul_f32 v[78:79], s[8:9], v[92:93] op_sel_hi:[0,1]
	v_mfma_f32_16x16x16_f16 v[2:5], v[56:57], v[36:37], v[2:5]
	v_mfma_f32_16x16x16_f16 v[40:43], v[84:85], v[34:35], v[40:43]
	s_nop 5
	v_pk_mul_f32 v[72:73], s[8:9], v[4:5] op_sel_hi:[0,1]
	v_pk_mul_f32 v[76:77], s[8:9], v[2:3] op_sel_hi:[0,1]
	v_mfma_f32_16x16x16_f16 v[2:5], v[86:87], v[36:37], v[40:43]
	global_load_dwordx4 v[46:49], v[38:39], off
	s_nop 1
	global_load_dwordx4 v[38:41], v[38:39], off offset:16
	s_nop 2
	v_pk_mul_f32 v[70:71], s[8:9], v[2:3] op_sel_hi:[0,1]
	v_and_b32_e32 v2, 0xc0, v0
	v_add_u32_e32 v2, s20, v2
	v_lshl_or_b32 v2, v95, 2, v2
	v_or_b32_e32 v3, 1, v2
	v_pk_mul_f32 v[68:69], s[8:9], v[4:5] op_sel_hi:[0,1]
	v_subrev_u32_e32 v4, s38, v3
	v_add_u32_e32 v34, 1, v4
	v_add_u32_e32 v35, 2, v4
	v_add_u32_e32 v36, 3, v4
	v_cvt_f32_i32_e32 v34, v34
	v_cvt_f32_i32_e32 v35, v35
	;; [unrolled: 1-line block ×3, first 2 shown]
	v_add_u32_e32 v37, 19, v4
	v_fmac_f32_e32 v61, v94, v34
	v_fma_f32 v82, v94, v35, v82
	v_fmac_f32_e32 v83, v94, v36
	v_add_u32_e32 v34, 16, v4
	v_add_u32_e32 v35, 17, v4
	;; [unrolled: 1-line block ×3, first 2 shown]
	v_cvt_f32_i32_e32 v34, v34
	v_cvt_f32_i32_e32 v35, v35
	;; [unrolled: 1-line block ×4, first 2 shown]
	v_fma_f32 v80, v94, v34, v80
	v_fmac_f32_e32 v81, v94, v35
	v_fma_f32 v78, v94, v36, v78
	v_add_u32_e32 v34, 32, v4
	v_add_u32_e32 v35, 33, v4
	;; [unrolled: 1-line block ×3, first 2 shown]
	v_cvt_f32_i32_e32 v34, v34
	v_cvt_f32_i32_e32 v35, v35
	;; [unrolled: 1-line block ×4, first 2 shown]
	v_fmac_f32_e32 v79, v94, v37
	v_add_u32_e32 v37, 35, v4
	v_fma_f32 v76, v94, v34, v76
	v_fmac_f32_e32 v77, v94, v35
	v_fma_f32 v72, v94, v36, v72
	v_add_u32_e32 v34, 48, v4
	v_add_u32_e32 v35, 49, v4
	;; [unrolled: 1-line block ×4, first 2 shown]
	v_cvt_f32_i32_e32 v4, v4
	v_cvt_f32_i32_e32 v34, v34
	;; [unrolled: 1-line block ×3, first 2 shown]
	v_fma_f32 v5, v94, v5, v60
	v_fmac_f32_e32 v69, v94, v4
	v_mov_b32_e32 v4, 0xff7fffff
	v_cmp_gt_i32_e64 s[28:29], s38, v2
	v_cmp_gt_i32_e64 s[30:31], s38, v3
	v_fma_f32 v70, v94, v34, v70
	v_cndmask_b32_e64 v34, v4, v5, s[28:29]
	v_cndmask_b32_e64 v3, v4, v61, s[30:31]
	v_fmac_f32_e32 v71, v94, v35
	v_max3_f32 v3, v34, s40, v3
	v_or_b32_e32 v34, 2, v2
	v_or_b32_e32 v35, 3, v2
	v_cmp_gt_i32_e64 s[34:35], s38, v34
	v_cmp_gt_i32_e64 s[36:37], s38, v35
	v_cvt_f32_i32_e32 v37, v37
	v_cndmask_b32_e64 v34, v4, v82, s[34:35]
	v_cndmask_b32_e64 v35, v4, v83, s[36:37]
	v_max3_f32 v3, v3, v34, v35
	v_or_b32_e32 v34, 16, v2
	v_or_b32_e32 v35, 17, v2
	v_cmp_gt_i32_e64 s[22:23], s38, v34
	v_cmp_gt_i32_e64 s[24:25], s38, v35
	v_fmac_f32_e32 v73, v94, v37
	v_cndmask_b32_e64 v34, v4, v80, s[22:23]
	v_cndmask_b32_e64 v35, v4, v81, s[24:25]
	v_max3_f32 v3, v3, v34, v35
	v_or_b32_e32 v34, 18, v2
	v_or_b32_e32 v35, 19, v2
	v_cmp_gt_i32_e64 s[18:19], s38, v34
	v_cmp_gt_i32_e64 s[20:21], s38, v35
	v_cvt_f32_i32_e32 v36, v36
	v_cndmask_b32_e64 v34, v4, v78, s[18:19]
	v_cndmask_b32_e64 v35, v4, v79, s[20:21]
	v_max3_f32 v3, v3, v34, v35
	v_or_b32_e32 v34, 32, v2
	v_or_b32_e32 v35, 33, v2
	v_cmp_gt_i32_e64 s[14:15], s38, v34
	v_cmp_gt_i32_e64 s[16:17], s38, v35
	v_fma_f32 v68, v94, v36, v68
	v_cndmask_b32_e64 v34, v4, v76, s[14:15]
	v_cndmask_b32_e64 v35, v4, v77, s[16:17]
	v_max3_f32 v3, v3, v34, v35
	v_or_b32_e32 v34, 34, v2
	v_or_b32_e32 v35, 35, v2
	v_cmp_gt_i32_e64 s[10:11], s38, v34
	v_cmp_gt_i32_e64 s[12:13], s38, v35
	s_nop 0
	v_cndmask_b32_e64 v34, v4, v72, s[10:11]
	v_cndmask_b32_e64 v35, v4, v73, s[12:13]
	v_max3_f32 v3, v3, v34, v35
	v_or_b32_e32 v34, 48, v2
	v_or_b32_e32 v35, 49, v2
	v_cmp_gt_i32_e64 s[6:7], s38, v34
	v_cmp_gt_i32_e64 s[8:9], s38, v35
	s_nop 0
	v_cndmask_b32_e64 v34, v4, v70, s[6:7]
	v_cndmask_b32_e64 v35, v4, v71, s[8:9]
	v_max3_f32 v3, v3, v34, v35
	v_or_b32_e32 v34, 50, v2
	v_or_b32_e32 v2, 51, v2
	v_cmp_gt_i32_e32 vcc, s38, v34
	v_cmp_gt_i32_e64 s[4:5], s38, v2
	s_nop 0
	v_cndmask_b32_e32 v34, v4, v68, vcc
	v_cndmask_b32_e64 v2, v4, v69, s[4:5]
	v_max3_f32 v4, v3, v34, v2
	v_mbcnt_lo_u32_b32 v2, -1, 0
	v_mbcnt_hi_u32_b32 v50, -1, v2
	v_and_b32_e32 v2, 64, v50
	v_add_u32_e32 v51, 64, v2
	v_xor_b32_e32 v2, 32, v50
	v_cmp_lt_i32_e64 s[38:39], v2, v51
	s_nop 1
	v_cndmask_b32_e64 v2, v50, v2, s[38:39]
	v_lshlrev_b32_e32 v86, 2, v2
	ds_bpermute_b32 v56, v86, v4
	v_lshl_add_u64 v[2:3], v[62:63], 0, v[52:53]
	global_load_dwordx4 v[42:45], v[2:3], off
	global_load_dwordx4 v[34:37], v[2:3], off offset:16
	s_waitcnt lgkmcnt(0)
	v_max_f32_e32 v2, v56, v56
	v_max_f32_e32 v4, v4, v2
	v_xor_b32_e32 v2, 16, v50
	v_cmp_lt_i32_e64 s[38:39], v2, v51
	s_nop 1
	v_cndmask_b32_e64 v2, v50, v2, s[38:39]
	v_lshlrev_b32_e32 v87, 2, v2
	ds_bpermute_b32 v60, v87, v4
	v_lshl_add_u64 v[2:3], v[62:63], 0, v[54:55]
	global_load_dwordx4 v[54:57], v[2:3], off
	global_load_dwordx4 v[50:53], v[2:3], off offset:16
	v_lshl_add_u64 v[2:3], v[62:63], 0, v[58:59]
	s_waitcnt lgkmcnt(0)
	v_max_f32_e32 v58, v60, v60
	v_max_f32_e32 v90, v4, v58
	v_sub_f32_e32 v4, v5, v90
	v_sub_f32_e32 v5, v61, v90
	global_load_dwordx4 v[62:65], v[2:3], off
	global_load_dwordx4 v[58:61], v[2:3], off offset:16
	v_mul_f32_e32 v4, 0x3fb8aa3b, v4
	v_exp_f32_e32 v4, v4
	v_sub_f32_e32 v3, v82, v90
	v_mul_f32_e32 v3, 0x3fb8aa3b, v3
	v_exp_f32_e32 v3, v3
	v_cndmask_b32_e64 v84, 0, v4, s[28:29]
	v_sub_f32_e32 v4, v83, v90
	v_mul_f32_e32 v4, 0x3fb8aa3b, v4
	v_exp_f32_e32 v4, v4
	v_cndmask_b32_e64 v82, 0, v3, s[34:35]
	v_sub_f32_e32 v3, v80, v90
	v_mul_f32_e32 v3, 0x3fb8aa3b, v3
	v_cndmask_b32_e64 v83, 0, v4, s[36:37]
	v_sub_f32_e32 v4, v81, v90
	v_exp_f32_e32 v3, v3
	v_mul_f32_e32 v4, 0x3fb8aa3b, v4
	v_exp_f32_e32 v4, v4
	v_mul_f32_e32 v5, 0x3fb8aa3b, v5
	v_cndmask_b32_e64 v80, 0, v3, s[22:23]
	v_sub_f32_e32 v3, v78, v90
	v_cndmask_b32_e64 v81, 0, v4, s[24:25]
	v_mul_f32_e32 v3, 0x3fb8aa3b, v3
	v_sub_f32_e32 v4, v79, v90
	v_exp_f32_e32 v3, v3
	v_mul_f32_e32 v4, 0x3fb8aa3b, v4
	v_exp_f32_e32 v4, v4
	v_exp_f32_e32 v5, v5
	v_cndmask_b32_e64 v78, 0, v3, s[18:19]
	v_sub_f32_e32 v3, v76, v90
	v_cndmask_b32_e64 v79, 0, v4, s[20:21]
	v_mul_f32_e32 v3, 0x3fb8aa3b, v3
	v_sub_f32_e32 v4, v77, v90
	v_exp_f32_e32 v3, v3
	v_mul_f32_e32 v4, 0x3fb8aa3b, v4
	v_exp_f32_e32 v4, v4
	v_add_f32_e32 v2, 0, v84
	v_cndmask_b32_e64 v76, 0, v3, s[14:15]
	v_sub_f32_e32 v3, v72, v90
	v_cndmask_b32_e64 v77, 0, v4, s[16:17]
	v_mul_f32_e32 v3, 0x3fb8aa3b, v3
	v_sub_f32_e32 v4, v73, v90
	v_exp_f32_e32 v3, v3
	v_mul_f32_e32 v4, 0x3fb8aa3b, v4
	v_exp_f32_e32 v4, v4
	v_cndmask_b32_e64 v85, 0, v5, s[30:31]
	v_add_f32_e32 v2, v2, v85
	v_cndmask_b32_e64 v72, 0, v3, s[10:11]
	v_sub_f32_e32 v3, v70, v90
	v_add_f32_e32 v2, v2, v82
	v_cndmask_b32_e64 v73, 0, v4, s[12:13]
	v_mul_f32_e32 v3, 0x3fb8aa3b, v3
	v_sub_f32_e32 v4, v71, v90
	v_add_f32_e32 v2, v2, v83
	v_exp_f32_e32 v3, v3
	v_mul_f32_e32 v4, 0x3fb8aa3b, v4
	v_add_f32_e32 v2, v2, v80
	v_exp_f32_e32 v4, v4
	v_add_f32_e32 v2, v2, v81
	v_add_f32_e32 v2, v2, v78
	v_add_f32_e32 v2, v2, v79
	v_cndmask_b32_e64 v70, 0, v3, s[6:7]
	v_sub_f32_e32 v3, v68, v90
	v_add_f32_e32 v2, v2, v76
	v_cndmask_b32_e64 v71, 0, v4, s[8:9]
	v_mul_f32_e32 v3, 0x3fb8aa3b, v3
	v_sub_f32_e32 v4, v69, v90
	v_add_f32_e32 v2, v2, v77
	v_exp_f32_e32 v3, v3
	v_mul_f32_e32 v4, 0x3fb8aa3b, v4
	v_add_f32_e32 v2, v2, v72
	v_exp_f32_e32 v4, v4
	v_add_f32_e32 v2, v2, v73
	v_add_f32_e32 v2, v2, v70
	;; [unrolled: 1-line block ×3, first 2 shown]
	v_cndmask_b32_e32 v68, 0, v3, vcc
	v_add_f32_e32 v2, v2, v68
	v_cndmask_b32_e64 v69, 0, v4, s[4:5]
	v_add_f32_e32 v2, v2, v69
	ds_bpermute_b32 v3, v86, v2
	v_cmp_gt_u32_e32 vcc, 16, v75
	s_waitcnt lgkmcnt(0)
	s_barrier
	v_add_f32_e32 v91, v2, v3
	ds_bpermute_b32 v92, v87, v91
	s_and_saveexec_b64 s[4:5], vcc
	s_cbranch_execz .LBB319_15
; %bb.14:
	s_waitcnt lgkmcnt(0)
	v_add_f32_e32 v2, v91, v92
	v_lshlrev_b32_e32 v3, 2, v67
	ds_write2st64_b32 v3, v90, v2 offset1:1
.LBB319_15:
	s_or_b64 exec, exec, s[4:5]
	v_and_b32_e32 v1, 15, v0
	v_lshlrev_b32_e32 v67, 2, v1
	s_load_dword s6, s[0:1], 0x94
	s_waitcnt lgkmcnt(0)
	s_barrier
	ds_read2_b32 v[2:3], v67 offset1:16
	ds_read2_b32 v[4:5], v67 offset0:32 offset1:48
	v_lshrrev_b32_e32 v74, 6, v0
	s_lshl_b32 s7, s33, 4
	s_waitcnt lgkmcnt(1)
	v_max3_f32 v86, v2, s40, v3
	s_waitcnt lgkmcnt(0)
	v_max3_f32 v89, v86, v4, v5
	v_sub_f32_e32 v2, v2, v89
	v_mul_f32_e32 v2, 0x3fb8aa3b, v2
	v_exp_f32_e32 v91, v2
	v_sub_f32_e32 v2, v3, v89
	v_mul_f32_e32 v2, 0x3fb8aa3b, v2
	ds_read2_b32 v[86:87], v67 offset0:64 offset1:80
	v_exp_f32_e32 v92, v2
	v_sub_f32_e32 v2, v4, v89
	v_mul_f32_e32 v2, 0x3fb8aa3b, v2
	v_exp_f32_e32 v4, v2
	ds_read2_b32 v[2:3], v67 offset0:96 offset1:112
	v_sub_f32_e32 v5, v5, v89
	v_mul_f32_e32 v5, 0x3fb8aa3b, v5
	v_exp_f32_e32 v5, v5
	s_waitcnt lgkmcnt(1)
	v_fma_f32 v90, v91, v86, 0
	v_fmac_f32_e32 v90, v92, v87
	s_waitcnt lgkmcnt(0)
	v_fmac_f32_e32 v90, v4, v2
	v_fmac_f32_e32 v90, v5, v3
	v_add_f32_e32 v2, 0x358637bd, v90
	v_div_scale_f32 v3, s[4:5], v2, v2, 1.0
	v_rcp_f32_e32 v67, v3
	s_barrier
	v_fma_f32 v86, -v3, v67, 1.0
	v_fmac_f32_e32 v67, v86, v67
	v_div_scale_f32 v86, vcc, 1.0, v2, 1.0
	v_mul_f32_e32 v87, v86, v67
	v_fma_f32 v93, -v3, v87, v86
	v_fmac_f32_e32 v87, v93, v67
	v_fma_f32 v3, -v3, v87, v86
	v_div_fmas_f32 v3, v3, v67, v87
	v_cmp_eq_u32_e32 vcc, 1, v74
	v_div_fixup_f32 v2, v3, v2, 1.0
	s_nop 0
	v_cndmask_b32_e32 v3, v91, v92, vcc
	v_cmp_eq_u32_e32 vcc, 2, v74
	s_nop 1
	v_cndmask_b32_e32 v3, v3, v4, vcc
	v_cmp_eq_u32_e32 vcc, 3, v74
	s_nop 1
	v_cndmask_b32_e32 v3, v3, v5, vcc
	v_mul_f32_e32 v2, v3, v2
	v_pk_mul_f32 v[4:5], v[2:3], v[82:83] op_sel_hi:[0,1]
	v_pk_mul_f32 v[82:83], v[2:3], v[84:85] op_sel_hi:[0,1]
	v_cvt_f16_f32_e32 v3, v82
	v_cvt_f16_f32_e32 v67, v83
	;; [unrolled: 1-line block ×4, first 2 shown]
	v_bfe_u32 v83, v0, 4, 2
	v_pack_b32_f16 v4, v3, v67
	v_lshlrev_b32_e32 v3, 3, v83
	v_pk_mul_f32 v[78:79], v[2:3], v[78:79] op_sel_hi:[0,1]
	v_pk_mul_f32 v[80:81], v[2:3], v[80:81] op_sel_hi:[0,1]
	v_pack_b32_f16 v5, v82, v5
	v_cvt_f16_f32_e32 v80, v80
	v_cvt_f16_f32_e32 v81, v81
	;; [unrolled: 1-line block ×4, first 2 shown]
	v_lshlrev_b32_e32 v67, 5, v1
	v_lshlrev_b32_e32 v78, 11, v74
	v_or3_b32 v78, v78, v67, v3
	v_pack_b32_f16 v80, v80, v81
	v_pack_b32_f16 v81, v82, v79
	ds_write2st64_b64 v78, v[4:5], v[80:81] offset1:1
	v_pk_mul_f32 v[4:5], v[2:3], v[72:73] op_sel_hi:[0,1]
	v_pk_mul_f32 v[72:73], v[2:3], v[76:77] op_sel_hi:[0,1]
	v_cvt_f16_f32_e32 v67, v72
	v_cvt_f16_f32_e32 v72, v73
	;; [unrolled: 1-line block ×4, first 2 shown]
	v_pk_mul_f32 v[4:5], v[2:3], v[68:69] op_sel_hi:[0,1]
	v_pk_mul_f32 v[2:3], v[2:3], v[70:71] op_sel_hi:[0,1]
	v_cvt_f16_f32_e32 v68, v2
	v_cvt_f16_f32_e32 v69, v3
	;; [unrolled: 1-line block ×4, first 2 shown]
	v_pack_b32_f16 v2, v67, v72
	v_pack_b32_f16 v3, v73, v76
	;; [unrolled: 1-line block ×4, first 2 shown]
	v_cmp_gt_u32_e32 vcc, 16, v0
	ds_write2st64_b64 v78, v[2:3], v[4:5] offset0:2 offset1:3
	s_and_saveexec_b64 s[4:5], vcc
	s_cbranch_execz .LBB319_17
; %bb.16:
	v_mov_b32_e32 v67, 0
	v_mov_b32_e32 v2, s7
	s_mul_i32 s3, s3, s7
	v_mad_u64_u32 v[2:3], s[12:13], s2, v2, v[66:67]
	v_mov_b32_e32 v66, s26
	s_load_dwordx4 s[8:11], s[0:1], 0x58
	v_add_u32_e32 v5, s3, v3
	v_mad_u64_u32 v[2:3], s[12:13], v2, s6, v[66:67]
	v_mov_b32_e32 v4, v3
	v_mad_u64_u32 v[4:5], s[12:13], v5, s6, v[4:5]
	v_mov_b32_e32 v3, v4
	v_lshlrev_b64 v[2:3], 2, v[2:3]
	s_waitcnt lgkmcnt(0)
	v_lshl_add_u64 v[4:5], s[10:11], 0, v[2:3]
	v_lshl_add_u64 v[2:3], s[8:9], 0, v[2:3]
	global_store_dword v[4:5], v89, off
	global_store_dword v[2:3], v90, off
.LBB319_17:
	s_or_b64 exec, exec, s[4:5]
	s_waitcnt lgkmcnt(0)
	s_barrier
	ds_read_b128 v[70:73], v88
	ds_read_b128 v[66:69], v88 offset:16
	s_waitcnt lgkmcnt(1)
	v_mfma_f32_16x16x16_f16 v[2:5], v[30:31], v[70:71], 0
	s_mov_b32 s3, 0
	v_cmp_gt_u32_e32 vcc, 64, v0
	v_mfma_f32_16x16x16_f16 v[2:5], v[32:33], v[72:73], v[2:5]
	s_waitcnt lgkmcnt(0)
	v_mfma_f32_16x16x16_f16 v[2:5], v[26:27], v[66:67], v[2:5]
	v_mfma_f32_16x16x16_f16 v[2:5], v[28:29], v[68:69], v[2:5]
	ds_read_b128 v[26:29], v88 offset:2048
	ds_read_b128 v[30:33], v88 offset:2064
	s_waitcnt lgkmcnt(1)
	v_mfma_f32_16x16x16_f16 v[2:5], v[22:23], v[26:27], v[2:5]
	v_mfma_f32_16x16x16_f16 v[2:5], v[24:25], v[28:29], v[2:5]
	s_waitcnt lgkmcnt(0)
	v_mfma_f32_16x16x16_f16 v[2:5], v[18:19], v[30:31], v[2:5]
	v_mfma_f32_16x16x16_f16 v[2:5], v[20:21], v[32:33], v[2:5]
	ds_read_b128 v[18:21], v88 offset:4096
	ds_read_b128 v[22:25], v88 offset:4112
	s_waitcnt lgkmcnt(1)
	v_mfma_f32_16x16x16_f16 v[2:5], v[14:15], v[18:19], v[2:5]
	;; [unrolled: 8-line block ×3, first 2 shown]
	v_mfma_f32_16x16x16_f16 v[2:5], v[8:9], v[12:13], v[2:5]
	scratch_load_dwordx4 v[6:9], off, off   ; 16-byte Folded Reload
	s_waitcnt lgkmcnt(0)
	s_barrier
	s_waitcnt vmcnt(0)
	v_mfma_f32_16x16x16_f16 v[2:5], v[6:7], v[14:15], v[2:5]
	v_mfma_f32_16x16x16_f16 v[2:5], v[8:9], v[16:17], v[2:5]
	;; [unrolled: 1-line block ×15, first 2 shown]
	v_cvt_f16_f32_e32 v10, v2
	v_cvt_f16_f32_e32 v11, v3
	v_mfma_f32_16x16x16_f16 v[6:9], v[64:65], v[12:13], v[6:9]
	v_cvt_f16_f32_e32 v12, v4
	v_cvt_f16_f32_e32 v13, v5
	v_mfma_f32_16x16x16_f16 v[6:9], v[58:59], v[14:15], v[6:9]
	v_mfma_f32_16x16x16_f16 v[2:5], v[60:61], v[16:17], v[6:9]
	s_nop 6
	v_cvt_f16_f32_e32 v6, v2
	v_cvt_f16_f32_e32 v7, v3
	v_cvt_f16_f32_e32 v8, v4
	v_cvt_f16_f32_e32 v5, v5
	v_pack_b32_f16 v2, v10, v11
	v_pack_b32_f16 v3, v12, v13
	;; [unrolled: 1-line block ×4, first 2 shown]
	ds_write2st64_b64 v78, v[2:3], v[4:5] offset1:1
	s_waitcnt lgkmcnt(0)
	s_barrier
	s_and_saveexec_b64 s[4:5], vcc
	s_cbranch_execz .LBB319_19
; %bb.18:
	v_lshlrev_b32_e32 v1, 6, v1
	v_lshlrev_b32_e32 v3, 4, v0
	v_lshl_or_b32 v0, v0, 10, v1
	v_lshlrev_b32_e32 v2, 5, v83
	v_and_b32_e32 v3, 16, v3
	v_and_b32_e32 v0, 0x1a00, v0
	v_or3_b32 v12, v0, v2, v3
	ds_read_b128 v[0:3], v12
	ds_read_b128 v[4:7], v12 offset:128
	ds_read_b128 v[8:11], v12 offset:256
	;; [unrolled: 1-line block ×3, first 2 shown]
	scratch_load_dwordx2 v[16:17], off, off offset:16 ; 8-byte Folded Reload
	s_load_dwordx2 s[0:1], s[0:1], 0x68
	s_lshl_b32 s6, s6, 7
	s_mul_i32 s2, s7, s2
	s_mul_hi_u32 s5, s2, s6
	s_mul_i32 s4, s2, s6
	s_lshl_b64 s[4:5], s[4:5], 1
	s_waitcnt lgkmcnt(0)
	s_add_u32 s4, s0, s4
	s_addc_u32 s5, s1, s5
	s_lshl_b32 s2, s26, 7
	s_lshl_b64 s[0:1], s[2:3], 1
	s_add_u32 s0, s4, s0
	s_addc_u32 s1, s5, s1
	v_or_b32_e32 v20, s27, v83
	s_waitcnt vmcnt(0)
	v_lshl_add_u64 v[16:17], v[16:17], 1, s[0:1]
	v_mad_u64_u32 v[18:19], s[0:1], v20, s6, 0
	v_lshl_add_u64 v[18:19], v[18:19], 1, v[16:17]
	global_store_dwordx4 v[18:19], v[0:3], off
	s_nop 1
	v_or_b32_e32 v0, 4, v20
	v_mad_u64_u32 v[0:1], s[0:1], v0, s6, 0
	v_lshl_add_u64 v[0:1], v[0:1], 1, v[16:17]
	global_store_dwordx4 v[0:1], v[4:7], off
	v_or_b32_e32 v0, 8, v20
	v_mad_u64_u32 v[0:1], s[0:1], v0, s6, 0
	v_lshl_add_u64 v[0:1], v[0:1], 1, v[16:17]
	global_store_dwordx4 v[0:1], v[8:11], off
	;; [unrolled: 4-line block ×3, first 2 shown]
.LBB319_19:
	s_endpgm
	.section	.rodata,"a",@progbits
	.p2align	6, 0x0
	.amdhsa_kernel _Z39paged_attention_ll4mi_QKV_mfma16_kernelIDF16_DF16_LN4vllm18Fp8KVCacheDataTypeE0EhLi32ELi128ELi256ELb1ELi16EEvPKT_PKT0_S7_ifPKiS9_S9_iPKfiiiPfSC_PS2_PT2_iSB_SB_
		.amdhsa_group_segment_fixed_size 8192
		.amdhsa_private_segment_fixed_size 28
		.amdhsa_kernarg_size 400
		.amdhsa_user_sgpr_count 2
		.amdhsa_user_sgpr_dispatch_ptr 0
		.amdhsa_user_sgpr_queue_ptr 0
		.amdhsa_user_sgpr_kernarg_segment_ptr 1
		.amdhsa_user_sgpr_dispatch_id 0
		.amdhsa_user_sgpr_kernarg_preload_length 0
		.amdhsa_user_sgpr_kernarg_preload_offset 0
		.amdhsa_user_sgpr_private_segment_size 0
		.amdhsa_uses_dynamic_stack 0
		.amdhsa_enable_private_segment 1
		.amdhsa_system_sgpr_workgroup_id_x 1
		.amdhsa_system_sgpr_workgroup_id_y 1
		.amdhsa_system_sgpr_workgroup_id_z 1
		.amdhsa_system_sgpr_workgroup_info 0
		.amdhsa_system_vgpr_workitem_id 0
		.amdhsa_next_free_vgpr 96
		.amdhsa_next_free_sgpr 41
		.amdhsa_accum_offset 96
		.amdhsa_reserve_vcc 1
		.amdhsa_float_round_mode_32 0
		.amdhsa_float_round_mode_16_64 0
		.amdhsa_float_denorm_mode_32 3
		.amdhsa_float_denorm_mode_16_64 3
		.amdhsa_dx10_clamp 1
		.amdhsa_ieee_mode 1
		.amdhsa_fp16_overflow 0
		.amdhsa_tg_split 0
		.amdhsa_exception_fp_ieee_invalid_op 0
		.amdhsa_exception_fp_denorm_src 0
		.amdhsa_exception_fp_ieee_div_zero 0
		.amdhsa_exception_fp_ieee_overflow 0
		.amdhsa_exception_fp_ieee_underflow 0
		.amdhsa_exception_fp_ieee_inexact 0
		.amdhsa_exception_int_div_zero 0
	.end_amdhsa_kernel
	.section	.text._Z39paged_attention_ll4mi_QKV_mfma16_kernelIDF16_DF16_LN4vllm18Fp8KVCacheDataTypeE0EhLi32ELi128ELi256ELb1ELi16EEvPKT_PKT0_S7_ifPKiS9_S9_iPKfiiiPfSC_PS2_PT2_iSB_SB_,"axG",@progbits,_Z39paged_attention_ll4mi_QKV_mfma16_kernelIDF16_DF16_LN4vllm18Fp8KVCacheDataTypeE0EhLi32ELi128ELi256ELb1ELi16EEvPKT_PKT0_S7_ifPKiS9_S9_iPKfiiiPfSC_PS2_PT2_iSB_SB_,comdat
.Lfunc_end319:
	.size	_Z39paged_attention_ll4mi_QKV_mfma16_kernelIDF16_DF16_LN4vllm18Fp8KVCacheDataTypeE0EhLi32ELi128ELi256ELb1ELi16EEvPKT_PKT0_S7_ifPKiS9_S9_iPKfiiiPfSC_PS2_PT2_iSB_SB_, .Lfunc_end319-_Z39paged_attention_ll4mi_QKV_mfma16_kernelIDF16_DF16_LN4vllm18Fp8KVCacheDataTypeE0EhLi32ELi128ELi256ELb1ELi16EEvPKT_PKT0_S7_ifPKiS9_S9_iPKfiiiPfSC_PS2_PT2_iSB_SB_
                                        ; -- End function
	.section	.AMDGPU.csdata,"",@progbits
; Kernel info:
; codeLenInByte = 4820
; NumSgprs: 47
; NumVgprs: 96
; NumAgprs: 0
; TotalNumVgprs: 96
; ScratchSize: 28
; MemoryBound: 0
; FloatMode: 240
; IeeeMode: 1
; LDSByteSize: 8192 bytes/workgroup (compile time only)
; SGPRBlocks: 5
; VGPRBlocks: 11
; NumSGPRsForWavesPerEU: 47
; NumVGPRsForWavesPerEU: 96
; AccumOffset: 96
; Occupancy: 5
; WaveLimiterHint : 1
; COMPUTE_PGM_RSRC2:SCRATCH_EN: 1
; COMPUTE_PGM_RSRC2:USER_SGPR: 2
; COMPUTE_PGM_RSRC2:TRAP_HANDLER: 0
; COMPUTE_PGM_RSRC2:TGID_X_EN: 1
; COMPUTE_PGM_RSRC2:TGID_Y_EN: 1
; COMPUTE_PGM_RSRC2:TGID_Z_EN: 1
; COMPUTE_PGM_RSRC2:TIDIG_COMP_CNT: 0
; COMPUTE_PGM_RSRC3_GFX90A:ACCUM_OFFSET: 23
; COMPUTE_PGM_RSRC3_GFX90A:TG_SPLIT: 0
	.section	.text._Z39paged_attention_ll4mi_QKV_mfma16_kernelIDF16_DF16_LN4vllm18Fp8KVCacheDataTypeE0EhLi32ELi128ELi256ELb1ELi1EEvPKT_PKT0_S7_ifPKiS9_S9_iPKfiiiPfSC_PS2_PT2_iSB_SB_,"axG",@progbits,_Z39paged_attention_ll4mi_QKV_mfma16_kernelIDF16_DF16_LN4vllm18Fp8KVCacheDataTypeE0EhLi32ELi128ELi256ELb1ELi1EEvPKT_PKT0_S7_ifPKiS9_S9_iPKfiiiPfSC_PS2_PT2_iSB_SB_,comdat
	.protected	_Z39paged_attention_ll4mi_QKV_mfma16_kernelIDF16_DF16_LN4vllm18Fp8KVCacheDataTypeE0EhLi32ELi128ELi256ELb1ELi1EEvPKT_PKT0_S7_ifPKiS9_S9_iPKfiiiPfSC_PS2_PT2_iSB_SB_ ; -- Begin function _Z39paged_attention_ll4mi_QKV_mfma16_kernelIDF16_DF16_LN4vllm18Fp8KVCacheDataTypeE0EhLi32ELi128ELi256ELb1ELi1EEvPKT_PKT0_S7_ifPKiS9_S9_iPKfiiiPfSC_PS2_PT2_iSB_SB_
	.globl	_Z39paged_attention_ll4mi_QKV_mfma16_kernelIDF16_DF16_LN4vllm18Fp8KVCacheDataTypeE0EhLi32ELi128ELi256ELb1ELi1EEvPKT_PKT0_S7_ifPKiS9_S9_iPKfiiiPfSC_PS2_PT2_iSB_SB_
	.p2align	8
	.type	_Z39paged_attention_ll4mi_QKV_mfma16_kernelIDF16_DF16_LN4vllm18Fp8KVCacheDataTypeE0EhLi32ELi128ELi256ELb1ELi1EEvPKT_PKT0_S7_ifPKiS9_S9_iPKfiiiPfSC_PS2_PT2_iSB_SB_,@function
_Z39paged_attention_ll4mi_QKV_mfma16_kernelIDF16_DF16_LN4vllm18Fp8KVCacheDataTypeE0EhLi32ELi128ELi256ELb1ELi1EEvPKT_PKT0_S7_ifPKiS9_S9_iPKfiiiPfSC_PS2_PT2_iSB_SB_: ; @_Z39paged_attention_ll4mi_QKV_mfma16_kernelIDF16_DF16_LN4vllm18Fp8KVCacheDataTypeE0EhLi32ELi128ELi256ELb1ELi1EEvPKT_PKT0_S7_ifPKiS9_S9_iPKfiiiPfSC_PS2_PT2_iSB_SB_
; %bb.0:
	s_load_dwordx2 s[8:9], s[0:1], 0x30
	s_mov_b32 s28, s3
	s_mov_b64 s[6:7], 0
	s_waitcnt lgkmcnt(0)
	s_cmp_lg_u64 s[8:9], 0
	s_cselect_b64 s[10:11], -1, 0
	s_and_b64 vcc, exec, s[10:11]
	s_cbranch_vccz .LBB320_7
; %bb.1:
	s_add_i32 s12, s2, 1
	s_mov_b32 s13, 0
	s_lshl_b64 s[14:15], s[12:13], 2
	s_add_u32 s14, s8, s14
	s_mov_b32 s3, s13
	s_addc_u32 s15, s9, s15
	s_lshl_b64 s[12:13], s[2:3], 2
	s_add_u32 s12, s8, s12
	s_addc_u32 s13, s9, s13
	s_load_dword s5, s[14:15], 0x0
	s_load_dword s16, s[12:13], 0x0
	s_waitcnt lgkmcnt(0)
	s_sub_i32 s5, s5, s16
	s_cmp_eq_u32 s5, 1
	s_cselect_b64 s[12:13], -1, 0
	s_andn2_b64 vcc, exec, s[6:7]
	s_cbranch_vccnz .LBB320_3
.LBB320_2:
	s_mov_b32 s3, 0
	s_mov_b64 s[12:13], -1
.LBB320_3:
	s_andn2_b64 vcc, exec, s[12:13]
	s_cbranch_vccnz .LBB320_21
; %bb.4:
	s_load_dwordx2 s[6:7], s[0:1], 0x28
	s_lshl_b64 s[12:13], s[2:3], 2
	s_waitcnt lgkmcnt(0)
	s_add_u32 s6, s6, s12
	s_addc_u32 s7, s7, s13
	s_load_dword s29, s[6:7], 0x0
	s_lshl_b32 s18, s28, 8
	s_waitcnt lgkmcnt(0)
	s_cmp_ge_i32 s18, s29
	s_cbranch_scc1 .LBB320_21
; %bb.5:
	s_load_dwordx2 s[6:7], s[0:1], 0x20
	s_load_dword s5, s[0:1], 0x38
	s_add_i32 s14, s29, 31
	s_ashr_i32 s15, s14, 31
	v_and_b32_e32 v1, 0xcf, v0
	s_lshr_b32 s15, s15, 27
	v_add_u32_e32 v1, s18, v1
	s_add_i32 s14, s14, s15
	v_ashrrev_i32_e32 v2, 31, v1
	s_ashr_i32 s19, s14, 5
	v_lshrrev_b32_e32 v4, 27, v2
	s_add_i32 s19, s19, -1
	s_waitcnt lgkmcnt(0)
	s_mul_i32 s14, s2, s5
	s_mov_b32 s15, 0
	v_add_u32_e32 v2, v1, v4
	s_lshl_b64 s[14:15], s[14:15], 2
	v_ashrrev_i32_e32 v2, 5, v2
	v_mov_b32_e32 v5, s19
	v_cmp_gt_i32_e32 vcc, s29, v1
	s_add_u32 s6, s6, s14
	s_addc_u32 s7, s7, s15
	v_cndmask_b32_e32 v2, v5, v2, vcc
	v_ashrrev_i32_e32 v3, 31, v2
	v_lshl_add_u64 v[6:7], v[2:3], 2, s[6:7]
	v_or_b32_e32 v2, 16, v1
	v_add_u32_e32 v3, v2, v4
	v_ashrrev_i32_e32 v3, 5, v3
	v_cmp_gt_i32_e32 vcc, s29, v2
	s_nop 1
	v_cndmask_b32_e32 v2, v5, v3, vcc
	v_ashrrev_i32_e32 v3, 31, v2
	v_lshl_add_u64 v[8:9], v[2:3], 2, s[6:7]
	v_or_b32_e32 v2, 32, v1
	v_add_u32_e32 v3, v2, v4
	v_ashrrev_i32_e32 v3, 5, v3
	v_cmp_gt_i32_e32 vcc, s29, v2
	v_or_b32_e32 v1, 48, v1
	s_nop 0
	v_cndmask_b32_e32 v2, v5, v3, vcc
	v_ashrrev_i32_e32 v3, 31, v2
	v_lshl_add_u64 v[10:11], v[2:3], 2, s[6:7]
	v_add_u32_e32 v2, v1, v4
	v_ashrrev_i32_e32 v2, 5, v2
	v_cmp_gt_i32_e32 vcc, s29, v1
	s_nop 1
	v_cndmask_b32_e32 v2, v5, v2, vcc
	v_ashrrev_i32_e32 v3, 31, v2
	v_lshl_add_u64 v[12:13], v[2:3], 2, s[6:7]
	global_load_dword v5, v[6:7], off
	global_load_dword v4, v[8:9], off
	;; [unrolled: 1-line block ×4, first 2 shown]
	s_andn2_b64 vcc, exec, s[10:11]
	s_cbranch_vccnz .LBB320_8
; %bb.6:
	s_add_u32 s8, s8, s12
	s_addc_u32 s9, s9, s13
	s_load_dword s5, s[8:9], 0x0
	s_branch .LBB320_9
.LBB320_7:
	s_mov_b64 s[12:13], 0
	s_branch .LBB320_2
.LBB320_8:
	s_mov_b32 s5, s2
.LBB320_9:
	s_load_dwordx2 s[14:15], s[0:1], 0x8
	s_load_dwordx4 s[8:11], s[0:1], 0x48
	v_lshrrev_b32_e32 v83, 6, v0
	v_bfe_u32 v1, v0, 4, 2
	v_lshl_or_b32 v6, v83, 2, v1
	v_and_b32_e32 v82, 15, v0
	v_lshlrev_b32_e32 v8, 3, v82
	v_cmp_ne_u32_e32 vcc, 0, v6
	scratch_store_dwordx2 off, v[8:9], off  ; 8-byte Folded Spill
	s_and_saveexec_b64 s[12:13], vcc
	s_xor_b64 s[12:13], exec, s[12:13]
	s_cbranch_execz .LBB320_11
; %bb.10:
	scratch_load_dwordx2 v[6:7], off, off   ; 8-byte Folded Reload
	s_waitcnt vmcnt(0)
	v_mov_b32_e32 v7, 0
	scratch_store_dwordx2 off, v[6:7], off  ; 8-byte Folded Spill
.LBB320_11:
	s_or_saveexec_b64 s[16:17], s[12:13]
	s_load_dwordx2 s[12:13], s[0:1], 0x10
	s_xor_b64 exec, exec, s[16:17]
	s_cbranch_execz .LBB320_13
; %bb.12:
	scratch_load_dwordx2 v[6:7], off, off   ; 8-byte Folded Reload
	s_load_dwordx2 s[20:21], s[0:1], 0x0
	s_waitcnt lgkmcnt(0)
	s_ashr_i32 s11, s8, 31
	s_mul_hi_u32 s22, s5, s8
	s_mul_i32 s11, s5, s11
	s_add_i32 s23, s22, s11
	s_mul_i32 s22, s5, s8
	s_lshl_b64 s[22:23], s[22:23], 1
	s_add_u32 s5, s20, s22
	s_addc_u32 s8, s21, s23
	s_lshl_b32 s20, s4, 7
	s_ashr_i32 s21, s20, 31
	s_lshl_b64 s[20:21], s[20:21], 1
	s_add_u32 s20, s5, s20
	s_addc_u32 s21, s8, s21
	v_and_b32_e32 v10, 3, v0
	v_lshlrev_b32_e32 v11, 9, v82
	v_lshlrev_b32_e32 v10, 9, v10
	s_movk_i32 s5, 0x1800
	v_mov_b32_e32 v13, 0
	v_and_or_b32 v10, v11, s5, v10
	s_waitcnt vmcnt(0)
	v_mov_b32_e32 v12, v6
	v_lshlrev_b32_e32 v6, 1, v12
	global_load_dwordx4 v[6:9], v6, s[20:21]
	s_waitcnt vmcnt(0)
	ds_write_b128 v10, v[6:9]
	scratch_store_dwordx2 off, v[12:13], off ; 8-byte Folded Spill
.LBB320_13:
	s_or_b64 exec, exec, s[16:17]
	s_waitcnt lgkmcnt(0)
	s_barrier
	scratch_load_dwordx2 v[8:9], off, off   ; 8-byte Folded Reload
	s_mul_i32 s10, s4, s10
	s_mov_b32 s11, 0
	s_lshl_b64 s[10:11], s[10:11], 1
	s_add_u32 s14, s14, s10
	s_addc_u32 s15, s15, s11
	s_waitcnt vmcnt(5)
	v_mad_i64_i32 v[6:7], s[16:17], v5, s9, 0
	v_lshl_add_u64 v[6:7], v[6:7], 1, s[14:15]
	v_lshlrev_b32_e32 v84, 9, v1
	v_mov_b32_e32 v85, 0
	v_or_b32_e32 v14, 0x1000, v84
	v_mov_b32_e32 v15, v85
	v_or_b32_e32 v16, 0x1800, v84
	v_mov_b32_e32 v17, v85
	s_waitcnt vmcnt(4)
	v_mad_i64_i32 v[4:5], s[16:17], v4, s9, 0
	v_lshl_add_u64 v[4:5], v[4:5], 1, s[14:15]
	v_and_b32_e32 v88, 63, v0
	v_cmp_eq_u32_e32 vcc, 0, v82
	v_mov_b32_e32 v89, 0
	s_waitcnt vmcnt(0)
	v_lshlrev_b64 v[8:9], 1, v[8:9]
	v_lshl_add_u64 v[6:7], v[6:7], 0, v[8:9]
	v_lshl_add_u64 v[10:11], v[6:7], 0, v[84:85]
	global_load_dwordx4 v[66:69], v[10:11], off
	global_load_dwordx4 v[62:65], v[10:11], off offset:2048
	v_lshl_add_u64 v[10:11], v[6:7], 0, v[14:15]
	v_lshl_add_u64 v[6:7], v[6:7], 0, v[16:17]
	global_load_dwordx4 v[78:81], v[10:11], off
	global_load_dwordx4 v[74:77], v[6:7], off
	v_mov_b32_e32 v6, 0x100
	v_lshl_or_b32 v6, v82, 4, v6
	v_mov_b32_e32 v7, v85
	v_lshl_add_u64 v[4:5], v[4:5], 0, v[6:7]
	v_lshl_add_u64 v[10:11], v[4:5], 0, v[84:85]
	global_load_dwordx4 v[70:73], v[10:11], off
	global_load_dwordx4 v[58:61], v[10:11], off offset:2048
	v_lshl_add_u64 v[10:11], v[4:5], 0, v[14:15]
	v_lshl_add_u64 v[4:5], v[4:5], 0, v[16:17]
	global_load_dwordx4 v[54:57], v[10:11], off
	global_load_dwordx4 v[30:33], v[4:5], off
	v_mad_i64_i32 v[4:5], s[16:17], v3, s9, 0
	v_lshl_add_u64 v[4:5], v[4:5], 1, s[14:15]
	v_mad_i64_i32 v[2:3], s[16:17], v2, s9, 0
	v_lshl_add_u64 v[4:5], v[4:5], 0, v[8:9]
	v_lshl_add_u64 v[2:3], v[2:3], 1, s[14:15]
	;; [unrolled: 1-line block ×4, first 2 shown]
	global_load_dwordx4 v[26:29], v[8:9], off
	global_load_dwordx4 v[22:25], v[8:9], off offset:2048
	v_lshl_add_u64 v[8:9], v[4:5], 0, v[14:15]
	v_lshl_add_u64 v[4:5], v[4:5], 0, v[16:17]
	;; [unrolled: 1-line block ×4, first 2 shown]
	global_load_dwordx4 v[18:21], v[8:9], off
	global_load_dwordx4 v[10:13], v[4:5], off
	s_nop 0
	global_load_dwordx4 v[6:9], v[2:3], off
	s_nop 0
	global_load_dwordx4 v[2:5], v[2:3], off offset:2048
	v_lshl_add_u64 v[16:17], v[34:35], 0, v[16:17]
	global_load_dwordx4 v[42:45], v[14:15], off
	global_load_dwordx4 v[34:37], v[16:17], off
	ds_read_b128 v[14:17], v84
	ds_read_b128 v[50:53], v84 offset:2048
	ds_read_b128 v[46:49], v84 offset:4096
	;; [unrolled: 1-line block ×3, first 2 shown]
	s_and_saveexec_b64 s[14:15], vcc
	s_cbranch_execz .LBB320_15
; %bb.14:
	s_load_dwordx2 s[16:17], s[0:1], 0x40
	s_ashr_i32 s5, s4, 31
	s_lshl_b64 s[20:21], s[4:5], 2
	s_waitcnt lgkmcnt(0)
	s_add_u32 s16, s16, s20
	s_addc_u32 s17, s17, s21
	s_load_dword s5, s[16:17], 0x0
	s_waitcnt lgkmcnt(0)
	v_mov_b32_e32 v89, s5
.LBB320_15:
	s_or_b64 exec, exec, s[14:15]
	s_waitcnt vmcnt(15) lgkmcnt(3)
	v_mfma_f32_16x16x16_f16 v[90:93], v[66:67], v[14:15], 0
	s_ashr_i32 s5, s18, 31
	s_lshr_b32 s5, s5, 27
	s_add_u32 s10, s12, s10
	v_mfma_f32_16x16x16_f16 v[66:69], v[68:69], v[16:17], v[90:93]
	s_addc_u32 s11, s13, s11
	s_waitcnt vmcnt(14) lgkmcnt(2)
	v_mfma_f32_16x16x16_f16 v[66:69], v[62:63], v[50:51], v[66:69]
	v_lshl_or_b32 v90, v83, 4, v82
	v_mfma_f32_16x16x16_f16 v[62:65], v[64:65], v[52:53], v[66:69]
	s_waitcnt vmcnt(13) lgkmcnt(1)
	v_mfma_f32_16x16x16_f16 v[62:65], v[78:79], v[46:47], v[62:65]
	v_mfma_f32_16x16x16_f16 v[62:65], v[80:81], v[48:49], v[62:65]
	s_waitcnt vmcnt(12) lgkmcnt(0)
	v_mfma_f32_16x16x16_f16 v[62:65], v[74:75], v[38:39], v[62:65]
	v_and_or_b32 v74, v0, 48, s18
	v_add_u32_e32 v66, s5, v74
	v_ashrrev_i32_e32 v75, 5, v66
	s_waitcnt vmcnt(11)
	v_mfma_f32_16x16x16_f16 v[66:69], v[70:71], v[14:15], 0
	v_cmp_gt_i32_e32 vcc, s29, v74
	v_mfma_f32_16x16x16_f16 v[66:69], v[72:73], v[16:17], v[66:69]
	v_or_b32_e32 v72, 64, v74
	v_add_u32_e32 v73, s5, v72
	s_waitcnt vmcnt(10)
	v_mfma_f32_16x16x16_f16 v[66:69], v[58:59], v[50:51], v[66:69]
	v_ashrrev_i32_e32 v58, 5, v73
	v_mfma_f32_16x16x16_f16 v[62:65], v[76:77], v[40:41], v[62:65]
	v_mov_b32_e32 v76, s19
	v_cndmask_b32_e32 v70, v76, v75, vcc
	v_cmp_gt_i32_e32 vcc, s29, v72
	v_ashrrev_i32_e32 v71, 31, v70
	v_lshl_add_u64 v[70:71], v[70:71], 2, s[6:7]
	v_cndmask_b32_e32 v72, v76, v58, vcc
	v_mfma_f32_16x16x16_f16 v[58:61], v[60:61], v[52:53], v[66:69]
	v_ashrrev_i32_e32 v73, 31, v72
	s_waitcnt vmcnt(9)
	v_mfma_f32_16x16x16_f16 v[58:61], v[54:55], v[46:47], v[58:61]
	v_lshl_add_u64 v[66:67], v[72:73], 2, s[6:7]
	global_load_dword v72, v[70:71], off
	global_load_dword v75, v[66:67], off
	v_or_b32_e32 v66, 0x80, v74
	v_add_u32_e32 v67, s5, v66
	v_mfma_f32_16x16x16_f16 v[54:57], v[56:57], v[48:49], v[58:61]
	v_cmp_gt_i32_e32 vcc, s29, v66
	s_nop 1
	v_ashrrev_i32_e32 v58, 5, v67
	v_cndmask_b32_e32 v58, v76, v58, vcc
	v_ashrrev_i32_e32 v59, 31, v58
	s_waitcnt vmcnt(10)
	v_mfma_f32_16x16x16_f16 v[54:57], v[30:31], v[38:39], v[54:57]
	v_lshl_add_u64 v[30:31], v[58:59], 2, s[6:7]
	global_load_dword v58, v[30:31], off
	v_mfma_f32_16x16x16_f16 v[66:69], v[32:33], v[40:41], v[54:57]
	s_nop 3
	v_or_b32_e32 v54, 0xc0, v74
	v_add_u32_e32 v30, s5, v54
	v_ashrrev_i32_e32 v55, 5, v30
	v_cmp_gt_i32_e32 vcc, s29, v54
	s_waitcnt vmcnt(10)
	v_mfma_f32_16x16x16_f16 v[30:33], v[26:27], v[14:15], 0
	s_mov_b32 s5, 0xff7fffff
	v_cndmask_b32_e32 v26, v76, v55, vcc
	v_ashrrev_i32_e32 v27, 31, v26
	v_lshl_add_u64 v[54:55], v[26:27], 2, s[6:7]
	global_load_dword v59, v[54:55], off
	v_mfma_f32_16x16x16_f16 v[26:29], v[28:29], v[16:17], v[30:33]
	s_load_dword s6, s[0:1], 0x1c
	s_waitcnt lgkmcnt(0)
	v_pk_mul_f32 v[76:77], s[6:7], v[66:67] op_sel_hi:[0,1]
	s_waitcnt vmcnt(10)
	v_mfma_f32_16x16x16_f16 v[26:29], v[22:23], v[50:51], v[26:29]
	v_and_b32_e32 v30, 16, v0
	v_lshlrev_b32_e32 v84, 1, v30
	v_lshl_add_u64 v[60:61], s[10:11], 0, v[84:85]
	v_mfma_f32_16x16x16_f16 v[22:25], v[24:25], v[52:53], v[26:29]
	v_lshlrev_b32_e32 v84, 6, v90
	v_lshl_add_u64 v[70:71], v[60:61], 0, v[84:85]
	v_or_b32_e32 v84, 0x1000, v84
	s_waitcnt vmcnt(9)
	v_mfma_f32_16x16x16_f16 v[22:25], v[18:19], v[46:47], v[22:25]
	v_lshl_add_u64 v[80:81], v[60:61], 0, v[84:85]
	v_pk_mul_f32 v[78:79], s[6:7], v[64:65] op_sel_hi:[0,1]
	v_pk_mul_f32 v[60:61], s[6:7], v[62:63] op_sel_hi:[0,1]
	v_mfma_f32_16x16x16_f16 v[18:21], v[20:21], v[48:49], v[22:25]
	s_waitcnt vmcnt(8)
	v_mfma_f32_16x16x16_f16 v[18:21], v[10:11], v[38:39], v[18:21]
	s_waitcnt vmcnt(3)
	v_mad_i64_i32 v[22:23], s[10:11], v72, s9, 0
	s_waitcnt vmcnt(2)
	v_mad_i64_i32 v[10:11], s[10:11], v75, s9, 0
	v_lshlrev_b64 v[72:73], 1, v[22:23]
	v_lshlrev_b64 v[54:55], 1, v[10:11]
	v_lshl_add_u64 v[22:23], v[70:71], 0, v[72:73]
	v_lshl_add_u64 v[10:11], v[70:71], 0, v[54:55]
	global_load_dwordx4 v[30:33], v[22:23], off
	global_load_dwordx4 v[26:29], v[22:23], off offset:16
	v_mfma_f32_16x16x16_f16 v[92:95], v[12:13], v[40:41], v[18:21]
	global_load_dwordx4 v[22:25], v[10:11], off
	s_nop 1
	global_load_dwordx4 v[18:21], v[10:11], off offset:16
	v_pk_mul_f32 v[74:75], s[6:7], v[68:69] op_sel_hi:[0,1]
	v_mfma_f32_16x16x16_f16 v[10:13], v[6:7], v[14:15], 0
	s_waitcnt vmcnt(5)
	v_mad_i64_i32 v[6:7], s[10:11], v58, s9, 0
	v_lshlrev_b64 v[56:57], 1, v[6:7]
	v_mfma_f32_16x16x16_f16 v[6:9], v[8:9], v[16:17], v[10:13]
	v_mfma_f32_16x16x16_f16 v[6:9], v[2:3], v[50:51], v[6:9]
	s_nop 1
	v_lshl_add_u64 v[10:11], v[70:71], 0, v[56:57]
	global_load_dwordx4 v[14:17], v[10:11], off
	s_nop 0
	global_load_dwordx4 v[10:13], v[10:11], off offset:16
	s_waitcnt vmcnt(6)
	v_mad_i64_i32 v[2:3], s[8:9], v59, s9, 0
	v_mfma_f32_16x16x16_f16 v[50:53], v[4:5], v[52:53], v[6:9]
	v_lshlrev_b64 v[58:59], 1, v[2:3]
	v_lshl_add_u64 v[2:3], v[70:71], 0, v[58:59]
	v_pk_mul_f32 v[70:71], s[6:7], v[94:95] op_sel_hi:[0,1]
	v_mfma_f32_16x16x16_f16 v[50:53], v[42:43], v[46:47], v[50:53]
	v_lshl_add_u64 v[42:43], v[80:81], 0, v[72:73]
	v_pk_mul_f32 v[72:73], s[6:7], v[92:93] op_sel_hi:[0,1]
	v_lshl_add_u64 v[58:59], v[80:81], 0, v[58:59]
	v_mfma_f32_16x16x16_f16 v[44:47], v[44:45], v[48:49], v[50:53]
	global_load_dwordx4 v[6:9], v[2:3], off
	s_nop 0
	global_load_dwordx4 v[2:5], v[2:3], off offset:16
	v_mfma_f32_16x16x16_f16 v[44:47], v[34:35], v[38:39], v[44:47]
	v_mfma_f32_16x16x16_f16 v[34:37], v[36:37], v[40:41], v[44:47]
	s_nop 6
	v_pk_mul_f32 v[68:69], s[6:7], v[34:35] op_sel_hi:[0,1]
	v_and_b32_e32 v34, 0xc0, v0
	v_add_u32_e32 v34, s18, v34
	v_lshl_or_b32 v34, v1, 2, v34
	v_or_b32_e32 v35, 1, v34
	v_pk_mul_f32 v[66:67], s[6:7], v[36:37] op_sel_hi:[0,1]
	v_subrev_u32_e32 v36, s29, v35
	v_add_u32_e32 v38, 1, v36
	v_add_u32_e32 v39, 2, v36
	v_cvt_f32_i32_e32 v37, v36
	v_cvt_f32_i32_e32 v38, v38
	;; [unrolled: 1-line block ×3, first 2 shown]
	v_add_u32_e32 v40, 3, v36
	v_fma_f32 v60, v89, v37, v60
	v_fmac_f32_e32 v61, v89, v38
	v_fma_f32 v78, v89, v39, v78
	v_add_u32_e32 v37, 16, v36
	v_add_u32_e32 v38, 17, v36
	;; [unrolled: 1-line block ×3, first 2 shown]
	v_cvt_f32_i32_e32 v40, v40
	v_cvt_f32_i32_e32 v37, v37
	;; [unrolled: 1-line block ×4, first 2 shown]
	v_fmac_f32_e32 v79, v89, v40
	v_add_u32_e32 v40, 19, v36
	v_fma_f32 v76, v89, v37, v76
	v_fmac_f32_e32 v77, v89, v38
	v_fma_f32 v74, v89, v39, v74
	v_add_u32_e32 v37, 32, v36
	v_add_u32_e32 v38, 33, v36
	;; [unrolled: 1-line block ×3, first 2 shown]
	v_cvt_f32_i32_e32 v40, v40
	v_cvt_f32_i32_e32 v37, v37
	;; [unrolled: 1-line block ×4, first 2 shown]
	v_fmac_f32_e32 v75, v89, v40
	v_add_u32_e32 v40, 35, v36
	v_fma_f32 v72, v89, v37, v72
	v_fmac_f32_e32 v73, v89, v38
	v_fma_f32 v70, v89, v39, v70
	v_add_u32_e32 v37, 48, v36
	v_add_u32_e32 v38, 49, v36
	;; [unrolled: 1-line block ×4, first 2 shown]
	v_cvt_f32_i32_e32 v36, v36
	v_cvt_f32_i32_e32 v37, v37
	;; [unrolled: 1-line block ×3, first 2 shown]
	v_cmp_gt_i32_e64 s[30:31], s29, v34
	v_fmac_f32_e32 v67, v89, v36
	v_mov_b32_e32 v36, 0xff7fffff
	v_cmp_gt_i32_e64 s[34:35], s29, v35
	v_fma_f32 v68, v89, v37, v68
	v_cndmask_b32_e64 v37, v36, v60, s[30:31]
	v_cndmask_b32_e64 v35, v36, v61, s[34:35]
	v_fmac_f32_e32 v69, v89, v38
	v_max3_f32 v35, v37, s5, v35
	v_or_b32_e32 v37, 2, v34
	v_or_b32_e32 v38, 3, v34
	v_cmp_gt_i32_e64 s[36:37], s29, v37
	v_cmp_gt_i32_e64 s[38:39], s29, v38
	v_cvt_f32_i32_e32 v40, v40
	v_cndmask_b32_e64 v37, v36, v78, s[36:37]
	v_cndmask_b32_e64 v38, v36, v79, s[38:39]
	v_max3_f32 v35, v35, v37, v38
	v_or_b32_e32 v37, 16, v34
	v_or_b32_e32 v38, 17, v34
	v_cmp_gt_i32_e64 s[24:25], s29, v37
	v_cmp_gt_i32_e64 s[26:27], s29, v38
	v_fmac_f32_e32 v71, v89, v40
	v_cndmask_b32_e64 v37, v36, v76, s[24:25]
	v_cndmask_b32_e64 v38, v36, v77, s[26:27]
	v_max3_f32 v35, v35, v37, v38
	v_or_b32_e32 v37, 18, v34
	v_or_b32_e32 v38, 19, v34
	v_cmp_gt_i32_e64 s[20:21], s29, v37
	v_cmp_gt_i32_e64 s[22:23], s29, v38
	v_cvt_f32_i32_e32 v39, v39
	v_cndmask_b32_e64 v37, v36, v74, s[20:21]
	v_cndmask_b32_e64 v38, v36, v75, s[22:23]
	v_max3_f32 v35, v35, v37, v38
	v_or_b32_e32 v37, 32, v34
	v_or_b32_e32 v38, 33, v34
	v_cmp_gt_i32_e64 s[16:17], s29, v37
	v_cmp_gt_i32_e64 s[18:19], s29, v38
	v_fma_f32 v66, v89, v39, v66
	v_cndmask_b32_e64 v37, v36, v72, s[16:17]
	v_cndmask_b32_e64 v38, v36, v73, s[18:19]
	v_max3_f32 v35, v35, v37, v38
	v_or_b32_e32 v37, 34, v34
	v_or_b32_e32 v38, 35, v34
	v_cmp_gt_i32_e64 s[12:13], s29, v37
	v_cmp_gt_i32_e64 s[14:15], s29, v38
	s_nop 0
	v_cndmask_b32_e64 v37, v36, v70, s[12:13]
	v_cndmask_b32_e64 v38, v36, v71, s[14:15]
	v_max3_f32 v35, v35, v37, v38
	v_or_b32_e32 v37, 48, v34
	v_or_b32_e32 v38, 49, v34
	v_cmp_gt_i32_e64 s[8:9], s29, v37
	v_cmp_gt_i32_e64 s[10:11], s29, v38
	s_nop 0
	v_cndmask_b32_e64 v37, v36, v68, s[8:9]
	v_cndmask_b32_e64 v38, v36, v69, s[10:11]
	v_max3_f32 v35, v35, v37, v38
	v_or_b32_e32 v37, 50, v34
	v_or_b32_e32 v34, 51, v34
	v_cmp_gt_i32_e32 vcc, s29, v37
	v_cmp_gt_i32_e64 s[6:7], s29, v34
	global_load_dwordx4 v[46:49], v[42:43], off
	global_load_dwordx4 v[38:41], v[42:43], off offset:16
	v_cndmask_b32_e32 v37, v36, v66, vcc
	v_cndmask_b32_e64 v34, v36, v67, s[6:7]
	v_max3_f32 v50, v35, v37, v34
	v_mbcnt_lo_u32_b32 v34, -1, 0
	v_mbcnt_hi_u32_b32 v51, -1, v34
	v_and_b32_e32 v34, 64, v51
	v_add_u32_e32 v52, 64, v34
	v_xor_b32_e32 v34, 32, v51
	v_cmp_lt_i32_e64 s[40:41], v34, v52
	s_nop 1
	v_cndmask_b32_e64 v34, v51, v34, s[40:41]
	v_lshlrev_b32_e32 v85, 2, v34
	ds_bpermute_b32 v53, v85, v50
	v_lshl_add_u64 v[34:35], v[80:81], 0, v[54:55]
	global_load_dwordx4 v[42:45], v[34:35], off
	s_nop 0
	global_load_dwordx4 v[34:37], v[34:35], off offset:16
	s_waitcnt lgkmcnt(0)
	v_max_f32_e32 v53, v53, v53
	v_max_f32_e32 v62, v50, v53
	v_xor_b32_e32 v50, 16, v51
	v_cmp_lt_i32_e64 s[40:41], v50, v52
	s_nop 1
	v_cndmask_b32_e64 v50, v51, v50, s[40:41]
	v_lshlrev_b32_e32 v89, 2, v50
	ds_bpermute_b32 v63, v89, v62
	v_lshl_add_u64 v[50:51], v[80:81], 0, v[56:57]
	global_load_dwordx4 v[54:57], v[50:51], off
	s_nop 0
	global_load_dwordx4 v[50:53], v[50:51], off offset:16
	s_waitcnt lgkmcnt(0)
	v_max_f32_e32 v63, v63, v63
	v_max_f32_e32 v84, v62, v63
	v_sub_f32_e32 v60, v60, v84
	v_mul_f32_e32 v60, 0x3fb8aa3b, v60
	v_exp_f32_e32 v80, v60
	v_sub_f32_e32 v60, v61, v84
	v_mul_f32_e32 v60, 0x3fb8aa3b, v60
	v_exp_f32_e32 v81, v60
	global_load_dwordx4 v[62:65], v[58:59], off
	s_nop 0
	global_load_dwordx4 v[58:61], v[58:59], off offset:16
	v_sub_f32_e32 v78, v78, v84
	v_mul_f32_e32 v78, 0x3fb8aa3b, v78
	v_sub_f32_e32 v79, v79, v84
	v_exp_f32_e32 v78, v78
	v_mul_f32_e32 v79, 0x3fb8aa3b, v79
	v_sub_f32_e32 v76, v76, v84
	v_exp_f32_e32 v79, v79
	v_mul_f32_e32 v76, 0x3fb8aa3b, v76
	v_sub_f32_e32 v77, v77, v84
	v_cndmask_b32_e64 v80, 0, v80, s[30:31]
	v_exp_f32_e32 v76, v76
	v_mul_f32_e32 v77, 0x3fb8aa3b, v77
	v_sub_f32_e32 v74, v74, v84
	v_add_f32_e32 v91, 0, v80
	v_cndmask_b32_e64 v81, 0, v81, s[34:35]
	v_exp_f32_e32 v77, v77
	v_mul_f32_e32 v74, 0x3fb8aa3b, v74
	v_sub_f32_e32 v75, v75, v84
	v_add_f32_e32 v91, v91, v81
	;; [unrolled: 5-line block ×10, first 2 shown]
	v_cndmask_b32_e64 v70, 0, v70, s[12:13]
	v_exp_f32_e32 v66, v66
	v_mul_f32_e32 v67, 0x3fb8aa3b, v67
	v_add_f32_e32 v91, v91, v70
	v_cndmask_b32_e64 v71, 0, v71, s[14:15]
	v_exp_f32_e32 v67, v67
	v_add_f32_e32 v91, v91, v71
	v_cndmask_b32_e64 v68, 0, v68, s[8:9]
	v_add_f32_e32 v91, v91, v68
	v_cndmask_b32_e64 v69, 0, v69, s[10:11]
	v_add_f32_e32 v91, v91, v69
	v_cndmask_b32_e32 v66, 0, v66, vcc
	v_add_f32_e32 v91, v91, v66
	v_cndmask_b32_e64 v67, 0, v67, s[6:7]
	v_add_f32_e32 v91, v91, v67
	ds_bpermute_b32 v85, v85, v91
	v_cmp_lt_u32_e64 s[6:7], 15, v88
	v_cmp_gt_u32_e32 vcc, 16, v88
	s_waitcnt lgkmcnt(0)
	s_barrier
	v_add_f32_e32 v85, v91, v85
	ds_bpermute_b32 v89, v89, v85
	s_waitcnt lgkmcnt(0)
	s_and_saveexec_b64 s[8:9], vcc
	s_cbranch_execz .LBB320_17
; %bb.16:
	v_add_f32_e32 v85, v85, v89
	v_lshlrev_b32_e32 v88, 2, v90
	ds_write2st64_b32 v88, v84, v85 offset1:1
.LBB320_17:
	s_or_b64 exec, exec, s[8:9]
	v_lshlrev_b32_e32 v85, 2, v82
	s_load_dwordx2 s[8:9], s[0:1], 0x94
	s_waitcnt lgkmcnt(0)
	s_barrier
	ds_read2_b32 v[88:89], v85 offset1:16
	ds_read2_b32 v[90:91], v85 offset0:32 offset1:48
	ds_read2_b32 v[92:93], v85 offset0:64 offset1:80
	s_waitcnt lgkmcnt(2)
	v_max3_f32 v84, v88, s5, v89
	s_waitcnt lgkmcnt(1)
	v_max3_f32 v84, v84, v90, v91
	v_sub_f32_e32 v88, v88, v84
	v_mul_f32_e32 v88, 0x3fb8aa3b, v88
	v_exp_f32_e32 v94, v88
	v_sub_f32_e32 v88, v89, v84
	v_mul_f32_e32 v88, 0x3fb8aa3b, v88
	v_exp_f32_e32 v95, v88
	;; [unrolled: 3-line block ×3, first 2 shown]
	ds_read2_b32 v[88:89], v85 offset0:96 offset1:112
	v_sub_f32_e32 v85, v91, v84
	v_mul_f32_e32 v85, 0x3fb8aa3b, v85
	v_exp_f32_e32 v91, v85
	s_waitcnt lgkmcnt(1)
	v_fma_f32 v85, v94, v92, 0
	v_fmac_f32_e32 v85, v95, v93
	s_waitcnt lgkmcnt(0)
	v_fmac_f32_e32 v85, v90, v88
	v_fmac_f32_e32 v85, v91, v89
	v_add_f32_e32 v89, 0x358637bd, v85
	v_div_scale_f32 v92, s[10:11], v89, v89, 1.0
	v_rcp_f32_e32 v93, v92
	v_mov_b32_e32 v88, 0
	s_barrier
	v_fma_f32 v1, -v92, v93, 1.0
	v_fmac_f32_e32 v93, v1, v93
	v_div_scale_f32 v1, vcc, 1.0, v89, 1.0
	v_mul_f32_e32 v86, v1, v93
	v_fma_f32 v87, -v92, v86, v1
	v_fmac_f32_e32 v86, v87, v93
	v_fma_f32 v1, -v92, v86, v1
	v_div_fmas_f32 v1, v1, v93, v86
	v_cmp_eq_u32_e32 vcc, 1, v83
	v_div_fixup_f32 v1, v1, v89, 1.0
	s_nop 0
	v_cndmask_b32_e32 v86, v94, v95, vcc
	v_cmp_eq_u32_e32 vcc, 2, v83
	s_nop 1
	v_cndmask_b32_e32 v86, v86, v90, vcc
	v_cmp_eq_u32_e32 vcc, 3, v83
	s_nop 1
	v_cndmask_b32_e32 v86, v86, v91, vcc
	v_mul_f32_e32 v90, v86, v1
	v_pk_mul_f32 v[78:79], v[90:91], v[78:79] op_sel_hi:[0,1]
	v_cvt_f16_f32_e32 v78, v78
	v_cvt_f16_f32_e32 v79, v79
	v_pk_mul_f32 v[80:81], v[90:91], v[80:81] op_sel_hi:[0,1]
	v_cvt_f16_f32_e32 v1, v80
	v_cvt_f16_f32_e32 v80, v81
	v_pk_mul_f32 v[74:75], v[90:91], v[74:75] op_sel_hi:[0,1]
	v_pk_mul_f32 v[76:77], v[90:91], v[76:77] op_sel_hi:[0,1]
	v_pack_b32_f16 v81, v78, v79
	v_cvt_f16_f32_e32 v76, v76
	v_cvt_f16_f32_e32 v77, v77
	;; [unrolled: 1-line block ×4, first 2 shown]
	v_bfe_u32 v86, v0, 4, 2
	v_pack_b32_f16 v80, v1, v80
	v_lshlrev_b32_e32 v1, 3, v86
	v_lshlrev_b32_e32 v78, 5, v82
	;; [unrolled: 1-line block ×3, first 2 shown]
	v_pk_mul_f32 v[70:71], v[90:91], v[70:71] op_sel_hi:[0,1]
	v_pk_mul_f32 v[72:73], v[90:91], v[72:73] op_sel_hi:[0,1]
	;; [unrolled: 1-line block ×4, first 2 shown]
	v_or3_b32 v74, v74, v78, v1
	v_pack_b32_f16 v76, v76, v77
	v_pack_b32_f16 v77, v79, v75
	v_cvt_f16_f32_e32 v1, v72
	v_cvt_f16_f32_e32 v72, v73
	;; [unrolled: 1-line block ×8, first 2 shown]
	v_pack_b32_f16 v66, v1, v72
	v_pack_b32_f16 v67, v70, v71
	v_pack_b32_f16 v68, v68, v69
	v_pack_b32_f16 v69, v73, v75
	v_cmp_eq_u32_e32 vcc, 0, v0
	ds_write2st64_b64 v74, v[80:81], v[76:77] offset1:1
	ds_write2st64_b64 v74, v[66:67], v[68:69] offset0:2 offset1:3
	s_and_saveexec_b64 s[10:11], vcc
	s_cbranch_execz .LBB320_19
; %bb.18:
	s_mul_i32 s3, s3, s9
	s_mul_hi_u32 s5, s2, s9
	s_add_i32 s5, s5, s3
	s_mul_i32 s3, s2, s9
	s_add_u32 s3, s3, s4
	s_addc_u32 s5, s5, 0
	s_load_dwordx4 s[12:15], s[0:1], 0x58
	s_mul_i32 s5, s5, s8
	s_mul_hi_u32 s16, s3, s8
	s_add_i32 s5, s16, s5
	s_mul_i32 s3, s3, s8
	s_add_u32 s16, s3, s28
	s_addc_u32 s17, s5, 0
	s_lshl_b64 s[16:17], s[16:17], 2
	s_waitcnt lgkmcnt(0)
	s_add_u32 s14, s14, s16
	s_addc_u32 s15, s15, s17
	s_add_u32 s12, s12, s16
	s_addc_u32 s13, s13, s17
	global_store_dword v88, v84, s[14:15]
	global_store_dword v88, v85, s[12:13]
.LBB320_19:
	s_or_b64 exec, exec, s[10:11]
	v_lshl_or_b32 v1, v86, 9, v78
	s_waitcnt lgkmcnt(0)
	s_barrier
	ds_read_b128 v[70:73], v1
	ds_read_b128 v[66:69], v1 offset:16
	s_waitcnt vmcnt(15) lgkmcnt(1)
	v_mfma_f32_16x16x16_f16 v[76:79], v[30:31], v[70:71], 0
	v_cmp_gt_u32_e32 vcc, 64, v0
	s_xor_b64 s[6:7], s[6:7], -1
	s_mov_b32 s3, 0
	v_mfma_f32_16x16x16_f16 v[30:33], v[32:33], v[72:73], v[76:79]
	s_and_b64 s[6:7], vcc, s[6:7]
	s_waitcnt vmcnt(14) lgkmcnt(0)
	v_mfma_f32_16x16x16_f16 v[30:33], v[26:27], v[66:67], v[30:33]
	v_mfma_f32_16x16x16_f16 v[26:29], v[28:29], v[68:69], v[30:33]
	s_nop 5
	ds_read_b128 v[30:33], v1 offset:2048
	ds_read_b128 v[76:79], v1 offset:2064
	s_waitcnt vmcnt(13) lgkmcnt(1)
	v_mfma_f32_16x16x16_f16 v[26:29], v[22:23], v[30:31], v[26:29]
	v_mfma_f32_16x16x16_f16 v[22:25], v[24:25], v[32:33], v[26:29]
	s_waitcnt vmcnt(12) lgkmcnt(0)
	v_mfma_f32_16x16x16_f16 v[22:25], v[18:19], v[76:77], v[22:25]
	v_mfma_f32_16x16x16_f16 v[18:21], v[20:21], v[78:79], v[22:25]
	s_nop 5
	ds_read_b128 v[22:25], v1 offset:4096
	ds_read_b128 v[26:29], v1 offset:4112
	s_waitcnt vmcnt(11) lgkmcnt(1)
	v_mfma_f32_16x16x16_f16 v[18:21], v[14:15], v[22:23], v[18:21]
	v_mfma_f32_16x16x16_f16 v[14:17], v[16:17], v[24:25], v[18:21]
	s_waitcnt vmcnt(10) lgkmcnt(0)
	v_mfma_f32_16x16x16_f16 v[14:17], v[10:11], v[26:27], v[14:17]
	v_mfma_f32_16x16x16_f16 v[10:13], v[12:13], v[28:29], v[14:17]
	s_nop 5
	ds_read_b128 v[14:17], v1 offset:6144
	ds_read_b128 v[18:21], v1 offset:6160
	s_waitcnt lgkmcnt(0)
	s_barrier
	s_waitcnt vmcnt(9)
	v_mfma_f32_16x16x16_f16 v[10:13], v[6:7], v[14:15], v[10:13]
	v_mfma_f32_16x16x16_f16 v[6:9], v[8:9], v[16:17], v[10:13]
	s_waitcnt vmcnt(8)
	v_mfma_f32_16x16x16_f16 v[6:9], v[2:3], v[18:19], v[6:9]
	v_mfma_f32_16x16x16_f16 v[2:5], v[4:5], v[20:21], v[6:9]
	;; [unrolled: 3-line block ×3, first 2 shown]
	s_nop 3
	v_cvt_f16_f32_e32 v1, v2
	v_cvt_f16_f32_e32 v10, v3
	;; [unrolled: 1-line block ×3, first 2 shown]
	s_waitcnt vmcnt(6)
	v_mfma_f32_16x16x16_f16 v[6:9], v[38:39], v[66:67], v[6:9]
	v_cvt_f16_f32_e32 v12, v5
	v_mfma_f32_16x16x16_f16 v[6:9], v[40:41], v[68:69], v[6:9]
	s_waitcnt vmcnt(5)
	v_mfma_f32_16x16x16_f16 v[6:9], v[42:43], v[30:31], v[6:9]
	v_mfma_f32_16x16x16_f16 v[6:9], v[44:45], v[32:33], v[6:9]
	s_waitcnt vmcnt(4)
	v_mfma_f32_16x16x16_f16 v[6:9], v[34:35], v[76:77], v[6:9]
	v_mfma_f32_16x16x16_f16 v[6:9], v[36:37], v[78:79], v[6:9]
	s_waitcnt vmcnt(3)
	v_mfma_f32_16x16x16_f16 v[6:9], v[54:55], v[22:23], v[6:9]
	v_mfma_f32_16x16x16_f16 v[6:9], v[56:57], v[24:25], v[6:9]
	s_waitcnt vmcnt(2)
	v_mfma_f32_16x16x16_f16 v[6:9], v[50:51], v[26:27], v[6:9]
	v_mfma_f32_16x16x16_f16 v[6:9], v[52:53], v[28:29], v[6:9]
	s_waitcnt vmcnt(1)
	v_mfma_f32_16x16x16_f16 v[6:9], v[62:63], v[14:15], v[6:9]
	v_mfma_f32_16x16x16_f16 v[6:9], v[64:65], v[16:17], v[6:9]
	s_waitcnt vmcnt(0)
	v_mfma_f32_16x16x16_f16 v[6:9], v[58:59], v[18:19], v[6:9]
	v_mfma_f32_16x16x16_f16 v[2:5], v[60:61], v[20:21], v[6:9]
	s_nop 6
	v_cvt_f16_f32_e32 v6, v2
	v_cvt_f16_f32_e32 v7, v3
	;; [unrolled: 1-line block ×4, first 2 shown]
	v_pack_b32_f16 v2, v1, v10
	v_pack_b32_f16 v3, v11, v12
	v_pack_b32_f16 v4, v6, v7
	v_pack_b32_f16 v5, v8, v5
	ds_write2st64_b64 v74, v[2:3], v[4:5] offset1:1
	s_waitcnt lgkmcnt(0)
	s_barrier
	s_and_saveexec_b64 s[10:11], s[6:7]
	s_cbranch_execz .LBB320_21
; %bb.20:
	scratch_load_dwordx2 v[4:5], off, off   ; 8-byte Folded Reload
	s_load_dwordx2 s[0:1], s[0:1], 0x68
	s_mul_i32 s2, s9, s2
	s_lshl_b32 s5, s8, 7
	s_mul_hi_u32 s7, s2, s5
	s_mul_i32 s6, s2, s5
	s_lshl_b64 s[6:7], s[6:7], 1
	v_lshlrev_b32_e32 v3, 6, v82
	s_waitcnt lgkmcnt(0)
	s_add_u32 s6, s0, s6
	v_lshlrev_b32_e32 v2, 4, v0
	v_lshl_or_b32 v0, v0, 10, v3
	s_addc_u32 s7, s1, s7
	s_lshl_b32 s2, s28, 7
	v_lshlrev_b32_e32 v1, 5, v86
	v_and_b32_e32 v2, 16, v2
	v_and_b32_e32 v0, 0x1a00, v0
	s_lshl_b64 s[0:1], s[2:3], 1
	v_or3_b32 v0, v0, v1, v2
	s_add_u32 s2, s6, s0
	ds_read_b128 v[0:3], v0
	s_addc_u32 s3, s7, s1
	s_mul_hi_u32 s1, s5, s4
	s_mul_i32 s0, s5, s4
	s_lshl_b64 s[0:1], s[0:1], 1
	s_add_u32 s0, s2, s0
	s_addc_u32 s1, s3, s1
	s_waitcnt vmcnt(0)
	v_lshl_add_u64 v[4:5], v[4:5], 1, s[0:1]
	s_waitcnt lgkmcnt(0)
	global_store_dwordx4 v[4:5], v[0:3], off
.LBB320_21:
	s_endpgm
	.section	.rodata,"a",@progbits
	.p2align	6, 0x0
	.amdhsa_kernel _Z39paged_attention_ll4mi_QKV_mfma16_kernelIDF16_DF16_LN4vllm18Fp8KVCacheDataTypeE0EhLi32ELi128ELi256ELb1ELi1EEvPKT_PKT0_S7_ifPKiS9_S9_iPKfiiiPfSC_PS2_PT2_iSB_SB_
		.amdhsa_group_segment_fixed_size 8192
		.amdhsa_private_segment_fixed_size 12
		.amdhsa_kernarg_size 400
		.amdhsa_user_sgpr_count 2
		.amdhsa_user_sgpr_dispatch_ptr 0
		.amdhsa_user_sgpr_queue_ptr 0
		.amdhsa_user_sgpr_kernarg_segment_ptr 1
		.amdhsa_user_sgpr_dispatch_id 0
		.amdhsa_user_sgpr_kernarg_preload_length 0
		.amdhsa_user_sgpr_kernarg_preload_offset 0
		.amdhsa_user_sgpr_private_segment_size 0
		.amdhsa_uses_dynamic_stack 0
		.amdhsa_enable_private_segment 1
		.amdhsa_system_sgpr_workgroup_id_x 1
		.amdhsa_system_sgpr_workgroup_id_y 1
		.amdhsa_system_sgpr_workgroup_id_z 1
		.amdhsa_system_sgpr_workgroup_info 0
		.amdhsa_system_vgpr_workitem_id 0
		.amdhsa_next_free_vgpr 96
		.amdhsa_next_free_sgpr 42
		.amdhsa_accum_offset 96
		.amdhsa_reserve_vcc 1
		.amdhsa_float_round_mode_32 0
		.amdhsa_float_round_mode_16_64 0
		.amdhsa_float_denorm_mode_32 3
		.amdhsa_float_denorm_mode_16_64 3
		.amdhsa_dx10_clamp 1
		.amdhsa_ieee_mode 1
		.amdhsa_fp16_overflow 0
		.amdhsa_tg_split 0
		.amdhsa_exception_fp_ieee_invalid_op 0
		.amdhsa_exception_fp_denorm_src 0
		.amdhsa_exception_fp_ieee_div_zero 0
		.amdhsa_exception_fp_ieee_overflow 0
		.amdhsa_exception_fp_ieee_underflow 0
		.amdhsa_exception_fp_ieee_inexact 0
		.amdhsa_exception_int_div_zero 0
	.end_amdhsa_kernel
	.section	.text._Z39paged_attention_ll4mi_QKV_mfma16_kernelIDF16_DF16_LN4vllm18Fp8KVCacheDataTypeE0EhLi32ELi128ELi256ELb1ELi1EEvPKT_PKT0_S7_ifPKiS9_S9_iPKfiiiPfSC_PS2_PT2_iSB_SB_,"axG",@progbits,_Z39paged_attention_ll4mi_QKV_mfma16_kernelIDF16_DF16_LN4vllm18Fp8KVCacheDataTypeE0EhLi32ELi128ELi256ELb1ELi1EEvPKT_PKT0_S7_ifPKiS9_S9_iPKfiiiPfSC_PS2_PT2_iSB_SB_,comdat
.Lfunc_end320:
	.size	_Z39paged_attention_ll4mi_QKV_mfma16_kernelIDF16_DF16_LN4vllm18Fp8KVCacheDataTypeE0EhLi32ELi128ELi256ELb1ELi1EEvPKT_PKT0_S7_ifPKiS9_S9_iPKfiiiPfSC_PS2_PT2_iSB_SB_, .Lfunc_end320-_Z39paged_attention_ll4mi_QKV_mfma16_kernelIDF16_DF16_LN4vllm18Fp8KVCacheDataTypeE0EhLi32ELi128ELi256ELb1ELi1EEvPKT_PKT0_S7_ifPKiS9_S9_iPKfiiiPfSC_PS2_PT2_iSB_SB_
                                        ; -- End function
	.section	.AMDGPU.csdata,"",@progbits
; Kernel info:
; codeLenInByte = 4812
; NumSgprs: 48
; NumVgprs: 96
; NumAgprs: 0
; TotalNumVgprs: 96
; ScratchSize: 12
; MemoryBound: 0
; FloatMode: 240
; IeeeMode: 1
; LDSByteSize: 8192 bytes/workgroup (compile time only)
; SGPRBlocks: 5
; VGPRBlocks: 11
; NumSGPRsForWavesPerEU: 48
; NumVGPRsForWavesPerEU: 96
; AccumOffset: 96
; Occupancy: 5
; WaveLimiterHint : 1
; COMPUTE_PGM_RSRC2:SCRATCH_EN: 1
; COMPUTE_PGM_RSRC2:USER_SGPR: 2
; COMPUTE_PGM_RSRC2:TRAP_HANDLER: 0
; COMPUTE_PGM_RSRC2:TGID_X_EN: 1
; COMPUTE_PGM_RSRC2:TGID_Y_EN: 1
; COMPUTE_PGM_RSRC2:TGID_Z_EN: 1
; COMPUTE_PGM_RSRC2:TIDIG_COMP_CNT: 0
; COMPUTE_PGM_RSRC3_GFX90A:ACCUM_OFFSET: 23
; COMPUTE_PGM_RSRC3_GFX90A:TG_SPLIT: 0
	.section	.text._Z39paged_attention_ll4mi_QKV_mfma16_kernelIDF16_DF16_LN4vllm18Fp8KVCacheDataTypeE0EhLi32ELi128ELi256ELb1ELi2EEvPKT_PKT0_S7_ifPKiS9_S9_iPKfiiiPfSC_PS2_PT2_iSB_SB_,"axG",@progbits,_Z39paged_attention_ll4mi_QKV_mfma16_kernelIDF16_DF16_LN4vllm18Fp8KVCacheDataTypeE0EhLi32ELi128ELi256ELb1ELi2EEvPKT_PKT0_S7_ifPKiS9_S9_iPKfiiiPfSC_PS2_PT2_iSB_SB_,comdat
	.protected	_Z39paged_attention_ll4mi_QKV_mfma16_kernelIDF16_DF16_LN4vllm18Fp8KVCacheDataTypeE0EhLi32ELi128ELi256ELb1ELi2EEvPKT_PKT0_S7_ifPKiS9_S9_iPKfiiiPfSC_PS2_PT2_iSB_SB_ ; -- Begin function _Z39paged_attention_ll4mi_QKV_mfma16_kernelIDF16_DF16_LN4vllm18Fp8KVCacheDataTypeE0EhLi32ELi128ELi256ELb1ELi2EEvPKT_PKT0_S7_ifPKiS9_S9_iPKfiiiPfSC_PS2_PT2_iSB_SB_
	.globl	_Z39paged_attention_ll4mi_QKV_mfma16_kernelIDF16_DF16_LN4vllm18Fp8KVCacheDataTypeE0EhLi32ELi128ELi256ELb1ELi2EEvPKT_PKT0_S7_ifPKiS9_S9_iPKfiiiPfSC_PS2_PT2_iSB_SB_
	.p2align	8
	.type	_Z39paged_attention_ll4mi_QKV_mfma16_kernelIDF16_DF16_LN4vllm18Fp8KVCacheDataTypeE0EhLi32ELi128ELi256ELb1ELi2EEvPKT_PKT0_S7_ifPKiS9_S9_iPKfiiiPfSC_PS2_PT2_iSB_SB_,@function
_Z39paged_attention_ll4mi_QKV_mfma16_kernelIDF16_DF16_LN4vllm18Fp8KVCacheDataTypeE0EhLi32ELi128ELi256ELb1ELi2EEvPKT_PKT0_S7_ifPKiS9_S9_iPKfiiiPfSC_PS2_PT2_iSB_SB_: ; @_Z39paged_attention_ll4mi_QKV_mfma16_kernelIDF16_DF16_LN4vllm18Fp8KVCacheDataTypeE0EhLi32ELi128ELi256ELb1ELi2EEvPKT_PKT0_S7_ifPKiS9_S9_iPKfiiiPfSC_PS2_PT2_iSB_SB_
; %bb.0:
	s_load_dwordx2 s[8:9], s[0:1], 0x30
	s_mov_b32 s26, s3
	s_mov_b64 s[6:7], 0
	s_waitcnt lgkmcnt(0)
	s_cmp_lg_u64 s[8:9], 0
	s_cselect_b64 s[10:11], -1, 0
	s_and_b64 vcc, exec, s[10:11]
	s_cbranch_vccz .LBB321_7
; %bb.1:
	s_add_i32 s12, s2, 1
	s_mov_b32 s13, 0
	s_lshl_b64 s[14:15], s[12:13], 2
	s_add_u32 s14, s8, s14
	s_mov_b32 s3, s13
	s_addc_u32 s15, s9, s15
	s_lshl_b64 s[12:13], s[2:3], 2
	s_add_u32 s12, s8, s12
	s_addc_u32 s13, s9, s13
	s_load_dword s5, s[14:15], 0x0
	s_load_dword s16, s[12:13], 0x0
	s_waitcnt lgkmcnt(0)
	s_sub_i32 s5, s5, s16
	s_cmp_eq_u32 s5, 1
	s_cselect_b64 s[12:13], -1, 0
	s_andn2_b64 vcc, exec, s[6:7]
	s_cbranch_vccnz .LBB321_3
.LBB321_2:
	s_mov_b32 s3, 0
	s_mov_b64 s[12:13], -1
.LBB321_3:
	s_andn2_b64 vcc, exec, s[12:13]
	s_cbranch_vccnz .LBB321_21
; %bb.4:
	s_load_dwordx2 s[6:7], s[0:1], 0x28
	s_lshl_b64 s[12:13], s[2:3], 2
	s_waitcnt lgkmcnt(0)
	s_add_u32 s6, s6, s12
	s_addc_u32 s7, s7, s13
	s_load_dword s33, s[6:7], 0x0
	s_lshl_b32 s18, s26, 8
	s_waitcnt lgkmcnt(0)
	s_cmp_ge_i32 s18, s33
	s_cbranch_scc1 .LBB321_21
; %bb.5:
	s_load_dwordx2 s[6:7], s[0:1], 0x20
	s_load_dword s5, s[0:1], 0x38
	s_add_i32 s14, s33, 31
	s_ashr_i32 s15, s14, 31
	v_and_b32_e32 v1, 0xcf, v0
	s_lshr_b32 s15, s15, 27
	v_add_u32_e32 v1, s18, v1
	s_add_i32 s14, s14, s15
	v_ashrrev_i32_e32 v2, 31, v1
	s_ashr_i32 s19, s14, 5
	v_lshrrev_b32_e32 v4, 27, v2
	s_add_i32 s19, s19, -1
	s_waitcnt lgkmcnt(0)
	s_mul_i32 s14, s2, s5
	s_mov_b32 s15, 0
	v_add_u32_e32 v2, v1, v4
	s_lshl_b64 s[14:15], s[14:15], 2
	v_ashrrev_i32_e32 v2, 5, v2
	v_mov_b32_e32 v5, s19
	v_cmp_gt_i32_e32 vcc, s33, v1
	s_add_u32 s6, s6, s14
	s_addc_u32 s7, s7, s15
	v_cndmask_b32_e32 v2, v5, v2, vcc
	v_ashrrev_i32_e32 v3, 31, v2
	v_lshl_add_u64 v[6:7], v[2:3], 2, s[6:7]
	v_or_b32_e32 v2, 16, v1
	v_add_u32_e32 v3, v2, v4
	v_ashrrev_i32_e32 v3, 5, v3
	v_cmp_gt_i32_e32 vcc, s33, v2
	s_nop 1
	v_cndmask_b32_e32 v2, v5, v3, vcc
	v_ashrrev_i32_e32 v3, 31, v2
	v_lshl_add_u64 v[8:9], v[2:3], 2, s[6:7]
	v_or_b32_e32 v2, 32, v1
	v_add_u32_e32 v3, v2, v4
	v_ashrrev_i32_e32 v3, 5, v3
	v_cmp_gt_i32_e32 vcc, s33, v2
	v_or_b32_e32 v1, 48, v1
	s_nop 0
	v_cndmask_b32_e32 v2, v5, v3, vcc
	v_ashrrev_i32_e32 v3, 31, v2
	v_lshl_add_u64 v[10:11], v[2:3], 2, s[6:7]
	v_add_u32_e32 v2, v1, v4
	v_ashrrev_i32_e32 v2, 5, v2
	v_cmp_gt_i32_e32 vcc, s33, v1
	s_nop 1
	v_cndmask_b32_e32 v2, v5, v2, vcc
	v_ashrrev_i32_e32 v3, 31, v2
	v_lshl_add_u64 v[12:13], v[2:3], 2, s[6:7]
	global_load_dword v5, v[6:7], off
	global_load_dword v4, v[8:9], off
	;; [unrolled: 1-line block ×4, first 2 shown]
	s_andn2_b64 vcc, exec, s[10:11]
	s_cbranch_vccnz .LBB321_8
; %bb.6:
	s_add_u32 s8, s8, s12
	s_addc_u32 s9, s9, s13
	s_load_dword s5, s[8:9], 0x0
	s_branch .LBB321_9
.LBB321_7:
	s_mov_b64 s[12:13], 0
	s_branch .LBB321_2
.LBB321_8:
	s_mov_b32 s5, s2
.LBB321_9:
	s_load_dwordx2 s[14:15], s[0:1], 0x8
	s_load_dwordx4 s[8:11], s[0:1], 0x48
	v_lshrrev_b32_e32 v87, 6, v0
	v_bfe_u32 v1, v0, 4, 2
	v_lshl_or_b32 v6, v87, 2, v1
	v_and_b32_e32 v88, 15, v0
	v_lshlrev_b32_e32 v82, 3, v88
	v_cmp_lt_u32_e32 vcc, 1, v6
	s_and_saveexec_b64 s[12:13], vcc
	s_xor_b64 s[12:13], exec, s[12:13]
; %bb.10:
	v_mov_b32_e32 v83, 0
                                        ; implicit-def: $vgpr6
; %bb.11:
	s_or_saveexec_b64 s[16:17], s[12:13]
	s_load_dwordx2 s[12:13], s[0:1], 0x10
	s_lshl_b32 s27, s4, 1
	s_xor_b64 exec, exec, s[16:17]
	s_cbranch_execz .LBB321_13
; %bb.12:
	s_load_dwordx2 s[20:21], s[0:1], 0x0
	s_waitcnt lgkmcnt(0)
	s_ashr_i32 s11, s8, 31
	s_mul_hi_u32 s22, s5, s8
	s_mul_i32 s11, s5, s11
	s_add_i32 s23, s22, s11
	s_mul_i32 s22, s5, s8
	s_lshl_b64 s[22:23], s[22:23], 1
	s_add_u32 s20, s20, s22
	v_add_lshl_u32 v8, v1, s27, 7
	s_addc_u32 s21, s21, s23
	v_ashrrev_i32_e32 v9, 31, v8
	v_mov_b32_e32 v83, 0
	v_lshl_add_u64 v[8:9], v[8:9], 1, s[20:21]
	v_lshlrev_b32_e32 v10, 1, v82
	v_mov_b32_e32 v11, v83
	v_lshl_add_u64 v[8:9], v[8:9], 0, v[10:11]
	global_load_dwordx4 v[8:11], v[8:9], off
	v_and_b32_e32 v7, 3, v0
	v_lshlrev_b32_e32 v12, 9, v88
	v_lshlrev_b32_e32 v6, 5, v6
	;; [unrolled: 1-line block ×3, first 2 shown]
	v_and_b32_e32 v12, 0x1800, v12
	v_or3_b32 v6, v12, v7, v6
	s_waitcnt vmcnt(0)
	ds_write_b128 v6, v[8:11]
.LBB321_13:
	s_or_b64 exec, exec, s[16:17]
	s_waitcnt lgkmcnt(0)
	s_mul_i32 s4, s4, s10
	s_mov_b32 s5, 0
	s_lshl_b64 s[4:5], s[4:5], 1
	s_add_u32 s10, s14, s4
	s_addc_u32 s11, s15, s5
	s_waitcnt vmcnt(3)
	v_mad_i64_i32 v[6:7], s[14:15], v5, s9, 0
	v_lshl_add_u64 v[6:7], v[6:7], 1, s[10:11]
	v_lshlrev_b64 v[8:9], 1, v[82:83]
	v_lshlrev_b32_e32 v84, 9, v1
	v_lshl_add_u64 v[6:7], v[6:7], 0, v[8:9]
	v_mov_b32_e32 v85, 0
	v_lshl_add_u64 v[10:11], v[6:7], 0, v[84:85]
	v_or_b32_e32 v14, 0x1000, v84
	v_mov_b32_e32 v15, v85
	v_or_b32_e32 v16, 0x1800, v84
	v_mov_b32_e32 v17, v85
	s_barrier
	global_load_dwordx4 v[66:69], v[10:11], off
	global_load_dwordx4 v[62:65], v[10:11], off offset:2048
	v_lshl_add_u64 v[10:11], v[6:7], 0, v[14:15]
	v_lshl_add_u64 v[6:7], v[6:7], 0, v[16:17]
	global_load_dwordx4 v[78:81], v[10:11], off
	global_load_dwordx4 v[74:77], v[6:7], off
	s_waitcnt vmcnt(6)
	v_mad_i64_i32 v[4:5], s[14:15], v4, s9, 0
	v_mov_b32_e32 v6, 0x100
	v_lshl_add_u64 v[4:5], v[4:5], 1, s[10:11]
	v_lshl_or_b32 v6, v88, 4, v6
	v_mov_b32_e32 v7, v85
	v_lshl_add_u64 v[4:5], v[4:5], 0, v[6:7]
	v_lshl_add_u64 v[10:11], v[4:5], 0, v[84:85]
	global_load_dwordx4 v[70:73], v[10:11], off
	global_load_dwordx4 v[58:61], v[10:11], off offset:2048
	v_lshl_add_u64 v[10:11], v[4:5], 0, v[14:15]
	v_lshl_add_u64 v[4:5], v[4:5], 0, v[16:17]
	global_load_dwordx4 v[54:57], v[10:11], off
	global_load_dwordx4 v[30:33], v[4:5], off
	s_waitcnt vmcnt(9)
	v_mad_i64_i32 v[4:5], s[14:15], v3, s9, 0
	v_lshl_add_u64 v[4:5], v[4:5], 1, s[10:11]
	s_waitcnt vmcnt(8)
	v_mad_i64_i32 v[2:3], s[14:15], v2, s9, 0
	v_lshl_add_u64 v[4:5], v[4:5], 0, v[8:9]
	v_lshl_add_u64 v[2:3], v[2:3], 1, s[10:11]
	;; [unrolled: 1-line block ×4, first 2 shown]
	global_load_dwordx4 v[26:29], v[8:9], off
	global_load_dwordx4 v[22:25], v[8:9], off offset:2048
	v_lshl_add_u64 v[8:9], v[4:5], 0, v[14:15]
	v_lshl_add_u64 v[4:5], v[4:5], 0, v[16:17]
	;; [unrolled: 1-line block ×4, first 2 shown]
	global_load_dwordx4 v[18:21], v[8:9], off
	global_load_dwordx4 v[10:13], v[4:5], off
	s_nop 0
	global_load_dwordx4 v[6:9], v[2:3], off
	s_nop 0
	global_load_dwordx4 v[2:5], v[2:3], off offset:2048
	v_lshl_add_u64 v[16:17], v[34:35], 0, v[16:17]
	global_load_dwordx4 v[42:45], v[14:15], off
	global_load_dwordx4 v[34:37], v[16:17], off
	v_and_b32_e32 v14, 1, v0
	v_lshl_or_b32 v38, v14, 5, v84
	ds_read_b128 v[14:17], v38
	ds_read_b128 v[50:53], v38 offset:2048
	ds_read_b128 v[46:49], v38 offset:4096
	;; [unrolled: 1-line block ×3, first 2 shown]
	v_cmp_gt_u32_e32 vcc, 2, v88
	v_mov_b32_e32 v89, 0
	s_and_saveexec_b64 s[10:11], vcc
	s_cbranch_execz .LBB321_15
; %bb.14:
	s_load_dwordx2 s[14:15], s[0:1], 0x40
	v_or_b32_e32 v90, s27, v88
	v_ashrrev_i32_e32 v91, 31, v90
	s_waitcnt lgkmcnt(0)
	v_lshl_add_u64 v[90:91], v[90:91], 2, s[14:15]
	global_load_dword v89, v[90:91], off
.LBB321_15:
	s_or_b64 exec, exec, s[10:11]
	s_waitcnt vmcnt(15) lgkmcnt(3)
	v_mfma_f32_16x16x16_f16 v[90:93], v[66:67], v[14:15], 0
	s_ashr_i32 s8, s18, 31
	s_lshr_b32 s8, s8, 27
	s_add_u32 s4, s12, s4
	v_mfma_f32_16x16x16_f16 v[66:69], v[68:69], v[16:17], v[90:93]
	s_addc_u32 s5, s13, s5
	s_mov_b32 s40, 0xff7fffff
	s_waitcnt vmcnt(14) lgkmcnt(2)
	v_mfma_f32_16x16x16_f16 v[66:69], v[62:63], v[50:51], v[66:69]
	v_lshl_or_b32 v90, v87, 4, v88
	v_mfma_f32_16x16x16_f16 v[62:65], v[64:65], v[52:53], v[66:69]
	s_waitcnt vmcnt(13) lgkmcnt(1)
	v_mfma_f32_16x16x16_f16 v[62:65], v[78:79], v[46:47], v[62:65]
	v_mfma_f32_16x16x16_f16 v[62:65], v[80:81], v[48:49], v[62:65]
	s_waitcnt vmcnt(12) lgkmcnt(0)
	v_mfma_f32_16x16x16_f16 v[62:65], v[74:75], v[38:39], v[62:65]
	v_and_or_b32 v74, v0, 48, s18
	v_add_u32_e32 v66, s8, v74
	v_ashrrev_i32_e32 v75, 5, v66
	s_waitcnt vmcnt(11)
	v_mfma_f32_16x16x16_f16 v[66:69], v[70:71], v[14:15], 0
	v_cmp_gt_i32_e32 vcc, s33, v74
	v_mfma_f32_16x16x16_f16 v[66:69], v[72:73], v[16:17], v[66:69]
	v_or_b32_e32 v72, 64, v74
	v_add_u32_e32 v73, s8, v72
	s_waitcnt vmcnt(10)
	v_mfma_f32_16x16x16_f16 v[66:69], v[58:59], v[50:51], v[66:69]
	v_ashrrev_i32_e32 v58, 5, v73
	v_mfma_f32_16x16x16_f16 v[62:65], v[76:77], v[40:41], v[62:65]
	v_mov_b32_e32 v76, s19
	v_cndmask_b32_e32 v70, v76, v75, vcc
	v_cmp_gt_i32_e32 vcc, s33, v72
	v_ashrrev_i32_e32 v71, 31, v70
	v_lshl_add_u64 v[70:71], v[70:71], 2, s[6:7]
	v_cndmask_b32_e32 v72, v76, v58, vcc
	v_mfma_f32_16x16x16_f16 v[58:61], v[60:61], v[52:53], v[66:69]
	v_ashrrev_i32_e32 v73, 31, v72
	s_waitcnt vmcnt(9)
	v_mfma_f32_16x16x16_f16 v[58:61], v[54:55], v[46:47], v[58:61]
	v_lshl_add_u64 v[66:67], v[72:73], 2, s[6:7]
	global_load_dword v72, v[70:71], off
	global_load_dword v75, v[66:67], off
	v_or_b32_e32 v66, 0x80, v74
	v_add_u32_e32 v67, s8, v66
	v_mfma_f32_16x16x16_f16 v[54:57], v[56:57], v[48:49], v[58:61]
	v_cmp_gt_i32_e32 vcc, s33, v66
	s_nop 1
	v_ashrrev_i32_e32 v58, 5, v67
	v_cndmask_b32_e32 v58, v76, v58, vcc
	v_ashrrev_i32_e32 v59, 31, v58
	s_waitcnt vmcnt(10)
	v_mfma_f32_16x16x16_f16 v[54:57], v[30:31], v[38:39], v[54:57]
	v_lshl_add_u64 v[30:31], v[58:59], 2, s[6:7]
	global_load_dword v58, v[30:31], off
	v_mfma_f32_16x16x16_f16 v[66:69], v[32:33], v[40:41], v[54:57]
	s_nop 3
	v_or_b32_e32 v54, 0xc0, v74
	v_add_u32_e32 v30, s8, v54
	v_ashrrev_i32_e32 v55, 5, v30
	v_cmp_gt_i32_e32 vcc, s33, v54
	s_waitcnt vmcnt(10)
	v_mfma_f32_16x16x16_f16 v[30:33], v[26:27], v[14:15], 0
	v_cndmask_b32_e32 v26, v76, v55, vcc
	v_ashrrev_i32_e32 v27, 31, v26
	v_lshl_add_u64 v[54:55], v[26:27], 2, s[6:7]
	global_load_dword v59, v[54:55], off
	v_mfma_f32_16x16x16_f16 v[26:29], v[28:29], v[16:17], v[30:33]
	s_load_dword s6, s[0:1], 0x1c
	s_waitcnt lgkmcnt(0)
	v_pk_mul_f32 v[76:77], s[6:7], v[66:67] op_sel_hi:[0,1]
	s_waitcnt vmcnt(10)
	v_mfma_f32_16x16x16_f16 v[26:29], v[22:23], v[50:51], v[26:29]
	v_and_b32_e32 v30, 16, v0
	v_lshlrev_b32_e32 v84, 1, v30
	v_lshl_add_u64 v[60:61], s[4:5], 0, v[84:85]
	v_mfma_f32_16x16x16_f16 v[22:25], v[24:25], v[52:53], v[26:29]
	v_lshlrev_b32_e32 v84, 6, v90
	v_lshl_add_u64 v[70:71], v[60:61], 0, v[84:85]
	v_or_b32_e32 v84, 0x1000, v84
	s_waitcnt vmcnt(9)
	v_mfma_f32_16x16x16_f16 v[22:25], v[18:19], v[46:47], v[22:25]
	v_lshl_add_u64 v[80:81], v[60:61], 0, v[84:85]
	v_pk_mul_f32 v[78:79], s[6:7], v[64:65] op_sel_hi:[0,1]
	v_pk_mul_f32 v[60:61], s[6:7], v[62:63] op_sel_hi:[0,1]
	v_mfma_f32_16x16x16_f16 v[18:21], v[20:21], v[48:49], v[22:25]
	s_waitcnt vmcnt(8)
	v_mfma_f32_16x16x16_f16 v[18:21], v[10:11], v[38:39], v[18:21]
	s_waitcnt vmcnt(3)
	v_mad_i64_i32 v[22:23], s[4:5], v72, s9, 0
	s_waitcnt vmcnt(2)
	v_mad_i64_i32 v[10:11], s[4:5], v75, s9, 0
	v_lshlrev_b64 v[72:73], 1, v[22:23]
	v_lshlrev_b64 v[54:55], 1, v[10:11]
	v_lshl_add_u64 v[22:23], v[70:71], 0, v[72:73]
	v_lshl_add_u64 v[10:11], v[70:71], 0, v[54:55]
	global_load_dwordx4 v[30:33], v[22:23], off
	global_load_dwordx4 v[26:29], v[22:23], off offset:16
	v_mfma_f32_16x16x16_f16 v[92:95], v[12:13], v[40:41], v[18:21]
	global_load_dwordx4 v[22:25], v[10:11], off
	s_nop 1
	global_load_dwordx4 v[18:21], v[10:11], off offset:16
	v_pk_mul_f32 v[74:75], s[6:7], v[68:69] op_sel_hi:[0,1]
	v_mfma_f32_16x16x16_f16 v[10:13], v[6:7], v[14:15], 0
	s_waitcnt vmcnt(5)
	v_mad_i64_i32 v[6:7], s[4:5], v58, s9, 0
	v_lshlrev_b64 v[56:57], 1, v[6:7]
	v_mfma_f32_16x16x16_f16 v[6:9], v[8:9], v[16:17], v[10:13]
	v_mfma_f32_16x16x16_f16 v[6:9], v[2:3], v[50:51], v[6:9]
	s_nop 1
	v_lshl_add_u64 v[10:11], v[70:71], 0, v[56:57]
	global_load_dwordx4 v[14:17], v[10:11], off
	s_nop 0
	global_load_dwordx4 v[10:13], v[10:11], off offset:16
	s_waitcnt vmcnt(6)
	v_mad_i64_i32 v[2:3], s[4:5], v59, s9, 0
	v_mfma_f32_16x16x16_f16 v[50:53], v[4:5], v[52:53], v[6:9]
	v_lshlrev_b64 v[58:59], 1, v[2:3]
	v_lshl_add_u64 v[2:3], v[70:71], 0, v[58:59]
	v_pk_mul_f32 v[70:71], s[6:7], v[94:95] op_sel_hi:[0,1]
	v_mfma_f32_16x16x16_f16 v[50:53], v[42:43], v[46:47], v[50:53]
	v_lshl_add_u64 v[42:43], v[80:81], 0, v[72:73]
	v_pk_mul_f32 v[72:73], s[6:7], v[92:93] op_sel_hi:[0,1]
	v_lshl_add_u64 v[58:59], v[80:81], 0, v[58:59]
	v_mfma_f32_16x16x16_f16 v[44:47], v[44:45], v[48:49], v[50:53]
	global_load_dwordx4 v[6:9], v[2:3], off
	s_nop 0
	global_load_dwordx4 v[2:5], v[2:3], off offset:16
	v_mfma_f32_16x16x16_f16 v[44:47], v[34:35], v[38:39], v[44:47]
	v_mfma_f32_16x16x16_f16 v[34:37], v[36:37], v[40:41], v[44:47]
	s_nop 6
	v_pk_mul_f32 v[68:69], s[6:7], v[34:35] op_sel_hi:[0,1]
	v_and_b32_e32 v34, 0xc0, v0
	v_add_u32_e32 v34, s18, v34
	v_lshl_or_b32 v34, v1, 2, v34
	v_or_b32_e32 v35, 1, v34
	v_pk_mul_f32 v[66:67], s[6:7], v[36:37] op_sel_hi:[0,1]
	v_subrev_u32_e32 v36, s33, v35
	v_add_u32_e32 v38, 1, v36
	v_add_u32_e32 v39, 2, v36
	v_cvt_f32_i32_e32 v37, v36
	v_cvt_f32_i32_e32 v38, v38
	;; [unrolled: 1-line block ×3, first 2 shown]
	v_add_u32_e32 v40, 3, v36
	v_fma_f32 v60, v89, v37, v60
	v_fmac_f32_e32 v61, v89, v38
	v_fma_f32 v78, v89, v39, v78
	v_add_u32_e32 v37, 16, v36
	v_add_u32_e32 v38, 17, v36
	;; [unrolled: 1-line block ×3, first 2 shown]
	v_cvt_f32_i32_e32 v40, v40
	v_cvt_f32_i32_e32 v37, v37
	;; [unrolled: 1-line block ×4, first 2 shown]
	v_fmac_f32_e32 v79, v89, v40
	v_add_u32_e32 v40, 19, v36
	v_fma_f32 v76, v89, v37, v76
	v_fmac_f32_e32 v77, v89, v38
	v_fma_f32 v74, v89, v39, v74
	v_add_u32_e32 v37, 32, v36
	v_add_u32_e32 v38, 33, v36
	;; [unrolled: 1-line block ×3, first 2 shown]
	v_cvt_f32_i32_e32 v40, v40
	v_cvt_f32_i32_e32 v37, v37
	;; [unrolled: 1-line block ×4, first 2 shown]
	v_fmac_f32_e32 v75, v89, v40
	v_add_u32_e32 v40, 35, v36
	v_fma_f32 v72, v89, v37, v72
	v_fmac_f32_e32 v73, v89, v38
	v_fma_f32 v70, v89, v39, v70
	v_add_u32_e32 v37, 48, v36
	v_add_u32_e32 v38, 49, v36
	;; [unrolled: 1-line block ×4, first 2 shown]
	v_cvt_f32_i32_e32 v36, v36
	v_cvt_f32_i32_e32 v37, v37
	;; [unrolled: 1-line block ×3, first 2 shown]
	v_cmp_gt_i32_e64 s[28:29], s33, v34
	v_fmac_f32_e32 v67, v89, v36
	v_mov_b32_e32 v36, 0xff7fffff
	v_cmp_gt_i32_e64 s[30:31], s33, v35
	v_fma_f32 v68, v89, v37, v68
	v_cndmask_b32_e64 v37, v36, v60, s[28:29]
	v_cndmask_b32_e64 v35, v36, v61, s[30:31]
	v_fmac_f32_e32 v69, v89, v38
	v_max3_f32 v35, v37, s40, v35
	v_or_b32_e32 v37, 2, v34
	v_or_b32_e32 v38, 3, v34
	v_cmp_gt_i32_e64 s[34:35], s33, v37
	v_cmp_gt_i32_e64 s[36:37], s33, v38
	v_cvt_f32_i32_e32 v40, v40
	v_cndmask_b32_e64 v37, v36, v78, s[34:35]
	v_cndmask_b32_e64 v38, v36, v79, s[36:37]
	v_max3_f32 v35, v35, v37, v38
	v_or_b32_e32 v37, 16, v34
	v_or_b32_e32 v38, 17, v34
	v_cmp_gt_i32_e64 s[22:23], s33, v37
	v_cmp_gt_i32_e64 s[24:25], s33, v38
	v_fmac_f32_e32 v71, v89, v40
	v_cndmask_b32_e64 v37, v36, v76, s[22:23]
	v_cndmask_b32_e64 v38, v36, v77, s[24:25]
	v_max3_f32 v35, v35, v37, v38
	v_or_b32_e32 v37, 18, v34
	v_or_b32_e32 v38, 19, v34
	v_cmp_gt_i32_e64 s[18:19], s33, v37
	v_cmp_gt_i32_e64 s[20:21], s33, v38
	v_cvt_f32_i32_e32 v39, v39
	v_cndmask_b32_e64 v37, v36, v74, s[18:19]
	v_cndmask_b32_e64 v38, v36, v75, s[20:21]
	v_max3_f32 v35, v35, v37, v38
	v_or_b32_e32 v37, 32, v34
	v_or_b32_e32 v38, 33, v34
	v_cmp_gt_i32_e64 s[14:15], s33, v37
	v_cmp_gt_i32_e64 s[16:17], s33, v38
	v_fma_f32 v66, v89, v39, v66
	v_cndmask_b32_e64 v37, v36, v72, s[14:15]
	v_cndmask_b32_e64 v38, v36, v73, s[16:17]
	v_max3_f32 v35, v35, v37, v38
	v_or_b32_e32 v37, 34, v34
	v_or_b32_e32 v38, 35, v34
	v_cmp_gt_i32_e64 s[10:11], s33, v37
	v_cmp_gt_i32_e64 s[12:13], s33, v38
	v_and_b32_e32 v1, 63, v0
	v_cndmask_b32_e64 v37, v36, v70, s[10:11]
	v_cndmask_b32_e64 v38, v36, v71, s[12:13]
	v_max3_f32 v35, v35, v37, v38
	v_or_b32_e32 v37, 48, v34
	v_or_b32_e32 v38, 49, v34
	v_cmp_gt_i32_e64 s[6:7], s33, v37
	v_cmp_gt_i32_e64 s[8:9], s33, v38
	s_nop 0
	v_cndmask_b32_e64 v37, v36, v68, s[6:7]
	v_cndmask_b32_e64 v38, v36, v69, s[8:9]
	v_max3_f32 v35, v35, v37, v38
	v_or_b32_e32 v37, 50, v34
	v_or_b32_e32 v34, 51, v34
	v_cmp_gt_i32_e32 vcc, s33, v37
	v_cmp_gt_i32_e64 s[4:5], s33, v34
	global_load_dwordx4 v[46:49], v[42:43], off
	global_load_dwordx4 v[38:41], v[42:43], off offset:16
	v_cndmask_b32_e32 v37, v36, v66, vcc
	v_cndmask_b32_e64 v34, v36, v67, s[4:5]
	v_max3_f32 v50, v35, v37, v34
	v_mbcnt_lo_u32_b32 v34, -1, 0
	v_mbcnt_hi_u32_b32 v51, -1, v34
	v_and_b32_e32 v34, 64, v51
	v_add_u32_e32 v52, 64, v34
	v_xor_b32_e32 v34, 32, v51
	v_cmp_lt_i32_e64 s[38:39], v34, v52
	s_nop 1
	v_cndmask_b32_e64 v34, v51, v34, s[38:39]
	v_lshlrev_b32_e32 v85, 2, v34
	ds_bpermute_b32 v53, v85, v50
	v_lshl_add_u64 v[34:35], v[80:81], 0, v[54:55]
	global_load_dwordx4 v[42:45], v[34:35], off
	s_nop 0
	global_load_dwordx4 v[34:37], v[34:35], off offset:16
	s_waitcnt lgkmcnt(0)
	v_max_f32_e32 v53, v53, v53
	v_max_f32_e32 v62, v50, v53
	v_xor_b32_e32 v50, 16, v51
	v_cmp_lt_i32_e64 s[38:39], v50, v52
	s_nop 1
	v_cndmask_b32_e64 v50, v51, v50, s[38:39]
	v_lshlrev_b32_e32 v89, 2, v50
	ds_bpermute_b32 v63, v89, v62
	v_lshl_add_u64 v[50:51], v[80:81], 0, v[56:57]
	global_load_dwordx4 v[54:57], v[50:51], off
	s_nop 0
	global_load_dwordx4 v[50:53], v[50:51], off offset:16
	s_waitcnt lgkmcnt(0)
	v_max_f32_e32 v63, v63, v63
	v_max_f32_e32 v84, v62, v63
	v_sub_f32_e32 v60, v60, v84
	v_mul_f32_e32 v60, 0x3fb8aa3b, v60
	v_exp_f32_e32 v80, v60
	v_sub_f32_e32 v60, v61, v84
	v_mul_f32_e32 v60, 0x3fb8aa3b, v60
	v_exp_f32_e32 v81, v60
	global_load_dwordx4 v[62:65], v[58:59], off
	s_nop 0
	global_load_dwordx4 v[58:61], v[58:59], off offset:16
	v_sub_f32_e32 v78, v78, v84
	v_mul_f32_e32 v78, 0x3fb8aa3b, v78
	v_sub_f32_e32 v79, v79, v84
	v_exp_f32_e32 v78, v78
	v_mul_f32_e32 v79, 0x3fb8aa3b, v79
	v_sub_f32_e32 v76, v76, v84
	v_exp_f32_e32 v79, v79
	v_mul_f32_e32 v76, 0x3fb8aa3b, v76
	v_sub_f32_e32 v77, v77, v84
	v_cndmask_b32_e64 v80, 0, v80, s[28:29]
	v_exp_f32_e32 v76, v76
	v_mul_f32_e32 v77, 0x3fb8aa3b, v77
	v_sub_f32_e32 v74, v74, v84
	v_add_f32_e32 v91, 0, v80
	v_cndmask_b32_e64 v81, 0, v81, s[30:31]
	v_exp_f32_e32 v77, v77
	v_mul_f32_e32 v74, 0x3fb8aa3b, v74
	v_sub_f32_e32 v75, v75, v84
	v_add_f32_e32 v91, v91, v81
	;; [unrolled: 5-line block ×10, first 2 shown]
	v_cndmask_b32_e64 v70, 0, v70, s[10:11]
	v_exp_f32_e32 v66, v66
	v_mul_f32_e32 v67, 0x3fb8aa3b, v67
	v_add_f32_e32 v91, v91, v70
	v_cndmask_b32_e64 v71, 0, v71, s[12:13]
	v_exp_f32_e32 v67, v67
	v_add_f32_e32 v91, v91, v71
	v_cndmask_b32_e64 v68, 0, v68, s[6:7]
	v_add_f32_e32 v91, v91, v68
	v_cndmask_b32_e64 v69, 0, v69, s[8:9]
	v_add_f32_e32 v91, v91, v69
	v_cndmask_b32_e32 v66, 0, v66, vcc
	v_add_f32_e32 v91, v91, v66
	v_cndmask_b32_e64 v67, 0, v67, s[4:5]
	v_add_f32_e32 v91, v91, v67
	ds_bpermute_b32 v85, v85, v91
	s_load_dword s7, s[0:1], 0x98
	v_cmp_gt_u32_e32 vcc, 16, v1
	s_waitcnt lgkmcnt(0)
	s_barrier
	v_add_f32_e32 v85, v91, v85
	ds_bpermute_b32 v89, v89, v85
	s_waitcnt lgkmcnt(0)
	s_and_saveexec_b64 s[4:5], vcc
	s_cbranch_execz .LBB321_17
; %bb.16:
	v_add_f32_e32 v85, v85, v89
	v_lshlrev_b32_e32 v89, 2, v90
	ds_write2st64_b32 v89, v84, v85 offset1:1
.LBB321_17:
	s_or_b64 exec, exec, s[4:5]
	v_lshlrev_b32_e32 v85, 2, v88
	s_load_dword s6, s[0:1], 0x94
	s_waitcnt lgkmcnt(0)
	s_barrier
	ds_read2_b32 v[90:91], v85 offset1:16
	ds_read2_b32 v[92:93], v85 offset0:32 offset1:48
	ds_read2_b32 v[94:95], v85 offset0:64 offset1:80
	s_lshl_b32 s7, s7, 1
	s_waitcnt lgkmcnt(2)
	v_max3_f32 v84, v90, s40, v91
	s_waitcnt lgkmcnt(1)
	v_max3_f32 v84, v84, v92, v93
	v_sub_f32_e32 v89, v90, v84
	v_sub_f32_e32 v90, v91, v84
	v_mul_f32_e32 v90, 0x3fb8aa3b, v90
	v_mul_f32_e32 v89, 0x3fb8aa3b, v89
	v_exp_f32_e32 v87, v90
	v_sub_f32_e32 v90, v92, v84
	v_exp_f32_e32 v89, v89
	v_mul_f32_e32 v90, 0x3fb8aa3b, v90
	v_exp_f32_e32 v92, v90
	ds_read2_b32 v[90:91], v85 offset0:96 offset1:112
	v_sub_f32_e32 v85, v93, v84
	v_mul_f32_e32 v85, 0x3fb8aa3b, v85
	v_exp_f32_e32 v93, v85
	s_waitcnt lgkmcnt(1)
	v_fma_f32 v85, v89, v94, 0
	v_fmac_f32_e32 v85, v87, v95
	s_waitcnt lgkmcnt(0)
	v_fmac_f32_e32 v85, v92, v90
	v_fmac_f32_e32 v85, v93, v91
	v_add_f32_e32 v90, 0x358637bd, v85
	v_div_scale_f32 v91, s[4:5], v90, v90, 1.0
	v_rcp_f32_e32 v94, v91
	s_barrier
	v_fma_f32 v95, -v91, v94, 1.0
	v_fmac_f32_e32 v94, v95, v94
	v_div_scale_f32 v95, vcc, 1.0, v90, 1.0
	v_mul_f32_e32 v1, v95, v94
	v_fma_f32 v86, -v91, v1, v95
	v_fmac_f32_e32 v1, v86, v94
	v_fma_f32 v86, -v91, v1, v95
	v_lshrrev_b32_e32 v91, 6, v0
	v_div_fmas_f32 v1, v86, v94, v1
	v_cmp_eq_u32_e32 vcc, 1, v91
	v_div_fixup_f32 v1, v1, v90, 1.0
	s_nop 0
	v_cndmask_b32_e32 v86, v89, v87, vcc
	v_cmp_eq_u32_e32 vcc, 2, v91
	s_nop 1
	v_cndmask_b32_e32 v86, v86, v92, vcc
	v_cmp_eq_u32_e32 vcc, 3, v91
	s_nop 1
	v_cndmask_b32_e32 v86, v86, v93, vcc
	v_mul_f32_e32 v90, v86, v1
	v_pk_mul_f32 v[78:79], v[90:91], v[78:79] op_sel_hi:[0,1]
	v_cvt_f16_f32_e32 v78, v78
	v_cvt_f16_f32_e32 v79, v79
	v_pk_mul_f32 v[80:81], v[90:91], v[80:81] op_sel_hi:[0,1]
	v_cvt_f16_f32_e32 v1, v80
	v_cvt_f16_f32_e32 v80, v81
	v_pk_mul_f32 v[74:75], v[90:91], v[74:75] op_sel_hi:[0,1]
	v_pk_mul_f32 v[76:77], v[90:91], v[76:77] op_sel_hi:[0,1]
	v_pack_b32_f16 v81, v78, v79
	v_cvt_f16_f32_e32 v76, v76
	v_cvt_f16_f32_e32 v77, v77
	;; [unrolled: 1-line block ×4, first 2 shown]
	v_bfe_u32 v86, v0, 4, 2
	v_pack_b32_f16 v80, v1, v80
	v_lshlrev_b32_e32 v1, 3, v86
	v_lshlrev_b32_e32 v78, 5, v88
	;; [unrolled: 1-line block ×3, first 2 shown]
	v_pk_mul_f32 v[70:71], v[90:91], v[70:71] op_sel_hi:[0,1]
	v_pk_mul_f32 v[72:73], v[90:91], v[72:73] op_sel_hi:[0,1]
	;; [unrolled: 1-line block ×4, first 2 shown]
	v_or3_b32 v74, v74, v78, v1
	v_pack_b32_f16 v76, v76, v77
	v_pack_b32_f16 v77, v79, v75
	v_cvt_f16_f32_e32 v1, v72
	v_cvt_f16_f32_e32 v72, v73
	;; [unrolled: 1-line block ×8, first 2 shown]
	v_pack_b32_f16 v66, v1, v72
	v_pack_b32_f16 v67, v70, v71
	v_pack_b32_f16 v68, v68, v69
	v_pack_b32_f16 v69, v73, v75
	v_cmp_gt_u32_e32 vcc, 2, v0
	ds_write2st64_b64 v74, v[80:81], v[76:77] offset1:1
	ds_write2st64_b64 v74, v[66:67], v[68:69] offset0:2 offset1:3
	s_and_saveexec_b64 s[4:5], vcc
	s_cbranch_execz .LBB321_19
; %bb.18:
	v_or_b32_e32 v66, s27, v0
	v_mov_b32_e32 v67, 0
	v_mov_b32_e32 v1, s7
	v_mad_u64_u32 v[68:69], s[12:13], s2, v1, v[66:67]
	v_mov_b32_e32 v66, s26
	s_load_dwordx4 s[8:11], s[0:1], 0x58
	s_mul_i32 s3, s3, s7
	v_mad_u64_u32 v[66:67], s[12:13], v68, s6, v[66:67]
	v_add_u32_e32 v1, s3, v69
	v_mov_b32_e32 v68, v67
	v_mad_u64_u32 v[68:69], s[12:13], v1, s6, v[68:69]
	v_mov_b32_e32 v67, v68
	v_lshlrev_b64 v[66:67], 2, v[66:67]
	s_waitcnt lgkmcnt(0)
	v_lshl_add_u64 v[68:69], s[10:11], 0, v[66:67]
	v_lshl_add_u64 v[66:67], s[8:9], 0, v[66:67]
	global_store_dword v[68:69], v84, off
	global_store_dword v[66:67], v85, off
.LBB321_19:
	s_or_b64 exec, exec, s[4:5]
	v_lshl_or_b32 v1, v86, 9, v78
	s_waitcnt lgkmcnt(0)
	s_barrier
	ds_read_b128 v[70:73], v1
	ds_read_b128 v[66:69], v1 offset:16
	s_waitcnt vmcnt(15) lgkmcnt(1)
	v_mfma_f32_16x16x16_f16 v[76:79], v[30:31], v[70:71], 0
	v_cmp_gt_u32_e32 vcc, 64, v0
	s_mov_b32 s3, 0
	v_mfma_f32_16x16x16_f16 v[30:33], v[32:33], v[72:73], v[76:79]
	s_waitcnt vmcnt(14) lgkmcnt(0)
	v_mfma_f32_16x16x16_f16 v[30:33], v[26:27], v[66:67], v[30:33]
	v_mfma_f32_16x16x16_f16 v[26:29], v[28:29], v[68:69], v[30:33]
	s_nop 5
	ds_read_b128 v[30:33], v1 offset:2048
	ds_read_b128 v[76:79], v1 offset:2064
	s_waitcnt vmcnt(13) lgkmcnt(1)
	v_mfma_f32_16x16x16_f16 v[26:29], v[22:23], v[30:31], v[26:29]
	v_mfma_f32_16x16x16_f16 v[22:25], v[24:25], v[32:33], v[26:29]
	s_waitcnt vmcnt(12) lgkmcnt(0)
	v_mfma_f32_16x16x16_f16 v[22:25], v[18:19], v[76:77], v[22:25]
	v_mfma_f32_16x16x16_f16 v[18:21], v[20:21], v[78:79], v[22:25]
	s_nop 5
	ds_read_b128 v[22:25], v1 offset:4096
	ds_read_b128 v[26:29], v1 offset:4112
	s_waitcnt vmcnt(11) lgkmcnt(1)
	v_mfma_f32_16x16x16_f16 v[18:21], v[14:15], v[22:23], v[18:21]
	v_mfma_f32_16x16x16_f16 v[14:17], v[16:17], v[24:25], v[18:21]
	s_waitcnt vmcnt(10) lgkmcnt(0)
	v_mfma_f32_16x16x16_f16 v[14:17], v[10:11], v[26:27], v[14:17]
	v_mfma_f32_16x16x16_f16 v[10:13], v[12:13], v[28:29], v[14:17]
	s_nop 5
	ds_read_b128 v[14:17], v1 offset:6144
	ds_read_b128 v[18:21], v1 offset:6160
	s_waitcnt lgkmcnt(0)
	s_barrier
	s_waitcnt vmcnt(9)
	v_mfma_f32_16x16x16_f16 v[10:13], v[6:7], v[14:15], v[10:13]
	v_mfma_f32_16x16x16_f16 v[6:9], v[8:9], v[16:17], v[10:13]
	s_waitcnt vmcnt(8)
	v_mfma_f32_16x16x16_f16 v[6:9], v[2:3], v[18:19], v[6:9]
	v_mfma_f32_16x16x16_f16 v[2:5], v[4:5], v[20:21], v[6:9]
	;; [unrolled: 3-line block ×3, first 2 shown]
	s_nop 3
	v_cvt_f16_f32_e32 v1, v2
	v_cvt_f16_f32_e32 v10, v3
	;; [unrolled: 1-line block ×3, first 2 shown]
	s_waitcnt vmcnt(6)
	v_mfma_f32_16x16x16_f16 v[6:9], v[38:39], v[66:67], v[6:9]
	v_cvt_f16_f32_e32 v12, v5
	v_mfma_f32_16x16x16_f16 v[6:9], v[40:41], v[68:69], v[6:9]
	s_waitcnt vmcnt(5)
	v_mfma_f32_16x16x16_f16 v[6:9], v[42:43], v[30:31], v[6:9]
	v_mfma_f32_16x16x16_f16 v[6:9], v[44:45], v[32:33], v[6:9]
	s_waitcnt vmcnt(4)
	v_mfma_f32_16x16x16_f16 v[6:9], v[34:35], v[76:77], v[6:9]
	;; [unrolled: 3-line block ×6, first 2 shown]
	v_mfma_f32_16x16x16_f16 v[2:5], v[60:61], v[20:21], v[6:9]
	s_nop 6
	v_cvt_f16_f32_e32 v6, v2
	v_cvt_f16_f32_e32 v7, v3
	;; [unrolled: 1-line block ×4, first 2 shown]
	v_pack_b32_f16 v2, v1, v10
	v_and_b32_e32 v1, 63, v0
	v_cmp_gt_u32_e64 s[4:5], 32, v1
	v_pack_b32_f16 v3, v11, v12
	v_pack_b32_f16 v4, v6, v7
	;; [unrolled: 1-line block ×3, first 2 shown]
	s_and_b64 s[4:5], vcc, s[4:5]
	ds_write2st64_b64 v74, v[2:3], v[4:5] offset1:1
	s_waitcnt lgkmcnt(0)
	s_barrier
	s_and_saveexec_b64 s[8:9], s[4:5]
	s_cbranch_execz .LBB321_21
; %bb.20:
	s_load_dwordx2 s[0:1], s[0:1], 0x68
	s_mul_i32 s2, s7, s2
	s_lshl_b32 s6, s6, 7
	v_lshlrev_b32_e32 v3, 6, v88
	s_mul_hi_u32 s5, s2, s6
	s_mul_i32 s4, s2, s6
	v_lshlrev_b32_e32 v2, 4, v0
	v_lshl_or_b32 v0, v0, 10, v3
	s_lshl_b64 s[4:5], s[4:5], 1
	v_lshlrev_b32_e32 v1, 5, v86
	v_and_b32_e32 v2, 16, v2
	v_and_b32_e32 v0, 0x1a00, v0
	s_waitcnt lgkmcnt(0)
	s_add_u32 s4, s0, s4
	v_or3_b32 v0, v0, v1, v2
	s_addc_u32 s5, s1, s5
	s_lshl_b32 s2, s26, 7
	ds_read_b128 v[2:5], v0
	s_lshl_b64 s[0:1], s[2:3], 1
	s_add_u32 s0, s4, s0
	v_or_b32_e32 v0, s27, v86
	s_addc_u32 s1, s5, s1
	v_mad_u64_u32 v[0:1], s[2:3], s6, v0, 0
	v_lshl_add_u64 v[0:1], v[0:1], 1, s[0:1]
	v_lshl_add_u64 v[0:1], v[82:83], 1, v[0:1]
	s_waitcnt lgkmcnt(0)
	global_store_dwordx4 v[0:1], v[2:5], off
.LBB321_21:
	s_endpgm
	.section	.rodata,"a",@progbits
	.p2align	6, 0x0
	.amdhsa_kernel _Z39paged_attention_ll4mi_QKV_mfma16_kernelIDF16_DF16_LN4vllm18Fp8KVCacheDataTypeE0EhLi32ELi128ELi256ELb1ELi2EEvPKT_PKT0_S7_ifPKiS9_S9_iPKfiiiPfSC_PS2_PT2_iSB_SB_
		.amdhsa_group_segment_fixed_size 8192
		.amdhsa_private_segment_fixed_size 0
		.amdhsa_kernarg_size 400
		.amdhsa_user_sgpr_count 2
		.amdhsa_user_sgpr_dispatch_ptr 0
		.amdhsa_user_sgpr_queue_ptr 0
		.amdhsa_user_sgpr_kernarg_segment_ptr 1
		.amdhsa_user_sgpr_dispatch_id 0
		.amdhsa_user_sgpr_kernarg_preload_length 0
		.amdhsa_user_sgpr_kernarg_preload_offset 0
		.amdhsa_user_sgpr_private_segment_size 0
		.amdhsa_uses_dynamic_stack 0
		.amdhsa_enable_private_segment 0
		.amdhsa_system_sgpr_workgroup_id_x 1
		.amdhsa_system_sgpr_workgroup_id_y 1
		.amdhsa_system_sgpr_workgroup_id_z 1
		.amdhsa_system_sgpr_workgroup_info 0
		.amdhsa_system_vgpr_workitem_id 0
		.amdhsa_next_free_vgpr 96
		.amdhsa_next_free_sgpr 41
		.amdhsa_accum_offset 96
		.amdhsa_reserve_vcc 1
		.amdhsa_float_round_mode_32 0
		.amdhsa_float_round_mode_16_64 0
		.amdhsa_float_denorm_mode_32 3
		.amdhsa_float_denorm_mode_16_64 3
		.amdhsa_dx10_clamp 1
		.amdhsa_ieee_mode 1
		.amdhsa_fp16_overflow 0
		.amdhsa_tg_split 0
		.amdhsa_exception_fp_ieee_invalid_op 0
		.amdhsa_exception_fp_denorm_src 0
		.amdhsa_exception_fp_ieee_div_zero 0
		.amdhsa_exception_fp_ieee_overflow 0
		.amdhsa_exception_fp_ieee_underflow 0
		.amdhsa_exception_fp_ieee_inexact 0
		.amdhsa_exception_int_div_zero 0
	.end_amdhsa_kernel
	.section	.text._Z39paged_attention_ll4mi_QKV_mfma16_kernelIDF16_DF16_LN4vllm18Fp8KVCacheDataTypeE0EhLi32ELi128ELi256ELb1ELi2EEvPKT_PKT0_S7_ifPKiS9_S9_iPKfiiiPfSC_PS2_PT2_iSB_SB_,"axG",@progbits,_Z39paged_attention_ll4mi_QKV_mfma16_kernelIDF16_DF16_LN4vllm18Fp8KVCacheDataTypeE0EhLi32ELi128ELi256ELb1ELi2EEvPKT_PKT0_S7_ifPKiS9_S9_iPKfiiiPfSC_PS2_PT2_iSB_SB_,comdat
.Lfunc_end321:
	.size	_Z39paged_attention_ll4mi_QKV_mfma16_kernelIDF16_DF16_LN4vllm18Fp8KVCacheDataTypeE0EhLi32ELi128ELi256ELb1ELi2EEvPKT_PKT0_S7_ifPKiS9_S9_iPKfiiiPfSC_PS2_PT2_iSB_SB_, .Lfunc_end321-_Z39paged_attention_ll4mi_QKV_mfma16_kernelIDF16_DF16_LN4vllm18Fp8KVCacheDataTypeE0EhLi32ELi128ELi256ELb1ELi2EEvPKT_PKT0_S7_ifPKiS9_S9_iPKfiiiPfSC_PS2_PT2_iSB_SB_
                                        ; -- End function
	.section	.AMDGPU.csdata,"",@progbits
; Kernel info:
; codeLenInByte = 4788
; NumSgprs: 47
; NumVgprs: 96
; NumAgprs: 0
; TotalNumVgprs: 96
; ScratchSize: 0
; MemoryBound: 0
; FloatMode: 240
; IeeeMode: 1
; LDSByteSize: 8192 bytes/workgroup (compile time only)
; SGPRBlocks: 5
; VGPRBlocks: 11
; NumSGPRsForWavesPerEU: 47
; NumVGPRsForWavesPerEU: 96
; AccumOffset: 96
; Occupancy: 5
; WaveLimiterHint : 1
; COMPUTE_PGM_RSRC2:SCRATCH_EN: 0
; COMPUTE_PGM_RSRC2:USER_SGPR: 2
; COMPUTE_PGM_RSRC2:TRAP_HANDLER: 0
; COMPUTE_PGM_RSRC2:TGID_X_EN: 1
; COMPUTE_PGM_RSRC2:TGID_Y_EN: 1
; COMPUTE_PGM_RSRC2:TGID_Z_EN: 1
; COMPUTE_PGM_RSRC2:TIDIG_COMP_CNT: 0
; COMPUTE_PGM_RSRC3_GFX90A:ACCUM_OFFSET: 23
; COMPUTE_PGM_RSRC3_GFX90A:TG_SPLIT: 0
	.section	.text._Z39paged_attention_ll4mi_QKV_mfma16_kernelIDF16_DF16_LN4vllm18Fp8KVCacheDataTypeE0EhLi32ELi128ELi256ELb1ELi3EEvPKT_PKT0_S7_ifPKiS9_S9_iPKfiiiPfSC_PS2_PT2_iSB_SB_,"axG",@progbits,_Z39paged_attention_ll4mi_QKV_mfma16_kernelIDF16_DF16_LN4vllm18Fp8KVCacheDataTypeE0EhLi32ELi128ELi256ELb1ELi3EEvPKT_PKT0_S7_ifPKiS9_S9_iPKfiiiPfSC_PS2_PT2_iSB_SB_,comdat
	.protected	_Z39paged_attention_ll4mi_QKV_mfma16_kernelIDF16_DF16_LN4vllm18Fp8KVCacheDataTypeE0EhLi32ELi128ELi256ELb1ELi3EEvPKT_PKT0_S7_ifPKiS9_S9_iPKfiiiPfSC_PS2_PT2_iSB_SB_ ; -- Begin function _Z39paged_attention_ll4mi_QKV_mfma16_kernelIDF16_DF16_LN4vllm18Fp8KVCacheDataTypeE0EhLi32ELi128ELi256ELb1ELi3EEvPKT_PKT0_S7_ifPKiS9_S9_iPKfiiiPfSC_PS2_PT2_iSB_SB_
	.globl	_Z39paged_attention_ll4mi_QKV_mfma16_kernelIDF16_DF16_LN4vllm18Fp8KVCacheDataTypeE0EhLi32ELi128ELi256ELb1ELi3EEvPKT_PKT0_S7_ifPKiS9_S9_iPKfiiiPfSC_PS2_PT2_iSB_SB_
	.p2align	8
	.type	_Z39paged_attention_ll4mi_QKV_mfma16_kernelIDF16_DF16_LN4vllm18Fp8KVCacheDataTypeE0EhLi32ELi128ELi256ELb1ELi3EEvPKT_PKT0_S7_ifPKiS9_S9_iPKfiiiPfSC_PS2_PT2_iSB_SB_,@function
_Z39paged_attention_ll4mi_QKV_mfma16_kernelIDF16_DF16_LN4vllm18Fp8KVCacheDataTypeE0EhLi32ELi128ELi256ELb1ELi3EEvPKT_PKT0_S7_ifPKiS9_S9_iPKfiiiPfSC_PS2_PT2_iSB_SB_: ; @_Z39paged_attention_ll4mi_QKV_mfma16_kernelIDF16_DF16_LN4vllm18Fp8KVCacheDataTypeE0EhLi32ELi128ELi256ELb1ELi3EEvPKT_PKT0_S7_ifPKiS9_S9_iPKfiiiPfSC_PS2_PT2_iSB_SB_
; %bb.0:
	s_load_dwordx2 s[8:9], s[0:1], 0x30
	s_mov_b32 s26, s3
	s_mov_b64 s[6:7], 0
	s_waitcnt lgkmcnt(0)
	s_cmp_lg_u64 s[8:9], 0
	s_cselect_b64 s[10:11], -1, 0
	s_and_b64 vcc, exec, s[10:11]
	s_cbranch_vccz .LBB322_7
; %bb.1:
	s_add_i32 s12, s2, 1
	s_mov_b32 s13, 0
	s_lshl_b64 s[14:15], s[12:13], 2
	s_add_u32 s14, s8, s14
	s_mov_b32 s3, s13
	s_addc_u32 s15, s9, s15
	s_lshl_b64 s[12:13], s[2:3], 2
	s_add_u32 s12, s8, s12
	s_addc_u32 s13, s9, s13
	s_load_dword s5, s[14:15], 0x0
	s_load_dword s16, s[12:13], 0x0
	s_waitcnt lgkmcnt(0)
	s_sub_i32 s5, s5, s16
	s_cmp_eq_u32 s5, 1
	s_cselect_b64 s[12:13], -1, 0
	s_andn2_b64 vcc, exec, s[6:7]
	s_cbranch_vccnz .LBB322_3
.LBB322_2:
	s_mov_b32 s3, 0
	s_mov_b64 s[12:13], -1
.LBB322_3:
	s_andn2_b64 vcc, exec, s[12:13]
	s_cbranch_vccnz .LBB322_21
; %bb.4:
	s_load_dwordx2 s[6:7], s[0:1], 0x28
	s_lshl_b64 s[12:13], s[2:3], 2
	s_waitcnt lgkmcnt(0)
	s_add_u32 s6, s6, s12
	s_addc_u32 s7, s7, s13
	s_load_dword s27, s[6:7], 0x0
	s_lshl_b32 s18, s26, 8
	s_waitcnt lgkmcnt(0)
	s_cmp_ge_i32 s18, s27
	s_cbranch_scc1 .LBB322_21
; %bb.5:
	s_load_dwordx2 s[6:7], s[0:1], 0x20
	s_load_dword s5, s[0:1], 0x38
	s_add_i32 s14, s27, 31
	s_ashr_i32 s15, s14, 31
	v_and_b32_e32 v1, 0xcf, v0
	s_lshr_b32 s15, s15, 27
	v_add_u32_e32 v1, s18, v1
	s_add_i32 s14, s14, s15
	v_ashrrev_i32_e32 v2, 31, v1
	s_ashr_i32 s19, s14, 5
	v_lshrrev_b32_e32 v4, 27, v2
	s_add_i32 s19, s19, -1
	s_waitcnt lgkmcnt(0)
	s_mul_i32 s14, s2, s5
	s_mov_b32 s15, 0
	v_add_u32_e32 v2, v1, v4
	s_lshl_b64 s[14:15], s[14:15], 2
	v_ashrrev_i32_e32 v2, 5, v2
	v_mov_b32_e32 v5, s19
	v_cmp_gt_i32_e32 vcc, s27, v1
	s_add_u32 s6, s6, s14
	s_addc_u32 s7, s7, s15
	v_cndmask_b32_e32 v2, v5, v2, vcc
	v_ashrrev_i32_e32 v3, 31, v2
	v_lshl_add_u64 v[6:7], v[2:3], 2, s[6:7]
	v_or_b32_e32 v2, 16, v1
	v_add_u32_e32 v3, v2, v4
	v_ashrrev_i32_e32 v3, 5, v3
	v_cmp_gt_i32_e32 vcc, s27, v2
	s_nop 1
	v_cndmask_b32_e32 v2, v5, v3, vcc
	v_ashrrev_i32_e32 v3, 31, v2
	v_lshl_add_u64 v[8:9], v[2:3], 2, s[6:7]
	v_or_b32_e32 v2, 32, v1
	v_add_u32_e32 v3, v2, v4
	v_ashrrev_i32_e32 v3, 5, v3
	v_cmp_gt_i32_e32 vcc, s27, v2
	v_or_b32_e32 v1, 48, v1
	s_nop 0
	v_cndmask_b32_e32 v2, v5, v3, vcc
	v_ashrrev_i32_e32 v3, 31, v2
	v_lshl_add_u64 v[10:11], v[2:3], 2, s[6:7]
	v_add_u32_e32 v2, v1, v4
	v_ashrrev_i32_e32 v2, 5, v2
	v_cmp_gt_i32_e32 vcc, s27, v1
	s_nop 1
	v_cndmask_b32_e32 v2, v5, v2, vcc
	v_ashrrev_i32_e32 v3, 31, v2
	v_lshl_add_u64 v[12:13], v[2:3], 2, s[6:7]
	global_load_dword v5, v[6:7], off
	global_load_dword v4, v[8:9], off
	global_load_dword v3, v[10:11], off
	global_load_dword v2, v[12:13], off
	s_andn2_b64 vcc, exec, s[10:11]
	s_cbranch_vccnz .LBB322_8
; %bb.6:
	s_add_u32 s8, s8, s12
	s_addc_u32 s9, s9, s13
	s_load_dword s5, s[8:9], 0x0
	s_branch .LBB322_9
.LBB322_7:
	s_mov_b64 s[12:13], 0
	s_branch .LBB322_2
.LBB322_8:
	s_mov_b32 s5, s2
.LBB322_9:
	s_load_dwordx2 s[14:15], s[0:1], 0x8
	s_load_dwordx4 s[8:11], s[0:1], 0x48
	v_lshrrev_b32_e32 v85, 6, v0
	v_bfe_u32 v1, v0, 4, 2
	v_lshl_or_b32 v6, v85, 2, v1
	v_and_b32_e32 v84, 15, v0
	s_mul_i32 s40, s4, 3
	v_lshlrev_b32_e32 v82, 3, v84
	v_cmp_lt_u32_e32 vcc, 2, v6
	s_and_saveexec_b64 s[12:13], vcc
	s_xor_b64 s[12:13], exec, s[12:13]
; %bb.10:
	v_mov_b32_e32 v83, 0
                                        ; implicit-def: $vgpr6
; %bb.11:
	s_or_saveexec_b64 s[16:17], s[12:13]
	s_load_dwordx2 s[12:13], s[0:1], 0x10
	v_add_u32_e32 v7, s40, v1
	scratch_store_dword off, v7, off        ; 4-byte Folded Spill
	s_xor_b64 exec, exec, s[16:17]
	s_cbranch_execz .LBB322_13
; %bb.12:
	scratch_load_dword v7, off, off         ; 4-byte Folded Reload
	s_load_dwordx2 s[20:21], s[0:1], 0x0
	s_waitcnt lgkmcnt(0)
	s_ashr_i32 s11, s8, 31
	s_mul_hi_u32 s22, s5, s8
	s_mul_i32 s11, s5, s11
	s_add_i32 s23, s22, s11
	s_mul_i32 s22, s5, s8
	s_lshl_b64 s[22:23], s[22:23], 1
	s_add_u32 s20, s20, s22
	s_addc_u32 s21, s21, s23
	v_mov_b32_e32 v83, 0
	v_lshlrev_b32_e32 v10, 1, v82
	v_mov_b32_e32 v11, v83
	v_lshlrev_b32_e32 v12, 9, v84
	v_lshlrev_b32_e32 v6, 5, v6
	v_and_b32_e32 v12, 0x1800, v12
	s_waitcnt vmcnt(0)
	v_lshlrev_b32_e32 v8, 7, v7
	v_ashrrev_i32_e32 v9, 31, v8
	v_lshl_add_u64 v[8:9], v[8:9], 1, s[20:21]
	v_lshl_add_u64 v[8:9], v[8:9], 0, v[10:11]
	global_load_dwordx4 v[8:11], v[8:9], off
	v_and_b32_e32 v7, 3, v0
	v_lshlrev_b32_e32 v7, 9, v7
	v_or3_b32 v6, v12, v7, v6
	s_waitcnt vmcnt(0)
	ds_write_b128 v6, v[8:11]
.LBB322_13:
	s_or_b64 exec, exec, s[16:17]
	s_waitcnt lgkmcnt(0)
	s_mul_i32 s4, s4, s10
	s_mov_b32 s5, 0
	s_lshl_b64 s[4:5], s[4:5], 1
	s_add_u32 s10, s14, s4
	s_addc_u32 s11, s15, s5
	s_waitcnt vmcnt(4)
	v_mad_i64_i32 v[6:7], s[14:15], v5, s9, 0
	v_lshl_add_u64 v[6:7], v[6:7], 1, s[10:11]
	v_lshlrev_b64 v[8:9], 1, v[82:83]
	v_lshlrev_b32_e32 v86, 9, v1
	v_lshl_add_u64 v[6:7], v[6:7], 0, v[8:9]
	v_mov_b32_e32 v87, 0
	v_lshl_add_u64 v[10:11], v[6:7], 0, v[86:87]
	v_or_b32_e32 v14, 0x1000, v86
	v_mov_b32_e32 v15, v87
	v_or_b32_e32 v16, 0x1800, v86
	v_mov_b32_e32 v17, v87
	s_barrier
	global_load_dwordx4 v[66:69], v[10:11], off
	global_load_dwordx4 v[62:65], v[10:11], off offset:2048
	v_lshl_add_u64 v[10:11], v[6:7], 0, v[14:15]
	v_lshl_add_u64 v[6:7], v[6:7], 0, v[16:17]
	global_load_dwordx4 v[78:81], v[10:11], off
	global_load_dwordx4 v[74:77], v[6:7], off
	s_waitcnt vmcnt(7)
	v_mad_i64_i32 v[4:5], s[14:15], v4, s9, 0
	v_mov_b32_e32 v6, 0x100
	v_lshl_add_u64 v[4:5], v[4:5], 1, s[10:11]
	v_lshl_or_b32 v6, v84, 4, v6
	v_mov_b32_e32 v7, v87
	v_lshl_add_u64 v[4:5], v[4:5], 0, v[6:7]
	v_lshl_add_u64 v[10:11], v[4:5], 0, v[86:87]
	global_load_dwordx4 v[70:73], v[10:11], off
	global_load_dwordx4 v[58:61], v[10:11], off offset:2048
	v_lshl_add_u64 v[10:11], v[4:5], 0, v[14:15]
	v_lshl_add_u64 v[4:5], v[4:5], 0, v[16:17]
	global_load_dwordx4 v[54:57], v[10:11], off
	global_load_dwordx4 v[30:33], v[4:5], off
	s_waitcnt vmcnt(10)
	v_mad_i64_i32 v[4:5], s[14:15], v3, s9, 0
	v_lshl_add_u64 v[4:5], v[4:5], 1, s[10:11]
	s_waitcnt vmcnt(9)
	v_mad_i64_i32 v[2:3], s[14:15], v2, s9, 0
	v_lshl_add_u64 v[4:5], v[4:5], 0, v[8:9]
	v_lshl_add_u64 v[2:3], v[2:3], 1, s[10:11]
	;; [unrolled: 1-line block ×4, first 2 shown]
	global_load_dwordx4 v[26:29], v[8:9], off
	global_load_dwordx4 v[22:25], v[8:9], off offset:2048
	v_lshl_add_u64 v[8:9], v[4:5], 0, v[14:15]
	v_lshl_add_u64 v[4:5], v[4:5], 0, v[16:17]
	;; [unrolled: 1-line block ×4, first 2 shown]
	global_load_dwordx4 v[18:21], v[8:9], off
	global_load_dwordx4 v[10:13], v[4:5], off
	s_nop 0
	global_load_dwordx4 v[6:9], v[2:3], off
	s_nop 0
	global_load_dwordx4 v[2:5], v[2:3], off offset:2048
	v_lshl_add_u64 v[16:17], v[34:35], 0, v[16:17]
	global_load_dwordx4 v[38:41], v[14:15], off
	global_load_dwordx4 v[34:37], v[16:17], off
	v_mul_lo_u16_e32 v14, 0x56, v84
	v_mov_b32_e32 v15, 3
	v_mul_lo_u16_sdwa v14, v14, v15 dst_sel:DWORD dst_unused:UNUSED_PAD src0_sel:BYTE_1 src1_sel:DWORD
	v_sub_u16_e32 v14, v84, v14
	v_and_b32_e32 v14, 0xff, v14
	v_lshl_add_u32 v42, v14, 5, v86
	ds_read_b128 v[14:17], v42
	ds_read_b128 v[50:53], v42 offset:2048
	ds_read_b128 v[46:49], v42 offset:4096
	;; [unrolled: 1-line block ×3, first 2 shown]
	v_and_b32_e32 v89, 63, v0
	v_cmp_gt_u32_e32 vcc, 3, v84
	v_mov_b32_e32 v90, 0
	s_and_saveexec_b64 s[10:11], vcc
	s_cbranch_execz .LBB322_15
; %bb.14:
	s_load_dwordx2 s[14:15], s[0:1], 0x40
	v_add_u32_e32 v90, s40, v84
	v_ashrrev_i32_e32 v91, 31, v90
	s_waitcnt lgkmcnt(0)
	v_lshl_add_u64 v[90:91], v[90:91], 2, s[14:15]
	global_load_dword v90, v[90:91], off
.LBB322_15:
	s_or_b64 exec, exec, s[10:11]
	s_waitcnt vmcnt(15) lgkmcnt(3)
	v_mfma_f32_16x16x16_f16 v[92:95], v[66:67], v[14:15], 0
	s_ashr_i32 s8, s18, 31
	s_lshr_b32 s8, s8, 27
	s_add_u32 s4, s12, s4
	v_mfma_f32_16x16x16_f16 v[66:69], v[68:69], v[16:17], v[92:95]
	s_addc_u32 s5, s13, s5
	v_lshl_or_b32 v91, v85, 4, v84
	s_mov_b32 s33, 0xff7fffff
	s_waitcnt vmcnt(14) lgkmcnt(2)
	v_mfma_f32_16x16x16_f16 v[66:69], v[62:63], v[50:51], v[66:69]
	v_mfma_f32_16x16x16_f16 v[62:65], v[64:65], v[52:53], v[66:69]
	s_waitcnt vmcnt(13) lgkmcnt(1)
	v_mfma_f32_16x16x16_f16 v[62:65], v[78:79], v[46:47], v[62:65]
	v_mfma_f32_16x16x16_f16 v[62:65], v[80:81], v[48:49], v[62:65]
	s_waitcnt vmcnt(12) lgkmcnt(0)
	v_mfma_f32_16x16x16_f16 v[62:65], v[74:75], v[42:43], v[62:65]
	v_and_or_b32 v74, v0, 48, s18
	v_add_u32_e32 v66, s8, v74
	v_ashrrev_i32_e32 v75, 5, v66
	s_waitcnt vmcnt(11)
	v_mfma_f32_16x16x16_f16 v[66:69], v[70:71], v[14:15], 0
	v_cmp_gt_i32_e32 vcc, s27, v74
	v_mfma_f32_16x16x16_f16 v[66:69], v[72:73], v[16:17], v[66:69]
	v_or_b32_e32 v72, 64, v74
	v_add_u32_e32 v73, s8, v72
	s_waitcnt vmcnt(10)
	v_mfma_f32_16x16x16_f16 v[66:69], v[58:59], v[50:51], v[66:69]
	v_ashrrev_i32_e32 v58, 5, v73
	v_mfma_f32_16x16x16_f16 v[62:65], v[76:77], v[44:45], v[62:65]
	v_mov_b32_e32 v76, s19
	v_cndmask_b32_e32 v70, v76, v75, vcc
	v_cmp_gt_i32_e32 vcc, s27, v72
	v_ashrrev_i32_e32 v71, 31, v70
	v_lshl_add_u64 v[70:71], v[70:71], 2, s[6:7]
	v_cndmask_b32_e32 v72, v76, v58, vcc
	v_mfma_f32_16x16x16_f16 v[58:61], v[60:61], v[52:53], v[66:69]
	v_ashrrev_i32_e32 v73, 31, v72
	s_waitcnt vmcnt(9)
	v_mfma_f32_16x16x16_f16 v[58:61], v[54:55], v[46:47], v[58:61]
	v_lshl_add_u64 v[66:67], v[72:73], 2, s[6:7]
	global_load_dword v72, v[70:71], off
	global_load_dword v75, v[66:67], off
	v_or_b32_e32 v66, 0x80, v74
	v_add_u32_e32 v67, s8, v66
	v_mfma_f32_16x16x16_f16 v[54:57], v[56:57], v[48:49], v[58:61]
	v_cmp_gt_i32_e32 vcc, s27, v66
	s_nop 1
	v_ashrrev_i32_e32 v58, 5, v67
	v_cndmask_b32_e32 v58, v76, v58, vcc
	v_ashrrev_i32_e32 v59, 31, v58
	s_waitcnt vmcnt(10)
	v_mfma_f32_16x16x16_f16 v[54:57], v[30:31], v[42:43], v[54:57]
	v_lshl_add_u64 v[30:31], v[58:59], 2, s[6:7]
	global_load_dword v58, v[30:31], off
	v_mfma_f32_16x16x16_f16 v[66:69], v[32:33], v[44:45], v[54:57]
	s_nop 3
	v_or_b32_e32 v54, 0xc0, v74
	v_add_u32_e32 v30, s8, v54
	v_ashrrev_i32_e32 v55, 5, v30
	v_cmp_gt_i32_e32 vcc, s27, v54
	s_waitcnt vmcnt(10)
	v_mfma_f32_16x16x16_f16 v[30:33], v[26:27], v[14:15], 0
	v_cndmask_b32_e32 v26, v76, v55, vcc
	v_ashrrev_i32_e32 v27, 31, v26
	v_lshl_add_u64 v[54:55], v[26:27], 2, s[6:7]
	global_load_dword v59, v[54:55], off
	v_mfma_f32_16x16x16_f16 v[26:29], v[28:29], v[16:17], v[30:33]
	s_load_dword s6, s[0:1], 0x1c
	s_waitcnt lgkmcnt(0)
	v_pk_mul_f32 v[76:77], s[6:7], v[66:67] op_sel_hi:[0,1]
	s_waitcnt vmcnt(10)
	v_mfma_f32_16x16x16_f16 v[26:29], v[22:23], v[50:51], v[26:29]
	v_and_b32_e32 v30, 16, v0
	v_lshlrev_b32_e32 v86, 1, v30
	v_lshl_add_u64 v[60:61], s[4:5], 0, v[86:87]
	v_mfma_f32_16x16x16_f16 v[22:25], v[24:25], v[52:53], v[26:29]
	v_lshlrev_b32_e32 v86, 6, v91
	v_lshl_add_u64 v[70:71], v[60:61], 0, v[86:87]
	v_or_b32_e32 v86, 0x1000, v86
	s_waitcnt vmcnt(9)
	v_mfma_f32_16x16x16_f16 v[22:25], v[18:19], v[46:47], v[22:25]
	v_lshl_add_u64 v[80:81], v[60:61], 0, v[86:87]
	v_pk_mul_f32 v[78:79], s[6:7], v[64:65] op_sel_hi:[0,1]
	v_pk_mul_f32 v[60:61], s[6:7], v[62:63] op_sel_hi:[0,1]
	v_mfma_f32_16x16x16_f16 v[18:21], v[20:21], v[48:49], v[22:25]
	s_waitcnt vmcnt(8)
	v_mfma_f32_16x16x16_f16 v[18:21], v[10:11], v[42:43], v[18:21]
	s_waitcnt vmcnt(3)
	v_mad_i64_i32 v[22:23], s[4:5], v72, s9, 0
	s_waitcnt vmcnt(2)
	v_mad_i64_i32 v[10:11], s[4:5], v75, s9, 0
	v_lshlrev_b64 v[72:73], 1, v[22:23]
	v_lshlrev_b64 v[54:55], 1, v[10:11]
	v_lshl_add_u64 v[22:23], v[70:71], 0, v[72:73]
	v_lshl_add_u64 v[10:11], v[70:71], 0, v[54:55]
	global_load_dwordx4 v[30:33], v[22:23], off
	global_load_dwordx4 v[26:29], v[22:23], off offset:16
	v_mfma_f32_16x16x16_f16 v[92:95], v[12:13], v[44:45], v[18:21]
	global_load_dwordx4 v[22:25], v[10:11], off
	s_nop 1
	global_load_dwordx4 v[18:21], v[10:11], off offset:16
	v_pk_mul_f32 v[74:75], s[6:7], v[68:69] op_sel_hi:[0,1]
	v_mfma_f32_16x16x16_f16 v[10:13], v[6:7], v[14:15], 0
	s_waitcnt vmcnt(5)
	v_mad_i64_i32 v[6:7], s[4:5], v58, s9, 0
	v_lshlrev_b64 v[56:57], 1, v[6:7]
	v_mfma_f32_16x16x16_f16 v[6:9], v[8:9], v[16:17], v[10:13]
	v_mfma_f32_16x16x16_f16 v[6:9], v[2:3], v[50:51], v[6:9]
	s_nop 1
	v_lshl_add_u64 v[10:11], v[70:71], 0, v[56:57]
	global_load_dwordx4 v[14:17], v[10:11], off
	s_nop 0
	global_load_dwordx4 v[10:13], v[10:11], off offset:16
	s_waitcnt vmcnt(6)
	v_mad_i64_i32 v[2:3], s[4:5], v59, s9, 0
	v_mfma_f32_16x16x16_f16 v[50:53], v[4:5], v[52:53], v[6:9]
	v_lshlrev_b64 v[58:59], 1, v[2:3]
	v_lshl_add_u64 v[2:3], v[70:71], 0, v[58:59]
	v_pk_mul_f32 v[70:71], s[6:7], v[94:95] op_sel_hi:[0,1]
	v_mfma_f32_16x16x16_f16 v[50:53], v[38:39], v[46:47], v[50:53]
	v_lshl_add_u64 v[38:39], v[80:81], 0, v[72:73]
	v_pk_mul_f32 v[72:73], s[6:7], v[92:93] op_sel_hi:[0,1]
	v_lshl_add_u64 v[58:59], v[80:81], 0, v[58:59]
	v_mfma_f32_16x16x16_f16 v[46:49], v[40:41], v[48:49], v[50:53]
	global_load_dwordx4 v[6:9], v[2:3], off
	s_nop 0
	global_load_dwordx4 v[2:5], v[2:3], off offset:16
	v_mfma_f32_16x16x16_f16 v[40:43], v[34:35], v[42:43], v[46:49]
	v_mfma_f32_16x16x16_f16 v[34:37], v[36:37], v[44:45], v[40:43]
	s_nop 6
	v_pk_mul_f32 v[68:69], s[6:7], v[34:35] op_sel_hi:[0,1]
	v_and_b32_e32 v34, 0xc0, v0
	v_add_u32_e32 v34, s18, v34
	v_lshl_or_b32 v34, v1, 2, v34
	v_or_b32_e32 v35, 1, v34
	v_pk_mul_f32 v[66:67], s[6:7], v[36:37] op_sel_hi:[0,1]
	v_subrev_u32_e32 v36, s27, v35
	v_add_u32_e32 v40, 1, v36
	v_add_u32_e32 v41, 2, v36
	v_cvt_f32_i32_e32 v37, v36
	v_cvt_f32_i32_e32 v40, v40
	;; [unrolled: 1-line block ×3, first 2 shown]
	v_add_u32_e32 v42, 3, v36
	v_fma_f32 v60, v90, v37, v60
	v_fmac_f32_e32 v61, v90, v40
	v_fma_f32 v78, v90, v41, v78
	v_add_u32_e32 v37, 16, v36
	v_add_u32_e32 v40, 17, v36
	;; [unrolled: 1-line block ×3, first 2 shown]
	v_cvt_f32_i32_e32 v42, v42
	v_cvt_f32_i32_e32 v37, v37
	;; [unrolled: 1-line block ×4, first 2 shown]
	v_fmac_f32_e32 v79, v90, v42
	v_add_u32_e32 v42, 19, v36
	v_fma_f32 v76, v90, v37, v76
	v_fmac_f32_e32 v77, v90, v40
	v_fma_f32 v74, v90, v41, v74
	v_add_u32_e32 v37, 32, v36
	v_add_u32_e32 v40, 33, v36
	;; [unrolled: 1-line block ×3, first 2 shown]
	v_cvt_f32_i32_e32 v42, v42
	v_cvt_f32_i32_e32 v37, v37
	;; [unrolled: 1-line block ×4, first 2 shown]
	v_fmac_f32_e32 v75, v90, v42
	v_add_u32_e32 v42, 35, v36
	v_fma_f32 v72, v90, v37, v72
	v_fmac_f32_e32 v73, v90, v40
	v_fma_f32 v70, v90, v41, v70
	v_add_u32_e32 v37, 48, v36
	v_add_u32_e32 v40, 49, v36
	;; [unrolled: 1-line block ×4, first 2 shown]
	v_cvt_f32_i32_e32 v36, v36
	v_cvt_f32_i32_e32 v37, v37
	;; [unrolled: 1-line block ×3, first 2 shown]
	v_cmp_gt_i32_e64 s[28:29], s27, v34
	v_fmac_f32_e32 v67, v90, v36
	v_mov_b32_e32 v36, 0xff7fffff
	v_cmp_gt_i32_e64 s[30:31], s27, v35
	v_fma_f32 v68, v90, v37, v68
	v_cndmask_b32_e64 v37, v36, v60, s[28:29]
	v_cndmask_b32_e64 v35, v36, v61, s[30:31]
	v_fmac_f32_e32 v69, v90, v40
	v_max3_f32 v35, v37, s33, v35
	v_or_b32_e32 v37, 2, v34
	v_or_b32_e32 v40, 3, v34
	v_cmp_gt_i32_e64 s[34:35], s27, v37
	v_cmp_gt_i32_e64 s[36:37], s27, v40
	v_cvt_f32_i32_e32 v42, v42
	v_cndmask_b32_e64 v37, v36, v78, s[34:35]
	v_cndmask_b32_e64 v40, v36, v79, s[36:37]
	v_max3_f32 v35, v35, v37, v40
	v_or_b32_e32 v37, 16, v34
	v_or_b32_e32 v40, 17, v34
	v_cmp_gt_i32_e64 s[22:23], s27, v37
	v_cmp_gt_i32_e64 s[24:25], s27, v40
	v_fmac_f32_e32 v71, v90, v42
	v_cndmask_b32_e64 v37, v36, v76, s[22:23]
	v_cndmask_b32_e64 v40, v36, v77, s[24:25]
	v_max3_f32 v35, v35, v37, v40
	v_or_b32_e32 v37, 18, v34
	v_or_b32_e32 v40, 19, v34
	v_cmp_gt_i32_e64 s[18:19], s27, v37
	v_cmp_gt_i32_e64 s[20:21], s27, v40
	v_cvt_f32_i32_e32 v41, v41
	v_cndmask_b32_e64 v37, v36, v74, s[18:19]
	v_cndmask_b32_e64 v40, v36, v75, s[20:21]
	v_max3_f32 v35, v35, v37, v40
	v_or_b32_e32 v37, 32, v34
	v_or_b32_e32 v40, 33, v34
	v_cmp_gt_i32_e64 s[14:15], s27, v37
	v_cmp_gt_i32_e64 s[16:17], s27, v40
	v_fma_f32 v66, v90, v41, v66
	v_cndmask_b32_e64 v37, v36, v72, s[14:15]
	v_cndmask_b32_e64 v40, v36, v73, s[16:17]
	v_max3_f32 v35, v35, v37, v40
	v_or_b32_e32 v37, 34, v34
	v_or_b32_e32 v40, 35, v34
	v_cmp_gt_i32_e64 s[10:11], s27, v37
	v_cmp_gt_i32_e64 s[12:13], s27, v40
	s_nop 0
	v_cndmask_b32_e64 v37, v36, v70, s[10:11]
	v_cndmask_b32_e64 v40, v36, v71, s[12:13]
	v_max3_f32 v35, v35, v37, v40
	v_or_b32_e32 v37, 48, v34
	v_or_b32_e32 v40, 49, v34
	v_cmp_gt_i32_e64 s[6:7], s27, v37
	v_cmp_gt_i32_e64 s[8:9], s27, v40
	s_nop 0
	v_cndmask_b32_e64 v37, v36, v68, s[6:7]
	v_cndmask_b32_e64 v40, v36, v69, s[8:9]
	v_max3_f32 v35, v35, v37, v40
	v_or_b32_e32 v37, 50, v34
	v_or_b32_e32 v34, 51, v34
	v_cmp_gt_i32_e32 vcc, s27, v37
	v_cmp_gt_i32_e64 s[4:5], s27, v34
	global_load_dwordx4 v[46:49], v[38:39], off
	s_nop 0
	global_load_dwordx4 v[38:41], v[38:39], off offset:16
	v_cndmask_b32_e32 v37, v36, v66, vcc
	v_cndmask_b32_e64 v34, v36, v67, s[4:5]
	v_max3_f32 v50, v35, v37, v34
	v_mbcnt_lo_u32_b32 v34, -1, 0
	v_mbcnt_hi_u32_b32 v51, -1, v34
	v_and_b32_e32 v34, 64, v51
	v_add_u32_e32 v52, 64, v34
	v_xor_b32_e32 v34, 32, v51
	v_cmp_lt_i32_e64 s[38:39], v34, v52
	s_nop 1
	v_cndmask_b32_e64 v34, v51, v34, s[38:39]
	v_lshlrev_b32_e32 v87, 2, v34
	ds_bpermute_b32 v53, v87, v50
	v_lshl_add_u64 v[34:35], v[80:81], 0, v[54:55]
	global_load_dwordx4 v[42:45], v[34:35], off
	s_nop 0
	global_load_dwordx4 v[34:37], v[34:35], off offset:16
	s_waitcnt lgkmcnt(0)
	v_max_f32_e32 v53, v53, v53
	v_max_f32_e32 v62, v50, v53
	v_xor_b32_e32 v50, 16, v51
	v_cmp_lt_i32_e64 s[38:39], v50, v52
	s_nop 1
	v_cndmask_b32_e64 v50, v51, v50, s[38:39]
	v_lshlrev_b32_e32 v90, 2, v50
	ds_bpermute_b32 v63, v90, v62
	v_lshl_add_u64 v[50:51], v[80:81], 0, v[56:57]
	global_load_dwordx4 v[54:57], v[50:51], off
	s_nop 0
	global_load_dwordx4 v[50:53], v[50:51], off offset:16
	s_waitcnt lgkmcnt(0)
	v_max_f32_e32 v63, v63, v63
	v_max_f32_e32 v86, v62, v63
	v_sub_f32_e32 v60, v60, v86
	v_mul_f32_e32 v60, 0x3fb8aa3b, v60
	v_exp_f32_e32 v80, v60
	v_sub_f32_e32 v60, v61, v86
	v_mul_f32_e32 v60, 0x3fb8aa3b, v60
	v_exp_f32_e32 v81, v60
	global_load_dwordx4 v[62:65], v[58:59], off
	s_nop 0
	global_load_dwordx4 v[58:61], v[58:59], off offset:16
	v_sub_f32_e32 v78, v78, v86
	v_mul_f32_e32 v78, 0x3fb8aa3b, v78
	v_sub_f32_e32 v79, v79, v86
	v_exp_f32_e32 v78, v78
	v_mul_f32_e32 v79, 0x3fb8aa3b, v79
	v_sub_f32_e32 v76, v76, v86
	v_exp_f32_e32 v79, v79
	v_mul_f32_e32 v76, 0x3fb8aa3b, v76
	v_sub_f32_e32 v77, v77, v86
	v_cndmask_b32_e64 v80, 0, v80, s[28:29]
	v_exp_f32_e32 v76, v76
	v_mul_f32_e32 v77, 0x3fb8aa3b, v77
	v_sub_f32_e32 v74, v74, v86
	v_add_f32_e32 v92, 0, v80
	v_cndmask_b32_e64 v81, 0, v81, s[30:31]
	v_exp_f32_e32 v77, v77
	v_mul_f32_e32 v74, 0x3fb8aa3b, v74
	v_sub_f32_e32 v75, v75, v86
	v_add_f32_e32 v92, v92, v81
	;; [unrolled: 5-line block ×10, first 2 shown]
	v_cndmask_b32_e64 v70, 0, v70, s[10:11]
	v_exp_f32_e32 v66, v66
	v_mul_f32_e32 v67, 0x3fb8aa3b, v67
	v_add_f32_e32 v92, v92, v70
	v_cndmask_b32_e64 v71, 0, v71, s[12:13]
	v_exp_f32_e32 v67, v67
	v_add_f32_e32 v92, v92, v71
	v_cndmask_b32_e64 v68, 0, v68, s[6:7]
	v_add_f32_e32 v92, v92, v68
	v_cndmask_b32_e64 v69, 0, v69, s[8:9]
	v_add_f32_e32 v92, v92, v69
	v_cndmask_b32_e32 v66, 0, v66, vcc
	v_add_f32_e32 v92, v92, v66
	v_cndmask_b32_e64 v67, 0, v67, s[4:5]
	v_add_f32_e32 v92, v92, v67
	ds_bpermute_b32 v87, v87, v92
	s_load_dword s7, s[0:1], 0x98
	v_cmp_gt_u32_e32 vcc, 16, v89
	s_waitcnt lgkmcnt(0)
	s_barrier
	v_add_f32_e32 v87, v92, v87
	ds_bpermute_b32 v90, v90, v87
	s_waitcnt lgkmcnt(0)
	s_and_saveexec_b64 s[4:5], vcc
	s_cbranch_execz .LBB322_17
; %bb.16:
	v_add_f32_e32 v87, v87, v90
	v_lshlrev_b32_e32 v89, 2, v91
	ds_write2st64_b32 v89, v86, v87 offset1:1
.LBB322_17:
	s_or_b64 exec, exec, s[4:5]
	v_lshlrev_b32_e32 v87, 2, v84
	s_load_dword s6, s[0:1], 0x94
	s_waitcnt lgkmcnt(0)
	s_barrier
	ds_read2_b32 v[90:91], v87 offset1:16
	ds_read2_b32 v[92:93], v87 offset0:32 offset1:48
	ds_read2_b32 v[94:95], v87 offset0:64 offset1:80
	s_mul_i32 s7, s7, 3
	s_waitcnt lgkmcnt(2)
	v_max3_f32 v86, v90, s33, v91
	s_waitcnt lgkmcnt(1)
	v_max3_f32 v86, v86, v92, v93
	v_sub_f32_e32 v89, v90, v86
	v_sub_f32_e32 v90, v91, v86
	v_mul_f32_e32 v90, 0x3fb8aa3b, v90
	v_mul_f32_e32 v89, 0x3fb8aa3b, v89
	v_exp_f32_e32 v88, v90
	v_sub_f32_e32 v90, v92, v86
	v_exp_f32_e32 v89, v89
	v_mul_f32_e32 v90, 0x3fb8aa3b, v90
	v_exp_f32_e32 v92, v90
	ds_read2_b32 v[90:91], v87 offset0:96 offset1:112
	v_sub_f32_e32 v87, v93, v86
	v_mul_f32_e32 v87, 0x3fb8aa3b, v87
	v_exp_f32_e32 v93, v87
	s_waitcnt lgkmcnt(1)
	v_fma_f32 v87, v89, v94, 0
	v_fmac_f32_e32 v87, v88, v95
	s_waitcnt lgkmcnt(0)
	v_fmac_f32_e32 v87, v92, v90
	v_fmac_f32_e32 v87, v93, v91
	v_add_f32_e32 v90, 0x358637bd, v87
	v_div_scale_f32 v91, s[4:5], v90, v90, 1.0
	v_rcp_f32_e32 v94, v91
	s_barrier
	v_fma_f32 v95, -v91, v94, 1.0
	v_fmac_f32_e32 v94, v95, v94
	v_div_scale_f32 v95, vcc, 1.0, v90, 1.0
	v_mul_f32_e32 v1, v95, v94
	v_fma_f32 v85, -v91, v1, v95
	v_fmac_f32_e32 v1, v85, v94
	v_fma_f32 v85, -v91, v1, v95
	v_lshrrev_b32_e32 v91, 6, v0
	v_div_fmas_f32 v1, v85, v94, v1
	v_cmp_eq_u32_e32 vcc, 1, v91
	v_div_fixup_f32 v1, v1, v90, 1.0
	s_nop 0
	v_cndmask_b32_e32 v85, v89, v88, vcc
	v_cmp_eq_u32_e32 vcc, 2, v91
	v_bfe_u32 v88, v0, 4, 2
	s_nop 0
	v_cndmask_b32_e32 v85, v85, v92, vcc
	v_cmp_eq_u32_e32 vcc, 3, v91
	s_nop 1
	v_cndmask_b32_e32 v85, v85, v93, vcc
	v_mul_f32_e32 v90, v85, v1
	v_pk_mul_f32 v[78:79], v[90:91], v[78:79] op_sel_hi:[0,1]
	v_cvt_f16_f32_e32 v78, v78
	v_cvt_f16_f32_e32 v79, v79
	v_pk_mul_f32 v[80:81], v[90:91], v[80:81] op_sel_hi:[0,1]
	v_cvt_f16_f32_e32 v1, v80
	v_cvt_f16_f32_e32 v80, v81
	v_pk_mul_f32 v[74:75], v[90:91], v[74:75] op_sel_hi:[0,1]
	v_pk_mul_f32 v[76:77], v[90:91], v[76:77] op_sel_hi:[0,1]
	v_pack_b32_f16 v81, v78, v79
	v_cvt_f16_f32_e32 v76, v76
	v_cvt_f16_f32_e32 v77, v77
	;; [unrolled: 1-line block ×4, first 2 shown]
	v_pack_b32_f16 v80, v1, v80
	v_lshlrev_b32_e32 v1, 3, v88
	v_lshlrev_b32_e32 v78, 5, v84
	;; [unrolled: 1-line block ×3, first 2 shown]
	v_pk_mul_f32 v[70:71], v[90:91], v[70:71] op_sel_hi:[0,1]
	v_pk_mul_f32 v[72:73], v[90:91], v[72:73] op_sel_hi:[0,1]
	;; [unrolled: 1-line block ×4, first 2 shown]
	v_or3_b32 v74, v74, v78, v1
	v_pack_b32_f16 v76, v76, v77
	v_pack_b32_f16 v77, v79, v75
	v_cvt_f16_f32_e32 v1, v72
	v_cvt_f16_f32_e32 v72, v73
	;; [unrolled: 1-line block ×8, first 2 shown]
	v_pack_b32_f16 v66, v1, v72
	v_pack_b32_f16 v67, v70, v71
	;; [unrolled: 1-line block ×4, first 2 shown]
	v_cmp_gt_u32_e32 vcc, 3, v0
	ds_write2st64_b64 v74, v[80:81], v[76:77] offset1:1
	ds_write2st64_b64 v74, v[66:67], v[68:69] offset0:2 offset1:3
	s_and_saveexec_b64 s[4:5], vcc
	s_cbranch_execz .LBB322_19
; %bb.18:
	s_mov_b32 s41, 0
	v_mov_b32_e32 v85, 0
	v_lshl_add_u64 v[66:67], s[40:41], 0, v[84:85]
	v_mov_b32_e32 v1, s7
	v_mad_u64_u32 v[66:67], s[12:13], s2, v1, v[66:67]
	s_mul_i32 s3, s3, s7
	v_mov_b32_e32 v68, s26
	v_mov_b32_e32 v69, v85
	s_load_dwordx4 s[8:11], s[0:1], 0x58
	v_add_u32_e32 v1, s3, v67
	v_mad_u64_u32 v[66:67], s[12:13], v66, s6, v[68:69]
	v_mov_b32_e32 v68, v67
	v_mad_u64_u32 v[68:69], s[12:13], v1, s6, v[68:69]
	v_mov_b32_e32 v67, v68
	v_lshlrev_b64 v[66:67], 2, v[66:67]
	s_waitcnt lgkmcnt(0)
	v_lshl_add_u64 v[68:69], s[10:11], 0, v[66:67]
	v_lshl_add_u64 v[66:67], s[8:9], 0, v[66:67]
	global_store_dword v[68:69], v86, off
	global_store_dword v[66:67], v87, off
.LBB322_19:
	s_or_b64 exec, exec, s[4:5]
	v_lshl_or_b32 v1, v88, 9, v78
	s_waitcnt lgkmcnt(0)
	s_barrier
	ds_read_b128 v[70:73], v1
	ds_read_b128 v[66:69], v1 offset:16
	s_waitcnt vmcnt(15) lgkmcnt(1)
	v_mfma_f32_16x16x16_f16 v[76:79], v[30:31], v[70:71], 0
	v_cmp_gt_u32_e32 vcc, 64, v0
	v_cmp_ne_u32_e64 s[4:5], 3, v88
	s_mov_b32 s3, 0
	v_mfma_f32_16x16x16_f16 v[30:33], v[32:33], v[72:73], v[76:79]
	s_and_b64 s[4:5], vcc, s[4:5]
	s_waitcnt vmcnt(14) lgkmcnt(0)
	v_mfma_f32_16x16x16_f16 v[30:33], v[26:27], v[66:67], v[30:33]
	v_mfma_f32_16x16x16_f16 v[26:29], v[28:29], v[68:69], v[30:33]
	s_nop 5
	ds_read_b128 v[30:33], v1 offset:2048
	ds_read_b128 v[76:79], v1 offset:2064
	s_waitcnt vmcnt(13) lgkmcnt(1)
	v_mfma_f32_16x16x16_f16 v[26:29], v[22:23], v[30:31], v[26:29]
	v_mfma_f32_16x16x16_f16 v[22:25], v[24:25], v[32:33], v[26:29]
	s_waitcnt vmcnt(12) lgkmcnt(0)
	v_mfma_f32_16x16x16_f16 v[22:25], v[18:19], v[76:77], v[22:25]
	v_mfma_f32_16x16x16_f16 v[18:21], v[20:21], v[78:79], v[22:25]
	s_nop 5
	ds_read_b128 v[22:25], v1 offset:4096
	ds_read_b128 v[26:29], v1 offset:4112
	s_waitcnt vmcnt(11) lgkmcnt(1)
	v_mfma_f32_16x16x16_f16 v[18:21], v[14:15], v[22:23], v[18:21]
	v_mfma_f32_16x16x16_f16 v[14:17], v[16:17], v[24:25], v[18:21]
	s_waitcnt vmcnt(10) lgkmcnt(0)
	v_mfma_f32_16x16x16_f16 v[14:17], v[10:11], v[26:27], v[14:17]
	v_mfma_f32_16x16x16_f16 v[10:13], v[12:13], v[28:29], v[14:17]
	s_nop 5
	ds_read_b128 v[14:17], v1 offset:6144
	ds_read_b128 v[18:21], v1 offset:6160
	s_waitcnt lgkmcnt(0)
	s_barrier
	s_waitcnt vmcnt(9)
	v_mfma_f32_16x16x16_f16 v[10:13], v[6:7], v[14:15], v[10:13]
	v_mfma_f32_16x16x16_f16 v[6:9], v[8:9], v[16:17], v[10:13]
	s_waitcnt vmcnt(8)
	v_mfma_f32_16x16x16_f16 v[6:9], v[2:3], v[18:19], v[6:9]
	v_mfma_f32_16x16x16_f16 v[2:5], v[4:5], v[20:21], v[6:9]
	;; [unrolled: 3-line block ×3, first 2 shown]
	s_nop 3
	v_cvt_f16_f32_e32 v1, v2
	v_cvt_f16_f32_e32 v10, v3
	;; [unrolled: 1-line block ×3, first 2 shown]
	s_waitcnt vmcnt(6)
	v_mfma_f32_16x16x16_f16 v[6:9], v[38:39], v[66:67], v[6:9]
	v_cvt_f16_f32_e32 v12, v5
	v_mfma_f32_16x16x16_f16 v[6:9], v[40:41], v[68:69], v[6:9]
	s_waitcnt vmcnt(5)
	v_mfma_f32_16x16x16_f16 v[6:9], v[42:43], v[30:31], v[6:9]
	v_mfma_f32_16x16x16_f16 v[6:9], v[44:45], v[32:33], v[6:9]
	s_waitcnt vmcnt(4)
	v_mfma_f32_16x16x16_f16 v[6:9], v[34:35], v[76:77], v[6:9]
	;; [unrolled: 3-line block ×6, first 2 shown]
	v_mfma_f32_16x16x16_f16 v[2:5], v[60:61], v[20:21], v[6:9]
	s_nop 6
	v_cvt_f16_f32_e32 v6, v2
	v_cvt_f16_f32_e32 v7, v3
	;; [unrolled: 1-line block ×4, first 2 shown]
	v_pack_b32_f16 v2, v1, v10
	v_pack_b32_f16 v3, v11, v12
	;; [unrolled: 1-line block ×4, first 2 shown]
	ds_write2st64_b64 v74, v[2:3], v[4:5] offset1:1
	s_waitcnt lgkmcnt(0)
	s_barrier
	s_and_saveexec_b64 s[8:9], s[4:5]
	s_cbranch_execz .LBB322_21
; %bb.20:
	scratch_load_dword v4, off, off         ; 4-byte Folded Reload
	s_load_dwordx2 s[0:1], s[0:1], 0x68
	s_mul_i32 s2, s7, s2
	s_lshl_b32 s6, s6, 7
	v_lshlrev_b32_e32 v3, 6, v84
	s_mul_hi_u32 s5, s2, s6
	s_mul_i32 s4, s2, s6
	v_lshlrev_b32_e32 v2, 4, v0
	v_lshl_or_b32 v0, v0, 10, v3
	s_lshl_b64 s[4:5], s[4:5], 1
	v_lshlrev_b32_e32 v1, 5, v88
	v_and_b32_e32 v2, 16, v2
	v_and_b32_e32 v0, 0x1a00, v0
	s_waitcnt lgkmcnt(0)
	s_add_u32 s4, s0, s4
	v_or3_b32 v0, v0, v1, v2
	s_addc_u32 s5, s1, s5
	s_lshl_b32 s2, s26, 7
	ds_read_b128 v[0:3], v0
	s_lshl_b64 s[0:1], s[2:3], 1
	s_add_u32 s0, s4, s0
	s_addc_u32 s1, s5, s1
	s_waitcnt vmcnt(0)
	v_mad_u64_u32 v[4:5], s[2:3], s6, v4, 0
	v_lshl_add_u64 v[4:5], v[4:5], 1, s[0:1]
	v_lshl_add_u64 v[4:5], v[82:83], 1, v[4:5]
	s_waitcnt lgkmcnt(0)
	global_store_dwordx4 v[4:5], v[0:3], off
.LBB322_21:
	s_endpgm
	.section	.rodata,"a",@progbits
	.p2align	6, 0x0
	.amdhsa_kernel _Z39paged_attention_ll4mi_QKV_mfma16_kernelIDF16_DF16_LN4vllm18Fp8KVCacheDataTypeE0EhLi32ELi128ELi256ELb1ELi3EEvPKT_PKT0_S7_ifPKiS9_S9_iPKfiiiPfSC_PS2_PT2_iSB_SB_
		.amdhsa_group_segment_fixed_size 8192
		.amdhsa_private_segment_fixed_size 8
		.amdhsa_kernarg_size 400
		.amdhsa_user_sgpr_count 2
		.amdhsa_user_sgpr_dispatch_ptr 0
		.amdhsa_user_sgpr_queue_ptr 0
		.amdhsa_user_sgpr_kernarg_segment_ptr 1
		.amdhsa_user_sgpr_dispatch_id 0
		.amdhsa_user_sgpr_kernarg_preload_length 0
		.amdhsa_user_sgpr_kernarg_preload_offset 0
		.amdhsa_user_sgpr_private_segment_size 0
		.amdhsa_uses_dynamic_stack 0
		.amdhsa_enable_private_segment 1
		.amdhsa_system_sgpr_workgroup_id_x 1
		.amdhsa_system_sgpr_workgroup_id_y 1
		.amdhsa_system_sgpr_workgroup_id_z 1
		.amdhsa_system_sgpr_workgroup_info 0
		.amdhsa_system_vgpr_workitem_id 0
		.amdhsa_next_free_vgpr 96
		.amdhsa_next_free_sgpr 42
		.amdhsa_accum_offset 96
		.amdhsa_reserve_vcc 1
		.amdhsa_float_round_mode_32 0
		.amdhsa_float_round_mode_16_64 0
		.amdhsa_float_denorm_mode_32 3
		.amdhsa_float_denorm_mode_16_64 3
		.amdhsa_dx10_clamp 1
		.amdhsa_ieee_mode 1
		.amdhsa_fp16_overflow 0
		.amdhsa_tg_split 0
		.amdhsa_exception_fp_ieee_invalid_op 0
		.amdhsa_exception_fp_denorm_src 0
		.amdhsa_exception_fp_ieee_div_zero 0
		.amdhsa_exception_fp_ieee_overflow 0
		.amdhsa_exception_fp_ieee_underflow 0
		.amdhsa_exception_fp_ieee_inexact 0
		.amdhsa_exception_int_div_zero 0
	.end_amdhsa_kernel
	.section	.text._Z39paged_attention_ll4mi_QKV_mfma16_kernelIDF16_DF16_LN4vllm18Fp8KVCacheDataTypeE0EhLi32ELi128ELi256ELb1ELi3EEvPKT_PKT0_S7_ifPKiS9_S9_iPKfiiiPfSC_PS2_PT2_iSB_SB_,"axG",@progbits,_Z39paged_attention_ll4mi_QKV_mfma16_kernelIDF16_DF16_LN4vllm18Fp8KVCacheDataTypeE0EhLi32ELi128ELi256ELb1ELi3EEvPKT_PKT0_S7_ifPKiS9_S9_iPKfiiiPfSC_PS2_PT2_iSB_SB_,comdat
.Lfunc_end322:
	.size	_Z39paged_attention_ll4mi_QKV_mfma16_kernelIDF16_DF16_LN4vllm18Fp8KVCacheDataTypeE0EhLi32ELi128ELi256ELb1ELi3EEvPKT_PKT0_S7_ifPKiS9_S9_iPKfiiiPfSC_PS2_PT2_iSB_SB_, .Lfunc_end322-_Z39paged_attention_ll4mi_QKV_mfma16_kernelIDF16_DF16_LN4vllm18Fp8KVCacheDataTypeE0EhLi32ELi128ELi256ELb1ELi3EEvPKT_PKT0_S7_ifPKiS9_S9_iPKfiiiPfSC_PS2_PT2_iSB_SB_
                                        ; -- End function
	.section	.AMDGPU.csdata,"",@progbits
; Kernel info:
; codeLenInByte = 4860
; NumSgprs: 48
; NumVgprs: 96
; NumAgprs: 0
; TotalNumVgprs: 96
; ScratchSize: 8
; MemoryBound: 0
; FloatMode: 240
; IeeeMode: 1
; LDSByteSize: 8192 bytes/workgroup (compile time only)
; SGPRBlocks: 5
; VGPRBlocks: 11
; NumSGPRsForWavesPerEU: 48
; NumVGPRsForWavesPerEU: 96
; AccumOffset: 96
; Occupancy: 5
; WaveLimiterHint : 1
; COMPUTE_PGM_RSRC2:SCRATCH_EN: 1
; COMPUTE_PGM_RSRC2:USER_SGPR: 2
; COMPUTE_PGM_RSRC2:TRAP_HANDLER: 0
; COMPUTE_PGM_RSRC2:TGID_X_EN: 1
; COMPUTE_PGM_RSRC2:TGID_Y_EN: 1
; COMPUTE_PGM_RSRC2:TGID_Z_EN: 1
; COMPUTE_PGM_RSRC2:TIDIG_COMP_CNT: 0
; COMPUTE_PGM_RSRC3_GFX90A:ACCUM_OFFSET: 23
; COMPUTE_PGM_RSRC3_GFX90A:TG_SPLIT: 0
	.section	.text._Z39paged_attention_ll4mi_QKV_mfma16_kernelIDF16_DF16_LN4vllm18Fp8KVCacheDataTypeE0EhLi32ELi128ELi256ELb1ELi4EEvPKT_PKT0_S7_ifPKiS9_S9_iPKfiiiPfSC_PS2_PT2_iSB_SB_,"axG",@progbits,_Z39paged_attention_ll4mi_QKV_mfma16_kernelIDF16_DF16_LN4vllm18Fp8KVCacheDataTypeE0EhLi32ELi128ELi256ELb1ELi4EEvPKT_PKT0_S7_ifPKiS9_S9_iPKfiiiPfSC_PS2_PT2_iSB_SB_,comdat
	.protected	_Z39paged_attention_ll4mi_QKV_mfma16_kernelIDF16_DF16_LN4vllm18Fp8KVCacheDataTypeE0EhLi32ELi128ELi256ELb1ELi4EEvPKT_PKT0_S7_ifPKiS9_S9_iPKfiiiPfSC_PS2_PT2_iSB_SB_ ; -- Begin function _Z39paged_attention_ll4mi_QKV_mfma16_kernelIDF16_DF16_LN4vllm18Fp8KVCacheDataTypeE0EhLi32ELi128ELi256ELb1ELi4EEvPKT_PKT0_S7_ifPKiS9_S9_iPKfiiiPfSC_PS2_PT2_iSB_SB_
	.globl	_Z39paged_attention_ll4mi_QKV_mfma16_kernelIDF16_DF16_LN4vllm18Fp8KVCacheDataTypeE0EhLi32ELi128ELi256ELb1ELi4EEvPKT_PKT0_S7_ifPKiS9_S9_iPKfiiiPfSC_PS2_PT2_iSB_SB_
	.p2align	8
	.type	_Z39paged_attention_ll4mi_QKV_mfma16_kernelIDF16_DF16_LN4vllm18Fp8KVCacheDataTypeE0EhLi32ELi128ELi256ELb1ELi4EEvPKT_PKT0_S7_ifPKiS9_S9_iPKfiiiPfSC_PS2_PT2_iSB_SB_,@function
_Z39paged_attention_ll4mi_QKV_mfma16_kernelIDF16_DF16_LN4vllm18Fp8KVCacheDataTypeE0EhLi32ELi128ELi256ELb1ELi4EEvPKT_PKT0_S7_ifPKiS9_S9_iPKfiiiPfSC_PS2_PT2_iSB_SB_: ; @_Z39paged_attention_ll4mi_QKV_mfma16_kernelIDF16_DF16_LN4vllm18Fp8KVCacheDataTypeE0EhLi32ELi128ELi256ELb1ELi4EEvPKT_PKT0_S7_ifPKiS9_S9_iPKfiiiPfSC_PS2_PT2_iSB_SB_
; %bb.0:
	s_load_dwordx2 s[8:9], s[0:1], 0x30
	s_mov_b32 s20, s3
	s_mov_b64 s[6:7], 0
	s_waitcnt lgkmcnt(0)
	s_cmp_lg_u64 s[8:9], 0
	s_cselect_b64 s[10:11], -1, 0
	s_and_b64 vcc, exec, s[10:11]
	s_cbranch_vccz .LBB323_7
; %bb.1:
	s_add_i32 s12, s2, 1
	s_mov_b32 s13, 0
	s_lshl_b64 s[14:15], s[12:13], 2
	s_add_u32 s14, s8, s14
	s_mov_b32 s3, s13
	s_addc_u32 s15, s9, s15
	s_lshl_b64 s[12:13], s[2:3], 2
	s_add_u32 s12, s8, s12
	s_addc_u32 s13, s9, s13
	s_load_dword s5, s[14:15], 0x0
	s_load_dword s16, s[12:13], 0x0
	s_waitcnt lgkmcnt(0)
	s_sub_i32 s5, s5, s16
	s_cmp_eq_u32 s5, 1
	s_cselect_b64 s[12:13], -1, 0
	s_andn2_b64 vcc, exec, s[6:7]
	s_cbranch_vccnz .LBB323_3
.LBB323_2:
	s_mov_b32 s3, 0
	s_mov_b64 s[12:13], -1
.LBB323_3:
	s_andn2_b64 vcc, exec, s[12:13]
	s_cbranch_vccnz .LBB323_21
; %bb.4:
	s_load_dwordx2 s[6:7], s[0:1], 0x28
	s_lshl_b64 s[12:13], s[2:3], 2
	s_waitcnt lgkmcnt(0)
	s_add_u32 s6, s6, s12
	s_addc_u32 s7, s7, s13
	s_load_dword s33, s[6:7], 0x0
	s_lshl_b32 s18, s20, 8
	s_waitcnt lgkmcnt(0)
	s_cmp_ge_i32 s18, s33
	s_cbranch_scc1 .LBB323_21
; %bb.5:
	s_load_dwordx2 s[6:7], s[0:1], 0x20
	s_load_dword s5, s[0:1], 0x38
	s_add_i32 s14, s33, 31
	s_ashr_i32 s15, s14, 31
	v_and_b32_e32 v1, 0xcf, v0
	s_lshr_b32 s15, s15, 27
	v_add_u32_e32 v1, s18, v1
	s_add_i32 s14, s14, s15
	v_ashrrev_i32_e32 v2, 31, v1
	s_ashr_i32 s19, s14, 5
	v_lshrrev_b32_e32 v4, 27, v2
	s_add_i32 s19, s19, -1
	s_waitcnt lgkmcnt(0)
	s_mul_i32 s14, s2, s5
	s_mov_b32 s15, 0
	v_add_u32_e32 v2, v1, v4
	s_lshl_b64 s[14:15], s[14:15], 2
	v_ashrrev_i32_e32 v2, 5, v2
	v_mov_b32_e32 v5, s19
	v_cmp_gt_i32_e32 vcc, s33, v1
	s_add_u32 s6, s6, s14
	s_addc_u32 s7, s7, s15
	v_cndmask_b32_e32 v2, v5, v2, vcc
	v_ashrrev_i32_e32 v3, 31, v2
	v_lshl_add_u64 v[6:7], v[2:3], 2, s[6:7]
	v_or_b32_e32 v2, 16, v1
	v_add_u32_e32 v3, v2, v4
	v_ashrrev_i32_e32 v3, 5, v3
	v_cmp_gt_i32_e32 vcc, s33, v2
	s_nop 1
	v_cndmask_b32_e32 v2, v5, v3, vcc
	v_ashrrev_i32_e32 v3, 31, v2
	v_lshl_add_u64 v[8:9], v[2:3], 2, s[6:7]
	v_or_b32_e32 v2, 32, v1
	v_add_u32_e32 v3, v2, v4
	v_ashrrev_i32_e32 v3, 5, v3
	v_cmp_gt_i32_e32 vcc, s33, v2
	v_or_b32_e32 v1, 48, v1
	s_nop 0
	v_cndmask_b32_e32 v2, v5, v3, vcc
	v_ashrrev_i32_e32 v3, 31, v2
	v_lshl_add_u64 v[10:11], v[2:3], 2, s[6:7]
	v_add_u32_e32 v2, v1, v4
	v_ashrrev_i32_e32 v2, 5, v2
	v_cmp_gt_i32_e32 vcc, s33, v1
	s_nop 1
	v_cndmask_b32_e32 v2, v5, v2, vcc
	v_ashrrev_i32_e32 v3, 31, v2
	v_lshl_add_u64 v[12:13], v[2:3], 2, s[6:7]
	global_load_dword v5, v[6:7], off
	global_load_dword v4, v[8:9], off
	;; [unrolled: 1-line block ×4, first 2 shown]
	s_andn2_b64 vcc, exec, s[10:11]
	s_cbranch_vccnz .LBB323_8
; %bb.6:
	s_add_u32 s8, s8, s12
	s_addc_u32 s9, s9, s13
	s_load_dword s5, s[8:9], 0x0
	s_branch .LBB323_9
.LBB323_7:
	s_mov_b64 s[12:13], 0
	s_branch .LBB323_2
.LBB323_8:
	s_mov_b32 s5, s2
.LBB323_9:
	s_load_dwordx2 s[14:15], s[0:1], 0x8
	s_load_dwordx4 s[8:11], s[0:1], 0x48
	v_and_b32_e32 v1, 15, v0
	v_bfe_u32 v90, v0, 4, 2
	s_lshl_b32 s21, s4, 2
	v_lshlrev_b32_e32 v82, 3, v1
	v_cmp_gt_u32_e64 s[22:23], 64, v0
	v_cmp_lt_u32_e32 vcc, 63, v0
	s_and_saveexec_b64 s[12:13], vcc
	s_xor_b64 s[12:13], exec, s[12:13]
; %bb.10:
	v_mov_b32_e32 v83, 0
; %bb.11:
	s_or_saveexec_b64 s[16:17], s[12:13]
	s_load_dwordx2 s[12:13], s[0:1], 0x10
	v_or_b32_e32 v6, s21, v90
	v_lshrrev_b32_e32 v91, 6, v0
	scratch_store_dword off, v6, off        ; 4-byte Folded Spill
	v_and_b32_e32 v14, 3, v0
	v_lshlrev_b32_e32 v6, 5, v90
	scratch_store_dword off, v6, off offset:4 ; 4-byte Folded Spill
	s_xor_b64 exec, exec, s[16:17]
	s_cbranch_execz .LBB323_13
; %bb.12:
	scratch_load_dword v6, off, off         ; 4-byte Folded Reload
	s_load_dwordx2 s[24:25], s[0:1], 0x0
	s_waitcnt lgkmcnt(0)
	s_ashr_i32 s11, s8, 31
	s_mul_hi_u32 s26, s5, s8
	s_mul_i32 s11, s5, s11
	s_add_i32 s27, s26, s11
	s_mul_i32 s26, s5, s8
	s_lshl_b64 s[26:27], s[26:27], 1
	s_add_u32 s24, s24, s26
	s_addc_u32 s25, s25, s27
	v_mov_b32_e32 v83, 0
	v_lshlrev_b32_e32 v8, 1, v82
	v_mov_b32_e32 v9, v83
	v_lshlrev_b32_e32 v10, 5, v90
	v_lshlrev_b32_e32 v12, 9, v1
	v_lshl_or_b32 v10, v91, 7, v10
	v_lshlrev_b32_e32 v11, 9, v14
	v_and_b32_e32 v12, 0x1800, v12
	v_or3_b32 v10, v12, v11, v10
	s_waitcnt vmcnt(0)
	v_lshlrev_b32_e32 v6, 7, v6
	v_ashrrev_i32_e32 v7, 31, v6
	v_lshl_add_u64 v[6:7], v[6:7], 1, s[24:25]
	v_lshl_add_u64 v[6:7], v[6:7], 0, v[8:9]
	global_load_dwordx4 v[6:9], v[6:7], off
	s_waitcnt vmcnt(0)
	ds_write_b128 v10, v[6:9]
.LBB323_13:
	s_or_b64 exec, exec, s[16:17]
	s_waitcnt lgkmcnt(0)
	s_mul_i32 s4, s4, s10
	s_mov_b32 s5, 0
	s_lshl_b64 s[4:5], s[4:5], 1
	s_add_u32 s10, s14, s4
	s_addc_u32 s11, s15, s5
	s_waitcnt vmcnt(5)
	v_mad_i64_i32 v[6:7], s[14:15], v5, s9, 0
	v_lshl_add_u64 v[6:7], v[6:7], 1, s[10:11]
	v_lshlrev_b64 v[8:9], 1, v[82:83]
	v_lshlrev_b32_e32 v84, 9, v90
	v_lshl_add_u64 v[6:7], v[6:7], 0, v[8:9]
	v_mov_b32_e32 v85, 0
	v_lshl_add_u64 v[10:11], v[6:7], 0, v[84:85]
	v_or_b32_e32 v16, 0x1000, v84
	v_mov_b32_e32 v17, v85
	v_or_b32_e32 v34, 0x1800, v84
	v_mov_b32_e32 v35, v85
	s_barrier
	global_load_dwordx4 v[74:77], v[10:11], off
	global_load_dwordx4 v[66:69], v[10:11], off offset:2048
	v_lshl_add_u64 v[10:11], v[6:7], 0, v[16:17]
	v_lshl_add_u64 v[6:7], v[6:7], 0, v[34:35]
	global_load_dwordx4 v[78:81], v[10:11], off
	global_load_dwordx4 v[70:73], v[6:7], off
	s_waitcnt vmcnt(8)
	v_mad_i64_i32 v[4:5], s[14:15], v4, s9, 0
	v_mov_b32_e32 v6, 0x100
	v_lshl_add_u64 v[4:5], v[4:5], 1, s[10:11]
	v_lshl_or_b32 v6, v1, 4, v6
	v_mov_b32_e32 v7, v85
	v_lshl_add_u64 v[4:5], v[4:5], 0, v[6:7]
	v_lshl_add_u64 v[10:11], v[4:5], 0, v[84:85]
	global_load_dwordx4 v[62:65], v[10:11], off
	global_load_dwordx4 v[58:61], v[10:11], off offset:2048
	v_lshl_add_u64 v[10:11], v[4:5], 0, v[16:17]
	v_lshl_add_u64 v[4:5], v[4:5], 0, v[34:35]
	global_load_dwordx4 v[54:57], v[10:11], off
	global_load_dwordx4 v[30:33], v[4:5], off
	s_waitcnt vmcnt(11)
	v_mad_i64_i32 v[4:5], s[14:15], v3, s9, 0
	v_lshl_add_u64 v[4:5], v[4:5], 1, s[10:11]
	s_waitcnt vmcnt(10)
	v_mad_i64_i32 v[2:3], s[14:15], v2, s9, 0
	v_lshl_add_u64 v[4:5], v[4:5], 0, v[8:9]
	v_lshl_add_u64 v[2:3], v[2:3], 1, s[10:11]
	v_lshl_add_u64 v[8:9], v[4:5], 0, v[84:85]
	v_lshl_add_u64 v[36:37], v[2:3], 0, v[6:7]
	global_load_dwordx4 v[26:29], v[8:9], off
	global_load_dwordx4 v[22:25], v[8:9], off offset:2048
	v_lshl_add_u64 v[8:9], v[4:5], 0, v[16:17]
	v_lshl_add_u64 v[4:5], v[4:5], 0, v[34:35]
	;; [unrolled: 1-line block ×5, first 2 shown]
	global_load_dwordx4 v[18:21], v[8:9], off
	global_load_dwordx4 v[10:13], v[4:5], off
	s_nop 0
	global_load_dwordx4 v[6:9], v[2:3], off
	s_nop 0
	global_load_dwordx4 v[2:5], v[2:3], off offset:2048
	s_nop 0
	global_load_dwordx4 v[42:45], v[16:17], off
	s_nop 0
	global_load_dwordx4 v[34:37], v[34:35], off
	v_lshl_or_b32 v38, v14, 5, v84
	ds_read_b128 v[14:17], v38
	ds_read_b128 v[50:53], v38 offset:2048
	ds_read_b128 v[46:49], v38 offset:4096
	ds_read_b128 v[38:41], v38 offset:6144
	v_and_b32_e32 v94, 63, v0
	v_cmp_gt_u32_e32 vcc, 4, v1
	v_mov_b32_e32 v92, 0
	s_and_saveexec_b64 s[10:11], vcc
	s_cbranch_execz .LBB323_15
; %bb.14:
	s_load_dwordx2 s[14:15], s[0:1], 0x40
	v_or_b32_e32 v86, s21, v1
	v_ashrrev_i32_e32 v87, 31, v86
	s_waitcnt lgkmcnt(0)
	v_lshl_add_u64 v[86:87], v[86:87], 2, s[14:15]
	global_load_dword v92, v[86:87], off
.LBB323_15:
	s_or_b64 exec, exec, s[10:11]
	s_waitcnt vmcnt(15) lgkmcnt(3)
	v_mfma_f32_16x16x16_f16 v[86:89], v[74:75], v[14:15], 0
	s_ashr_i32 s8, s18, 31
	s_lshr_b32 s8, s8, 27
	s_add_u32 s4, s12, s4
	v_mfma_f32_16x16x16_f16 v[74:77], v[76:77], v[16:17], v[86:89]
	s_addc_u32 s5, s13, s5
	s_mov_b32 s42, 0xff7fffff
	s_waitcnt vmcnt(14) lgkmcnt(2)
	v_mfma_f32_16x16x16_f16 v[74:77], v[66:67], v[50:51], v[74:77]
	v_lshl_or_b32 v86, v91, 4, v1
	v_mfma_f32_16x16x16_f16 v[66:69], v[68:69], v[52:53], v[74:77]
	s_waitcnt vmcnt(13) lgkmcnt(1)
	v_mfma_f32_16x16x16_f16 v[66:69], v[78:79], v[46:47], v[66:69]
	s_nop 2
	v_and_or_b32 v76, v0, 48, s18
	v_mov_b32_e32 v77, s19
	v_cmp_gt_i32_e32 vcc, s33, v76
	v_mfma_f32_16x16x16_f16 v[66:69], v[80:81], v[48:49], v[66:69]
	s_waitcnt vmcnt(12) lgkmcnt(0)
	v_mfma_f32_16x16x16_f16 v[66:69], v[70:71], v[38:39], v[66:69]
	v_add_u32_e32 v70, s8, v76
	v_ashrrev_i32_e32 v74, 5, v70
	v_cndmask_b32_e32 v74, v77, v74, vcc
	v_mfma_f32_16x16x16_f16 v[66:69], v[72:73], v[40:41], v[66:69]
	v_ashrrev_i32_e32 v75, 31, v74
	s_waitcnt vmcnt(11)
	v_mfma_f32_16x16x16_f16 v[70:73], v[62:63], v[14:15], 0
	v_mfma_f32_16x16x16_f16 v[62:65], v[64:65], v[16:17], v[70:73]
	s_waitcnt vmcnt(10)
	v_mfma_f32_16x16x16_f16 v[62:65], v[58:59], v[50:51], v[62:65]
	s_nop 3
	v_or_b32_e32 v72, 64, v76
	v_add_u32_e32 v73, s8, v72
	v_ashrrev_i32_e32 v58, 5, v73
	v_cmp_gt_i32_e32 vcc, s33, v72
	v_lshl_add_u64 v[70:71], v[74:75], 2, s[6:7]
	global_load_dword v70, v[70:71], off
	v_cndmask_b32_e32 v72, v77, v58, vcc
	v_mfma_f32_16x16x16_f16 v[58:61], v[60:61], v[52:53], v[62:65]
	v_ashrrev_i32_e32 v73, 31, v72
	s_waitcnt vmcnt(10)
	v_mfma_f32_16x16x16_f16 v[58:61], v[54:55], v[46:47], v[58:61]
	v_lshl_add_u64 v[62:63], v[72:73], 2, s[6:7]
	global_load_dword v62, v[62:63], off
	v_or_b32_e32 v63, 0x80, v76
	v_add_u32_e32 v64, s8, v63
	v_mfma_f32_16x16x16_f16 v[54:57], v[56:57], v[48:49], v[58:61]
	v_cmp_gt_i32_e32 vcc, s33, v63
	s_nop 1
	v_ashrrev_i32_e32 v58, 5, v64
	v_cndmask_b32_e32 v58, v77, v58, vcc
	v_ashrrev_i32_e32 v59, 31, v58
	s_waitcnt vmcnt(10)
	v_mfma_f32_16x16x16_f16 v[54:57], v[30:31], v[38:39], v[54:57]
	v_lshl_add_u64 v[30:31], v[58:59], 2, s[6:7]
	global_load_dword v60, v[30:31], off
	v_or_b32_e32 v58, 0xc0, v76
	v_add_u32_e32 v30, s8, v58
	v_ashrrev_i32_e32 v59, 5, v30
	v_cmp_gt_i32_e32 vcc, s33, v58
	v_mfma_f32_16x16x16_f16 v[54:57], v[32:33], v[40:41], v[54:57]
	s_waitcnt vmcnt(10)
	v_mfma_f32_16x16x16_f16 v[30:33], v[26:27], v[14:15], 0
	v_cndmask_b32_e32 v26, v77, v59, vcc
	v_ashrrev_i32_e32 v27, 31, v26
	v_lshl_add_u64 v[58:59], v[26:27], 2, s[6:7]
	global_load_dword v63, v[58:59], off
	v_mfma_f32_16x16x16_f16 v[26:29], v[28:29], v[16:17], v[30:33]
	s_load_dword s6, s[0:1], 0x1c
	s_waitcnt vmcnt(10)
	v_mfma_f32_16x16x16_f16 v[26:29], v[22:23], v[50:51], v[26:29]
	v_and_b32_e32 v30, 16, v0
	v_lshlrev_b32_e32 v84, 1, v30
	v_lshl_add_u64 v[64:65], s[4:5], 0, v[84:85]
	v_mfma_f32_16x16x16_f16 v[22:25], v[24:25], v[52:53], v[26:29]
	v_lshlrev_b32_e32 v84, 6, v86
	v_lshl_add_u64 v[74:75], v[64:65], 0, v[84:85]
	v_or_b32_e32 v84, 0x1000, v84
	s_waitcnt vmcnt(9)
	v_mfma_f32_16x16x16_f16 v[22:25], v[18:19], v[46:47], v[22:25]
	v_lshl_add_u64 v[84:85], v[64:65], 0, v[84:85]
	s_waitcnt lgkmcnt(0)
	v_pk_mul_f32 v[64:65], s[6:7], v[66:67] op_sel_hi:[0,1]
	v_pk_mul_f32 v[66:67], s[6:7], v[54:55] op_sel_hi:[0,1]
	v_mfma_f32_16x16x16_f16 v[18:21], v[20:21], v[48:49], v[22:25]
	s_waitcnt vmcnt(8)
	v_mfma_f32_16x16x16_f16 v[18:21], v[10:11], v[38:39], v[18:21]
	s_waitcnt vmcnt(3)
	v_mad_i64_i32 v[22:23], s[4:5], v70, s9, 0
	v_lshlrev_b64 v[76:77], 1, v[22:23]
	v_lshl_add_u64 v[22:23], v[74:75], 0, v[76:77]
	global_load_dwordx4 v[30:33], v[22:23], off
	global_load_dwordx4 v[26:29], v[22:23], off offset:16
	v_mfma_f32_16x16x16_f16 v[70:73], v[12:13], v[40:41], v[18:21]
	s_waitcnt vmcnt(4)
	v_mad_i64_i32 v[10:11], s[4:5], v62, s9, 0
	v_lshlrev_b64 v[58:59], 1, v[10:11]
	v_lshl_add_u64 v[10:11], v[74:75], 0, v[58:59]
	global_load_dwordx4 v[22:25], v[10:11], off
	global_load_dwordx4 v[18:21], v[10:11], off offset:16
	v_mfma_f32_16x16x16_f16 v[10:13], v[6:7], v[14:15], 0
	v_pk_mul_f32 v[78:79], s[6:7], v[72:73] op_sel_hi:[0,1]
	v_pk_mul_f32 v[70:71], s[6:7], v[70:71] op_sel_hi:[0,1]
	s_waitcnt vmcnt(5)
	v_mad_i64_i32 v[6:7], s[4:5], v60, s9, 0
	v_lshlrev_b64 v[60:61], 1, v[6:7]
	v_mfma_f32_16x16x16_f16 v[6:9], v[8:9], v[16:17], v[10:13]
	v_mfma_f32_16x16x16_f16 v[6:9], v[2:3], v[50:51], v[6:9]
	s_nop 1
	v_lshl_add_u64 v[10:11], v[74:75], 0, v[60:61]
	global_load_dwordx4 v[14:17], v[10:11], off
	s_nop 0
	global_load_dwordx4 v[10:13], v[10:11], off offset:16
	s_waitcnt vmcnt(6)
	v_mad_i64_i32 v[2:3], s[4:5], v63, s9, 0
	v_mfma_f32_16x16x16_f16 v[50:53], v[4:5], v[52:53], v[6:9]
	v_lshlrev_b64 v[62:63], 1, v[2:3]
	v_lshl_add_u64 v[2:3], v[74:75], 0, v[62:63]
	v_pk_mul_f32 v[74:75], s[6:7], v[56:57] op_sel_hi:[0,1]
	v_mfma_f32_16x16x16_f16 v[50:53], v[42:43], v[46:47], v[50:53]
	v_lshl_add_u64 v[42:43], v[84:85], 0, v[76:77]
	v_pk_mul_f32 v[76:77], s[6:7], v[68:69] op_sel_hi:[0,1]
	global_load_dwordx4 v[6:9], v[2:3], off
	s_nop 0
	global_load_dwordx4 v[2:5], v[2:3], off offset:16
	v_mfma_f32_16x16x16_f16 v[44:47], v[44:45], v[48:49], v[50:53]
	v_mfma_f32_16x16x16_f16 v[44:47], v[34:35], v[38:39], v[44:47]
	;; [unrolled: 1-line block ×3, first 2 shown]
	s_nop 6
	v_pk_mul_f32 v[72:73], s[6:7], v[34:35] op_sel_hi:[0,1]
	v_and_b32_e32 v34, 0xc0, v0
	v_add_u32_e32 v34, s18, v34
	v_lshl_or_b32 v34, v90, 2, v34
	v_or_b32_e32 v35, 1, v34
	v_pk_mul_f32 v[80:81], s[6:7], v[36:37] op_sel_hi:[0,1]
	v_subrev_u32_e32 v36, s33, v35
	v_add_u32_e32 v38, 1, v36
	v_add_u32_e32 v39, 2, v36
	v_cvt_f32_i32_e32 v37, v36
	v_cvt_f32_i32_e32 v38, v38
	v_cvt_f32_i32_e32 v39, v39
	v_add_u32_e32 v40, 3, v36
	v_fma_f32 v64, v92, v37, v64
	v_fmac_f32_e32 v65, v92, v38
	v_fma_f32 v76, v92, v39, v76
	v_add_u32_e32 v37, 16, v36
	v_add_u32_e32 v38, 17, v36
	;; [unrolled: 1-line block ×3, first 2 shown]
	v_cvt_f32_i32_e32 v40, v40
	v_cvt_f32_i32_e32 v37, v37
	;; [unrolled: 1-line block ×4, first 2 shown]
	v_fmac_f32_e32 v77, v92, v40
	v_add_u32_e32 v40, 19, v36
	v_fma_f32 v66, v92, v37, v66
	v_fmac_f32_e32 v67, v92, v38
	v_fma_f32 v74, v92, v39, v74
	v_add_u32_e32 v37, 32, v36
	v_add_u32_e32 v38, 33, v36
	;; [unrolled: 1-line block ×3, first 2 shown]
	v_cvt_f32_i32_e32 v40, v40
	v_cvt_f32_i32_e32 v37, v37
	;; [unrolled: 1-line block ×4, first 2 shown]
	v_fmac_f32_e32 v75, v92, v40
	v_add_u32_e32 v40, 35, v36
	v_fma_f32 v70, v92, v37, v70
	v_fmac_f32_e32 v71, v92, v38
	v_fma_f32 v78, v92, v39, v78
	v_add_u32_e32 v37, 48, v36
	v_add_u32_e32 v38, 49, v36
	;; [unrolled: 1-line block ×4, first 2 shown]
	v_cvt_f32_i32_e32 v36, v36
	v_cvt_f32_i32_e32 v37, v37
	;; [unrolled: 1-line block ×3, first 2 shown]
	v_cmp_gt_i32_e64 s[4:5], s33, v34
	v_fmac_f32_e32 v81, v92, v36
	v_mov_b32_e32 v36, 0xff7fffff
	v_cmp_gt_i32_e64 s[24:25], s33, v35
	v_fma_f32 v72, v92, v37, v72
	v_cndmask_b32_e64 v37, v36, v64, s[4:5]
	v_cndmask_b32_e64 v35, v36, v65, s[24:25]
	v_fmac_f32_e32 v73, v92, v38
	v_max3_f32 v35, v37, s42, v35
	v_or_b32_e32 v37, 2, v34
	v_or_b32_e32 v38, 3, v34
	v_cmp_gt_i32_e64 s[26:27], s33, v37
	v_cmp_gt_i32_e64 s[28:29], s33, v38
	v_cvt_f32_i32_e32 v40, v40
	v_cndmask_b32_e64 v37, v36, v76, s[26:27]
	v_cndmask_b32_e64 v38, v36, v77, s[28:29]
	v_max3_f32 v35, v35, v37, v38
	v_or_b32_e32 v37, 16, v34
	v_or_b32_e32 v38, 17, v34
	v_cmp_gt_i32_e64 s[30:31], s33, v37
	v_cmp_gt_i32_e64 s[34:35], s33, v38
	v_fmac_f32_e32 v79, v92, v40
	v_cndmask_b32_e64 v37, v36, v66, s[30:31]
	v_cndmask_b32_e64 v38, v36, v67, s[34:35]
	v_max3_f32 v35, v35, v37, v38
	v_or_b32_e32 v37, 18, v34
	v_or_b32_e32 v38, 19, v34
	v_cmp_gt_i32_e64 s[36:37], s33, v37
	v_cmp_gt_i32_e64 s[38:39], s33, v38
	v_cvt_f32_i32_e32 v39, v39
	v_cndmask_b32_e64 v37, v36, v74, s[36:37]
	v_cndmask_b32_e64 v38, v36, v75, s[38:39]
	v_max3_f32 v35, v35, v37, v38
	v_or_b32_e32 v37, 32, v34
	v_or_b32_e32 v38, 33, v34
	v_cmp_gt_i32_e64 s[16:17], s33, v37
	v_cmp_gt_i32_e64 s[18:19], s33, v38
	v_fma_f32 v80, v92, v39, v80
	v_cndmask_b32_e64 v37, v36, v70, s[16:17]
	v_cndmask_b32_e64 v38, v36, v71, s[18:19]
	v_max3_f32 v35, v35, v37, v38
	v_or_b32_e32 v37, 34, v34
	v_or_b32_e32 v38, 35, v34
	v_cmp_gt_i32_e64 s[12:13], s33, v37
	v_cmp_gt_i32_e64 s[14:15], s33, v38
	s_nop 0
	v_cndmask_b32_e64 v37, v36, v78, s[12:13]
	v_cndmask_b32_e64 v38, v36, v79, s[14:15]
	v_max3_f32 v35, v35, v37, v38
	v_or_b32_e32 v37, 48, v34
	v_or_b32_e32 v38, 49, v34
	v_cmp_gt_i32_e64 s[8:9], s33, v37
	v_cmp_gt_i32_e64 s[10:11], s33, v38
	s_nop 0
	v_cndmask_b32_e64 v37, v36, v72, s[8:9]
	v_cndmask_b32_e64 v38, v36, v73, s[10:11]
	v_max3_f32 v35, v35, v37, v38
	v_or_b32_e32 v37, 50, v34
	v_or_b32_e32 v34, 51, v34
	v_cmp_gt_i32_e32 vcc, s33, v37
	v_cmp_gt_i32_e64 s[6:7], s33, v34
	global_load_dwordx4 v[46:49], v[42:43], off
	global_load_dwordx4 v[38:41], v[42:43], off offset:16
	v_cndmask_b32_e32 v37, v36, v80, vcc
	v_cndmask_b32_e64 v34, v36, v81, s[6:7]
	v_max3_f32 v50, v35, v37, v34
	v_mbcnt_lo_u32_b32 v34, -1, 0
	v_mbcnt_hi_u32_b32 v51, -1, v34
	v_and_b32_e32 v34, 64, v51
	v_add_u32_e32 v52, 64, v34
	v_xor_b32_e32 v34, 32, v51
	v_cmp_lt_i32_e64 s[40:41], v34, v52
	s_nop 1
	v_cndmask_b32_e64 v34, v51, v34, s[40:41]
	v_lshlrev_b32_e32 v87, 2, v34
	ds_bpermute_b32 v53, v87, v50
	v_lshl_add_u64 v[34:35], v[84:85], 0, v[58:59]
	v_lshl_add_u64 v[58:59], v[84:85], 0, v[62:63]
	global_load_dwordx4 v[42:45], v[34:35], off
	s_nop 0
	global_load_dwordx4 v[34:37], v[34:35], off offset:16
	s_waitcnt lgkmcnt(0)
	v_max_f32_e32 v53, v53, v53
	v_max_f32_e32 v68, v50, v53
	v_xor_b32_e32 v50, 16, v51
	v_cmp_lt_i32_e64 s[40:41], v50, v52
	s_nop 1
	v_cndmask_b32_e64 v50, v51, v50, s[40:41]
	v_lshlrev_b32_e32 v92, 2, v50
	ds_bpermute_b32 v69, v92, v68
	v_lshl_add_u64 v[50:51], v[84:85], 0, v[60:61]
	global_load_dwordx4 v[54:57], v[50:51], off
	s_nop 0
	global_load_dwordx4 v[50:53], v[50:51], off offset:16
	s_waitcnt lgkmcnt(0)
	v_max_f32_e32 v60, v69, v69
	v_max_f32_e32 v84, v68, v60
	v_sub_f32_e32 v60, v64, v84
	v_mul_f32_e32 v60, 0x3fb8aa3b, v60
	v_exp_f32_e32 v68, v60
	v_sub_f32_e32 v60, v65, v84
	v_mul_f32_e32 v60, 0x3fb8aa3b, v60
	v_exp_f32_e32 v69, v60
	global_load_dwordx4 v[62:65], v[58:59], off
	s_nop 0
	global_load_dwordx4 v[58:61], v[58:59], off offset:16
	v_sub_f32_e32 v76, v76, v84
	v_mul_f32_e32 v76, 0x3fb8aa3b, v76
	v_sub_f32_e32 v77, v77, v84
	v_exp_f32_e32 v76, v76
	v_mul_f32_e32 v77, 0x3fb8aa3b, v77
	v_sub_f32_e32 v66, v66, v84
	v_exp_f32_e32 v77, v77
	v_mul_f32_e32 v66, 0x3fb8aa3b, v66
	v_sub_f32_e32 v67, v67, v84
	v_cndmask_b32_e64 v68, 0, v68, s[4:5]
	v_exp_f32_e32 v66, v66
	v_mul_f32_e32 v67, 0x3fb8aa3b, v67
	v_sub_f32_e32 v74, v74, v84
	v_add_f32_e32 v85, 0, v68
	v_cndmask_b32_e64 v69, 0, v69, s[24:25]
	v_exp_f32_e32 v67, v67
	v_mul_f32_e32 v74, 0x3fb8aa3b, v74
	v_sub_f32_e32 v75, v75, v84
	v_add_f32_e32 v85, v85, v69
	v_cndmask_b32_e64 v76, 0, v76, s[26:27]
	v_exp_f32_e32 v74, v74
	v_mul_f32_e32 v75, 0x3fb8aa3b, v75
	v_sub_f32_e32 v70, v70, v84
	v_add_f32_e32 v85, v85, v76
	v_cndmask_b32_e64 v77, 0, v77, s[28:29]
	v_exp_f32_e32 v75, v75
	v_mul_f32_e32 v70, 0x3fb8aa3b, v70
	v_sub_f32_e32 v71, v71, v84
	v_add_f32_e32 v85, v85, v77
	v_cndmask_b32_e64 v66, 0, v66, s[30:31]
	v_exp_f32_e32 v70, v70
	v_mul_f32_e32 v71, 0x3fb8aa3b, v71
	v_sub_f32_e32 v78, v78, v84
	v_add_f32_e32 v85, v85, v66
	v_cndmask_b32_e64 v67, 0, v67, s[34:35]
	v_exp_f32_e32 v71, v71
	v_mul_f32_e32 v78, 0x3fb8aa3b, v78
	v_sub_f32_e32 v79, v79, v84
	v_add_f32_e32 v85, v85, v67
	v_cndmask_b32_e64 v74, 0, v74, s[36:37]
	v_exp_f32_e32 v78, v78
	v_mul_f32_e32 v79, 0x3fb8aa3b, v79
	v_sub_f32_e32 v72, v72, v84
	v_add_f32_e32 v85, v85, v74
	v_cndmask_b32_e64 v75, 0, v75, s[38:39]
	v_exp_f32_e32 v79, v79
	v_mul_f32_e32 v72, 0x3fb8aa3b, v72
	v_sub_f32_e32 v73, v73, v84
	v_add_f32_e32 v85, v85, v75
	v_cndmask_b32_e64 v70, 0, v70, s[16:17]
	v_exp_f32_e32 v72, v72
	v_mul_f32_e32 v73, 0x3fb8aa3b, v73
	v_sub_f32_e32 v80, v80, v84
	v_add_f32_e32 v85, v85, v70
	v_cndmask_b32_e64 v71, 0, v71, s[18:19]
	v_exp_f32_e32 v73, v73
	v_mul_f32_e32 v80, 0x3fb8aa3b, v80
	v_sub_f32_e32 v81, v81, v84
	v_add_f32_e32 v85, v85, v71
	v_cndmask_b32_e64 v78, 0, v78, s[12:13]
	v_exp_f32_e32 v80, v80
	v_mul_f32_e32 v81, 0x3fb8aa3b, v81
	v_add_f32_e32 v85, v85, v78
	v_cndmask_b32_e64 v79, 0, v79, s[14:15]
	v_exp_f32_e32 v81, v81
	v_add_f32_e32 v85, v85, v79
	v_cndmask_b32_e64 v72, 0, v72, s[8:9]
	v_add_f32_e32 v85, v85, v72
	v_cndmask_b32_e64 v73, 0, v73, s[10:11]
	v_add_f32_e32 v85, v85, v73
	v_cndmask_b32_e32 v80, 0, v80, vcc
	v_add_f32_e32 v85, v85, v80
	v_cndmask_b32_e64 v81, 0, v81, s[6:7]
	v_add_f32_e32 v85, v85, v81
	ds_bpermute_b32 v93, v87, v85
	s_load_dword s7, s[0:1], 0x98
	v_cmp_gt_u32_e32 vcc, 16, v94
	s_waitcnt lgkmcnt(0)
	s_barrier
	v_add_f32_e32 v85, v85, v93
	ds_bpermute_b32 v92, v92, v85
	s_waitcnt lgkmcnt(0)
	s_and_saveexec_b64 s[4:5], vcc
	s_cbranch_execz .LBB323_17
; %bb.16:
	v_add_f32_e32 v85, v85, v92
	v_lshlrev_b32_e32 v86, 2, v86
	ds_write2st64_b32 v86, v84, v85 offset1:1
.LBB323_17:
	s_or_b64 exec, exec, s[4:5]
	v_lshlrev_b32_e32 v85, 2, v1
	s_load_dword s6, s[0:1], 0x94
	s_waitcnt lgkmcnt(0)
	s_barrier
	ds_read2_b32 v[86:87], v85 offset1:16
	ds_read2_b32 v[88:89], v85 offset0:32 offset1:48
	ds_read2_b32 v[92:93], v85 offset0:64 offset1:80
	s_lshl_b32 s7, s7, 2
	s_waitcnt lgkmcnt(2)
	v_max3_f32 v84, v86, s42, v87
	s_waitcnt lgkmcnt(1)
	v_max3_f32 v84, v84, v88, v89
	v_sub_f32_e32 v86, v86, v84
	v_mul_f32_e32 v86, 0x3fb8aa3b, v86
	v_exp_f32_e32 v94, v86
	v_sub_f32_e32 v86, v87, v84
	v_mul_f32_e32 v86, 0x3fb8aa3b, v86
	v_exp_f32_e32 v95, v86
	;; [unrolled: 3-line block ×3, first 2 shown]
	ds_read2_b32 v[86:87], v85 offset0:96 offset1:112
	v_sub_f32_e32 v85, v89, v84
	v_mul_f32_e32 v85, 0x3fb8aa3b, v85
	v_exp_f32_e32 v89, v85
	s_waitcnt lgkmcnt(1)
	v_fma_f32 v85, v94, v92, 0
	v_fmac_f32_e32 v85, v95, v93
	s_waitcnt lgkmcnt(0)
	v_fmac_f32_e32 v85, v88, v86
	v_fmac_f32_e32 v85, v89, v87
	v_add_f32_e32 v86, 0x358637bd, v85
	v_div_scale_f32 v87, s[4:5], v86, v86, 1.0
	v_rcp_f32_e32 v92, v87
	s_barrier
	v_fma_f32 v93, -v87, v92, 1.0
	v_fmac_f32_e32 v92, v93, v92
	v_div_scale_f32 v93, vcc, 1.0, v86, 1.0
	v_mul_f32_e32 v90, v93, v92
	v_fma_f32 v91, -v87, v90, v93
	v_fmac_f32_e32 v90, v91, v92
	v_fma_f32 v87, -v87, v90, v93
	v_div_fmas_f32 v87, v87, v92, v90
	v_lshrrev_b32_e32 v90, 6, v0
	v_cmp_eq_u32_e32 vcc, 1, v90
	v_div_fixup_f32 v86, v87, v86, 1.0
	s_nop 0
	v_cndmask_b32_e32 v87, v94, v95, vcc
	v_cmp_eq_u32_e32 vcc, 2, v90
	s_nop 1
	v_cndmask_b32_e32 v87, v87, v88, vcc
	v_cmp_eq_u32_e32 vcc, 3, v90
	v_bfe_u32 v88, v0, 4, 2
	s_nop 0
	v_cndmask_b32_e32 v87, v87, v89, vcc
	v_mul_f32_e32 v86, v87, v86
	v_pk_mul_f32 v[76:77], v[86:87], v[76:77] op_sel_hi:[0,1]
	v_pk_mul_f32 v[68:69], v[86:87], v[68:69] op_sel_hi:[0,1]
	v_cvt_f16_f32_e32 v87, v76
	v_cvt_f16_f32_e32 v77, v77
	v_cvt_f16_f32_e32 v68, v68
	v_cvt_f16_f32_e32 v69, v69
	v_pk_mul_f32 v[74:75], v[86:87], v[74:75] op_sel_hi:[0,1]
	v_pk_mul_f32 v[66:67], v[86:87], v[66:67] op_sel_hi:[0,1]
	v_pack_b32_f16 v77, v87, v77
	v_cvt_f16_f32_e32 v66, v66
	v_cvt_f16_f32_e32 v67, v67
	;; [unrolled: 1-line block ×4, first 2 shown]
	v_pack_b32_f16 v76, v68, v69
	v_lshlrev_b32_e32 v69, 3, v88
	v_lshlrev_b32_e32 v68, 5, v1
	v_lshlrev_b32_e32 v74, 11, v90
	v_or3_b32 v74, v74, v68, v69
	v_pack_b32_f16 v66, v66, v67
	v_pack_b32_f16 v67, v87, v75
	ds_write2st64_b64 v74, v[76:77], v[66:67] offset1:1
	v_pk_mul_f32 v[66:67], v[86:87], v[78:79] op_sel_hi:[0,1]
	v_pk_mul_f32 v[70:71], v[86:87], v[70:71] op_sel_hi:[0,1]
	v_cvt_f16_f32_e32 v69, v70
	v_cvt_f16_f32_e32 v75, v71
	;; [unrolled: 1-line block ×4, first 2 shown]
	v_pk_mul_f32 v[66:67], v[86:87], v[80:81] op_sel_hi:[0,1]
	v_pk_mul_f32 v[70:71], v[86:87], v[72:73] op_sel_hi:[0,1]
	v_cvt_f16_f32_e32 v70, v70
	v_cvt_f16_f32_e32 v71, v71
	;; [unrolled: 1-line block ×4, first 2 shown]
	v_pack_b32_f16 v66, v69, v75
	v_pack_b32_f16 v67, v76, v77
	;; [unrolled: 1-line block ×4, first 2 shown]
	v_cmp_gt_u32_e32 vcc, 4, v0
	ds_write2st64_b64 v74, v[66:67], v[70:71] offset0:2 offset1:3
	s_and_saveexec_b64 s[4:5], vcc
	s_cbranch_execz .LBB323_19
; %bb.18:
	v_or_b32_e32 v66, s21, v0
	v_mov_b32_e32 v67, 0
	v_mov_b32_e32 v69, s7
	v_mad_u64_u32 v[70:71], s[12:13], s2, v69, v[66:67]
	v_mov_b32_e32 v66, s20
	s_load_dwordx4 s[8:11], s[0:1], 0x58
	s_mul_i32 s3, s3, s7
	v_mad_u64_u32 v[66:67], s[12:13], v70, s6, v[66:67]
	v_add_u32_e32 v69, s3, v71
	v_mov_b32_e32 v70, v67
	v_mad_u64_u32 v[70:71], s[12:13], v69, s6, v[70:71]
	v_mov_b32_e32 v67, v70
	v_lshlrev_b64 v[66:67], 2, v[66:67]
	s_waitcnt lgkmcnt(0)
	v_lshl_add_u64 v[70:71], s[10:11], 0, v[66:67]
	v_lshl_add_u64 v[66:67], s[8:9], 0, v[66:67]
	global_store_dword v[70:71], v84, off
	global_store_dword v[66:67], v85, off
.LBB323_19:
	s_or_b64 exec, exec, s[4:5]
	v_lshl_or_b32 v75, v88, 9, v68
	s_waitcnt lgkmcnt(0)
	s_barrier
	ds_read_b128 v[70:73], v75
	ds_read_b128 v[66:69], v75 offset:16
	s_waitcnt vmcnt(15) lgkmcnt(1)
	v_mfma_f32_16x16x16_f16 v[76:79], v[30:31], v[70:71], 0
	s_mov_b32 s3, 0
	v_mfma_f32_16x16x16_f16 v[30:33], v[32:33], v[72:73], v[76:79]
	s_waitcnt vmcnt(14) lgkmcnt(0)
	v_mfma_f32_16x16x16_f16 v[30:33], v[26:27], v[66:67], v[30:33]
	v_mfma_f32_16x16x16_f16 v[26:29], v[28:29], v[68:69], v[30:33]
	s_nop 5
	ds_read_b128 v[30:33], v75 offset:2048
	ds_read_b128 v[76:79], v75 offset:2064
	s_waitcnt vmcnt(13) lgkmcnt(1)
	v_mfma_f32_16x16x16_f16 v[26:29], v[22:23], v[30:31], v[26:29]
	v_mfma_f32_16x16x16_f16 v[22:25], v[24:25], v[32:33], v[26:29]
	s_waitcnt vmcnt(12) lgkmcnt(0)
	v_mfma_f32_16x16x16_f16 v[22:25], v[18:19], v[76:77], v[22:25]
	v_mfma_f32_16x16x16_f16 v[18:21], v[20:21], v[78:79], v[22:25]
	s_nop 5
	ds_read_b128 v[22:25], v75 offset:4096
	ds_read_b128 v[26:29], v75 offset:4112
	s_waitcnt vmcnt(11) lgkmcnt(1)
	v_mfma_f32_16x16x16_f16 v[18:21], v[14:15], v[22:23], v[18:21]
	v_mfma_f32_16x16x16_f16 v[14:17], v[16:17], v[24:25], v[18:21]
	s_waitcnt vmcnt(10) lgkmcnt(0)
	v_mfma_f32_16x16x16_f16 v[14:17], v[10:11], v[26:27], v[14:17]
	v_mfma_f32_16x16x16_f16 v[10:13], v[12:13], v[28:29], v[14:17]
	s_nop 5
	ds_read_b128 v[14:17], v75 offset:6144
	ds_read_b128 v[18:21], v75 offset:6160
	s_waitcnt lgkmcnt(0)
	s_barrier
	s_waitcnt vmcnt(9)
	v_mfma_f32_16x16x16_f16 v[10:13], v[6:7], v[14:15], v[10:13]
	v_mfma_f32_16x16x16_f16 v[6:9], v[8:9], v[16:17], v[10:13]
	s_waitcnt vmcnt(8)
	v_mfma_f32_16x16x16_f16 v[6:9], v[2:3], v[18:19], v[6:9]
	v_mfma_f32_16x16x16_f16 v[2:5], v[4:5], v[20:21], v[6:9]
	;; [unrolled: 3-line block ×3, first 2 shown]
	s_nop 3
	v_cvt_f16_f32_e32 v10, v2
	v_cvt_f16_f32_e32 v11, v3
	;; [unrolled: 1-line block ×3, first 2 shown]
	s_waitcnt vmcnt(6)
	v_mfma_f32_16x16x16_f16 v[6:9], v[38:39], v[66:67], v[6:9]
	v_cvt_f16_f32_e32 v13, v5
	v_mfma_f32_16x16x16_f16 v[6:9], v[40:41], v[68:69], v[6:9]
	s_waitcnt vmcnt(5)
	v_mfma_f32_16x16x16_f16 v[6:9], v[42:43], v[30:31], v[6:9]
	v_mfma_f32_16x16x16_f16 v[6:9], v[44:45], v[32:33], v[6:9]
	s_waitcnt vmcnt(4)
	v_mfma_f32_16x16x16_f16 v[6:9], v[34:35], v[76:77], v[6:9]
	;; [unrolled: 3-line block ×6, first 2 shown]
	v_mfma_f32_16x16x16_f16 v[2:5], v[60:61], v[20:21], v[6:9]
	s_nop 6
	v_cvt_f16_f32_e32 v6, v2
	v_cvt_f16_f32_e32 v7, v3
	;; [unrolled: 1-line block ×4, first 2 shown]
	v_pack_b32_f16 v2, v10, v11
	v_pack_b32_f16 v3, v12, v13
	;; [unrolled: 1-line block ×4, first 2 shown]
	ds_write2st64_b64 v74, v[2:3], v[4:5] offset1:1
	s_waitcnt lgkmcnt(0)
	s_barrier
	s_and_saveexec_b64 s[4:5], s[22:23]
	s_cbranch_execz .LBB323_21
; %bb.20:
	v_lshlrev_b32_e32 v1, 6, v1
	v_lshlrev_b32_e32 v2, 4, v0
	v_lshl_or_b32 v0, v0, 10, v1
	scratch_load_dword v1, off, off offset:4 ; 4-byte Folded Reload
	scratch_load_dword v4, off, off         ; 4-byte Folded Reload
	s_load_dwordx2 s[0:1], s[0:1], 0x68
	s_lshl_b32 s6, s6, 7
	s_mul_i32 s2, s7, s2
	s_mul_hi_u32 s5, s2, s6
	s_mul_i32 s4, s2, s6
	s_lshl_b64 s[4:5], s[4:5], 1
	v_and_b32_e32 v2, 16, v2
	v_and_b32_e32 v0, 0x1a00, v0
	s_waitcnt lgkmcnt(0)
	s_add_u32 s4, s0, s4
	s_addc_u32 s5, s1, s5
	s_lshl_b32 s2, s20, 7
	s_lshl_b64 s[0:1], s[2:3], 1
	s_add_u32 s0, s4, s0
	s_addc_u32 s1, s5, s1
	s_waitcnt vmcnt(1)
	v_or3_b32 v0, v0, v1, v2
	ds_read_b128 v[0:3], v0
	s_waitcnt vmcnt(0)
	v_mad_u64_u32 v[4:5], s[2:3], s6, v4, 0
	v_lshl_add_u64 v[4:5], v[4:5], 1, s[0:1]
	v_lshl_add_u64 v[4:5], v[82:83], 1, v[4:5]
	s_waitcnt lgkmcnt(0)
	global_store_dwordx4 v[4:5], v[0:3], off
.LBB323_21:
	s_endpgm
	.section	.rodata,"a",@progbits
	.p2align	6, 0x0
	.amdhsa_kernel _Z39paged_attention_ll4mi_QKV_mfma16_kernelIDF16_DF16_LN4vllm18Fp8KVCacheDataTypeE0EhLi32ELi128ELi256ELb1ELi4EEvPKT_PKT0_S7_ifPKiS9_S9_iPKfiiiPfSC_PS2_PT2_iSB_SB_
		.amdhsa_group_segment_fixed_size 8192
		.amdhsa_private_segment_fixed_size 12
		.amdhsa_kernarg_size 400
		.amdhsa_user_sgpr_count 2
		.amdhsa_user_sgpr_dispatch_ptr 0
		.amdhsa_user_sgpr_queue_ptr 0
		.amdhsa_user_sgpr_kernarg_segment_ptr 1
		.amdhsa_user_sgpr_dispatch_id 0
		.amdhsa_user_sgpr_kernarg_preload_length 0
		.amdhsa_user_sgpr_kernarg_preload_offset 0
		.amdhsa_user_sgpr_private_segment_size 0
		.amdhsa_uses_dynamic_stack 0
		.amdhsa_enable_private_segment 1
		.amdhsa_system_sgpr_workgroup_id_x 1
		.amdhsa_system_sgpr_workgroup_id_y 1
		.amdhsa_system_sgpr_workgroup_id_z 1
		.amdhsa_system_sgpr_workgroup_info 0
		.amdhsa_system_vgpr_workitem_id 0
		.amdhsa_next_free_vgpr 96
		.amdhsa_next_free_sgpr 43
		.amdhsa_accum_offset 96
		.amdhsa_reserve_vcc 1
		.amdhsa_float_round_mode_32 0
		.amdhsa_float_round_mode_16_64 0
		.amdhsa_float_denorm_mode_32 3
		.amdhsa_float_denorm_mode_16_64 3
		.amdhsa_dx10_clamp 1
		.amdhsa_ieee_mode 1
		.amdhsa_fp16_overflow 0
		.amdhsa_tg_split 0
		.amdhsa_exception_fp_ieee_invalid_op 0
		.amdhsa_exception_fp_denorm_src 0
		.amdhsa_exception_fp_ieee_div_zero 0
		.amdhsa_exception_fp_ieee_overflow 0
		.amdhsa_exception_fp_ieee_underflow 0
		.amdhsa_exception_fp_ieee_inexact 0
		.amdhsa_exception_int_div_zero 0
	.end_amdhsa_kernel
	.section	.text._Z39paged_attention_ll4mi_QKV_mfma16_kernelIDF16_DF16_LN4vllm18Fp8KVCacheDataTypeE0EhLi32ELi128ELi256ELb1ELi4EEvPKT_PKT0_S7_ifPKiS9_S9_iPKfiiiPfSC_PS2_PT2_iSB_SB_,"axG",@progbits,_Z39paged_attention_ll4mi_QKV_mfma16_kernelIDF16_DF16_LN4vllm18Fp8KVCacheDataTypeE0EhLi32ELi128ELi256ELb1ELi4EEvPKT_PKT0_S7_ifPKiS9_S9_iPKfiiiPfSC_PS2_PT2_iSB_SB_,comdat
.Lfunc_end323:
	.size	_Z39paged_attention_ll4mi_QKV_mfma16_kernelIDF16_DF16_LN4vllm18Fp8KVCacheDataTypeE0EhLi32ELi128ELi256ELb1ELi4EEvPKT_PKT0_S7_ifPKiS9_S9_iPKfiiiPfSC_PS2_PT2_iSB_SB_, .Lfunc_end323-_Z39paged_attention_ll4mi_QKV_mfma16_kernelIDF16_DF16_LN4vllm18Fp8KVCacheDataTypeE0EhLi32ELi128ELi256ELb1ELi4EEvPKT_PKT0_S7_ifPKiS9_S9_iPKfiiiPfSC_PS2_PT2_iSB_SB_
                                        ; -- End function
	.section	.AMDGPU.csdata,"",@progbits
; Kernel info:
; codeLenInByte = 4832
; NumSgprs: 49
; NumVgprs: 96
; NumAgprs: 0
; TotalNumVgprs: 96
; ScratchSize: 12
; MemoryBound: 0
; FloatMode: 240
; IeeeMode: 1
; LDSByteSize: 8192 bytes/workgroup (compile time only)
; SGPRBlocks: 6
; VGPRBlocks: 11
; NumSGPRsForWavesPerEU: 49
; NumVGPRsForWavesPerEU: 96
; AccumOffset: 96
; Occupancy: 5
; WaveLimiterHint : 1
; COMPUTE_PGM_RSRC2:SCRATCH_EN: 1
; COMPUTE_PGM_RSRC2:USER_SGPR: 2
; COMPUTE_PGM_RSRC2:TRAP_HANDLER: 0
; COMPUTE_PGM_RSRC2:TGID_X_EN: 1
; COMPUTE_PGM_RSRC2:TGID_Y_EN: 1
; COMPUTE_PGM_RSRC2:TGID_Z_EN: 1
; COMPUTE_PGM_RSRC2:TIDIG_COMP_CNT: 0
; COMPUTE_PGM_RSRC3_GFX90A:ACCUM_OFFSET: 23
; COMPUTE_PGM_RSRC3_GFX90A:TG_SPLIT: 0
	.section	.text._Z38paged_attention_ll4mi_QKV_mfma4_kernelIDF16_DF16_LN4vllm18Fp8KVCacheDataTypeE0EhLi32ELi128ELi256ELb0ELi1EEvPKT_PKT0_S7_ifPKiS9_S9_iPKfiiiPfSC_PS2_PT2_iSB_SB_,"axG",@progbits,_Z38paged_attention_ll4mi_QKV_mfma4_kernelIDF16_DF16_LN4vllm18Fp8KVCacheDataTypeE0EhLi32ELi128ELi256ELb0ELi1EEvPKT_PKT0_S7_ifPKiS9_S9_iPKfiiiPfSC_PS2_PT2_iSB_SB_,comdat
	.protected	_Z38paged_attention_ll4mi_QKV_mfma4_kernelIDF16_DF16_LN4vllm18Fp8KVCacheDataTypeE0EhLi32ELi128ELi256ELb0ELi1EEvPKT_PKT0_S7_ifPKiS9_S9_iPKfiiiPfSC_PS2_PT2_iSB_SB_ ; -- Begin function _Z38paged_attention_ll4mi_QKV_mfma4_kernelIDF16_DF16_LN4vllm18Fp8KVCacheDataTypeE0EhLi32ELi128ELi256ELb0ELi1EEvPKT_PKT0_S7_ifPKiS9_S9_iPKfiiiPfSC_PS2_PT2_iSB_SB_
	.globl	_Z38paged_attention_ll4mi_QKV_mfma4_kernelIDF16_DF16_LN4vllm18Fp8KVCacheDataTypeE0EhLi32ELi128ELi256ELb0ELi1EEvPKT_PKT0_S7_ifPKiS9_S9_iPKfiiiPfSC_PS2_PT2_iSB_SB_
	.p2align	8
	.type	_Z38paged_attention_ll4mi_QKV_mfma4_kernelIDF16_DF16_LN4vllm18Fp8KVCacheDataTypeE0EhLi32ELi128ELi256ELb0ELi1EEvPKT_PKT0_S7_ifPKiS9_S9_iPKfiiiPfSC_PS2_PT2_iSB_SB_,@function
_Z38paged_attention_ll4mi_QKV_mfma4_kernelIDF16_DF16_LN4vllm18Fp8KVCacheDataTypeE0EhLi32ELi128ELi256ELb0ELi1EEvPKT_PKT0_S7_ifPKiS9_S9_iPKfiiiPfSC_PS2_PT2_iSB_SB_: ; @_Z38paged_attention_ll4mi_QKV_mfma4_kernelIDF16_DF16_LN4vllm18Fp8KVCacheDataTypeE0EhLi32ELi128ELi256ELb0ELi1EEvPKT_PKT0_S7_ifPKiS9_S9_iPKfiiiPfSC_PS2_PT2_iSB_SB_
; %bb.0:
	s_load_dwordx2 s[16:17], s[0:1], 0x30
	s_mov_b32 s20, s3
	s_mov_b64 s[6:7], 0
	s_waitcnt lgkmcnt(0)
	s_cmp_lg_u64 s[16:17], 0
	s_cselect_b64 s[18:19], -1, 0
	s_and_b64 vcc, exec, s[18:19]
	s_cbranch_vccz .LBB324_10
; %bb.1:
	s_add_i32 s8, s2, 1
	s_mov_b32 s9, 0
	s_lshl_b64 s[10:11], s[8:9], 2
	s_add_u32 s10, s16, s10
	s_mov_b32 s3, s9
	s_addc_u32 s11, s17, s11
	s_lshl_b64 s[8:9], s[2:3], 2
	s_add_u32 s8, s16, s8
	s_addc_u32 s9, s17, s9
	s_load_dword s5, s[10:11], 0x0
	s_load_dword s12, s[8:9], 0x0
	s_waitcnt lgkmcnt(0)
	s_sub_i32 s5, s5, s12
	s_cmp_eq_u32 s5, 1
	s_cselect_b64 s[8:9], -1, 0
	s_andn2_b64 vcc, exec, s[6:7]
	s_cbranch_vccnz .LBB324_3
.LBB324_2:
	s_mov_b32 s3, 0
	s_mov_b64 s[8:9], -1
.LBB324_3:
	s_andn2_b64 vcc, exec, s[8:9]
	s_cbranch_vccnz .LBB324_25
; %bb.4:
	s_load_dword s5, s[0:1], 0x9c
	s_load_dwordx2 s[6:7], s[0:1], 0x28
	s_add_u32 s24, s0, 0x90
	s_addc_u32 s25, s1, 0
	s_lshl_b64 s[28:29], s[2:3], 2
	s_waitcnt lgkmcnt(0)
	s_and_b32 s5, s5, 0xffff
	s_add_u32 s6, s6, s28
	s_addc_u32 s7, s7, s29
	s_load_dword s3, s[6:7], 0x0
	s_mul_i32 s10, s20, s5
	s_waitcnt lgkmcnt(0)
	s_cmp_ge_i32 s10, s3
	s_cbranch_scc1 .LBB324_25
; %bb.5:
	v_and_b32_e32 v1, 0xc0, v0
	v_add_u32_e32 v2, s10, v1
	v_lshrrev_b32_e32 v70, 6, v0
	v_cmp_le_i32_e64 s[6:7], s3, v2
                                        ; implicit-def: $sgpr21
                                        ; implicit-def: $sgpr11
	s_and_saveexec_b64 s[8:9], s[6:7]
	s_xor_b64 s[8:9], exec, s[8:9]
	s_cbranch_execz .LBB324_7
; %bb.6:
	v_mul_u32_u24_e32 v1, 20, v70
	v_or_b32_e32 v1, 0x1400, v1
	v_mov_b32_e32 v2, 0x1450
	v_mov_b32_e32 v3, 0xff7fffff
	v_mad_u32_u24 v2, v70, 20, v2
	ds_write2_b32 v1, v3, v3 offset1:1
	v_mov_b32_e32 v1, 0
	ds_write2_b32 v2, v1, v1 offset1:1
	v_mov_b32_e32 v2, 0x1408
	s_mov_b32 s11, 0xff7fffff
	s_mov_b32 s21, 0
	v_mad_u32_u24 v2, v70, 20, v2
	v_mov_b32_e32 v4, 0x1458
	v_mad_u32_u24 v4, v70, 20, v4
	ds_write2_b32 v2, v3, v3 offset1:1
	ds_write2_b32 v4, v1, v1 offset1:1
                                        ; implicit-def: $vgpr2
.LBB324_7:
	s_or_saveexec_b64 s[26:27], s[8:9]
	s_load_dwordx2 s[22:23], s[0:1], 0x68
	s_load_dwordx4 s[12:15], s[0:1], 0x58
	s_load_dword s5, s[24:25], 0x4
	v_and_b32_e32 v1, 63, v0
	v_and_b32_e32 v71, 3, v0
	v_mov_b32_e32 v67, s21
	v_mov_b32_e32 v72, s11
	;; [unrolled: 1-line block ×5, first 2 shown]
                                        ; implicit-def: $vgpr31
                                        ; implicit-def: $vgpr19
                                        ; implicit-def: $vgpr23
                                        ; implicit-def: $vgpr27
                                        ; implicit-def: $vgpr3
                                        ; implicit-def: $vgpr7
                                        ; implicit-def: $vgpr11
                                        ; implicit-def: $vgpr15
                                        ; implicit-def: $vgpr51
                                        ; implicit-def: $vgpr55
                                        ; implicit-def: $vgpr59
                                        ; implicit-def: $vgpr63
                                        ; implicit-def: $vgpr39
                                        ; implicit-def: $vgpr47
                                        ; implicit-def: $vgpr35
                                        ; implicit-def: $vgpr43
	s_xor_b64 exec, exec, s[26:27]
	s_cbranch_execz .LBB324_17
; %bb.8:
	s_add_i32 s21, s3, 31
	s_load_dwordx2 s[8:9], s[0:1], 0x20
	s_load_dword s11, s[0:1], 0x38
	s_ashr_i32 s30, s21, 31
	s_lshr_b32 s30, s30, 27
	v_add_u32_e32 v72, s10, v0
	s_add_i32 s21, s21, s30
	v_ashrrev_i32_e32 v3, 31, v72
	s_ashr_i32 s21, s21, 5
	v_lshrrev_b32_e32 v3, 27, v3
	s_add_i32 s21, s21, -1
	v_add_u32_e32 v3, v72, v3
	s_waitcnt lgkmcnt(0)
	s_mul_i32 s30, s2, s11
	s_mov_b32 s31, 0
	v_ashrrev_i32_e32 v3, 5, v3
	v_mov_b32_e32 v4, s21
	v_cmp_gt_i32_e32 vcc, s3, v72
	s_lshl_b64 s[30:31], s[30:31], 2
	s_add_u32 s8, s8, s30
	v_cndmask_b32_e32 v4, v4, v3, vcc
	v_ashrrev_i32_e32 v3, 31, v2
	v_lshrrev_b32_e32 v3, 27, v3
	s_addc_u32 s9, s9, s31
	v_ashrrev_i32_e32 v5, 31, v4
	v_add_u32_e32 v2, v2, v3
	v_lshl_add_u64 v[6:7], v[4:5], 2, s[8:9]
	v_ashrrev_i32_e32 v4, 5, v2
	v_min_i32_e32 v2, s21, v4
	v_ashrrev_i32_e32 v3, 31, v2
	v_lshl_add_u64 v[8:9], v[2:3], 2, s[8:9]
	v_add_u32_e32 v2, 1, v4
	v_min_i32_e32 v2, s21, v2
	v_ashrrev_i32_e32 v3, 31, v2
	v_lshl_add_u64 v[10:11], v[2:3], 2, s[8:9]
	global_load_dword v4, v[6:7], off
	global_load_dword v2, v[8:9], off
	;; [unrolled: 1-line block ×3, first 2 shown]
	s_load_dwordx4 s[8:11], s[0:1], 0x8
	s_andn2_b64 vcc, exec, s[18:19]
	s_cbranch_vccnz .LBB324_11
; %bb.9:
	s_add_u32 s16, s16, s28
	s_addc_u32 s17, s17, s29
	s_load_dword s21, s[16:17], 0x0
	s_branch .LBB324_12
.LBB324_10:
	s_mov_b64 s[8:9], 0
	s_branch .LBB324_2
.LBB324_11:
	s_mov_b32 s21, s2
.LBB324_12:
	s_load_dwordx4 s[16:19], s[0:1], 0x48
	v_cmp_eq_u32_e32 vcc, 0, v71
	s_mov_b32 s29, 0
	v_mov_b32_e32 v73, 0
	v_mov_b32_e32 v19, 0
	;; [unrolled: 1-line block ×6, first 2 shown]
	s_and_saveexec_b64 s[30:31], vcc
	s_cbranch_execz .LBB324_14
; %bb.13:
	s_load_dwordx2 s[34:35], s[0:1], 0x0
	s_waitcnt lgkmcnt(0)
	s_ashr_i32 s19, s16, 31
	s_mul_hi_u32 s28, s21, s16
	s_mul_i32 s19, s21, s19
	s_add_i32 s37, s28, s19
	s_mul_i32 s36, s21, s16
	s_lshl_b64 s[36:37], s[36:37], 1
	s_add_u32 s16, s34, s36
	s_addc_u32 s19, s35, s37
	s_lshl_b32 s28, s4, 7
	s_lshl_b64 s[34:35], s[28:29], 1
	s_add_u32 s34, s16, s34
	s_addc_u32 s35, s19, s35
	v_lshlrev_b32_e32 v5, 2, v1
	global_load_dwordx4 v[66:69], v5, s[34:35]
	v_mov_b32_e32 v73, 1.0
.LBB324_14:
	s_or_b64 exec, exec, s[30:31]
	s_waitcnt lgkmcnt(0)
	s_mul_i32 s28, s4, s18
	s_lshl_b64 s[18:19], s[28:29], 1
	s_add_u32 s8, s18, s8
	s_waitcnt vmcnt(2)
	v_mad_i64_i32 v[4:5], s[30:31], v4, s17, 0
	s_addc_u32 s9, s19, s9
	v_lshl_add_u64 v[16:17], v[4:5], 1, s[8:9]
	v_and_b32_e32 v4, 31, v0
	v_lshlrev_b32_e32 v18, 4, v4
	v_lshl_add_u64 v[40:41], v[16:17], 0, v[18:19]
	global_load_dwordx4 v[4:7], v[40:41], off
	global_load_dwordx4 v[8:11], v[40:41], off offset:512
	global_load_dwordx4 v[12:15], v[40:41], off offset:1024
	;; [unrolled: 1-line block ×7, first 2 shown]
	v_mov_b32_e32 v41, v19
	v_or_b32_e32 v40, 0x1000, v18
	v_lshl_add_u64 v[40:41], v[16:17], 0, v[40:41]
	global_load_dwordx4 v[40:43], v[40:41], off
	v_mov_b32_e32 v45, v19
	v_or_b32_e32 v44, 0x1200, v18
	v_lshl_add_u64 v[44:45], v[16:17], 0, v[44:45]
	global_load_dwordx4 v[44:47], v[44:45], off
	;; [unrolled: 4-line block ×6, first 2 shown]
	v_or_b32_e32 v18, 0x1c00, v18
	v_lshl_add_u64 v[64:65], v[16:17], 0, v[18:19]
	global_load_dwordx4 v[74:77], v[64:65], off
	v_mov_b32_e32 v78, 0x1e00
	v_lshl_or_b32 v18, v0, 4, v78
	v_lshl_add_u64 v[16:17], v[16:17], 0, v[18:19]
	global_load_dwordx4 v[78:81], v[16:17], off
	s_waitcnt vmcnt(16)
	v_mul_hi_i32 v16, v3, s17
	v_mul_hi_i32 v64, v2, s17
	v_mov_b32_e32 v17, v19
	v_mov_b32_e32 v65, v19
	s_load_dword s0, s[0:1], 0x1c
	v_cmp_eq_u32_e32 vcc, 1, v71
	v_and_b32_e32 v87, -4, v72
	v_lshlrev_b32_e32 v88, 2, v0
	v_cndmask_b32_e64 v84, 0, 1.0, vcc
	v_cmp_eq_u32_e32 vcc, 2, v71
	v_or_b32_e32 v72, 3, v72
	s_waitcnt vmcnt(15)
	v_mfma_f32_4x4x4_16b_f16 a[0:3], v[66:67], v[4:5], 0 cbsz:4
	v_ashrrev_i32_e32 v4, 31, v16
	s_nop 0
	v_mfma_f32_4x4x4_16b_f16 a[0:3], v[68:69], v[6:7], a[0:3] cbsz:4
	v_lshrrev_b32_e32 v16, 29, v4
	v_ashrrev_i32_e32 v6, 31, v64
	s_waitcnt vmcnt(14)
	v_mfma_f32_4x4x4_16b_f16 a[0:3], v[66:67], v[8:9], a[0:3] cbsz:4 abid:1
	v_mad_i64_i32 v[4:5], s[8:9], v3, s17, v[16:17]
	s_nop 0
	v_mfma_f32_4x4x4_16b_f16 a[0:3], v[68:69], v[10:11], a[0:3] cbsz:4 abid:1
	s_add_u32 s8, s10, s18
	v_lshrrev_b32_e32 v18, 29, v6
	s_waitcnt vmcnt(13)
	v_mfma_f32_4x4x4_16b_f16 a[0:3], v[66:67], v[12:13], a[0:3] cbsz:4 abid:2
	s_addc_u32 s9, s11, s19
	v_mad_i64_i32 v[2:3], s[10:11], v2, s17, v[18:19]
	v_mfma_f32_4x4x4_16b_f16 a[0:3], v[68:69], v[14:15], a[0:3] cbsz:4 abid:2
	v_lshlrev_b64 v[4:5], 1, v[4:5]
	v_and_b32_e32 v4, -16, v4
	s_waitcnt vmcnt(12)
	v_mfma_f32_4x4x4_16b_f16 a[0:3], v[66:67], v[20:21], a[0:3] cbsz:4 abid:3
	v_lshlrev_b32_e32 v18, 6, v1
	v_lshl_add_u64 v[20:21], s[8:9], 0, v[4:5]
	v_mfma_f32_4x4x4_16b_f16 a[0:3], v[68:69], v[22:23], a[0:3] cbsz:4 abid:3
	v_lshlrev_b64 v[22:23], 1, v[2:3]
	v_and_b32_e32 v22, -16, v22
	s_waitcnt vmcnt(11)
	v_mfma_f32_4x4x4_16b_f16 a[0:3], v[66:67], v[24:25], a[0:3] cbsz:4 abid:4
	v_or_b32_e32 v64, 0x1000, v18
	v_lshl_add_u64 v[22:23], s[8:9], 0, v[22:23]
	v_mfma_f32_4x4x4_16b_f16 a[0:3], v[68:69], v[26:27], a[0:3] cbsz:4 abid:4
	v_lshl_add_u64 v[24:25], v[20:21], 0, v[18:19]
	v_lshl_add_u64 v[20:21], v[20:21], 0, v[64:65]
	s_waitcnt vmcnt(10)
	v_mfma_f32_4x4x4_16b_f16 a[0:3], v[66:67], v[28:29], a[0:3] cbsz:4 abid:5
	v_lshl_add_u64 v[82:83], v[22:23], 0, v[64:65]
	global_load_dwordx4 v[2:5], v[24:25], off
	global_load_dwordx4 v[6:9], v[24:25], off offset:16
	v_mfma_f32_4x4x4_16b_f16 a[0:3], v[68:69], v[30:31], a[0:3] cbsz:4 abid:5
	global_load_dwordx4 v[10:13], v[24:25], off offset:32
	global_load_dwordx4 v[14:17], v[24:25], off offset:48
	s_waitcnt vmcnt(13)
	v_mfma_f32_4x4x4_16b_f16 a[0:3], v[66:67], v[32:33], a[0:3] cbsz:4 abid:6
	v_cndmask_b32_e64 v85, 0, 1.0, vcc
	v_cmp_eq_u32_e32 vcc, 3, v71
	v_mfma_f32_4x4x4_16b_f16 a[0:3], v[68:69], v[34:35], a[0:3] cbsz:4 abid:6
	v_cmp_gt_i32_e64 s[10:11], s3, v72
	v_cndmask_b32_e64 v86, 0, 1.0, vcc
	s_waitcnt vmcnt(12)
	v_mfma_f32_4x4x4_16b_f16 a[0:3], v[66:67], v[36:37], a[0:3] cbsz:4 abid:7
	v_cmp_gt_i32_e32 vcc, s3, v87
	s_nop 0
	v_mfma_f32_4x4x4_16b_f16 a[0:3], v[68:69], v[38:39], a[0:3] cbsz:4 abid:7
	s_waitcnt vmcnt(11)
	s_nop 0
	v_mfma_f32_4x4x4_16b_f16 a[0:3], v[66:67], v[40:41], a[0:3] cbsz:4 abid:8
	s_nop 1
	v_mfma_f32_4x4x4_16b_f16 a[0:3], v[68:69], v[42:43], a[0:3] cbsz:4 abid:8
	s_waitcnt vmcnt(10)
	s_nop 0
	v_mfma_f32_4x4x4_16b_f16 a[0:3], v[66:67], v[44:45], a[0:3] cbsz:4 abid:9
	;; [unrolled: 5-line block ×3, first 2 shown]
	global_load_dwordx4 v[38:41], v[20:21], off
	global_load_dwordx4 v[46:49], v[20:21], off offset:16
	v_mfma_f32_4x4x4_16b_f16 a[0:3], v[68:69], v[50:51], a[0:3] cbsz:4 abid:10
	v_lshl_add_u64 v[50:51], v[22:23], 0, v[18:19]
	global_load_dwordx4 v[34:37], v[20:21], off offset:32
	global_load_dwordx4 v[42:45], v[20:21], off offset:48
	s_waitcnt vmcnt(12)
	v_mfma_f32_4x4x4_16b_f16 a[0:3], v[66:67], v[52:53], a[0:3] cbsz:4 abid:11
	global_load_dwordx4 v[30:33], v[50:51], off
	global_load_dwordx4 v[18:21], v[50:51], off offset:16
	v_mfma_f32_4x4x4_16b_f16 a[0:3], v[68:69], v[54:55], a[0:3] cbsz:4 abid:11
	global_load_dwordx4 v[22:25], v[50:51], off offset:32
	global_load_dwordx4 v[26:29], v[50:51], off offset:48
	s_waitcnt vmcnt(15)
	v_mfma_f32_4x4x4_16b_f16 a[0:3], v[66:67], v[56:57], a[0:3] cbsz:4 abid:12
	global_load_dwordx4 v[50:53], v[82:83], off
	global_load_dwordx4 v[54:57], v[82:83], off offset:16
	v_mfma_f32_4x4x4_16b_f16 a[0:3], v[68:69], v[58:59], a[0:3] cbsz:4 abid:12
	s_waitcnt vmcnt(16)
	s_nop 0
	v_mfma_f32_4x4x4_16b_f16 a[0:3], v[66:67], v[60:61], a[0:3] cbsz:4 abid:13
	s_nop 1
	v_mfma_f32_4x4x4_16b_f16 a[0:3], v[68:69], v[62:63], a[0:3] cbsz:4 abid:13
	global_load_dwordx4 v[58:61], v[82:83], off offset:32
	global_load_dwordx4 v[62:65], v[82:83], off offset:48
	s_waitcnt vmcnt(17)
	v_mfma_f32_4x4x4_16b_f16 a[0:3], v[66:67], v[74:75], a[0:3] cbsz:4 abid:14
	v_mov_b32_e32 v74, 0xff7fffff
	v_and_or_b32 v75, v88, 48, v71
	v_mfma_f32_4x4x4_16b_f16 a[0:3], v[68:69], v[76:77], a[0:3] cbsz:4 abid:14
	s_waitcnt vmcnt(16)
	s_nop 0
	v_mfma_f32_4x4x4_16b_f16 a[0:3], v[66:67], v[78:79], a[0:3] cbsz:4 abid:15
	s_nop 1
	v_mfma_f32_4x4x4_16b_f16 a[0:3], v[68:69], v[80:81], a[0:3] cbsz:4 abid:15
	s_nop 4
	v_accvgpr_read_b32 v67, a1
	v_accvgpr_read_b32 v66, a0
	s_waitcnt lgkmcnt(0)
	v_pk_mul_f32 v[66:67], s[0:1], v[66:67] op_sel_hi:[0,1]
	v_accvgpr_read_b32 v69, a3
	v_accvgpr_read_b32 v68, a2
	v_pk_mul_f32 v[68:69], s[0:1], v[68:69] op_sel_hi:[0,1]
	v_mfma_f32_4x4x1_16b_f32 a[0:3], v66, v73, 0
	v_or_b32_e32 v66, 1, v87
	s_nop 0
	v_mfma_f32_4x4x1_16b_f32 a[0:3], v67, v84, a[0:3]
	v_lshlrev_b32_e32 v73, 2, v75
	v_cmp_gt_i32_e64 s[0:1], s3, v66
	v_mfma_f32_4x4x1_16b_f32 a[0:3], v68, v85, a[0:3]
	v_or_b32_e32 v67, 2, v87
	v_cmp_gt_i32_e64 s[8:9], s3, v67
	v_mfma_f32_4x4x1_16b_f32 a[0:3], v69, v86, a[0:3]
	s_nop 3
	v_accvgpr_read_b32 v68, a0
	v_max_f32_e32 v77, v68, v68
	v_accvgpr_read_b32 v69, a1
	v_max_f32_e32 v77, 0xff7fffff, v77
	v_max_f32_e32 v78, v69, v69
	v_cndmask_b32_e32 v74, v74, v77, vcc
	v_accvgpr_read_b32 v75, a2
	v_max_f32_e32 v77, v74, v78
	v_max_f32_e32 v79, v75, v75
	v_cndmask_b32_e64 v66, v74, v77, s[0:1]
	v_accvgpr_read_b32 v76, a3
	v_max_f32_e32 v74, v66, v79
	v_max_f32_e32 v80, v76, v76
	v_cndmask_b32_e64 v66, v66, v74, s[8:9]
	v_max_f32_e32 v67, v66, v80
	v_cndmask_b32_e64 v66, v66, v67, s[10:11]
	;;#ASMSTART
	v_nop
 v_nop
 v_max_f32_dpp v66, v66, v66 row_ror:4
	;;#ASMEND
	s_nop 0
	;;#ASMSTART
	v_nop
 v_nop
 v_max_f32_dpp v66, v66, v66 row_ror:8
	;;#ASMEND
	ds_bpermute_b32 v66, v73, v66
	s_waitcnt lgkmcnt(0)
	;;#ASMSTART
	v_nop
 v_nop
 v_max_f32_dpp v66, v66, v66 row_ror:4
	;;#ASMEND
	s_nop 0
	;;#ASMSTART
	v_nop
 v_nop
 v_max_f32_dpp v72, v66, v66 row_ror:8
	;;#ASMEND
	s_nop 0
	v_sub_f32_e32 v66, v68, v72
	v_sub_f32_e32 v67, v69, v72
	;; [unrolled: 1-line block ×3, first 2 shown]
	v_mul_f32_e32 v66, 0x3fb8aa3b, v66
	v_mul_f32_e32 v67, 0x3fb8aa3b, v67
	;; [unrolled: 1-line block ×3, first 2 shown]
	v_exp_f32_e32 v66, v66
	v_sub_f32_e32 v69, v76, v72
	v_exp_f32_e32 v67, v67
	v_exp_f32_e32 v74, v68
	v_mul_f32_e32 v69, 0x3fb8aa3b, v69
	v_exp_f32_e32 v75, v69
	v_cndmask_b32_e32 v68, 0, v66, vcc
	v_cndmask_b32_e64 v69, 0, v67, s[0:1]
	v_cndmask_b32_e64 v66, 0, v74, s[8:9]
	v_add_f32_e32 v74, 0, v68
	v_add_f32_e32 v74, v74, v69
	v_cndmask_b32_e64 v67, 0, v75, s[10:11]
	v_add_f32_e32 v74, v74, v66
	v_add_f32_e32 v74, v74, v67
	;;#ASMSTART
	v_nop
 v_nop
 v_add_f32_dpp v74, v74, v74 row_ror:4
	;;#ASMEND
	v_cmp_gt_u32_e32 vcc, 4, v1
	;;#ASMSTART
	v_nop
 v_nop
 v_add_f32_dpp v74, v74, v74 row_ror:8
	;;#ASMEND
	ds_bpermute_b32 v73, v73, v74
	s_waitcnt lgkmcnt(0)
	;;#ASMSTART
	v_nop
 v_nop
 v_add_f32_dpp v73, v73, v73 row_ror:4
	;;#ASMEND
	s_nop 0
	;;#ASMSTART
	v_nop
 v_nop
 v_add_f32_dpp v73, v73, v73 row_ror:8
	;;#ASMEND
	s_and_saveexec_b64 s[0:1], vcc
	s_cbranch_execz .LBB324_16
; %bb.15:
	v_mul_u32_u24_e32 v74, 20, v70
	v_lshl_add_u32 v74, v71, 2, v74
	v_add_u32_e32 v74, 0x1400, v74
	ds_write2_b32 v74, v72, v73 offset1:20
.LBB324_16:
	s_or_b64 exec, exec, s[0:1]
.LBB324_17:
	s_or_b64 exec, exec, s[26:27]
	s_waitcnt lgkmcnt(0)
	s_barrier
	s_load_dword s0, s[24:25], 0x8
	v_lshlrev_b32_e32 v73, 2, v71
	v_add_u32_e32 v74, 0x1400, v73
	ds_read2_b32 v[76:77], v74 offset1:5
	ds_read2_b32 v[78:79], v74 offset0:10 offset1:15
	s_mul_i32 s1, s5, s2
	s_waitcnt lgkmcnt(0)
	s_mul_i32 s0, s1, s0
	s_mov_b32 s1, 0xff7fffff
	v_max3_f32 v73, v76, s1, v77
	v_max3_f32 v73, v73, v78, v79
	v_sub_f32_e32 v75, v76, v73
	v_sub_f32_e32 v76, v77, v73
	v_mul_f32_e32 v76, 0x3fb8aa3b, v76
	ds_read2_b32 v[80:81], v74 offset0:20 offset1:25
	v_mul_f32_e32 v75, 0x3fb8aa3b, v75
	v_exp_f32_e32 v83, v76
	ds_read2_b32 v[76:77], v74 offset0:30 offset1:35
	v_sub_f32_e32 v74, v78, v73
	v_exp_f32_e32 v82, v75
	v_mul_f32_e32 v74, 0x3fb8aa3b, v74
	v_exp_f32_e32 v78, v74
	v_sub_f32_e32 v74, v79, v73
	v_mul_f32_e32 v74, 0x3fb8aa3b, v74
	v_exp_f32_e32 v79, v74
	s_waitcnt lgkmcnt(1)
	v_fma_f32 v74, v82, v80, 0
	v_fmac_f32_e32 v74, v83, v81
	s_waitcnt lgkmcnt(0)
	v_fmac_f32_e32 v74, v78, v76
	v_mov_b32_e32 v75, 0
	v_fmac_f32_e32 v74, v79, v77
	s_mov_b32 s1, 0
	v_cmp_eq_u32_e32 vcc, 0, v71
	s_and_saveexec_b64 s[2:3], vcc
	s_cbranch_execz .LBB324_19
; %bb.18:
	s_lshl_b64 s[8:9], s[0:1], 2
	s_add_u32 s12, s12, s8
	s_mov_b32 s21, s1
	s_addc_u32 s13, s13, s9
	s_lshl_b64 s[10:11], s[20:21], 2
	s_add_u32 s12, s12, s10
	s_addc_u32 s13, s13, s11
	s_add_u32 s8, s14, s8
	s_addc_u32 s9, s15, s9
	;; [unrolled: 2-line block ×3, first 2 shown]
	s_mul_i32 s8, s5, s4
	s_mov_b32 s9, s1
	s_lshl_b64 s[8:9], s[8:9], 2
	s_add_u32 s10, s12, s8
	s_addc_u32 s11, s13, s9
	s_add_u32 s8, s14, s8
	s_addc_u32 s9, s15, s9
	global_store_dword v75, v73, s[8:9]
	global_store_dword v75, v74, s[10:11]
.LBB324_19:
	s_or_b64 exec, exec, s[2:3]
	v_lshlrev_b32_e32 v70, 3, v70
	s_and_saveexec_b64 s[2:3], s[6:7]
	s_xor_b64 s[2:3], exec, s[2:3]
	s_cbranch_execz .LBB324_21
; %bb.20:
	s_mov_b32 s6, 0
	s_mov_b32 s7, s6
	s_waitcnt vmcnt(15)
	v_mad_u32_u24 v4, v1, 40, v70
	v_mov_b64_e32 v[2:3], s[6:7]
	ds_write2st64_b64 v4, v[2:3], v[2:3] offset1:5
                                        ; implicit-def: $vgpr67
                                        ; implicit-def: $vgpr69
                                        ; implicit-def: $vgpr31
                                        ; implicit-def: $vgpr19
                                        ; implicit-def: $vgpr23
                                        ; implicit-def: $vgpr27
                                        ; implicit-def: $vgpr3
                                        ; implicit-def: $vgpr7
                                        ; implicit-def: $vgpr11
                                        ; implicit-def: $vgpr15
                                        ; implicit-def: $vgpr51
                                        ; implicit-def: $vgpr55
                                        ; implicit-def: $vgpr59
                                        ; implicit-def: $vgpr63
                                        ; implicit-def: $vgpr39
                                        ; implicit-def: $vgpr47
                                        ; implicit-def: $vgpr35
                                        ; implicit-def: $vgpr43
                                        ; implicit-def: $vgpr72
                                        ; implicit-def: $vgpr73
                                        ; implicit-def: $vgpr74
                                        ; implicit-def: $vgpr70
.LBB324_21:
	s_andn2_saveexec_b64 s[2:3], s[2:3]
	s_cbranch_execz .LBB324_23
; %bb.22:
	v_add_f32_e32 v71, 0x358637bd, v74
	v_div_scale_f32 v74, s[6:7], v71, v71, 1.0
	v_rcp_f32_e32 v75, v74
	v_sub_f32_e32 v72, v72, v73
	v_mul_f32_e32 v72, 0x3fb8aa3b, v72
	v_exp_f32_e32 v72, v72
	v_fma_f32 v73, -v74, v75, 1.0
	v_fmac_f32_e32 v75, v73, v75
	v_div_scale_f32 v73, vcc, 1.0, v71, 1.0
	v_mul_f32_e32 v76, v73, v75
	v_fma_f32 v77, -v74, v76, v73
	v_fmac_f32_e32 v76, v77, v75
	v_fma_f32 v73, -v74, v76, v73
	v_div_fmas_f32 v73, v73, v75, v76
	v_div_fixup_f32 v71, v73, v71, 1.0
	v_mul_f32_e32 v72, v72, v71
	v_pk_mul_f32 v[66:67], v[66:67], v[72:73] op_sel_hi:[1,0]
	v_pk_mul_f32 v[68:69], v[68:69], v[72:73] op_sel_hi:[1,0]
	v_cvt_f16_f32_e32 v71, v66
	v_cvt_f16_f32_e32 v68, v68
	;; [unrolled: 1-line block ×4, first 2 shown]
	v_pack_b32_f16 v66, v68, v69
	v_pack_b32_f16 v67, v71, v67
	s_waitcnt vmcnt(7)
	s_nop 0
	v_mfma_f32_4x4x4_16b_f16 a[0:3], v[66:67], v[30:31], 0 cbsz:4
	s_nop 1
	v_mfma_f32_4x4x4_16b_f16 a[0:3], v[66:67], v[32:33], a[0:3] cbsz:4 abid:1
	s_waitcnt vmcnt(3)
	v_mfma_f32_4x4x4_16b_f16 a[4:7], v[66:67], v[50:51], 0 cbsz:4
	v_mfma_f32_4x4x4_16b_f16 a[0:3], v[66:67], v[18:19], a[0:3] cbsz:4 abid:2
	s_nop 0
	v_mfma_f32_4x4x4_16b_f16 a[4:7], v[66:67], v[52:53], a[4:7] cbsz:4 abid:1
	v_mfma_f32_4x4x4_16b_f16 a[0:3], v[66:67], v[20:21], a[0:3] cbsz:4 abid:3
	s_waitcnt vmcnt(2)
	v_mfma_f32_4x4x4_16b_f16 a[4:7], v[66:67], v[54:55], a[4:7] cbsz:4 abid:2
	v_mfma_f32_4x4x4_16b_f16 a[0:3], v[66:67], v[22:23], a[0:3] cbsz:4 abid:4
	s_nop 0
	v_mfma_f32_4x4x4_16b_f16 a[4:7], v[66:67], v[56:57], a[4:7] cbsz:4 abid:3
	v_mfma_f32_4x4x4_16b_f16 a[0:3], v[66:67], v[24:25], a[0:3] cbsz:4 abid:5
	s_waitcnt vmcnt(1)
	v_mfma_f32_4x4x4_16b_f16 a[4:7], v[66:67], v[58:59], a[4:7] cbsz:4 abid:4
	;; [unrolled: 6-line block ×3, first 2 shown]
	v_mfma_f32_4x4x4_16b_f16 a[0:3], v[66:67], v[2:3], a[0:3] cbsz:4 abid:8
	s_nop 0
	v_mfma_f32_4x4x4_16b_f16 a[4:7], v[66:67], v[64:65], a[4:7] cbsz:4 abid:7
	v_mfma_f32_4x4x4_16b_f16 a[0:3], v[66:67], v[4:5], a[0:3] cbsz:4 abid:9
	s_nop 0
	v_mfma_f32_4x4x4_16b_f16 a[4:7], v[66:67], v[38:39], a[4:7] cbsz:4 abid:8
	;; [unrolled: 3-line block ×3, first 2 shown]
	v_mfma_f32_4x4x4_16b_f16 a[0:3], v[66:67], v[8:9], a[0:3] cbsz:4 abid:11
	v_mad_u32_u24 v9, v1, 40, v70
	v_mfma_f32_4x4x4_16b_f16 a[4:7], v[66:67], v[46:47], a[4:7] cbsz:4 abid:10
	v_mfma_f32_4x4x4_16b_f16 a[0:3], v[66:67], v[10:11], a[0:3] cbsz:4 abid:12
	s_nop 0
	v_mfma_f32_4x4x4_16b_f16 a[4:7], v[66:67], v[48:49], a[4:7] cbsz:4 abid:11
	v_mfma_f32_4x4x4_16b_f16 a[0:3], v[66:67], v[12:13], a[0:3] cbsz:4 abid:13
	s_nop 0
	;; [unrolled: 3-line block ×3, first 2 shown]
	v_mfma_f32_4x4x4_16b_f16 a[0:3], v[66:67], v[16:17], a[0:3] cbsz:4 abid:15
	s_nop 4
	v_accvgpr_read_b32 v2, a0
	v_accvgpr_read_b32 v3, a1
	;; [unrolled: 1-line block ×4, first 2 shown]
	v_mfma_f32_4x4x4_16b_f16 a[0:3], v[66:67], v[36:37], a[4:7] cbsz:4 abid:13
	v_cvt_f16_f32_e32 v2, v2
	v_cvt_f16_f32_e32 v3, v3
	v_mfma_f32_4x4x4_16b_f16 a[0:3], v[66:67], v[42:43], a[0:3] cbsz:4 abid:14
	v_pack_b32_f16 v2, v2, v3
	s_nop 0
	v_mfma_f32_4x4x4_16b_f16 a[0:3], v[66:67], v[44:45], a[0:3] cbsz:4 abid:15
	v_cvt_f16_f32_e32 v3, v4
	v_cvt_f16_f32_e32 v4, v5
	v_pack_b32_f16 v3, v3, v4
	s_nop 1
	v_accvgpr_read_b32 v5, a0
	v_accvgpr_read_b32 v6, a1
	;; [unrolled: 1-line block ×4, first 2 shown]
	v_cvt_f16_f32_e32 v5, v5
	v_cvt_f16_f32_e32 v6, v6
	;; [unrolled: 1-line block ×4, first 2 shown]
	v_pack_b32_f16 v4, v5, v6
	v_pack_b32_f16 v5, v7, v8
	ds_write2st64_b64 v9, v[2:3], v[4:5] offset1:5
.LBB324_23:
	s_or_b64 exec, exec, s[2:3]
	v_cmp_gt_u32_e32 vcc, 64, v0
	s_waitcnt lgkmcnt(0)
	s_barrier
	s_and_saveexec_b64 s[2:3], vcc
	s_cbranch_execz .LBB324_25
; %bb.24:
	s_waitcnt vmcnt(15)
	v_mov_b32_e32 v2, 0xa00
	v_mad_u32_u24 v2, v1, 40, v2
	s_waitcnt vmcnt(14)
	v_mov_b32_e32 v6, 0xa10
	ds_read2_b64 v[2:5], v2 offset1:1
	s_waitcnt lgkmcnt(0)
	v_mad_u32_u24 v3, v1, 40, v6
	ds_read2_b64 v[6:9], v3 offset1:1
	v_mul_u32_u24_e32 v1, 40, v1
	s_lshl_b32 s0, s0, 7
	v_pk_add_f16 v2, v2, 0
	s_lshl_b64 s[2:3], s[0:1], 1
	v_pk_add_f16 v2, v2, v4
	s_add_u32 s2, s22, s2
	s_waitcnt lgkmcnt(0)
	v_pk_add_f16 v2, v2, v6
	s_addc_u32 s3, s23, s3
	s_waitcnt vmcnt(13)
	v_pk_add_f16 v10, v2, v8
	ds_read2_b64 v[2:5], v1 offset1:1
	ds_read2_b64 v[6:9], v1 offset0:2 offset1:3
	s_lshl_b32 s0, s20, 7
	s_lshl_b64 s[0:1], s[0:1], 1
	s_add_u32 s0, s2, s0
	s_waitcnt lgkmcnt(1)
	v_pk_add_f16 v2, v2, 0
	s_mul_i32 s4, s4, s5
	v_pk_add_f16 v2, v2, v4
	s_addc_u32 s1, s3, s1
	v_lshl_or_b32 v0, s4, 7, v0
	v_mov_b32_e32 v1, 0
	s_waitcnt lgkmcnt(0)
	v_pk_add_f16 v2, v2, v6
	v_lshl_add_u64 v[0:1], v[0:1], 1, s[0:1]
	v_pk_add_f16 v2, v2, v8
	global_store_short v[0:1], v2, off
	global_store_short v[0:1], v10, off offset:128
.LBB324_25:
	s_endpgm
	.section	.rodata,"a",@progbits
	.p2align	6, 0x0
	.amdhsa_kernel _Z38paged_attention_ll4mi_QKV_mfma4_kernelIDF16_DF16_LN4vllm18Fp8KVCacheDataTypeE0EhLi32ELi128ELi256ELb0ELi1EEvPKT_PKT0_S7_ifPKiS9_S9_iPKfiiiPfSC_PS2_PT2_iSB_SB_
		.amdhsa_group_segment_fixed_size 5280
		.amdhsa_private_segment_fixed_size 0
		.amdhsa_kernarg_size 400
		.amdhsa_user_sgpr_count 2
		.amdhsa_user_sgpr_dispatch_ptr 0
		.amdhsa_user_sgpr_queue_ptr 0
		.amdhsa_user_sgpr_kernarg_segment_ptr 1
		.amdhsa_user_sgpr_dispatch_id 0
		.amdhsa_user_sgpr_kernarg_preload_length 0
		.amdhsa_user_sgpr_kernarg_preload_offset 0
		.amdhsa_user_sgpr_private_segment_size 0
		.amdhsa_uses_dynamic_stack 0
		.amdhsa_enable_private_segment 0
		.amdhsa_system_sgpr_workgroup_id_x 1
		.amdhsa_system_sgpr_workgroup_id_y 1
		.amdhsa_system_sgpr_workgroup_id_z 1
		.amdhsa_system_sgpr_workgroup_info 0
		.amdhsa_system_vgpr_workitem_id 0
		.amdhsa_next_free_vgpr 100
		.amdhsa_next_free_sgpr 38
		.amdhsa_accum_offset 92
		.amdhsa_reserve_vcc 1
		.amdhsa_float_round_mode_32 0
		.amdhsa_float_round_mode_16_64 0
		.amdhsa_float_denorm_mode_32 3
		.amdhsa_float_denorm_mode_16_64 3
		.amdhsa_dx10_clamp 1
		.amdhsa_ieee_mode 1
		.amdhsa_fp16_overflow 0
		.amdhsa_tg_split 0
		.amdhsa_exception_fp_ieee_invalid_op 0
		.amdhsa_exception_fp_denorm_src 0
		.amdhsa_exception_fp_ieee_div_zero 0
		.amdhsa_exception_fp_ieee_overflow 0
		.amdhsa_exception_fp_ieee_underflow 0
		.amdhsa_exception_fp_ieee_inexact 0
		.amdhsa_exception_int_div_zero 0
	.end_amdhsa_kernel
	.section	.text._Z38paged_attention_ll4mi_QKV_mfma4_kernelIDF16_DF16_LN4vllm18Fp8KVCacheDataTypeE0EhLi32ELi128ELi256ELb0ELi1EEvPKT_PKT0_S7_ifPKiS9_S9_iPKfiiiPfSC_PS2_PT2_iSB_SB_,"axG",@progbits,_Z38paged_attention_ll4mi_QKV_mfma4_kernelIDF16_DF16_LN4vllm18Fp8KVCacheDataTypeE0EhLi32ELi128ELi256ELb0ELi1EEvPKT_PKT0_S7_ifPKiS9_S9_iPKfiiiPfSC_PS2_PT2_iSB_SB_,comdat
.Lfunc_end324:
	.size	_Z38paged_attention_ll4mi_QKV_mfma4_kernelIDF16_DF16_LN4vllm18Fp8KVCacheDataTypeE0EhLi32ELi128ELi256ELb0ELi1EEvPKT_PKT0_S7_ifPKiS9_S9_iPKfiiiPfSC_PS2_PT2_iSB_SB_, .Lfunc_end324-_Z38paged_attention_ll4mi_QKV_mfma4_kernelIDF16_DF16_LN4vllm18Fp8KVCacheDataTypeE0EhLi32ELi128ELi256ELb0ELi1EEvPKT_PKT0_S7_ifPKiS9_S9_iPKfiiiPfSC_PS2_PT2_iSB_SB_
                                        ; -- End function
	.section	.AMDGPU.csdata,"",@progbits
; Kernel info:
; codeLenInByte = 3704
; NumSgprs: 44
; NumVgprs: 89
; NumAgprs: 8
; TotalNumVgprs: 100
; ScratchSize: 0
; MemoryBound: 0
; FloatMode: 240
; IeeeMode: 1
; LDSByteSize: 5280 bytes/workgroup (compile time only)
; SGPRBlocks: 5
; VGPRBlocks: 12
; NumSGPRsForWavesPerEU: 44
; NumVGPRsForWavesPerEU: 100
; AccumOffset: 92
; Occupancy: 4
; WaveLimiterHint : 1
; COMPUTE_PGM_RSRC2:SCRATCH_EN: 0
; COMPUTE_PGM_RSRC2:USER_SGPR: 2
; COMPUTE_PGM_RSRC2:TRAP_HANDLER: 0
; COMPUTE_PGM_RSRC2:TGID_X_EN: 1
; COMPUTE_PGM_RSRC2:TGID_Y_EN: 1
; COMPUTE_PGM_RSRC2:TGID_Z_EN: 1
; COMPUTE_PGM_RSRC2:TIDIG_COMP_CNT: 0
; COMPUTE_PGM_RSRC3_GFX90A:ACCUM_OFFSET: 22
; COMPUTE_PGM_RSRC3_GFX90A:TG_SPLIT: 0
	.section	.text._Z38paged_attention_ll4mi_QKV_mfma4_kernelIDF16_DF16_LN4vllm18Fp8KVCacheDataTypeE0EhLi32ELi128ELi256ELb0ELi2EEvPKT_PKT0_S7_ifPKiS9_S9_iPKfiiiPfSC_PS2_PT2_iSB_SB_,"axG",@progbits,_Z38paged_attention_ll4mi_QKV_mfma4_kernelIDF16_DF16_LN4vllm18Fp8KVCacheDataTypeE0EhLi32ELi128ELi256ELb0ELi2EEvPKT_PKT0_S7_ifPKiS9_S9_iPKfiiiPfSC_PS2_PT2_iSB_SB_,comdat
	.protected	_Z38paged_attention_ll4mi_QKV_mfma4_kernelIDF16_DF16_LN4vllm18Fp8KVCacheDataTypeE0EhLi32ELi128ELi256ELb0ELi2EEvPKT_PKT0_S7_ifPKiS9_S9_iPKfiiiPfSC_PS2_PT2_iSB_SB_ ; -- Begin function _Z38paged_attention_ll4mi_QKV_mfma4_kernelIDF16_DF16_LN4vllm18Fp8KVCacheDataTypeE0EhLi32ELi128ELi256ELb0ELi2EEvPKT_PKT0_S7_ifPKiS9_S9_iPKfiiiPfSC_PS2_PT2_iSB_SB_
	.globl	_Z38paged_attention_ll4mi_QKV_mfma4_kernelIDF16_DF16_LN4vllm18Fp8KVCacheDataTypeE0EhLi32ELi128ELi256ELb0ELi2EEvPKT_PKT0_S7_ifPKiS9_S9_iPKfiiiPfSC_PS2_PT2_iSB_SB_
	.p2align	8
	.type	_Z38paged_attention_ll4mi_QKV_mfma4_kernelIDF16_DF16_LN4vllm18Fp8KVCacheDataTypeE0EhLi32ELi128ELi256ELb0ELi2EEvPKT_PKT0_S7_ifPKiS9_S9_iPKfiiiPfSC_PS2_PT2_iSB_SB_,@function
_Z38paged_attention_ll4mi_QKV_mfma4_kernelIDF16_DF16_LN4vllm18Fp8KVCacheDataTypeE0EhLi32ELi128ELi256ELb0ELi2EEvPKT_PKT0_S7_ifPKiS9_S9_iPKfiiiPfSC_PS2_PT2_iSB_SB_: ; @_Z38paged_attention_ll4mi_QKV_mfma4_kernelIDF16_DF16_LN4vllm18Fp8KVCacheDataTypeE0EhLi32ELi128ELi256ELb0ELi2EEvPKT_PKT0_S7_ifPKiS9_S9_iPKfiiiPfSC_PS2_PT2_iSB_SB_
; %bb.0:
	s_load_dwordx2 s[16:17], s[0:1], 0x30
	s_mov_b32 s20, s3
	s_mov_b64 s[6:7], 0
	s_waitcnt lgkmcnt(0)
	s_cmp_lg_u64 s[16:17], 0
	s_cselect_b64 s[18:19], -1, 0
	s_and_b64 vcc, exec, s[18:19]
	s_cbranch_vccz .LBB325_10
; %bb.1:
	s_add_i32 s8, s2, 1
	s_mov_b32 s9, 0
	s_lshl_b64 s[10:11], s[8:9], 2
	s_add_u32 s10, s16, s10
	s_mov_b32 s3, s9
	s_addc_u32 s11, s17, s11
	s_lshl_b64 s[8:9], s[2:3], 2
	s_add_u32 s8, s16, s8
	s_addc_u32 s9, s17, s9
	s_load_dword s5, s[10:11], 0x0
	s_load_dword s12, s[8:9], 0x0
	s_waitcnt lgkmcnt(0)
	s_sub_i32 s5, s5, s12
	s_cmp_eq_u32 s5, 1
	s_cselect_b64 s[8:9], -1, 0
	s_andn2_b64 vcc, exec, s[6:7]
	s_cbranch_vccnz .LBB325_3
.LBB325_2:
	s_mov_b32 s3, 0
	s_mov_b64 s[8:9], -1
.LBB325_3:
	s_andn2_b64 vcc, exec, s[8:9]
	s_cbranch_vccnz .LBB325_25
; %bb.4:
	s_load_dword s5, s[0:1], 0x9c
	s_load_dwordx2 s[6:7], s[0:1], 0x28
	s_add_u32 s24, s0, 0x90
	s_addc_u32 s25, s1, 0
	s_lshl_b64 s[28:29], s[2:3], 2
	s_waitcnt lgkmcnt(0)
	s_and_b32 s5, s5, 0xffff
	s_add_u32 s6, s6, s28
	s_addc_u32 s7, s7, s29
	s_load_dword s3, s[6:7], 0x0
	s_mul_i32 s10, s20, s5
	s_waitcnt lgkmcnt(0)
	s_cmp_ge_i32 s10, s3
	s_cbranch_scc1 .LBB325_25
; %bb.5:
	v_and_b32_e32 v1, 0xc0, v0
	v_add_u32_e32 v2, s10, v1
	v_lshrrev_b32_e32 v70, 6, v0
	v_cmp_le_i32_e64 s[6:7], s3, v2
                                        ; implicit-def: $sgpr21
                                        ; implicit-def: $sgpr11
	s_and_saveexec_b64 s[8:9], s[6:7]
	s_xor_b64 s[8:9], exec, s[8:9]
	s_cbranch_execz .LBB325_7
; %bb.6:
	v_mul_u32_u24_e32 v1, 20, v70
	v_or_b32_e32 v1, 0x1400, v1
	v_mov_b32_e32 v2, 0x1450
	v_mov_b32_e32 v3, 0xff7fffff
	v_mad_u32_u24 v2, v70, 20, v2
	ds_write2_b32 v1, v3, v3 offset1:1
	v_mov_b32_e32 v1, 0
	ds_write2_b32 v2, v1, v1 offset1:1
	v_mov_b32_e32 v2, 0x1408
	s_mov_b32 s11, 0xff7fffff
	s_mov_b32 s21, 0
	v_mad_u32_u24 v2, v70, 20, v2
	v_mov_b32_e32 v4, 0x1458
	v_mad_u32_u24 v4, v70, 20, v4
	ds_write2_b32 v2, v3, v3 offset1:1
	ds_write2_b32 v4, v1, v1 offset1:1
                                        ; implicit-def: $vgpr2
.LBB325_7:
	s_or_saveexec_b64 s[26:27], s[8:9]
	s_load_dwordx2 s[22:23], s[0:1], 0x68
	s_load_dwordx4 s[12:15], s[0:1], 0x58
	s_load_dword s5, s[24:25], 0x4
	v_and_b32_e32 v1, 63, v0
	v_and_b32_e32 v71, 3, v0
	v_mov_b32_e32 v67, s21
	v_mov_b32_e32 v72, s11
	;; [unrolled: 1-line block ×5, first 2 shown]
                                        ; implicit-def: $vgpr31
                                        ; implicit-def: $vgpr19
                                        ; implicit-def: $vgpr23
                                        ; implicit-def: $vgpr27
                                        ; implicit-def: $vgpr3
                                        ; implicit-def: $vgpr7
                                        ; implicit-def: $vgpr11
                                        ; implicit-def: $vgpr15
                                        ; implicit-def: $vgpr51
                                        ; implicit-def: $vgpr55
                                        ; implicit-def: $vgpr59
                                        ; implicit-def: $vgpr63
                                        ; implicit-def: $vgpr39
                                        ; implicit-def: $vgpr47
                                        ; implicit-def: $vgpr35
                                        ; implicit-def: $vgpr43
	s_xor_b64 exec, exec, s[26:27]
	s_cbranch_execz .LBB325_17
; %bb.8:
	s_add_i32 s21, s3, 31
	s_load_dwordx2 s[8:9], s[0:1], 0x20
	s_load_dword s11, s[0:1], 0x38
	s_ashr_i32 s30, s21, 31
	s_lshr_b32 s30, s30, 27
	v_add_u32_e32 v72, s10, v0
	s_add_i32 s21, s21, s30
	v_ashrrev_i32_e32 v3, 31, v72
	s_ashr_i32 s21, s21, 5
	v_lshrrev_b32_e32 v3, 27, v3
	s_add_i32 s21, s21, -1
	v_add_u32_e32 v3, v72, v3
	s_waitcnt lgkmcnt(0)
	s_mul_i32 s30, s2, s11
	s_mov_b32 s31, 0
	v_ashrrev_i32_e32 v3, 5, v3
	v_mov_b32_e32 v4, s21
	v_cmp_gt_i32_e32 vcc, s3, v72
	s_lshl_b64 s[30:31], s[30:31], 2
	s_add_u32 s8, s8, s30
	v_cndmask_b32_e32 v4, v4, v3, vcc
	v_ashrrev_i32_e32 v3, 31, v2
	v_lshrrev_b32_e32 v3, 27, v3
	s_addc_u32 s9, s9, s31
	v_ashrrev_i32_e32 v5, 31, v4
	v_add_u32_e32 v2, v2, v3
	v_lshl_add_u64 v[6:7], v[4:5], 2, s[8:9]
	v_ashrrev_i32_e32 v4, 5, v2
	v_min_i32_e32 v2, s21, v4
	v_ashrrev_i32_e32 v3, 31, v2
	v_lshl_add_u64 v[8:9], v[2:3], 2, s[8:9]
	v_add_u32_e32 v2, 1, v4
	v_min_i32_e32 v2, s21, v2
	v_ashrrev_i32_e32 v3, 31, v2
	v_lshl_add_u64 v[10:11], v[2:3], 2, s[8:9]
	global_load_dword v4, v[6:7], off
	global_load_dword v2, v[8:9], off
	;; [unrolled: 1-line block ×3, first 2 shown]
	s_load_dwordx4 s[8:11], s[0:1], 0x8
	s_andn2_b64 vcc, exec, s[18:19]
	s_cbranch_vccnz .LBB325_11
; %bb.9:
	s_add_u32 s16, s16, s28
	s_addc_u32 s17, s17, s29
	s_load_dword s21, s[16:17], 0x0
	s_branch .LBB325_12
.LBB325_10:
	s_mov_b64 s[8:9], 0
	s_branch .LBB325_2
.LBB325_11:
	s_mov_b32 s21, s2
.LBB325_12:
	s_load_dwordx4 s[16:19], s[0:1], 0x48
	v_cmp_gt_u32_e32 vcc, 2, v71
	s_mov_b32 s29, 0
	v_mov_b32_e32 v19, 0
	v_mov_b32_e32 v66, 0
	;; [unrolled: 1-line block ×5, first 2 shown]
	s_and_saveexec_b64 s[30:31], vcc
	s_cbranch_execz .LBB325_14
; %bb.13:
	s_load_dwordx2 s[34:35], s[0:1], 0x0
	s_waitcnt lgkmcnt(0)
	s_ashr_i32 s19, s16, 31
	s_mul_hi_u32 s28, s21, s16
	s_mul_i32 s19, s21, s19
	s_add_i32 s37, s28, s19
	s_mul_i32 s36, s21, s16
	s_lshl_b64 s[36:37], s[36:37], 1
	s_add_u32 s16, s34, s36
	s_addc_u32 s19, s35, s37
	s_lshl_b32 s28, s4, 8
	s_lshl_b64 s[34:35], s[28:29], 1
	v_lshlrev_b32_e32 v5, 2, v1
	s_add_u32 s34, s16, s34
	v_and_b32_e32 v5, 0xf0, v5
	s_addc_u32 s35, s19, s35
	v_lshl_or_b32 v5, v71, 8, v5
	global_load_dwordx4 v[66:69], v5, s[34:35]
.LBB325_14:
	s_or_b64 exec, exec, s[30:31]
	s_waitcnt lgkmcnt(0)
	s_mul_i32 s28, s4, s18
	s_lshl_b64 s[18:19], s[28:29], 1
	s_add_u32 s8, s18, s8
	s_waitcnt vmcnt(2)
	v_mad_i64_i32 v[4:5], s[30:31], v4, s17, 0
	s_addc_u32 s9, s19, s9
	v_lshl_add_u64 v[16:17], v[4:5], 1, s[8:9]
	v_and_b32_e32 v4, 31, v0
	v_lshlrev_b32_e32 v18, 4, v4
	v_lshl_add_u64 v[40:41], v[16:17], 0, v[18:19]
	global_load_dwordx4 v[4:7], v[40:41], off
	global_load_dwordx4 v[8:11], v[40:41], off offset:512
	global_load_dwordx4 v[12:15], v[40:41], off offset:1024
	;; [unrolled: 1-line block ×7, first 2 shown]
	v_mov_b32_e32 v41, v19
	v_or_b32_e32 v40, 0x1000, v18
	v_lshl_add_u64 v[40:41], v[16:17], 0, v[40:41]
	global_load_dwordx4 v[40:43], v[40:41], off
	v_mov_b32_e32 v45, v19
	v_or_b32_e32 v44, 0x1200, v18
	v_lshl_add_u64 v[44:45], v[16:17], 0, v[44:45]
	global_load_dwordx4 v[44:47], v[44:45], off
	;; [unrolled: 4-line block ×6, first 2 shown]
	v_or_b32_e32 v18, 0x1c00, v18
	v_lshl_add_u64 v[74:75], v[16:17], 0, v[18:19]
	global_load_dwordx4 v[74:77], v[74:75], off
	v_mov_b32_e32 v64, 0x1e00
	v_lshl_or_b32 v18, v0, 4, v64
	v_lshl_add_u64 v[16:17], v[16:17], 0, v[18:19]
	global_load_dwordx4 v[78:81], v[16:17], off
	s_waitcnt vmcnt(16)
	v_mul_hi_i32 v82, v3, s17
	v_mul_hi_i32 v73, v2, s17
	v_mov_b32_e32 v83, v19
	v_mov_b32_e32 v65, v19
	s_load_dword s0, s[0:1], 0x1c
	v_cmp_eq_u32_e32 vcc, 0, v71
	v_and_b32_e32 v88, -4, v72
	v_or_b32_e32 v72, 3, v72
	v_cndmask_b32_e64 v84, 0, 1.0, vcc
	v_cmp_eq_u32_e32 vcc, 1, v71
	v_lshlrev_b32_e32 v89, 2, v0
	s_waitcnt vmcnt(15)
	v_mfma_f32_4x4x4_16b_f16 a[0:3], v[66:67], v[4:5], 0 cbsz:4
	v_ashrrev_i32_e32 v4, 31, v82
	s_nop 0
	v_mfma_f32_4x4x4_16b_f16 a[0:3], v[68:69], v[6:7], a[0:3] cbsz:4
	v_lshrrev_b32_e32 v82, 29, v4
	v_ashrrev_i32_e32 v6, 31, v73
	s_waitcnt vmcnt(14)
	v_mfma_f32_4x4x4_16b_f16 a[0:3], v[66:67], v[8:9], a[0:3] cbsz:4 abid:1
	v_mad_i64_i32 v[4:5], s[8:9], v3, s17, v[82:83]
	s_nop 0
	v_mfma_f32_4x4x4_16b_f16 a[0:3], v[68:69], v[10:11], a[0:3] cbsz:4 abid:1
	s_add_u32 s8, s10, s18
	v_lshrrev_b32_e32 v18, 29, v6
	s_waitcnt vmcnt(13)
	v_mfma_f32_4x4x4_16b_f16 a[0:3], v[66:67], v[12:13], a[0:3] cbsz:4 abid:2
	s_addc_u32 s9, s11, s19
	v_mad_i64_i32 v[2:3], s[10:11], v2, s17, v[18:19]
	v_mfma_f32_4x4x4_16b_f16 a[0:3], v[68:69], v[14:15], a[0:3] cbsz:4 abid:2
	v_lshlrev_b64 v[4:5], 1, v[4:5]
	v_and_b32_e32 v4, -16, v4
	s_waitcnt vmcnt(12)
	v_mfma_f32_4x4x4_16b_f16 a[0:3], v[66:67], v[20:21], a[0:3] cbsz:4 abid:3
	v_lshlrev_b32_e32 v18, 6, v1
	v_lshl_add_u64 v[20:21], s[8:9], 0, v[4:5]
	v_mfma_f32_4x4x4_16b_f16 a[0:3], v[68:69], v[22:23], a[0:3] cbsz:4 abid:3
	v_lshlrev_b64 v[22:23], 1, v[2:3]
	v_and_b32_e32 v22, -16, v22
	s_waitcnt vmcnt(11)
	v_mfma_f32_4x4x4_16b_f16 a[0:3], v[66:67], v[24:25], a[0:3] cbsz:4 abid:4
	v_or_b32_e32 v64, 0x1000, v18
	v_lshl_add_u64 v[22:23], s[8:9], 0, v[22:23]
	v_mfma_f32_4x4x4_16b_f16 a[0:3], v[68:69], v[26:27], a[0:3] cbsz:4 abid:4
	v_lshl_add_u64 v[24:25], v[20:21], 0, v[18:19]
	v_lshl_add_u64 v[20:21], v[20:21], 0, v[64:65]
	s_waitcnt vmcnt(10)
	v_mfma_f32_4x4x4_16b_f16 a[0:3], v[66:67], v[28:29], a[0:3] cbsz:4 abid:5
	v_lshl_add_u64 v[82:83], v[22:23], 0, v[64:65]
	global_load_dwordx4 v[2:5], v[24:25], off
	global_load_dwordx4 v[6:9], v[24:25], off offset:16
	v_mfma_f32_4x4x4_16b_f16 a[0:3], v[68:69], v[30:31], a[0:3] cbsz:4 abid:5
	global_load_dwordx4 v[10:13], v[24:25], off offset:32
	global_load_dwordx4 v[14:17], v[24:25], off offset:48
	s_waitcnt vmcnt(13)
	v_mfma_f32_4x4x4_16b_f16 a[0:3], v[66:67], v[32:33], a[0:3] cbsz:4 abid:6
	v_cndmask_b32_e64 v85, 0, 1.0, vcc
	v_cmp_eq_u32_e32 vcc, 2, v71
	v_mfma_f32_4x4x4_16b_f16 a[0:3], v[68:69], v[34:35], a[0:3] cbsz:4 abid:6
	v_mov_b32_e32 v73, 0xff7fffff
	v_cndmask_b32_e64 v86, 0, 1.0, vcc
	s_waitcnt vmcnt(12)
	v_mfma_f32_4x4x4_16b_f16 a[0:3], v[66:67], v[36:37], a[0:3] cbsz:4 abid:7
	v_cmp_eq_u32_e32 vcc, 3, v71
	v_cmp_gt_i32_e64 s[10:11], s3, v72
	v_mfma_f32_4x4x4_16b_f16 a[0:3], v[68:69], v[38:39], a[0:3] cbsz:4 abid:7
	v_cndmask_b32_e64 v87, 0, 1.0, vcc
	v_cmp_gt_i32_e32 vcc, s3, v88
	s_waitcnt vmcnt(11)
	v_mfma_f32_4x4x4_16b_f16 a[0:3], v[66:67], v[40:41], a[0:3] cbsz:4 abid:8
	s_nop 1
	v_mfma_f32_4x4x4_16b_f16 a[0:3], v[68:69], v[42:43], a[0:3] cbsz:4 abid:8
	s_waitcnt vmcnt(10)
	s_nop 0
	v_mfma_f32_4x4x4_16b_f16 a[0:3], v[66:67], v[44:45], a[0:3] cbsz:4 abid:9
	s_nop 1
	v_mfma_f32_4x4x4_16b_f16 a[0:3], v[68:69], v[46:47], a[0:3] cbsz:4 abid:9
	s_waitcnt vmcnt(9)
	s_nop 0
	v_mfma_f32_4x4x4_16b_f16 a[0:3], v[66:67], v[48:49], a[0:3] cbsz:4 abid:10
	global_load_dwordx4 v[38:41], v[20:21], off
	global_load_dwordx4 v[46:49], v[20:21], off offset:16
	v_mfma_f32_4x4x4_16b_f16 a[0:3], v[68:69], v[50:51], a[0:3] cbsz:4 abid:10
	v_lshl_add_u64 v[50:51], v[22:23], 0, v[18:19]
	global_load_dwordx4 v[34:37], v[20:21], off offset:32
	global_load_dwordx4 v[42:45], v[20:21], off offset:48
	s_waitcnt vmcnt(12)
	v_mfma_f32_4x4x4_16b_f16 a[0:3], v[66:67], v[52:53], a[0:3] cbsz:4 abid:11
	global_load_dwordx4 v[30:33], v[50:51], off
	global_load_dwordx4 v[18:21], v[50:51], off offset:16
	v_mfma_f32_4x4x4_16b_f16 a[0:3], v[68:69], v[54:55], a[0:3] cbsz:4 abid:11
	global_load_dwordx4 v[22:25], v[50:51], off offset:32
	global_load_dwordx4 v[26:29], v[50:51], off offset:48
	s_waitcnt vmcnt(15)
	v_mfma_f32_4x4x4_16b_f16 a[0:3], v[66:67], v[56:57], a[0:3] cbsz:4 abid:12
	global_load_dwordx4 v[50:53], v[82:83], off
	global_load_dwordx4 v[54:57], v[82:83], off offset:16
	v_mfma_f32_4x4x4_16b_f16 a[0:3], v[68:69], v[58:59], a[0:3] cbsz:4 abid:12
	s_waitcnt vmcnt(16)
	s_nop 0
	v_mfma_f32_4x4x4_16b_f16 a[0:3], v[66:67], v[60:61], a[0:3] cbsz:4 abid:13
	s_nop 1
	v_mfma_f32_4x4x4_16b_f16 a[0:3], v[68:69], v[62:63], a[0:3] cbsz:4 abid:13
	global_load_dwordx4 v[58:61], v[82:83], off offset:32
	global_load_dwordx4 v[62:65], v[82:83], off offset:48
	s_waitcnt vmcnt(17)
	v_mfma_f32_4x4x4_16b_f16 a[0:3], v[66:67], v[74:75], a[0:3] cbsz:4 abid:14
	v_and_or_b32 v74, v89, 48, v71
	v_lshlrev_b32_e32 v74, 2, v74
	v_mfma_f32_4x4x4_16b_f16 a[0:3], v[68:69], v[76:77], a[0:3] cbsz:4 abid:14
	s_waitcnt vmcnt(16)
	s_nop 0
	v_mfma_f32_4x4x4_16b_f16 a[0:3], v[66:67], v[78:79], a[0:3] cbsz:4 abid:15
	s_nop 1
	v_mfma_f32_4x4x4_16b_f16 a[0:3], v[68:69], v[80:81], a[0:3] cbsz:4 abid:15
	s_nop 4
	v_accvgpr_read_b32 v67, a1
	v_accvgpr_read_b32 v66, a0
	s_waitcnt lgkmcnt(0)
	v_pk_mul_f32 v[66:67], s[0:1], v[66:67] op_sel_hi:[0,1]
	v_accvgpr_read_b32 v69, a3
	v_accvgpr_read_b32 v68, a2
	v_pk_mul_f32 v[68:69], s[0:1], v[68:69] op_sel_hi:[0,1]
	v_mfma_f32_4x4x1_16b_f32 a[0:3], v66, v84, 0
	v_or_b32_e32 v66, 1, v88
	s_nop 0
	v_mfma_f32_4x4x1_16b_f32 a[0:3], v67, v85, a[0:3]
	v_cmp_gt_i32_e64 s[0:1], s3, v66
	v_or_b32_e32 v67, 2, v88
	v_mfma_f32_4x4x1_16b_f32 a[0:3], v68, v86, a[0:3]
	v_cmp_gt_i32_e64 s[8:9], s3, v67
	s_nop 0
	v_mfma_f32_4x4x1_16b_f32 a[0:3], v69, v87, a[0:3]
	s_nop 3
	v_accvgpr_read_b32 v68, a0
	v_max_f32_e32 v77, v68, v68
	v_accvgpr_read_b32 v69, a1
	v_max_f32_e32 v77, 0xff7fffff, v77
	v_max_f32_e32 v78, v69, v69
	v_cndmask_b32_e32 v73, v73, v77, vcc
	v_accvgpr_read_b32 v75, a2
	v_max_f32_e32 v77, v73, v78
	v_max_f32_e32 v79, v75, v75
	v_cndmask_b32_e64 v66, v73, v77, s[0:1]
	v_accvgpr_read_b32 v76, a3
	v_max_f32_e32 v73, v66, v79
	v_max_f32_e32 v80, v76, v76
	v_cndmask_b32_e64 v66, v66, v73, s[8:9]
	v_max_f32_e32 v67, v66, v80
	v_cndmask_b32_e64 v66, v66, v67, s[10:11]
	;;#ASMSTART
	v_nop
 v_nop
 v_max_f32_dpp v66, v66, v66 row_ror:4
	;;#ASMEND
	s_nop 0
	;;#ASMSTART
	v_nop
 v_nop
 v_max_f32_dpp v66, v66, v66 row_ror:8
	;;#ASMEND
	ds_bpermute_b32 v66, v74, v66
	s_waitcnt lgkmcnt(0)
	;;#ASMSTART
	v_nop
 v_nop
 v_max_f32_dpp v66, v66, v66 row_ror:4
	;;#ASMEND
	s_nop 0
	;;#ASMSTART
	v_nop
 v_nop
 v_max_f32_dpp v72, v66, v66 row_ror:8
	;;#ASMEND
	s_nop 0
	v_sub_f32_e32 v66, v68, v72
	v_sub_f32_e32 v67, v69, v72
	v_sub_f32_e32 v68, v75, v72
	v_mul_f32_e32 v66, 0x3fb8aa3b, v66
	v_mul_f32_e32 v67, 0x3fb8aa3b, v67
	;; [unrolled: 1-line block ×3, first 2 shown]
	v_exp_f32_e32 v66, v66
	v_sub_f32_e32 v69, v76, v72
	v_exp_f32_e32 v67, v67
	v_exp_f32_e32 v73, v68
	v_mul_f32_e32 v69, 0x3fb8aa3b, v69
	v_exp_f32_e32 v75, v69
	v_cndmask_b32_e32 v68, 0, v66, vcc
	v_cndmask_b32_e64 v69, 0, v67, s[0:1]
	v_cndmask_b32_e64 v66, 0, v73, s[8:9]
	v_add_f32_e32 v73, 0, v68
	v_add_f32_e32 v73, v73, v69
	v_cndmask_b32_e64 v67, 0, v75, s[10:11]
	v_add_f32_e32 v73, v73, v66
	v_add_f32_e32 v73, v73, v67
	;;#ASMSTART
	v_nop
 v_nop
 v_add_f32_dpp v73, v73, v73 row_ror:4
	;;#ASMEND
	v_cmp_gt_u32_e32 vcc, 4, v1
	;;#ASMSTART
	v_nop
 v_nop
 v_add_f32_dpp v73, v73, v73 row_ror:8
	;;#ASMEND
	ds_bpermute_b32 v73, v74, v73
	s_waitcnt lgkmcnt(0)
	;;#ASMSTART
	v_nop
 v_nop
 v_add_f32_dpp v73, v73, v73 row_ror:4
	;;#ASMEND
	s_nop 0
	;;#ASMSTART
	v_nop
 v_nop
 v_add_f32_dpp v73, v73, v73 row_ror:8
	;;#ASMEND
	s_and_saveexec_b64 s[0:1], vcc
	s_cbranch_execz .LBB325_16
; %bb.15:
	v_mul_u32_u24_e32 v74, 20, v70
	v_lshl_add_u32 v74, v71, 2, v74
	v_add_u32_e32 v74, 0x1400, v74
	ds_write2_b32 v74, v72, v73 offset1:20
.LBB325_16:
	s_or_b64 exec, exec, s[0:1]
.LBB325_17:
	s_or_b64 exec, exec, s[26:27]
	s_waitcnt lgkmcnt(0)
	s_barrier
	s_load_dword s0, s[24:25], 0x8
	v_lshlrev_b32_e32 v73, 2, v71
	v_add_u32_e32 v80, 0x1400, v73
	ds_read2_b32 v[74:75], v80 offset1:5
	ds_read2_b32 v[76:77], v80 offset0:10 offset1:15
	s_mul_i32 s1, s2, s5
	s_waitcnt lgkmcnt(0)
	s_mul_i32 s1, s1, s0
	s_lshl_b32 s0, s1, 1
	s_mov_b32 s1, 0xff7fffff
	v_max3_f32 v73, v74, s1, v75
	v_max3_f32 v73, v73, v76, v77
	v_sub_f32_e32 v74, v74, v73
	ds_read2_b32 v[78:79], v80 offset0:20 offset1:25
	v_mul_f32_e32 v74, 0x3fb8aa3b, v74
	v_sub_f32_e32 v75, v75, v73
	v_exp_f32_e32 v74, v74
	v_mul_f32_e32 v75, 0x3fb8aa3b, v75
	v_sub_f32_e32 v76, v76, v73
	v_exp_f32_e32 v75, v75
	ds_read2_b32 v[80:81], v80 offset0:30 offset1:35
	v_mul_f32_e32 v76, 0x3fb8aa3b, v76
	v_sub_f32_e32 v77, v77, v73
	v_exp_f32_e32 v76, v76
	v_mul_f32_e32 v77, 0x3fb8aa3b, v77
	v_exp_f32_e32 v77, v77
	s_waitcnt lgkmcnt(1)
	v_fma_f32 v74, v74, v78, 0
	v_fmac_f32_e32 v74, v75, v79
	s_waitcnt lgkmcnt(0)
	v_fmac_f32_e32 v74, v76, v80
	s_lshl_b32 s4, s4, 1
	v_fmac_f32_e32 v74, v77, v81
	v_cmp_gt_u32_e32 vcc, 2, v71
	s_and_saveexec_b64 s[2:3], vcc
	s_cbranch_execz .LBB325_19
; %bb.18:
	s_mov_b32 s1, 0
	s_lshl_b64 s[8:9], s[0:1], 2
	s_add_u32 s12, s12, s8
	s_mov_b32 s21, s1
	s_addc_u32 s13, s13, s9
	s_lshl_b64 s[10:11], s[20:21], 2
	s_add_u32 s12, s12, s10
	s_addc_u32 s13, s13, s11
	s_add_u32 s1, s14, s8
	s_addc_u32 s9, s15, s9
	v_or_b32_e32 v71, s4, v71
	s_add_u32 s8, s1, s10
	v_mul_lo_u32 v76, s5, v71
	v_mov_b32_e32 v77, 0
	s_addc_u32 s9, s9, s11
	v_lshlrev_b64 v[76:77], 2, v[76:77]
	v_lshl_add_u64 v[78:79], s[12:13], 0, v[76:77]
	v_lshl_add_u64 v[76:77], s[8:9], 0, v[76:77]
	global_store_dword v[76:77], v73, off
	global_store_dword v[78:79], v74, off
.LBB325_19:
	s_or_b64 exec, exec, s[2:3]
	v_lshlrev_b32_e32 v70, 3, v70
	s_and_saveexec_b64 s[2:3], s[6:7]
	s_xor_b64 s[2:3], exec, s[2:3]
	s_cbranch_execz .LBB325_21
; %bb.20:
	s_mov_b32 s6, 0
	s_mov_b32 s7, s6
	s_waitcnt vmcnt(15)
	v_mad_u32_u24 v4, v1, 40, v70
	v_mov_b64_e32 v[2:3], s[6:7]
	ds_write2st64_b64 v4, v[2:3], v[2:3] offset1:5
                                        ; implicit-def: $vgpr67
                                        ; implicit-def: $vgpr69
                                        ; implicit-def: $vgpr31
                                        ; implicit-def: $vgpr19
                                        ; implicit-def: $vgpr23
                                        ; implicit-def: $vgpr27
                                        ; implicit-def: $vgpr3
                                        ; implicit-def: $vgpr7
                                        ; implicit-def: $vgpr11
                                        ; implicit-def: $vgpr15
                                        ; implicit-def: $vgpr51
                                        ; implicit-def: $vgpr55
                                        ; implicit-def: $vgpr59
                                        ; implicit-def: $vgpr63
                                        ; implicit-def: $vgpr39
                                        ; implicit-def: $vgpr47
                                        ; implicit-def: $vgpr35
                                        ; implicit-def: $vgpr43
                                        ; implicit-def: $vgpr72
                                        ; implicit-def: $vgpr73
                                        ; implicit-def: $vgpr74
                                        ; implicit-def: $vgpr70
.LBB325_21:
	s_andn2_saveexec_b64 s[2:3], s[2:3]
	s_cbranch_execz .LBB325_23
; %bb.22:
	v_add_f32_e32 v71, 0x358637bd, v74
	v_div_scale_f32 v74, s[6:7], v71, v71, 1.0
	v_rcp_f32_e32 v75, v74
	v_sub_f32_e32 v72, v72, v73
	v_mul_f32_e32 v72, 0x3fb8aa3b, v72
	v_exp_f32_e32 v72, v72
	v_fma_f32 v73, -v74, v75, 1.0
	v_fmac_f32_e32 v75, v73, v75
	v_div_scale_f32 v73, vcc, 1.0, v71, 1.0
	v_mul_f32_e32 v76, v73, v75
	v_fma_f32 v77, -v74, v76, v73
	v_fmac_f32_e32 v76, v77, v75
	v_fma_f32 v73, -v74, v76, v73
	v_div_fmas_f32 v73, v73, v75, v76
	v_div_fixup_f32 v71, v73, v71, 1.0
	v_mul_f32_e32 v72, v72, v71
	v_pk_mul_f32 v[66:67], v[66:67], v[72:73] op_sel_hi:[1,0]
	v_pk_mul_f32 v[68:69], v[68:69], v[72:73] op_sel_hi:[1,0]
	v_cvt_f16_f32_e32 v71, v66
	v_cvt_f16_f32_e32 v68, v68
	;; [unrolled: 1-line block ×4, first 2 shown]
	v_pack_b32_f16 v66, v68, v69
	v_pack_b32_f16 v67, v71, v67
	s_waitcnt vmcnt(7)
	s_nop 0
	v_mfma_f32_4x4x4_16b_f16 a[0:3], v[66:67], v[30:31], 0 cbsz:4
	s_nop 1
	v_mfma_f32_4x4x4_16b_f16 a[0:3], v[66:67], v[32:33], a[0:3] cbsz:4 abid:1
	s_waitcnt vmcnt(3)
	v_mfma_f32_4x4x4_16b_f16 a[4:7], v[66:67], v[50:51], 0 cbsz:4
	v_mfma_f32_4x4x4_16b_f16 a[0:3], v[66:67], v[18:19], a[0:3] cbsz:4 abid:2
	s_nop 0
	v_mfma_f32_4x4x4_16b_f16 a[4:7], v[66:67], v[52:53], a[4:7] cbsz:4 abid:1
	v_mfma_f32_4x4x4_16b_f16 a[0:3], v[66:67], v[20:21], a[0:3] cbsz:4 abid:3
	s_waitcnt vmcnt(2)
	v_mfma_f32_4x4x4_16b_f16 a[4:7], v[66:67], v[54:55], a[4:7] cbsz:4 abid:2
	v_mfma_f32_4x4x4_16b_f16 a[0:3], v[66:67], v[22:23], a[0:3] cbsz:4 abid:4
	s_nop 0
	v_mfma_f32_4x4x4_16b_f16 a[4:7], v[66:67], v[56:57], a[4:7] cbsz:4 abid:3
	v_mfma_f32_4x4x4_16b_f16 a[0:3], v[66:67], v[24:25], a[0:3] cbsz:4 abid:5
	s_waitcnt vmcnt(1)
	v_mfma_f32_4x4x4_16b_f16 a[4:7], v[66:67], v[58:59], a[4:7] cbsz:4 abid:4
	v_mfma_f32_4x4x4_16b_f16 a[0:3], v[66:67], v[26:27], a[0:3] cbsz:4 abid:6
	s_nop 0
	v_mfma_f32_4x4x4_16b_f16 a[4:7], v[66:67], v[60:61], a[4:7] cbsz:4 abid:5
	v_mfma_f32_4x4x4_16b_f16 a[0:3], v[66:67], v[28:29], a[0:3] cbsz:4 abid:7
	s_waitcnt vmcnt(0)
	v_mfma_f32_4x4x4_16b_f16 a[4:7], v[66:67], v[62:63], a[4:7] cbsz:4 abid:6
	v_mfma_f32_4x4x4_16b_f16 a[0:3], v[66:67], v[2:3], a[0:3] cbsz:4 abid:8
	s_nop 0
	v_mfma_f32_4x4x4_16b_f16 a[4:7], v[66:67], v[64:65], a[4:7] cbsz:4 abid:7
	v_mfma_f32_4x4x4_16b_f16 a[0:3], v[66:67], v[4:5], a[0:3] cbsz:4 abid:9
	s_nop 0
	v_mfma_f32_4x4x4_16b_f16 a[4:7], v[66:67], v[38:39], a[4:7] cbsz:4 abid:8
	;; [unrolled: 3-line block ×3, first 2 shown]
	v_mfma_f32_4x4x4_16b_f16 a[0:3], v[66:67], v[8:9], a[0:3] cbsz:4 abid:11
	v_mad_u32_u24 v9, v1, 40, v70
	v_mfma_f32_4x4x4_16b_f16 a[4:7], v[66:67], v[46:47], a[4:7] cbsz:4 abid:10
	v_mfma_f32_4x4x4_16b_f16 a[0:3], v[66:67], v[10:11], a[0:3] cbsz:4 abid:12
	s_nop 0
	v_mfma_f32_4x4x4_16b_f16 a[4:7], v[66:67], v[48:49], a[4:7] cbsz:4 abid:11
	v_mfma_f32_4x4x4_16b_f16 a[0:3], v[66:67], v[12:13], a[0:3] cbsz:4 abid:13
	s_nop 0
	;; [unrolled: 3-line block ×3, first 2 shown]
	v_mfma_f32_4x4x4_16b_f16 a[0:3], v[66:67], v[16:17], a[0:3] cbsz:4 abid:15
	s_nop 4
	v_accvgpr_read_b32 v2, a0
	v_accvgpr_read_b32 v3, a1
	;; [unrolled: 1-line block ×4, first 2 shown]
	v_mfma_f32_4x4x4_16b_f16 a[0:3], v[66:67], v[36:37], a[4:7] cbsz:4 abid:13
	v_cvt_f16_f32_e32 v2, v2
	v_cvt_f16_f32_e32 v3, v3
	v_mfma_f32_4x4x4_16b_f16 a[0:3], v[66:67], v[42:43], a[0:3] cbsz:4 abid:14
	v_pack_b32_f16 v2, v2, v3
	s_nop 0
	v_mfma_f32_4x4x4_16b_f16 a[0:3], v[66:67], v[44:45], a[0:3] cbsz:4 abid:15
	v_cvt_f16_f32_e32 v3, v4
	v_cvt_f16_f32_e32 v4, v5
	v_pack_b32_f16 v3, v3, v4
	s_nop 1
	v_accvgpr_read_b32 v5, a0
	v_accvgpr_read_b32 v6, a1
	;; [unrolled: 1-line block ×4, first 2 shown]
	v_cvt_f16_f32_e32 v5, v5
	v_cvt_f16_f32_e32 v6, v6
	;; [unrolled: 1-line block ×4, first 2 shown]
	v_pack_b32_f16 v4, v5, v6
	v_pack_b32_f16 v5, v7, v8
	ds_write2st64_b64 v9, v[2:3], v[4:5] offset1:5
.LBB325_23:
	s_or_b64 exec, exec, s[2:3]
	v_cmp_gt_u32_e32 vcc, 64, v0
	s_waitcnt lgkmcnt(0)
	s_barrier
	s_and_saveexec_b64 s[2:3], vcc
	s_cbranch_execz .LBB325_25
; %bb.24:
	s_waitcnt vmcnt(14)
	v_mul_u32_u24_e32 v6, 40, v1
	ds_read2_b64 v[2:5], v6 offset1:1
	s_mov_b32 s1, 0
	s_waitcnt lgkmcnt(0)
	v_mov_b32_e32 v3, 0xa00
	s_lshl_b32 s0, s0, 7
	ds_read2_b64 v[6:9], v6 offset0:2 offset1:3
	v_mad_u32_u24 v3, v1, 40, v3
	v_pk_add_f16 v2, v2, 0
	s_lshl_b64 s[2:3], s[0:1], 1
	s_waitcnt lgkmcnt(0)
	v_pk_add_f16 v7, v2, v4
	v_mov_b32_e32 v9, 0xa10
	ds_read2_b64 v[2:5], v3 offset1:1
	s_add_u32 s2, s22, s2
	v_mad_u32_u24 v1, v1, 40, v9
	s_waitcnt vmcnt(13)
	ds_read2_b64 v[10:13], v1 offset1:1
	s_addc_u32 s3, s23, s3
	s_lshl_b32 s0, s20, 7
	s_lshl_b64 s[0:1], s[0:1], 1
	s_add_u32 s0, s2, s0
	v_pk_add_f16 v1, v7, v6
	s_addc_u32 s1, s3, s1
	s_lshl_b32 s2, s5, 7
	v_pk_add_f16 v6, v1, v8
	s_waitcnt lgkmcnt(1)
	v_pk_add_f16 v1, v2, 0
	s_mul_i32 s3, s2, s4
	v_pk_add_f16 v1, v1, v4
	v_or_b32_e32 v2, s3, v0
	v_mov_b32_e32 v3, 0
	s_add_i32 s3, s3, s2
	s_waitcnt lgkmcnt(0)
	v_pk_add_f16 v1, v1, v10
	v_lshl_add_u64 v[4:5], v[2:3], 1, s[0:1]
	v_or_b32_e32 v2, s3, v0
	v_pk_add_f16 v7, v1, v12
	v_lshl_add_u64 v[0:1], v[2:3], 1, s[0:1]
	global_store_short v[4:5], v6, off
	global_store_short_d16_hi v[0:1], v6, off
	global_store_short v[4:5], v7, off offset:128
	global_store_short_d16_hi v[0:1], v7, off offset:128
.LBB325_25:
	s_endpgm
	.section	.rodata,"a",@progbits
	.p2align	6, 0x0
	.amdhsa_kernel _Z38paged_attention_ll4mi_QKV_mfma4_kernelIDF16_DF16_LN4vllm18Fp8KVCacheDataTypeE0EhLi32ELi128ELi256ELb0ELi2EEvPKT_PKT0_S7_ifPKiS9_S9_iPKfiiiPfSC_PS2_PT2_iSB_SB_
		.amdhsa_group_segment_fixed_size 5280
		.amdhsa_private_segment_fixed_size 0
		.amdhsa_kernarg_size 400
		.amdhsa_user_sgpr_count 2
		.amdhsa_user_sgpr_dispatch_ptr 0
		.amdhsa_user_sgpr_queue_ptr 0
		.amdhsa_user_sgpr_kernarg_segment_ptr 1
		.amdhsa_user_sgpr_dispatch_id 0
		.amdhsa_user_sgpr_kernarg_preload_length 0
		.amdhsa_user_sgpr_kernarg_preload_offset 0
		.amdhsa_user_sgpr_private_segment_size 0
		.amdhsa_uses_dynamic_stack 0
		.amdhsa_enable_private_segment 0
		.amdhsa_system_sgpr_workgroup_id_x 1
		.amdhsa_system_sgpr_workgroup_id_y 1
		.amdhsa_system_sgpr_workgroup_id_z 1
		.amdhsa_system_sgpr_workgroup_info 0
		.amdhsa_system_vgpr_workitem_id 0
		.amdhsa_next_free_vgpr 100
		.amdhsa_next_free_sgpr 38
		.amdhsa_accum_offset 92
		.amdhsa_reserve_vcc 1
		.amdhsa_float_round_mode_32 0
		.amdhsa_float_round_mode_16_64 0
		.amdhsa_float_denorm_mode_32 3
		.amdhsa_float_denorm_mode_16_64 3
		.amdhsa_dx10_clamp 1
		.amdhsa_ieee_mode 1
		.amdhsa_fp16_overflow 0
		.amdhsa_tg_split 0
		.amdhsa_exception_fp_ieee_invalid_op 0
		.amdhsa_exception_fp_denorm_src 0
		.amdhsa_exception_fp_ieee_div_zero 0
		.amdhsa_exception_fp_ieee_overflow 0
		.amdhsa_exception_fp_ieee_underflow 0
		.amdhsa_exception_fp_ieee_inexact 0
		.amdhsa_exception_int_div_zero 0
	.end_amdhsa_kernel
	.section	.text._Z38paged_attention_ll4mi_QKV_mfma4_kernelIDF16_DF16_LN4vllm18Fp8KVCacheDataTypeE0EhLi32ELi128ELi256ELb0ELi2EEvPKT_PKT0_S7_ifPKiS9_S9_iPKfiiiPfSC_PS2_PT2_iSB_SB_,"axG",@progbits,_Z38paged_attention_ll4mi_QKV_mfma4_kernelIDF16_DF16_LN4vllm18Fp8KVCacheDataTypeE0EhLi32ELi128ELi256ELb0ELi2EEvPKT_PKT0_S7_ifPKiS9_S9_iPKfiiiPfSC_PS2_PT2_iSB_SB_,comdat
.Lfunc_end325:
	.size	_Z38paged_attention_ll4mi_QKV_mfma4_kernelIDF16_DF16_LN4vllm18Fp8KVCacheDataTypeE0EhLi32ELi128ELi256ELb0ELi2EEvPKT_PKT0_S7_ifPKiS9_S9_iPKfiiiPfSC_PS2_PT2_iSB_SB_, .Lfunc_end325-_Z38paged_attention_ll4mi_QKV_mfma4_kernelIDF16_DF16_LN4vllm18Fp8KVCacheDataTypeE0EhLi32ELi128ELi256ELb0ELi2EEvPKT_PKT0_S7_ifPKiS9_S9_iPKfiiiPfSC_PS2_PT2_iSB_SB_
                                        ; -- End function
	.section	.AMDGPU.csdata,"",@progbits
; Kernel info:
; codeLenInByte = 3768
; NumSgprs: 44
; NumVgprs: 90
; NumAgprs: 8
; TotalNumVgprs: 100
; ScratchSize: 0
; MemoryBound: 0
; FloatMode: 240
; IeeeMode: 1
; LDSByteSize: 5280 bytes/workgroup (compile time only)
; SGPRBlocks: 5
; VGPRBlocks: 12
; NumSGPRsForWavesPerEU: 44
; NumVGPRsForWavesPerEU: 100
; AccumOffset: 92
; Occupancy: 4
; WaveLimiterHint : 1
; COMPUTE_PGM_RSRC2:SCRATCH_EN: 0
; COMPUTE_PGM_RSRC2:USER_SGPR: 2
; COMPUTE_PGM_RSRC2:TRAP_HANDLER: 0
; COMPUTE_PGM_RSRC2:TGID_X_EN: 1
; COMPUTE_PGM_RSRC2:TGID_Y_EN: 1
; COMPUTE_PGM_RSRC2:TGID_Z_EN: 1
; COMPUTE_PGM_RSRC2:TIDIG_COMP_CNT: 0
; COMPUTE_PGM_RSRC3_GFX90A:ACCUM_OFFSET: 22
; COMPUTE_PGM_RSRC3_GFX90A:TG_SPLIT: 0
	.section	.text._Z38paged_attention_ll4mi_QKV_mfma4_kernelIDF16_DF16_LN4vllm18Fp8KVCacheDataTypeE0EhLi32ELi128ELi256ELb0ELi3EEvPKT_PKT0_S7_ifPKiS9_S9_iPKfiiiPfSC_PS2_PT2_iSB_SB_,"axG",@progbits,_Z38paged_attention_ll4mi_QKV_mfma4_kernelIDF16_DF16_LN4vllm18Fp8KVCacheDataTypeE0EhLi32ELi128ELi256ELb0ELi3EEvPKT_PKT0_S7_ifPKiS9_S9_iPKfiiiPfSC_PS2_PT2_iSB_SB_,comdat
	.protected	_Z38paged_attention_ll4mi_QKV_mfma4_kernelIDF16_DF16_LN4vllm18Fp8KVCacheDataTypeE0EhLi32ELi128ELi256ELb0ELi3EEvPKT_PKT0_S7_ifPKiS9_S9_iPKfiiiPfSC_PS2_PT2_iSB_SB_ ; -- Begin function _Z38paged_attention_ll4mi_QKV_mfma4_kernelIDF16_DF16_LN4vllm18Fp8KVCacheDataTypeE0EhLi32ELi128ELi256ELb0ELi3EEvPKT_PKT0_S7_ifPKiS9_S9_iPKfiiiPfSC_PS2_PT2_iSB_SB_
	.globl	_Z38paged_attention_ll4mi_QKV_mfma4_kernelIDF16_DF16_LN4vllm18Fp8KVCacheDataTypeE0EhLi32ELi128ELi256ELb0ELi3EEvPKT_PKT0_S7_ifPKiS9_S9_iPKfiiiPfSC_PS2_PT2_iSB_SB_
	.p2align	8
	.type	_Z38paged_attention_ll4mi_QKV_mfma4_kernelIDF16_DF16_LN4vllm18Fp8KVCacheDataTypeE0EhLi32ELi128ELi256ELb0ELi3EEvPKT_PKT0_S7_ifPKiS9_S9_iPKfiiiPfSC_PS2_PT2_iSB_SB_,@function
_Z38paged_attention_ll4mi_QKV_mfma4_kernelIDF16_DF16_LN4vllm18Fp8KVCacheDataTypeE0EhLi32ELi128ELi256ELb0ELi3EEvPKT_PKT0_S7_ifPKiS9_S9_iPKfiiiPfSC_PS2_PT2_iSB_SB_: ; @_Z38paged_attention_ll4mi_QKV_mfma4_kernelIDF16_DF16_LN4vllm18Fp8KVCacheDataTypeE0EhLi32ELi128ELi256ELb0ELi3EEvPKT_PKT0_S7_ifPKiS9_S9_iPKfiiiPfSC_PS2_PT2_iSB_SB_
; %bb.0:
	s_load_dwordx2 s[16:17], s[0:1], 0x30
	s_mov_b32 s20, s3
	s_mov_b64 s[6:7], 0
	s_waitcnt lgkmcnt(0)
	s_cmp_lg_u64 s[16:17], 0
	s_cselect_b64 s[18:19], -1, 0
	s_and_b64 vcc, exec, s[18:19]
	s_cbranch_vccz .LBB326_10
; %bb.1:
	s_add_i32 s8, s2, 1
	s_mov_b32 s9, 0
	s_lshl_b64 s[10:11], s[8:9], 2
	s_add_u32 s10, s16, s10
	s_mov_b32 s3, s9
	s_addc_u32 s11, s17, s11
	s_lshl_b64 s[8:9], s[2:3], 2
	s_add_u32 s8, s16, s8
	s_addc_u32 s9, s17, s9
	s_load_dword s5, s[10:11], 0x0
	s_load_dword s12, s[8:9], 0x0
	s_waitcnt lgkmcnt(0)
	s_sub_i32 s5, s5, s12
	s_cmp_eq_u32 s5, 1
	s_cselect_b64 s[8:9], -1, 0
	s_andn2_b64 vcc, exec, s[6:7]
	s_cbranch_vccnz .LBB326_3
.LBB326_2:
	s_mov_b32 s3, 0
	s_mov_b64 s[8:9], -1
.LBB326_3:
	s_andn2_b64 vcc, exec, s[8:9]
	s_cbranch_vccnz .LBB326_25
; %bb.4:
	s_load_dword s5, s[0:1], 0x9c
	s_load_dwordx2 s[6:7], s[0:1], 0x28
	s_add_u32 s24, s0, 0x90
	s_addc_u32 s25, s1, 0
	s_lshl_b64 s[28:29], s[2:3], 2
	s_waitcnt lgkmcnt(0)
	s_and_b32 s5, s5, 0xffff
	s_add_u32 s6, s6, s28
	s_addc_u32 s7, s7, s29
	s_load_dword s3, s[6:7], 0x0
	s_mul_i32 s10, s20, s5
	s_waitcnt lgkmcnt(0)
	s_cmp_ge_i32 s10, s3
	s_cbranch_scc1 .LBB326_25
; %bb.5:
	v_and_b32_e32 v1, 0xc0, v0
	v_add_u32_e32 v2, s10, v1
	v_lshrrev_b32_e32 v70, 6, v0
	v_cmp_le_i32_e64 s[6:7], s3, v2
                                        ; implicit-def: $sgpr21
                                        ; implicit-def: $sgpr11
	s_and_saveexec_b64 s[8:9], s[6:7]
	s_xor_b64 s[8:9], exec, s[8:9]
	s_cbranch_execz .LBB326_7
; %bb.6:
	v_mul_u32_u24_e32 v1, 20, v70
	v_or_b32_e32 v1, 0x1400, v1
	v_mov_b32_e32 v2, 0x1450
	v_mov_b32_e32 v3, 0xff7fffff
	v_mad_u32_u24 v2, v70, 20, v2
	ds_write2_b32 v1, v3, v3 offset1:1
	v_mov_b32_e32 v1, 0
	ds_write2_b32 v2, v1, v1 offset1:1
	v_mov_b32_e32 v2, 0x1408
	s_mov_b32 s11, 0xff7fffff
	s_mov_b32 s21, 0
	v_mad_u32_u24 v2, v70, 20, v2
	v_mov_b32_e32 v4, 0x1458
	v_mad_u32_u24 v4, v70, 20, v4
	ds_write2_b32 v2, v3, v3 offset1:1
	ds_write2_b32 v4, v1, v1 offset1:1
                                        ; implicit-def: $vgpr2
.LBB326_7:
	s_or_saveexec_b64 s[26:27], s[8:9]
	s_load_dwordx2 s[22:23], s[0:1], 0x68
	s_load_dwordx4 s[12:15], s[0:1], 0x58
	s_load_dword s5, s[24:25], 0x4
	v_and_b32_e32 v1, 63, v0
	v_and_b32_e32 v71, 3, v0
	v_mov_b32_e32 v67, s21
	v_mov_b32_e32 v72, s11
	;; [unrolled: 1-line block ×5, first 2 shown]
                                        ; implicit-def: $vgpr31
                                        ; implicit-def: $vgpr19
                                        ; implicit-def: $vgpr23
                                        ; implicit-def: $vgpr27
                                        ; implicit-def: $vgpr3
                                        ; implicit-def: $vgpr7
                                        ; implicit-def: $vgpr11
                                        ; implicit-def: $vgpr15
                                        ; implicit-def: $vgpr51
                                        ; implicit-def: $vgpr55
                                        ; implicit-def: $vgpr59
                                        ; implicit-def: $vgpr63
                                        ; implicit-def: $vgpr39
                                        ; implicit-def: $vgpr47
                                        ; implicit-def: $vgpr35
                                        ; implicit-def: $vgpr43
	s_xor_b64 exec, exec, s[26:27]
	s_cbranch_execz .LBB326_17
; %bb.8:
	s_add_i32 s21, s3, 31
	s_load_dwordx2 s[8:9], s[0:1], 0x20
	s_load_dword s11, s[0:1], 0x38
	s_ashr_i32 s30, s21, 31
	s_lshr_b32 s30, s30, 27
	v_add_u32_e32 v72, s10, v0
	s_add_i32 s21, s21, s30
	v_ashrrev_i32_e32 v3, 31, v72
	s_ashr_i32 s21, s21, 5
	v_lshrrev_b32_e32 v3, 27, v3
	s_add_i32 s21, s21, -1
	v_add_u32_e32 v3, v72, v3
	s_waitcnt lgkmcnt(0)
	s_mul_i32 s30, s2, s11
	s_mov_b32 s31, 0
	v_ashrrev_i32_e32 v3, 5, v3
	v_mov_b32_e32 v4, s21
	v_cmp_gt_i32_e32 vcc, s3, v72
	s_lshl_b64 s[30:31], s[30:31], 2
	s_add_u32 s8, s8, s30
	v_cndmask_b32_e32 v4, v4, v3, vcc
	v_ashrrev_i32_e32 v3, 31, v2
	v_lshrrev_b32_e32 v3, 27, v3
	s_addc_u32 s9, s9, s31
	v_ashrrev_i32_e32 v5, 31, v4
	v_add_u32_e32 v2, v2, v3
	v_lshl_add_u64 v[6:7], v[4:5], 2, s[8:9]
	v_ashrrev_i32_e32 v4, 5, v2
	v_min_i32_e32 v2, s21, v4
	v_ashrrev_i32_e32 v3, 31, v2
	v_lshl_add_u64 v[8:9], v[2:3], 2, s[8:9]
	v_add_u32_e32 v2, 1, v4
	v_min_i32_e32 v2, s21, v2
	v_ashrrev_i32_e32 v3, 31, v2
	v_lshl_add_u64 v[10:11], v[2:3], 2, s[8:9]
	global_load_dword v4, v[6:7], off
	global_load_dword v2, v[8:9], off
	;; [unrolled: 1-line block ×3, first 2 shown]
	s_load_dwordx4 s[8:11], s[0:1], 0x8
	s_andn2_b64 vcc, exec, s[18:19]
	s_cbranch_vccnz .LBB326_11
; %bb.9:
	s_add_u32 s16, s16, s28
	s_addc_u32 s17, s17, s29
	s_load_dword s21, s[16:17], 0x0
	s_branch .LBB326_12
.LBB326_10:
	s_mov_b64 s[8:9], 0
	s_branch .LBB326_2
.LBB326_11:
	s_mov_b32 s21, s2
.LBB326_12:
	s_load_dwordx4 s[16:19], s[0:1], 0x48
	v_cmp_ne_u32_e32 vcc, 3, v71
	s_mov_b32 s29, 0
	v_mov_b32_e32 v73, 1.0
	v_mov_b32_e32 v19, 0
	v_mov_b32_e32 v66, 0
	;; [unrolled: 1-line block ×5, first 2 shown]
	s_and_saveexec_b64 s[30:31], vcc
	s_cbranch_execz .LBB326_14
; %bb.13:
	s_load_dwordx2 s[34:35], s[0:1], 0x0
	s_waitcnt lgkmcnt(0)
	s_ashr_i32 s19, s16, 31
	s_mul_hi_u32 s28, s21, s16
	s_mul_i32 s19, s21, s19
	s_add_i32 s37, s28, s19
	s_mul_i32 s36, s21, s16
	s_lshl_b64 s[36:37], s[36:37], 1
	s_add_u32 s16, s34, s36
	s_mul_i32 s28, s4, 0x180
	s_addc_u32 s19, s35, s37
	s_lshl_b64 s[34:35], s[28:29], 1
	v_lshlrev_b32_e32 v5, 2, v1
	s_add_u32 s34, s16, s34
	v_and_b32_e32 v5, 0xf0, v5
	s_addc_u32 s35, s19, s35
	v_lshl_or_b32 v5, v71, 8, v5
	global_load_dwordx4 v[66:69], v5, s[34:35]
	v_mov_b32_e32 v73, 0
.LBB326_14:
	s_or_b64 exec, exec, s[30:31]
	s_waitcnt lgkmcnt(0)
	s_mul_i32 s28, s4, s18
	s_lshl_b64 s[18:19], s[28:29], 1
	s_add_u32 s8, s18, s8
	s_waitcnt vmcnt(2)
	v_mad_i64_i32 v[4:5], s[30:31], v4, s17, 0
	s_addc_u32 s9, s19, s9
	v_lshl_add_u64 v[16:17], v[4:5], 1, s[8:9]
	v_and_b32_e32 v4, 31, v0
	v_lshlrev_b32_e32 v18, 4, v4
	v_lshl_add_u64 v[40:41], v[16:17], 0, v[18:19]
	global_load_dwordx4 v[4:7], v[40:41], off
	global_load_dwordx4 v[8:11], v[40:41], off offset:512
	global_load_dwordx4 v[12:15], v[40:41], off offset:1024
	;; [unrolled: 1-line block ×7, first 2 shown]
	v_mov_b32_e32 v41, v19
	v_or_b32_e32 v40, 0x1000, v18
	v_lshl_add_u64 v[40:41], v[16:17], 0, v[40:41]
	global_load_dwordx4 v[40:43], v[40:41], off
	v_mov_b32_e32 v45, v19
	v_or_b32_e32 v44, 0x1200, v18
	v_lshl_add_u64 v[44:45], v[16:17], 0, v[44:45]
	global_load_dwordx4 v[44:47], v[44:45], off
	;; [unrolled: 4-line block ×6, first 2 shown]
	v_or_b32_e32 v18, 0x1c00, v18
	v_lshl_add_u64 v[64:65], v[16:17], 0, v[18:19]
	global_load_dwordx4 v[74:77], v[64:65], off
	v_mov_b32_e32 v78, 0x1e00
	v_lshl_or_b32 v18, v0, 4, v78
	v_lshl_add_u64 v[16:17], v[16:17], 0, v[18:19]
	global_load_dwordx4 v[78:81], v[16:17], off
	s_waitcnt vmcnt(16)
	v_mul_hi_i32 v16, v3, s17
	v_mul_hi_i32 v64, v2, s17
	v_mov_b32_e32 v17, v19
	v_mov_b32_e32 v65, v19
	s_load_dword s0, s[0:1], 0x1c
	v_cmp_eq_u32_e32 vcc, 0, v71
	v_and_b32_e32 v87, -4, v72
	v_or_b32_e32 v72, 3, v72
	v_cndmask_b32_e64 v84, 0, 1.0, vcc
	v_cmp_eq_u32_e32 vcc, 1, v71
	v_lshlrev_b32_e32 v88, 2, v0
	s_waitcnt vmcnt(15)
	v_mfma_f32_4x4x4_16b_f16 a[0:3], v[66:67], v[4:5], 0 cbsz:4
	v_ashrrev_i32_e32 v4, 31, v16
	s_nop 0
	v_mfma_f32_4x4x4_16b_f16 a[0:3], v[68:69], v[6:7], a[0:3] cbsz:4
	v_lshrrev_b32_e32 v16, 29, v4
	v_ashrrev_i32_e32 v6, 31, v64
	s_waitcnt vmcnt(14)
	v_mfma_f32_4x4x4_16b_f16 a[0:3], v[66:67], v[8:9], a[0:3] cbsz:4 abid:1
	v_mad_i64_i32 v[4:5], s[8:9], v3, s17, v[16:17]
	s_nop 0
	v_mfma_f32_4x4x4_16b_f16 a[0:3], v[68:69], v[10:11], a[0:3] cbsz:4 abid:1
	s_add_u32 s8, s10, s18
	v_lshrrev_b32_e32 v18, 29, v6
	s_waitcnt vmcnt(13)
	v_mfma_f32_4x4x4_16b_f16 a[0:3], v[66:67], v[12:13], a[0:3] cbsz:4 abid:2
	s_addc_u32 s9, s11, s19
	v_mad_i64_i32 v[2:3], s[10:11], v2, s17, v[18:19]
	v_mfma_f32_4x4x4_16b_f16 a[0:3], v[68:69], v[14:15], a[0:3] cbsz:4 abid:2
	v_lshlrev_b64 v[4:5], 1, v[4:5]
	v_and_b32_e32 v4, -16, v4
	s_waitcnt vmcnt(12)
	v_mfma_f32_4x4x4_16b_f16 a[0:3], v[66:67], v[20:21], a[0:3] cbsz:4 abid:3
	v_lshlrev_b32_e32 v18, 6, v1
	v_lshl_add_u64 v[20:21], s[8:9], 0, v[4:5]
	v_mfma_f32_4x4x4_16b_f16 a[0:3], v[68:69], v[22:23], a[0:3] cbsz:4 abid:3
	v_lshlrev_b64 v[22:23], 1, v[2:3]
	v_and_b32_e32 v22, -16, v22
	s_waitcnt vmcnt(11)
	v_mfma_f32_4x4x4_16b_f16 a[0:3], v[66:67], v[24:25], a[0:3] cbsz:4 abid:4
	v_or_b32_e32 v64, 0x1000, v18
	v_lshl_add_u64 v[22:23], s[8:9], 0, v[22:23]
	v_mfma_f32_4x4x4_16b_f16 a[0:3], v[68:69], v[26:27], a[0:3] cbsz:4 abid:4
	v_lshl_add_u64 v[24:25], v[20:21], 0, v[18:19]
	v_lshl_add_u64 v[20:21], v[20:21], 0, v[64:65]
	s_waitcnt vmcnt(10)
	v_mfma_f32_4x4x4_16b_f16 a[0:3], v[66:67], v[28:29], a[0:3] cbsz:4 abid:5
	v_lshl_add_u64 v[82:83], v[22:23], 0, v[64:65]
	global_load_dwordx4 v[2:5], v[24:25], off
	global_load_dwordx4 v[6:9], v[24:25], off offset:16
	v_mfma_f32_4x4x4_16b_f16 a[0:3], v[68:69], v[30:31], a[0:3] cbsz:4 abid:5
	global_load_dwordx4 v[10:13], v[24:25], off offset:32
	global_load_dwordx4 v[14:17], v[24:25], off offset:48
	s_waitcnt vmcnt(13)
	v_mfma_f32_4x4x4_16b_f16 a[0:3], v[66:67], v[32:33], a[0:3] cbsz:4 abid:6
	v_cndmask_b32_e64 v85, 0, 1.0, vcc
	v_cmp_eq_u32_e32 vcc, 2, v71
	v_mfma_f32_4x4x4_16b_f16 a[0:3], v[68:69], v[34:35], a[0:3] cbsz:4 abid:6
	v_cmp_gt_i32_e64 s[10:11], s3, v72
	v_cndmask_b32_e64 v86, 0, 1.0, vcc
	s_waitcnt vmcnt(12)
	v_mfma_f32_4x4x4_16b_f16 a[0:3], v[66:67], v[36:37], a[0:3] cbsz:4 abid:7
	v_cmp_gt_i32_e32 vcc, s3, v87
	s_nop 0
	v_mfma_f32_4x4x4_16b_f16 a[0:3], v[68:69], v[38:39], a[0:3] cbsz:4 abid:7
	s_waitcnt vmcnt(11)
	s_nop 0
	v_mfma_f32_4x4x4_16b_f16 a[0:3], v[66:67], v[40:41], a[0:3] cbsz:4 abid:8
	s_nop 1
	v_mfma_f32_4x4x4_16b_f16 a[0:3], v[68:69], v[42:43], a[0:3] cbsz:4 abid:8
	s_waitcnt vmcnt(10)
	s_nop 0
	v_mfma_f32_4x4x4_16b_f16 a[0:3], v[66:67], v[44:45], a[0:3] cbsz:4 abid:9
	;; [unrolled: 5-line block ×3, first 2 shown]
	global_load_dwordx4 v[38:41], v[20:21], off
	global_load_dwordx4 v[46:49], v[20:21], off offset:16
	v_mfma_f32_4x4x4_16b_f16 a[0:3], v[68:69], v[50:51], a[0:3] cbsz:4 abid:10
	v_lshl_add_u64 v[50:51], v[22:23], 0, v[18:19]
	global_load_dwordx4 v[34:37], v[20:21], off offset:32
	global_load_dwordx4 v[42:45], v[20:21], off offset:48
	s_waitcnt vmcnt(12)
	v_mfma_f32_4x4x4_16b_f16 a[0:3], v[66:67], v[52:53], a[0:3] cbsz:4 abid:11
	global_load_dwordx4 v[30:33], v[50:51], off
	global_load_dwordx4 v[18:21], v[50:51], off offset:16
	v_mfma_f32_4x4x4_16b_f16 a[0:3], v[68:69], v[54:55], a[0:3] cbsz:4 abid:11
	global_load_dwordx4 v[22:25], v[50:51], off offset:32
	global_load_dwordx4 v[26:29], v[50:51], off offset:48
	s_waitcnt vmcnt(15)
	v_mfma_f32_4x4x4_16b_f16 a[0:3], v[66:67], v[56:57], a[0:3] cbsz:4 abid:12
	global_load_dwordx4 v[50:53], v[82:83], off
	global_load_dwordx4 v[54:57], v[82:83], off offset:16
	v_mfma_f32_4x4x4_16b_f16 a[0:3], v[68:69], v[58:59], a[0:3] cbsz:4 abid:12
	s_waitcnt vmcnt(16)
	s_nop 0
	v_mfma_f32_4x4x4_16b_f16 a[0:3], v[66:67], v[60:61], a[0:3] cbsz:4 abid:13
	s_nop 1
	v_mfma_f32_4x4x4_16b_f16 a[0:3], v[68:69], v[62:63], a[0:3] cbsz:4 abid:13
	global_load_dwordx4 v[58:61], v[82:83], off offset:32
	global_load_dwordx4 v[62:65], v[82:83], off offset:48
	s_waitcnt vmcnt(17)
	v_mfma_f32_4x4x4_16b_f16 a[0:3], v[66:67], v[74:75], a[0:3] cbsz:4 abid:14
	v_mov_b32_e32 v74, 0xff7fffff
	v_and_or_b32 v75, v88, 48, v71
	v_mfma_f32_4x4x4_16b_f16 a[0:3], v[68:69], v[76:77], a[0:3] cbsz:4 abid:14
	v_lshlrev_b32_e32 v75, 2, v75
	s_waitcnt vmcnt(16)
	v_mfma_f32_4x4x4_16b_f16 a[0:3], v[66:67], v[78:79], a[0:3] cbsz:4 abid:15
	s_nop 1
	v_mfma_f32_4x4x4_16b_f16 a[0:3], v[68:69], v[80:81], a[0:3] cbsz:4 abid:15
	s_nop 4
	v_accvgpr_read_b32 v67, a1
	v_accvgpr_read_b32 v66, a0
	s_waitcnt lgkmcnt(0)
	v_pk_mul_f32 v[66:67], s[0:1], v[66:67] op_sel_hi:[0,1]
	v_accvgpr_read_b32 v69, a3
	v_accvgpr_read_b32 v68, a2
	v_pk_mul_f32 v[68:69], s[0:1], v[68:69] op_sel_hi:[0,1]
	v_mfma_f32_4x4x1_16b_f32 a[0:3], v66, v84, 0
	v_or_b32_e32 v66, 1, v87
	s_nop 0
	v_mfma_f32_4x4x1_16b_f32 a[0:3], v67, v85, a[0:3]
	v_cmp_gt_i32_e64 s[0:1], s3, v66
	v_or_b32_e32 v67, 2, v87
	v_mfma_f32_4x4x1_16b_f32 a[0:3], v68, v86, a[0:3]
	v_cmp_gt_i32_e64 s[8:9], s3, v67
	s_nop 0
	v_mfma_f32_4x4x1_16b_f32 a[0:3], v69, v73, a[0:3]
	s_nop 3
	v_accvgpr_read_b32 v68, a0
	v_max_f32_e32 v77, v68, v68
	v_accvgpr_read_b32 v69, a1
	v_max_f32_e32 v77, 0xff7fffff, v77
	v_max_f32_e32 v78, v69, v69
	v_cndmask_b32_e32 v74, v74, v77, vcc
	v_accvgpr_read_b32 v73, a2
	v_max_f32_e32 v77, v74, v78
	v_max_f32_e32 v79, v73, v73
	v_cndmask_b32_e64 v66, v74, v77, s[0:1]
	v_accvgpr_read_b32 v76, a3
	v_max_f32_e32 v74, v66, v79
	v_max_f32_e32 v80, v76, v76
	v_cndmask_b32_e64 v66, v66, v74, s[8:9]
	v_max_f32_e32 v67, v66, v80
	v_cndmask_b32_e64 v66, v66, v67, s[10:11]
	;;#ASMSTART
	v_nop
 v_nop
 v_max_f32_dpp v66, v66, v66 row_ror:4
	;;#ASMEND
	s_nop 0
	;;#ASMSTART
	v_nop
 v_nop
 v_max_f32_dpp v66, v66, v66 row_ror:8
	;;#ASMEND
	ds_bpermute_b32 v66, v75, v66
	s_waitcnt lgkmcnt(0)
	;;#ASMSTART
	v_nop
 v_nop
 v_max_f32_dpp v66, v66, v66 row_ror:4
	;;#ASMEND
	s_nop 0
	;;#ASMSTART
	v_nop
 v_nop
 v_max_f32_dpp v72, v66, v66 row_ror:8
	;;#ASMEND
	s_nop 0
	v_sub_f32_e32 v66, v68, v72
	v_sub_f32_e32 v67, v69, v72
	;; [unrolled: 1-line block ×3, first 2 shown]
	v_mul_f32_e32 v66, 0x3fb8aa3b, v66
	v_mul_f32_e32 v67, 0x3fb8aa3b, v67
	;; [unrolled: 1-line block ×3, first 2 shown]
	v_exp_f32_e32 v66, v66
	v_sub_f32_e32 v69, v76, v72
	v_exp_f32_e32 v67, v67
	v_exp_f32_e32 v73, v68
	v_mul_f32_e32 v69, 0x3fb8aa3b, v69
	v_exp_f32_e32 v74, v69
	v_cndmask_b32_e32 v68, 0, v66, vcc
	v_cndmask_b32_e64 v69, 0, v67, s[0:1]
	v_cndmask_b32_e64 v66, 0, v73, s[8:9]
	v_add_f32_e32 v73, 0, v68
	v_add_f32_e32 v73, v73, v69
	v_cndmask_b32_e64 v67, 0, v74, s[10:11]
	v_add_f32_e32 v73, v73, v66
	v_add_f32_e32 v73, v73, v67
	;;#ASMSTART
	v_nop
 v_nop
 v_add_f32_dpp v73, v73, v73 row_ror:4
	;;#ASMEND
	v_cmp_gt_u32_e32 vcc, 4, v1
	;;#ASMSTART
	v_nop
 v_nop
 v_add_f32_dpp v73, v73, v73 row_ror:8
	;;#ASMEND
	ds_bpermute_b32 v73, v75, v73
	s_waitcnt lgkmcnt(0)
	;;#ASMSTART
	v_nop
 v_nop
 v_add_f32_dpp v73, v73, v73 row_ror:4
	;;#ASMEND
	s_nop 0
	;;#ASMSTART
	v_nop
 v_nop
 v_add_f32_dpp v73, v73, v73 row_ror:8
	;;#ASMEND
	s_and_saveexec_b64 s[0:1], vcc
	s_cbranch_execz .LBB326_16
; %bb.15:
	v_mul_u32_u24_e32 v74, 20, v70
	v_lshl_add_u32 v74, v71, 2, v74
	v_add_u32_e32 v74, 0x1400, v74
	ds_write2_b32 v74, v72, v73 offset1:20
.LBB326_16:
	s_or_b64 exec, exec, s[0:1]
.LBB326_17:
	s_or_b64 exec, exec, s[26:27]
	s_waitcnt lgkmcnt(0)
	s_barrier
	s_load_dword s0, s[24:25], 0x8
	v_lshlrev_b32_e32 v73, 2, v71
	v_add_u32_e32 v80, 0x1400, v73
	ds_read2_b32 v[74:75], v80 offset1:5
	ds_read2_b32 v[76:77], v80 offset0:10 offset1:15
	s_mul_i32 s1, s2, s5
	s_waitcnt lgkmcnt(0)
	s_mul_i32 s0, s1, s0
	s_mov_b32 s1, 0xff7fffff
	v_max3_f32 v73, v74, s1, v75
	v_max3_f32 v73, v73, v76, v77
	v_sub_f32_e32 v74, v74, v73
	ds_read2_b32 v[78:79], v80 offset0:20 offset1:25
	v_mul_f32_e32 v74, 0x3fb8aa3b, v74
	v_sub_f32_e32 v75, v75, v73
	v_exp_f32_e32 v74, v74
	v_mul_f32_e32 v75, 0x3fb8aa3b, v75
	v_sub_f32_e32 v76, v76, v73
	v_exp_f32_e32 v75, v75
	ds_read2_b32 v[80:81], v80 offset0:30 offset1:35
	v_mul_f32_e32 v76, 0x3fb8aa3b, v76
	v_sub_f32_e32 v77, v77, v73
	v_exp_f32_e32 v76, v76
	v_mul_f32_e32 v77, 0x3fb8aa3b, v77
	v_exp_f32_e32 v77, v77
	s_waitcnt lgkmcnt(1)
	v_fma_f32 v74, v74, v78, 0
	v_fmac_f32_e32 v74, v75, v79
	s_waitcnt lgkmcnt(0)
	v_fmac_f32_e32 v74, v76, v80
	s_mul_i32 s4, s4, 3
	s_mul_i32 s0, s0, 3
	v_fmac_f32_e32 v74, v77, v81
	v_cmp_ne_u32_e32 vcc, 3, v71
	s_and_saveexec_b64 s[2:3], vcc
	s_cbranch_execz .LBB326_19
; %bb.18:
	s_mov_b32 s1, 0
	s_lshl_b64 s[8:9], s[0:1], 2
	s_add_u32 s12, s12, s8
	s_mov_b32 s21, s1
	s_addc_u32 s13, s13, s9
	s_lshl_b64 s[10:11], s[20:21], 2
	s_add_u32 s12, s12, s10
	s_addc_u32 s13, s13, s11
	s_add_u32 s1, s14, s8
	s_addc_u32 s9, s15, s9
	v_add_u32_e32 v71, s4, v71
	s_add_u32 s8, s1, s10
	v_mul_lo_u32 v76, s5, v71
	v_mov_b32_e32 v77, 0
	s_addc_u32 s9, s9, s11
	v_lshlrev_b64 v[76:77], 2, v[76:77]
	v_lshl_add_u64 v[78:79], s[12:13], 0, v[76:77]
	v_lshl_add_u64 v[76:77], s[8:9], 0, v[76:77]
	global_store_dword v[76:77], v73, off
	global_store_dword v[78:79], v74, off
.LBB326_19:
	s_or_b64 exec, exec, s[2:3]
	v_lshlrev_b32_e32 v70, 3, v70
	s_and_saveexec_b64 s[2:3], s[6:7]
	s_xor_b64 s[2:3], exec, s[2:3]
	s_cbranch_execz .LBB326_21
; %bb.20:
	s_mov_b32 s6, 0
	s_mov_b32 s7, s6
	s_waitcnt vmcnt(15)
	v_mad_u32_u24 v4, v1, 40, v70
	v_mov_b64_e32 v[2:3], s[6:7]
	ds_write2st64_b64 v4, v[2:3], v[2:3] offset1:5
                                        ; implicit-def: $vgpr67
                                        ; implicit-def: $vgpr69
                                        ; implicit-def: $vgpr31
                                        ; implicit-def: $vgpr19
                                        ; implicit-def: $vgpr23
                                        ; implicit-def: $vgpr27
                                        ; implicit-def: $vgpr3
                                        ; implicit-def: $vgpr7
                                        ; implicit-def: $vgpr11
                                        ; implicit-def: $vgpr15
                                        ; implicit-def: $vgpr51
                                        ; implicit-def: $vgpr55
                                        ; implicit-def: $vgpr59
                                        ; implicit-def: $vgpr63
                                        ; implicit-def: $vgpr39
                                        ; implicit-def: $vgpr47
                                        ; implicit-def: $vgpr35
                                        ; implicit-def: $vgpr43
                                        ; implicit-def: $vgpr72
                                        ; implicit-def: $vgpr73
                                        ; implicit-def: $vgpr74
                                        ; implicit-def: $vgpr70
.LBB326_21:
	s_andn2_saveexec_b64 s[2:3], s[2:3]
	s_cbranch_execz .LBB326_23
; %bb.22:
	v_add_f32_e32 v71, 0x358637bd, v74
	v_div_scale_f32 v74, s[6:7], v71, v71, 1.0
	v_rcp_f32_e32 v75, v74
	v_sub_f32_e32 v72, v72, v73
	v_mul_f32_e32 v72, 0x3fb8aa3b, v72
	v_exp_f32_e32 v72, v72
	v_fma_f32 v73, -v74, v75, 1.0
	v_fmac_f32_e32 v75, v73, v75
	v_div_scale_f32 v73, vcc, 1.0, v71, 1.0
	v_mul_f32_e32 v76, v73, v75
	v_fma_f32 v77, -v74, v76, v73
	v_fmac_f32_e32 v76, v77, v75
	v_fma_f32 v73, -v74, v76, v73
	v_div_fmas_f32 v73, v73, v75, v76
	v_div_fixup_f32 v71, v73, v71, 1.0
	v_mul_f32_e32 v72, v72, v71
	v_pk_mul_f32 v[66:67], v[66:67], v[72:73] op_sel_hi:[1,0]
	v_pk_mul_f32 v[68:69], v[68:69], v[72:73] op_sel_hi:[1,0]
	v_cvt_f16_f32_e32 v71, v66
	v_cvt_f16_f32_e32 v68, v68
	;; [unrolled: 1-line block ×4, first 2 shown]
	v_pack_b32_f16 v66, v68, v69
	v_pack_b32_f16 v67, v71, v67
	s_waitcnt vmcnt(7)
	s_nop 0
	v_mfma_f32_4x4x4_16b_f16 a[0:3], v[66:67], v[30:31], 0 cbsz:4
	s_nop 1
	v_mfma_f32_4x4x4_16b_f16 a[0:3], v[66:67], v[32:33], a[0:3] cbsz:4 abid:1
	s_waitcnt vmcnt(3)
	v_mfma_f32_4x4x4_16b_f16 a[4:7], v[66:67], v[50:51], 0 cbsz:4
	v_mfma_f32_4x4x4_16b_f16 a[0:3], v[66:67], v[18:19], a[0:3] cbsz:4 abid:2
	s_nop 0
	v_mfma_f32_4x4x4_16b_f16 a[4:7], v[66:67], v[52:53], a[4:7] cbsz:4 abid:1
	v_mfma_f32_4x4x4_16b_f16 a[0:3], v[66:67], v[20:21], a[0:3] cbsz:4 abid:3
	s_waitcnt vmcnt(2)
	v_mfma_f32_4x4x4_16b_f16 a[4:7], v[66:67], v[54:55], a[4:7] cbsz:4 abid:2
	v_mfma_f32_4x4x4_16b_f16 a[0:3], v[66:67], v[22:23], a[0:3] cbsz:4 abid:4
	s_nop 0
	v_mfma_f32_4x4x4_16b_f16 a[4:7], v[66:67], v[56:57], a[4:7] cbsz:4 abid:3
	v_mfma_f32_4x4x4_16b_f16 a[0:3], v[66:67], v[24:25], a[0:3] cbsz:4 abid:5
	s_waitcnt vmcnt(1)
	v_mfma_f32_4x4x4_16b_f16 a[4:7], v[66:67], v[58:59], a[4:7] cbsz:4 abid:4
	;; [unrolled: 6-line block ×3, first 2 shown]
	v_mfma_f32_4x4x4_16b_f16 a[0:3], v[66:67], v[2:3], a[0:3] cbsz:4 abid:8
	s_nop 0
	v_mfma_f32_4x4x4_16b_f16 a[4:7], v[66:67], v[64:65], a[4:7] cbsz:4 abid:7
	v_mfma_f32_4x4x4_16b_f16 a[0:3], v[66:67], v[4:5], a[0:3] cbsz:4 abid:9
	s_nop 0
	v_mfma_f32_4x4x4_16b_f16 a[4:7], v[66:67], v[38:39], a[4:7] cbsz:4 abid:8
	;; [unrolled: 3-line block ×3, first 2 shown]
	v_mfma_f32_4x4x4_16b_f16 a[0:3], v[66:67], v[8:9], a[0:3] cbsz:4 abid:11
	v_mad_u32_u24 v9, v1, 40, v70
	v_mfma_f32_4x4x4_16b_f16 a[4:7], v[66:67], v[46:47], a[4:7] cbsz:4 abid:10
	v_mfma_f32_4x4x4_16b_f16 a[0:3], v[66:67], v[10:11], a[0:3] cbsz:4 abid:12
	s_nop 0
	v_mfma_f32_4x4x4_16b_f16 a[4:7], v[66:67], v[48:49], a[4:7] cbsz:4 abid:11
	v_mfma_f32_4x4x4_16b_f16 a[0:3], v[66:67], v[12:13], a[0:3] cbsz:4 abid:13
	s_nop 0
	;; [unrolled: 3-line block ×3, first 2 shown]
	v_mfma_f32_4x4x4_16b_f16 a[0:3], v[66:67], v[16:17], a[0:3] cbsz:4 abid:15
	s_nop 4
	v_accvgpr_read_b32 v2, a0
	v_accvgpr_read_b32 v3, a1
	;; [unrolled: 1-line block ×4, first 2 shown]
	v_mfma_f32_4x4x4_16b_f16 a[0:3], v[66:67], v[36:37], a[4:7] cbsz:4 abid:13
	v_cvt_f16_f32_e32 v2, v2
	v_cvt_f16_f32_e32 v3, v3
	v_mfma_f32_4x4x4_16b_f16 a[0:3], v[66:67], v[42:43], a[0:3] cbsz:4 abid:14
	v_pack_b32_f16 v2, v2, v3
	s_nop 0
	v_mfma_f32_4x4x4_16b_f16 a[0:3], v[66:67], v[44:45], a[0:3] cbsz:4 abid:15
	v_cvt_f16_f32_e32 v3, v4
	v_cvt_f16_f32_e32 v4, v5
	v_pack_b32_f16 v3, v3, v4
	s_nop 1
	v_accvgpr_read_b32 v5, a0
	v_accvgpr_read_b32 v6, a1
	;; [unrolled: 1-line block ×4, first 2 shown]
	v_cvt_f16_f32_e32 v5, v5
	v_cvt_f16_f32_e32 v6, v6
	v_cvt_f16_f32_e32 v7, v7
	v_cvt_f16_f32_e32 v8, v8
	v_pack_b32_f16 v4, v5, v6
	v_pack_b32_f16 v5, v7, v8
	ds_write2st64_b64 v9, v[2:3], v[4:5] offset1:5
.LBB326_23:
	s_or_b64 exec, exec, s[2:3]
	v_cmp_gt_u32_e32 vcc, 64, v0
	s_waitcnt lgkmcnt(0)
	s_barrier
	s_and_saveexec_b64 s[2:3], vcc
	s_cbranch_execz .LBB326_25
; %bb.24:
	s_waitcnt vmcnt(14)
	v_mul_u32_u24_e32 v6, 40, v1
	ds_read2_b64 v[2:5], v6 offset1:1
	ds_read2_b64 v[6:9], v6 offset0:2 offset1:3
	s_mov_b32 s1, 0
	s_lshl_b32 s0, s0, 7
	s_lshl_b64 s[2:3], s[0:1], 1
	s_waitcnt lgkmcnt(1)
	v_pk_add_f16 v2, v2, 0
	v_pk_add_f16 v3, v3, 0
	v_pk_add_f16 v2, v2, v4
	v_pk_add_f16 v3, v3, v5
	s_waitcnt lgkmcnt(0)
	v_pk_add_f16 v2, v2, v6
	v_pk_add_f16 v6, v3, v7
	s_waitcnt vmcnt(13)
	v_pk_add_f16 v10, v2, v8
	v_mov_b32_e32 v2, 0xa00
	v_mad_u32_u24 v2, v1, 40, v2
	ds_read2_b64 v[2:5], v2 offset1:1
	v_pk_add_f16 v11, v6, v9
	v_mov_b32_e32 v6, 0xa10
	v_mad_u32_u24 v1, v1, 40, v6
	ds_read2_b64 v[6:9], v1 offset1:1
	s_add_u32 s2, s22, s2
	s_addc_u32 s3, s23, s3
	s_lshl_b32 s0, s20, 7
	s_lshl_b64 s[0:1], s[0:1], 1
	s_waitcnt lgkmcnt(1)
	v_pk_add_f16 v1, v2, 0
	v_pk_add_f16 v2, v3, 0
	s_add_u32 s0, s2, s0
	v_pk_add_f16 v2, v2, v5
	s_addc_u32 s1, s3, s1
	s_lshl_b32 s2, s5, 7
	s_waitcnt lgkmcnt(0)
	v_pk_add_f16 v2, v2, v7
	s_mul_i32 s3, s2, s4
	v_pk_add_f16 v9, v2, v9
	v_or_b32_e32 v2, s3, v0
	v_mov_b32_e32 v3, 0
	s_add_i32 s3, s3, s2
	v_pk_add_f16 v1, v1, v4
	v_lshl_add_u64 v[4:5], v[2:3], 1, s[0:1]
	v_or_b32_e32 v2, s3, v0
	s_add_i32 s3, s3, s2
	v_pk_add_f16 v1, v1, v6
	v_lshl_add_u64 v[6:7], v[2:3], 1, s[0:1]
	v_or_b32_e32 v2, s3, v0
	v_pk_add_f16 v8, v1, v8
	v_lshl_add_u64 v[0:1], v[2:3], 1, s[0:1]
	global_store_short v[4:5], v10, off
	global_store_short_d16_hi v[6:7], v10, off
	global_store_short v[0:1], v11, off
	global_store_short v[4:5], v8, off offset:128
	global_store_short_d16_hi v[6:7], v8, off offset:128
	global_store_short v[0:1], v9, off offset:128
.LBB326_25:
	s_endpgm
	.section	.rodata,"a",@progbits
	.p2align	6, 0x0
	.amdhsa_kernel _Z38paged_attention_ll4mi_QKV_mfma4_kernelIDF16_DF16_LN4vllm18Fp8KVCacheDataTypeE0EhLi32ELi128ELi256ELb0ELi3EEvPKT_PKT0_S7_ifPKiS9_S9_iPKfiiiPfSC_PS2_PT2_iSB_SB_
		.amdhsa_group_segment_fixed_size 5280
		.amdhsa_private_segment_fixed_size 0
		.amdhsa_kernarg_size 400
		.amdhsa_user_sgpr_count 2
		.amdhsa_user_sgpr_dispatch_ptr 0
		.amdhsa_user_sgpr_queue_ptr 0
		.amdhsa_user_sgpr_kernarg_segment_ptr 1
		.amdhsa_user_sgpr_dispatch_id 0
		.amdhsa_user_sgpr_kernarg_preload_length 0
		.amdhsa_user_sgpr_kernarg_preload_offset 0
		.amdhsa_user_sgpr_private_segment_size 0
		.amdhsa_uses_dynamic_stack 0
		.amdhsa_enable_private_segment 0
		.amdhsa_system_sgpr_workgroup_id_x 1
		.amdhsa_system_sgpr_workgroup_id_y 1
		.amdhsa_system_sgpr_workgroup_id_z 1
		.amdhsa_system_sgpr_workgroup_info 0
		.amdhsa_system_vgpr_workitem_id 0
		.amdhsa_next_free_vgpr 100
		.amdhsa_next_free_sgpr 38
		.amdhsa_accum_offset 92
		.amdhsa_reserve_vcc 1
		.amdhsa_float_round_mode_32 0
		.amdhsa_float_round_mode_16_64 0
		.amdhsa_float_denorm_mode_32 3
		.amdhsa_float_denorm_mode_16_64 3
		.amdhsa_dx10_clamp 1
		.amdhsa_ieee_mode 1
		.amdhsa_fp16_overflow 0
		.amdhsa_tg_split 0
		.amdhsa_exception_fp_ieee_invalid_op 0
		.amdhsa_exception_fp_denorm_src 0
		.amdhsa_exception_fp_ieee_div_zero 0
		.amdhsa_exception_fp_ieee_overflow 0
		.amdhsa_exception_fp_ieee_underflow 0
		.amdhsa_exception_fp_ieee_inexact 0
		.amdhsa_exception_int_div_zero 0
	.end_amdhsa_kernel
	.section	.text._Z38paged_attention_ll4mi_QKV_mfma4_kernelIDF16_DF16_LN4vllm18Fp8KVCacheDataTypeE0EhLi32ELi128ELi256ELb0ELi3EEvPKT_PKT0_S7_ifPKiS9_S9_iPKfiiiPfSC_PS2_PT2_iSB_SB_,"axG",@progbits,_Z38paged_attention_ll4mi_QKV_mfma4_kernelIDF16_DF16_LN4vllm18Fp8KVCacheDataTypeE0EhLi32ELi128ELi256ELb0ELi3EEvPKT_PKT0_S7_ifPKiS9_S9_iPKfiiiPfSC_PS2_PT2_iSB_SB_,comdat
.Lfunc_end326:
	.size	_Z38paged_attention_ll4mi_QKV_mfma4_kernelIDF16_DF16_LN4vllm18Fp8KVCacheDataTypeE0EhLi32ELi128ELi256ELb0ELi3EEvPKT_PKT0_S7_ifPKiS9_S9_iPKfiiiPfSC_PS2_PT2_iSB_SB_, .Lfunc_end326-_Z38paged_attention_ll4mi_QKV_mfma4_kernelIDF16_DF16_LN4vllm18Fp8KVCacheDataTypeE0EhLi32ELi128ELi256ELb0ELi3EEvPKT_PKT0_S7_ifPKiS9_S9_iPKfiiiPfSC_PS2_PT2_iSB_SB_
                                        ; -- End function
	.section	.AMDGPU.csdata,"",@progbits
; Kernel info:
; codeLenInByte = 3868
; NumSgprs: 44
; NumVgprs: 89
; NumAgprs: 8
; TotalNumVgprs: 100
; ScratchSize: 0
; MemoryBound: 0
; FloatMode: 240
; IeeeMode: 1
; LDSByteSize: 5280 bytes/workgroup (compile time only)
; SGPRBlocks: 5
; VGPRBlocks: 12
; NumSGPRsForWavesPerEU: 44
; NumVGPRsForWavesPerEU: 100
; AccumOffset: 92
; Occupancy: 4
; WaveLimiterHint : 1
; COMPUTE_PGM_RSRC2:SCRATCH_EN: 0
; COMPUTE_PGM_RSRC2:USER_SGPR: 2
; COMPUTE_PGM_RSRC2:TRAP_HANDLER: 0
; COMPUTE_PGM_RSRC2:TGID_X_EN: 1
; COMPUTE_PGM_RSRC2:TGID_Y_EN: 1
; COMPUTE_PGM_RSRC2:TGID_Z_EN: 1
; COMPUTE_PGM_RSRC2:TIDIG_COMP_CNT: 0
; COMPUTE_PGM_RSRC3_GFX90A:ACCUM_OFFSET: 22
; COMPUTE_PGM_RSRC3_GFX90A:TG_SPLIT: 0
	.section	.text._Z38paged_attention_ll4mi_QKV_mfma4_kernelIDF16_DF16_LN4vllm18Fp8KVCacheDataTypeE0EhLi32ELi128ELi256ELb0ELi4EEvPKT_PKT0_S7_ifPKiS9_S9_iPKfiiiPfSC_PS2_PT2_iSB_SB_,"axG",@progbits,_Z38paged_attention_ll4mi_QKV_mfma4_kernelIDF16_DF16_LN4vllm18Fp8KVCacheDataTypeE0EhLi32ELi128ELi256ELb0ELi4EEvPKT_PKT0_S7_ifPKiS9_S9_iPKfiiiPfSC_PS2_PT2_iSB_SB_,comdat
	.protected	_Z38paged_attention_ll4mi_QKV_mfma4_kernelIDF16_DF16_LN4vllm18Fp8KVCacheDataTypeE0EhLi32ELi128ELi256ELb0ELi4EEvPKT_PKT0_S7_ifPKiS9_S9_iPKfiiiPfSC_PS2_PT2_iSB_SB_ ; -- Begin function _Z38paged_attention_ll4mi_QKV_mfma4_kernelIDF16_DF16_LN4vllm18Fp8KVCacheDataTypeE0EhLi32ELi128ELi256ELb0ELi4EEvPKT_PKT0_S7_ifPKiS9_S9_iPKfiiiPfSC_PS2_PT2_iSB_SB_
	.globl	_Z38paged_attention_ll4mi_QKV_mfma4_kernelIDF16_DF16_LN4vllm18Fp8KVCacheDataTypeE0EhLi32ELi128ELi256ELb0ELi4EEvPKT_PKT0_S7_ifPKiS9_S9_iPKfiiiPfSC_PS2_PT2_iSB_SB_
	.p2align	8
	.type	_Z38paged_attention_ll4mi_QKV_mfma4_kernelIDF16_DF16_LN4vllm18Fp8KVCacheDataTypeE0EhLi32ELi128ELi256ELb0ELi4EEvPKT_PKT0_S7_ifPKiS9_S9_iPKfiiiPfSC_PS2_PT2_iSB_SB_,@function
_Z38paged_attention_ll4mi_QKV_mfma4_kernelIDF16_DF16_LN4vllm18Fp8KVCacheDataTypeE0EhLi32ELi128ELi256ELb0ELi4EEvPKT_PKT0_S7_ifPKiS9_S9_iPKfiiiPfSC_PS2_PT2_iSB_SB_: ; @_Z38paged_attention_ll4mi_QKV_mfma4_kernelIDF16_DF16_LN4vllm18Fp8KVCacheDataTypeE0EhLi32ELi128ELi256ELb0ELi4EEvPKT_PKT0_S7_ifPKiS9_S9_iPKfiiiPfSC_PS2_PT2_iSB_SB_
; %bb.0:
	s_load_dwordx2 s[8:9], s[0:1], 0x30
	s_mov_b32 s20, s3
	s_mov_b64 s[6:7], 0
	s_waitcnt lgkmcnt(0)
	s_cmp_lg_u64 s[8:9], 0
	s_cselect_b64 s[10:11], -1, 0
	s_and_b64 vcc, exec, s[10:11]
	s_cbranch_vccz .LBB327_20
; %bb.1:
	s_add_i32 s12, s2, 1
	s_mov_b32 s13, 0
	s_lshl_b64 s[14:15], s[12:13], 2
	s_add_u32 s14, s8, s14
	s_mov_b32 s3, s13
	s_addc_u32 s15, s9, s15
	s_lshl_b64 s[12:13], s[2:3], 2
	s_add_u32 s12, s8, s12
	s_addc_u32 s13, s9, s13
	s_load_dword s5, s[14:15], 0x0
	s_load_dword s16, s[12:13], 0x0
	s_mov_b64 s[30:31], s[2:3]
	s_waitcnt lgkmcnt(0)
	s_sub_i32 s5, s5, s16
	s_cmp_eq_u32 s5, 1
	s_cselect_b64 s[12:13], -1, 0
	s_andn2_b64 vcc, exec, s[6:7]
	s_cbranch_vccnz .LBB327_3
.LBB327_2:
	s_mov_b32 s3, 0
	s_mov_b64 s[12:13], -1
	s_mov_b64 s[30:31], s[2:3]
.LBB327_3:
	s_andn2_b64 vcc, exec, s[12:13]
	s_cbranch_vccnz .LBB327_19
; %bb.4:
	s_load_dword s3, s[0:1], 0x9c
	s_load_dwordx2 s[6:7], s[0:1], 0x28
	s_add_u32 s24, s0, 0x90
	s_addc_u32 s25, s1, 0
	s_lshl_b64 s[34:35], s[30:31], 2
	s_waitcnt lgkmcnt(0)
	s_and_b32 s5, s3, 0xffff
	s_add_u32 s6, s6, s34
	s_addc_u32 s7, s7, s35
	s_load_dword s3, s[6:7], 0x0
	s_mul_i32 s16, s20, s5
	s_waitcnt lgkmcnt(0)
	s_cmp_ge_i32 s16, s3
	s_cbranch_scc1 .LBB327_19
; %bb.5:
	v_and_b32_e32 v1, 0xc0, v0
	v_add_u32_e32 v2, s16, v1
	v_lshrrev_b32_e32 v70, 6, v0
	v_cmp_le_i32_e64 s[6:7], s3, v2
                                        ; implicit-def: $sgpr18
                                        ; implicit-def: $sgpr17
	s_and_saveexec_b64 s[12:13], s[6:7]
	s_xor_b64 s[12:13], exec, s[12:13]
	s_cbranch_execz .LBB327_7
; %bb.6:
	v_mul_u32_u24_e32 v1, 20, v70
	v_or_b32_e32 v1, 0x1400, v1
	v_mov_b32_e32 v2, 0x1450
	v_mov_b32_e32 v3, 0xff7fffff
	v_mad_u32_u24 v2, v70, 20, v2
	ds_write2_b32 v1, v3, v3 offset1:1
	v_mov_b32_e32 v1, 0
	ds_write2_b32 v2, v1, v1 offset1:1
	v_mov_b32_e32 v2, 0x1408
	s_mov_b32 s17, 0xff7fffff
	s_mov_b32 s18, 0
	v_mad_u32_u24 v2, v70, 20, v2
	v_mov_b32_e32 v4, 0x1458
	v_mad_u32_u24 v4, v70, 20, v4
	ds_write2_b32 v2, v3, v3 offset1:1
	ds_write2_b32 v4, v1, v1 offset1:1
                                        ; implicit-def: $vgpr2
.LBB327_7:
	s_or_saveexec_b64 s[26:27], s[12:13]
	s_load_dwordx2 s[22:23], s[0:1], 0x68
	s_load_dwordx4 s[12:15], s[0:1], 0x58
	s_load_dword s5, s[24:25], 0x4
	v_and_b32_e32 v1, 63, v0
	v_and_b32_e32 v71, 3, v0
	v_mov_b32_e32 v69, s18
	v_mov_b32_e32 v72, s17
	;; [unrolled: 1-line block ×5, first 2 shown]
                                        ; implicit-def: $vgpr31
                                        ; implicit-def: $vgpr19
                                        ; implicit-def: $vgpr23
                                        ; implicit-def: $vgpr27
                                        ; implicit-def: $vgpr3
                                        ; implicit-def: $vgpr7
                                        ; implicit-def: $vgpr11
                                        ; implicit-def: $vgpr15
                                        ; implicit-def: $vgpr51
                                        ; implicit-def: $vgpr55
                                        ; implicit-def: $vgpr59
                                        ; implicit-def: $vgpr63
                                        ; implicit-def: $vgpr39
                                        ; implicit-def: $vgpr47
                                        ; implicit-def: $vgpr35
                                        ; implicit-def: $vgpr43
	s_xor_b64 exec, exec, s[26:27]
	s_cbranch_execz .LBB327_13
; %bb.8:
	s_add_i32 s21, s3, 31
	s_load_dwordx2 s[18:19], s[0:1], 0x20
	s_load_dword s17, s[0:1], 0x38
	s_ashr_i32 s28, s21, 31
	s_lshr_b32 s28, s28, 27
	v_add_u32_e32 v66, s16, v0
	s_add_i32 s21, s21, s28
	v_ashrrev_i32_e32 v3, 31, v66
	s_ashr_i32 s21, s21, 5
	v_lshrrev_b32_e32 v3, 27, v3
	s_add_i32 s21, s21, -1
	v_add_u32_e32 v3, v66, v3
	s_waitcnt lgkmcnt(0)
	s_mul_i32 s36, s2, s17
	s_mov_b32 s37, 0
	v_ashrrev_i32_e32 v3, 5, v3
	v_mov_b32_e32 v4, s21
	v_cmp_gt_i32_e32 vcc, s3, v66
	s_lshl_b64 s[28:29], s[36:37], 2
	s_add_u32 s18, s18, s28
	v_cndmask_b32_e32 v4, v4, v3, vcc
	v_ashrrev_i32_e32 v3, 31, v2
	v_lshrrev_b32_e32 v3, 27, v3
	s_addc_u32 s19, s19, s29
	v_ashrrev_i32_e32 v5, 31, v4
	v_add_u32_e32 v2, v2, v3
	v_lshl_add_u64 v[6:7], v[4:5], 2, s[18:19]
	v_ashrrev_i32_e32 v4, 5, v2
	v_min_i32_e32 v2, s21, v4
	v_ashrrev_i32_e32 v3, 31, v2
	v_lshl_add_u64 v[8:9], v[2:3], 2, s[18:19]
	v_add_u32_e32 v2, 1, v4
	v_min_i32_e32 v2, s21, v2
	v_ashrrev_i32_e32 v3, 31, v2
	v_lshl_add_u64 v[10:11], v[2:3], 2, s[18:19]
	global_load_dword v2, v[6:7], off
	global_load_dword v4, v[8:9], off
	;; [unrolled: 1-line block ×3, first 2 shown]
	s_load_dwordx4 s[16:19], s[0:1], 0x0
	s_load_dwordx2 s[28:29], s[0:1], 0x10
	s_andn2_b64 vcc, exec, s[10:11]
	s_cbranch_vccnz .LBB327_10
; %bb.9:
	s_add_u32 s8, s8, s34
	s_addc_u32 s9, s9, s35
	s_load_dword s36, s[8:9], 0x0
	s_waitcnt lgkmcnt(0)
	s_mov_b64 s[30:31], s[36:37]
.LBB327_10:
	s_load_dwordx4 s[8:11], s[0:1], 0x48
	v_lshlrev_b32_e32 v3, 2, v1
	v_and_b32_e32 v3, 0xf0, v3
	v_lshl_or_b32 v3, v71, 8, v3
	v_and_b32_e32 v6, 31, v0
	s_waitcnt lgkmcnt(0)
	s_ashr_i32 s11, s8, 31
	s_mul_hi_u32 s21, s30, s8
	s_mul_i32 s31, s31, s8
	s_mul_i32 s34, s30, s8
	s_mul_i32 s8, s30, s11
	s_add_i32 s8, s21, s8
	s_add_i32 s35, s8, s31
	s_lshl_b64 s[30:31], s[34:35], 1
	s_add_u32 s8, s16, s30
	s_addc_u32 s11, s17, s31
	s_lshl_b32 s36, s4, 9
	s_lshl_b64 s[16:17], s[36:37], 1
	s_add_u32 s16, s8, s16
	s_addc_u32 s17, s11, s17
	global_load_dwordx4 v[72:75], v3, s[16:17]
	s_mul_i32 s36, s4, s10
	s_waitcnt vmcnt(3)
	v_mad_i64_i32 v[2:3], s[16:17], v2, s9, 0
	s_lshl_b64 s[10:11], s[36:37], 1
	s_add_u32 s16, s10, s18
	s_addc_u32 s17, s11, s19
	v_lshl_add_u64 v[2:3], v[2:3], 1, s[16:17]
	v_lshlrev_b32_e32 v18, 4, v6
	v_mov_b32_e32 v19, 0
	v_lshl_add_u64 v[40:41], v[2:3], 0, v[18:19]
	global_load_dwordx4 v[6:9], v[40:41], off
	global_load_dwordx4 v[10:13], v[40:41], off offset:512
	global_load_dwordx4 v[14:17], v[40:41], off offset:1024
	;; [unrolled: 1-line block ×7, first 2 shown]
	v_mov_b32_e32 v41, v19
	v_or_b32_e32 v40, 0x1000, v18
	v_lshl_add_u64 v[40:41], v[2:3], 0, v[40:41]
	global_load_dwordx4 v[40:43], v[40:41], off
	v_mov_b32_e32 v45, v19
	v_or_b32_e32 v44, 0x1200, v18
	v_lshl_add_u64 v[44:45], v[2:3], 0, v[44:45]
	global_load_dwordx4 v[44:47], v[44:45], off
	;; [unrolled: 4-line block ×6, first 2 shown]
	v_or_b32_e32 v18, 0x1c00, v18
	v_lshl_add_u64 v[64:65], v[2:3], 0, v[18:19]
	global_load_dwordx4 v[76:79], v[64:65], off
	v_mov_b32_e32 v67, 0x1e00
	v_lshl_or_b32 v18, v0, 4, v67
	v_lshl_add_u64 v[2:3], v[2:3], 0, v[18:19]
	global_load_dwordx4 v[80:83], v[2:3], off
	s_waitcnt vmcnt(18)
	v_mul_hi_i32 v2, v4, s9
	v_mov_b32_e32 v3, v19
	s_add_u32 s10, s28, s10
	s_addc_u32 s11, s29, s11
	v_mov_b32_e32 v65, v19
	s_load_dword s0, s[0:1], 0x1c
	v_cmp_eq_u32_e32 vcc, 0, v71
	v_and_b32_e32 v88, -4, v66
	v_lshlrev_b32_e32 v89, 2, v0
	v_cndmask_b32_e64 v84, 0, 1.0, vcc
	v_cmp_eq_u32_e32 vcc, 1, v71
	s_waitcnt vmcnt(15)
	v_mfma_f32_4x4x4_16b_f16 a[0:3], v[72:73], v[6:7], 0 cbsz:4
	v_mul_hi_i32 v6, v5, s9
	s_nop 0
	v_mfma_f32_4x4x4_16b_f16 a[0:3], v[74:75], v[8:9], a[0:3] cbsz:4
	v_ashrrev_i32_e32 v7, 31, v2
	v_ashrrev_i32_e32 v2, 31, v6
	s_waitcnt vmcnt(14)
	v_mfma_f32_4x4x4_16b_f16 a[0:3], v[72:73], v[10:11], a[0:3] cbsz:4 abid:1
	v_lshrrev_b32_e32 v2, 29, v2
	v_mad_i64_i32 v[2:3], s[16:17], v5, s9, v[2:3]
	v_mfma_f32_4x4x4_16b_f16 a[0:3], v[74:75], v[12:13], a[0:3] cbsz:4 abid:1
	v_lshlrev_b64 v[2:3], 1, v[2:3]
	v_and_b32_e32 v2, -16, v2
	s_waitcnt vmcnt(13)
	v_mfma_f32_4x4x4_16b_f16 a[0:3], v[72:73], v[14:15], a[0:3] cbsz:4 abid:2
	v_lshrrev_b32_e32 v18, 29, v7
	v_cndmask_b32_e64 v85, 0, 1.0, vcc
	v_mfma_f32_4x4x4_16b_f16 a[0:3], v[74:75], v[16:17], a[0:3] cbsz:4 abid:2
	v_cmp_eq_u32_e32 vcc, 2, v71
	s_waitcnt vmcnt(12)
	v_mfma_f32_4x4x4_16b_f16 a[0:3], v[72:73], v[20:21], a[0:3] cbsz:4 abid:3
	v_lshl_add_u64 v[20:21], s[10:11], 0, v[2:3]
	v_mad_i64_i32 v[2:3], s[8:9], v4, s9, v[18:19]
	v_mfma_f32_4x4x4_16b_f16 a[0:3], v[74:75], v[22:23], a[0:3] cbsz:4 abid:3
	v_lshlrev_b64 v[22:23], 1, v[2:3]
	v_lshlrev_b32_e32 v18, 6, v1
	s_waitcnt vmcnt(11)
	v_mfma_f32_4x4x4_16b_f16 a[0:3], v[72:73], v[24:25], a[0:3] cbsz:4 abid:4
	v_and_b32_e32 v22, -16, v22
	v_or_b32_e32 v64, 0x1000, v18
	v_mfma_f32_4x4x4_16b_f16 a[0:3], v[74:75], v[26:27], a[0:3] cbsz:4 abid:4
	v_lshl_add_u64 v[22:23], s[10:11], 0, v[22:23]
	v_lshl_add_u64 v[24:25], v[20:21], 0, v[18:19]
	s_waitcnt vmcnt(10)
	v_mfma_f32_4x4x4_16b_f16 a[0:3], v[72:73], v[28:29], a[0:3] cbsz:4 abid:5
	v_lshl_add_u64 v[20:21], v[20:21], 0, v[64:65]
	v_lshl_add_u64 v[68:69], v[22:23], 0, v[64:65]
	v_mfma_f32_4x4x4_16b_f16 a[0:3], v[74:75], v[30:31], a[0:3] cbsz:4 abid:5
	global_load_dwordx4 v[2:5], v[24:25], off
	global_load_dwordx4 v[6:9], v[24:25], off offset:16
	s_waitcnt vmcnt(11)
	v_mfma_f32_4x4x4_16b_f16 a[0:3], v[72:73], v[32:33], a[0:3] cbsz:4 abid:6
	global_load_dwordx4 v[10:13], v[24:25], off offset:32
	global_load_dwordx4 v[14:17], v[24:25], off offset:48
	v_mfma_f32_4x4x4_16b_f16 a[0:3], v[74:75], v[34:35], a[0:3] cbsz:4 abid:6
	v_cndmask_b32_e64 v86, 0, 1.0, vcc
	v_cmp_eq_u32_e32 vcc, 3, v71
	s_waitcnt vmcnt(12)
	v_mfma_f32_4x4x4_16b_f16 a[0:3], v[72:73], v[36:37], a[0:3] cbsz:4 abid:7
	v_cndmask_b32_e64 v87, 0, 1.0, vcc
	s_nop 0
	v_mfma_f32_4x4x4_16b_f16 a[0:3], v[74:75], v[38:39], a[0:3] cbsz:4 abid:7
	v_cmp_gt_i32_e32 vcc, s3, v88
	s_waitcnt vmcnt(11)
	v_mfma_f32_4x4x4_16b_f16 a[0:3], v[72:73], v[40:41], a[0:3] cbsz:4 abid:8
	s_nop 1
	v_mfma_f32_4x4x4_16b_f16 a[0:3], v[74:75], v[42:43], a[0:3] cbsz:4 abid:8
	s_waitcnt vmcnt(10)
	s_nop 0
	v_mfma_f32_4x4x4_16b_f16 a[0:3], v[72:73], v[44:45], a[0:3] cbsz:4 abid:9
	s_nop 1
	v_mfma_f32_4x4x4_16b_f16 a[0:3], v[74:75], v[46:47], a[0:3] cbsz:4 abid:9
	s_waitcnt vmcnt(9)
	s_nop 0
	v_mfma_f32_4x4x4_16b_f16 a[0:3], v[72:73], v[48:49], a[0:3] cbsz:4 abid:10
	global_load_dwordx4 v[38:41], v[20:21], off
	global_load_dwordx4 v[46:49], v[20:21], off offset:16
	v_mfma_f32_4x4x4_16b_f16 a[0:3], v[74:75], v[50:51], a[0:3] cbsz:4 abid:10
	v_lshl_add_u64 v[50:51], v[22:23], 0, v[18:19]
	global_load_dwordx4 v[34:37], v[20:21], off offset:32
	global_load_dwordx4 v[42:45], v[20:21], off offset:48
	s_waitcnt vmcnt(12)
	v_mfma_f32_4x4x4_16b_f16 a[0:3], v[72:73], v[52:53], a[0:3] cbsz:4 abid:11
	global_load_dwordx4 v[30:33], v[50:51], off
	global_load_dwordx4 v[18:21], v[50:51], off offset:16
	v_mfma_f32_4x4x4_16b_f16 a[0:3], v[74:75], v[54:55], a[0:3] cbsz:4 abid:11
	global_load_dwordx4 v[22:25], v[50:51], off offset:32
	global_load_dwordx4 v[26:29], v[50:51], off offset:48
	s_waitcnt vmcnt(15)
	v_mfma_f32_4x4x4_16b_f16 a[0:3], v[72:73], v[56:57], a[0:3] cbsz:4 abid:12
	global_load_dwordx4 v[50:53], v[68:69], off
	global_load_dwordx4 v[54:57], v[68:69], off offset:16
	v_mfma_f32_4x4x4_16b_f16 a[0:3], v[74:75], v[58:59], a[0:3] cbsz:4 abid:12
	s_waitcnt vmcnt(16)
	s_nop 0
	v_mfma_f32_4x4x4_16b_f16 a[0:3], v[72:73], v[60:61], a[0:3] cbsz:4 abid:13
	s_nop 1
	v_mfma_f32_4x4x4_16b_f16 a[0:3], v[74:75], v[62:63], a[0:3] cbsz:4 abid:13
	global_load_dwordx4 v[58:61], v[68:69], off offset:32
	global_load_dwordx4 v[62:65], v[68:69], off offset:48
	s_waitcnt vmcnt(17)
	v_mfma_f32_4x4x4_16b_f16 a[0:3], v[72:73], v[76:77], a[0:3] cbsz:4 abid:14
	s_nop 1
	v_mfma_f32_4x4x4_16b_f16 a[0:3], v[74:75], v[78:79], a[0:3] cbsz:4 abid:14
	s_waitcnt vmcnt(16)
	s_nop 0
	v_mfma_f32_4x4x4_16b_f16 a[0:3], v[72:73], v[80:81], a[0:3] cbsz:4 abid:15
	v_or_b32_e32 v73, 3, v66
	v_mov_b32_e32 v72, 0xff7fffff
	v_mfma_f32_4x4x4_16b_f16 a[0:3], v[74:75], v[82:83], a[0:3] cbsz:4 abid:15
	v_cmp_gt_i32_e64 s[10:11], s3, v73
	s_nop 3
	v_accvgpr_read_b32 v69, a1
	v_accvgpr_read_b32 v68, a0
	s_waitcnt lgkmcnt(0)
	v_pk_mul_f32 v[68:69], s[0:1], v[68:69] op_sel_hi:[0,1]
	v_accvgpr_read_b32 v67, a3
	v_accvgpr_read_b32 v66, a2
	v_pk_mul_f32 v[66:67], s[0:1], v[66:67] op_sel_hi:[0,1]
	v_mfma_f32_4x4x1_16b_f32 a[0:3], v68, v84, 0
	v_and_or_b32 v68, v89, 48, v71
	s_nop 0
	v_mfma_f32_4x4x1_16b_f32 a[0:3], v69, v85, a[0:3]
	v_or_b32_e32 v69, 1, v88
	v_cmp_gt_i32_e64 s[0:1], s3, v69
	v_mfma_f32_4x4x1_16b_f32 a[0:3], v66, v86, a[0:3]
	v_or_b32_e32 v66, 2, v88
	v_cmp_gt_i32_e64 s[8:9], s3, v66
	v_mfma_f32_4x4x1_16b_f32 a[0:3], v67, v87, a[0:3]
	v_lshlrev_b32_e32 v73, 2, v68
	s_nop 2
	v_accvgpr_read_b32 v67, a0
	v_max_f32_e32 v77, v67, v67
	v_accvgpr_read_b32 v74, a1
	v_max_f32_e32 v77, 0xff7fffff, v77
	v_max_f32_e32 v78, v74, v74
	v_cndmask_b32_e32 v72, v72, v77, vcc
	v_accvgpr_read_b32 v75, a2
	v_max_f32_e32 v77, v72, v78
	v_max_f32_e32 v79, v75, v75
	v_cndmask_b32_e64 v69, v72, v77, s[0:1]
	v_accvgpr_read_b32 v76, a3
	v_max_f32_e32 v72, v69, v79
	v_max_f32_e32 v80, v76, v76
	v_cndmask_b32_e64 v66, v69, v72, s[8:9]
	v_max_f32_e32 v69, v66, v80
	v_cndmask_b32_e64 v66, v66, v69, s[10:11]
	;;#ASMSTART
	v_nop
 v_nop
 v_max_f32_dpp v66, v66, v66 row_ror:4
	;;#ASMEND
	s_nop 0
	;;#ASMSTART
	v_nop
 v_nop
 v_max_f32_dpp v66, v66, v66 row_ror:8
	;;#ASMEND
	ds_bpermute_b32 v66, v73, v66
	s_waitcnt lgkmcnt(0)
	;;#ASMSTART
	v_nop
 v_nop
 v_max_f32_dpp v66, v66, v66 row_ror:4
	;;#ASMEND
	s_nop 0
	;;#ASMSTART
	v_nop
 v_nop
 v_max_f32_dpp v72, v66, v66 row_ror:8
	;;#ASMEND
	s_nop 0
	v_sub_f32_e32 v66, v67, v72
	v_sub_f32_e32 v67, v74, v72
	v_mul_f32_e32 v66, 0x3fb8aa3b, v66
	v_mul_f32_e32 v67, 0x3fb8aa3b, v67
	v_exp_f32_e32 v66, v66
	v_sub_f32_e32 v68, v75, v72
	v_exp_f32_e32 v67, v67
	v_mul_f32_e32 v68, 0x3fb8aa3b, v68
	v_sub_f32_e32 v74, v76, v72
	v_exp_f32_e32 v68, v68
	v_mul_f32_e32 v74, 0x3fb8aa3b, v74
	v_exp_f32_e32 v74, v74
	v_cndmask_b32_e32 v66, 0, v66, vcc
	v_cndmask_b32_e64 v67, 0, v67, s[0:1]
	v_add_f32_e32 v69, 0, v66
	v_add_f32_e32 v69, v69, v67
	v_cndmask_b32_e64 v68, 0, v68, s[8:9]
	v_add_f32_e32 v75, v69, v68
	v_cndmask_b32_e64 v69, 0, v74, s[10:11]
	v_add_f32_e32 v74, v75, v69
	;;#ASMSTART
	v_nop
 v_nop
 v_add_f32_dpp v74, v74, v74 row_ror:4
	;;#ASMEND
	v_cmp_gt_u32_e32 vcc, 4, v1
	;;#ASMSTART
	v_nop
 v_nop
 v_add_f32_dpp v74, v74, v74 row_ror:8
	;;#ASMEND
	ds_bpermute_b32 v73, v73, v74
	s_waitcnt lgkmcnt(0)
	;;#ASMSTART
	v_nop
 v_nop
 v_add_f32_dpp v73, v73, v73 row_ror:4
	;;#ASMEND
	s_nop 0
	;;#ASMSTART
	v_nop
 v_nop
 v_add_f32_dpp v73, v73, v73 row_ror:8
	;;#ASMEND
	s_and_saveexec_b64 s[0:1], vcc
	s_cbranch_execz .LBB327_12
; %bb.11:
	v_mul_u32_u24_e32 v74, 20, v70
	v_lshl_add_u32 v74, v71, 2, v74
	v_add_u32_e32 v74, 0x1400, v74
	ds_write2_b32 v74, v72, v73 offset1:20
.LBB327_12:
	s_or_b64 exec, exec, s[0:1]
.LBB327_13:
	s_or_b64 exec, exec, s[26:27]
	v_lshlrev_b32_e32 v73, 2, v71
	v_add_u32_e32 v80, 0x1400, v73
	s_waitcnt lgkmcnt(0)
	s_barrier
	s_load_dword s0, s[24:25], 0x8
	ds_read2_b32 v[74:75], v80 offset1:5
	ds_read2_b32 v[76:77], v80 offset0:10 offset1:15
	s_mov_b32 s8, 0xff7fffff
	s_mul_i32 s1, s2, s5
	ds_read2_b32 v[78:79], v80 offset0:20 offset1:25
	s_waitcnt lgkmcnt(0)
	v_max3_f32 v73, v74, s8, v75
	v_max3_f32 v73, v73, v76, v77
	s_mul_i32 s1, s1, s0
	v_sub_f32_e32 v74, v74, v73
	s_lshl_b32 s0, s1, 2
	s_mov_b32 s1, 0
	v_mul_f32_e32 v74, 0x3fb8aa3b, v74
	v_sub_f32_e32 v75, v75, v73
	s_lshl_b32 s4, s4, 2
	s_lshl_b64 s[2:3], s[0:1], 2
	v_exp_f32_e32 v74, v74
	v_mul_f32_e32 v75, 0x3fb8aa3b, v75
	v_sub_f32_e32 v76, v76, v73
	s_add_u32 s10, s12, s2
	v_exp_f32_e32 v75, v75
	ds_read2_b32 v[80:81], v80 offset0:30 offset1:35
	v_mul_f32_e32 v76, 0x3fb8aa3b, v76
	v_sub_f32_e32 v77, v77, v73
	s_addc_u32 s11, s13, s3
	v_exp_f32_e32 v76, v76
	v_mul_f32_e32 v77, 0x3fb8aa3b, v77
	s_mov_b32 s21, s1
	s_add_u32 s8, s14, s2
	v_exp_f32_e32 v77, v77
	s_addc_u32 s9, s15, s3
	s_lshl_b64 s[2:3], s[20:21], 2
	v_fma_f32 v74, v74, v78, 0
	s_add_u32 s8, s8, s2
	v_fmac_f32_e32 v74, v75, v79
	s_addc_u32 s9, s9, s3
	s_waitcnt lgkmcnt(0)
	v_fmac_f32_e32 v74, v76, v80
	v_or_b32_e32 v71, s4, v71
	v_fmac_f32_e32 v74, v77, v81
	s_add_u32 s2, s10, s2
	v_mul_lo_u32 v76, s5, v71
	v_mov_b32_e32 v77, 0
	s_addc_u32 s3, s11, s3
	v_lshlrev_b64 v[76:77], 2, v[76:77]
	v_lshl_add_u64 v[78:79], s[8:9], 0, v[76:77]
	v_lshl_add_u64 v[76:77], s[2:3], 0, v[76:77]
	v_lshlrev_b32_e32 v70, 3, v70
	global_store_dword v[78:79], v73, off
	global_store_dword v[76:77], v74, off
	s_and_saveexec_b64 s[2:3], s[6:7]
	s_xor_b64 s[2:3], exec, s[2:3]
	s_cbranch_execz .LBB327_15
; %bb.14:
	s_mov_b32 s6, s1
	s_mov_b32 s7, s1
	s_waitcnt vmcnt(17)
	v_mad_u32_u24 v4, v1, 40, v70
	v_mov_b64_e32 v[2:3], s[6:7]
	ds_write2st64_b64 v4, v[2:3], v[2:3] offset1:5
                                        ; implicit-def: $vgpr69
                                        ; implicit-def: $vgpr67
                                        ; implicit-def: $vgpr31
                                        ; implicit-def: $vgpr19
                                        ; implicit-def: $vgpr23
                                        ; implicit-def: $vgpr27
                                        ; implicit-def: $vgpr3
                                        ; implicit-def: $vgpr7
                                        ; implicit-def: $vgpr11
                                        ; implicit-def: $vgpr15
                                        ; implicit-def: $vgpr51
                                        ; implicit-def: $vgpr55
                                        ; implicit-def: $vgpr59
                                        ; implicit-def: $vgpr63
                                        ; implicit-def: $vgpr39
                                        ; implicit-def: $vgpr47
                                        ; implicit-def: $vgpr35
                                        ; implicit-def: $vgpr43
                                        ; implicit-def: $vgpr72
                                        ; implicit-def: $vgpr73
                                        ; implicit-def: $vgpr74
                                        ; implicit-def: $vgpr70
.LBB327_15:
	s_andn2_saveexec_b64 s[2:3], s[2:3]
	s_cbranch_execz .LBB327_17
; %bb.16:
	v_add_f32_e32 v71, 0x358637bd, v74
	v_div_scale_f32 v74, s[6:7], v71, v71, 1.0
	v_rcp_f32_e32 v75, v74
	v_sub_f32_e32 v72, v72, v73
	v_mul_f32_e32 v72, 0x3fb8aa3b, v72
	v_exp_f32_e32 v72, v72
	v_fma_f32 v73, -v74, v75, 1.0
	v_fmac_f32_e32 v75, v73, v75
	v_div_scale_f32 v73, vcc, 1.0, v71, 1.0
	v_mul_f32_e32 v76, v73, v75
	v_fma_f32 v77, -v74, v76, v73
	v_fmac_f32_e32 v76, v77, v75
	v_fma_f32 v73, -v74, v76, v73
	v_div_fmas_f32 v73, v73, v75, v76
	v_div_fixup_f32 v71, v73, v71, 1.0
	v_mul_f32_e32 v72, v72, v71
	v_pk_mul_f32 v[68:69], v[68:69], v[72:73] op_sel_hi:[1,0]
	v_pk_mul_f32 v[66:67], v[66:67], v[72:73] op_sel_hi:[1,0]
	v_cvt_f16_f32_e32 v68, v68
	v_cvt_f16_f32_e32 v66, v66
	;; [unrolled: 1-line block ×4, first 2 shown]
	v_pack_b32_f16 v66, v66, v67
	v_pack_b32_f16 v67, v68, v69
	s_waitcnt vmcnt(9)
	s_nop 0
	v_mfma_f32_4x4x4_16b_f16 a[0:3], v[66:67], v[30:31], 0 cbsz:4
	s_nop 1
	v_mfma_f32_4x4x4_16b_f16 a[0:3], v[66:67], v[32:33], a[0:3] cbsz:4 abid:1
	s_waitcnt vmcnt(5)
	v_mfma_f32_4x4x4_16b_f16 a[4:7], v[66:67], v[50:51], 0 cbsz:4
	v_mfma_f32_4x4x4_16b_f16 a[0:3], v[66:67], v[18:19], a[0:3] cbsz:4 abid:2
	s_nop 0
	v_mfma_f32_4x4x4_16b_f16 a[4:7], v[66:67], v[52:53], a[4:7] cbsz:4 abid:1
	v_mfma_f32_4x4x4_16b_f16 a[0:3], v[66:67], v[20:21], a[0:3] cbsz:4 abid:3
	s_waitcnt vmcnt(4)
	v_mfma_f32_4x4x4_16b_f16 a[4:7], v[66:67], v[54:55], a[4:7] cbsz:4 abid:2
	v_mfma_f32_4x4x4_16b_f16 a[0:3], v[66:67], v[22:23], a[0:3] cbsz:4 abid:4
	s_nop 0
	v_mfma_f32_4x4x4_16b_f16 a[4:7], v[66:67], v[56:57], a[4:7] cbsz:4 abid:3
	v_mfma_f32_4x4x4_16b_f16 a[0:3], v[66:67], v[24:25], a[0:3] cbsz:4 abid:5
	s_waitcnt vmcnt(3)
	v_mfma_f32_4x4x4_16b_f16 a[4:7], v[66:67], v[58:59], a[4:7] cbsz:4 abid:4
	;; [unrolled: 6-line block ×3, first 2 shown]
	v_mfma_f32_4x4x4_16b_f16 a[0:3], v[66:67], v[2:3], a[0:3] cbsz:4 abid:8
	s_nop 0
	v_mfma_f32_4x4x4_16b_f16 a[4:7], v[66:67], v[64:65], a[4:7] cbsz:4 abid:7
	v_mfma_f32_4x4x4_16b_f16 a[0:3], v[66:67], v[4:5], a[0:3] cbsz:4 abid:9
	s_nop 0
	v_mfma_f32_4x4x4_16b_f16 a[4:7], v[66:67], v[38:39], a[4:7] cbsz:4 abid:8
	;; [unrolled: 3-line block ×3, first 2 shown]
	v_mfma_f32_4x4x4_16b_f16 a[0:3], v[66:67], v[8:9], a[0:3] cbsz:4 abid:11
	v_mad_u32_u24 v9, v1, 40, v70
	v_mfma_f32_4x4x4_16b_f16 a[4:7], v[66:67], v[46:47], a[4:7] cbsz:4 abid:10
	v_mfma_f32_4x4x4_16b_f16 a[0:3], v[66:67], v[10:11], a[0:3] cbsz:4 abid:12
	s_nop 0
	v_mfma_f32_4x4x4_16b_f16 a[4:7], v[66:67], v[48:49], a[4:7] cbsz:4 abid:11
	v_mfma_f32_4x4x4_16b_f16 a[0:3], v[66:67], v[12:13], a[0:3] cbsz:4 abid:13
	s_nop 0
	;; [unrolled: 3-line block ×3, first 2 shown]
	v_mfma_f32_4x4x4_16b_f16 a[0:3], v[66:67], v[16:17], a[0:3] cbsz:4 abid:15
	s_nop 4
	v_accvgpr_read_b32 v2, a0
	v_accvgpr_read_b32 v3, a1
	;; [unrolled: 1-line block ×4, first 2 shown]
	v_mfma_f32_4x4x4_16b_f16 a[0:3], v[66:67], v[36:37], a[4:7] cbsz:4 abid:13
	v_cvt_f16_f32_e32 v2, v2
	v_cvt_f16_f32_e32 v3, v3
	v_mfma_f32_4x4x4_16b_f16 a[0:3], v[66:67], v[42:43], a[0:3] cbsz:4 abid:14
	v_pack_b32_f16 v2, v2, v3
	s_nop 0
	v_mfma_f32_4x4x4_16b_f16 a[0:3], v[66:67], v[44:45], a[0:3] cbsz:4 abid:15
	v_cvt_f16_f32_e32 v3, v4
	v_cvt_f16_f32_e32 v4, v5
	v_pack_b32_f16 v3, v3, v4
	s_nop 1
	v_accvgpr_read_b32 v5, a0
	v_accvgpr_read_b32 v6, a1
	;; [unrolled: 1-line block ×4, first 2 shown]
	v_cvt_f16_f32_e32 v5, v5
	v_cvt_f16_f32_e32 v6, v6
	v_cvt_f16_f32_e32 v7, v7
	v_cvt_f16_f32_e32 v8, v8
	v_pack_b32_f16 v4, v5, v6
	v_pack_b32_f16 v5, v7, v8
	ds_write2st64_b64 v9, v[2:3], v[4:5] offset1:5
.LBB327_17:
	s_or_b64 exec, exec, s[2:3]
	v_cmp_gt_u32_e32 vcc, 64, v0
	s_waitcnt lgkmcnt(0)
	s_barrier
	s_and_saveexec_b64 s[2:3], vcc
	s_cbranch_execz .LBB327_19
; %bb.18:
	s_waitcnt vmcnt(16)
	v_mul_u32_u24_e32 v6, 40, v1
	ds_read2_b64 v[2:5], v6 offset1:1
	ds_read2_b64 v[6:9], v6 offset0:2 offset1:3
	s_lshl_b32 s0, s0, 7
	s_lshl_b64 s[2:3], s[0:1], 1
	s_add_u32 s2, s22, s2
	s_waitcnt lgkmcnt(1)
	v_pk_add_f16 v2, v2, 0
	v_pk_add_f16 v3, v3, 0
	;; [unrolled: 1-line block ×4, first 2 shown]
	s_waitcnt lgkmcnt(0)
	v_pk_add_f16 v2, v2, v6
	v_pk_add_f16 v6, v3, v7
	s_waitcnt vmcnt(15)
	v_pk_add_f16 v10, v2, v8
	v_mov_b32_e32 v2, 0xa00
	v_mad_u32_u24 v2, v1, 40, v2
	ds_read2_b64 v[2:5], v2 offset1:1
	v_pk_add_f16 v11, v6, v9
	v_mov_b32_e32 v6, 0xa10
	v_mad_u32_u24 v1, v1, 40, v6
	ds_read2_b64 v[6:9], v1 offset1:1
	s_addc_u32 s3, s23, s3
	s_lshl_b32 s0, s20, 7
	s_lshl_b64 s[0:1], s[0:1], 1
	s_waitcnt lgkmcnt(1)
	v_pk_add_f16 v1, v2, 0
	v_pk_add_f16 v2, v3, 0
	s_add_u32 s0, s2, s0
	v_pk_add_f16 v2, v2, v5
	s_addc_u32 s1, s3, s1
	s_lshl_b32 s2, s5, 7
	s_waitcnt lgkmcnt(0)
	v_pk_add_f16 v2, v2, v7
	s_mul_i32 s3, s2, s4
	v_pk_add_f16 v13, v2, v9
	v_or_b32_e32 v2, s3, v0
	v_mov_b32_e32 v3, 0
	s_add_i32 s3, s3, s2
	v_pk_add_f16 v1, v1, v4
	v_lshl_add_u64 v[4:5], v[2:3], 1, s[0:1]
	v_or_b32_e32 v2, s3, v0
	s_add_i32 s3, s3, s2
	v_pk_add_f16 v1, v1, v6
	v_lshl_add_u64 v[6:7], v[2:3], 1, s[0:1]
	v_or_b32_e32 v2, s3, v0
	;; [unrolled: 4-line block ×3, first 2 shown]
	v_lshl_add_u64 v[0:1], v[2:3], 1, s[0:1]
	global_store_short v[4:5], v10, off
	global_store_short_d16_hi v[6:7], v10, off
	global_store_short v[8:9], v11, off
	global_store_short_d16_hi v[0:1], v11, off
	global_store_short v[4:5], v12, off offset:128
	global_store_short_d16_hi v[6:7], v12, off offset:128
	global_store_short v[8:9], v13, off offset:128
	global_store_short_d16_hi v[0:1], v13, off offset:128
.LBB327_19:
	s_endpgm
.LBB327_20:
	s_mov_b64 s[12:13], 0
                                        ; implicit-def: $sgpr30_sgpr31
	s_branch .LBB327_2
	.section	.rodata,"a",@progbits
	.p2align	6, 0x0
	.amdhsa_kernel _Z38paged_attention_ll4mi_QKV_mfma4_kernelIDF16_DF16_LN4vllm18Fp8KVCacheDataTypeE0EhLi32ELi128ELi256ELb0ELi4EEvPKT_PKT0_S7_ifPKiS9_S9_iPKfiiiPfSC_PS2_PT2_iSB_SB_
		.amdhsa_group_segment_fixed_size 5280
		.amdhsa_private_segment_fixed_size 0
		.amdhsa_kernarg_size 400
		.amdhsa_user_sgpr_count 2
		.amdhsa_user_sgpr_dispatch_ptr 0
		.amdhsa_user_sgpr_queue_ptr 0
		.amdhsa_user_sgpr_kernarg_segment_ptr 1
		.amdhsa_user_sgpr_dispatch_id 0
		.amdhsa_user_sgpr_kernarg_preload_length 0
		.amdhsa_user_sgpr_kernarg_preload_offset 0
		.amdhsa_user_sgpr_private_segment_size 0
		.amdhsa_uses_dynamic_stack 0
		.amdhsa_enable_private_segment 0
		.amdhsa_system_sgpr_workgroup_id_x 1
		.amdhsa_system_sgpr_workgroup_id_y 1
		.amdhsa_system_sgpr_workgroup_id_z 1
		.amdhsa_system_sgpr_workgroup_info 0
		.amdhsa_system_vgpr_workitem_id 0
		.amdhsa_next_free_vgpr 100
		.amdhsa_next_free_sgpr 38
		.amdhsa_accum_offset 92
		.amdhsa_reserve_vcc 1
		.amdhsa_float_round_mode_32 0
		.amdhsa_float_round_mode_16_64 0
		.amdhsa_float_denorm_mode_32 3
		.amdhsa_float_denorm_mode_16_64 3
		.amdhsa_dx10_clamp 1
		.amdhsa_ieee_mode 1
		.amdhsa_fp16_overflow 0
		.amdhsa_tg_split 0
		.amdhsa_exception_fp_ieee_invalid_op 0
		.amdhsa_exception_fp_denorm_src 0
		.amdhsa_exception_fp_ieee_div_zero 0
		.amdhsa_exception_fp_ieee_overflow 0
		.amdhsa_exception_fp_ieee_underflow 0
		.amdhsa_exception_fp_ieee_inexact 0
		.amdhsa_exception_int_div_zero 0
	.end_amdhsa_kernel
	.section	.text._Z38paged_attention_ll4mi_QKV_mfma4_kernelIDF16_DF16_LN4vllm18Fp8KVCacheDataTypeE0EhLi32ELi128ELi256ELb0ELi4EEvPKT_PKT0_S7_ifPKiS9_S9_iPKfiiiPfSC_PS2_PT2_iSB_SB_,"axG",@progbits,_Z38paged_attention_ll4mi_QKV_mfma4_kernelIDF16_DF16_LN4vllm18Fp8KVCacheDataTypeE0EhLi32ELi128ELi256ELb0ELi4EEvPKT_PKT0_S7_ifPKiS9_S9_iPKfiiiPfSC_PS2_PT2_iSB_SB_,comdat
.Lfunc_end327:
	.size	_Z38paged_attention_ll4mi_QKV_mfma4_kernelIDF16_DF16_LN4vllm18Fp8KVCacheDataTypeE0EhLi32ELi128ELi256ELb0ELi4EEvPKT_PKT0_S7_ifPKiS9_S9_iPKfiiiPfSC_PS2_PT2_iSB_SB_, .Lfunc_end327-_Z38paged_attention_ll4mi_QKV_mfma4_kernelIDF16_DF16_LN4vllm18Fp8KVCacheDataTypeE0EhLi32ELi128ELi256ELb0ELi4EEvPKT_PKT0_S7_ifPKiS9_S9_iPKfiiiPfSC_PS2_PT2_iSB_SB_
                                        ; -- End function
	.section	.AMDGPU.csdata,"",@progbits
; Kernel info:
; codeLenInByte = 3844
; NumSgprs: 44
; NumVgprs: 90
; NumAgprs: 8
; TotalNumVgprs: 100
; ScratchSize: 0
; MemoryBound: 0
; FloatMode: 240
; IeeeMode: 1
; LDSByteSize: 5280 bytes/workgroup (compile time only)
; SGPRBlocks: 5
; VGPRBlocks: 12
; NumSGPRsForWavesPerEU: 44
; NumVGPRsForWavesPerEU: 100
; AccumOffset: 92
; Occupancy: 4
; WaveLimiterHint : 1
; COMPUTE_PGM_RSRC2:SCRATCH_EN: 0
; COMPUTE_PGM_RSRC2:USER_SGPR: 2
; COMPUTE_PGM_RSRC2:TRAP_HANDLER: 0
; COMPUTE_PGM_RSRC2:TGID_X_EN: 1
; COMPUTE_PGM_RSRC2:TGID_Y_EN: 1
; COMPUTE_PGM_RSRC2:TGID_Z_EN: 1
; COMPUTE_PGM_RSRC2:TIDIG_COMP_CNT: 0
; COMPUTE_PGM_RSRC3_GFX90A:ACCUM_OFFSET: 22
; COMPUTE_PGM_RSRC3_GFX90A:TG_SPLIT: 0
	.section	.text._Z39paged_attention_ll4mi_QKV_mfma16_kernelIDF16_DF16_LN4vllm18Fp8KVCacheDataTypeE0EhLi32ELi128ELi256ELb0ELi5EEvPKT_PKT0_S7_ifPKiS9_S9_iPKfiiiPfSC_PS2_PT2_iSB_SB_,"axG",@progbits,_Z39paged_attention_ll4mi_QKV_mfma16_kernelIDF16_DF16_LN4vllm18Fp8KVCacheDataTypeE0EhLi32ELi128ELi256ELb0ELi5EEvPKT_PKT0_S7_ifPKiS9_S9_iPKfiiiPfSC_PS2_PT2_iSB_SB_,comdat
	.protected	_Z39paged_attention_ll4mi_QKV_mfma16_kernelIDF16_DF16_LN4vllm18Fp8KVCacheDataTypeE0EhLi32ELi128ELi256ELb0ELi5EEvPKT_PKT0_S7_ifPKiS9_S9_iPKfiiiPfSC_PS2_PT2_iSB_SB_ ; -- Begin function _Z39paged_attention_ll4mi_QKV_mfma16_kernelIDF16_DF16_LN4vllm18Fp8KVCacheDataTypeE0EhLi32ELi128ELi256ELb0ELi5EEvPKT_PKT0_S7_ifPKiS9_S9_iPKfiiiPfSC_PS2_PT2_iSB_SB_
	.globl	_Z39paged_attention_ll4mi_QKV_mfma16_kernelIDF16_DF16_LN4vllm18Fp8KVCacheDataTypeE0EhLi32ELi128ELi256ELb0ELi5EEvPKT_PKT0_S7_ifPKiS9_S9_iPKfiiiPfSC_PS2_PT2_iSB_SB_
	.p2align	8
	.type	_Z39paged_attention_ll4mi_QKV_mfma16_kernelIDF16_DF16_LN4vllm18Fp8KVCacheDataTypeE0EhLi32ELi128ELi256ELb0ELi5EEvPKT_PKT0_S7_ifPKiS9_S9_iPKfiiiPfSC_PS2_PT2_iSB_SB_,@function
_Z39paged_attention_ll4mi_QKV_mfma16_kernelIDF16_DF16_LN4vllm18Fp8KVCacheDataTypeE0EhLi32ELi128ELi256ELb0ELi5EEvPKT_PKT0_S7_ifPKiS9_S9_iPKfiiiPfSC_PS2_PT2_iSB_SB_: ; @_Z39paged_attention_ll4mi_QKV_mfma16_kernelIDF16_DF16_LN4vllm18Fp8KVCacheDataTypeE0EhLi32ELi128ELi256ELb0ELi5EEvPKT_PKT0_S7_ifPKiS9_S9_iPKfiiiPfSC_PS2_PT2_iSB_SB_
; %bb.0:
	s_load_dwordx2 s[8:9], s[0:1], 0x30
	s_mov_b32 s26, s3
	s_mov_b64 s[6:7], 0
	s_waitcnt lgkmcnt(0)
	s_cmp_lg_u64 s[8:9], 0
	s_cselect_b64 s[10:11], -1, 0
	s_and_b64 vcc, exec, s[10:11]
	s_cbranch_vccz .LBB328_7
; %bb.1:
	s_add_i32 s12, s2, 1
	s_mov_b32 s13, 0
	s_lshl_b64 s[14:15], s[12:13], 2
	s_add_u32 s14, s8, s14
	s_mov_b32 s3, s13
	s_addc_u32 s15, s9, s15
	s_lshl_b64 s[12:13], s[2:3], 2
	s_add_u32 s12, s8, s12
	s_addc_u32 s13, s9, s13
	s_load_dword s5, s[14:15], 0x0
	s_load_dword s16, s[12:13], 0x0
	s_waitcnt lgkmcnt(0)
	s_sub_i32 s5, s5, s16
	s_cmp_eq_u32 s5, 1
	s_cselect_b64 s[12:13], -1, 0
	s_andn2_b64 vcc, exec, s[6:7]
	s_cbranch_vccnz .LBB328_3
.LBB328_2:
	s_mov_b32 s3, 0
	s_mov_b64 s[12:13], -1
.LBB328_3:
	s_andn2_b64 vcc, exec, s[12:13]
	s_cbranch_vccnz .LBB328_20
; %bb.4:
	s_load_dwordx2 s[6:7], s[0:1], 0x28
	s_lshl_b64 s[12:13], s[2:3], 2
	s_waitcnt lgkmcnt(0)
	s_add_u32 s6, s6, s12
	s_addc_u32 s7, s7, s13
	s_load_dword s33, s[6:7], 0x0
	s_lshl_b32 s18, s26, 8
	s_waitcnt lgkmcnt(0)
	s_cmp_ge_i32 s18, s33
	s_cbranch_scc1 .LBB328_20
; %bb.5:
	s_load_dwordx2 s[6:7], s[0:1], 0x20
	s_load_dword s5, s[0:1], 0x38
	s_add_i32 s14, s33, 31
	s_ashr_i32 s15, s14, 31
	v_and_b32_e32 v1, 0xcf, v0
	s_lshr_b32 s15, s15, 27
	v_add_u32_e32 v1, s18, v1
	s_add_i32 s14, s14, s15
	v_ashrrev_i32_e32 v2, 31, v1
	s_ashr_i32 s19, s14, 5
	v_lshrrev_b32_e32 v4, 27, v2
	s_add_i32 s19, s19, -1
	s_waitcnt lgkmcnt(0)
	s_mul_i32 s14, s2, s5
	s_mov_b32 s15, 0
	v_add_u32_e32 v2, v1, v4
	s_lshl_b64 s[14:15], s[14:15], 2
	v_ashrrev_i32_e32 v2, 5, v2
	v_mov_b32_e32 v5, s19
	v_cmp_gt_i32_e32 vcc, s33, v1
	s_add_u32 s6, s6, s14
	s_addc_u32 s7, s7, s15
	v_cndmask_b32_e32 v2, v5, v2, vcc
	v_ashrrev_i32_e32 v3, 31, v2
	v_lshl_add_u64 v[6:7], v[2:3], 2, s[6:7]
	v_or_b32_e32 v2, 16, v1
	v_add_u32_e32 v3, v2, v4
	v_ashrrev_i32_e32 v3, 5, v3
	v_cmp_gt_i32_e32 vcc, s33, v2
	s_nop 1
	v_cndmask_b32_e32 v2, v5, v3, vcc
	v_ashrrev_i32_e32 v3, 31, v2
	v_lshl_add_u64 v[8:9], v[2:3], 2, s[6:7]
	v_or_b32_e32 v2, 32, v1
	v_add_u32_e32 v3, v2, v4
	v_ashrrev_i32_e32 v3, 5, v3
	v_cmp_gt_i32_e32 vcc, s33, v2
	v_or_b32_e32 v1, 48, v1
	s_nop 0
	v_cndmask_b32_e32 v2, v5, v3, vcc
	v_ashrrev_i32_e32 v3, 31, v2
	v_lshl_add_u64 v[10:11], v[2:3], 2, s[6:7]
	v_add_u32_e32 v2, v1, v4
	v_ashrrev_i32_e32 v2, 5, v2
	v_cmp_gt_i32_e32 vcc, s33, v1
	s_nop 1
	v_cndmask_b32_e32 v2, v5, v2, vcc
	v_ashrrev_i32_e32 v3, 31, v2
	v_lshl_add_u64 v[12:13], v[2:3], 2, s[6:7]
	global_load_dword v2, v[6:7], off
	global_load_dword v5, v[8:9], off
	global_load_dword v4, v[10:11], off
	global_load_dword v58, v[12:13], off
	s_andn2_b64 vcc, exec, s[10:11]
	s_cbranch_vccnz .LBB328_8
; %bb.6:
	s_add_u32 s8, s8, s12
	s_addc_u32 s9, s9, s13
	s_load_dword s5, s[8:9], 0x0
	s_branch .LBB328_9
.LBB328_7:
	s_mov_b64 s[12:13], 0
	s_branch .LBB328_2
.LBB328_8:
	s_mov_b32 s5, s2
.LBB328_9:
	s_load_dwordx4 s[12:15], s[0:1], 0x8
	s_load_dwordx4 s[8:11], s[0:1], 0x48
	v_lshrrev_b32_e32 v86, 6, v0
	v_bfe_u32 v1, v0, 4, 2
	v_lshl_or_b32 v3, v86, 2, v1
	v_and_b32_e32 v76, 15, v0
	v_lshlrev_b32_e32 v74, 3, v76
	v_cmp_lt_u32_e32 vcc, 4, v3
	s_and_saveexec_b64 s[16:17], vcc
	s_xor_b64 s[16:17], exec, s[16:17]
; %bb.10:
	v_mov_b32_e32 v75, 0
                                        ; implicit-def: $vgpr3
; %bb.11:
	s_or_saveexec_b64 s[16:17], s[16:17]
	v_and_b32_e32 v77, 63, v0
	s_mul_i32 s40, s4, 5
	s_xor_b64 exec, exec, s[16:17]
	s_cbranch_execz .LBB328_13
; %bb.12:
	s_load_dwordx2 s[20:21], s[0:1], 0x0
	s_waitcnt lgkmcnt(0)
	s_ashr_i32 s11, s8, 31
	s_mul_hi_u32 s22, s5, s8
	s_mul_i32 s11, s5, s11
	s_add_i32 s23, s22, s11
	s_mul_i32 s22, s5, s8
	s_lshl_b64 s[22:23], s[22:23], 1
	s_add_u32 s20, s20, s22
	v_add_lshl_u32 v6, v3, s40, 7
	s_addc_u32 s21, s21, s23
	v_ashrrev_i32_e32 v7, 31, v6
	v_mov_b32_e32 v75, 0
	v_lshl_add_u64 v[6:7], v[6:7], 1, s[20:21]
	v_lshlrev_b32_e32 v8, 1, v74
	v_mov_b32_e32 v9, v75
	v_lshl_add_u64 v[6:7], v[6:7], 0, v[8:9]
	global_load_dwordx4 v[6:9], v[6:7], off
	v_and_b32_e32 v10, 3, v0
	v_lshlrev_b32_e32 v11, 9, v76
	v_lshlrev_b32_e32 v3, 5, v3
	;; [unrolled: 1-line block ×3, first 2 shown]
	v_and_b32_e32 v11, 0x1800, v11
	v_or3_b32 v3, v11, v10, v3
	s_waitcnt vmcnt(0)
	ds_write_b128 v3, v[6:9]
.LBB328_13:
	s_or_b64 exec, exec, s[16:17]
	s_waitcnt lgkmcnt(0)
	s_mul_i32 s4, s4, s10
	s_mov_b32 s5, 0
	s_lshl_b64 s[4:5], s[4:5], 1
	s_add_u32 s10, s12, s4
	s_addc_u32 s11, s13, s5
	s_waitcnt vmcnt(3)
	v_mad_i64_i32 v[2:3], s[12:13], v2, s9, 0
	v_lshl_add_u64 v[6:7], v[2:3], 1, s[10:11]
	v_lshlrev_b64 v[2:3], 1, v[74:75]
	v_lshlrev_b32_e32 v46, 9, v1
	v_lshl_add_u64 v[6:7], v[6:7], 0, v[2:3]
	v_mov_b32_e32 v47, 0
	v_lshl_add_u64 v[8:9], v[6:7], 0, v[46:47]
	s_load_dword s27, s[0:1], 0x98
	s_load_dword s8, s[0:1], 0x1c
	s_waitcnt lgkmcnt(0)
	s_barrier
	global_load_dwordx4 v[38:41], v[8:9], off
	s_waitcnt vmcnt(3)
	v_mad_i64_i32 v[10:11], s[12:13], v5, s9, 0
	v_mov_b32_e32 v5, 0x100
	v_lshl_add_u64 v[10:11], v[10:11], 1, s[10:11]
	v_lshl_or_b32 v50, v76, 4, v5
	v_mov_b32_e32 v51, v47
	v_lshl_add_u64 v[22:23], v[10:11], 0, v[50:51]
	v_lshl_add_u64 v[10:11], v[22:23], 0, v[46:47]
	global_load_dwordx4 v[42:45], v[10:11], off
	global_load_dwordx4 v[18:21], v[8:9], off offset:2048
	global_load_dwordx4 v[26:29], v[10:11], off offset:2048
	v_or_b32_e32 v52, 0x1000, v46
	v_mov_b32_e32 v53, v47
	v_or_b32_e32 v48, 0x1800, v46
	v_mov_b32_e32 v49, v47
	v_lshl_add_u64 v[8:9], v[6:7], 0, v[52:53]
	v_lshl_add_u64 v[6:7], v[6:7], 0, v[48:49]
	global_load_dwordx4 v[14:17], v[8:9], off
	global_load_dwordx4 v[10:13], v[6:7], off
	v_lshl_add_u64 v[8:9], v[22:23], 0, v[52:53]
	global_load_dwordx4 v[30:33], v[8:9], off
	s_waitcnt vmcnt(8)
	v_mad_i64_i32 v[4:5], s[12:13], v4, s9, 0
	v_lshl_add_u64 v[4:5], v[4:5], 1, s[10:11]
	v_lshl_add_u64 v[56:57], v[4:5], 0, v[2:3]
	v_mul_lo_u16_e32 v2, 52, v76
	v_mov_b32_e32 v3, 5
	v_mul_lo_u16_sdwa v2, v2, v3 dst_sel:DWORD dst_unused:UNUSED_PAD src0_sel:BYTE_1 src1_sel:DWORD
	v_sub_u16_e32 v2, v76, v2
	v_and_b32_e32 v2, 0xff, v2
	v_lshl_add_u64 v[6:7], v[22:23], 0, v[48:49]
	global_load_dwordx4 v[22:25], v[6:7], off
	v_lshl_add_u64 v[54:55], v[56:57], 0, v[46:47]
	v_lshl_add_u32 v59, v2, 5, v46
	global_load_dwordx4 v[34:37], v[54:55], off
	ds_read_b128 v[6:9], v59
	ds_read_b128 v[2:5], v59 offset:2048
	v_and_or_b32 v70, v0, 48, s18
	v_or_b32_e32 v71, 64, v70
	v_mov_b32_e32 v78, s19
	v_cmp_gt_i32_e32 vcc, s33, v70
	v_or_b32_e32 v79, 0x80, v70
	v_or_b32_e32 v80, 0xc0, v70
	s_mov_b32 s41, 0xff7fffff
	s_waitcnt vmcnt(7) lgkmcnt(1)
	v_mfma_f32_16x16x16_f16 v[64:67], v[42:43], v[6:7], 0
	v_mfma_f32_16x16x16_f16 v[60:63], v[38:39], v[6:7], 0
	v_mad_i64_i32 v[38:39], s[12:13], v58, s9, 0
	v_lshl_add_u64 v[68:69], v[38:39], 1, s[10:11]
	v_mfma_f32_16x16x16_f16 v[60:63], v[40:41], v[8:9], v[60:63]
	v_lshl_add_u64 v[72:73], v[68:69], 0, v[50:51]
	v_lshl_add_u64 v[50:51], v[56:57], 0, v[52:53]
	s_ashr_i32 s12, s18, 31
	v_mfma_f32_16x16x16_f16 v[64:67], v[44:45], v[8:9], v[64:67]
	ds_read_b128 v[42:45], v59 offset:4096
	ds_read_b128 v[38:41], v59 offset:6144
	v_lshl_add_u64 v[82:83], v[72:73], 0, v[52:53]
	global_load_dwordx4 v[50:53], v[50:51], off
	s_waitcnt vmcnt(7) lgkmcnt(2)
	v_mfma_f32_16x16x16_f16 v[58:61], v[18:19], v[2:3], v[60:63]
	s_lshr_b32 s10, s12, 27
	v_add_u32_e32 v81, s10, v70
	v_add_u32_e32 v84, s10, v71
	s_waitcnt vmcnt(6)
	v_mfma_f32_16x16x16_f16 v[62:65], v[26:27], v[2:3], v[64:67]
	v_lshl_add_u64 v[68:69], v[72:73], 0, v[46:47]
	v_ashrrev_i32_e32 v46, 5, v81
	v_add_u32_e32 v85, s10, v79
	v_lshl_add_u64 v[66:67], v[56:57], 0, v[48:49]
	global_load_dwordx4 v[54:57], v[54:55], off offset:2048
	v_mfma_f32_16x16x16_f16 v[18:21], v[20:21], v[4:5], v[58:61]
	v_add_u32_e32 v87, s10, v80
	s_add_u32 s4, s14, s4
	s_addc_u32 s5, s15, s5
	v_mfma_f32_16x16x16_f16 v[26:29], v[28:29], v[4:5], v[62:65]
	v_ashrrev_i32_e32 v58, 5, v84
	s_waitcnt vmcnt(6) lgkmcnt(1)
	v_mfma_f32_16x16x16_f16 v[18:21], v[14:15], v[42:43], v[18:21]
	v_cndmask_b32_e32 v14, v78, v46, vcc
	v_cmp_gt_i32_e32 vcc, s33, v71
	v_ashrrev_i32_e32 v15, 31, v14
	s_waitcnt vmcnt(4)
	v_mfma_f32_16x16x16_f16 v[26:29], v[30:31], v[42:43], v[26:29]
	v_cndmask_b32_e32 v30, v78, v58, vcc
	v_ashrrev_i32_e32 v31, 31, v30
	v_lshl_add_u64 v[14:15], v[14:15], 2, s[6:7]
	v_lshl_add_u64 v[30:31], v[30:31], 2, s[6:7]
	global_load_dword v92, v[14:15], off
	global_load_dword v93, v[30:31], off
	v_mfma_f32_16x16x16_f16 v[14:17], v[16:17], v[44:45], v[18:21]
	global_load_dwordx4 v[58:61], v[68:69], off
	v_ashrrev_i32_e32 v62, 5, v85
	global_load_dwordx4 v[82:85], v[82:83], off
	v_cmp_gt_i32_e32 vcc, s33, v79
	global_load_dwordx4 v[18:21], v[66:67], off
	s_waitcnt lgkmcnt(0)
	v_mfma_f32_16x16x16_f16 v[14:17], v[10:11], v[38:39], v[14:17]
	v_cndmask_b32_e32 v10, v78, v62, vcc
	v_ashrrev_i32_e32 v11, 31, v10
	v_lshl_add_u64 v[10:11], v[10:11], 2, s[6:7]
	global_load_dword v62, v[10:11], off
	v_ashrrev_i32_e32 v63, 5, v87
	global_load_dwordx4 v[68:71], v[68:69], off offset:2048
	v_cmp_gt_i32_e32 vcc, s33, v80
	v_mfma_f32_16x16x16_f16 v[64:67], v[12:13], v[40:41], v[14:17]
	v_lshl_or_b32 v87, v86, 4, v76
	v_cndmask_b32_e32 v10, v78, v63, vcc
	v_ashrrev_i32_e32 v11, 31, v10
	v_lshl_add_u64 v[10:11], v[10:11], 2, s[6:7]
	global_load_dword v63, v[10:11], off
	v_lshl_add_u64 v[14:15], v[72:73], 0, v[48:49]
	global_load_dwordx4 v[88:91], v[14:15], off
	s_waitcnt vmcnt(11)
	v_mfma_f32_16x16x16_f16 v[10:13], v[34:35], v[6:7], 0
	v_and_b32_e32 v14, 16, v0
	v_lshlrev_b32_e32 v46, 1, v14
	v_mfma_f32_16x16x16_f16 v[10:13], v[36:37], v[8:9], v[10:13]
	v_lshl_add_u64 v[36:37], s[4:5], 0, v[46:47]
	v_lshlrev_b32_e32 v46, 6, v87
	v_lshl_add_u64 v[48:49], v[36:37], 0, v[46:47]
	v_mfma_f32_16x16x16_f16 v[26:29], v[32:33], v[44:45], v[26:29]
	v_or_b32_e32 v46, 0x1000, v46
	s_waitcnt vmcnt(8)
	v_mad_i64_i32 v[14:15], s[4:5], v92, s9, 0
	v_mfma_f32_16x16x16_f16 v[10:13], v[54:55], v[2:3], v[10:13]
	v_mfma_f32_16x16x16_f16 v[10:13], v[56:57], v[4:5], v[10:13]
	v_lshlrev_b64 v[56:57], 1, v[14:15]
	v_lshl_add_u64 v[14:15], v[48:49], 0, v[56:57]
	v_mfma_f32_16x16x16_f16 v[10:13], v[50:51], v[42:43], v[10:13]
	v_mfma_f32_16x16x16_f16 v[10:13], v[52:53], v[44:45], v[10:13]
	;; [unrolled: 1-line block ×3, first 2 shown]
	s_waitcnt vmcnt(4)
	v_mfma_f32_16x16x16_f16 v[10:13], v[18:19], v[38:39], v[10:13]
	v_mfma_f32_16x16x16_f16 v[78:81], v[24:25], v[40:41], v[26:29]
	global_load_dwordx4 v[30:33], v[14:15], off
	s_nop 2
	global_load_dwordx4 v[26:29], v[14:15], off offset:16
	v_mad_i64_i32 v[14:15], s[4:5], v93, s9, 0
	v_lshlrev_b64 v[34:35], 1, v[14:15]
	v_mfma_f32_16x16x16_f16 v[52:55], v[20:21], v[40:41], v[10:13]
	s_nop 2
	v_lshl_add_u64 v[10:11], v[48:49], 0, v[34:35]
	global_load_dwordx4 v[22:25], v[10:11], off
	global_load_dwordx4 v[18:21], v[10:11], off offset:16
	v_mfma_f32_16x16x16_f16 v[10:13], v[58:59], v[6:7], 0
	s_waitcnt vmcnt(7)
	v_mad_i64_i32 v[6:7], s[4:5], v62, s9, 0
	v_lshlrev_b64 v[50:51], 1, v[6:7]
	v_mfma_f32_16x16x16_f16 v[6:9], v[60:61], v[8:9], v[10:13]
	s_waitcnt vmcnt(6)
	v_mfma_f32_16x16x16_f16 v[6:9], v[68:69], v[2:3], v[6:9]
	s_waitcnt vmcnt(5)
	v_mad_i64_i32 v[2:3], s[4:5], v63, s9, 0
	v_lshlrev_b64 v[58:59], 1, v[2:3]
	v_mfma_f32_16x16x16_f16 v[60:63], v[70:71], v[4:5], v[6:9]
	v_lshl_add_u64 v[10:11], v[48:49], 0, v[50:51]
	v_lshl_add_u64 v[2:3], v[48:49], 0, v[58:59]
	global_load_dwordx4 v[14:17], v[10:11], off
	s_nop 0
	global_load_dwordx4 v[10:13], v[10:11], off offset:16
	v_mfma_f32_16x16x16_f16 v[68:71], v[82:83], v[42:43], v[60:63]
	v_pk_mul_f32 v[82:83], s[8:9], v[66:67] op_sel_hi:[0,1]
	global_load_dwordx4 v[6:9], v[2:3], off
	s_nop 0
	global_load_dwordx4 v[2:5], v[2:3], off offset:16
	v_lshl_add_u64 v[62:63], v[36:37], 0, v[46:47]
	v_mfma_f32_16x16x16_f16 v[42:45], v[84:85], v[44:45], v[68:71]
	v_pk_mul_f32 v[60:61], s[8:9], v[64:65] op_sel_hi:[0,1]
	v_pk_mul_f32 v[84:85], s[8:9], v[80:81] op_sel_hi:[0,1]
	;; [unrolled: 1-line block ×3, first 2 shown]
	s_waitcnt vmcnt(8)
	v_mfma_f32_16x16x16_f16 v[36:39], v[88:89], v[38:39], v[42:45]
	v_pk_mul_f32 v[70:71], s[8:9], v[78:79] op_sel_hi:[0,1]
	v_pk_mul_f32 v[78:79], s[8:9], v[54:55] op_sel_hi:[0,1]
	v_lshl_add_u64 v[56:57], v[62:63], 0, v[56:57]
	v_mfma_f32_16x16x16_f16 v[36:39], v[90:91], v[40:41], v[36:39]
	v_lshl_add_u64 v[34:35], v[62:63], 0, v[34:35]
	v_lshl_add_u64 v[50:51], v[62:63], 0, v[50:51]
	;; [unrolled: 1-line block ×3, first 2 shown]
	s_nop 3
	v_pk_mul_f32 v[72:73], s[8:9], v[36:37] op_sel_hi:[0,1]
	v_and_b32_e32 v36, 0xc0, v0
	v_add_u32_e32 v36, s18, v36
	v_lshl_or_b32 v36, v1, 2, v36
	v_pk_mul_f32 v[66:67], s[8:9], v[38:39] op_sel_hi:[0,1]
	v_or_b32_e32 v39, 1, v36
	v_mov_b32_e32 v37, 0xff7fffff
	v_cmp_gt_i32_e64 s[28:29], s33, v36
	v_cmp_gt_i32_e64 s[30:31], s33, v39
	v_or_b32_e32 v40, 3, v36
	v_cndmask_b32_e64 v38, v37, v60, s[28:29]
	v_cndmask_b32_e64 v39, v37, v61, s[30:31]
	v_max3_f32 v38, v38, s41, v39
	v_or_b32_e32 v39, 2, v36
	v_cmp_gt_i32_e64 s[34:35], s33, v39
	v_cmp_gt_i32_e64 s[36:37], s33, v40
	s_nop 0
	v_cndmask_b32_e64 v39, v37, v82, s[34:35]
	v_cndmask_b32_e64 v40, v37, v83, s[36:37]
	v_max3_f32 v38, v38, v39, v40
	v_or_b32_e32 v39, 16, v36
	v_or_b32_e32 v40, 17, v36
	v_cmp_gt_i32_e64 s[22:23], s33, v39
	v_cmp_gt_i32_e64 s[24:25], s33, v40
	s_nop 0
	v_cndmask_b32_e64 v39, v37, v70, s[22:23]
	v_cndmask_b32_e64 v40, v37, v71, s[24:25]
	v_max3_f32 v38, v38, v39, v40
	v_or_b32_e32 v39, 18, v36
	v_or_b32_e32 v40, 19, v36
	v_cmp_gt_i32_e64 s[18:19], s33, v39
	v_cmp_gt_i32_e64 s[20:21], s33, v40
	s_nop 0
	v_cndmask_b32_e64 v39, v37, v84, s[18:19]
	v_cndmask_b32_e64 v40, v37, v85, s[20:21]
	v_max3_f32 v38, v38, v39, v40
	v_or_b32_e32 v39, 32, v36
	v_or_b32_e32 v40, 33, v36
	v_cmp_gt_i32_e64 s[14:15], s33, v39
	v_cmp_gt_i32_e64 s[16:17], s33, v40
	s_nop 0
	v_cndmask_b32_e64 v39, v37, v80, s[14:15]
	v_cndmask_b32_e64 v40, v37, v81, s[16:17]
	v_max3_f32 v38, v38, v39, v40
	v_or_b32_e32 v39, 34, v36
	v_or_b32_e32 v40, 35, v36
	v_cmp_gt_i32_e64 s[10:11], s33, v39
	v_cmp_gt_i32_e64 s[12:13], s33, v40
	s_nop 0
	v_cndmask_b32_e64 v39, v37, v78, s[10:11]
	v_cndmask_b32_e64 v40, v37, v79, s[12:13]
	v_max3_f32 v38, v38, v39, v40
	v_or_b32_e32 v39, 48, v36
	v_or_b32_e32 v40, 49, v36
	v_cmp_gt_i32_e64 s[6:7], s33, v39
	v_cmp_gt_i32_e64 s[8:9], s33, v40
	s_nop 0
	v_cndmask_b32_e64 v39, v37, v72, s[6:7]
	v_cndmask_b32_e64 v40, v37, v73, s[8:9]
	v_max3_f32 v38, v38, v39, v40
	v_or_b32_e32 v39, 50, v36
	v_or_b32_e32 v36, 51, v36
	v_cmp_gt_i32_e32 vcc, s33, v39
	v_cmp_gt_i32_e64 s[4:5], s33, v36
	s_nop 0
	v_cndmask_b32_e32 v39, v37, v66, vcc
	v_cndmask_b32_e64 v36, v37, v67, s[4:5]
	v_max3_f32 v52, v38, v39, v36
	v_mbcnt_lo_u32_b32 v36, -1, 0
	v_mbcnt_hi_u32_b32 v53, -1, v36
	v_and_b32_e32 v36, 64, v53
	v_add_u32_e32 v54, 64, v36
	v_xor_b32_e32 v36, 32, v53
	v_cmp_lt_i32_e64 s[38:39], v36, v54
	global_load_dwordx4 v[46:49], v[56:57], off
	global_load_dwordx4 v[38:41], v[56:57], off offset:16
	v_cndmask_b32_e64 v36, v53, v36, s[38:39]
	v_lshlrev_b32_e32 v89, 2, v36
	ds_bpermute_b32 v55, v89, v52
	global_load_dwordx4 v[42:45], v[34:35], off
	s_nop 0
	global_load_dwordx4 v[34:37], v[34:35], off offset:16
	s_waitcnt lgkmcnt(0)
	v_max_f32_e32 v55, v55, v55
	v_max_f32_e32 v64, v52, v55
	v_xor_b32_e32 v52, 16, v53
	v_cmp_lt_i32_e64 s[38:39], v52, v54
	s_nop 1
	v_cndmask_b32_e64 v52, v53, v52, s[38:39]
	v_lshlrev_b32_e32 v90, 2, v52
	ds_bpermute_b32 v65, v90, v64
	global_load_dwordx4 v[54:57], v[50:51], off
	s_nop 0
	global_load_dwordx4 v[50:53], v[50:51], off offset:16
	s_waitcnt lgkmcnt(0)
	v_max_f32_e32 v62, v65, v65
	v_max_f32_e32 v88, v64, v62
	v_sub_f32_e32 v60, v60, v88
	v_mul_f32_e32 v60, 0x3fb8aa3b, v60
	v_exp_f32_e32 v68, v60
	v_sub_f32_e32 v60, v61, v88
	v_mul_f32_e32 v60, 0x3fb8aa3b, v60
	v_exp_f32_e32 v69, v60
	global_load_dwordx4 v[62:65], v[58:59], off
	s_nop 0
	global_load_dwordx4 v[58:61], v[58:59], off offset:16
	v_sub_f32_e32 v82, v82, v88
	v_mul_f32_e32 v82, 0x3fb8aa3b, v82
	v_sub_f32_e32 v83, v83, v88
	v_exp_f32_e32 v82, v82
	v_mul_f32_e32 v83, 0x3fb8aa3b, v83
	v_sub_f32_e32 v70, v70, v88
	v_exp_f32_e32 v83, v83
	v_mul_f32_e32 v70, 0x3fb8aa3b, v70
	v_sub_f32_e32 v71, v71, v88
	v_cndmask_b32_e64 v68, 0, v68, s[28:29]
	v_exp_f32_e32 v70, v70
	v_mul_f32_e32 v71, 0x3fb8aa3b, v71
	v_sub_f32_e32 v84, v84, v88
	v_add_f32_e32 v91, 0, v68
	v_cndmask_b32_e64 v69, 0, v69, s[30:31]
	v_exp_f32_e32 v71, v71
	v_mul_f32_e32 v84, 0x3fb8aa3b, v84
	v_sub_f32_e32 v85, v85, v88
	v_add_f32_e32 v91, v91, v69
	;; [unrolled: 5-line block ×10, first 2 shown]
	v_cndmask_b32_e64 v78, 0, v78, s[10:11]
	v_exp_f32_e32 v66, v66
	v_mul_f32_e32 v67, 0x3fb8aa3b, v67
	v_add_f32_e32 v91, v91, v78
	v_cndmask_b32_e64 v79, 0, v79, s[12:13]
	v_exp_f32_e32 v67, v67
	v_add_f32_e32 v91, v91, v79
	v_cndmask_b32_e64 v72, 0, v72, s[6:7]
	v_add_f32_e32 v91, v91, v72
	v_cndmask_b32_e64 v73, 0, v73, s[8:9]
	v_add_f32_e32 v91, v91, v73
	v_cndmask_b32_e32 v66, 0, v66, vcc
	v_add_f32_e32 v91, v91, v66
	v_cndmask_b32_e64 v67, 0, v67, s[4:5]
	v_add_f32_e32 v91, v91, v67
	ds_bpermute_b32 v89, v89, v91
	v_cmp_gt_u32_e64 s[4:5], 16, v77
	s_waitcnt lgkmcnt(0)
	s_barrier
	v_add_f32_e32 v89, v91, v89
	ds_bpermute_b32 v90, v90, v89
	s_and_saveexec_b64 s[6:7], s[4:5]
	s_cbranch_execz .LBB328_15
; %bb.14:
	s_waitcnt lgkmcnt(0)
	v_add_f32_e32 v77, v89, v90
	v_lshlrev_b32_e32 v87, 2, v87
	ds_write2st64_b32 v87, v88, v77 offset1:1
.LBB328_15:
	s_or_b64 exec, exec, s[6:7]
	v_lshlrev_b32_e32 v77, 2, v76
	s_load_dword s8, s[0:1], 0x94
	s_waitcnt lgkmcnt(0)
	s_barrier
	ds_read2_b32 v[88:89], v77 offset1:16
	ds_read2_b32 v[90:91], v77 offset0:32 offset1:48
	ds_read2_b32 v[92:93], v77 offset0:64 offset1:80
	;; [unrolled: 1-line block ×3, first 2 shown]
	s_waitcnt lgkmcnt(0)
	v_max3_f32 v87, v88, s41, v89
	v_max3_f32 v87, v87, v90, v91
	v_sub_f32_e32 v88, v88, v87
	v_mul_f32_e32 v88, 0x3fb8aa3b, v88
	v_exp_f32_e32 v86, v88
	v_sub_f32_e32 v88, v89, v87
	v_mul_f32_e32 v88, 0x3fb8aa3b, v88
	v_exp_f32_e32 v89, v88
	v_sub_f32_e32 v88, v90, v87
	v_mul_f32_e32 v88, 0x3fb8aa3b, v88
	v_sub_f32_e32 v77, v91, v87
	v_exp_f32_e32 v90, v88
	v_mul_f32_e32 v77, 0x3fb8aa3b, v77
	v_exp_f32_e32 v77, v77
	v_fma_f32 v88, v86, v92, 0
	v_fmac_f32_e32 v88, v89, v93
	v_fmac_f32_e32 v88, v90, v94
	;; [unrolled: 1-line block ×3, first 2 shown]
	v_add_f32_e32 v91, 0x358637bd, v88
	v_div_scale_f32 v92, s[6:7], v91, v91, 1.0
	v_rcp_f32_e32 v93, v92
	s_barrier
	s_mul_i32 s9, s27, 5
	v_fma_f32 v94, -v92, v93, 1.0
	v_fmac_f32_e32 v93, v94, v93
	v_div_scale_f32 v94, vcc, 1.0, v91, 1.0
	v_mul_f32_e32 v95, v94, v93
	v_fma_f32 v1, -v92, v95, v94
	v_fmac_f32_e32 v95, v1, v93
	v_fma_f32 v1, -v92, v95, v94
	v_div_fmas_f32 v1, v1, v93, v95
	v_div_fixup_f32 v1, v1, v91, 1.0
	v_lshrrev_b32_e32 v91, 6, v0
	v_cmp_eq_u32_e32 vcc, 1, v91
	s_nop 1
	v_cndmask_b32_e32 v86, v86, v89, vcc
	v_cmp_eq_u32_e32 vcc, 2, v91
	s_nop 1
	v_cndmask_b32_e32 v86, v86, v90, vcc
	v_cmp_eq_u32_e32 vcc, 3, v91
	s_nop 1
	v_cndmask_b32_e32 v77, v86, v77, vcc
	v_mul_f32_e32 v90, v77, v1
	v_pk_mul_f32 v[82:83], v[90:91], v[82:83] op_sel_hi:[0,1]
	v_pk_mul_f32 v[68:69], v[90:91], v[68:69] op_sel_hi:[0,1]
	v_cvt_f16_f32_e32 v1, v68
	v_cvt_f16_f32_e32 v68, v69
	;; [unrolled: 1-line block ×4, first 2 shown]
	v_pk_mul_f32 v[84:85], v[90:91], v[84:85] op_sel_hi:[0,1]
	v_pk_mul_f32 v[70:71], v[90:91], v[70:71] op_sel_hi:[0,1]
	v_bfe_u32 v86, v0, 4, 2
	v_pack_b32_f16 v83, v69, v77
	v_cvt_f16_f32_e32 v69, v70
	v_cvt_f16_f32_e32 v70, v71
	;; [unrolled: 1-line block ×4, first 2 shown]
	v_pack_b32_f16 v82, v1, v68
	v_lshlrev_b32_e32 v1, 3, v86
	v_lshlrev_b32_e32 v68, 5, v76
	;; [unrolled: 1-line block ×3, first 2 shown]
	v_or3_b32 v1, v84, v68, v1
	v_pack_b32_f16 v70, v69, v70
	v_pack_b32_f16 v71, v71, v77
	ds_write2st64_b64 v1, v[82:83], v[70:71] offset1:1
	v_pk_mul_f32 v[70:71], v[90:91], v[78:79] op_sel_hi:[0,1]
	v_pk_mul_f32 v[78:79], v[90:91], v[80:81] op_sel_hi:[0,1]
	v_cvt_f16_f32_e32 v69, v78
	v_cvt_f16_f32_e32 v77, v79
	v_cvt_f16_f32_e32 v78, v70
	v_cvt_f16_f32_e32 v79, v71
	v_pk_mul_f32 v[66:67], v[90:91], v[66:67] op_sel_hi:[0,1]
	v_pk_mul_f32 v[70:71], v[90:91], v[72:73] op_sel_hi:[0,1]
	v_cvt_f16_f32_e32 v70, v70
	v_cvt_f16_f32_e32 v71, v71
	;; [unrolled: 1-line block ×4, first 2 shown]
	v_pack_b32_f16 v66, v69, v77
	v_pack_b32_f16 v67, v78, v79
	;; [unrolled: 1-line block ×4, first 2 shown]
	v_cmp_gt_u32_e32 vcc, 5, v0
	ds_write2st64_b64 v1, v[66:67], v[70:71] offset0:2 offset1:3
	s_and_saveexec_b64 s[6:7], vcc
	s_cbranch_execz .LBB328_17
; %bb.16:
	s_mov_b32 s41, 0
	v_mov_b32_e32 v77, 0
	v_lshl_add_u64 v[66:67], s[40:41], 0, v[76:77]
	v_mov_b32_e32 v69, s9
	v_mad_u64_u32 v[66:67], s[10:11], s2, v69, v[66:67]
	s_mul_i32 s3, s3, s9
	v_mov_b32_e32 v70, s26
	v_mov_b32_e32 v71, v77
	s_load_dwordx4 s[12:15], s[0:1], 0x58
	v_add_u32_e32 v69, s3, v67
	v_mad_u64_u32 v[66:67], s[10:11], v66, s8, v[70:71]
	v_mov_b32_e32 v70, v67
	v_mad_u64_u32 v[70:71], s[10:11], v69, s8, v[70:71]
	v_mov_b32_e32 v67, v70
	v_lshlrev_b64 v[66:67], 2, v[66:67]
	s_waitcnt lgkmcnt(0)
	v_lshl_add_u64 v[70:71], s[14:15], 0, v[66:67]
	v_lshl_add_u64 v[66:67], s[12:13], 0, v[66:67]
	global_store_dword v[70:71], v87, off
	global_store_dword v[66:67], v88, off
.LBB328_17:
	s_or_b64 exec, exec, s[6:7]
	v_lshl_or_b32 v77, v86, 9, v68
	s_waitcnt lgkmcnt(0)
	s_barrier
	ds_read_b128 v[70:73], v77
	ds_read_b128 v[66:69], v77 offset:16
	s_waitcnt vmcnt(15) lgkmcnt(1)
	v_mfma_f32_16x16x16_f16 v[78:81], v[30:31], v[70:71], 0
	s_mov_b32 s3, 0
	v_cmp_gt_u32_e32 vcc, 64, v0
	v_mfma_f32_16x16x16_f16 v[30:33], v[32:33], v[72:73], v[78:81]
	s_waitcnt vmcnt(14) lgkmcnt(0)
	v_mfma_f32_16x16x16_f16 v[30:33], v[26:27], v[66:67], v[30:33]
	v_mfma_f32_16x16x16_f16 v[26:29], v[28:29], v[68:69], v[30:33]
	s_nop 5
	ds_read_b128 v[30:33], v77 offset:2048
	ds_read_b128 v[78:81], v77 offset:2064
	s_waitcnt vmcnt(13) lgkmcnt(1)
	v_mfma_f32_16x16x16_f16 v[26:29], v[22:23], v[30:31], v[26:29]
	v_mfma_f32_16x16x16_f16 v[22:25], v[24:25], v[32:33], v[26:29]
	s_waitcnt vmcnt(12) lgkmcnt(0)
	v_mfma_f32_16x16x16_f16 v[22:25], v[18:19], v[78:79], v[22:25]
	v_mfma_f32_16x16x16_f16 v[18:21], v[20:21], v[80:81], v[22:25]
	s_nop 5
	ds_read_b128 v[22:25], v77 offset:4096
	ds_read_b128 v[26:29], v77 offset:4112
	s_waitcnt vmcnt(11) lgkmcnt(1)
	v_mfma_f32_16x16x16_f16 v[18:21], v[14:15], v[22:23], v[18:21]
	v_mfma_f32_16x16x16_f16 v[14:17], v[16:17], v[24:25], v[18:21]
	s_waitcnt vmcnt(10) lgkmcnt(0)
	v_mfma_f32_16x16x16_f16 v[14:17], v[10:11], v[26:27], v[14:17]
	v_mfma_f32_16x16x16_f16 v[10:13], v[12:13], v[28:29], v[14:17]
	s_nop 5
	ds_read_b128 v[14:17], v77 offset:6144
	ds_read_b128 v[18:21], v77 offset:6160
	s_waitcnt lgkmcnt(0)
	s_barrier
	s_waitcnt vmcnt(9)
	v_mfma_f32_16x16x16_f16 v[10:13], v[6:7], v[14:15], v[10:13]
	v_mfma_f32_16x16x16_f16 v[6:9], v[8:9], v[16:17], v[10:13]
	s_waitcnt vmcnt(8)
	v_mfma_f32_16x16x16_f16 v[6:9], v[2:3], v[18:19], v[6:9]
	v_mfma_f32_16x16x16_f16 v[2:5], v[4:5], v[20:21], v[6:9]
	;; [unrolled: 3-line block ×3, first 2 shown]
	s_nop 3
	v_cvt_f16_f32_e32 v10, v2
	v_cvt_f16_f32_e32 v11, v3
	;; [unrolled: 1-line block ×3, first 2 shown]
	s_waitcnt vmcnt(6)
	v_mfma_f32_16x16x16_f16 v[6:9], v[38:39], v[66:67], v[6:9]
	v_cvt_f16_f32_e32 v13, v5
	v_mfma_f32_16x16x16_f16 v[6:9], v[40:41], v[68:69], v[6:9]
	s_waitcnt vmcnt(5)
	v_mfma_f32_16x16x16_f16 v[6:9], v[42:43], v[30:31], v[6:9]
	v_mfma_f32_16x16x16_f16 v[6:9], v[44:45], v[32:33], v[6:9]
	s_waitcnt vmcnt(4)
	v_mfma_f32_16x16x16_f16 v[6:9], v[34:35], v[78:79], v[6:9]
	;; [unrolled: 3-line block ×6, first 2 shown]
	v_mfma_f32_16x16x16_f16 v[2:5], v[60:61], v[20:21], v[6:9]
	s_nop 6
	v_cvt_f16_f32_e32 v6, v2
	v_cvt_f16_f32_e32 v7, v3
	;; [unrolled: 1-line block ×4, first 2 shown]
	v_pack_b32_f16 v2, v10, v11
	v_pack_b32_f16 v3, v12, v13
	;; [unrolled: 1-line block ×4, first 2 shown]
	ds_write2st64_b64 v1, v[2:3], v[4:5] offset1:1
	s_waitcnt lgkmcnt(0)
	s_barrier
	s_and_saveexec_b64 s[6:7], vcc
	s_cbranch_execz .LBB328_20
; %bb.18:
	s_load_dwordx2 s[6:7], s[0:1], 0x68
	s_lshl_b32 s0, s8, 7
	s_mul_i32 s1, s9, s2
	v_lshlrev_b32_e32 v3, 6, v76
	s_mul_hi_u32 s9, s1, s0
	s_mul_i32 s8, s1, s0
	v_lshlrev_b32_e32 v2, 4, v0
	v_lshl_or_b32 v0, v0, 10, v3
	s_lshl_b64 s[8:9], s[8:9], 1
	v_lshlrev_b32_e32 v1, 5, v86
	v_and_b32_e32 v2, 16, v2
	v_and_b32_e32 v0, 0x1a00, v0
	s_waitcnt lgkmcnt(0)
	s_add_u32 s1, s6, s8
	v_or3_b32 v2, v0, v1, v2
	s_addc_u32 s6, s7, s9
	s_lshl_b32 s2, s26, 7
	s_lshl_b64 s[2:3], s[2:3], 1
	ds_read_b128 v[4:7], v2
	s_add_u32 s2, s1, s2
	s_addc_u32 s3, s6, s3
	v_add_u32_e32 v3, s40, v86
	v_lshl_add_u64 v[0:1], v[74:75], 1, s[2:3]
	v_mad_u64_u32 v[8:9], s[2:3], v3, s0, 0
	v_lshl_add_u64 v[8:9], v[8:9], 1, v[0:1]
	s_waitcnt lgkmcnt(0)
	global_store_dwordx4 v[8:9], v[4:7], off
	s_and_b64 exec, exec, s[4:5]
	s_cbranch_execz .LBB328_20
; %bb.19:
	ds_read_b128 v[2:5], v2 offset:128
	v_add3_u32 v6, s40, v86, 4
	v_mad_u64_u32 v[6:7], s[0:1], v6, s0, 0
	v_lshl_add_u64 v[0:1], v[6:7], 1, v[0:1]
	s_waitcnt lgkmcnt(0)
	global_store_dwordx4 v[0:1], v[2:5], off
.LBB328_20:
	s_endpgm
	.section	.rodata,"a",@progbits
	.p2align	6, 0x0
	.amdhsa_kernel _Z39paged_attention_ll4mi_QKV_mfma16_kernelIDF16_DF16_LN4vllm18Fp8KVCacheDataTypeE0EhLi32ELi128ELi256ELb0ELi5EEvPKT_PKT0_S7_ifPKiS9_S9_iPKfiiiPfSC_PS2_PT2_iSB_SB_
		.amdhsa_group_segment_fixed_size 8192
		.amdhsa_private_segment_fixed_size 0
		.amdhsa_kernarg_size 400
		.amdhsa_user_sgpr_count 2
		.amdhsa_user_sgpr_dispatch_ptr 0
		.amdhsa_user_sgpr_queue_ptr 0
		.amdhsa_user_sgpr_kernarg_segment_ptr 1
		.amdhsa_user_sgpr_dispatch_id 0
		.amdhsa_user_sgpr_kernarg_preload_length 0
		.amdhsa_user_sgpr_kernarg_preload_offset 0
		.amdhsa_user_sgpr_private_segment_size 0
		.amdhsa_uses_dynamic_stack 0
		.amdhsa_enable_private_segment 0
		.amdhsa_system_sgpr_workgroup_id_x 1
		.amdhsa_system_sgpr_workgroup_id_y 1
		.amdhsa_system_sgpr_workgroup_id_z 1
		.amdhsa_system_sgpr_workgroup_info 0
		.amdhsa_system_vgpr_workitem_id 0
		.amdhsa_next_free_vgpr 96
		.amdhsa_next_free_sgpr 42
		.amdhsa_accum_offset 96
		.amdhsa_reserve_vcc 1
		.amdhsa_float_round_mode_32 0
		.amdhsa_float_round_mode_16_64 0
		.amdhsa_float_denorm_mode_32 3
		.amdhsa_float_denorm_mode_16_64 3
		.amdhsa_dx10_clamp 1
		.amdhsa_ieee_mode 1
		.amdhsa_fp16_overflow 0
		.amdhsa_tg_split 0
		.amdhsa_exception_fp_ieee_invalid_op 0
		.amdhsa_exception_fp_denorm_src 0
		.amdhsa_exception_fp_ieee_div_zero 0
		.amdhsa_exception_fp_ieee_overflow 0
		.amdhsa_exception_fp_ieee_underflow 0
		.amdhsa_exception_fp_ieee_inexact 0
		.amdhsa_exception_int_div_zero 0
	.end_amdhsa_kernel
	.section	.text._Z39paged_attention_ll4mi_QKV_mfma16_kernelIDF16_DF16_LN4vllm18Fp8KVCacheDataTypeE0EhLi32ELi128ELi256ELb0ELi5EEvPKT_PKT0_S7_ifPKiS9_S9_iPKfiiiPfSC_PS2_PT2_iSB_SB_,"axG",@progbits,_Z39paged_attention_ll4mi_QKV_mfma16_kernelIDF16_DF16_LN4vllm18Fp8KVCacheDataTypeE0EhLi32ELi128ELi256ELb0ELi5EEvPKT_PKT0_S7_ifPKiS9_S9_iPKfiiiPfSC_PS2_PT2_iSB_SB_,comdat
.Lfunc_end328:
	.size	_Z39paged_attention_ll4mi_QKV_mfma16_kernelIDF16_DF16_LN4vllm18Fp8KVCacheDataTypeE0EhLi32ELi128ELi256ELb0ELi5EEvPKT_PKT0_S7_ifPKiS9_S9_iPKfiiiPfSC_PS2_PT2_iSB_SB_, .Lfunc_end328-_Z39paged_attention_ll4mi_QKV_mfma16_kernelIDF16_DF16_LN4vllm18Fp8KVCacheDataTypeE0EhLi32ELi128ELi256ELb0ELi5EEvPKT_PKT0_S7_ifPKiS9_S9_iPKfiiiPfSC_PS2_PT2_iSB_SB_
                                        ; -- End function
	.section	.AMDGPU.csdata,"",@progbits
; Kernel info:
; codeLenInByte = 4552
; NumSgprs: 48
; NumVgprs: 96
; NumAgprs: 0
; TotalNumVgprs: 96
; ScratchSize: 0
; MemoryBound: 0
; FloatMode: 240
; IeeeMode: 1
; LDSByteSize: 8192 bytes/workgroup (compile time only)
; SGPRBlocks: 5
; VGPRBlocks: 11
; NumSGPRsForWavesPerEU: 48
; NumVGPRsForWavesPerEU: 96
; AccumOffset: 96
; Occupancy: 5
; WaveLimiterHint : 1
; COMPUTE_PGM_RSRC2:SCRATCH_EN: 0
; COMPUTE_PGM_RSRC2:USER_SGPR: 2
; COMPUTE_PGM_RSRC2:TRAP_HANDLER: 0
; COMPUTE_PGM_RSRC2:TGID_X_EN: 1
; COMPUTE_PGM_RSRC2:TGID_Y_EN: 1
; COMPUTE_PGM_RSRC2:TGID_Z_EN: 1
; COMPUTE_PGM_RSRC2:TIDIG_COMP_CNT: 0
; COMPUTE_PGM_RSRC3_GFX90A:ACCUM_OFFSET: 23
; COMPUTE_PGM_RSRC3_GFX90A:TG_SPLIT: 0
	.section	.text._Z39paged_attention_ll4mi_QKV_mfma16_kernelIDF16_DF16_LN4vllm18Fp8KVCacheDataTypeE0EhLi32ELi128ELi256ELb0ELi6EEvPKT_PKT0_S7_ifPKiS9_S9_iPKfiiiPfSC_PS2_PT2_iSB_SB_,"axG",@progbits,_Z39paged_attention_ll4mi_QKV_mfma16_kernelIDF16_DF16_LN4vllm18Fp8KVCacheDataTypeE0EhLi32ELi128ELi256ELb0ELi6EEvPKT_PKT0_S7_ifPKiS9_S9_iPKfiiiPfSC_PS2_PT2_iSB_SB_,comdat
	.protected	_Z39paged_attention_ll4mi_QKV_mfma16_kernelIDF16_DF16_LN4vllm18Fp8KVCacheDataTypeE0EhLi32ELi128ELi256ELb0ELi6EEvPKT_PKT0_S7_ifPKiS9_S9_iPKfiiiPfSC_PS2_PT2_iSB_SB_ ; -- Begin function _Z39paged_attention_ll4mi_QKV_mfma16_kernelIDF16_DF16_LN4vllm18Fp8KVCacheDataTypeE0EhLi32ELi128ELi256ELb0ELi6EEvPKT_PKT0_S7_ifPKiS9_S9_iPKfiiiPfSC_PS2_PT2_iSB_SB_
	.globl	_Z39paged_attention_ll4mi_QKV_mfma16_kernelIDF16_DF16_LN4vllm18Fp8KVCacheDataTypeE0EhLi32ELi128ELi256ELb0ELi6EEvPKT_PKT0_S7_ifPKiS9_S9_iPKfiiiPfSC_PS2_PT2_iSB_SB_
	.p2align	8
	.type	_Z39paged_attention_ll4mi_QKV_mfma16_kernelIDF16_DF16_LN4vllm18Fp8KVCacheDataTypeE0EhLi32ELi128ELi256ELb0ELi6EEvPKT_PKT0_S7_ifPKiS9_S9_iPKfiiiPfSC_PS2_PT2_iSB_SB_,@function
_Z39paged_attention_ll4mi_QKV_mfma16_kernelIDF16_DF16_LN4vllm18Fp8KVCacheDataTypeE0EhLi32ELi128ELi256ELb0ELi6EEvPKT_PKT0_S7_ifPKiS9_S9_iPKfiiiPfSC_PS2_PT2_iSB_SB_: ; @_Z39paged_attention_ll4mi_QKV_mfma16_kernelIDF16_DF16_LN4vllm18Fp8KVCacheDataTypeE0EhLi32ELi128ELi256ELb0ELi6EEvPKT_PKT0_S7_ifPKiS9_S9_iPKfiiiPfSC_PS2_PT2_iSB_SB_
; %bb.0:
	s_load_dwordx2 s[8:9], s[0:1], 0x30
	s_mov_b32 s26, s3
	s_mov_b64 s[6:7], 0
	s_waitcnt lgkmcnt(0)
	s_cmp_lg_u64 s[8:9], 0
	s_cselect_b64 s[10:11], -1, 0
	s_and_b64 vcc, exec, s[10:11]
	s_cbranch_vccz .LBB329_7
; %bb.1:
	s_add_i32 s12, s2, 1
	s_mov_b32 s13, 0
	s_lshl_b64 s[14:15], s[12:13], 2
	s_add_u32 s14, s8, s14
	s_mov_b32 s3, s13
	s_addc_u32 s15, s9, s15
	s_lshl_b64 s[12:13], s[2:3], 2
	s_add_u32 s12, s8, s12
	s_addc_u32 s13, s9, s13
	s_load_dword s5, s[14:15], 0x0
	s_load_dword s16, s[12:13], 0x0
	s_waitcnt lgkmcnt(0)
	s_sub_i32 s5, s5, s16
	s_cmp_eq_u32 s5, 1
	s_cselect_b64 s[12:13], -1, 0
	s_andn2_b64 vcc, exec, s[6:7]
	s_cbranch_vccnz .LBB329_3
.LBB329_2:
	s_mov_b32 s3, 0
	s_mov_b64 s[12:13], -1
.LBB329_3:
	s_andn2_b64 vcc, exec, s[12:13]
	s_cbranch_vccnz .LBB329_20
; %bb.4:
	s_load_dwordx2 s[6:7], s[0:1], 0x28
	s_lshl_b64 s[12:13], s[2:3], 2
	s_waitcnt lgkmcnt(0)
	s_add_u32 s6, s6, s12
	s_addc_u32 s7, s7, s13
	s_load_dword s33, s[6:7], 0x0
	s_lshl_b32 s18, s26, 8
	s_waitcnt lgkmcnt(0)
	s_cmp_ge_i32 s18, s33
	s_cbranch_scc1 .LBB329_20
; %bb.5:
	s_load_dwordx2 s[6:7], s[0:1], 0x20
	s_load_dword s5, s[0:1], 0x38
	s_add_i32 s14, s33, 31
	s_ashr_i32 s15, s14, 31
	v_and_b32_e32 v1, 0xcf, v0
	s_lshr_b32 s15, s15, 27
	v_add_u32_e32 v1, s18, v1
	s_add_i32 s14, s14, s15
	v_ashrrev_i32_e32 v2, 31, v1
	s_ashr_i32 s19, s14, 5
	v_lshrrev_b32_e32 v4, 27, v2
	s_add_i32 s19, s19, -1
	s_waitcnt lgkmcnt(0)
	s_mul_i32 s14, s2, s5
	s_mov_b32 s15, 0
	v_add_u32_e32 v2, v1, v4
	s_lshl_b64 s[14:15], s[14:15], 2
	v_ashrrev_i32_e32 v2, 5, v2
	v_mov_b32_e32 v5, s19
	v_cmp_gt_i32_e32 vcc, s33, v1
	s_add_u32 s6, s6, s14
	s_addc_u32 s7, s7, s15
	v_cndmask_b32_e32 v2, v5, v2, vcc
	v_ashrrev_i32_e32 v3, 31, v2
	v_lshl_add_u64 v[6:7], v[2:3], 2, s[6:7]
	v_or_b32_e32 v2, 16, v1
	v_add_u32_e32 v3, v2, v4
	v_ashrrev_i32_e32 v3, 5, v3
	v_cmp_gt_i32_e32 vcc, s33, v2
	s_nop 1
	v_cndmask_b32_e32 v2, v5, v3, vcc
	v_ashrrev_i32_e32 v3, 31, v2
	v_lshl_add_u64 v[8:9], v[2:3], 2, s[6:7]
	v_or_b32_e32 v2, 32, v1
	v_add_u32_e32 v3, v2, v4
	v_ashrrev_i32_e32 v3, 5, v3
	v_cmp_gt_i32_e32 vcc, s33, v2
	v_or_b32_e32 v1, 48, v1
	s_nop 0
	v_cndmask_b32_e32 v2, v5, v3, vcc
	v_ashrrev_i32_e32 v3, 31, v2
	v_lshl_add_u64 v[10:11], v[2:3], 2, s[6:7]
	v_add_u32_e32 v2, v1, v4
	v_ashrrev_i32_e32 v2, 5, v2
	v_cmp_gt_i32_e32 vcc, s33, v1
	s_nop 1
	v_cndmask_b32_e32 v2, v5, v2, vcc
	v_ashrrev_i32_e32 v3, 31, v2
	v_lshl_add_u64 v[12:13], v[2:3], 2, s[6:7]
	global_load_dword v2, v[6:7], off
	global_load_dword v5, v[8:9], off
	;; [unrolled: 1-line block ×4, first 2 shown]
	s_andn2_b64 vcc, exec, s[10:11]
	s_cbranch_vccnz .LBB329_8
; %bb.6:
	s_add_u32 s8, s8, s12
	s_addc_u32 s9, s9, s13
	s_load_dword s5, s[8:9], 0x0
	s_branch .LBB329_9
.LBB329_7:
	s_mov_b64 s[12:13], 0
	s_branch .LBB329_2
.LBB329_8:
	s_mov_b32 s5, s2
.LBB329_9:
	s_load_dwordx4 s[12:15], s[0:1], 0x8
	s_load_dwordx4 s[8:11], s[0:1], 0x48
	v_lshrrev_b32_e32 v86, 6, v0
	v_bfe_u32 v1, v0, 4, 2
	v_lshl_or_b32 v3, v86, 2, v1
	v_and_b32_e32 v76, 15, v0
	v_lshlrev_b32_e32 v74, 3, v76
	v_cmp_lt_u32_e32 vcc, 5, v3
	s_and_saveexec_b64 s[16:17], vcc
	s_xor_b64 s[16:17], exec, s[16:17]
; %bb.10:
	v_mov_b32_e32 v75, 0
                                        ; implicit-def: $vgpr3
; %bb.11:
	s_or_saveexec_b64 s[16:17], s[16:17]
	v_and_b32_e32 v77, 63, v0
	s_mul_i32 s40, s4, 6
	s_xor_b64 exec, exec, s[16:17]
	s_cbranch_execz .LBB329_13
; %bb.12:
	s_load_dwordx2 s[20:21], s[0:1], 0x0
	s_waitcnt lgkmcnt(0)
	s_ashr_i32 s11, s8, 31
	s_mul_hi_u32 s22, s5, s8
	s_mul_i32 s11, s5, s11
	s_add_i32 s23, s22, s11
	s_mul_i32 s22, s5, s8
	s_lshl_b64 s[22:23], s[22:23], 1
	s_add_u32 s20, s20, s22
	v_add_lshl_u32 v6, v3, s40, 7
	s_addc_u32 s21, s21, s23
	v_ashrrev_i32_e32 v7, 31, v6
	v_mov_b32_e32 v75, 0
	v_lshl_add_u64 v[6:7], v[6:7], 1, s[20:21]
	v_lshlrev_b32_e32 v8, 1, v74
	v_mov_b32_e32 v9, v75
	v_lshl_add_u64 v[6:7], v[6:7], 0, v[8:9]
	global_load_dwordx4 v[6:9], v[6:7], off
	v_and_b32_e32 v10, 3, v0
	v_lshlrev_b32_e32 v11, 9, v76
	v_lshlrev_b32_e32 v3, 5, v3
	;; [unrolled: 1-line block ×3, first 2 shown]
	v_and_b32_e32 v11, 0x1800, v11
	v_or3_b32 v3, v11, v10, v3
	s_waitcnt vmcnt(0)
	ds_write_b128 v3, v[6:9]
.LBB329_13:
	s_or_b64 exec, exec, s[16:17]
	s_waitcnt lgkmcnt(0)
	s_mul_i32 s4, s4, s10
	s_mov_b32 s5, 0
	s_lshl_b64 s[4:5], s[4:5], 1
	s_add_u32 s10, s12, s4
	s_addc_u32 s11, s13, s5
	s_waitcnt vmcnt(3)
	v_mad_i64_i32 v[2:3], s[12:13], v2, s9, 0
	v_lshl_add_u64 v[6:7], v[2:3], 1, s[10:11]
	v_lshlrev_b64 v[2:3], 1, v[74:75]
	v_lshlrev_b32_e32 v46, 9, v1
	v_lshl_add_u64 v[6:7], v[6:7], 0, v[2:3]
	v_mov_b32_e32 v47, 0
	v_lshl_add_u64 v[8:9], v[6:7], 0, v[46:47]
	s_load_dword s27, s[0:1], 0x98
	s_load_dword s8, s[0:1], 0x1c
	s_waitcnt lgkmcnt(0)
	s_barrier
	global_load_dwordx4 v[38:41], v[8:9], off
	s_waitcnt vmcnt(3)
	v_mad_i64_i32 v[10:11], s[12:13], v5, s9, 0
	v_mov_b32_e32 v5, 0x100
	v_lshl_add_u64 v[10:11], v[10:11], 1, s[10:11]
	v_lshl_or_b32 v50, v76, 4, v5
	v_mov_b32_e32 v51, v47
	v_lshl_add_u64 v[22:23], v[10:11], 0, v[50:51]
	v_lshl_add_u64 v[10:11], v[22:23], 0, v[46:47]
	global_load_dwordx4 v[42:45], v[10:11], off
	global_load_dwordx4 v[18:21], v[8:9], off offset:2048
	global_load_dwordx4 v[26:29], v[10:11], off offset:2048
	v_or_b32_e32 v52, 0x1000, v46
	v_mov_b32_e32 v53, v47
	v_or_b32_e32 v48, 0x1800, v46
	v_mov_b32_e32 v49, v47
	v_lshl_add_u64 v[8:9], v[6:7], 0, v[52:53]
	v_lshl_add_u64 v[6:7], v[6:7], 0, v[48:49]
	global_load_dwordx4 v[14:17], v[8:9], off
	global_load_dwordx4 v[10:13], v[6:7], off
	v_lshl_add_u64 v[8:9], v[22:23], 0, v[52:53]
	global_load_dwordx4 v[30:33], v[8:9], off
	s_waitcnt vmcnt(8)
	v_mad_i64_i32 v[4:5], s[12:13], v4, s9, 0
	v_lshl_add_u64 v[4:5], v[4:5], 1, s[10:11]
	v_lshl_add_u64 v[56:57], v[4:5], 0, v[2:3]
	v_mul_lo_u16_e32 v2, 43, v76
	v_mov_b32_e32 v3, 6
	v_mul_lo_u16_sdwa v2, v2, v3 dst_sel:DWORD dst_unused:UNUSED_PAD src0_sel:BYTE_1 src1_sel:DWORD
	v_sub_u16_e32 v2, v76, v2
	v_and_b32_e32 v2, 0xff, v2
	v_lshl_add_u64 v[6:7], v[22:23], 0, v[48:49]
	global_load_dwordx4 v[22:25], v[6:7], off
	v_lshl_add_u64 v[54:55], v[56:57], 0, v[46:47]
	v_lshl_add_u32 v59, v2, 5, v46
	global_load_dwordx4 v[34:37], v[54:55], off
	ds_read_b128 v[6:9], v59
	ds_read_b128 v[2:5], v59 offset:2048
	v_and_or_b32 v70, v0, 48, s18
	v_or_b32_e32 v71, 64, v70
	v_mov_b32_e32 v78, s19
	v_cmp_gt_i32_e32 vcc, s33, v70
	v_or_b32_e32 v79, 0x80, v70
	v_or_b32_e32 v80, 0xc0, v70
	s_mov_b32 s41, 0xff7fffff
	s_waitcnt vmcnt(7) lgkmcnt(1)
	v_mfma_f32_16x16x16_f16 v[64:67], v[42:43], v[6:7], 0
	v_mfma_f32_16x16x16_f16 v[60:63], v[38:39], v[6:7], 0
	v_mad_i64_i32 v[38:39], s[12:13], v58, s9, 0
	v_lshl_add_u64 v[68:69], v[38:39], 1, s[10:11]
	v_mfma_f32_16x16x16_f16 v[60:63], v[40:41], v[8:9], v[60:63]
	v_lshl_add_u64 v[72:73], v[68:69], 0, v[50:51]
	v_lshl_add_u64 v[50:51], v[56:57], 0, v[52:53]
	s_ashr_i32 s12, s18, 31
	v_mfma_f32_16x16x16_f16 v[64:67], v[44:45], v[8:9], v[64:67]
	ds_read_b128 v[42:45], v59 offset:4096
	ds_read_b128 v[38:41], v59 offset:6144
	v_lshl_add_u64 v[82:83], v[72:73], 0, v[52:53]
	global_load_dwordx4 v[50:53], v[50:51], off
	s_waitcnt vmcnt(7) lgkmcnt(2)
	v_mfma_f32_16x16x16_f16 v[58:61], v[18:19], v[2:3], v[60:63]
	s_lshr_b32 s10, s12, 27
	v_add_u32_e32 v81, s10, v70
	v_add_u32_e32 v84, s10, v71
	s_waitcnt vmcnt(6)
	v_mfma_f32_16x16x16_f16 v[62:65], v[26:27], v[2:3], v[64:67]
	v_lshl_add_u64 v[68:69], v[72:73], 0, v[46:47]
	v_ashrrev_i32_e32 v46, 5, v81
	v_add_u32_e32 v85, s10, v79
	v_lshl_add_u64 v[66:67], v[56:57], 0, v[48:49]
	global_load_dwordx4 v[54:57], v[54:55], off offset:2048
	v_mfma_f32_16x16x16_f16 v[18:21], v[20:21], v[4:5], v[58:61]
	v_add_u32_e32 v87, s10, v80
	s_add_u32 s4, s14, s4
	s_addc_u32 s5, s15, s5
	v_mfma_f32_16x16x16_f16 v[26:29], v[28:29], v[4:5], v[62:65]
	v_ashrrev_i32_e32 v58, 5, v84
	s_waitcnt vmcnt(6) lgkmcnt(1)
	v_mfma_f32_16x16x16_f16 v[18:21], v[14:15], v[42:43], v[18:21]
	v_cndmask_b32_e32 v14, v78, v46, vcc
	v_cmp_gt_i32_e32 vcc, s33, v71
	v_ashrrev_i32_e32 v15, 31, v14
	s_waitcnt vmcnt(4)
	v_mfma_f32_16x16x16_f16 v[26:29], v[30:31], v[42:43], v[26:29]
	v_cndmask_b32_e32 v30, v78, v58, vcc
	v_ashrrev_i32_e32 v31, 31, v30
	v_lshl_add_u64 v[14:15], v[14:15], 2, s[6:7]
	v_lshl_add_u64 v[30:31], v[30:31], 2, s[6:7]
	global_load_dword v92, v[14:15], off
	global_load_dword v93, v[30:31], off
	v_mfma_f32_16x16x16_f16 v[14:17], v[16:17], v[44:45], v[18:21]
	global_load_dwordx4 v[58:61], v[68:69], off
	v_ashrrev_i32_e32 v62, 5, v85
	global_load_dwordx4 v[82:85], v[82:83], off
	v_cmp_gt_i32_e32 vcc, s33, v79
	global_load_dwordx4 v[18:21], v[66:67], off
	s_waitcnt lgkmcnt(0)
	v_mfma_f32_16x16x16_f16 v[14:17], v[10:11], v[38:39], v[14:17]
	v_cndmask_b32_e32 v10, v78, v62, vcc
	v_ashrrev_i32_e32 v11, 31, v10
	v_lshl_add_u64 v[10:11], v[10:11], 2, s[6:7]
	global_load_dword v62, v[10:11], off
	v_ashrrev_i32_e32 v63, 5, v87
	global_load_dwordx4 v[68:71], v[68:69], off offset:2048
	v_cmp_gt_i32_e32 vcc, s33, v80
	v_mfma_f32_16x16x16_f16 v[64:67], v[12:13], v[40:41], v[14:17]
	v_lshl_or_b32 v87, v86, 4, v76
	v_cndmask_b32_e32 v10, v78, v63, vcc
	v_ashrrev_i32_e32 v11, 31, v10
	v_lshl_add_u64 v[10:11], v[10:11], 2, s[6:7]
	global_load_dword v63, v[10:11], off
	v_lshl_add_u64 v[14:15], v[72:73], 0, v[48:49]
	global_load_dwordx4 v[88:91], v[14:15], off
	s_waitcnt vmcnt(11)
	v_mfma_f32_16x16x16_f16 v[10:13], v[34:35], v[6:7], 0
	v_and_b32_e32 v14, 16, v0
	v_lshlrev_b32_e32 v46, 1, v14
	v_mfma_f32_16x16x16_f16 v[10:13], v[36:37], v[8:9], v[10:13]
	v_lshl_add_u64 v[36:37], s[4:5], 0, v[46:47]
	v_lshlrev_b32_e32 v46, 6, v87
	v_lshl_add_u64 v[48:49], v[36:37], 0, v[46:47]
	v_mfma_f32_16x16x16_f16 v[26:29], v[32:33], v[44:45], v[26:29]
	v_or_b32_e32 v46, 0x1000, v46
	s_waitcnt vmcnt(8)
	v_mad_i64_i32 v[14:15], s[4:5], v92, s9, 0
	v_mfma_f32_16x16x16_f16 v[10:13], v[54:55], v[2:3], v[10:13]
	v_mfma_f32_16x16x16_f16 v[10:13], v[56:57], v[4:5], v[10:13]
	v_lshlrev_b64 v[56:57], 1, v[14:15]
	v_lshl_add_u64 v[14:15], v[48:49], 0, v[56:57]
	v_mfma_f32_16x16x16_f16 v[10:13], v[50:51], v[42:43], v[10:13]
	v_mfma_f32_16x16x16_f16 v[10:13], v[52:53], v[44:45], v[10:13]
	;; [unrolled: 1-line block ×3, first 2 shown]
	s_waitcnt vmcnt(4)
	v_mfma_f32_16x16x16_f16 v[10:13], v[18:19], v[38:39], v[10:13]
	v_mfma_f32_16x16x16_f16 v[78:81], v[24:25], v[40:41], v[26:29]
	global_load_dwordx4 v[30:33], v[14:15], off
	s_nop 2
	global_load_dwordx4 v[26:29], v[14:15], off offset:16
	v_mad_i64_i32 v[14:15], s[4:5], v93, s9, 0
	v_lshlrev_b64 v[34:35], 1, v[14:15]
	v_mfma_f32_16x16x16_f16 v[52:55], v[20:21], v[40:41], v[10:13]
	s_nop 2
	v_lshl_add_u64 v[10:11], v[48:49], 0, v[34:35]
	global_load_dwordx4 v[22:25], v[10:11], off
	global_load_dwordx4 v[18:21], v[10:11], off offset:16
	v_mfma_f32_16x16x16_f16 v[10:13], v[58:59], v[6:7], 0
	s_waitcnt vmcnt(7)
	v_mad_i64_i32 v[6:7], s[4:5], v62, s9, 0
	v_lshlrev_b64 v[50:51], 1, v[6:7]
	v_mfma_f32_16x16x16_f16 v[6:9], v[60:61], v[8:9], v[10:13]
	s_waitcnt vmcnt(6)
	v_mfma_f32_16x16x16_f16 v[6:9], v[68:69], v[2:3], v[6:9]
	s_waitcnt vmcnt(5)
	v_mad_i64_i32 v[2:3], s[4:5], v63, s9, 0
	v_lshlrev_b64 v[58:59], 1, v[2:3]
	v_mfma_f32_16x16x16_f16 v[60:63], v[70:71], v[4:5], v[6:9]
	v_lshl_add_u64 v[10:11], v[48:49], 0, v[50:51]
	v_lshl_add_u64 v[2:3], v[48:49], 0, v[58:59]
	global_load_dwordx4 v[14:17], v[10:11], off
	s_nop 0
	global_load_dwordx4 v[10:13], v[10:11], off offset:16
	v_mfma_f32_16x16x16_f16 v[68:71], v[82:83], v[42:43], v[60:63]
	v_pk_mul_f32 v[82:83], s[8:9], v[66:67] op_sel_hi:[0,1]
	global_load_dwordx4 v[6:9], v[2:3], off
	s_nop 0
	global_load_dwordx4 v[2:5], v[2:3], off offset:16
	v_lshl_add_u64 v[62:63], v[36:37], 0, v[46:47]
	v_mfma_f32_16x16x16_f16 v[42:45], v[84:85], v[44:45], v[68:71]
	v_pk_mul_f32 v[60:61], s[8:9], v[64:65] op_sel_hi:[0,1]
	v_pk_mul_f32 v[84:85], s[8:9], v[80:81] op_sel_hi:[0,1]
	;; [unrolled: 1-line block ×3, first 2 shown]
	s_waitcnt vmcnt(8)
	v_mfma_f32_16x16x16_f16 v[36:39], v[88:89], v[38:39], v[42:45]
	v_pk_mul_f32 v[70:71], s[8:9], v[78:79] op_sel_hi:[0,1]
	v_pk_mul_f32 v[78:79], s[8:9], v[54:55] op_sel_hi:[0,1]
	v_lshl_add_u64 v[56:57], v[62:63], 0, v[56:57]
	v_mfma_f32_16x16x16_f16 v[36:39], v[90:91], v[40:41], v[36:39]
	v_lshl_add_u64 v[34:35], v[62:63], 0, v[34:35]
	v_lshl_add_u64 v[50:51], v[62:63], 0, v[50:51]
	;; [unrolled: 1-line block ×3, first 2 shown]
	s_nop 3
	v_pk_mul_f32 v[72:73], s[8:9], v[36:37] op_sel_hi:[0,1]
	v_and_b32_e32 v36, 0xc0, v0
	v_add_u32_e32 v36, s18, v36
	v_lshl_or_b32 v36, v1, 2, v36
	v_pk_mul_f32 v[66:67], s[8:9], v[38:39] op_sel_hi:[0,1]
	v_or_b32_e32 v39, 1, v36
	v_mov_b32_e32 v37, 0xff7fffff
	v_cmp_gt_i32_e64 s[28:29], s33, v36
	v_cmp_gt_i32_e64 s[30:31], s33, v39
	v_or_b32_e32 v40, 3, v36
	v_cndmask_b32_e64 v38, v37, v60, s[28:29]
	v_cndmask_b32_e64 v39, v37, v61, s[30:31]
	v_max3_f32 v38, v38, s41, v39
	v_or_b32_e32 v39, 2, v36
	v_cmp_gt_i32_e64 s[34:35], s33, v39
	v_cmp_gt_i32_e64 s[36:37], s33, v40
	s_nop 0
	v_cndmask_b32_e64 v39, v37, v82, s[34:35]
	v_cndmask_b32_e64 v40, v37, v83, s[36:37]
	v_max3_f32 v38, v38, v39, v40
	v_or_b32_e32 v39, 16, v36
	v_or_b32_e32 v40, 17, v36
	v_cmp_gt_i32_e64 s[22:23], s33, v39
	v_cmp_gt_i32_e64 s[24:25], s33, v40
	s_nop 0
	v_cndmask_b32_e64 v39, v37, v70, s[22:23]
	v_cndmask_b32_e64 v40, v37, v71, s[24:25]
	v_max3_f32 v38, v38, v39, v40
	v_or_b32_e32 v39, 18, v36
	;; [unrolled: 8-line block ×6, first 2 shown]
	v_or_b32_e32 v36, 51, v36
	v_cmp_gt_i32_e32 vcc, s33, v39
	v_cmp_gt_i32_e64 s[4:5], s33, v36
	s_nop 0
	v_cndmask_b32_e32 v39, v37, v66, vcc
	v_cndmask_b32_e64 v36, v37, v67, s[4:5]
	v_max3_f32 v52, v38, v39, v36
	v_mbcnt_lo_u32_b32 v36, -1, 0
	v_mbcnt_hi_u32_b32 v53, -1, v36
	v_and_b32_e32 v36, 64, v53
	v_add_u32_e32 v54, 64, v36
	v_xor_b32_e32 v36, 32, v53
	v_cmp_lt_i32_e64 s[38:39], v36, v54
	global_load_dwordx4 v[46:49], v[56:57], off
	global_load_dwordx4 v[38:41], v[56:57], off offset:16
	v_cndmask_b32_e64 v36, v53, v36, s[38:39]
	v_lshlrev_b32_e32 v89, 2, v36
	ds_bpermute_b32 v55, v89, v52
	global_load_dwordx4 v[42:45], v[34:35], off
	s_nop 0
	global_load_dwordx4 v[34:37], v[34:35], off offset:16
	s_waitcnt lgkmcnt(0)
	v_max_f32_e32 v55, v55, v55
	v_max_f32_e32 v64, v52, v55
	v_xor_b32_e32 v52, 16, v53
	v_cmp_lt_i32_e64 s[38:39], v52, v54
	s_nop 1
	v_cndmask_b32_e64 v52, v53, v52, s[38:39]
	v_lshlrev_b32_e32 v90, 2, v52
	ds_bpermute_b32 v65, v90, v64
	global_load_dwordx4 v[54:57], v[50:51], off
	s_nop 0
	global_load_dwordx4 v[50:53], v[50:51], off offset:16
	s_waitcnt lgkmcnt(0)
	v_max_f32_e32 v62, v65, v65
	v_max_f32_e32 v88, v64, v62
	v_sub_f32_e32 v60, v60, v88
	v_mul_f32_e32 v60, 0x3fb8aa3b, v60
	v_exp_f32_e32 v68, v60
	v_sub_f32_e32 v60, v61, v88
	v_mul_f32_e32 v60, 0x3fb8aa3b, v60
	v_exp_f32_e32 v69, v60
	global_load_dwordx4 v[62:65], v[58:59], off
	s_nop 0
	global_load_dwordx4 v[58:61], v[58:59], off offset:16
	v_sub_f32_e32 v82, v82, v88
	v_mul_f32_e32 v82, 0x3fb8aa3b, v82
	v_sub_f32_e32 v83, v83, v88
	v_exp_f32_e32 v82, v82
	v_mul_f32_e32 v83, 0x3fb8aa3b, v83
	v_sub_f32_e32 v70, v70, v88
	v_exp_f32_e32 v83, v83
	v_mul_f32_e32 v70, 0x3fb8aa3b, v70
	v_sub_f32_e32 v71, v71, v88
	v_cndmask_b32_e64 v68, 0, v68, s[28:29]
	v_exp_f32_e32 v70, v70
	v_mul_f32_e32 v71, 0x3fb8aa3b, v71
	v_sub_f32_e32 v84, v84, v88
	v_add_f32_e32 v91, 0, v68
	v_cndmask_b32_e64 v69, 0, v69, s[30:31]
	v_exp_f32_e32 v71, v71
	v_mul_f32_e32 v84, 0x3fb8aa3b, v84
	v_sub_f32_e32 v85, v85, v88
	v_add_f32_e32 v91, v91, v69
	;; [unrolled: 5-line block ×10, first 2 shown]
	v_cndmask_b32_e64 v78, 0, v78, s[10:11]
	v_exp_f32_e32 v66, v66
	v_mul_f32_e32 v67, 0x3fb8aa3b, v67
	v_add_f32_e32 v91, v91, v78
	v_cndmask_b32_e64 v79, 0, v79, s[12:13]
	v_exp_f32_e32 v67, v67
	v_add_f32_e32 v91, v91, v79
	v_cndmask_b32_e64 v72, 0, v72, s[6:7]
	v_add_f32_e32 v91, v91, v72
	v_cndmask_b32_e64 v73, 0, v73, s[8:9]
	v_add_f32_e32 v91, v91, v73
	v_cndmask_b32_e32 v66, 0, v66, vcc
	v_add_f32_e32 v91, v91, v66
	v_cndmask_b32_e64 v67, 0, v67, s[4:5]
	v_add_f32_e32 v91, v91, v67
	ds_bpermute_b32 v89, v89, v91
	v_cmp_gt_u32_e32 vcc, 16, v77
	s_waitcnt lgkmcnt(0)
	s_barrier
	v_add_f32_e32 v89, v91, v89
	ds_bpermute_b32 v90, v90, v89
	s_and_saveexec_b64 s[4:5], vcc
	s_cbranch_execz .LBB329_15
; %bb.14:
	s_waitcnt lgkmcnt(0)
	v_add_f32_e32 v77, v89, v90
	v_lshlrev_b32_e32 v87, 2, v87
	ds_write2st64_b32 v87, v88, v77 offset1:1
.LBB329_15:
	s_or_b64 exec, exec, s[4:5]
	v_lshlrev_b32_e32 v77, 2, v76
	s_load_dword s6, s[0:1], 0x94
	s_waitcnt lgkmcnt(0)
	s_barrier
	ds_read2_b32 v[88:89], v77 offset1:16
	ds_read2_b32 v[90:91], v77 offset0:32 offset1:48
	ds_read2_b32 v[92:93], v77 offset0:64 offset1:80
	;; [unrolled: 1-line block ×3, first 2 shown]
	s_waitcnt lgkmcnt(0)
	v_max3_f32 v87, v88, s41, v89
	v_max3_f32 v87, v87, v90, v91
	v_sub_f32_e32 v88, v88, v87
	v_mul_f32_e32 v88, 0x3fb8aa3b, v88
	v_exp_f32_e32 v86, v88
	v_sub_f32_e32 v88, v89, v87
	v_mul_f32_e32 v88, 0x3fb8aa3b, v88
	v_exp_f32_e32 v89, v88
	v_sub_f32_e32 v88, v90, v87
	v_mul_f32_e32 v88, 0x3fb8aa3b, v88
	v_sub_f32_e32 v77, v91, v87
	v_exp_f32_e32 v90, v88
	v_mul_f32_e32 v77, 0x3fb8aa3b, v77
	v_exp_f32_e32 v77, v77
	v_fma_f32 v88, v86, v92, 0
	v_fmac_f32_e32 v88, v89, v93
	v_fmac_f32_e32 v88, v90, v94
	;; [unrolled: 1-line block ×3, first 2 shown]
	v_add_f32_e32 v91, 0x358637bd, v88
	v_div_scale_f32 v92, s[4:5], v91, v91, 1.0
	v_rcp_f32_e32 v93, v92
	s_barrier
	s_mul_i32 s7, s27, 6
	v_fma_f32 v94, -v92, v93, 1.0
	v_fmac_f32_e32 v93, v94, v93
	v_div_scale_f32 v94, vcc, 1.0, v91, 1.0
	v_mul_f32_e32 v95, v94, v93
	v_fma_f32 v1, -v92, v95, v94
	v_fmac_f32_e32 v95, v1, v93
	v_fma_f32 v1, -v92, v95, v94
	v_div_fmas_f32 v1, v1, v93, v95
	v_div_fixup_f32 v1, v1, v91, 1.0
	v_lshrrev_b32_e32 v91, 6, v0
	v_cmp_eq_u32_e32 vcc, 1, v91
	s_nop 1
	v_cndmask_b32_e32 v86, v86, v89, vcc
	v_cmp_eq_u32_e32 vcc, 2, v91
	s_nop 1
	v_cndmask_b32_e32 v86, v86, v90, vcc
	v_cmp_eq_u32_e32 vcc, 3, v91
	s_nop 1
	v_cndmask_b32_e32 v77, v86, v77, vcc
	v_mul_f32_e32 v90, v77, v1
	v_pk_mul_f32 v[82:83], v[90:91], v[82:83] op_sel_hi:[0,1]
	v_pk_mul_f32 v[68:69], v[90:91], v[68:69] op_sel_hi:[0,1]
	v_cvt_f16_f32_e32 v1, v68
	v_cvt_f16_f32_e32 v68, v69
	;; [unrolled: 1-line block ×4, first 2 shown]
	v_pk_mul_f32 v[84:85], v[90:91], v[84:85] op_sel_hi:[0,1]
	v_pk_mul_f32 v[70:71], v[90:91], v[70:71] op_sel_hi:[0,1]
	v_bfe_u32 v86, v0, 4, 2
	v_pack_b32_f16 v83, v69, v77
	v_cvt_f16_f32_e32 v69, v70
	v_cvt_f16_f32_e32 v70, v71
	;; [unrolled: 1-line block ×4, first 2 shown]
	v_pack_b32_f16 v82, v1, v68
	v_lshlrev_b32_e32 v1, 3, v86
	v_lshlrev_b32_e32 v68, 5, v76
	;; [unrolled: 1-line block ×3, first 2 shown]
	v_or3_b32 v1, v84, v68, v1
	v_pack_b32_f16 v70, v69, v70
	v_pack_b32_f16 v71, v71, v77
	ds_write2st64_b64 v1, v[82:83], v[70:71] offset1:1
	v_pk_mul_f32 v[70:71], v[90:91], v[78:79] op_sel_hi:[0,1]
	v_pk_mul_f32 v[78:79], v[90:91], v[80:81] op_sel_hi:[0,1]
	v_cvt_f16_f32_e32 v69, v78
	v_cvt_f16_f32_e32 v77, v79
	;; [unrolled: 1-line block ×4, first 2 shown]
	v_pk_mul_f32 v[66:67], v[90:91], v[66:67] op_sel_hi:[0,1]
	v_pk_mul_f32 v[70:71], v[90:91], v[72:73] op_sel_hi:[0,1]
	v_cvt_f16_f32_e32 v70, v70
	v_cvt_f16_f32_e32 v71, v71
	;; [unrolled: 1-line block ×4, first 2 shown]
	v_pack_b32_f16 v66, v69, v77
	v_pack_b32_f16 v67, v78, v79
	;; [unrolled: 1-line block ×4, first 2 shown]
	v_cmp_gt_u32_e32 vcc, 6, v0
	ds_write2st64_b64 v1, v[66:67], v[70:71] offset0:2 offset1:3
	s_and_saveexec_b64 s[4:5], vcc
	s_cbranch_execz .LBB329_17
; %bb.16:
	s_mov_b32 s41, 0
	v_mov_b32_e32 v77, 0
	v_lshl_add_u64 v[66:67], s[40:41], 0, v[76:77]
	v_mov_b32_e32 v69, s7
	v_mad_u64_u32 v[66:67], s[12:13], s2, v69, v[66:67]
	s_mul_i32 s3, s3, s7
	v_mov_b32_e32 v70, s26
	v_mov_b32_e32 v71, v77
	s_load_dwordx4 s[8:11], s[0:1], 0x58
	v_add_u32_e32 v69, s3, v67
	v_mad_u64_u32 v[66:67], s[12:13], v66, s6, v[70:71]
	v_mov_b32_e32 v70, v67
	v_mad_u64_u32 v[70:71], s[12:13], v69, s6, v[70:71]
	v_mov_b32_e32 v67, v70
	v_lshlrev_b64 v[66:67], 2, v[66:67]
	s_waitcnt lgkmcnt(0)
	v_lshl_add_u64 v[70:71], s[10:11], 0, v[66:67]
	v_lshl_add_u64 v[66:67], s[8:9], 0, v[66:67]
	global_store_dword v[70:71], v87, off
	global_store_dword v[66:67], v88, off
.LBB329_17:
	s_or_b64 exec, exec, s[4:5]
	v_lshl_or_b32 v77, v86, 9, v68
	s_waitcnt lgkmcnt(0)
	s_barrier
	ds_read_b128 v[70:73], v77
	ds_read_b128 v[66:69], v77 offset:16
	s_waitcnt vmcnt(15) lgkmcnt(1)
	v_mfma_f32_16x16x16_f16 v[78:81], v[30:31], v[70:71], 0
	s_mov_b32 s3, 0
	v_cmp_gt_u32_e32 vcc, 64, v0
	v_mfma_f32_16x16x16_f16 v[30:33], v[32:33], v[72:73], v[78:81]
	s_waitcnt vmcnt(14) lgkmcnt(0)
	v_mfma_f32_16x16x16_f16 v[30:33], v[26:27], v[66:67], v[30:33]
	v_mfma_f32_16x16x16_f16 v[26:29], v[28:29], v[68:69], v[30:33]
	s_nop 5
	ds_read_b128 v[30:33], v77 offset:2048
	ds_read_b128 v[78:81], v77 offset:2064
	s_waitcnt vmcnt(13) lgkmcnt(1)
	v_mfma_f32_16x16x16_f16 v[26:29], v[22:23], v[30:31], v[26:29]
	v_mfma_f32_16x16x16_f16 v[22:25], v[24:25], v[32:33], v[26:29]
	s_waitcnt vmcnt(12) lgkmcnt(0)
	v_mfma_f32_16x16x16_f16 v[22:25], v[18:19], v[78:79], v[22:25]
	v_mfma_f32_16x16x16_f16 v[18:21], v[20:21], v[80:81], v[22:25]
	s_nop 5
	ds_read_b128 v[22:25], v77 offset:4096
	ds_read_b128 v[26:29], v77 offset:4112
	s_waitcnt vmcnt(11) lgkmcnt(1)
	v_mfma_f32_16x16x16_f16 v[18:21], v[14:15], v[22:23], v[18:21]
	v_mfma_f32_16x16x16_f16 v[14:17], v[16:17], v[24:25], v[18:21]
	s_waitcnt vmcnt(10) lgkmcnt(0)
	v_mfma_f32_16x16x16_f16 v[14:17], v[10:11], v[26:27], v[14:17]
	v_mfma_f32_16x16x16_f16 v[10:13], v[12:13], v[28:29], v[14:17]
	s_nop 5
	ds_read_b128 v[14:17], v77 offset:6144
	ds_read_b128 v[18:21], v77 offset:6160
	s_waitcnt lgkmcnt(0)
	s_barrier
	s_waitcnt vmcnt(9)
	v_mfma_f32_16x16x16_f16 v[10:13], v[6:7], v[14:15], v[10:13]
	v_mfma_f32_16x16x16_f16 v[6:9], v[8:9], v[16:17], v[10:13]
	s_waitcnt vmcnt(8)
	v_mfma_f32_16x16x16_f16 v[6:9], v[2:3], v[18:19], v[6:9]
	v_mfma_f32_16x16x16_f16 v[2:5], v[4:5], v[20:21], v[6:9]
	;; [unrolled: 3-line block ×3, first 2 shown]
	s_nop 3
	v_cvt_f16_f32_e32 v10, v2
	v_cvt_f16_f32_e32 v11, v3
	;; [unrolled: 1-line block ×3, first 2 shown]
	s_waitcnt vmcnt(6)
	v_mfma_f32_16x16x16_f16 v[6:9], v[38:39], v[66:67], v[6:9]
	v_cvt_f16_f32_e32 v13, v5
	v_mfma_f32_16x16x16_f16 v[6:9], v[40:41], v[68:69], v[6:9]
	s_waitcnt vmcnt(5)
	v_mfma_f32_16x16x16_f16 v[6:9], v[42:43], v[30:31], v[6:9]
	v_mfma_f32_16x16x16_f16 v[6:9], v[44:45], v[32:33], v[6:9]
	s_waitcnt vmcnt(4)
	v_mfma_f32_16x16x16_f16 v[6:9], v[34:35], v[78:79], v[6:9]
	;; [unrolled: 3-line block ×6, first 2 shown]
	v_mfma_f32_16x16x16_f16 v[2:5], v[60:61], v[20:21], v[6:9]
	s_nop 6
	v_cvt_f16_f32_e32 v6, v2
	v_cvt_f16_f32_e32 v7, v3
	;; [unrolled: 1-line block ×4, first 2 shown]
	v_pack_b32_f16 v2, v10, v11
	v_pack_b32_f16 v3, v12, v13
	;; [unrolled: 1-line block ×4, first 2 shown]
	ds_write2st64_b64 v1, v[2:3], v[4:5] offset1:1
	s_waitcnt lgkmcnt(0)
	s_barrier
	s_and_saveexec_b64 s[4:5], vcc
	s_cbranch_execz .LBB329_20
; %bb.18:
	s_load_dwordx2 s[4:5], s[0:1], 0x68
	s_lshl_b32 s0, s6, 7
	s_mul_i32 s1, s7, s2
	v_lshlrev_b32_e32 v4, 6, v76
	s_mul_hi_u32 s7, s1, s0
	s_mul_i32 s6, s1, s0
	v_lshlrev_b32_e32 v3, 4, v0
	v_lshl_or_b32 v0, v0, 10, v4
	s_lshl_b64 s[6:7], s[6:7], 1
	v_lshlrev_b32_e32 v1, 5, v86
	v_and_b32_e32 v3, 16, v3
	v_and_b32_e32 v0, 0x1a00, v0
	s_waitcnt lgkmcnt(0)
	s_add_u32 s1, s4, s6
	v_or3_b32 v3, v0, v1, v3
	s_addc_u32 s4, s5, s7
	s_lshl_b32 s2, s26, 7
	s_lshl_b64 s[2:3], s[2:3], 1
	ds_read_b128 v[4:7], v3
	s_add_u32 s2, s1, s2
	s_addc_u32 s3, s4, s3
	v_add_u32_e32 v8, s40, v86
	v_or_b32_e32 v2, 4, v86
	v_lshl_add_u64 v[0:1], v[74:75], 1, s[2:3]
	v_mad_u64_u32 v[8:9], s[2:3], v8, s0, 0
	v_lshl_add_u64 v[8:9], v[8:9], 1, v[0:1]
	v_cmp_gt_u32_e32 vcc, 6, v2
	s_waitcnt lgkmcnt(0)
	global_store_dwordx4 v[8:9], v[4:7], off
	s_and_b64 exec, exec, vcc
	s_cbranch_execz .LBB329_20
; %bb.19:
	ds_read_b128 v[4:7], v3 offset:128
	v_add_u32_e32 v2, s40, v2
	v_mad_u64_u32 v[2:3], s[0:1], v2, s0, 0
	v_lshl_add_u64 v[0:1], v[2:3], 1, v[0:1]
	s_waitcnt lgkmcnt(0)
	global_store_dwordx4 v[0:1], v[4:7], off
.LBB329_20:
	s_endpgm
	.section	.rodata,"a",@progbits
	.p2align	6, 0x0
	.amdhsa_kernel _Z39paged_attention_ll4mi_QKV_mfma16_kernelIDF16_DF16_LN4vllm18Fp8KVCacheDataTypeE0EhLi32ELi128ELi256ELb0ELi6EEvPKT_PKT0_S7_ifPKiS9_S9_iPKfiiiPfSC_PS2_PT2_iSB_SB_
		.amdhsa_group_segment_fixed_size 8192
		.amdhsa_private_segment_fixed_size 0
		.amdhsa_kernarg_size 400
		.amdhsa_user_sgpr_count 2
		.amdhsa_user_sgpr_dispatch_ptr 0
		.amdhsa_user_sgpr_queue_ptr 0
		.amdhsa_user_sgpr_kernarg_segment_ptr 1
		.amdhsa_user_sgpr_dispatch_id 0
		.amdhsa_user_sgpr_kernarg_preload_length 0
		.amdhsa_user_sgpr_kernarg_preload_offset 0
		.amdhsa_user_sgpr_private_segment_size 0
		.amdhsa_uses_dynamic_stack 0
		.amdhsa_enable_private_segment 0
		.amdhsa_system_sgpr_workgroup_id_x 1
		.amdhsa_system_sgpr_workgroup_id_y 1
		.amdhsa_system_sgpr_workgroup_id_z 1
		.amdhsa_system_sgpr_workgroup_info 0
		.amdhsa_system_vgpr_workitem_id 0
		.amdhsa_next_free_vgpr 96
		.amdhsa_next_free_sgpr 42
		.amdhsa_accum_offset 96
		.amdhsa_reserve_vcc 1
		.amdhsa_float_round_mode_32 0
		.amdhsa_float_round_mode_16_64 0
		.amdhsa_float_denorm_mode_32 3
		.amdhsa_float_denorm_mode_16_64 3
		.amdhsa_dx10_clamp 1
		.amdhsa_ieee_mode 1
		.amdhsa_fp16_overflow 0
		.amdhsa_tg_split 0
		.amdhsa_exception_fp_ieee_invalid_op 0
		.amdhsa_exception_fp_denorm_src 0
		.amdhsa_exception_fp_ieee_div_zero 0
		.amdhsa_exception_fp_ieee_overflow 0
		.amdhsa_exception_fp_ieee_underflow 0
		.amdhsa_exception_fp_ieee_inexact 0
		.amdhsa_exception_int_div_zero 0
	.end_amdhsa_kernel
	.section	.text._Z39paged_attention_ll4mi_QKV_mfma16_kernelIDF16_DF16_LN4vllm18Fp8KVCacheDataTypeE0EhLi32ELi128ELi256ELb0ELi6EEvPKT_PKT0_S7_ifPKiS9_S9_iPKfiiiPfSC_PS2_PT2_iSB_SB_,"axG",@progbits,_Z39paged_attention_ll4mi_QKV_mfma16_kernelIDF16_DF16_LN4vllm18Fp8KVCacheDataTypeE0EhLi32ELi128ELi256ELb0ELi6EEvPKT_PKT0_S7_ifPKiS9_S9_iPKfiiiPfSC_PS2_PT2_iSB_SB_,comdat
.Lfunc_end329:
	.size	_Z39paged_attention_ll4mi_QKV_mfma16_kernelIDF16_DF16_LN4vllm18Fp8KVCacheDataTypeE0EhLi32ELi128ELi256ELb0ELi6EEvPKT_PKT0_S7_ifPKiS9_S9_iPKfiiiPfSC_PS2_PT2_iSB_SB_, .Lfunc_end329-_Z39paged_attention_ll4mi_QKV_mfma16_kernelIDF16_DF16_LN4vllm18Fp8KVCacheDataTypeE0EhLi32ELi128ELi256ELb0ELi6EEvPKT_PKT0_S7_ifPKiS9_S9_iPKfiiiPfSC_PS2_PT2_iSB_SB_
                                        ; -- End function
	.section	.AMDGPU.csdata,"",@progbits
; Kernel info:
; codeLenInByte = 4552
; NumSgprs: 48
; NumVgprs: 96
; NumAgprs: 0
; TotalNumVgprs: 96
; ScratchSize: 0
; MemoryBound: 0
; FloatMode: 240
; IeeeMode: 1
; LDSByteSize: 8192 bytes/workgroup (compile time only)
; SGPRBlocks: 5
; VGPRBlocks: 11
; NumSGPRsForWavesPerEU: 48
; NumVGPRsForWavesPerEU: 96
; AccumOffset: 96
; Occupancy: 5
; WaveLimiterHint : 1
; COMPUTE_PGM_RSRC2:SCRATCH_EN: 0
; COMPUTE_PGM_RSRC2:USER_SGPR: 2
; COMPUTE_PGM_RSRC2:TRAP_HANDLER: 0
; COMPUTE_PGM_RSRC2:TGID_X_EN: 1
; COMPUTE_PGM_RSRC2:TGID_Y_EN: 1
; COMPUTE_PGM_RSRC2:TGID_Z_EN: 1
; COMPUTE_PGM_RSRC2:TIDIG_COMP_CNT: 0
; COMPUTE_PGM_RSRC3_GFX90A:ACCUM_OFFSET: 23
; COMPUTE_PGM_RSRC3_GFX90A:TG_SPLIT: 0
	.section	.text._Z39paged_attention_ll4mi_QKV_mfma16_kernelIDF16_DF16_LN4vllm18Fp8KVCacheDataTypeE0EhLi32ELi128ELi256ELb0ELi7EEvPKT_PKT0_S7_ifPKiS9_S9_iPKfiiiPfSC_PS2_PT2_iSB_SB_,"axG",@progbits,_Z39paged_attention_ll4mi_QKV_mfma16_kernelIDF16_DF16_LN4vllm18Fp8KVCacheDataTypeE0EhLi32ELi128ELi256ELb0ELi7EEvPKT_PKT0_S7_ifPKiS9_S9_iPKfiiiPfSC_PS2_PT2_iSB_SB_,comdat
	.protected	_Z39paged_attention_ll4mi_QKV_mfma16_kernelIDF16_DF16_LN4vllm18Fp8KVCacheDataTypeE0EhLi32ELi128ELi256ELb0ELi7EEvPKT_PKT0_S7_ifPKiS9_S9_iPKfiiiPfSC_PS2_PT2_iSB_SB_ ; -- Begin function _Z39paged_attention_ll4mi_QKV_mfma16_kernelIDF16_DF16_LN4vllm18Fp8KVCacheDataTypeE0EhLi32ELi128ELi256ELb0ELi7EEvPKT_PKT0_S7_ifPKiS9_S9_iPKfiiiPfSC_PS2_PT2_iSB_SB_
	.globl	_Z39paged_attention_ll4mi_QKV_mfma16_kernelIDF16_DF16_LN4vllm18Fp8KVCacheDataTypeE0EhLi32ELi128ELi256ELb0ELi7EEvPKT_PKT0_S7_ifPKiS9_S9_iPKfiiiPfSC_PS2_PT2_iSB_SB_
	.p2align	8
	.type	_Z39paged_attention_ll4mi_QKV_mfma16_kernelIDF16_DF16_LN4vllm18Fp8KVCacheDataTypeE0EhLi32ELi128ELi256ELb0ELi7EEvPKT_PKT0_S7_ifPKiS9_S9_iPKfiiiPfSC_PS2_PT2_iSB_SB_,@function
_Z39paged_attention_ll4mi_QKV_mfma16_kernelIDF16_DF16_LN4vllm18Fp8KVCacheDataTypeE0EhLi32ELi128ELi256ELb0ELi7EEvPKT_PKT0_S7_ifPKiS9_S9_iPKfiiiPfSC_PS2_PT2_iSB_SB_: ; @_Z39paged_attention_ll4mi_QKV_mfma16_kernelIDF16_DF16_LN4vllm18Fp8KVCacheDataTypeE0EhLi32ELi128ELi256ELb0ELi7EEvPKT_PKT0_S7_ifPKiS9_S9_iPKfiiiPfSC_PS2_PT2_iSB_SB_
; %bb.0:
	s_load_dwordx2 s[8:9], s[0:1], 0x30
	s_mov_b32 s26, s3
	s_mov_b64 s[6:7], 0
	s_waitcnt lgkmcnt(0)
	s_cmp_lg_u64 s[8:9], 0
	s_cselect_b64 s[10:11], -1, 0
	s_and_b64 vcc, exec, s[10:11]
	s_cbranch_vccz .LBB330_7
; %bb.1:
	s_add_i32 s12, s2, 1
	s_mov_b32 s13, 0
	s_lshl_b64 s[14:15], s[12:13], 2
	s_add_u32 s14, s8, s14
	s_mov_b32 s3, s13
	s_addc_u32 s15, s9, s15
	s_lshl_b64 s[12:13], s[2:3], 2
	s_add_u32 s12, s8, s12
	s_addc_u32 s13, s9, s13
	s_load_dword s5, s[14:15], 0x0
	s_load_dword s16, s[12:13], 0x0
	s_waitcnt lgkmcnt(0)
	s_sub_i32 s5, s5, s16
	s_cmp_eq_u32 s5, 1
	s_cselect_b64 s[12:13], -1, 0
	s_andn2_b64 vcc, exec, s[6:7]
	s_cbranch_vccnz .LBB330_3
.LBB330_2:
	s_mov_b32 s3, 0
	s_mov_b64 s[12:13], -1
.LBB330_3:
	s_andn2_b64 vcc, exec, s[12:13]
	s_cbranch_vccnz .LBB330_20
; %bb.4:
	s_load_dwordx2 s[6:7], s[0:1], 0x28
	s_lshl_b64 s[12:13], s[2:3], 2
	s_waitcnt lgkmcnt(0)
	s_add_u32 s6, s6, s12
	s_addc_u32 s7, s7, s13
	s_load_dword s33, s[6:7], 0x0
	s_lshl_b32 s18, s26, 8
	s_waitcnt lgkmcnt(0)
	s_cmp_ge_i32 s18, s33
	s_cbranch_scc1 .LBB330_20
; %bb.5:
	s_load_dwordx2 s[6:7], s[0:1], 0x20
	s_load_dword s5, s[0:1], 0x38
	s_add_i32 s14, s33, 31
	s_ashr_i32 s15, s14, 31
	v_and_b32_e32 v1, 0xcf, v0
	s_lshr_b32 s15, s15, 27
	v_add_u32_e32 v1, s18, v1
	s_add_i32 s14, s14, s15
	v_ashrrev_i32_e32 v2, 31, v1
	s_ashr_i32 s19, s14, 5
	v_lshrrev_b32_e32 v4, 27, v2
	s_add_i32 s19, s19, -1
	s_waitcnt lgkmcnt(0)
	s_mul_i32 s14, s2, s5
	s_mov_b32 s15, 0
	v_add_u32_e32 v2, v1, v4
	s_lshl_b64 s[14:15], s[14:15], 2
	v_ashrrev_i32_e32 v2, 5, v2
	v_mov_b32_e32 v5, s19
	v_cmp_gt_i32_e32 vcc, s33, v1
	s_add_u32 s6, s6, s14
	s_addc_u32 s7, s7, s15
	v_cndmask_b32_e32 v2, v5, v2, vcc
	v_ashrrev_i32_e32 v3, 31, v2
	v_lshl_add_u64 v[6:7], v[2:3], 2, s[6:7]
	v_or_b32_e32 v2, 16, v1
	v_add_u32_e32 v3, v2, v4
	v_ashrrev_i32_e32 v3, 5, v3
	v_cmp_gt_i32_e32 vcc, s33, v2
	s_nop 1
	v_cndmask_b32_e32 v2, v5, v3, vcc
	v_ashrrev_i32_e32 v3, 31, v2
	v_lshl_add_u64 v[8:9], v[2:3], 2, s[6:7]
	v_or_b32_e32 v2, 32, v1
	v_add_u32_e32 v3, v2, v4
	v_ashrrev_i32_e32 v3, 5, v3
	v_cmp_gt_i32_e32 vcc, s33, v2
	v_or_b32_e32 v1, 48, v1
	s_nop 0
	v_cndmask_b32_e32 v2, v5, v3, vcc
	v_ashrrev_i32_e32 v3, 31, v2
	v_lshl_add_u64 v[10:11], v[2:3], 2, s[6:7]
	v_add_u32_e32 v2, v1, v4
	v_ashrrev_i32_e32 v2, 5, v2
	v_cmp_gt_i32_e32 vcc, s33, v1
	s_nop 1
	v_cndmask_b32_e32 v2, v5, v2, vcc
	v_ashrrev_i32_e32 v3, 31, v2
	v_lshl_add_u64 v[12:13], v[2:3], 2, s[6:7]
	global_load_dword v2, v[6:7], off
	global_load_dword v5, v[8:9], off
	;; [unrolled: 1-line block ×4, first 2 shown]
	s_andn2_b64 vcc, exec, s[10:11]
	s_cbranch_vccnz .LBB330_8
; %bb.6:
	s_add_u32 s8, s8, s12
	s_addc_u32 s9, s9, s13
	s_load_dword s5, s[8:9], 0x0
	s_branch .LBB330_9
.LBB330_7:
	s_mov_b64 s[12:13], 0
	s_branch .LBB330_2
.LBB330_8:
	s_mov_b32 s5, s2
.LBB330_9:
	s_load_dwordx4 s[12:15], s[0:1], 0x8
	s_load_dwordx4 s[8:11], s[0:1], 0x48
	v_lshrrev_b32_e32 v86, 6, v0
	v_bfe_u32 v1, v0, 4, 2
	v_lshl_or_b32 v3, v86, 2, v1
	v_and_b32_e32 v76, 15, v0
	v_lshlrev_b32_e32 v74, 3, v76
	v_cmp_lt_u32_e32 vcc, 6, v3
	s_and_saveexec_b64 s[16:17], vcc
	s_xor_b64 s[16:17], exec, s[16:17]
; %bb.10:
	v_mov_b32_e32 v75, 0
                                        ; implicit-def: $vgpr3
; %bb.11:
	s_or_saveexec_b64 s[16:17], s[16:17]
	v_and_b32_e32 v77, 63, v0
	s_mul_i32 s40, s4, 7
	s_xor_b64 exec, exec, s[16:17]
	s_cbranch_execz .LBB330_13
; %bb.12:
	s_load_dwordx2 s[20:21], s[0:1], 0x0
	s_waitcnt lgkmcnt(0)
	s_ashr_i32 s11, s8, 31
	s_mul_hi_u32 s22, s5, s8
	s_mul_i32 s11, s5, s11
	s_add_i32 s23, s22, s11
	s_mul_i32 s22, s5, s8
	s_lshl_b64 s[22:23], s[22:23], 1
	s_add_u32 s20, s20, s22
	v_add_lshl_u32 v6, v3, s40, 7
	s_addc_u32 s21, s21, s23
	v_ashrrev_i32_e32 v7, 31, v6
	v_mov_b32_e32 v75, 0
	v_lshl_add_u64 v[6:7], v[6:7], 1, s[20:21]
	v_lshlrev_b32_e32 v8, 1, v74
	v_mov_b32_e32 v9, v75
	v_lshl_add_u64 v[6:7], v[6:7], 0, v[8:9]
	global_load_dwordx4 v[6:9], v[6:7], off
	v_and_b32_e32 v10, 3, v0
	v_lshlrev_b32_e32 v11, 9, v76
	v_lshlrev_b32_e32 v3, 5, v3
	;; [unrolled: 1-line block ×3, first 2 shown]
	v_and_b32_e32 v11, 0x1800, v11
	v_or3_b32 v3, v11, v10, v3
	s_waitcnt vmcnt(0)
	ds_write_b128 v3, v[6:9]
.LBB330_13:
	s_or_b64 exec, exec, s[16:17]
	s_waitcnt lgkmcnt(0)
	s_mul_i32 s4, s4, s10
	s_mov_b32 s5, 0
	s_lshl_b64 s[4:5], s[4:5], 1
	s_add_u32 s10, s12, s4
	s_addc_u32 s11, s13, s5
	s_waitcnt vmcnt(3)
	v_mad_i64_i32 v[2:3], s[12:13], v2, s9, 0
	v_lshl_add_u64 v[6:7], v[2:3], 1, s[10:11]
	v_lshlrev_b64 v[2:3], 1, v[74:75]
	v_lshlrev_b32_e32 v46, 9, v1
	v_lshl_add_u64 v[6:7], v[6:7], 0, v[2:3]
	v_mov_b32_e32 v47, 0
	v_lshl_add_u64 v[8:9], v[6:7], 0, v[46:47]
	s_load_dword s27, s[0:1], 0x98
	s_load_dword s8, s[0:1], 0x1c
	s_waitcnt lgkmcnt(0)
	s_barrier
	global_load_dwordx4 v[38:41], v[8:9], off
	s_waitcnt vmcnt(3)
	v_mad_i64_i32 v[10:11], s[12:13], v5, s9, 0
	v_mov_b32_e32 v5, 0x100
	v_lshl_add_u64 v[10:11], v[10:11], 1, s[10:11]
	v_lshl_or_b32 v50, v76, 4, v5
	v_mov_b32_e32 v51, v47
	v_lshl_add_u64 v[22:23], v[10:11], 0, v[50:51]
	v_lshl_add_u64 v[10:11], v[22:23], 0, v[46:47]
	global_load_dwordx4 v[42:45], v[10:11], off
	global_load_dwordx4 v[18:21], v[8:9], off offset:2048
	global_load_dwordx4 v[26:29], v[10:11], off offset:2048
	v_or_b32_e32 v52, 0x1000, v46
	v_mov_b32_e32 v53, v47
	v_or_b32_e32 v48, 0x1800, v46
	v_mov_b32_e32 v49, v47
	v_lshl_add_u64 v[8:9], v[6:7], 0, v[52:53]
	v_lshl_add_u64 v[6:7], v[6:7], 0, v[48:49]
	global_load_dwordx4 v[14:17], v[8:9], off
	global_load_dwordx4 v[10:13], v[6:7], off
	v_lshl_add_u64 v[8:9], v[22:23], 0, v[52:53]
	global_load_dwordx4 v[30:33], v[8:9], off
	s_waitcnt vmcnt(8)
	v_mad_i64_i32 v[4:5], s[12:13], v4, s9, 0
	v_lshl_add_u64 v[4:5], v[4:5], 1, s[10:11]
	v_lshl_add_u64 v[56:57], v[4:5], 0, v[2:3]
	v_mul_lo_u16_e32 v2, 37, v76
	v_mov_b32_e32 v3, 7
	v_mul_lo_u16_sdwa v2, v2, v3 dst_sel:DWORD dst_unused:UNUSED_PAD src0_sel:BYTE_1 src1_sel:DWORD
	v_sub_u16_e32 v2, v76, v2
	v_and_b32_e32 v2, 0xff, v2
	v_lshl_add_u64 v[6:7], v[22:23], 0, v[48:49]
	global_load_dwordx4 v[22:25], v[6:7], off
	v_lshl_add_u64 v[54:55], v[56:57], 0, v[46:47]
	v_lshl_add_u32 v59, v2, 5, v46
	global_load_dwordx4 v[34:37], v[54:55], off
	ds_read_b128 v[6:9], v59
	ds_read_b128 v[2:5], v59 offset:2048
	v_and_or_b32 v70, v0, 48, s18
	v_or_b32_e32 v71, 64, v70
	v_mov_b32_e32 v78, s19
	v_cmp_gt_i32_e32 vcc, s33, v70
	v_or_b32_e32 v79, 0x80, v70
	v_or_b32_e32 v80, 0xc0, v70
	s_mov_b32 s41, 0xff7fffff
	s_waitcnt vmcnt(7) lgkmcnt(1)
	v_mfma_f32_16x16x16_f16 v[64:67], v[42:43], v[6:7], 0
	v_mfma_f32_16x16x16_f16 v[60:63], v[38:39], v[6:7], 0
	v_mad_i64_i32 v[38:39], s[12:13], v58, s9, 0
	v_lshl_add_u64 v[68:69], v[38:39], 1, s[10:11]
	v_mfma_f32_16x16x16_f16 v[60:63], v[40:41], v[8:9], v[60:63]
	v_lshl_add_u64 v[72:73], v[68:69], 0, v[50:51]
	v_lshl_add_u64 v[50:51], v[56:57], 0, v[52:53]
	s_ashr_i32 s12, s18, 31
	v_mfma_f32_16x16x16_f16 v[64:67], v[44:45], v[8:9], v[64:67]
	ds_read_b128 v[42:45], v59 offset:4096
	ds_read_b128 v[38:41], v59 offset:6144
	v_lshl_add_u64 v[82:83], v[72:73], 0, v[52:53]
	global_load_dwordx4 v[50:53], v[50:51], off
	s_waitcnt vmcnt(7) lgkmcnt(2)
	v_mfma_f32_16x16x16_f16 v[58:61], v[18:19], v[2:3], v[60:63]
	s_lshr_b32 s10, s12, 27
	v_add_u32_e32 v81, s10, v70
	v_add_u32_e32 v84, s10, v71
	s_waitcnt vmcnt(6)
	v_mfma_f32_16x16x16_f16 v[62:65], v[26:27], v[2:3], v[64:67]
	v_lshl_add_u64 v[68:69], v[72:73], 0, v[46:47]
	v_ashrrev_i32_e32 v46, 5, v81
	v_add_u32_e32 v85, s10, v79
	v_lshl_add_u64 v[66:67], v[56:57], 0, v[48:49]
	global_load_dwordx4 v[54:57], v[54:55], off offset:2048
	v_mfma_f32_16x16x16_f16 v[18:21], v[20:21], v[4:5], v[58:61]
	v_add_u32_e32 v87, s10, v80
	s_add_u32 s4, s14, s4
	s_addc_u32 s5, s15, s5
	v_mfma_f32_16x16x16_f16 v[26:29], v[28:29], v[4:5], v[62:65]
	v_ashrrev_i32_e32 v58, 5, v84
	s_waitcnt vmcnt(6) lgkmcnt(1)
	v_mfma_f32_16x16x16_f16 v[18:21], v[14:15], v[42:43], v[18:21]
	v_cndmask_b32_e32 v14, v78, v46, vcc
	v_cmp_gt_i32_e32 vcc, s33, v71
	v_ashrrev_i32_e32 v15, 31, v14
	s_waitcnt vmcnt(4)
	v_mfma_f32_16x16x16_f16 v[26:29], v[30:31], v[42:43], v[26:29]
	v_cndmask_b32_e32 v30, v78, v58, vcc
	v_ashrrev_i32_e32 v31, 31, v30
	v_lshl_add_u64 v[14:15], v[14:15], 2, s[6:7]
	v_lshl_add_u64 v[30:31], v[30:31], 2, s[6:7]
	global_load_dword v92, v[14:15], off
	global_load_dword v93, v[30:31], off
	v_mfma_f32_16x16x16_f16 v[14:17], v[16:17], v[44:45], v[18:21]
	global_load_dwordx4 v[58:61], v[68:69], off
	v_ashrrev_i32_e32 v62, 5, v85
	global_load_dwordx4 v[82:85], v[82:83], off
	v_cmp_gt_i32_e32 vcc, s33, v79
	global_load_dwordx4 v[18:21], v[66:67], off
	s_waitcnt lgkmcnt(0)
	v_mfma_f32_16x16x16_f16 v[14:17], v[10:11], v[38:39], v[14:17]
	v_cndmask_b32_e32 v10, v78, v62, vcc
	v_ashrrev_i32_e32 v11, 31, v10
	v_lshl_add_u64 v[10:11], v[10:11], 2, s[6:7]
	global_load_dword v62, v[10:11], off
	v_ashrrev_i32_e32 v63, 5, v87
	global_load_dwordx4 v[68:71], v[68:69], off offset:2048
	v_cmp_gt_i32_e32 vcc, s33, v80
	v_mfma_f32_16x16x16_f16 v[64:67], v[12:13], v[40:41], v[14:17]
	v_lshl_or_b32 v87, v86, 4, v76
	v_cndmask_b32_e32 v10, v78, v63, vcc
	v_ashrrev_i32_e32 v11, 31, v10
	v_lshl_add_u64 v[10:11], v[10:11], 2, s[6:7]
	global_load_dword v63, v[10:11], off
	v_lshl_add_u64 v[14:15], v[72:73], 0, v[48:49]
	global_load_dwordx4 v[88:91], v[14:15], off
	s_waitcnt vmcnt(11)
	v_mfma_f32_16x16x16_f16 v[10:13], v[34:35], v[6:7], 0
	v_and_b32_e32 v14, 16, v0
	v_lshlrev_b32_e32 v46, 1, v14
	v_mfma_f32_16x16x16_f16 v[10:13], v[36:37], v[8:9], v[10:13]
	v_lshl_add_u64 v[36:37], s[4:5], 0, v[46:47]
	v_lshlrev_b32_e32 v46, 6, v87
	v_lshl_add_u64 v[48:49], v[36:37], 0, v[46:47]
	v_mfma_f32_16x16x16_f16 v[26:29], v[32:33], v[44:45], v[26:29]
	v_or_b32_e32 v46, 0x1000, v46
	s_waitcnt vmcnt(8)
	v_mad_i64_i32 v[14:15], s[4:5], v92, s9, 0
	v_mfma_f32_16x16x16_f16 v[10:13], v[54:55], v[2:3], v[10:13]
	v_mfma_f32_16x16x16_f16 v[10:13], v[56:57], v[4:5], v[10:13]
	v_lshlrev_b64 v[56:57], 1, v[14:15]
	v_lshl_add_u64 v[14:15], v[48:49], 0, v[56:57]
	v_mfma_f32_16x16x16_f16 v[10:13], v[50:51], v[42:43], v[10:13]
	v_mfma_f32_16x16x16_f16 v[10:13], v[52:53], v[44:45], v[10:13]
	v_mfma_f32_16x16x16_f16 v[26:29], v[22:23], v[38:39], v[26:29]
	s_waitcnt vmcnt(4)
	v_mfma_f32_16x16x16_f16 v[10:13], v[18:19], v[38:39], v[10:13]
	v_mfma_f32_16x16x16_f16 v[78:81], v[24:25], v[40:41], v[26:29]
	global_load_dwordx4 v[30:33], v[14:15], off
	s_nop 2
	global_load_dwordx4 v[26:29], v[14:15], off offset:16
	v_mad_i64_i32 v[14:15], s[4:5], v93, s9, 0
	v_lshlrev_b64 v[34:35], 1, v[14:15]
	v_mfma_f32_16x16x16_f16 v[52:55], v[20:21], v[40:41], v[10:13]
	s_nop 2
	v_lshl_add_u64 v[10:11], v[48:49], 0, v[34:35]
	global_load_dwordx4 v[22:25], v[10:11], off
	global_load_dwordx4 v[18:21], v[10:11], off offset:16
	v_mfma_f32_16x16x16_f16 v[10:13], v[58:59], v[6:7], 0
	s_waitcnt vmcnt(7)
	v_mad_i64_i32 v[6:7], s[4:5], v62, s9, 0
	v_lshlrev_b64 v[50:51], 1, v[6:7]
	v_mfma_f32_16x16x16_f16 v[6:9], v[60:61], v[8:9], v[10:13]
	s_waitcnt vmcnt(6)
	v_mfma_f32_16x16x16_f16 v[6:9], v[68:69], v[2:3], v[6:9]
	s_waitcnt vmcnt(5)
	v_mad_i64_i32 v[2:3], s[4:5], v63, s9, 0
	v_lshlrev_b64 v[58:59], 1, v[2:3]
	v_mfma_f32_16x16x16_f16 v[60:63], v[70:71], v[4:5], v[6:9]
	v_lshl_add_u64 v[10:11], v[48:49], 0, v[50:51]
	v_lshl_add_u64 v[2:3], v[48:49], 0, v[58:59]
	global_load_dwordx4 v[14:17], v[10:11], off
	s_nop 0
	global_load_dwordx4 v[10:13], v[10:11], off offset:16
	v_mfma_f32_16x16x16_f16 v[68:71], v[82:83], v[42:43], v[60:63]
	v_pk_mul_f32 v[82:83], s[8:9], v[66:67] op_sel_hi:[0,1]
	global_load_dwordx4 v[6:9], v[2:3], off
	s_nop 0
	global_load_dwordx4 v[2:5], v[2:3], off offset:16
	v_lshl_add_u64 v[62:63], v[36:37], 0, v[46:47]
	v_mfma_f32_16x16x16_f16 v[42:45], v[84:85], v[44:45], v[68:71]
	v_pk_mul_f32 v[60:61], s[8:9], v[64:65] op_sel_hi:[0,1]
	v_pk_mul_f32 v[84:85], s[8:9], v[80:81] op_sel_hi:[0,1]
	;; [unrolled: 1-line block ×3, first 2 shown]
	s_waitcnt vmcnt(8)
	v_mfma_f32_16x16x16_f16 v[36:39], v[88:89], v[38:39], v[42:45]
	v_pk_mul_f32 v[70:71], s[8:9], v[78:79] op_sel_hi:[0,1]
	v_pk_mul_f32 v[78:79], s[8:9], v[54:55] op_sel_hi:[0,1]
	v_lshl_add_u64 v[56:57], v[62:63], 0, v[56:57]
	v_mfma_f32_16x16x16_f16 v[36:39], v[90:91], v[40:41], v[36:39]
	v_lshl_add_u64 v[34:35], v[62:63], 0, v[34:35]
	v_lshl_add_u64 v[50:51], v[62:63], 0, v[50:51]
	;; [unrolled: 1-line block ×3, first 2 shown]
	s_nop 3
	v_pk_mul_f32 v[72:73], s[8:9], v[36:37] op_sel_hi:[0,1]
	v_and_b32_e32 v36, 0xc0, v0
	v_add_u32_e32 v36, s18, v36
	v_lshl_or_b32 v36, v1, 2, v36
	v_pk_mul_f32 v[66:67], s[8:9], v[38:39] op_sel_hi:[0,1]
	v_or_b32_e32 v39, 1, v36
	v_mov_b32_e32 v37, 0xff7fffff
	v_cmp_gt_i32_e64 s[28:29], s33, v36
	v_cmp_gt_i32_e64 s[30:31], s33, v39
	v_or_b32_e32 v40, 3, v36
	v_cndmask_b32_e64 v38, v37, v60, s[28:29]
	v_cndmask_b32_e64 v39, v37, v61, s[30:31]
	v_max3_f32 v38, v38, s41, v39
	v_or_b32_e32 v39, 2, v36
	v_cmp_gt_i32_e64 s[34:35], s33, v39
	v_cmp_gt_i32_e64 s[36:37], s33, v40
	s_nop 0
	v_cndmask_b32_e64 v39, v37, v82, s[34:35]
	v_cndmask_b32_e64 v40, v37, v83, s[36:37]
	v_max3_f32 v38, v38, v39, v40
	v_or_b32_e32 v39, 16, v36
	v_or_b32_e32 v40, 17, v36
	v_cmp_gt_i32_e64 s[22:23], s33, v39
	v_cmp_gt_i32_e64 s[24:25], s33, v40
	s_nop 0
	v_cndmask_b32_e64 v39, v37, v70, s[22:23]
	v_cndmask_b32_e64 v40, v37, v71, s[24:25]
	v_max3_f32 v38, v38, v39, v40
	v_or_b32_e32 v39, 18, v36
	;; [unrolled: 8-line block ×6, first 2 shown]
	v_or_b32_e32 v36, 51, v36
	v_cmp_gt_i32_e32 vcc, s33, v39
	v_cmp_gt_i32_e64 s[4:5], s33, v36
	s_nop 0
	v_cndmask_b32_e32 v39, v37, v66, vcc
	v_cndmask_b32_e64 v36, v37, v67, s[4:5]
	v_max3_f32 v52, v38, v39, v36
	v_mbcnt_lo_u32_b32 v36, -1, 0
	v_mbcnt_hi_u32_b32 v53, -1, v36
	v_and_b32_e32 v36, 64, v53
	v_add_u32_e32 v54, 64, v36
	v_xor_b32_e32 v36, 32, v53
	v_cmp_lt_i32_e64 s[38:39], v36, v54
	global_load_dwordx4 v[46:49], v[56:57], off
	global_load_dwordx4 v[38:41], v[56:57], off offset:16
	v_cndmask_b32_e64 v36, v53, v36, s[38:39]
	v_lshlrev_b32_e32 v89, 2, v36
	ds_bpermute_b32 v55, v89, v52
	global_load_dwordx4 v[42:45], v[34:35], off
	s_nop 0
	global_load_dwordx4 v[34:37], v[34:35], off offset:16
	s_waitcnt lgkmcnt(0)
	v_max_f32_e32 v55, v55, v55
	v_max_f32_e32 v64, v52, v55
	v_xor_b32_e32 v52, 16, v53
	v_cmp_lt_i32_e64 s[38:39], v52, v54
	s_nop 1
	v_cndmask_b32_e64 v52, v53, v52, s[38:39]
	v_lshlrev_b32_e32 v90, 2, v52
	ds_bpermute_b32 v65, v90, v64
	global_load_dwordx4 v[54:57], v[50:51], off
	s_nop 0
	global_load_dwordx4 v[50:53], v[50:51], off offset:16
	s_waitcnt lgkmcnt(0)
	v_max_f32_e32 v62, v65, v65
	v_max_f32_e32 v88, v64, v62
	v_sub_f32_e32 v60, v60, v88
	v_mul_f32_e32 v60, 0x3fb8aa3b, v60
	v_exp_f32_e32 v68, v60
	v_sub_f32_e32 v60, v61, v88
	v_mul_f32_e32 v60, 0x3fb8aa3b, v60
	v_exp_f32_e32 v69, v60
	global_load_dwordx4 v[62:65], v[58:59], off
	s_nop 0
	global_load_dwordx4 v[58:61], v[58:59], off offset:16
	v_sub_f32_e32 v82, v82, v88
	v_mul_f32_e32 v82, 0x3fb8aa3b, v82
	v_sub_f32_e32 v83, v83, v88
	v_exp_f32_e32 v82, v82
	v_mul_f32_e32 v83, 0x3fb8aa3b, v83
	v_sub_f32_e32 v70, v70, v88
	v_exp_f32_e32 v83, v83
	v_mul_f32_e32 v70, 0x3fb8aa3b, v70
	v_sub_f32_e32 v71, v71, v88
	v_cndmask_b32_e64 v68, 0, v68, s[28:29]
	v_exp_f32_e32 v70, v70
	v_mul_f32_e32 v71, 0x3fb8aa3b, v71
	v_sub_f32_e32 v84, v84, v88
	v_add_f32_e32 v91, 0, v68
	v_cndmask_b32_e64 v69, 0, v69, s[30:31]
	v_exp_f32_e32 v71, v71
	v_mul_f32_e32 v84, 0x3fb8aa3b, v84
	v_sub_f32_e32 v85, v85, v88
	v_add_f32_e32 v91, v91, v69
	;; [unrolled: 5-line block ×10, first 2 shown]
	v_cndmask_b32_e64 v78, 0, v78, s[10:11]
	v_exp_f32_e32 v66, v66
	v_mul_f32_e32 v67, 0x3fb8aa3b, v67
	v_add_f32_e32 v91, v91, v78
	v_cndmask_b32_e64 v79, 0, v79, s[12:13]
	v_exp_f32_e32 v67, v67
	v_add_f32_e32 v91, v91, v79
	v_cndmask_b32_e64 v72, 0, v72, s[6:7]
	v_add_f32_e32 v91, v91, v72
	v_cndmask_b32_e64 v73, 0, v73, s[8:9]
	v_add_f32_e32 v91, v91, v73
	v_cndmask_b32_e32 v66, 0, v66, vcc
	v_add_f32_e32 v91, v91, v66
	v_cndmask_b32_e64 v67, 0, v67, s[4:5]
	v_add_f32_e32 v91, v91, v67
	ds_bpermute_b32 v89, v89, v91
	v_cmp_gt_u32_e32 vcc, 16, v77
	s_waitcnt lgkmcnt(0)
	s_barrier
	v_add_f32_e32 v89, v91, v89
	ds_bpermute_b32 v90, v90, v89
	s_and_saveexec_b64 s[4:5], vcc
	s_cbranch_execz .LBB330_15
; %bb.14:
	s_waitcnt lgkmcnt(0)
	v_add_f32_e32 v77, v89, v90
	v_lshlrev_b32_e32 v87, 2, v87
	ds_write2st64_b32 v87, v88, v77 offset1:1
.LBB330_15:
	s_or_b64 exec, exec, s[4:5]
	v_lshlrev_b32_e32 v77, 2, v76
	s_load_dword s6, s[0:1], 0x94
	s_waitcnt lgkmcnt(0)
	s_barrier
	ds_read2_b32 v[88:89], v77 offset1:16
	ds_read2_b32 v[90:91], v77 offset0:32 offset1:48
	ds_read2_b32 v[92:93], v77 offset0:64 offset1:80
	;; [unrolled: 1-line block ×3, first 2 shown]
	s_waitcnt lgkmcnt(0)
	v_max3_f32 v87, v88, s41, v89
	v_max3_f32 v87, v87, v90, v91
	v_sub_f32_e32 v88, v88, v87
	v_mul_f32_e32 v88, 0x3fb8aa3b, v88
	v_exp_f32_e32 v86, v88
	v_sub_f32_e32 v88, v89, v87
	v_mul_f32_e32 v88, 0x3fb8aa3b, v88
	v_exp_f32_e32 v89, v88
	v_sub_f32_e32 v88, v90, v87
	v_mul_f32_e32 v88, 0x3fb8aa3b, v88
	v_sub_f32_e32 v77, v91, v87
	v_exp_f32_e32 v90, v88
	v_mul_f32_e32 v77, 0x3fb8aa3b, v77
	v_exp_f32_e32 v77, v77
	v_fma_f32 v88, v86, v92, 0
	v_fmac_f32_e32 v88, v89, v93
	v_fmac_f32_e32 v88, v90, v94
	;; [unrolled: 1-line block ×3, first 2 shown]
	v_add_f32_e32 v91, 0x358637bd, v88
	v_div_scale_f32 v92, s[4:5], v91, v91, 1.0
	v_rcp_f32_e32 v93, v92
	s_barrier
	s_mul_i32 s7, s27, 7
	v_fma_f32 v94, -v92, v93, 1.0
	v_fmac_f32_e32 v93, v94, v93
	v_div_scale_f32 v94, vcc, 1.0, v91, 1.0
	v_mul_f32_e32 v95, v94, v93
	v_fma_f32 v1, -v92, v95, v94
	v_fmac_f32_e32 v95, v1, v93
	v_fma_f32 v1, -v92, v95, v94
	v_div_fmas_f32 v1, v1, v93, v95
	v_div_fixup_f32 v1, v1, v91, 1.0
	v_lshrrev_b32_e32 v91, 6, v0
	v_cmp_eq_u32_e32 vcc, 1, v91
	s_nop 1
	v_cndmask_b32_e32 v86, v86, v89, vcc
	v_cmp_eq_u32_e32 vcc, 2, v91
	s_nop 1
	v_cndmask_b32_e32 v86, v86, v90, vcc
	;; [unrolled: 3-line block ×3, first 2 shown]
	v_mul_f32_e32 v90, v77, v1
	v_pk_mul_f32 v[82:83], v[90:91], v[82:83] op_sel_hi:[0,1]
	v_pk_mul_f32 v[68:69], v[90:91], v[68:69] op_sel_hi:[0,1]
	v_cvt_f16_f32_e32 v1, v68
	v_cvt_f16_f32_e32 v68, v69
	;; [unrolled: 1-line block ×4, first 2 shown]
	v_pk_mul_f32 v[84:85], v[90:91], v[84:85] op_sel_hi:[0,1]
	v_pk_mul_f32 v[70:71], v[90:91], v[70:71] op_sel_hi:[0,1]
	v_bfe_u32 v86, v0, 4, 2
	v_pack_b32_f16 v83, v69, v77
	v_cvt_f16_f32_e32 v69, v70
	v_cvt_f16_f32_e32 v70, v71
	;; [unrolled: 1-line block ×4, first 2 shown]
	v_pack_b32_f16 v82, v1, v68
	v_lshlrev_b32_e32 v1, 3, v86
	v_lshlrev_b32_e32 v68, 5, v76
	;; [unrolled: 1-line block ×3, first 2 shown]
	v_or3_b32 v1, v84, v68, v1
	v_pack_b32_f16 v70, v69, v70
	v_pack_b32_f16 v71, v71, v77
	ds_write2st64_b64 v1, v[82:83], v[70:71] offset1:1
	v_pk_mul_f32 v[70:71], v[90:91], v[78:79] op_sel_hi:[0,1]
	v_pk_mul_f32 v[78:79], v[90:91], v[80:81] op_sel_hi:[0,1]
	v_cvt_f16_f32_e32 v69, v78
	v_cvt_f16_f32_e32 v77, v79
	;; [unrolled: 1-line block ×4, first 2 shown]
	v_pk_mul_f32 v[66:67], v[90:91], v[66:67] op_sel_hi:[0,1]
	v_pk_mul_f32 v[70:71], v[90:91], v[72:73] op_sel_hi:[0,1]
	v_cvt_f16_f32_e32 v70, v70
	v_cvt_f16_f32_e32 v71, v71
	;; [unrolled: 1-line block ×4, first 2 shown]
	v_pack_b32_f16 v66, v69, v77
	v_pack_b32_f16 v67, v78, v79
	;; [unrolled: 1-line block ×4, first 2 shown]
	v_cmp_gt_u32_e32 vcc, 7, v0
	ds_write2st64_b64 v1, v[66:67], v[70:71] offset0:2 offset1:3
	s_and_saveexec_b64 s[4:5], vcc
	s_cbranch_execz .LBB330_17
; %bb.16:
	s_mov_b32 s41, 0
	v_mov_b32_e32 v77, 0
	v_lshl_add_u64 v[66:67], s[40:41], 0, v[76:77]
	v_mov_b32_e32 v69, s7
	v_mad_u64_u32 v[66:67], s[12:13], s2, v69, v[66:67]
	s_mul_i32 s3, s3, s7
	v_mov_b32_e32 v70, s26
	v_mov_b32_e32 v71, v77
	s_load_dwordx4 s[8:11], s[0:1], 0x58
	v_add_u32_e32 v69, s3, v67
	v_mad_u64_u32 v[66:67], s[12:13], v66, s6, v[70:71]
	v_mov_b32_e32 v70, v67
	v_mad_u64_u32 v[70:71], s[12:13], v69, s6, v[70:71]
	v_mov_b32_e32 v67, v70
	v_lshlrev_b64 v[66:67], 2, v[66:67]
	s_waitcnt lgkmcnt(0)
	v_lshl_add_u64 v[70:71], s[10:11], 0, v[66:67]
	v_lshl_add_u64 v[66:67], s[8:9], 0, v[66:67]
	global_store_dword v[70:71], v87, off
	global_store_dword v[66:67], v88, off
.LBB330_17:
	s_or_b64 exec, exec, s[4:5]
	v_lshl_or_b32 v77, v86, 9, v68
	s_waitcnt lgkmcnt(0)
	s_barrier
	ds_read_b128 v[70:73], v77
	ds_read_b128 v[66:69], v77 offset:16
	s_waitcnt vmcnt(15) lgkmcnt(1)
	v_mfma_f32_16x16x16_f16 v[78:81], v[30:31], v[70:71], 0
	s_mov_b32 s3, 0
	v_cmp_gt_u32_e32 vcc, 64, v0
	v_mfma_f32_16x16x16_f16 v[30:33], v[32:33], v[72:73], v[78:81]
	s_waitcnt vmcnt(14) lgkmcnt(0)
	v_mfma_f32_16x16x16_f16 v[30:33], v[26:27], v[66:67], v[30:33]
	v_mfma_f32_16x16x16_f16 v[26:29], v[28:29], v[68:69], v[30:33]
	s_nop 5
	ds_read_b128 v[30:33], v77 offset:2048
	ds_read_b128 v[78:81], v77 offset:2064
	s_waitcnt vmcnt(13) lgkmcnt(1)
	v_mfma_f32_16x16x16_f16 v[26:29], v[22:23], v[30:31], v[26:29]
	v_mfma_f32_16x16x16_f16 v[22:25], v[24:25], v[32:33], v[26:29]
	s_waitcnt vmcnt(12) lgkmcnt(0)
	v_mfma_f32_16x16x16_f16 v[22:25], v[18:19], v[78:79], v[22:25]
	v_mfma_f32_16x16x16_f16 v[18:21], v[20:21], v[80:81], v[22:25]
	s_nop 5
	ds_read_b128 v[22:25], v77 offset:4096
	ds_read_b128 v[26:29], v77 offset:4112
	s_waitcnt vmcnt(11) lgkmcnt(1)
	v_mfma_f32_16x16x16_f16 v[18:21], v[14:15], v[22:23], v[18:21]
	v_mfma_f32_16x16x16_f16 v[14:17], v[16:17], v[24:25], v[18:21]
	s_waitcnt vmcnt(10) lgkmcnt(0)
	v_mfma_f32_16x16x16_f16 v[14:17], v[10:11], v[26:27], v[14:17]
	v_mfma_f32_16x16x16_f16 v[10:13], v[12:13], v[28:29], v[14:17]
	s_nop 5
	ds_read_b128 v[14:17], v77 offset:6144
	ds_read_b128 v[18:21], v77 offset:6160
	s_waitcnt lgkmcnt(0)
	s_barrier
	s_waitcnt vmcnt(9)
	v_mfma_f32_16x16x16_f16 v[10:13], v[6:7], v[14:15], v[10:13]
	v_mfma_f32_16x16x16_f16 v[6:9], v[8:9], v[16:17], v[10:13]
	s_waitcnt vmcnt(8)
	v_mfma_f32_16x16x16_f16 v[6:9], v[2:3], v[18:19], v[6:9]
	v_mfma_f32_16x16x16_f16 v[2:5], v[4:5], v[20:21], v[6:9]
	;; [unrolled: 3-line block ×3, first 2 shown]
	s_nop 3
	v_cvt_f16_f32_e32 v10, v2
	v_cvt_f16_f32_e32 v11, v3
	;; [unrolled: 1-line block ×3, first 2 shown]
	s_waitcnt vmcnt(6)
	v_mfma_f32_16x16x16_f16 v[6:9], v[38:39], v[66:67], v[6:9]
	v_cvt_f16_f32_e32 v13, v5
	v_mfma_f32_16x16x16_f16 v[6:9], v[40:41], v[68:69], v[6:9]
	s_waitcnt vmcnt(5)
	v_mfma_f32_16x16x16_f16 v[6:9], v[42:43], v[30:31], v[6:9]
	v_mfma_f32_16x16x16_f16 v[6:9], v[44:45], v[32:33], v[6:9]
	s_waitcnt vmcnt(4)
	v_mfma_f32_16x16x16_f16 v[6:9], v[34:35], v[78:79], v[6:9]
	;; [unrolled: 3-line block ×6, first 2 shown]
	v_mfma_f32_16x16x16_f16 v[2:5], v[60:61], v[20:21], v[6:9]
	s_nop 6
	v_cvt_f16_f32_e32 v6, v2
	v_cvt_f16_f32_e32 v7, v3
	;; [unrolled: 1-line block ×4, first 2 shown]
	v_pack_b32_f16 v2, v10, v11
	v_pack_b32_f16 v3, v12, v13
	;; [unrolled: 1-line block ×4, first 2 shown]
	ds_write2st64_b64 v1, v[2:3], v[4:5] offset1:1
	s_waitcnt lgkmcnt(0)
	s_barrier
	s_and_saveexec_b64 s[4:5], vcc
	s_cbranch_execz .LBB330_20
; %bb.18:
	s_load_dwordx2 s[4:5], s[0:1], 0x68
	s_lshl_b32 s0, s6, 7
	s_mul_i32 s1, s7, s2
	v_lshlrev_b32_e32 v3, 6, v76
	s_mul_hi_u32 s7, s1, s0
	s_mul_i32 s6, s1, s0
	v_lshlrev_b32_e32 v2, 4, v0
	v_lshl_or_b32 v0, v0, 10, v3
	s_lshl_b64 s[6:7], s[6:7], 1
	v_lshlrev_b32_e32 v1, 5, v86
	v_and_b32_e32 v2, 16, v2
	v_and_b32_e32 v0, 0x1a00, v0
	s_waitcnt lgkmcnt(0)
	s_add_u32 s1, s4, s6
	v_or3_b32 v2, v0, v1, v2
	s_addc_u32 s4, s5, s7
	s_lshl_b32 s2, s26, 7
	s_lshl_b64 s[2:3], s[2:3], 1
	ds_read_b128 v[4:7], v2
	s_add_u32 s2, s1, s2
	s_addc_u32 s3, s4, s3
	v_add_u32_e32 v3, s40, v86
	v_lshl_add_u64 v[0:1], v[74:75], 1, s[2:3]
	v_mad_u64_u32 v[8:9], s[2:3], v3, s0, 0
	v_lshl_add_u64 v[8:9], v[8:9], 1, v[0:1]
	v_cmp_ne_u32_e32 vcc, 3, v86
	s_waitcnt lgkmcnt(0)
	global_store_dwordx4 v[8:9], v[4:7], off
	s_and_b64 exec, exec, vcc
	s_cbranch_execz .LBB330_20
; %bb.19:
	ds_read_b128 v[2:5], v2 offset:128
	v_add3_u32 v6, s40, v86, 4
	v_mad_u64_u32 v[6:7], s[0:1], v6, s0, 0
	v_lshl_add_u64 v[0:1], v[6:7], 1, v[0:1]
	s_waitcnt lgkmcnt(0)
	global_store_dwordx4 v[0:1], v[2:5], off
.LBB330_20:
	s_endpgm
	.section	.rodata,"a",@progbits
	.p2align	6, 0x0
	.amdhsa_kernel _Z39paged_attention_ll4mi_QKV_mfma16_kernelIDF16_DF16_LN4vllm18Fp8KVCacheDataTypeE0EhLi32ELi128ELi256ELb0ELi7EEvPKT_PKT0_S7_ifPKiS9_S9_iPKfiiiPfSC_PS2_PT2_iSB_SB_
		.amdhsa_group_segment_fixed_size 8192
		.amdhsa_private_segment_fixed_size 0
		.amdhsa_kernarg_size 400
		.amdhsa_user_sgpr_count 2
		.amdhsa_user_sgpr_dispatch_ptr 0
		.amdhsa_user_sgpr_queue_ptr 0
		.amdhsa_user_sgpr_kernarg_segment_ptr 1
		.amdhsa_user_sgpr_dispatch_id 0
		.amdhsa_user_sgpr_kernarg_preload_length 0
		.amdhsa_user_sgpr_kernarg_preload_offset 0
		.amdhsa_user_sgpr_private_segment_size 0
		.amdhsa_uses_dynamic_stack 0
		.amdhsa_enable_private_segment 0
		.amdhsa_system_sgpr_workgroup_id_x 1
		.amdhsa_system_sgpr_workgroup_id_y 1
		.amdhsa_system_sgpr_workgroup_id_z 1
		.amdhsa_system_sgpr_workgroup_info 0
		.amdhsa_system_vgpr_workitem_id 0
		.amdhsa_next_free_vgpr 96
		.amdhsa_next_free_sgpr 42
		.amdhsa_accum_offset 96
		.amdhsa_reserve_vcc 1
		.amdhsa_float_round_mode_32 0
		.amdhsa_float_round_mode_16_64 0
		.amdhsa_float_denorm_mode_32 3
		.amdhsa_float_denorm_mode_16_64 3
		.amdhsa_dx10_clamp 1
		.amdhsa_ieee_mode 1
		.amdhsa_fp16_overflow 0
		.amdhsa_tg_split 0
		.amdhsa_exception_fp_ieee_invalid_op 0
		.amdhsa_exception_fp_denorm_src 0
		.amdhsa_exception_fp_ieee_div_zero 0
		.amdhsa_exception_fp_ieee_overflow 0
		.amdhsa_exception_fp_ieee_underflow 0
		.amdhsa_exception_fp_ieee_inexact 0
		.amdhsa_exception_int_div_zero 0
	.end_amdhsa_kernel
	.section	.text._Z39paged_attention_ll4mi_QKV_mfma16_kernelIDF16_DF16_LN4vllm18Fp8KVCacheDataTypeE0EhLi32ELi128ELi256ELb0ELi7EEvPKT_PKT0_S7_ifPKiS9_S9_iPKfiiiPfSC_PS2_PT2_iSB_SB_,"axG",@progbits,_Z39paged_attention_ll4mi_QKV_mfma16_kernelIDF16_DF16_LN4vllm18Fp8KVCacheDataTypeE0EhLi32ELi128ELi256ELb0ELi7EEvPKT_PKT0_S7_ifPKiS9_S9_iPKfiiiPfSC_PS2_PT2_iSB_SB_,comdat
.Lfunc_end330:
	.size	_Z39paged_attention_ll4mi_QKV_mfma16_kernelIDF16_DF16_LN4vllm18Fp8KVCacheDataTypeE0EhLi32ELi128ELi256ELb0ELi7EEvPKT_PKT0_S7_ifPKiS9_S9_iPKfiiiPfSC_PS2_PT2_iSB_SB_, .Lfunc_end330-_Z39paged_attention_ll4mi_QKV_mfma16_kernelIDF16_DF16_LN4vllm18Fp8KVCacheDataTypeE0EhLi32ELi128ELi256ELb0ELi7EEvPKT_PKT0_S7_ifPKiS9_S9_iPKfiiiPfSC_PS2_PT2_iSB_SB_
                                        ; -- End function
	.section	.AMDGPU.csdata,"",@progbits
; Kernel info:
; codeLenInByte = 4552
; NumSgprs: 48
; NumVgprs: 96
; NumAgprs: 0
; TotalNumVgprs: 96
; ScratchSize: 0
; MemoryBound: 0
; FloatMode: 240
; IeeeMode: 1
; LDSByteSize: 8192 bytes/workgroup (compile time only)
; SGPRBlocks: 5
; VGPRBlocks: 11
; NumSGPRsForWavesPerEU: 48
; NumVGPRsForWavesPerEU: 96
; AccumOffset: 96
; Occupancy: 5
; WaveLimiterHint : 1
; COMPUTE_PGM_RSRC2:SCRATCH_EN: 0
; COMPUTE_PGM_RSRC2:USER_SGPR: 2
; COMPUTE_PGM_RSRC2:TRAP_HANDLER: 0
; COMPUTE_PGM_RSRC2:TGID_X_EN: 1
; COMPUTE_PGM_RSRC2:TGID_Y_EN: 1
; COMPUTE_PGM_RSRC2:TGID_Z_EN: 1
; COMPUTE_PGM_RSRC2:TIDIG_COMP_CNT: 0
; COMPUTE_PGM_RSRC3_GFX90A:ACCUM_OFFSET: 23
; COMPUTE_PGM_RSRC3_GFX90A:TG_SPLIT: 0
	.section	.text._Z39paged_attention_ll4mi_QKV_mfma16_kernelIDF16_DF16_LN4vllm18Fp8KVCacheDataTypeE0EhLi32ELi128ELi256ELb0ELi8EEvPKT_PKT0_S7_ifPKiS9_S9_iPKfiiiPfSC_PS2_PT2_iSB_SB_,"axG",@progbits,_Z39paged_attention_ll4mi_QKV_mfma16_kernelIDF16_DF16_LN4vllm18Fp8KVCacheDataTypeE0EhLi32ELi128ELi256ELb0ELi8EEvPKT_PKT0_S7_ifPKiS9_S9_iPKfiiiPfSC_PS2_PT2_iSB_SB_,comdat
	.protected	_Z39paged_attention_ll4mi_QKV_mfma16_kernelIDF16_DF16_LN4vllm18Fp8KVCacheDataTypeE0EhLi32ELi128ELi256ELb0ELi8EEvPKT_PKT0_S7_ifPKiS9_S9_iPKfiiiPfSC_PS2_PT2_iSB_SB_ ; -- Begin function _Z39paged_attention_ll4mi_QKV_mfma16_kernelIDF16_DF16_LN4vllm18Fp8KVCacheDataTypeE0EhLi32ELi128ELi256ELb0ELi8EEvPKT_PKT0_S7_ifPKiS9_S9_iPKfiiiPfSC_PS2_PT2_iSB_SB_
	.globl	_Z39paged_attention_ll4mi_QKV_mfma16_kernelIDF16_DF16_LN4vllm18Fp8KVCacheDataTypeE0EhLi32ELi128ELi256ELb0ELi8EEvPKT_PKT0_S7_ifPKiS9_S9_iPKfiiiPfSC_PS2_PT2_iSB_SB_
	.p2align	8
	.type	_Z39paged_attention_ll4mi_QKV_mfma16_kernelIDF16_DF16_LN4vllm18Fp8KVCacheDataTypeE0EhLi32ELi128ELi256ELb0ELi8EEvPKT_PKT0_S7_ifPKiS9_S9_iPKfiiiPfSC_PS2_PT2_iSB_SB_,@function
_Z39paged_attention_ll4mi_QKV_mfma16_kernelIDF16_DF16_LN4vllm18Fp8KVCacheDataTypeE0EhLi32ELi128ELi256ELb0ELi8EEvPKT_PKT0_S7_ifPKiS9_S9_iPKfiiiPfSC_PS2_PT2_iSB_SB_: ; @_Z39paged_attention_ll4mi_QKV_mfma16_kernelIDF16_DF16_LN4vllm18Fp8KVCacheDataTypeE0EhLi32ELi128ELi256ELb0ELi8EEvPKT_PKT0_S7_ifPKiS9_S9_iPKfiiiPfSC_PS2_PT2_iSB_SB_
; %bb.0:
	s_load_dwordx2 s[8:9], s[0:1], 0x30
	s_mov_b32 s26, s3
	s_mov_b64 s[6:7], 0
	s_waitcnt lgkmcnt(0)
	s_cmp_lg_u64 s[8:9], 0
	s_cselect_b64 s[10:11], -1, 0
	s_and_b64 vcc, exec, s[10:11]
	s_cbranch_vccz .LBB331_7
; %bb.1:
	s_add_i32 s12, s2, 1
	s_mov_b32 s13, 0
	s_lshl_b64 s[14:15], s[12:13], 2
	s_add_u32 s14, s8, s14
	s_mov_b32 s3, s13
	s_addc_u32 s15, s9, s15
	s_lshl_b64 s[12:13], s[2:3], 2
	s_add_u32 s12, s8, s12
	s_addc_u32 s13, s9, s13
	s_load_dword s5, s[14:15], 0x0
	s_load_dword s16, s[12:13], 0x0
	s_waitcnt lgkmcnt(0)
	s_sub_i32 s5, s5, s16
	s_cmp_eq_u32 s5, 1
	s_cselect_b64 s[12:13], -1, 0
	s_andn2_b64 vcc, exec, s[6:7]
	s_cbranch_vccnz .LBB331_3
.LBB331_2:
	s_mov_b32 s3, 0
	s_mov_b64 s[12:13], -1
.LBB331_3:
	s_andn2_b64 vcc, exec, s[12:13]
	s_cbranch_vccnz .LBB331_19
; %bb.4:
	s_load_dwordx2 s[6:7], s[0:1], 0x28
	s_lshl_b64 s[12:13], s[2:3], 2
	s_waitcnt lgkmcnt(0)
	s_add_u32 s6, s6, s12
	s_addc_u32 s7, s7, s13
	s_load_dword s38, s[6:7], 0x0
	s_lshl_b32 s18, s26, 8
	s_waitcnt lgkmcnt(0)
	s_cmp_ge_i32 s18, s38
	s_cbranch_scc1 .LBB331_19
; %bb.5:
	s_load_dwordx2 s[6:7], s[0:1], 0x20
	s_load_dword s5, s[0:1], 0x38
	s_add_i32 s14, s38, 31
	s_ashr_i32 s15, s14, 31
	v_and_b32_e32 v1, 0xcf, v0
	s_lshr_b32 s15, s15, 27
	v_add_u32_e32 v1, s18, v1
	s_add_i32 s14, s14, s15
	v_ashrrev_i32_e32 v2, 31, v1
	s_ashr_i32 s19, s14, 5
	v_lshrrev_b32_e32 v8, 27, v2
	s_add_i32 s19, s19, -1
	s_waitcnt lgkmcnt(0)
	s_mul_i32 s14, s2, s5
	s_mov_b32 s15, 0
	v_add_u32_e32 v2, v1, v8
	s_lshl_b64 s[14:15], s[14:15], 2
	v_ashrrev_i32_e32 v2, 5, v2
	v_mov_b32_e32 v9, s19
	v_cmp_gt_i32_e32 vcc, s38, v1
	s_add_u32 s6, s6, s14
	s_addc_u32 s7, s7, s15
	v_cndmask_b32_e32 v2, v9, v2, vcc
	v_ashrrev_i32_e32 v3, 31, v2
	v_lshl_add_u64 v[4:5], v[2:3], 2, s[6:7]
	v_or_b32_e32 v2, 16, v1
	v_add_u32_e32 v3, v2, v8
	v_ashrrev_i32_e32 v3, 5, v3
	v_cmp_gt_i32_e32 vcc, s38, v2
	s_nop 1
	v_cndmask_b32_e32 v2, v9, v3, vcc
	v_ashrrev_i32_e32 v3, 31, v2
	v_lshl_add_u64 v[6:7], v[2:3], 2, s[6:7]
	v_or_b32_e32 v2, 32, v1
	v_add_u32_e32 v3, v2, v8
	v_ashrrev_i32_e32 v3, 5, v3
	v_cmp_gt_i32_e32 vcc, s38, v2
	v_or_b32_e32 v1, 48, v1
	s_nop 0
	v_cndmask_b32_e32 v2, v9, v3, vcc
	v_ashrrev_i32_e32 v3, 31, v2
	v_lshl_add_u64 v[10:11], v[2:3], 2, s[6:7]
	v_add_u32_e32 v2, v1, v8
	v_ashrrev_i32_e32 v2, 5, v2
	v_cmp_gt_i32_e32 vcc, s38, v1
	s_nop 1
	v_cndmask_b32_e32 v2, v9, v2, vcc
	v_ashrrev_i32_e32 v3, 31, v2
	v_lshl_add_u64 v[12:13], v[2:3], 2, s[6:7]
	global_load_dword v2, v[4:5], off
	global_load_dword v9, v[6:7], off
	;; [unrolled: 1-line block ×4, first 2 shown]
	s_andn2_b64 vcc, exec, s[10:11]
	s_cbranch_vccnz .LBB331_8
; %bb.6:
	s_add_u32 s8, s8, s12
	s_addc_u32 s9, s9, s13
	s_load_dword s5, s[8:9], 0x0
	s_branch .LBB331_9
.LBB331_7:
	s_mov_b64 s[12:13], 0
	s_branch .LBB331_2
.LBB331_8:
	s_mov_b32 s5, s2
.LBB331_9:
	s_load_dwordx4 s[12:15], s[0:1], 0x8
	s_load_dwordx4 s[8:11], s[0:1], 0x48
	v_and_b32_e32 v1, 15, v0
	s_waitcnt lgkmcnt(0)
	s_movk_i32 s11, 0x7f
	v_lshlrev_b32_e32 v12, 3, v1
	v_cmp_lt_u32_e32 vcc, s11, v0
	s_and_saveexec_b64 s[16:17], vcc
	s_xor_b64 s[16:17], exec, s[16:17]
; %bb.10:
	v_mov_b32_e32 v13, 0
; %bb.11:
	s_or_saveexec_b64 s[16:17], s[16:17]
	v_lshrrev_b32_e32 v85, 6, v0
	s_lshl_b32 s27, s4, 3
	v_bfe_u32 v84, v0, 4, 2
	s_xor_b64 exec, exec, s[16:17]
	s_cbranch_execz .LBB331_13
; %bb.12:
	s_load_dwordx2 s[20:21], s[0:1], 0x0
	s_ashr_i32 s11, s8, 31
	s_mul_hi_u32 s22, s5, s8
	s_mul_i32 s11, s5, s11
	s_add_i32 s23, s22, s11
	s_mul_i32 s22, s5, s8
	v_lshl_or_b32 v3, v85, 2, v84
	s_lshl_b64 s[22:23], s[22:23], 1
	s_waitcnt lgkmcnt(0)
	s_add_u32 s20, s20, s22
	v_add_lshl_u32 v4, v3, s27, 7
	s_addc_u32 s21, s21, s23
	v_ashrrev_i32_e32 v5, 31, v4
	v_mov_b32_e32 v13, 0
	v_lshl_add_u64 v[4:5], v[4:5], 1, s[20:21]
	v_lshlrev_b32_e32 v6, 1, v12
	v_mov_b32_e32 v7, v13
	v_lshl_add_u64 v[4:5], v[4:5], 0, v[6:7]
	global_load_dwordx4 v[4:7], v[4:5], off
	v_and_b32_e32 v1, 15, v0
	v_and_b32_e32 v10, 3, v0
	v_lshlrev_b32_e32 v11, 9, v1
	v_lshlrev_b32_e32 v3, 5, v3
	v_lshlrev_b32_e32 v10, 9, v10
	v_and_b32_e32 v11, 0x1800, v11
	v_or3_b32 v3, v11, v10, v3
	s_waitcnt vmcnt(0)
	ds_write_b128 v3, v[4:7]
.LBB331_13:
	s_or_b64 exec, exec, s[16:17]
	s_mul_i32 s4, s4, s10
	s_mov_b32 s5, 0
	s_lshl_b64 s[4:5], s[4:5], 1
	s_add_u32 s10, s12, s4
	s_addc_u32 s11, s13, s5
	s_waitcnt vmcnt(3)
	v_mad_i64_i32 v[2:3], s[12:13], v2, s9, 0
	v_mov_b32_e32 v55, 0
	s_waitcnt vmcnt(2)
	v_mad_i64_i32 v[10:11], s[12:13], v9, s9, 0
	v_mov_b32_e32 v9, 0x100
	v_and_b32_e32 v1, 15, v0
	v_lshl_add_u64 v[2:3], v[2:3], 1, s[10:11]
	v_lshlrev_b64 v[6:7], 1, v[12:13]
	v_lshl_add_u64 v[10:11], v[10:11], 1, s[10:11]
	v_lshl_or_b32 v56, v1, 4, v9
	v_mov_b32_e32 v57, v55
	v_lshlrev_b32_e32 v54, 9, v84
	v_lshl_add_u64 v[2:3], v[2:3], 0, v[6:7]
	v_lshl_add_u64 v[18:19], v[10:11], 0, v[56:57]
	v_lshl_add_u64 v[4:5], v[2:3], 0, v[54:55]
	v_lshl_add_u64 v[20:21], v[18:19], 0, v[54:55]
	s_load_dword s33, s[0:1], 0x98
	s_load_dword s8, s[0:1], 0x1c
	s_waitcnt lgkmcnt(0)
	s_barrier
	scratch_store_dwordx2 off, v[12:13], off ; 8-byte Folded Spill
	global_load_dwordx4 v[14:17], v[4:5], off
	s_waitcnt vmcnt(3)
	v_mad_i64_i32 v[8:9], s[12:13], v8, s9, 0
	global_load_dwordx4 v[10:13], v[20:21], off
	v_lshl_add_u64 v[8:9], v[8:9], 1, s[10:11]
	v_lshl_add_u64 v[60:61], v[8:9], 0, v[6:7]
	;; [unrolled: 1-line block ×3, first 2 shown]
	global_load_dwordx4 v[6:9], v[46:47], off
	global_load_dwordx4 v[42:45], v[4:5], off offset:2048
	global_load_dwordx4 v[38:41], v[20:21], off offset:2048
	v_or_b32_e32 v62, 0x1000, v54
	v_mov_b32_e32 v63, v55
	v_lshl_add_u64 v[4:5], v[2:3], 0, v[62:63]
	global_load_dwordx4 v[30:33], v[4:5], off
	v_or_b32_e32 v58, 0x1800, v54
	v_mov_b32_e32 v59, v55
	v_lshl_add_u64 v[2:3], v[2:3], 0, v[58:59]
	global_load_dwordx4 v[22:25], v[2:3], off
	v_lshl_add_u64 v[4:5], v[18:19], 0, v[62:63]
	global_load_dwordx4 v[26:29], v[4:5], off
	;; [unrolled: 2-line block ×3, first 2 shown]
	v_and_b32_e32 v2, 7, v0
	v_lshl_or_b32 v48, v2, 5, v54
	ds_read_b128 v[2:5], v48
	s_waitcnt vmcnt(10)
	v_mad_i64_i32 v[64:65], s[12:13], v34, s9, 0
	ds_read_b128 v[34:37], v48 offset:2048
	global_load_dwordx4 v[76:79], v[46:47], off offset:2048
	ds_read_b128 v[50:53], v48 offset:4096
	ds_read_b128 v[46:49], v48 offset:6144
	s_ashr_i32 s12, s18, 31
	v_and_or_b32 v74, v0, 48, s18
	v_mov_b32_e32 v75, s19
	v_cmp_gt_i32_e32 vcc, s38, v74
	v_or_b32_e32 v87, 64, v74
	v_or_b32_e32 v88, 0x80, v74
	;; [unrolled: 1-line block ×3, first 2 shown]
	s_mov_b32 s40, 0xff7fffff
	s_waitcnt vmcnt(7) lgkmcnt(3)
	v_mfma_f32_16x16x16_f16 v[80:83], v[6:7], v[2:3], 0
	v_lshl_add_u64 v[6:7], v[64:65], 1, s[10:11]
	s_lshr_b32 s10, s12, 27
	v_lshl_add_u64 v[6:7], v[6:7], 0, v[56:57]
	v_mfma_f32_16x16x16_f16 v[70:73], v[10:11], v[2:3], 0
	v_lshl_add_u64 v[64:65], v[6:7], 0, v[54:55]
	v_lshl_add_u64 v[56:57], v[60:61], 0, v[58:59]
	s_add_u32 s4, s14, s4
	v_mfma_f32_16x16x16_f16 v[66:69], v[14:15], v[2:3], 0
	s_addc_u32 s5, s15, s5
	v_mfma_f32_16x16x16_f16 v[10:13], v[12:13], v[4:5], v[70:73]
	v_mfma_f32_16x16x16_f16 v[14:17], v[16:17], v[4:5], v[66:69]
	s_nop 1
	v_lshl_add_u64 v[72:73], v[6:7], 0, v[62:63]
	global_load_dwordx4 v[92:95], v[72:73], off
	s_waitcnt vmcnt(6) lgkmcnt(2)
	v_mfma_f32_16x16x16_f16 v[10:13], v[38:39], v[34:35], v[10:13]
	v_add_u32_e32 v66, s10, v74
	v_ashrrev_i32_e32 v54, 5, v66
	v_add_u32_e32 v67, s10, v87
	v_mfma_f32_16x16x16_f16 v[14:17], v[42:43], v[34:35], v[14:17]
	v_lshl_add_u64 v[42:43], v[60:61], 0, v[62:63]
	v_ashrrev_i32_e32 v60, 5, v67
	v_add_u32_e32 v68, s10, v88
	v_mfma_f32_16x16x16_f16 v[10:13], v[40:41], v[36:37], v[10:13]
	global_load_dwordx4 v[38:41], v[42:43], off
	v_cndmask_b32_e32 v42, v75, v54, vcc
	v_ashrrev_i32_e32 v43, 31, v42
	v_mfma_f32_16x16x16_f16 v[14:17], v[44:45], v[36:37], v[14:17]
	v_cmp_gt_i32_e32 vcc, s38, v87
	v_ashrrev_i32_e32 v66, 5, v68
	v_add_u32_e32 v69, s10, v89
	s_waitcnt vmcnt(6) lgkmcnt(1)
	v_mfma_f32_16x16x16_f16 v[14:17], v[30:31], v[50:51], v[14:17]
	v_lshl_add_u64 v[30:31], v[42:43], 2, s[6:7]
	global_load_dwordx4 v[42:45], v[56:57], off
	v_ashrrev_i32_e32 v68, 5, v69
	global_load_dword v30, v[30:31], off
	s_waitcnt vmcnt(6)
	v_mfma_f32_16x16x16_f16 v[10:13], v[26:27], v[50:51], v[10:13]
	v_cndmask_b32_e32 v26, v75, v60, vcc
	v_ashrrev_i32_e32 v27, 31, v26
	v_lshl_add_u64 v[26:27], v[26:27], 2, s[6:7]
	global_load_dwordx4 v[60:63], v[64:65], off
	global_load_dword v56, v[26:27], off
	v_mfma_f32_16x16x16_f16 v[14:17], v[32:33], v[52:53], v[14:17]
	v_cmp_gt_i32_e32 vcc, s38, v88
	v_lshl_or_b32 v87, v85, 4, v1
	v_and_b32_e32 v1, 63, v0
	v_cndmask_b32_e32 v26, v75, v66, vcc
	v_ashrrev_i32_e32 v27, 31, v26
	s_waitcnt lgkmcnt(0)
	v_mfma_f32_16x16x16_f16 v[14:17], v[22:23], v[46:47], v[14:17]
	v_lshl_add_u64 v[22:23], v[26:27], 2, s[6:7]
	global_load_dword v57, v[22:23], off
	v_cmp_gt_i32_e32 vcc, s38, v89
	global_load_dwordx4 v[64:67], v[64:65], off offset:2048
	v_mfma_f32_16x16x16_f16 v[10:13], v[28:29], v[52:53], v[10:13]
	s_waitcnt vmcnt(9)
	v_mfma_f32_16x16x16_f16 v[10:13], v[18:19], v[46:47], v[10:13]
	v_cndmask_b32_e32 v18, v75, v68, vcc
	v_ashrrev_i32_e32 v19, 31, v18
	v_mfma_f32_16x16x16_f16 v[88:91], v[20:21], v[48:49], v[10:13]
	s_nop 3
	v_lshl_add_u64 v[10:11], v[6:7], 0, v[58:59]
	global_load_dwordx4 v[72:75], v[10:11], off
	v_mfma_f32_16x16x16_f16 v[68:71], v[24:25], v[48:49], v[14:17]
	v_and_b32_e32 v10, 16, v0
	v_lshlrev_b32_e32 v54, 1, v10
	s_nop 0
	v_lshl_add_u64 v[14:15], v[18:19], 2, s[6:7]
	global_load_dword v86, v[14:15], off
	v_mfma_f32_16x16x16_f16 v[6:9], v[8:9], v[4:5], v[80:83]
	s_waitcnt vmcnt(10)
	v_mfma_f32_16x16x16_f16 v[6:9], v[76:77], v[34:35], v[6:9]
	v_lshl_add_u64 v[76:77], s[4:5], 0, v[54:55]
	v_lshlrev_b32_e32 v54, 6, v87
	v_pk_mul_f32 v[82:83], s[8:9], v[90:91] op_sel_hi:[0,1]
	v_mfma_f32_16x16x16_f16 v[6:9], v[78:79], v[36:37], v[6:9]
	v_lshl_add_u64 v[78:79], v[76:77], 0, v[54:55]
	v_or_b32_e32 v54, 0x1000, v54
	s_waitcnt vmcnt(6)
	v_mad_i64_i32 v[10:11], s[4:5], v30, s9, 0
	v_mfma_f32_16x16x16_f16 v[6:9], v[38:39], v[50:51], v[6:9]
	v_lshlrev_b64 v[80:81], 1, v[10:11]
	v_lshl_add_u64 v[10:11], v[78:79], 0, v[80:81]
	global_load_dwordx4 v[30:33], v[10:11], off
	global_load_dwordx4 v[26:29], v[10:11], off offset:16
	v_mfma_f32_16x16x16_f16 v[6:9], v[40:41], v[52:53], v[6:9]
	s_waitcnt vmcnt(6)
	v_mad_i64_i32 v[10:11], s[4:5], v56, s9, 0
	v_mfma_f32_16x16x16_f16 v[6:9], v[42:43], v[46:47], v[6:9]
	v_lshlrev_b64 v[42:43], 1, v[10:11]
	v_mfma_f32_16x16x16_f16 v[38:41], v[44:45], v[48:49], v[6:9]
	s_nop 4
	v_lshl_add_u64 v[6:7], v[78:79], 0, v[42:43]
	global_load_dwordx4 v[22:25], v[6:7], off
	global_load_dwordx4 v[18:21], v[6:7], off offset:16
	v_mfma_f32_16x16x16_f16 v[6:9], v[60:61], v[2:3], 0
	s_waitcnt vmcnt(7)
	v_mad_i64_i32 v[2:3], s[4:5], v57, s9, 0
	v_lshlrev_b64 v[56:57], 1, v[2:3]
	v_mfma_f32_16x16x16_f16 v[2:5], v[62:63], v[4:5], v[6:9]
	v_pk_mul_f32 v[60:61], s[8:9], v[68:69] op_sel_hi:[0,1]
	v_lshl_add_u64 v[62:63], v[76:77], 0, v[54:55]
	v_lshl_add_u64 v[44:45], v[62:63], 0, v[80:81]
	s_waitcnt vmcnt(6)
	v_mfma_f32_16x16x16_f16 v[2:5], v[64:65], v[34:35], v[2:5]
	v_lshl_add_u64 v[6:7], v[78:79], 0, v[56:57]
	global_load_dwordx4 v[14:17], v[6:7], off
	global_load_dwordx4 v[10:13], v[6:7], off offset:16
	v_pk_mul_f32 v[80:81], s[8:9], v[70:71] op_sel_hi:[0,1]
	v_mfma_f32_16x16x16_f16 v[34:37], v[66:67], v[36:37], v[2:5]
	v_pk_mul_f32 v[70:71], s[8:9], v[88:89] op_sel_hi:[0,1]
	v_pk_mul_f32 v[76:77], s[8:9], v[40:41] op_sel_hi:[0,1]
	s_waitcnt vmcnt(6)
	v_mad_i64_i32 v[6:7], s[4:5], v86, s9, 0
	v_mfma_f32_16x16x16_f16 v[34:37], v[92:93], v[50:51], v[34:37]
	v_lshlrev_b64 v[58:59], 1, v[6:7]
	v_lshl_add_u64 v[2:3], v[78:79], 0, v[58:59]
	v_pk_mul_f32 v[78:79], s[8:9], v[38:39] op_sel_hi:[0,1]
	v_mfma_f32_16x16x16_f16 v[34:37], v[94:95], v[52:53], v[34:37]
	v_lshl_add_u64 v[58:59], v[62:63], 0, v[58:59]
	global_load_dwordx4 v[6:9], v[2:3], off
	s_nop 0
	global_load_dwordx4 v[2:5], v[2:3], off offset:16
	v_mfma_f32_16x16x16_f16 v[34:37], v[72:73], v[46:47], v[34:37]
	v_mfma_f32_16x16x16_f16 v[34:37], v[74:75], v[48:49], v[34:37]
	s_nop 6
	v_pk_mul_f32 v[72:73], s[8:9], v[34:35] op_sel_hi:[0,1]
	v_and_b32_e32 v34, 0xc0, v0
	v_add_u32_e32 v34, s18, v34
	v_lshl_or_b32 v34, v84, 2, v34
	v_pk_mul_f32 v[66:67], s[8:9], v[36:37] op_sel_hi:[0,1]
	v_or_b32_e32 v37, 1, v34
	v_mov_b32_e32 v35, 0xff7fffff
	v_cmp_gt_i32_e64 s[28:29], s38, v34
	v_cmp_gt_i32_e64 s[30:31], s38, v37
	v_or_b32_e32 v38, 3, v34
	v_cndmask_b32_e64 v36, v35, v60, s[28:29]
	v_cndmask_b32_e64 v37, v35, v61, s[30:31]
	v_max3_f32 v36, v36, s40, v37
	v_or_b32_e32 v37, 2, v34
	v_cmp_gt_i32_e64 s[34:35], s38, v37
	v_cmp_gt_i32_e64 s[36:37], s38, v38
	s_nop 0
	v_cndmask_b32_e64 v37, v35, v80, s[34:35]
	v_cndmask_b32_e64 v38, v35, v81, s[36:37]
	v_max3_f32 v36, v36, v37, v38
	v_or_b32_e32 v37, 16, v34
	v_or_b32_e32 v38, 17, v34
	v_cmp_gt_i32_e64 s[22:23], s38, v37
	v_cmp_gt_i32_e64 s[24:25], s38, v38
	s_nop 0
	v_cndmask_b32_e64 v37, v35, v70, s[22:23]
	v_cndmask_b32_e64 v38, v35, v71, s[24:25]
	v_max3_f32 v36, v36, v37, v38
	v_or_b32_e32 v37, 18, v34
	;; [unrolled: 8-line block ×6, first 2 shown]
	v_or_b32_e32 v34, 51, v34
	v_cmp_gt_i32_e32 vcc, s38, v37
	v_cmp_gt_i32_e64 s[4:5], s38, v34
	global_load_dwordx4 v[46:49], v[44:45], off
	global_load_dwordx4 v[38:41], v[44:45], off offset:16
	v_cndmask_b32_e32 v37, v35, v66, vcc
	v_cndmask_b32_e64 v34, v35, v67, s[4:5]
	v_max3_f32 v50, v36, v37, v34
	v_mbcnt_lo_u32_b32 v34, -1, 0
	v_mbcnt_hi_u32_b32 v51, -1, v34
	v_and_b32_e32 v34, 64, v51
	v_add_u32_e32 v52, 64, v34
	v_xor_b32_e32 v34, 32, v51
	v_cmp_lt_i32_e64 s[38:39], v34, v52
	s_nop 1
	v_cndmask_b32_e64 v34, v51, v34, s[38:39]
	v_lshlrev_b32_e32 v74, 2, v34
	ds_bpermute_b32 v53, v74, v50
	v_lshl_add_u64 v[34:35], v[62:63], 0, v[42:43]
	global_load_dwordx4 v[42:45], v[34:35], off
	s_nop 0
	global_load_dwordx4 v[34:37], v[34:35], off offset:16
	s_waitcnt lgkmcnt(0)
	v_max_f32_e32 v53, v53, v53
	v_max_f32_e32 v64, v50, v53
	v_xor_b32_e32 v50, 16, v51
	v_cmp_lt_i32_e64 s[38:39], v50, v52
	s_nop 1
	v_cndmask_b32_e64 v50, v51, v50, s[38:39]
	v_lshlrev_b32_e32 v75, 2, v50
	ds_bpermute_b32 v65, v75, v64
	v_lshl_add_u64 v[50:51], v[62:63], 0, v[56:57]
	global_load_dwordx4 v[54:57], v[50:51], off
	s_nop 0
	global_load_dwordx4 v[50:53], v[50:51], off offset:16
	s_waitcnt lgkmcnt(0)
	v_max_f32_e32 v62, v65, v65
	v_max_f32_e32 v88, v64, v62
	v_sub_f32_e32 v60, v60, v88
	v_mul_f32_e32 v60, 0x3fb8aa3b, v60
	v_exp_f32_e32 v68, v60
	v_sub_f32_e32 v60, v61, v88
	v_mul_f32_e32 v60, 0x3fb8aa3b, v60
	v_exp_f32_e32 v69, v60
	global_load_dwordx4 v[62:65], v[58:59], off
	s_nop 0
	global_load_dwordx4 v[58:61], v[58:59], off offset:16
	v_sub_f32_e32 v80, v80, v88
	v_mul_f32_e32 v80, 0x3fb8aa3b, v80
	v_sub_f32_e32 v81, v81, v88
	v_exp_f32_e32 v80, v80
	v_mul_f32_e32 v81, 0x3fb8aa3b, v81
	v_sub_f32_e32 v70, v70, v88
	v_exp_f32_e32 v81, v81
	v_mul_f32_e32 v70, 0x3fb8aa3b, v70
	v_sub_f32_e32 v71, v71, v88
	v_cndmask_b32_e64 v68, 0, v68, s[28:29]
	v_exp_f32_e32 v70, v70
	v_mul_f32_e32 v71, 0x3fb8aa3b, v71
	v_sub_f32_e32 v82, v82, v88
	v_add_f32_e32 v86, 0, v68
	v_cndmask_b32_e64 v69, 0, v69, s[30:31]
	v_exp_f32_e32 v71, v71
	v_mul_f32_e32 v82, 0x3fb8aa3b, v82
	v_sub_f32_e32 v83, v83, v88
	v_add_f32_e32 v86, v86, v69
	;; [unrolled: 5-line block ×10, first 2 shown]
	v_cndmask_b32_e64 v76, 0, v76, s[10:11]
	v_exp_f32_e32 v66, v66
	v_mul_f32_e32 v67, 0x3fb8aa3b, v67
	v_add_f32_e32 v86, v86, v76
	v_cndmask_b32_e64 v77, 0, v77, s[12:13]
	v_exp_f32_e32 v67, v67
	v_add_f32_e32 v86, v86, v77
	v_cndmask_b32_e64 v72, 0, v72, s[6:7]
	v_add_f32_e32 v86, v86, v72
	v_cndmask_b32_e64 v73, 0, v73, s[8:9]
	v_add_f32_e32 v86, v86, v73
	v_cndmask_b32_e32 v66, 0, v66, vcc
	v_add_f32_e32 v86, v86, v66
	v_cndmask_b32_e64 v67, 0, v67, s[4:5]
	v_add_f32_e32 v86, v86, v67
	ds_bpermute_b32 v74, v74, v86
	v_cmp_gt_u32_e32 vcc, 16, v1
	s_waitcnt lgkmcnt(0)
	s_barrier
	v_add_f32_e32 v89, v86, v74
	ds_bpermute_b32 v90, v75, v89
	s_and_saveexec_b64 s[4:5], vcc
	s_cbranch_execz .LBB331_15
; %bb.14:
	s_waitcnt lgkmcnt(0)
	v_add_f32_e32 v74, v89, v90
	v_lshlrev_b32_e32 v75, 2, v87
	ds_write2st64_b32 v75, v88, v74 offset1:1
.LBB331_15:
	s_or_b64 exec, exec, s[4:5]
	v_and_b32_e32 v1, 15, v0
	v_lshlrev_b32_e32 v87, 2, v1
	s_load_dword s6, s[0:1], 0x94
	s_waitcnt lgkmcnt(0)
	s_barrier
	ds_read2_b32 v[74:75], v87 offset1:16
	ds_read2_b32 v[88:89], v87 offset0:32 offset1:48
	ds_read2_b32 v[90:91], v87 offset0:64 offset1:80
	s_lshl_b32 s7, s33, 3
	s_waitcnt lgkmcnt(2)
	v_max3_f32 v86, v74, s40, v75
	s_waitcnt lgkmcnt(1)
	v_max3_f32 v86, v86, v88, v89
	v_sub_f32_e32 v74, v74, v86
	v_mul_f32_e32 v74, 0x3fb8aa3b, v74
	v_exp_f32_e32 v92, v74
	v_sub_f32_e32 v74, v75, v86
	v_mul_f32_e32 v74, 0x3fb8aa3b, v74
	v_exp_f32_e32 v93, v74
	;; [unrolled: 3-line block ×3, first 2 shown]
	ds_read2_b32 v[74:75], v87 offset0:96 offset1:112
	v_sub_f32_e32 v87, v89, v86
	v_mul_f32_e32 v87, 0x3fb8aa3b, v87
	v_exp_f32_e32 v89, v87
	s_waitcnt lgkmcnt(1)
	v_fma_f32 v87, v92, v90, 0
	v_fmac_f32_e32 v87, v93, v91
	s_waitcnt lgkmcnt(0)
	v_fmac_f32_e32 v87, v88, v74
	v_fmac_f32_e32 v87, v89, v75
	v_add_f32_e32 v74, 0x358637bd, v87
	v_div_scale_f32 v75, s[4:5], v74, v74, 1.0
	v_rcp_f32_e32 v90, v75
	s_barrier
	v_fma_f32 v91, -v75, v90, 1.0
	v_fmac_f32_e32 v90, v91, v90
	v_div_scale_f32 v91, vcc, 1.0, v74, 1.0
	v_mul_f32_e32 v94, v91, v90
	v_fma_f32 v95, -v75, v94, v91
	v_fmac_f32_e32 v94, v95, v90
	v_fma_f32 v75, -v75, v94, v91
	v_div_fmas_f32 v75, v75, v90, v94
	v_cmp_eq_u32_e32 vcc, 1, v85
	v_div_fixup_f32 v74, v75, v74, 1.0
	v_bfe_u32 v90, v0, 4, 2
	v_cndmask_b32_e32 v75, v92, v93, vcc
	v_cmp_eq_u32_e32 vcc, 2, v85
	s_nop 1
	v_cndmask_b32_e32 v75, v75, v88, vcc
	v_cmp_eq_u32_e32 vcc, 3, v85
	s_nop 1
	v_cndmask_b32_e32 v75, v75, v89, vcc
	v_mul_f32_e32 v74, v75, v74
	v_pk_mul_f32 v[80:81], v[74:75], v[80:81] op_sel_hi:[0,1]
	v_pk_mul_f32 v[68:69], v[74:75], v[68:69] op_sel_hi:[0,1]
	v_cvt_f16_f32_e32 v75, v80
	v_cvt_f16_f32_e32 v80, v81
	;; [unrolled: 1-line block ×4, first 2 shown]
	v_pk_mul_f32 v[70:71], v[74:75], v[70:71] op_sel_hi:[0,1]
	v_pack_b32_f16 v89, v75, v80
	v_pk_mul_f32 v[80:81], v[74:75], v[82:83] op_sel_hi:[0,1]
	v_cvt_f16_f32_e32 v70, v70
	v_cvt_f16_f32_e32 v71, v71
	;; [unrolled: 1-line block ×4, first 2 shown]
	v_pack_b32_f16 v88, v68, v69
	v_lshlrev_b32_e32 v69, 3, v90
	v_lshlrev_b32_e32 v68, 5, v1
	;; [unrolled: 1-line block ×3, first 2 shown]
	v_or3_b32 v80, v1, v68, v69
	v_pack_b32_f16 v70, v70, v71
	v_pack_b32_f16 v71, v75, v81
	ds_write2st64_b64 v80, v[88:89], v[70:71] offset1:1
	v_pk_mul_f32 v[70:71], v[74:75], v[76:77] op_sel_hi:[0,1]
	v_pk_mul_f32 v[76:77], v[74:75], v[78:79] op_sel_hi:[0,1]
	v_cvt_f16_f32_e32 v75, v70
	v_cvt_f16_f32_e32 v1, v76
	;; [unrolled: 1-line block ×4, first 2 shown]
	v_pk_mul_f32 v[66:67], v[74:75], v[66:67] op_sel_hi:[0,1]
	v_pk_mul_f32 v[70:71], v[74:75], v[72:73] op_sel_hi:[0,1]
	v_cvt_f16_f32_e32 v70, v70
	v_cvt_f16_f32_e32 v71, v71
	;; [unrolled: 1-line block ×4, first 2 shown]
	v_pack_b32_f16 v66, v1, v69
	v_pack_b32_f16 v67, v75, v76
	;; [unrolled: 1-line block ×4, first 2 shown]
	v_cmp_gt_u32_e32 vcc, 8, v0
	ds_write2st64_b64 v80, v[66:67], v[70:71] offset0:2 offset1:3
	s_and_saveexec_b64 s[4:5], vcc
	s_cbranch_execz .LBB331_17
; %bb.16:
	v_or_b32_e32 v66, s27, v0
	v_mov_b32_e32 v67, 0
	v_mov_b32_e32 v1, s7
	v_mad_u64_u32 v[70:71], s[12:13], s2, v1, v[66:67]
	v_mov_b32_e32 v66, s26
	s_load_dwordx4 s[8:11], s[0:1], 0x58
	s_mul_i32 s3, s3, s7
	v_mad_u64_u32 v[66:67], s[12:13], v70, s6, v[66:67]
	v_add_u32_e32 v1, s3, v71
	v_mov_b32_e32 v70, v67
	v_mad_u64_u32 v[70:71], s[12:13], v1, s6, v[70:71]
	v_mov_b32_e32 v67, v70
	v_lshlrev_b64 v[66:67], 2, v[66:67]
	s_waitcnt lgkmcnt(0)
	v_lshl_add_u64 v[70:71], s[10:11], 0, v[66:67]
	v_lshl_add_u64 v[66:67], s[8:9], 0, v[66:67]
	global_store_dword v[70:71], v86, off
	global_store_dword v[66:67], v87, off
.LBB331_17:
	s_or_b64 exec, exec, s[4:5]
	v_lshl_or_b32 v1, v90, 9, v68
	s_waitcnt lgkmcnt(0)
	s_barrier
	ds_read_b128 v[70:73], v1
	ds_read_b128 v[66:69], v1 offset:16
	s_waitcnt vmcnt(15) lgkmcnt(1)
	v_mfma_f32_16x16x16_f16 v[74:77], v[30:31], v[70:71], 0
	s_mov_b32 s3, 0
	v_cmp_gt_u32_e32 vcc, 64, v0
	v_mfma_f32_16x16x16_f16 v[30:33], v[32:33], v[72:73], v[74:77]
	s_waitcnt vmcnt(14) lgkmcnt(0)
	v_mfma_f32_16x16x16_f16 v[30:33], v[26:27], v[66:67], v[30:33]
	v_mfma_f32_16x16x16_f16 v[26:29], v[28:29], v[68:69], v[30:33]
	s_nop 5
	ds_read_b128 v[30:33], v1 offset:2048
	ds_read_b128 v[74:77], v1 offset:2064
	s_waitcnt vmcnt(13) lgkmcnt(1)
	v_mfma_f32_16x16x16_f16 v[26:29], v[22:23], v[30:31], v[26:29]
	v_mfma_f32_16x16x16_f16 v[22:25], v[24:25], v[32:33], v[26:29]
	s_waitcnt vmcnt(12) lgkmcnt(0)
	v_mfma_f32_16x16x16_f16 v[22:25], v[18:19], v[74:75], v[22:25]
	v_mfma_f32_16x16x16_f16 v[18:21], v[20:21], v[76:77], v[22:25]
	s_nop 5
	ds_read_b128 v[22:25], v1 offset:4096
	ds_read_b128 v[26:29], v1 offset:4112
	s_waitcnt vmcnt(11) lgkmcnt(1)
	v_mfma_f32_16x16x16_f16 v[18:21], v[14:15], v[22:23], v[18:21]
	v_mfma_f32_16x16x16_f16 v[14:17], v[16:17], v[24:25], v[18:21]
	s_waitcnt vmcnt(10) lgkmcnt(0)
	v_mfma_f32_16x16x16_f16 v[14:17], v[10:11], v[26:27], v[14:17]
	v_mfma_f32_16x16x16_f16 v[10:13], v[12:13], v[28:29], v[14:17]
	s_nop 5
	ds_read_b128 v[14:17], v1 offset:6144
	ds_read_b128 v[18:21], v1 offset:6160
	s_waitcnt lgkmcnt(0)
	s_barrier
	s_waitcnt vmcnt(9)
	v_mfma_f32_16x16x16_f16 v[10:13], v[6:7], v[14:15], v[10:13]
	v_mfma_f32_16x16x16_f16 v[6:9], v[8:9], v[16:17], v[10:13]
	s_waitcnt vmcnt(8)
	v_mfma_f32_16x16x16_f16 v[6:9], v[2:3], v[18:19], v[6:9]
	v_mfma_f32_16x16x16_f16 v[2:5], v[4:5], v[20:21], v[6:9]
	;; [unrolled: 3-line block ×3, first 2 shown]
	s_nop 3
	v_cvt_f16_f32_e32 v1, v2
	v_cvt_f16_f32_e32 v10, v3
	;; [unrolled: 1-line block ×3, first 2 shown]
	s_waitcnt vmcnt(6)
	v_mfma_f32_16x16x16_f16 v[6:9], v[38:39], v[66:67], v[6:9]
	v_cvt_f16_f32_e32 v12, v5
	v_mfma_f32_16x16x16_f16 v[6:9], v[40:41], v[68:69], v[6:9]
	s_waitcnt vmcnt(5)
	v_mfma_f32_16x16x16_f16 v[6:9], v[42:43], v[30:31], v[6:9]
	v_mfma_f32_16x16x16_f16 v[6:9], v[44:45], v[32:33], v[6:9]
	s_waitcnt vmcnt(4)
	v_mfma_f32_16x16x16_f16 v[6:9], v[34:35], v[74:75], v[6:9]
	;; [unrolled: 3-line block ×6, first 2 shown]
	v_mfma_f32_16x16x16_f16 v[2:5], v[60:61], v[20:21], v[6:9]
	s_nop 6
	v_cvt_f16_f32_e32 v6, v2
	v_cvt_f16_f32_e32 v7, v3
	;; [unrolled: 1-line block ×4, first 2 shown]
	v_pack_b32_f16 v2, v1, v10
	v_pack_b32_f16 v3, v11, v12
	;; [unrolled: 1-line block ×4, first 2 shown]
	ds_write2st64_b64 v80, v[2:3], v[4:5] offset1:1
	s_waitcnt lgkmcnt(0)
	s_barrier
	s_mov_b64 s[4:5], exec
	scratch_load_dwordx2 v[8:9], off, off   ; 8-byte Folded Reload
	s_and_b64 s[4:5], s[4:5], vcc
	s_mov_b64 exec, s[4:5]
	s_cbranch_execz .LBB331_19
; %bb.18:
	s_load_dwordx2 s[0:1], s[0:1], 0x68
	s_lshl_b32 s6, s6, 7
	s_mul_i32 s2, s7, s2
	v_and_b32_e32 v3, 15, v0
	s_mul_hi_u32 s5, s2, s6
	s_mul_i32 s4, s2, s6
	v_lshlrev_b32_e32 v3, 6, v3
	s_lshl_b64 s[4:5], s[4:5], 1
	v_lshlrev_b32_e32 v2, 4, v0
	v_lshl_or_b32 v0, v0, 10, v3
	s_waitcnt lgkmcnt(0)
	s_add_u32 s4, s0, s4
	v_lshlrev_b32_e32 v1, 5, v90
	v_and_b32_e32 v2, 16, v2
	v_and_b32_e32 v0, 0x1a00, v0
	s_addc_u32 s5, s1, s5
	s_lshl_b32 s2, s26, 7
	v_or3_b32 v4, v0, v1, v2
	s_lshl_b64 s[0:1], s[2:3], 1
	ds_read_b128 v[0:3], v4
	ds_read_b128 v[4:7], v4 offset:128
	s_add_u32 s0, s4, s0
	s_addc_u32 s1, s5, s1
	v_or_b32_e32 v12, s27, v90
	s_waitcnt vmcnt(0)
	v_lshl_add_u64 v[8:9], v[8:9], 1, s[0:1]
	v_mad_u64_u32 v[10:11], s[0:1], v12, s6, 0
	v_lshl_add_u64 v[10:11], v[10:11], 1, v[8:9]
	s_waitcnt lgkmcnt(1)
	global_store_dwordx4 v[10:11], v[0:3], off
	s_nop 1
	v_or_b32_e32 v0, 4, v12
	v_mad_u64_u32 v[0:1], s[0:1], v0, s6, 0
	v_lshl_add_u64 v[0:1], v[0:1], 1, v[8:9]
	s_waitcnt lgkmcnt(0)
	global_store_dwordx4 v[0:1], v[4:7], off
.LBB331_19:
	s_endpgm
	.section	.rodata,"a",@progbits
	.p2align	6, 0x0
	.amdhsa_kernel _Z39paged_attention_ll4mi_QKV_mfma16_kernelIDF16_DF16_LN4vllm18Fp8KVCacheDataTypeE0EhLi32ELi128ELi256ELb0ELi8EEvPKT_PKT0_S7_ifPKiS9_S9_iPKfiiiPfSC_PS2_PT2_iSB_SB_
		.amdhsa_group_segment_fixed_size 8192
		.amdhsa_private_segment_fixed_size 12
		.amdhsa_kernarg_size 400
		.amdhsa_user_sgpr_count 2
		.amdhsa_user_sgpr_dispatch_ptr 0
		.amdhsa_user_sgpr_queue_ptr 0
		.amdhsa_user_sgpr_kernarg_segment_ptr 1
		.amdhsa_user_sgpr_dispatch_id 0
		.amdhsa_user_sgpr_kernarg_preload_length 0
		.amdhsa_user_sgpr_kernarg_preload_offset 0
		.amdhsa_user_sgpr_private_segment_size 0
		.amdhsa_uses_dynamic_stack 0
		.amdhsa_enable_private_segment 1
		.amdhsa_system_sgpr_workgroup_id_x 1
		.amdhsa_system_sgpr_workgroup_id_y 1
		.amdhsa_system_sgpr_workgroup_id_z 1
		.amdhsa_system_sgpr_workgroup_info 0
		.amdhsa_system_vgpr_workitem_id 0
		.amdhsa_next_free_vgpr 96
		.amdhsa_next_free_sgpr 41
		.amdhsa_accum_offset 96
		.amdhsa_reserve_vcc 1
		.amdhsa_float_round_mode_32 0
		.amdhsa_float_round_mode_16_64 0
		.amdhsa_float_denorm_mode_32 3
		.amdhsa_float_denorm_mode_16_64 3
		.amdhsa_dx10_clamp 1
		.amdhsa_ieee_mode 1
		.amdhsa_fp16_overflow 0
		.amdhsa_tg_split 0
		.amdhsa_exception_fp_ieee_invalid_op 0
		.amdhsa_exception_fp_denorm_src 0
		.amdhsa_exception_fp_ieee_div_zero 0
		.amdhsa_exception_fp_ieee_overflow 0
		.amdhsa_exception_fp_ieee_underflow 0
		.amdhsa_exception_fp_ieee_inexact 0
		.amdhsa_exception_int_div_zero 0
	.end_amdhsa_kernel
	.section	.text._Z39paged_attention_ll4mi_QKV_mfma16_kernelIDF16_DF16_LN4vllm18Fp8KVCacheDataTypeE0EhLi32ELi128ELi256ELb0ELi8EEvPKT_PKT0_S7_ifPKiS9_S9_iPKfiiiPfSC_PS2_PT2_iSB_SB_,"axG",@progbits,_Z39paged_attention_ll4mi_QKV_mfma16_kernelIDF16_DF16_LN4vllm18Fp8KVCacheDataTypeE0EhLi32ELi128ELi256ELb0ELi8EEvPKT_PKT0_S7_ifPKiS9_S9_iPKfiiiPfSC_PS2_PT2_iSB_SB_,comdat
.Lfunc_end331:
	.size	_Z39paged_attention_ll4mi_QKV_mfma16_kernelIDF16_DF16_LN4vllm18Fp8KVCacheDataTypeE0EhLi32ELi128ELi256ELb0ELi8EEvPKT_PKT0_S7_ifPKiS9_S9_iPKfiiiPfSC_PS2_PT2_iSB_SB_, .Lfunc_end331-_Z39paged_attention_ll4mi_QKV_mfma16_kernelIDF16_DF16_LN4vllm18Fp8KVCacheDataTypeE0EhLi32ELi128ELi256ELb0ELi8EEvPKT_PKT0_S7_ifPKiS9_S9_iPKfiiiPfSC_PS2_PT2_iSB_SB_
                                        ; -- End function
	.section	.AMDGPU.csdata,"",@progbits
; Kernel info:
; codeLenInByte = 4560
; NumSgprs: 47
; NumVgprs: 96
; NumAgprs: 0
; TotalNumVgprs: 96
; ScratchSize: 12
; MemoryBound: 0
; FloatMode: 240
; IeeeMode: 1
; LDSByteSize: 8192 bytes/workgroup (compile time only)
; SGPRBlocks: 5
; VGPRBlocks: 11
; NumSGPRsForWavesPerEU: 47
; NumVGPRsForWavesPerEU: 96
; AccumOffset: 96
; Occupancy: 5
; WaveLimiterHint : 1
; COMPUTE_PGM_RSRC2:SCRATCH_EN: 1
; COMPUTE_PGM_RSRC2:USER_SGPR: 2
; COMPUTE_PGM_RSRC2:TRAP_HANDLER: 0
; COMPUTE_PGM_RSRC2:TGID_X_EN: 1
; COMPUTE_PGM_RSRC2:TGID_Y_EN: 1
; COMPUTE_PGM_RSRC2:TGID_Z_EN: 1
; COMPUTE_PGM_RSRC2:TIDIG_COMP_CNT: 0
; COMPUTE_PGM_RSRC3_GFX90A:ACCUM_OFFSET: 23
; COMPUTE_PGM_RSRC3_GFX90A:TG_SPLIT: 0
	.section	.text._Z39paged_attention_ll4mi_QKV_mfma16_kernelIDF16_DF16_LN4vllm18Fp8KVCacheDataTypeE0EhLi32ELi128ELi256ELb0ELi9EEvPKT_PKT0_S7_ifPKiS9_S9_iPKfiiiPfSC_PS2_PT2_iSB_SB_,"axG",@progbits,_Z39paged_attention_ll4mi_QKV_mfma16_kernelIDF16_DF16_LN4vllm18Fp8KVCacheDataTypeE0EhLi32ELi128ELi256ELb0ELi9EEvPKT_PKT0_S7_ifPKiS9_S9_iPKfiiiPfSC_PS2_PT2_iSB_SB_,comdat
	.protected	_Z39paged_attention_ll4mi_QKV_mfma16_kernelIDF16_DF16_LN4vllm18Fp8KVCacheDataTypeE0EhLi32ELi128ELi256ELb0ELi9EEvPKT_PKT0_S7_ifPKiS9_S9_iPKfiiiPfSC_PS2_PT2_iSB_SB_ ; -- Begin function _Z39paged_attention_ll4mi_QKV_mfma16_kernelIDF16_DF16_LN4vllm18Fp8KVCacheDataTypeE0EhLi32ELi128ELi256ELb0ELi9EEvPKT_PKT0_S7_ifPKiS9_S9_iPKfiiiPfSC_PS2_PT2_iSB_SB_
	.globl	_Z39paged_attention_ll4mi_QKV_mfma16_kernelIDF16_DF16_LN4vllm18Fp8KVCacheDataTypeE0EhLi32ELi128ELi256ELb0ELi9EEvPKT_PKT0_S7_ifPKiS9_S9_iPKfiiiPfSC_PS2_PT2_iSB_SB_
	.p2align	8
	.type	_Z39paged_attention_ll4mi_QKV_mfma16_kernelIDF16_DF16_LN4vllm18Fp8KVCacheDataTypeE0EhLi32ELi128ELi256ELb0ELi9EEvPKT_PKT0_S7_ifPKiS9_S9_iPKfiiiPfSC_PS2_PT2_iSB_SB_,@function
_Z39paged_attention_ll4mi_QKV_mfma16_kernelIDF16_DF16_LN4vllm18Fp8KVCacheDataTypeE0EhLi32ELi128ELi256ELb0ELi9EEvPKT_PKT0_S7_ifPKiS9_S9_iPKfiiiPfSC_PS2_PT2_iSB_SB_: ; @_Z39paged_attention_ll4mi_QKV_mfma16_kernelIDF16_DF16_LN4vllm18Fp8KVCacheDataTypeE0EhLi32ELi128ELi256ELb0ELi9EEvPKT_PKT0_S7_ifPKiS9_S9_iPKfiiiPfSC_PS2_PT2_iSB_SB_
; %bb.0:
	s_load_dwordx2 s[8:9], s[0:1], 0x30
	s_mov_b32 s26, s3
	s_mov_b64 s[6:7], 0
	s_waitcnt lgkmcnt(0)
	s_cmp_lg_u64 s[8:9], 0
	s_cselect_b64 s[10:11], -1, 0
	s_and_b64 vcc, exec, s[10:11]
	s_cbranch_vccz .LBB332_7
; %bb.1:
	s_add_i32 s12, s2, 1
	s_mov_b32 s13, 0
	s_lshl_b64 s[14:15], s[12:13], 2
	s_add_u32 s14, s8, s14
	s_mov_b32 s3, s13
	s_addc_u32 s15, s9, s15
	s_lshl_b64 s[12:13], s[2:3], 2
	s_add_u32 s12, s8, s12
	s_addc_u32 s13, s9, s13
	s_load_dword s5, s[14:15], 0x0
	s_load_dword s16, s[12:13], 0x0
	s_waitcnt lgkmcnt(0)
	s_sub_i32 s5, s5, s16
	s_cmp_eq_u32 s5, 1
	s_cselect_b64 s[12:13], -1, 0
	s_andn2_b64 vcc, exec, s[6:7]
	s_cbranch_vccnz .LBB332_3
.LBB332_2:
	s_mov_b32 s3, 0
	s_mov_b64 s[12:13], -1
.LBB332_3:
	s_andn2_b64 vcc, exec, s[12:13]
	s_cbranch_vccnz .LBB332_20
; %bb.4:
	s_load_dwordx2 s[6:7], s[0:1], 0x28
	s_lshl_b64 s[12:13], s[2:3], 2
	s_waitcnt lgkmcnt(0)
	s_add_u32 s6, s6, s12
	s_addc_u32 s7, s7, s13
	s_load_dword s33, s[6:7], 0x0
	s_lshl_b32 s18, s26, 8
	s_waitcnt lgkmcnt(0)
	s_cmp_ge_i32 s18, s33
	s_cbranch_scc1 .LBB332_20
; %bb.5:
	s_load_dwordx2 s[6:7], s[0:1], 0x20
	s_load_dword s5, s[0:1], 0x38
	s_add_i32 s14, s33, 31
	s_ashr_i32 s15, s14, 31
	v_and_b32_e32 v1, 0xcf, v0
	s_lshr_b32 s15, s15, 27
	v_add_u32_e32 v1, s18, v1
	s_add_i32 s14, s14, s15
	v_ashrrev_i32_e32 v2, 31, v1
	s_ashr_i32 s19, s14, 5
	v_lshrrev_b32_e32 v4, 27, v2
	s_add_i32 s19, s19, -1
	s_waitcnt lgkmcnt(0)
	s_mul_i32 s14, s2, s5
	s_mov_b32 s15, 0
	v_add_u32_e32 v2, v1, v4
	s_lshl_b64 s[14:15], s[14:15], 2
	v_ashrrev_i32_e32 v2, 5, v2
	v_mov_b32_e32 v5, s19
	v_cmp_gt_i32_e32 vcc, s33, v1
	s_add_u32 s6, s6, s14
	s_addc_u32 s7, s7, s15
	v_cndmask_b32_e32 v2, v5, v2, vcc
	v_ashrrev_i32_e32 v3, 31, v2
	v_lshl_add_u64 v[6:7], v[2:3], 2, s[6:7]
	v_or_b32_e32 v2, 16, v1
	v_add_u32_e32 v3, v2, v4
	v_ashrrev_i32_e32 v3, 5, v3
	v_cmp_gt_i32_e32 vcc, s33, v2
	s_nop 1
	v_cndmask_b32_e32 v2, v5, v3, vcc
	v_ashrrev_i32_e32 v3, 31, v2
	v_lshl_add_u64 v[8:9], v[2:3], 2, s[6:7]
	v_or_b32_e32 v2, 32, v1
	v_add_u32_e32 v3, v2, v4
	v_ashrrev_i32_e32 v3, 5, v3
	v_cmp_gt_i32_e32 vcc, s33, v2
	v_or_b32_e32 v1, 48, v1
	s_nop 0
	v_cndmask_b32_e32 v2, v5, v3, vcc
	v_ashrrev_i32_e32 v3, 31, v2
	v_lshl_add_u64 v[10:11], v[2:3], 2, s[6:7]
	v_add_u32_e32 v2, v1, v4
	v_ashrrev_i32_e32 v2, 5, v2
	v_cmp_gt_i32_e32 vcc, s33, v1
	s_nop 1
	v_cndmask_b32_e32 v2, v5, v2, vcc
	v_ashrrev_i32_e32 v3, 31, v2
	v_lshl_add_u64 v[12:13], v[2:3], 2, s[6:7]
	global_load_dword v2, v[6:7], off
	global_load_dword v5, v[8:9], off
	global_load_dword v4, v[10:11], off
	global_load_dword v46, v[12:13], off
	s_andn2_b64 vcc, exec, s[10:11]
	s_cbranch_vccnz .LBB332_8
; %bb.6:
	s_add_u32 s8, s8, s12
	s_addc_u32 s9, s9, s13
	s_load_dword s5, s[8:9], 0x0
	s_branch .LBB332_9
.LBB332_7:
	s_mov_b64 s[12:13], 0
	s_branch .LBB332_2
.LBB332_8:
	s_mov_b32 s5, s2
.LBB332_9:
	s_load_dwordx4 s[12:15], s[0:1], 0x8
	s_load_dwordx4 s[8:11], s[0:1], 0x48
	v_lshrrev_b32_e32 v86, 6, v0
	v_bfe_u32 v1, v0, 4, 2
	v_lshl_or_b32 v3, v86, 2, v1
	v_and_b32_e32 v76, 15, v0
	v_lshlrev_b32_e32 v74, 3, v76
	v_cmp_lt_u32_e32 vcc, 8, v3
	s_and_saveexec_b64 s[16:17], vcc
	s_xor_b64 s[16:17], exec, s[16:17]
; %bb.10:
	v_mov_b32_e32 v75, 0
                                        ; implicit-def: $vgpr3
; %bb.11:
	s_or_saveexec_b64 s[16:17], s[16:17]
	v_and_b32_e32 v77, 63, v0
	s_mul_i32 s40, s4, 9
	s_xor_b64 exec, exec, s[16:17]
	s_cbranch_execz .LBB332_13
; %bb.12:
	s_load_dwordx2 s[20:21], s[0:1], 0x0
	s_waitcnt lgkmcnt(0)
	s_ashr_i32 s11, s8, 31
	s_mul_hi_u32 s22, s5, s8
	s_mul_i32 s11, s5, s11
	s_add_i32 s23, s22, s11
	s_mul_i32 s22, s5, s8
	s_lshl_b64 s[22:23], s[22:23], 1
	s_add_u32 s20, s20, s22
	v_add_lshl_u32 v6, v3, s40, 7
	s_addc_u32 s21, s21, s23
	v_ashrrev_i32_e32 v7, 31, v6
	v_mov_b32_e32 v75, 0
	v_lshl_add_u64 v[6:7], v[6:7], 1, s[20:21]
	v_lshlrev_b32_e32 v8, 1, v74
	v_mov_b32_e32 v9, v75
	v_lshl_add_u64 v[6:7], v[6:7], 0, v[8:9]
	global_load_dwordx4 v[6:9], v[6:7], off
	v_and_b32_e32 v10, 3, v0
	v_lshlrev_b32_e32 v11, 9, v76
	v_lshlrev_b32_e32 v3, 5, v3
	;; [unrolled: 1-line block ×3, first 2 shown]
	v_and_b32_e32 v11, 0x1800, v11
	v_or3_b32 v3, v11, v10, v3
	s_waitcnt vmcnt(0)
	ds_write_b128 v3, v[6:9]
.LBB332_13:
	s_or_b64 exec, exec, s[16:17]
	s_waitcnt lgkmcnt(0)
	s_mul_i32 s4, s4, s10
	s_mov_b32 s5, 0
	s_lshl_b64 s[4:5], s[4:5], 1
	s_add_u32 s10, s12, s4
	s_addc_u32 s11, s13, s5
	s_waitcnt vmcnt(3)
	v_mad_i64_i32 v[2:3], s[12:13], v2, s9, 0
	v_lshl_add_u64 v[6:7], v[2:3], 1, s[10:11]
	v_lshlrev_b64 v[2:3], 1, v[74:75]
	v_lshlrev_b32_e32 v50, 9, v1
	v_lshl_add_u64 v[6:7], v[6:7], 0, v[2:3]
	v_mov_b32_e32 v51, 0
	v_lshl_add_u64 v[8:9], v[6:7], 0, v[50:51]
	s_load_dword s27, s[0:1], 0x98
	s_load_dword s8, s[0:1], 0x1c
	s_waitcnt lgkmcnt(0)
	s_barrier
	global_load_dwordx4 v[38:41], v[8:9], off
	s_waitcnt vmcnt(3)
	v_mad_i64_i32 v[10:11], s[12:13], v5, s9, 0
	v_mov_b32_e32 v5, 0x100
	v_lshl_add_u64 v[10:11], v[10:11], 1, s[10:11]
	v_lshl_or_b32 v54, v76, 4, v5
	v_mov_b32_e32 v55, v51
	v_lshl_add_u64 v[22:23], v[10:11], 0, v[54:55]
	v_lshl_add_u64 v[10:11], v[22:23], 0, v[50:51]
	global_load_dwordx4 v[42:45], v[10:11], off
	global_load_dwordx4 v[18:21], v[8:9], off offset:2048
	global_load_dwordx4 v[26:29], v[10:11], off offset:2048
	v_or_b32_e32 v56, 0x1000, v50
	v_mov_b32_e32 v57, v51
	v_or_b32_e32 v52, 0x1800, v50
	v_mov_b32_e32 v53, v51
	v_lshl_add_u64 v[8:9], v[6:7], 0, v[56:57]
	v_lshl_add_u64 v[6:7], v[6:7], 0, v[52:53]
	global_load_dwordx4 v[14:17], v[8:9], off
	global_load_dwordx4 v[10:13], v[6:7], off
	v_lshl_add_u64 v[8:9], v[22:23], 0, v[56:57]
	global_load_dwordx4 v[30:33], v[8:9], off
	s_waitcnt vmcnt(8)
	v_mad_i64_i32 v[4:5], s[12:13], v4, s9, 0
	v_lshl_add_u64 v[4:5], v[4:5], 1, s[10:11]
	v_lshl_add_u64 v[60:61], v[4:5], 0, v[2:3]
	v_add_u32_e32 v2, -9, v76
	v_cmp_gt_u32_e32 vcc, 9, v76
	v_lshl_add_u64 v[6:7], v[22:23], 0, v[52:53]
	global_load_dwordx4 v[22:25], v[6:7], off
	v_cndmask_b32_e32 v2, v2, v76, vcc
	v_lshl_add_u64 v[58:59], v[60:61], 0, v[50:51]
	v_lshl_add_u32 v62, v2, 5, v50
	global_load_dwordx4 v[34:37], v[58:59], off
	ds_read_b128 v[6:9], v62
	ds_read_b128 v[2:5], v62 offset:2048
	s_waitcnt vmcnt(9)
	v_mad_i64_i32 v[72:73], s[12:13], v46, s9, 0
	s_ashr_i32 s12, s18, 31
	v_and_or_b32 v78, v0, 48, s18
	v_or_b32_e32 v80, 64, v78
	v_mov_b32_e32 v79, s19
	v_cmp_gt_i32_e32 vcc, s33, v78
	v_or_b32_e32 v81, 0x80, v78
	v_or_b32_e32 v82, 0xc0, v78
	v_lshl_or_b32 v87, v86, 4, v76
	s_mov_b32 s41, 0xff7fffff
	s_waitcnt vmcnt(7) lgkmcnt(1)
	v_mfma_f32_16x16x16_f16 v[68:71], v[42:43], v[6:7], 0
	v_mfma_f32_16x16x16_f16 v[64:67], v[38:39], v[6:7], 0
	;; [unrolled: 1-line block ×3, first 2 shown]
	ds_read_b128 v[46:49], v62 offset:4096
	ds_read_b128 v[38:41], v62 offset:6144
	v_lshl_add_u64 v[62:63], v[72:73], 1, s[10:11]
	v_lshl_add_u64 v[72:73], v[62:63], 0, v[54:55]
	v_mfma_f32_16x16x16_f16 v[42:45], v[44:45], v[8:9], v[68:71]
	v_lshl_add_u64 v[54:55], v[60:61], 0, v[56:57]
	s_lshr_b32 s10, s12, 27
	v_add_u32_e32 v83, s10, v81
	s_waitcnt vmcnt(6) lgkmcnt(2)
	v_mfma_f32_16x16x16_f16 v[62:65], v[18:19], v[2:3], v[64:67]
	v_add_u32_e32 v70, s10, v78
	v_add_u32_e32 v71, s10, v80
	v_lshl_add_u64 v[68:69], v[72:73], 0, v[50:51]
	v_lshl_add_u64 v[66:67], v[60:61], 0, v[52:53]
	global_load_dwordx4 v[58:61], v[58:59], off offset:2048
	s_waitcnt vmcnt(6)
	v_mfma_f32_16x16x16_f16 v[42:45], v[26:27], v[2:3], v[42:45]
	v_ashrrev_i32_e32 v50, 5, v70
	v_add_u32_e32 v84, s10, v82
	s_add_u32 s4, s14, s4
	v_mfma_f32_16x16x16_f16 v[18:21], v[20:21], v[4:5], v[62:65]
	s_addc_u32 s5, s15, s5
	v_mfma_f32_16x16x16_f16 v[26:29], v[28:29], v[4:5], v[42:45]
	s_nop 0
	v_lshl_add_u64 v[62:63], v[72:73], 0, v[56:57]
	v_ashrrev_i32_e32 v56, 5, v71
	v_ashrrev_i32_e32 v64, 5, v83
	s_waitcnt vmcnt(5) lgkmcnt(1)
	v_mfma_f32_16x16x16_f16 v[18:21], v[14:15], v[46:47], v[18:21]
	global_load_dwordx4 v[42:45], v[54:55], off
	v_cndmask_b32_e32 v14, v79, v50, vcc
	v_cmp_gt_i32_e32 vcc, s33, v80
	s_waitcnt vmcnt(4)
	v_mfma_f32_16x16x16_f16 v[26:29], v[30:31], v[46:47], v[26:29]
	v_ashrrev_i32_e32 v15, 31, v14
	v_cndmask_b32_e32 v30, v79, v56, vcc
	v_ashrrev_i32_e32 v31, 31, v30
	v_lshl_add_u64 v[14:15], v[14:15], 2, s[6:7]
	v_lshl_add_u64 v[30:31], v[30:31], 2, s[6:7]
	global_load_dword v92, v[14:15], off
	global_load_dword v93, v[30:31], off
	v_mfma_f32_16x16x16_f16 v[14:17], v[16:17], v[48:49], v[18:21]
	v_cmp_gt_i32_e32 vcc, s33, v81
	v_ashrrev_i32_e32 v83, 5, v84
	s_nop 0
	global_load_dwordx4 v[18:21], v[66:67], off
	s_waitcnt lgkmcnt(0)
	v_mfma_f32_16x16x16_f16 v[14:17], v[10:11], v[38:39], v[14:17]
	v_cndmask_b32_e32 v10, v79, v64, vcc
	v_ashrrev_i32_e32 v11, 31, v10
	v_lshl_add_u64 v[10:11], v[10:11], 2, s[6:7]
	v_mfma_f32_16x16x16_f16 v[64:67], v[12:13], v[40:41], v[14:17]
	global_load_dword v94, v[10:11], off
	v_cmp_gt_i32_e32 vcc, s33, v82
	s_nop 0
	v_lshl_add_u64 v[14:15], v[72:73], 0, v[52:53]
	global_load_dwordx4 v[88:91], v[14:15], off
	global_load_dwordx4 v[54:57], v[68:69], off
	v_cndmask_b32_e32 v10, v79, v83, vcc
	global_load_dwordx4 v[68:71], v[68:69], off offset:2048
	v_ashrrev_i32_e32 v11, 31, v10
	global_load_dwordx4 v[82:85], v[62:63], off
	v_lshl_add_u64 v[10:11], v[10:11], 2, s[6:7]
	global_load_dword v95, v[10:11], off
	s_waitcnt vmcnt(11)
	v_mfma_f32_16x16x16_f16 v[10:13], v[34:35], v[6:7], 0
	v_and_b32_e32 v14, 16, v0
	v_lshlrev_b32_e32 v50, 1, v14
	v_mfma_f32_16x16x16_f16 v[10:13], v[36:37], v[8:9], v[10:13]
	v_lshl_add_u64 v[36:37], s[4:5], 0, v[50:51]
	v_lshlrev_b32_e32 v50, 6, v87
	s_waitcnt vmcnt(8)
	v_mad_i64_i32 v[14:15], s[4:5], v92, s9, 0
	v_mfma_f32_16x16x16_f16 v[10:13], v[58:59], v[2:3], v[10:13]
	v_lshlrev_b64 v[72:73], 1, v[14:15]
	v_mfma_f32_16x16x16_f16 v[10:13], v[60:61], v[4:5], v[10:13]
	v_lshl_add_u64 v[60:61], v[36:37], 0, v[50:51]
	v_lshl_add_u64 v[14:15], v[60:61], 0, v[72:73]
	v_or_b32_e32 v50, 0x1000, v50
	v_mfma_f32_16x16x16_f16 v[10:13], v[42:43], v[46:47], v[10:13]
	v_lshl_add_u64 v[62:63], v[36:37], 0, v[50:51]
	v_lshl_add_u64 v[50:51], v[62:63], 0, v[72:73]
	v_mfma_f32_16x16x16_f16 v[26:29], v[32:33], v[48:49], v[26:29]
	v_mfma_f32_16x16x16_f16 v[10:13], v[44:45], v[48:49], v[10:13]
	;; [unrolled: 1-line block ×3, first 2 shown]
	s_waitcnt vmcnt(6)
	v_mfma_f32_16x16x16_f16 v[10:13], v[18:19], v[38:39], v[10:13]
	v_mfma_f32_16x16x16_f16 v[78:81], v[24:25], v[40:41], v[26:29]
	global_load_dwordx4 v[30:33], v[14:15], off
	s_nop 2
	global_load_dwordx4 v[26:29], v[14:15], off offset:16
	v_mad_i64_i32 v[14:15], s[4:5], v93, s9, 0
	v_lshlrev_b64 v[34:35], 1, v[14:15]
	v_mfma_f32_16x16x16_f16 v[42:45], v[20:21], v[40:41], v[10:13]
	s_nop 2
	v_lshl_add_u64 v[10:11], v[60:61], 0, v[34:35]
	global_load_dwordx4 v[22:25], v[10:11], off
	global_load_dwordx4 v[18:21], v[10:11], off offset:16
	s_waitcnt vmcnt(7)
	v_mfma_f32_16x16x16_f16 v[10:13], v[54:55], v[6:7], 0
	v_mad_i64_i32 v[6:7], s[4:5], v94, s9, 0
	v_lshlrev_b64 v[52:53], 1, v[6:7]
	v_mfma_f32_16x16x16_f16 v[6:9], v[56:57], v[8:9], v[10:13]
	v_lshl_add_u64 v[34:35], v[62:63], 0, v[34:35]
	s_waitcnt vmcnt(6)
	v_mfma_f32_16x16x16_f16 v[6:9], v[68:69], v[2:3], v[6:9]
	s_waitcnt vmcnt(4)
	v_mad_i64_i32 v[2:3], s[4:5], v95, s9, 0
	v_lshlrev_b64 v[58:59], 1, v[2:3]
	v_mfma_f32_16x16x16_f16 v[54:57], v[70:71], v[4:5], v[6:9]
	v_lshl_add_u64 v[10:11], v[60:61], 0, v[52:53]
	v_lshl_add_u64 v[2:3], v[60:61], 0, v[58:59]
	v_pk_mul_f32 v[60:61], s[8:9], v[64:65] op_sel_hi:[0,1]
	v_mfma_f32_16x16x16_f16 v[54:57], v[82:83], v[46:47], v[54:57]
	v_pk_mul_f32 v[82:83], s[8:9], v[66:67] op_sel_hi:[0,1]
	v_pk_mul_f32 v[70:71], s[8:9], v[78:79] op_sel_hi:[0,1]
	;; [unrolled: 1-line block ×3, first 2 shown]
	v_mfma_f32_16x16x16_f16 v[46:49], v[84:85], v[48:49], v[54:57]
	v_pk_mul_f32 v[84:85], s[8:9], v[80:81] op_sel_hi:[0,1]
	v_pk_mul_f32 v[80:81], s[8:9], v[42:43] op_sel_hi:[0,1]
	global_load_dwordx4 v[14:17], v[10:11], off
	s_nop 0
	global_load_dwordx4 v[10:13], v[10:11], off offset:16
	v_mfma_f32_16x16x16_f16 v[36:39], v[88:89], v[38:39], v[46:49]
	global_load_dwordx4 v[6:9], v[2:3], off
	s_nop 0
	global_load_dwordx4 v[2:5], v[2:3], off offset:16
	v_lshl_add_u64 v[58:59], v[62:63], 0, v[58:59]
	v_mfma_f32_16x16x16_f16 v[36:39], v[90:91], v[40:41], v[36:39]
	s_nop 6
	v_pk_mul_f32 v[72:73], s[8:9], v[36:37] op_sel_hi:[0,1]
	v_and_b32_e32 v36, 0xc0, v0
	v_add_u32_e32 v36, s18, v36
	v_lshl_or_b32 v36, v1, 2, v36
	v_pk_mul_f32 v[66:67], s[8:9], v[38:39] op_sel_hi:[0,1]
	v_or_b32_e32 v39, 1, v36
	v_mov_b32_e32 v37, 0xff7fffff
	v_cmp_gt_i32_e64 s[28:29], s33, v36
	v_cmp_gt_i32_e64 s[30:31], s33, v39
	v_or_b32_e32 v40, 3, v36
	v_cndmask_b32_e64 v38, v37, v60, s[28:29]
	v_cndmask_b32_e64 v39, v37, v61, s[30:31]
	v_max3_f32 v38, v38, s41, v39
	v_or_b32_e32 v39, 2, v36
	v_cmp_gt_i32_e64 s[34:35], s33, v39
	v_cmp_gt_i32_e64 s[36:37], s33, v40
	s_nop 0
	v_cndmask_b32_e64 v39, v37, v82, s[34:35]
	v_cndmask_b32_e64 v40, v37, v83, s[36:37]
	v_max3_f32 v38, v38, v39, v40
	v_or_b32_e32 v39, 16, v36
	v_or_b32_e32 v40, 17, v36
	v_cmp_gt_i32_e64 s[22:23], s33, v39
	v_cmp_gt_i32_e64 s[24:25], s33, v40
	s_nop 0
	v_cndmask_b32_e64 v39, v37, v70, s[22:23]
	v_cndmask_b32_e64 v40, v37, v71, s[24:25]
	v_max3_f32 v38, v38, v39, v40
	v_or_b32_e32 v39, 18, v36
	;; [unrolled: 8-line block ×6, first 2 shown]
	v_or_b32_e32 v36, 51, v36
	v_cmp_gt_i32_e32 vcc, s33, v39
	v_cmp_gt_i32_e64 s[4:5], s33, v36
	s_nop 0
	v_cndmask_b32_e32 v39, v37, v66, vcc
	v_cndmask_b32_e64 v36, v37, v67, s[4:5]
	v_max3_f32 v54, v38, v39, v36
	v_mbcnt_lo_u32_b32 v36, -1, 0
	v_mbcnt_hi_u32_b32 v55, -1, v36
	v_and_b32_e32 v36, 64, v55
	v_add_u32_e32 v56, 64, v36
	v_xor_b32_e32 v36, 32, v55
	v_cmp_lt_i32_e64 s[38:39], v36, v56
	global_load_dwordx4 v[46:49], v[50:51], off
	global_load_dwordx4 v[38:41], v[50:51], off offset:16
	v_cndmask_b32_e64 v36, v55, v36, s[38:39]
	v_lshlrev_b32_e32 v89, 2, v36
	ds_bpermute_b32 v57, v89, v54
	global_load_dwordx4 v[42:45], v[34:35], off
	s_nop 0
	global_load_dwordx4 v[34:37], v[34:35], off offset:16
	s_waitcnt lgkmcnt(0)
	v_max_f32_e32 v50, v57, v57
	v_max_f32_e32 v64, v54, v50
	v_xor_b32_e32 v50, 16, v55
	v_cmp_lt_i32_e64 s[38:39], v50, v56
	s_nop 1
	v_cndmask_b32_e64 v50, v55, v50, s[38:39]
	v_lshlrev_b32_e32 v90, 2, v50
	ds_bpermute_b32 v65, v90, v64
	v_lshl_add_u64 v[50:51], v[62:63], 0, v[52:53]
	global_load_dwordx4 v[54:57], v[50:51], off
	s_nop 0
	global_load_dwordx4 v[50:53], v[50:51], off offset:16
	s_waitcnt lgkmcnt(0)
	v_max_f32_e32 v62, v65, v65
	v_max_f32_e32 v88, v64, v62
	v_sub_f32_e32 v60, v60, v88
	v_mul_f32_e32 v60, 0x3fb8aa3b, v60
	v_exp_f32_e32 v68, v60
	v_sub_f32_e32 v60, v61, v88
	v_mul_f32_e32 v60, 0x3fb8aa3b, v60
	v_exp_f32_e32 v69, v60
	global_load_dwordx4 v[62:65], v[58:59], off
	s_nop 0
	global_load_dwordx4 v[58:61], v[58:59], off offset:16
	v_sub_f32_e32 v82, v82, v88
	v_mul_f32_e32 v82, 0x3fb8aa3b, v82
	v_sub_f32_e32 v83, v83, v88
	v_exp_f32_e32 v82, v82
	v_mul_f32_e32 v83, 0x3fb8aa3b, v83
	v_sub_f32_e32 v70, v70, v88
	v_exp_f32_e32 v83, v83
	v_mul_f32_e32 v70, 0x3fb8aa3b, v70
	v_sub_f32_e32 v71, v71, v88
	v_cndmask_b32_e64 v68, 0, v68, s[28:29]
	v_exp_f32_e32 v70, v70
	v_mul_f32_e32 v71, 0x3fb8aa3b, v71
	v_sub_f32_e32 v84, v84, v88
	v_add_f32_e32 v91, 0, v68
	v_cndmask_b32_e64 v69, 0, v69, s[30:31]
	v_exp_f32_e32 v71, v71
	v_mul_f32_e32 v84, 0x3fb8aa3b, v84
	v_sub_f32_e32 v85, v85, v88
	v_add_f32_e32 v91, v91, v69
	;; [unrolled: 5-line block ×10, first 2 shown]
	v_cndmask_b32_e64 v78, 0, v78, s[10:11]
	v_exp_f32_e32 v66, v66
	v_mul_f32_e32 v67, 0x3fb8aa3b, v67
	v_add_f32_e32 v91, v91, v78
	v_cndmask_b32_e64 v79, 0, v79, s[12:13]
	v_exp_f32_e32 v67, v67
	v_add_f32_e32 v91, v91, v79
	v_cndmask_b32_e64 v72, 0, v72, s[6:7]
	v_add_f32_e32 v91, v91, v72
	v_cndmask_b32_e64 v73, 0, v73, s[8:9]
	v_add_f32_e32 v91, v91, v73
	v_cndmask_b32_e32 v66, 0, v66, vcc
	v_add_f32_e32 v91, v91, v66
	v_cndmask_b32_e64 v67, 0, v67, s[4:5]
	v_add_f32_e32 v91, v91, v67
	ds_bpermute_b32 v89, v89, v91
	v_cmp_gt_u32_e64 s[4:5], 16, v77
	s_waitcnt lgkmcnt(0)
	s_barrier
	v_add_f32_e32 v89, v91, v89
	ds_bpermute_b32 v90, v90, v89
	s_and_saveexec_b64 s[6:7], s[4:5]
	s_cbranch_execz .LBB332_15
; %bb.14:
	s_waitcnt lgkmcnt(0)
	v_add_f32_e32 v77, v89, v90
	v_lshlrev_b32_e32 v87, 2, v87
	ds_write2st64_b32 v87, v88, v77 offset1:1
.LBB332_15:
	s_or_b64 exec, exec, s[6:7]
	v_lshlrev_b32_e32 v77, 2, v76
	s_load_dword s8, s[0:1], 0x94
	s_waitcnt lgkmcnt(0)
	s_barrier
	ds_read2_b32 v[88:89], v77 offset1:16
	ds_read2_b32 v[90:91], v77 offset0:32 offset1:48
	ds_read2_b32 v[92:93], v77 offset0:64 offset1:80
	ds_read2_b32 v[94:95], v77 offset0:96 offset1:112
	s_waitcnt lgkmcnt(0)
	v_max3_f32 v87, v88, s41, v89
	v_max3_f32 v87, v87, v90, v91
	v_sub_f32_e32 v88, v88, v87
	v_mul_f32_e32 v88, 0x3fb8aa3b, v88
	v_exp_f32_e32 v86, v88
	v_sub_f32_e32 v88, v89, v87
	v_mul_f32_e32 v88, 0x3fb8aa3b, v88
	v_exp_f32_e32 v89, v88
	v_sub_f32_e32 v88, v90, v87
	v_mul_f32_e32 v88, 0x3fb8aa3b, v88
	v_sub_f32_e32 v77, v91, v87
	v_exp_f32_e32 v90, v88
	v_mul_f32_e32 v77, 0x3fb8aa3b, v77
	v_exp_f32_e32 v77, v77
	v_fma_f32 v88, v86, v92, 0
	v_fmac_f32_e32 v88, v89, v93
	v_fmac_f32_e32 v88, v90, v94
	;; [unrolled: 1-line block ×3, first 2 shown]
	v_add_f32_e32 v91, 0x358637bd, v88
	v_div_scale_f32 v92, s[6:7], v91, v91, 1.0
	v_rcp_f32_e32 v93, v92
	s_barrier
	s_mul_i32 s9, s27, 9
	v_fma_f32 v94, -v92, v93, 1.0
	v_fmac_f32_e32 v93, v94, v93
	v_div_scale_f32 v94, vcc, 1.0, v91, 1.0
	v_mul_f32_e32 v95, v94, v93
	v_fma_f32 v1, -v92, v95, v94
	v_fmac_f32_e32 v95, v1, v93
	v_fma_f32 v1, -v92, v95, v94
	v_div_fmas_f32 v1, v1, v93, v95
	v_div_fixup_f32 v1, v1, v91, 1.0
	v_lshrrev_b32_e32 v91, 6, v0
	v_cmp_eq_u32_e32 vcc, 1, v91
	s_nop 1
	v_cndmask_b32_e32 v86, v86, v89, vcc
	v_cmp_eq_u32_e32 vcc, 2, v91
	s_nop 1
	v_cndmask_b32_e32 v86, v86, v90, vcc
	;; [unrolled: 3-line block ×3, first 2 shown]
	v_mul_f32_e32 v90, v77, v1
	v_pk_mul_f32 v[82:83], v[90:91], v[82:83] op_sel_hi:[0,1]
	v_pk_mul_f32 v[68:69], v[90:91], v[68:69] op_sel_hi:[0,1]
	v_cvt_f16_f32_e32 v1, v68
	v_cvt_f16_f32_e32 v68, v69
	;; [unrolled: 1-line block ×4, first 2 shown]
	v_pk_mul_f32 v[84:85], v[90:91], v[84:85] op_sel_hi:[0,1]
	v_pk_mul_f32 v[70:71], v[90:91], v[70:71] op_sel_hi:[0,1]
	v_bfe_u32 v86, v0, 4, 2
	v_pack_b32_f16 v83, v69, v77
	v_cvt_f16_f32_e32 v69, v70
	v_cvt_f16_f32_e32 v70, v71
	;; [unrolled: 1-line block ×4, first 2 shown]
	v_pack_b32_f16 v82, v1, v68
	v_lshlrev_b32_e32 v1, 3, v86
	v_lshlrev_b32_e32 v68, 5, v76
	;; [unrolled: 1-line block ×3, first 2 shown]
	v_or3_b32 v1, v84, v68, v1
	v_pack_b32_f16 v70, v69, v70
	v_pack_b32_f16 v71, v71, v77
	ds_write2st64_b64 v1, v[82:83], v[70:71] offset1:1
	v_pk_mul_f32 v[70:71], v[90:91], v[78:79] op_sel_hi:[0,1]
	v_pk_mul_f32 v[78:79], v[90:91], v[80:81] op_sel_hi:[0,1]
	v_cvt_f16_f32_e32 v69, v78
	v_cvt_f16_f32_e32 v77, v79
	;; [unrolled: 1-line block ×4, first 2 shown]
	v_pk_mul_f32 v[66:67], v[90:91], v[66:67] op_sel_hi:[0,1]
	v_pk_mul_f32 v[70:71], v[90:91], v[72:73] op_sel_hi:[0,1]
	v_cvt_f16_f32_e32 v70, v70
	v_cvt_f16_f32_e32 v71, v71
	;; [unrolled: 1-line block ×4, first 2 shown]
	v_pack_b32_f16 v66, v69, v77
	v_pack_b32_f16 v67, v78, v79
	;; [unrolled: 1-line block ×4, first 2 shown]
	v_cmp_gt_u32_e32 vcc, 9, v0
	ds_write2st64_b64 v1, v[66:67], v[70:71] offset0:2 offset1:3
	s_and_saveexec_b64 s[6:7], vcc
	s_cbranch_execz .LBB332_17
; %bb.16:
	s_mov_b32 s41, 0
	v_mov_b32_e32 v77, 0
	v_lshl_add_u64 v[66:67], s[40:41], 0, v[76:77]
	v_mov_b32_e32 v69, s9
	v_mad_u64_u32 v[66:67], s[10:11], s2, v69, v[66:67]
	s_mul_i32 s3, s3, s9
	v_mov_b32_e32 v70, s26
	v_mov_b32_e32 v71, v77
	s_load_dwordx4 s[12:15], s[0:1], 0x58
	v_add_u32_e32 v69, s3, v67
	v_mad_u64_u32 v[66:67], s[10:11], v66, s8, v[70:71]
	v_mov_b32_e32 v70, v67
	v_mad_u64_u32 v[70:71], s[10:11], v69, s8, v[70:71]
	v_mov_b32_e32 v67, v70
	v_lshlrev_b64 v[66:67], 2, v[66:67]
	s_waitcnt lgkmcnt(0)
	v_lshl_add_u64 v[70:71], s[14:15], 0, v[66:67]
	v_lshl_add_u64 v[66:67], s[12:13], 0, v[66:67]
	global_store_dword v[70:71], v87, off
	global_store_dword v[66:67], v88, off
.LBB332_17:
	s_or_b64 exec, exec, s[6:7]
	v_lshl_or_b32 v77, v86, 9, v68
	s_waitcnt lgkmcnt(0)
	s_barrier
	ds_read_b128 v[70:73], v77
	ds_read_b128 v[66:69], v77 offset:16
	s_waitcnt vmcnt(15) lgkmcnt(1)
	v_mfma_f32_16x16x16_f16 v[78:81], v[30:31], v[70:71], 0
	s_mov_b32 s3, 0
	v_cmp_gt_u32_e32 vcc, 64, v0
	v_mfma_f32_16x16x16_f16 v[30:33], v[32:33], v[72:73], v[78:81]
	s_waitcnt vmcnt(14) lgkmcnt(0)
	v_mfma_f32_16x16x16_f16 v[30:33], v[26:27], v[66:67], v[30:33]
	v_mfma_f32_16x16x16_f16 v[26:29], v[28:29], v[68:69], v[30:33]
	s_nop 5
	ds_read_b128 v[30:33], v77 offset:2048
	ds_read_b128 v[78:81], v77 offset:2064
	s_waitcnt vmcnt(13) lgkmcnt(1)
	v_mfma_f32_16x16x16_f16 v[26:29], v[22:23], v[30:31], v[26:29]
	v_mfma_f32_16x16x16_f16 v[22:25], v[24:25], v[32:33], v[26:29]
	s_waitcnt vmcnt(12) lgkmcnt(0)
	v_mfma_f32_16x16x16_f16 v[22:25], v[18:19], v[78:79], v[22:25]
	v_mfma_f32_16x16x16_f16 v[18:21], v[20:21], v[80:81], v[22:25]
	s_nop 5
	ds_read_b128 v[22:25], v77 offset:4096
	ds_read_b128 v[26:29], v77 offset:4112
	s_waitcnt vmcnt(11) lgkmcnt(1)
	v_mfma_f32_16x16x16_f16 v[18:21], v[14:15], v[22:23], v[18:21]
	v_mfma_f32_16x16x16_f16 v[14:17], v[16:17], v[24:25], v[18:21]
	s_waitcnt vmcnt(10) lgkmcnt(0)
	v_mfma_f32_16x16x16_f16 v[14:17], v[10:11], v[26:27], v[14:17]
	v_mfma_f32_16x16x16_f16 v[10:13], v[12:13], v[28:29], v[14:17]
	s_nop 5
	ds_read_b128 v[14:17], v77 offset:6144
	ds_read_b128 v[18:21], v77 offset:6160
	s_waitcnt lgkmcnt(0)
	s_barrier
	s_waitcnt vmcnt(9)
	v_mfma_f32_16x16x16_f16 v[10:13], v[6:7], v[14:15], v[10:13]
	v_mfma_f32_16x16x16_f16 v[6:9], v[8:9], v[16:17], v[10:13]
	s_waitcnt vmcnt(8)
	v_mfma_f32_16x16x16_f16 v[6:9], v[2:3], v[18:19], v[6:9]
	v_mfma_f32_16x16x16_f16 v[2:5], v[4:5], v[20:21], v[6:9]
	;; [unrolled: 3-line block ×3, first 2 shown]
	s_nop 3
	v_cvt_f16_f32_e32 v10, v2
	v_cvt_f16_f32_e32 v11, v3
	;; [unrolled: 1-line block ×3, first 2 shown]
	s_waitcnt vmcnt(6)
	v_mfma_f32_16x16x16_f16 v[6:9], v[38:39], v[66:67], v[6:9]
	v_cvt_f16_f32_e32 v13, v5
	v_mfma_f32_16x16x16_f16 v[6:9], v[40:41], v[68:69], v[6:9]
	s_waitcnt vmcnt(5)
	v_mfma_f32_16x16x16_f16 v[6:9], v[42:43], v[30:31], v[6:9]
	v_mfma_f32_16x16x16_f16 v[6:9], v[44:45], v[32:33], v[6:9]
	s_waitcnt vmcnt(4)
	v_mfma_f32_16x16x16_f16 v[6:9], v[34:35], v[78:79], v[6:9]
	;; [unrolled: 3-line block ×6, first 2 shown]
	v_mfma_f32_16x16x16_f16 v[2:5], v[60:61], v[20:21], v[6:9]
	s_nop 6
	v_cvt_f16_f32_e32 v6, v2
	v_cvt_f16_f32_e32 v7, v3
	;; [unrolled: 1-line block ×4, first 2 shown]
	v_pack_b32_f16 v2, v10, v11
	v_pack_b32_f16 v3, v12, v13
	v_pack_b32_f16 v4, v6, v7
	v_pack_b32_f16 v5, v8, v5
	ds_write2st64_b64 v1, v[2:3], v[4:5] offset1:1
	s_waitcnt lgkmcnt(0)
	s_barrier
	s_and_saveexec_b64 s[6:7], vcc
	s_cbranch_execz .LBB332_20
; %bb.18:
	s_load_dwordx2 s[6:7], s[0:1], 0x68
	s_lshl_b32 s0, s8, 7
	s_mul_i32 s1, s9, s2
	v_lshlrev_b32_e32 v3, 6, v76
	s_mul_hi_u32 s9, s1, s0
	s_mul_i32 s8, s1, s0
	v_lshlrev_b32_e32 v2, 4, v0
	v_lshl_or_b32 v0, v0, 10, v3
	s_lshl_b64 s[8:9], s[8:9], 1
	v_lshlrev_b32_e32 v1, 5, v86
	v_and_b32_e32 v2, 16, v2
	v_and_b32_e32 v0, 0x1a00, v0
	s_waitcnt lgkmcnt(0)
	s_add_u32 s1, s6, s8
	v_or3_b32 v2, v0, v1, v2
	s_addc_u32 s6, s7, s9
	s_lshl_b32 s2, s26, 7
	s_lshl_b64 s[2:3], s[2:3], 1
	ds_read_b128 v[4:7], v2 offset:128
	ds_read_b128 v[8:11], v2
	s_add_u32 s2, s1, s2
	s_addc_u32 s3, s6, s3
	v_add_u32_e32 v3, s40, v86
	v_lshl_add_u64 v[0:1], v[74:75], 1, s[2:3]
	v_mad_u64_u32 v[12:13], s[2:3], v3, s0, 0
	v_lshl_add_u64 v[12:13], v[12:13], 1, v[0:1]
	v_add_u32_e32 v3, 4, v3
	s_waitcnt lgkmcnt(0)
	global_store_dwordx4 v[12:13], v[8:11], off
	s_nop 1
	v_mad_u64_u32 v[8:9], s[2:3], v3, s0, 0
	v_lshl_add_u64 v[8:9], v[8:9], 1, v[0:1]
	global_store_dwordx4 v[8:9], v[4:7], off
	s_and_b64 exec, exec, s[4:5]
	s_cbranch_execz .LBB332_20
; %bb.19:
	ds_read_b128 v[2:5], v2 offset:256
	v_add3_u32 v6, s40, v86, 8
	v_mad_u64_u32 v[6:7], s[0:1], v6, s0, 0
	v_lshl_add_u64 v[0:1], v[6:7], 1, v[0:1]
	s_waitcnt lgkmcnt(0)
	global_store_dwordx4 v[0:1], v[2:5], off
.LBB332_20:
	s_endpgm
	.section	.rodata,"a",@progbits
	.p2align	6, 0x0
	.amdhsa_kernel _Z39paged_attention_ll4mi_QKV_mfma16_kernelIDF16_DF16_LN4vllm18Fp8KVCacheDataTypeE0EhLi32ELi128ELi256ELb0ELi9EEvPKT_PKT0_S7_ifPKiS9_S9_iPKfiiiPfSC_PS2_PT2_iSB_SB_
		.amdhsa_group_segment_fixed_size 8192
		.amdhsa_private_segment_fixed_size 0
		.amdhsa_kernarg_size 400
		.amdhsa_user_sgpr_count 2
		.amdhsa_user_sgpr_dispatch_ptr 0
		.amdhsa_user_sgpr_queue_ptr 0
		.amdhsa_user_sgpr_kernarg_segment_ptr 1
		.amdhsa_user_sgpr_dispatch_id 0
		.amdhsa_user_sgpr_kernarg_preload_length 0
		.amdhsa_user_sgpr_kernarg_preload_offset 0
		.amdhsa_user_sgpr_private_segment_size 0
		.amdhsa_uses_dynamic_stack 0
		.amdhsa_enable_private_segment 0
		.amdhsa_system_sgpr_workgroup_id_x 1
		.amdhsa_system_sgpr_workgroup_id_y 1
		.amdhsa_system_sgpr_workgroup_id_z 1
		.amdhsa_system_sgpr_workgroup_info 0
		.amdhsa_system_vgpr_workitem_id 0
		.amdhsa_next_free_vgpr 96
		.amdhsa_next_free_sgpr 42
		.amdhsa_accum_offset 96
		.amdhsa_reserve_vcc 1
		.amdhsa_float_round_mode_32 0
		.amdhsa_float_round_mode_16_64 0
		.amdhsa_float_denorm_mode_32 3
		.amdhsa_float_denorm_mode_16_64 3
		.amdhsa_dx10_clamp 1
		.amdhsa_ieee_mode 1
		.amdhsa_fp16_overflow 0
		.amdhsa_tg_split 0
		.amdhsa_exception_fp_ieee_invalid_op 0
		.amdhsa_exception_fp_denorm_src 0
		.amdhsa_exception_fp_ieee_div_zero 0
		.amdhsa_exception_fp_ieee_overflow 0
		.amdhsa_exception_fp_ieee_underflow 0
		.amdhsa_exception_fp_ieee_inexact 0
		.amdhsa_exception_int_div_zero 0
	.end_amdhsa_kernel
	.section	.text._Z39paged_attention_ll4mi_QKV_mfma16_kernelIDF16_DF16_LN4vllm18Fp8KVCacheDataTypeE0EhLi32ELi128ELi256ELb0ELi9EEvPKT_PKT0_S7_ifPKiS9_S9_iPKfiiiPfSC_PS2_PT2_iSB_SB_,"axG",@progbits,_Z39paged_attention_ll4mi_QKV_mfma16_kernelIDF16_DF16_LN4vllm18Fp8KVCacheDataTypeE0EhLi32ELi128ELi256ELb0ELi9EEvPKT_PKT0_S7_ifPKiS9_S9_iPKfiiiPfSC_PS2_PT2_iSB_SB_,comdat
.Lfunc_end332:
	.size	_Z39paged_attention_ll4mi_QKV_mfma16_kernelIDF16_DF16_LN4vllm18Fp8KVCacheDataTypeE0EhLi32ELi128ELi256ELb0ELi9EEvPKT_PKT0_S7_ifPKiS9_S9_iPKfiiiPfSC_PS2_PT2_iSB_SB_, .Lfunc_end332-_Z39paged_attention_ll4mi_QKV_mfma16_kernelIDF16_DF16_LN4vllm18Fp8KVCacheDataTypeE0EhLi32ELi128ELi256ELb0ELi9EEvPKT_PKT0_S7_ifPKiS9_S9_iPKfiiiPfSC_PS2_PT2_iSB_SB_
                                        ; -- End function
	.section	.AMDGPU.csdata,"",@progbits
; Kernel info:
; codeLenInByte = 4588
; NumSgprs: 48
; NumVgprs: 96
; NumAgprs: 0
; TotalNumVgprs: 96
; ScratchSize: 0
; MemoryBound: 0
; FloatMode: 240
; IeeeMode: 1
; LDSByteSize: 8192 bytes/workgroup (compile time only)
; SGPRBlocks: 5
; VGPRBlocks: 11
; NumSGPRsForWavesPerEU: 48
; NumVGPRsForWavesPerEU: 96
; AccumOffset: 96
; Occupancy: 5
; WaveLimiterHint : 1
; COMPUTE_PGM_RSRC2:SCRATCH_EN: 0
; COMPUTE_PGM_RSRC2:USER_SGPR: 2
; COMPUTE_PGM_RSRC2:TRAP_HANDLER: 0
; COMPUTE_PGM_RSRC2:TGID_X_EN: 1
; COMPUTE_PGM_RSRC2:TGID_Y_EN: 1
; COMPUTE_PGM_RSRC2:TGID_Z_EN: 1
; COMPUTE_PGM_RSRC2:TIDIG_COMP_CNT: 0
; COMPUTE_PGM_RSRC3_GFX90A:ACCUM_OFFSET: 23
; COMPUTE_PGM_RSRC3_GFX90A:TG_SPLIT: 0
	.section	.text._Z39paged_attention_ll4mi_QKV_mfma16_kernelIDF16_DF16_LN4vllm18Fp8KVCacheDataTypeE0EhLi32ELi128ELi256ELb0ELi10EEvPKT_PKT0_S7_ifPKiS9_S9_iPKfiiiPfSC_PS2_PT2_iSB_SB_,"axG",@progbits,_Z39paged_attention_ll4mi_QKV_mfma16_kernelIDF16_DF16_LN4vllm18Fp8KVCacheDataTypeE0EhLi32ELi128ELi256ELb0ELi10EEvPKT_PKT0_S7_ifPKiS9_S9_iPKfiiiPfSC_PS2_PT2_iSB_SB_,comdat
	.protected	_Z39paged_attention_ll4mi_QKV_mfma16_kernelIDF16_DF16_LN4vllm18Fp8KVCacheDataTypeE0EhLi32ELi128ELi256ELb0ELi10EEvPKT_PKT0_S7_ifPKiS9_S9_iPKfiiiPfSC_PS2_PT2_iSB_SB_ ; -- Begin function _Z39paged_attention_ll4mi_QKV_mfma16_kernelIDF16_DF16_LN4vllm18Fp8KVCacheDataTypeE0EhLi32ELi128ELi256ELb0ELi10EEvPKT_PKT0_S7_ifPKiS9_S9_iPKfiiiPfSC_PS2_PT2_iSB_SB_
	.globl	_Z39paged_attention_ll4mi_QKV_mfma16_kernelIDF16_DF16_LN4vllm18Fp8KVCacheDataTypeE0EhLi32ELi128ELi256ELb0ELi10EEvPKT_PKT0_S7_ifPKiS9_S9_iPKfiiiPfSC_PS2_PT2_iSB_SB_
	.p2align	8
	.type	_Z39paged_attention_ll4mi_QKV_mfma16_kernelIDF16_DF16_LN4vllm18Fp8KVCacheDataTypeE0EhLi32ELi128ELi256ELb0ELi10EEvPKT_PKT0_S7_ifPKiS9_S9_iPKfiiiPfSC_PS2_PT2_iSB_SB_,@function
_Z39paged_attention_ll4mi_QKV_mfma16_kernelIDF16_DF16_LN4vllm18Fp8KVCacheDataTypeE0EhLi32ELi128ELi256ELb0ELi10EEvPKT_PKT0_S7_ifPKiS9_S9_iPKfiiiPfSC_PS2_PT2_iSB_SB_: ; @_Z39paged_attention_ll4mi_QKV_mfma16_kernelIDF16_DF16_LN4vllm18Fp8KVCacheDataTypeE0EhLi32ELi128ELi256ELb0ELi10EEvPKT_PKT0_S7_ifPKiS9_S9_iPKfiiiPfSC_PS2_PT2_iSB_SB_
; %bb.0:
	s_load_dwordx2 s[8:9], s[0:1], 0x30
	s_mov_b32 s26, s3
	s_mov_b64 s[6:7], 0
	s_waitcnt lgkmcnt(0)
	s_cmp_lg_u64 s[8:9], 0
	s_cselect_b64 s[10:11], -1, 0
	s_and_b64 vcc, exec, s[10:11]
	s_cbranch_vccz .LBB333_7
; %bb.1:
	s_add_i32 s12, s2, 1
	s_mov_b32 s13, 0
	s_lshl_b64 s[14:15], s[12:13], 2
	s_add_u32 s14, s8, s14
	s_mov_b32 s3, s13
	s_addc_u32 s15, s9, s15
	s_lshl_b64 s[12:13], s[2:3], 2
	s_add_u32 s12, s8, s12
	s_addc_u32 s13, s9, s13
	s_load_dword s5, s[14:15], 0x0
	s_load_dword s16, s[12:13], 0x0
	s_waitcnt lgkmcnt(0)
	s_sub_i32 s5, s5, s16
	s_cmp_eq_u32 s5, 1
	s_cselect_b64 s[12:13], -1, 0
	s_andn2_b64 vcc, exec, s[6:7]
	s_cbranch_vccnz .LBB333_3
.LBB333_2:
	s_mov_b32 s3, 0
	s_mov_b64 s[12:13], -1
.LBB333_3:
	s_andn2_b64 vcc, exec, s[12:13]
	s_cbranch_vccnz .LBB333_20
; %bb.4:
	s_load_dwordx2 s[6:7], s[0:1], 0x28
	s_lshl_b64 s[12:13], s[2:3], 2
	s_waitcnt lgkmcnt(0)
	s_add_u32 s6, s6, s12
	s_addc_u32 s7, s7, s13
	s_load_dword s33, s[6:7], 0x0
	s_lshl_b32 s18, s26, 8
	s_waitcnt lgkmcnt(0)
	s_cmp_ge_i32 s18, s33
	s_cbranch_scc1 .LBB333_20
; %bb.5:
	s_load_dwordx2 s[6:7], s[0:1], 0x20
	s_load_dword s5, s[0:1], 0x38
	s_add_i32 s14, s33, 31
	s_ashr_i32 s15, s14, 31
	v_and_b32_e32 v1, 0xcf, v0
	s_lshr_b32 s15, s15, 27
	v_add_u32_e32 v1, s18, v1
	s_add_i32 s14, s14, s15
	v_ashrrev_i32_e32 v2, 31, v1
	s_ashr_i32 s19, s14, 5
	v_lshrrev_b32_e32 v4, 27, v2
	s_add_i32 s19, s19, -1
	s_waitcnt lgkmcnt(0)
	s_mul_i32 s14, s2, s5
	s_mov_b32 s15, 0
	v_add_u32_e32 v2, v1, v4
	s_lshl_b64 s[14:15], s[14:15], 2
	v_ashrrev_i32_e32 v2, 5, v2
	v_mov_b32_e32 v5, s19
	v_cmp_gt_i32_e32 vcc, s33, v1
	s_add_u32 s6, s6, s14
	s_addc_u32 s7, s7, s15
	v_cndmask_b32_e32 v2, v5, v2, vcc
	v_ashrrev_i32_e32 v3, 31, v2
	v_lshl_add_u64 v[6:7], v[2:3], 2, s[6:7]
	v_or_b32_e32 v2, 16, v1
	v_add_u32_e32 v3, v2, v4
	v_ashrrev_i32_e32 v3, 5, v3
	v_cmp_gt_i32_e32 vcc, s33, v2
	s_nop 1
	v_cndmask_b32_e32 v2, v5, v3, vcc
	v_ashrrev_i32_e32 v3, 31, v2
	v_lshl_add_u64 v[8:9], v[2:3], 2, s[6:7]
	v_or_b32_e32 v2, 32, v1
	v_add_u32_e32 v3, v2, v4
	v_ashrrev_i32_e32 v3, 5, v3
	v_cmp_gt_i32_e32 vcc, s33, v2
	v_or_b32_e32 v1, 48, v1
	s_nop 0
	v_cndmask_b32_e32 v2, v5, v3, vcc
	v_ashrrev_i32_e32 v3, 31, v2
	v_lshl_add_u64 v[10:11], v[2:3], 2, s[6:7]
	v_add_u32_e32 v2, v1, v4
	v_ashrrev_i32_e32 v2, 5, v2
	v_cmp_gt_i32_e32 vcc, s33, v1
	s_nop 1
	v_cndmask_b32_e32 v2, v5, v2, vcc
	v_ashrrev_i32_e32 v3, 31, v2
	v_lshl_add_u64 v[12:13], v[2:3], 2, s[6:7]
	global_load_dword v2, v[6:7], off
	global_load_dword v5, v[8:9], off
	;; [unrolled: 1-line block ×4, first 2 shown]
	s_andn2_b64 vcc, exec, s[10:11]
	s_cbranch_vccnz .LBB333_8
; %bb.6:
	s_add_u32 s8, s8, s12
	s_addc_u32 s9, s9, s13
	s_load_dword s5, s[8:9], 0x0
	s_branch .LBB333_9
.LBB333_7:
	s_mov_b64 s[12:13], 0
	s_branch .LBB333_2
.LBB333_8:
	s_mov_b32 s5, s2
.LBB333_9:
	s_load_dwordx4 s[12:15], s[0:1], 0x8
	s_load_dwordx4 s[8:11], s[0:1], 0x48
	v_lshrrev_b32_e32 v86, 6, v0
	v_bfe_u32 v1, v0, 4, 2
	v_lshl_or_b32 v3, v86, 2, v1
	v_and_b32_e32 v76, 15, v0
	v_lshlrev_b32_e32 v74, 3, v76
	v_cmp_lt_u32_e32 vcc, 9, v3
	s_and_saveexec_b64 s[16:17], vcc
	s_xor_b64 s[16:17], exec, s[16:17]
; %bb.10:
	v_mov_b32_e32 v75, 0
                                        ; implicit-def: $vgpr3
; %bb.11:
	s_or_saveexec_b64 s[16:17], s[16:17]
	v_and_b32_e32 v77, 63, v0
	s_mul_i32 s40, s4, 10
	s_xor_b64 exec, exec, s[16:17]
	s_cbranch_execz .LBB333_13
; %bb.12:
	s_load_dwordx2 s[20:21], s[0:1], 0x0
	s_waitcnt lgkmcnt(0)
	s_ashr_i32 s11, s8, 31
	s_mul_hi_u32 s22, s5, s8
	s_mul_i32 s11, s5, s11
	s_add_i32 s23, s22, s11
	s_mul_i32 s22, s5, s8
	s_lshl_b64 s[22:23], s[22:23], 1
	s_add_u32 s20, s20, s22
	v_add_lshl_u32 v6, v3, s40, 7
	s_addc_u32 s21, s21, s23
	v_ashrrev_i32_e32 v7, 31, v6
	v_mov_b32_e32 v75, 0
	v_lshl_add_u64 v[6:7], v[6:7], 1, s[20:21]
	v_lshlrev_b32_e32 v8, 1, v74
	v_mov_b32_e32 v9, v75
	v_lshl_add_u64 v[6:7], v[6:7], 0, v[8:9]
	global_load_dwordx4 v[6:9], v[6:7], off
	v_and_b32_e32 v10, 3, v0
	v_lshlrev_b32_e32 v11, 9, v76
	v_lshlrev_b32_e32 v3, 5, v3
	;; [unrolled: 1-line block ×3, first 2 shown]
	v_and_b32_e32 v11, 0x1800, v11
	v_or3_b32 v3, v11, v10, v3
	s_waitcnt vmcnt(0)
	ds_write_b128 v3, v[6:9]
.LBB333_13:
	s_or_b64 exec, exec, s[16:17]
	s_waitcnt lgkmcnt(0)
	s_mul_i32 s4, s4, s10
	s_mov_b32 s5, 0
	s_lshl_b64 s[4:5], s[4:5], 1
	s_add_u32 s10, s12, s4
	s_addc_u32 s11, s13, s5
	s_waitcnt vmcnt(3)
	v_mad_i64_i32 v[2:3], s[12:13], v2, s9, 0
	v_lshl_add_u64 v[6:7], v[2:3], 1, s[10:11]
	v_lshlrev_b64 v[2:3], 1, v[74:75]
	v_lshlrev_b32_e32 v50, 9, v1
	v_lshl_add_u64 v[6:7], v[6:7], 0, v[2:3]
	v_mov_b32_e32 v51, 0
	v_lshl_add_u64 v[8:9], v[6:7], 0, v[50:51]
	s_load_dword s27, s[0:1], 0x98
	s_load_dword s8, s[0:1], 0x1c
	s_waitcnt lgkmcnt(0)
	s_barrier
	global_load_dwordx4 v[38:41], v[8:9], off
	s_waitcnt vmcnt(3)
	v_mad_i64_i32 v[10:11], s[12:13], v5, s9, 0
	v_mov_b32_e32 v5, 0x100
	v_lshl_add_u64 v[10:11], v[10:11], 1, s[10:11]
	v_lshl_or_b32 v54, v76, 4, v5
	v_mov_b32_e32 v55, v51
	v_lshl_add_u64 v[22:23], v[10:11], 0, v[54:55]
	v_lshl_add_u64 v[10:11], v[22:23], 0, v[50:51]
	global_load_dwordx4 v[42:45], v[10:11], off
	global_load_dwordx4 v[18:21], v[8:9], off offset:2048
	global_load_dwordx4 v[26:29], v[10:11], off offset:2048
	v_or_b32_e32 v56, 0x1000, v50
	v_mov_b32_e32 v57, v51
	v_or_b32_e32 v52, 0x1800, v50
	v_mov_b32_e32 v53, v51
	v_lshl_add_u64 v[8:9], v[6:7], 0, v[56:57]
	v_lshl_add_u64 v[6:7], v[6:7], 0, v[52:53]
	global_load_dwordx4 v[14:17], v[8:9], off
	global_load_dwordx4 v[10:13], v[6:7], off
	v_lshl_add_u64 v[8:9], v[22:23], 0, v[56:57]
	global_load_dwordx4 v[30:33], v[8:9], off
	s_waitcnt vmcnt(8)
	v_mad_i64_i32 v[4:5], s[12:13], v4, s9, 0
	v_lshl_add_u64 v[4:5], v[4:5], 1, s[10:11]
	v_lshl_add_u64 v[60:61], v[4:5], 0, v[2:3]
	v_add_u32_e32 v2, -10, v76
	v_cmp_gt_u32_e32 vcc, 10, v76
	v_lshl_add_u64 v[6:7], v[22:23], 0, v[52:53]
	global_load_dwordx4 v[22:25], v[6:7], off
	v_cndmask_b32_e32 v2, v2, v76, vcc
	v_lshl_add_u64 v[58:59], v[60:61], 0, v[50:51]
	v_lshl_add_u32 v62, v2, 5, v50
	global_load_dwordx4 v[34:37], v[58:59], off
	ds_read_b128 v[6:9], v62
	ds_read_b128 v[2:5], v62 offset:2048
	s_waitcnt vmcnt(9)
	v_mad_i64_i32 v[72:73], s[12:13], v46, s9, 0
	s_ashr_i32 s12, s18, 31
	v_and_or_b32 v78, v0, 48, s18
	v_or_b32_e32 v80, 64, v78
	v_mov_b32_e32 v79, s19
	v_cmp_gt_i32_e32 vcc, s33, v78
	v_or_b32_e32 v81, 0x80, v78
	v_or_b32_e32 v82, 0xc0, v78
	v_lshl_or_b32 v87, v86, 4, v76
	s_mov_b32 s41, 0xff7fffff
	s_waitcnt vmcnt(7) lgkmcnt(1)
	v_mfma_f32_16x16x16_f16 v[68:71], v[42:43], v[6:7], 0
	v_mfma_f32_16x16x16_f16 v[64:67], v[38:39], v[6:7], 0
	v_mfma_f32_16x16x16_f16 v[64:67], v[40:41], v[8:9], v[64:67]
	ds_read_b128 v[46:49], v62 offset:4096
	ds_read_b128 v[38:41], v62 offset:6144
	v_lshl_add_u64 v[62:63], v[72:73], 1, s[10:11]
	v_lshl_add_u64 v[72:73], v[62:63], 0, v[54:55]
	v_mfma_f32_16x16x16_f16 v[42:45], v[44:45], v[8:9], v[68:71]
	v_lshl_add_u64 v[54:55], v[60:61], 0, v[56:57]
	s_lshr_b32 s10, s12, 27
	v_add_u32_e32 v83, s10, v81
	s_waitcnt vmcnt(6) lgkmcnt(2)
	v_mfma_f32_16x16x16_f16 v[62:65], v[18:19], v[2:3], v[64:67]
	v_add_u32_e32 v70, s10, v78
	v_add_u32_e32 v71, s10, v80
	v_lshl_add_u64 v[68:69], v[72:73], 0, v[50:51]
	v_lshl_add_u64 v[66:67], v[60:61], 0, v[52:53]
	global_load_dwordx4 v[58:61], v[58:59], off offset:2048
	s_waitcnt vmcnt(6)
	v_mfma_f32_16x16x16_f16 v[42:45], v[26:27], v[2:3], v[42:45]
	v_ashrrev_i32_e32 v50, 5, v70
	v_add_u32_e32 v84, s10, v82
	s_add_u32 s4, s14, s4
	v_mfma_f32_16x16x16_f16 v[18:21], v[20:21], v[4:5], v[62:65]
	s_addc_u32 s5, s15, s5
	v_mfma_f32_16x16x16_f16 v[26:29], v[28:29], v[4:5], v[42:45]
	s_nop 0
	v_lshl_add_u64 v[62:63], v[72:73], 0, v[56:57]
	v_ashrrev_i32_e32 v56, 5, v71
	v_ashrrev_i32_e32 v64, 5, v83
	s_waitcnt vmcnt(5) lgkmcnt(1)
	v_mfma_f32_16x16x16_f16 v[18:21], v[14:15], v[46:47], v[18:21]
	global_load_dwordx4 v[42:45], v[54:55], off
	v_cndmask_b32_e32 v14, v79, v50, vcc
	v_cmp_gt_i32_e32 vcc, s33, v80
	s_waitcnt vmcnt(4)
	v_mfma_f32_16x16x16_f16 v[26:29], v[30:31], v[46:47], v[26:29]
	v_ashrrev_i32_e32 v15, 31, v14
	v_cndmask_b32_e32 v30, v79, v56, vcc
	v_ashrrev_i32_e32 v31, 31, v30
	v_lshl_add_u64 v[14:15], v[14:15], 2, s[6:7]
	v_lshl_add_u64 v[30:31], v[30:31], 2, s[6:7]
	global_load_dword v92, v[14:15], off
	global_load_dword v93, v[30:31], off
	v_mfma_f32_16x16x16_f16 v[14:17], v[16:17], v[48:49], v[18:21]
	v_cmp_gt_i32_e32 vcc, s33, v81
	v_ashrrev_i32_e32 v83, 5, v84
	s_nop 0
	global_load_dwordx4 v[18:21], v[66:67], off
	s_waitcnt lgkmcnt(0)
	v_mfma_f32_16x16x16_f16 v[14:17], v[10:11], v[38:39], v[14:17]
	v_cndmask_b32_e32 v10, v79, v64, vcc
	v_ashrrev_i32_e32 v11, 31, v10
	v_lshl_add_u64 v[10:11], v[10:11], 2, s[6:7]
	v_mfma_f32_16x16x16_f16 v[64:67], v[12:13], v[40:41], v[14:17]
	global_load_dword v94, v[10:11], off
	v_cmp_gt_i32_e32 vcc, s33, v82
	s_nop 0
	v_lshl_add_u64 v[14:15], v[72:73], 0, v[52:53]
	global_load_dwordx4 v[88:91], v[14:15], off
	global_load_dwordx4 v[54:57], v[68:69], off
	v_cndmask_b32_e32 v10, v79, v83, vcc
	global_load_dwordx4 v[68:71], v[68:69], off offset:2048
	v_ashrrev_i32_e32 v11, 31, v10
	global_load_dwordx4 v[82:85], v[62:63], off
	v_lshl_add_u64 v[10:11], v[10:11], 2, s[6:7]
	global_load_dword v95, v[10:11], off
	s_waitcnt vmcnt(11)
	v_mfma_f32_16x16x16_f16 v[10:13], v[34:35], v[6:7], 0
	v_and_b32_e32 v14, 16, v0
	v_lshlrev_b32_e32 v50, 1, v14
	v_mfma_f32_16x16x16_f16 v[10:13], v[36:37], v[8:9], v[10:13]
	v_lshl_add_u64 v[36:37], s[4:5], 0, v[50:51]
	v_lshlrev_b32_e32 v50, 6, v87
	s_waitcnt vmcnt(8)
	v_mad_i64_i32 v[14:15], s[4:5], v92, s9, 0
	v_mfma_f32_16x16x16_f16 v[10:13], v[58:59], v[2:3], v[10:13]
	v_lshlrev_b64 v[72:73], 1, v[14:15]
	v_mfma_f32_16x16x16_f16 v[10:13], v[60:61], v[4:5], v[10:13]
	v_lshl_add_u64 v[60:61], v[36:37], 0, v[50:51]
	v_lshl_add_u64 v[14:15], v[60:61], 0, v[72:73]
	v_or_b32_e32 v50, 0x1000, v50
	v_mfma_f32_16x16x16_f16 v[10:13], v[42:43], v[46:47], v[10:13]
	v_lshl_add_u64 v[62:63], v[36:37], 0, v[50:51]
	v_lshl_add_u64 v[50:51], v[62:63], 0, v[72:73]
	v_mfma_f32_16x16x16_f16 v[26:29], v[32:33], v[48:49], v[26:29]
	v_mfma_f32_16x16x16_f16 v[10:13], v[44:45], v[48:49], v[10:13]
	;; [unrolled: 1-line block ×3, first 2 shown]
	s_waitcnt vmcnt(6)
	v_mfma_f32_16x16x16_f16 v[10:13], v[18:19], v[38:39], v[10:13]
	v_mfma_f32_16x16x16_f16 v[78:81], v[24:25], v[40:41], v[26:29]
	global_load_dwordx4 v[30:33], v[14:15], off
	s_nop 2
	global_load_dwordx4 v[26:29], v[14:15], off offset:16
	v_mad_i64_i32 v[14:15], s[4:5], v93, s9, 0
	v_lshlrev_b64 v[34:35], 1, v[14:15]
	v_mfma_f32_16x16x16_f16 v[42:45], v[20:21], v[40:41], v[10:13]
	s_nop 2
	v_lshl_add_u64 v[10:11], v[60:61], 0, v[34:35]
	global_load_dwordx4 v[22:25], v[10:11], off
	global_load_dwordx4 v[18:21], v[10:11], off offset:16
	s_waitcnt vmcnt(7)
	v_mfma_f32_16x16x16_f16 v[10:13], v[54:55], v[6:7], 0
	v_mad_i64_i32 v[6:7], s[4:5], v94, s9, 0
	v_lshlrev_b64 v[52:53], 1, v[6:7]
	v_mfma_f32_16x16x16_f16 v[6:9], v[56:57], v[8:9], v[10:13]
	v_lshl_add_u64 v[34:35], v[62:63], 0, v[34:35]
	s_waitcnt vmcnt(6)
	v_mfma_f32_16x16x16_f16 v[6:9], v[68:69], v[2:3], v[6:9]
	s_waitcnt vmcnt(4)
	v_mad_i64_i32 v[2:3], s[4:5], v95, s9, 0
	v_lshlrev_b64 v[58:59], 1, v[2:3]
	v_mfma_f32_16x16x16_f16 v[54:57], v[70:71], v[4:5], v[6:9]
	v_lshl_add_u64 v[10:11], v[60:61], 0, v[52:53]
	v_lshl_add_u64 v[2:3], v[60:61], 0, v[58:59]
	v_pk_mul_f32 v[60:61], s[8:9], v[64:65] op_sel_hi:[0,1]
	v_mfma_f32_16x16x16_f16 v[54:57], v[82:83], v[46:47], v[54:57]
	v_pk_mul_f32 v[82:83], s[8:9], v[66:67] op_sel_hi:[0,1]
	v_pk_mul_f32 v[70:71], s[8:9], v[78:79] op_sel_hi:[0,1]
	;; [unrolled: 1-line block ×3, first 2 shown]
	v_mfma_f32_16x16x16_f16 v[46:49], v[84:85], v[48:49], v[54:57]
	v_pk_mul_f32 v[84:85], s[8:9], v[80:81] op_sel_hi:[0,1]
	v_pk_mul_f32 v[80:81], s[8:9], v[42:43] op_sel_hi:[0,1]
	global_load_dwordx4 v[14:17], v[10:11], off
	s_nop 0
	global_load_dwordx4 v[10:13], v[10:11], off offset:16
	v_mfma_f32_16x16x16_f16 v[36:39], v[88:89], v[38:39], v[46:49]
	global_load_dwordx4 v[6:9], v[2:3], off
	s_nop 0
	global_load_dwordx4 v[2:5], v[2:3], off offset:16
	v_lshl_add_u64 v[58:59], v[62:63], 0, v[58:59]
	v_mfma_f32_16x16x16_f16 v[36:39], v[90:91], v[40:41], v[36:39]
	s_nop 6
	v_pk_mul_f32 v[72:73], s[8:9], v[36:37] op_sel_hi:[0,1]
	v_and_b32_e32 v36, 0xc0, v0
	v_add_u32_e32 v36, s18, v36
	v_lshl_or_b32 v36, v1, 2, v36
	v_pk_mul_f32 v[66:67], s[8:9], v[38:39] op_sel_hi:[0,1]
	v_or_b32_e32 v39, 1, v36
	v_mov_b32_e32 v37, 0xff7fffff
	v_cmp_gt_i32_e64 s[28:29], s33, v36
	v_cmp_gt_i32_e64 s[30:31], s33, v39
	v_or_b32_e32 v40, 3, v36
	v_cndmask_b32_e64 v38, v37, v60, s[28:29]
	v_cndmask_b32_e64 v39, v37, v61, s[30:31]
	v_max3_f32 v38, v38, s41, v39
	v_or_b32_e32 v39, 2, v36
	v_cmp_gt_i32_e64 s[34:35], s33, v39
	v_cmp_gt_i32_e64 s[36:37], s33, v40
	s_nop 0
	v_cndmask_b32_e64 v39, v37, v82, s[34:35]
	v_cndmask_b32_e64 v40, v37, v83, s[36:37]
	v_max3_f32 v38, v38, v39, v40
	v_or_b32_e32 v39, 16, v36
	v_or_b32_e32 v40, 17, v36
	v_cmp_gt_i32_e64 s[22:23], s33, v39
	v_cmp_gt_i32_e64 s[24:25], s33, v40
	s_nop 0
	v_cndmask_b32_e64 v39, v37, v70, s[22:23]
	v_cndmask_b32_e64 v40, v37, v71, s[24:25]
	v_max3_f32 v38, v38, v39, v40
	v_or_b32_e32 v39, 18, v36
	;; [unrolled: 8-line block ×6, first 2 shown]
	v_or_b32_e32 v36, 51, v36
	v_cmp_gt_i32_e32 vcc, s33, v39
	v_cmp_gt_i32_e64 s[4:5], s33, v36
	s_nop 0
	v_cndmask_b32_e32 v39, v37, v66, vcc
	v_cndmask_b32_e64 v36, v37, v67, s[4:5]
	v_max3_f32 v54, v38, v39, v36
	v_mbcnt_lo_u32_b32 v36, -1, 0
	v_mbcnt_hi_u32_b32 v55, -1, v36
	v_and_b32_e32 v36, 64, v55
	v_add_u32_e32 v56, 64, v36
	v_xor_b32_e32 v36, 32, v55
	v_cmp_lt_i32_e64 s[38:39], v36, v56
	global_load_dwordx4 v[46:49], v[50:51], off
	global_load_dwordx4 v[38:41], v[50:51], off offset:16
	v_cndmask_b32_e64 v36, v55, v36, s[38:39]
	v_lshlrev_b32_e32 v89, 2, v36
	ds_bpermute_b32 v57, v89, v54
	global_load_dwordx4 v[42:45], v[34:35], off
	s_nop 0
	global_load_dwordx4 v[34:37], v[34:35], off offset:16
	s_waitcnt lgkmcnt(0)
	v_max_f32_e32 v50, v57, v57
	v_max_f32_e32 v64, v54, v50
	v_xor_b32_e32 v50, 16, v55
	v_cmp_lt_i32_e64 s[38:39], v50, v56
	s_nop 1
	v_cndmask_b32_e64 v50, v55, v50, s[38:39]
	v_lshlrev_b32_e32 v90, 2, v50
	ds_bpermute_b32 v65, v90, v64
	v_lshl_add_u64 v[50:51], v[62:63], 0, v[52:53]
	global_load_dwordx4 v[54:57], v[50:51], off
	s_nop 0
	global_load_dwordx4 v[50:53], v[50:51], off offset:16
	s_waitcnt lgkmcnt(0)
	v_max_f32_e32 v62, v65, v65
	v_max_f32_e32 v88, v64, v62
	v_sub_f32_e32 v60, v60, v88
	v_mul_f32_e32 v60, 0x3fb8aa3b, v60
	v_exp_f32_e32 v68, v60
	v_sub_f32_e32 v60, v61, v88
	v_mul_f32_e32 v60, 0x3fb8aa3b, v60
	v_exp_f32_e32 v69, v60
	global_load_dwordx4 v[62:65], v[58:59], off
	s_nop 0
	global_load_dwordx4 v[58:61], v[58:59], off offset:16
	v_sub_f32_e32 v82, v82, v88
	v_mul_f32_e32 v82, 0x3fb8aa3b, v82
	v_sub_f32_e32 v83, v83, v88
	v_exp_f32_e32 v82, v82
	v_mul_f32_e32 v83, 0x3fb8aa3b, v83
	v_sub_f32_e32 v70, v70, v88
	v_exp_f32_e32 v83, v83
	v_mul_f32_e32 v70, 0x3fb8aa3b, v70
	v_sub_f32_e32 v71, v71, v88
	v_cndmask_b32_e64 v68, 0, v68, s[28:29]
	v_exp_f32_e32 v70, v70
	v_mul_f32_e32 v71, 0x3fb8aa3b, v71
	v_sub_f32_e32 v84, v84, v88
	v_add_f32_e32 v91, 0, v68
	v_cndmask_b32_e64 v69, 0, v69, s[30:31]
	v_exp_f32_e32 v71, v71
	v_mul_f32_e32 v84, 0x3fb8aa3b, v84
	v_sub_f32_e32 v85, v85, v88
	v_add_f32_e32 v91, v91, v69
	;; [unrolled: 5-line block ×10, first 2 shown]
	v_cndmask_b32_e64 v78, 0, v78, s[10:11]
	v_exp_f32_e32 v66, v66
	v_mul_f32_e32 v67, 0x3fb8aa3b, v67
	v_add_f32_e32 v91, v91, v78
	v_cndmask_b32_e64 v79, 0, v79, s[12:13]
	v_exp_f32_e32 v67, v67
	v_add_f32_e32 v91, v91, v79
	v_cndmask_b32_e64 v72, 0, v72, s[6:7]
	v_add_f32_e32 v91, v91, v72
	v_cndmask_b32_e64 v73, 0, v73, s[8:9]
	v_add_f32_e32 v91, v91, v73
	v_cndmask_b32_e32 v66, 0, v66, vcc
	v_add_f32_e32 v91, v91, v66
	v_cndmask_b32_e64 v67, 0, v67, s[4:5]
	v_add_f32_e32 v91, v91, v67
	ds_bpermute_b32 v89, v89, v91
	v_cmp_gt_u32_e32 vcc, 16, v77
	s_waitcnt lgkmcnt(0)
	s_barrier
	v_add_f32_e32 v89, v91, v89
	ds_bpermute_b32 v90, v90, v89
	s_and_saveexec_b64 s[4:5], vcc
	s_cbranch_execz .LBB333_15
; %bb.14:
	s_waitcnt lgkmcnt(0)
	v_add_f32_e32 v77, v89, v90
	v_lshlrev_b32_e32 v87, 2, v87
	ds_write2st64_b32 v87, v88, v77 offset1:1
.LBB333_15:
	s_or_b64 exec, exec, s[4:5]
	v_lshlrev_b32_e32 v77, 2, v76
	s_load_dword s6, s[0:1], 0x94
	s_waitcnt lgkmcnt(0)
	s_barrier
	ds_read2_b32 v[88:89], v77 offset1:16
	ds_read2_b32 v[90:91], v77 offset0:32 offset1:48
	ds_read2_b32 v[92:93], v77 offset0:64 offset1:80
	ds_read2_b32 v[94:95], v77 offset0:96 offset1:112
	s_waitcnt lgkmcnt(0)
	v_max3_f32 v87, v88, s41, v89
	v_max3_f32 v87, v87, v90, v91
	v_sub_f32_e32 v88, v88, v87
	v_mul_f32_e32 v88, 0x3fb8aa3b, v88
	v_exp_f32_e32 v86, v88
	v_sub_f32_e32 v88, v89, v87
	v_mul_f32_e32 v88, 0x3fb8aa3b, v88
	v_exp_f32_e32 v89, v88
	v_sub_f32_e32 v88, v90, v87
	v_mul_f32_e32 v88, 0x3fb8aa3b, v88
	v_sub_f32_e32 v77, v91, v87
	v_exp_f32_e32 v90, v88
	v_mul_f32_e32 v77, 0x3fb8aa3b, v77
	v_exp_f32_e32 v77, v77
	v_fma_f32 v88, v86, v92, 0
	v_fmac_f32_e32 v88, v89, v93
	v_fmac_f32_e32 v88, v90, v94
	v_fmac_f32_e32 v88, v77, v95
	v_add_f32_e32 v91, 0x358637bd, v88
	v_div_scale_f32 v92, s[4:5], v91, v91, 1.0
	v_rcp_f32_e32 v93, v92
	s_barrier
	s_mul_i32 s7, s27, 10
	v_fma_f32 v94, -v92, v93, 1.0
	v_fmac_f32_e32 v93, v94, v93
	v_div_scale_f32 v94, vcc, 1.0, v91, 1.0
	v_mul_f32_e32 v95, v94, v93
	v_fma_f32 v1, -v92, v95, v94
	v_fmac_f32_e32 v95, v1, v93
	v_fma_f32 v1, -v92, v95, v94
	v_div_fmas_f32 v1, v1, v93, v95
	v_div_fixup_f32 v1, v1, v91, 1.0
	v_lshrrev_b32_e32 v91, 6, v0
	v_cmp_eq_u32_e32 vcc, 1, v91
	s_nop 1
	v_cndmask_b32_e32 v86, v86, v89, vcc
	v_cmp_eq_u32_e32 vcc, 2, v91
	s_nop 1
	v_cndmask_b32_e32 v86, v86, v90, vcc
	;; [unrolled: 3-line block ×3, first 2 shown]
	v_mul_f32_e32 v90, v77, v1
	v_pk_mul_f32 v[82:83], v[90:91], v[82:83] op_sel_hi:[0,1]
	v_pk_mul_f32 v[68:69], v[90:91], v[68:69] op_sel_hi:[0,1]
	v_cvt_f16_f32_e32 v1, v68
	v_cvt_f16_f32_e32 v68, v69
	;; [unrolled: 1-line block ×4, first 2 shown]
	v_pk_mul_f32 v[84:85], v[90:91], v[84:85] op_sel_hi:[0,1]
	v_pk_mul_f32 v[70:71], v[90:91], v[70:71] op_sel_hi:[0,1]
	v_bfe_u32 v86, v0, 4, 2
	v_pack_b32_f16 v83, v69, v77
	v_cvt_f16_f32_e32 v69, v70
	v_cvt_f16_f32_e32 v70, v71
	;; [unrolled: 1-line block ×4, first 2 shown]
	v_pack_b32_f16 v82, v1, v68
	v_lshlrev_b32_e32 v1, 3, v86
	v_lshlrev_b32_e32 v68, 5, v76
	;; [unrolled: 1-line block ×3, first 2 shown]
	v_or3_b32 v1, v84, v68, v1
	v_pack_b32_f16 v70, v69, v70
	v_pack_b32_f16 v71, v71, v77
	ds_write2st64_b64 v1, v[82:83], v[70:71] offset1:1
	v_pk_mul_f32 v[70:71], v[90:91], v[78:79] op_sel_hi:[0,1]
	v_pk_mul_f32 v[78:79], v[90:91], v[80:81] op_sel_hi:[0,1]
	v_cvt_f16_f32_e32 v69, v78
	v_cvt_f16_f32_e32 v77, v79
	;; [unrolled: 1-line block ×4, first 2 shown]
	v_pk_mul_f32 v[66:67], v[90:91], v[66:67] op_sel_hi:[0,1]
	v_pk_mul_f32 v[70:71], v[90:91], v[72:73] op_sel_hi:[0,1]
	v_cvt_f16_f32_e32 v70, v70
	v_cvt_f16_f32_e32 v71, v71
	;; [unrolled: 1-line block ×4, first 2 shown]
	v_pack_b32_f16 v66, v69, v77
	v_pack_b32_f16 v67, v78, v79
	;; [unrolled: 1-line block ×4, first 2 shown]
	v_cmp_gt_u32_e32 vcc, 10, v0
	ds_write2st64_b64 v1, v[66:67], v[70:71] offset0:2 offset1:3
	s_and_saveexec_b64 s[4:5], vcc
	s_cbranch_execz .LBB333_17
; %bb.16:
	s_mov_b32 s41, 0
	v_mov_b32_e32 v77, 0
	v_lshl_add_u64 v[66:67], s[40:41], 0, v[76:77]
	v_mov_b32_e32 v69, s7
	v_mad_u64_u32 v[66:67], s[12:13], s2, v69, v[66:67]
	s_mul_i32 s3, s3, s7
	v_mov_b32_e32 v70, s26
	v_mov_b32_e32 v71, v77
	s_load_dwordx4 s[8:11], s[0:1], 0x58
	v_add_u32_e32 v69, s3, v67
	v_mad_u64_u32 v[66:67], s[12:13], v66, s6, v[70:71]
	v_mov_b32_e32 v70, v67
	v_mad_u64_u32 v[70:71], s[12:13], v69, s6, v[70:71]
	v_mov_b32_e32 v67, v70
	v_lshlrev_b64 v[66:67], 2, v[66:67]
	s_waitcnt lgkmcnt(0)
	v_lshl_add_u64 v[70:71], s[10:11], 0, v[66:67]
	v_lshl_add_u64 v[66:67], s[8:9], 0, v[66:67]
	global_store_dword v[70:71], v87, off
	global_store_dword v[66:67], v88, off
.LBB333_17:
	s_or_b64 exec, exec, s[4:5]
	v_lshl_or_b32 v77, v86, 9, v68
	s_waitcnt lgkmcnt(0)
	s_barrier
	ds_read_b128 v[70:73], v77
	ds_read_b128 v[66:69], v77 offset:16
	s_waitcnt vmcnt(15) lgkmcnt(1)
	v_mfma_f32_16x16x16_f16 v[78:81], v[30:31], v[70:71], 0
	s_mov_b32 s3, 0
	v_cmp_gt_u32_e32 vcc, 64, v0
	v_mfma_f32_16x16x16_f16 v[30:33], v[32:33], v[72:73], v[78:81]
	s_waitcnt vmcnt(14) lgkmcnt(0)
	v_mfma_f32_16x16x16_f16 v[30:33], v[26:27], v[66:67], v[30:33]
	v_mfma_f32_16x16x16_f16 v[26:29], v[28:29], v[68:69], v[30:33]
	s_nop 5
	ds_read_b128 v[30:33], v77 offset:2048
	ds_read_b128 v[78:81], v77 offset:2064
	s_waitcnt vmcnt(13) lgkmcnt(1)
	v_mfma_f32_16x16x16_f16 v[26:29], v[22:23], v[30:31], v[26:29]
	v_mfma_f32_16x16x16_f16 v[22:25], v[24:25], v[32:33], v[26:29]
	s_waitcnt vmcnt(12) lgkmcnt(0)
	v_mfma_f32_16x16x16_f16 v[22:25], v[18:19], v[78:79], v[22:25]
	v_mfma_f32_16x16x16_f16 v[18:21], v[20:21], v[80:81], v[22:25]
	s_nop 5
	ds_read_b128 v[22:25], v77 offset:4096
	ds_read_b128 v[26:29], v77 offset:4112
	s_waitcnt vmcnt(11) lgkmcnt(1)
	v_mfma_f32_16x16x16_f16 v[18:21], v[14:15], v[22:23], v[18:21]
	v_mfma_f32_16x16x16_f16 v[14:17], v[16:17], v[24:25], v[18:21]
	s_waitcnt vmcnt(10) lgkmcnt(0)
	v_mfma_f32_16x16x16_f16 v[14:17], v[10:11], v[26:27], v[14:17]
	v_mfma_f32_16x16x16_f16 v[10:13], v[12:13], v[28:29], v[14:17]
	s_nop 5
	ds_read_b128 v[14:17], v77 offset:6144
	ds_read_b128 v[18:21], v77 offset:6160
	s_waitcnt lgkmcnt(0)
	s_barrier
	s_waitcnt vmcnt(9)
	v_mfma_f32_16x16x16_f16 v[10:13], v[6:7], v[14:15], v[10:13]
	v_mfma_f32_16x16x16_f16 v[6:9], v[8:9], v[16:17], v[10:13]
	s_waitcnt vmcnt(8)
	v_mfma_f32_16x16x16_f16 v[6:9], v[2:3], v[18:19], v[6:9]
	v_mfma_f32_16x16x16_f16 v[2:5], v[4:5], v[20:21], v[6:9]
	s_waitcnt vmcnt(7)
	v_mfma_f32_16x16x16_f16 v[6:9], v[46:47], v[70:71], 0
	v_mfma_f32_16x16x16_f16 v[6:9], v[48:49], v[72:73], v[6:9]
	s_nop 3
	v_cvt_f16_f32_e32 v10, v2
	v_cvt_f16_f32_e32 v11, v3
	;; [unrolled: 1-line block ×3, first 2 shown]
	s_waitcnt vmcnt(6)
	v_mfma_f32_16x16x16_f16 v[6:9], v[38:39], v[66:67], v[6:9]
	v_cvt_f16_f32_e32 v13, v5
	v_mfma_f32_16x16x16_f16 v[6:9], v[40:41], v[68:69], v[6:9]
	s_waitcnt vmcnt(5)
	v_mfma_f32_16x16x16_f16 v[6:9], v[42:43], v[30:31], v[6:9]
	v_mfma_f32_16x16x16_f16 v[6:9], v[44:45], v[32:33], v[6:9]
	s_waitcnt vmcnt(4)
	v_mfma_f32_16x16x16_f16 v[6:9], v[34:35], v[78:79], v[6:9]
	;; [unrolled: 3-line block ×6, first 2 shown]
	v_mfma_f32_16x16x16_f16 v[2:5], v[60:61], v[20:21], v[6:9]
	s_nop 6
	v_cvt_f16_f32_e32 v6, v2
	v_cvt_f16_f32_e32 v7, v3
	;; [unrolled: 1-line block ×4, first 2 shown]
	v_pack_b32_f16 v2, v10, v11
	v_pack_b32_f16 v3, v12, v13
	v_pack_b32_f16 v4, v6, v7
	v_pack_b32_f16 v5, v8, v5
	ds_write2st64_b64 v1, v[2:3], v[4:5] offset1:1
	s_waitcnt lgkmcnt(0)
	s_barrier
	s_and_saveexec_b64 s[4:5], vcc
	s_cbranch_execz .LBB333_20
; %bb.18:
	s_load_dwordx2 s[4:5], s[0:1], 0x68
	s_lshl_b32 s0, s6, 7
	s_mul_i32 s1, s7, s2
	v_lshlrev_b32_e32 v3, 6, v76
	s_mul_hi_u32 s7, s1, s0
	s_mul_i32 s6, s1, s0
	v_lshlrev_b32_e32 v2, 4, v0
	v_lshl_or_b32 v0, v0, 10, v3
	s_lshl_b64 s[6:7], s[6:7], 1
	v_lshlrev_b32_e32 v1, 5, v86
	v_and_b32_e32 v2, 16, v2
	v_and_b32_e32 v0, 0x1a00, v0
	s_waitcnt lgkmcnt(0)
	s_add_u32 s1, s4, s6
	v_or3_b32 v2, v0, v1, v2
	s_addc_u32 s4, s5, s7
	s_lshl_b32 s2, s26, 7
	s_lshl_b64 s[2:3], s[2:3], 1
	ds_read_b128 v[4:7], v2 offset:128
	ds_read_b128 v[8:11], v2
	s_add_u32 s2, s1, s2
	s_addc_u32 s3, s4, s3
	v_add_u32_e32 v14, s40, v86
	v_lshl_add_u64 v[0:1], v[74:75], 1, s[2:3]
	v_mad_u64_u32 v[12:13], s[2:3], v14, s0, 0
	v_lshl_add_u64 v[12:13], v[12:13], 1, v[0:1]
	s_waitcnt lgkmcnt(0)
	global_store_dwordx4 v[12:13], v[8:11], off
	v_or_b32_e32 v3, 8, v86
	v_cmp_gt_u32_e32 vcc, 10, v3
	v_add_u32_e32 v8, 4, v14
	v_mad_u64_u32 v[8:9], s[2:3], v8, s0, 0
	v_lshl_add_u64 v[8:9], v[8:9], 1, v[0:1]
	global_store_dwordx4 v[8:9], v[4:7], off
	s_and_b64 exec, exec, vcc
	s_cbranch_execz .LBB333_20
; %bb.19:
	ds_read_b128 v[4:7], v2 offset:256
	v_add_u32_e32 v2, s40, v3
	v_mad_u64_u32 v[2:3], s[0:1], v2, s0, 0
	v_lshl_add_u64 v[0:1], v[2:3], 1, v[0:1]
	s_waitcnt lgkmcnt(0)
	global_store_dwordx4 v[0:1], v[4:7], off
.LBB333_20:
	s_endpgm
	.section	.rodata,"a",@progbits
	.p2align	6, 0x0
	.amdhsa_kernel _Z39paged_attention_ll4mi_QKV_mfma16_kernelIDF16_DF16_LN4vllm18Fp8KVCacheDataTypeE0EhLi32ELi128ELi256ELb0ELi10EEvPKT_PKT0_S7_ifPKiS9_S9_iPKfiiiPfSC_PS2_PT2_iSB_SB_
		.amdhsa_group_segment_fixed_size 8192
		.amdhsa_private_segment_fixed_size 0
		.amdhsa_kernarg_size 400
		.amdhsa_user_sgpr_count 2
		.amdhsa_user_sgpr_dispatch_ptr 0
		.amdhsa_user_sgpr_queue_ptr 0
		.amdhsa_user_sgpr_kernarg_segment_ptr 1
		.amdhsa_user_sgpr_dispatch_id 0
		.amdhsa_user_sgpr_kernarg_preload_length 0
		.amdhsa_user_sgpr_kernarg_preload_offset 0
		.amdhsa_user_sgpr_private_segment_size 0
		.amdhsa_uses_dynamic_stack 0
		.amdhsa_enable_private_segment 0
		.amdhsa_system_sgpr_workgroup_id_x 1
		.amdhsa_system_sgpr_workgroup_id_y 1
		.amdhsa_system_sgpr_workgroup_id_z 1
		.amdhsa_system_sgpr_workgroup_info 0
		.amdhsa_system_vgpr_workitem_id 0
		.amdhsa_next_free_vgpr 96
		.amdhsa_next_free_sgpr 42
		.amdhsa_accum_offset 96
		.amdhsa_reserve_vcc 1
		.amdhsa_float_round_mode_32 0
		.amdhsa_float_round_mode_16_64 0
		.amdhsa_float_denorm_mode_32 3
		.amdhsa_float_denorm_mode_16_64 3
		.amdhsa_dx10_clamp 1
		.amdhsa_ieee_mode 1
		.amdhsa_fp16_overflow 0
		.amdhsa_tg_split 0
		.amdhsa_exception_fp_ieee_invalid_op 0
		.amdhsa_exception_fp_denorm_src 0
		.amdhsa_exception_fp_ieee_div_zero 0
		.amdhsa_exception_fp_ieee_overflow 0
		.amdhsa_exception_fp_ieee_underflow 0
		.amdhsa_exception_fp_ieee_inexact 0
		.amdhsa_exception_int_div_zero 0
	.end_amdhsa_kernel
	.section	.text._Z39paged_attention_ll4mi_QKV_mfma16_kernelIDF16_DF16_LN4vllm18Fp8KVCacheDataTypeE0EhLi32ELi128ELi256ELb0ELi10EEvPKT_PKT0_S7_ifPKiS9_S9_iPKfiiiPfSC_PS2_PT2_iSB_SB_,"axG",@progbits,_Z39paged_attention_ll4mi_QKV_mfma16_kernelIDF16_DF16_LN4vllm18Fp8KVCacheDataTypeE0EhLi32ELi128ELi256ELb0ELi10EEvPKT_PKT0_S7_ifPKiS9_S9_iPKfiiiPfSC_PS2_PT2_iSB_SB_,comdat
.Lfunc_end333:
	.size	_Z39paged_attention_ll4mi_QKV_mfma16_kernelIDF16_DF16_LN4vllm18Fp8KVCacheDataTypeE0EhLi32ELi128ELi256ELb0ELi10EEvPKT_PKT0_S7_ifPKiS9_S9_iPKfiiiPfSC_PS2_PT2_iSB_SB_, .Lfunc_end333-_Z39paged_attention_ll4mi_QKV_mfma16_kernelIDF16_DF16_LN4vllm18Fp8KVCacheDataTypeE0EhLi32ELi128ELi256ELb0ELi10EEvPKT_PKT0_S7_ifPKiS9_S9_iPKfiiiPfSC_PS2_PT2_iSB_SB_
                                        ; -- End function
	.section	.AMDGPU.csdata,"",@progbits
; Kernel info:
; codeLenInByte = 4584
; NumSgprs: 48
; NumVgprs: 96
; NumAgprs: 0
; TotalNumVgprs: 96
; ScratchSize: 0
; MemoryBound: 0
; FloatMode: 240
; IeeeMode: 1
; LDSByteSize: 8192 bytes/workgroup (compile time only)
; SGPRBlocks: 5
; VGPRBlocks: 11
; NumSGPRsForWavesPerEU: 48
; NumVGPRsForWavesPerEU: 96
; AccumOffset: 96
; Occupancy: 5
; WaveLimiterHint : 1
; COMPUTE_PGM_RSRC2:SCRATCH_EN: 0
; COMPUTE_PGM_RSRC2:USER_SGPR: 2
; COMPUTE_PGM_RSRC2:TRAP_HANDLER: 0
; COMPUTE_PGM_RSRC2:TGID_X_EN: 1
; COMPUTE_PGM_RSRC2:TGID_Y_EN: 1
; COMPUTE_PGM_RSRC2:TGID_Z_EN: 1
; COMPUTE_PGM_RSRC2:TIDIG_COMP_CNT: 0
; COMPUTE_PGM_RSRC3_GFX90A:ACCUM_OFFSET: 23
; COMPUTE_PGM_RSRC3_GFX90A:TG_SPLIT: 0
	.section	.text._Z39paged_attention_ll4mi_QKV_mfma16_kernelIDF16_DF16_LN4vllm18Fp8KVCacheDataTypeE0EhLi32ELi128ELi256ELb0ELi11EEvPKT_PKT0_S7_ifPKiS9_S9_iPKfiiiPfSC_PS2_PT2_iSB_SB_,"axG",@progbits,_Z39paged_attention_ll4mi_QKV_mfma16_kernelIDF16_DF16_LN4vllm18Fp8KVCacheDataTypeE0EhLi32ELi128ELi256ELb0ELi11EEvPKT_PKT0_S7_ifPKiS9_S9_iPKfiiiPfSC_PS2_PT2_iSB_SB_,comdat
	.protected	_Z39paged_attention_ll4mi_QKV_mfma16_kernelIDF16_DF16_LN4vllm18Fp8KVCacheDataTypeE0EhLi32ELi128ELi256ELb0ELi11EEvPKT_PKT0_S7_ifPKiS9_S9_iPKfiiiPfSC_PS2_PT2_iSB_SB_ ; -- Begin function _Z39paged_attention_ll4mi_QKV_mfma16_kernelIDF16_DF16_LN4vllm18Fp8KVCacheDataTypeE0EhLi32ELi128ELi256ELb0ELi11EEvPKT_PKT0_S7_ifPKiS9_S9_iPKfiiiPfSC_PS2_PT2_iSB_SB_
	.globl	_Z39paged_attention_ll4mi_QKV_mfma16_kernelIDF16_DF16_LN4vllm18Fp8KVCacheDataTypeE0EhLi32ELi128ELi256ELb0ELi11EEvPKT_PKT0_S7_ifPKiS9_S9_iPKfiiiPfSC_PS2_PT2_iSB_SB_
	.p2align	8
	.type	_Z39paged_attention_ll4mi_QKV_mfma16_kernelIDF16_DF16_LN4vllm18Fp8KVCacheDataTypeE0EhLi32ELi128ELi256ELb0ELi11EEvPKT_PKT0_S7_ifPKiS9_S9_iPKfiiiPfSC_PS2_PT2_iSB_SB_,@function
_Z39paged_attention_ll4mi_QKV_mfma16_kernelIDF16_DF16_LN4vllm18Fp8KVCacheDataTypeE0EhLi32ELi128ELi256ELb0ELi11EEvPKT_PKT0_S7_ifPKiS9_S9_iPKfiiiPfSC_PS2_PT2_iSB_SB_: ; @_Z39paged_attention_ll4mi_QKV_mfma16_kernelIDF16_DF16_LN4vllm18Fp8KVCacheDataTypeE0EhLi32ELi128ELi256ELb0ELi11EEvPKT_PKT0_S7_ifPKiS9_S9_iPKfiiiPfSC_PS2_PT2_iSB_SB_
; %bb.0:
	s_load_dwordx2 s[8:9], s[0:1], 0x30
	s_mov_b32 s26, s3
	s_mov_b64 s[6:7], 0
	s_waitcnt lgkmcnt(0)
	s_cmp_lg_u64 s[8:9], 0
	s_cselect_b64 s[10:11], -1, 0
	s_and_b64 vcc, exec, s[10:11]
	s_cbranch_vccz .LBB334_7
; %bb.1:
	s_add_i32 s12, s2, 1
	s_mov_b32 s13, 0
	s_lshl_b64 s[14:15], s[12:13], 2
	s_add_u32 s14, s8, s14
	s_mov_b32 s3, s13
	s_addc_u32 s15, s9, s15
	s_lshl_b64 s[12:13], s[2:3], 2
	s_add_u32 s12, s8, s12
	s_addc_u32 s13, s9, s13
	s_load_dword s5, s[14:15], 0x0
	s_load_dword s16, s[12:13], 0x0
	s_waitcnt lgkmcnt(0)
	s_sub_i32 s5, s5, s16
	s_cmp_eq_u32 s5, 1
	s_cselect_b64 s[12:13], -1, 0
	s_andn2_b64 vcc, exec, s[6:7]
	s_cbranch_vccnz .LBB334_3
.LBB334_2:
	s_mov_b32 s3, 0
	s_mov_b64 s[12:13], -1
.LBB334_3:
	s_andn2_b64 vcc, exec, s[12:13]
	s_cbranch_vccnz .LBB334_20
; %bb.4:
	s_load_dwordx2 s[6:7], s[0:1], 0x28
	s_lshl_b64 s[12:13], s[2:3], 2
	s_waitcnt lgkmcnt(0)
	s_add_u32 s6, s6, s12
	s_addc_u32 s7, s7, s13
	s_load_dword s33, s[6:7], 0x0
	s_lshl_b32 s18, s26, 8
	s_waitcnt lgkmcnt(0)
	s_cmp_ge_i32 s18, s33
	s_cbranch_scc1 .LBB334_20
; %bb.5:
	s_load_dwordx2 s[6:7], s[0:1], 0x20
	s_load_dword s5, s[0:1], 0x38
	s_add_i32 s14, s33, 31
	s_ashr_i32 s15, s14, 31
	v_and_b32_e32 v1, 0xcf, v0
	s_lshr_b32 s15, s15, 27
	v_add_u32_e32 v1, s18, v1
	s_add_i32 s14, s14, s15
	v_ashrrev_i32_e32 v2, 31, v1
	s_ashr_i32 s19, s14, 5
	v_lshrrev_b32_e32 v4, 27, v2
	s_add_i32 s19, s19, -1
	s_waitcnt lgkmcnt(0)
	s_mul_i32 s14, s2, s5
	s_mov_b32 s15, 0
	v_add_u32_e32 v2, v1, v4
	s_lshl_b64 s[14:15], s[14:15], 2
	v_ashrrev_i32_e32 v2, 5, v2
	v_mov_b32_e32 v5, s19
	v_cmp_gt_i32_e32 vcc, s33, v1
	s_add_u32 s6, s6, s14
	s_addc_u32 s7, s7, s15
	v_cndmask_b32_e32 v2, v5, v2, vcc
	v_ashrrev_i32_e32 v3, 31, v2
	v_lshl_add_u64 v[6:7], v[2:3], 2, s[6:7]
	v_or_b32_e32 v2, 16, v1
	v_add_u32_e32 v3, v2, v4
	v_ashrrev_i32_e32 v3, 5, v3
	v_cmp_gt_i32_e32 vcc, s33, v2
	s_nop 1
	v_cndmask_b32_e32 v2, v5, v3, vcc
	v_ashrrev_i32_e32 v3, 31, v2
	v_lshl_add_u64 v[8:9], v[2:3], 2, s[6:7]
	v_or_b32_e32 v2, 32, v1
	v_add_u32_e32 v3, v2, v4
	v_ashrrev_i32_e32 v3, 5, v3
	v_cmp_gt_i32_e32 vcc, s33, v2
	v_or_b32_e32 v1, 48, v1
	s_nop 0
	v_cndmask_b32_e32 v2, v5, v3, vcc
	v_ashrrev_i32_e32 v3, 31, v2
	v_lshl_add_u64 v[10:11], v[2:3], 2, s[6:7]
	v_add_u32_e32 v2, v1, v4
	v_ashrrev_i32_e32 v2, 5, v2
	v_cmp_gt_i32_e32 vcc, s33, v1
	s_nop 1
	v_cndmask_b32_e32 v2, v5, v2, vcc
	v_ashrrev_i32_e32 v3, 31, v2
	v_lshl_add_u64 v[12:13], v[2:3], 2, s[6:7]
	global_load_dword v2, v[6:7], off
	global_load_dword v5, v[8:9], off
	;; [unrolled: 1-line block ×4, first 2 shown]
	s_andn2_b64 vcc, exec, s[10:11]
	s_cbranch_vccnz .LBB334_8
; %bb.6:
	s_add_u32 s8, s8, s12
	s_addc_u32 s9, s9, s13
	s_load_dword s5, s[8:9], 0x0
	s_branch .LBB334_9
.LBB334_7:
	s_mov_b64 s[12:13], 0
	s_branch .LBB334_2
.LBB334_8:
	s_mov_b32 s5, s2
.LBB334_9:
	s_load_dwordx4 s[12:15], s[0:1], 0x8
	s_load_dwordx4 s[8:11], s[0:1], 0x48
	v_lshrrev_b32_e32 v86, 6, v0
	v_bfe_u32 v1, v0, 4, 2
	v_lshl_or_b32 v3, v86, 2, v1
	v_and_b32_e32 v76, 15, v0
	v_lshlrev_b32_e32 v74, 3, v76
	v_cmp_lt_u32_e32 vcc, 10, v3
	s_and_saveexec_b64 s[16:17], vcc
	s_xor_b64 s[16:17], exec, s[16:17]
; %bb.10:
	v_mov_b32_e32 v75, 0
                                        ; implicit-def: $vgpr3
; %bb.11:
	s_or_saveexec_b64 s[16:17], s[16:17]
	v_and_b32_e32 v77, 63, v0
	s_mul_i32 s40, s4, 11
	s_xor_b64 exec, exec, s[16:17]
	s_cbranch_execz .LBB334_13
; %bb.12:
	s_load_dwordx2 s[20:21], s[0:1], 0x0
	s_waitcnt lgkmcnt(0)
	s_ashr_i32 s11, s8, 31
	s_mul_hi_u32 s22, s5, s8
	s_mul_i32 s11, s5, s11
	s_add_i32 s23, s22, s11
	s_mul_i32 s22, s5, s8
	s_lshl_b64 s[22:23], s[22:23], 1
	s_add_u32 s20, s20, s22
	v_add_lshl_u32 v6, v3, s40, 7
	s_addc_u32 s21, s21, s23
	v_ashrrev_i32_e32 v7, 31, v6
	v_mov_b32_e32 v75, 0
	v_lshl_add_u64 v[6:7], v[6:7], 1, s[20:21]
	v_lshlrev_b32_e32 v8, 1, v74
	v_mov_b32_e32 v9, v75
	v_lshl_add_u64 v[6:7], v[6:7], 0, v[8:9]
	global_load_dwordx4 v[6:9], v[6:7], off
	v_and_b32_e32 v10, 3, v0
	v_lshlrev_b32_e32 v11, 9, v76
	v_lshlrev_b32_e32 v3, 5, v3
	v_lshlrev_b32_e32 v10, 9, v10
	v_and_b32_e32 v11, 0x1800, v11
	v_or3_b32 v3, v11, v10, v3
	s_waitcnt vmcnt(0)
	ds_write_b128 v3, v[6:9]
.LBB334_13:
	s_or_b64 exec, exec, s[16:17]
	s_waitcnt lgkmcnt(0)
	s_mul_i32 s4, s4, s10
	s_mov_b32 s5, 0
	s_lshl_b64 s[4:5], s[4:5], 1
	s_add_u32 s10, s12, s4
	s_addc_u32 s11, s13, s5
	s_waitcnt vmcnt(3)
	v_mad_i64_i32 v[2:3], s[12:13], v2, s9, 0
	v_lshl_add_u64 v[6:7], v[2:3], 1, s[10:11]
	v_lshlrev_b64 v[2:3], 1, v[74:75]
	v_lshlrev_b32_e32 v50, 9, v1
	v_lshl_add_u64 v[6:7], v[6:7], 0, v[2:3]
	v_mov_b32_e32 v51, 0
	v_lshl_add_u64 v[8:9], v[6:7], 0, v[50:51]
	s_load_dword s27, s[0:1], 0x98
	s_load_dword s8, s[0:1], 0x1c
	s_waitcnt lgkmcnt(0)
	s_barrier
	global_load_dwordx4 v[38:41], v[8:9], off
	s_waitcnt vmcnt(3)
	v_mad_i64_i32 v[10:11], s[12:13], v5, s9, 0
	v_mov_b32_e32 v5, 0x100
	v_lshl_add_u64 v[10:11], v[10:11], 1, s[10:11]
	v_lshl_or_b32 v54, v76, 4, v5
	v_mov_b32_e32 v55, v51
	v_lshl_add_u64 v[22:23], v[10:11], 0, v[54:55]
	v_lshl_add_u64 v[10:11], v[22:23], 0, v[50:51]
	global_load_dwordx4 v[42:45], v[10:11], off
	global_load_dwordx4 v[18:21], v[8:9], off offset:2048
	global_load_dwordx4 v[26:29], v[10:11], off offset:2048
	v_or_b32_e32 v56, 0x1000, v50
	v_mov_b32_e32 v57, v51
	v_or_b32_e32 v52, 0x1800, v50
	v_mov_b32_e32 v53, v51
	v_lshl_add_u64 v[8:9], v[6:7], 0, v[56:57]
	v_lshl_add_u64 v[6:7], v[6:7], 0, v[52:53]
	global_load_dwordx4 v[14:17], v[8:9], off
	global_load_dwordx4 v[10:13], v[6:7], off
	v_lshl_add_u64 v[8:9], v[22:23], 0, v[56:57]
	global_load_dwordx4 v[30:33], v[8:9], off
	s_waitcnt vmcnt(8)
	v_mad_i64_i32 v[4:5], s[12:13], v4, s9, 0
	v_lshl_add_u64 v[4:5], v[4:5], 1, s[10:11]
	v_lshl_add_u64 v[60:61], v[4:5], 0, v[2:3]
	v_add_u32_e32 v2, -11, v76
	v_cmp_gt_u32_e32 vcc, 11, v76
	v_lshl_add_u64 v[6:7], v[22:23], 0, v[52:53]
	global_load_dwordx4 v[22:25], v[6:7], off
	v_cndmask_b32_e32 v2, v2, v76, vcc
	v_lshl_add_u64 v[58:59], v[60:61], 0, v[50:51]
	v_lshl_add_u32 v62, v2, 5, v50
	global_load_dwordx4 v[34:37], v[58:59], off
	ds_read_b128 v[6:9], v62
	ds_read_b128 v[2:5], v62 offset:2048
	s_waitcnt vmcnt(9)
	v_mad_i64_i32 v[72:73], s[12:13], v46, s9, 0
	s_ashr_i32 s12, s18, 31
	v_and_or_b32 v78, v0, 48, s18
	v_or_b32_e32 v80, 64, v78
	v_mov_b32_e32 v79, s19
	v_cmp_gt_i32_e32 vcc, s33, v78
	v_or_b32_e32 v81, 0x80, v78
	v_or_b32_e32 v82, 0xc0, v78
	v_lshl_or_b32 v87, v86, 4, v76
	s_mov_b32 s41, 0xff7fffff
	s_waitcnt vmcnt(7) lgkmcnt(1)
	v_mfma_f32_16x16x16_f16 v[68:71], v[42:43], v[6:7], 0
	v_mfma_f32_16x16x16_f16 v[64:67], v[38:39], v[6:7], 0
	;; [unrolled: 1-line block ×3, first 2 shown]
	ds_read_b128 v[46:49], v62 offset:4096
	ds_read_b128 v[38:41], v62 offset:6144
	v_lshl_add_u64 v[62:63], v[72:73], 1, s[10:11]
	v_lshl_add_u64 v[72:73], v[62:63], 0, v[54:55]
	v_mfma_f32_16x16x16_f16 v[42:45], v[44:45], v[8:9], v[68:71]
	v_lshl_add_u64 v[54:55], v[60:61], 0, v[56:57]
	s_lshr_b32 s10, s12, 27
	v_add_u32_e32 v83, s10, v81
	s_waitcnt vmcnt(6) lgkmcnt(2)
	v_mfma_f32_16x16x16_f16 v[62:65], v[18:19], v[2:3], v[64:67]
	v_add_u32_e32 v70, s10, v78
	v_add_u32_e32 v71, s10, v80
	v_lshl_add_u64 v[68:69], v[72:73], 0, v[50:51]
	v_lshl_add_u64 v[66:67], v[60:61], 0, v[52:53]
	global_load_dwordx4 v[58:61], v[58:59], off offset:2048
	s_waitcnt vmcnt(6)
	v_mfma_f32_16x16x16_f16 v[42:45], v[26:27], v[2:3], v[42:45]
	v_ashrrev_i32_e32 v50, 5, v70
	v_add_u32_e32 v84, s10, v82
	s_add_u32 s4, s14, s4
	v_mfma_f32_16x16x16_f16 v[18:21], v[20:21], v[4:5], v[62:65]
	s_addc_u32 s5, s15, s5
	v_mfma_f32_16x16x16_f16 v[26:29], v[28:29], v[4:5], v[42:45]
	s_nop 0
	v_lshl_add_u64 v[62:63], v[72:73], 0, v[56:57]
	v_ashrrev_i32_e32 v56, 5, v71
	v_ashrrev_i32_e32 v64, 5, v83
	s_waitcnt vmcnt(5) lgkmcnt(1)
	v_mfma_f32_16x16x16_f16 v[18:21], v[14:15], v[46:47], v[18:21]
	global_load_dwordx4 v[42:45], v[54:55], off
	v_cndmask_b32_e32 v14, v79, v50, vcc
	v_cmp_gt_i32_e32 vcc, s33, v80
	s_waitcnt vmcnt(4)
	v_mfma_f32_16x16x16_f16 v[26:29], v[30:31], v[46:47], v[26:29]
	v_ashrrev_i32_e32 v15, 31, v14
	v_cndmask_b32_e32 v30, v79, v56, vcc
	v_ashrrev_i32_e32 v31, 31, v30
	v_lshl_add_u64 v[14:15], v[14:15], 2, s[6:7]
	v_lshl_add_u64 v[30:31], v[30:31], 2, s[6:7]
	global_load_dword v92, v[14:15], off
	global_load_dword v93, v[30:31], off
	v_mfma_f32_16x16x16_f16 v[14:17], v[16:17], v[48:49], v[18:21]
	v_cmp_gt_i32_e32 vcc, s33, v81
	v_ashrrev_i32_e32 v83, 5, v84
	s_nop 0
	global_load_dwordx4 v[18:21], v[66:67], off
	s_waitcnt lgkmcnt(0)
	v_mfma_f32_16x16x16_f16 v[14:17], v[10:11], v[38:39], v[14:17]
	v_cndmask_b32_e32 v10, v79, v64, vcc
	v_ashrrev_i32_e32 v11, 31, v10
	v_lshl_add_u64 v[10:11], v[10:11], 2, s[6:7]
	v_mfma_f32_16x16x16_f16 v[64:67], v[12:13], v[40:41], v[14:17]
	global_load_dword v94, v[10:11], off
	v_cmp_gt_i32_e32 vcc, s33, v82
	s_nop 0
	v_lshl_add_u64 v[14:15], v[72:73], 0, v[52:53]
	global_load_dwordx4 v[88:91], v[14:15], off
	global_load_dwordx4 v[54:57], v[68:69], off
	v_cndmask_b32_e32 v10, v79, v83, vcc
	global_load_dwordx4 v[68:71], v[68:69], off offset:2048
	v_ashrrev_i32_e32 v11, 31, v10
	global_load_dwordx4 v[82:85], v[62:63], off
	v_lshl_add_u64 v[10:11], v[10:11], 2, s[6:7]
	global_load_dword v95, v[10:11], off
	s_waitcnt vmcnt(11)
	v_mfma_f32_16x16x16_f16 v[10:13], v[34:35], v[6:7], 0
	v_and_b32_e32 v14, 16, v0
	v_lshlrev_b32_e32 v50, 1, v14
	v_mfma_f32_16x16x16_f16 v[10:13], v[36:37], v[8:9], v[10:13]
	v_lshl_add_u64 v[36:37], s[4:5], 0, v[50:51]
	v_lshlrev_b32_e32 v50, 6, v87
	s_waitcnt vmcnt(8)
	v_mad_i64_i32 v[14:15], s[4:5], v92, s9, 0
	v_mfma_f32_16x16x16_f16 v[10:13], v[58:59], v[2:3], v[10:13]
	v_lshlrev_b64 v[72:73], 1, v[14:15]
	v_mfma_f32_16x16x16_f16 v[10:13], v[60:61], v[4:5], v[10:13]
	v_lshl_add_u64 v[60:61], v[36:37], 0, v[50:51]
	v_lshl_add_u64 v[14:15], v[60:61], 0, v[72:73]
	v_or_b32_e32 v50, 0x1000, v50
	v_mfma_f32_16x16x16_f16 v[10:13], v[42:43], v[46:47], v[10:13]
	v_lshl_add_u64 v[62:63], v[36:37], 0, v[50:51]
	v_lshl_add_u64 v[50:51], v[62:63], 0, v[72:73]
	v_mfma_f32_16x16x16_f16 v[26:29], v[32:33], v[48:49], v[26:29]
	v_mfma_f32_16x16x16_f16 v[10:13], v[44:45], v[48:49], v[10:13]
	;; [unrolled: 1-line block ×3, first 2 shown]
	s_waitcnt vmcnt(6)
	v_mfma_f32_16x16x16_f16 v[10:13], v[18:19], v[38:39], v[10:13]
	v_mfma_f32_16x16x16_f16 v[78:81], v[24:25], v[40:41], v[26:29]
	global_load_dwordx4 v[30:33], v[14:15], off
	s_nop 2
	global_load_dwordx4 v[26:29], v[14:15], off offset:16
	v_mad_i64_i32 v[14:15], s[4:5], v93, s9, 0
	v_lshlrev_b64 v[34:35], 1, v[14:15]
	v_mfma_f32_16x16x16_f16 v[42:45], v[20:21], v[40:41], v[10:13]
	s_nop 2
	v_lshl_add_u64 v[10:11], v[60:61], 0, v[34:35]
	global_load_dwordx4 v[22:25], v[10:11], off
	global_load_dwordx4 v[18:21], v[10:11], off offset:16
	s_waitcnt vmcnt(7)
	v_mfma_f32_16x16x16_f16 v[10:13], v[54:55], v[6:7], 0
	v_mad_i64_i32 v[6:7], s[4:5], v94, s9, 0
	v_lshlrev_b64 v[52:53], 1, v[6:7]
	v_mfma_f32_16x16x16_f16 v[6:9], v[56:57], v[8:9], v[10:13]
	v_lshl_add_u64 v[34:35], v[62:63], 0, v[34:35]
	s_waitcnt vmcnt(6)
	v_mfma_f32_16x16x16_f16 v[6:9], v[68:69], v[2:3], v[6:9]
	s_waitcnt vmcnt(4)
	v_mad_i64_i32 v[2:3], s[4:5], v95, s9, 0
	v_lshlrev_b64 v[58:59], 1, v[2:3]
	v_mfma_f32_16x16x16_f16 v[54:57], v[70:71], v[4:5], v[6:9]
	v_lshl_add_u64 v[10:11], v[60:61], 0, v[52:53]
	v_lshl_add_u64 v[2:3], v[60:61], 0, v[58:59]
	v_pk_mul_f32 v[60:61], s[8:9], v[64:65] op_sel_hi:[0,1]
	v_mfma_f32_16x16x16_f16 v[54:57], v[82:83], v[46:47], v[54:57]
	v_pk_mul_f32 v[82:83], s[8:9], v[66:67] op_sel_hi:[0,1]
	v_pk_mul_f32 v[70:71], s[8:9], v[78:79] op_sel_hi:[0,1]
	;; [unrolled: 1-line block ×3, first 2 shown]
	v_mfma_f32_16x16x16_f16 v[46:49], v[84:85], v[48:49], v[54:57]
	v_pk_mul_f32 v[84:85], s[8:9], v[80:81] op_sel_hi:[0,1]
	v_pk_mul_f32 v[80:81], s[8:9], v[42:43] op_sel_hi:[0,1]
	global_load_dwordx4 v[14:17], v[10:11], off
	s_nop 0
	global_load_dwordx4 v[10:13], v[10:11], off offset:16
	v_mfma_f32_16x16x16_f16 v[36:39], v[88:89], v[38:39], v[46:49]
	global_load_dwordx4 v[6:9], v[2:3], off
	s_nop 0
	global_load_dwordx4 v[2:5], v[2:3], off offset:16
	v_lshl_add_u64 v[58:59], v[62:63], 0, v[58:59]
	v_mfma_f32_16x16x16_f16 v[36:39], v[90:91], v[40:41], v[36:39]
	s_nop 6
	v_pk_mul_f32 v[72:73], s[8:9], v[36:37] op_sel_hi:[0,1]
	v_and_b32_e32 v36, 0xc0, v0
	v_add_u32_e32 v36, s18, v36
	v_lshl_or_b32 v36, v1, 2, v36
	v_pk_mul_f32 v[66:67], s[8:9], v[38:39] op_sel_hi:[0,1]
	v_or_b32_e32 v39, 1, v36
	v_mov_b32_e32 v37, 0xff7fffff
	v_cmp_gt_i32_e64 s[28:29], s33, v36
	v_cmp_gt_i32_e64 s[30:31], s33, v39
	v_or_b32_e32 v40, 3, v36
	v_cndmask_b32_e64 v38, v37, v60, s[28:29]
	v_cndmask_b32_e64 v39, v37, v61, s[30:31]
	v_max3_f32 v38, v38, s41, v39
	v_or_b32_e32 v39, 2, v36
	v_cmp_gt_i32_e64 s[34:35], s33, v39
	v_cmp_gt_i32_e64 s[36:37], s33, v40
	s_nop 0
	v_cndmask_b32_e64 v39, v37, v82, s[34:35]
	v_cndmask_b32_e64 v40, v37, v83, s[36:37]
	v_max3_f32 v38, v38, v39, v40
	v_or_b32_e32 v39, 16, v36
	v_or_b32_e32 v40, 17, v36
	v_cmp_gt_i32_e64 s[22:23], s33, v39
	v_cmp_gt_i32_e64 s[24:25], s33, v40
	s_nop 0
	v_cndmask_b32_e64 v39, v37, v70, s[22:23]
	v_cndmask_b32_e64 v40, v37, v71, s[24:25]
	v_max3_f32 v38, v38, v39, v40
	v_or_b32_e32 v39, 18, v36
	;; [unrolled: 8-line block ×6, first 2 shown]
	v_or_b32_e32 v36, 51, v36
	v_cmp_gt_i32_e32 vcc, s33, v39
	v_cmp_gt_i32_e64 s[4:5], s33, v36
	s_nop 0
	v_cndmask_b32_e32 v39, v37, v66, vcc
	v_cndmask_b32_e64 v36, v37, v67, s[4:5]
	v_max3_f32 v54, v38, v39, v36
	v_mbcnt_lo_u32_b32 v36, -1, 0
	v_mbcnt_hi_u32_b32 v55, -1, v36
	v_and_b32_e32 v36, 64, v55
	v_add_u32_e32 v56, 64, v36
	v_xor_b32_e32 v36, 32, v55
	v_cmp_lt_i32_e64 s[38:39], v36, v56
	global_load_dwordx4 v[46:49], v[50:51], off
	global_load_dwordx4 v[38:41], v[50:51], off offset:16
	v_cndmask_b32_e64 v36, v55, v36, s[38:39]
	v_lshlrev_b32_e32 v89, 2, v36
	ds_bpermute_b32 v57, v89, v54
	global_load_dwordx4 v[42:45], v[34:35], off
	s_nop 0
	global_load_dwordx4 v[34:37], v[34:35], off offset:16
	s_waitcnt lgkmcnt(0)
	v_max_f32_e32 v50, v57, v57
	v_max_f32_e32 v64, v54, v50
	v_xor_b32_e32 v50, 16, v55
	v_cmp_lt_i32_e64 s[38:39], v50, v56
	s_nop 1
	v_cndmask_b32_e64 v50, v55, v50, s[38:39]
	v_lshlrev_b32_e32 v90, 2, v50
	ds_bpermute_b32 v65, v90, v64
	v_lshl_add_u64 v[50:51], v[62:63], 0, v[52:53]
	global_load_dwordx4 v[54:57], v[50:51], off
	s_nop 0
	global_load_dwordx4 v[50:53], v[50:51], off offset:16
	s_waitcnt lgkmcnt(0)
	v_max_f32_e32 v62, v65, v65
	v_max_f32_e32 v88, v64, v62
	v_sub_f32_e32 v60, v60, v88
	v_mul_f32_e32 v60, 0x3fb8aa3b, v60
	v_exp_f32_e32 v68, v60
	v_sub_f32_e32 v60, v61, v88
	v_mul_f32_e32 v60, 0x3fb8aa3b, v60
	v_exp_f32_e32 v69, v60
	global_load_dwordx4 v[62:65], v[58:59], off
	s_nop 0
	global_load_dwordx4 v[58:61], v[58:59], off offset:16
	v_sub_f32_e32 v82, v82, v88
	v_mul_f32_e32 v82, 0x3fb8aa3b, v82
	v_sub_f32_e32 v83, v83, v88
	v_exp_f32_e32 v82, v82
	v_mul_f32_e32 v83, 0x3fb8aa3b, v83
	v_sub_f32_e32 v70, v70, v88
	v_exp_f32_e32 v83, v83
	v_mul_f32_e32 v70, 0x3fb8aa3b, v70
	v_sub_f32_e32 v71, v71, v88
	v_cndmask_b32_e64 v68, 0, v68, s[28:29]
	v_exp_f32_e32 v70, v70
	v_mul_f32_e32 v71, 0x3fb8aa3b, v71
	v_sub_f32_e32 v84, v84, v88
	v_add_f32_e32 v91, 0, v68
	v_cndmask_b32_e64 v69, 0, v69, s[30:31]
	v_exp_f32_e32 v71, v71
	v_mul_f32_e32 v84, 0x3fb8aa3b, v84
	v_sub_f32_e32 v85, v85, v88
	v_add_f32_e32 v91, v91, v69
	;; [unrolled: 5-line block ×10, first 2 shown]
	v_cndmask_b32_e64 v78, 0, v78, s[10:11]
	v_exp_f32_e32 v66, v66
	v_mul_f32_e32 v67, 0x3fb8aa3b, v67
	v_add_f32_e32 v91, v91, v78
	v_cndmask_b32_e64 v79, 0, v79, s[12:13]
	v_exp_f32_e32 v67, v67
	v_add_f32_e32 v91, v91, v79
	v_cndmask_b32_e64 v72, 0, v72, s[6:7]
	v_add_f32_e32 v91, v91, v72
	v_cndmask_b32_e64 v73, 0, v73, s[8:9]
	v_add_f32_e32 v91, v91, v73
	v_cndmask_b32_e32 v66, 0, v66, vcc
	v_add_f32_e32 v91, v91, v66
	v_cndmask_b32_e64 v67, 0, v67, s[4:5]
	v_add_f32_e32 v91, v91, v67
	ds_bpermute_b32 v89, v89, v91
	v_cmp_gt_u32_e32 vcc, 16, v77
	s_waitcnt lgkmcnt(0)
	s_barrier
	v_add_f32_e32 v89, v91, v89
	ds_bpermute_b32 v90, v90, v89
	s_and_saveexec_b64 s[4:5], vcc
	s_cbranch_execz .LBB334_15
; %bb.14:
	s_waitcnt lgkmcnt(0)
	v_add_f32_e32 v77, v89, v90
	v_lshlrev_b32_e32 v87, 2, v87
	ds_write2st64_b32 v87, v88, v77 offset1:1
.LBB334_15:
	s_or_b64 exec, exec, s[4:5]
	v_lshlrev_b32_e32 v77, 2, v76
	s_load_dword s6, s[0:1], 0x94
	s_waitcnt lgkmcnt(0)
	s_barrier
	ds_read2_b32 v[88:89], v77 offset1:16
	ds_read2_b32 v[90:91], v77 offset0:32 offset1:48
	ds_read2_b32 v[92:93], v77 offset0:64 offset1:80
	;; [unrolled: 1-line block ×3, first 2 shown]
	s_waitcnt lgkmcnt(0)
	v_max3_f32 v87, v88, s41, v89
	v_max3_f32 v87, v87, v90, v91
	v_sub_f32_e32 v88, v88, v87
	v_mul_f32_e32 v88, 0x3fb8aa3b, v88
	v_exp_f32_e32 v86, v88
	v_sub_f32_e32 v88, v89, v87
	v_mul_f32_e32 v88, 0x3fb8aa3b, v88
	v_exp_f32_e32 v89, v88
	v_sub_f32_e32 v88, v90, v87
	v_mul_f32_e32 v88, 0x3fb8aa3b, v88
	v_sub_f32_e32 v77, v91, v87
	v_exp_f32_e32 v90, v88
	v_mul_f32_e32 v77, 0x3fb8aa3b, v77
	v_exp_f32_e32 v77, v77
	v_fma_f32 v88, v86, v92, 0
	v_fmac_f32_e32 v88, v89, v93
	v_fmac_f32_e32 v88, v90, v94
	;; [unrolled: 1-line block ×3, first 2 shown]
	v_add_f32_e32 v91, 0x358637bd, v88
	v_div_scale_f32 v92, s[4:5], v91, v91, 1.0
	v_rcp_f32_e32 v93, v92
	s_barrier
	s_mul_i32 s7, s27, 11
	v_fma_f32 v94, -v92, v93, 1.0
	v_fmac_f32_e32 v93, v94, v93
	v_div_scale_f32 v94, vcc, 1.0, v91, 1.0
	v_mul_f32_e32 v95, v94, v93
	v_fma_f32 v1, -v92, v95, v94
	v_fmac_f32_e32 v95, v1, v93
	v_fma_f32 v1, -v92, v95, v94
	v_div_fmas_f32 v1, v1, v93, v95
	v_div_fixup_f32 v1, v1, v91, 1.0
	v_lshrrev_b32_e32 v91, 6, v0
	v_cmp_eq_u32_e32 vcc, 1, v91
	s_nop 1
	v_cndmask_b32_e32 v86, v86, v89, vcc
	v_cmp_eq_u32_e32 vcc, 2, v91
	s_nop 1
	v_cndmask_b32_e32 v86, v86, v90, vcc
	;; [unrolled: 3-line block ×3, first 2 shown]
	v_mul_f32_e32 v90, v77, v1
	v_pk_mul_f32 v[82:83], v[90:91], v[82:83] op_sel_hi:[0,1]
	v_pk_mul_f32 v[68:69], v[90:91], v[68:69] op_sel_hi:[0,1]
	v_cvt_f16_f32_e32 v1, v68
	v_cvt_f16_f32_e32 v68, v69
	;; [unrolled: 1-line block ×4, first 2 shown]
	v_pk_mul_f32 v[84:85], v[90:91], v[84:85] op_sel_hi:[0,1]
	v_pk_mul_f32 v[70:71], v[90:91], v[70:71] op_sel_hi:[0,1]
	v_bfe_u32 v86, v0, 4, 2
	v_pack_b32_f16 v83, v69, v77
	v_cvt_f16_f32_e32 v69, v70
	v_cvt_f16_f32_e32 v70, v71
	;; [unrolled: 1-line block ×4, first 2 shown]
	v_pack_b32_f16 v82, v1, v68
	v_lshlrev_b32_e32 v1, 3, v86
	v_lshlrev_b32_e32 v68, 5, v76
	;; [unrolled: 1-line block ×3, first 2 shown]
	v_or3_b32 v1, v84, v68, v1
	v_pack_b32_f16 v70, v69, v70
	v_pack_b32_f16 v71, v71, v77
	ds_write2st64_b64 v1, v[82:83], v[70:71] offset1:1
	v_pk_mul_f32 v[70:71], v[90:91], v[78:79] op_sel_hi:[0,1]
	v_pk_mul_f32 v[78:79], v[90:91], v[80:81] op_sel_hi:[0,1]
	v_cvt_f16_f32_e32 v69, v78
	v_cvt_f16_f32_e32 v77, v79
	;; [unrolled: 1-line block ×4, first 2 shown]
	v_pk_mul_f32 v[66:67], v[90:91], v[66:67] op_sel_hi:[0,1]
	v_pk_mul_f32 v[70:71], v[90:91], v[72:73] op_sel_hi:[0,1]
	v_cvt_f16_f32_e32 v70, v70
	v_cvt_f16_f32_e32 v71, v71
	;; [unrolled: 1-line block ×4, first 2 shown]
	v_pack_b32_f16 v66, v69, v77
	v_pack_b32_f16 v67, v78, v79
	;; [unrolled: 1-line block ×4, first 2 shown]
	v_cmp_gt_u32_e32 vcc, 11, v0
	ds_write2st64_b64 v1, v[66:67], v[70:71] offset0:2 offset1:3
	s_and_saveexec_b64 s[4:5], vcc
	s_cbranch_execz .LBB334_17
; %bb.16:
	s_mov_b32 s41, 0
	v_mov_b32_e32 v77, 0
	v_lshl_add_u64 v[66:67], s[40:41], 0, v[76:77]
	v_mov_b32_e32 v69, s7
	v_mad_u64_u32 v[66:67], s[12:13], s2, v69, v[66:67]
	s_mul_i32 s3, s3, s7
	v_mov_b32_e32 v70, s26
	v_mov_b32_e32 v71, v77
	s_load_dwordx4 s[8:11], s[0:1], 0x58
	v_add_u32_e32 v69, s3, v67
	v_mad_u64_u32 v[66:67], s[12:13], v66, s6, v[70:71]
	v_mov_b32_e32 v70, v67
	v_mad_u64_u32 v[70:71], s[12:13], v69, s6, v[70:71]
	v_mov_b32_e32 v67, v70
	v_lshlrev_b64 v[66:67], 2, v[66:67]
	s_waitcnt lgkmcnt(0)
	v_lshl_add_u64 v[70:71], s[10:11], 0, v[66:67]
	v_lshl_add_u64 v[66:67], s[8:9], 0, v[66:67]
	global_store_dword v[70:71], v87, off
	global_store_dword v[66:67], v88, off
.LBB334_17:
	s_or_b64 exec, exec, s[4:5]
	v_lshl_or_b32 v77, v86, 9, v68
	s_waitcnt lgkmcnt(0)
	s_barrier
	ds_read_b128 v[70:73], v77
	ds_read_b128 v[66:69], v77 offset:16
	s_waitcnt vmcnt(15) lgkmcnt(1)
	v_mfma_f32_16x16x16_f16 v[78:81], v[30:31], v[70:71], 0
	s_mov_b32 s3, 0
	v_cmp_gt_u32_e32 vcc, 64, v0
	v_mfma_f32_16x16x16_f16 v[30:33], v[32:33], v[72:73], v[78:81]
	s_waitcnt vmcnt(14) lgkmcnt(0)
	v_mfma_f32_16x16x16_f16 v[30:33], v[26:27], v[66:67], v[30:33]
	v_mfma_f32_16x16x16_f16 v[26:29], v[28:29], v[68:69], v[30:33]
	s_nop 5
	ds_read_b128 v[30:33], v77 offset:2048
	ds_read_b128 v[78:81], v77 offset:2064
	s_waitcnt vmcnt(13) lgkmcnt(1)
	v_mfma_f32_16x16x16_f16 v[26:29], v[22:23], v[30:31], v[26:29]
	v_mfma_f32_16x16x16_f16 v[22:25], v[24:25], v[32:33], v[26:29]
	s_waitcnt vmcnt(12) lgkmcnt(0)
	v_mfma_f32_16x16x16_f16 v[22:25], v[18:19], v[78:79], v[22:25]
	v_mfma_f32_16x16x16_f16 v[18:21], v[20:21], v[80:81], v[22:25]
	s_nop 5
	ds_read_b128 v[22:25], v77 offset:4096
	ds_read_b128 v[26:29], v77 offset:4112
	s_waitcnt vmcnt(11) lgkmcnt(1)
	v_mfma_f32_16x16x16_f16 v[18:21], v[14:15], v[22:23], v[18:21]
	v_mfma_f32_16x16x16_f16 v[14:17], v[16:17], v[24:25], v[18:21]
	s_waitcnt vmcnt(10) lgkmcnt(0)
	v_mfma_f32_16x16x16_f16 v[14:17], v[10:11], v[26:27], v[14:17]
	v_mfma_f32_16x16x16_f16 v[10:13], v[12:13], v[28:29], v[14:17]
	s_nop 5
	ds_read_b128 v[14:17], v77 offset:6144
	ds_read_b128 v[18:21], v77 offset:6160
	s_waitcnt lgkmcnt(0)
	s_barrier
	s_waitcnt vmcnt(9)
	v_mfma_f32_16x16x16_f16 v[10:13], v[6:7], v[14:15], v[10:13]
	v_mfma_f32_16x16x16_f16 v[6:9], v[8:9], v[16:17], v[10:13]
	s_waitcnt vmcnt(8)
	v_mfma_f32_16x16x16_f16 v[6:9], v[2:3], v[18:19], v[6:9]
	v_mfma_f32_16x16x16_f16 v[2:5], v[4:5], v[20:21], v[6:9]
	;; [unrolled: 3-line block ×3, first 2 shown]
	s_nop 3
	v_cvt_f16_f32_e32 v10, v2
	v_cvt_f16_f32_e32 v11, v3
	;; [unrolled: 1-line block ×3, first 2 shown]
	s_waitcnt vmcnt(6)
	v_mfma_f32_16x16x16_f16 v[6:9], v[38:39], v[66:67], v[6:9]
	v_cvt_f16_f32_e32 v13, v5
	v_mfma_f32_16x16x16_f16 v[6:9], v[40:41], v[68:69], v[6:9]
	s_waitcnt vmcnt(5)
	v_mfma_f32_16x16x16_f16 v[6:9], v[42:43], v[30:31], v[6:9]
	v_mfma_f32_16x16x16_f16 v[6:9], v[44:45], v[32:33], v[6:9]
	s_waitcnt vmcnt(4)
	v_mfma_f32_16x16x16_f16 v[6:9], v[34:35], v[78:79], v[6:9]
	;; [unrolled: 3-line block ×6, first 2 shown]
	v_mfma_f32_16x16x16_f16 v[2:5], v[60:61], v[20:21], v[6:9]
	s_nop 6
	v_cvt_f16_f32_e32 v6, v2
	v_cvt_f16_f32_e32 v7, v3
	;; [unrolled: 1-line block ×4, first 2 shown]
	v_pack_b32_f16 v2, v10, v11
	v_pack_b32_f16 v3, v12, v13
	;; [unrolled: 1-line block ×4, first 2 shown]
	ds_write2st64_b64 v1, v[2:3], v[4:5] offset1:1
	s_waitcnt lgkmcnt(0)
	s_barrier
	s_and_saveexec_b64 s[4:5], vcc
	s_cbranch_execz .LBB334_20
; %bb.18:
	s_load_dwordx2 s[4:5], s[0:1], 0x68
	s_lshl_b32 s0, s6, 7
	s_mul_i32 s1, s7, s2
	v_lshlrev_b32_e32 v3, 6, v76
	s_mul_hi_u32 s7, s1, s0
	s_mul_i32 s6, s1, s0
	v_lshlrev_b32_e32 v2, 4, v0
	v_lshl_or_b32 v0, v0, 10, v3
	s_lshl_b64 s[6:7], s[6:7], 1
	v_lshlrev_b32_e32 v1, 5, v86
	v_and_b32_e32 v2, 16, v2
	v_and_b32_e32 v0, 0x1a00, v0
	s_waitcnt lgkmcnt(0)
	s_add_u32 s1, s4, s6
	v_or3_b32 v2, v0, v1, v2
	s_addc_u32 s4, s5, s7
	s_lshl_b32 s2, s26, 7
	s_lshl_b64 s[2:3], s[2:3], 1
	ds_read_b128 v[4:7], v2 offset:128
	ds_read_b128 v[8:11], v2
	s_add_u32 s2, s1, s2
	s_addc_u32 s3, s4, s3
	v_add_u32_e32 v3, s40, v86
	v_lshl_add_u64 v[0:1], v[74:75], 1, s[2:3]
	v_mad_u64_u32 v[12:13], s[2:3], v3, s0, 0
	v_lshl_add_u64 v[12:13], v[12:13], 1, v[0:1]
	v_add_u32_e32 v3, 4, v3
	s_waitcnt lgkmcnt(0)
	global_store_dwordx4 v[12:13], v[8:11], off
	v_cmp_ne_u32_e32 vcc, 3, v86
	s_nop 0
	v_mad_u64_u32 v[8:9], s[2:3], v3, s0, 0
	v_lshl_add_u64 v[8:9], v[8:9], 1, v[0:1]
	global_store_dwordx4 v[8:9], v[4:7], off
	s_and_b64 exec, exec, vcc
	s_cbranch_execz .LBB334_20
; %bb.19:
	ds_read_b128 v[2:5], v2 offset:256
	v_add3_u32 v6, s40, v86, 8
	v_mad_u64_u32 v[6:7], s[0:1], v6, s0, 0
	v_lshl_add_u64 v[0:1], v[6:7], 1, v[0:1]
	s_waitcnt lgkmcnt(0)
	global_store_dwordx4 v[0:1], v[2:5], off
.LBB334_20:
	s_endpgm
	.section	.rodata,"a",@progbits
	.p2align	6, 0x0
	.amdhsa_kernel _Z39paged_attention_ll4mi_QKV_mfma16_kernelIDF16_DF16_LN4vllm18Fp8KVCacheDataTypeE0EhLi32ELi128ELi256ELb0ELi11EEvPKT_PKT0_S7_ifPKiS9_S9_iPKfiiiPfSC_PS2_PT2_iSB_SB_
		.amdhsa_group_segment_fixed_size 8192
		.amdhsa_private_segment_fixed_size 0
		.amdhsa_kernarg_size 400
		.amdhsa_user_sgpr_count 2
		.amdhsa_user_sgpr_dispatch_ptr 0
		.amdhsa_user_sgpr_queue_ptr 0
		.amdhsa_user_sgpr_kernarg_segment_ptr 1
		.amdhsa_user_sgpr_dispatch_id 0
		.amdhsa_user_sgpr_kernarg_preload_length 0
		.amdhsa_user_sgpr_kernarg_preload_offset 0
		.amdhsa_user_sgpr_private_segment_size 0
		.amdhsa_uses_dynamic_stack 0
		.amdhsa_enable_private_segment 0
		.amdhsa_system_sgpr_workgroup_id_x 1
		.amdhsa_system_sgpr_workgroup_id_y 1
		.amdhsa_system_sgpr_workgroup_id_z 1
		.amdhsa_system_sgpr_workgroup_info 0
		.amdhsa_system_vgpr_workitem_id 0
		.amdhsa_next_free_vgpr 96
		.amdhsa_next_free_sgpr 42
		.amdhsa_accum_offset 96
		.amdhsa_reserve_vcc 1
		.amdhsa_float_round_mode_32 0
		.amdhsa_float_round_mode_16_64 0
		.amdhsa_float_denorm_mode_32 3
		.amdhsa_float_denorm_mode_16_64 3
		.amdhsa_dx10_clamp 1
		.amdhsa_ieee_mode 1
		.amdhsa_fp16_overflow 0
		.amdhsa_tg_split 0
		.amdhsa_exception_fp_ieee_invalid_op 0
		.amdhsa_exception_fp_denorm_src 0
		.amdhsa_exception_fp_ieee_div_zero 0
		.amdhsa_exception_fp_ieee_overflow 0
		.amdhsa_exception_fp_ieee_underflow 0
		.amdhsa_exception_fp_ieee_inexact 0
		.amdhsa_exception_int_div_zero 0
	.end_amdhsa_kernel
	.section	.text._Z39paged_attention_ll4mi_QKV_mfma16_kernelIDF16_DF16_LN4vllm18Fp8KVCacheDataTypeE0EhLi32ELi128ELi256ELb0ELi11EEvPKT_PKT0_S7_ifPKiS9_S9_iPKfiiiPfSC_PS2_PT2_iSB_SB_,"axG",@progbits,_Z39paged_attention_ll4mi_QKV_mfma16_kernelIDF16_DF16_LN4vllm18Fp8KVCacheDataTypeE0EhLi32ELi128ELi256ELb0ELi11EEvPKT_PKT0_S7_ifPKiS9_S9_iPKfiiiPfSC_PS2_PT2_iSB_SB_,comdat
.Lfunc_end334:
	.size	_Z39paged_attention_ll4mi_QKV_mfma16_kernelIDF16_DF16_LN4vllm18Fp8KVCacheDataTypeE0EhLi32ELi128ELi256ELb0ELi11EEvPKT_PKT0_S7_ifPKiS9_S9_iPKfiiiPfSC_PS2_PT2_iSB_SB_, .Lfunc_end334-_Z39paged_attention_ll4mi_QKV_mfma16_kernelIDF16_DF16_LN4vllm18Fp8KVCacheDataTypeE0EhLi32ELi128ELi256ELb0ELi11EEvPKT_PKT0_S7_ifPKiS9_S9_iPKfiiiPfSC_PS2_PT2_iSB_SB_
                                        ; -- End function
	.section	.AMDGPU.csdata,"",@progbits
; Kernel info:
; codeLenInByte = 4588
; NumSgprs: 48
; NumVgprs: 96
; NumAgprs: 0
; TotalNumVgprs: 96
; ScratchSize: 0
; MemoryBound: 0
; FloatMode: 240
; IeeeMode: 1
; LDSByteSize: 8192 bytes/workgroup (compile time only)
; SGPRBlocks: 5
; VGPRBlocks: 11
; NumSGPRsForWavesPerEU: 48
; NumVGPRsForWavesPerEU: 96
; AccumOffset: 96
; Occupancy: 5
; WaveLimiterHint : 1
; COMPUTE_PGM_RSRC2:SCRATCH_EN: 0
; COMPUTE_PGM_RSRC2:USER_SGPR: 2
; COMPUTE_PGM_RSRC2:TRAP_HANDLER: 0
; COMPUTE_PGM_RSRC2:TGID_X_EN: 1
; COMPUTE_PGM_RSRC2:TGID_Y_EN: 1
; COMPUTE_PGM_RSRC2:TGID_Z_EN: 1
; COMPUTE_PGM_RSRC2:TIDIG_COMP_CNT: 0
; COMPUTE_PGM_RSRC3_GFX90A:ACCUM_OFFSET: 23
; COMPUTE_PGM_RSRC3_GFX90A:TG_SPLIT: 0
	.section	.text._Z39paged_attention_ll4mi_QKV_mfma16_kernelIDF16_DF16_LN4vllm18Fp8KVCacheDataTypeE0EhLi32ELi128ELi256ELb0ELi12EEvPKT_PKT0_S7_ifPKiS9_S9_iPKfiiiPfSC_PS2_PT2_iSB_SB_,"axG",@progbits,_Z39paged_attention_ll4mi_QKV_mfma16_kernelIDF16_DF16_LN4vllm18Fp8KVCacheDataTypeE0EhLi32ELi128ELi256ELb0ELi12EEvPKT_PKT0_S7_ifPKiS9_S9_iPKfiiiPfSC_PS2_PT2_iSB_SB_,comdat
	.protected	_Z39paged_attention_ll4mi_QKV_mfma16_kernelIDF16_DF16_LN4vllm18Fp8KVCacheDataTypeE0EhLi32ELi128ELi256ELb0ELi12EEvPKT_PKT0_S7_ifPKiS9_S9_iPKfiiiPfSC_PS2_PT2_iSB_SB_ ; -- Begin function _Z39paged_attention_ll4mi_QKV_mfma16_kernelIDF16_DF16_LN4vllm18Fp8KVCacheDataTypeE0EhLi32ELi128ELi256ELb0ELi12EEvPKT_PKT0_S7_ifPKiS9_S9_iPKfiiiPfSC_PS2_PT2_iSB_SB_
	.globl	_Z39paged_attention_ll4mi_QKV_mfma16_kernelIDF16_DF16_LN4vllm18Fp8KVCacheDataTypeE0EhLi32ELi128ELi256ELb0ELi12EEvPKT_PKT0_S7_ifPKiS9_S9_iPKfiiiPfSC_PS2_PT2_iSB_SB_
	.p2align	8
	.type	_Z39paged_attention_ll4mi_QKV_mfma16_kernelIDF16_DF16_LN4vllm18Fp8KVCacheDataTypeE0EhLi32ELi128ELi256ELb0ELi12EEvPKT_PKT0_S7_ifPKiS9_S9_iPKfiiiPfSC_PS2_PT2_iSB_SB_,@function
_Z39paged_attention_ll4mi_QKV_mfma16_kernelIDF16_DF16_LN4vllm18Fp8KVCacheDataTypeE0EhLi32ELi128ELi256ELb0ELi12EEvPKT_PKT0_S7_ifPKiS9_S9_iPKfiiiPfSC_PS2_PT2_iSB_SB_: ; @_Z39paged_attention_ll4mi_QKV_mfma16_kernelIDF16_DF16_LN4vllm18Fp8KVCacheDataTypeE0EhLi32ELi128ELi256ELb0ELi12EEvPKT_PKT0_S7_ifPKiS9_S9_iPKfiiiPfSC_PS2_PT2_iSB_SB_
; %bb.0:
	s_load_dwordx2 s[8:9], s[0:1], 0x30
	s_mov_b32 s26, s3
	s_mov_b64 s[6:7], 0
	s_waitcnt lgkmcnt(0)
	s_cmp_lg_u64 s[8:9], 0
	s_cselect_b64 s[10:11], -1, 0
	s_and_b64 vcc, exec, s[10:11]
	s_cbranch_vccz .LBB335_7
; %bb.1:
	s_add_i32 s12, s2, 1
	s_mov_b32 s13, 0
	s_lshl_b64 s[14:15], s[12:13], 2
	s_add_u32 s14, s8, s14
	s_mov_b32 s3, s13
	s_addc_u32 s15, s9, s15
	s_lshl_b64 s[12:13], s[2:3], 2
	s_add_u32 s12, s8, s12
	s_addc_u32 s13, s9, s13
	s_load_dword s5, s[14:15], 0x0
	s_load_dword s16, s[12:13], 0x0
	s_waitcnt lgkmcnt(0)
	s_sub_i32 s5, s5, s16
	s_cmp_eq_u32 s5, 1
	s_cselect_b64 s[12:13], -1, 0
	s_andn2_b64 vcc, exec, s[6:7]
	s_cbranch_vccnz .LBB335_3
.LBB335_2:
	s_mov_b32 s3, 0
	s_mov_b64 s[12:13], -1
.LBB335_3:
	s_andn2_b64 vcc, exec, s[12:13]
	s_cbranch_vccnz .LBB335_19
; %bb.4:
	s_load_dwordx2 s[6:7], s[0:1], 0x28
	s_lshl_b64 s[12:13], s[2:3], 2
	s_waitcnt lgkmcnt(0)
	s_add_u32 s6, s6, s12
	s_addc_u32 s7, s7, s13
	s_load_dword s33, s[6:7], 0x0
	s_lshl_b32 s18, s26, 8
	s_waitcnt lgkmcnt(0)
	s_cmp_ge_i32 s18, s33
	s_cbranch_scc1 .LBB335_19
; %bb.5:
	s_load_dwordx2 s[6:7], s[0:1], 0x20
	s_load_dword s5, s[0:1], 0x38
	s_add_i32 s14, s33, 31
	s_ashr_i32 s15, s14, 31
	v_and_b32_e32 v1, 0xcf, v0
	s_lshr_b32 s15, s15, 27
	v_add_u32_e32 v1, s18, v1
	s_add_i32 s14, s14, s15
	v_ashrrev_i32_e32 v2, 31, v1
	s_ashr_i32 s19, s14, 5
	v_lshrrev_b32_e32 v4, 27, v2
	s_add_i32 s19, s19, -1
	s_waitcnt lgkmcnt(0)
	s_mul_i32 s14, s2, s5
	s_mov_b32 s15, 0
	v_add_u32_e32 v2, v1, v4
	s_lshl_b64 s[14:15], s[14:15], 2
	v_ashrrev_i32_e32 v2, 5, v2
	v_mov_b32_e32 v5, s19
	v_cmp_gt_i32_e32 vcc, s33, v1
	s_add_u32 s6, s6, s14
	s_addc_u32 s7, s7, s15
	v_cndmask_b32_e32 v2, v5, v2, vcc
	v_ashrrev_i32_e32 v3, 31, v2
	v_lshl_add_u64 v[6:7], v[2:3], 2, s[6:7]
	v_or_b32_e32 v2, 16, v1
	v_add_u32_e32 v3, v2, v4
	v_ashrrev_i32_e32 v3, 5, v3
	v_cmp_gt_i32_e32 vcc, s33, v2
	s_nop 1
	v_cndmask_b32_e32 v2, v5, v3, vcc
	v_ashrrev_i32_e32 v3, 31, v2
	v_lshl_add_u64 v[8:9], v[2:3], 2, s[6:7]
	v_or_b32_e32 v2, 32, v1
	v_add_u32_e32 v3, v2, v4
	v_ashrrev_i32_e32 v3, 5, v3
	v_cmp_gt_i32_e32 vcc, s33, v2
	v_or_b32_e32 v1, 48, v1
	s_nop 0
	v_cndmask_b32_e32 v2, v5, v3, vcc
	v_ashrrev_i32_e32 v3, 31, v2
	v_lshl_add_u64 v[10:11], v[2:3], 2, s[6:7]
	v_add_u32_e32 v2, v1, v4
	v_ashrrev_i32_e32 v2, 5, v2
	v_cmp_gt_i32_e32 vcc, s33, v1
	s_nop 1
	v_cndmask_b32_e32 v2, v5, v2, vcc
	v_ashrrev_i32_e32 v3, 31, v2
	v_lshl_add_u64 v[12:13], v[2:3], 2, s[6:7]
	global_load_dword v2, v[6:7], off
	global_load_dword v5, v[8:9], off
	;; [unrolled: 1-line block ×4, first 2 shown]
	s_andn2_b64 vcc, exec, s[10:11]
	s_cbranch_vccnz .LBB335_8
; %bb.6:
	s_add_u32 s8, s8, s12
	s_addc_u32 s9, s9, s13
	s_load_dword s5, s[8:9], 0x0
	s_branch .LBB335_9
.LBB335_7:
	s_mov_b64 s[12:13], 0
	s_branch .LBB335_2
.LBB335_8:
	s_mov_b32 s5, s2
.LBB335_9:
	s_load_dwordx4 s[12:15], s[0:1], 0x8
	s_load_dwordx4 s[8:11], s[0:1], 0x48
	v_and_b32_e32 v76, 15, v0
	s_waitcnt lgkmcnt(0)
	s_movk_i32 s11, 0xbf
	v_lshlrev_b32_e32 v74, 3, v76
	v_cmp_lt_u32_e32 vcc, s11, v0
	s_and_saveexec_b64 s[16:17], vcc
	s_xor_b64 s[16:17], exec, s[16:17]
; %bb.10:
	v_mov_b32_e32 v75, 0
; %bb.11:
	s_or_saveexec_b64 s[16:17], s[16:17]
	v_lshrrev_b32_e32 v77, 6, v0
	v_and_b32_e32 v86, 63, v0
	v_bfe_u32 v1, v0, 4, 2
	s_mul_i32 s40, s4, 12
	s_xor_b64 exec, exec, s[16:17]
	s_cbranch_execz .LBB335_13
; %bb.12:
	s_load_dwordx2 s[20:21], s[0:1], 0x0
	s_ashr_i32 s11, s8, 31
	s_mul_hi_u32 s22, s5, s8
	s_mul_i32 s11, s5, s11
	s_add_i32 s23, s22, s11
	s_mul_i32 s22, s5, s8
	v_lshl_or_b32 v3, v77, 2, v1
	s_lshl_b64 s[22:23], s[22:23], 1
	s_waitcnt lgkmcnt(0)
	s_add_u32 s20, s20, s22
	v_add_lshl_u32 v6, v3, s40, 7
	s_addc_u32 s21, s21, s23
	v_ashrrev_i32_e32 v7, 31, v6
	v_mov_b32_e32 v75, 0
	v_lshl_add_u64 v[6:7], v[6:7], 1, s[20:21]
	v_lshlrev_b32_e32 v8, 1, v74
	v_mov_b32_e32 v9, v75
	v_lshl_add_u64 v[6:7], v[6:7], 0, v[8:9]
	global_load_dwordx4 v[6:9], v[6:7], off
	v_and_b32_e32 v10, 3, v0
	v_lshlrev_b32_e32 v11, 9, v76
	v_lshlrev_b32_e32 v3, 5, v3
	;; [unrolled: 1-line block ×3, first 2 shown]
	v_and_b32_e32 v11, 0x1800, v11
	v_or3_b32 v3, v11, v10, v3
	s_waitcnt vmcnt(0)
	ds_write_b128 v3, v[6:9]
.LBB335_13:
	s_or_b64 exec, exec, s[16:17]
	s_mul_i32 s4, s4, s10
	s_mov_b32 s5, 0
	s_lshl_b64 s[4:5], s[4:5], 1
	s_add_u32 s10, s12, s4
	s_addc_u32 s11, s13, s5
	s_waitcnt vmcnt(3)
	v_mad_i64_i32 v[2:3], s[12:13], v2, s9, 0
	v_lshl_add_u64 v[6:7], v[2:3], 1, s[10:11]
	v_lshlrev_b64 v[2:3], 1, v[74:75]
	v_lshlrev_b32_e32 v50, 9, v1
	v_lshl_add_u64 v[6:7], v[6:7], 0, v[2:3]
	v_mov_b32_e32 v51, 0
	v_lshl_add_u64 v[8:9], v[6:7], 0, v[50:51]
	s_load_dword s27, s[0:1], 0x98
	s_load_dword s8, s[0:1], 0x1c
	s_waitcnt lgkmcnt(0)
	s_barrier
	global_load_dwordx4 v[38:41], v[8:9], off
	s_waitcnt vmcnt(3)
	v_mad_i64_i32 v[10:11], s[12:13], v5, s9, 0
	v_mov_b32_e32 v5, 0x100
	v_lshl_add_u64 v[10:11], v[10:11], 1, s[10:11]
	v_lshl_or_b32 v54, v76, 4, v5
	v_mov_b32_e32 v55, v51
	v_lshl_add_u64 v[22:23], v[10:11], 0, v[54:55]
	v_lshl_add_u64 v[10:11], v[22:23], 0, v[50:51]
	global_load_dwordx4 v[42:45], v[10:11], off
	global_load_dwordx4 v[18:21], v[8:9], off offset:2048
	global_load_dwordx4 v[26:29], v[10:11], off offset:2048
	v_or_b32_e32 v56, 0x1000, v50
	v_mov_b32_e32 v57, v51
	v_or_b32_e32 v52, 0x1800, v50
	v_mov_b32_e32 v53, v51
	v_lshl_add_u64 v[8:9], v[6:7], 0, v[56:57]
	v_lshl_add_u64 v[6:7], v[6:7], 0, v[52:53]
	global_load_dwordx4 v[14:17], v[8:9], off
	global_load_dwordx4 v[10:13], v[6:7], off
	v_lshl_add_u64 v[8:9], v[22:23], 0, v[56:57]
	global_load_dwordx4 v[30:33], v[8:9], off
	s_waitcnt vmcnt(8)
	v_mad_i64_i32 v[4:5], s[12:13], v4, s9, 0
	v_lshl_add_u64 v[4:5], v[4:5], 1, s[10:11]
	v_lshl_add_u64 v[60:61], v[4:5], 0, v[2:3]
	v_add_u32_e32 v2, -12, v76
	v_cmp_gt_u32_e32 vcc, 12, v76
	v_lshl_add_u64 v[6:7], v[22:23], 0, v[52:53]
	global_load_dwordx4 v[22:25], v[6:7], off
	v_cndmask_b32_e32 v2, v2, v76, vcc
	v_lshl_add_u64 v[58:59], v[60:61], 0, v[50:51]
	v_lshl_add_u32 v62, v2, 5, v50
	global_load_dwordx4 v[34:37], v[58:59], off
	ds_read_b128 v[6:9], v62
	ds_read_b128 v[2:5], v62 offset:2048
	s_waitcnt vmcnt(9)
	v_mad_i64_i32 v[72:73], s[12:13], v46, s9, 0
	s_ashr_i32 s12, s18, 31
	v_and_or_b32 v78, v0, 48, s18
	v_or_b32_e32 v80, 64, v78
	v_mov_b32_e32 v79, s19
	v_cmp_gt_i32_e32 vcc, s33, v78
	v_or_b32_e32 v81, 0x80, v78
	v_or_b32_e32 v82, 0xc0, v78
	v_lshl_or_b32 v87, v77, 4, v76
	s_mov_b32 s41, 0xff7fffff
	s_waitcnt vmcnt(7) lgkmcnt(1)
	v_mfma_f32_16x16x16_f16 v[68:71], v[42:43], v[6:7], 0
	v_mfma_f32_16x16x16_f16 v[64:67], v[38:39], v[6:7], 0
	;; [unrolled: 1-line block ×3, first 2 shown]
	ds_read_b128 v[46:49], v62 offset:4096
	ds_read_b128 v[38:41], v62 offset:6144
	v_lshl_add_u64 v[62:63], v[72:73], 1, s[10:11]
	v_lshl_add_u64 v[72:73], v[62:63], 0, v[54:55]
	v_mfma_f32_16x16x16_f16 v[42:45], v[44:45], v[8:9], v[68:71]
	v_lshl_add_u64 v[54:55], v[60:61], 0, v[56:57]
	s_lshr_b32 s10, s12, 27
	v_add_u32_e32 v83, s10, v81
	s_waitcnt vmcnt(6) lgkmcnt(2)
	v_mfma_f32_16x16x16_f16 v[62:65], v[18:19], v[2:3], v[64:67]
	v_add_u32_e32 v70, s10, v78
	v_add_u32_e32 v71, s10, v80
	v_lshl_add_u64 v[68:69], v[72:73], 0, v[50:51]
	v_lshl_add_u64 v[66:67], v[60:61], 0, v[52:53]
	global_load_dwordx4 v[58:61], v[58:59], off offset:2048
	s_waitcnt vmcnt(6)
	v_mfma_f32_16x16x16_f16 v[42:45], v[26:27], v[2:3], v[42:45]
	v_ashrrev_i32_e32 v50, 5, v70
	v_add_u32_e32 v84, s10, v82
	s_add_u32 s4, s14, s4
	v_mfma_f32_16x16x16_f16 v[18:21], v[20:21], v[4:5], v[62:65]
	s_addc_u32 s5, s15, s5
	v_mfma_f32_16x16x16_f16 v[26:29], v[28:29], v[4:5], v[42:45]
	s_nop 0
	v_lshl_add_u64 v[62:63], v[72:73], 0, v[56:57]
	v_ashrrev_i32_e32 v56, 5, v71
	v_ashrrev_i32_e32 v64, 5, v83
	s_waitcnt vmcnt(5) lgkmcnt(1)
	v_mfma_f32_16x16x16_f16 v[18:21], v[14:15], v[46:47], v[18:21]
	global_load_dwordx4 v[42:45], v[54:55], off
	v_cndmask_b32_e32 v14, v79, v50, vcc
	v_cmp_gt_i32_e32 vcc, s33, v80
	s_waitcnt vmcnt(4)
	v_mfma_f32_16x16x16_f16 v[26:29], v[30:31], v[46:47], v[26:29]
	v_ashrrev_i32_e32 v15, 31, v14
	v_cndmask_b32_e32 v30, v79, v56, vcc
	v_ashrrev_i32_e32 v31, 31, v30
	v_lshl_add_u64 v[14:15], v[14:15], 2, s[6:7]
	v_lshl_add_u64 v[30:31], v[30:31], 2, s[6:7]
	global_load_dword v92, v[14:15], off
	global_load_dword v93, v[30:31], off
	v_mfma_f32_16x16x16_f16 v[14:17], v[16:17], v[48:49], v[18:21]
	v_cmp_gt_i32_e32 vcc, s33, v81
	v_ashrrev_i32_e32 v83, 5, v84
	s_nop 0
	global_load_dwordx4 v[18:21], v[66:67], off
	s_waitcnt lgkmcnt(0)
	v_mfma_f32_16x16x16_f16 v[14:17], v[10:11], v[38:39], v[14:17]
	v_cndmask_b32_e32 v10, v79, v64, vcc
	v_ashrrev_i32_e32 v11, 31, v10
	v_lshl_add_u64 v[10:11], v[10:11], 2, s[6:7]
	v_mfma_f32_16x16x16_f16 v[64:67], v[12:13], v[40:41], v[14:17]
	global_load_dword v94, v[10:11], off
	v_cmp_gt_i32_e32 vcc, s33, v82
	s_nop 0
	v_lshl_add_u64 v[14:15], v[72:73], 0, v[52:53]
	global_load_dwordx4 v[88:91], v[14:15], off
	global_load_dwordx4 v[54:57], v[68:69], off
	v_cndmask_b32_e32 v10, v79, v83, vcc
	global_load_dwordx4 v[68:71], v[68:69], off offset:2048
	v_ashrrev_i32_e32 v11, 31, v10
	global_load_dwordx4 v[82:85], v[62:63], off
	v_lshl_add_u64 v[10:11], v[10:11], 2, s[6:7]
	global_load_dword v95, v[10:11], off
	s_waitcnt vmcnt(11)
	v_mfma_f32_16x16x16_f16 v[10:13], v[34:35], v[6:7], 0
	v_and_b32_e32 v14, 16, v0
	v_lshlrev_b32_e32 v50, 1, v14
	v_mfma_f32_16x16x16_f16 v[10:13], v[36:37], v[8:9], v[10:13]
	v_lshl_add_u64 v[36:37], s[4:5], 0, v[50:51]
	v_lshlrev_b32_e32 v50, 6, v87
	s_waitcnt vmcnt(8)
	v_mad_i64_i32 v[14:15], s[4:5], v92, s9, 0
	v_mfma_f32_16x16x16_f16 v[10:13], v[58:59], v[2:3], v[10:13]
	v_lshlrev_b64 v[72:73], 1, v[14:15]
	v_mfma_f32_16x16x16_f16 v[10:13], v[60:61], v[4:5], v[10:13]
	v_lshl_add_u64 v[60:61], v[36:37], 0, v[50:51]
	v_lshl_add_u64 v[14:15], v[60:61], 0, v[72:73]
	v_or_b32_e32 v50, 0x1000, v50
	v_mfma_f32_16x16x16_f16 v[10:13], v[42:43], v[46:47], v[10:13]
	v_lshl_add_u64 v[62:63], v[36:37], 0, v[50:51]
	v_lshl_add_u64 v[50:51], v[62:63], 0, v[72:73]
	v_mfma_f32_16x16x16_f16 v[26:29], v[32:33], v[48:49], v[26:29]
	v_mfma_f32_16x16x16_f16 v[10:13], v[44:45], v[48:49], v[10:13]
	;; [unrolled: 1-line block ×3, first 2 shown]
	s_waitcnt vmcnt(6)
	v_mfma_f32_16x16x16_f16 v[10:13], v[18:19], v[38:39], v[10:13]
	v_mfma_f32_16x16x16_f16 v[78:81], v[24:25], v[40:41], v[26:29]
	global_load_dwordx4 v[30:33], v[14:15], off
	s_nop 2
	global_load_dwordx4 v[26:29], v[14:15], off offset:16
	v_mad_i64_i32 v[14:15], s[4:5], v93, s9, 0
	v_lshlrev_b64 v[34:35], 1, v[14:15]
	v_mfma_f32_16x16x16_f16 v[42:45], v[20:21], v[40:41], v[10:13]
	s_nop 2
	v_lshl_add_u64 v[10:11], v[60:61], 0, v[34:35]
	global_load_dwordx4 v[22:25], v[10:11], off
	global_load_dwordx4 v[18:21], v[10:11], off offset:16
	s_waitcnt vmcnt(7)
	v_mfma_f32_16x16x16_f16 v[10:13], v[54:55], v[6:7], 0
	v_mad_i64_i32 v[6:7], s[4:5], v94, s9, 0
	v_lshlrev_b64 v[52:53], 1, v[6:7]
	v_mfma_f32_16x16x16_f16 v[6:9], v[56:57], v[8:9], v[10:13]
	v_lshl_add_u64 v[34:35], v[62:63], 0, v[34:35]
	s_waitcnt vmcnt(6)
	v_mfma_f32_16x16x16_f16 v[6:9], v[68:69], v[2:3], v[6:9]
	s_waitcnt vmcnt(4)
	v_mad_i64_i32 v[2:3], s[4:5], v95, s9, 0
	v_lshlrev_b64 v[58:59], 1, v[2:3]
	v_mfma_f32_16x16x16_f16 v[54:57], v[70:71], v[4:5], v[6:9]
	v_lshl_add_u64 v[10:11], v[60:61], 0, v[52:53]
	v_lshl_add_u64 v[2:3], v[60:61], 0, v[58:59]
	v_pk_mul_f32 v[60:61], s[8:9], v[64:65] op_sel_hi:[0,1]
	v_mfma_f32_16x16x16_f16 v[54:57], v[82:83], v[46:47], v[54:57]
	v_pk_mul_f32 v[82:83], s[8:9], v[66:67] op_sel_hi:[0,1]
	v_pk_mul_f32 v[70:71], s[8:9], v[78:79] op_sel_hi:[0,1]
	v_pk_mul_f32 v[78:79], s[8:9], v[44:45] op_sel_hi:[0,1]
	v_mfma_f32_16x16x16_f16 v[46:49], v[84:85], v[48:49], v[54:57]
	v_pk_mul_f32 v[84:85], s[8:9], v[80:81] op_sel_hi:[0,1]
	v_pk_mul_f32 v[80:81], s[8:9], v[42:43] op_sel_hi:[0,1]
	global_load_dwordx4 v[14:17], v[10:11], off
	s_nop 0
	global_load_dwordx4 v[10:13], v[10:11], off offset:16
	v_mfma_f32_16x16x16_f16 v[36:39], v[88:89], v[38:39], v[46:49]
	global_load_dwordx4 v[6:9], v[2:3], off
	s_nop 0
	global_load_dwordx4 v[2:5], v[2:3], off offset:16
	v_lshl_add_u64 v[58:59], v[62:63], 0, v[58:59]
	v_mfma_f32_16x16x16_f16 v[36:39], v[90:91], v[40:41], v[36:39]
	s_nop 6
	v_pk_mul_f32 v[72:73], s[8:9], v[36:37] op_sel_hi:[0,1]
	v_and_b32_e32 v36, 0xc0, v0
	v_add_u32_e32 v36, s18, v36
	v_lshl_or_b32 v36, v1, 2, v36
	v_pk_mul_f32 v[66:67], s[8:9], v[38:39] op_sel_hi:[0,1]
	v_or_b32_e32 v39, 1, v36
	v_mov_b32_e32 v37, 0xff7fffff
	v_cmp_gt_i32_e64 s[28:29], s33, v36
	v_cmp_gt_i32_e64 s[30:31], s33, v39
	v_or_b32_e32 v40, 3, v36
	v_cndmask_b32_e64 v38, v37, v60, s[28:29]
	v_cndmask_b32_e64 v39, v37, v61, s[30:31]
	v_max3_f32 v38, v38, s41, v39
	v_or_b32_e32 v39, 2, v36
	v_cmp_gt_i32_e64 s[34:35], s33, v39
	v_cmp_gt_i32_e64 s[36:37], s33, v40
	s_nop 0
	v_cndmask_b32_e64 v39, v37, v82, s[34:35]
	v_cndmask_b32_e64 v40, v37, v83, s[36:37]
	v_max3_f32 v38, v38, v39, v40
	v_or_b32_e32 v39, 16, v36
	v_or_b32_e32 v40, 17, v36
	v_cmp_gt_i32_e64 s[22:23], s33, v39
	v_cmp_gt_i32_e64 s[24:25], s33, v40
	s_nop 0
	v_cndmask_b32_e64 v39, v37, v70, s[22:23]
	v_cndmask_b32_e64 v40, v37, v71, s[24:25]
	v_max3_f32 v38, v38, v39, v40
	v_or_b32_e32 v39, 18, v36
	;; [unrolled: 8-line block ×6, first 2 shown]
	v_or_b32_e32 v36, 51, v36
	v_cmp_gt_i32_e32 vcc, s33, v39
	v_cmp_gt_i32_e64 s[4:5], s33, v36
	s_nop 0
	v_cndmask_b32_e32 v39, v37, v66, vcc
	v_cndmask_b32_e64 v36, v37, v67, s[4:5]
	v_max3_f32 v54, v38, v39, v36
	v_mbcnt_lo_u32_b32 v36, -1, 0
	v_mbcnt_hi_u32_b32 v55, -1, v36
	v_and_b32_e32 v36, 64, v55
	v_add_u32_e32 v56, 64, v36
	v_xor_b32_e32 v36, 32, v55
	v_cmp_lt_i32_e64 s[38:39], v36, v56
	global_load_dwordx4 v[46:49], v[50:51], off
	global_load_dwordx4 v[38:41], v[50:51], off offset:16
	v_cndmask_b32_e64 v36, v55, v36, s[38:39]
	v_lshlrev_b32_e32 v89, 2, v36
	ds_bpermute_b32 v57, v89, v54
	global_load_dwordx4 v[42:45], v[34:35], off
	s_nop 0
	global_load_dwordx4 v[34:37], v[34:35], off offset:16
	s_waitcnt lgkmcnt(0)
	v_max_f32_e32 v50, v57, v57
	v_max_f32_e32 v64, v54, v50
	v_xor_b32_e32 v50, 16, v55
	v_cmp_lt_i32_e64 s[38:39], v50, v56
	s_nop 1
	v_cndmask_b32_e64 v50, v55, v50, s[38:39]
	v_lshlrev_b32_e32 v90, 2, v50
	ds_bpermute_b32 v65, v90, v64
	v_lshl_add_u64 v[50:51], v[62:63], 0, v[52:53]
	global_load_dwordx4 v[54:57], v[50:51], off
	s_nop 0
	global_load_dwordx4 v[50:53], v[50:51], off offset:16
	s_waitcnt lgkmcnt(0)
	v_max_f32_e32 v62, v65, v65
	v_max_f32_e32 v88, v64, v62
	v_sub_f32_e32 v60, v60, v88
	v_mul_f32_e32 v60, 0x3fb8aa3b, v60
	v_exp_f32_e32 v68, v60
	v_sub_f32_e32 v60, v61, v88
	v_mul_f32_e32 v60, 0x3fb8aa3b, v60
	v_exp_f32_e32 v69, v60
	global_load_dwordx4 v[62:65], v[58:59], off
	s_nop 0
	global_load_dwordx4 v[58:61], v[58:59], off offset:16
	v_sub_f32_e32 v82, v82, v88
	v_mul_f32_e32 v82, 0x3fb8aa3b, v82
	v_sub_f32_e32 v83, v83, v88
	v_exp_f32_e32 v82, v82
	v_mul_f32_e32 v83, 0x3fb8aa3b, v83
	v_sub_f32_e32 v70, v70, v88
	v_exp_f32_e32 v83, v83
	v_mul_f32_e32 v70, 0x3fb8aa3b, v70
	v_sub_f32_e32 v71, v71, v88
	v_cndmask_b32_e64 v68, 0, v68, s[28:29]
	v_exp_f32_e32 v70, v70
	v_mul_f32_e32 v71, 0x3fb8aa3b, v71
	v_sub_f32_e32 v84, v84, v88
	v_add_f32_e32 v91, 0, v68
	v_cndmask_b32_e64 v69, 0, v69, s[30:31]
	v_exp_f32_e32 v71, v71
	v_mul_f32_e32 v84, 0x3fb8aa3b, v84
	v_sub_f32_e32 v85, v85, v88
	v_add_f32_e32 v91, v91, v69
	;; [unrolled: 5-line block ×10, first 2 shown]
	v_cndmask_b32_e64 v78, 0, v78, s[10:11]
	v_exp_f32_e32 v66, v66
	v_mul_f32_e32 v67, 0x3fb8aa3b, v67
	v_add_f32_e32 v91, v91, v78
	v_cndmask_b32_e64 v79, 0, v79, s[12:13]
	v_exp_f32_e32 v67, v67
	v_add_f32_e32 v91, v91, v79
	v_cndmask_b32_e64 v72, 0, v72, s[6:7]
	v_add_f32_e32 v91, v91, v72
	v_cndmask_b32_e64 v73, 0, v73, s[8:9]
	v_add_f32_e32 v91, v91, v73
	v_cndmask_b32_e32 v66, 0, v66, vcc
	v_add_f32_e32 v91, v91, v66
	v_cndmask_b32_e64 v67, 0, v67, s[4:5]
	v_add_f32_e32 v91, v91, v67
	ds_bpermute_b32 v89, v89, v91
	v_cmp_gt_u32_e32 vcc, 16, v86
	s_waitcnt lgkmcnt(0)
	s_barrier
	v_add_f32_e32 v89, v91, v89
	ds_bpermute_b32 v90, v90, v89
	s_and_saveexec_b64 s[4:5], vcc
	s_cbranch_execz .LBB335_15
; %bb.14:
	s_waitcnt lgkmcnt(0)
	v_add_f32_e32 v86, v89, v90
	v_lshlrev_b32_e32 v87, 2, v87
	ds_write2st64_b32 v87, v88, v86 offset1:1
.LBB335_15:
	s_or_b64 exec, exec, s[4:5]
	v_lshlrev_b32_e32 v87, 2, v76
	s_load_dword s6, s[0:1], 0x94
	s_waitcnt lgkmcnt(0)
	s_barrier
	ds_read2_b32 v[88:89], v87 offset1:16
	ds_read2_b32 v[90:91], v87 offset0:32 offset1:48
	ds_read2_b32 v[92:93], v87 offset0:64 offset1:80
	s_mul_i32 s7, s27, 12
	s_waitcnt lgkmcnt(2)
	v_max3_f32 v86, v88, s41, v89
	s_waitcnt lgkmcnt(1)
	v_max3_f32 v86, v86, v90, v91
	v_sub_f32_e32 v88, v88, v86
	v_mul_f32_e32 v88, 0x3fb8aa3b, v88
	v_exp_f32_e32 v94, v88
	v_sub_f32_e32 v88, v89, v86
	v_mul_f32_e32 v88, 0x3fb8aa3b, v88
	v_exp_f32_e32 v95, v88
	;; [unrolled: 3-line block ×3, first 2 shown]
	ds_read2_b32 v[88:89], v87 offset0:96 offset1:112
	v_sub_f32_e32 v87, v91, v86
	v_mul_f32_e32 v87, 0x3fb8aa3b, v87
	v_exp_f32_e32 v91, v87
	s_waitcnt lgkmcnt(1)
	v_fma_f32 v87, v94, v92, 0
	v_fmac_f32_e32 v87, v95, v93
	s_waitcnt lgkmcnt(0)
	v_fmac_f32_e32 v87, v90, v88
	v_fmac_f32_e32 v87, v91, v89
	v_add_f32_e32 v88, 0x358637bd, v87
	v_div_scale_f32 v89, s[4:5], v88, v88, 1.0
	v_rcp_f32_e32 v92, v89
	s_barrier
	v_fma_f32 v93, -v89, v92, 1.0
	v_fmac_f32_e32 v92, v93, v92
	v_div_scale_f32 v93, vcc, 1.0, v88, 1.0
	v_mul_f32_e32 v1, v93, v92
	v_fma_f32 v77, -v89, v1, v93
	v_fmac_f32_e32 v1, v77, v92
	v_fma_f32 v77, -v89, v1, v93
	v_div_fmas_f32 v1, v77, v92, v1
	v_lshrrev_b32_e32 v92, 6, v0
	v_cmp_eq_u32_e32 vcc, 1, v92
	v_div_fixup_f32 v1, v1, v88, 1.0
	s_nop 0
	v_cndmask_b32_e32 v77, v94, v95, vcc
	v_cmp_eq_u32_e32 vcc, 2, v92
	s_nop 1
	v_cndmask_b32_e32 v77, v77, v90, vcc
	v_cmp_eq_u32_e32 vcc, 3, v92
	s_nop 1
	v_cndmask_b32_e32 v77, v77, v91, vcc
	v_mul_f32_e32 v88, v77, v1
	v_pk_mul_f32 v[82:83], v[88:89], v[82:83] op_sel_hi:[0,1]
	v_pk_mul_f32 v[68:69], v[88:89], v[68:69] op_sel_hi:[0,1]
	v_cvt_f16_f32_e32 v1, v68
	v_cvt_f16_f32_e32 v68, v69
	;; [unrolled: 1-line block ×4, first 2 shown]
	v_bfe_u32 v89, v0, 4, 2
	v_pk_mul_f32 v[82:83], v[88:89], v[84:85] op_sel_hi:[0,1]
	v_pk_mul_f32 v[70:71], v[88:89], v[70:71] op_sel_hi:[0,1]
	v_pack_b32_f16 v91, v69, v77
	v_cvt_f16_f32_e32 v69, v70
	v_cvt_f16_f32_e32 v70, v71
	;; [unrolled: 1-line block ×4, first 2 shown]
	v_pack_b32_f16 v90, v1, v68
	v_lshlrev_b32_e32 v1, 3, v89
	v_lshlrev_b32_e32 v68, 5, v76
	;; [unrolled: 1-line block ×3, first 2 shown]
	v_or3_b32 v82, v82, v68, v1
	v_pack_b32_f16 v70, v69, v70
	v_pack_b32_f16 v71, v71, v77
	ds_write2st64_b64 v82, v[90:91], v[70:71] offset1:1
	v_pk_mul_f32 v[70:71], v[88:89], v[78:79] op_sel_hi:[0,1]
	v_pk_mul_f32 v[78:79], v[88:89], v[80:81] op_sel_hi:[0,1]
	v_cvt_f16_f32_e32 v1, v78
	v_cvt_f16_f32_e32 v77, v70
	;; [unrolled: 1-line block ×3, first 2 shown]
	v_pk_mul_f32 v[66:67], v[88:89], v[66:67] op_sel_hi:[0,1]
	v_pk_mul_f32 v[70:71], v[88:89], v[72:73] op_sel_hi:[0,1]
	v_cvt_f16_f32_e32 v69, v79
	v_cvt_f16_f32_e32 v70, v70
	;; [unrolled: 1-line block ×5, first 2 shown]
	v_pack_b32_f16 v66, v1, v69
	v_pack_b32_f16 v67, v77, v78
	;; [unrolled: 1-line block ×4, first 2 shown]
	v_cmp_gt_u32_e32 vcc, 12, v0
	ds_write2st64_b64 v82, v[66:67], v[70:71] offset0:2 offset1:3
	s_and_saveexec_b64 s[4:5], vcc
	s_cbranch_execz .LBB335_17
; %bb.16:
	s_mov_b32 s41, 0
	v_mov_b32_e32 v77, 0
	v_lshl_add_u64 v[66:67], s[40:41], 0, v[76:77]
	v_mov_b32_e32 v1, s7
	v_mad_u64_u32 v[66:67], s[12:13], s2, v1, v[66:67]
	s_mul_i32 s3, s3, s7
	v_mov_b32_e32 v70, s26
	v_mov_b32_e32 v71, v77
	s_load_dwordx4 s[8:11], s[0:1], 0x58
	v_add_u32_e32 v1, s3, v67
	v_mad_u64_u32 v[66:67], s[12:13], v66, s6, v[70:71]
	v_mov_b32_e32 v70, v67
	v_mad_u64_u32 v[70:71], s[12:13], v1, s6, v[70:71]
	v_mov_b32_e32 v67, v70
	v_lshlrev_b64 v[66:67], 2, v[66:67]
	s_waitcnt lgkmcnt(0)
	v_lshl_add_u64 v[70:71], s[10:11], 0, v[66:67]
	v_lshl_add_u64 v[66:67], s[8:9], 0, v[66:67]
	global_store_dword v[70:71], v86, off
	global_store_dword v[66:67], v87, off
.LBB335_17:
	s_or_b64 exec, exec, s[4:5]
	v_lshl_or_b32 v1, v89, 9, v68
	s_waitcnt lgkmcnt(0)
	s_barrier
	ds_read_b128 v[70:73], v1
	ds_read_b128 v[66:69], v1 offset:16
	s_waitcnt vmcnt(15) lgkmcnt(1)
	v_mfma_f32_16x16x16_f16 v[78:81], v[30:31], v[70:71], 0
	s_mov_b32 s3, 0
	v_cmp_gt_u32_e32 vcc, 64, v0
	v_mfma_f32_16x16x16_f16 v[30:33], v[32:33], v[72:73], v[78:81]
	s_waitcnt vmcnt(14) lgkmcnt(0)
	v_mfma_f32_16x16x16_f16 v[30:33], v[26:27], v[66:67], v[30:33]
	v_mfma_f32_16x16x16_f16 v[26:29], v[28:29], v[68:69], v[30:33]
	s_nop 5
	ds_read_b128 v[30:33], v1 offset:2048
	ds_read_b128 v[78:81], v1 offset:2064
	s_waitcnt vmcnt(13) lgkmcnt(1)
	v_mfma_f32_16x16x16_f16 v[26:29], v[22:23], v[30:31], v[26:29]
	v_mfma_f32_16x16x16_f16 v[22:25], v[24:25], v[32:33], v[26:29]
	s_waitcnt vmcnt(12) lgkmcnt(0)
	v_mfma_f32_16x16x16_f16 v[22:25], v[18:19], v[78:79], v[22:25]
	v_mfma_f32_16x16x16_f16 v[18:21], v[20:21], v[80:81], v[22:25]
	s_nop 5
	ds_read_b128 v[22:25], v1 offset:4096
	ds_read_b128 v[26:29], v1 offset:4112
	s_waitcnt vmcnt(11) lgkmcnt(1)
	v_mfma_f32_16x16x16_f16 v[18:21], v[14:15], v[22:23], v[18:21]
	v_mfma_f32_16x16x16_f16 v[14:17], v[16:17], v[24:25], v[18:21]
	s_waitcnt vmcnt(10) lgkmcnt(0)
	v_mfma_f32_16x16x16_f16 v[14:17], v[10:11], v[26:27], v[14:17]
	v_mfma_f32_16x16x16_f16 v[10:13], v[12:13], v[28:29], v[14:17]
	s_nop 5
	ds_read_b128 v[14:17], v1 offset:6144
	ds_read_b128 v[18:21], v1 offset:6160
	s_waitcnt lgkmcnt(0)
	s_barrier
	s_waitcnt vmcnt(9)
	v_mfma_f32_16x16x16_f16 v[10:13], v[6:7], v[14:15], v[10:13]
	v_mfma_f32_16x16x16_f16 v[6:9], v[8:9], v[16:17], v[10:13]
	s_waitcnt vmcnt(8)
	v_mfma_f32_16x16x16_f16 v[6:9], v[2:3], v[18:19], v[6:9]
	v_mfma_f32_16x16x16_f16 v[2:5], v[4:5], v[20:21], v[6:9]
	;; [unrolled: 3-line block ×3, first 2 shown]
	s_nop 3
	v_cvt_f16_f32_e32 v1, v2
	v_cvt_f16_f32_e32 v10, v3
	;; [unrolled: 1-line block ×3, first 2 shown]
	s_waitcnt vmcnt(6)
	v_mfma_f32_16x16x16_f16 v[6:9], v[38:39], v[66:67], v[6:9]
	v_cvt_f16_f32_e32 v12, v5
	v_mfma_f32_16x16x16_f16 v[6:9], v[40:41], v[68:69], v[6:9]
	s_waitcnt vmcnt(5)
	v_mfma_f32_16x16x16_f16 v[6:9], v[42:43], v[30:31], v[6:9]
	v_mfma_f32_16x16x16_f16 v[6:9], v[44:45], v[32:33], v[6:9]
	s_waitcnt vmcnt(4)
	v_mfma_f32_16x16x16_f16 v[6:9], v[34:35], v[78:79], v[6:9]
	;; [unrolled: 3-line block ×6, first 2 shown]
	v_mfma_f32_16x16x16_f16 v[2:5], v[60:61], v[20:21], v[6:9]
	s_nop 6
	v_cvt_f16_f32_e32 v6, v2
	v_cvt_f16_f32_e32 v7, v3
	;; [unrolled: 1-line block ×4, first 2 shown]
	v_pack_b32_f16 v2, v1, v10
	v_pack_b32_f16 v3, v11, v12
	;; [unrolled: 1-line block ×4, first 2 shown]
	ds_write2st64_b64 v82, v[2:3], v[4:5] offset1:1
	s_waitcnt lgkmcnt(0)
	s_barrier
	s_and_saveexec_b64 s[4:5], vcc
	s_cbranch_execz .LBB335_19
; %bb.18:
	s_load_dwordx2 s[0:1], s[0:1], 0x68
	s_lshl_b32 s6, s6, 7
	s_mul_i32 s2, s7, s2
	s_mul_hi_u32 s5, s2, s6
	s_mul_i32 s4, s2, s6
	s_lshl_b64 s[4:5], s[4:5], 1
	v_lshlrev_b32_e32 v3, 6, v76
	s_waitcnt lgkmcnt(0)
	s_add_u32 s4, s0, s4
	v_lshlrev_b32_e32 v2, 4, v0
	v_lshl_or_b32 v0, v0, 10, v3
	s_addc_u32 s5, s1, s5
	s_lshl_b32 s2, s26, 7
	v_lshlrev_b32_e32 v1, 5, v89
	v_and_b32_e32 v2, 16, v2
	v_and_b32_e32 v0, 0x1a00, v0
	s_lshl_b64 s[0:1], s[2:3], 1
	v_or3_b32 v0, v0, v1, v2
	s_add_u32 s0, s4, s0
	ds_read_b128 v[2:5], v0
	ds_read_b128 v[6:9], v0 offset:128
	ds_read_b128 v[10:13], v0 offset:256
	s_addc_u32 s1, s5, s1
	v_or_b32_e32 v16, s40, v89
	v_lshl_add_u64 v[0:1], v[74:75], 1, s[0:1]
	v_mad_u64_u32 v[14:15], s[0:1], v16, s6, 0
	v_lshl_add_u64 v[14:15], v[14:15], 1, v[0:1]
	s_waitcnt lgkmcnt(2)
	global_store_dwordx4 v[14:15], v[2:5], off
	s_nop 1
	v_add_u32_e32 v2, 4, v16
	v_mad_u64_u32 v[2:3], s[0:1], v2, s6, 0
	v_lshl_add_u64 v[2:3], v[2:3], 1, v[0:1]
	s_waitcnt lgkmcnt(1)
	global_store_dwordx4 v[2:3], v[6:9], off
	v_add_u32_e32 v2, 8, v16
	v_mad_u64_u32 v[2:3], s[0:1], v2, s6, 0
	v_lshl_add_u64 v[0:1], v[2:3], 1, v[0:1]
	s_waitcnt lgkmcnt(0)
	global_store_dwordx4 v[0:1], v[10:13], off
.LBB335_19:
	s_endpgm
	.section	.rodata,"a",@progbits
	.p2align	6, 0x0
	.amdhsa_kernel _Z39paged_attention_ll4mi_QKV_mfma16_kernelIDF16_DF16_LN4vllm18Fp8KVCacheDataTypeE0EhLi32ELi128ELi256ELb0ELi12EEvPKT_PKT0_S7_ifPKiS9_S9_iPKfiiiPfSC_PS2_PT2_iSB_SB_
		.amdhsa_group_segment_fixed_size 8192
		.amdhsa_private_segment_fixed_size 0
		.amdhsa_kernarg_size 400
		.amdhsa_user_sgpr_count 2
		.amdhsa_user_sgpr_dispatch_ptr 0
		.amdhsa_user_sgpr_queue_ptr 0
		.amdhsa_user_sgpr_kernarg_segment_ptr 1
		.amdhsa_user_sgpr_dispatch_id 0
		.amdhsa_user_sgpr_kernarg_preload_length 0
		.amdhsa_user_sgpr_kernarg_preload_offset 0
		.amdhsa_user_sgpr_private_segment_size 0
		.amdhsa_uses_dynamic_stack 0
		.amdhsa_enable_private_segment 0
		.amdhsa_system_sgpr_workgroup_id_x 1
		.amdhsa_system_sgpr_workgroup_id_y 1
		.amdhsa_system_sgpr_workgroup_id_z 1
		.amdhsa_system_sgpr_workgroup_info 0
		.amdhsa_system_vgpr_workitem_id 0
		.amdhsa_next_free_vgpr 96
		.amdhsa_next_free_sgpr 42
		.amdhsa_accum_offset 96
		.amdhsa_reserve_vcc 1
		.amdhsa_float_round_mode_32 0
		.amdhsa_float_round_mode_16_64 0
		.amdhsa_float_denorm_mode_32 3
		.amdhsa_float_denorm_mode_16_64 3
		.amdhsa_dx10_clamp 1
		.amdhsa_ieee_mode 1
		.amdhsa_fp16_overflow 0
		.amdhsa_tg_split 0
		.amdhsa_exception_fp_ieee_invalid_op 0
		.amdhsa_exception_fp_denorm_src 0
		.amdhsa_exception_fp_ieee_div_zero 0
		.amdhsa_exception_fp_ieee_overflow 0
		.amdhsa_exception_fp_ieee_underflow 0
		.amdhsa_exception_fp_ieee_inexact 0
		.amdhsa_exception_int_div_zero 0
	.end_amdhsa_kernel
	.section	.text._Z39paged_attention_ll4mi_QKV_mfma16_kernelIDF16_DF16_LN4vllm18Fp8KVCacheDataTypeE0EhLi32ELi128ELi256ELb0ELi12EEvPKT_PKT0_S7_ifPKiS9_S9_iPKfiiiPfSC_PS2_PT2_iSB_SB_,"axG",@progbits,_Z39paged_attention_ll4mi_QKV_mfma16_kernelIDF16_DF16_LN4vllm18Fp8KVCacheDataTypeE0EhLi32ELi128ELi256ELb0ELi12EEvPKT_PKT0_S7_ifPKiS9_S9_iPKfiiiPfSC_PS2_PT2_iSB_SB_,comdat
.Lfunc_end335:
	.size	_Z39paged_attention_ll4mi_QKV_mfma16_kernelIDF16_DF16_LN4vllm18Fp8KVCacheDataTypeE0EhLi32ELi128ELi256ELb0ELi12EEvPKT_PKT0_S7_ifPKiS9_S9_iPKfiiiPfSC_PS2_PT2_iSB_SB_, .Lfunc_end335-_Z39paged_attention_ll4mi_QKV_mfma16_kernelIDF16_DF16_LN4vllm18Fp8KVCacheDataTypeE0EhLi32ELi128ELi256ELb0ELi12EEvPKT_PKT0_S7_ifPKiS9_S9_iPKfiiiPfSC_PS2_PT2_iSB_SB_
                                        ; -- End function
	.section	.AMDGPU.csdata,"",@progbits
; Kernel info:
; codeLenInByte = 4592
; NumSgprs: 48
; NumVgprs: 96
; NumAgprs: 0
; TotalNumVgprs: 96
; ScratchSize: 0
; MemoryBound: 0
; FloatMode: 240
; IeeeMode: 1
; LDSByteSize: 8192 bytes/workgroup (compile time only)
; SGPRBlocks: 5
; VGPRBlocks: 11
; NumSGPRsForWavesPerEU: 48
; NumVGPRsForWavesPerEU: 96
; AccumOffset: 96
; Occupancy: 5
; WaveLimiterHint : 1
; COMPUTE_PGM_RSRC2:SCRATCH_EN: 0
; COMPUTE_PGM_RSRC2:USER_SGPR: 2
; COMPUTE_PGM_RSRC2:TRAP_HANDLER: 0
; COMPUTE_PGM_RSRC2:TGID_X_EN: 1
; COMPUTE_PGM_RSRC2:TGID_Y_EN: 1
; COMPUTE_PGM_RSRC2:TGID_Z_EN: 1
; COMPUTE_PGM_RSRC2:TIDIG_COMP_CNT: 0
; COMPUTE_PGM_RSRC3_GFX90A:ACCUM_OFFSET: 23
; COMPUTE_PGM_RSRC3_GFX90A:TG_SPLIT: 0
	.section	.text._Z39paged_attention_ll4mi_QKV_mfma16_kernelIDF16_DF16_LN4vllm18Fp8KVCacheDataTypeE0EhLi32ELi128ELi256ELb0ELi13EEvPKT_PKT0_S7_ifPKiS9_S9_iPKfiiiPfSC_PS2_PT2_iSB_SB_,"axG",@progbits,_Z39paged_attention_ll4mi_QKV_mfma16_kernelIDF16_DF16_LN4vllm18Fp8KVCacheDataTypeE0EhLi32ELi128ELi256ELb0ELi13EEvPKT_PKT0_S7_ifPKiS9_S9_iPKfiiiPfSC_PS2_PT2_iSB_SB_,comdat
	.protected	_Z39paged_attention_ll4mi_QKV_mfma16_kernelIDF16_DF16_LN4vllm18Fp8KVCacheDataTypeE0EhLi32ELi128ELi256ELb0ELi13EEvPKT_PKT0_S7_ifPKiS9_S9_iPKfiiiPfSC_PS2_PT2_iSB_SB_ ; -- Begin function _Z39paged_attention_ll4mi_QKV_mfma16_kernelIDF16_DF16_LN4vllm18Fp8KVCacheDataTypeE0EhLi32ELi128ELi256ELb0ELi13EEvPKT_PKT0_S7_ifPKiS9_S9_iPKfiiiPfSC_PS2_PT2_iSB_SB_
	.globl	_Z39paged_attention_ll4mi_QKV_mfma16_kernelIDF16_DF16_LN4vllm18Fp8KVCacheDataTypeE0EhLi32ELi128ELi256ELb0ELi13EEvPKT_PKT0_S7_ifPKiS9_S9_iPKfiiiPfSC_PS2_PT2_iSB_SB_
	.p2align	8
	.type	_Z39paged_attention_ll4mi_QKV_mfma16_kernelIDF16_DF16_LN4vllm18Fp8KVCacheDataTypeE0EhLi32ELi128ELi256ELb0ELi13EEvPKT_PKT0_S7_ifPKiS9_S9_iPKfiiiPfSC_PS2_PT2_iSB_SB_,@function
_Z39paged_attention_ll4mi_QKV_mfma16_kernelIDF16_DF16_LN4vllm18Fp8KVCacheDataTypeE0EhLi32ELi128ELi256ELb0ELi13EEvPKT_PKT0_S7_ifPKiS9_S9_iPKfiiiPfSC_PS2_PT2_iSB_SB_: ; @_Z39paged_attention_ll4mi_QKV_mfma16_kernelIDF16_DF16_LN4vllm18Fp8KVCacheDataTypeE0EhLi32ELi128ELi256ELb0ELi13EEvPKT_PKT0_S7_ifPKiS9_S9_iPKfiiiPfSC_PS2_PT2_iSB_SB_
; %bb.0:
	s_load_dwordx2 s[8:9], s[0:1], 0x30
	s_mov_b32 s26, s3
	s_mov_b64 s[6:7], 0
	s_waitcnt lgkmcnt(0)
	s_cmp_lg_u64 s[8:9], 0
	s_cselect_b64 s[10:11], -1, 0
	s_and_b64 vcc, exec, s[10:11]
	s_cbranch_vccz .LBB336_7
; %bb.1:
	s_add_i32 s12, s2, 1
	s_mov_b32 s13, 0
	s_lshl_b64 s[14:15], s[12:13], 2
	s_add_u32 s14, s8, s14
	s_mov_b32 s3, s13
	s_addc_u32 s15, s9, s15
	s_lshl_b64 s[12:13], s[2:3], 2
	s_add_u32 s12, s8, s12
	s_addc_u32 s13, s9, s13
	s_load_dword s5, s[14:15], 0x0
	s_load_dword s16, s[12:13], 0x0
	s_waitcnt lgkmcnt(0)
	s_sub_i32 s5, s5, s16
	s_cmp_eq_u32 s5, 1
	s_cselect_b64 s[12:13], -1, 0
	s_andn2_b64 vcc, exec, s[6:7]
	s_cbranch_vccnz .LBB336_3
.LBB336_2:
	s_mov_b32 s3, 0
	s_mov_b64 s[12:13], -1
.LBB336_3:
	s_andn2_b64 vcc, exec, s[12:13]
	s_cbranch_vccnz .LBB336_20
; %bb.4:
	s_load_dwordx2 s[6:7], s[0:1], 0x28
	s_lshl_b64 s[12:13], s[2:3], 2
	s_waitcnt lgkmcnt(0)
	s_add_u32 s6, s6, s12
	s_addc_u32 s7, s7, s13
	s_load_dword s33, s[6:7], 0x0
	s_lshl_b32 s18, s26, 8
	s_waitcnt lgkmcnt(0)
	s_cmp_ge_i32 s18, s33
	s_cbranch_scc1 .LBB336_20
; %bb.5:
	s_load_dwordx2 s[6:7], s[0:1], 0x20
	s_load_dword s5, s[0:1], 0x38
	s_add_i32 s14, s33, 31
	s_ashr_i32 s15, s14, 31
	v_and_b32_e32 v1, 0xcf, v0
	s_lshr_b32 s15, s15, 27
	v_add_u32_e32 v1, s18, v1
	s_add_i32 s14, s14, s15
	v_ashrrev_i32_e32 v2, 31, v1
	s_ashr_i32 s19, s14, 5
	v_lshrrev_b32_e32 v4, 27, v2
	s_add_i32 s19, s19, -1
	s_waitcnt lgkmcnt(0)
	s_mul_i32 s14, s2, s5
	s_mov_b32 s15, 0
	v_add_u32_e32 v2, v1, v4
	s_lshl_b64 s[14:15], s[14:15], 2
	v_ashrrev_i32_e32 v2, 5, v2
	v_mov_b32_e32 v5, s19
	v_cmp_gt_i32_e32 vcc, s33, v1
	s_add_u32 s6, s6, s14
	s_addc_u32 s7, s7, s15
	v_cndmask_b32_e32 v2, v5, v2, vcc
	v_ashrrev_i32_e32 v3, 31, v2
	v_lshl_add_u64 v[6:7], v[2:3], 2, s[6:7]
	v_or_b32_e32 v2, 16, v1
	v_add_u32_e32 v3, v2, v4
	v_ashrrev_i32_e32 v3, 5, v3
	v_cmp_gt_i32_e32 vcc, s33, v2
	s_nop 1
	v_cndmask_b32_e32 v2, v5, v3, vcc
	v_ashrrev_i32_e32 v3, 31, v2
	v_lshl_add_u64 v[8:9], v[2:3], 2, s[6:7]
	v_or_b32_e32 v2, 32, v1
	v_add_u32_e32 v3, v2, v4
	v_ashrrev_i32_e32 v3, 5, v3
	v_cmp_gt_i32_e32 vcc, s33, v2
	v_or_b32_e32 v1, 48, v1
	s_nop 0
	v_cndmask_b32_e32 v2, v5, v3, vcc
	v_ashrrev_i32_e32 v3, 31, v2
	v_lshl_add_u64 v[10:11], v[2:3], 2, s[6:7]
	v_add_u32_e32 v2, v1, v4
	v_ashrrev_i32_e32 v2, 5, v2
	v_cmp_gt_i32_e32 vcc, s33, v1
	s_nop 1
	v_cndmask_b32_e32 v2, v5, v2, vcc
	v_ashrrev_i32_e32 v3, 31, v2
	v_lshl_add_u64 v[12:13], v[2:3], 2, s[6:7]
	global_load_dword v2, v[6:7], off
	global_load_dword v5, v[8:9], off
	;; [unrolled: 1-line block ×4, first 2 shown]
	s_andn2_b64 vcc, exec, s[10:11]
	s_cbranch_vccnz .LBB336_8
; %bb.6:
	s_add_u32 s8, s8, s12
	s_addc_u32 s9, s9, s13
	s_load_dword s5, s[8:9], 0x0
	s_branch .LBB336_9
.LBB336_7:
	s_mov_b64 s[12:13], 0
	s_branch .LBB336_2
.LBB336_8:
	s_mov_b32 s5, s2
.LBB336_9:
	s_load_dwordx4 s[12:15], s[0:1], 0x8
	s_load_dwordx4 s[8:11], s[0:1], 0x48
	v_lshrrev_b32_e32 v86, 6, v0
	v_bfe_u32 v1, v0, 4, 2
	v_lshl_or_b32 v3, v86, 2, v1
	v_and_b32_e32 v76, 15, v0
	v_lshlrev_b32_e32 v74, 3, v76
	v_cmp_lt_u32_e32 vcc, 12, v3
	s_and_saveexec_b64 s[16:17], vcc
	s_xor_b64 s[16:17], exec, s[16:17]
; %bb.10:
	v_mov_b32_e32 v75, 0
                                        ; implicit-def: $vgpr3
; %bb.11:
	s_or_saveexec_b64 s[16:17], s[16:17]
	v_and_b32_e32 v77, 63, v0
	s_mul_i32 s40, s4, 13
	s_xor_b64 exec, exec, s[16:17]
	s_cbranch_execz .LBB336_13
; %bb.12:
	s_load_dwordx2 s[20:21], s[0:1], 0x0
	s_waitcnt lgkmcnt(0)
	s_ashr_i32 s11, s8, 31
	s_mul_hi_u32 s22, s5, s8
	s_mul_i32 s11, s5, s11
	s_add_i32 s23, s22, s11
	s_mul_i32 s22, s5, s8
	s_lshl_b64 s[22:23], s[22:23], 1
	s_add_u32 s20, s20, s22
	v_add_lshl_u32 v6, v3, s40, 7
	s_addc_u32 s21, s21, s23
	v_ashrrev_i32_e32 v7, 31, v6
	v_mov_b32_e32 v75, 0
	v_lshl_add_u64 v[6:7], v[6:7], 1, s[20:21]
	v_lshlrev_b32_e32 v8, 1, v74
	v_mov_b32_e32 v9, v75
	v_lshl_add_u64 v[6:7], v[6:7], 0, v[8:9]
	global_load_dwordx4 v[6:9], v[6:7], off
	v_and_b32_e32 v10, 3, v0
	v_lshlrev_b32_e32 v11, 9, v76
	v_lshlrev_b32_e32 v3, 5, v3
	;; [unrolled: 1-line block ×3, first 2 shown]
	v_and_b32_e32 v11, 0x1800, v11
	v_or3_b32 v3, v11, v10, v3
	s_waitcnt vmcnt(0)
	ds_write_b128 v3, v[6:9]
.LBB336_13:
	s_or_b64 exec, exec, s[16:17]
	s_waitcnt lgkmcnt(0)
	s_mul_i32 s4, s4, s10
	s_mov_b32 s5, 0
	s_lshl_b64 s[4:5], s[4:5], 1
	s_add_u32 s10, s12, s4
	s_addc_u32 s11, s13, s5
	s_waitcnt vmcnt(3)
	v_mad_i64_i32 v[2:3], s[12:13], v2, s9, 0
	v_lshl_add_u64 v[6:7], v[2:3], 1, s[10:11]
	v_lshlrev_b64 v[2:3], 1, v[74:75]
	v_lshlrev_b32_e32 v50, 9, v1
	v_lshl_add_u64 v[6:7], v[6:7], 0, v[2:3]
	v_mov_b32_e32 v51, 0
	v_lshl_add_u64 v[8:9], v[6:7], 0, v[50:51]
	s_load_dword s27, s[0:1], 0x98
	s_load_dword s8, s[0:1], 0x1c
	s_waitcnt lgkmcnt(0)
	s_barrier
	global_load_dwordx4 v[38:41], v[8:9], off
	s_waitcnt vmcnt(3)
	v_mad_i64_i32 v[10:11], s[12:13], v5, s9, 0
	v_mov_b32_e32 v5, 0x100
	v_lshl_add_u64 v[10:11], v[10:11], 1, s[10:11]
	v_lshl_or_b32 v54, v76, 4, v5
	v_mov_b32_e32 v55, v51
	v_lshl_add_u64 v[22:23], v[10:11], 0, v[54:55]
	v_lshl_add_u64 v[10:11], v[22:23], 0, v[50:51]
	global_load_dwordx4 v[42:45], v[10:11], off
	global_load_dwordx4 v[18:21], v[8:9], off offset:2048
	global_load_dwordx4 v[26:29], v[10:11], off offset:2048
	v_or_b32_e32 v56, 0x1000, v50
	v_mov_b32_e32 v57, v51
	v_or_b32_e32 v52, 0x1800, v50
	v_mov_b32_e32 v53, v51
	v_lshl_add_u64 v[8:9], v[6:7], 0, v[56:57]
	v_lshl_add_u64 v[6:7], v[6:7], 0, v[52:53]
	global_load_dwordx4 v[14:17], v[8:9], off
	global_load_dwordx4 v[10:13], v[6:7], off
	v_lshl_add_u64 v[8:9], v[22:23], 0, v[56:57]
	global_load_dwordx4 v[30:33], v[8:9], off
	s_waitcnt vmcnt(8)
	v_mad_i64_i32 v[4:5], s[12:13], v4, s9, 0
	v_lshl_add_u64 v[4:5], v[4:5], 1, s[10:11]
	v_lshl_add_u64 v[60:61], v[4:5], 0, v[2:3]
	v_add_u32_e32 v2, -13, v76
	v_cmp_gt_u32_e32 vcc, 13, v76
	v_lshl_add_u64 v[6:7], v[22:23], 0, v[52:53]
	global_load_dwordx4 v[22:25], v[6:7], off
	v_cndmask_b32_e32 v2, v2, v76, vcc
	v_lshl_add_u64 v[58:59], v[60:61], 0, v[50:51]
	v_lshl_add_u32 v62, v2, 5, v50
	global_load_dwordx4 v[34:37], v[58:59], off
	ds_read_b128 v[6:9], v62
	ds_read_b128 v[2:5], v62 offset:2048
	s_waitcnt vmcnt(9)
	v_mad_i64_i32 v[72:73], s[12:13], v46, s9, 0
	s_ashr_i32 s12, s18, 31
	v_and_or_b32 v78, v0, 48, s18
	v_or_b32_e32 v80, 64, v78
	v_mov_b32_e32 v79, s19
	v_cmp_gt_i32_e32 vcc, s33, v78
	v_or_b32_e32 v81, 0x80, v78
	v_or_b32_e32 v82, 0xc0, v78
	v_lshl_or_b32 v87, v86, 4, v76
	s_mov_b32 s41, 0xff7fffff
	s_waitcnt vmcnt(7) lgkmcnt(1)
	v_mfma_f32_16x16x16_f16 v[68:71], v[42:43], v[6:7], 0
	v_mfma_f32_16x16x16_f16 v[64:67], v[38:39], v[6:7], 0
	;; [unrolled: 1-line block ×3, first 2 shown]
	ds_read_b128 v[46:49], v62 offset:4096
	ds_read_b128 v[38:41], v62 offset:6144
	v_lshl_add_u64 v[62:63], v[72:73], 1, s[10:11]
	v_lshl_add_u64 v[72:73], v[62:63], 0, v[54:55]
	v_mfma_f32_16x16x16_f16 v[42:45], v[44:45], v[8:9], v[68:71]
	v_lshl_add_u64 v[54:55], v[60:61], 0, v[56:57]
	s_lshr_b32 s10, s12, 27
	v_add_u32_e32 v83, s10, v81
	s_waitcnt vmcnt(6) lgkmcnt(2)
	v_mfma_f32_16x16x16_f16 v[62:65], v[18:19], v[2:3], v[64:67]
	v_add_u32_e32 v70, s10, v78
	v_add_u32_e32 v71, s10, v80
	v_lshl_add_u64 v[68:69], v[72:73], 0, v[50:51]
	v_lshl_add_u64 v[66:67], v[60:61], 0, v[52:53]
	global_load_dwordx4 v[58:61], v[58:59], off offset:2048
	s_waitcnt vmcnt(6)
	v_mfma_f32_16x16x16_f16 v[42:45], v[26:27], v[2:3], v[42:45]
	v_ashrrev_i32_e32 v50, 5, v70
	v_add_u32_e32 v84, s10, v82
	s_add_u32 s4, s14, s4
	v_mfma_f32_16x16x16_f16 v[18:21], v[20:21], v[4:5], v[62:65]
	s_addc_u32 s5, s15, s5
	v_mfma_f32_16x16x16_f16 v[26:29], v[28:29], v[4:5], v[42:45]
	s_nop 0
	v_lshl_add_u64 v[62:63], v[72:73], 0, v[56:57]
	v_ashrrev_i32_e32 v56, 5, v71
	v_ashrrev_i32_e32 v64, 5, v83
	s_waitcnt vmcnt(5) lgkmcnt(1)
	v_mfma_f32_16x16x16_f16 v[18:21], v[14:15], v[46:47], v[18:21]
	global_load_dwordx4 v[42:45], v[54:55], off
	v_cndmask_b32_e32 v14, v79, v50, vcc
	v_cmp_gt_i32_e32 vcc, s33, v80
	s_waitcnt vmcnt(4)
	v_mfma_f32_16x16x16_f16 v[26:29], v[30:31], v[46:47], v[26:29]
	v_ashrrev_i32_e32 v15, 31, v14
	v_cndmask_b32_e32 v30, v79, v56, vcc
	v_ashrrev_i32_e32 v31, 31, v30
	v_lshl_add_u64 v[14:15], v[14:15], 2, s[6:7]
	v_lshl_add_u64 v[30:31], v[30:31], 2, s[6:7]
	global_load_dword v92, v[14:15], off
	global_load_dword v93, v[30:31], off
	v_mfma_f32_16x16x16_f16 v[14:17], v[16:17], v[48:49], v[18:21]
	v_cmp_gt_i32_e32 vcc, s33, v81
	v_ashrrev_i32_e32 v83, 5, v84
	s_nop 0
	global_load_dwordx4 v[18:21], v[66:67], off
	s_waitcnt lgkmcnt(0)
	v_mfma_f32_16x16x16_f16 v[14:17], v[10:11], v[38:39], v[14:17]
	v_cndmask_b32_e32 v10, v79, v64, vcc
	v_ashrrev_i32_e32 v11, 31, v10
	v_lshl_add_u64 v[10:11], v[10:11], 2, s[6:7]
	v_mfma_f32_16x16x16_f16 v[64:67], v[12:13], v[40:41], v[14:17]
	global_load_dword v94, v[10:11], off
	v_cmp_gt_i32_e32 vcc, s33, v82
	s_nop 0
	v_lshl_add_u64 v[14:15], v[72:73], 0, v[52:53]
	global_load_dwordx4 v[88:91], v[14:15], off
	global_load_dwordx4 v[54:57], v[68:69], off
	v_cndmask_b32_e32 v10, v79, v83, vcc
	global_load_dwordx4 v[68:71], v[68:69], off offset:2048
	v_ashrrev_i32_e32 v11, 31, v10
	global_load_dwordx4 v[82:85], v[62:63], off
	v_lshl_add_u64 v[10:11], v[10:11], 2, s[6:7]
	global_load_dword v95, v[10:11], off
	s_waitcnt vmcnt(11)
	v_mfma_f32_16x16x16_f16 v[10:13], v[34:35], v[6:7], 0
	v_and_b32_e32 v14, 16, v0
	v_lshlrev_b32_e32 v50, 1, v14
	v_mfma_f32_16x16x16_f16 v[10:13], v[36:37], v[8:9], v[10:13]
	v_lshl_add_u64 v[36:37], s[4:5], 0, v[50:51]
	v_lshlrev_b32_e32 v50, 6, v87
	s_waitcnt vmcnt(8)
	v_mad_i64_i32 v[14:15], s[4:5], v92, s9, 0
	v_mfma_f32_16x16x16_f16 v[10:13], v[58:59], v[2:3], v[10:13]
	v_lshlrev_b64 v[72:73], 1, v[14:15]
	v_mfma_f32_16x16x16_f16 v[10:13], v[60:61], v[4:5], v[10:13]
	v_lshl_add_u64 v[60:61], v[36:37], 0, v[50:51]
	v_lshl_add_u64 v[14:15], v[60:61], 0, v[72:73]
	v_or_b32_e32 v50, 0x1000, v50
	v_mfma_f32_16x16x16_f16 v[10:13], v[42:43], v[46:47], v[10:13]
	v_lshl_add_u64 v[62:63], v[36:37], 0, v[50:51]
	v_lshl_add_u64 v[50:51], v[62:63], 0, v[72:73]
	v_mfma_f32_16x16x16_f16 v[26:29], v[32:33], v[48:49], v[26:29]
	v_mfma_f32_16x16x16_f16 v[10:13], v[44:45], v[48:49], v[10:13]
	;; [unrolled: 1-line block ×3, first 2 shown]
	s_waitcnt vmcnt(6)
	v_mfma_f32_16x16x16_f16 v[10:13], v[18:19], v[38:39], v[10:13]
	v_mfma_f32_16x16x16_f16 v[78:81], v[24:25], v[40:41], v[26:29]
	global_load_dwordx4 v[30:33], v[14:15], off
	s_nop 2
	global_load_dwordx4 v[26:29], v[14:15], off offset:16
	v_mad_i64_i32 v[14:15], s[4:5], v93, s9, 0
	v_lshlrev_b64 v[34:35], 1, v[14:15]
	v_mfma_f32_16x16x16_f16 v[42:45], v[20:21], v[40:41], v[10:13]
	s_nop 2
	v_lshl_add_u64 v[10:11], v[60:61], 0, v[34:35]
	global_load_dwordx4 v[22:25], v[10:11], off
	global_load_dwordx4 v[18:21], v[10:11], off offset:16
	s_waitcnt vmcnt(7)
	v_mfma_f32_16x16x16_f16 v[10:13], v[54:55], v[6:7], 0
	v_mad_i64_i32 v[6:7], s[4:5], v94, s9, 0
	v_lshlrev_b64 v[52:53], 1, v[6:7]
	v_mfma_f32_16x16x16_f16 v[6:9], v[56:57], v[8:9], v[10:13]
	v_lshl_add_u64 v[34:35], v[62:63], 0, v[34:35]
	s_waitcnt vmcnt(6)
	v_mfma_f32_16x16x16_f16 v[6:9], v[68:69], v[2:3], v[6:9]
	s_waitcnt vmcnt(4)
	v_mad_i64_i32 v[2:3], s[4:5], v95, s9, 0
	v_lshlrev_b64 v[58:59], 1, v[2:3]
	v_mfma_f32_16x16x16_f16 v[54:57], v[70:71], v[4:5], v[6:9]
	v_lshl_add_u64 v[10:11], v[60:61], 0, v[52:53]
	v_lshl_add_u64 v[2:3], v[60:61], 0, v[58:59]
	v_pk_mul_f32 v[60:61], s[8:9], v[64:65] op_sel_hi:[0,1]
	v_mfma_f32_16x16x16_f16 v[54:57], v[82:83], v[46:47], v[54:57]
	v_pk_mul_f32 v[82:83], s[8:9], v[66:67] op_sel_hi:[0,1]
	v_pk_mul_f32 v[70:71], s[8:9], v[78:79] op_sel_hi:[0,1]
	;; [unrolled: 1-line block ×3, first 2 shown]
	v_mfma_f32_16x16x16_f16 v[46:49], v[84:85], v[48:49], v[54:57]
	v_pk_mul_f32 v[84:85], s[8:9], v[80:81] op_sel_hi:[0,1]
	v_pk_mul_f32 v[80:81], s[8:9], v[42:43] op_sel_hi:[0,1]
	global_load_dwordx4 v[14:17], v[10:11], off
	s_nop 0
	global_load_dwordx4 v[10:13], v[10:11], off offset:16
	v_mfma_f32_16x16x16_f16 v[36:39], v[88:89], v[38:39], v[46:49]
	global_load_dwordx4 v[6:9], v[2:3], off
	s_nop 0
	global_load_dwordx4 v[2:5], v[2:3], off offset:16
	v_lshl_add_u64 v[58:59], v[62:63], 0, v[58:59]
	v_mfma_f32_16x16x16_f16 v[36:39], v[90:91], v[40:41], v[36:39]
	s_nop 6
	v_pk_mul_f32 v[72:73], s[8:9], v[36:37] op_sel_hi:[0,1]
	v_and_b32_e32 v36, 0xc0, v0
	v_add_u32_e32 v36, s18, v36
	v_lshl_or_b32 v36, v1, 2, v36
	v_pk_mul_f32 v[66:67], s[8:9], v[38:39] op_sel_hi:[0,1]
	v_or_b32_e32 v39, 1, v36
	v_mov_b32_e32 v37, 0xff7fffff
	v_cmp_gt_i32_e64 s[28:29], s33, v36
	v_cmp_gt_i32_e64 s[30:31], s33, v39
	v_or_b32_e32 v40, 3, v36
	v_cndmask_b32_e64 v38, v37, v60, s[28:29]
	v_cndmask_b32_e64 v39, v37, v61, s[30:31]
	v_max3_f32 v38, v38, s41, v39
	v_or_b32_e32 v39, 2, v36
	v_cmp_gt_i32_e64 s[34:35], s33, v39
	v_cmp_gt_i32_e64 s[36:37], s33, v40
	s_nop 0
	v_cndmask_b32_e64 v39, v37, v82, s[34:35]
	v_cndmask_b32_e64 v40, v37, v83, s[36:37]
	v_max3_f32 v38, v38, v39, v40
	v_or_b32_e32 v39, 16, v36
	v_or_b32_e32 v40, 17, v36
	v_cmp_gt_i32_e64 s[22:23], s33, v39
	v_cmp_gt_i32_e64 s[24:25], s33, v40
	s_nop 0
	v_cndmask_b32_e64 v39, v37, v70, s[22:23]
	v_cndmask_b32_e64 v40, v37, v71, s[24:25]
	v_max3_f32 v38, v38, v39, v40
	v_or_b32_e32 v39, 18, v36
	;; [unrolled: 8-line block ×6, first 2 shown]
	v_or_b32_e32 v36, 51, v36
	v_cmp_gt_i32_e32 vcc, s33, v39
	v_cmp_gt_i32_e64 s[4:5], s33, v36
	s_nop 0
	v_cndmask_b32_e32 v39, v37, v66, vcc
	v_cndmask_b32_e64 v36, v37, v67, s[4:5]
	v_max3_f32 v54, v38, v39, v36
	v_mbcnt_lo_u32_b32 v36, -1, 0
	v_mbcnt_hi_u32_b32 v55, -1, v36
	v_and_b32_e32 v36, 64, v55
	v_add_u32_e32 v56, 64, v36
	v_xor_b32_e32 v36, 32, v55
	v_cmp_lt_i32_e64 s[38:39], v36, v56
	global_load_dwordx4 v[46:49], v[50:51], off
	global_load_dwordx4 v[38:41], v[50:51], off offset:16
	v_cndmask_b32_e64 v36, v55, v36, s[38:39]
	v_lshlrev_b32_e32 v89, 2, v36
	ds_bpermute_b32 v57, v89, v54
	global_load_dwordx4 v[42:45], v[34:35], off
	s_nop 0
	global_load_dwordx4 v[34:37], v[34:35], off offset:16
	s_waitcnt lgkmcnt(0)
	v_max_f32_e32 v50, v57, v57
	v_max_f32_e32 v64, v54, v50
	v_xor_b32_e32 v50, 16, v55
	v_cmp_lt_i32_e64 s[38:39], v50, v56
	s_nop 1
	v_cndmask_b32_e64 v50, v55, v50, s[38:39]
	v_lshlrev_b32_e32 v90, 2, v50
	ds_bpermute_b32 v65, v90, v64
	v_lshl_add_u64 v[50:51], v[62:63], 0, v[52:53]
	global_load_dwordx4 v[54:57], v[50:51], off
	s_nop 0
	global_load_dwordx4 v[50:53], v[50:51], off offset:16
	s_waitcnt lgkmcnt(0)
	v_max_f32_e32 v62, v65, v65
	v_max_f32_e32 v88, v64, v62
	v_sub_f32_e32 v60, v60, v88
	v_mul_f32_e32 v60, 0x3fb8aa3b, v60
	v_exp_f32_e32 v68, v60
	v_sub_f32_e32 v60, v61, v88
	v_mul_f32_e32 v60, 0x3fb8aa3b, v60
	v_exp_f32_e32 v69, v60
	global_load_dwordx4 v[62:65], v[58:59], off
	s_nop 0
	global_load_dwordx4 v[58:61], v[58:59], off offset:16
	v_sub_f32_e32 v82, v82, v88
	v_mul_f32_e32 v82, 0x3fb8aa3b, v82
	v_sub_f32_e32 v83, v83, v88
	v_exp_f32_e32 v82, v82
	v_mul_f32_e32 v83, 0x3fb8aa3b, v83
	v_sub_f32_e32 v70, v70, v88
	v_exp_f32_e32 v83, v83
	v_mul_f32_e32 v70, 0x3fb8aa3b, v70
	v_sub_f32_e32 v71, v71, v88
	v_cndmask_b32_e64 v68, 0, v68, s[28:29]
	v_exp_f32_e32 v70, v70
	v_mul_f32_e32 v71, 0x3fb8aa3b, v71
	v_sub_f32_e32 v84, v84, v88
	v_add_f32_e32 v91, 0, v68
	v_cndmask_b32_e64 v69, 0, v69, s[30:31]
	v_exp_f32_e32 v71, v71
	v_mul_f32_e32 v84, 0x3fb8aa3b, v84
	v_sub_f32_e32 v85, v85, v88
	v_add_f32_e32 v91, v91, v69
	;; [unrolled: 5-line block ×10, first 2 shown]
	v_cndmask_b32_e64 v78, 0, v78, s[10:11]
	v_exp_f32_e32 v66, v66
	v_mul_f32_e32 v67, 0x3fb8aa3b, v67
	v_add_f32_e32 v91, v91, v78
	v_cndmask_b32_e64 v79, 0, v79, s[12:13]
	v_exp_f32_e32 v67, v67
	v_add_f32_e32 v91, v91, v79
	v_cndmask_b32_e64 v72, 0, v72, s[6:7]
	v_add_f32_e32 v91, v91, v72
	v_cndmask_b32_e64 v73, 0, v73, s[8:9]
	v_add_f32_e32 v91, v91, v73
	v_cndmask_b32_e32 v66, 0, v66, vcc
	v_add_f32_e32 v91, v91, v66
	v_cndmask_b32_e64 v67, 0, v67, s[4:5]
	v_add_f32_e32 v91, v91, v67
	ds_bpermute_b32 v89, v89, v91
	v_cmp_gt_u32_e64 s[4:5], 16, v77
	s_waitcnt lgkmcnt(0)
	s_barrier
	v_add_f32_e32 v89, v91, v89
	ds_bpermute_b32 v90, v90, v89
	s_and_saveexec_b64 s[6:7], s[4:5]
	s_cbranch_execz .LBB336_15
; %bb.14:
	s_waitcnt lgkmcnt(0)
	v_add_f32_e32 v77, v89, v90
	v_lshlrev_b32_e32 v87, 2, v87
	ds_write2st64_b32 v87, v88, v77 offset1:1
.LBB336_15:
	s_or_b64 exec, exec, s[6:7]
	v_lshlrev_b32_e32 v77, 2, v76
	s_load_dword s8, s[0:1], 0x94
	s_waitcnt lgkmcnt(0)
	s_barrier
	ds_read2_b32 v[88:89], v77 offset1:16
	ds_read2_b32 v[90:91], v77 offset0:32 offset1:48
	ds_read2_b32 v[92:93], v77 offset0:64 offset1:80
	;; [unrolled: 1-line block ×3, first 2 shown]
	s_waitcnt lgkmcnt(0)
	v_max3_f32 v87, v88, s41, v89
	v_max3_f32 v87, v87, v90, v91
	v_sub_f32_e32 v88, v88, v87
	v_mul_f32_e32 v88, 0x3fb8aa3b, v88
	v_exp_f32_e32 v86, v88
	v_sub_f32_e32 v88, v89, v87
	v_mul_f32_e32 v88, 0x3fb8aa3b, v88
	v_exp_f32_e32 v89, v88
	v_sub_f32_e32 v88, v90, v87
	v_mul_f32_e32 v88, 0x3fb8aa3b, v88
	v_sub_f32_e32 v77, v91, v87
	v_exp_f32_e32 v90, v88
	v_mul_f32_e32 v77, 0x3fb8aa3b, v77
	v_exp_f32_e32 v77, v77
	v_fma_f32 v88, v86, v92, 0
	v_fmac_f32_e32 v88, v89, v93
	v_fmac_f32_e32 v88, v90, v94
	;; [unrolled: 1-line block ×3, first 2 shown]
	v_add_f32_e32 v91, 0x358637bd, v88
	v_div_scale_f32 v92, s[6:7], v91, v91, 1.0
	v_rcp_f32_e32 v93, v92
	s_barrier
	s_mul_i32 s9, s27, 13
	v_fma_f32 v94, -v92, v93, 1.0
	v_fmac_f32_e32 v93, v94, v93
	v_div_scale_f32 v94, vcc, 1.0, v91, 1.0
	v_mul_f32_e32 v95, v94, v93
	v_fma_f32 v1, -v92, v95, v94
	v_fmac_f32_e32 v95, v1, v93
	v_fma_f32 v1, -v92, v95, v94
	v_div_fmas_f32 v1, v1, v93, v95
	v_div_fixup_f32 v1, v1, v91, 1.0
	v_lshrrev_b32_e32 v91, 6, v0
	v_cmp_eq_u32_e32 vcc, 1, v91
	s_nop 1
	v_cndmask_b32_e32 v86, v86, v89, vcc
	v_cmp_eq_u32_e32 vcc, 2, v91
	s_nop 1
	v_cndmask_b32_e32 v86, v86, v90, vcc
	;; [unrolled: 3-line block ×3, first 2 shown]
	v_mul_f32_e32 v90, v77, v1
	v_pk_mul_f32 v[82:83], v[90:91], v[82:83] op_sel_hi:[0,1]
	v_pk_mul_f32 v[68:69], v[90:91], v[68:69] op_sel_hi:[0,1]
	v_cvt_f16_f32_e32 v1, v68
	v_cvt_f16_f32_e32 v68, v69
	;; [unrolled: 1-line block ×4, first 2 shown]
	v_pk_mul_f32 v[84:85], v[90:91], v[84:85] op_sel_hi:[0,1]
	v_pk_mul_f32 v[70:71], v[90:91], v[70:71] op_sel_hi:[0,1]
	v_bfe_u32 v86, v0, 4, 2
	v_pack_b32_f16 v83, v69, v77
	v_cvt_f16_f32_e32 v69, v70
	v_cvt_f16_f32_e32 v70, v71
	;; [unrolled: 1-line block ×4, first 2 shown]
	v_pack_b32_f16 v82, v1, v68
	v_lshlrev_b32_e32 v1, 3, v86
	v_lshlrev_b32_e32 v68, 5, v76
	;; [unrolled: 1-line block ×3, first 2 shown]
	v_or3_b32 v1, v84, v68, v1
	v_pack_b32_f16 v70, v69, v70
	v_pack_b32_f16 v71, v71, v77
	ds_write2st64_b64 v1, v[82:83], v[70:71] offset1:1
	v_pk_mul_f32 v[70:71], v[90:91], v[78:79] op_sel_hi:[0,1]
	v_pk_mul_f32 v[78:79], v[90:91], v[80:81] op_sel_hi:[0,1]
	v_cvt_f16_f32_e32 v69, v78
	v_cvt_f16_f32_e32 v77, v79
	;; [unrolled: 1-line block ×4, first 2 shown]
	v_pk_mul_f32 v[66:67], v[90:91], v[66:67] op_sel_hi:[0,1]
	v_pk_mul_f32 v[70:71], v[90:91], v[72:73] op_sel_hi:[0,1]
	v_cvt_f16_f32_e32 v70, v70
	v_cvt_f16_f32_e32 v71, v71
	;; [unrolled: 1-line block ×4, first 2 shown]
	v_pack_b32_f16 v66, v69, v77
	v_pack_b32_f16 v67, v78, v79
	;; [unrolled: 1-line block ×4, first 2 shown]
	v_cmp_gt_u32_e32 vcc, 13, v0
	ds_write2st64_b64 v1, v[66:67], v[70:71] offset0:2 offset1:3
	s_and_saveexec_b64 s[6:7], vcc
	s_cbranch_execz .LBB336_17
; %bb.16:
	s_mov_b32 s41, 0
	v_mov_b32_e32 v77, 0
	v_lshl_add_u64 v[66:67], s[40:41], 0, v[76:77]
	v_mov_b32_e32 v69, s9
	v_mad_u64_u32 v[66:67], s[10:11], s2, v69, v[66:67]
	s_mul_i32 s3, s3, s9
	v_mov_b32_e32 v70, s26
	v_mov_b32_e32 v71, v77
	s_load_dwordx4 s[12:15], s[0:1], 0x58
	v_add_u32_e32 v69, s3, v67
	v_mad_u64_u32 v[66:67], s[10:11], v66, s8, v[70:71]
	v_mov_b32_e32 v70, v67
	v_mad_u64_u32 v[70:71], s[10:11], v69, s8, v[70:71]
	v_mov_b32_e32 v67, v70
	v_lshlrev_b64 v[66:67], 2, v[66:67]
	s_waitcnt lgkmcnt(0)
	v_lshl_add_u64 v[70:71], s[14:15], 0, v[66:67]
	v_lshl_add_u64 v[66:67], s[12:13], 0, v[66:67]
	global_store_dword v[70:71], v87, off
	global_store_dword v[66:67], v88, off
.LBB336_17:
	s_or_b64 exec, exec, s[6:7]
	v_lshl_or_b32 v77, v86, 9, v68
	s_waitcnt lgkmcnt(0)
	s_barrier
	ds_read_b128 v[70:73], v77
	ds_read_b128 v[66:69], v77 offset:16
	s_waitcnt vmcnt(15) lgkmcnt(1)
	v_mfma_f32_16x16x16_f16 v[78:81], v[30:31], v[70:71], 0
	s_mov_b32 s3, 0
	v_cmp_gt_u32_e32 vcc, 64, v0
	v_mfma_f32_16x16x16_f16 v[30:33], v[32:33], v[72:73], v[78:81]
	s_waitcnt vmcnt(14) lgkmcnt(0)
	v_mfma_f32_16x16x16_f16 v[30:33], v[26:27], v[66:67], v[30:33]
	v_mfma_f32_16x16x16_f16 v[26:29], v[28:29], v[68:69], v[30:33]
	s_nop 5
	ds_read_b128 v[30:33], v77 offset:2048
	ds_read_b128 v[78:81], v77 offset:2064
	s_waitcnt vmcnt(13) lgkmcnt(1)
	v_mfma_f32_16x16x16_f16 v[26:29], v[22:23], v[30:31], v[26:29]
	v_mfma_f32_16x16x16_f16 v[22:25], v[24:25], v[32:33], v[26:29]
	s_waitcnt vmcnt(12) lgkmcnt(0)
	v_mfma_f32_16x16x16_f16 v[22:25], v[18:19], v[78:79], v[22:25]
	v_mfma_f32_16x16x16_f16 v[18:21], v[20:21], v[80:81], v[22:25]
	s_nop 5
	ds_read_b128 v[22:25], v77 offset:4096
	ds_read_b128 v[26:29], v77 offset:4112
	s_waitcnt vmcnt(11) lgkmcnt(1)
	v_mfma_f32_16x16x16_f16 v[18:21], v[14:15], v[22:23], v[18:21]
	v_mfma_f32_16x16x16_f16 v[14:17], v[16:17], v[24:25], v[18:21]
	s_waitcnt vmcnt(10) lgkmcnt(0)
	v_mfma_f32_16x16x16_f16 v[14:17], v[10:11], v[26:27], v[14:17]
	v_mfma_f32_16x16x16_f16 v[10:13], v[12:13], v[28:29], v[14:17]
	s_nop 5
	ds_read_b128 v[14:17], v77 offset:6144
	ds_read_b128 v[18:21], v77 offset:6160
	s_waitcnt lgkmcnt(0)
	s_barrier
	s_waitcnt vmcnt(9)
	v_mfma_f32_16x16x16_f16 v[10:13], v[6:7], v[14:15], v[10:13]
	v_mfma_f32_16x16x16_f16 v[6:9], v[8:9], v[16:17], v[10:13]
	s_waitcnt vmcnt(8)
	v_mfma_f32_16x16x16_f16 v[6:9], v[2:3], v[18:19], v[6:9]
	v_mfma_f32_16x16x16_f16 v[2:5], v[4:5], v[20:21], v[6:9]
	;; [unrolled: 3-line block ×3, first 2 shown]
	s_nop 3
	v_cvt_f16_f32_e32 v10, v2
	v_cvt_f16_f32_e32 v11, v3
	v_cvt_f16_f32_e32 v12, v4
	s_waitcnt vmcnt(6)
	v_mfma_f32_16x16x16_f16 v[6:9], v[38:39], v[66:67], v[6:9]
	v_cvt_f16_f32_e32 v13, v5
	v_mfma_f32_16x16x16_f16 v[6:9], v[40:41], v[68:69], v[6:9]
	s_waitcnt vmcnt(5)
	v_mfma_f32_16x16x16_f16 v[6:9], v[42:43], v[30:31], v[6:9]
	v_mfma_f32_16x16x16_f16 v[6:9], v[44:45], v[32:33], v[6:9]
	s_waitcnt vmcnt(4)
	v_mfma_f32_16x16x16_f16 v[6:9], v[34:35], v[78:79], v[6:9]
	;; [unrolled: 3-line block ×6, first 2 shown]
	v_mfma_f32_16x16x16_f16 v[2:5], v[60:61], v[20:21], v[6:9]
	s_nop 6
	v_cvt_f16_f32_e32 v6, v2
	v_cvt_f16_f32_e32 v7, v3
	;; [unrolled: 1-line block ×4, first 2 shown]
	v_pack_b32_f16 v2, v10, v11
	v_pack_b32_f16 v3, v12, v13
	;; [unrolled: 1-line block ×4, first 2 shown]
	ds_write2st64_b64 v1, v[2:3], v[4:5] offset1:1
	s_waitcnt lgkmcnt(0)
	s_barrier
	s_and_saveexec_b64 s[6:7], vcc
	s_cbranch_execz .LBB336_20
; %bb.18:
	s_load_dwordx2 s[6:7], s[0:1], 0x68
	s_lshl_b32 s0, s8, 7
	s_mul_i32 s1, s9, s2
	v_lshlrev_b32_e32 v3, 6, v76
	s_mul_hi_u32 s9, s1, s0
	s_mul_i32 s8, s1, s0
	v_lshlrev_b32_e32 v2, 4, v0
	v_lshl_or_b32 v0, v0, 10, v3
	s_lshl_b64 s[8:9], s[8:9], 1
	v_lshlrev_b32_e32 v1, 5, v86
	v_and_b32_e32 v2, 16, v2
	v_and_b32_e32 v0, 0x1a00, v0
	s_waitcnt lgkmcnt(0)
	s_add_u32 s1, s6, s8
	v_or3_b32 v2, v0, v1, v2
	s_addc_u32 s6, s7, s9
	s_lshl_b32 s2, s26, 7
	ds_read_b128 v[4:7], v2 offset:256
	s_lshl_b64 s[2:3], s[2:3], 1
	ds_read_b128 v[8:11], v2 offset:128
	ds_read_b128 v[12:15], v2
	s_add_u32 s2, s1, s2
	s_addc_u32 s3, s6, s3
	v_add_u32_e32 v3, s40, v86
	v_lshl_add_u64 v[0:1], v[74:75], 1, s[2:3]
	v_mad_u64_u32 v[16:17], s[2:3], v3, s0, 0
	v_lshl_add_u64 v[16:17], v[16:17], 1, v[0:1]
	s_waitcnt lgkmcnt(0)
	global_store_dwordx4 v[16:17], v[12:15], off
	s_nop 1
	v_add_u32_e32 v12, 4, v3
	v_mad_u64_u32 v[12:13], s[2:3], v12, s0, 0
	v_lshl_add_u64 v[12:13], v[12:13], 1, v[0:1]
	v_add_u32_e32 v3, 8, v3
	global_store_dwordx4 v[12:13], v[8:11], off
	s_nop 1
	v_mad_u64_u32 v[8:9], s[2:3], v3, s0, 0
	v_lshl_add_u64 v[8:9], v[8:9], 1, v[0:1]
	global_store_dwordx4 v[8:9], v[4:7], off
	s_and_b64 exec, exec, s[4:5]
	s_cbranch_execz .LBB336_20
; %bb.19:
	ds_read_b128 v[2:5], v2 offset:384
	v_add3_u32 v6, s40, v86, 12
	v_mad_u64_u32 v[6:7], s[0:1], v6, s0, 0
	v_lshl_add_u64 v[0:1], v[6:7], 1, v[0:1]
	s_waitcnt lgkmcnt(0)
	global_store_dwordx4 v[0:1], v[2:5], off
.LBB336_20:
	s_endpgm
	.section	.rodata,"a",@progbits
	.p2align	6, 0x0
	.amdhsa_kernel _Z39paged_attention_ll4mi_QKV_mfma16_kernelIDF16_DF16_LN4vllm18Fp8KVCacheDataTypeE0EhLi32ELi128ELi256ELb0ELi13EEvPKT_PKT0_S7_ifPKiS9_S9_iPKfiiiPfSC_PS2_PT2_iSB_SB_
		.amdhsa_group_segment_fixed_size 8192
		.amdhsa_private_segment_fixed_size 0
		.amdhsa_kernarg_size 400
		.amdhsa_user_sgpr_count 2
		.amdhsa_user_sgpr_dispatch_ptr 0
		.amdhsa_user_sgpr_queue_ptr 0
		.amdhsa_user_sgpr_kernarg_segment_ptr 1
		.amdhsa_user_sgpr_dispatch_id 0
		.amdhsa_user_sgpr_kernarg_preload_length 0
		.amdhsa_user_sgpr_kernarg_preload_offset 0
		.amdhsa_user_sgpr_private_segment_size 0
		.amdhsa_uses_dynamic_stack 0
		.amdhsa_enable_private_segment 0
		.amdhsa_system_sgpr_workgroup_id_x 1
		.amdhsa_system_sgpr_workgroup_id_y 1
		.amdhsa_system_sgpr_workgroup_id_z 1
		.amdhsa_system_sgpr_workgroup_info 0
		.amdhsa_system_vgpr_workitem_id 0
		.amdhsa_next_free_vgpr 96
		.amdhsa_next_free_sgpr 42
		.amdhsa_accum_offset 96
		.amdhsa_reserve_vcc 1
		.amdhsa_float_round_mode_32 0
		.amdhsa_float_round_mode_16_64 0
		.amdhsa_float_denorm_mode_32 3
		.amdhsa_float_denorm_mode_16_64 3
		.amdhsa_dx10_clamp 1
		.amdhsa_ieee_mode 1
		.amdhsa_fp16_overflow 0
		.amdhsa_tg_split 0
		.amdhsa_exception_fp_ieee_invalid_op 0
		.amdhsa_exception_fp_denorm_src 0
		.amdhsa_exception_fp_ieee_div_zero 0
		.amdhsa_exception_fp_ieee_overflow 0
		.amdhsa_exception_fp_ieee_underflow 0
		.amdhsa_exception_fp_ieee_inexact 0
		.amdhsa_exception_int_div_zero 0
	.end_amdhsa_kernel
	.section	.text._Z39paged_attention_ll4mi_QKV_mfma16_kernelIDF16_DF16_LN4vllm18Fp8KVCacheDataTypeE0EhLi32ELi128ELi256ELb0ELi13EEvPKT_PKT0_S7_ifPKiS9_S9_iPKfiiiPfSC_PS2_PT2_iSB_SB_,"axG",@progbits,_Z39paged_attention_ll4mi_QKV_mfma16_kernelIDF16_DF16_LN4vllm18Fp8KVCacheDataTypeE0EhLi32ELi128ELi256ELb0ELi13EEvPKT_PKT0_S7_ifPKiS9_S9_iPKfiiiPfSC_PS2_PT2_iSB_SB_,comdat
.Lfunc_end336:
	.size	_Z39paged_attention_ll4mi_QKV_mfma16_kernelIDF16_DF16_LN4vllm18Fp8KVCacheDataTypeE0EhLi32ELi128ELi256ELb0ELi13EEvPKT_PKT0_S7_ifPKiS9_S9_iPKfiiiPfSC_PS2_PT2_iSB_SB_, .Lfunc_end336-_Z39paged_attention_ll4mi_QKV_mfma16_kernelIDF16_DF16_LN4vllm18Fp8KVCacheDataTypeE0EhLi32ELi128ELi256ELb0ELi13EEvPKT_PKT0_S7_ifPKiS9_S9_iPKfiiiPfSC_PS2_PT2_iSB_SB_
                                        ; -- End function
	.section	.AMDGPU.csdata,"",@progbits
; Kernel info:
; codeLenInByte = 4628
; NumSgprs: 48
; NumVgprs: 96
; NumAgprs: 0
; TotalNumVgprs: 96
; ScratchSize: 0
; MemoryBound: 0
; FloatMode: 240
; IeeeMode: 1
; LDSByteSize: 8192 bytes/workgroup (compile time only)
; SGPRBlocks: 5
; VGPRBlocks: 11
; NumSGPRsForWavesPerEU: 48
; NumVGPRsForWavesPerEU: 96
; AccumOffset: 96
; Occupancy: 5
; WaveLimiterHint : 1
; COMPUTE_PGM_RSRC2:SCRATCH_EN: 0
; COMPUTE_PGM_RSRC2:USER_SGPR: 2
; COMPUTE_PGM_RSRC2:TRAP_HANDLER: 0
; COMPUTE_PGM_RSRC2:TGID_X_EN: 1
; COMPUTE_PGM_RSRC2:TGID_Y_EN: 1
; COMPUTE_PGM_RSRC2:TGID_Z_EN: 1
; COMPUTE_PGM_RSRC2:TIDIG_COMP_CNT: 0
; COMPUTE_PGM_RSRC3_GFX90A:ACCUM_OFFSET: 23
; COMPUTE_PGM_RSRC3_GFX90A:TG_SPLIT: 0
	.section	.text._Z39paged_attention_ll4mi_QKV_mfma16_kernelIDF16_DF16_LN4vllm18Fp8KVCacheDataTypeE0EhLi32ELi128ELi256ELb0ELi14EEvPKT_PKT0_S7_ifPKiS9_S9_iPKfiiiPfSC_PS2_PT2_iSB_SB_,"axG",@progbits,_Z39paged_attention_ll4mi_QKV_mfma16_kernelIDF16_DF16_LN4vllm18Fp8KVCacheDataTypeE0EhLi32ELi128ELi256ELb0ELi14EEvPKT_PKT0_S7_ifPKiS9_S9_iPKfiiiPfSC_PS2_PT2_iSB_SB_,comdat
	.protected	_Z39paged_attention_ll4mi_QKV_mfma16_kernelIDF16_DF16_LN4vllm18Fp8KVCacheDataTypeE0EhLi32ELi128ELi256ELb0ELi14EEvPKT_PKT0_S7_ifPKiS9_S9_iPKfiiiPfSC_PS2_PT2_iSB_SB_ ; -- Begin function _Z39paged_attention_ll4mi_QKV_mfma16_kernelIDF16_DF16_LN4vllm18Fp8KVCacheDataTypeE0EhLi32ELi128ELi256ELb0ELi14EEvPKT_PKT0_S7_ifPKiS9_S9_iPKfiiiPfSC_PS2_PT2_iSB_SB_
	.globl	_Z39paged_attention_ll4mi_QKV_mfma16_kernelIDF16_DF16_LN4vllm18Fp8KVCacheDataTypeE0EhLi32ELi128ELi256ELb0ELi14EEvPKT_PKT0_S7_ifPKiS9_S9_iPKfiiiPfSC_PS2_PT2_iSB_SB_
	.p2align	8
	.type	_Z39paged_attention_ll4mi_QKV_mfma16_kernelIDF16_DF16_LN4vllm18Fp8KVCacheDataTypeE0EhLi32ELi128ELi256ELb0ELi14EEvPKT_PKT0_S7_ifPKiS9_S9_iPKfiiiPfSC_PS2_PT2_iSB_SB_,@function
_Z39paged_attention_ll4mi_QKV_mfma16_kernelIDF16_DF16_LN4vllm18Fp8KVCacheDataTypeE0EhLi32ELi128ELi256ELb0ELi14EEvPKT_PKT0_S7_ifPKiS9_S9_iPKfiiiPfSC_PS2_PT2_iSB_SB_: ; @_Z39paged_attention_ll4mi_QKV_mfma16_kernelIDF16_DF16_LN4vllm18Fp8KVCacheDataTypeE0EhLi32ELi128ELi256ELb0ELi14EEvPKT_PKT0_S7_ifPKiS9_S9_iPKfiiiPfSC_PS2_PT2_iSB_SB_
; %bb.0:
	s_load_dwordx2 s[8:9], s[0:1], 0x30
	s_mov_b32 s26, s3
	s_mov_b64 s[6:7], 0
	s_waitcnt lgkmcnt(0)
	s_cmp_lg_u64 s[8:9], 0
	s_cselect_b64 s[10:11], -1, 0
	s_and_b64 vcc, exec, s[10:11]
	s_cbranch_vccz .LBB337_7
; %bb.1:
	s_add_i32 s12, s2, 1
	s_mov_b32 s13, 0
	s_lshl_b64 s[14:15], s[12:13], 2
	s_add_u32 s14, s8, s14
	s_mov_b32 s3, s13
	s_addc_u32 s15, s9, s15
	s_lshl_b64 s[12:13], s[2:3], 2
	s_add_u32 s12, s8, s12
	s_addc_u32 s13, s9, s13
	s_load_dword s5, s[14:15], 0x0
	s_load_dword s16, s[12:13], 0x0
	s_waitcnt lgkmcnt(0)
	s_sub_i32 s5, s5, s16
	s_cmp_eq_u32 s5, 1
	s_cselect_b64 s[12:13], -1, 0
	s_andn2_b64 vcc, exec, s[6:7]
	s_cbranch_vccnz .LBB337_3
.LBB337_2:
	s_mov_b32 s3, 0
	s_mov_b64 s[12:13], -1
.LBB337_3:
	s_andn2_b64 vcc, exec, s[12:13]
	s_cbranch_vccnz .LBB337_20
; %bb.4:
	s_load_dwordx2 s[6:7], s[0:1], 0x28
	s_lshl_b64 s[12:13], s[2:3], 2
	s_waitcnt lgkmcnt(0)
	s_add_u32 s6, s6, s12
	s_addc_u32 s7, s7, s13
	s_load_dword s33, s[6:7], 0x0
	s_lshl_b32 s18, s26, 8
	s_waitcnt lgkmcnt(0)
	s_cmp_ge_i32 s18, s33
	s_cbranch_scc1 .LBB337_20
; %bb.5:
	s_load_dwordx2 s[6:7], s[0:1], 0x20
	s_load_dword s5, s[0:1], 0x38
	s_add_i32 s14, s33, 31
	s_ashr_i32 s15, s14, 31
	v_and_b32_e32 v1, 0xcf, v0
	s_lshr_b32 s15, s15, 27
	v_add_u32_e32 v1, s18, v1
	s_add_i32 s14, s14, s15
	v_ashrrev_i32_e32 v2, 31, v1
	s_ashr_i32 s19, s14, 5
	v_lshrrev_b32_e32 v4, 27, v2
	s_add_i32 s19, s19, -1
	s_waitcnt lgkmcnt(0)
	s_mul_i32 s14, s2, s5
	s_mov_b32 s15, 0
	v_add_u32_e32 v2, v1, v4
	s_lshl_b64 s[14:15], s[14:15], 2
	v_ashrrev_i32_e32 v2, 5, v2
	v_mov_b32_e32 v5, s19
	v_cmp_gt_i32_e32 vcc, s33, v1
	s_add_u32 s6, s6, s14
	s_addc_u32 s7, s7, s15
	v_cndmask_b32_e32 v2, v5, v2, vcc
	v_ashrrev_i32_e32 v3, 31, v2
	v_lshl_add_u64 v[6:7], v[2:3], 2, s[6:7]
	v_or_b32_e32 v2, 16, v1
	v_add_u32_e32 v3, v2, v4
	v_ashrrev_i32_e32 v3, 5, v3
	v_cmp_gt_i32_e32 vcc, s33, v2
	s_nop 1
	v_cndmask_b32_e32 v2, v5, v3, vcc
	v_ashrrev_i32_e32 v3, 31, v2
	v_lshl_add_u64 v[8:9], v[2:3], 2, s[6:7]
	v_or_b32_e32 v2, 32, v1
	v_add_u32_e32 v3, v2, v4
	v_ashrrev_i32_e32 v3, 5, v3
	v_cmp_gt_i32_e32 vcc, s33, v2
	v_or_b32_e32 v1, 48, v1
	s_nop 0
	v_cndmask_b32_e32 v2, v5, v3, vcc
	v_ashrrev_i32_e32 v3, 31, v2
	v_lshl_add_u64 v[10:11], v[2:3], 2, s[6:7]
	v_add_u32_e32 v2, v1, v4
	v_ashrrev_i32_e32 v2, 5, v2
	v_cmp_gt_i32_e32 vcc, s33, v1
	s_nop 1
	v_cndmask_b32_e32 v2, v5, v2, vcc
	v_ashrrev_i32_e32 v3, 31, v2
	v_lshl_add_u64 v[12:13], v[2:3], 2, s[6:7]
	global_load_dword v2, v[6:7], off
	global_load_dword v5, v[8:9], off
	;; [unrolled: 1-line block ×4, first 2 shown]
	s_andn2_b64 vcc, exec, s[10:11]
	s_cbranch_vccnz .LBB337_8
; %bb.6:
	s_add_u32 s8, s8, s12
	s_addc_u32 s9, s9, s13
	s_load_dword s5, s[8:9], 0x0
	s_branch .LBB337_9
.LBB337_7:
	s_mov_b64 s[12:13], 0
	s_branch .LBB337_2
.LBB337_8:
	s_mov_b32 s5, s2
.LBB337_9:
	s_load_dwordx4 s[12:15], s[0:1], 0x8
	s_load_dwordx4 s[8:11], s[0:1], 0x48
	v_lshrrev_b32_e32 v86, 6, v0
	v_bfe_u32 v1, v0, 4, 2
	v_lshl_or_b32 v3, v86, 2, v1
	v_and_b32_e32 v76, 15, v0
	v_lshlrev_b32_e32 v74, 3, v76
	v_cmp_lt_u32_e32 vcc, 13, v3
	s_and_saveexec_b64 s[16:17], vcc
	s_xor_b64 s[16:17], exec, s[16:17]
; %bb.10:
	v_mov_b32_e32 v75, 0
                                        ; implicit-def: $vgpr3
; %bb.11:
	s_or_saveexec_b64 s[16:17], s[16:17]
	v_and_b32_e32 v77, 63, v0
	s_mul_i32 s40, s4, 14
	s_xor_b64 exec, exec, s[16:17]
	s_cbranch_execz .LBB337_13
; %bb.12:
	s_load_dwordx2 s[20:21], s[0:1], 0x0
	s_waitcnt lgkmcnt(0)
	s_ashr_i32 s11, s8, 31
	s_mul_hi_u32 s22, s5, s8
	s_mul_i32 s11, s5, s11
	s_add_i32 s23, s22, s11
	s_mul_i32 s22, s5, s8
	s_lshl_b64 s[22:23], s[22:23], 1
	s_add_u32 s20, s20, s22
	v_add_lshl_u32 v6, v3, s40, 7
	s_addc_u32 s21, s21, s23
	v_ashrrev_i32_e32 v7, 31, v6
	v_mov_b32_e32 v75, 0
	v_lshl_add_u64 v[6:7], v[6:7], 1, s[20:21]
	v_lshlrev_b32_e32 v8, 1, v74
	v_mov_b32_e32 v9, v75
	v_lshl_add_u64 v[6:7], v[6:7], 0, v[8:9]
	global_load_dwordx4 v[6:9], v[6:7], off
	v_and_b32_e32 v10, 3, v0
	v_lshlrev_b32_e32 v11, 9, v76
	v_lshlrev_b32_e32 v3, 5, v3
	;; [unrolled: 1-line block ×3, first 2 shown]
	v_and_b32_e32 v11, 0x1800, v11
	v_or3_b32 v3, v11, v10, v3
	s_waitcnt vmcnt(0)
	ds_write_b128 v3, v[6:9]
.LBB337_13:
	s_or_b64 exec, exec, s[16:17]
	s_waitcnt lgkmcnt(0)
	s_mul_i32 s4, s4, s10
	s_mov_b32 s5, 0
	s_lshl_b64 s[4:5], s[4:5], 1
	s_add_u32 s10, s12, s4
	s_addc_u32 s11, s13, s5
	s_waitcnt vmcnt(3)
	v_mad_i64_i32 v[2:3], s[12:13], v2, s9, 0
	v_lshl_add_u64 v[6:7], v[2:3], 1, s[10:11]
	v_lshlrev_b64 v[2:3], 1, v[74:75]
	v_lshlrev_b32_e32 v50, 9, v1
	v_lshl_add_u64 v[6:7], v[6:7], 0, v[2:3]
	v_mov_b32_e32 v51, 0
	v_lshl_add_u64 v[8:9], v[6:7], 0, v[50:51]
	s_load_dword s27, s[0:1], 0x98
	s_load_dword s8, s[0:1], 0x1c
	s_waitcnt lgkmcnt(0)
	s_barrier
	global_load_dwordx4 v[38:41], v[8:9], off
	s_waitcnt vmcnt(3)
	v_mad_i64_i32 v[10:11], s[12:13], v5, s9, 0
	v_mov_b32_e32 v5, 0x100
	v_lshl_add_u64 v[10:11], v[10:11], 1, s[10:11]
	v_lshl_or_b32 v54, v76, 4, v5
	v_mov_b32_e32 v55, v51
	v_lshl_add_u64 v[22:23], v[10:11], 0, v[54:55]
	v_lshl_add_u64 v[10:11], v[22:23], 0, v[50:51]
	global_load_dwordx4 v[42:45], v[10:11], off
	global_load_dwordx4 v[18:21], v[8:9], off offset:2048
	global_load_dwordx4 v[26:29], v[10:11], off offset:2048
	v_or_b32_e32 v56, 0x1000, v50
	v_mov_b32_e32 v57, v51
	v_or_b32_e32 v52, 0x1800, v50
	v_mov_b32_e32 v53, v51
	v_lshl_add_u64 v[8:9], v[6:7], 0, v[56:57]
	v_lshl_add_u64 v[6:7], v[6:7], 0, v[52:53]
	global_load_dwordx4 v[14:17], v[8:9], off
	global_load_dwordx4 v[10:13], v[6:7], off
	v_lshl_add_u64 v[8:9], v[22:23], 0, v[56:57]
	global_load_dwordx4 v[30:33], v[8:9], off
	s_waitcnt vmcnt(8)
	v_mad_i64_i32 v[4:5], s[12:13], v4, s9, 0
	v_lshl_add_u64 v[4:5], v[4:5], 1, s[10:11]
	v_lshl_add_u64 v[60:61], v[4:5], 0, v[2:3]
	v_add_u32_e32 v2, -14, v76
	v_cmp_gt_u32_e32 vcc, 14, v76
	v_lshl_add_u64 v[6:7], v[22:23], 0, v[52:53]
	global_load_dwordx4 v[22:25], v[6:7], off
	v_cndmask_b32_e32 v2, v2, v76, vcc
	v_lshl_add_u64 v[58:59], v[60:61], 0, v[50:51]
	v_lshl_add_u32 v62, v2, 5, v50
	global_load_dwordx4 v[34:37], v[58:59], off
	ds_read_b128 v[6:9], v62
	ds_read_b128 v[2:5], v62 offset:2048
	s_waitcnt vmcnt(9)
	v_mad_i64_i32 v[72:73], s[12:13], v46, s9, 0
	s_ashr_i32 s12, s18, 31
	v_and_or_b32 v78, v0, 48, s18
	v_or_b32_e32 v80, 64, v78
	v_mov_b32_e32 v79, s19
	v_cmp_gt_i32_e32 vcc, s33, v78
	v_or_b32_e32 v81, 0x80, v78
	v_or_b32_e32 v82, 0xc0, v78
	v_lshl_or_b32 v87, v86, 4, v76
	s_mov_b32 s41, 0xff7fffff
	s_waitcnt vmcnt(7) lgkmcnt(1)
	v_mfma_f32_16x16x16_f16 v[68:71], v[42:43], v[6:7], 0
	v_mfma_f32_16x16x16_f16 v[64:67], v[38:39], v[6:7], 0
	;; [unrolled: 1-line block ×3, first 2 shown]
	ds_read_b128 v[46:49], v62 offset:4096
	ds_read_b128 v[38:41], v62 offset:6144
	v_lshl_add_u64 v[62:63], v[72:73], 1, s[10:11]
	v_lshl_add_u64 v[72:73], v[62:63], 0, v[54:55]
	v_mfma_f32_16x16x16_f16 v[42:45], v[44:45], v[8:9], v[68:71]
	v_lshl_add_u64 v[54:55], v[60:61], 0, v[56:57]
	s_lshr_b32 s10, s12, 27
	v_add_u32_e32 v83, s10, v81
	s_waitcnt vmcnt(6) lgkmcnt(2)
	v_mfma_f32_16x16x16_f16 v[62:65], v[18:19], v[2:3], v[64:67]
	v_add_u32_e32 v70, s10, v78
	v_add_u32_e32 v71, s10, v80
	v_lshl_add_u64 v[68:69], v[72:73], 0, v[50:51]
	v_lshl_add_u64 v[66:67], v[60:61], 0, v[52:53]
	global_load_dwordx4 v[58:61], v[58:59], off offset:2048
	s_waitcnt vmcnt(6)
	v_mfma_f32_16x16x16_f16 v[42:45], v[26:27], v[2:3], v[42:45]
	v_ashrrev_i32_e32 v50, 5, v70
	v_add_u32_e32 v84, s10, v82
	s_add_u32 s4, s14, s4
	v_mfma_f32_16x16x16_f16 v[18:21], v[20:21], v[4:5], v[62:65]
	s_addc_u32 s5, s15, s5
	v_mfma_f32_16x16x16_f16 v[26:29], v[28:29], v[4:5], v[42:45]
	s_nop 0
	v_lshl_add_u64 v[62:63], v[72:73], 0, v[56:57]
	v_ashrrev_i32_e32 v56, 5, v71
	v_ashrrev_i32_e32 v64, 5, v83
	s_waitcnt vmcnt(5) lgkmcnt(1)
	v_mfma_f32_16x16x16_f16 v[18:21], v[14:15], v[46:47], v[18:21]
	global_load_dwordx4 v[42:45], v[54:55], off
	v_cndmask_b32_e32 v14, v79, v50, vcc
	v_cmp_gt_i32_e32 vcc, s33, v80
	s_waitcnt vmcnt(4)
	v_mfma_f32_16x16x16_f16 v[26:29], v[30:31], v[46:47], v[26:29]
	v_ashrrev_i32_e32 v15, 31, v14
	v_cndmask_b32_e32 v30, v79, v56, vcc
	v_ashrrev_i32_e32 v31, 31, v30
	v_lshl_add_u64 v[14:15], v[14:15], 2, s[6:7]
	v_lshl_add_u64 v[30:31], v[30:31], 2, s[6:7]
	global_load_dword v92, v[14:15], off
	global_load_dword v93, v[30:31], off
	v_mfma_f32_16x16x16_f16 v[14:17], v[16:17], v[48:49], v[18:21]
	v_cmp_gt_i32_e32 vcc, s33, v81
	v_ashrrev_i32_e32 v83, 5, v84
	s_nop 0
	global_load_dwordx4 v[18:21], v[66:67], off
	s_waitcnt lgkmcnt(0)
	v_mfma_f32_16x16x16_f16 v[14:17], v[10:11], v[38:39], v[14:17]
	v_cndmask_b32_e32 v10, v79, v64, vcc
	v_ashrrev_i32_e32 v11, 31, v10
	v_lshl_add_u64 v[10:11], v[10:11], 2, s[6:7]
	v_mfma_f32_16x16x16_f16 v[64:67], v[12:13], v[40:41], v[14:17]
	global_load_dword v94, v[10:11], off
	v_cmp_gt_i32_e32 vcc, s33, v82
	s_nop 0
	v_lshl_add_u64 v[14:15], v[72:73], 0, v[52:53]
	global_load_dwordx4 v[88:91], v[14:15], off
	global_load_dwordx4 v[54:57], v[68:69], off
	v_cndmask_b32_e32 v10, v79, v83, vcc
	global_load_dwordx4 v[68:71], v[68:69], off offset:2048
	v_ashrrev_i32_e32 v11, 31, v10
	global_load_dwordx4 v[82:85], v[62:63], off
	v_lshl_add_u64 v[10:11], v[10:11], 2, s[6:7]
	global_load_dword v95, v[10:11], off
	s_waitcnt vmcnt(11)
	v_mfma_f32_16x16x16_f16 v[10:13], v[34:35], v[6:7], 0
	v_and_b32_e32 v14, 16, v0
	v_lshlrev_b32_e32 v50, 1, v14
	v_mfma_f32_16x16x16_f16 v[10:13], v[36:37], v[8:9], v[10:13]
	v_lshl_add_u64 v[36:37], s[4:5], 0, v[50:51]
	v_lshlrev_b32_e32 v50, 6, v87
	s_waitcnt vmcnt(8)
	v_mad_i64_i32 v[14:15], s[4:5], v92, s9, 0
	v_mfma_f32_16x16x16_f16 v[10:13], v[58:59], v[2:3], v[10:13]
	v_lshlrev_b64 v[72:73], 1, v[14:15]
	v_mfma_f32_16x16x16_f16 v[10:13], v[60:61], v[4:5], v[10:13]
	v_lshl_add_u64 v[60:61], v[36:37], 0, v[50:51]
	v_lshl_add_u64 v[14:15], v[60:61], 0, v[72:73]
	v_or_b32_e32 v50, 0x1000, v50
	v_mfma_f32_16x16x16_f16 v[10:13], v[42:43], v[46:47], v[10:13]
	v_lshl_add_u64 v[62:63], v[36:37], 0, v[50:51]
	v_lshl_add_u64 v[50:51], v[62:63], 0, v[72:73]
	v_mfma_f32_16x16x16_f16 v[26:29], v[32:33], v[48:49], v[26:29]
	v_mfma_f32_16x16x16_f16 v[10:13], v[44:45], v[48:49], v[10:13]
	;; [unrolled: 1-line block ×3, first 2 shown]
	s_waitcnt vmcnt(6)
	v_mfma_f32_16x16x16_f16 v[10:13], v[18:19], v[38:39], v[10:13]
	v_mfma_f32_16x16x16_f16 v[78:81], v[24:25], v[40:41], v[26:29]
	global_load_dwordx4 v[30:33], v[14:15], off
	s_nop 2
	global_load_dwordx4 v[26:29], v[14:15], off offset:16
	v_mad_i64_i32 v[14:15], s[4:5], v93, s9, 0
	v_lshlrev_b64 v[34:35], 1, v[14:15]
	v_mfma_f32_16x16x16_f16 v[42:45], v[20:21], v[40:41], v[10:13]
	s_nop 2
	v_lshl_add_u64 v[10:11], v[60:61], 0, v[34:35]
	global_load_dwordx4 v[22:25], v[10:11], off
	global_load_dwordx4 v[18:21], v[10:11], off offset:16
	s_waitcnt vmcnt(7)
	v_mfma_f32_16x16x16_f16 v[10:13], v[54:55], v[6:7], 0
	v_mad_i64_i32 v[6:7], s[4:5], v94, s9, 0
	v_lshlrev_b64 v[52:53], 1, v[6:7]
	v_mfma_f32_16x16x16_f16 v[6:9], v[56:57], v[8:9], v[10:13]
	v_lshl_add_u64 v[34:35], v[62:63], 0, v[34:35]
	s_waitcnt vmcnt(6)
	v_mfma_f32_16x16x16_f16 v[6:9], v[68:69], v[2:3], v[6:9]
	s_waitcnt vmcnt(4)
	v_mad_i64_i32 v[2:3], s[4:5], v95, s9, 0
	v_lshlrev_b64 v[58:59], 1, v[2:3]
	v_mfma_f32_16x16x16_f16 v[54:57], v[70:71], v[4:5], v[6:9]
	v_lshl_add_u64 v[10:11], v[60:61], 0, v[52:53]
	v_lshl_add_u64 v[2:3], v[60:61], 0, v[58:59]
	v_pk_mul_f32 v[60:61], s[8:9], v[64:65] op_sel_hi:[0,1]
	v_mfma_f32_16x16x16_f16 v[54:57], v[82:83], v[46:47], v[54:57]
	v_pk_mul_f32 v[82:83], s[8:9], v[66:67] op_sel_hi:[0,1]
	v_pk_mul_f32 v[70:71], s[8:9], v[78:79] op_sel_hi:[0,1]
	;; [unrolled: 1-line block ×3, first 2 shown]
	v_mfma_f32_16x16x16_f16 v[46:49], v[84:85], v[48:49], v[54:57]
	v_pk_mul_f32 v[84:85], s[8:9], v[80:81] op_sel_hi:[0,1]
	v_pk_mul_f32 v[80:81], s[8:9], v[42:43] op_sel_hi:[0,1]
	global_load_dwordx4 v[14:17], v[10:11], off
	s_nop 0
	global_load_dwordx4 v[10:13], v[10:11], off offset:16
	v_mfma_f32_16x16x16_f16 v[36:39], v[88:89], v[38:39], v[46:49]
	global_load_dwordx4 v[6:9], v[2:3], off
	s_nop 0
	global_load_dwordx4 v[2:5], v[2:3], off offset:16
	v_lshl_add_u64 v[58:59], v[62:63], 0, v[58:59]
	v_mfma_f32_16x16x16_f16 v[36:39], v[90:91], v[40:41], v[36:39]
	s_nop 6
	v_pk_mul_f32 v[72:73], s[8:9], v[36:37] op_sel_hi:[0,1]
	v_and_b32_e32 v36, 0xc0, v0
	v_add_u32_e32 v36, s18, v36
	v_lshl_or_b32 v36, v1, 2, v36
	v_pk_mul_f32 v[66:67], s[8:9], v[38:39] op_sel_hi:[0,1]
	v_or_b32_e32 v39, 1, v36
	v_mov_b32_e32 v37, 0xff7fffff
	v_cmp_gt_i32_e64 s[28:29], s33, v36
	v_cmp_gt_i32_e64 s[30:31], s33, v39
	v_or_b32_e32 v40, 3, v36
	v_cndmask_b32_e64 v38, v37, v60, s[28:29]
	v_cndmask_b32_e64 v39, v37, v61, s[30:31]
	v_max3_f32 v38, v38, s41, v39
	v_or_b32_e32 v39, 2, v36
	v_cmp_gt_i32_e64 s[34:35], s33, v39
	v_cmp_gt_i32_e64 s[36:37], s33, v40
	s_nop 0
	v_cndmask_b32_e64 v39, v37, v82, s[34:35]
	v_cndmask_b32_e64 v40, v37, v83, s[36:37]
	v_max3_f32 v38, v38, v39, v40
	v_or_b32_e32 v39, 16, v36
	v_or_b32_e32 v40, 17, v36
	v_cmp_gt_i32_e64 s[22:23], s33, v39
	v_cmp_gt_i32_e64 s[24:25], s33, v40
	s_nop 0
	v_cndmask_b32_e64 v39, v37, v70, s[22:23]
	v_cndmask_b32_e64 v40, v37, v71, s[24:25]
	v_max3_f32 v38, v38, v39, v40
	v_or_b32_e32 v39, 18, v36
	v_or_b32_e32 v40, 19, v36
	v_cmp_gt_i32_e64 s[18:19], s33, v39
	v_cmp_gt_i32_e64 s[20:21], s33, v40
	s_nop 0
	v_cndmask_b32_e64 v39, v37, v84, s[18:19]
	v_cndmask_b32_e64 v40, v37, v85, s[20:21]
	v_max3_f32 v38, v38, v39, v40
	v_or_b32_e32 v39, 32, v36
	v_or_b32_e32 v40, 33, v36
	v_cmp_gt_i32_e64 s[14:15], s33, v39
	v_cmp_gt_i32_e64 s[16:17], s33, v40
	s_nop 0
	v_cndmask_b32_e64 v39, v37, v80, s[14:15]
	v_cndmask_b32_e64 v40, v37, v81, s[16:17]
	v_max3_f32 v38, v38, v39, v40
	v_or_b32_e32 v39, 34, v36
	v_or_b32_e32 v40, 35, v36
	v_cmp_gt_i32_e64 s[10:11], s33, v39
	v_cmp_gt_i32_e64 s[12:13], s33, v40
	s_nop 0
	v_cndmask_b32_e64 v39, v37, v78, s[10:11]
	v_cndmask_b32_e64 v40, v37, v79, s[12:13]
	v_max3_f32 v38, v38, v39, v40
	v_or_b32_e32 v39, 48, v36
	v_or_b32_e32 v40, 49, v36
	v_cmp_gt_i32_e64 s[6:7], s33, v39
	v_cmp_gt_i32_e64 s[8:9], s33, v40
	s_nop 0
	v_cndmask_b32_e64 v39, v37, v72, s[6:7]
	v_cndmask_b32_e64 v40, v37, v73, s[8:9]
	v_max3_f32 v38, v38, v39, v40
	v_or_b32_e32 v39, 50, v36
	v_or_b32_e32 v36, 51, v36
	v_cmp_gt_i32_e32 vcc, s33, v39
	v_cmp_gt_i32_e64 s[4:5], s33, v36
	s_nop 0
	v_cndmask_b32_e32 v39, v37, v66, vcc
	v_cndmask_b32_e64 v36, v37, v67, s[4:5]
	v_max3_f32 v54, v38, v39, v36
	v_mbcnt_lo_u32_b32 v36, -1, 0
	v_mbcnt_hi_u32_b32 v55, -1, v36
	v_and_b32_e32 v36, 64, v55
	v_add_u32_e32 v56, 64, v36
	v_xor_b32_e32 v36, 32, v55
	v_cmp_lt_i32_e64 s[38:39], v36, v56
	global_load_dwordx4 v[46:49], v[50:51], off
	global_load_dwordx4 v[38:41], v[50:51], off offset:16
	v_cndmask_b32_e64 v36, v55, v36, s[38:39]
	v_lshlrev_b32_e32 v89, 2, v36
	ds_bpermute_b32 v57, v89, v54
	global_load_dwordx4 v[42:45], v[34:35], off
	s_nop 0
	global_load_dwordx4 v[34:37], v[34:35], off offset:16
	s_waitcnt lgkmcnt(0)
	v_max_f32_e32 v50, v57, v57
	v_max_f32_e32 v64, v54, v50
	v_xor_b32_e32 v50, 16, v55
	v_cmp_lt_i32_e64 s[38:39], v50, v56
	s_nop 1
	v_cndmask_b32_e64 v50, v55, v50, s[38:39]
	v_lshlrev_b32_e32 v90, 2, v50
	ds_bpermute_b32 v65, v90, v64
	v_lshl_add_u64 v[50:51], v[62:63], 0, v[52:53]
	global_load_dwordx4 v[54:57], v[50:51], off
	s_nop 0
	global_load_dwordx4 v[50:53], v[50:51], off offset:16
	s_waitcnt lgkmcnt(0)
	v_max_f32_e32 v62, v65, v65
	v_max_f32_e32 v88, v64, v62
	v_sub_f32_e32 v60, v60, v88
	v_mul_f32_e32 v60, 0x3fb8aa3b, v60
	v_exp_f32_e32 v68, v60
	v_sub_f32_e32 v60, v61, v88
	v_mul_f32_e32 v60, 0x3fb8aa3b, v60
	v_exp_f32_e32 v69, v60
	global_load_dwordx4 v[62:65], v[58:59], off
	s_nop 0
	global_load_dwordx4 v[58:61], v[58:59], off offset:16
	v_sub_f32_e32 v82, v82, v88
	v_mul_f32_e32 v82, 0x3fb8aa3b, v82
	v_sub_f32_e32 v83, v83, v88
	v_exp_f32_e32 v82, v82
	v_mul_f32_e32 v83, 0x3fb8aa3b, v83
	v_sub_f32_e32 v70, v70, v88
	v_exp_f32_e32 v83, v83
	v_mul_f32_e32 v70, 0x3fb8aa3b, v70
	v_sub_f32_e32 v71, v71, v88
	v_cndmask_b32_e64 v68, 0, v68, s[28:29]
	v_exp_f32_e32 v70, v70
	v_mul_f32_e32 v71, 0x3fb8aa3b, v71
	v_sub_f32_e32 v84, v84, v88
	v_add_f32_e32 v91, 0, v68
	v_cndmask_b32_e64 v69, 0, v69, s[30:31]
	v_exp_f32_e32 v71, v71
	v_mul_f32_e32 v84, 0x3fb8aa3b, v84
	v_sub_f32_e32 v85, v85, v88
	v_add_f32_e32 v91, v91, v69
	;; [unrolled: 5-line block ×10, first 2 shown]
	v_cndmask_b32_e64 v78, 0, v78, s[10:11]
	v_exp_f32_e32 v66, v66
	v_mul_f32_e32 v67, 0x3fb8aa3b, v67
	v_add_f32_e32 v91, v91, v78
	v_cndmask_b32_e64 v79, 0, v79, s[12:13]
	v_exp_f32_e32 v67, v67
	v_add_f32_e32 v91, v91, v79
	v_cndmask_b32_e64 v72, 0, v72, s[6:7]
	v_add_f32_e32 v91, v91, v72
	v_cndmask_b32_e64 v73, 0, v73, s[8:9]
	v_add_f32_e32 v91, v91, v73
	v_cndmask_b32_e32 v66, 0, v66, vcc
	v_add_f32_e32 v91, v91, v66
	v_cndmask_b32_e64 v67, 0, v67, s[4:5]
	v_add_f32_e32 v91, v91, v67
	ds_bpermute_b32 v89, v89, v91
	v_cmp_gt_u32_e32 vcc, 16, v77
	s_waitcnt lgkmcnt(0)
	s_barrier
	v_add_f32_e32 v89, v91, v89
	ds_bpermute_b32 v90, v90, v89
	s_and_saveexec_b64 s[4:5], vcc
	s_cbranch_execz .LBB337_15
; %bb.14:
	s_waitcnt lgkmcnt(0)
	v_add_f32_e32 v77, v89, v90
	v_lshlrev_b32_e32 v87, 2, v87
	ds_write2st64_b32 v87, v88, v77 offset1:1
.LBB337_15:
	s_or_b64 exec, exec, s[4:5]
	v_lshlrev_b32_e32 v77, 2, v76
	s_load_dword s6, s[0:1], 0x94
	s_waitcnt lgkmcnt(0)
	s_barrier
	ds_read2_b32 v[88:89], v77 offset1:16
	ds_read2_b32 v[90:91], v77 offset0:32 offset1:48
	ds_read2_b32 v[92:93], v77 offset0:64 offset1:80
	;; [unrolled: 1-line block ×3, first 2 shown]
	s_waitcnt lgkmcnt(0)
	v_max3_f32 v87, v88, s41, v89
	v_max3_f32 v87, v87, v90, v91
	v_sub_f32_e32 v88, v88, v87
	v_mul_f32_e32 v88, 0x3fb8aa3b, v88
	v_exp_f32_e32 v86, v88
	v_sub_f32_e32 v88, v89, v87
	v_mul_f32_e32 v88, 0x3fb8aa3b, v88
	v_exp_f32_e32 v89, v88
	v_sub_f32_e32 v88, v90, v87
	v_mul_f32_e32 v88, 0x3fb8aa3b, v88
	v_sub_f32_e32 v77, v91, v87
	v_exp_f32_e32 v90, v88
	v_mul_f32_e32 v77, 0x3fb8aa3b, v77
	v_exp_f32_e32 v77, v77
	v_fma_f32 v88, v86, v92, 0
	v_fmac_f32_e32 v88, v89, v93
	v_fmac_f32_e32 v88, v90, v94
	;; [unrolled: 1-line block ×3, first 2 shown]
	v_add_f32_e32 v91, 0x358637bd, v88
	v_div_scale_f32 v92, s[4:5], v91, v91, 1.0
	v_rcp_f32_e32 v93, v92
	s_barrier
	s_mul_i32 s7, s27, 14
	v_fma_f32 v94, -v92, v93, 1.0
	v_fmac_f32_e32 v93, v94, v93
	v_div_scale_f32 v94, vcc, 1.0, v91, 1.0
	v_mul_f32_e32 v95, v94, v93
	v_fma_f32 v1, -v92, v95, v94
	v_fmac_f32_e32 v95, v1, v93
	v_fma_f32 v1, -v92, v95, v94
	v_div_fmas_f32 v1, v1, v93, v95
	v_div_fixup_f32 v1, v1, v91, 1.0
	v_lshrrev_b32_e32 v91, 6, v0
	v_cmp_eq_u32_e32 vcc, 1, v91
	s_nop 1
	v_cndmask_b32_e32 v86, v86, v89, vcc
	v_cmp_eq_u32_e32 vcc, 2, v91
	s_nop 1
	v_cndmask_b32_e32 v86, v86, v90, vcc
	;; [unrolled: 3-line block ×3, first 2 shown]
	v_mul_f32_e32 v90, v77, v1
	v_pk_mul_f32 v[82:83], v[90:91], v[82:83] op_sel_hi:[0,1]
	v_pk_mul_f32 v[68:69], v[90:91], v[68:69] op_sel_hi:[0,1]
	v_cvt_f16_f32_e32 v1, v68
	v_cvt_f16_f32_e32 v68, v69
	;; [unrolled: 1-line block ×4, first 2 shown]
	v_pk_mul_f32 v[84:85], v[90:91], v[84:85] op_sel_hi:[0,1]
	v_pk_mul_f32 v[70:71], v[90:91], v[70:71] op_sel_hi:[0,1]
	v_bfe_u32 v86, v0, 4, 2
	v_pack_b32_f16 v83, v69, v77
	v_cvt_f16_f32_e32 v69, v70
	v_cvt_f16_f32_e32 v70, v71
	;; [unrolled: 1-line block ×4, first 2 shown]
	v_pack_b32_f16 v82, v1, v68
	v_lshlrev_b32_e32 v1, 3, v86
	v_lshlrev_b32_e32 v68, 5, v76
	;; [unrolled: 1-line block ×3, first 2 shown]
	v_or3_b32 v1, v84, v68, v1
	v_pack_b32_f16 v70, v69, v70
	v_pack_b32_f16 v71, v71, v77
	ds_write2st64_b64 v1, v[82:83], v[70:71] offset1:1
	v_pk_mul_f32 v[70:71], v[90:91], v[78:79] op_sel_hi:[0,1]
	v_pk_mul_f32 v[78:79], v[90:91], v[80:81] op_sel_hi:[0,1]
	v_cvt_f16_f32_e32 v69, v78
	v_cvt_f16_f32_e32 v77, v79
	;; [unrolled: 1-line block ×4, first 2 shown]
	v_pk_mul_f32 v[66:67], v[90:91], v[66:67] op_sel_hi:[0,1]
	v_pk_mul_f32 v[70:71], v[90:91], v[72:73] op_sel_hi:[0,1]
	v_cvt_f16_f32_e32 v70, v70
	v_cvt_f16_f32_e32 v71, v71
	;; [unrolled: 1-line block ×4, first 2 shown]
	v_pack_b32_f16 v66, v69, v77
	v_pack_b32_f16 v67, v78, v79
	;; [unrolled: 1-line block ×4, first 2 shown]
	v_cmp_gt_u32_e32 vcc, 14, v0
	ds_write2st64_b64 v1, v[66:67], v[70:71] offset0:2 offset1:3
	s_and_saveexec_b64 s[4:5], vcc
	s_cbranch_execz .LBB337_17
; %bb.16:
	s_mov_b32 s41, 0
	v_mov_b32_e32 v77, 0
	v_lshl_add_u64 v[66:67], s[40:41], 0, v[76:77]
	v_mov_b32_e32 v69, s7
	v_mad_u64_u32 v[66:67], s[12:13], s2, v69, v[66:67]
	s_mul_i32 s3, s3, s7
	v_mov_b32_e32 v70, s26
	v_mov_b32_e32 v71, v77
	s_load_dwordx4 s[8:11], s[0:1], 0x58
	v_add_u32_e32 v69, s3, v67
	v_mad_u64_u32 v[66:67], s[12:13], v66, s6, v[70:71]
	v_mov_b32_e32 v70, v67
	v_mad_u64_u32 v[70:71], s[12:13], v69, s6, v[70:71]
	v_mov_b32_e32 v67, v70
	v_lshlrev_b64 v[66:67], 2, v[66:67]
	s_waitcnt lgkmcnt(0)
	v_lshl_add_u64 v[70:71], s[10:11], 0, v[66:67]
	v_lshl_add_u64 v[66:67], s[8:9], 0, v[66:67]
	global_store_dword v[70:71], v87, off
	global_store_dword v[66:67], v88, off
.LBB337_17:
	s_or_b64 exec, exec, s[4:5]
	v_lshl_or_b32 v77, v86, 9, v68
	s_waitcnt lgkmcnt(0)
	s_barrier
	ds_read_b128 v[70:73], v77
	ds_read_b128 v[66:69], v77 offset:16
	s_waitcnt vmcnt(15) lgkmcnt(1)
	v_mfma_f32_16x16x16_f16 v[78:81], v[30:31], v[70:71], 0
	s_mov_b32 s3, 0
	v_cmp_gt_u32_e32 vcc, 64, v0
	v_mfma_f32_16x16x16_f16 v[30:33], v[32:33], v[72:73], v[78:81]
	s_waitcnt vmcnt(14) lgkmcnt(0)
	v_mfma_f32_16x16x16_f16 v[30:33], v[26:27], v[66:67], v[30:33]
	v_mfma_f32_16x16x16_f16 v[26:29], v[28:29], v[68:69], v[30:33]
	s_nop 5
	ds_read_b128 v[30:33], v77 offset:2048
	ds_read_b128 v[78:81], v77 offset:2064
	s_waitcnt vmcnt(13) lgkmcnt(1)
	v_mfma_f32_16x16x16_f16 v[26:29], v[22:23], v[30:31], v[26:29]
	v_mfma_f32_16x16x16_f16 v[22:25], v[24:25], v[32:33], v[26:29]
	s_waitcnt vmcnt(12) lgkmcnt(0)
	v_mfma_f32_16x16x16_f16 v[22:25], v[18:19], v[78:79], v[22:25]
	v_mfma_f32_16x16x16_f16 v[18:21], v[20:21], v[80:81], v[22:25]
	s_nop 5
	ds_read_b128 v[22:25], v77 offset:4096
	ds_read_b128 v[26:29], v77 offset:4112
	s_waitcnt vmcnt(11) lgkmcnt(1)
	v_mfma_f32_16x16x16_f16 v[18:21], v[14:15], v[22:23], v[18:21]
	v_mfma_f32_16x16x16_f16 v[14:17], v[16:17], v[24:25], v[18:21]
	s_waitcnt vmcnt(10) lgkmcnt(0)
	v_mfma_f32_16x16x16_f16 v[14:17], v[10:11], v[26:27], v[14:17]
	v_mfma_f32_16x16x16_f16 v[10:13], v[12:13], v[28:29], v[14:17]
	s_nop 5
	ds_read_b128 v[14:17], v77 offset:6144
	ds_read_b128 v[18:21], v77 offset:6160
	s_waitcnt lgkmcnt(0)
	s_barrier
	s_waitcnt vmcnt(9)
	v_mfma_f32_16x16x16_f16 v[10:13], v[6:7], v[14:15], v[10:13]
	v_mfma_f32_16x16x16_f16 v[6:9], v[8:9], v[16:17], v[10:13]
	s_waitcnt vmcnt(8)
	v_mfma_f32_16x16x16_f16 v[6:9], v[2:3], v[18:19], v[6:9]
	v_mfma_f32_16x16x16_f16 v[2:5], v[4:5], v[20:21], v[6:9]
	;; [unrolled: 3-line block ×3, first 2 shown]
	s_nop 3
	v_cvt_f16_f32_e32 v10, v2
	v_cvt_f16_f32_e32 v11, v3
	;; [unrolled: 1-line block ×3, first 2 shown]
	s_waitcnt vmcnt(6)
	v_mfma_f32_16x16x16_f16 v[6:9], v[38:39], v[66:67], v[6:9]
	v_cvt_f16_f32_e32 v13, v5
	v_mfma_f32_16x16x16_f16 v[6:9], v[40:41], v[68:69], v[6:9]
	s_waitcnt vmcnt(5)
	v_mfma_f32_16x16x16_f16 v[6:9], v[42:43], v[30:31], v[6:9]
	v_mfma_f32_16x16x16_f16 v[6:9], v[44:45], v[32:33], v[6:9]
	s_waitcnt vmcnt(4)
	v_mfma_f32_16x16x16_f16 v[6:9], v[34:35], v[78:79], v[6:9]
	;; [unrolled: 3-line block ×6, first 2 shown]
	v_mfma_f32_16x16x16_f16 v[2:5], v[60:61], v[20:21], v[6:9]
	s_nop 6
	v_cvt_f16_f32_e32 v6, v2
	v_cvt_f16_f32_e32 v7, v3
	;; [unrolled: 1-line block ×4, first 2 shown]
	v_pack_b32_f16 v2, v10, v11
	v_pack_b32_f16 v3, v12, v13
	;; [unrolled: 1-line block ×4, first 2 shown]
	ds_write2st64_b64 v1, v[2:3], v[4:5] offset1:1
	s_waitcnt lgkmcnt(0)
	s_barrier
	s_and_saveexec_b64 s[4:5], vcc
	s_cbranch_execz .LBB337_20
; %bb.18:
	s_load_dwordx2 s[4:5], s[0:1], 0x68
	s_lshl_b32 s0, s6, 7
	s_mul_i32 s1, s7, s2
	v_lshlrev_b32_e32 v3, 6, v76
	s_mul_hi_u32 s7, s1, s0
	s_mul_i32 s6, s1, s0
	v_lshlrev_b32_e32 v2, 4, v0
	v_lshl_or_b32 v0, v0, 10, v3
	s_lshl_b64 s[6:7], s[6:7], 1
	v_lshlrev_b32_e32 v1, 5, v86
	v_and_b32_e32 v2, 16, v2
	v_and_b32_e32 v0, 0x1a00, v0
	s_waitcnt lgkmcnt(0)
	s_add_u32 s1, s4, s6
	v_or3_b32 v2, v0, v1, v2
	s_addc_u32 s4, s5, s7
	s_lshl_b32 s2, s26, 7
	ds_read_b128 v[4:7], v2 offset:256
	s_lshl_b64 s[2:3], s[2:3], 1
	ds_read_b128 v[8:11], v2 offset:128
	ds_read_b128 v[12:15], v2
	s_add_u32 s2, s1, s2
	s_addc_u32 s3, s4, s3
	v_add_u32_e32 v18, s40, v86
	v_lshl_add_u64 v[0:1], v[74:75], 1, s[2:3]
	v_mad_u64_u32 v[16:17], s[2:3], v18, s0, 0
	v_lshl_add_u64 v[16:17], v[16:17], 1, v[0:1]
	s_waitcnt lgkmcnt(0)
	global_store_dwordx4 v[16:17], v[12:15], off
	v_or_b32_e32 v3, 12, v86
	v_cmp_gt_u32_e32 vcc, 14, v3
	v_add_u32_e32 v12, 4, v18
	v_mad_u64_u32 v[12:13], s[2:3], v12, s0, 0
	v_lshl_add_u64 v[12:13], v[12:13], 1, v[0:1]
	global_store_dwordx4 v[12:13], v[8:11], off
	s_nop 1
	v_add_u32_e32 v8, 8, v18
	v_mad_u64_u32 v[8:9], s[2:3], v8, s0, 0
	v_lshl_add_u64 v[8:9], v[8:9], 1, v[0:1]
	global_store_dwordx4 v[8:9], v[4:7], off
	s_and_b64 exec, exec, vcc
	s_cbranch_execz .LBB337_20
; %bb.19:
	ds_read_b128 v[4:7], v2 offset:384
	v_add_u32_e32 v2, s40, v3
	v_mad_u64_u32 v[2:3], s[0:1], v2, s0, 0
	v_lshl_add_u64 v[0:1], v[2:3], 1, v[0:1]
	s_waitcnt lgkmcnt(0)
	global_store_dwordx4 v[0:1], v[4:7], off
.LBB337_20:
	s_endpgm
	.section	.rodata,"a",@progbits
	.p2align	6, 0x0
	.amdhsa_kernel _Z39paged_attention_ll4mi_QKV_mfma16_kernelIDF16_DF16_LN4vllm18Fp8KVCacheDataTypeE0EhLi32ELi128ELi256ELb0ELi14EEvPKT_PKT0_S7_ifPKiS9_S9_iPKfiiiPfSC_PS2_PT2_iSB_SB_
		.amdhsa_group_segment_fixed_size 8192
		.amdhsa_private_segment_fixed_size 0
		.amdhsa_kernarg_size 400
		.amdhsa_user_sgpr_count 2
		.amdhsa_user_sgpr_dispatch_ptr 0
		.amdhsa_user_sgpr_queue_ptr 0
		.amdhsa_user_sgpr_kernarg_segment_ptr 1
		.amdhsa_user_sgpr_dispatch_id 0
		.amdhsa_user_sgpr_kernarg_preload_length 0
		.amdhsa_user_sgpr_kernarg_preload_offset 0
		.amdhsa_user_sgpr_private_segment_size 0
		.amdhsa_uses_dynamic_stack 0
		.amdhsa_enable_private_segment 0
		.amdhsa_system_sgpr_workgroup_id_x 1
		.amdhsa_system_sgpr_workgroup_id_y 1
		.amdhsa_system_sgpr_workgroup_id_z 1
		.amdhsa_system_sgpr_workgroup_info 0
		.amdhsa_system_vgpr_workitem_id 0
		.amdhsa_next_free_vgpr 96
		.amdhsa_next_free_sgpr 42
		.amdhsa_accum_offset 96
		.amdhsa_reserve_vcc 1
		.amdhsa_float_round_mode_32 0
		.amdhsa_float_round_mode_16_64 0
		.amdhsa_float_denorm_mode_32 3
		.amdhsa_float_denorm_mode_16_64 3
		.amdhsa_dx10_clamp 1
		.amdhsa_ieee_mode 1
		.amdhsa_fp16_overflow 0
		.amdhsa_tg_split 0
		.amdhsa_exception_fp_ieee_invalid_op 0
		.amdhsa_exception_fp_denorm_src 0
		.amdhsa_exception_fp_ieee_div_zero 0
		.amdhsa_exception_fp_ieee_overflow 0
		.amdhsa_exception_fp_ieee_underflow 0
		.amdhsa_exception_fp_ieee_inexact 0
		.amdhsa_exception_int_div_zero 0
	.end_amdhsa_kernel
	.section	.text._Z39paged_attention_ll4mi_QKV_mfma16_kernelIDF16_DF16_LN4vllm18Fp8KVCacheDataTypeE0EhLi32ELi128ELi256ELb0ELi14EEvPKT_PKT0_S7_ifPKiS9_S9_iPKfiiiPfSC_PS2_PT2_iSB_SB_,"axG",@progbits,_Z39paged_attention_ll4mi_QKV_mfma16_kernelIDF16_DF16_LN4vllm18Fp8KVCacheDataTypeE0EhLi32ELi128ELi256ELb0ELi14EEvPKT_PKT0_S7_ifPKiS9_S9_iPKfiiiPfSC_PS2_PT2_iSB_SB_,comdat
.Lfunc_end337:
	.size	_Z39paged_attention_ll4mi_QKV_mfma16_kernelIDF16_DF16_LN4vllm18Fp8KVCacheDataTypeE0EhLi32ELi128ELi256ELb0ELi14EEvPKT_PKT0_S7_ifPKiS9_S9_iPKfiiiPfSC_PS2_PT2_iSB_SB_, .Lfunc_end337-_Z39paged_attention_ll4mi_QKV_mfma16_kernelIDF16_DF16_LN4vllm18Fp8KVCacheDataTypeE0EhLi32ELi128ELi256ELb0ELi14EEvPKT_PKT0_S7_ifPKiS9_S9_iPKfiiiPfSC_PS2_PT2_iSB_SB_
                                        ; -- End function
	.section	.AMDGPU.csdata,"",@progbits
; Kernel info:
; codeLenInByte = 4624
; NumSgprs: 48
; NumVgprs: 96
; NumAgprs: 0
; TotalNumVgprs: 96
; ScratchSize: 0
; MemoryBound: 0
; FloatMode: 240
; IeeeMode: 1
; LDSByteSize: 8192 bytes/workgroup (compile time only)
; SGPRBlocks: 5
; VGPRBlocks: 11
; NumSGPRsForWavesPerEU: 48
; NumVGPRsForWavesPerEU: 96
; AccumOffset: 96
; Occupancy: 5
; WaveLimiterHint : 1
; COMPUTE_PGM_RSRC2:SCRATCH_EN: 0
; COMPUTE_PGM_RSRC2:USER_SGPR: 2
; COMPUTE_PGM_RSRC2:TRAP_HANDLER: 0
; COMPUTE_PGM_RSRC2:TGID_X_EN: 1
; COMPUTE_PGM_RSRC2:TGID_Y_EN: 1
; COMPUTE_PGM_RSRC2:TGID_Z_EN: 1
; COMPUTE_PGM_RSRC2:TIDIG_COMP_CNT: 0
; COMPUTE_PGM_RSRC3_GFX90A:ACCUM_OFFSET: 23
; COMPUTE_PGM_RSRC3_GFX90A:TG_SPLIT: 0
	.section	.text._Z39paged_attention_ll4mi_QKV_mfma16_kernelIDF16_DF16_LN4vllm18Fp8KVCacheDataTypeE0EhLi32ELi128ELi256ELb0ELi15EEvPKT_PKT0_S7_ifPKiS9_S9_iPKfiiiPfSC_PS2_PT2_iSB_SB_,"axG",@progbits,_Z39paged_attention_ll4mi_QKV_mfma16_kernelIDF16_DF16_LN4vllm18Fp8KVCacheDataTypeE0EhLi32ELi128ELi256ELb0ELi15EEvPKT_PKT0_S7_ifPKiS9_S9_iPKfiiiPfSC_PS2_PT2_iSB_SB_,comdat
	.protected	_Z39paged_attention_ll4mi_QKV_mfma16_kernelIDF16_DF16_LN4vllm18Fp8KVCacheDataTypeE0EhLi32ELi128ELi256ELb0ELi15EEvPKT_PKT0_S7_ifPKiS9_S9_iPKfiiiPfSC_PS2_PT2_iSB_SB_ ; -- Begin function _Z39paged_attention_ll4mi_QKV_mfma16_kernelIDF16_DF16_LN4vllm18Fp8KVCacheDataTypeE0EhLi32ELi128ELi256ELb0ELi15EEvPKT_PKT0_S7_ifPKiS9_S9_iPKfiiiPfSC_PS2_PT2_iSB_SB_
	.globl	_Z39paged_attention_ll4mi_QKV_mfma16_kernelIDF16_DF16_LN4vllm18Fp8KVCacheDataTypeE0EhLi32ELi128ELi256ELb0ELi15EEvPKT_PKT0_S7_ifPKiS9_S9_iPKfiiiPfSC_PS2_PT2_iSB_SB_
	.p2align	8
	.type	_Z39paged_attention_ll4mi_QKV_mfma16_kernelIDF16_DF16_LN4vllm18Fp8KVCacheDataTypeE0EhLi32ELi128ELi256ELb0ELi15EEvPKT_PKT0_S7_ifPKiS9_S9_iPKfiiiPfSC_PS2_PT2_iSB_SB_,@function
_Z39paged_attention_ll4mi_QKV_mfma16_kernelIDF16_DF16_LN4vllm18Fp8KVCacheDataTypeE0EhLi32ELi128ELi256ELb0ELi15EEvPKT_PKT0_S7_ifPKiS9_S9_iPKfiiiPfSC_PS2_PT2_iSB_SB_: ; @_Z39paged_attention_ll4mi_QKV_mfma16_kernelIDF16_DF16_LN4vllm18Fp8KVCacheDataTypeE0EhLi32ELi128ELi256ELb0ELi15EEvPKT_PKT0_S7_ifPKiS9_S9_iPKfiiiPfSC_PS2_PT2_iSB_SB_
; %bb.0:
	s_load_dwordx2 s[8:9], s[0:1], 0x30
	s_mov_b32 s26, s3
	s_mov_b64 s[6:7], 0
	s_waitcnt lgkmcnt(0)
	s_cmp_lg_u64 s[8:9], 0
	s_cselect_b64 s[10:11], -1, 0
	s_and_b64 vcc, exec, s[10:11]
	s_cbranch_vccz .LBB338_7
; %bb.1:
	s_add_i32 s12, s2, 1
	s_mov_b32 s13, 0
	s_lshl_b64 s[14:15], s[12:13], 2
	s_add_u32 s14, s8, s14
	s_mov_b32 s3, s13
	s_addc_u32 s15, s9, s15
	s_lshl_b64 s[12:13], s[2:3], 2
	s_add_u32 s12, s8, s12
	s_addc_u32 s13, s9, s13
	s_load_dword s5, s[14:15], 0x0
	s_load_dword s16, s[12:13], 0x0
	s_waitcnt lgkmcnt(0)
	s_sub_i32 s5, s5, s16
	s_cmp_eq_u32 s5, 1
	s_cselect_b64 s[12:13], -1, 0
	s_andn2_b64 vcc, exec, s[6:7]
	s_cbranch_vccnz .LBB338_3
.LBB338_2:
	s_mov_b32 s3, 0
	s_mov_b64 s[12:13], -1
.LBB338_3:
	s_andn2_b64 vcc, exec, s[12:13]
	s_cbranch_vccnz .LBB338_20
; %bb.4:
	s_load_dwordx2 s[6:7], s[0:1], 0x28
	s_lshl_b64 s[12:13], s[2:3], 2
	s_waitcnt lgkmcnt(0)
	s_add_u32 s6, s6, s12
	s_addc_u32 s7, s7, s13
	s_load_dword s33, s[6:7], 0x0
	s_lshl_b32 s18, s26, 8
	s_waitcnt lgkmcnt(0)
	s_cmp_ge_i32 s18, s33
	s_cbranch_scc1 .LBB338_20
; %bb.5:
	s_load_dwordx2 s[6:7], s[0:1], 0x20
	s_load_dword s5, s[0:1], 0x38
	s_add_i32 s14, s33, 31
	s_ashr_i32 s15, s14, 31
	v_and_b32_e32 v1, 0xcf, v0
	s_lshr_b32 s15, s15, 27
	v_add_u32_e32 v1, s18, v1
	s_add_i32 s14, s14, s15
	v_ashrrev_i32_e32 v2, 31, v1
	s_ashr_i32 s19, s14, 5
	v_lshrrev_b32_e32 v8, 27, v2
	s_add_i32 s19, s19, -1
	s_waitcnt lgkmcnt(0)
	s_mul_i32 s14, s2, s5
	s_mov_b32 s15, 0
	v_add_u32_e32 v2, v1, v8
	s_lshl_b64 s[14:15], s[14:15], 2
	v_ashrrev_i32_e32 v2, 5, v2
	v_mov_b32_e32 v9, s19
	v_cmp_gt_i32_e32 vcc, s33, v1
	s_add_u32 s6, s6, s14
	s_addc_u32 s7, s7, s15
	v_cndmask_b32_e32 v2, v9, v2, vcc
	v_ashrrev_i32_e32 v3, 31, v2
	v_lshl_add_u64 v[4:5], v[2:3], 2, s[6:7]
	v_or_b32_e32 v2, 16, v1
	v_add_u32_e32 v3, v2, v8
	v_ashrrev_i32_e32 v3, 5, v3
	v_cmp_gt_i32_e32 vcc, s33, v2
	s_nop 1
	v_cndmask_b32_e32 v2, v9, v3, vcc
	v_ashrrev_i32_e32 v3, 31, v2
	v_lshl_add_u64 v[6:7], v[2:3], 2, s[6:7]
	v_or_b32_e32 v2, 32, v1
	v_add_u32_e32 v3, v2, v8
	v_ashrrev_i32_e32 v3, 5, v3
	v_cmp_gt_i32_e32 vcc, s33, v2
	v_or_b32_e32 v1, 48, v1
	s_nop 0
	v_cndmask_b32_e32 v2, v9, v3, vcc
	v_ashrrev_i32_e32 v3, 31, v2
	v_lshl_add_u64 v[10:11], v[2:3], 2, s[6:7]
	v_add_u32_e32 v2, v1, v8
	v_ashrrev_i32_e32 v2, 5, v2
	v_cmp_gt_i32_e32 vcc, s33, v1
	s_nop 1
	v_cndmask_b32_e32 v2, v9, v2, vcc
	v_ashrrev_i32_e32 v3, 31, v2
	v_lshl_add_u64 v[12:13], v[2:3], 2, s[6:7]
	global_load_dword v2, v[4:5], off
	global_load_dword v9, v[6:7], off
	;; [unrolled: 1-line block ×4, first 2 shown]
	s_andn2_b64 vcc, exec, s[10:11]
	s_cbranch_vccnz .LBB338_8
; %bb.6:
	s_add_u32 s8, s8, s12
	s_addc_u32 s9, s9, s13
	s_load_dword s5, s[8:9], 0x0
	s_branch .LBB338_9
.LBB338_7:
	s_mov_b64 s[12:13], 0
	s_branch .LBB338_2
.LBB338_8:
	s_mov_b32 s5, s2
.LBB338_9:
	s_load_dwordx4 s[12:15], s[0:1], 0x8
	s_load_dwordx4 s[8:11], s[0:1], 0x48
	v_lshrrev_b32_e32 v1, 6, v0
	v_bfe_u32 v86, v0, 4, 2
	v_lshl_or_b32 v3, v1, 2, v86
	v_and_b32_e32 v76, 15, v0
	v_lshlrev_b32_e32 v6, 3, v76
	v_cmp_lt_u32_e32 vcc, 14, v3
	s_and_saveexec_b64 s[16:17], vcc
	s_xor_b64 s[16:17], exec, s[16:17]
; %bb.10:
	v_mov_b32_e32 v7, 0
                                        ; implicit-def: $vgpr3
; %bb.11:
	s_or_saveexec_b64 s[16:17], s[16:17]
	s_mul_i32 s40, s4, 15
	s_xor_b64 exec, exec, s[16:17]
	s_cbranch_execz .LBB338_13
; %bb.12:
	s_load_dwordx2 s[20:21], s[0:1], 0x0
	s_waitcnt lgkmcnt(0)
	s_ashr_i32 s11, s8, 31
	s_mul_hi_u32 s22, s5, s8
	s_mul_i32 s11, s5, s11
	s_add_i32 s23, s22, s11
	s_mul_i32 s22, s5, s8
	s_lshl_b64 s[22:23], s[22:23], 1
	s_add_u32 s20, s20, s22
	v_add_lshl_u32 v4, v3, s40, 7
	v_mov_b32_e32 v7, 0
	s_addc_u32 s21, s21, s23
	v_ashrrev_i32_e32 v5, 31, v4
	v_mov_b64_e32 v[12:13], v[6:7]
	v_lshl_add_u64 v[4:5], v[4:5], 1, s[20:21]
	v_lshlrev_b32_e32 v6, 1, v12
	v_mov_b32_e32 v7, v13
	v_lshl_add_u64 v[4:5], v[4:5], 0, v[6:7]
	global_load_dwordx4 v[4:7], v[4:5], off
	v_and_b32_e32 v10, 3, v0
	v_lshlrev_b32_e32 v11, 9, v76
	v_lshlrev_b32_e32 v3, 5, v3
	;; [unrolled: 1-line block ×3, first 2 shown]
	v_and_b32_e32 v11, 0x1800, v11
	v_or3_b32 v3, v11, v10, v3
	s_waitcnt vmcnt(0)
	ds_write_b128 v3, v[4:7]
	v_mov_b64_e32 v[6:7], v[12:13]
.LBB338_13:
	s_or_b64 exec, exec, s[16:17]
	s_waitcnt lgkmcnt(0)
	s_mov_b32 s5, 0
	s_mul_i32 s4, s4, s10
	s_lshl_b64 s[4:5], s[4:5], 1
	s_add_u32 s10, s12, s4
	v_mov_b32_e32 v55, 0
	s_addc_u32 s11, s13, s5
	s_waitcnt vmcnt(3)
	v_mad_i64_i32 v[2:3], s[12:13], v2, s9, 0
	s_waitcnt vmcnt(2)
	v_mad_i64_i32 v[10:11], s[12:13], v9, s9, 0
	v_mov_b32_e32 v9, 0x100
	s_load_dword s27, s[0:1], 0x98
	s_load_dword s8, s[0:1], 0x1c
	s_waitcnt lgkmcnt(0)
	s_barrier
	v_lshl_add_u64 v[2:3], v[2:3], 1, s[10:11]
	scratch_store_dwordx2 off, v[6:7], off  ; 8-byte Folded Spill
	v_lshlrev_b64 v[6:7], 1, v[6:7]
	v_lshl_add_u64 v[10:11], v[10:11], 1, s[10:11]
	v_lshl_or_b32 v56, v76, 4, v9
	v_mov_b32_e32 v57, v55
	v_lshlrev_b32_e32 v54, 9, v86
	v_lshl_add_u64 v[2:3], v[2:3], 0, v[6:7]
	v_lshl_add_u64 v[18:19], v[10:11], 0, v[56:57]
	;; [unrolled: 1-line block ×4, first 2 shown]
	global_load_dwordx4 v[14:17], v[4:5], off
	global_load_dwordx4 v[10:13], v[20:21], off
	s_waitcnt vmcnt(4)
	v_mad_i64_i32 v[8:9], s[12:13], v8, s9, 0
	v_lshl_add_u64 v[8:9], v[8:9], 1, s[10:11]
	v_lshl_add_u64 v[60:61], v[8:9], 0, v[6:7]
	;; [unrolled: 1-line block ×3, first 2 shown]
	global_load_dwordx4 v[6:9], v[46:47], off
	global_load_dwordx4 v[42:45], v[4:5], off offset:2048
	global_load_dwordx4 v[38:41], v[20:21], off offset:2048
	v_or_b32_e32 v62, 0x1000, v54
	v_mov_b32_e32 v63, v55
	v_lshl_add_u64 v[4:5], v[2:3], 0, v[62:63]
	global_load_dwordx4 v[30:33], v[4:5], off
	v_or_b32_e32 v58, 0x1800, v54
	v_mov_b32_e32 v59, v55
	v_lshl_add_u64 v[2:3], v[2:3], 0, v[58:59]
	global_load_dwordx4 v[22:25], v[2:3], off
	v_lshl_add_u64 v[4:5], v[18:19], 0, v[62:63]
	global_load_dwordx4 v[26:29], v[4:5], off
	;; [unrolled: 2-line block ×3, first 2 shown]
	v_cmp_ne_u32_e32 vcc, 15, v76
	s_waitcnt vmcnt(10)
	v_mad_i64_i32 v[64:65], s[12:13], v34, s9, 0
	v_cndmask_b32_e32 v2, 0, v76, vcc
	v_lshl_or_b32 v48, v2, 5, v54
	ds_read_b128 v[2:5], v48
	ds_read_b128 v[34:37], v48 offset:2048
	global_load_dwordx4 v[78:81], v[46:47], off offset:2048
	ds_read_b128 v[50:53], v48 offset:4096
	ds_read_b128 v[46:49], v48 offset:6144
	s_ashr_i32 s12, s18, 31
	v_and_or_b32 v74, v0, 48, s18
	v_mov_b32_e32 v75, s19
	v_cmp_gt_i32_e32 vcc, s33, v74
	v_or_b32_e32 v87, 64, v74
	v_or_b32_e32 v88, 0x80, v74
	v_or_b32_e32 v89, 0xc0, v74
	s_mov_b32 s41, 0xff7fffff
	s_waitcnt vmcnt(7) lgkmcnt(3)
	v_mfma_f32_16x16x16_f16 v[82:85], v[6:7], v[2:3], 0
	v_lshl_add_u64 v[6:7], v[64:65], 1, s[10:11]
	s_lshr_b32 s10, s12, 27
	v_lshl_add_u64 v[6:7], v[6:7], 0, v[56:57]
	v_mfma_f32_16x16x16_f16 v[70:73], v[10:11], v[2:3], 0
	v_lshl_add_u64 v[64:65], v[6:7], 0, v[54:55]
	v_lshl_add_u64 v[56:57], v[60:61], 0, v[58:59]
	s_add_u32 s4, s14, s4
	v_mfma_f32_16x16x16_f16 v[66:69], v[14:15], v[2:3], 0
	s_addc_u32 s5, s15, s5
	v_mfma_f32_16x16x16_f16 v[10:13], v[12:13], v[4:5], v[70:73]
	v_mfma_f32_16x16x16_f16 v[14:17], v[16:17], v[4:5], v[66:69]
	s_nop 1
	v_lshl_add_u64 v[72:73], v[6:7], 0, v[62:63]
	global_load_dwordx4 v[92:95], v[72:73], off
	s_waitcnt vmcnt(6) lgkmcnt(2)
	v_mfma_f32_16x16x16_f16 v[10:13], v[38:39], v[34:35], v[10:13]
	v_add_u32_e32 v66, s10, v74
	v_ashrrev_i32_e32 v54, 5, v66
	v_add_u32_e32 v67, s10, v87
	v_mfma_f32_16x16x16_f16 v[14:17], v[42:43], v[34:35], v[14:17]
	v_lshl_add_u64 v[42:43], v[60:61], 0, v[62:63]
	v_ashrrev_i32_e32 v60, 5, v67
	v_add_u32_e32 v68, s10, v88
	v_mfma_f32_16x16x16_f16 v[10:13], v[40:41], v[36:37], v[10:13]
	global_load_dwordx4 v[38:41], v[42:43], off
	v_cndmask_b32_e32 v42, v75, v54, vcc
	v_ashrrev_i32_e32 v43, 31, v42
	v_mfma_f32_16x16x16_f16 v[14:17], v[44:45], v[36:37], v[14:17]
	v_cmp_gt_i32_e32 vcc, s33, v87
	v_ashrrev_i32_e32 v66, 5, v68
	v_add_u32_e32 v69, s10, v89
	s_waitcnt vmcnt(6) lgkmcnt(1)
	v_mfma_f32_16x16x16_f16 v[14:17], v[30:31], v[50:51], v[14:17]
	v_lshl_add_u64 v[30:31], v[42:43], 2, s[6:7]
	global_load_dwordx4 v[42:45], v[56:57], off
	v_ashrrev_i32_e32 v68, 5, v69
	global_load_dword v30, v[30:31], off
	s_waitcnt vmcnt(6)
	v_mfma_f32_16x16x16_f16 v[10:13], v[26:27], v[50:51], v[10:13]
	v_cndmask_b32_e32 v26, v75, v60, vcc
	v_ashrrev_i32_e32 v27, 31, v26
	v_lshl_add_u64 v[26:27], v[26:27], 2, s[6:7]
	global_load_dwordx4 v[60:63], v[64:65], off
	global_load_dword v56, v[26:27], off
	v_mfma_f32_16x16x16_f16 v[14:17], v[32:33], v[52:53], v[14:17]
	v_cmp_gt_i32_e32 vcc, s33, v88
	v_lshl_or_b32 v87, v1, 4, v76
	s_nop 0
	v_cndmask_b32_e32 v26, v75, v66, vcc
	v_ashrrev_i32_e32 v27, 31, v26
	s_waitcnt lgkmcnt(0)
	v_mfma_f32_16x16x16_f16 v[14:17], v[22:23], v[46:47], v[14:17]
	v_lshl_add_u64 v[22:23], v[26:27], 2, s[6:7]
	global_load_dword v57, v[22:23], off
	v_cmp_gt_i32_e32 vcc, s33, v89
	global_load_dwordx4 v[64:67], v[64:65], off offset:2048
	v_mfma_f32_16x16x16_f16 v[10:13], v[28:29], v[52:53], v[10:13]
	s_waitcnt vmcnt(9)
	v_mfma_f32_16x16x16_f16 v[10:13], v[18:19], v[46:47], v[10:13]
	v_cndmask_b32_e32 v18, v75, v68, vcc
	v_ashrrev_i32_e32 v19, 31, v18
	v_mfma_f32_16x16x16_f16 v[88:91], v[20:21], v[48:49], v[10:13]
	s_nop 3
	v_lshl_add_u64 v[10:11], v[6:7], 0, v[58:59]
	global_load_dwordx4 v[72:75], v[10:11], off
	v_mfma_f32_16x16x16_f16 v[68:71], v[24:25], v[48:49], v[14:17]
	v_and_b32_e32 v10, 16, v0
	v_lshlrev_b32_e32 v54, 1, v10
	s_nop 0
	v_lshl_add_u64 v[14:15], v[18:19], 2, s[6:7]
	global_load_dword v77, v[14:15], off
	v_mfma_f32_16x16x16_f16 v[6:9], v[8:9], v[4:5], v[82:85]
	s_waitcnt vmcnt(10)
	v_mfma_f32_16x16x16_f16 v[6:9], v[78:79], v[34:35], v[6:9]
	v_lshl_add_u64 v[78:79], s[4:5], 0, v[54:55]
	v_lshlrev_b32_e32 v54, 6, v87
	v_pk_mul_f32 v[84:85], s[8:9], v[90:91] op_sel_hi:[0,1]
	v_mfma_f32_16x16x16_f16 v[6:9], v[80:81], v[36:37], v[6:9]
	v_lshl_add_u64 v[80:81], v[78:79], 0, v[54:55]
	v_or_b32_e32 v54, 0x1000, v54
	s_waitcnt vmcnt(6)
	v_mad_i64_i32 v[10:11], s[4:5], v30, s9, 0
	v_mfma_f32_16x16x16_f16 v[6:9], v[38:39], v[50:51], v[6:9]
	v_lshlrev_b64 v[82:83], 1, v[10:11]
	v_lshl_add_u64 v[10:11], v[80:81], 0, v[82:83]
	global_load_dwordx4 v[30:33], v[10:11], off
	global_load_dwordx4 v[26:29], v[10:11], off offset:16
	v_mfma_f32_16x16x16_f16 v[6:9], v[40:41], v[52:53], v[6:9]
	s_waitcnt vmcnt(6)
	v_mad_i64_i32 v[10:11], s[4:5], v56, s9, 0
	v_mfma_f32_16x16x16_f16 v[6:9], v[42:43], v[46:47], v[6:9]
	v_lshlrev_b64 v[42:43], 1, v[10:11]
	v_mfma_f32_16x16x16_f16 v[38:41], v[44:45], v[48:49], v[6:9]
	s_nop 4
	v_lshl_add_u64 v[6:7], v[80:81], 0, v[42:43]
	global_load_dwordx4 v[22:25], v[6:7], off
	global_load_dwordx4 v[18:21], v[6:7], off offset:16
	v_mfma_f32_16x16x16_f16 v[6:9], v[60:61], v[2:3], 0
	s_waitcnt vmcnt(7)
	v_mad_i64_i32 v[2:3], s[4:5], v57, s9, 0
	v_lshlrev_b64 v[56:57], 1, v[2:3]
	v_mfma_f32_16x16x16_f16 v[2:5], v[62:63], v[4:5], v[6:9]
	v_pk_mul_f32 v[60:61], s[8:9], v[68:69] op_sel_hi:[0,1]
	v_lshl_add_u64 v[62:63], v[78:79], 0, v[54:55]
	v_lshl_add_u64 v[44:45], v[62:63], 0, v[82:83]
	s_waitcnt vmcnt(6)
	v_mfma_f32_16x16x16_f16 v[2:5], v[64:65], v[34:35], v[2:5]
	v_lshl_add_u64 v[6:7], v[80:81], 0, v[56:57]
	global_load_dwordx4 v[14:17], v[6:7], off
	global_load_dwordx4 v[10:13], v[6:7], off offset:16
	v_pk_mul_f32 v[82:83], s[8:9], v[70:71] op_sel_hi:[0,1]
	v_mfma_f32_16x16x16_f16 v[34:37], v[66:67], v[36:37], v[2:5]
	v_pk_mul_f32 v[70:71], s[8:9], v[88:89] op_sel_hi:[0,1]
	v_pk_mul_f32 v[78:79], s[8:9], v[40:41] op_sel_hi:[0,1]
	s_waitcnt vmcnt(6)
	v_mad_i64_i32 v[6:7], s[4:5], v77, s9, 0
	v_mfma_f32_16x16x16_f16 v[34:37], v[92:93], v[50:51], v[34:37]
	v_lshlrev_b64 v[58:59], 1, v[6:7]
	v_lshl_add_u64 v[2:3], v[80:81], 0, v[58:59]
	v_pk_mul_f32 v[80:81], s[8:9], v[38:39] op_sel_hi:[0,1]
	v_mfma_f32_16x16x16_f16 v[34:37], v[94:95], v[52:53], v[34:37]
	v_lshl_add_u64 v[58:59], v[62:63], 0, v[58:59]
	global_load_dwordx4 v[6:9], v[2:3], off
	s_nop 0
	global_load_dwordx4 v[2:5], v[2:3], off offset:16
	v_mfma_f32_16x16x16_f16 v[34:37], v[72:73], v[46:47], v[34:37]
	v_mfma_f32_16x16x16_f16 v[34:37], v[74:75], v[48:49], v[34:37]
	s_nop 6
	v_pk_mul_f32 v[72:73], s[8:9], v[34:35] op_sel_hi:[0,1]
	v_and_b32_e32 v34, 0xc0, v0
	v_add_u32_e32 v34, s18, v34
	v_lshl_or_b32 v34, v86, 2, v34
	v_pk_mul_f32 v[66:67], s[8:9], v[36:37] op_sel_hi:[0,1]
	v_or_b32_e32 v37, 1, v34
	v_mov_b32_e32 v35, 0xff7fffff
	v_cmp_gt_i32_e64 s[28:29], s33, v34
	v_cmp_gt_i32_e64 s[30:31], s33, v37
	v_or_b32_e32 v38, 3, v34
	v_cndmask_b32_e64 v36, v35, v60, s[28:29]
	v_cndmask_b32_e64 v37, v35, v61, s[30:31]
	v_max3_f32 v36, v36, s41, v37
	v_or_b32_e32 v37, 2, v34
	v_cmp_gt_i32_e64 s[34:35], s33, v37
	v_cmp_gt_i32_e64 s[36:37], s33, v38
	s_nop 0
	v_cndmask_b32_e64 v37, v35, v82, s[34:35]
	v_cndmask_b32_e64 v38, v35, v83, s[36:37]
	v_max3_f32 v36, v36, v37, v38
	v_or_b32_e32 v37, 16, v34
	v_or_b32_e32 v38, 17, v34
	v_cmp_gt_i32_e64 s[22:23], s33, v37
	v_cmp_gt_i32_e64 s[24:25], s33, v38
	s_nop 0
	v_cndmask_b32_e64 v37, v35, v70, s[22:23]
	v_cndmask_b32_e64 v38, v35, v71, s[24:25]
	v_max3_f32 v36, v36, v37, v38
	v_or_b32_e32 v37, 18, v34
	;; [unrolled: 8-line block ×6, first 2 shown]
	v_or_b32_e32 v34, 51, v34
	v_cmp_gt_i32_e32 vcc, s33, v37
	v_cmp_gt_i32_e64 s[4:5], s33, v34
	global_load_dwordx4 v[46:49], v[44:45], off
	global_load_dwordx4 v[38:41], v[44:45], off offset:16
	v_cndmask_b32_e32 v37, v35, v66, vcc
	v_cndmask_b32_e64 v34, v35, v67, s[4:5]
	v_max3_f32 v50, v36, v37, v34
	v_mbcnt_lo_u32_b32 v34, -1, 0
	v_mbcnt_hi_u32_b32 v51, -1, v34
	v_and_b32_e32 v34, 64, v51
	v_add_u32_e32 v52, 64, v34
	v_xor_b32_e32 v34, 32, v51
	v_cmp_lt_i32_e64 s[38:39], v34, v52
	s_nop 1
	v_cndmask_b32_e64 v34, v51, v34, s[38:39]
	v_lshlrev_b32_e32 v74, 2, v34
	ds_bpermute_b32 v53, v74, v50
	v_lshl_add_u64 v[34:35], v[62:63], 0, v[42:43]
	global_load_dwordx4 v[42:45], v[34:35], off
	s_nop 0
	global_load_dwordx4 v[34:37], v[34:35], off offset:16
	s_waitcnt lgkmcnt(0)
	v_max_f32_e32 v53, v53, v53
	v_max_f32_e32 v64, v50, v53
	v_xor_b32_e32 v50, 16, v51
	v_cmp_lt_i32_e64 s[38:39], v50, v52
	s_nop 1
	v_cndmask_b32_e64 v50, v51, v50, s[38:39]
	v_lshlrev_b32_e32 v75, 2, v50
	ds_bpermute_b32 v65, v75, v64
	v_lshl_add_u64 v[50:51], v[62:63], 0, v[56:57]
	global_load_dwordx4 v[54:57], v[50:51], off
	s_nop 0
	global_load_dwordx4 v[50:53], v[50:51], off offset:16
	s_waitcnt lgkmcnt(0)
	v_max_f32_e32 v62, v65, v65
	v_max_f32_e32 v88, v64, v62
	v_sub_f32_e32 v60, v60, v88
	v_mul_f32_e32 v60, 0x3fb8aa3b, v60
	v_exp_f32_e32 v68, v60
	v_sub_f32_e32 v60, v61, v88
	v_mul_f32_e32 v60, 0x3fb8aa3b, v60
	v_exp_f32_e32 v69, v60
	global_load_dwordx4 v[62:65], v[58:59], off
	s_nop 0
	global_load_dwordx4 v[58:61], v[58:59], off offset:16
	v_sub_f32_e32 v82, v82, v88
	v_mul_f32_e32 v82, 0x3fb8aa3b, v82
	v_sub_f32_e32 v83, v83, v88
	v_exp_f32_e32 v82, v82
	v_mul_f32_e32 v83, 0x3fb8aa3b, v83
	v_sub_f32_e32 v70, v70, v88
	v_exp_f32_e32 v83, v83
	v_mul_f32_e32 v70, 0x3fb8aa3b, v70
	v_sub_f32_e32 v71, v71, v88
	v_cndmask_b32_e64 v68, 0, v68, s[28:29]
	v_exp_f32_e32 v70, v70
	v_mul_f32_e32 v71, 0x3fb8aa3b, v71
	v_sub_f32_e32 v84, v84, v88
	v_add_f32_e32 v77, 0, v68
	v_cndmask_b32_e64 v69, 0, v69, s[30:31]
	v_exp_f32_e32 v71, v71
	v_mul_f32_e32 v84, 0x3fb8aa3b, v84
	v_sub_f32_e32 v85, v85, v88
	v_add_f32_e32 v77, v77, v69
	;; [unrolled: 5-line block ×10, first 2 shown]
	v_cndmask_b32_e64 v78, 0, v78, s[10:11]
	v_exp_f32_e32 v66, v66
	v_mul_f32_e32 v67, 0x3fb8aa3b, v67
	v_add_f32_e32 v77, v77, v78
	v_cndmask_b32_e64 v79, 0, v79, s[12:13]
	v_exp_f32_e32 v67, v67
	v_add_f32_e32 v77, v77, v79
	v_cndmask_b32_e64 v72, 0, v72, s[6:7]
	v_add_f32_e32 v77, v77, v72
	v_cndmask_b32_e64 v73, 0, v73, s[8:9]
	v_add_f32_e32 v77, v77, v73
	v_cndmask_b32_e32 v66, 0, v66, vcc
	v_add_f32_e32 v77, v77, v66
	v_cndmask_b32_e64 v67, 0, v67, s[4:5]
	v_add_f32_e32 v77, v77, v67
	ds_bpermute_b32 v74, v74, v77
	s_waitcnt lgkmcnt(0)
	s_barrier
	v_add_f32_e32 v89, v77, v74
	ds_bpermute_b32 v90, v75, v89
	v_and_b32_e32 v74, 63, v0
	v_cmp_gt_u32_e32 vcc, 16, v74
	s_and_saveexec_b64 s[4:5], vcc
	s_cbranch_execz .LBB338_15
; %bb.14:
	s_waitcnt lgkmcnt(0)
	v_add_f32_e32 v74, v89, v90
	v_lshlrev_b32_e32 v75, 2, v87
	ds_write2st64_b32 v75, v88, v74 offset1:1
.LBB338_15:
	s_or_b64 exec, exec, s[4:5]
	v_lshlrev_b32_e32 v77, 2, v76
	s_load_dword s6, s[0:1], 0x94
	s_waitcnt lgkmcnt(0)
	s_barrier
	ds_read2_b32 v[74:75], v77 offset1:16
	ds_read2_b32 v[88:89], v77 offset0:32 offset1:48
	ds_read2_b32 v[90:91], v77 offset0:64 offset1:80
	s_mul_i32 s7, s27, 15
	s_waitcnt lgkmcnt(2)
	v_max3_f32 v87, v74, s41, v75
	s_waitcnt lgkmcnt(1)
	v_max3_f32 v87, v87, v88, v89
	v_sub_f32_e32 v74, v74, v87
	v_mul_f32_e32 v74, 0x3fb8aa3b, v74
	v_exp_f32_e32 v92, v74
	v_sub_f32_e32 v74, v75, v87
	v_mul_f32_e32 v74, 0x3fb8aa3b, v74
	v_exp_f32_e32 v93, v74
	;; [unrolled: 3-line block ×3, first 2 shown]
	ds_read2_b32 v[74:75], v77 offset0:96 offset1:112
	v_sub_f32_e32 v77, v89, v87
	v_mul_f32_e32 v77, 0x3fb8aa3b, v77
	v_exp_f32_e32 v77, v77
	s_waitcnt lgkmcnt(1)
	v_fma_f32 v88, v92, v90, 0
	v_fmac_f32_e32 v88, v93, v91
	s_waitcnt lgkmcnt(0)
	v_fmac_f32_e32 v88, v94, v74
	v_fmac_f32_e32 v88, v77, v75
	v_add_f32_e32 v74, 0x358637bd, v88
	v_div_scale_f32 v75, s[4:5], v74, v74, 1.0
	v_rcp_f32_e32 v89, v75
	s_barrier
	v_fma_f32 v90, -v75, v89, 1.0
	v_fmac_f32_e32 v89, v90, v89
	v_div_scale_f32 v90, vcc, 1.0, v74, 1.0
	v_mul_f32_e32 v91, v90, v89
	v_fma_f32 v95, -v75, v91, v90
	v_fmac_f32_e32 v91, v95, v89
	v_fma_f32 v75, -v75, v91, v90
	v_div_fmas_f32 v75, v75, v89, v91
	v_cmp_eq_u32_e32 vcc, 1, v1
	v_div_fixup_f32 v74, v75, v74, 1.0
	s_nop 0
	v_cndmask_b32_e32 v75, v92, v93, vcc
	v_cmp_eq_u32_e32 vcc, 2, v1
	s_nop 1
	v_cndmask_b32_e32 v75, v75, v94, vcc
	v_cmp_eq_u32_e32 vcc, 3, v1
	v_lshlrev_b32_e32 v1, 11, v1
	s_nop 0
	v_cndmask_b32_e32 v75, v75, v77, vcc
	v_mul_f32_e32 v74, v75, v74
	v_pk_mul_f32 v[82:83], v[74:75], v[82:83] op_sel_hi:[0,1]
	v_pk_mul_f32 v[68:69], v[74:75], v[68:69] op_sel_hi:[0,1]
	v_cvt_f16_f32_e32 v75, v82
	v_cvt_f16_f32_e32 v77, v83
	;; [unrolled: 1-line block ×4, first 2 shown]
	v_pk_mul_f32 v[84:85], v[74:75], v[84:85] op_sel_hi:[0,1]
	v_pk_mul_f32 v[70:71], v[74:75], v[70:71] op_sel_hi:[0,1]
	v_pack_b32_f16 v83, v75, v77
	v_cvt_f16_f32_e32 v70, v70
	v_cvt_f16_f32_e32 v71, v71
	;; [unrolled: 1-line block ×4, first 2 shown]
	v_pack_b32_f16 v82, v68, v69
	v_lshlrev_b32_e32 v69, 3, v86
	v_lshlrev_b32_e32 v68, 5, v76
	v_or3_b32 v1, v1, v68, v69
	v_pack_b32_f16 v70, v70, v71
	v_pack_b32_f16 v71, v75, v77
	ds_write2st64_b64 v1, v[82:83], v[70:71] offset1:1
	v_pk_mul_f32 v[70:71], v[74:75], v[78:79] op_sel_hi:[0,1]
	v_pk_mul_f32 v[78:79], v[74:75], v[80:81] op_sel_hi:[0,1]
	v_cvt_f16_f32_e32 v75, v79
	v_cvt_f16_f32_e32 v69, v78
	;; [unrolled: 1-line block ×4, first 2 shown]
	v_pk_mul_f32 v[66:67], v[74:75], v[66:67] op_sel_hi:[0,1]
	v_pk_mul_f32 v[70:71], v[74:75], v[72:73] op_sel_hi:[0,1]
	v_cvt_f16_f32_e32 v70, v70
	v_cvt_f16_f32_e32 v71, v71
	;; [unrolled: 1-line block ×4, first 2 shown]
	v_pack_b32_f16 v66, v69, v75
	v_pack_b32_f16 v67, v77, v78
	;; [unrolled: 1-line block ×4, first 2 shown]
	v_cmp_gt_u32_e32 vcc, 15, v0
	ds_write2st64_b64 v1, v[66:67], v[70:71] offset0:2 offset1:3
	s_and_saveexec_b64 s[4:5], vcc
	s_cbranch_execz .LBB338_17
; %bb.16:
	s_mov_b32 s41, 0
	v_mov_b32_e32 v77, 0
	v_lshl_add_u64 v[66:67], s[40:41], 0, v[76:77]
	v_mov_b32_e32 v69, s7
	v_mad_u64_u32 v[66:67], s[12:13], s2, v69, v[66:67]
	s_mul_i32 s3, s3, s7
	v_mov_b32_e32 v70, s26
	v_mov_b32_e32 v71, v77
	s_load_dwordx4 s[8:11], s[0:1], 0x58
	v_add_u32_e32 v69, s3, v67
	v_mad_u64_u32 v[66:67], s[12:13], v66, s6, v[70:71]
	v_mov_b32_e32 v70, v67
	v_mad_u64_u32 v[70:71], s[12:13], v69, s6, v[70:71]
	v_mov_b32_e32 v67, v70
	v_lshlrev_b64 v[66:67], 2, v[66:67]
	s_waitcnt lgkmcnt(0)
	v_lshl_add_u64 v[70:71], s[10:11], 0, v[66:67]
	v_lshl_add_u64 v[66:67], s[8:9], 0, v[66:67]
	global_store_dword v[70:71], v87, off
	global_store_dword v[66:67], v88, off
.LBB338_17:
	s_or_b64 exec, exec, s[4:5]
	v_lshl_or_b32 v74, v86, 9, v68
	s_waitcnt lgkmcnt(0)
	s_barrier
	ds_read_b128 v[70:73], v74
	ds_read_b128 v[66:69], v74 offset:16
	s_waitcnt vmcnt(15) lgkmcnt(1)
	v_mfma_f32_16x16x16_f16 v[78:81], v[30:31], v[70:71], 0
	s_mov_b32 s3, 0
	v_cmp_gt_u32_e32 vcc, 64, v0
	v_mfma_f32_16x16x16_f16 v[30:33], v[32:33], v[72:73], v[78:81]
	s_waitcnt vmcnt(14) lgkmcnt(0)
	v_mfma_f32_16x16x16_f16 v[30:33], v[26:27], v[66:67], v[30:33]
	v_mfma_f32_16x16x16_f16 v[26:29], v[28:29], v[68:69], v[30:33]
	s_nop 5
	ds_read_b128 v[30:33], v74 offset:2048
	ds_read_b128 v[78:81], v74 offset:2064
	s_waitcnt vmcnt(13) lgkmcnt(1)
	v_mfma_f32_16x16x16_f16 v[26:29], v[22:23], v[30:31], v[26:29]
	v_mfma_f32_16x16x16_f16 v[22:25], v[24:25], v[32:33], v[26:29]
	s_waitcnt vmcnt(12) lgkmcnt(0)
	v_mfma_f32_16x16x16_f16 v[22:25], v[18:19], v[78:79], v[22:25]
	v_mfma_f32_16x16x16_f16 v[18:21], v[20:21], v[80:81], v[22:25]
	s_nop 5
	ds_read_b128 v[22:25], v74 offset:4096
	ds_read_b128 v[26:29], v74 offset:4112
	s_waitcnt vmcnt(11) lgkmcnt(1)
	v_mfma_f32_16x16x16_f16 v[18:21], v[14:15], v[22:23], v[18:21]
	v_mfma_f32_16x16x16_f16 v[14:17], v[16:17], v[24:25], v[18:21]
	s_waitcnt vmcnt(10) lgkmcnt(0)
	v_mfma_f32_16x16x16_f16 v[14:17], v[10:11], v[26:27], v[14:17]
	v_mfma_f32_16x16x16_f16 v[10:13], v[12:13], v[28:29], v[14:17]
	s_nop 5
	ds_read_b128 v[14:17], v74 offset:6144
	ds_read_b128 v[18:21], v74 offset:6160
	s_waitcnt lgkmcnt(0)
	s_barrier
	s_waitcnt vmcnt(9)
	v_mfma_f32_16x16x16_f16 v[10:13], v[6:7], v[14:15], v[10:13]
	v_mfma_f32_16x16x16_f16 v[6:9], v[8:9], v[16:17], v[10:13]
	s_waitcnt vmcnt(8)
	v_mfma_f32_16x16x16_f16 v[6:9], v[2:3], v[18:19], v[6:9]
	v_mfma_f32_16x16x16_f16 v[2:5], v[4:5], v[20:21], v[6:9]
	s_waitcnt vmcnt(7)
	v_mfma_f32_16x16x16_f16 v[6:9], v[46:47], v[70:71], 0
	v_mfma_f32_16x16x16_f16 v[6:9], v[48:49], v[72:73], v[6:9]
	s_nop 3
	v_cvt_f16_f32_e32 v10, v2
	v_cvt_f16_f32_e32 v11, v3
	;; [unrolled: 1-line block ×3, first 2 shown]
	s_waitcnt vmcnt(6)
	v_mfma_f32_16x16x16_f16 v[6:9], v[38:39], v[66:67], v[6:9]
	v_cvt_f16_f32_e32 v13, v5
	v_mfma_f32_16x16x16_f16 v[6:9], v[40:41], v[68:69], v[6:9]
	s_waitcnt vmcnt(5)
	v_mfma_f32_16x16x16_f16 v[6:9], v[42:43], v[30:31], v[6:9]
	v_mfma_f32_16x16x16_f16 v[6:9], v[44:45], v[32:33], v[6:9]
	s_waitcnt vmcnt(4)
	v_mfma_f32_16x16x16_f16 v[6:9], v[34:35], v[78:79], v[6:9]
	;; [unrolled: 3-line block ×6, first 2 shown]
	v_mfma_f32_16x16x16_f16 v[2:5], v[60:61], v[20:21], v[6:9]
	s_nop 6
	v_cvt_f16_f32_e32 v6, v2
	v_cvt_f16_f32_e32 v7, v3
	;; [unrolled: 1-line block ×4, first 2 shown]
	v_pack_b32_f16 v2, v10, v11
	v_pack_b32_f16 v3, v12, v13
	v_pack_b32_f16 v4, v6, v7
	v_pack_b32_f16 v5, v8, v5
	ds_write2st64_b64 v1, v[2:3], v[4:5] offset1:1
	s_waitcnt lgkmcnt(0)
	s_barrier
	s_and_saveexec_b64 s[4:5], vcc
	s_cbranch_execz .LBB338_20
; %bb.18:
	v_lshlrev_b32_e32 v3, 6, v76
	v_lshlrev_b32_e32 v2, 4, v0
	v_lshl_or_b32 v0, v0, 10, v3
	v_lshlrev_b32_e32 v1, 5, v86
	v_and_b32_e32 v2, 16, v2
	v_and_b32_e32 v0, 0x1a00, v0
	v_or3_b32 v2, v0, v1, v2
	scratch_load_dwordx2 v[0:1], off, off   ; 8-byte Folded Reload
	s_load_dwordx2 s[4:5], s[0:1], 0x68
	s_lshl_b32 s0, s6, 7
	s_mul_i32 s1, s7, s2
	s_mul_hi_u32 s7, s1, s0
	s_mul_i32 s6, s1, s0
	s_lshl_b64 s[6:7], s[6:7], 1
	s_waitcnt lgkmcnt(0)
	s_add_u32 s1, s4, s6
	s_addc_u32 s4, s5, s7
	s_lshl_b32 s2, s26, 7
	ds_read_b128 v[4:7], v2 offset:256
	s_lshl_b64 s[2:3], s[2:3], 1
	ds_read_b128 v[8:11], v2 offset:128
	ds_read_b128 v[12:15], v2
	s_add_u32 s2, s1, s2
	s_addc_u32 s3, s4, s3
	v_add_u32_e32 v3, s40, v86
	v_cmp_ne_u32_e32 vcc, 3, v86
	s_waitcnt vmcnt(0)
	v_lshl_add_u64 v[0:1], v[0:1], 1, s[2:3]
	v_mad_u64_u32 v[16:17], s[2:3], v3, s0, 0
	v_lshl_add_u64 v[16:17], v[16:17], 1, v[0:1]
	s_waitcnt lgkmcnt(0)
	global_store_dwordx4 v[16:17], v[12:15], off
	s_nop 1
	v_add_u32_e32 v12, 4, v3
	v_mad_u64_u32 v[12:13], s[2:3], v12, s0, 0
	v_lshl_add_u64 v[12:13], v[12:13], 1, v[0:1]
	v_add_u32_e32 v3, 8, v3
	global_store_dwordx4 v[12:13], v[8:11], off
	s_nop 1
	v_mad_u64_u32 v[8:9], s[2:3], v3, s0, 0
	v_lshl_add_u64 v[8:9], v[8:9], 1, v[0:1]
	global_store_dwordx4 v[8:9], v[4:7], off
	s_and_b64 exec, exec, vcc
	s_cbranch_execz .LBB338_20
; %bb.19:
	ds_read_b128 v[2:5], v2 offset:384
	v_add3_u32 v6, s40, v86, 12
	v_mad_u64_u32 v[6:7], s[0:1], v6, s0, 0
	v_lshl_add_u64 v[0:1], v[6:7], 1, v[0:1]
	s_waitcnt lgkmcnt(0)
	global_store_dwordx4 v[0:1], v[2:5], off
.LBB338_20:
	s_endpgm
	.section	.rodata,"a",@progbits
	.p2align	6, 0x0
	.amdhsa_kernel _Z39paged_attention_ll4mi_QKV_mfma16_kernelIDF16_DF16_LN4vllm18Fp8KVCacheDataTypeE0EhLi32ELi128ELi256ELb0ELi15EEvPKT_PKT0_S7_ifPKiS9_S9_iPKfiiiPfSC_PS2_PT2_iSB_SB_
		.amdhsa_group_segment_fixed_size 8192
		.amdhsa_private_segment_fixed_size 12
		.amdhsa_kernarg_size 400
		.amdhsa_user_sgpr_count 2
		.amdhsa_user_sgpr_dispatch_ptr 0
		.amdhsa_user_sgpr_queue_ptr 0
		.amdhsa_user_sgpr_kernarg_segment_ptr 1
		.amdhsa_user_sgpr_dispatch_id 0
		.amdhsa_user_sgpr_kernarg_preload_length 0
		.amdhsa_user_sgpr_kernarg_preload_offset 0
		.amdhsa_user_sgpr_private_segment_size 0
		.amdhsa_uses_dynamic_stack 0
		.amdhsa_enable_private_segment 1
		.amdhsa_system_sgpr_workgroup_id_x 1
		.amdhsa_system_sgpr_workgroup_id_y 1
		.amdhsa_system_sgpr_workgroup_id_z 1
		.amdhsa_system_sgpr_workgroup_info 0
		.amdhsa_system_vgpr_workitem_id 0
		.amdhsa_next_free_vgpr 96
		.amdhsa_next_free_sgpr 42
		.amdhsa_accum_offset 96
		.amdhsa_reserve_vcc 1
		.amdhsa_float_round_mode_32 0
		.amdhsa_float_round_mode_16_64 0
		.amdhsa_float_denorm_mode_32 3
		.amdhsa_float_denorm_mode_16_64 3
		.amdhsa_dx10_clamp 1
		.amdhsa_ieee_mode 1
		.amdhsa_fp16_overflow 0
		.amdhsa_tg_split 0
		.amdhsa_exception_fp_ieee_invalid_op 0
		.amdhsa_exception_fp_denorm_src 0
		.amdhsa_exception_fp_ieee_div_zero 0
		.amdhsa_exception_fp_ieee_overflow 0
		.amdhsa_exception_fp_ieee_underflow 0
		.amdhsa_exception_fp_ieee_inexact 0
		.amdhsa_exception_int_div_zero 0
	.end_amdhsa_kernel
	.section	.text._Z39paged_attention_ll4mi_QKV_mfma16_kernelIDF16_DF16_LN4vllm18Fp8KVCacheDataTypeE0EhLi32ELi128ELi256ELb0ELi15EEvPKT_PKT0_S7_ifPKiS9_S9_iPKfiiiPfSC_PS2_PT2_iSB_SB_,"axG",@progbits,_Z39paged_attention_ll4mi_QKV_mfma16_kernelIDF16_DF16_LN4vllm18Fp8KVCacheDataTypeE0EhLi32ELi128ELi256ELb0ELi15EEvPKT_PKT0_S7_ifPKiS9_S9_iPKfiiiPfSC_PS2_PT2_iSB_SB_,comdat
.Lfunc_end338:
	.size	_Z39paged_attention_ll4mi_QKV_mfma16_kernelIDF16_DF16_LN4vllm18Fp8KVCacheDataTypeE0EhLi32ELi128ELi256ELb0ELi15EEvPKT_PKT0_S7_ifPKiS9_S9_iPKfiiiPfSC_PS2_PT2_iSB_SB_, .Lfunc_end338-_Z39paged_attention_ll4mi_QKV_mfma16_kernelIDF16_DF16_LN4vllm18Fp8KVCacheDataTypeE0EhLi32ELi128ELi256ELb0ELi15EEvPKT_PKT0_S7_ifPKiS9_S9_iPKfiiiPfSC_PS2_PT2_iSB_SB_
                                        ; -- End function
	.section	.AMDGPU.csdata,"",@progbits
; Kernel info:
; codeLenInByte = 4648
; NumSgprs: 48
; NumVgprs: 96
; NumAgprs: 0
; TotalNumVgprs: 96
; ScratchSize: 12
; MemoryBound: 0
; FloatMode: 240
; IeeeMode: 1
; LDSByteSize: 8192 bytes/workgroup (compile time only)
; SGPRBlocks: 5
; VGPRBlocks: 11
; NumSGPRsForWavesPerEU: 48
; NumVGPRsForWavesPerEU: 96
; AccumOffset: 96
; Occupancy: 5
; WaveLimiterHint : 1
; COMPUTE_PGM_RSRC2:SCRATCH_EN: 1
; COMPUTE_PGM_RSRC2:USER_SGPR: 2
; COMPUTE_PGM_RSRC2:TRAP_HANDLER: 0
; COMPUTE_PGM_RSRC2:TGID_X_EN: 1
; COMPUTE_PGM_RSRC2:TGID_Y_EN: 1
; COMPUTE_PGM_RSRC2:TGID_Z_EN: 1
; COMPUTE_PGM_RSRC2:TIDIG_COMP_CNT: 0
; COMPUTE_PGM_RSRC3_GFX90A:ACCUM_OFFSET: 23
; COMPUTE_PGM_RSRC3_GFX90A:TG_SPLIT: 0
	.section	.text._Z39paged_attention_ll4mi_QKV_mfma16_kernelIDF16_DF16_LN4vllm18Fp8KVCacheDataTypeE0EhLi32ELi128ELi256ELb0ELi16EEvPKT_PKT0_S7_ifPKiS9_S9_iPKfiiiPfSC_PS2_PT2_iSB_SB_,"axG",@progbits,_Z39paged_attention_ll4mi_QKV_mfma16_kernelIDF16_DF16_LN4vllm18Fp8KVCacheDataTypeE0EhLi32ELi128ELi256ELb0ELi16EEvPKT_PKT0_S7_ifPKiS9_S9_iPKfiiiPfSC_PS2_PT2_iSB_SB_,comdat
	.protected	_Z39paged_attention_ll4mi_QKV_mfma16_kernelIDF16_DF16_LN4vllm18Fp8KVCacheDataTypeE0EhLi32ELi128ELi256ELb0ELi16EEvPKT_PKT0_S7_ifPKiS9_S9_iPKfiiiPfSC_PS2_PT2_iSB_SB_ ; -- Begin function _Z39paged_attention_ll4mi_QKV_mfma16_kernelIDF16_DF16_LN4vllm18Fp8KVCacheDataTypeE0EhLi32ELi128ELi256ELb0ELi16EEvPKT_PKT0_S7_ifPKiS9_S9_iPKfiiiPfSC_PS2_PT2_iSB_SB_
	.globl	_Z39paged_attention_ll4mi_QKV_mfma16_kernelIDF16_DF16_LN4vllm18Fp8KVCacheDataTypeE0EhLi32ELi128ELi256ELb0ELi16EEvPKT_PKT0_S7_ifPKiS9_S9_iPKfiiiPfSC_PS2_PT2_iSB_SB_
	.p2align	8
	.type	_Z39paged_attention_ll4mi_QKV_mfma16_kernelIDF16_DF16_LN4vllm18Fp8KVCacheDataTypeE0EhLi32ELi128ELi256ELb0ELi16EEvPKT_PKT0_S7_ifPKiS9_S9_iPKfiiiPfSC_PS2_PT2_iSB_SB_,@function
_Z39paged_attention_ll4mi_QKV_mfma16_kernelIDF16_DF16_LN4vllm18Fp8KVCacheDataTypeE0EhLi32ELi128ELi256ELb0ELi16EEvPKT_PKT0_S7_ifPKiS9_S9_iPKfiiiPfSC_PS2_PT2_iSB_SB_: ; @_Z39paged_attention_ll4mi_QKV_mfma16_kernelIDF16_DF16_LN4vllm18Fp8KVCacheDataTypeE0EhLi32ELi128ELi256ELb0ELi16EEvPKT_PKT0_S7_ifPKiS9_S9_iPKfiiiPfSC_PS2_PT2_iSB_SB_
; %bb.0:
	s_load_dwordx2 s[8:9], s[0:1], 0x30
	s_mov_b32 s26, s3
	s_mov_b64 s[6:7], 0
	s_waitcnt lgkmcnt(0)
	s_cmp_lg_u64 s[8:9], 0
	s_cselect_b64 s[10:11], -1, 0
	s_and_b64 vcc, exec, s[10:11]
	s_cbranch_vccz .LBB339_7
; %bb.1:
	s_add_i32 s12, s2, 1
	s_mov_b32 s13, 0
	s_lshl_b64 s[14:15], s[12:13], 2
	s_add_u32 s14, s8, s14
	s_mov_b32 s3, s13
	s_addc_u32 s15, s9, s15
	s_lshl_b64 s[12:13], s[2:3], 2
	s_add_u32 s12, s8, s12
	s_addc_u32 s13, s9, s13
	s_load_dword s5, s[14:15], 0x0
	s_load_dword s16, s[12:13], 0x0
	s_waitcnt lgkmcnt(0)
	s_sub_i32 s5, s5, s16
	s_cmp_eq_u32 s5, 1
	s_cselect_b64 s[12:13], -1, 0
	s_andn2_b64 vcc, exec, s[6:7]
	s_cbranch_vccnz .LBB339_3
.LBB339_2:
	s_mov_b32 s3, 0
	s_mov_b64 s[12:13], -1
.LBB339_3:
	s_andn2_b64 vcc, exec, s[12:13]
	s_cbranch_vccnz .LBB339_19
; %bb.4:
	s_load_dwordx2 s[6:7], s[0:1], 0x28
	s_lshl_b64 s[12:13], s[2:3], 2
	s_waitcnt lgkmcnt(0)
	s_add_u32 s6, s6, s12
	s_addc_u32 s7, s7, s13
	s_load_dword s38, s[6:7], 0x0
	s_lshl_b32 s18, s26, 8
	s_waitcnt lgkmcnt(0)
	s_cmp_ge_i32 s18, s38
	s_cbranch_scc1 .LBB339_19
; %bb.5:
	s_load_dwordx2 s[6:7], s[0:1], 0x20
	s_load_dword s5, s[0:1], 0x38
	s_add_i32 s14, s38, 31
	s_ashr_i32 s15, s14, 31
	v_and_b32_e32 v1, 0xcf, v0
	s_lshr_b32 s15, s15, 27
	v_add_u32_e32 v1, s18, v1
	s_add_i32 s14, s14, s15
	v_ashrrev_i32_e32 v2, 31, v1
	s_ashr_i32 s19, s14, 5
	v_lshrrev_b32_e32 v6, 27, v2
	s_add_i32 s19, s19, -1
	s_waitcnt lgkmcnt(0)
	s_mul_i32 s14, s2, s5
	s_mov_b32 s15, 0
	v_add_u32_e32 v2, v1, v6
	s_lshl_b64 s[14:15], s[14:15], 2
	v_ashrrev_i32_e32 v2, 5, v2
	v_mov_b32_e32 v7, s19
	v_cmp_gt_i32_e32 vcc, s38, v1
	s_add_u32 s6, s6, s14
	s_addc_u32 s7, s7, s15
	v_cndmask_b32_e32 v2, v7, v2, vcc
	v_ashrrev_i32_e32 v3, 31, v2
	v_lshl_add_u64 v[4:5], v[2:3], 2, s[6:7]
	v_or_b32_e32 v2, 16, v1
	v_add_u32_e32 v3, v2, v6
	v_ashrrev_i32_e32 v3, 5, v3
	v_cmp_gt_i32_e32 vcc, s38, v2
	s_nop 1
	v_cndmask_b32_e32 v2, v7, v3, vcc
	v_ashrrev_i32_e32 v3, 31, v2
	v_lshl_add_u64 v[8:9], v[2:3], 2, s[6:7]
	v_or_b32_e32 v2, 32, v1
	v_add_u32_e32 v3, v2, v6
	v_ashrrev_i32_e32 v3, 5, v3
	v_cmp_gt_i32_e32 vcc, s38, v2
	v_or_b32_e32 v1, 48, v1
	s_nop 0
	v_cndmask_b32_e32 v2, v7, v3, vcc
	v_ashrrev_i32_e32 v3, 31, v2
	v_lshl_add_u64 v[10:11], v[2:3], 2, s[6:7]
	v_add_u32_e32 v2, v1, v6
	v_ashrrev_i32_e32 v2, 5, v2
	v_cmp_gt_i32_e32 vcc, s38, v1
	s_nop 1
	v_cndmask_b32_e32 v2, v7, v2, vcc
	v_ashrrev_i32_e32 v3, 31, v2
	v_lshl_add_u64 v[12:13], v[2:3], 2, s[6:7]
	global_load_dword v2, v[4:5], off
	global_load_dword v7, v[8:9], off
	;; [unrolled: 1-line block ×4, first 2 shown]
	s_andn2_b64 vcc, exec, s[10:11]
	s_cbranch_vccnz .LBB339_8
; %bb.6:
	s_add_u32 s8, s8, s12
	s_addc_u32 s9, s9, s13
	s_load_dword s5, s[8:9], 0x0
	s_branch .LBB339_9
.LBB339_7:
	s_mov_b64 s[12:13], 0
	s_branch .LBB339_2
.LBB339_8:
	s_mov_b32 s5, s2
.LBB339_9:
	s_load_dwordx4 s[12:15], s[0:1], 0x8
	s_load_dwordx4 s[8:11], s[0:1], 0x48
	v_and_b32_e32 v1, 15, v0
	s_waitcnt lgkmcnt(0)
	s_movk_i32 s11, 0xff
	v_lshlrev_b32_e32 v12, 3, v1
	v_cmp_lt_u32_e32 vcc, s11, v0
	s_and_saveexec_b64 s[16:17], vcc
	s_xor_b64 s[16:17], exec, s[16:17]
; %bb.10:
	v_mov_b32_e32 v13, 0
; %bb.11:
	s_or_saveexec_b64 s[16:17], s[16:17]
	v_lshrrev_b32_e32 v95, 6, v0
	s_lshl_b32 s27, s4, 4
	v_bfe_u32 v84, v0, 4, 2
	s_xor_b64 exec, exec, s[16:17]
	s_cbranch_execz .LBB339_13
; %bb.12:
	s_load_dwordx2 s[20:21], s[0:1], 0x0
	s_ashr_i32 s11, s8, 31
	s_mul_hi_u32 s22, s5, s8
	s_mul_i32 s11, s5, s11
	s_add_i32 s23, s22, s11
	s_mul_i32 s22, s5, s8
	v_lshl_or_b32 v1, v95, 2, v84
	s_lshl_b64 s[22:23], s[22:23], 1
	s_waitcnt lgkmcnt(0)
	s_add_u32 s20, s20, s22
	v_add_lshl_u32 v4, v1, s27, 7
	s_addc_u32 s21, s21, s23
	v_ashrrev_i32_e32 v5, 31, v4
	v_mov_b32_e32 v13, 0
	v_lshl_add_u64 v[4:5], v[4:5], 1, s[20:21]
	v_lshlrev_b32_e32 v8, 1, v12
	v_mov_b32_e32 v9, v13
	v_lshl_add_u64 v[4:5], v[4:5], 0, v[8:9]
	global_load_dwordx4 v[8:11], v[4:5], off
	v_and_b32_e32 v4, 15, v0
	v_and_b32_e32 v3, 3, v0
	v_lshlrev_b32_e32 v4, 9, v4
	v_lshlrev_b32_e32 v1, 5, v1
	;; [unrolled: 1-line block ×3, first 2 shown]
	v_and_b32_e32 v4, 0x1800, v4
	v_or3_b32 v1, v4, v3, v1
	s_waitcnt vmcnt(0)
	ds_write_b128 v1, v[8:11]
.LBB339_13:
	s_or_b64 exec, exec, s[16:17]
	s_mul_i32 s4, s4, s10
	s_mov_b32 s5, 0
	s_lshl_b64 s[4:5], s[4:5], 1
	s_add_u32 s10, s12, s4
	s_addc_u32 s11, s13, s5
	s_waitcnt vmcnt(3)
	v_mad_i64_i32 v[2:3], s[12:13], v2, s9, 0
	v_mov_b32_e32 v55, 0
	s_waitcnt vmcnt(2)
	v_mad_i64_i32 v[8:9], s[12:13], v7, s9, 0
	v_mov_b32_e32 v1, 0x100
	v_and_b32_e32 v94, 15, v0
	v_lshl_add_u64 v[2:3], v[2:3], 1, s[10:11]
	v_lshlrev_b64 v[4:5], 1, v[12:13]
	v_lshl_add_u64 v[8:9], v[8:9], 1, s[10:11]
	v_lshl_or_b32 v56, v94, 4, v1
	v_mov_b32_e32 v57, v55
	v_lshlrev_b32_e32 v54, 9, v84
	v_lshl_add_u64 v[2:3], v[2:3], 0, v[4:5]
	v_lshl_add_u64 v[20:21], v[8:9], 0, v[56:57]
	;; [unrolled: 1-line block ×4, first 2 shown]
	s_load_dword s33, s[0:1], 0x98
	s_load_dword s8, s[0:1], 0x1c
	s_waitcnt lgkmcnt(0)
	s_barrier
	scratch_store_dwordx2 off, v[12:13], off offset:32 ; 8-byte Folded Spill
	global_load_dwordx4 v[14:17], v[18:19], off
	s_waitcnt vmcnt(3)
	v_mad_i64_i32 v[6:7], s[12:13], v6, s9, 0
	global_load_dwordx4 v[10:13], v[22:23], off
	v_lshl_add_u64 v[6:7], v[6:7], 1, s[10:11]
	v_lshl_add_u64 v[60:61], v[6:7], 0, v[4:5]
	;; [unrolled: 1-line block ×3, first 2 shown]
	global_load_dwordx4 v[6:9], v[46:47], off
	global_load_dwordx4 v[42:45], v[18:19], off offset:2048
	global_load_dwordx4 v[38:41], v[22:23], off offset:2048
	v_or_b32_e32 v62, 0x1000, v54
	v_mov_b32_e32 v63, v55
	v_lshl_add_u64 v[4:5], v[2:3], 0, v[62:63]
	global_load_dwordx4 v[30:33], v[4:5], off
	v_or_b32_e32 v58, 0x1800, v54
	v_mov_b32_e32 v59, v55
	v_lshl_add_u64 v[2:3], v[2:3], 0, v[58:59]
	global_load_dwordx4 v[22:25], v[2:3], off
	v_lshl_add_u64 v[4:5], v[20:21], 0, v[62:63]
	global_load_dwordx4 v[26:29], v[4:5], off
	;; [unrolled: 2-line block ×3, first 2 shown]
	v_lshl_or_b32 v85, v94, 5, v54
	ds_read_b128 v[2:5], v85
	s_waitcnt vmcnt(10)
	v_mad_i64_i32 v[64:65], s[12:13], v34, s9, 0
	ds_read_b128 v[34:37], v85 offset:2048
	global_load_dwordx4 v[76:79], v[46:47], off offset:2048
	ds_read_b128 v[50:53], v85 offset:4096
	ds_read_b128 v[46:49], v85 offset:6144
	s_ashr_i32 s12, s18, 31
	v_and_or_b32 v1, v0, 48, s18
	v_mov_b32_e32 v74, s19
	v_cmp_gt_i32_e32 vcc, s38, v1
	v_or_b32_e32 v75, 64, v1
	v_or_b32_e32 v86, 0x80, v1
	;; [unrolled: 1-line block ×3, first 2 shown]
	s_mov_b32 s40, 0xff7fffff
	s_waitcnt vmcnt(7) lgkmcnt(3)
	v_mfma_f32_16x16x16_f16 v[80:83], v[6:7], v[2:3], 0
	v_lshl_add_u64 v[6:7], v[64:65], 1, s[10:11]
	s_lshr_b32 s10, s12, 27
	v_lshl_add_u64 v[6:7], v[6:7], 0, v[56:57]
	v_mfma_f32_16x16x16_f16 v[70:73], v[10:11], v[2:3], 0
	v_lshl_add_u64 v[64:65], v[6:7], 0, v[54:55]
	v_lshl_add_u64 v[56:57], v[60:61], 0, v[58:59]
	s_add_u32 s4, s14, s4
	v_mfma_f32_16x16x16_f16 v[66:69], v[14:15], v[2:3], 0
	s_addc_u32 s5, s15, s5
	v_mfma_f32_16x16x16_f16 v[10:13], v[12:13], v[4:5], v[70:73]
	v_mfma_f32_16x16x16_f16 v[14:17], v[16:17], v[4:5], v[66:69]
	s_nop 1
	v_lshl_add_u64 v[72:73], v[6:7], 0, v[62:63]
	s_waitcnt vmcnt(5) lgkmcnt(2)
	v_mfma_f32_16x16x16_f16 v[10:13], v[38:39], v[34:35], v[10:13]
	v_add_u32_e32 v66, s10, v1
	v_ashrrev_i32_e32 v54, 5, v66
	v_add_u32_e32 v67, s10, v75
	v_mfma_f32_16x16x16_f16 v[14:17], v[42:43], v[34:35], v[14:17]
	v_lshl_add_u64 v[42:43], v[60:61], 0, v[62:63]
	v_ashrrev_i32_e32 v60, 5, v67
	v_add_u32_e32 v68, s10, v86
	v_mfma_f32_16x16x16_f16 v[10:13], v[40:41], v[36:37], v[10:13]
	global_load_dwordx4 v[38:41], v[42:43], off
	v_cndmask_b32_e32 v42, v74, v54, vcc
	v_ashrrev_i32_e32 v43, 31, v42
	v_mfma_f32_16x16x16_f16 v[14:17], v[44:45], v[36:37], v[14:17]
	v_cmp_gt_i32_e32 vcc, s38, v75
	v_ashrrev_i32_e32 v66, 5, v68
	v_add_u32_e32 v69, s10, v87
	s_waitcnt vmcnt(5) lgkmcnt(1)
	v_mfma_f32_16x16x16_f16 v[14:17], v[30:31], v[50:51], v[14:17]
	v_lshl_add_u64 v[30:31], v[42:43], 2, s[6:7]
	global_load_dwordx4 v[42:45], v[56:57], off
	v_and_b32_e32 v1, 16, v0
	global_load_dword v30, v[30:31], off
	s_waitcnt vmcnt(5)
	v_mfma_f32_16x16x16_f16 v[10:13], v[26:27], v[50:51], v[10:13]
	v_cndmask_b32_e32 v26, v74, v60, vcc
	v_ashrrev_i32_e32 v27, 31, v26
	v_lshl_add_u64 v[26:27], v[26:27], 2, s[6:7]
	global_load_dwordx4 v[60:63], v[64:65], off
	v_mfma_f32_16x16x16_f16 v[14:17], v[32:33], v[52:53], v[14:17]
	global_load_dword v56, v[26:27], off
	v_cmp_gt_i32_e32 vcc, s38, v86
	v_ashrrev_i32_e32 v68, 5, v69
	s_waitcnt lgkmcnt(0)
	v_mfma_f32_16x16x16_f16 v[14:17], v[22:23], v[46:47], v[14:17]
	v_cndmask_b32_e32 v26, v74, v66, vcc
	v_ashrrev_i32_e32 v27, 31, v26
	v_lshl_add_u64 v[22:23], v[26:27], 2, s[6:7]
	global_load_dword v57, v[22:23], off
	v_mfma_f32_16x16x16_f16 v[10:13], v[28:29], v[52:53], v[10:13]
	v_cmp_gt_i32_e32 vcc, s38, v87
	v_lshlrev_b32_e32 v54, 1, v1
	v_lshl_or_b32 v1, v95, 4, v94
	s_waitcnt vmcnt(7)
	v_mfma_f32_16x16x16_f16 v[10:13], v[18:19], v[46:47], v[10:13]
	v_cndmask_b32_e32 v18, v74, v68, vcc
	v_ashrrev_i32_e32 v19, 31, v18
	global_load_dwordx4 v[64:67], v[64:65], off offset:2048
	v_mfma_f32_16x16x16_f16 v[90:93], v[20:21], v[48:49], v[10:13]
	global_load_dwordx4 v[72:75], v[72:73], off
	s_nop 1
	v_lshl_add_u64 v[10:11], v[6:7], 0, v[58:59]
	v_mfma_f32_16x16x16_f16 v[6:9], v[8:9], v[4:5], v[80:83]
	global_load_dwordx4 v[86:89], v[10:11], off
	s_waitcnt vmcnt(9)
	v_mfma_f32_16x16x16_f16 v[6:9], v[76:77], v[34:35], v[6:9]
	v_lshl_add_u64 v[76:77], s[4:5], 0, v[54:55]
	v_lshlrev_b32_e32 v54, 6, v1
	v_pk_mul_f32 v[82:83], s[8:9], v[92:93] op_sel_hi:[0,1]
	v_mfma_f32_16x16x16_f16 v[6:9], v[78:79], v[36:37], v[6:9]
	v_lshl_add_u64 v[78:79], v[76:77], 0, v[54:55]
	v_or_b32_e32 v54, 0x1000, v54
	s_waitcnt vmcnt(6)
	v_mad_i64_i32 v[10:11], s[4:5], v30, s9, 0
	v_mfma_f32_16x16x16_f16 v[6:9], v[38:39], v[50:51], v[6:9]
	v_lshlrev_b64 v[80:81], 1, v[10:11]
	v_lshl_add_u64 v[10:11], v[78:79], 0, v[80:81]
	v_mfma_f32_16x16x16_f16 v[6:9], v[40:41], v[52:53], v[6:9]
	v_mfma_f32_16x16x16_f16 v[6:9], v[42:43], v[46:47], v[6:9]
	v_mfma_f32_16x16x16_f16 v[68:71], v[24:25], v[48:49], v[14:17]
	s_nop 2
	v_lshl_add_u64 v[14:15], v[18:19], 2, s[6:7]
	v_mov_b32_e32 v16, v84
	global_load_dword v84, v[14:15], off
	global_load_dwordx4 v[30:33], v[10:11], off
	global_load_dwordx4 v[26:29], v[10:11], off offset:16
	s_waitcnt vmcnt(7)
	v_mad_i64_i32 v[10:11], s[4:5], v56, s9, 0
	v_lshlrev_b64 v[42:43], 1, v[10:11]
	v_mfma_f32_16x16x16_f16 v[38:41], v[44:45], v[48:49], v[6:9]
	s_nop 2
	v_lshl_add_u64 v[6:7], v[78:79], 0, v[42:43]
	global_load_dwordx4 v[22:25], v[6:7], off
	global_load_dwordx4 v[18:21], v[6:7], off offset:16
	v_mfma_f32_16x16x16_f16 v[6:9], v[60:61], v[2:3], 0
	s_waitcnt vmcnt(8)
	v_mad_i64_i32 v[2:3], s[4:5], v57, s9, 0
	v_lshlrev_b64 v[56:57], 1, v[2:3]
	v_mfma_f32_16x16x16_f16 v[2:5], v[62:63], v[4:5], v[6:9]
	v_pk_mul_f32 v[60:61], s[8:9], v[68:69] op_sel_hi:[0,1]
	v_lshl_add_u64 v[62:63], v[76:77], 0, v[54:55]
	v_lshl_add_u64 v[44:45], v[62:63], 0, v[80:81]
	;; [unrolled: 1-line block ×3, first 2 shown]
	global_load_dwordx4 v[8:11], v[6:7], off
	global_load_dwordx4 v[12:15], v[6:7], off offset:16
	s_waitcnt vmcnt(9)
	v_mfma_f32_16x16x16_f16 v[2:5], v[64:65], v[34:35], v[2:5]
	v_pk_mul_f32 v[80:81], s[8:9], v[70:71] op_sel_hi:[0,1]
	v_pk_mul_f32 v[70:71], s[8:9], v[90:91] op_sel_hi:[0,1]
	v_pk_mul_f32 v[76:77], s[8:9], v[40:41] op_sel_hi:[0,1]
	v_mfma_f32_16x16x16_f16 v[34:37], v[66:67], v[36:37], v[2:5]
	s_waitcnt vmcnt(6)
	v_mad_i64_i32 v[6:7], s[4:5], v84, s9, 0
	v_lshlrev_b64 v[58:59], 1, v[6:7]
	v_lshl_add_u64 v[2:3], v[78:79], 0, v[58:59]
	v_mfma_f32_16x16x16_f16 v[34:37], v[72:73], v[50:51], v[34:37]
	v_pk_mul_f32 v[78:79], s[8:9], v[38:39] op_sel_hi:[0,1]
	v_lshl_add_u64 v[58:59], v[62:63], 0, v[58:59]
	s_waitcnt vmcnt(0)
	scratch_store_dwordx4 off, v[12:15], off offset:16 ; 16-byte Folded Spill
	global_load_dwordx4 v[4:7], v[2:3], off
	s_nop 0
	global_load_dwordx4 v[12:15], v[2:3], off offset:16
	v_mfma_f32_16x16x16_f16 v[34:37], v[74:75], v[52:53], v[34:37]
	v_and_b32_e32 v2, 63, v0
	s_waitcnt vmcnt(0)
	scratch_store_dwordx4 off, v[12:15], off ; 16-byte Folded Spill
	v_mfma_f32_16x16x16_f16 v[34:37], v[86:87], v[46:47], v[34:37]
	v_mfma_f32_16x16x16_f16 v[34:37], v[88:89], v[48:49], v[34:37]
	s_nop 6
	v_pk_mul_f32 v[72:73], s[8:9], v[34:35] op_sel_hi:[0,1]
	v_and_b32_e32 v34, 0xc0, v0
	v_add_u32_e32 v34, s18, v34
	v_lshl_or_b32 v34, v16, 2, v34
	v_pk_mul_f32 v[66:67], s[8:9], v[36:37] op_sel_hi:[0,1]
	v_or_b32_e32 v37, 1, v34
	v_mov_b32_e32 v35, 0xff7fffff
	v_cmp_gt_i32_e64 s[28:29], s38, v34
	v_cmp_gt_i32_e64 s[30:31], s38, v37
	v_or_b32_e32 v38, 3, v34
	v_cndmask_b32_e64 v36, v35, v60, s[28:29]
	v_cndmask_b32_e64 v37, v35, v61, s[30:31]
	v_max3_f32 v36, v36, s40, v37
	v_or_b32_e32 v37, 2, v34
	v_cmp_gt_i32_e64 s[34:35], s38, v37
	v_cmp_gt_i32_e64 s[36:37], s38, v38
	s_nop 0
	v_cndmask_b32_e64 v37, v35, v80, s[34:35]
	v_cndmask_b32_e64 v38, v35, v81, s[36:37]
	v_max3_f32 v36, v36, v37, v38
	v_or_b32_e32 v37, 16, v34
	v_or_b32_e32 v38, 17, v34
	v_cmp_gt_i32_e64 s[22:23], s38, v37
	v_cmp_gt_i32_e64 s[24:25], s38, v38
	s_nop 0
	v_cndmask_b32_e64 v37, v35, v70, s[22:23]
	v_cndmask_b32_e64 v38, v35, v71, s[24:25]
	v_max3_f32 v36, v36, v37, v38
	v_or_b32_e32 v37, 18, v34
	;; [unrolled: 8-line block ×6, first 2 shown]
	v_or_b32_e32 v34, 51, v34
	v_cmp_gt_i32_e32 vcc, s38, v37
	v_cmp_gt_i32_e64 s[4:5], s38, v34
	global_load_dwordx4 v[46:49], v[44:45], off
	global_load_dwordx4 v[38:41], v[44:45], off offset:16
	v_cndmask_b32_e32 v37, v35, v66, vcc
	v_cndmask_b32_e64 v34, v35, v67, s[4:5]
	v_max3_f32 v50, v36, v37, v34
	v_mbcnt_lo_u32_b32 v34, -1, 0
	v_mbcnt_hi_u32_b32 v51, -1, v34
	v_and_b32_e32 v34, 64, v51
	v_add_u32_e32 v52, 64, v34
	v_xor_b32_e32 v34, 32, v51
	v_cmp_lt_i32_e64 s[38:39], v34, v52
	s_nop 1
	v_cndmask_b32_e64 v34, v51, v34, s[38:39]
	v_lshlrev_b32_e32 v74, 2, v34
	ds_bpermute_b32 v53, v74, v50
	v_lshl_add_u64 v[34:35], v[62:63], 0, v[42:43]
	global_load_dwordx4 v[42:45], v[34:35], off
	s_nop 0
	global_load_dwordx4 v[34:37], v[34:35], off offset:16
	s_waitcnt lgkmcnt(0)
	v_max_f32_e32 v53, v53, v53
	v_max_f32_e32 v64, v50, v53
	v_xor_b32_e32 v50, 16, v51
	v_cmp_lt_i32_e64 s[38:39], v50, v52
	s_nop 1
	v_cndmask_b32_e64 v50, v51, v50, s[38:39]
	v_lshlrev_b32_e32 v75, 2, v50
	ds_bpermute_b32 v65, v75, v64
	v_lshl_add_u64 v[50:51], v[62:63], 0, v[56:57]
	global_load_dwordx4 v[54:57], v[50:51], off
	s_nop 0
	global_load_dwordx4 v[50:53], v[50:51], off offset:16
	s_waitcnt lgkmcnt(0)
	v_max_f32_e32 v62, v65, v65
	v_max_f32_e32 v89, v64, v62
	v_sub_f32_e32 v60, v60, v89
	v_mul_f32_e32 v60, 0x3fb8aa3b, v60
	v_exp_f32_e32 v68, v60
	v_sub_f32_e32 v60, v61, v89
	v_mul_f32_e32 v60, 0x3fb8aa3b, v60
	v_exp_f32_e32 v69, v60
	global_load_dwordx4 v[62:65], v[58:59], off
	s_nop 0
	global_load_dwordx4 v[58:61], v[58:59], off offset:16
	v_sub_f32_e32 v80, v80, v89
	v_mul_f32_e32 v80, 0x3fb8aa3b, v80
	v_sub_f32_e32 v81, v81, v89
	v_exp_f32_e32 v80, v80
	v_mul_f32_e32 v81, 0x3fb8aa3b, v81
	v_sub_f32_e32 v70, v70, v89
	v_exp_f32_e32 v81, v81
	v_mul_f32_e32 v70, 0x3fb8aa3b, v70
	v_sub_f32_e32 v71, v71, v89
	v_cndmask_b32_e64 v68, 0, v68, s[28:29]
	v_exp_f32_e32 v70, v70
	v_mul_f32_e32 v71, 0x3fb8aa3b, v71
	v_sub_f32_e32 v82, v82, v89
	v_add_f32_e32 v84, 0, v68
	v_cndmask_b32_e64 v69, 0, v69, s[30:31]
	v_exp_f32_e32 v71, v71
	v_mul_f32_e32 v82, 0x3fb8aa3b, v82
	v_sub_f32_e32 v83, v83, v89
	v_add_f32_e32 v84, v84, v69
	;; [unrolled: 5-line block ×10, first 2 shown]
	v_cndmask_b32_e64 v76, 0, v76, s[10:11]
	v_exp_f32_e32 v66, v66
	v_mul_f32_e32 v67, 0x3fb8aa3b, v67
	v_add_f32_e32 v84, v84, v76
	v_cndmask_b32_e64 v77, 0, v77, s[12:13]
	v_exp_f32_e32 v67, v67
	v_add_f32_e32 v84, v84, v77
	v_cndmask_b32_e64 v72, 0, v72, s[6:7]
	v_add_f32_e32 v84, v84, v72
	v_cndmask_b32_e64 v73, 0, v73, s[8:9]
	v_add_f32_e32 v84, v84, v73
	v_cndmask_b32_e32 v66, 0, v66, vcc
	v_add_f32_e32 v84, v84, v66
	v_cndmask_b32_e64 v67, 0, v67, s[4:5]
	v_add_f32_e32 v84, v84, v67
	ds_bpermute_b32 v74, v74, v84
	v_cmp_gt_u32_e32 vcc, 16, v2
	s_waitcnt lgkmcnt(0)
	s_barrier
	v_add_f32_e32 v90, v84, v74
	ds_bpermute_b32 v91, v75, v90
	s_and_saveexec_b64 s[4:5], vcc
	s_cbranch_execz .LBB339_15
; %bb.14:
	s_waitcnt lgkmcnt(0)
	v_add_f32_e32 v74, v90, v91
	v_lshlrev_b32_e32 v1, 2, v1
	ds_write2st64_b32 v1, v89, v74 offset1:1
.LBB339_15:
	s_or_b64 exec, exec, s[4:5]
	v_and_b32_e32 v94, 15, v0
	v_lshlrev_b32_e32 v1, 2, v94
	s_load_dword s6, s[0:1], 0x94
	s_waitcnt lgkmcnt(0)
	s_barrier
	ds_read2_b32 v[74:75], v1 offset1:16
	ds_read2_b32 v[88:89], v1 offset0:32 offset1:48
	ds_read2_b32 v[90:91], v1 offset0:64 offset1:80
	s_lshl_b32 s7, s33, 4
	s_waitcnt lgkmcnt(2)
	v_max3_f32 v84, v74, s40, v75
	s_waitcnt lgkmcnt(1)
	v_max3_f32 v87, v84, v88, v89
	v_sub_f32_e32 v74, v74, v87
	v_mul_f32_e32 v74, 0x3fb8aa3b, v74
	v_exp_f32_e32 v84, v74
	v_sub_f32_e32 v74, v75, v87
	v_mul_f32_e32 v74, 0x3fb8aa3b, v74
	v_exp_f32_e32 v86, v74
	;; [unrolled: 3-line block ×3, first 2 shown]
	ds_read2_b32 v[74:75], v1 offset0:96 offset1:112
	v_sub_f32_e32 v1, v89, v87
	v_mul_f32_e32 v1, 0x3fb8aa3b, v1
	v_exp_f32_e32 v1, v1
	s_waitcnt lgkmcnt(1)
	v_fma_f32 v88, v84, v90, 0
	v_fmac_f32_e32 v88, v86, v91
	s_waitcnt lgkmcnt(0)
	v_fmac_f32_e32 v88, v92, v74
	v_fmac_f32_e32 v88, v1, v75
	v_add_f32_e32 v74, 0x358637bd, v88
	v_div_scale_f32 v75, s[4:5], v74, v74, 1.0
	v_rcp_f32_e32 v89, v75
	s_barrier
	v_fma_f32 v90, -v75, v89, 1.0
	v_fmac_f32_e32 v89, v90, v89
	v_div_scale_f32 v90, vcc, 1.0, v74, 1.0
	v_mul_f32_e32 v91, v90, v89
	v_fma_f32 v93, -v75, v91, v90
	v_fmac_f32_e32 v91, v93, v89
	v_fma_f32 v75, -v75, v91, v90
	v_div_fmas_f32 v75, v75, v89, v91
	v_lshrrev_b32_e32 v89, 6, v0
	v_cmp_eq_u32_e32 vcc, 1, v89
	v_div_fixup_f32 v74, v75, v74, 1.0
	s_nop 0
	v_cndmask_b32_e32 v75, v84, v86, vcc
	v_cmp_eq_u32_e32 vcc, 2, v89
	v_bfe_u32 v84, v0, 4, 2
	s_nop 0
	v_cndmask_b32_e32 v75, v75, v92, vcc
	v_cmp_eq_u32_e32 vcc, 3, v89
	s_nop 1
	v_cndmask_b32_e32 v1, v75, v1, vcc
	v_mul_f32_e32 v74, v1, v74
	v_pk_mul_f32 v[80:81], v[74:75], v[80:81] op_sel_hi:[0,1]
	v_pk_mul_f32 v[68:69], v[74:75], v[68:69] op_sel_hi:[0,1]
	v_cvt_f16_f32_e32 v1, v68
	v_cvt_f16_f32_e32 v68, v69
	;; [unrolled: 1-line block ×4, first 2 shown]
	v_cmp_gt_u32_e32 vcc, 16, v0
	v_pack_b32_f16 v68, v1, v68
	v_lshlrev_b32_e32 v1, 3, v84
	v_pack_b32_f16 v69, v69, v75
	v_lshlrev_b32_e32 v75, 5, v94
	v_pk_mul_f32 v[80:81], v[74:75], v[82:83] op_sel_hi:[0,1]
	v_pk_mul_f32 v[70:71], v[74:75], v[70:71] op_sel_hi:[0,1]
	v_cvt_f16_f32_e32 v70, v70
	v_cvt_f16_f32_e32 v71, v71
	;; [unrolled: 1-line block ×4, first 2 shown]
	v_lshlrev_b32_e32 v80, 11, v89
	v_or3_b32 v80, v80, v75, v1
	v_pack_b32_f16 v70, v70, v71
	v_pack_b32_f16 v71, v82, v81
	ds_write2st64_b64 v80, v[68:69], v[70:71] offset1:1
	v_pk_mul_f32 v[68:69], v[74:75], v[76:77] op_sel_hi:[0,1]
	v_pk_mul_f32 v[70:71], v[74:75], v[78:79] op_sel_hi:[0,1]
	v_cvt_f16_f32_e32 v75, v69
	v_cvt_f16_f32_e32 v1, v70
	;; [unrolled: 1-line block ×4, first 2 shown]
	v_pk_mul_f32 v[66:67], v[74:75], v[66:67] op_sel_hi:[0,1]
	v_pk_mul_f32 v[68:69], v[74:75], v[72:73] op_sel_hi:[0,1]
	v_cvt_f16_f32_e32 v68, v68
	v_cvt_f16_f32_e32 v69, v69
	;; [unrolled: 1-line block ×4, first 2 shown]
	v_pack_b32_f16 v66, v1, v70
	v_pack_b32_f16 v67, v71, v75
	;; [unrolled: 1-line block ×4, first 2 shown]
	ds_write2st64_b64 v80, v[66:67], v[68:69] offset0:2 offset1:3
	s_and_saveexec_b64 s[4:5], vcc
	s_cbranch_execz .LBB339_17
; %bb.16:
	v_or_b32_e32 v66, s27, v0
	v_mov_b32_e32 v67, 0
	v_mov_b32_e32 v1, s7
	v_mad_u64_u32 v[68:69], s[12:13], s2, v1, v[66:67]
	v_mov_b32_e32 v66, s26
	s_load_dwordx4 s[8:11], s[0:1], 0x58
	s_mul_i32 s3, s3, s7
	v_mad_u64_u32 v[66:67], s[12:13], v68, s6, v[66:67]
	v_add_u32_e32 v1, s3, v69
	v_mov_b32_e32 v68, v67
	v_mad_u64_u32 v[68:69], s[12:13], v1, s6, v[68:69]
	v_mov_b32_e32 v67, v68
	v_lshlrev_b64 v[66:67], 2, v[66:67]
	s_waitcnt lgkmcnt(0)
	v_lshl_add_u64 v[68:69], s[10:11], 0, v[66:67]
	v_lshl_add_u64 v[66:67], s[8:9], 0, v[66:67]
	global_store_dword v[68:69], v87, off
	global_store_dword v[66:67], v88, off
.LBB339_17:
	s_or_b64 exec, exec, s[4:5]
	s_waitcnt lgkmcnt(0)
	s_barrier
	ds_read_b128 v[70:73], v85
	ds_read_b128 v[66:69], v85 offset:16
	s_waitcnt lgkmcnt(1)
	v_mfma_f32_16x16x16_f16 v[74:77], v[30:31], v[70:71], 0
	s_mov_b32 s3, 0
	v_cmp_gt_u32_e32 vcc, 64, v0
	v_mfma_f32_16x16x16_f16 v[30:33], v[32:33], v[72:73], v[74:77]
	s_waitcnt lgkmcnt(0)
	v_mfma_f32_16x16x16_f16 v[30:33], v[26:27], v[66:67], v[30:33]
	v_mfma_f32_16x16x16_f16 v[26:29], v[28:29], v[68:69], v[30:33]
	s_nop 5
	ds_read_b128 v[30:33], v85 offset:2048
	ds_read_b128 v[74:77], v85 offset:2064
	s_waitcnt lgkmcnt(1)
	v_mfma_f32_16x16x16_f16 v[26:29], v[22:23], v[30:31], v[26:29]
	v_mfma_f32_16x16x16_f16 v[22:25], v[24:25], v[32:33], v[26:29]
	s_waitcnt lgkmcnt(0)
	v_mfma_f32_16x16x16_f16 v[22:25], v[18:19], v[74:75], v[22:25]
	v_mfma_f32_16x16x16_f16 v[18:21], v[20:21], v[76:77], v[22:25]
	s_nop 5
	ds_read_b128 v[22:25], v85 offset:4096
	ds_read_b128 v[26:29], v85 offset:4112
	s_waitcnt lgkmcnt(1)
	v_mfma_f32_16x16x16_f16 v[18:21], v[8:9], v[22:23], v[18:21]
	v_mfma_f32_16x16x16_f16 v[14:17], v[10:11], v[24:25], v[18:21]
	scratch_load_dwordx4 v[8:11], off, off offset:16 ; 16-byte Folded Reload
	s_waitcnt vmcnt(0) lgkmcnt(0)
	v_mfma_f32_16x16x16_f16 v[14:17], v[8:9], v[26:27], v[14:17]
	v_mfma_f32_16x16x16_f16 v[10:13], v[10:11], v[28:29], v[14:17]
	s_nop 5
	ds_read_b128 v[14:17], v85 offset:6144
	ds_read_b128 v[18:21], v85 offset:6160
	s_waitcnt lgkmcnt(1)
	v_mfma_f32_16x16x16_f16 v[10:13], v[4:5], v[14:15], v[10:13]
	scratch_load_dwordx4 v[2:5], off, off   ; 16-byte Folded Reload
	s_waitcnt lgkmcnt(0)
	s_barrier
	v_mfma_f32_16x16x16_f16 v[6:9], v[6:7], v[16:17], v[10:13]
	s_waitcnt vmcnt(0)
	v_mfma_f32_16x16x16_f16 v[6:9], v[2:3], v[18:19], v[6:9]
	v_mfma_f32_16x16x16_f16 v[2:5], v[4:5], v[20:21], v[6:9]
	;; [unrolled: 1-line block ×4, first 2 shown]
	s_nop 4
	v_cvt_f16_f32_e32 v1, v2
	v_cvt_f16_f32_e32 v10, v3
	;; [unrolled: 1-line block ×3, first 2 shown]
	v_mfma_f32_16x16x16_f16 v[6:9], v[38:39], v[66:67], v[6:9]
	v_cvt_f16_f32_e32 v12, v5
	v_mfma_f32_16x16x16_f16 v[6:9], v[40:41], v[68:69], v[6:9]
	v_mfma_f32_16x16x16_f16 v[6:9], v[42:43], v[30:31], v[6:9]
	;; [unrolled: 1-line block ×13, first 2 shown]
	s_nop 6
	v_cvt_f16_f32_e32 v6, v2
	v_cvt_f16_f32_e32 v7, v3
	;; [unrolled: 1-line block ×4, first 2 shown]
	v_pack_b32_f16 v2, v1, v10
	v_pack_b32_f16 v3, v11, v12
	;; [unrolled: 1-line block ×4, first 2 shown]
	ds_write2st64_b64 v80, v[2:3], v[4:5] offset1:1
	s_waitcnt lgkmcnt(0)
	s_barrier
	s_and_saveexec_b64 s[4:5], vcc
	s_cbranch_execz .LBB339_19
; %bb.18:
	v_and_b32_e32 v3, 15, v0
	v_lshlrev_b32_e32 v3, 6, v3
	v_lshlrev_b32_e32 v2, 4, v0
	v_lshl_or_b32 v0, v0, 10, v3
	v_lshlrev_b32_e32 v1, 5, v84
	v_and_b32_e32 v2, 16, v2
	v_and_b32_e32 v0, 0x1a00, v0
	v_or3_b32 v12, v0, v1, v2
	ds_read_b128 v[0:3], v12
	ds_read_b128 v[4:7], v12 offset:128
	ds_read_b128 v[8:11], v12 offset:256
	ds_read_b128 v[12:15], v12 offset:384
	scratch_load_dwordx2 v[16:17], off, off offset:32 ; 8-byte Folded Reload
	s_load_dwordx2 s[0:1], s[0:1], 0x68
	s_lshl_b32 s6, s6, 7
	s_mul_i32 s2, s7, s2
	s_mul_hi_u32 s5, s2, s6
	s_mul_i32 s4, s2, s6
	s_lshl_b64 s[4:5], s[4:5], 1
	s_waitcnt lgkmcnt(0)
	s_add_u32 s4, s0, s4
	s_addc_u32 s5, s1, s5
	s_lshl_b32 s2, s26, 7
	s_lshl_b64 s[0:1], s[2:3], 1
	s_add_u32 s0, s4, s0
	s_addc_u32 s1, s5, s1
	v_or_b32_e32 v20, s27, v84
	s_waitcnt vmcnt(0)
	v_lshl_add_u64 v[16:17], v[16:17], 1, s[0:1]
	v_mad_u64_u32 v[18:19], s[0:1], v20, s6, 0
	v_lshl_add_u64 v[18:19], v[18:19], 1, v[16:17]
	global_store_dwordx4 v[18:19], v[0:3], off
	s_nop 1
	v_or_b32_e32 v0, 4, v20
	v_mad_u64_u32 v[0:1], s[0:1], v0, s6, 0
	v_lshl_add_u64 v[0:1], v[0:1], 1, v[16:17]
	global_store_dwordx4 v[0:1], v[4:7], off
	v_or_b32_e32 v0, 8, v20
	v_mad_u64_u32 v[0:1], s[0:1], v0, s6, 0
	v_lshl_add_u64 v[0:1], v[0:1], 1, v[16:17]
	global_store_dwordx4 v[0:1], v[8:11], off
	;; [unrolled: 4-line block ×3, first 2 shown]
.LBB339_19:
	s_endpgm
	.section	.rodata,"a",@progbits
	.p2align	6, 0x0
	.amdhsa_kernel _Z39paged_attention_ll4mi_QKV_mfma16_kernelIDF16_DF16_LN4vllm18Fp8KVCacheDataTypeE0EhLi32ELi128ELi256ELb0ELi16EEvPKT_PKT0_S7_ifPKiS9_S9_iPKfiiiPfSC_PS2_PT2_iSB_SB_
		.amdhsa_group_segment_fixed_size 8192
		.amdhsa_private_segment_fixed_size 44
		.amdhsa_kernarg_size 400
		.amdhsa_user_sgpr_count 2
		.amdhsa_user_sgpr_dispatch_ptr 0
		.amdhsa_user_sgpr_queue_ptr 0
		.amdhsa_user_sgpr_kernarg_segment_ptr 1
		.amdhsa_user_sgpr_dispatch_id 0
		.amdhsa_user_sgpr_kernarg_preload_length 0
		.amdhsa_user_sgpr_kernarg_preload_offset 0
		.amdhsa_user_sgpr_private_segment_size 0
		.amdhsa_uses_dynamic_stack 0
		.amdhsa_enable_private_segment 1
		.amdhsa_system_sgpr_workgroup_id_x 1
		.amdhsa_system_sgpr_workgroup_id_y 1
		.amdhsa_system_sgpr_workgroup_id_z 1
		.amdhsa_system_sgpr_workgroup_info 0
		.amdhsa_system_vgpr_workitem_id 0
		.amdhsa_next_free_vgpr 96
		.amdhsa_next_free_sgpr 41
		.amdhsa_accum_offset 96
		.amdhsa_reserve_vcc 1
		.amdhsa_float_round_mode_32 0
		.amdhsa_float_round_mode_16_64 0
		.amdhsa_float_denorm_mode_32 3
		.amdhsa_float_denorm_mode_16_64 3
		.amdhsa_dx10_clamp 1
		.amdhsa_ieee_mode 1
		.amdhsa_fp16_overflow 0
		.amdhsa_tg_split 0
		.amdhsa_exception_fp_ieee_invalid_op 0
		.amdhsa_exception_fp_denorm_src 0
		.amdhsa_exception_fp_ieee_div_zero 0
		.amdhsa_exception_fp_ieee_overflow 0
		.amdhsa_exception_fp_ieee_underflow 0
		.amdhsa_exception_fp_ieee_inexact 0
		.amdhsa_exception_int_div_zero 0
	.end_amdhsa_kernel
	.section	.text._Z39paged_attention_ll4mi_QKV_mfma16_kernelIDF16_DF16_LN4vllm18Fp8KVCacheDataTypeE0EhLi32ELi128ELi256ELb0ELi16EEvPKT_PKT0_S7_ifPKiS9_S9_iPKfiiiPfSC_PS2_PT2_iSB_SB_,"axG",@progbits,_Z39paged_attention_ll4mi_QKV_mfma16_kernelIDF16_DF16_LN4vllm18Fp8KVCacheDataTypeE0EhLi32ELi128ELi256ELb0ELi16EEvPKT_PKT0_S7_ifPKiS9_S9_iPKfiiiPfSC_PS2_PT2_iSB_SB_,comdat
.Lfunc_end339:
	.size	_Z39paged_attention_ll4mi_QKV_mfma16_kernelIDF16_DF16_LN4vllm18Fp8KVCacheDataTypeE0EhLi32ELi128ELi256ELb0ELi16EEvPKT_PKT0_S7_ifPKiS9_S9_iPKfiiiPfSC_PS2_PT2_iSB_SB_, .Lfunc_end339-_Z39paged_attention_ll4mi_QKV_mfma16_kernelIDF16_DF16_LN4vllm18Fp8KVCacheDataTypeE0EhLi32ELi128ELi256ELb0ELi16EEvPKT_PKT0_S7_ifPKiS9_S9_iPKfiiiPfSC_PS2_PT2_iSB_SB_
                                        ; -- End function
	.section	.AMDGPU.csdata,"",@progbits
; Kernel info:
; codeLenInByte = 4624
; NumSgprs: 47
; NumVgprs: 96
; NumAgprs: 0
; TotalNumVgprs: 96
; ScratchSize: 44
; MemoryBound: 0
; FloatMode: 240
; IeeeMode: 1
; LDSByteSize: 8192 bytes/workgroup (compile time only)
; SGPRBlocks: 5
; VGPRBlocks: 11
; NumSGPRsForWavesPerEU: 47
; NumVGPRsForWavesPerEU: 96
; AccumOffset: 96
; Occupancy: 5
; WaveLimiterHint : 1
; COMPUTE_PGM_RSRC2:SCRATCH_EN: 1
; COMPUTE_PGM_RSRC2:USER_SGPR: 2
; COMPUTE_PGM_RSRC2:TRAP_HANDLER: 0
; COMPUTE_PGM_RSRC2:TGID_X_EN: 1
; COMPUTE_PGM_RSRC2:TGID_Y_EN: 1
; COMPUTE_PGM_RSRC2:TGID_Z_EN: 1
; COMPUTE_PGM_RSRC2:TIDIG_COMP_CNT: 0
; COMPUTE_PGM_RSRC3_GFX90A:ACCUM_OFFSET: 23
; COMPUTE_PGM_RSRC3_GFX90A:TG_SPLIT: 0
	.section	.text._Z39paged_attention_ll4mi_QKV_mfma16_kernelIDF16_DF16_LN4vllm18Fp8KVCacheDataTypeE0EhLi32ELi128ELi256ELb0ELi1EEvPKT_PKT0_S7_ifPKiS9_S9_iPKfiiiPfSC_PS2_PT2_iSB_SB_,"axG",@progbits,_Z39paged_attention_ll4mi_QKV_mfma16_kernelIDF16_DF16_LN4vllm18Fp8KVCacheDataTypeE0EhLi32ELi128ELi256ELb0ELi1EEvPKT_PKT0_S7_ifPKiS9_S9_iPKfiiiPfSC_PS2_PT2_iSB_SB_,comdat
	.protected	_Z39paged_attention_ll4mi_QKV_mfma16_kernelIDF16_DF16_LN4vllm18Fp8KVCacheDataTypeE0EhLi32ELi128ELi256ELb0ELi1EEvPKT_PKT0_S7_ifPKiS9_S9_iPKfiiiPfSC_PS2_PT2_iSB_SB_ ; -- Begin function _Z39paged_attention_ll4mi_QKV_mfma16_kernelIDF16_DF16_LN4vllm18Fp8KVCacheDataTypeE0EhLi32ELi128ELi256ELb0ELi1EEvPKT_PKT0_S7_ifPKiS9_S9_iPKfiiiPfSC_PS2_PT2_iSB_SB_
	.globl	_Z39paged_attention_ll4mi_QKV_mfma16_kernelIDF16_DF16_LN4vllm18Fp8KVCacheDataTypeE0EhLi32ELi128ELi256ELb0ELi1EEvPKT_PKT0_S7_ifPKiS9_S9_iPKfiiiPfSC_PS2_PT2_iSB_SB_
	.p2align	8
	.type	_Z39paged_attention_ll4mi_QKV_mfma16_kernelIDF16_DF16_LN4vllm18Fp8KVCacheDataTypeE0EhLi32ELi128ELi256ELb0ELi1EEvPKT_PKT0_S7_ifPKiS9_S9_iPKfiiiPfSC_PS2_PT2_iSB_SB_,@function
_Z39paged_attention_ll4mi_QKV_mfma16_kernelIDF16_DF16_LN4vllm18Fp8KVCacheDataTypeE0EhLi32ELi128ELi256ELb0ELi1EEvPKT_PKT0_S7_ifPKiS9_S9_iPKfiiiPfSC_PS2_PT2_iSB_SB_: ; @_Z39paged_attention_ll4mi_QKV_mfma16_kernelIDF16_DF16_LN4vllm18Fp8KVCacheDataTypeE0EhLi32ELi128ELi256ELb0ELi1EEvPKT_PKT0_S7_ifPKiS9_S9_iPKfiiiPfSC_PS2_PT2_iSB_SB_
; %bb.0:
	s_load_dwordx2 s[8:9], s[0:1], 0x30
	s_mov_b32 s5, s3
	s_mov_b64 s[6:7], 0
	s_waitcnt lgkmcnt(0)
	s_cmp_lg_u64 s[8:9], 0
	s_cselect_b64 s[10:11], -1, 0
	s_and_b64 vcc, exec, s[10:11]
	s_cbranch_vccz .LBB340_7
; %bb.1:
	s_add_i32 s12, s2, 1
	s_mov_b32 s13, 0
	s_lshl_b64 s[14:15], s[12:13], 2
	s_add_u32 s14, s8, s14
	s_mov_b32 s3, s13
	s_addc_u32 s15, s9, s15
	s_lshl_b64 s[12:13], s[2:3], 2
	s_add_u32 s12, s8, s12
	s_addc_u32 s13, s9, s13
	s_load_dword s16, s[14:15], 0x0
	s_load_dword s17, s[12:13], 0x0
	s_waitcnt lgkmcnt(0)
	s_sub_i32 s12, s16, s17
	s_cmp_eq_u32 s12, 1
	s_cselect_b64 s[12:13], -1, 0
	s_andn2_b64 vcc, exec, s[6:7]
	s_cbranch_vccnz .LBB340_3
.LBB340_2:
	s_mov_b32 s3, 0
	s_mov_b64 s[12:13], -1
.LBB340_3:
	s_andn2_b64 vcc, exec, s[12:13]
	s_cbranch_vccnz .LBB340_19
; %bb.4:
	s_load_dwordx2 s[6:7], s[0:1], 0x28
	s_lshl_b64 s[12:13], s[2:3], 2
	s_waitcnt lgkmcnt(0)
	s_add_u32 s6, s6, s12
	s_addc_u32 s7, s7, s13
	s_load_dword s26, s[6:7], 0x0
	s_lshl_b32 s18, s5, 8
	s_waitcnt lgkmcnt(0)
	s_cmp_ge_i32 s18, s26
	s_cbranch_scc1 .LBB340_19
; %bb.5:
	s_load_dwordx2 s[6:7], s[0:1], 0x20
	s_load_dword s14, s[0:1], 0x38
	s_add_i32 s15, s26, 31
	s_ashr_i32 s16, s15, 31
	v_and_b32_e32 v1, 0xcf, v0
	s_lshr_b32 s16, s16, 27
	v_add_u32_e32 v1, s18, v1
	s_add_i32 s15, s15, s16
	v_ashrrev_i32_e32 v2, 31, v1
	s_ashr_i32 s19, s15, 5
	v_lshrrev_b32_e32 v6, 27, v2
	s_add_i32 s19, s19, -1
	s_waitcnt lgkmcnt(0)
	s_mul_i32 s14, s2, s14
	s_mov_b32 s15, 0
	v_add_u32_e32 v2, v1, v6
	s_lshl_b64 s[14:15], s[14:15], 2
	v_ashrrev_i32_e32 v2, 5, v2
	v_mov_b32_e32 v7, s19
	v_cmp_gt_i32_e32 vcc, s26, v1
	s_add_u32 s6, s6, s14
	s_addc_u32 s7, s7, s15
	v_cndmask_b32_e32 v2, v7, v2, vcc
	v_ashrrev_i32_e32 v3, 31, v2
	v_lshl_add_u64 v[4:5], v[2:3], 2, s[6:7]
	v_or_b32_e32 v2, 16, v1
	v_add_u32_e32 v3, v2, v6
	v_ashrrev_i32_e32 v3, 5, v3
	v_cmp_gt_i32_e32 vcc, s26, v2
	s_nop 1
	v_cndmask_b32_e32 v2, v7, v3, vcc
	v_ashrrev_i32_e32 v3, 31, v2
	v_lshl_add_u64 v[8:9], v[2:3], 2, s[6:7]
	v_or_b32_e32 v2, 32, v1
	v_add_u32_e32 v3, v2, v6
	v_ashrrev_i32_e32 v3, 5, v3
	v_cmp_gt_i32_e32 vcc, s26, v2
	v_or_b32_e32 v1, 48, v1
	s_nop 0
	v_cndmask_b32_e32 v2, v7, v3, vcc
	v_ashrrev_i32_e32 v3, 31, v2
	v_lshl_add_u64 v[10:11], v[2:3], 2, s[6:7]
	v_add_u32_e32 v2, v1, v6
	v_ashrrev_i32_e32 v2, 5, v2
	v_cmp_gt_i32_e32 vcc, s26, v1
	s_nop 1
	v_cndmask_b32_e32 v2, v7, v2, vcc
	v_ashrrev_i32_e32 v3, 31, v2
	v_lshl_add_u64 v[12:13], v[2:3], 2, s[6:7]
	global_load_dword v2, v[4:5], off
	global_load_dword v6, v[8:9], off
	;; [unrolled: 1-line block ×4, first 2 shown]
	s_andn2_b64 vcc, exec, s[10:11]
	s_cbranch_vccnz .LBB340_8
; %bb.6:
	s_add_u32 s8, s8, s12
	s_addc_u32 s9, s9, s13
	s_load_dword s20, s[8:9], 0x0
	s_branch .LBB340_9
.LBB340_7:
	s_mov_b64 s[12:13], 0
	s_branch .LBB340_2
.LBB340_8:
	s_mov_b32 s20, s2
.LBB340_9:
	s_load_dwordx4 s[12:15], s[0:1], 0x8
	s_load_dwordx4 s[8:11], s[0:1], 0x48
	v_lshrrev_b32_e32 v67, 6, v0
	v_bfe_u32 v87, v0, 4, 2
	v_lshl_or_b32 v1, v67, 2, v87
	v_and_b32_e32 v22, 15, v0
	v_lshlrev_b32_e32 v4, 3, v22
	v_cmp_ne_u32_e32 vcc, 0, v1
	s_and_saveexec_b64 s[16:17], vcc
	s_xor_b64 s[16:17], exec, s[16:17]
; %bb.10:
	v_mov_b32_e32 v5, 0
; %bb.11:
	s_andn2_saveexec_b64 s[16:17], s[16:17]
	s_cbranch_execz .LBB340_13
; %bb.12:
	s_load_dwordx2 s[22:23], s[0:1], 0x0
	s_waitcnt lgkmcnt(0)
	s_ashr_i32 s11, s8, 31
	s_mul_hi_u32 s21, s20, s8
	s_mul_i32 s11, s20, s11
	s_add_i32 s21, s21, s11
	s_mul_i32 s20, s20, s8
	s_lshl_b64 s[20:21], s[20:21], 1
	s_add_u32 s8, s22, s20
	s_addc_u32 s11, s23, s21
	s_lshl_b32 s20, s4, 7
	s_ashr_i32 s21, s20, 31
	s_lshl_b64 s[20:21], s[20:21], 1
	s_add_u32 s20, s8, s20
	s_addc_u32 s21, s11, s21
	v_lshlrev_b32_e32 v1, 1, v4
	global_load_dwordx4 v[8:11], v1, s[20:21]
	v_and_b32_e32 v1, 3, v0
	v_lshlrev_b32_e32 v3, 9, v22
	v_lshlrev_b32_e32 v1, 9, v1
	s_movk_i32 s8, 0x1800
	v_mov_b32_e32 v5, 0
	v_and_or_b32 v1, v3, s8, v1
	s_waitcnt vmcnt(0)
	ds_write_b128 v1, v[8:11]
.LBB340_13:
	s_or_b64 exec, exec, s[16:17]
	s_waitcnt lgkmcnt(0)
	s_mul_i32 s10, s4, s10
	s_mov_b32 s11, 0
	s_lshl_b64 s[10:11], s[10:11], 1
	s_add_u32 s12, s12, s10
	s_addc_u32 s13, s13, s11
	s_waitcnt vmcnt(3)
	v_mad_i64_i32 v[2:3], s[16:17], v2, s9, 0
	v_mov_b32_e32 v25, 0
	s_waitcnt vmcnt(2)
	v_mad_i64_i32 v[6:7], s[16:17], v6, s9, 0
	v_mov_b32_e32 v1, 0x100
	s_waitcnt vmcnt(1)
	v_mad_i64_i32 v[16:17], s[16:17], v16, s9, 0
	s_barrier
	v_lshlrev_b32_e32 v24, 9, v87
	v_lshl_add_u64 v[2:3], v[2:3], 1, s[12:13]
	scratch_store_dwordx2 off, v[4:5], off  ; 8-byte Folded Spill
	v_lshlrev_b64 v[4:5], 1, v[4:5]
	v_lshl_add_u64 v[6:7], v[6:7], 1, s[12:13]
	v_lshl_or_b32 v54, v22, 4, v1
	v_mov_b32_e32 v55, v25
	v_lshl_add_u64 v[16:17], v[16:17], 1, s[12:13]
	v_lshl_add_u64 v[2:3], v[2:3], 0, v[4:5]
	v_lshl_add_u64 v[18:19], v[6:7], 0, v[54:55]
	v_lshl_add_u64 v[58:59], v[16:17], 0, v[4:5]
	v_or_b32_e32 v60, 0x1000, v24
	v_mov_b32_e32 v61, v25
	v_lshl_add_u64 v[14:15], v[2:3], 0, v[24:25]
	v_lshl_add_u64 v[20:21], v[18:19], 0, v[24:25]
	;; [unrolled: 1-line block ×4, first 2 shown]
	v_or_b32_e32 v56, 0x1800, v24
	v_mov_b32_e32 v57, v25
	global_load_dwordx4 v[10:13], v[14:15], off
	global_load_dwordx4 v[6:9], v[20:21], off
	;; [unrolled: 1-line block ×3, first 2 shown]
	global_load_dwordx4 v[34:37], v[14:15], off offset:2048
	global_load_dwordx4 v[30:33], v[20:21], off offset:2048
	global_load_dwordx4 v[26:29], v[4:5], off
	v_lshl_add_u64 v[4:5], v[18:19], 0, v[60:61]
	v_lshl_add_u64 v[2:3], v[2:3], 0, v[56:57]
	global_load_dwordx4 v[14:17], v[4:5], off
	s_waitcnt vmcnt(8)
	v_mad_i64_i32 v[64:65], s[16:17], v42, s9, 0
	global_load_dwordx4 v[2:5], v[2:3], off
	s_ashr_i32 s8, s18, 31
	v_and_or_b32 v1, v0, 48, s18
	s_lshr_b32 s8, s8, 27
	v_mov_b32_e32 v74, s19
	v_cmp_gt_i32_e32 vcc, s26, v1
	v_or_b32_e32 v75, 64, v1
	v_or_b32_e32 v84, 0x80, v1
	v_add_u32_e32 v86, s8, v84
	v_or_b32_e32 v85, 0xc0, v1
	s_add_u32 s10, s14, s10
	s_addc_u32 s11, s15, s11
	s_mov_b32 s33, 0xff7fffff
	ds_read_b128 v[42:45], v24 offset:2048
	s_waitcnt vmcnt(0)
	scratch_store_dwordx4 off, v[2:5], off offset:8 ; 16-byte Folded Spill
	s_nop 1
	v_lshl_add_u64 v[2:3], v[18:19], 0, v[56:57]
	global_load_dwordx4 v[18:21], v[2:3], off
	ds_read_b128 v[2:5], v24
	s_waitcnt lgkmcnt(0)
	v_mfma_f32_16x16x16_f16 v[76:79], v[6:7], v[2:3], 0
	v_lshl_add_u64 v[6:7], v[64:65], 1, s[12:13]
	v_lshl_add_u64 v[54:55], v[6:7], 0, v[54:55]
	ds_read_b128 v[50:53], v24 offset:4096
	ds_read_b128 v[46:49], v24 offset:6144
	v_mfma_f32_16x16x16_f16 v[6:9], v[8:9], v[4:5], v[76:79]
	global_load_dwordx4 v[80:83], v[62:63], off offset:2048
	v_lshl_add_u64 v[64:65], v[58:59], 0, v[56:57]
	v_lshl_add_u64 v[72:73], v[54:55], 0, v[60:61]
	v_mfma_f32_16x16x16_f16 v[6:9], v[30:31], v[42:43], v[6:9]
	v_add_u32_e32 v76, s8, v85
	v_ashrrev_i32_e32 v76, 5, v76
	v_mfma_f32_16x16x16_f16 v[6:9], v[32:33], v[44:45], v[6:9]
	s_waitcnt lgkmcnt(1)
	v_mfma_f32_16x16x16_f16 v[6:9], v[14:15], v[50:51], v[6:9]
	v_mfma_f32_16x16x16_f16 v[6:9], v[16:17], v[52:53], v[6:9]
	scratch_load_dwordx4 v[14:17], off, off offset:8 ; 16-byte Folded Reload
	v_mfma_f32_16x16x16_f16 v[68:71], v[10:11], v[2:3], 0
	v_mfma_f32_16x16x16_f16 v[10:13], v[12:13], v[4:5], v[68:71]
	;; [unrolled: 1-line block ×3, first 2 shown]
	s_nop 4
	v_add_u32_e32 v70, s8, v1
	v_ashrrev_i32_e32 v66, 5, v70
	v_cndmask_b32_e32 v30, v74, v66, vcc
	v_mfma_f32_16x16x16_f16 v[10:13], v[36:37], v[44:45], v[10:13]
	global_load_dwordx4 v[34:37], v[64:65], off
	v_lshl_add_u64 v[62:63], v[58:59], 0, v[60:61]
	global_load_dwordx4 v[58:61], v[62:63], off
	v_add_u32_e32 v71, s8, v75
	v_ashrrev_i32_e32 v31, 31, v30
	v_ashrrev_i32_e32 v70, 5, v71
	v_lshl_add_u64 v[30:31], v[30:31], 2, s[6:7]
	v_cmp_gt_i32_e32 vcc, s26, v75
	v_mfma_f32_16x16x16_f16 v[10:13], v[26:27], v[50:51], v[10:13]
	global_load_dword v94, v[30:31], off
	v_cndmask_b32_e32 v30, v74, v70, vcc
	v_ashrrev_i32_e32 v71, 5, v86
	v_ashrrev_i32_e32 v31, 31, v30
	v_cmp_gt_i32_e32 vcc, s26, v84
	v_lshl_add_u64 v[26:27], v[30:31], 2, s[6:7]
	v_mov_b32_e32 v30, v22
	v_cndmask_b32_e32 v22, v74, v71, vcc
	v_mfma_f32_16x16x16_f16 v[10:13], v[28:29], v[52:53], v[10:13]
	v_ashrrev_i32_e32 v23, 31, v22
	v_lshl_add_u64 v[22:23], v[22:23], 2, s[6:7]
	v_cmp_gt_i32_e32 vcc, s26, v85
	global_load_dword v84, v[22:23], off
	v_lshl_add_u64 v[68:69], v[54:55], 0, v[24:25]
	v_cndmask_b32_e32 v22, v74, v76, vcc
	v_ashrrev_i32_e32 v23, 31, v22
	global_load_dword v95, v[26:27], off
	v_mov_b32_e32 v66, v87
	v_mfma_f32_16x16x16_f16 v[90:93], v[38:39], v[2:3], 0
	v_and_b32_e32 v1, 16, v0
	v_lshlrev_b32_e32 v24, 1, v1
	v_lshl_or_b32 v1, v67, 4, v30
	s_waitcnt vmcnt(5) lgkmcnt(0)
	v_mfma_f32_16x16x16_f16 v[10:13], v[14:15], v[46:47], v[10:13]
	v_lshl_add_u64 v[14:15], v[22:23], 2, s[6:7]
	global_load_dword v85, v[14:15], off
	v_lshl_add_u64 v[14:15], v[54:55], 0, v[56:57]
	global_load_dwordx4 v[86:89], v[14:15], off
	global_load_dwordx4 v[62:65], v[68:69], off
	;; [unrolled: 1-line block ×3, first 2 shown]
	v_mfma_f32_16x16x16_f16 v[38:41], v[40:41], v[4:5], v[90:93]
	global_load_dwordx4 v[68:71], v[68:69], off offset:2048
	v_lshl_add_u64 v[56:57], s[10:11], 0, v[24:25]
	v_lshlrev_b32_e32 v24, 6, v1
	v_mfma_f32_16x16x16_f16 v[6:9], v[18:19], v[46:47], v[6:9]
	v_mov_b32_e32 v22, v30
	s_load_dword s6, s[0:1], 0x1c
	v_and_b32_e32 v23, 63, v0
	v_mfma_f32_16x16x16_f16 v[72:75], v[20:21], v[48:49], v[6:9]
	v_mfma_f32_16x16x16_f16 v[6:9], v[80:81], v[42:43], v[38:41]
	v_lshl_add_u64 v[80:81], v[56:57], 0, v[24:25]
	v_or_b32_e32 v24, 0x1000, v24
	s_waitcnt lgkmcnt(0)
	s_nop 2
	v_pk_mul_f32 v[72:73], s[6:7], v[72:73] op_sel_hi:[0,1]
	v_mfma_f32_16x16x16_f16 v[6:9], v[82:83], v[44:45], v[6:9]
	s_waitcnt vmcnt(8)
	v_mfma_f32_16x16x16_f16 v[6:9], v[58:59], v[50:51], v[6:9]
	v_mfma_f32_16x16x16_f16 v[6:9], v[60:61], v[52:53], v[6:9]
	;; [unrolled: 1-line block ×3, first 2 shown]
	s_waitcnt vmcnt(7)
	s_nop 1
	v_mad_i64_i32 v[10:11], s[10:11], v94, s9, 0
	v_lshlrev_b64 v[82:83], 1, v[10:11]
	v_mfma_f32_16x16x16_f16 v[6:9], v[34:35], v[46:47], v[6:9]
	v_lshl_add_u64 v[10:11], v[80:81], 0, v[82:83]
	global_load_dwordx4 v[30:33], v[10:11], off
	global_load_dwordx4 v[26:29], v[10:11], off offset:16
	s_waitcnt vmcnt(7)
	v_mad_i64_i32 v[10:11], s[10:11], v95, s9, 0
	v_lshlrev_b64 v[34:35], 1, v[10:11]
	v_mfma_f32_16x16x16_f16 v[36:39], v[36:37], v[48:49], v[6:9]
	v_mov_b32_e32 v94, v66
	v_pk_mul_f32 v[60:61], s[6:7], v[90:91] op_sel_hi:[0,1]
	s_nop 0
	v_lshl_add_u64 v[6:7], v[80:81], 0, v[34:35]
	global_load_dwordx4 v[10:13], v[6:7], off
	global_load_dwordx4 v[18:21], v[6:7], off offset:16
	s_waitcnt vmcnt(6)
	v_mfma_f32_16x16x16_f16 v[6:9], v[62:63], v[2:3], 0
	v_mad_i64_i32 v[2:3], s[10:11], v84, s9, 0
	v_lshlrev_b64 v[54:55], 1, v[2:3]
	v_mfma_f32_16x16x16_f16 v[2:5], v[64:65], v[4:5], v[6:9]
	v_lshl_add_u64 v[62:63], v[56:57], 0, v[24:25]
	v_lshl_add_u64 v[34:35], v[62:63], 0, v[34:35]
	s_nop 1
	v_lshl_add_u64 v[6:7], v[80:81], 0, v[54:55]
	global_load_dwordx4 v[14:17], v[6:7], off
	s_nop 0
	global_load_dwordx4 v[6:9], v[6:7], off offset:16
	s_waitcnt vmcnt(6)
	v_mfma_f32_16x16x16_f16 v[2:5], v[68:69], v[42:43], v[2:5]
	s_waitcnt vmcnt(0)
	scratch_store_dwordx4 off, v[6:9], off offset:8 ; 16-byte Folded Spill
	v_mfma_f32_16x16x16_f16 v[40:43], v[70:71], v[44:45], v[2:5]
	s_nop 0
	v_mad_i64_i32 v[6:7], s[8:9], v85, s9, 0
	v_lshlrev_b64 v[58:59], 1, v[6:7]
	v_mfma_f32_16x16x16_f16 v[40:43], v[76:77], v[50:51], v[40:43]
	v_lshl_add_u64 v[2:3], v[80:81], 0, v[58:59]
	v_pk_mul_f32 v[80:81], s[6:7], v[36:37] op_sel_hi:[0,1]
	v_lshl_add_u64 v[44:45], v[62:63], 0, v[82:83]
	v_mfma_f32_16x16x16_f16 v[40:43], v[78:79], v[52:53], v[40:43]
	v_pk_mul_f32 v[78:79], s[6:7], v[38:39] op_sel_hi:[0,1]
	v_pk_mul_f32 v[82:83], s[6:7], v[92:93] op_sel_hi:[0,1]
	;; [unrolled: 1-line block ×3, first 2 shown]
	v_mfma_f32_16x16x16_f16 v[40:43], v[86:87], v[46:47], v[40:43]
	v_lshl_add_u64 v[58:59], v[62:63], 0, v[58:59]
	global_load_dwordx4 v[6:9], v[2:3], off
	s_nop 0
	global_load_dwordx4 v[2:5], v[2:3], off offset:16
	v_mfma_f32_16x16x16_f16 v[36:39], v[88:89], v[48:49], v[40:43]
	s_nop 6
	v_pk_mul_f32 v[76:77], s[6:7], v[36:37] op_sel_hi:[0,1]
	v_and_b32_e32 v36, 0xc0, v0
	v_add_u32_e32 v36, s18, v36
	v_lshl_or_b32 v36, v94, 2, v36
	v_pk_mul_f32 v[68:69], s[6:7], v[38:39] op_sel_hi:[0,1]
	v_or_b32_e32 v39, 1, v36
	v_mov_b32_e32 v37, 0xff7fffff
	v_cmp_gt_i32_e64 s[28:29], s26, v36
	v_cmp_gt_i32_e64 s[30:31], s26, v39
	v_or_b32_e32 v40, 3, v36
	v_cndmask_b32_e64 v38, v37, v60, s[28:29]
	v_cndmask_b32_e64 v39, v37, v61, s[30:31]
	v_max3_f32 v38, v38, s33, v39
	v_or_b32_e32 v39, 2, v36
	v_cmp_gt_i32_e64 s[34:35], s26, v39
	v_cmp_gt_i32_e64 s[36:37], s26, v40
	s_nop 0
	v_cndmask_b32_e64 v39, v37, v82, s[34:35]
	v_cndmask_b32_e64 v40, v37, v83, s[36:37]
	v_max3_f32 v38, v38, v39, v40
	v_or_b32_e32 v39, 16, v36
	v_or_b32_e32 v40, 17, v36
	v_cmp_gt_i32_e64 s[22:23], s26, v39
	v_cmp_gt_i32_e64 s[24:25], s26, v40
	s_nop 0
	v_cndmask_b32_e64 v39, v37, v72, s[22:23]
	v_cndmask_b32_e64 v40, v37, v73, s[24:25]
	v_max3_f32 v38, v38, v39, v40
	v_or_b32_e32 v39, 18, v36
	v_or_b32_e32 v40, 19, v36
	v_cmp_gt_i32_e64 s[18:19], s26, v39
	v_cmp_gt_i32_e64 s[20:21], s26, v40
	s_nop 0
	v_cndmask_b32_e64 v39, v37, v84, s[18:19]
	v_cndmask_b32_e64 v40, v37, v85, s[20:21]
	v_max3_f32 v38, v38, v39, v40
	v_or_b32_e32 v39, 32, v36
	v_or_b32_e32 v40, 33, v36
	v_cmp_gt_i32_e64 s[14:15], s26, v39
	v_cmp_gt_i32_e64 s[16:17], s26, v40
	s_nop 0
	v_cndmask_b32_e64 v39, v37, v80, s[14:15]
	v_cndmask_b32_e64 v40, v37, v81, s[16:17]
	v_max3_f32 v38, v38, v39, v40
	v_or_b32_e32 v39, 34, v36
	v_or_b32_e32 v40, 35, v36
	v_cmp_gt_i32_e64 s[10:11], s26, v39
	v_cmp_gt_i32_e64 s[12:13], s26, v40
	s_nop 0
	v_cndmask_b32_e64 v39, v37, v78, s[10:11]
	v_cndmask_b32_e64 v40, v37, v79, s[12:13]
	v_max3_f32 v38, v38, v39, v40
	v_or_b32_e32 v39, 48, v36
	v_or_b32_e32 v40, 49, v36
	v_cmp_gt_i32_e64 s[6:7], s26, v39
	v_cmp_gt_i32_e64 s[8:9], s26, v40
	s_nop 0
	v_cndmask_b32_e64 v39, v37, v76, s[6:7]
	v_cndmask_b32_e64 v40, v37, v77, s[8:9]
	v_max3_f32 v38, v38, v39, v40
	v_or_b32_e32 v39, 50, v36
	v_or_b32_e32 v36, 51, v36
	v_cmp_gt_i32_e32 vcc, s26, v39
	v_cmp_gt_i32_e64 s[26:27], s26, v36
	s_nop 0
	v_cndmask_b32_e32 v39, v37, v68, vcc
	v_cndmask_b32_e64 v36, v37, v69, s[26:27]
	v_max3_f32 v50, v38, v39, v36
	v_mbcnt_lo_u32_b32 v36, -1, 0
	v_mbcnt_hi_u32_b32 v51, -1, v36
	v_and_b32_e32 v36, 64, v51
	v_add_u32_e32 v52, 64, v36
	v_xor_b32_e32 v36, 32, v51
	v_cmp_lt_i32_e64 s[38:39], v36, v52
	global_load_dwordx4 v[46:49], v[44:45], off
	global_load_dwordx4 v[38:41], v[44:45], off offset:16
	v_cndmask_b32_e64 v36, v51, v36, s[38:39]
	v_lshlrev_b32_e32 v74, 2, v36
	ds_bpermute_b32 v53, v74, v50
	global_load_dwordx4 v[42:45], v[34:35], off
	s_nop 0
	global_load_dwordx4 v[34:37], v[34:35], off offset:16
	s_waitcnt lgkmcnt(0)
	v_max_f32_e32 v53, v53, v53
	v_max_f32_e32 v64, v50, v53
	v_xor_b32_e32 v50, 16, v51
	v_cmp_lt_i32_e64 s[38:39], v50, v52
	s_nop 1
	v_cndmask_b32_e64 v50, v51, v50, s[38:39]
	v_lshlrev_b32_e32 v75, 2, v50
	ds_bpermute_b32 v65, v75, v64
	v_lshl_add_u64 v[50:51], v[62:63], 0, v[54:55]
	global_load_dwordx4 v[54:57], v[50:51], off
	s_nop 0
	global_load_dwordx4 v[50:53], v[50:51], off offset:16
	s_waitcnt lgkmcnt(0)
	v_max_f32_e32 v62, v65, v65
	v_max_f32_e32 v66, v64, v62
	v_sub_f32_e32 v60, v60, v66
	v_mul_f32_e32 v60, 0x3fb8aa3b, v60
	v_exp_f32_e32 v70, v60
	v_sub_f32_e32 v60, v61, v66
	v_mul_f32_e32 v60, 0x3fb8aa3b, v60
	v_exp_f32_e32 v71, v60
	global_load_dwordx4 v[62:65], v[58:59], off
	s_nop 0
	global_load_dwordx4 v[58:61], v[58:59], off offset:16
	v_sub_f32_e32 v82, v82, v66
	v_mul_f32_e32 v82, 0x3fb8aa3b, v82
	v_sub_f32_e32 v83, v83, v66
	v_exp_f32_e32 v82, v82
	v_mul_f32_e32 v83, 0x3fb8aa3b, v83
	v_sub_f32_e32 v72, v72, v66
	v_exp_f32_e32 v83, v83
	v_mul_f32_e32 v72, 0x3fb8aa3b, v72
	v_sub_f32_e32 v73, v73, v66
	v_cndmask_b32_e64 v70, 0, v70, s[28:29]
	v_exp_f32_e32 v72, v72
	v_mul_f32_e32 v73, 0x3fb8aa3b, v73
	v_sub_f32_e32 v84, v84, v66
	v_add_f32_e32 v86, 0, v70
	v_cndmask_b32_e64 v71, 0, v71, s[30:31]
	v_exp_f32_e32 v73, v73
	v_mul_f32_e32 v84, 0x3fb8aa3b, v84
	v_sub_f32_e32 v85, v85, v66
	v_add_f32_e32 v86, v86, v71
	;; [unrolled: 5-line block ×10, first 2 shown]
	v_cndmask_b32_e64 v78, 0, v78, s[10:11]
	v_exp_f32_e32 v68, v68
	v_mul_f32_e32 v69, 0x3fb8aa3b, v69
	v_add_f32_e32 v86, v86, v78
	v_cndmask_b32_e64 v79, 0, v79, s[12:13]
	v_exp_f32_e32 v69, v69
	v_add_f32_e32 v86, v86, v79
	v_cndmask_b32_e64 v76, 0, v76, s[6:7]
	v_add_f32_e32 v86, v86, v76
	v_cndmask_b32_e64 v77, 0, v77, s[8:9]
	v_add_f32_e32 v86, v86, v77
	v_cndmask_b32_e32 v68, 0, v68, vcc
	v_add_f32_e32 v86, v86, v68
	v_cndmask_b32_e64 v69, 0, v69, s[26:27]
	v_add_f32_e32 v86, v86, v69
	ds_bpermute_b32 v74, v74, v86
	v_cmp_lt_u32_e64 s[6:7], 15, v23
	v_cmp_gt_u32_e32 vcc, 16, v23
	s_waitcnt lgkmcnt(0)
	s_barrier
	v_add_f32_e32 v90, v86, v74
	ds_bpermute_b32 v91, v75, v90
	s_waitcnt lgkmcnt(0)
	s_and_saveexec_b64 s[8:9], vcc
	s_cbranch_execz .LBB340_15
; %bb.14:
	v_add_f32_e32 v74, v90, v91
	v_lshlrev_b32_e32 v1, 2, v1
	ds_write2st64_b32 v1, v66, v74 offset1:1
.LBB340_15:
	s_or_b64 exec, exec, s[8:9]
	v_mov_b32_e32 v95, v22
	v_lshlrev_b32_e32 v1, 2, v95
	s_load_dwordx2 s[8:9], s[0:1], 0x94
	s_waitcnt lgkmcnt(0)
	s_barrier
	ds_read2_b32 v[74:75], v1 offset1:16
	ds_read2_b32 v[86:87], v1 offset0:32 offset1:48
	ds_read2_b32 v[90:91], v1 offset0:64 offset1:80
	s_waitcnt lgkmcnt(2)
	v_max3_f32 v66, v74, s33, v75
	s_waitcnt lgkmcnt(1)
	v_max3_f32 v88, v66, v86, v87
	v_sub_f32_e32 v66, v74, v88
	v_sub_f32_e32 v74, v75, v88
	v_mul_f32_e32 v74, 0x3fb8aa3b, v74
	v_mul_f32_e32 v66, 0x3fb8aa3b, v66
	v_exp_f32_e32 v92, v74
	v_sub_f32_e32 v74, v86, v88
	v_exp_f32_e32 v66, v66
	v_mul_f32_e32 v74, 0x3fb8aa3b, v74
	v_exp_f32_e32 v86, v74
	ds_read2_b32 v[74:75], v1 offset0:96 offset1:112
	v_sub_f32_e32 v1, v87, v88
	v_mul_f32_e32 v1, 0x3fb8aa3b, v1
	v_exp_f32_e32 v1, v1
	s_waitcnt lgkmcnt(1)
	v_fma_f32 v89, v66, v90, 0
	v_fmac_f32_e32 v89, v92, v91
	s_waitcnt lgkmcnt(0)
	v_fmac_f32_e32 v89, v86, v74
	v_fmac_f32_e32 v89, v1, v75
	v_add_f32_e32 v74, 0x358637bd, v89
	v_div_scale_f32 v75, s[10:11], v74, v74, 1.0
	v_rcp_f32_e32 v87, v75
	s_barrier
	v_fma_f32 v90, -v75, v87, 1.0
	v_fmac_f32_e32 v87, v90, v87
	v_div_scale_f32 v90, vcc, 1.0, v74, 1.0
	v_mul_f32_e32 v91, v90, v87
	v_fma_f32 v93, -v75, v91, v90
	v_fmac_f32_e32 v91, v93, v87
	v_fma_f32 v75, -v75, v91, v90
	v_div_fmas_f32 v75, v75, v87, v91
	v_cmp_eq_u32_e32 vcc, 1, v67
	v_div_fixup_f32 v74, v75, v74, 1.0
	s_nop 0
	v_cndmask_b32_e32 v66, v66, v92, vcc
	v_cmp_eq_u32_e32 vcc, 2, v67
	s_nop 1
	v_cndmask_b32_e32 v66, v66, v86, vcc
	v_cmp_eq_u32_e32 vcc, 3, v67
	s_nop 1
	v_cndmask_b32_e32 v1, v66, v1, vcc
	v_mul_f32_e32 v74, v1, v74
	v_pk_mul_f32 v[82:83], v[74:75], v[82:83] op_sel_hi:[0,1]
	v_pk_mul_f32 v[70:71], v[74:75], v[70:71] op_sel_hi:[0,1]
	v_cvt_f16_f32_e32 v75, v83
	v_cvt_f16_f32_e32 v66, v71
	;; [unrolled: 1-line block ×4, first 2 shown]
	v_pk_mul_f32 v[82:83], v[74:75], v[84:85] op_sel_hi:[0,1]
	v_pk_mul_f32 v[72:73], v[74:75], v[72:73] op_sel_hi:[0,1]
	v_pack_b32_f16 v71, v71, v75
	v_cvt_f16_f32_e32 v72, v72
	v_cvt_f16_f32_e32 v73, v73
	v_cvt_f16_f32_e32 v75, v82
	v_cvt_f16_f32_e32 v83, v83
	v_pack_b32_f16 v70, v1, v66
	v_lshlrev_b32_e32 v1, 3, v94
	v_lshlrev_b32_e32 v66, 5, v95
	;; [unrolled: 1-line block ×3, first 2 shown]
	v_or3_b32 v82, v82, v66, v1
	v_pack_b32_f16 v72, v72, v73
	v_pack_b32_f16 v73, v75, v83
	ds_write2st64_b64 v82, v[70:71], v[72:73] offset1:1
	v_pk_mul_f32 v[70:71], v[74:75], v[78:79] op_sel_hi:[0,1]
	v_pk_mul_f32 v[72:73], v[74:75], v[80:81] op_sel_hi:[0,1]
	v_cvt_f16_f32_e32 v75, v71
	v_cvt_f16_f32_e32 v1, v72
	;; [unrolled: 1-line block ×4, first 2 shown]
	v_pk_mul_f32 v[68:69], v[74:75], v[68:69] op_sel_hi:[0,1]
	v_pk_mul_f32 v[70:71], v[74:75], v[76:77] op_sel_hi:[0,1]
	v_cvt_f16_f32_e32 v70, v70
	v_cvt_f16_f32_e32 v71, v71
	;; [unrolled: 1-line block ×4, first 2 shown]
	v_pack_b32_f16 v68, v1, v72
	v_pack_b32_f16 v69, v73, v75
	;; [unrolled: 1-line block ×4, first 2 shown]
	v_cmp_eq_u32_e32 vcc, 0, v0
	ds_write2st64_b64 v82, v[68:69], v[70:71] offset0:2 offset1:3
	s_and_saveexec_b64 s[10:11], vcc
	s_cbranch_execz .LBB340_17
; %bb.16:
	s_mul_i32 s3, s3, s9
	s_mul_hi_u32 s16, s2, s9
	s_add_i32 s16, s16, s3
	s_mul_i32 s3, s2, s9
	s_add_u32 s3, s3, s4
	s_addc_u32 s16, s16, 0
	s_load_dwordx4 s[12:15], s[0:1], 0x58
	s_mul_i32 s16, s16, s8
	s_mul_hi_u32 s17, s3, s8
	s_add_i32 s17, s17, s16
	s_mul_i32 s3, s3, s8
	s_add_u32 s16, s3, s5
	s_addc_u32 s17, s17, 0
	s_lshl_b64 s[16:17], s[16:17], 2
	s_waitcnt lgkmcnt(0)
	s_add_u32 s14, s14, s16
	s_addc_u32 s15, s15, s17
	s_add_u32 s12, s12, s16
	s_addc_u32 s13, s13, s17
	global_store_dword v25, v88, s[14:15]
	global_store_dword v25, v89, s[12:13]
.LBB340_17:
	s_or_b64 exec, exec, s[10:11]
	v_lshl_or_b32 v1, v94, 9, v66
	s_waitcnt lgkmcnt(0)
	s_barrier
	ds_read_b128 v[70:73], v1
	ds_read_b128 v[66:69], v1 offset:16
	s_waitcnt lgkmcnt(1)
	v_mfma_f32_16x16x16_f16 v[74:77], v[30:31], v[70:71], 0
	s_mov_b32 s3, 0
	v_cmp_gt_u32_e32 vcc, 64, v0
	s_xor_b64 s[6:7], s[6:7], -1
	v_mfma_f32_16x16x16_f16 v[30:33], v[32:33], v[72:73], v[74:77]
	s_and_b64 s[6:7], vcc, s[6:7]
	s_waitcnt lgkmcnt(0)
	v_mfma_f32_16x16x16_f16 v[30:33], v[26:27], v[66:67], v[30:33]
	v_mfma_f32_16x16x16_f16 v[26:29], v[28:29], v[68:69], v[30:33]
	s_nop 5
	ds_read_b128 v[30:33], v1 offset:2048
	ds_read_b128 v[74:77], v1 offset:2064
	s_waitcnt lgkmcnt(1)
	v_mfma_f32_16x16x16_f16 v[26:29], v[10:11], v[30:31], v[26:29]
	v_mfma_f32_16x16x16_f16 v[22:25], v[12:13], v[32:33], v[26:29]
	s_waitcnt lgkmcnt(0)
	v_mfma_f32_16x16x16_f16 v[22:25], v[18:19], v[74:75], v[22:25]
	v_mfma_f32_16x16x16_f16 v[18:21], v[20:21], v[76:77], v[22:25]
	s_nop 5
	ds_read_b128 v[22:25], v1 offset:4096
	ds_read_b128 v[26:29], v1 offset:4112
	scratch_load_dwordx4 v[10:13], off, off offset:8 ; 16-byte Folded Reload
	s_waitcnt lgkmcnt(1)
	v_mfma_f32_16x16x16_f16 v[18:21], v[14:15], v[22:23], v[18:21]
	v_mfma_f32_16x16x16_f16 v[14:17], v[16:17], v[24:25], v[18:21]
	s_waitcnt vmcnt(0) lgkmcnt(0)
	v_mfma_f32_16x16x16_f16 v[14:17], v[10:11], v[26:27], v[14:17]
	v_mfma_f32_16x16x16_f16 v[10:13], v[12:13], v[28:29], v[14:17]
	s_nop 5
	ds_read_b128 v[14:17], v1 offset:6144
	ds_read_b128 v[18:21], v1 offset:6160
	s_waitcnt lgkmcnt(0)
	s_barrier
	v_mfma_f32_16x16x16_f16 v[10:13], v[6:7], v[14:15], v[10:13]
	v_mfma_f32_16x16x16_f16 v[6:9], v[8:9], v[16:17], v[10:13]
	;; [unrolled: 1-line block ×6, first 2 shown]
	s_nop 4
	v_cvt_f16_f32_e32 v1, v2
	v_cvt_f16_f32_e32 v10, v3
	;; [unrolled: 1-line block ×3, first 2 shown]
	v_mfma_f32_16x16x16_f16 v[6:9], v[38:39], v[66:67], v[6:9]
	v_cvt_f16_f32_e32 v12, v5
	v_mfma_f32_16x16x16_f16 v[6:9], v[40:41], v[68:69], v[6:9]
	v_mfma_f32_16x16x16_f16 v[6:9], v[42:43], v[30:31], v[6:9]
	;; [unrolled: 1-line block ×13, first 2 shown]
	s_nop 6
	v_cvt_f16_f32_e32 v6, v2
	v_cvt_f16_f32_e32 v7, v3
	;; [unrolled: 1-line block ×4, first 2 shown]
	v_pack_b32_f16 v2, v1, v10
	v_pack_b32_f16 v3, v11, v12
	;; [unrolled: 1-line block ×4, first 2 shown]
	ds_write2st64_b64 v82, v[2:3], v[4:5] offset1:1
	s_waitcnt lgkmcnt(0)
	s_barrier
	s_mov_b64 s[10:11], exec
	scratch_load_dwordx2 v[4:5], off, off   ; 8-byte Folded Reload
	s_and_b64 s[6:7], s[10:11], s[6:7]
	s_mov_b64 exec, s[6:7]
	s_cbranch_execz .LBB340_19
; %bb.18:
	s_load_dwordx2 s[0:1], s[0:1], 0x68
	s_mul_i32 s2, s9, s2
	s_lshl_b32 s8, s8, 7
	s_mul_hi_u32 s7, s2, s8
	s_mul_i32 s6, s2, s8
	s_lshl_b64 s[6:7], s[6:7], 1
	v_lshlrev_b32_e32 v3, 6, v95
	s_waitcnt lgkmcnt(0)
	s_add_u32 s6, s0, s6
	v_lshlrev_b32_e32 v2, 4, v0
	v_lshl_or_b32 v0, v0, 10, v3
	s_addc_u32 s7, s1, s7
	s_lshl_b32 s2, s5, 7
	v_lshlrev_b32_e32 v1, 5, v94
	v_and_b32_e32 v2, 16, v2
	v_and_b32_e32 v0, 0x1a00, v0
	s_lshl_b64 s[0:1], s[2:3], 1
	v_or3_b32 v0, v0, v1, v2
	s_add_u32 s2, s6, s0
	ds_read_b128 v[0:3], v0
	s_addc_u32 s3, s7, s1
	s_mul_hi_u32 s1, s8, s4
	s_mul_i32 s0, s8, s4
	s_lshl_b64 s[0:1], s[0:1], 1
	s_add_u32 s0, s2, s0
	s_addc_u32 s1, s3, s1
	s_waitcnt vmcnt(0)
	v_lshl_add_u64 v[4:5], v[4:5], 1, s[0:1]
	s_waitcnt lgkmcnt(0)
	global_store_dwordx4 v[4:5], v[0:3], off
.LBB340_19:
	s_endpgm
	.section	.rodata,"a",@progbits
	.p2align	6, 0x0
	.amdhsa_kernel _Z39paged_attention_ll4mi_QKV_mfma16_kernelIDF16_DF16_LN4vllm18Fp8KVCacheDataTypeE0EhLi32ELi128ELi256ELb0ELi1EEvPKT_PKT0_S7_ifPKiS9_S9_iPKfiiiPfSC_PS2_PT2_iSB_SB_
		.amdhsa_group_segment_fixed_size 8192
		.amdhsa_private_segment_fixed_size 28
		.amdhsa_kernarg_size 400
		.amdhsa_user_sgpr_count 2
		.amdhsa_user_sgpr_dispatch_ptr 0
		.amdhsa_user_sgpr_queue_ptr 0
		.amdhsa_user_sgpr_kernarg_segment_ptr 1
		.amdhsa_user_sgpr_dispatch_id 0
		.amdhsa_user_sgpr_kernarg_preload_length 0
		.amdhsa_user_sgpr_kernarg_preload_offset 0
		.amdhsa_user_sgpr_private_segment_size 0
		.amdhsa_uses_dynamic_stack 0
		.amdhsa_enable_private_segment 1
		.amdhsa_system_sgpr_workgroup_id_x 1
		.amdhsa_system_sgpr_workgroup_id_y 1
		.amdhsa_system_sgpr_workgroup_id_z 1
		.amdhsa_system_sgpr_workgroup_info 0
		.amdhsa_system_vgpr_workitem_id 0
		.amdhsa_next_free_vgpr 96
		.amdhsa_next_free_sgpr 40
		.amdhsa_accum_offset 96
		.amdhsa_reserve_vcc 1
		.amdhsa_float_round_mode_32 0
		.amdhsa_float_round_mode_16_64 0
		.amdhsa_float_denorm_mode_32 3
		.amdhsa_float_denorm_mode_16_64 3
		.amdhsa_dx10_clamp 1
		.amdhsa_ieee_mode 1
		.amdhsa_fp16_overflow 0
		.amdhsa_tg_split 0
		.amdhsa_exception_fp_ieee_invalid_op 0
		.amdhsa_exception_fp_denorm_src 0
		.amdhsa_exception_fp_ieee_div_zero 0
		.amdhsa_exception_fp_ieee_overflow 0
		.amdhsa_exception_fp_ieee_underflow 0
		.amdhsa_exception_fp_ieee_inexact 0
		.amdhsa_exception_int_div_zero 0
	.end_amdhsa_kernel
	.section	.text._Z39paged_attention_ll4mi_QKV_mfma16_kernelIDF16_DF16_LN4vllm18Fp8KVCacheDataTypeE0EhLi32ELi128ELi256ELb0ELi1EEvPKT_PKT0_S7_ifPKiS9_S9_iPKfiiiPfSC_PS2_PT2_iSB_SB_,"axG",@progbits,_Z39paged_attention_ll4mi_QKV_mfma16_kernelIDF16_DF16_LN4vllm18Fp8KVCacheDataTypeE0EhLi32ELi128ELi256ELb0ELi1EEvPKT_PKT0_S7_ifPKiS9_S9_iPKfiiiPfSC_PS2_PT2_iSB_SB_,comdat
.Lfunc_end340:
	.size	_Z39paged_attention_ll4mi_QKV_mfma16_kernelIDF16_DF16_LN4vllm18Fp8KVCacheDataTypeE0EhLi32ELi128ELi256ELb0ELi1EEvPKT_PKT0_S7_ifPKiS9_S9_iPKfiiiPfSC_PS2_PT2_iSB_SB_, .Lfunc_end340-_Z39paged_attention_ll4mi_QKV_mfma16_kernelIDF16_DF16_LN4vllm18Fp8KVCacheDataTypeE0EhLi32ELi128ELi256ELb0ELi1EEvPKT_PKT0_S7_ifPKiS9_S9_iPKfiiiPfSC_PS2_PT2_iSB_SB_
                                        ; -- End function
	.section	.AMDGPU.csdata,"",@progbits
; Kernel info:
; codeLenInByte = 4464
; NumSgprs: 46
; NumVgprs: 96
; NumAgprs: 0
; TotalNumVgprs: 96
; ScratchSize: 28
; MemoryBound: 0
; FloatMode: 240
; IeeeMode: 1
; LDSByteSize: 8192 bytes/workgroup (compile time only)
; SGPRBlocks: 5
; VGPRBlocks: 11
; NumSGPRsForWavesPerEU: 46
; NumVGPRsForWavesPerEU: 96
; AccumOffset: 96
; Occupancy: 5
; WaveLimiterHint : 1
; COMPUTE_PGM_RSRC2:SCRATCH_EN: 1
; COMPUTE_PGM_RSRC2:USER_SGPR: 2
; COMPUTE_PGM_RSRC2:TRAP_HANDLER: 0
; COMPUTE_PGM_RSRC2:TGID_X_EN: 1
; COMPUTE_PGM_RSRC2:TGID_Y_EN: 1
; COMPUTE_PGM_RSRC2:TGID_Z_EN: 1
; COMPUTE_PGM_RSRC2:TIDIG_COMP_CNT: 0
; COMPUTE_PGM_RSRC3_GFX90A:ACCUM_OFFSET: 23
; COMPUTE_PGM_RSRC3_GFX90A:TG_SPLIT: 0
	.section	.text._Z39paged_attention_ll4mi_QKV_mfma16_kernelIDF16_DF16_LN4vllm18Fp8KVCacheDataTypeE0EhLi32ELi128ELi256ELb0ELi2EEvPKT_PKT0_S7_ifPKiS9_S9_iPKfiiiPfSC_PS2_PT2_iSB_SB_,"axG",@progbits,_Z39paged_attention_ll4mi_QKV_mfma16_kernelIDF16_DF16_LN4vllm18Fp8KVCacheDataTypeE0EhLi32ELi128ELi256ELb0ELi2EEvPKT_PKT0_S7_ifPKiS9_S9_iPKfiiiPfSC_PS2_PT2_iSB_SB_,comdat
	.protected	_Z39paged_attention_ll4mi_QKV_mfma16_kernelIDF16_DF16_LN4vllm18Fp8KVCacheDataTypeE0EhLi32ELi128ELi256ELb0ELi2EEvPKT_PKT0_S7_ifPKiS9_S9_iPKfiiiPfSC_PS2_PT2_iSB_SB_ ; -- Begin function _Z39paged_attention_ll4mi_QKV_mfma16_kernelIDF16_DF16_LN4vllm18Fp8KVCacheDataTypeE0EhLi32ELi128ELi256ELb0ELi2EEvPKT_PKT0_S7_ifPKiS9_S9_iPKfiiiPfSC_PS2_PT2_iSB_SB_
	.globl	_Z39paged_attention_ll4mi_QKV_mfma16_kernelIDF16_DF16_LN4vllm18Fp8KVCacheDataTypeE0EhLi32ELi128ELi256ELb0ELi2EEvPKT_PKT0_S7_ifPKiS9_S9_iPKfiiiPfSC_PS2_PT2_iSB_SB_
	.p2align	8
	.type	_Z39paged_attention_ll4mi_QKV_mfma16_kernelIDF16_DF16_LN4vllm18Fp8KVCacheDataTypeE0EhLi32ELi128ELi256ELb0ELi2EEvPKT_PKT0_S7_ifPKiS9_S9_iPKfiiiPfSC_PS2_PT2_iSB_SB_,@function
_Z39paged_attention_ll4mi_QKV_mfma16_kernelIDF16_DF16_LN4vllm18Fp8KVCacheDataTypeE0EhLi32ELi128ELi256ELb0ELi2EEvPKT_PKT0_S7_ifPKiS9_S9_iPKfiiiPfSC_PS2_PT2_iSB_SB_: ; @_Z39paged_attention_ll4mi_QKV_mfma16_kernelIDF16_DF16_LN4vllm18Fp8KVCacheDataTypeE0EhLi32ELi128ELi256ELb0ELi2EEvPKT_PKT0_S7_ifPKiS9_S9_iPKfiiiPfSC_PS2_PT2_iSB_SB_
; %bb.0:
	s_load_dwordx2 s[8:9], s[0:1], 0x30
	s_mov_b32 s26, s3
	s_mov_b64 s[6:7], 0
	s_waitcnt lgkmcnt(0)
	s_cmp_lg_u64 s[8:9], 0
	s_cselect_b64 s[10:11], -1, 0
	s_and_b64 vcc, exec, s[10:11]
	s_cbranch_vccz .LBB341_7
; %bb.1:
	s_add_i32 s12, s2, 1
	s_mov_b32 s13, 0
	s_lshl_b64 s[14:15], s[12:13], 2
	s_add_u32 s14, s8, s14
	s_mov_b32 s3, s13
	s_addc_u32 s15, s9, s15
	s_lshl_b64 s[12:13], s[2:3], 2
	s_add_u32 s12, s8, s12
	s_addc_u32 s13, s9, s13
	s_load_dword s5, s[14:15], 0x0
	s_load_dword s16, s[12:13], 0x0
	s_waitcnt lgkmcnt(0)
	s_sub_i32 s5, s5, s16
	s_cmp_eq_u32 s5, 1
	s_cselect_b64 s[12:13], -1, 0
	s_andn2_b64 vcc, exec, s[6:7]
	s_cbranch_vccnz .LBB341_3
.LBB341_2:
	s_mov_b32 s3, 0
	s_mov_b64 s[12:13], -1
.LBB341_3:
	s_andn2_b64 vcc, exec, s[12:13]
	s_cbranch_vccnz .LBB341_19
; %bb.4:
	s_load_dwordx2 s[6:7], s[0:1], 0x28
	s_lshl_b64 s[12:13], s[2:3], 2
	s_waitcnt lgkmcnt(0)
	s_add_u32 s6, s6, s12
	s_addc_u32 s7, s7, s13
	s_load_dword s38, s[6:7], 0x0
	s_lshl_b32 s18, s26, 8
	s_waitcnt lgkmcnt(0)
	s_cmp_ge_i32 s18, s38
	s_cbranch_scc1 .LBB341_19
; %bb.5:
	s_load_dwordx2 s[6:7], s[0:1], 0x20
	s_load_dword s5, s[0:1], 0x38
	s_add_i32 s14, s38, 31
	s_ashr_i32 s15, s14, 31
	v_and_b32_e32 v1, 0xcf, v0
	s_lshr_b32 s15, s15, 27
	v_add_u32_e32 v1, s18, v1
	s_add_i32 s14, s14, s15
	v_ashrrev_i32_e32 v2, 31, v1
	s_ashr_i32 s19, s14, 5
	v_lshrrev_b32_e32 v6, 27, v2
	s_add_i32 s19, s19, -1
	s_waitcnt lgkmcnt(0)
	s_mul_i32 s14, s2, s5
	s_mov_b32 s15, 0
	v_add_u32_e32 v2, v1, v6
	s_lshl_b64 s[14:15], s[14:15], 2
	v_ashrrev_i32_e32 v2, 5, v2
	v_mov_b32_e32 v7, s19
	v_cmp_gt_i32_e32 vcc, s38, v1
	s_add_u32 s6, s6, s14
	s_addc_u32 s7, s7, s15
	v_cndmask_b32_e32 v2, v7, v2, vcc
	v_ashrrev_i32_e32 v3, 31, v2
	v_lshl_add_u64 v[4:5], v[2:3], 2, s[6:7]
	v_or_b32_e32 v2, 16, v1
	v_add_u32_e32 v3, v2, v6
	v_ashrrev_i32_e32 v3, 5, v3
	v_cmp_gt_i32_e32 vcc, s38, v2
	s_nop 1
	v_cndmask_b32_e32 v2, v7, v3, vcc
	v_ashrrev_i32_e32 v3, 31, v2
	v_lshl_add_u64 v[8:9], v[2:3], 2, s[6:7]
	v_or_b32_e32 v2, 32, v1
	v_add_u32_e32 v3, v2, v6
	v_ashrrev_i32_e32 v3, 5, v3
	v_cmp_gt_i32_e32 vcc, s38, v2
	v_or_b32_e32 v1, 48, v1
	s_nop 0
	v_cndmask_b32_e32 v2, v7, v3, vcc
	v_ashrrev_i32_e32 v3, 31, v2
	v_lshl_add_u64 v[10:11], v[2:3], 2, s[6:7]
	v_add_u32_e32 v2, v1, v6
	v_ashrrev_i32_e32 v2, 5, v2
	v_cmp_gt_i32_e32 vcc, s38, v1
	s_nop 1
	v_cndmask_b32_e32 v2, v7, v2, vcc
	v_ashrrev_i32_e32 v3, 31, v2
	v_lshl_add_u64 v[12:13], v[2:3], 2, s[6:7]
	global_load_dword v2, v[4:5], off
	global_load_dword v7, v[8:9], off
	;; [unrolled: 1-line block ×4, first 2 shown]
	s_andn2_b64 vcc, exec, s[10:11]
	s_cbranch_vccnz .LBB341_8
; %bb.6:
	s_add_u32 s8, s8, s12
	s_addc_u32 s9, s9, s13
	s_load_dword s5, s[8:9], 0x0
	s_branch .LBB341_9
.LBB341_7:
	s_mov_b64 s[12:13], 0
	s_branch .LBB341_2
.LBB341_8:
	s_mov_b32 s5, s2
.LBB341_9:
	s_load_dwordx4 s[12:15], s[0:1], 0x8
	s_load_dwordx4 s[8:11], s[0:1], 0x48
	v_lshrrev_b32_e32 v85, 6, v0
	v_bfe_u32 v86, v0, 4, 2
	v_lshl_or_b32 v3, v85, 2, v86
	v_and_b32_e32 v84, 15, v0
	v_lshlrev_b32_e32 v12, 3, v84
	v_cmp_lt_u32_e32 vcc, 1, v3
	s_and_saveexec_b64 s[16:17], vcc
	s_xor_b64 s[16:17], exec, s[16:17]
; %bb.10:
	v_mov_b32_e32 v13, 0
                                        ; implicit-def: $vgpr3
; %bb.11:
	s_or_saveexec_b64 s[16:17], s[16:17]
	s_lshl_b32 s27, s4, 1
	s_xor_b64 exec, exec, s[16:17]
	s_cbranch_execz .LBB341_13
; %bb.12:
	s_load_dwordx2 s[20:21], s[0:1], 0x0
	s_waitcnt lgkmcnt(0)
	s_ashr_i32 s11, s8, 31
	s_mul_hi_u32 s22, s5, s8
	s_mul_i32 s11, s5, s11
	s_add_i32 s23, s22, s11
	s_mul_i32 s22, s5, s8
	s_lshl_b64 s[22:23], s[22:23], 1
	s_add_u32 s20, s20, s22
	v_add_lshl_u32 v4, v86, s27, 7
	s_addc_u32 s21, s21, s23
	v_ashrrev_i32_e32 v5, 31, v4
	v_mov_b32_e32 v13, 0
	v_lshl_add_u64 v[4:5], v[4:5], 1, s[20:21]
	v_lshlrev_b32_e32 v8, 1, v12
	v_mov_b32_e32 v9, v13
	v_lshl_add_u64 v[4:5], v[4:5], 0, v[8:9]
	global_load_dwordx4 v[8:11], v[4:5], off
	v_and_b32_e32 v4, 3, v0
	v_lshlrev_b32_e32 v5, 9, v84
	v_lshlrev_b32_e32 v3, 5, v3
	;; [unrolled: 1-line block ×3, first 2 shown]
	v_and_b32_e32 v5, 0x1800, v5
	v_or3_b32 v3, v5, v4, v3
	s_waitcnt vmcnt(0)
	ds_write_b128 v3, v[8:11]
.LBB341_13:
	s_or_b64 exec, exec, s[16:17]
	s_waitcnt lgkmcnt(0)
	s_mul_i32 s4, s4, s10
	s_mov_b32 s5, 0
	s_lshl_b64 s[4:5], s[4:5], 1
	s_add_u32 s10, s12, s4
	s_addc_u32 s11, s13, s5
	s_waitcnt vmcnt(3)
	v_mad_i64_i32 v[2:3], s[12:13], v2, s9, 0
	v_mov_b32_e32 v55, 0
	s_waitcnt vmcnt(2)
	v_mad_i64_i32 v[8:9], s[12:13], v7, s9, 0
	v_mov_b32_e32 v7, 0x100
	v_lshl_add_u64 v[2:3], v[2:3], 1, s[10:11]
	v_lshlrev_b64 v[4:5], 1, v[12:13]
	v_lshl_add_u64 v[8:9], v[8:9], 1, s[10:11]
	v_lshl_or_b32 v56, v84, 4, v7
	v_mov_b32_e32 v57, v55
	v_lshlrev_b32_e32 v54, 9, v86
	v_lshl_add_u64 v[2:3], v[2:3], 0, v[4:5]
	v_lshl_add_u64 v[20:21], v[8:9], 0, v[56:57]
	;; [unrolled: 1-line block ×4, first 2 shown]
	s_load_dword s33, s[0:1], 0x98
	s_load_dword s8, s[0:1], 0x1c
	s_waitcnt lgkmcnt(0)
	s_barrier
	scratch_store_dwordx2 off, v[12:13], off ; 8-byte Folded Spill
	global_load_dwordx4 v[14:17], v[18:19], off
	s_waitcnt vmcnt(3)
	v_mad_i64_i32 v[6:7], s[12:13], v6, s9, 0
	global_load_dwordx4 v[10:13], v[22:23], off
	v_lshl_add_u64 v[6:7], v[6:7], 1, s[10:11]
	v_lshl_add_u64 v[60:61], v[6:7], 0, v[4:5]
	;; [unrolled: 1-line block ×3, first 2 shown]
	global_load_dwordx4 v[6:9], v[46:47], off
	global_load_dwordx4 v[42:45], v[18:19], off offset:2048
	global_load_dwordx4 v[38:41], v[22:23], off offset:2048
	v_or_b32_e32 v62, 0x1000, v54
	v_mov_b32_e32 v63, v55
	v_lshl_add_u64 v[4:5], v[2:3], 0, v[62:63]
	global_load_dwordx4 v[30:33], v[4:5], off
	v_or_b32_e32 v58, 0x1800, v54
	v_mov_b32_e32 v59, v55
	v_lshl_add_u64 v[2:3], v[2:3], 0, v[58:59]
	global_load_dwordx4 v[22:25], v[2:3], off
	v_lshl_add_u64 v[4:5], v[20:21], 0, v[62:63]
	global_load_dwordx4 v[26:29], v[4:5], off
	v_lshl_add_u64 v[2:3], v[20:21], 0, v[58:59]
	global_load_dwordx4 v[18:21], v[2:3], off
	v_and_b32_e32 v2, 1, v0
	v_lshl_or_b32 v48, v2, 5, v54
	ds_read_b128 v[2:5], v48
	s_waitcnt vmcnt(10)
	v_mad_i64_i32 v[64:65], s[12:13], v34, s9, 0
	ds_read_b128 v[34:37], v48 offset:2048
	global_load_dwordx4 v[76:79], v[46:47], off offset:2048
	ds_read_b128 v[50:53], v48 offset:4096
	ds_read_b128 v[46:49], v48 offset:6144
	s_ashr_i32 s12, s18, 31
	v_and_or_b32 v74, v0, 48, s18
	v_mov_b32_e32 v75, s19
	v_cmp_gt_i32_e32 vcc, s38, v74
	v_or_b32_e32 v87, 64, v74
	v_or_b32_e32 v88, 0x80, v74
	;; [unrolled: 1-line block ×3, first 2 shown]
	s_mov_b32 s40, 0xff7fffff
	s_waitcnt vmcnt(7) lgkmcnt(3)
	v_mfma_f32_16x16x16_f16 v[80:83], v[6:7], v[2:3], 0
	v_lshl_add_u64 v[6:7], v[64:65], 1, s[10:11]
	s_lshr_b32 s10, s12, 27
	v_lshl_add_u64 v[6:7], v[6:7], 0, v[56:57]
	v_mfma_f32_16x16x16_f16 v[70:73], v[10:11], v[2:3], 0
	v_lshl_add_u64 v[64:65], v[6:7], 0, v[54:55]
	v_lshl_add_u64 v[56:57], v[60:61], 0, v[58:59]
	s_add_u32 s4, s14, s4
	v_mfma_f32_16x16x16_f16 v[66:69], v[14:15], v[2:3], 0
	s_addc_u32 s5, s15, s5
	v_mfma_f32_16x16x16_f16 v[10:13], v[12:13], v[4:5], v[70:73]
	v_mfma_f32_16x16x16_f16 v[14:17], v[16:17], v[4:5], v[66:69]
	s_nop 1
	v_lshl_add_u64 v[72:73], v[6:7], 0, v[62:63]
	global_load_dwordx4 v[92:95], v[72:73], off
	s_waitcnt vmcnt(6) lgkmcnt(2)
	v_mfma_f32_16x16x16_f16 v[10:13], v[38:39], v[34:35], v[10:13]
	v_add_u32_e32 v66, s10, v74
	v_ashrrev_i32_e32 v54, 5, v66
	v_add_u32_e32 v67, s10, v87
	v_mfma_f32_16x16x16_f16 v[14:17], v[42:43], v[34:35], v[14:17]
	v_lshl_add_u64 v[42:43], v[60:61], 0, v[62:63]
	v_ashrrev_i32_e32 v60, 5, v67
	v_add_u32_e32 v68, s10, v88
	v_mfma_f32_16x16x16_f16 v[10:13], v[40:41], v[36:37], v[10:13]
	global_load_dwordx4 v[38:41], v[42:43], off
	v_cndmask_b32_e32 v42, v75, v54, vcc
	v_ashrrev_i32_e32 v43, 31, v42
	v_mfma_f32_16x16x16_f16 v[14:17], v[44:45], v[36:37], v[14:17]
	v_cmp_gt_i32_e32 vcc, s38, v87
	v_ashrrev_i32_e32 v66, 5, v68
	v_add_u32_e32 v69, s10, v89
	s_waitcnt vmcnt(6) lgkmcnt(1)
	v_mfma_f32_16x16x16_f16 v[14:17], v[30:31], v[50:51], v[14:17]
	v_lshl_add_u64 v[30:31], v[42:43], 2, s[6:7]
	global_load_dwordx4 v[42:45], v[56:57], off
	v_ashrrev_i32_e32 v68, 5, v69
	global_load_dword v30, v[30:31], off
	s_waitcnt vmcnt(6)
	v_mfma_f32_16x16x16_f16 v[10:13], v[26:27], v[50:51], v[10:13]
	v_cndmask_b32_e32 v26, v75, v60, vcc
	v_ashrrev_i32_e32 v27, 31, v26
	v_lshl_add_u64 v[26:27], v[26:27], 2, s[6:7]
	global_load_dwordx4 v[60:63], v[64:65], off
	global_load_dword v56, v[26:27], off
	v_mfma_f32_16x16x16_f16 v[14:17], v[32:33], v[52:53], v[14:17]
	v_cmp_gt_i32_e32 vcc, s38, v88
	v_lshl_or_b32 v87, v85, 4, v84
	v_mov_b32_e32 v84, v85
	v_cndmask_b32_e32 v26, v75, v66, vcc
	v_ashrrev_i32_e32 v27, 31, v26
	s_waitcnt lgkmcnt(0)
	v_mfma_f32_16x16x16_f16 v[14:17], v[22:23], v[46:47], v[14:17]
	v_lshl_add_u64 v[22:23], v[26:27], 2, s[6:7]
	global_load_dword v57, v[22:23], off
	v_cmp_gt_i32_e32 vcc, s38, v89
	global_load_dwordx4 v[64:67], v[64:65], off offset:2048
	v_mfma_f32_16x16x16_f16 v[10:13], v[28:29], v[52:53], v[10:13]
	v_and_b32_e32 v85, 63, v0
	s_waitcnt vmcnt(9)
	v_mfma_f32_16x16x16_f16 v[10:13], v[18:19], v[46:47], v[10:13]
	v_cndmask_b32_e32 v18, v75, v68, vcc
	v_ashrrev_i32_e32 v19, 31, v18
	v_mfma_f32_16x16x16_f16 v[88:91], v[20:21], v[48:49], v[10:13]
	s_nop 3
	v_lshl_add_u64 v[10:11], v[6:7], 0, v[58:59]
	global_load_dwordx4 v[72:75], v[10:11], off
	v_mfma_f32_16x16x16_f16 v[68:71], v[24:25], v[48:49], v[14:17]
	v_and_b32_e32 v10, 16, v0
	v_lshlrev_b32_e32 v54, 1, v10
	s_nop 0
	v_lshl_add_u64 v[14:15], v[18:19], 2, s[6:7]
	global_load_dword v1, v[14:15], off
	v_mfma_f32_16x16x16_f16 v[6:9], v[8:9], v[4:5], v[80:83]
	s_waitcnt vmcnt(10)
	v_mfma_f32_16x16x16_f16 v[6:9], v[76:77], v[34:35], v[6:9]
	v_lshl_add_u64 v[76:77], s[4:5], 0, v[54:55]
	v_lshlrev_b32_e32 v54, 6, v87
	v_pk_mul_f32 v[82:83], s[8:9], v[90:91] op_sel_hi:[0,1]
	v_mfma_f32_16x16x16_f16 v[6:9], v[78:79], v[36:37], v[6:9]
	v_lshl_add_u64 v[78:79], v[76:77], 0, v[54:55]
	v_or_b32_e32 v54, 0x1000, v54
	s_waitcnt vmcnt(6)
	v_mad_i64_i32 v[10:11], s[4:5], v30, s9, 0
	v_mfma_f32_16x16x16_f16 v[6:9], v[38:39], v[50:51], v[6:9]
	v_lshlrev_b64 v[80:81], 1, v[10:11]
	v_lshl_add_u64 v[10:11], v[78:79], 0, v[80:81]
	global_load_dwordx4 v[30:33], v[10:11], off
	global_load_dwordx4 v[26:29], v[10:11], off offset:16
	v_mfma_f32_16x16x16_f16 v[6:9], v[40:41], v[52:53], v[6:9]
	s_waitcnt vmcnt(6)
	v_mad_i64_i32 v[10:11], s[4:5], v56, s9, 0
	v_mfma_f32_16x16x16_f16 v[6:9], v[42:43], v[46:47], v[6:9]
	v_lshlrev_b64 v[42:43], 1, v[10:11]
	v_mfma_f32_16x16x16_f16 v[38:41], v[44:45], v[48:49], v[6:9]
	s_nop 4
	v_lshl_add_u64 v[6:7], v[78:79], 0, v[42:43]
	global_load_dwordx4 v[22:25], v[6:7], off
	global_load_dwordx4 v[18:21], v[6:7], off offset:16
	v_mfma_f32_16x16x16_f16 v[6:9], v[60:61], v[2:3], 0
	s_waitcnt vmcnt(7)
	v_mad_i64_i32 v[2:3], s[4:5], v57, s9, 0
	v_lshlrev_b64 v[56:57], 1, v[2:3]
	v_mfma_f32_16x16x16_f16 v[2:5], v[62:63], v[4:5], v[6:9]
	v_pk_mul_f32 v[60:61], s[8:9], v[68:69] op_sel_hi:[0,1]
	v_lshl_add_u64 v[62:63], v[76:77], 0, v[54:55]
	v_lshl_add_u64 v[44:45], v[62:63], 0, v[80:81]
	s_waitcnt vmcnt(6)
	v_mfma_f32_16x16x16_f16 v[2:5], v[64:65], v[34:35], v[2:5]
	v_lshl_add_u64 v[6:7], v[78:79], 0, v[56:57]
	global_load_dwordx4 v[14:17], v[6:7], off
	global_load_dwordx4 v[10:13], v[6:7], off offset:16
	v_pk_mul_f32 v[80:81], s[8:9], v[70:71] op_sel_hi:[0,1]
	v_mfma_f32_16x16x16_f16 v[34:37], v[66:67], v[36:37], v[2:5]
	v_pk_mul_f32 v[70:71], s[8:9], v[88:89] op_sel_hi:[0,1]
	v_pk_mul_f32 v[76:77], s[8:9], v[40:41] op_sel_hi:[0,1]
	s_waitcnt vmcnt(6)
	v_mad_i64_i32 v[6:7], s[4:5], v1, s9, 0
	v_mfma_f32_16x16x16_f16 v[34:37], v[92:93], v[50:51], v[34:37]
	v_and_b32_e32 v1, 0xc0, v0
	v_add_u32_e32 v1, s18, v1
	v_lshl_or_b32 v1, v86, 2, v1
	v_mfma_f32_16x16x16_f16 v[34:37], v[94:95], v[52:53], v[34:37]
	v_cmp_gt_i32_e64 s[28:29], s38, v1
	v_lshlrev_b64 v[58:59], 1, v[6:7]
	v_lshl_add_u64 v[2:3], v[78:79], 0, v[58:59]
	v_mfma_f32_16x16x16_f16 v[34:37], v[72:73], v[46:47], v[34:37]
	v_pk_mul_f32 v[78:79], s[8:9], v[38:39] op_sel_hi:[0,1]
	v_lshl_add_u64 v[58:59], v[62:63], 0, v[58:59]
	global_load_dwordx4 v[6:9], v[2:3], off
	s_nop 0
	global_load_dwordx4 v[2:5], v[2:3], off offset:16
	v_mfma_f32_16x16x16_f16 v[34:37], v[74:75], v[48:49], v[34:37]
	global_load_dwordx4 v[46:49], v[44:45], off
	global_load_dwordx4 v[38:41], v[44:45], off offset:16
	s_nop 4
	v_pk_mul_f32 v[66:67], s[8:9], v[36:37] op_sel_hi:[0,1]
	v_or_b32_e32 v36, 1, v1
	v_pk_mul_f32 v[72:73], s[8:9], v[34:35] op_sel_hi:[0,1]
	v_mov_b32_e32 v34, 0xff7fffff
	v_cmp_gt_i32_e64 s[30:31], s38, v36
	v_cndmask_b32_e64 v35, v34, v60, s[28:29]
	v_or_b32_e32 v37, 3, v1
	v_cndmask_b32_e64 v36, v34, v61, s[30:31]
	v_max3_f32 v35, v35, s40, v36
	v_or_b32_e32 v36, 2, v1
	v_cmp_gt_i32_e64 s[34:35], s38, v36
	v_cmp_gt_i32_e64 s[36:37], s38, v37
	s_nop 0
	v_cndmask_b32_e64 v36, v34, v80, s[34:35]
	v_cndmask_b32_e64 v37, v34, v81, s[36:37]
	v_max3_f32 v35, v35, v36, v37
	v_or_b32_e32 v36, 16, v1
	v_or_b32_e32 v37, 17, v1
	v_cmp_gt_i32_e64 s[22:23], s38, v36
	v_cmp_gt_i32_e64 s[24:25], s38, v37
	s_nop 0
	v_cndmask_b32_e64 v36, v34, v70, s[22:23]
	v_cndmask_b32_e64 v37, v34, v71, s[24:25]
	v_max3_f32 v35, v35, v36, v37
	v_or_b32_e32 v36, 18, v1
	;; [unrolled: 8-line block ×6, first 2 shown]
	v_or_b32_e32 v1, 51, v1
	v_cmp_gt_i32_e32 vcc, s38, v36
	v_cmp_gt_i32_e64 s[4:5], s38, v1
	s_nop 0
	v_cndmask_b32_e32 v36, v34, v66, vcc
	v_cndmask_b32_e64 v1, v34, v67, s[4:5]
	v_mbcnt_lo_u32_b32 v34, -1, 0
	v_mbcnt_hi_u32_b32 v50, -1, v34
	v_and_b32_e32 v34, 64, v50
	v_add_u32_e32 v51, 64, v34
	v_xor_b32_e32 v34, 32, v50
	v_cmp_lt_i32_e64 s[38:39], v34, v51
	v_max3_f32 v1, v35, v36, v1
	s_nop 0
	v_cndmask_b32_e64 v34, v50, v34, s[38:39]
	v_lshlrev_b32_e32 v74, 2, v34
	ds_bpermute_b32 v52, v74, v1
	v_lshl_add_u64 v[34:35], v[62:63], 0, v[42:43]
	global_load_dwordx4 v[42:45], v[34:35], off
	s_nop 0
	global_load_dwordx4 v[34:37], v[34:35], off offset:16
	s_waitcnt lgkmcnt(0)
	v_max_f32_e32 v52, v52, v52
	v_max_f32_e32 v1, v1, v52
	v_xor_b32_e32 v52, 16, v50
	v_cmp_lt_i32_e64 s[38:39], v52, v51
	s_nop 1
	v_cndmask_b32_e64 v50, v50, v52, s[38:39]
	v_lshlrev_b32_e32 v75, 2, v50
	ds_bpermute_b32 v64, v75, v1
	v_lshl_add_u64 v[50:51], v[62:63], 0, v[56:57]
	global_load_dwordx4 v[54:57], v[50:51], off
	s_nop 0
	global_load_dwordx4 v[50:53], v[50:51], off offset:16
	s_waitcnt lgkmcnt(0)
	v_max_f32_e32 v62, v64, v64
	v_max_f32_e32 v88, v1, v62
	v_sub_f32_e32 v1, v60, v88
	v_sub_f32_e32 v60, v61, v88
	v_mul_f32_e32 v60, 0x3fb8aa3b, v60
	v_exp_f32_e32 v69, v60
	global_load_dwordx4 v[62:65], v[58:59], off
	s_nop 0
	global_load_dwordx4 v[58:61], v[58:59], off offset:16
	v_mul_f32_e32 v1, 0x3fb8aa3b, v1
	v_exp_f32_e32 v1, v1
	v_sub_f32_e32 v80, v80, v88
	v_mul_f32_e32 v80, 0x3fb8aa3b, v80
	v_sub_f32_e32 v81, v81, v88
	v_exp_f32_e32 v80, v80
	v_mul_f32_e32 v81, 0x3fb8aa3b, v81
	v_sub_f32_e32 v70, v70, v88
	v_exp_f32_e32 v81, v81
	v_mul_f32_e32 v70, 0x3fb8aa3b, v70
	v_sub_f32_e32 v71, v71, v88
	v_cndmask_b32_e64 v68, 0, v1, s[28:29]
	v_exp_f32_e32 v70, v70
	v_mul_f32_e32 v71, 0x3fb8aa3b, v71
	v_sub_f32_e32 v82, v82, v88
	v_add_f32_e32 v1, 0, v68
	v_cndmask_b32_e64 v69, 0, v69, s[30:31]
	v_exp_f32_e32 v71, v71
	v_mul_f32_e32 v82, 0x3fb8aa3b, v82
	v_sub_f32_e32 v83, v83, v88
	v_add_f32_e32 v1, v1, v69
	v_cndmask_b32_e64 v80, 0, v80, s[34:35]
	v_exp_f32_e32 v82, v82
	v_mul_f32_e32 v83, 0x3fb8aa3b, v83
	v_sub_f32_e32 v78, v78, v88
	v_add_f32_e32 v1, v1, v80
	v_cndmask_b32_e64 v81, 0, v81, s[36:37]
	v_exp_f32_e32 v83, v83
	v_mul_f32_e32 v78, 0x3fb8aa3b, v78
	v_sub_f32_e32 v79, v79, v88
	v_add_f32_e32 v1, v1, v81
	v_cndmask_b32_e64 v70, 0, v70, s[22:23]
	v_exp_f32_e32 v78, v78
	v_mul_f32_e32 v79, 0x3fb8aa3b, v79
	v_sub_f32_e32 v76, v76, v88
	v_add_f32_e32 v1, v1, v70
	v_cndmask_b32_e64 v71, 0, v71, s[24:25]
	v_exp_f32_e32 v79, v79
	v_mul_f32_e32 v76, 0x3fb8aa3b, v76
	v_sub_f32_e32 v77, v77, v88
	v_add_f32_e32 v1, v1, v71
	v_cndmask_b32_e64 v82, 0, v82, s[18:19]
	v_exp_f32_e32 v76, v76
	v_mul_f32_e32 v77, 0x3fb8aa3b, v77
	v_sub_f32_e32 v72, v72, v88
	v_add_f32_e32 v1, v1, v82
	v_cndmask_b32_e64 v83, 0, v83, s[20:21]
	v_exp_f32_e32 v77, v77
	v_mul_f32_e32 v72, 0x3fb8aa3b, v72
	v_sub_f32_e32 v73, v73, v88
	v_add_f32_e32 v1, v1, v83
	v_cndmask_b32_e64 v78, 0, v78, s[14:15]
	v_exp_f32_e32 v72, v72
	v_mul_f32_e32 v73, 0x3fb8aa3b, v73
	v_sub_f32_e32 v66, v66, v88
	v_add_f32_e32 v1, v1, v78
	v_cndmask_b32_e64 v79, 0, v79, s[16:17]
	v_exp_f32_e32 v73, v73
	v_mul_f32_e32 v66, 0x3fb8aa3b, v66
	v_sub_f32_e32 v67, v67, v88
	v_add_f32_e32 v1, v1, v79
	v_cndmask_b32_e64 v76, 0, v76, s[10:11]
	v_exp_f32_e32 v66, v66
	v_mul_f32_e32 v67, 0x3fb8aa3b, v67
	v_add_f32_e32 v1, v1, v76
	v_cndmask_b32_e64 v77, 0, v77, s[12:13]
	v_exp_f32_e32 v67, v67
	v_add_f32_e32 v1, v1, v77
	v_cndmask_b32_e64 v72, 0, v72, s[6:7]
	v_add_f32_e32 v1, v1, v72
	v_cndmask_b32_e64 v73, 0, v73, s[8:9]
	v_add_f32_e32 v1, v1, v73
	v_cndmask_b32_e32 v66, 0, v66, vcc
	v_add_f32_e32 v1, v1, v66
	v_cndmask_b32_e64 v67, 0, v67, s[4:5]
	v_add_f32_e32 v1, v1, v67
	ds_bpermute_b32 v74, v74, v1
	v_cmp_gt_u32_e32 vcc, 16, v85
	s_waitcnt lgkmcnt(0)
	s_barrier
	v_add_f32_e32 v89, v1, v74
	ds_bpermute_b32 v90, v75, v89
	s_and_saveexec_b64 s[4:5], vcc
	s_cbranch_execz .LBB341_15
; %bb.14:
	s_waitcnt lgkmcnt(0)
	v_add_f32_e32 v1, v89, v90
	v_lshlrev_b32_e32 v74, 2, v87
	ds_write2st64_b32 v74, v88, v1 offset1:1
.LBB341_15:
	s_or_b64 exec, exec, s[4:5]
	v_and_b32_e32 v86, 15, v0
	v_lshlrev_b32_e32 v1, 2, v86
	s_load_dword s6, s[0:1], 0x94
	s_waitcnt lgkmcnt(0)
	s_barrier
	ds_read2_b32 v[74:75], v1 offset1:16
	ds_read2_b32 v[88:89], v1 offset0:32 offset1:48
	ds_read2_b32 v[90:91], v1 offset0:64 offset1:80
	s_lshl_b32 s7, s33, 1
	s_waitcnt lgkmcnt(2)
	v_max3_f32 v87, v74, s40, v75
	s_waitcnt lgkmcnt(1)
	v_max3_f32 v87, v87, v88, v89
	v_sub_f32_e32 v74, v74, v87
	v_mul_f32_e32 v74, 0x3fb8aa3b, v74
	v_exp_f32_e32 v92, v74
	v_sub_f32_e32 v74, v75, v87
	v_mul_f32_e32 v74, 0x3fb8aa3b, v74
	v_exp_f32_e32 v93, v74
	;; [unrolled: 3-line block ×3, first 2 shown]
	ds_read2_b32 v[74:75], v1 offset0:96 offset1:112
	v_sub_f32_e32 v1, v89, v87
	v_mul_f32_e32 v1, 0x3fb8aa3b, v1
	v_exp_f32_e32 v1, v1
	s_waitcnt lgkmcnt(1)
	v_fma_f32 v88, v92, v90, 0
	v_fmac_f32_e32 v88, v93, v91
	s_waitcnt lgkmcnt(0)
	v_fmac_f32_e32 v88, v94, v74
	v_fmac_f32_e32 v88, v1, v75
	v_add_f32_e32 v74, 0x358637bd, v88
	v_div_scale_f32 v75, s[4:5], v74, v74, 1.0
	v_rcp_f32_e32 v89, v75
	s_barrier
	v_fma_f32 v90, -v75, v89, 1.0
	v_fmac_f32_e32 v89, v90, v89
	v_div_scale_f32 v90, vcc, 1.0, v74, 1.0
	v_mul_f32_e32 v91, v90, v89
	v_fma_f32 v95, -v75, v91, v90
	v_fmac_f32_e32 v91, v95, v89
	v_fma_f32 v75, -v75, v91, v90
	v_div_fmas_f32 v75, v75, v89, v91
	v_cmp_eq_u32_e32 vcc, 1, v84
	v_div_fixup_f32 v74, v75, v74, 1.0
	v_bfe_u32 v89, v0, 4, 2
	v_cndmask_b32_e32 v75, v92, v93, vcc
	v_cmp_eq_u32_e32 vcc, 2, v84
	s_nop 1
	v_cndmask_b32_e32 v75, v75, v94, vcc
	v_cmp_eq_u32_e32 vcc, 3, v84
	s_nop 1
	v_cndmask_b32_e32 v1, v75, v1, vcc
	v_mul_f32_e32 v74, v1, v74
	v_pk_mul_f32 v[80:81], v[74:75], v[80:81] op_sel_hi:[0,1]
	v_pk_mul_f32 v[68:69], v[74:75], v[68:69] op_sel_hi:[0,1]
	v_cvt_f16_f32_e32 v75, v81
	v_cvt_f16_f32_e32 v1, v68
	;; [unrolled: 1-line block ×4, first 2 shown]
	v_pk_mul_f32 v[80:81], v[74:75], v[82:83] op_sel_hi:[0,1]
	v_pk_mul_f32 v[70:71], v[74:75], v[70:71] op_sel_hi:[0,1]
	v_pack_b32_f16 v90, v1, v68
	v_pack_b32_f16 v91, v69, v75
	v_cvt_f16_f32_e32 v69, v70
	v_cvt_f16_f32_e32 v70, v71
	;; [unrolled: 1-line block ×4, first 2 shown]
	v_lshlrev_b32_e32 v1, 3, v89
	v_lshlrev_b32_e32 v68, 5, v86
	;; [unrolled: 1-line block ×3, first 2 shown]
	v_or3_b32 v80, v80, v68, v1
	v_pack_b32_f16 v70, v69, v70
	v_pack_b32_f16 v71, v71, v75
	ds_write2st64_b64 v80, v[90:91], v[70:71] offset1:1
	v_pk_mul_f32 v[70:71], v[74:75], v[76:77] op_sel_hi:[0,1]
	v_pk_mul_f32 v[76:77], v[74:75], v[78:79] op_sel_hi:[0,1]
	v_cvt_f16_f32_e32 v75, v70
	v_cvt_f16_f32_e32 v1, v76
	;; [unrolled: 1-line block ×4, first 2 shown]
	v_pk_mul_f32 v[66:67], v[74:75], v[66:67] op_sel_hi:[0,1]
	v_pk_mul_f32 v[70:71], v[74:75], v[72:73] op_sel_hi:[0,1]
	v_cvt_f16_f32_e32 v70, v70
	v_cvt_f16_f32_e32 v71, v71
	;; [unrolled: 1-line block ×4, first 2 shown]
	v_pack_b32_f16 v66, v1, v69
	v_pack_b32_f16 v67, v75, v76
	;; [unrolled: 1-line block ×4, first 2 shown]
	v_cmp_gt_u32_e32 vcc, 2, v0
	ds_write2st64_b64 v80, v[66:67], v[70:71] offset0:2 offset1:3
	s_and_saveexec_b64 s[4:5], vcc
	s_cbranch_execz .LBB341_17
; %bb.16:
	v_or_b32_e32 v66, s27, v0
	v_mov_b32_e32 v67, 0
	v_mov_b32_e32 v1, s7
	v_mad_u64_u32 v[70:71], s[12:13], s2, v1, v[66:67]
	v_mov_b32_e32 v66, s26
	s_load_dwordx4 s[8:11], s[0:1], 0x58
	s_mul_i32 s3, s3, s7
	v_mad_u64_u32 v[66:67], s[12:13], v70, s6, v[66:67]
	v_add_u32_e32 v1, s3, v71
	v_mov_b32_e32 v70, v67
	v_mad_u64_u32 v[70:71], s[12:13], v1, s6, v[70:71]
	v_mov_b32_e32 v67, v70
	v_lshlrev_b64 v[66:67], 2, v[66:67]
	s_waitcnt lgkmcnt(0)
	v_lshl_add_u64 v[70:71], s[10:11], 0, v[66:67]
	v_lshl_add_u64 v[66:67], s[8:9], 0, v[66:67]
	global_store_dword v[70:71], v87, off
	global_store_dword v[66:67], v88, off
.LBB341_17:
	s_or_b64 exec, exec, s[4:5]
	v_lshl_or_b32 v1, v89, 9, v68
	s_waitcnt lgkmcnt(0)
	s_barrier
	ds_read_b128 v[70:73], v1
	ds_read_b128 v[66:69], v1 offset:16
	s_waitcnt vmcnt(15) lgkmcnt(1)
	v_mfma_f32_16x16x16_f16 v[74:77], v[30:31], v[70:71], 0
	v_cmp_gt_u32_e32 vcc, 64, v0
	v_cmp_gt_u32_e64 s[4:5], 32, v85
	s_mov_b32 s3, 0
	v_mfma_f32_16x16x16_f16 v[30:33], v[32:33], v[72:73], v[74:77]
	s_and_b64 s[4:5], vcc, s[4:5]
	s_waitcnt vmcnt(14) lgkmcnt(0)
	v_mfma_f32_16x16x16_f16 v[30:33], v[26:27], v[66:67], v[30:33]
	v_mfma_f32_16x16x16_f16 v[26:29], v[28:29], v[68:69], v[30:33]
	s_nop 5
	ds_read_b128 v[30:33], v1 offset:2048
	ds_read_b128 v[74:77], v1 offset:2064
	s_waitcnt vmcnt(13) lgkmcnt(1)
	v_mfma_f32_16x16x16_f16 v[26:29], v[22:23], v[30:31], v[26:29]
	v_mfma_f32_16x16x16_f16 v[22:25], v[24:25], v[32:33], v[26:29]
	s_waitcnt vmcnt(12) lgkmcnt(0)
	v_mfma_f32_16x16x16_f16 v[22:25], v[18:19], v[74:75], v[22:25]
	v_mfma_f32_16x16x16_f16 v[18:21], v[20:21], v[76:77], v[22:25]
	s_nop 5
	ds_read_b128 v[22:25], v1 offset:4096
	ds_read_b128 v[26:29], v1 offset:4112
	s_waitcnt vmcnt(11) lgkmcnt(1)
	v_mfma_f32_16x16x16_f16 v[18:21], v[14:15], v[22:23], v[18:21]
	v_mfma_f32_16x16x16_f16 v[14:17], v[16:17], v[24:25], v[18:21]
	s_waitcnt vmcnt(10) lgkmcnt(0)
	v_mfma_f32_16x16x16_f16 v[14:17], v[10:11], v[26:27], v[14:17]
	v_mfma_f32_16x16x16_f16 v[10:13], v[12:13], v[28:29], v[14:17]
	s_nop 5
	ds_read_b128 v[14:17], v1 offset:6144
	ds_read_b128 v[18:21], v1 offset:6160
	s_waitcnt lgkmcnt(0)
	s_barrier
	s_waitcnt vmcnt(9)
	v_mfma_f32_16x16x16_f16 v[10:13], v[6:7], v[14:15], v[10:13]
	v_mfma_f32_16x16x16_f16 v[6:9], v[8:9], v[16:17], v[10:13]
	s_waitcnt vmcnt(8)
	v_mfma_f32_16x16x16_f16 v[6:9], v[2:3], v[18:19], v[6:9]
	v_mfma_f32_16x16x16_f16 v[2:5], v[4:5], v[20:21], v[6:9]
	;; [unrolled: 3-line block ×3, first 2 shown]
	s_nop 3
	v_cvt_f16_f32_e32 v1, v2
	v_cvt_f16_f32_e32 v10, v3
	;; [unrolled: 1-line block ×3, first 2 shown]
	s_waitcnt vmcnt(6)
	v_mfma_f32_16x16x16_f16 v[6:9], v[38:39], v[66:67], v[6:9]
	v_cvt_f16_f32_e32 v12, v5
	v_mfma_f32_16x16x16_f16 v[6:9], v[40:41], v[68:69], v[6:9]
	s_waitcnt vmcnt(5)
	v_mfma_f32_16x16x16_f16 v[6:9], v[42:43], v[30:31], v[6:9]
	v_mfma_f32_16x16x16_f16 v[6:9], v[44:45], v[32:33], v[6:9]
	s_waitcnt vmcnt(4)
	v_mfma_f32_16x16x16_f16 v[6:9], v[34:35], v[74:75], v[6:9]
	v_mfma_f32_16x16x16_f16 v[6:9], v[36:37], v[76:77], v[6:9]
	s_waitcnt vmcnt(3)
	v_mfma_f32_16x16x16_f16 v[6:9], v[54:55], v[22:23], v[6:9]
	v_mfma_f32_16x16x16_f16 v[6:9], v[56:57], v[24:25], v[6:9]
	s_waitcnt vmcnt(2)
	v_mfma_f32_16x16x16_f16 v[6:9], v[50:51], v[26:27], v[6:9]
	v_mfma_f32_16x16x16_f16 v[6:9], v[52:53], v[28:29], v[6:9]
	s_waitcnt vmcnt(1)
	v_mfma_f32_16x16x16_f16 v[6:9], v[62:63], v[14:15], v[6:9]
	v_mfma_f32_16x16x16_f16 v[6:9], v[64:65], v[16:17], v[6:9]
	s_waitcnt vmcnt(0)
	v_mfma_f32_16x16x16_f16 v[6:9], v[58:59], v[18:19], v[6:9]
	v_mfma_f32_16x16x16_f16 v[2:5], v[60:61], v[20:21], v[6:9]
	s_nop 6
	v_cvt_f16_f32_e32 v6, v2
	v_cvt_f16_f32_e32 v7, v3
	;; [unrolled: 1-line block ×4, first 2 shown]
	v_pack_b32_f16 v2, v1, v10
	v_pack_b32_f16 v3, v11, v12
	;; [unrolled: 1-line block ×4, first 2 shown]
	ds_write2st64_b64 v80, v[2:3], v[4:5] offset1:1
	s_waitcnt lgkmcnt(0)
	s_barrier
	s_and_saveexec_b64 s[8:9], s[4:5]
	s_cbranch_execz .LBB341_19
; %bb.18:
	scratch_load_dwordx2 v[6:7], off, off   ; 8-byte Folded Reload
	s_load_dwordx2 s[0:1], s[0:1], 0x68
	s_mul_i32 s2, s7, s2
	s_lshl_b32 s6, s6, 7
	v_lshlrev_b32_e32 v3, 6, v86
	s_mul_hi_u32 s5, s2, s6
	s_mul_i32 s4, s2, s6
	v_lshlrev_b32_e32 v2, 4, v0
	v_lshl_or_b32 v0, v0, 10, v3
	s_lshl_b64 s[4:5], s[4:5], 1
	v_lshlrev_b32_e32 v1, 5, v89
	v_and_b32_e32 v2, 16, v2
	v_and_b32_e32 v0, 0x1a00, v0
	s_waitcnt lgkmcnt(0)
	s_add_u32 s4, s0, s4
	v_or3_b32 v0, v0, v1, v2
	s_addc_u32 s5, s1, s5
	s_lshl_b32 s2, s26, 7
	ds_read_b128 v[2:5], v0
	s_lshl_b64 s[0:1], s[2:3], 1
	s_add_u32 s0, s4, s0
	v_or_b32_e32 v0, s27, v89
	s_addc_u32 s1, s5, s1
	v_mad_u64_u32 v[0:1], s[2:3], s6, v0, 0
	v_lshl_add_u64 v[0:1], v[0:1], 1, s[0:1]
	s_waitcnt vmcnt(0)
	v_lshl_add_u64 v[0:1], v[6:7], 1, v[0:1]
	s_waitcnt lgkmcnt(0)
	global_store_dwordx4 v[0:1], v[2:5], off
.LBB341_19:
	s_endpgm
	.section	.rodata,"a",@progbits
	.p2align	6, 0x0
	.amdhsa_kernel _Z39paged_attention_ll4mi_QKV_mfma16_kernelIDF16_DF16_LN4vllm18Fp8KVCacheDataTypeE0EhLi32ELi128ELi256ELb0ELi2EEvPKT_PKT0_S7_ifPKiS9_S9_iPKfiiiPfSC_PS2_PT2_iSB_SB_
		.amdhsa_group_segment_fixed_size 8192
		.amdhsa_private_segment_fixed_size 12
		.amdhsa_kernarg_size 400
		.amdhsa_user_sgpr_count 2
		.amdhsa_user_sgpr_dispatch_ptr 0
		.amdhsa_user_sgpr_queue_ptr 0
		.amdhsa_user_sgpr_kernarg_segment_ptr 1
		.amdhsa_user_sgpr_dispatch_id 0
		.amdhsa_user_sgpr_kernarg_preload_length 0
		.amdhsa_user_sgpr_kernarg_preload_offset 0
		.amdhsa_user_sgpr_private_segment_size 0
		.amdhsa_uses_dynamic_stack 0
		.amdhsa_enable_private_segment 1
		.amdhsa_system_sgpr_workgroup_id_x 1
		.amdhsa_system_sgpr_workgroup_id_y 1
		.amdhsa_system_sgpr_workgroup_id_z 1
		.amdhsa_system_sgpr_workgroup_info 0
		.amdhsa_system_vgpr_workitem_id 0
		.amdhsa_next_free_vgpr 96
		.amdhsa_next_free_sgpr 41
		.amdhsa_accum_offset 96
		.amdhsa_reserve_vcc 1
		.amdhsa_float_round_mode_32 0
		.amdhsa_float_round_mode_16_64 0
		.amdhsa_float_denorm_mode_32 3
		.amdhsa_float_denorm_mode_16_64 3
		.amdhsa_dx10_clamp 1
		.amdhsa_ieee_mode 1
		.amdhsa_fp16_overflow 0
		.amdhsa_tg_split 0
		.amdhsa_exception_fp_ieee_invalid_op 0
		.amdhsa_exception_fp_denorm_src 0
		.amdhsa_exception_fp_ieee_div_zero 0
		.amdhsa_exception_fp_ieee_overflow 0
		.amdhsa_exception_fp_ieee_underflow 0
		.amdhsa_exception_fp_ieee_inexact 0
		.amdhsa_exception_int_div_zero 0
	.end_amdhsa_kernel
	.section	.text._Z39paged_attention_ll4mi_QKV_mfma16_kernelIDF16_DF16_LN4vllm18Fp8KVCacheDataTypeE0EhLi32ELi128ELi256ELb0ELi2EEvPKT_PKT0_S7_ifPKiS9_S9_iPKfiiiPfSC_PS2_PT2_iSB_SB_,"axG",@progbits,_Z39paged_attention_ll4mi_QKV_mfma16_kernelIDF16_DF16_LN4vllm18Fp8KVCacheDataTypeE0EhLi32ELi128ELi256ELb0ELi2EEvPKT_PKT0_S7_ifPKiS9_S9_iPKfiiiPfSC_PS2_PT2_iSB_SB_,comdat
.Lfunc_end341:
	.size	_Z39paged_attention_ll4mi_QKV_mfma16_kernelIDF16_DF16_LN4vllm18Fp8KVCacheDataTypeE0EhLi32ELi128ELi256ELb0ELi2EEvPKT_PKT0_S7_ifPKiS9_S9_iPKfiiiPfSC_PS2_PT2_iSB_SB_, .Lfunc_end341-_Z39paged_attention_ll4mi_QKV_mfma16_kernelIDF16_DF16_LN4vllm18Fp8KVCacheDataTypeE0EhLi32ELi128ELi256ELb0ELi2EEvPKT_PKT0_S7_ifPKiS9_S9_iPKfiiiPfSC_PS2_PT2_iSB_SB_
                                        ; -- End function
	.section	.AMDGPU.csdata,"",@progbits
; Kernel info:
; codeLenInByte = 4512
; NumSgprs: 47
; NumVgprs: 96
; NumAgprs: 0
; TotalNumVgprs: 96
; ScratchSize: 12
; MemoryBound: 0
; FloatMode: 240
; IeeeMode: 1
; LDSByteSize: 8192 bytes/workgroup (compile time only)
; SGPRBlocks: 5
; VGPRBlocks: 11
; NumSGPRsForWavesPerEU: 47
; NumVGPRsForWavesPerEU: 96
; AccumOffset: 96
; Occupancy: 5
; WaveLimiterHint : 1
; COMPUTE_PGM_RSRC2:SCRATCH_EN: 1
; COMPUTE_PGM_RSRC2:USER_SGPR: 2
; COMPUTE_PGM_RSRC2:TRAP_HANDLER: 0
; COMPUTE_PGM_RSRC2:TGID_X_EN: 1
; COMPUTE_PGM_RSRC2:TGID_Y_EN: 1
; COMPUTE_PGM_RSRC2:TGID_Z_EN: 1
; COMPUTE_PGM_RSRC2:TIDIG_COMP_CNT: 0
; COMPUTE_PGM_RSRC3_GFX90A:ACCUM_OFFSET: 23
; COMPUTE_PGM_RSRC3_GFX90A:TG_SPLIT: 0
	.section	.text._Z39paged_attention_ll4mi_QKV_mfma16_kernelIDF16_DF16_LN4vllm18Fp8KVCacheDataTypeE0EhLi32ELi128ELi256ELb0ELi3EEvPKT_PKT0_S7_ifPKiS9_S9_iPKfiiiPfSC_PS2_PT2_iSB_SB_,"axG",@progbits,_Z39paged_attention_ll4mi_QKV_mfma16_kernelIDF16_DF16_LN4vllm18Fp8KVCacheDataTypeE0EhLi32ELi128ELi256ELb0ELi3EEvPKT_PKT0_S7_ifPKiS9_S9_iPKfiiiPfSC_PS2_PT2_iSB_SB_,comdat
	.protected	_Z39paged_attention_ll4mi_QKV_mfma16_kernelIDF16_DF16_LN4vllm18Fp8KVCacheDataTypeE0EhLi32ELi128ELi256ELb0ELi3EEvPKT_PKT0_S7_ifPKiS9_S9_iPKfiiiPfSC_PS2_PT2_iSB_SB_ ; -- Begin function _Z39paged_attention_ll4mi_QKV_mfma16_kernelIDF16_DF16_LN4vllm18Fp8KVCacheDataTypeE0EhLi32ELi128ELi256ELb0ELi3EEvPKT_PKT0_S7_ifPKiS9_S9_iPKfiiiPfSC_PS2_PT2_iSB_SB_
	.globl	_Z39paged_attention_ll4mi_QKV_mfma16_kernelIDF16_DF16_LN4vllm18Fp8KVCacheDataTypeE0EhLi32ELi128ELi256ELb0ELi3EEvPKT_PKT0_S7_ifPKiS9_S9_iPKfiiiPfSC_PS2_PT2_iSB_SB_
	.p2align	8
	.type	_Z39paged_attention_ll4mi_QKV_mfma16_kernelIDF16_DF16_LN4vllm18Fp8KVCacheDataTypeE0EhLi32ELi128ELi256ELb0ELi3EEvPKT_PKT0_S7_ifPKiS9_S9_iPKfiiiPfSC_PS2_PT2_iSB_SB_,@function
_Z39paged_attention_ll4mi_QKV_mfma16_kernelIDF16_DF16_LN4vllm18Fp8KVCacheDataTypeE0EhLi32ELi128ELi256ELb0ELi3EEvPKT_PKT0_S7_ifPKiS9_S9_iPKfiiiPfSC_PS2_PT2_iSB_SB_: ; @_Z39paged_attention_ll4mi_QKV_mfma16_kernelIDF16_DF16_LN4vllm18Fp8KVCacheDataTypeE0EhLi32ELi128ELi256ELb0ELi3EEvPKT_PKT0_S7_ifPKiS9_S9_iPKfiiiPfSC_PS2_PT2_iSB_SB_
; %bb.0:
	s_load_dwordx2 s[8:9], s[0:1], 0x30
	s_mov_b32 s26, s3
	s_mov_b64 s[6:7], 0
	s_waitcnt lgkmcnt(0)
	s_cmp_lg_u64 s[8:9], 0
	s_cselect_b64 s[10:11], -1, 0
	s_and_b64 vcc, exec, s[10:11]
	s_cbranch_vccz .LBB342_7
; %bb.1:
	s_add_i32 s12, s2, 1
	s_mov_b32 s13, 0
	s_lshl_b64 s[14:15], s[12:13], 2
	s_add_u32 s14, s8, s14
	s_mov_b32 s3, s13
	s_addc_u32 s15, s9, s15
	s_lshl_b64 s[12:13], s[2:3], 2
	s_add_u32 s12, s8, s12
	s_addc_u32 s13, s9, s13
	s_load_dword s5, s[14:15], 0x0
	s_load_dword s16, s[12:13], 0x0
	s_waitcnt lgkmcnt(0)
	s_sub_i32 s5, s5, s16
	s_cmp_eq_u32 s5, 1
	s_cselect_b64 s[12:13], -1, 0
	s_andn2_b64 vcc, exec, s[6:7]
	s_cbranch_vccnz .LBB342_3
.LBB342_2:
	s_mov_b32 s3, 0
	s_mov_b64 s[12:13], -1
.LBB342_3:
	s_andn2_b64 vcc, exec, s[12:13]
	s_cbranch_vccnz .LBB342_19
; %bb.4:
	s_load_dwordx2 s[6:7], s[0:1], 0x28
	s_lshl_b64 s[12:13], s[2:3], 2
	s_waitcnt lgkmcnt(0)
	s_add_u32 s6, s6, s12
	s_addc_u32 s7, s7, s13
	s_load_dword s33, s[6:7], 0x0
	s_lshl_b32 s18, s26, 8
	s_waitcnt lgkmcnt(0)
	s_cmp_ge_i32 s18, s33
	s_cbranch_scc1 .LBB342_19
; %bb.5:
	s_load_dwordx2 s[6:7], s[0:1], 0x20
	s_load_dword s5, s[0:1], 0x38
	s_add_i32 s14, s33, 31
	s_ashr_i32 s15, s14, 31
	v_and_b32_e32 v1, 0xcf, v0
	s_lshr_b32 s15, s15, 27
	v_add_u32_e32 v1, s18, v1
	s_add_i32 s14, s14, s15
	v_ashrrev_i32_e32 v2, 31, v1
	s_ashr_i32 s19, s14, 5
	v_lshrrev_b32_e32 v4, 27, v2
	s_add_i32 s19, s19, -1
	s_waitcnt lgkmcnt(0)
	s_mul_i32 s14, s2, s5
	s_mov_b32 s15, 0
	v_add_u32_e32 v2, v1, v4
	s_lshl_b64 s[14:15], s[14:15], 2
	v_ashrrev_i32_e32 v2, 5, v2
	v_mov_b32_e32 v5, s19
	v_cmp_gt_i32_e32 vcc, s33, v1
	s_add_u32 s6, s6, s14
	s_addc_u32 s7, s7, s15
	v_cndmask_b32_e32 v2, v5, v2, vcc
	v_ashrrev_i32_e32 v3, 31, v2
	v_lshl_add_u64 v[6:7], v[2:3], 2, s[6:7]
	v_or_b32_e32 v2, 16, v1
	v_add_u32_e32 v3, v2, v4
	v_ashrrev_i32_e32 v3, 5, v3
	v_cmp_gt_i32_e32 vcc, s33, v2
	s_nop 1
	v_cndmask_b32_e32 v2, v5, v3, vcc
	v_ashrrev_i32_e32 v3, 31, v2
	v_lshl_add_u64 v[8:9], v[2:3], 2, s[6:7]
	v_or_b32_e32 v2, 32, v1
	v_add_u32_e32 v3, v2, v4
	v_ashrrev_i32_e32 v3, 5, v3
	v_cmp_gt_i32_e32 vcc, s33, v2
	v_or_b32_e32 v1, 48, v1
	s_nop 0
	v_cndmask_b32_e32 v2, v5, v3, vcc
	v_ashrrev_i32_e32 v3, 31, v2
	v_lshl_add_u64 v[10:11], v[2:3], 2, s[6:7]
	v_add_u32_e32 v2, v1, v4
	v_ashrrev_i32_e32 v2, 5, v2
	v_cmp_gt_i32_e32 vcc, s33, v1
	s_nop 1
	v_cndmask_b32_e32 v2, v5, v2, vcc
	v_ashrrev_i32_e32 v3, 31, v2
	v_lshl_add_u64 v[12:13], v[2:3], 2, s[6:7]
	global_load_dword v2, v[6:7], off
	global_load_dword v5, v[8:9], off
	;; [unrolled: 1-line block ×4, first 2 shown]
	s_andn2_b64 vcc, exec, s[10:11]
	s_cbranch_vccnz .LBB342_8
; %bb.6:
	s_add_u32 s8, s8, s12
	s_addc_u32 s9, s9, s13
	s_load_dword s5, s[8:9], 0x0
	s_branch .LBB342_9
.LBB342_7:
	s_mov_b64 s[12:13], 0
	s_branch .LBB342_2
.LBB342_8:
	s_mov_b32 s5, s2
.LBB342_9:
	s_load_dwordx4 s[12:15], s[0:1], 0x8
	s_load_dwordx4 s[8:11], s[0:1], 0x48
	v_lshrrev_b32_e32 v77, 6, v0
	v_bfe_u32 v1, v0, 4, 2
	v_lshl_or_b32 v3, v77, 2, v1
	v_and_b32_e32 v76, 15, v0
	s_mul_i32 s40, s4, 3
	v_lshlrev_b32_e32 v74, 3, v76
	v_cmp_lt_u32_e32 vcc, 2, v3
	s_and_saveexec_b64 s[16:17], vcc
	s_xor_b64 s[16:17], exec, s[16:17]
; %bb.10:
	v_mov_b32_e32 v75, 0
                                        ; implicit-def: $vgpr3
; %bb.11:
	s_or_saveexec_b64 s[16:17], s[16:17]
	v_and_b32_e32 v87, 63, v0
	v_add_u32_e32 v6, s40, v1
	scratch_store_dword off, v6, off        ; 4-byte Folded Spill
	s_xor_b64 exec, exec, s[16:17]
	s_cbranch_execz .LBB342_13
; %bb.12:
	scratch_load_dword v6, off, off         ; 4-byte Folded Reload
	s_load_dwordx2 s[20:21], s[0:1], 0x0
	s_waitcnt lgkmcnt(0)
	s_ashr_i32 s11, s8, 31
	s_mul_hi_u32 s22, s5, s8
	s_mul_i32 s11, s5, s11
	s_add_i32 s23, s22, s11
	s_mul_i32 s22, s5, s8
	s_lshl_b64 s[22:23], s[22:23], 1
	s_add_u32 s20, s20, s22
	s_addc_u32 s21, s21, s23
	v_mov_b32_e32 v75, 0
	v_lshlrev_b32_e32 v8, 1, v74
	v_mov_b32_e32 v9, v75
	v_and_b32_e32 v10, 3, v0
	v_lshlrev_b32_e32 v11, 9, v76
	v_lshlrev_b32_e32 v3, 5, v3
	;; [unrolled: 1-line block ×3, first 2 shown]
	v_and_b32_e32 v11, 0x1800, v11
	v_or3_b32 v3, v11, v10, v3
	s_waitcnt vmcnt(0)
	v_lshlrev_b32_e32 v6, 7, v6
	v_ashrrev_i32_e32 v7, 31, v6
	v_lshl_add_u64 v[6:7], v[6:7], 1, s[20:21]
	v_lshl_add_u64 v[6:7], v[6:7], 0, v[8:9]
	global_load_dwordx4 v[6:9], v[6:7], off
	s_waitcnt vmcnt(0)
	ds_write_b128 v3, v[6:9]
.LBB342_13:
	s_or_b64 exec, exec, s[16:17]
	s_waitcnt lgkmcnt(0)
	s_mul_i32 s4, s4, s10
	s_mov_b32 s5, 0
	s_lshl_b64 s[4:5], s[4:5], 1
	s_add_u32 s10, s12, s4
	s_addc_u32 s11, s13, s5
	s_waitcnt vmcnt(4)
	v_mad_i64_i32 v[2:3], s[12:13], v2, s9, 0
	v_lshl_add_u64 v[6:7], v[2:3], 1, s[10:11]
	v_lshlrev_b64 v[2:3], 1, v[74:75]
	v_lshlrev_b32_e32 v46, 9, v1
	v_lshl_add_u64 v[6:7], v[6:7], 0, v[2:3]
	v_mov_b32_e32 v47, 0
	v_lshl_add_u64 v[8:9], v[6:7], 0, v[46:47]
	s_load_dword s27, s[0:1], 0x98
	s_load_dword s8, s[0:1], 0x1c
	s_waitcnt lgkmcnt(0)
	s_barrier
	global_load_dwordx4 v[38:41], v[8:9], off
	s_waitcnt vmcnt(4)
	v_mad_i64_i32 v[10:11], s[12:13], v5, s9, 0
	v_mov_b32_e32 v5, 0x100
	v_lshl_add_u64 v[10:11], v[10:11], 1, s[10:11]
	v_lshl_or_b32 v50, v76, 4, v5
	v_mov_b32_e32 v51, v47
	v_lshl_add_u64 v[22:23], v[10:11], 0, v[50:51]
	v_lshl_add_u64 v[10:11], v[22:23], 0, v[46:47]
	global_load_dwordx4 v[42:45], v[10:11], off
	global_load_dwordx4 v[18:21], v[8:9], off offset:2048
	global_load_dwordx4 v[26:29], v[10:11], off offset:2048
	v_or_b32_e32 v52, 0x1000, v46
	v_mov_b32_e32 v53, v47
	v_or_b32_e32 v48, 0x1800, v46
	v_mov_b32_e32 v49, v47
	v_lshl_add_u64 v[8:9], v[6:7], 0, v[52:53]
	v_lshl_add_u64 v[6:7], v[6:7], 0, v[48:49]
	global_load_dwordx4 v[14:17], v[8:9], off
	global_load_dwordx4 v[10:13], v[6:7], off
	v_lshl_add_u64 v[8:9], v[22:23], 0, v[52:53]
	global_load_dwordx4 v[30:33], v[8:9], off
	s_waitcnt vmcnt(9)
	v_mad_i64_i32 v[4:5], s[12:13], v4, s9, 0
	v_lshl_add_u64 v[4:5], v[4:5], 1, s[10:11]
	v_lshl_add_u64 v[56:57], v[4:5], 0, v[2:3]
	v_mul_lo_u16_e32 v2, 0x56, v76
	v_mov_b32_e32 v3, 3
	v_mul_lo_u16_sdwa v2, v2, v3 dst_sel:DWORD dst_unused:UNUSED_PAD src0_sel:BYTE_1 src1_sel:DWORD
	v_sub_u16_e32 v2, v76, v2
	v_and_b32_e32 v2, 0xff, v2
	v_lshl_add_u64 v[6:7], v[22:23], 0, v[48:49]
	global_load_dwordx4 v[22:25], v[6:7], off
	v_lshl_add_u64 v[54:55], v[56:57], 0, v[46:47]
	v_lshl_add_u32 v59, v2, 5, v46
	global_load_dwordx4 v[34:37], v[54:55], off
	ds_read_b128 v[6:9], v59
	ds_read_b128 v[2:5], v59 offset:2048
	v_and_or_b32 v70, v0, 48, s18
	v_or_b32_e32 v71, 64, v70
	v_mov_b32_e32 v78, s19
	v_cmp_gt_i32_e32 vcc, s33, v70
	v_or_b32_e32 v79, 0x80, v70
	v_or_b32_e32 v80, 0xc0, v70
	s_mov_b32 s41, 0xff7fffff
	s_waitcnt vmcnt(7) lgkmcnt(1)
	v_mfma_f32_16x16x16_f16 v[64:67], v[42:43], v[6:7], 0
	v_mfma_f32_16x16x16_f16 v[60:63], v[38:39], v[6:7], 0
	v_mad_i64_i32 v[38:39], s[12:13], v58, s9, 0
	v_lshl_add_u64 v[68:69], v[38:39], 1, s[10:11]
	v_mfma_f32_16x16x16_f16 v[60:63], v[40:41], v[8:9], v[60:63]
	v_lshl_add_u64 v[72:73], v[68:69], 0, v[50:51]
	v_lshl_add_u64 v[50:51], v[56:57], 0, v[52:53]
	s_ashr_i32 s12, s18, 31
	v_mfma_f32_16x16x16_f16 v[64:67], v[44:45], v[8:9], v[64:67]
	ds_read_b128 v[42:45], v59 offset:4096
	ds_read_b128 v[38:41], v59 offset:6144
	v_lshl_add_u64 v[82:83], v[72:73], 0, v[52:53]
	global_load_dwordx4 v[50:53], v[50:51], off
	s_waitcnt vmcnt(7) lgkmcnt(2)
	v_mfma_f32_16x16x16_f16 v[58:61], v[18:19], v[2:3], v[60:63]
	s_lshr_b32 s10, s12, 27
	v_add_u32_e32 v81, s10, v70
	v_add_u32_e32 v84, s10, v71
	s_waitcnt vmcnt(6)
	v_mfma_f32_16x16x16_f16 v[62:65], v[26:27], v[2:3], v[64:67]
	v_lshl_add_u64 v[68:69], v[72:73], 0, v[46:47]
	v_ashrrev_i32_e32 v46, 5, v81
	v_add_u32_e32 v85, s10, v79
	v_lshl_add_u64 v[66:67], v[56:57], 0, v[48:49]
	global_load_dwordx4 v[54:57], v[54:55], off offset:2048
	v_mfma_f32_16x16x16_f16 v[18:21], v[20:21], v[4:5], v[58:61]
	v_add_u32_e32 v88, s10, v80
	s_add_u32 s4, s14, s4
	s_addc_u32 s5, s15, s5
	v_mfma_f32_16x16x16_f16 v[26:29], v[28:29], v[4:5], v[62:65]
	v_ashrrev_i32_e32 v58, 5, v84
	s_waitcnt vmcnt(6) lgkmcnt(1)
	v_mfma_f32_16x16x16_f16 v[18:21], v[14:15], v[42:43], v[18:21]
	v_cndmask_b32_e32 v14, v78, v46, vcc
	v_cmp_gt_i32_e32 vcc, s33, v71
	v_ashrrev_i32_e32 v15, 31, v14
	s_waitcnt vmcnt(4)
	v_mfma_f32_16x16x16_f16 v[26:29], v[30:31], v[42:43], v[26:29]
	v_cndmask_b32_e32 v30, v78, v58, vcc
	v_ashrrev_i32_e32 v31, 31, v30
	v_lshl_add_u64 v[14:15], v[14:15], 2, s[6:7]
	v_lshl_add_u64 v[30:31], v[30:31], 2, s[6:7]
	global_load_dword v89, v[14:15], off
	global_load_dword v94, v[30:31], off
	v_mfma_f32_16x16x16_f16 v[14:17], v[16:17], v[44:45], v[18:21]
	global_load_dwordx4 v[58:61], v[68:69], off
	v_ashrrev_i32_e32 v62, 5, v85
	global_load_dwordx4 v[82:85], v[82:83], off
	v_cmp_gt_i32_e32 vcc, s33, v79
	global_load_dwordx4 v[18:21], v[66:67], off
	s_waitcnt lgkmcnt(0)
	v_mfma_f32_16x16x16_f16 v[14:17], v[10:11], v[38:39], v[14:17]
	v_cndmask_b32_e32 v10, v78, v62, vcc
	v_ashrrev_i32_e32 v11, 31, v10
	v_lshl_add_u64 v[10:11], v[10:11], 2, s[6:7]
	global_load_dword v62, v[10:11], off
	v_ashrrev_i32_e32 v63, 5, v88
	global_load_dwordx4 v[68:71], v[68:69], off offset:2048
	v_cmp_gt_i32_e32 vcc, s33, v80
	v_mfma_f32_16x16x16_f16 v[64:67], v[12:13], v[40:41], v[14:17]
	v_lshl_or_b32 v88, v77, 4, v76
	v_cndmask_b32_e32 v10, v78, v63, vcc
	v_ashrrev_i32_e32 v11, 31, v10
	v_lshl_add_u64 v[10:11], v[10:11], 2, s[6:7]
	global_load_dword v63, v[10:11], off
	v_lshl_add_u64 v[14:15], v[72:73], 0, v[48:49]
	global_load_dwordx4 v[90:93], v[14:15], off
	s_waitcnt vmcnt(11)
	v_mfma_f32_16x16x16_f16 v[10:13], v[34:35], v[6:7], 0
	v_and_b32_e32 v14, 16, v0
	v_lshlrev_b32_e32 v46, 1, v14
	v_mfma_f32_16x16x16_f16 v[10:13], v[36:37], v[8:9], v[10:13]
	v_lshl_add_u64 v[36:37], s[4:5], 0, v[46:47]
	v_lshlrev_b32_e32 v46, 6, v88
	v_lshl_add_u64 v[48:49], v[36:37], 0, v[46:47]
	v_mfma_f32_16x16x16_f16 v[26:29], v[32:33], v[44:45], v[26:29]
	v_or_b32_e32 v46, 0x1000, v46
	s_waitcnt vmcnt(8)
	v_mad_i64_i32 v[14:15], s[4:5], v89, s9, 0
	v_mfma_f32_16x16x16_f16 v[10:13], v[54:55], v[2:3], v[10:13]
	v_mfma_f32_16x16x16_f16 v[10:13], v[56:57], v[4:5], v[10:13]
	v_lshlrev_b64 v[56:57], 1, v[14:15]
	v_lshl_add_u64 v[14:15], v[48:49], 0, v[56:57]
	v_mfma_f32_16x16x16_f16 v[10:13], v[50:51], v[42:43], v[10:13]
	v_mfma_f32_16x16x16_f16 v[10:13], v[52:53], v[44:45], v[10:13]
	;; [unrolled: 1-line block ×3, first 2 shown]
	s_waitcnt vmcnt(4)
	v_mfma_f32_16x16x16_f16 v[10:13], v[18:19], v[38:39], v[10:13]
	v_mfma_f32_16x16x16_f16 v[78:81], v[24:25], v[40:41], v[26:29]
	global_load_dwordx4 v[30:33], v[14:15], off
	s_nop 2
	global_load_dwordx4 v[26:29], v[14:15], off offset:16
	v_mad_i64_i32 v[14:15], s[4:5], v94, s9, 0
	v_lshlrev_b64 v[34:35], 1, v[14:15]
	v_mfma_f32_16x16x16_f16 v[52:55], v[20:21], v[40:41], v[10:13]
	s_nop 2
	v_lshl_add_u64 v[10:11], v[48:49], 0, v[34:35]
	global_load_dwordx4 v[22:25], v[10:11], off
	global_load_dwordx4 v[18:21], v[10:11], off offset:16
	v_mfma_f32_16x16x16_f16 v[10:13], v[58:59], v[6:7], 0
	s_waitcnt vmcnt(7)
	v_mad_i64_i32 v[6:7], s[4:5], v62, s9, 0
	v_lshlrev_b64 v[50:51], 1, v[6:7]
	v_mfma_f32_16x16x16_f16 v[6:9], v[60:61], v[8:9], v[10:13]
	s_waitcnt vmcnt(6)
	v_mfma_f32_16x16x16_f16 v[6:9], v[68:69], v[2:3], v[6:9]
	s_waitcnt vmcnt(5)
	v_mad_i64_i32 v[2:3], s[4:5], v63, s9, 0
	v_lshlrev_b64 v[58:59], 1, v[2:3]
	v_mfma_f32_16x16x16_f16 v[60:63], v[70:71], v[4:5], v[6:9]
	v_lshl_add_u64 v[10:11], v[48:49], 0, v[50:51]
	v_lshl_add_u64 v[2:3], v[48:49], 0, v[58:59]
	global_load_dwordx4 v[14:17], v[10:11], off
	s_nop 0
	global_load_dwordx4 v[10:13], v[10:11], off offset:16
	v_mfma_f32_16x16x16_f16 v[68:71], v[82:83], v[42:43], v[60:63]
	v_pk_mul_f32 v[82:83], s[8:9], v[66:67] op_sel_hi:[0,1]
	global_load_dwordx4 v[6:9], v[2:3], off
	s_nop 0
	global_load_dwordx4 v[2:5], v[2:3], off offset:16
	v_lshl_add_u64 v[62:63], v[36:37], 0, v[46:47]
	v_mfma_f32_16x16x16_f16 v[42:45], v[84:85], v[44:45], v[68:71]
	v_pk_mul_f32 v[60:61], s[8:9], v[64:65] op_sel_hi:[0,1]
	v_pk_mul_f32 v[84:85], s[8:9], v[80:81] op_sel_hi:[0,1]
	;; [unrolled: 1-line block ×3, first 2 shown]
	s_waitcnt vmcnt(8)
	v_mfma_f32_16x16x16_f16 v[36:39], v[90:91], v[38:39], v[42:45]
	v_pk_mul_f32 v[70:71], s[8:9], v[78:79] op_sel_hi:[0,1]
	v_pk_mul_f32 v[78:79], s[8:9], v[54:55] op_sel_hi:[0,1]
	v_lshl_add_u64 v[56:57], v[62:63], 0, v[56:57]
	v_mfma_f32_16x16x16_f16 v[36:39], v[92:93], v[40:41], v[36:39]
	v_lshl_add_u64 v[34:35], v[62:63], 0, v[34:35]
	v_lshl_add_u64 v[50:51], v[62:63], 0, v[50:51]
	;; [unrolled: 1-line block ×3, first 2 shown]
	s_nop 3
	v_pk_mul_f32 v[72:73], s[8:9], v[36:37] op_sel_hi:[0,1]
	v_and_b32_e32 v36, 0xc0, v0
	v_add_u32_e32 v36, s18, v36
	v_lshl_or_b32 v36, v1, 2, v36
	v_pk_mul_f32 v[66:67], s[8:9], v[38:39] op_sel_hi:[0,1]
	v_or_b32_e32 v39, 1, v36
	v_mov_b32_e32 v37, 0xff7fffff
	v_cmp_gt_i32_e64 s[28:29], s33, v36
	v_cmp_gt_i32_e64 s[30:31], s33, v39
	v_or_b32_e32 v40, 3, v36
	v_cndmask_b32_e64 v38, v37, v60, s[28:29]
	v_cndmask_b32_e64 v39, v37, v61, s[30:31]
	v_max3_f32 v38, v38, s41, v39
	v_or_b32_e32 v39, 2, v36
	v_cmp_gt_i32_e64 s[34:35], s33, v39
	v_cmp_gt_i32_e64 s[36:37], s33, v40
	s_nop 0
	v_cndmask_b32_e64 v39, v37, v82, s[34:35]
	v_cndmask_b32_e64 v40, v37, v83, s[36:37]
	v_max3_f32 v38, v38, v39, v40
	v_or_b32_e32 v39, 16, v36
	v_or_b32_e32 v40, 17, v36
	v_cmp_gt_i32_e64 s[22:23], s33, v39
	v_cmp_gt_i32_e64 s[24:25], s33, v40
	s_nop 0
	v_cndmask_b32_e64 v39, v37, v70, s[22:23]
	v_cndmask_b32_e64 v40, v37, v71, s[24:25]
	v_max3_f32 v38, v38, v39, v40
	v_or_b32_e32 v39, 18, v36
	;; [unrolled: 8-line block ×6, first 2 shown]
	v_or_b32_e32 v36, 51, v36
	v_cmp_gt_i32_e32 vcc, s33, v39
	v_cmp_gt_i32_e64 s[4:5], s33, v36
	s_nop 0
	v_cndmask_b32_e32 v39, v37, v66, vcc
	v_cndmask_b32_e64 v36, v37, v67, s[4:5]
	v_max3_f32 v52, v38, v39, v36
	v_mbcnt_lo_u32_b32 v36, -1, 0
	v_mbcnt_hi_u32_b32 v53, -1, v36
	v_and_b32_e32 v36, 64, v53
	v_add_u32_e32 v54, 64, v36
	v_xor_b32_e32 v36, 32, v53
	v_cmp_lt_i32_e64 s[38:39], v36, v54
	global_load_dwordx4 v[46:49], v[56:57], off
	global_load_dwordx4 v[38:41], v[56:57], off offset:16
	v_cndmask_b32_e64 v36, v53, v36, s[38:39]
	v_lshlrev_b32_e32 v90, 2, v36
	ds_bpermute_b32 v55, v90, v52
	global_load_dwordx4 v[42:45], v[34:35], off
	s_nop 0
	global_load_dwordx4 v[34:37], v[34:35], off offset:16
	s_waitcnt lgkmcnt(0)
	v_max_f32_e32 v55, v55, v55
	v_max_f32_e32 v64, v52, v55
	v_xor_b32_e32 v52, 16, v53
	v_cmp_lt_i32_e64 s[38:39], v52, v54
	s_nop 1
	v_cndmask_b32_e64 v52, v53, v52, s[38:39]
	v_lshlrev_b32_e32 v91, 2, v52
	ds_bpermute_b32 v65, v91, v64
	global_load_dwordx4 v[54:57], v[50:51], off
	s_nop 0
	global_load_dwordx4 v[50:53], v[50:51], off offset:16
	s_waitcnt lgkmcnt(0)
	v_max_f32_e32 v62, v65, v65
	v_max_f32_e32 v89, v64, v62
	v_sub_f32_e32 v60, v60, v89
	v_mul_f32_e32 v60, 0x3fb8aa3b, v60
	v_exp_f32_e32 v68, v60
	v_sub_f32_e32 v60, v61, v89
	v_mul_f32_e32 v60, 0x3fb8aa3b, v60
	v_exp_f32_e32 v69, v60
	global_load_dwordx4 v[62:65], v[58:59], off
	s_nop 0
	global_load_dwordx4 v[58:61], v[58:59], off offset:16
	v_sub_f32_e32 v82, v82, v89
	v_mul_f32_e32 v82, 0x3fb8aa3b, v82
	v_sub_f32_e32 v83, v83, v89
	v_exp_f32_e32 v82, v82
	v_mul_f32_e32 v83, 0x3fb8aa3b, v83
	v_sub_f32_e32 v70, v70, v89
	v_exp_f32_e32 v83, v83
	v_mul_f32_e32 v70, 0x3fb8aa3b, v70
	v_sub_f32_e32 v71, v71, v89
	v_cndmask_b32_e64 v68, 0, v68, s[28:29]
	v_exp_f32_e32 v70, v70
	v_mul_f32_e32 v71, 0x3fb8aa3b, v71
	v_sub_f32_e32 v84, v84, v89
	v_add_f32_e32 v92, 0, v68
	v_cndmask_b32_e64 v69, 0, v69, s[30:31]
	v_exp_f32_e32 v71, v71
	v_mul_f32_e32 v84, 0x3fb8aa3b, v84
	v_sub_f32_e32 v85, v85, v89
	v_add_f32_e32 v92, v92, v69
	v_cndmask_b32_e64 v82, 0, v82, s[34:35]
	v_exp_f32_e32 v84, v84
	v_mul_f32_e32 v85, 0x3fb8aa3b, v85
	v_sub_f32_e32 v80, v80, v89
	v_add_f32_e32 v92, v92, v82
	v_cndmask_b32_e64 v83, 0, v83, s[36:37]
	v_exp_f32_e32 v85, v85
	v_mul_f32_e32 v80, 0x3fb8aa3b, v80
	v_sub_f32_e32 v81, v81, v89
	v_add_f32_e32 v92, v92, v83
	v_cndmask_b32_e64 v70, 0, v70, s[22:23]
	v_exp_f32_e32 v80, v80
	v_mul_f32_e32 v81, 0x3fb8aa3b, v81
	v_sub_f32_e32 v78, v78, v89
	v_add_f32_e32 v92, v92, v70
	v_cndmask_b32_e64 v71, 0, v71, s[24:25]
	v_exp_f32_e32 v81, v81
	v_mul_f32_e32 v78, 0x3fb8aa3b, v78
	v_sub_f32_e32 v79, v79, v89
	v_add_f32_e32 v92, v92, v71
	v_cndmask_b32_e64 v84, 0, v84, s[18:19]
	v_exp_f32_e32 v78, v78
	v_mul_f32_e32 v79, 0x3fb8aa3b, v79
	v_sub_f32_e32 v72, v72, v89
	v_add_f32_e32 v92, v92, v84
	v_cndmask_b32_e64 v85, 0, v85, s[20:21]
	v_exp_f32_e32 v79, v79
	v_mul_f32_e32 v72, 0x3fb8aa3b, v72
	v_sub_f32_e32 v73, v73, v89
	v_add_f32_e32 v92, v92, v85
	v_cndmask_b32_e64 v80, 0, v80, s[14:15]
	v_exp_f32_e32 v72, v72
	v_mul_f32_e32 v73, 0x3fb8aa3b, v73
	v_sub_f32_e32 v66, v66, v89
	v_add_f32_e32 v92, v92, v80
	v_cndmask_b32_e64 v81, 0, v81, s[16:17]
	v_exp_f32_e32 v73, v73
	v_mul_f32_e32 v66, 0x3fb8aa3b, v66
	v_sub_f32_e32 v67, v67, v89
	v_add_f32_e32 v92, v92, v81
	v_cndmask_b32_e64 v78, 0, v78, s[10:11]
	v_exp_f32_e32 v66, v66
	v_mul_f32_e32 v67, 0x3fb8aa3b, v67
	v_add_f32_e32 v92, v92, v78
	v_cndmask_b32_e64 v79, 0, v79, s[12:13]
	v_exp_f32_e32 v67, v67
	v_add_f32_e32 v92, v92, v79
	v_cndmask_b32_e64 v72, 0, v72, s[6:7]
	v_add_f32_e32 v92, v92, v72
	v_cndmask_b32_e64 v73, 0, v73, s[8:9]
	v_add_f32_e32 v92, v92, v73
	v_cndmask_b32_e32 v66, 0, v66, vcc
	v_add_f32_e32 v92, v92, v66
	v_cndmask_b32_e64 v67, 0, v67, s[4:5]
	v_add_f32_e32 v92, v92, v67
	ds_bpermute_b32 v90, v90, v92
	v_cmp_gt_u32_e32 vcc, 16, v87
	s_waitcnt lgkmcnt(0)
	s_barrier
	v_add_f32_e32 v90, v92, v90
	ds_bpermute_b32 v91, v91, v90
	s_and_saveexec_b64 s[4:5], vcc
	s_cbranch_execz .LBB342_15
; %bb.14:
	s_waitcnt lgkmcnt(0)
	v_add_f32_e32 v87, v90, v91
	v_lshlrev_b32_e32 v88, 2, v88
	ds_write2st64_b32 v88, v89, v87 offset1:1
.LBB342_15:
	s_or_b64 exec, exec, s[4:5]
	v_lshlrev_b32_e32 v94, 2, v76
	s_load_dword s6, s[0:1], 0x94
	s_waitcnt lgkmcnt(0)
	s_barrier
	ds_read2_b32 v[88:89], v94 offset1:16
	ds_read2_b32 v[90:91], v94 offset0:32 offset1:48
	ds_read2_b32 v[92:93], v94 offset0:64 offset1:80
	ds_read2_b32 v[94:95], v94 offset0:96 offset1:112
	s_waitcnt lgkmcnt(0)
	v_max3_f32 v87, v88, s41, v89
	v_max3_f32 v87, v87, v90, v91
	v_sub_f32_e32 v88, v88, v87
	v_mul_f32_e32 v88, 0x3fb8aa3b, v88
	v_exp_f32_e32 v86, v88
	v_sub_f32_e32 v88, v89, v87
	v_mul_f32_e32 v88, 0x3fb8aa3b, v88
	v_exp_f32_e32 v89, v88
	;; [unrolled: 3-line block ×4, first 2 shown]
	v_fma_f32 v88, v86, v92, 0
	v_fmac_f32_e32 v88, v89, v93
	v_fmac_f32_e32 v88, v90, v94
	;; [unrolled: 1-line block ×3, first 2 shown]
	v_add_f32_e32 v92, 0x358637bd, v88
	v_div_scale_f32 v93, s[4:5], v92, v92, 1.0
	v_rcp_f32_e32 v94, v93
	s_barrier
	s_mul_i32 s7, s27, 3
	v_fma_f32 v95, -v93, v94, 1.0
	v_fmac_f32_e32 v94, v95, v94
	v_div_scale_f32 v95, vcc, 1.0, v92, 1.0
	v_mul_f32_e32 v1, v95, v94
	v_fma_f32 v77, -v93, v1, v95
	v_fmac_f32_e32 v1, v77, v94
	v_fma_f32 v77, -v93, v1, v95
	v_div_fmas_f32 v1, v77, v94, v1
	v_lshrrev_b32_e32 v94, 6, v0
	v_cmp_eq_u32_e32 vcc, 1, v94
	v_div_fixup_f32 v1, v1, v92, 1.0
	s_nop 0
	v_cndmask_b32_e32 v77, v86, v89, vcc
	v_cmp_eq_u32_e32 vcc, 2, v94
	v_bfe_u32 v86, v0, 4, 2
	s_nop 0
	v_cndmask_b32_e32 v77, v77, v90, vcc
	v_cmp_eq_u32_e32 vcc, 3, v94
	s_nop 1
	v_cndmask_b32_e32 v77, v77, v91, vcc
	v_mul_f32_e32 v90, v77, v1
	v_pk_mul_f32 v[82:83], v[90:91], v[82:83] op_sel_hi:[0,1]
	v_pk_mul_f32 v[68:69], v[90:91], v[68:69] op_sel_hi:[0,1]
	v_cvt_f16_f32_e32 v1, v68
	v_cvt_f16_f32_e32 v68, v69
	;; [unrolled: 1-line block ×4, first 2 shown]
	v_pk_mul_f32 v[82:83], v[90:91], v[84:85] op_sel_hi:[0,1]
	v_pk_mul_f32 v[70:71], v[90:91], v[70:71] op_sel_hi:[0,1]
	v_pack_b32_f16 v92, v1, v68
	v_pack_b32_f16 v93, v69, v77
	v_cvt_f16_f32_e32 v69, v70
	v_cvt_f16_f32_e32 v70, v71
	;; [unrolled: 1-line block ×4, first 2 shown]
	v_lshlrev_b32_e32 v1, 3, v86
	v_lshlrev_b32_e32 v68, 5, v76
	;; [unrolled: 1-line block ×3, first 2 shown]
	v_or3_b32 v82, v82, v68, v1
	v_pack_b32_f16 v70, v69, v70
	v_pack_b32_f16 v71, v71, v77
	ds_write2st64_b64 v82, v[92:93], v[70:71] offset1:1
	v_pk_mul_f32 v[70:71], v[90:91], v[78:79] op_sel_hi:[0,1]
	v_pk_mul_f32 v[78:79], v[90:91], v[80:81] op_sel_hi:[0,1]
	v_cvt_f16_f32_e32 v1, v78
	v_cvt_f16_f32_e32 v77, v70
	;; [unrolled: 1-line block ×3, first 2 shown]
	v_pk_mul_f32 v[66:67], v[90:91], v[66:67] op_sel_hi:[0,1]
	v_pk_mul_f32 v[70:71], v[90:91], v[72:73] op_sel_hi:[0,1]
	v_cvt_f16_f32_e32 v69, v79
	v_cvt_f16_f32_e32 v70, v70
	;; [unrolled: 1-line block ×5, first 2 shown]
	v_pack_b32_f16 v66, v1, v69
	v_pack_b32_f16 v67, v77, v78
	;; [unrolled: 1-line block ×4, first 2 shown]
	v_cmp_gt_u32_e32 vcc, 3, v0
	ds_write2st64_b64 v82, v[66:67], v[70:71] offset0:2 offset1:3
	s_and_saveexec_b64 s[4:5], vcc
	s_cbranch_execz .LBB342_17
; %bb.16:
	s_mov_b32 s41, 0
	v_mov_b32_e32 v77, 0
	v_lshl_add_u64 v[66:67], s[40:41], 0, v[76:77]
	v_mov_b32_e32 v1, s7
	v_mad_u64_u32 v[66:67], s[12:13], s2, v1, v[66:67]
	s_mul_i32 s3, s3, s7
	v_mov_b32_e32 v70, s26
	v_mov_b32_e32 v71, v77
	s_load_dwordx4 s[8:11], s[0:1], 0x58
	v_add_u32_e32 v1, s3, v67
	v_mad_u64_u32 v[66:67], s[12:13], v66, s6, v[70:71]
	v_mov_b32_e32 v70, v67
	v_mad_u64_u32 v[70:71], s[12:13], v1, s6, v[70:71]
	v_mov_b32_e32 v67, v70
	v_lshlrev_b64 v[66:67], 2, v[66:67]
	s_waitcnt lgkmcnt(0)
	v_lshl_add_u64 v[70:71], s[10:11], 0, v[66:67]
	v_lshl_add_u64 v[66:67], s[8:9], 0, v[66:67]
	global_store_dword v[70:71], v87, off
	global_store_dword v[66:67], v88, off
.LBB342_17:
	s_or_b64 exec, exec, s[4:5]
	v_lshl_or_b32 v1, v86, 9, v68
	s_waitcnt lgkmcnt(0)
	s_barrier
	ds_read_b128 v[70:73], v1
	ds_read_b128 v[66:69], v1 offset:16
	s_waitcnt vmcnt(15) lgkmcnt(1)
	v_mfma_f32_16x16x16_f16 v[78:81], v[30:31], v[70:71], 0
	v_cmp_gt_u32_e32 vcc, 64, v0
	v_cmp_ne_u32_e64 s[4:5], 3, v86
	s_mov_b32 s3, 0
	v_mfma_f32_16x16x16_f16 v[30:33], v[32:33], v[72:73], v[78:81]
	s_and_b64 s[4:5], vcc, s[4:5]
	s_waitcnt vmcnt(14) lgkmcnt(0)
	v_mfma_f32_16x16x16_f16 v[30:33], v[26:27], v[66:67], v[30:33]
	v_mfma_f32_16x16x16_f16 v[26:29], v[28:29], v[68:69], v[30:33]
	s_nop 5
	ds_read_b128 v[30:33], v1 offset:2048
	ds_read_b128 v[78:81], v1 offset:2064
	s_waitcnt vmcnt(13) lgkmcnt(1)
	v_mfma_f32_16x16x16_f16 v[26:29], v[22:23], v[30:31], v[26:29]
	v_mfma_f32_16x16x16_f16 v[22:25], v[24:25], v[32:33], v[26:29]
	s_waitcnt vmcnt(12) lgkmcnt(0)
	v_mfma_f32_16x16x16_f16 v[22:25], v[18:19], v[78:79], v[22:25]
	v_mfma_f32_16x16x16_f16 v[18:21], v[20:21], v[80:81], v[22:25]
	s_nop 5
	ds_read_b128 v[22:25], v1 offset:4096
	ds_read_b128 v[26:29], v1 offset:4112
	s_waitcnt vmcnt(11) lgkmcnt(1)
	v_mfma_f32_16x16x16_f16 v[18:21], v[14:15], v[22:23], v[18:21]
	v_mfma_f32_16x16x16_f16 v[14:17], v[16:17], v[24:25], v[18:21]
	s_waitcnt vmcnt(10) lgkmcnt(0)
	v_mfma_f32_16x16x16_f16 v[14:17], v[10:11], v[26:27], v[14:17]
	v_mfma_f32_16x16x16_f16 v[10:13], v[12:13], v[28:29], v[14:17]
	s_nop 5
	ds_read_b128 v[14:17], v1 offset:6144
	ds_read_b128 v[18:21], v1 offset:6160
	s_waitcnt lgkmcnt(0)
	s_barrier
	s_waitcnt vmcnt(9)
	v_mfma_f32_16x16x16_f16 v[10:13], v[6:7], v[14:15], v[10:13]
	v_mfma_f32_16x16x16_f16 v[6:9], v[8:9], v[16:17], v[10:13]
	s_waitcnt vmcnt(8)
	v_mfma_f32_16x16x16_f16 v[6:9], v[2:3], v[18:19], v[6:9]
	v_mfma_f32_16x16x16_f16 v[2:5], v[4:5], v[20:21], v[6:9]
	;; [unrolled: 3-line block ×3, first 2 shown]
	s_nop 3
	v_cvt_f16_f32_e32 v1, v2
	v_cvt_f16_f32_e32 v10, v3
	;; [unrolled: 1-line block ×3, first 2 shown]
	s_waitcnt vmcnt(6)
	v_mfma_f32_16x16x16_f16 v[6:9], v[38:39], v[66:67], v[6:9]
	v_cvt_f16_f32_e32 v12, v5
	v_mfma_f32_16x16x16_f16 v[6:9], v[40:41], v[68:69], v[6:9]
	s_waitcnt vmcnt(5)
	v_mfma_f32_16x16x16_f16 v[6:9], v[42:43], v[30:31], v[6:9]
	v_mfma_f32_16x16x16_f16 v[6:9], v[44:45], v[32:33], v[6:9]
	s_waitcnt vmcnt(4)
	v_mfma_f32_16x16x16_f16 v[6:9], v[34:35], v[78:79], v[6:9]
	;; [unrolled: 3-line block ×6, first 2 shown]
	v_mfma_f32_16x16x16_f16 v[2:5], v[60:61], v[20:21], v[6:9]
	s_nop 6
	v_cvt_f16_f32_e32 v6, v2
	v_cvt_f16_f32_e32 v7, v3
	;; [unrolled: 1-line block ×4, first 2 shown]
	v_pack_b32_f16 v2, v1, v10
	v_pack_b32_f16 v3, v11, v12
	;; [unrolled: 1-line block ×4, first 2 shown]
	ds_write2st64_b64 v82, v[2:3], v[4:5] offset1:1
	s_waitcnt lgkmcnt(0)
	s_barrier
	s_and_saveexec_b64 s[8:9], s[4:5]
	s_cbranch_execz .LBB342_19
; %bb.18:
	scratch_load_dword v4, off, off         ; 4-byte Folded Reload
	s_load_dwordx2 s[0:1], s[0:1], 0x68
	s_mul_i32 s2, s7, s2
	s_lshl_b32 s6, s6, 7
	v_lshlrev_b32_e32 v3, 6, v76
	s_mul_hi_u32 s5, s2, s6
	s_mul_i32 s4, s2, s6
	v_lshlrev_b32_e32 v2, 4, v0
	v_lshl_or_b32 v0, v0, 10, v3
	s_lshl_b64 s[4:5], s[4:5], 1
	v_lshlrev_b32_e32 v1, 5, v86
	v_and_b32_e32 v2, 16, v2
	v_and_b32_e32 v0, 0x1a00, v0
	s_waitcnt lgkmcnt(0)
	s_add_u32 s4, s0, s4
	v_or3_b32 v0, v0, v1, v2
	s_addc_u32 s5, s1, s5
	s_lshl_b32 s2, s26, 7
	ds_read_b128 v[0:3], v0
	s_lshl_b64 s[0:1], s[2:3], 1
	s_add_u32 s0, s4, s0
	s_addc_u32 s1, s5, s1
	s_waitcnt vmcnt(0)
	v_mad_u64_u32 v[4:5], s[2:3], s6, v4, 0
	v_lshl_add_u64 v[4:5], v[4:5], 1, s[0:1]
	v_lshl_add_u64 v[4:5], v[74:75], 1, v[4:5]
	s_waitcnt lgkmcnt(0)
	global_store_dwordx4 v[4:5], v[0:3], off
.LBB342_19:
	s_endpgm
	.section	.rodata,"a",@progbits
	.p2align	6, 0x0
	.amdhsa_kernel _Z39paged_attention_ll4mi_QKV_mfma16_kernelIDF16_DF16_LN4vllm18Fp8KVCacheDataTypeE0EhLi32ELi128ELi256ELb0ELi3EEvPKT_PKT0_S7_ifPKiS9_S9_iPKfiiiPfSC_PS2_PT2_iSB_SB_
		.amdhsa_group_segment_fixed_size 8192
		.amdhsa_private_segment_fixed_size 8
		.amdhsa_kernarg_size 400
		.amdhsa_user_sgpr_count 2
		.amdhsa_user_sgpr_dispatch_ptr 0
		.amdhsa_user_sgpr_queue_ptr 0
		.amdhsa_user_sgpr_kernarg_segment_ptr 1
		.amdhsa_user_sgpr_dispatch_id 0
		.amdhsa_user_sgpr_kernarg_preload_length 0
		.amdhsa_user_sgpr_kernarg_preload_offset 0
		.amdhsa_user_sgpr_private_segment_size 0
		.amdhsa_uses_dynamic_stack 0
		.amdhsa_enable_private_segment 1
		.amdhsa_system_sgpr_workgroup_id_x 1
		.amdhsa_system_sgpr_workgroup_id_y 1
		.amdhsa_system_sgpr_workgroup_id_z 1
		.amdhsa_system_sgpr_workgroup_info 0
		.amdhsa_system_vgpr_workitem_id 0
		.amdhsa_next_free_vgpr 96
		.amdhsa_next_free_sgpr 42
		.amdhsa_accum_offset 96
		.amdhsa_reserve_vcc 1
		.amdhsa_float_round_mode_32 0
		.amdhsa_float_round_mode_16_64 0
		.amdhsa_float_denorm_mode_32 3
		.amdhsa_float_denorm_mode_16_64 3
		.amdhsa_dx10_clamp 1
		.amdhsa_ieee_mode 1
		.amdhsa_fp16_overflow 0
		.amdhsa_tg_split 0
		.amdhsa_exception_fp_ieee_invalid_op 0
		.amdhsa_exception_fp_denorm_src 0
		.amdhsa_exception_fp_ieee_div_zero 0
		.amdhsa_exception_fp_ieee_overflow 0
		.amdhsa_exception_fp_ieee_underflow 0
		.amdhsa_exception_fp_ieee_inexact 0
		.amdhsa_exception_int_div_zero 0
	.end_amdhsa_kernel
	.section	.text._Z39paged_attention_ll4mi_QKV_mfma16_kernelIDF16_DF16_LN4vllm18Fp8KVCacheDataTypeE0EhLi32ELi128ELi256ELb0ELi3EEvPKT_PKT0_S7_ifPKiS9_S9_iPKfiiiPfSC_PS2_PT2_iSB_SB_,"axG",@progbits,_Z39paged_attention_ll4mi_QKV_mfma16_kernelIDF16_DF16_LN4vllm18Fp8KVCacheDataTypeE0EhLi32ELi128ELi256ELb0ELi3EEvPKT_PKT0_S7_ifPKiS9_S9_iPKfiiiPfSC_PS2_PT2_iSB_SB_,comdat
.Lfunc_end342:
	.size	_Z39paged_attention_ll4mi_QKV_mfma16_kernelIDF16_DF16_LN4vllm18Fp8KVCacheDataTypeE0EhLi32ELi128ELi256ELb0ELi3EEvPKT_PKT0_S7_ifPKiS9_S9_iPKfiiiPfSC_PS2_PT2_iSB_SB_, .Lfunc_end342-_Z39paged_attention_ll4mi_QKV_mfma16_kernelIDF16_DF16_LN4vllm18Fp8KVCacheDataTypeE0EhLi32ELi128ELi256ELb0ELi3EEvPKT_PKT0_S7_ifPKiS9_S9_iPKfiiiPfSC_PS2_PT2_iSB_SB_
                                        ; -- End function
	.section	.AMDGPU.csdata,"",@progbits
; Kernel info:
; codeLenInByte = 4540
; NumSgprs: 48
; NumVgprs: 96
; NumAgprs: 0
; TotalNumVgprs: 96
; ScratchSize: 8
; MemoryBound: 0
; FloatMode: 240
; IeeeMode: 1
; LDSByteSize: 8192 bytes/workgroup (compile time only)
; SGPRBlocks: 5
; VGPRBlocks: 11
; NumSGPRsForWavesPerEU: 48
; NumVGPRsForWavesPerEU: 96
; AccumOffset: 96
; Occupancy: 5
; WaveLimiterHint : 1
; COMPUTE_PGM_RSRC2:SCRATCH_EN: 1
; COMPUTE_PGM_RSRC2:USER_SGPR: 2
; COMPUTE_PGM_RSRC2:TRAP_HANDLER: 0
; COMPUTE_PGM_RSRC2:TGID_X_EN: 1
; COMPUTE_PGM_RSRC2:TGID_Y_EN: 1
; COMPUTE_PGM_RSRC2:TGID_Z_EN: 1
; COMPUTE_PGM_RSRC2:TIDIG_COMP_CNT: 0
; COMPUTE_PGM_RSRC3_GFX90A:ACCUM_OFFSET: 23
; COMPUTE_PGM_RSRC3_GFX90A:TG_SPLIT: 0
	.section	.text._Z39paged_attention_ll4mi_QKV_mfma16_kernelIDF16_DF16_LN4vllm18Fp8KVCacheDataTypeE0EhLi32ELi128ELi256ELb0ELi4EEvPKT_PKT0_S7_ifPKiS9_S9_iPKfiiiPfSC_PS2_PT2_iSB_SB_,"axG",@progbits,_Z39paged_attention_ll4mi_QKV_mfma16_kernelIDF16_DF16_LN4vllm18Fp8KVCacheDataTypeE0EhLi32ELi128ELi256ELb0ELi4EEvPKT_PKT0_S7_ifPKiS9_S9_iPKfiiiPfSC_PS2_PT2_iSB_SB_,comdat
	.protected	_Z39paged_attention_ll4mi_QKV_mfma16_kernelIDF16_DF16_LN4vllm18Fp8KVCacheDataTypeE0EhLi32ELi128ELi256ELb0ELi4EEvPKT_PKT0_S7_ifPKiS9_S9_iPKfiiiPfSC_PS2_PT2_iSB_SB_ ; -- Begin function _Z39paged_attention_ll4mi_QKV_mfma16_kernelIDF16_DF16_LN4vllm18Fp8KVCacheDataTypeE0EhLi32ELi128ELi256ELb0ELi4EEvPKT_PKT0_S7_ifPKiS9_S9_iPKfiiiPfSC_PS2_PT2_iSB_SB_
	.globl	_Z39paged_attention_ll4mi_QKV_mfma16_kernelIDF16_DF16_LN4vllm18Fp8KVCacheDataTypeE0EhLi32ELi128ELi256ELb0ELi4EEvPKT_PKT0_S7_ifPKiS9_S9_iPKfiiiPfSC_PS2_PT2_iSB_SB_
	.p2align	8
	.type	_Z39paged_attention_ll4mi_QKV_mfma16_kernelIDF16_DF16_LN4vllm18Fp8KVCacheDataTypeE0EhLi32ELi128ELi256ELb0ELi4EEvPKT_PKT0_S7_ifPKiS9_S9_iPKfiiiPfSC_PS2_PT2_iSB_SB_,@function
_Z39paged_attention_ll4mi_QKV_mfma16_kernelIDF16_DF16_LN4vllm18Fp8KVCacheDataTypeE0EhLi32ELi128ELi256ELb0ELi4EEvPKT_PKT0_S7_ifPKiS9_S9_iPKfiiiPfSC_PS2_PT2_iSB_SB_: ; @_Z39paged_attention_ll4mi_QKV_mfma16_kernelIDF16_DF16_LN4vllm18Fp8KVCacheDataTypeE0EhLi32ELi128ELi256ELb0ELi4EEvPKT_PKT0_S7_ifPKiS9_S9_iPKfiiiPfSC_PS2_PT2_iSB_SB_
; %bb.0:
	s_load_dwordx2 s[8:9], s[0:1], 0x30
	s_mov_b32 s28, s3
	s_mov_b64 s[6:7], 0
	s_waitcnt lgkmcnt(0)
	s_cmp_lg_u64 s[8:9], 0
	s_cselect_b64 s[10:11], -1, 0
	s_and_b64 vcc, exec, s[10:11]
	s_cbranch_vccz .LBB343_7
; %bb.1:
	s_add_i32 s12, s2, 1
	s_mov_b32 s13, 0
	s_lshl_b64 s[14:15], s[12:13], 2
	s_add_u32 s14, s8, s14
	s_mov_b32 s3, s13
	s_addc_u32 s15, s9, s15
	s_lshl_b64 s[12:13], s[2:3], 2
	s_add_u32 s12, s8, s12
	s_addc_u32 s13, s9, s13
	s_load_dword s5, s[14:15], 0x0
	s_load_dword s16, s[12:13], 0x0
	s_waitcnt lgkmcnt(0)
	s_sub_i32 s5, s5, s16
	s_cmp_eq_u32 s5, 1
	s_cselect_b64 s[12:13], -1, 0
	s_andn2_b64 vcc, exec, s[6:7]
	s_cbranch_vccnz .LBB343_3
.LBB343_2:
	s_mov_b32 s3, 0
	s_mov_b64 s[12:13], -1
.LBB343_3:
	s_andn2_b64 vcc, exec, s[12:13]
	s_cbranch_vccnz .LBB343_19
; %bb.4:
	s_load_dwordx2 s[6:7], s[0:1], 0x28
	s_lshl_b64 s[12:13], s[2:3], 2
	s_waitcnt lgkmcnt(0)
	s_add_u32 s6, s6, s12
	s_addc_u32 s7, s7, s13
	s_load_dword s40, s[6:7], 0x0
	s_lshl_b32 s18, s28, 8
	s_waitcnt lgkmcnt(0)
	s_cmp_ge_i32 s18, s40
	s_cbranch_scc1 .LBB343_19
; %bb.5:
	s_load_dwordx2 s[6:7], s[0:1], 0x20
	s_load_dword s5, s[0:1], 0x38
	s_add_i32 s14, s40, 31
	s_ashr_i32 s15, s14, 31
	v_and_b32_e32 v1, 0xcf, v0
	s_lshr_b32 s15, s15, 27
	v_add_u32_e32 v1, s18, v1
	s_add_i32 s14, s14, s15
	v_ashrrev_i32_e32 v2, 31, v1
	s_ashr_i32 s19, s14, 5
	v_lshrrev_b32_e32 v6, 27, v2
	s_add_i32 s19, s19, -1
	s_waitcnt lgkmcnt(0)
	s_mul_i32 s14, s2, s5
	s_mov_b32 s15, 0
	v_add_u32_e32 v2, v1, v6
	s_lshl_b64 s[14:15], s[14:15], 2
	v_ashrrev_i32_e32 v2, 5, v2
	v_mov_b32_e32 v7, s19
	v_cmp_gt_i32_e32 vcc, s40, v1
	s_add_u32 s6, s6, s14
	s_addc_u32 s7, s7, s15
	v_cndmask_b32_e32 v2, v7, v2, vcc
	v_ashrrev_i32_e32 v3, 31, v2
	v_lshl_add_u64 v[4:5], v[2:3], 2, s[6:7]
	v_or_b32_e32 v2, 16, v1
	v_add_u32_e32 v3, v2, v6
	v_ashrrev_i32_e32 v3, 5, v3
	v_cmp_gt_i32_e32 vcc, s40, v2
	s_nop 1
	v_cndmask_b32_e32 v2, v7, v3, vcc
	v_ashrrev_i32_e32 v3, 31, v2
	v_lshl_add_u64 v[8:9], v[2:3], 2, s[6:7]
	v_or_b32_e32 v2, 32, v1
	v_add_u32_e32 v3, v2, v6
	v_ashrrev_i32_e32 v3, 5, v3
	v_cmp_gt_i32_e32 vcc, s40, v2
	v_or_b32_e32 v1, 48, v1
	s_nop 0
	v_cndmask_b32_e32 v2, v7, v3, vcc
	v_ashrrev_i32_e32 v3, 31, v2
	v_lshl_add_u64 v[10:11], v[2:3], 2, s[6:7]
	v_add_u32_e32 v2, v1, v6
	v_ashrrev_i32_e32 v2, 5, v2
	v_cmp_gt_i32_e32 vcc, s40, v1
	s_nop 1
	v_cndmask_b32_e32 v2, v7, v2, vcc
	v_ashrrev_i32_e32 v3, 31, v2
	v_lshl_add_u64 v[12:13], v[2:3], 2, s[6:7]
	global_load_dword v2, v[4:5], off
	global_load_dword v7, v[8:9], off
	;; [unrolled: 1-line block ×4, first 2 shown]
	s_andn2_b64 vcc, exec, s[10:11]
	s_cbranch_vccnz .LBB343_8
; %bb.6:
	s_add_u32 s8, s8, s12
	s_addc_u32 s9, s9, s13
	s_load_dword s5, s[8:9], 0x0
	s_branch .LBB343_9
.LBB343_7:
	s_mov_b64 s[12:13], 0
	s_branch .LBB343_2
.LBB343_8:
	s_mov_b32 s5, s2
.LBB343_9:
	s_load_dwordx4 s[12:15], s[0:1], 0x8
	s_load_dwordx4 s[8:11], s[0:1], 0x48
	v_and_b32_e32 v3, 15, v0
	v_bfe_u32 v87, v0, 4, 2
	s_lshl_b32 s29, s4, 2
	v_lshlrev_b32_e32 v94, 3, v3
	v_cmp_gt_u32_e64 s[30:31], 64, v0
	v_cmp_lt_u32_e32 vcc, 63, v0
	s_and_saveexec_b64 s[16:17], vcc
	s_xor_b64 s[16:17], exec, s[16:17]
; %bb.10:
	v_mov_b32_e32 v95, 0
; %bb.11:
	s_or_saveexec_b64 s[16:17], s[16:17]
	v_or_b32_e32 v1, s29, v87
	v_lshrrev_b32_e32 v12, 6, v0
	scratch_store_dword off, v1, off        ; 4-byte Folded Spill
	v_and_b32_e32 v35, 3, v0
	v_lshlrev_b32_e32 v1, 5, v87
	scratch_store_dword off, v1, off offset:4 ; 4-byte Folded Spill
	s_xor_b64 exec, exec, s[16:17]
	s_cbranch_execz .LBB343_13
; %bb.12:
	scratch_load_dword v1, off, off         ; 4-byte Folded Reload
	s_load_dwordx2 s[20:21], s[0:1], 0x0
	s_waitcnt lgkmcnt(0)
	s_ashr_i32 s11, s8, 31
	s_mul_hi_u32 s22, s5, s8
	s_mul_i32 s11, s5, s11
	s_add_i32 s23, s22, s11
	s_mul_i32 s22, s5, s8
	s_lshl_b64 s[22:23], s[22:23], 1
	s_add_u32 s20, s20, s22
	s_addc_u32 s21, s21, s23
	v_mov_b32_e32 v95, 0
	v_lshlrev_b32_e32 v8, 1, v94
	v_mov_b32_e32 v9, v95
	s_waitcnt vmcnt(0)
	v_lshlrev_b32_e32 v4, 7, v1
	v_ashrrev_i32_e32 v5, 31, v4
	v_lshl_add_u64 v[4:5], v[4:5], 1, s[20:21]
	v_lshl_add_u64 v[4:5], v[4:5], 0, v[8:9]
	global_load_dwordx4 v[8:11], v[4:5], off
	v_and_b32_e32 v5, 15, v0
	v_lshlrev_b32_e32 v1, 5, v87
	v_lshlrev_b32_e32 v5, 9, v5
	v_lshl_or_b32 v3, v12, 7, v1
	v_lshlrev_b32_e32 v4, 9, v35
	v_and_b32_e32 v5, 0x1800, v5
	v_or3_b32 v3, v5, v4, v3
	s_waitcnt vmcnt(0)
	ds_write_b128 v3, v[8:11]
.LBB343_13:
	s_or_b64 exec, exec, s[16:17]
	s_waitcnt lgkmcnt(0)
	s_mul_i32 s4, s4, s10
	s_mov_b32 s5, 0
	s_lshl_b64 s[4:5], s[4:5], 1
	s_add_u32 s10, s12, s4
	s_addc_u32 s11, s13, s5
	s_waitcnt vmcnt(5)
	v_mad_i64_i32 v[2:3], s[12:13], v2, s9, 0
	v_mov_b32_e32 v55, 0
	s_waitcnt vmcnt(4)
	v_mad_i64_i32 v[8:9], s[12:13], v7, s9, 0
	v_mov_b32_e32 v7, 0x100
	v_and_b32_e32 v89, 15, v0
	v_lshl_add_u64 v[2:3], v[2:3], 1, s[10:11]
	v_lshlrev_b64 v[4:5], 1, v[94:95]
	v_lshl_add_u64 v[8:9], v[8:9], 1, s[10:11]
	v_lshl_or_b32 v56, v89, 4, v7
	v_mov_b32_e32 v57, v55
	v_lshlrev_b32_e32 v54, 9, v87
	v_lshl_add_u64 v[2:3], v[2:3], 0, v[4:5]
	v_lshl_add_u64 v[20:21], v[8:9], 0, v[56:57]
	;; [unrolled: 1-line block ×4, first 2 shown]
	s_load_dword s33, s[0:1], 0x98
	s_load_dword s8, s[0:1], 0x1c
	s_waitcnt lgkmcnt(0)
	s_barrier
	global_load_dwordx4 v[14:17], v[18:19], off
	v_mov_b32_e32 v89, v12
	global_load_dwordx4 v[10:13], v[22:23], off
	s_waitcnt vmcnt(5)
	v_mad_i64_i32 v[6:7], s[12:13], v6, s9, 0
	v_lshl_add_u64 v[6:7], v[6:7], 1, s[10:11]
	v_lshl_add_u64 v[60:61], v[6:7], 0, v[4:5]
	;; [unrolled: 1-line block ×3, first 2 shown]
	global_load_dwordx4 v[6:9], v[46:47], off
	global_load_dwordx4 v[42:45], v[18:19], off offset:2048
	global_load_dwordx4 v[38:41], v[22:23], off offset:2048
	v_or_b32_e32 v62, 0x1000, v54
	v_mov_b32_e32 v63, v55
	v_lshl_add_u64 v[4:5], v[2:3], 0, v[62:63]
	global_load_dwordx4 v[30:33], v[4:5], off
	v_or_b32_e32 v58, 0x1800, v54
	v_mov_b32_e32 v59, v55
	v_lshl_add_u64 v[2:3], v[2:3], 0, v[58:59]
	global_load_dwordx4 v[22:25], v[2:3], off
	v_lshl_add_u64 v[4:5], v[20:21], 0, v[62:63]
	global_load_dwordx4 v[26:29], v[4:5], off
	;; [unrolled: 2-line block ×3, first 2 shown]
	v_lshl_or_b32 v48, v35, 5, v54
	ds_read_b128 v[2:5], v48
	s_waitcnt vmcnt(11)
	v_mad_i64_i32 v[64:65], s[12:13], v34, s9, 0
	ds_read_b128 v[34:37], v48 offset:2048
	global_load_dwordx4 v[76:79], v[46:47], off offset:2048
	ds_read_b128 v[50:53], v48 offset:4096
	ds_read_b128 v[46:49], v48 offset:6144
	s_ashr_i32 s12, s18, 31
	v_and_or_b32 v74, v0, 48, s18
	v_mov_b32_e32 v75, s19
	v_cmp_gt_i32_e32 vcc, s40, v74
	v_or_b32_e32 v84, 64, v74
	v_or_b32_e32 v85, 0x80, v74
	;; [unrolled: 1-line block ×3, first 2 shown]
	v_mov_b32_e32 v1, v87
	s_mov_b32 s42, 0xff7fffff
	s_waitcnt vmcnt(7) lgkmcnt(3)
	v_mfma_f32_16x16x16_f16 v[80:83], v[6:7], v[2:3], 0
	v_lshl_add_u64 v[6:7], v[64:65], 1, s[10:11]
	s_lshr_b32 s10, s12, 27
	v_lshl_add_u64 v[6:7], v[6:7], 0, v[56:57]
	v_mfma_f32_16x16x16_f16 v[70:73], v[10:11], v[2:3], 0
	v_lshl_add_u64 v[64:65], v[6:7], 0, v[54:55]
	v_lshl_add_u64 v[56:57], v[60:61], 0, v[58:59]
	s_add_u32 s4, s14, s4
	v_mfma_f32_16x16x16_f16 v[66:69], v[14:15], v[2:3], 0
	s_addc_u32 s5, s15, s5
	v_mfma_f32_16x16x16_f16 v[10:13], v[12:13], v[4:5], v[70:73]
	v_mfma_f32_16x16x16_f16 v[14:17], v[16:17], v[4:5], v[66:69]
	s_nop 1
	v_lshl_add_u64 v[72:73], v[6:7], 0, v[62:63]
	s_waitcnt vmcnt(5) lgkmcnt(2)
	v_mfma_f32_16x16x16_f16 v[10:13], v[38:39], v[34:35], v[10:13]
	v_add_u32_e32 v66, s10, v74
	v_ashrrev_i32_e32 v54, 5, v66
	v_add_u32_e32 v67, s10, v84
	v_mfma_f32_16x16x16_f16 v[14:17], v[42:43], v[34:35], v[14:17]
	v_lshl_add_u64 v[42:43], v[60:61], 0, v[62:63]
	v_ashrrev_i32_e32 v60, 5, v67
	v_add_u32_e32 v68, s10, v85
	v_mfma_f32_16x16x16_f16 v[10:13], v[40:41], v[36:37], v[10:13]
	global_load_dwordx4 v[38:41], v[42:43], off
	v_cndmask_b32_e32 v42, v75, v54, vcc
	v_ashrrev_i32_e32 v43, 31, v42
	v_mfma_f32_16x16x16_f16 v[14:17], v[44:45], v[36:37], v[14:17]
	v_cmp_gt_i32_e32 vcc, s40, v84
	v_ashrrev_i32_e32 v66, 5, v68
	v_add_u32_e32 v69, s10, v86
	s_waitcnt vmcnt(5) lgkmcnt(1)
	v_mfma_f32_16x16x16_f16 v[14:17], v[30:31], v[50:51], v[14:17]
	v_lshl_add_u64 v[30:31], v[42:43], 2, s[6:7]
	global_load_dwordx4 v[42:45], v[56:57], off
	v_ashrrev_i32_e32 v68, 5, v69
	global_load_dword v30, v[30:31], off
	s_waitcnt vmcnt(5)
	v_mfma_f32_16x16x16_f16 v[10:13], v[26:27], v[50:51], v[10:13]
	v_cndmask_b32_e32 v26, v75, v60, vcc
	v_ashrrev_i32_e32 v27, 31, v26
	v_lshl_add_u64 v[26:27], v[26:27], 2, s[6:7]
	global_load_dwordx4 v[60:63], v[64:65], off
	global_load_dword v56, v[26:27], off
	v_mfma_f32_16x16x16_f16 v[14:17], v[32:33], v[52:53], v[14:17]
	v_cmp_gt_i32_e32 vcc, s40, v85
	s_nop 1
	v_cndmask_b32_e32 v26, v75, v66, vcc
	v_ashrrev_i32_e32 v27, 31, v26
	s_waitcnt lgkmcnt(0)
	v_mfma_f32_16x16x16_f16 v[14:17], v[22:23], v[46:47], v[14:17]
	v_lshl_add_u64 v[22:23], v[26:27], 2, s[6:7]
	global_load_dword v57, v[22:23], off
	v_cmp_gt_i32_e32 vcc, s40, v86
	global_load_dwordx4 v[64:67], v[64:65], off offset:2048
	v_mfma_f32_16x16x16_f16 v[10:13], v[28:29], v[52:53], v[10:13]
	global_load_dwordx4 v[84:87], v[72:73], off
	s_waitcnt vmcnt(9)
	v_mfma_f32_16x16x16_f16 v[10:13], v[18:19], v[46:47], v[10:13]
	v_cndmask_b32_e32 v18, v75, v68, vcc
	v_ashrrev_i32_e32 v19, 31, v18
	v_mfma_f32_16x16x16_f16 v[90:93], v[20:21], v[48:49], v[10:13]
	s_nop 3
	v_lshl_add_u64 v[10:11], v[6:7], 0, v[58:59]
	global_load_dwordx4 v[72:75], v[10:11], off
	v_mfma_f32_16x16x16_f16 v[68:71], v[24:25], v[48:49], v[14:17]
	v_and_b32_e32 v10, 16, v0
	v_lshlrev_b32_e32 v54, 1, v10
	v_and_b32_e32 v10, 15, v0
	v_lshl_add_u64 v[14:15], v[18:19], 2, s[6:7]
	global_load_dword v88, v[14:15], off
	v_mfma_f32_16x16x16_f16 v[6:9], v[8:9], v[4:5], v[80:83]
	v_lshl_or_b32 v89, v89, 4, v10
	s_waitcnt vmcnt(10)
	v_mfma_f32_16x16x16_f16 v[6:9], v[76:77], v[34:35], v[6:9]
	v_lshl_add_u64 v[76:77], s[4:5], 0, v[54:55]
	v_lshlrev_b32_e32 v54, 6, v89
	v_pk_mul_f32 v[82:83], s[8:9], v[92:93] op_sel_hi:[0,1]
	v_mfma_f32_16x16x16_f16 v[6:9], v[78:79], v[36:37], v[6:9]
	v_lshl_add_u64 v[78:79], v[76:77], 0, v[54:55]
	v_or_b32_e32 v54, 0x1000, v54
	s_waitcnt vmcnt(7)
	v_mad_i64_i32 v[10:11], s[4:5], v30, s9, 0
	v_mfma_f32_16x16x16_f16 v[6:9], v[38:39], v[50:51], v[6:9]
	v_lshlrev_b64 v[80:81], 1, v[10:11]
	v_lshl_add_u64 v[10:11], v[78:79], 0, v[80:81]
	global_load_dwordx4 v[30:33], v[10:11], off
	global_load_dwordx4 v[26:29], v[10:11], off offset:16
	v_mfma_f32_16x16x16_f16 v[6:9], v[40:41], v[52:53], v[6:9]
	s_waitcnt vmcnt(7)
	v_mad_i64_i32 v[10:11], s[4:5], v56, s9, 0
	v_mfma_f32_16x16x16_f16 v[6:9], v[42:43], v[46:47], v[6:9]
	v_lshlrev_b64 v[42:43], 1, v[10:11]
	v_mfma_f32_16x16x16_f16 v[38:41], v[44:45], v[48:49], v[6:9]
	s_nop 4
	v_lshl_add_u64 v[6:7], v[78:79], 0, v[42:43]
	global_load_dwordx4 v[22:25], v[6:7], off
	global_load_dwordx4 v[18:21], v[6:7], off offset:16
	v_mfma_f32_16x16x16_f16 v[6:9], v[60:61], v[2:3], 0
	s_waitcnt vmcnt(8)
	v_mad_i64_i32 v[2:3], s[4:5], v57, s9, 0
	v_lshlrev_b64 v[56:57], 1, v[2:3]
	v_mfma_f32_16x16x16_f16 v[2:5], v[62:63], v[4:5], v[6:9]
	v_pk_mul_f32 v[60:61], s[8:9], v[68:69] op_sel_hi:[0,1]
	v_lshl_add_u64 v[62:63], v[76:77], 0, v[54:55]
	v_lshl_add_u64 v[44:45], v[62:63], 0, v[80:81]
	s_waitcnt vmcnt(7)
	v_mfma_f32_16x16x16_f16 v[2:5], v[64:65], v[34:35], v[2:5]
	v_lshl_add_u64 v[6:7], v[78:79], 0, v[56:57]
	global_load_dwordx4 v[14:17], v[6:7], off
	global_load_dwordx4 v[10:13], v[6:7], off offset:16
	v_pk_mul_f32 v[80:81], s[8:9], v[70:71] op_sel_hi:[0,1]
	v_mfma_f32_16x16x16_f16 v[34:37], v[66:67], v[36:37], v[2:5]
	v_pk_mul_f32 v[70:71], s[8:9], v[90:91] op_sel_hi:[0,1]
	v_pk_mul_f32 v[76:77], s[8:9], v[40:41] op_sel_hi:[0,1]
	s_waitcnt vmcnt(6)
	v_mad_i64_i32 v[6:7], s[4:5], v88, s9, 0
	v_mfma_f32_16x16x16_f16 v[34:37], v[84:85], v[50:51], v[34:37]
	v_lshlrev_b64 v[58:59], 1, v[6:7]
	v_lshl_add_u64 v[2:3], v[78:79], 0, v[58:59]
	v_pk_mul_f32 v[78:79], s[8:9], v[38:39] op_sel_hi:[0,1]
	v_mfma_f32_16x16x16_f16 v[34:37], v[86:87], v[52:53], v[34:37]
	v_lshl_add_u64 v[58:59], v[62:63], 0, v[58:59]
	global_load_dwordx4 v[6:9], v[2:3], off
	s_nop 0
	global_load_dwordx4 v[2:5], v[2:3], off offset:16
	v_mfma_f32_16x16x16_f16 v[34:37], v[72:73], v[46:47], v[34:37]
	v_mfma_f32_16x16x16_f16 v[34:37], v[74:75], v[48:49], v[34:37]
	s_nop 6
	v_pk_mul_f32 v[72:73], s[8:9], v[34:35] op_sel_hi:[0,1]
	v_and_b32_e32 v34, 0xc0, v0
	v_add_u32_e32 v34, s18, v34
	v_lshl_or_b32 v34, v1, 2, v34
	v_pk_mul_f32 v[66:67], s[8:9], v[36:37] op_sel_hi:[0,1]
	v_or_b32_e32 v37, 1, v34
	v_mov_b32_e32 v35, 0xff7fffff
	v_cmp_gt_i32_e64 s[4:5], s40, v34
	v_cmp_gt_i32_e64 s[34:35], s40, v37
	v_or_b32_e32 v38, 3, v34
	v_cndmask_b32_e64 v36, v35, v60, s[4:5]
	v_cndmask_b32_e64 v37, v35, v61, s[34:35]
	v_max3_f32 v36, v36, s42, v37
	v_or_b32_e32 v37, 2, v34
	v_cmp_gt_i32_e64 s[36:37], s40, v37
	v_cmp_gt_i32_e64 s[38:39], s40, v38
	v_and_b32_e32 v1, 63, v0
	v_cndmask_b32_e64 v37, v35, v80, s[36:37]
	v_cndmask_b32_e64 v38, v35, v81, s[38:39]
	v_max3_f32 v36, v36, v37, v38
	v_or_b32_e32 v37, 16, v34
	v_or_b32_e32 v38, 17, v34
	v_cmp_gt_i32_e64 s[24:25], s40, v37
	v_cmp_gt_i32_e64 s[26:27], s40, v38
	s_nop 0
	v_cndmask_b32_e64 v37, v35, v70, s[24:25]
	v_cndmask_b32_e64 v38, v35, v71, s[26:27]
	v_max3_f32 v36, v36, v37, v38
	v_or_b32_e32 v37, 18, v34
	v_or_b32_e32 v38, 19, v34
	v_cmp_gt_i32_e64 s[20:21], s40, v37
	v_cmp_gt_i32_e64 s[22:23], s40, v38
	s_nop 0
	;; [unrolled: 8-line block ×5, first 2 shown]
	v_cndmask_b32_e64 v37, v35, v72, s[8:9]
	v_cndmask_b32_e64 v38, v35, v73, s[10:11]
	v_max3_f32 v36, v36, v37, v38
	v_or_b32_e32 v37, 50, v34
	v_or_b32_e32 v34, 51, v34
	v_cmp_gt_i32_e32 vcc, s40, v37
	v_cmp_gt_i32_e64 s[6:7], s40, v34
	global_load_dwordx4 v[46:49], v[44:45], off
	global_load_dwordx4 v[38:41], v[44:45], off offset:16
	v_cndmask_b32_e32 v37, v35, v66, vcc
	v_cndmask_b32_e64 v34, v35, v67, s[6:7]
	v_max3_f32 v50, v36, v37, v34
	v_mbcnt_lo_u32_b32 v34, -1, 0
	v_mbcnt_hi_u32_b32 v51, -1, v34
	v_and_b32_e32 v34, 64, v51
	v_add_u32_e32 v52, 64, v34
	v_xor_b32_e32 v34, 32, v51
	v_cmp_lt_i32_e64 s[40:41], v34, v52
	s_nop 1
	v_cndmask_b32_e64 v34, v51, v34, s[40:41]
	v_lshlrev_b32_e32 v74, 2, v34
	ds_bpermute_b32 v53, v74, v50
	v_lshl_add_u64 v[34:35], v[62:63], 0, v[42:43]
	global_load_dwordx4 v[42:45], v[34:35], off
	s_nop 0
	global_load_dwordx4 v[34:37], v[34:35], off offset:16
	s_waitcnt lgkmcnt(0)
	v_max_f32_e32 v53, v53, v53
	v_max_f32_e32 v64, v50, v53
	v_xor_b32_e32 v50, 16, v51
	v_cmp_lt_i32_e64 s[40:41], v50, v52
	s_nop 1
	v_cndmask_b32_e64 v50, v51, v50, s[40:41]
	v_lshlrev_b32_e32 v75, 2, v50
	ds_bpermute_b32 v65, v75, v64
	v_lshl_add_u64 v[50:51], v[62:63], 0, v[56:57]
	global_load_dwordx4 v[54:57], v[50:51], off
	s_nop 0
	global_load_dwordx4 v[50:53], v[50:51], off offset:16
	s_waitcnt lgkmcnt(0)
	v_max_f32_e32 v62, v65, v65
	v_max_f32_e32 v90, v64, v62
	v_sub_f32_e32 v60, v60, v90
	v_mul_f32_e32 v60, 0x3fb8aa3b, v60
	v_exp_f32_e32 v68, v60
	v_sub_f32_e32 v60, v61, v90
	v_mul_f32_e32 v60, 0x3fb8aa3b, v60
	v_exp_f32_e32 v69, v60
	global_load_dwordx4 v[62:65], v[58:59], off
	s_nop 0
	global_load_dwordx4 v[58:61], v[58:59], off offset:16
	v_sub_f32_e32 v80, v80, v90
	v_mul_f32_e32 v80, 0x3fb8aa3b, v80
	v_sub_f32_e32 v81, v81, v90
	v_exp_f32_e32 v80, v80
	v_mul_f32_e32 v81, 0x3fb8aa3b, v81
	v_sub_f32_e32 v70, v70, v90
	v_exp_f32_e32 v81, v81
	v_mul_f32_e32 v70, 0x3fb8aa3b, v70
	v_sub_f32_e32 v71, v71, v90
	v_cndmask_b32_e64 v68, 0, v68, s[4:5]
	v_exp_f32_e32 v70, v70
	v_mul_f32_e32 v71, 0x3fb8aa3b, v71
	v_sub_f32_e32 v82, v82, v90
	v_add_f32_e32 v84, 0, v68
	v_cndmask_b32_e64 v69, 0, v69, s[34:35]
	v_exp_f32_e32 v71, v71
	v_mul_f32_e32 v82, 0x3fb8aa3b, v82
	v_sub_f32_e32 v83, v83, v90
	v_add_f32_e32 v84, v84, v69
	;; [unrolled: 5-line block ×10, first 2 shown]
	v_cndmask_b32_e64 v76, 0, v76, s[12:13]
	v_exp_f32_e32 v66, v66
	v_mul_f32_e32 v67, 0x3fb8aa3b, v67
	v_add_f32_e32 v84, v84, v76
	v_cndmask_b32_e64 v77, 0, v77, s[14:15]
	v_exp_f32_e32 v67, v67
	v_add_f32_e32 v84, v84, v77
	v_cndmask_b32_e64 v72, 0, v72, s[8:9]
	v_add_f32_e32 v84, v84, v72
	v_cndmask_b32_e64 v73, 0, v73, s[10:11]
	v_add_f32_e32 v84, v84, v73
	v_cndmask_b32_e32 v66, 0, v66, vcc
	v_add_f32_e32 v84, v84, v66
	v_cndmask_b32_e64 v67, 0, v67, s[6:7]
	v_add_f32_e32 v84, v84, v67
	ds_bpermute_b32 v74, v74, v84
	v_cmp_gt_u32_e32 vcc, 16, v1
	s_waitcnt lgkmcnt(0)
	s_barrier
	v_add_f32_e32 v91, v84, v74
	ds_bpermute_b32 v92, v75, v91
	s_and_saveexec_b64 s[4:5], vcc
	s_cbranch_execz .LBB343_15
; %bb.14:
	s_waitcnt lgkmcnt(0)
	v_add_f32_e32 v74, v91, v92
	v_lshlrev_b32_e32 v75, 2, v89
	ds_write2st64_b32 v75, v90, v74 offset1:1
.LBB343_15:
	s_or_b64 exec, exec, s[4:5]
	v_and_b32_e32 v1, 15, v0
	v_lshlrev_b32_e32 v89, 2, v1
	s_load_dword s6, s[0:1], 0x94
	s_waitcnt lgkmcnt(0)
	s_barrier
	ds_read2_b32 v[74:75], v89 offset1:16
	ds_read2_b32 v[84:85], v89 offset0:32 offset1:48
	s_lshl_b32 s7, s33, 2
	s_waitcnt lgkmcnt(1)
	v_max3_f32 v86, v74, s42, v75
	s_waitcnt lgkmcnt(0)
	v_max3_f32 v88, v86, v84, v85
	v_sub_f32_e32 v74, v74, v88
	v_mul_f32_e32 v74, 0x3fb8aa3b, v74
	v_exp_f32_e32 v90, v74
	v_sub_f32_e32 v74, v75, v88
	v_mul_f32_e32 v74, 0x3fb8aa3b, v74
	ds_read2_b32 v[86:87], v89 offset0:64 offset1:80
	v_exp_f32_e32 v91, v74
	v_sub_f32_e32 v74, v84, v88
	v_mul_f32_e32 v74, 0x3fb8aa3b, v74
	v_exp_f32_e32 v84, v74
	ds_read2_b32 v[74:75], v89 offset0:96 offset1:112
	v_sub_f32_e32 v85, v85, v88
	v_mul_f32_e32 v85, 0x3fb8aa3b, v85
	v_exp_f32_e32 v85, v85
	s_waitcnt lgkmcnt(1)
	v_fma_f32 v89, v90, v86, 0
	v_fmac_f32_e32 v89, v91, v87
	s_waitcnt lgkmcnt(0)
	v_fmac_f32_e32 v89, v84, v74
	v_fmac_f32_e32 v89, v85, v75
	v_add_f32_e32 v74, 0x358637bd, v89
	v_div_scale_f32 v75, s[4:5], v74, v74, 1.0
	v_rcp_f32_e32 v86, v75
	s_barrier
	v_fma_f32 v87, -v75, v86, 1.0
	v_fmac_f32_e32 v86, v87, v86
	v_div_scale_f32 v87, vcc, 1.0, v74, 1.0
	v_mul_f32_e32 v92, v87, v86
	v_fma_f32 v93, -v75, v92, v87
	v_fmac_f32_e32 v92, v93, v86
	v_fma_f32 v75, -v75, v92, v87
	v_lshrrev_b32_e32 v87, 6, v0
	v_div_fmas_f32 v75, v75, v86, v92
	v_cmp_eq_u32_e32 vcc, 1, v87
	v_div_fixup_f32 v74, v75, v74, 1.0
	v_bfe_u32 v86, v0, 4, 2
	v_cndmask_b32_e32 v75, v90, v91, vcc
	v_cmp_eq_u32_e32 vcc, 2, v87
	s_nop 1
	v_cndmask_b32_e32 v75, v75, v84, vcc
	v_cmp_eq_u32_e32 vcc, 3, v87
	s_nop 1
	v_cndmask_b32_e32 v75, v75, v85, vcc
	v_mul_f32_e32 v74, v75, v74
	v_pk_mul_f32 v[80:81], v[74:75], v[80:81] op_sel_hi:[0,1]
	v_pk_mul_f32 v[68:69], v[74:75], v[68:69] op_sel_hi:[0,1]
	v_cvt_f16_f32_e32 v75, v80
	v_cvt_f16_f32_e32 v80, v81
	;; [unrolled: 1-line block ×4, first 2 shown]
	v_pk_mul_f32 v[70:71], v[74:75], v[70:71] op_sel_hi:[0,1]
	v_pack_b32_f16 v85, v75, v80
	v_pk_mul_f32 v[80:81], v[74:75], v[82:83] op_sel_hi:[0,1]
	v_cvt_f16_f32_e32 v70, v70
	v_cvt_f16_f32_e32 v71, v71
	;; [unrolled: 1-line block ×4, first 2 shown]
	v_pack_b32_f16 v84, v68, v69
	v_lshlrev_b32_e32 v69, 3, v86
	v_lshlrev_b32_e32 v68, 5, v1
	;; [unrolled: 1-line block ×3, first 2 shown]
	v_or3_b32 v80, v80, v68, v69
	v_pack_b32_f16 v70, v70, v71
	v_pack_b32_f16 v71, v75, v81
	ds_write2st64_b64 v80, v[84:85], v[70:71] offset1:1
	v_pk_mul_f32 v[70:71], v[74:75], v[76:77] op_sel_hi:[0,1]
	v_pk_mul_f32 v[76:77], v[74:75], v[78:79] op_sel_hi:[0,1]
	v_cvt_f16_f32_e32 v75, v77
	v_cvt_f16_f32_e32 v69, v76
	;; [unrolled: 1-line block ×4, first 2 shown]
	v_pk_mul_f32 v[66:67], v[74:75], v[66:67] op_sel_hi:[0,1]
	v_pk_mul_f32 v[70:71], v[74:75], v[72:73] op_sel_hi:[0,1]
	v_cvt_f16_f32_e32 v70, v70
	v_cvt_f16_f32_e32 v71, v71
	;; [unrolled: 1-line block ×4, first 2 shown]
	v_pack_b32_f16 v66, v69, v75
	v_pack_b32_f16 v67, v76, v77
	;; [unrolled: 1-line block ×4, first 2 shown]
	v_cmp_gt_u32_e32 vcc, 4, v0
	ds_write2st64_b64 v80, v[66:67], v[70:71] offset0:2 offset1:3
	s_and_saveexec_b64 s[4:5], vcc
	s_cbranch_execz .LBB343_17
; %bb.16:
	v_or_b32_e32 v66, s29, v0
	v_mov_b32_e32 v67, 0
	v_mov_b32_e32 v69, s7
	v_mad_u64_u32 v[70:71], s[12:13], s2, v69, v[66:67]
	v_mov_b32_e32 v66, s28
	s_load_dwordx4 s[8:11], s[0:1], 0x58
	s_mul_i32 s3, s3, s7
	v_mad_u64_u32 v[66:67], s[12:13], v70, s6, v[66:67]
	v_add_u32_e32 v69, s3, v71
	v_mov_b32_e32 v70, v67
	v_mad_u64_u32 v[70:71], s[12:13], v69, s6, v[70:71]
	v_mov_b32_e32 v67, v70
	v_lshlrev_b64 v[66:67], 2, v[66:67]
	s_waitcnt lgkmcnt(0)
	v_lshl_add_u64 v[70:71], s[10:11], 0, v[66:67]
	v_lshl_add_u64 v[66:67], s[8:9], 0, v[66:67]
	global_store_dword v[70:71], v88, off
	global_store_dword v[66:67], v89, off
.LBB343_17:
	s_or_b64 exec, exec, s[4:5]
	v_lshl_or_b32 v1, v86, 9, v68
	s_waitcnt lgkmcnt(0)
	s_barrier
	ds_read_b128 v[70:73], v1
	ds_read_b128 v[66:69], v1 offset:16
	s_waitcnt vmcnt(15) lgkmcnt(1)
	v_mfma_f32_16x16x16_f16 v[74:77], v[30:31], v[70:71], 0
	s_mov_b32 s3, 0
	v_mfma_f32_16x16x16_f16 v[30:33], v[32:33], v[72:73], v[74:77]
	s_waitcnt vmcnt(14) lgkmcnt(0)
	v_mfma_f32_16x16x16_f16 v[30:33], v[26:27], v[66:67], v[30:33]
	v_mfma_f32_16x16x16_f16 v[26:29], v[28:29], v[68:69], v[30:33]
	s_nop 5
	ds_read_b128 v[30:33], v1 offset:2048
	ds_read_b128 v[74:77], v1 offset:2064
	s_waitcnt vmcnt(13) lgkmcnt(1)
	v_mfma_f32_16x16x16_f16 v[26:29], v[22:23], v[30:31], v[26:29]
	v_mfma_f32_16x16x16_f16 v[22:25], v[24:25], v[32:33], v[26:29]
	s_waitcnt vmcnt(12) lgkmcnt(0)
	v_mfma_f32_16x16x16_f16 v[22:25], v[18:19], v[74:75], v[22:25]
	v_mfma_f32_16x16x16_f16 v[18:21], v[20:21], v[76:77], v[22:25]
	s_nop 5
	ds_read_b128 v[22:25], v1 offset:4096
	ds_read_b128 v[26:29], v1 offset:4112
	s_waitcnt vmcnt(11) lgkmcnt(1)
	v_mfma_f32_16x16x16_f16 v[18:21], v[14:15], v[22:23], v[18:21]
	v_mfma_f32_16x16x16_f16 v[14:17], v[16:17], v[24:25], v[18:21]
	s_waitcnt vmcnt(10) lgkmcnt(0)
	v_mfma_f32_16x16x16_f16 v[14:17], v[10:11], v[26:27], v[14:17]
	v_mfma_f32_16x16x16_f16 v[10:13], v[12:13], v[28:29], v[14:17]
	s_nop 5
	ds_read_b128 v[14:17], v1 offset:6144
	ds_read_b128 v[18:21], v1 offset:6160
	s_waitcnt lgkmcnt(0)
	s_barrier
	s_waitcnt vmcnt(9)
	v_mfma_f32_16x16x16_f16 v[10:13], v[6:7], v[14:15], v[10:13]
	v_mfma_f32_16x16x16_f16 v[6:9], v[8:9], v[16:17], v[10:13]
	s_waitcnt vmcnt(8)
	v_mfma_f32_16x16x16_f16 v[6:9], v[2:3], v[18:19], v[6:9]
	v_mfma_f32_16x16x16_f16 v[2:5], v[4:5], v[20:21], v[6:9]
	;; [unrolled: 3-line block ×3, first 2 shown]
	s_nop 3
	v_cvt_f16_f32_e32 v1, v2
	v_cvt_f16_f32_e32 v10, v3
	;; [unrolled: 1-line block ×3, first 2 shown]
	s_waitcnt vmcnt(6)
	v_mfma_f32_16x16x16_f16 v[6:9], v[38:39], v[66:67], v[6:9]
	v_cvt_f16_f32_e32 v12, v5
	v_mfma_f32_16x16x16_f16 v[6:9], v[40:41], v[68:69], v[6:9]
	s_waitcnt vmcnt(5)
	v_mfma_f32_16x16x16_f16 v[6:9], v[42:43], v[30:31], v[6:9]
	v_mfma_f32_16x16x16_f16 v[6:9], v[44:45], v[32:33], v[6:9]
	s_waitcnt vmcnt(4)
	v_mfma_f32_16x16x16_f16 v[6:9], v[34:35], v[74:75], v[6:9]
	;; [unrolled: 3-line block ×6, first 2 shown]
	v_mfma_f32_16x16x16_f16 v[2:5], v[60:61], v[20:21], v[6:9]
	s_nop 6
	v_cvt_f16_f32_e32 v6, v2
	v_cvt_f16_f32_e32 v7, v3
	;; [unrolled: 1-line block ×4, first 2 shown]
	v_pack_b32_f16 v2, v1, v10
	v_pack_b32_f16 v3, v11, v12
	;; [unrolled: 1-line block ×4, first 2 shown]
	ds_write2st64_b64 v80, v[2:3], v[4:5] offset1:1
	s_waitcnt lgkmcnt(0)
	s_barrier
	s_and_saveexec_b64 s[4:5], s[30:31]
	s_cbranch_execz .LBB343_19
; %bb.18:
	v_and_b32_e32 v2, 15, v0
	v_lshlrev_b32_e32 v2, 6, v2
	v_lshlrev_b32_e32 v1, 4, v0
	v_lshl_or_b32 v0, v0, 10, v2
	scratch_load_dword v2, off, off offset:4 ; 4-byte Folded Reload
	scratch_load_dword v4, off, off         ; 4-byte Folded Reload
	s_load_dwordx2 s[0:1], s[0:1], 0x68
	s_lshl_b32 s6, s6, 7
	s_mul_i32 s2, s7, s2
	s_mul_hi_u32 s5, s2, s6
	s_mul_i32 s4, s2, s6
	s_lshl_b64 s[4:5], s[4:5], 1
	v_and_b32_e32 v1, 16, v1
	v_and_b32_e32 v0, 0x1a00, v0
	s_waitcnt lgkmcnt(0)
	s_add_u32 s4, s0, s4
	s_addc_u32 s5, s1, s5
	s_lshl_b32 s2, s28, 7
	s_lshl_b64 s[0:1], s[2:3], 1
	s_add_u32 s0, s4, s0
	s_addc_u32 s1, s5, s1
	s_waitcnt vmcnt(1)
	v_or3_b32 v0, v0, v2, v1
	ds_read_b128 v[0:3], v0
	s_waitcnt vmcnt(0)
	v_mad_u64_u32 v[4:5], s[2:3], s6, v4, 0
	v_lshl_add_u64 v[4:5], v[4:5], 1, s[0:1]
	v_lshl_add_u64 v[4:5], v[94:95], 1, v[4:5]
	s_waitcnt lgkmcnt(0)
	global_store_dwordx4 v[4:5], v[0:3], off
.LBB343_19:
	s_endpgm
	.section	.rodata,"a",@progbits
	.p2align	6, 0x0
	.amdhsa_kernel _Z39paged_attention_ll4mi_QKV_mfma16_kernelIDF16_DF16_LN4vllm18Fp8KVCacheDataTypeE0EhLi32ELi128ELi256ELb0ELi4EEvPKT_PKT0_S7_ifPKiS9_S9_iPKfiiiPfSC_PS2_PT2_iSB_SB_
		.amdhsa_group_segment_fixed_size 8192
		.amdhsa_private_segment_fixed_size 12
		.amdhsa_kernarg_size 400
		.amdhsa_user_sgpr_count 2
		.amdhsa_user_sgpr_dispatch_ptr 0
		.amdhsa_user_sgpr_queue_ptr 0
		.amdhsa_user_sgpr_kernarg_segment_ptr 1
		.amdhsa_user_sgpr_dispatch_id 0
		.amdhsa_user_sgpr_kernarg_preload_length 0
		.amdhsa_user_sgpr_kernarg_preload_offset 0
		.amdhsa_user_sgpr_private_segment_size 0
		.amdhsa_uses_dynamic_stack 0
		.amdhsa_enable_private_segment 1
		.amdhsa_system_sgpr_workgroup_id_x 1
		.amdhsa_system_sgpr_workgroup_id_y 1
		.amdhsa_system_sgpr_workgroup_id_z 1
		.amdhsa_system_sgpr_workgroup_info 0
		.amdhsa_system_vgpr_workitem_id 0
		.amdhsa_next_free_vgpr 96
		.amdhsa_next_free_sgpr 43
		.amdhsa_accum_offset 96
		.amdhsa_reserve_vcc 1
		.amdhsa_float_round_mode_32 0
		.amdhsa_float_round_mode_16_64 0
		.amdhsa_float_denorm_mode_32 3
		.amdhsa_float_denorm_mode_16_64 3
		.amdhsa_dx10_clamp 1
		.amdhsa_ieee_mode 1
		.amdhsa_fp16_overflow 0
		.amdhsa_tg_split 0
		.amdhsa_exception_fp_ieee_invalid_op 0
		.amdhsa_exception_fp_denorm_src 0
		.amdhsa_exception_fp_ieee_div_zero 0
		.amdhsa_exception_fp_ieee_overflow 0
		.amdhsa_exception_fp_ieee_underflow 0
		.amdhsa_exception_fp_ieee_inexact 0
		.amdhsa_exception_int_div_zero 0
	.end_amdhsa_kernel
	.section	.text._Z39paged_attention_ll4mi_QKV_mfma16_kernelIDF16_DF16_LN4vllm18Fp8KVCacheDataTypeE0EhLi32ELi128ELi256ELb0ELi4EEvPKT_PKT0_S7_ifPKiS9_S9_iPKfiiiPfSC_PS2_PT2_iSB_SB_,"axG",@progbits,_Z39paged_attention_ll4mi_QKV_mfma16_kernelIDF16_DF16_LN4vllm18Fp8KVCacheDataTypeE0EhLi32ELi128ELi256ELb0ELi4EEvPKT_PKT0_S7_ifPKiS9_S9_iPKfiiiPfSC_PS2_PT2_iSB_SB_,comdat
.Lfunc_end343:
	.size	_Z39paged_attention_ll4mi_QKV_mfma16_kernelIDF16_DF16_LN4vllm18Fp8KVCacheDataTypeE0EhLi32ELi128ELi256ELb0ELi4EEvPKT_PKT0_S7_ifPKiS9_S9_iPKfiiiPfSC_PS2_PT2_iSB_SB_, .Lfunc_end343-_Z39paged_attention_ll4mi_QKV_mfma16_kernelIDF16_DF16_LN4vllm18Fp8KVCacheDataTypeE0EhLi32ELi128ELi256ELb0ELi4EEvPKT_PKT0_S7_ifPKiS9_S9_iPKfiiiPfSC_PS2_PT2_iSB_SB_
                                        ; -- End function
	.section	.AMDGPU.csdata,"",@progbits
; Kernel info:
; codeLenInByte = 4544
; NumSgprs: 49
; NumVgprs: 96
; NumAgprs: 0
; TotalNumVgprs: 96
; ScratchSize: 12
; MemoryBound: 0
; FloatMode: 240
; IeeeMode: 1
; LDSByteSize: 8192 bytes/workgroup (compile time only)
; SGPRBlocks: 6
; VGPRBlocks: 11
; NumSGPRsForWavesPerEU: 49
; NumVGPRsForWavesPerEU: 96
; AccumOffset: 96
; Occupancy: 5
; WaveLimiterHint : 1
; COMPUTE_PGM_RSRC2:SCRATCH_EN: 1
; COMPUTE_PGM_RSRC2:USER_SGPR: 2
; COMPUTE_PGM_RSRC2:TRAP_HANDLER: 0
; COMPUTE_PGM_RSRC2:TGID_X_EN: 1
; COMPUTE_PGM_RSRC2:TGID_Y_EN: 1
; COMPUTE_PGM_RSRC2:TGID_Z_EN: 1
; COMPUTE_PGM_RSRC2:TIDIG_COMP_CNT: 0
; COMPUTE_PGM_RSRC3_GFX90A:ACCUM_OFFSET: 23
; COMPUTE_PGM_RSRC3_GFX90A:TG_SPLIT: 0
	.section	.text._Z38paged_attention_ll4mi_QKV_mfma4_kernelIDF16_DF16_LN4vllm18Fp8KVCacheDataTypeE0EDF16_Li32ELi128ELi256ELb1ELi1EEvPKT_PKT0_S7_ifPKiS9_S9_iPKfiiiPfSC_PS2_PT2_iSB_SB_,"axG",@progbits,_Z38paged_attention_ll4mi_QKV_mfma4_kernelIDF16_DF16_LN4vllm18Fp8KVCacheDataTypeE0EDF16_Li32ELi128ELi256ELb1ELi1EEvPKT_PKT0_S7_ifPKiS9_S9_iPKfiiiPfSC_PS2_PT2_iSB_SB_,comdat
	.protected	_Z38paged_attention_ll4mi_QKV_mfma4_kernelIDF16_DF16_LN4vllm18Fp8KVCacheDataTypeE0EDF16_Li32ELi128ELi256ELb1ELi1EEvPKT_PKT0_S7_ifPKiS9_S9_iPKfiiiPfSC_PS2_PT2_iSB_SB_ ; -- Begin function _Z38paged_attention_ll4mi_QKV_mfma4_kernelIDF16_DF16_LN4vllm18Fp8KVCacheDataTypeE0EDF16_Li32ELi128ELi256ELb1ELi1EEvPKT_PKT0_S7_ifPKiS9_S9_iPKfiiiPfSC_PS2_PT2_iSB_SB_
	.globl	_Z38paged_attention_ll4mi_QKV_mfma4_kernelIDF16_DF16_LN4vllm18Fp8KVCacheDataTypeE0EDF16_Li32ELi128ELi256ELb1ELi1EEvPKT_PKT0_S7_ifPKiS9_S9_iPKfiiiPfSC_PS2_PT2_iSB_SB_
	.p2align	8
	.type	_Z38paged_attention_ll4mi_QKV_mfma4_kernelIDF16_DF16_LN4vllm18Fp8KVCacheDataTypeE0EDF16_Li32ELi128ELi256ELb1ELi1EEvPKT_PKT0_S7_ifPKiS9_S9_iPKfiiiPfSC_PS2_PT2_iSB_SB_,@function
_Z38paged_attention_ll4mi_QKV_mfma4_kernelIDF16_DF16_LN4vllm18Fp8KVCacheDataTypeE0EDF16_Li32ELi128ELi256ELb1ELi1EEvPKT_PKT0_S7_ifPKiS9_S9_iPKfiiiPfSC_PS2_PT2_iSB_SB_: ; @_Z38paged_attention_ll4mi_QKV_mfma4_kernelIDF16_DF16_LN4vllm18Fp8KVCacheDataTypeE0EDF16_Li32ELi128ELi256ELb1ELi1EEvPKT_PKT0_S7_ifPKiS9_S9_iPKfiiiPfSC_PS2_PT2_iSB_SB_
; %bb.0:
	s_load_dwordx2 s[8:9], s[0:1], 0x30
	s_mov_b32 s16, s3
	s_mov_b64 s[6:7], 0
	s_waitcnt lgkmcnt(0)
	s_cmp_lg_u64 s[8:9], 0
	s_cselect_b64 s[10:11], -1, 0
	s_and_b64 vcc, exec, s[10:11]
	s_cbranch_vccz .LBB344_10
; %bb.1:
	s_add_i32 s12, s2, 1
	s_mov_b32 s13, 0
	s_lshl_b64 s[14:15], s[12:13], 2
	s_add_u32 s14, s8, s14
	s_mov_b32 s3, s13
	s_addc_u32 s15, s9, s15
	s_lshl_b64 s[12:13], s[2:3], 2
	s_add_u32 s12, s8, s12
	s_addc_u32 s13, s9, s13
	s_load_dword s5, s[14:15], 0x0
	s_load_dword s17, s[12:13], 0x0
	s_waitcnt lgkmcnt(0)
	s_sub_i32 s5, s5, s17
	s_cmp_eq_u32 s5, 1
	s_cselect_b64 s[12:13], -1, 0
	s_andn2_b64 vcc, exec, s[6:7]
	s_cbranch_vccnz .LBB344_3
.LBB344_2:
	s_mov_b32 s3, 0
	s_mov_b64 s[12:13], -1
.LBB344_3:
	s_andn2_b64 vcc, exec, s[12:13]
	s_cbranch_vccnz .LBB344_27
; %bb.4:
	s_load_dword s5, s[0:1], 0x9c
	s_load_dwordx2 s[6:7], s[0:1], 0x28
	s_add_u32 s20, s0, 0x90
	s_addc_u32 s21, s1, 0
	s_lshl_b64 s[24:25], s[2:3], 2
	s_waitcnt lgkmcnt(0)
	s_and_b32 s5, s5, 0xffff
	s_add_u32 s6, s6, s24
	s_addc_u32 s7, s7, s25
	s_load_dword s3, s[6:7], 0x0
	s_mul_i32 s5, s16, s5
	s_waitcnt lgkmcnt(0)
	s_cmp_ge_i32 s5, s3
	s_cbranch_scc1 .LBB344_27
; %bb.5:
	v_and_b32_e32 v1, 0xc0, v0
	v_add_u32_e32 v2, s5, v1
	v_lshrrev_b32_e32 v82, 6, v0
	v_cmp_le_i32_e64 s[6:7], s3, v2
                                        ; implicit-def: $sgpr26
                                        ; implicit-def: $sgpr17
	s_and_saveexec_b64 s[12:13], s[6:7]
	s_xor_b64 s[12:13], exec, s[12:13]
	s_cbranch_execz .LBB344_7
; %bb.6:
	v_mul_u32_u24_e32 v1, 20, v82
	v_or_b32_e32 v1, 0x1400, v1
	v_mov_b32_e32 v2, 0x1450
	v_mov_b32_e32 v3, 0xff7fffff
	v_mad_u32_u24 v2, v82, 20, v2
	ds_write2_b32 v1, v3, v3 offset1:1
	v_mov_b32_e32 v1, 0
	ds_write2_b32 v2, v1, v1 offset1:1
	v_mov_b32_e32 v2, 0x1408
	s_mov_b32 s17, 0xff7fffff
	s_mov_b32 s26, 0
	v_mad_u32_u24 v2, v82, 20, v2
	v_mov_b32_e32 v4, 0x1458
	v_mad_u32_u24 v4, v82, 20, v4
	ds_write2_b32 v2, v3, v3 offset1:1
	ds_write2_b32 v4, v1, v1 offset1:1
                                        ; implicit-def: $vgpr2
.LBB344_7:
	s_or_saveexec_b64 s[22:23], s[12:13]
	s_load_dwordx2 s[18:19], s[0:1], 0x68
	s_load_dwordx4 s[12:15], s[0:1], 0x58
	s_load_dword s33, s[20:21], 0x4
	v_and_b32_e32 v1, 63, v0
	v_and_b32_e32 v83, 3, v0
	v_mov_b32_e32 v69, s26
	v_mov_b32_e32 v70, s17
	;; [unrolled: 1-line block ×5, first 2 shown]
                                        ; implicit-def: $vgpr15
                                        ; implicit-def: $vgpr3
                                        ; implicit-def: $vgpr7
                                        ; implicit-def: $vgpr11
                                        ; implicit-def: $vgpr19
                                        ; implicit-def: $vgpr23
                                        ; implicit-def: $vgpr27
                                        ; implicit-def: $vgpr39
                                        ; implicit-def: $vgpr31
                                        ; implicit-def: $vgpr35
                                        ; implicit-def: $vgpr43
                                        ; implicit-def: $vgpr47
                                        ; implicit-def: $vgpr51
                                        ; implicit-def: $vgpr55
                                        ; implicit-def: $vgpr59
                                        ; implicit-def: $vgpr63
	s_xor_b64 exec, exec, s[22:23]
	s_cbranch_execz .LBB344_19
; %bb.8:
	s_add_i32 s28, s3, 31
	s_ashr_i32 s29, s28, 31
	s_lshr_b32 s29, s29, 27
	v_add_u32_e32 v84, s5, v0
	s_add_i32 s28, s28, s29
	v_ashrrev_i32_e32 v3, 31, v84
	s_load_dwordx2 s[26:27], s[0:1], 0x20
	s_load_dword s17, s[0:1], 0x38
	s_ashr_i32 s28, s28, 5
	v_lshrrev_b32_e32 v3, 27, v3
	s_add_i32 s30, s28, -1
	v_add_u32_e32 v3, v84, v3
	v_ashrrev_i32_e32 v3, 5, v3
	v_mov_b32_e32 v4, s30
	v_cmp_gt_i32_e32 vcc, s3, v84
	s_waitcnt lgkmcnt(0)
	s_mul_i32 s28, s2, s17
	s_mov_b32 s29, 0
	v_cndmask_b32_e32 v4, v4, v3, vcc
	v_ashrrev_i32_e32 v3, 31, v2
	v_lshrrev_b32_e32 v3, 27, v3
	v_add_u32_e32 v2, v2, v3
	s_lshl_b64 s[28:29], s[28:29], 2
	v_ashrrev_i32_e32 v8, 5, v2
	s_add_u32 s26, s26, s28
	v_min_i32_e32 v2, s30, v8
	s_addc_u32 s27, s27, s29
	v_ashrrev_i32_e32 v3, 31, v2
	v_lshl_add_u64 v[6:7], v[2:3], 2, s[26:27]
	v_add_u32_e32 v2, 1, v8
	v_ashrrev_i32_e32 v5, 31, v4
	v_min_i32_e32 v2, s30, v2
	v_lshl_add_u64 v[4:5], v[4:5], 2, s[26:27]
	v_ashrrev_i32_e32 v3, 31, v2
	v_lshl_add_u64 v[8:9], v[2:3], 2, s[26:27]
	global_load_dword v2, v[4:5], off
	global_load_dword v34, v[6:7], off
	;; [unrolled: 1-line block ×3, first 2 shown]
	s_load_dwordx2 s[28:29], s[0:1], 0x8
	s_andn2_b64 vcc, exec, s[10:11]
	s_cbranch_vccnz .LBB344_11
; %bb.9:
	s_add_u32 s8, s8, s24
	s_addc_u32 s9, s9, s25
	s_load_dword s5, s[8:9], 0x0
	s_branch .LBB344_12
.LBB344_10:
	s_mov_b64 s[12:13], 0
	s_branch .LBB344_2
.LBB344_11:
	s_mov_b32 s5, s2
.LBB344_12:
	s_load_dwordx2 s[24:25], s[0:1], 0x10
	s_load_dwordx4 s[8:11], s[0:1], 0x48
	v_cmp_eq_u32_e32 vcc, 0, v83
	s_mov_b32 s27, 0
	v_mov_b32_e32 v81, 0
	v_mov_b32_e32 v56, 0
	;; [unrolled: 1-line block ×5, first 2 shown]
	s_and_saveexec_b64 s[30:31], vcc
	s_cbranch_execz .LBB344_14
; %bb.13:
	s_load_dwordx2 s[34:35], s[0:1], 0x0
	s_waitcnt lgkmcnt(0)
	s_ashr_i32 s11, s8, 31
	s_mul_hi_u32 s17, s5, s8
	s_mul_i32 s11, s5, s11
	s_add_i32 s37, s17, s11
	s_mul_i32 s36, s5, s8
	s_lshl_b64 s[36:37], s[36:37], 1
	s_add_u32 s5, s34, s36
	s_addc_u32 s8, s35, s37
	s_lshl_b32 s26, s4, 7
	s_lshl_b64 s[34:35], s[26:27], 1
	s_add_u32 s34, s5, s34
	s_addc_u32 s35, s8, s35
	v_lshlrev_b32_e32 v3, 2, v1
	global_load_dwordx4 v[56:59], v3, s[34:35]
.LBB344_14:
	s_or_b64 exec, exec, s[30:31]
	s_waitcnt lgkmcnt(0)
	s_mul_i32 s26, s4, s10
	s_lshl_b64 s[10:11], s[26:27], 1
	s_add_u32 s28, s10, s28
	s_waitcnt vmcnt(2)
	v_mad_i64_i32 v[2:3], s[30:31], v2, s9, 0
	s_addc_u32 s29, s11, s29
	v_lshl_add_u64 v[44:45], v[2:3], 1, s[28:29]
	v_and_b32_e32 v2, 31, v0
	v_lshlrev_b32_e32 v80, 4, v2
	v_lshl_add_u64 v[22:23], v[44:45], 0, v[80:81]
	global_load_dwordx4 v[40:43], v[22:23], off
	global_load_dwordx4 v[30:33], v[22:23], off offset:512
	global_load_dwordx4 v[14:17], v[22:23], off offset:1024
	;; [unrolled: 1-line block ×7, first 2 shown]
	v_or_b32_e32 v22, 0x1000, v80
	v_mov_b32_e32 v23, v81
	v_lshl_add_u64 v[46:47], v[44:45], 0, v[22:23]
	v_or_b32_e32 v22, 0x1200, v80
	v_lshl_add_u64 v[48:49], v[44:45], 0, v[22:23]
	global_load_dwordx4 v[36:39], v[46:47], off
	global_load_dwordx4 v[22:25], v[48:49], off
	v_or_b32_e32 v46, 0x1400, v80
	v_mov_b32_e32 v47, v81
	v_lshl_add_u64 v[46:47], v[44:45], 0, v[46:47]
	v_or_b32_e32 v48, 0x1600, v80
	v_mov_b32_e32 v49, v81
	v_lshl_add_u64 v[48:49], v[44:45], 0, v[48:49]
	global_load_dwordx4 v[60:63], v[46:47], off
	global_load_dwordx4 v[50:53], v[48:49], off
	v_or_b32_e32 v46, 0x1800, v80
	v_mov_b32_e32 v47, v81
	v_lshl_add_u64 v[46:47], v[44:45], 0, v[46:47]
	v_or_b32_e32 v48, 0x1a00, v80
	v_mov_b32_e32 v49, v81
	v_or_b32_e32 v80, 0x1c00, v80
	v_mov_b32_e32 v35, 0x1e00
	v_lshl_add_u64 v[48:49], v[44:45], 0, v[48:49]
	global_load_dwordx4 v[72:75], v[46:47], off
	global_load_dwordx4 v[64:67], v[48:49], off
	v_lshl_add_u64 v[46:47], v[44:45], 0, v[80:81]
	v_lshl_or_b32 v80, v0, 4, v35
	v_lshl_add_u64 v[44:45], v[44:45], 0, v[80:81]
	global_load_dwordx4 v[76:79], v[46:47], off
	global_load_dwordx4 v[68:71], v[44:45], off
	v_mov_b32_e32 v80, 0
	s_and_saveexec_b64 s[28:29], vcc
	s_cbranch_execz .LBB344_16
; %bb.15:
	s_load_dwordx2 s[30:31], s[0:1], 0x40
	s_mov_b32 s5, s27
	s_lshl_b64 s[26:27], s[4:5], 2
	v_mov_b32_e32 v81, 1.0
	s_waitcnt lgkmcnt(0)
	s_add_u32 s26, s30, s26
	s_addc_u32 s27, s31, s27
	s_load_dword s5, s[26:27], 0x0
	s_waitcnt lgkmcnt(0)
	v_mov_b32_e32 v80, s5
.LBB344_16:
	s_or_b64 exec, exec, s[28:29]
	s_waitcnt vmcnt(15)
	v_mfma_f32_4x4x4_16b_f16 a[0:3], v[56:57], v[40:41], 0 cbsz:4
	v_mul_hi_i32 v35, v34, s9
	s_add_u32 s10, s24, s10
	v_mfma_f32_4x4x4_16b_f16 a[0:3], v[58:59], v[42:43], a[0:3] cbsz:4
	v_mov_b32_e32 v41, 0
	s_addc_u32 s11, s25, s11
	s_waitcnt vmcnt(14)
	v_mfma_f32_4x4x4_16b_f16 a[0:3], v[56:57], v[30:31], a[0:3] cbsz:4 abid:1
	v_ashrrev_i32_e32 v30, 31, v35
	v_lshrrev_b32_e32 v40, 29, v30
	v_mfma_f32_4x4x4_16b_f16 a[0:3], v[58:59], v[32:33], a[0:3] cbsz:4 abid:1
	v_mov_b32_e32 v87, v41
	s_load_dword s0, s[0:1], 0x1c
	s_waitcnt vmcnt(13)
	v_mfma_f32_4x4x4_16b_f16 a[0:3], v[56:57], v[14:15], a[0:3] cbsz:4 abid:2
	v_mad_i64_i32 v[14:15], s[24:25], v34, s9, v[40:41]
	s_nop 0
	v_mfma_f32_4x4x4_16b_f16 a[0:3], v[58:59], v[16:17], a[0:3] cbsz:4 abid:2
	v_lshlrev_b32_e32 v40, 6, v1
	v_or_b32_e32 v86, 0x1000, v40
	s_waitcnt vmcnt(12)
	v_mfma_f32_4x4x4_16b_f16 a[0:3], v[56:57], v[10:11], a[0:3] cbsz:4 abid:3
	v_lshlrev_b64 v[10:11], 1, v[14:15]
	v_and_b32_e32 v10, -16, v10
	v_mfma_f32_4x4x4_16b_f16 a[0:3], v[58:59], v[12:13], a[0:3] cbsz:4 abid:3
	v_lshl_add_u64 v[30:31], s[10:11], 0, v[10:11]
	v_lshl_add_u64 v[32:33], v[30:31], 0, v[40:41]
	s_waitcnt vmcnt(11)
	v_mfma_f32_4x4x4_16b_f16 a[0:3], v[56:57], v[6:7], a[0:3] cbsz:4 abid:4
	v_cmp_eq_u32_e32 vcc, 1, v83
	s_nop 0
	v_mfma_f32_4x4x4_16b_f16 a[0:3], v[58:59], v[8:9], a[0:3] cbsz:4 abid:4
	s_waitcnt vmcnt(10)
	s_nop 0
	v_mfma_f32_4x4x4_16b_f16 a[0:3], v[56:57], v[2:3], a[0:3] cbsz:4 abid:5
	s_nop 1
	v_mfma_f32_4x4x4_16b_f16 a[0:3], v[58:59], v[4:5], a[0:3] cbsz:4 abid:5
	global_load_dwordx4 v[14:17], v[32:33], off
	global_load_dwordx4 v[2:5], v[32:33], off offset:16
	s_waitcnt vmcnt(11)
	v_mfma_f32_4x4x4_16b_f16 a[0:3], v[56:57], v[26:27], a[0:3] cbsz:4 abid:6
	global_load_dwordx4 v[6:9], v[32:33], off offset:32
	global_load_dwordx4 v[10:13], v[32:33], off offset:48
	v_mfma_f32_4x4x4_16b_f16 a[0:3], v[58:59], v[28:29], a[0:3] cbsz:4 abid:6
	s_waitcnt vmcnt(12)
	s_nop 0
	v_mfma_f32_4x4x4_16b_f16 a[0:3], v[56:57], v[18:19], a[0:3] cbsz:4 abid:7
	v_lshl_add_u64 v[18:19], v[30:31], 0, v[86:87]
	s_nop 0
	v_mfma_f32_4x4x4_16b_f16 a[0:3], v[58:59], v[20:21], a[0:3] cbsz:4 abid:7
	s_waitcnt vmcnt(11)
	s_nop 0
	v_mfma_f32_4x4x4_16b_f16 a[0:3], v[56:57], v[36:37], a[0:3] cbsz:4 abid:8
	global_load_dwordx4 v[30:33], v[18:19], off
	global_load_dwordx4 v[34:37], v[18:19], off offset:16
	v_mfma_f32_4x4x4_16b_f16 a[0:3], v[58:59], v[38:39], a[0:3] cbsz:4 abid:8
	global_load_dwordx4 v[42:45], v[18:19], off offset:32
	global_load_dwordx4 v[46:49], v[18:19], off offset:48
	s_waitcnt vmcnt(14)
	v_mfma_f32_4x4x4_16b_f16 a[0:3], v[56:57], v[22:23], a[0:3] cbsz:4 abid:9
	v_mul_hi_i32 v18, v54, s9
	v_ashrrev_i32_e32 v18, 31, v18
	v_mfma_f32_4x4x4_16b_f16 a[0:3], v[58:59], v[24:25], a[0:3] cbsz:4 abid:9
	v_lshrrev_b32_e32 v18, 29, v18
	v_mov_b32_e32 v19, v41
	s_waitcnt vmcnt(13)
	v_mfma_f32_4x4x4_16b_f16 a[0:3], v[56:57], v[60:61], a[0:3] cbsz:4 abid:10
	v_mad_i64_i32 v[18:19], s[8:9], v54, s9, v[18:19]
	s_nop 0
	v_mfma_f32_4x4x4_16b_f16 a[0:3], v[58:59], v[62:63], a[0:3] cbsz:4 abid:10
	v_lshlrev_b64 v[18:19], 1, v[18:19]
	v_and_b32_e32 v18, -16, v18
	s_waitcnt vmcnt(12)
	v_mfma_f32_4x4x4_16b_f16 a[0:3], v[56:57], v[50:51], a[0:3] cbsz:4 abid:11
	v_lshl_add_u64 v[50:51], s[10:11], 0, v[18:19]
	s_nop 0
	v_mfma_f32_4x4x4_16b_f16 a[0:3], v[58:59], v[52:53], a[0:3] cbsz:4 abid:11
	v_lshl_add_u64 v[52:53], v[50:51], 0, v[40:41]
	global_load_dwordx4 v[18:21], v[52:53], off
	global_load_dwordx4 v[22:25], v[52:53], off offset:16
	s_waitcnt vmcnt(13)
	v_mfma_f32_4x4x4_16b_f16 a[0:3], v[56:57], v[72:73], a[0:3] cbsz:4 abid:12
	global_load_dwordx4 v[26:29], v[52:53], off offset:32
	global_load_dwordx4 v[38:41], v[52:53], off offset:48
	v_mfma_f32_4x4x4_16b_f16 a[0:3], v[58:59], v[74:75], a[0:3] cbsz:4 abid:12
	v_mov_b32_e32 v73, 0xff7fffff
	s_waitcnt vmcnt(14)
	v_mfma_f32_4x4x4_16b_f16 a[0:3], v[56:57], v[64:65], a[0:3] cbsz:4 abid:13
	s_nop 1
	v_mfma_f32_4x4x4_16b_f16 a[0:3], v[58:59], v[66:67], a[0:3] cbsz:4 abid:13
	v_lshl_add_u64 v[66:67], v[50:51], 0, v[86:87]
	s_waitcnt vmcnt(13)
	v_mfma_f32_4x4x4_16b_f16 a[0:3], v[56:57], v[76:77], a[0:3] cbsz:4 abid:14
	s_nop 1
	v_mfma_f32_4x4x4_16b_f16 a[0:3], v[58:59], v[78:79], a[0:3] cbsz:4 abid:14
	s_waitcnt vmcnt(12)
	s_nop 0
	v_mfma_f32_4x4x4_16b_f16 a[0:3], v[56:57], v[68:69], a[0:3] cbsz:4 abid:15
	global_load_dwordx4 v[50:53], v[66:67], off
	global_load_dwordx4 v[54:57], v[66:67], off offset:16
	v_mfma_f32_4x4x4_16b_f16 a[0:3], v[58:59], v[70:71], a[0:3] cbsz:4 abid:15
	s_nop 4
	v_accvgpr_read_b32 v59, a1
	v_accvgpr_read_b32 v58, a0
	s_waitcnt lgkmcnt(0)
	v_pk_mul_f32 v[68:69], s[0:1], v[58:59] op_sel_hi:[0,1]
	global_load_dwordx4 v[58:61], v[66:67], off offset:32
	global_load_dwordx4 v[62:65], v[66:67], off offset:48
	v_accvgpr_read_b32 v67, a3
	v_accvgpr_read_b32 v66, a2
	v_pk_mul_f32 v[66:67], s[0:1], v[66:67] op_sel_hi:[0,1]
	v_mfma_f32_4x4x1_16b_f32 a[0:3], v68, v81, 0
	v_cndmask_b32_e64 v68, 0, 1.0, vcc
	v_cmp_eq_u32_e32 vcc, 2, v83
	s_nop 0
	v_mfma_f32_4x4x1_16b_f32 a[0:3], v69, v68, a[0:3]
	v_cndmask_b32_e64 v68, 0, 1.0, vcc
	v_cmp_eq_u32_e32 vcc, 3, v83
	s_nop 0
	v_mfma_f32_4x4x1_16b_f32 a[0:3], v66, v68, a[0:3]
	v_cndmask_b32_e64 v66, 0, 1.0, vcc
	s_nop 1
	v_mfma_f32_4x4x1_16b_f32 a[0:3], v67, v66, a[0:3]
	v_and_b32_e32 v66, -4, v84
	v_subrev_u32_e32 v67, s3, v66
	v_add_u32_e32 v68, 1, v67
	v_cvt_f32_i32_e32 v68, v68
	v_add_u32_e32 v69, 2, v67
	v_cvt_f32_i32_e32 v69, v69
	v_accvgpr_read_b32 v70, a0
	v_fma_f32 v68, v80, v68, v70
	v_accvgpr_read_b32 v70, a1
	v_fma_f32 v69, v80, v69, v70
	v_add_u32_e32 v70, 3, v67
	v_cvt_f32_i32_e32 v70, v70
	v_accvgpr_read_b32 v71, a2
	v_add_u32_e32 v67, 4, v67
	v_cmp_gt_i32_e32 vcc, s3, v66
	v_fma_f32 v71, v80, v70, v71
	v_max_f32_e32 v70, 0xff7fffff, v68
	v_cvt_f32_i32_e32 v67, v67
	v_cndmask_b32_e32 v70, v73, v70, vcc
	v_or_b32_e32 v73, 1, v66
	v_max_f32_e32 v74, v70, v69
	v_cmp_gt_i32_e64 s[0:1], s3, v73
	v_or_b32_e32 v66, 2, v66
	v_accvgpr_read_b32 v72, a3
	v_cndmask_b32_e64 v70, v70, v74, s[0:1]
	v_max_f32_e32 v73, v70, v71
	v_cmp_gt_i32_e64 s[8:9], s3, v66
	v_fmac_f32_e32 v72, v80, v67
	v_lshlrev_b32_e32 v67, 2, v0
	v_cndmask_b32_e64 v66, v70, v73, s[8:9]
	v_or_b32_e32 v70, 3, v84
	v_max_f32_e32 v73, v66, v72
	v_cmp_gt_i32_e64 s[10:11], s3, v70
	v_and_or_b32 v67, v67, 48, v83
	s_nop 0
	v_cndmask_b32_e64 v66, v66, v73, s[10:11]
	;;#ASMSTART
	v_nop
 v_nop
 v_max_f32_dpp v66, v66, v66 row_ror:4
	;;#ASMEND
	v_lshlrev_b32_e32 v73, 2, v67
	;;#ASMSTART
	v_nop
 v_nop
 v_max_f32_dpp v66, v66, v66 row_ror:8
	;;#ASMEND
	ds_bpermute_b32 v66, v73, v66
	s_waitcnt lgkmcnt(0)
	;;#ASMSTART
	v_nop
 v_nop
 v_max_f32_dpp v66, v66, v66 row_ror:4
	;;#ASMEND
	s_nop 0
	;;#ASMSTART
	v_nop
 v_nop
 v_max_f32_dpp v70, v66, v66 row_ror:8
	;;#ASMEND
	s_nop 0
	v_sub_f32_e32 v66, v68, v70
	v_mul_f32_e32 v66, 0x3fb8aa3b, v66
	v_sub_f32_e32 v67, v69, v70
	v_exp_f32_e32 v66, v66
	v_mul_f32_e32 v67, 0x3fb8aa3b, v67
	v_sub_f32_e32 v69, v71, v70
	v_exp_f32_e32 v67, v67
	;; [unrolled: 3-line block ×3, first 2 shown]
	v_mul_f32_e32 v71, 0x3fb8aa3b, v71
	v_exp_f32_e32 v71, v71
	v_cndmask_b32_e32 v66, 0, v66, vcc
	v_add_f32_e32 v68, 0, v66
	v_cndmask_b32_e64 v67, 0, v67, s[0:1]
	v_add_f32_e32 v72, v68, v67
	v_cndmask_b32_e64 v68, 0, v69, s[8:9]
	;; [unrolled: 2-line block ×3, first 2 shown]
	v_add_f32_e32 v71, v72, v69
	;;#ASMSTART
	v_nop
 v_nop
 v_add_f32_dpp v71, v71, v71 row_ror:4
	;;#ASMEND
	v_cmp_gt_u32_e32 vcc, 4, v1
	;;#ASMSTART
	v_nop
 v_nop
 v_add_f32_dpp v71, v71, v71 row_ror:8
	;;#ASMEND
	ds_bpermute_b32 v71, v73, v71
	s_waitcnt lgkmcnt(0)
	;;#ASMSTART
	v_nop
 v_nop
 v_add_f32_dpp v71, v71, v71 row_ror:4
	;;#ASMEND
	s_nop 0
	;;#ASMSTART
	v_nop
 v_nop
 v_add_f32_dpp v71, v71, v71 row_ror:8
	;;#ASMEND
	s_and_saveexec_b64 s[0:1], vcc
	s_cbranch_execz .LBB344_18
; %bb.17:
	v_mul_u32_u24_e32 v72, 20, v82
	v_lshl_add_u32 v72, v83, 2, v72
	v_add_u32_e32 v72, 0x1400, v72
	ds_write2_b32 v72, v70, v71 offset1:20
.LBB344_18:
	s_or_b64 exec, exec, s[0:1]
.LBB344_19:
	s_or_b64 exec, exec, s[22:23]
	s_waitcnt lgkmcnt(0)
	s_barrier
	s_load_dword s0, s[20:21], 0x8
	v_lshlrev_b32_e32 v71, 2, v83
	v_add_u32_e32 v73, 0x1400, v71
	ds_read2_b32 v[74:75], v73 offset1:5
	ds_read2_b32 v[76:77], v73 offset0:10 offset1:15
	s_mul_i32 s1, s33, s2
	s_waitcnt lgkmcnt(0)
	s_mul_i32 s0, s1, s0
	s_mov_b32 s1, 0xff7fffff
	v_max3_f32 v71, v74, s1, v75
	v_max3_f32 v72, v71, v76, v77
	v_sub_f32_e32 v71, v74, v72
	v_sub_f32_e32 v74, v75, v72
	v_mul_f32_e32 v74, 0x3fb8aa3b, v74
	ds_read2_b32 v[78:79], v73 offset0:20 offset1:25
	v_mul_f32_e32 v71, 0x3fb8aa3b, v71
	v_exp_f32_e32 v81, v74
	ds_read2_b32 v[74:75], v73 offset0:30 offset1:35
	v_sub_f32_e32 v73, v76, v72
	v_exp_f32_e32 v80, v71
	v_mul_f32_e32 v73, 0x3fb8aa3b, v73
	v_exp_f32_e32 v76, v73
	v_sub_f32_e32 v73, v77, v72
	v_mul_f32_e32 v73, 0x3fb8aa3b, v73
	v_exp_f32_e32 v77, v73
	s_waitcnt lgkmcnt(1)
	v_fma_f32 v73, v80, v78, 0
	v_fmac_f32_e32 v73, v81, v79
	s_waitcnt lgkmcnt(0)
	v_fmac_f32_e32 v73, v76, v74
	v_mov_b32_e32 v71, 0
	v_fmac_f32_e32 v73, v77, v75
	s_mov_b32 s1, 0
	v_cmp_eq_u32_e32 vcc, 0, v83
	s_and_saveexec_b64 s[2:3], vcc
	s_cbranch_execz .LBB344_21
; %bb.20:
	s_lshl_b64 s[8:9], s[0:1], 2
	s_add_u32 s5, s12, s8
	s_mov_b32 s17, s1
	s_addc_u32 s12, s13, s9
	s_lshl_b64 s[10:11], s[16:17], 2
	s_add_u32 s5, s5, s10
	s_addc_u32 s12, s12, s11
	s_add_u32 s8, s14, s8
	s_addc_u32 s9, s15, s9
	;; [unrolled: 2-line block ×3, first 2 shown]
	s_mul_i32 s8, s33, s4
	s_mov_b32 s9, s1
	s_lshl_b64 s[8:9], s[8:9], 2
	s_add_u32 s10, s5, s8
	s_addc_u32 s11, s12, s9
	s_add_u32 s8, s13, s8
	s_addc_u32 s9, s14, s9
	global_store_dword v71, v72, s[8:9]
	global_store_dword v71, v73, s[10:11]
.LBB344_21:
	s_or_b64 exec, exec, s[2:3]
	v_lshlrev_b32_e32 v71, 3, v82
	s_and_saveexec_b64 s[2:3], s[6:7]
	s_xor_b64 s[2:3], exec, s[2:3]
	s_cbranch_execz .LBB344_23
; %bb.22:
	s_mov_b32 s6, 0
	s_mov_b32 s7, s6
	s_waitcnt vmcnt(14)
	v_mad_u32_u24 v4, v1, 40, v71
	v_mov_b64_e32 v[2:3], s[6:7]
	ds_write2st64_b64 v4, v[2:3], v[2:3] offset1:5
                                        ; implicit-def: $vgpr69
                                        ; implicit-def: $vgpr67
                                        ; implicit-def: $vgpr15
                                        ; implicit-def: $vgpr3
                                        ; implicit-def: $vgpr7
                                        ; implicit-def: $vgpr11
                                        ; implicit-def: $vgpr19
                                        ; implicit-def: $vgpr23
                                        ; implicit-def: $vgpr27
                                        ; implicit-def: $vgpr39
                                        ; implicit-def: $vgpr31
                                        ; implicit-def: $vgpr35
                                        ; implicit-def: $vgpr43
                                        ; implicit-def: $vgpr47
                                        ; implicit-def: $vgpr51
                                        ; implicit-def: $vgpr55
                                        ; implicit-def: $vgpr59
                                        ; implicit-def: $vgpr63
                                        ; implicit-def: $vgpr70
                                        ; implicit-def: $vgpr72
                                        ; implicit-def: $vgpr73
                                        ; implicit-def: $vgpr71
.LBB344_23:
	s_andn2_saveexec_b64 s[2:3], s[2:3]
	s_cbranch_execz .LBB344_25
; %bb.24:
	v_add_f32_e32 v73, 0x358637bd, v73
	v_div_scale_f32 v74, s[6:7], v73, v73, 1.0
	v_rcp_f32_e32 v75, v74
	v_sub_f32_e32 v70, v70, v72
	v_mul_f32_e32 v70, 0x3fb8aa3b, v70
	v_exp_f32_e32 v70, v70
	v_fma_f32 v72, -v74, v75, 1.0
	v_fmac_f32_e32 v75, v72, v75
	v_div_scale_f32 v72, vcc, 1.0, v73, 1.0
	v_mul_f32_e32 v76, v72, v75
	v_fma_f32 v77, -v74, v76, v72
	v_fmac_f32_e32 v76, v77, v75
	v_fma_f32 v72, -v74, v76, v72
	v_div_fmas_f32 v72, v72, v75, v76
	v_div_fixup_f32 v72, v72, v73, 1.0
	v_mul_f32_e32 v70, v70, v72
	v_pk_mul_f32 v[68:69], v[68:69], v[70:71] op_sel_hi:[1,0]
	v_pk_mul_f32 v[66:67], v[66:67], v[70:71] op_sel_hi:[1,0]
	v_cvt_f16_f32_e32 v68, v68
	v_cvt_f16_f32_e32 v66, v66
	;; [unrolled: 1-line block ×4, first 2 shown]
	v_pack_b32_f16 v66, v66, v67
	v_pack_b32_f16 v67, v68, v69
	s_waitcnt vmcnt(15)
	s_nop 0
	v_mfma_f32_4x4x4_16b_f16 a[0:3], v[66:67], v[14:15], 0 cbsz:4
	s_nop 1
	v_mfma_f32_4x4x4_16b_f16 a[0:3], v[66:67], v[16:17], a[0:3] cbsz:4 abid:1
	s_waitcnt vmcnt(11)
	v_mfma_f32_4x4x4_16b_f16 a[4:7], v[66:67], v[30:31], 0 cbsz:4
	v_mfma_f32_4x4x4_16b_f16 a[0:3], v[66:67], v[2:3], a[0:3] cbsz:4 abid:2
	s_nop 0
	v_mfma_f32_4x4x4_16b_f16 a[4:7], v[66:67], v[32:33], a[4:7] cbsz:4 abid:1
	v_mfma_f32_4x4x4_16b_f16 a[0:3], v[66:67], v[4:5], a[0:3] cbsz:4 abid:3
	s_waitcnt vmcnt(10)
	v_mfma_f32_4x4x4_16b_f16 a[4:7], v[66:67], v[34:35], a[4:7] cbsz:4 abid:2
	v_mfma_f32_4x4x4_16b_f16 a[0:3], v[66:67], v[6:7], a[0:3] cbsz:4 abid:4
	s_nop 0
	v_mfma_f32_4x4x4_16b_f16 a[4:7], v[66:67], v[36:37], a[4:7] cbsz:4 abid:3
	v_mfma_f32_4x4x4_16b_f16 a[0:3], v[66:67], v[8:9], a[0:3] cbsz:4 abid:5
	v_mad_u32_u24 v9, v1, 40, v71
	s_waitcnt vmcnt(9)
	v_mfma_f32_4x4x4_16b_f16 a[4:7], v[66:67], v[42:43], a[4:7] cbsz:4 abid:4
	v_mfma_f32_4x4x4_16b_f16 a[0:3], v[66:67], v[10:11], a[0:3] cbsz:4 abid:6
	s_nop 0
	v_mfma_f32_4x4x4_16b_f16 a[4:7], v[66:67], v[44:45], a[4:7] cbsz:4 abid:5
	v_mfma_f32_4x4x4_16b_f16 a[0:3], v[66:67], v[12:13], a[0:3] cbsz:4 abid:7
	s_waitcnt vmcnt(8)
	v_mfma_f32_4x4x4_16b_f16 a[4:7], v[66:67], v[46:47], a[4:7] cbsz:4 abid:6
	s_waitcnt vmcnt(7)
	v_mfma_f32_4x4x4_16b_f16 a[0:3], v[66:67], v[18:19], a[0:3] cbsz:4 abid:8
	v_mfma_f32_4x4x4_16b_f16 a[4:7], v[66:67], v[48:49], a[4:7] cbsz:4 abid:7
	s_nop 0
	v_mfma_f32_4x4x4_16b_f16 a[0:3], v[66:67], v[20:21], a[0:3] cbsz:4 abid:9
	s_waitcnt vmcnt(3)
	v_mfma_f32_4x4x4_16b_f16 a[4:7], v[66:67], v[50:51], a[4:7] cbsz:4 abid:8
	v_mfma_f32_4x4x4_16b_f16 a[0:3], v[66:67], v[22:23], a[0:3] cbsz:4 abid:10
	s_nop 0
	v_mfma_f32_4x4x4_16b_f16 a[4:7], v[66:67], v[52:53], a[4:7] cbsz:4 abid:9
	v_mfma_f32_4x4x4_16b_f16 a[0:3], v[66:67], v[24:25], a[0:3] cbsz:4 abid:11
	s_waitcnt vmcnt(2)
	v_mfma_f32_4x4x4_16b_f16 a[4:7], v[66:67], v[54:55], a[4:7] cbsz:4 abid:10
	v_mfma_f32_4x4x4_16b_f16 a[0:3], v[66:67], v[26:27], a[0:3] cbsz:4 abid:12
	s_nop 0
	v_mfma_f32_4x4x4_16b_f16 a[4:7], v[66:67], v[56:57], a[4:7] cbsz:4 abid:11
	v_mfma_f32_4x4x4_16b_f16 a[0:3], v[66:67], v[28:29], a[0:3] cbsz:4 abid:13
	s_waitcnt vmcnt(1)
	v_mfma_f32_4x4x4_16b_f16 a[4:7], v[66:67], v[58:59], a[4:7] cbsz:4 abid:12
	v_mfma_f32_4x4x4_16b_f16 a[0:3], v[66:67], v[38:39], a[0:3] cbsz:4 abid:14
	s_nop 1
	v_mfma_f32_4x4x4_16b_f16 a[0:3], v[66:67], v[40:41], a[0:3] cbsz:4 abid:15
	s_nop 4
	v_accvgpr_read_b32 v2, a0
	v_accvgpr_read_b32 v3, a1
	;; [unrolled: 1-line block ×4, first 2 shown]
	v_mfma_f32_4x4x4_16b_f16 a[0:3], v[66:67], v[60:61], a[4:7] cbsz:4 abid:13
	v_cvt_f16_f32_e32 v2, v2
	v_cvt_f16_f32_e32 v3, v3
	s_waitcnt vmcnt(0)
	v_mfma_f32_4x4x4_16b_f16 a[0:3], v[66:67], v[62:63], a[0:3] cbsz:4 abid:14
	v_pack_b32_f16 v2, v2, v3
	s_nop 0
	v_mfma_f32_4x4x4_16b_f16 a[0:3], v[66:67], v[64:65], a[0:3] cbsz:4 abid:15
	v_cvt_f16_f32_e32 v3, v4
	v_cvt_f16_f32_e32 v4, v5
	v_pack_b32_f16 v3, v3, v4
	s_nop 1
	v_accvgpr_read_b32 v5, a0
	v_accvgpr_read_b32 v6, a1
	;; [unrolled: 1-line block ×4, first 2 shown]
	v_cvt_f16_f32_e32 v5, v5
	v_cvt_f16_f32_e32 v6, v6
	;; [unrolled: 1-line block ×4, first 2 shown]
	v_pack_b32_f16 v4, v5, v6
	v_pack_b32_f16 v5, v7, v8
	ds_write2st64_b64 v9, v[2:3], v[4:5] offset1:5
.LBB344_25:
	s_or_b64 exec, exec, s[2:3]
	v_cmp_gt_u32_e32 vcc, 64, v0
	s_waitcnt lgkmcnt(0)
	s_barrier
	s_and_saveexec_b64 s[2:3], vcc
	s_cbranch_execz .LBB344_27
; %bb.26:
	s_waitcnt vmcnt(14)
	v_mov_b32_e32 v2, 0xa00
	v_mad_u32_u24 v2, v1, 40, v2
	s_waitcnt vmcnt(13)
	v_mov_b32_e32 v6, 0xa10
	ds_read2_b64 v[2:5], v2 offset1:1
	s_waitcnt lgkmcnt(0)
	v_mad_u32_u24 v3, v1, 40, v6
	ds_read2_b64 v[6:9], v3 offset1:1
	v_mul_u32_u24_e32 v1, 40, v1
	s_lshl_b32 s0, s0, 7
	v_pk_add_f16 v2, v2, 0
	s_lshl_b64 s[2:3], s[0:1], 1
	v_pk_add_f16 v2, v2, v4
	s_add_u32 s2, s18, s2
	s_waitcnt lgkmcnt(0)
	v_pk_add_f16 v2, v2, v6
	s_addc_u32 s3, s19, s3
	s_waitcnt vmcnt(12)
	v_pk_add_f16 v10, v2, v8
	ds_read2_b64 v[2:5], v1 offset1:1
	ds_read2_b64 v[6:9], v1 offset0:2 offset1:3
	s_lshl_b32 s0, s16, 7
	s_lshl_b64 s[0:1], s[0:1], 1
	s_add_u32 s0, s2, s0
	s_waitcnt lgkmcnt(1)
	v_pk_add_f16 v2, v2, 0
	s_mul_i32 s2, s4, s33
	v_pk_add_f16 v2, v2, v4
	s_addc_u32 s1, s3, s1
	v_lshl_or_b32 v0, s2, 7, v0
	v_mov_b32_e32 v1, 0
	s_waitcnt lgkmcnt(0)
	v_pk_add_f16 v2, v2, v6
	v_lshl_add_u64 v[0:1], v[0:1], 1, s[0:1]
	v_pk_add_f16 v2, v2, v8
	global_store_short v[0:1], v2, off
	global_store_short v[0:1], v10, off offset:128
.LBB344_27:
	s_endpgm
	.section	.rodata,"a",@progbits
	.p2align	6, 0x0
	.amdhsa_kernel _Z38paged_attention_ll4mi_QKV_mfma4_kernelIDF16_DF16_LN4vllm18Fp8KVCacheDataTypeE0EDF16_Li32ELi128ELi256ELb1ELi1EEvPKT_PKT0_S7_ifPKiS9_S9_iPKfiiiPfSC_PS2_PT2_iSB_SB_
		.amdhsa_group_segment_fixed_size 5280
		.amdhsa_private_segment_fixed_size 0
		.amdhsa_kernarg_size 400
		.amdhsa_user_sgpr_count 2
		.amdhsa_user_sgpr_dispatch_ptr 0
		.amdhsa_user_sgpr_queue_ptr 0
		.amdhsa_user_sgpr_kernarg_segment_ptr 1
		.amdhsa_user_sgpr_dispatch_id 0
		.amdhsa_user_sgpr_kernarg_preload_length 0
		.amdhsa_user_sgpr_kernarg_preload_offset 0
		.amdhsa_user_sgpr_private_segment_size 0
		.amdhsa_uses_dynamic_stack 0
		.amdhsa_enable_private_segment 0
		.amdhsa_system_sgpr_workgroup_id_x 1
		.amdhsa_system_sgpr_workgroup_id_y 1
		.amdhsa_system_sgpr_workgroup_id_z 1
		.amdhsa_system_sgpr_workgroup_info 0
		.amdhsa_system_vgpr_workitem_id 0
		.amdhsa_next_free_vgpr 96
		.amdhsa_next_free_sgpr 38
		.amdhsa_accum_offset 88
		.amdhsa_reserve_vcc 1
		.amdhsa_float_round_mode_32 0
		.amdhsa_float_round_mode_16_64 0
		.amdhsa_float_denorm_mode_32 3
		.amdhsa_float_denorm_mode_16_64 3
		.amdhsa_dx10_clamp 1
		.amdhsa_ieee_mode 1
		.amdhsa_fp16_overflow 0
		.amdhsa_tg_split 0
		.amdhsa_exception_fp_ieee_invalid_op 0
		.amdhsa_exception_fp_denorm_src 0
		.amdhsa_exception_fp_ieee_div_zero 0
		.amdhsa_exception_fp_ieee_overflow 0
		.amdhsa_exception_fp_ieee_underflow 0
		.amdhsa_exception_fp_ieee_inexact 0
		.amdhsa_exception_int_div_zero 0
	.end_amdhsa_kernel
	.section	.text._Z38paged_attention_ll4mi_QKV_mfma4_kernelIDF16_DF16_LN4vllm18Fp8KVCacheDataTypeE0EDF16_Li32ELi128ELi256ELb1ELi1EEvPKT_PKT0_S7_ifPKiS9_S9_iPKfiiiPfSC_PS2_PT2_iSB_SB_,"axG",@progbits,_Z38paged_attention_ll4mi_QKV_mfma4_kernelIDF16_DF16_LN4vllm18Fp8KVCacheDataTypeE0EDF16_Li32ELi128ELi256ELb1ELi1EEvPKT_PKT0_S7_ifPKiS9_S9_iPKfiiiPfSC_PS2_PT2_iSB_SB_,comdat
.Lfunc_end344:
	.size	_Z38paged_attention_ll4mi_QKV_mfma4_kernelIDF16_DF16_LN4vllm18Fp8KVCacheDataTypeE0EDF16_Li32ELi128ELi256ELb1ELi1EEvPKT_PKT0_S7_ifPKiS9_S9_iPKfiiiPfSC_PS2_PT2_iSB_SB_, .Lfunc_end344-_Z38paged_attention_ll4mi_QKV_mfma4_kernelIDF16_DF16_LN4vllm18Fp8KVCacheDataTypeE0EDF16_Li32ELi128ELi256ELb1ELi1EEvPKT_PKT0_S7_ifPKiS9_S9_iPKfiiiPfSC_PS2_PT2_iSB_SB_
                                        ; -- End function
	.section	.AMDGPU.csdata,"",@progbits
; Kernel info:
; codeLenInByte = 3828
; NumSgprs: 44
; NumVgprs: 88
; NumAgprs: 8
; TotalNumVgprs: 96
; ScratchSize: 0
; MemoryBound: 0
; FloatMode: 240
; IeeeMode: 1
; LDSByteSize: 5280 bytes/workgroup (compile time only)
; SGPRBlocks: 5
; VGPRBlocks: 11
; NumSGPRsForWavesPerEU: 44
; NumVGPRsForWavesPerEU: 96
; AccumOffset: 88
; Occupancy: 5
; WaveLimiterHint : 1
; COMPUTE_PGM_RSRC2:SCRATCH_EN: 0
; COMPUTE_PGM_RSRC2:USER_SGPR: 2
; COMPUTE_PGM_RSRC2:TRAP_HANDLER: 0
; COMPUTE_PGM_RSRC2:TGID_X_EN: 1
; COMPUTE_PGM_RSRC2:TGID_Y_EN: 1
; COMPUTE_PGM_RSRC2:TGID_Z_EN: 1
; COMPUTE_PGM_RSRC2:TIDIG_COMP_CNT: 0
; COMPUTE_PGM_RSRC3_GFX90A:ACCUM_OFFSET: 21
; COMPUTE_PGM_RSRC3_GFX90A:TG_SPLIT: 0
	.section	.text._Z38paged_attention_ll4mi_QKV_mfma4_kernelIDF16_DF16_LN4vllm18Fp8KVCacheDataTypeE0EDF16_Li32ELi128ELi256ELb1ELi2EEvPKT_PKT0_S7_ifPKiS9_S9_iPKfiiiPfSC_PS2_PT2_iSB_SB_,"axG",@progbits,_Z38paged_attention_ll4mi_QKV_mfma4_kernelIDF16_DF16_LN4vllm18Fp8KVCacheDataTypeE0EDF16_Li32ELi128ELi256ELb1ELi2EEvPKT_PKT0_S7_ifPKiS9_S9_iPKfiiiPfSC_PS2_PT2_iSB_SB_,comdat
	.protected	_Z38paged_attention_ll4mi_QKV_mfma4_kernelIDF16_DF16_LN4vllm18Fp8KVCacheDataTypeE0EDF16_Li32ELi128ELi256ELb1ELi2EEvPKT_PKT0_S7_ifPKiS9_S9_iPKfiiiPfSC_PS2_PT2_iSB_SB_ ; -- Begin function _Z38paged_attention_ll4mi_QKV_mfma4_kernelIDF16_DF16_LN4vllm18Fp8KVCacheDataTypeE0EDF16_Li32ELi128ELi256ELb1ELi2EEvPKT_PKT0_S7_ifPKiS9_S9_iPKfiiiPfSC_PS2_PT2_iSB_SB_
	.globl	_Z38paged_attention_ll4mi_QKV_mfma4_kernelIDF16_DF16_LN4vllm18Fp8KVCacheDataTypeE0EDF16_Li32ELi128ELi256ELb1ELi2EEvPKT_PKT0_S7_ifPKiS9_S9_iPKfiiiPfSC_PS2_PT2_iSB_SB_
	.p2align	8
	.type	_Z38paged_attention_ll4mi_QKV_mfma4_kernelIDF16_DF16_LN4vllm18Fp8KVCacheDataTypeE0EDF16_Li32ELi128ELi256ELb1ELi2EEvPKT_PKT0_S7_ifPKiS9_S9_iPKfiiiPfSC_PS2_PT2_iSB_SB_,@function
_Z38paged_attention_ll4mi_QKV_mfma4_kernelIDF16_DF16_LN4vllm18Fp8KVCacheDataTypeE0EDF16_Li32ELi128ELi256ELb1ELi2EEvPKT_PKT0_S7_ifPKiS9_S9_iPKfiiiPfSC_PS2_PT2_iSB_SB_: ; @_Z38paged_attention_ll4mi_QKV_mfma4_kernelIDF16_DF16_LN4vllm18Fp8KVCacheDataTypeE0EDF16_Li32ELi128ELi256ELb1ELi2EEvPKT_PKT0_S7_ifPKiS9_S9_iPKfiiiPfSC_PS2_PT2_iSB_SB_
; %bb.0:
	s_load_dwordx2 s[8:9], s[0:1], 0x30
	s_mov_b32 s16, s3
	s_mov_b64 s[6:7], 0
	s_waitcnt lgkmcnt(0)
	s_cmp_lg_u64 s[8:9], 0
	s_cselect_b64 s[10:11], -1, 0
	s_and_b64 vcc, exec, s[10:11]
	s_cbranch_vccz .LBB345_10
; %bb.1:
	s_add_i32 s12, s2, 1
	s_mov_b32 s13, 0
	s_lshl_b64 s[14:15], s[12:13], 2
	s_add_u32 s14, s8, s14
	s_mov_b32 s3, s13
	s_addc_u32 s15, s9, s15
	s_lshl_b64 s[12:13], s[2:3], 2
	s_add_u32 s12, s8, s12
	s_addc_u32 s13, s9, s13
	s_load_dword s5, s[14:15], 0x0
	s_load_dword s17, s[12:13], 0x0
	s_waitcnt lgkmcnt(0)
	s_sub_i32 s5, s5, s17
	s_cmp_eq_u32 s5, 1
	s_cselect_b64 s[12:13], -1, 0
	s_andn2_b64 vcc, exec, s[6:7]
	s_cbranch_vccnz .LBB345_3
.LBB345_2:
	s_mov_b32 s3, 0
	s_mov_b64 s[12:13], -1
.LBB345_3:
	s_andn2_b64 vcc, exec, s[12:13]
	s_cbranch_vccnz .LBB345_27
; %bb.4:
	s_load_dword s5, s[0:1], 0x9c
	s_load_dwordx2 s[6:7], s[0:1], 0x28
	s_add_u32 s20, s0, 0x90
	s_addc_u32 s21, s1, 0
	s_lshl_b64 s[24:25], s[2:3], 2
	s_waitcnt lgkmcnt(0)
	s_and_b32 s5, s5, 0xffff
	s_add_u32 s6, s6, s24
	s_addc_u32 s7, s7, s25
	s_load_dword s3, s[6:7], 0x0
	s_mul_i32 s5, s16, s5
	s_waitcnt lgkmcnt(0)
	s_cmp_ge_i32 s5, s3
	s_cbranch_scc1 .LBB345_27
; %bb.5:
	v_and_b32_e32 v1, 0xc0, v0
	v_add_u32_e32 v2, s5, v1
	v_lshrrev_b32_e32 v80, 6, v0
	v_cmp_le_i32_e64 s[6:7], s3, v2
                                        ; implicit-def: $sgpr26
                                        ; implicit-def: $sgpr17
	s_and_saveexec_b64 s[12:13], s[6:7]
	s_xor_b64 s[12:13], exec, s[12:13]
	s_cbranch_execz .LBB345_7
; %bb.6:
	v_mul_u32_u24_e32 v1, 20, v80
	v_or_b32_e32 v1, 0x1400, v1
	v_mov_b32_e32 v2, 0x1450
	v_mov_b32_e32 v3, 0xff7fffff
	v_mad_u32_u24 v2, v80, 20, v2
	ds_write2_b32 v1, v3, v3 offset1:1
	v_mov_b32_e32 v1, 0
	ds_write2_b32 v2, v1, v1 offset1:1
	v_mov_b32_e32 v2, 0x1408
	s_mov_b32 s17, 0xff7fffff
	s_mov_b32 s26, 0
	v_mad_u32_u24 v2, v80, 20, v2
	v_mov_b32_e32 v4, 0x1458
	v_mad_u32_u24 v4, v80, 20, v4
	ds_write2_b32 v2, v3, v3 offset1:1
	ds_write2_b32 v4, v1, v1 offset1:1
                                        ; implicit-def: $vgpr2
.LBB345_7:
	s_or_saveexec_b64 s[22:23], s[12:13]
	s_load_dwordx2 s[18:19], s[0:1], 0x68
	s_load_dwordx4 s[12:15], s[0:1], 0x58
	s_load_dword s33, s[20:21], 0x4
	v_and_b32_e32 v1, 63, v0
	v_and_b32_e32 v81, 3, v0
	s_lshl_b32 s34, s4, 1
	v_mov_b32_e32 v69, s26
	v_mov_b32_e32 v70, s17
	;; [unrolled: 1-line block ×5, first 2 shown]
                                        ; implicit-def: $vgpr15
                                        ; implicit-def: $vgpr3
                                        ; implicit-def: $vgpr7
                                        ; implicit-def: $vgpr11
                                        ; implicit-def: $vgpr19
                                        ; implicit-def: $vgpr23
                                        ; implicit-def: $vgpr27
                                        ; implicit-def: $vgpr39
                                        ; implicit-def: $vgpr31
                                        ; implicit-def: $vgpr35
                                        ; implicit-def: $vgpr43
                                        ; implicit-def: $vgpr47
                                        ; implicit-def: $vgpr55
                                        ; implicit-def: $vgpr63
                                        ; implicit-def: $vgpr51
                                        ; implicit-def: $vgpr59
	s_xor_b64 exec, exec, s[22:23]
	s_cbranch_execz .LBB345_19
; %bb.8:
	s_add_i32 s28, s3, 31
	s_ashr_i32 s29, s28, 31
	s_lshr_b32 s29, s29, 27
	v_add_u32_e32 v82, s5, v0
	s_add_i32 s28, s28, s29
	v_ashrrev_i32_e32 v3, 31, v82
	s_load_dwordx2 s[26:27], s[0:1], 0x20
	s_load_dword s17, s[0:1], 0x38
	s_ashr_i32 s28, s28, 5
	v_lshrrev_b32_e32 v3, 27, v3
	s_add_i32 s30, s28, -1
	v_add_u32_e32 v3, v82, v3
	v_ashrrev_i32_e32 v3, 5, v3
	v_mov_b32_e32 v4, s30
	v_cmp_gt_i32_e32 vcc, s3, v82
	s_waitcnt lgkmcnt(0)
	s_mul_i32 s28, s2, s17
	s_mov_b32 s29, 0
	v_cndmask_b32_e32 v4, v4, v3, vcc
	v_ashrrev_i32_e32 v3, 31, v2
	v_lshrrev_b32_e32 v3, 27, v3
	v_add_u32_e32 v2, v2, v3
	s_lshl_b64 s[28:29], s[28:29], 2
	v_ashrrev_i32_e32 v8, 5, v2
	s_add_u32 s26, s26, s28
	v_min_i32_e32 v2, s30, v8
	s_addc_u32 s27, s27, s29
	v_ashrrev_i32_e32 v3, 31, v2
	v_lshl_add_u64 v[6:7], v[2:3], 2, s[26:27]
	v_add_u32_e32 v2, 1, v8
	v_ashrrev_i32_e32 v5, 31, v4
	v_min_i32_e32 v2, s30, v2
	v_lshl_add_u64 v[4:5], v[4:5], 2, s[26:27]
	v_ashrrev_i32_e32 v3, 31, v2
	v_lshl_add_u64 v[8:9], v[2:3], 2, s[26:27]
	global_load_dword v3, v[4:5], off
	global_load_dword v2, v[6:7], off
	global_load_dword v83, v[8:9], off
	s_load_dwordx2 s[26:27], s[0:1], 0x8
	s_andn2_b64 vcc, exec, s[10:11]
	s_cbranch_vccnz .LBB345_11
; %bb.9:
	s_add_u32 s8, s8, s24
	s_addc_u32 s9, s9, s25
	s_load_dword s5, s[8:9], 0x0
	s_branch .LBB345_12
.LBB345_10:
	s_mov_b64 s[12:13], 0
	s_branch .LBB345_2
.LBB345_11:
	s_mov_b32 s5, s2
.LBB345_12:
	s_load_dwordx2 s[24:25], s[0:1], 0x10
	s_load_dwordx4 s[8:11], s[0:1], 0x48
	v_cmp_gt_u32_e32 vcc, 2, v81
	s_mov_b32 s29, 0
	v_mov_b32_e32 v79, 0
	v_mov_b32_e32 v66, 0
	;; [unrolled: 1-line block ×5, first 2 shown]
	s_and_saveexec_b64 s[30:31], vcc
	s_cbranch_execz .LBB345_14
; %bb.13:
	s_load_dwordx2 s[36:37], s[0:1], 0x0
	s_waitcnt lgkmcnt(0)
	s_ashr_i32 s11, s8, 31
	s_mul_hi_u32 s17, s5, s8
	s_mul_i32 s11, s5, s11
	s_add_i32 s39, s17, s11
	s_mul_i32 s38, s5, s8
	s_lshl_b64 s[38:39], s[38:39], 1
	s_add_u32 s5, s36, s38
	s_addc_u32 s8, s37, s39
	s_lshl_b32 s28, s4, 8
	s_lshl_b64 s[36:37], s[28:29], 1
	v_lshlrev_b32_e32 v4, 2, v1
	s_add_u32 s36, s5, s36
	v_and_b32_e32 v4, 0xf0, v4
	s_addc_u32 s37, s8, s37
	v_lshl_or_b32 v4, v81, 8, v4
	global_load_dwordx4 v[66:69], v4, s[36:37]
.LBB345_14:
	s_or_b64 exec, exec, s[30:31]
	s_waitcnt lgkmcnt(0)
	s_mul_i32 s28, s4, s10
	s_lshl_b64 s[4:5], s[28:29], 1
	s_add_u32 s10, s4, s26
	s_waitcnt vmcnt(2)
	v_mad_i64_i32 v[4:5], s[30:31], v3, s9, 0
	s_addc_u32 s11, s5, s27
	v_and_b32_e32 v3, 31, v0
	v_lshl_add_u64 v[16:17], v[4:5], 1, s[10:11]
	v_lshlrev_b32_e32 v78, 4, v3
	v_lshl_add_u64 v[22:23], v[16:17], 0, v[78:79]
	global_load_dwordx4 v[42:45], v[22:23], off
	global_load_dwordx4 v[34:37], v[22:23], off offset:512
	global_load_dwordx4 v[30:33], v[22:23], off offset:1024
	;; [unrolled: 1-line block ×7, first 2 shown]
	v_or_b32_e32 v22, 0x1000, v78
	v_mov_b32_e32 v23, v79
	v_lshl_add_u64 v[46:47], v[16:17], 0, v[22:23]
	v_or_b32_e32 v22, 0x1200, v78
	v_lshl_add_u64 v[48:49], v[16:17], 0, v[22:23]
	global_load_dwordx4 v[38:41], v[46:47], off
	global_load_dwordx4 v[22:25], v[48:49], off
	v_or_b32_e32 v46, 0x1400, v78
	v_mov_b32_e32 v47, v79
	v_lshl_add_u64 v[46:47], v[16:17], 0, v[46:47]
	v_or_b32_e32 v48, 0x1600, v78
	v_mov_b32_e32 v49, v79
	v_lshl_add_u64 v[48:49], v[16:17], 0, v[48:49]
	global_load_dwordx4 v[54:57], v[46:47], off
	global_load_dwordx4 v[50:53], v[48:49], off
	v_or_b32_e32 v46, 0x1800, v78
	v_mov_b32_e32 v47, v79
	v_lshl_add_u64 v[46:47], v[16:17], 0, v[46:47]
	v_or_b32_e32 v48, 0x1a00, v78
	v_mov_b32_e32 v49, v79
	v_or_b32_e32 v78, 0x1c00, v78
	v_mov_b32_e32 v3, 0x1e00
	v_lshl_add_u64 v[48:49], v[16:17], 0, v[48:49]
	global_load_dwordx4 v[62:65], v[46:47], off
	global_load_dwordx4 v[58:61], v[48:49], off
	v_lshl_add_u64 v[46:47], v[16:17], 0, v[78:79]
	v_lshl_or_b32 v78, v0, 4, v3
	v_lshl_add_u64 v[16:17], v[16:17], 0, v[78:79]
	global_load_dwordx4 v[74:77], v[46:47], off
	global_load_dwordx4 v[70:73], v[16:17], off
	s_and_saveexec_b64 s[10:11], vcc
	s_cbranch_execz .LBB345_16
; %bb.15:
	s_load_dwordx2 s[26:27], s[0:1], 0x40
	v_or_b32_e32 v16, s34, v81
	v_mov_b32_e32 v17, 0
	s_waitcnt lgkmcnt(0)
	v_lshl_add_u64 v[16:17], v[16:17], 2, s[26:27]
	global_load_dword v79, v[16:17], off
.LBB345_16:
	s_or_b64 exec, exec, s[10:11]
	s_waitcnt vmcnt(15)
	v_mfma_f32_4x4x4_16b_f16 a[0:3], v[66:67], v[42:43], 0 cbsz:4
	v_mul_hi_i32 v3, v2, s9
	v_ashrrev_i32_e32 v3, 31, v3
	v_mfma_f32_4x4x4_16b_f16 a[0:3], v[68:69], v[44:45], a[0:3] cbsz:4
	v_lshrrev_b32_e32 v84, 29, v3
	v_mov_b32_e32 v85, 0
	s_waitcnt vmcnt(14)
	v_mfma_f32_4x4x4_16b_f16 a[0:3], v[66:67], v[34:35], a[0:3] cbsz:4 abid:1
	v_mad_i64_i32 v[2:3], s[10:11], v2, s9, v[84:85]
	s_nop 0
	v_mfma_f32_4x4x4_16b_f16 a[0:3], v[68:69], v[36:37], a[0:3] cbsz:4 abid:1
	s_add_u32 s4, s24, s4
	v_lshlrev_b64 v[2:3], 1, v[2:3]
	s_waitcnt vmcnt(13)
	v_mfma_f32_4x4x4_16b_f16 a[0:3], v[66:67], v[30:31], a[0:3] cbsz:4 abid:2
	s_addc_u32 s5, s25, s5
	v_and_b32_e32 v2, -16, v2
	v_mfma_f32_4x4x4_16b_f16 a[0:3], v[68:69], v[32:33], a[0:3] cbsz:4 abid:2
	v_lshlrev_b32_e32 v84, 6, v1
	v_lshl_add_u64 v[30:31], s[4:5], 0, v[2:3]
	s_waitcnt vmcnt(12)
	v_mfma_f32_4x4x4_16b_f16 a[0:3], v[66:67], v[12:13], a[0:3] cbsz:4 abid:3
	v_or_b32_e32 v86, 0x1000, v84
	v_mov_b32_e32 v87, v85
	v_mfma_f32_4x4x4_16b_f16 a[0:3], v[68:69], v[14:15], a[0:3] cbsz:4 abid:3
	v_lshl_add_u64 v[32:33], v[30:31], 0, v[84:85]
	s_load_dword s0, s[0:1], 0x1c
	s_waitcnt vmcnt(11)
	v_mfma_f32_4x4x4_16b_f16 a[0:3], v[66:67], v[8:9], a[0:3] cbsz:4 abid:4
	v_cmp_eq_u32_e32 vcc, 0, v81
	s_nop 0
	v_mfma_f32_4x4x4_16b_f16 a[0:3], v[68:69], v[10:11], a[0:3] cbsz:4 abid:4
	s_waitcnt vmcnt(10)
	s_nop 0
	v_mfma_f32_4x4x4_16b_f16 a[0:3], v[66:67], v[4:5], a[0:3] cbsz:4 abid:5
	global_load_dwordx4 v[14:17], v[32:33], off
	global_load_dwordx4 v[2:5], v[32:33], off offset:16
	v_mfma_f32_4x4x4_16b_f16 a[0:3], v[68:69], v[6:7], a[0:3] cbsz:4 abid:5
	global_load_dwordx4 v[6:9], v[32:33], off offset:32
	global_load_dwordx4 v[10:13], v[32:33], off offset:48
	s_waitcnt vmcnt(13)
	v_mfma_f32_4x4x4_16b_f16 a[0:3], v[66:67], v[26:27], a[0:3] cbsz:4 abid:6
	s_nop 1
	v_mfma_f32_4x4x4_16b_f16 a[0:3], v[68:69], v[28:29], a[0:3] cbsz:4 abid:6
	s_waitcnt vmcnt(12)
	s_nop 0
	v_mfma_f32_4x4x4_16b_f16 a[0:3], v[66:67], v[18:19], a[0:3] cbsz:4 abid:7
	v_lshl_add_u64 v[18:19], v[30:31], 0, v[86:87]
	global_load_dwordx4 v[30:33], v[18:19], off
	global_load_dwordx4 v[34:37], v[18:19], off offset:16
	v_mfma_f32_4x4x4_16b_f16 a[0:3], v[68:69], v[20:21], a[0:3] cbsz:4 abid:7
	global_load_dwordx4 v[42:45], v[18:19], off offset:32
	global_load_dwordx4 v[46:49], v[18:19], off offset:48
	s_waitcnt vmcnt(15)
	v_mfma_f32_4x4x4_16b_f16 a[0:3], v[66:67], v[38:39], a[0:3] cbsz:4 abid:8
	v_mul_hi_i32 v18, v83, s9
	v_ashrrev_i32_e32 v18, 31, v18
	v_mfma_f32_4x4x4_16b_f16 a[0:3], v[68:69], v[40:41], a[0:3] cbsz:4 abid:8
	v_lshrrev_b32_e32 v18, 29, v18
	v_mov_b32_e32 v19, v85
	s_waitcnt vmcnt(14)
	v_mfma_f32_4x4x4_16b_f16 a[0:3], v[66:67], v[22:23], a[0:3] cbsz:4 abid:9
	v_mad_i64_i32 v[18:19], s[8:9], v83, s9, v[18:19]
	s_nop 0
	v_mfma_f32_4x4x4_16b_f16 a[0:3], v[68:69], v[24:25], a[0:3] cbsz:4 abid:9
	v_lshlrev_b64 v[18:19], 1, v[18:19]
	v_and_b32_e32 v18, -16, v18
	s_waitcnt vmcnt(13)
	v_mfma_f32_4x4x4_16b_f16 a[0:3], v[66:67], v[54:55], a[0:3] cbsz:4 abid:10
	s_nop 1
	v_mfma_f32_4x4x4_16b_f16 a[0:3], v[68:69], v[56:57], a[0:3] cbsz:4 abid:10
	s_waitcnt vmcnt(12)
	s_nop 0
	v_mfma_f32_4x4x4_16b_f16 a[0:3], v[66:67], v[50:51], a[0:3] cbsz:4 abid:11
	v_lshl_add_u64 v[50:51], s[4:5], 0, v[18:19]
	s_nop 0
	v_mfma_f32_4x4x4_16b_f16 a[0:3], v[68:69], v[52:53], a[0:3] cbsz:4 abid:11
	v_lshl_add_u64 v[52:53], v[50:51], 0, v[84:85]
	global_load_dwordx4 v[18:21], v[52:53], off
	global_load_dwordx4 v[22:25], v[52:53], off offset:16
	s_waitcnt vmcnt(13)
	v_mfma_f32_4x4x4_16b_f16 a[0:3], v[66:67], v[62:63], a[0:3] cbsz:4 abid:12
	global_load_dwordx4 v[26:29], v[52:53], off offset:32
	global_load_dwordx4 v[38:41], v[52:53], off offset:48
	v_mfma_f32_4x4x4_16b_f16 a[0:3], v[68:69], v[64:65], a[0:3] cbsz:4 abid:12
	s_waitcnt vmcnt(14)
	s_nop 0
	v_mfma_f32_4x4x4_16b_f16 a[0:3], v[66:67], v[58:59], a[0:3] cbsz:4 abid:13
	s_nop 1
	v_mfma_f32_4x4x4_16b_f16 a[0:3], v[68:69], v[60:61], a[0:3] cbsz:4 abid:13
	s_waitcnt vmcnt(13)
	s_nop 0
	v_mfma_f32_4x4x4_16b_f16 a[0:3], v[66:67], v[74:75], a[0:3] cbsz:4 abid:14
	v_lshl_add_u64 v[74:75], v[50:51], 0, v[86:87]
	global_load_dwordx4 v[54:57], v[74:75], off
	global_load_dwordx4 v[62:65], v[74:75], off offset:16
	global_load_dwordx4 v[50:53], v[74:75], off offset:32
	global_load_dwordx4 v[58:61], v[74:75], off offset:48
	v_mfma_f32_4x4x4_16b_f16 a[0:3], v[68:69], v[76:77], a[0:3] cbsz:4 abid:14
	s_waitcnt vmcnt(16)
	s_nop 0
	v_mfma_f32_4x4x4_16b_f16 a[0:3], v[66:67], v[70:71], a[0:3] cbsz:4 abid:15
	v_cndmask_b32_e64 v70, 0, 1.0, vcc
	v_cmp_eq_u32_e32 vcc, 1, v81
	v_mfma_f32_4x4x4_16b_f16 a[0:3], v[68:69], v[72:73], a[0:3] cbsz:4 abid:15
	v_mov_b32_e32 v73, 0xff7fffff
	s_nop 3
	v_accvgpr_read_b32 v69, a1
	v_accvgpr_read_b32 v68, a0
	s_waitcnt lgkmcnt(0)
	v_pk_mul_f32 v[68:69], s[0:1], v[68:69] op_sel_hi:[0,1]
	v_accvgpr_read_b32 v67, a3
	v_accvgpr_read_b32 v66, a2
	v_pk_mul_f32 v[66:67], s[0:1], v[66:67] op_sel_hi:[0,1]
	v_mfma_f32_4x4x1_16b_f32 a[0:3], v68, v70, 0
	v_cndmask_b32_e64 v68, 0, 1.0, vcc
	v_cmp_eq_u32_e32 vcc, 2, v81
	s_nop 0
	v_mfma_f32_4x4x1_16b_f32 a[0:3], v69, v68, a[0:3]
	v_cndmask_b32_e64 v68, 0, 1.0, vcc
	v_cmp_eq_u32_e32 vcc, 3, v81
	s_nop 0
	v_mfma_f32_4x4x1_16b_f32 a[0:3], v66, v68, a[0:3]
	v_cndmask_b32_e64 v66, 0, 1.0, vcc
	s_nop 1
	v_mfma_f32_4x4x1_16b_f32 a[0:3], v67, v66, a[0:3]
	v_and_b32_e32 v66, -4, v82
	v_subrev_u32_e32 v67, s3, v66
	v_add_u32_e32 v68, 1, v67
	v_cvt_f32_i32_e32 v68, v68
	v_add_u32_e32 v69, 2, v67
	v_cvt_f32_i32_e32 v69, v69
	v_accvgpr_read_b32 v70, a0
	v_fma_f32 v68, v79, v68, v70
	v_accvgpr_read_b32 v70, a1
	v_fma_f32 v69, v79, v69, v70
	v_add_u32_e32 v70, 3, v67
	v_cvt_f32_i32_e32 v70, v70
	v_accvgpr_read_b32 v71, a2
	v_add_u32_e32 v67, 4, v67
	v_cmp_gt_i32_e32 vcc, s3, v66
	v_fma_f32 v71, v79, v70, v71
	v_max_f32_e32 v70, 0xff7fffff, v68
	v_cvt_f32_i32_e32 v67, v67
	v_cndmask_b32_e32 v70, v73, v70, vcc
	v_or_b32_e32 v73, 1, v66
	v_max_f32_e32 v74, v70, v69
	v_cmp_gt_i32_e64 s[0:1], s3, v73
	v_or_b32_e32 v66, 2, v66
	v_accvgpr_read_b32 v72, a3
	v_cndmask_b32_e64 v70, v70, v74, s[0:1]
	v_max_f32_e32 v73, v70, v71
	v_cmp_gt_i32_e64 s[4:5], s3, v66
	v_fmac_f32_e32 v72, v79, v67
	v_lshlrev_b32_e32 v67, 2, v0
	v_cndmask_b32_e64 v66, v70, v73, s[4:5]
	v_or_b32_e32 v70, 3, v82
	v_max_f32_e32 v73, v66, v72
	v_cmp_gt_i32_e64 s[8:9], s3, v70
	v_and_or_b32 v67, v67, 48, v81
	s_nop 0
	v_cndmask_b32_e64 v66, v66, v73, s[8:9]
	;;#ASMSTART
	v_nop
 v_nop
 v_max_f32_dpp v66, v66, v66 row_ror:4
	;;#ASMEND
	v_lshlrev_b32_e32 v73, 2, v67
	;;#ASMSTART
	v_nop
 v_nop
 v_max_f32_dpp v66, v66, v66 row_ror:8
	;;#ASMEND
	ds_bpermute_b32 v66, v73, v66
	s_waitcnt lgkmcnt(0)
	;;#ASMSTART
	v_nop
 v_nop
 v_max_f32_dpp v66, v66, v66 row_ror:4
	;;#ASMEND
	s_nop 0
	;;#ASMSTART
	v_nop
 v_nop
 v_max_f32_dpp v70, v66, v66 row_ror:8
	;;#ASMEND
	s_nop 0
	v_sub_f32_e32 v66, v68, v70
	v_mul_f32_e32 v66, 0x3fb8aa3b, v66
	v_sub_f32_e32 v67, v69, v70
	v_exp_f32_e32 v66, v66
	v_mul_f32_e32 v67, 0x3fb8aa3b, v67
	v_sub_f32_e32 v69, v71, v70
	v_exp_f32_e32 v67, v67
	;; [unrolled: 3-line block ×3, first 2 shown]
	v_mul_f32_e32 v71, 0x3fb8aa3b, v71
	v_exp_f32_e32 v71, v71
	v_cndmask_b32_e32 v66, 0, v66, vcc
	v_add_f32_e32 v68, 0, v66
	v_cndmask_b32_e64 v67, 0, v67, s[0:1]
	v_add_f32_e32 v72, v68, v67
	v_cndmask_b32_e64 v68, 0, v69, s[4:5]
	;; [unrolled: 2-line block ×3, first 2 shown]
	v_add_f32_e32 v71, v72, v69
	;;#ASMSTART
	v_nop
 v_nop
 v_add_f32_dpp v71, v71, v71 row_ror:4
	;;#ASMEND
	v_cmp_gt_u32_e32 vcc, 4, v1
	;;#ASMSTART
	v_nop
 v_nop
 v_add_f32_dpp v71, v71, v71 row_ror:8
	;;#ASMEND
	ds_bpermute_b32 v71, v73, v71
	s_waitcnt lgkmcnt(0)
	;;#ASMSTART
	v_nop
 v_nop
 v_add_f32_dpp v71, v71, v71 row_ror:4
	;;#ASMEND
	s_nop 0
	;;#ASMSTART
	v_nop
 v_nop
 v_add_f32_dpp v71, v71, v71 row_ror:8
	;;#ASMEND
	s_and_saveexec_b64 s[0:1], vcc
	s_cbranch_execz .LBB345_18
; %bb.17:
	v_mul_u32_u24_e32 v72, 20, v80
	v_lshl_add_u32 v72, v81, 2, v72
	v_add_u32_e32 v72, 0x1400, v72
	ds_write2_b32 v72, v70, v71 offset1:20
.LBB345_18:
	s_or_b64 exec, exec, s[0:1]
.LBB345_19:
	s_or_b64 exec, exec, s[22:23]
	s_waitcnt lgkmcnt(0)
	s_barrier
	s_load_dword s0, s[20:21], 0x8
	v_lshlrev_b32_e32 v71, 2, v81
	v_add_u32_e32 v71, 0x1400, v71
	ds_read2_b32 v[74:75], v71 offset1:5
	ds_read2_b32 v[76:77], v71 offset0:10 offset1:15
	s_mul_i32 s1, s2, s33
	s_waitcnt lgkmcnt(0)
	s_mul_i32 s1, s1, s0
	s_lshl_b32 s0, s1, 1
	s_mov_b32 s1, 0xff7fffff
	v_max3_f32 v72, v74, s1, v75
	v_max3_f32 v72, v72, v76, v77
	v_sub_f32_e32 v73, v74, v72
	v_sub_f32_e32 v74, v75, v72
	ds_read2_b32 v[78:79], v71 offset0:20 offset1:25
	v_mul_f32_e32 v73, 0x3fb8aa3b, v73
	v_mul_f32_e32 v74, 0x3fb8aa3b, v74
	v_exp_f32_e32 v73, v73
	v_exp_f32_e32 v82, v74
	ds_read2_b32 v[74:75], v71 offset0:30 offset1:35
	v_sub_f32_e32 v71, v76, v72
	v_mul_f32_e32 v71, 0x3fb8aa3b, v71
	v_sub_f32_e32 v76, v77, v72
	v_exp_f32_e32 v71, v71
	v_mul_f32_e32 v76, 0x3fb8aa3b, v76
	v_exp_f32_e32 v76, v76
	s_waitcnt lgkmcnt(1)
	v_fma_f32 v73, v73, v78, 0
	v_fmac_f32_e32 v73, v82, v79
	s_waitcnt lgkmcnt(0)
	v_fmac_f32_e32 v73, v71, v74
	v_fmac_f32_e32 v73, v76, v75
	v_cmp_gt_u32_e32 vcc, 2, v81
	s_and_saveexec_b64 s[2:3], vcc
	s_cbranch_execz .LBB345_21
; %bb.20:
	s_mov_b32 s1, 0
	s_lshl_b64 s[4:5], s[0:1], 2
	s_add_u32 s10, s12, s4
	s_mov_b32 s17, s1
	s_addc_u32 s11, s13, s5
	s_lshl_b64 s[8:9], s[16:17], 2
	s_add_u32 s10, s10, s8
	s_addc_u32 s11, s11, s9
	s_add_u32 s1, s14, s4
	s_addc_u32 s5, s15, s5
	v_or_b32_e32 v71, s34, v81
	s_add_u32 s4, s1, s8
	v_mul_lo_u32 v74, s33, v71
	v_mov_b32_e32 v75, 0
	s_addc_u32 s5, s5, s9
	v_lshlrev_b64 v[74:75], 2, v[74:75]
	v_lshl_add_u64 v[76:77], s[10:11], 0, v[74:75]
	v_lshl_add_u64 v[74:75], s[4:5], 0, v[74:75]
	global_store_dword v[74:75], v72, off
	global_store_dword v[76:77], v73, off
.LBB345_21:
	s_or_b64 exec, exec, s[2:3]
	v_lshlrev_b32_e32 v71, 3, v80
	s_and_saveexec_b64 s[2:3], s[6:7]
	s_xor_b64 s[2:3], exec, s[2:3]
	s_cbranch_execz .LBB345_23
; %bb.22:
	s_mov_b32 s4, 0
	s_mov_b32 s5, s4
	s_waitcnt vmcnt(14)
	v_mad_u32_u24 v4, v1, 40, v71
	v_mov_b64_e32 v[2:3], s[4:5]
	ds_write2st64_b64 v4, v[2:3], v[2:3] offset1:5
                                        ; implicit-def: $vgpr69
                                        ; implicit-def: $vgpr67
                                        ; implicit-def: $vgpr15
                                        ; implicit-def: $vgpr3
                                        ; implicit-def: $vgpr7
                                        ; implicit-def: $vgpr11
                                        ; implicit-def: $vgpr19
                                        ; implicit-def: $vgpr23
                                        ; implicit-def: $vgpr27
                                        ; implicit-def: $vgpr39
                                        ; implicit-def: $vgpr31
                                        ; implicit-def: $vgpr35
                                        ; implicit-def: $vgpr43
                                        ; implicit-def: $vgpr47
                                        ; implicit-def: $vgpr55
                                        ; implicit-def: $vgpr63
                                        ; implicit-def: $vgpr51
                                        ; implicit-def: $vgpr59
                                        ; implicit-def: $vgpr70
                                        ; implicit-def: $vgpr72
                                        ; implicit-def: $vgpr73
                                        ; implicit-def: $vgpr71
.LBB345_23:
	s_andn2_saveexec_b64 s[2:3], s[2:3]
	s_cbranch_execz .LBB345_25
; %bb.24:
	v_add_f32_e32 v73, 0x358637bd, v73
	v_div_scale_f32 v74, s[4:5], v73, v73, 1.0
	v_rcp_f32_e32 v75, v74
	v_sub_f32_e32 v70, v70, v72
	v_mul_f32_e32 v70, 0x3fb8aa3b, v70
	v_exp_f32_e32 v70, v70
	v_fma_f32 v72, -v74, v75, 1.0
	v_fmac_f32_e32 v75, v72, v75
	v_div_scale_f32 v72, vcc, 1.0, v73, 1.0
	v_mul_f32_e32 v76, v72, v75
	v_fma_f32 v77, -v74, v76, v72
	v_fmac_f32_e32 v76, v77, v75
	v_fma_f32 v72, -v74, v76, v72
	v_div_fmas_f32 v72, v72, v75, v76
	v_div_fixup_f32 v72, v72, v73, 1.0
	v_mul_f32_e32 v70, v70, v72
	v_pk_mul_f32 v[68:69], v[68:69], v[70:71] op_sel_hi:[1,0]
	v_pk_mul_f32 v[66:67], v[66:67], v[70:71] op_sel_hi:[1,0]
	v_cvt_f16_f32_e32 v68, v68
	v_cvt_f16_f32_e32 v66, v66
	;; [unrolled: 1-line block ×4, first 2 shown]
	v_pack_b32_f16 v66, v66, v67
	v_pack_b32_f16 v67, v68, v69
	s_waitcnt vmcnt(15)
	s_nop 0
	v_mfma_f32_4x4x4_16b_f16 a[0:3], v[66:67], v[14:15], 0 cbsz:4
	s_nop 1
	v_mfma_f32_4x4x4_16b_f16 a[0:3], v[66:67], v[16:17], a[0:3] cbsz:4 abid:1
	s_waitcnt vmcnt(11)
	v_mfma_f32_4x4x4_16b_f16 a[4:7], v[66:67], v[30:31], 0 cbsz:4
	v_mfma_f32_4x4x4_16b_f16 a[0:3], v[66:67], v[2:3], a[0:3] cbsz:4 abid:2
	s_nop 0
	v_mfma_f32_4x4x4_16b_f16 a[4:7], v[66:67], v[32:33], a[4:7] cbsz:4 abid:1
	v_mfma_f32_4x4x4_16b_f16 a[0:3], v[66:67], v[4:5], a[0:3] cbsz:4 abid:3
	s_waitcnt vmcnt(10)
	v_mfma_f32_4x4x4_16b_f16 a[4:7], v[66:67], v[34:35], a[4:7] cbsz:4 abid:2
	v_mfma_f32_4x4x4_16b_f16 a[0:3], v[66:67], v[6:7], a[0:3] cbsz:4 abid:4
	s_nop 0
	v_mfma_f32_4x4x4_16b_f16 a[4:7], v[66:67], v[36:37], a[4:7] cbsz:4 abid:3
	v_mfma_f32_4x4x4_16b_f16 a[0:3], v[66:67], v[8:9], a[0:3] cbsz:4 abid:5
	v_mad_u32_u24 v9, v1, 40, v71
	s_waitcnt vmcnt(9)
	v_mfma_f32_4x4x4_16b_f16 a[4:7], v[66:67], v[42:43], a[4:7] cbsz:4 abid:4
	v_mfma_f32_4x4x4_16b_f16 a[0:3], v[66:67], v[10:11], a[0:3] cbsz:4 abid:6
	s_nop 0
	v_mfma_f32_4x4x4_16b_f16 a[4:7], v[66:67], v[44:45], a[4:7] cbsz:4 abid:5
	v_mfma_f32_4x4x4_16b_f16 a[0:3], v[66:67], v[12:13], a[0:3] cbsz:4 abid:7
	s_waitcnt vmcnt(8)
	v_mfma_f32_4x4x4_16b_f16 a[4:7], v[66:67], v[46:47], a[4:7] cbsz:4 abid:6
	s_waitcnt vmcnt(7)
	v_mfma_f32_4x4x4_16b_f16 a[0:3], v[66:67], v[18:19], a[0:3] cbsz:4 abid:8
	v_mfma_f32_4x4x4_16b_f16 a[4:7], v[66:67], v[48:49], a[4:7] cbsz:4 abid:7
	s_nop 0
	v_mfma_f32_4x4x4_16b_f16 a[0:3], v[66:67], v[20:21], a[0:3] cbsz:4 abid:9
	s_waitcnt vmcnt(3)
	v_mfma_f32_4x4x4_16b_f16 a[4:7], v[66:67], v[54:55], a[4:7] cbsz:4 abid:8
	v_mfma_f32_4x4x4_16b_f16 a[0:3], v[66:67], v[22:23], a[0:3] cbsz:4 abid:10
	s_nop 0
	v_mfma_f32_4x4x4_16b_f16 a[4:7], v[66:67], v[56:57], a[4:7] cbsz:4 abid:9
	v_mfma_f32_4x4x4_16b_f16 a[0:3], v[66:67], v[24:25], a[0:3] cbsz:4 abid:11
	s_waitcnt vmcnt(2)
	v_mfma_f32_4x4x4_16b_f16 a[4:7], v[66:67], v[62:63], a[4:7] cbsz:4 abid:10
	v_mfma_f32_4x4x4_16b_f16 a[0:3], v[66:67], v[26:27], a[0:3] cbsz:4 abid:12
	s_nop 0
	v_mfma_f32_4x4x4_16b_f16 a[4:7], v[66:67], v[64:65], a[4:7] cbsz:4 abid:11
	;; [unrolled: 6-line block ×3, first 2 shown]
	s_nop 4
	v_accvgpr_read_b32 v2, a0
	v_accvgpr_read_b32 v3, a1
	;; [unrolled: 1-line block ×4, first 2 shown]
	v_mfma_f32_4x4x4_16b_f16 a[0:3], v[66:67], v[52:53], a[4:7] cbsz:4 abid:13
	v_cvt_f16_f32_e32 v2, v2
	v_cvt_f16_f32_e32 v3, v3
	s_waitcnt vmcnt(0)
	v_mfma_f32_4x4x4_16b_f16 a[0:3], v[66:67], v[58:59], a[0:3] cbsz:4 abid:14
	v_pack_b32_f16 v2, v2, v3
	s_nop 0
	v_mfma_f32_4x4x4_16b_f16 a[0:3], v[66:67], v[60:61], a[0:3] cbsz:4 abid:15
	v_cvt_f16_f32_e32 v3, v4
	v_cvt_f16_f32_e32 v4, v5
	v_pack_b32_f16 v3, v3, v4
	s_nop 1
	v_accvgpr_read_b32 v5, a0
	v_accvgpr_read_b32 v6, a1
	;; [unrolled: 1-line block ×4, first 2 shown]
	v_cvt_f16_f32_e32 v5, v5
	v_cvt_f16_f32_e32 v6, v6
	;; [unrolled: 1-line block ×4, first 2 shown]
	v_pack_b32_f16 v4, v5, v6
	v_pack_b32_f16 v5, v7, v8
	ds_write2st64_b64 v9, v[2:3], v[4:5] offset1:5
.LBB345_25:
	s_or_b64 exec, exec, s[2:3]
	v_cmp_gt_u32_e32 vcc, 64, v0
	s_waitcnt lgkmcnt(0)
	s_barrier
	s_and_saveexec_b64 s[2:3], vcc
	s_cbranch_execz .LBB345_27
; %bb.26:
	s_waitcnt vmcnt(13)
	v_mul_u32_u24_e32 v6, 40, v1
	ds_read2_b64 v[2:5], v6 offset1:1
	s_mov_b32 s1, 0
	s_waitcnt lgkmcnt(0)
	v_mov_b32_e32 v3, 0xa00
	s_lshl_b32 s0, s0, 7
	ds_read2_b64 v[6:9], v6 offset0:2 offset1:3
	v_mad_u32_u24 v3, v1, 40, v3
	v_pk_add_f16 v2, v2, 0
	s_lshl_b64 s[2:3], s[0:1], 1
	s_waitcnt lgkmcnt(0)
	v_pk_add_f16 v7, v2, v4
	v_mov_b32_e32 v9, 0xa10
	ds_read2_b64 v[2:5], v3 offset1:1
	s_add_u32 s2, s18, s2
	v_mad_u32_u24 v1, v1, 40, v9
	s_waitcnt vmcnt(12)
	ds_read2_b64 v[10:13], v1 offset1:1
	s_addc_u32 s3, s19, s3
	s_lshl_b32 s0, s16, 7
	s_lshl_b64 s[0:1], s[0:1], 1
	s_add_u32 s0, s2, s0
	v_pk_add_f16 v1, v7, v6
	s_addc_u32 s1, s3, s1
	s_lshl_b32 s2, s33, 7
	v_pk_add_f16 v6, v1, v8
	s_waitcnt lgkmcnt(1)
	v_pk_add_f16 v1, v2, 0
	s_mul_i32 s3, s2, s34
	v_pk_add_f16 v1, v1, v4
	v_or_b32_e32 v2, s3, v0
	v_mov_b32_e32 v3, 0
	s_add_i32 s3, s3, s2
	s_waitcnt lgkmcnt(0)
	v_pk_add_f16 v1, v1, v10
	v_lshl_add_u64 v[4:5], v[2:3], 1, s[0:1]
	v_or_b32_e32 v2, s3, v0
	v_pk_add_f16 v7, v1, v12
	v_lshl_add_u64 v[0:1], v[2:3], 1, s[0:1]
	global_store_short v[4:5], v6, off
	global_store_short_d16_hi v[0:1], v6, off
	global_store_short v[4:5], v7, off offset:128
	global_store_short_d16_hi v[0:1], v7, off offset:128
.LBB345_27:
	s_endpgm
	.section	.rodata,"a",@progbits
	.p2align	6, 0x0
	.amdhsa_kernel _Z38paged_attention_ll4mi_QKV_mfma4_kernelIDF16_DF16_LN4vllm18Fp8KVCacheDataTypeE0EDF16_Li32ELi128ELi256ELb1ELi2EEvPKT_PKT0_S7_ifPKiS9_S9_iPKfiiiPfSC_PS2_PT2_iSB_SB_
		.amdhsa_group_segment_fixed_size 5280
		.amdhsa_private_segment_fixed_size 0
		.amdhsa_kernarg_size 400
		.amdhsa_user_sgpr_count 2
		.amdhsa_user_sgpr_dispatch_ptr 0
		.amdhsa_user_sgpr_queue_ptr 0
		.amdhsa_user_sgpr_kernarg_segment_ptr 1
		.amdhsa_user_sgpr_dispatch_id 0
		.amdhsa_user_sgpr_kernarg_preload_length 0
		.amdhsa_user_sgpr_kernarg_preload_offset 0
		.amdhsa_user_sgpr_private_segment_size 0
		.amdhsa_uses_dynamic_stack 0
		.amdhsa_enable_private_segment 0
		.amdhsa_system_sgpr_workgroup_id_x 1
		.amdhsa_system_sgpr_workgroup_id_y 1
		.amdhsa_system_sgpr_workgroup_id_z 1
		.amdhsa_system_sgpr_workgroup_info 0
		.amdhsa_system_vgpr_workitem_id 0
		.amdhsa_next_free_vgpr 96
		.amdhsa_next_free_sgpr 40
		.amdhsa_accum_offset 88
		.amdhsa_reserve_vcc 1
		.amdhsa_float_round_mode_32 0
		.amdhsa_float_round_mode_16_64 0
		.amdhsa_float_denorm_mode_32 3
		.amdhsa_float_denorm_mode_16_64 3
		.amdhsa_dx10_clamp 1
		.amdhsa_ieee_mode 1
		.amdhsa_fp16_overflow 0
		.amdhsa_tg_split 0
		.amdhsa_exception_fp_ieee_invalid_op 0
		.amdhsa_exception_fp_denorm_src 0
		.amdhsa_exception_fp_ieee_div_zero 0
		.amdhsa_exception_fp_ieee_overflow 0
		.amdhsa_exception_fp_ieee_underflow 0
		.amdhsa_exception_fp_ieee_inexact 0
		.amdhsa_exception_int_div_zero 0
	.end_amdhsa_kernel
	.section	.text._Z38paged_attention_ll4mi_QKV_mfma4_kernelIDF16_DF16_LN4vllm18Fp8KVCacheDataTypeE0EDF16_Li32ELi128ELi256ELb1ELi2EEvPKT_PKT0_S7_ifPKiS9_S9_iPKfiiiPfSC_PS2_PT2_iSB_SB_,"axG",@progbits,_Z38paged_attention_ll4mi_QKV_mfma4_kernelIDF16_DF16_LN4vllm18Fp8KVCacheDataTypeE0EDF16_Li32ELi128ELi256ELb1ELi2EEvPKT_PKT0_S7_ifPKiS9_S9_iPKfiiiPfSC_PS2_PT2_iSB_SB_,comdat
.Lfunc_end345:
	.size	_Z38paged_attention_ll4mi_QKV_mfma4_kernelIDF16_DF16_LN4vllm18Fp8KVCacheDataTypeE0EDF16_Li32ELi128ELi256ELb1ELi2EEvPKT_PKT0_S7_ifPKiS9_S9_iPKfiiiPfSC_PS2_PT2_iSB_SB_, .Lfunc_end345-_Z38paged_attention_ll4mi_QKV_mfma4_kernelIDF16_DF16_LN4vllm18Fp8KVCacheDataTypeE0EDF16_Li32ELi128ELi256ELb1ELi2EEvPKT_PKT0_S7_ifPKiS9_S9_iPKfiiiPfSC_PS2_PT2_iSB_SB_
                                        ; -- End function
	.section	.AMDGPU.csdata,"",@progbits
; Kernel info:
; codeLenInByte = 3892
; NumSgprs: 46
; NumVgprs: 88
; NumAgprs: 8
; TotalNumVgprs: 96
; ScratchSize: 0
; MemoryBound: 0
; FloatMode: 240
; IeeeMode: 1
; LDSByteSize: 5280 bytes/workgroup (compile time only)
; SGPRBlocks: 5
; VGPRBlocks: 11
; NumSGPRsForWavesPerEU: 46
; NumVGPRsForWavesPerEU: 96
; AccumOffset: 88
; Occupancy: 5
; WaveLimiterHint : 1
; COMPUTE_PGM_RSRC2:SCRATCH_EN: 0
; COMPUTE_PGM_RSRC2:USER_SGPR: 2
; COMPUTE_PGM_RSRC2:TRAP_HANDLER: 0
; COMPUTE_PGM_RSRC2:TGID_X_EN: 1
; COMPUTE_PGM_RSRC2:TGID_Y_EN: 1
; COMPUTE_PGM_RSRC2:TGID_Z_EN: 1
; COMPUTE_PGM_RSRC2:TIDIG_COMP_CNT: 0
; COMPUTE_PGM_RSRC3_GFX90A:ACCUM_OFFSET: 21
; COMPUTE_PGM_RSRC3_GFX90A:TG_SPLIT: 0
	.section	.text._Z38paged_attention_ll4mi_QKV_mfma4_kernelIDF16_DF16_LN4vllm18Fp8KVCacheDataTypeE0EDF16_Li32ELi128ELi256ELb1ELi3EEvPKT_PKT0_S7_ifPKiS9_S9_iPKfiiiPfSC_PS2_PT2_iSB_SB_,"axG",@progbits,_Z38paged_attention_ll4mi_QKV_mfma4_kernelIDF16_DF16_LN4vllm18Fp8KVCacheDataTypeE0EDF16_Li32ELi128ELi256ELb1ELi3EEvPKT_PKT0_S7_ifPKiS9_S9_iPKfiiiPfSC_PS2_PT2_iSB_SB_,comdat
	.protected	_Z38paged_attention_ll4mi_QKV_mfma4_kernelIDF16_DF16_LN4vllm18Fp8KVCacheDataTypeE0EDF16_Li32ELi128ELi256ELb1ELi3EEvPKT_PKT0_S7_ifPKiS9_S9_iPKfiiiPfSC_PS2_PT2_iSB_SB_ ; -- Begin function _Z38paged_attention_ll4mi_QKV_mfma4_kernelIDF16_DF16_LN4vllm18Fp8KVCacheDataTypeE0EDF16_Li32ELi128ELi256ELb1ELi3EEvPKT_PKT0_S7_ifPKiS9_S9_iPKfiiiPfSC_PS2_PT2_iSB_SB_
	.globl	_Z38paged_attention_ll4mi_QKV_mfma4_kernelIDF16_DF16_LN4vllm18Fp8KVCacheDataTypeE0EDF16_Li32ELi128ELi256ELb1ELi3EEvPKT_PKT0_S7_ifPKiS9_S9_iPKfiiiPfSC_PS2_PT2_iSB_SB_
	.p2align	8
	.type	_Z38paged_attention_ll4mi_QKV_mfma4_kernelIDF16_DF16_LN4vllm18Fp8KVCacheDataTypeE0EDF16_Li32ELi128ELi256ELb1ELi3EEvPKT_PKT0_S7_ifPKiS9_S9_iPKfiiiPfSC_PS2_PT2_iSB_SB_,@function
_Z38paged_attention_ll4mi_QKV_mfma4_kernelIDF16_DF16_LN4vllm18Fp8KVCacheDataTypeE0EDF16_Li32ELi128ELi256ELb1ELi3EEvPKT_PKT0_S7_ifPKiS9_S9_iPKfiiiPfSC_PS2_PT2_iSB_SB_: ; @_Z38paged_attention_ll4mi_QKV_mfma4_kernelIDF16_DF16_LN4vllm18Fp8KVCacheDataTypeE0EDF16_Li32ELi128ELi256ELb1ELi3EEvPKT_PKT0_S7_ifPKiS9_S9_iPKfiiiPfSC_PS2_PT2_iSB_SB_
; %bb.0:
	s_load_dwordx2 s[8:9], s[0:1], 0x30
	s_mov_b32 s16, s3
	s_mov_b64 s[6:7], 0
	s_waitcnt lgkmcnt(0)
	s_cmp_lg_u64 s[8:9], 0
	s_cselect_b64 s[10:11], -1, 0
	s_and_b64 vcc, exec, s[10:11]
	s_cbranch_vccz .LBB346_10
; %bb.1:
	s_add_i32 s12, s2, 1
	s_mov_b32 s13, 0
	s_lshl_b64 s[14:15], s[12:13], 2
	s_add_u32 s14, s8, s14
	s_mov_b32 s3, s13
	s_addc_u32 s15, s9, s15
	s_lshl_b64 s[12:13], s[2:3], 2
	s_add_u32 s12, s8, s12
	s_addc_u32 s13, s9, s13
	s_load_dword s5, s[14:15], 0x0
	s_load_dword s17, s[12:13], 0x0
	s_waitcnt lgkmcnt(0)
	s_sub_i32 s5, s5, s17
	s_cmp_eq_u32 s5, 1
	s_cselect_b64 s[12:13], -1, 0
	s_andn2_b64 vcc, exec, s[6:7]
	s_cbranch_vccnz .LBB346_3
.LBB346_2:
	s_mov_b32 s3, 0
	s_mov_b64 s[12:13], -1
.LBB346_3:
	s_andn2_b64 vcc, exec, s[12:13]
	s_cbranch_vccnz .LBB346_27
; %bb.4:
	s_load_dword s5, s[0:1], 0x9c
	s_load_dwordx2 s[6:7], s[0:1], 0x28
	s_add_u32 s20, s0, 0x90
	s_addc_u32 s21, s1, 0
	s_lshl_b64 s[24:25], s[2:3], 2
	s_waitcnt lgkmcnt(0)
	s_and_b32 s5, s5, 0xffff
	s_add_u32 s6, s6, s24
	s_addc_u32 s7, s7, s25
	s_load_dword s3, s[6:7], 0x0
	s_mul_i32 s5, s16, s5
	s_waitcnt lgkmcnt(0)
	s_cmp_ge_i32 s5, s3
	s_cbranch_scc1 .LBB346_27
; %bb.5:
	v_and_b32_e32 v1, 0xc0, v0
	v_add_u32_e32 v2, s5, v1
	v_lshrrev_b32_e32 v84, 6, v0
	v_cmp_le_i32_e64 s[6:7], s3, v2
                                        ; implicit-def: $sgpr26
                                        ; implicit-def: $sgpr17
	s_and_saveexec_b64 s[12:13], s[6:7]
	s_xor_b64 s[12:13], exec, s[12:13]
	s_cbranch_execz .LBB346_7
; %bb.6:
	v_mul_u32_u24_e32 v1, 20, v84
	v_or_b32_e32 v1, 0x1400, v1
	v_mov_b32_e32 v2, 0x1450
	v_mov_b32_e32 v3, 0xff7fffff
	v_mad_u32_u24 v2, v84, 20, v2
	ds_write2_b32 v1, v3, v3 offset1:1
	v_mov_b32_e32 v1, 0
	ds_write2_b32 v2, v1, v1 offset1:1
	v_mov_b32_e32 v2, 0x1408
	s_mov_b32 s17, 0xff7fffff
	s_mov_b32 s26, 0
	v_mad_u32_u24 v2, v84, 20, v2
	v_mov_b32_e32 v4, 0x1458
	v_mad_u32_u24 v4, v84, 20, v4
	ds_write2_b32 v2, v3, v3 offset1:1
	ds_write2_b32 v4, v1, v1 offset1:1
                                        ; implicit-def: $vgpr2
.LBB346_7:
	s_or_saveexec_b64 s[22:23], s[12:13]
	s_load_dwordx2 s[18:19], s[0:1], 0x68
	s_load_dwordx4 s[12:15], s[0:1], 0x58
	s_load_dword s33, s[20:21], 0x4
	v_and_b32_e32 v1, 63, v0
	v_and_b32_e32 v85, 3, v0
	s_mul_i32 s34, s4, 3
	v_mov_b32_e32 v69, s26
	v_mov_b32_e32 v70, s17
	;; [unrolled: 1-line block ×5, first 2 shown]
                                        ; implicit-def: $vgpr15
                                        ; implicit-def: $vgpr3
                                        ; implicit-def: $vgpr7
                                        ; implicit-def: $vgpr11
                                        ; implicit-def: $vgpr19
                                        ; implicit-def: $vgpr23
                                        ; implicit-def: $vgpr27
                                        ; implicit-def: $vgpr39
                                        ; implicit-def: $vgpr31
                                        ; implicit-def: $vgpr35
                                        ; implicit-def: $vgpr43
                                        ; implicit-def: $vgpr47
                                        ; implicit-def: $vgpr51
                                        ; implicit-def: $vgpr55
                                        ; implicit-def: $vgpr59
                                        ; implicit-def: $vgpr63
	s_xor_b64 exec, exec, s[22:23]
	s_cbranch_execz .LBB346_19
; %bb.8:
	s_add_i32 s28, s3, 31
	s_ashr_i32 s29, s28, 31
	s_lshr_b32 s29, s29, 27
	v_add_u32_e32 v86, s5, v0
	s_add_i32 s28, s28, s29
	v_ashrrev_i32_e32 v3, 31, v86
	s_load_dwordx2 s[26:27], s[0:1], 0x20
	s_load_dword s17, s[0:1], 0x38
	s_ashr_i32 s28, s28, 5
	v_lshrrev_b32_e32 v3, 27, v3
	s_add_i32 s30, s28, -1
	v_add_u32_e32 v3, v86, v3
	v_ashrrev_i32_e32 v3, 5, v3
	v_mov_b32_e32 v4, s30
	v_cmp_gt_i32_e32 vcc, s3, v86
	s_waitcnt lgkmcnt(0)
	s_mul_i32 s28, s2, s17
	s_mov_b32 s29, 0
	v_cndmask_b32_e32 v4, v4, v3, vcc
	v_ashrrev_i32_e32 v3, 31, v2
	v_lshrrev_b32_e32 v3, 27, v3
	v_add_u32_e32 v2, v2, v3
	s_lshl_b64 s[28:29], s[28:29], 2
	v_ashrrev_i32_e32 v8, 5, v2
	s_add_u32 s26, s26, s28
	v_min_i32_e32 v2, s30, v8
	s_addc_u32 s27, s27, s29
	v_ashrrev_i32_e32 v3, 31, v2
	v_lshl_add_u64 v[6:7], v[2:3], 2, s[26:27]
	v_add_u32_e32 v2, 1, v8
	v_ashrrev_i32_e32 v5, 31, v4
	v_min_i32_e32 v2, s30, v2
	v_lshl_add_u64 v[4:5], v[4:5], 2, s[26:27]
	v_ashrrev_i32_e32 v3, 31, v2
	v_lshl_add_u64 v[8:9], v[2:3], 2, s[26:27]
	global_load_dword v2, v[4:5], off
	global_load_dword v34, v[6:7], off
	;; [unrolled: 1-line block ×3, first 2 shown]
	s_load_dwordx2 s[26:27], s[0:1], 0x8
	s_andn2_b64 vcc, exec, s[10:11]
	s_cbranch_vccnz .LBB346_11
; %bb.9:
	s_add_u32 s8, s8, s24
	s_addc_u32 s9, s9, s25
	s_load_dword s5, s[8:9], 0x0
	s_branch .LBB346_12
.LBB346_10:
	s_mov_b64 s[12:13], 0
	s_branch .LBB346_2
.LBB346_11:
	s_mov_b32 s5, s2
.LBB346_12:
	s_load_dwordx2 s[24:25], s[0:1], 0x10
	s_load_dwordx4 s[8:11], s[0:1], 0x48
	v_cmp_ne_u32_e32 vcc, 3, v85
	s_mov_b32 s29, 0
	v_mov_b32_e32 v81, 0
	v_mov_b32_e32 v56, 0
	;; [unrolled: 1-line block ×5, first 2 shown]
	s_and_saveexec_b64 s[30:31], vcc
	s_cbranch_execz .LBB346_14
; %bb.13:
	s_load_dwordx2 s[36:37], s[0:1], 0x0
	s_waitcnt lgkmcnt(0)
	s_ashr_i32 s11, s8, 31
	s_mul_hi_u32 s17, s5, s8
	s_mul_i32 s11, s5, s11
	s_add_i32 s39, s17, s11
	s_mul_i32 s38, s5, s8
	s_lshl_b64 s[38:39], s[38:39], 1
	s_add_u32 s5, s36, s38
	s_mul_i32 s28, s4, 0x180
	s_addc_u32 s8, s37, s39
	s_lshl_b64 s[36:37], s[28:29], 1
	v_lshlrev_b32_e32 v3, 2, v1
	s_add_u32 s36, s5, s36
	v_and_b32_e32 v3, 0xf0, v3
	s_addc_u32 s37, s8, s37
	v_lshl_or_b32 v3, v85, 8, v3
	global_load_dwordx4 v[56:59], v3, s[36:37]
.LBB346_14:
	s_or_b64 exec, exec, s[30:31]
	s_waitcnt lgkmcnt(0)
	s_mul_i32 s28, s4, s10
	s_lshl_b64 s[4:5], s[28:29], 1
	s_add_u32 s10, s4, s26
	s_waitcnt vmcnt(2)
	v_mad_i64_i32 v[2:3], s[30:31], v2, s9, 0
	s_addc_u32 s11, s5, s27
	v_lshl_add_u64 v[44:45], v[2:3], 1, s[10:11]
	v_and_b32_e32 v2, 31, v0
	v_lshlrev_b32_e32 v80, 4, v2
	v_lshl_add_u64 v[22:23], v[44:45], 0, v[80:81]
	global_load_dwordx4 v[40:43], v[22:23], off
	global_load_dwordx4 v[30:33], v[22:23], off offset:512
	global_load_dwordx4 v[14:17], v[22:23], off offset:1024
	;; [unrolled: 1-line block ×7, first 2 shown]
	v_or_b32_e32 v22, 0x1000, v80
	v_mov_b32_e32 v23, v81
	v_lshl_add_u64 v[46:47], v[44:45], 0, v[22:23]
	v_or_b32_e32 v22, 0x1200, v80
	v_lshl_add_u64 v[48:49], v[44:45], 0, v[22:23]
	global_load_dwordx4 v[36:39], v[46:47], off
	global_load_dwordx4 v[22:25], v[48:49], off
	v_or_b32_e32 v46, 0x1400, v80
	v_mov_b32_e32 v47, v81
	v_lshl_add_u64 v[46:47], v[44:45], 0, v[46:47]
	v_or_b32_e32 v48, 0x1600, v80
	v_mov_b32_e32 v49, v81
	v_lshl_add_u64 v[48:49], v[44:45], 0, v[48:49]
	global_load_dwordx4 v[60:63], v[46:47], off
	global_load_dwordx4 v[50:53], v[48:49], off
	v_or_b32_e32 v46, 0x1800, v80
	v_mov_b32_e32 v47, v81
	v_lshl_add_u64 v[46:47], v[44:45], 0, v[46:47]
	v_or_b32_e32 v48, 0x1a00, v80
	v_mov_b32_e32 v49, v81
	v_or_b32_e32 v80, 0x1c00, v80
	v_mov_b32_e32 v35, 0x1e00
	v_lshl_add_u64 v[48:49], v[44:45], 0, v[48:49]
	global_load_dwordx4 v[72:75], v[46:47], off
	global_load_dwordx4 v[64:67], v[48:49], off
	v_lshl_add_u64 v[46:47], v[44:45], 0, v[80:81]
	v_lshl_or_b32 v80, v0, 4, v35
	v_lshl_add_u64 v[44:45], v[44:45], 0, v[80:81]
	global_load_dwordx4 v[76:79], v[46:47], off
	global_load_dwordx4 v[68:71], v[44:45], off
	v_mov_b32_e32 v83, 1.0
	s_and_saveexec_b64 s[10:11], vcc
	s_cbranch_execz .LBB346_16
; %bb.15:
	s_load_dwordx2 s[26:27], s[0:1], 0x40
	v_add_u32_e32 v82, s34, v85
	v_mov_b32_e32 v83, 0
	s_waitcnt lgkmcnt(0)
	v_lshl_add_u64 v[44:45], v[82:83], 2, s[26:27]
	global_load_dword v81, v[44:45], off
.LBB346_16:
	s_or_b64 exec, exec, s[10:11]
	s_waitcnt vmcnt(15)
	v_mfma_f32_4x4x4_16b_f16 a[0:3], v[56:57], v[40:41], 0 cbsz:4
	v_mul_hi_i32 v35, v34, s9
	s_load_dword s0, s[0:1], 0x1c
	v_mfma_f32_4x4x4_16b_f16 a[0:3], v[58:59], v[42:43], a[0:3] cbsz:4
	v_mov_b32_e32 v41, 0
	s_add_u32 s4, s24, s4
	s_waitcnt vmcnt(14)
	v_mfma_f32_4x4x4_16b_f16 a[0:3], v[56:57], v[30:31], a[0:3] cbsz:4 abid:1
	v_ashrrev_i32_e32 v30, 31, v35
	v_lshrrev_b32_e32 v40, 29, v30
	v_mfma_f32_4x4x4_16b_f16 a[0:3], v[58:59], v[32:33], a[0:3] cbsz:4 abid:1
	s_addc_u32 s5, s25, s5
	v_mov_b32_e32 v89, v41
	s_waitcnt vmcnt(13)
	v_mfma_f32_4x4x4_16b_f16 a[0:3], v[56:57], v[14:15], a[0:3] cbsz:4 abid:2
	v_mad_i64_i32 v[14:15], s[10:11], v34, s9, v[40:41]
	s_nop 0
	v_mfma_f32_4x4x4_16b_f16 a[0:3], v[58:59], v[16:17], a[0:3] cbsz:4 abid:2
	v_lshlrev_b32_e32 v40, 6, v1
	v_or_b32_e32 v88, 0x1000, v40
	s_waitcnt vmcnt(12)
	v_mfma_f32_4x4x4_16b_f16 a[0:3], v[56:57], v[10:11], a[0:3] cbsz:4 abid:3
	v_lshlrev_b64 v[10:11], 1, v[14:15]
	v_and_b32_e32 v10, -16, v10
	v_mfma_f32_4x4x4_16b_f16 a[0:3], v[58:59], v[12:13], a[0:3] cbsz:4 abid:3
	v_lshl_add_u64 v[30:31], s[4:5], 0, v[10:11]
	v_lshl_add_u64 v[32:33], v[30:31], 0, v[40:41]
	s_waitcnt vmcnt(11)
	v_mfma_f32_4x4x4_16b_f16 a[0:3], v[56:57], v[6:7], a[0:3] cbsz:4 abid:4
	v_cmp_eq_u32_e32 vcc, 0, v85
	s_nop 0
	v_mfma_f32_4x4x4_16b_f16 a[0:3], v[58:59], v[8:9], a[0:3] cbsz:4 abid:4
	s_waitcnt vmcnt(10)
	s_nop 0
	v_mfma_f32_4x4x4_16b_f16 a[0:3], v[56:57], v[2:3], a[0:3] cbsz:4 abid:5
	s_nop 1
	v_mfma_f32_4x4x4_16b_f16 a[0:3], v[58:59], v[4:5], a[0:3] cbsz:4 abid:5
	global_load_dwordx4 v[14:17], v[32:33], off
	global_load_dwordx4 v[2:5], v[32:33], off offset:16
	s_waitcnt vmcnt(11)
	v_mfma_f32_4x4x4_16b_f16 a[0:3], v[56:57], v[26:27], a[0:3] cbsz:4 abid:6
	global_load_dwordx4 v[6:9], v[32:33], off offset:32
	global_load_dwordx4 v[10:13], v[32:33], off offset:48
	v_mfma_f32_4x4x4_16b_f16 a[0:3], v[58:59], v[28:29], a[0:3] cbsz:4 abid:6
	s_waitcnt vmcnt(12)
	s_nop 0
	v_mfma_f32_4x4x4_16b_f16 a[0:3], v[56:57], v[18:19], a[0:3] cbsz:4 abid:7
	v_lshl_add_u64 v[18:19], v[30:31], 0, v[88:89]
	s_nop 0
	v_mfma_f32_4x4x4_16b_f16 a[0:3], v[58:59], v[20:21], a[0:3] cbsz:4 abid:7
	s_waitcnt vmcnt(11)
	s_nop 0
	v_mfma_f32_4x4x4_16b_f16 a[0:3], v[56:57], v[36:37], a[0:3] cbsz:4 abid:8
	global_load_dwordx4 v[30:33], v[18:19], off
	global_load_dwordx4 v[34:37], v[18:19], off offset:16
	v_mfma_f32_4x4x4_16b_f16 a[0:3], v[58:59], v[38:39], a[0:3] cbsz:4 abid:8
	global_load_dwordx4 v[42:45], v[18:19], off offset:32
	global_load_dwordx4 v[46:49], v[18:19], off offset:48
	s_waitcnt vmcnt(14)
	v_mfma_f32_4x4x4_16b_f16 a[0:3], v[56:57], v[22:23], a[0:3] cbsz:4 abid:9
	v_mul_hi_i32 v18, v54, s9
	v_ashrrev_i32_e32 v18, 31, v18
	v_mfma_f32_4x4x4_16b_f16 a[0:3], v[58:59], v[24:25], a[0:3] cbsz:4 abid:9
	v_lshrrev_b32_e32 v18, 29, v18
	v_mov_b32_e32 v19, v41
	s_waitcnt vmcnt(13)
	v_mfma_f32_4x4x4_16b_f16 a[0:3], v[56:57], v[60:61], a[0:3] cbsz:4 abid:10
	v_mad_i64_i32 v[18:19], s[8:9], v54, s9, v[18:19]
	s_nop 0
	v_mfma_f32_4x4x4_16b_f16 a[0:3], v[58:59], v[62:63], a[0:3] cbsz:4 abid:10
	v_lshlrev_b64 v[18:19], 1, v[18:19]
	v_and_b32_e32 v18, -16, v18
	s_waitcnt vmcnt(12)
	v_mfma_f32_4x4x4_16b_f16 a[0:3], v[56:57], v[50:51], a[0:3] cbsz:4 abid:11
	v_lshl_add_u64 v[50:51], s[4:5], 0, v[18:19]
	s_nop 0
	v_mfma_f32_4x4x4_16b_f16 a[0:3], v[58:59], v[52:53], a[0:3] cbsz:4 abid:11
	v_lshl_add_u64 v[52:53], v[50:51], 0, v[40:41]
	global_load_dwordx4 v[18:21], v[52:53], off
	global_load_dwordx4 v[22:25], v[52:53], off offset:16
	s_waitcnt vmcnt(13)
	v_mfma_f32_4x4x4_16b_f16 a[0:3], v[56:57], v[72:73], a[0:3] cbsz:4 abid:12
	global_load_dwordx4 v[26:29], v[52:53], off offset:32
	global_load_dwordx4 v[38:41], v[52:53], off offset:48
	v_mfma_f32_4x4x4_16b_f16 a[0:3], v[58:59], v[74:75], a[0:3] cbsz:4 abid:12
	v_mov_b32_e32 v73, 0xff7fffff
	s_waitcnt vmcnt(14)
	v_mfma_f32_4x4x4_16b_f16 a[0:3], v[56:57], v[64:65], a[0:3] cbsz:4 abid:13
	s_nop 1
	v_mfma_f32_4x4x4_16b_f16 a[0:3], v[58:59], v[66:67], a[0:3] cbsz:4 abid:13
	v_lshl_add_u64 v[66:67], v[50:51], 0, v[88:89]
	s_waitcnt vmcnt(13)
	v_mfma_f32_4x4x4_16b_f16 a[0:3], v[56:57], v[76:77], a[0:3] cbsz:4 abid:14
	s_nop 1
	v_mfma_f32_4x4x4_16b_f16 a[0:3], v[58:59], v[78:79], a[0:3] cbsz:4 abid:14
	s_waitcnt vmcnt(12)
	s_nop 0
	v_mfma_f32_4x4x4_16b_f16 a[0:3], v[56:57], v[68:69], a[0:3] cbsz:4 abid:15
	global_load_dwordx4 v[50:53], v[66:67], off
	global_load_dwordx4 v[54:57], v[66:67], off offset:16
	v_mfma_f32_4x4x4_16b_f16 a[0:3], v[58:59], v[70:71], a[0:3] cbsz:4 abid:15
	s_nop 4
	v_accvgpr_read_b32 v61, a1
	v_accvgpr_read_b32 v60, a0
	s_waitcnt lgkmcnt(0)
	v_pk_mul_f32 v[60:61], s[0:1], v[60:61] op_sel_hi:[0,1]
	v_accvgpr_read_b32 v59, a3
	v_accvgpr_read_b32 v58, a2
	v_pk_mul_f32 v[68:69], s[0:1], v[58:59] op_sel_hi:[0,1]
	v_cndmask_b32_e64 v58, 0, 1.0, vcc
	v_cmp_eq_u32_e32 vcc, 1, v85
	s_nop 0
	v_mfma_f32_4x4x1_16b_f32 a[0:3], v60, v58, 0
	v_cndmask_b32_e64 v58, 0, 1.0, vcc
	v_cmp_eq_u32_e32 vcc, 2, v85
	s_nop 0
	v_mfma_f32_4x4x1_16b_f32 a[0:3], v61, v58, a[0:3]
	v_cndmask_b32_e64 v58, 0, 1.0, vcc
	s_nop 1
	v_mfma_f32_4x4x1_16b_f32 a[0:3], v68, v58, a[0:3]
	global_load_dwordx4 v[58:61], v[66:67], off offset:32
	global_load_dwordx4 v[62:65], v[66:67], off offset:48
	v_and_b32_e32 v66, -4, v86
	v_subrev_u32_e32 v67, s3, v66
	v_add_u32_e32 v68, 1, v67
	v_mfma_f32_4x4x1_16b_f32 a[0:3], v69, v83, a[0:3]
	v_cvt_f32_i32_e32 v68, v68
	v_add_u32_e32 v69, 2, v67
	v_cvt_f32_i32_e32 v69, v69
	v_cmp_gt_i32_e32 vcc, s3, v66
	v_accvgpr_read_b32 v70, a0
	v_fma_f32 v68, v81, v68, v70
	v_accvgpr_read_b32 v70, a1
	v_fma_f32 v69, v81, v69, v70
	v_add_u32_e32 v70, 3, v67
	v_cvt_f32_i32_e32 v70, v70
	v_accvgpr_read_b32 v71, a2
	v_add_u32_e32 v67, 4, v67
	v_cvt_f32_i32_e32 v67, v67
	v_fma_f32 v71, v81, v70, v71
	v_max_f32_e32 v70, 0xff7fffff, v68
	v_cndmask_b32_e32 v70, v73, v70, vcc
	v_or_b32_e32 v73, 1, v66
	v_max_f32_e32 v74, v70, v69
	v_cmp_gt_i32_e64 s[0:1], s3, v73
	v_or_b32_e32 v66, 2, v66
	v_accvgpr_read_b32 v72, a3
	v_cndmask_b32_e64 v70, v70, v74, s[0:1]
	v_max_f32_e32 v73, v70, v71
	v_cmp_gt_i32_e64 s[4:5], s3, v66
	v_fmac_f32_e32 v72, v81, v67
	v_lshlrev_b32_e32 v67, 2, v0
	v_cndmask_b32_e64 v66, v70, v73, s[4:5]
	v_or_b32_e32 v70, 3, v86
	v_max_f32_e32 v73, v66, v72
	v_cmp_gt_i32_e64 s[8:9], s3, v70
	v_and_or_b32 v67, v67, 48, v85
	s_nop 0
	v_cndmask_b32_e64 v66, v66, v73, s[8:9]
	;;#ASMSTART
	v_nop
 v_nop
 v_max_f32_dpp v66, v66, v66 row_ror:4
	;;#ASMEND
	v_lshlrev_b32_e32 v73, 2, v67
	;;#ASMSTART
	v_nop
 v_nop
 v_max_f32_dpp v66, v66, v66 row_ror:8
	;;#ASMEND
	ds_bpermute_b32 v66, v73, v66
	s_waitcnt lgkmcnt(0)
	;;#ASMSTART
	v_nop
 v_nop
 v_max_f32_dpp v66, v66, v66 row_ror:4
	;;#ASMEND
	s_nop 0
	;;#ASMSTART
	v_nop
 v_nop
 v_max_f32_dpp v70, v66, v66 row_ror:8
	;;#ASMEND
	s_nop 0
	v_sub_f32_e32 v66, v68, v70
	v_mul_f32_e32 v66, 0x3fb8aa3b, v66
	v_sub_f32_e32 v67, v69, v70
	v_exp_f32_e32 v66, v66
	v_mul_f32_e32 v67, 0x3fb8aa3b, v67
	v_sub_f32_e32 v69, v71, v70
	v_exp_f32_e32 v67, v67
	;; [unrolled: 3-line block ×3, first 2 shown]
	v_mul_f32_e32 v71, 0x3fb8aa3b, v71
	v_exp_f32_e32 v71, v71
	v_cndmask_b32_e32 v66, 0, v66, vcc
	v_add_f32_e32 v68, 0, v66
	v_cndmask_b32_e64 v67, 0, v67, s[0:1]
	v_add_f32_e32 v72, v68, v67
	v_cndmask_b32_e64 v68, 0, v69, s[4:5]
	;; [unrolled: 2-line block ×3, first 2 shown]
	v_add_f32_e32 v71, v72, v69
	;;#ASMSTART
	v_nop
 v_nop
 v_add_f32_dpp v71, v71, v71 row_ror:4
	;;#ASMEND
	v_cmp_gt_u32_e32 vcc, 4, v1
	;;#ASMSTART
	v_nop
 v_nop
 v_add_f32_dpp v71, v71, v71 row_ror:8
	;;#ASMEND
	ds_bpermute_b32 v71, v73, v71
	s_waitcnt lgkmcnt(0)
	;;#ASMSTART
	v_nop
 v_nop
 v_add_f32_dpp v71, v71, v71 row_ror:4
	;;#ASMEND
	s_nop 0
	;;#ASMSTART
	v_nop
 v_nop
 v_add_f32_dpp v71, v71, v71 row_ror:8
	;;#ASMEND
	s_and_saveexec_b64 s[0:1], vcc
	s_cbranch_execz .LBB346_18
; %bb.17:
	v_mul_u32_u24_e32 v72, 20, v84
	v_lshl_add_u32 v72, v85, 2, v72
	v_add_u32_e32 v72, 0x1400, v72
	ds_write2_b32 v72, v70, v71 offset1:20
.LBB346_18:
	s_or_b64 exec, exec, s[0:1]
.LBB346_19:
	s_or_b64 exec, exec, s[22:23]
	s_waitcnt lgkmcnt(0)
	s_barrier
	s_load_dword s0, s[20:21], 0x8
	v_lshlrev_b32_e32 v71, 2, v85
	v_add_u32_e32 v71, 0x1400, v71
	ds_read2_b32 v[74:75], v71 offset1:5
	ds_read2_b32 v[76:77], v71 offset0:10 offset1:15
	s_mul_i32 s1, s2, s33
	s_waitcnt lgkmcnt(0)
	s_mul_i32 s0, s1, s0
	s_mov_b32 s1, 0xff7fffff
	v_max3_f32 v72, v74, s1, v75
	v_max3_f32 v72, v72, v76, v77
	v_sub_f32_e32 v73, v74, v72
	v_sub_f32_e32 v74, v75, v72
	ds_read2_b32 v[78:79], v71 offset0:20 offset1:25
	v_mul_f32_e32 v73, 0x3fb8aa3b, v73
	v_mul_f32_e32 v74, 0x3fb8aa3b, v74
	v_exp_f32_e32 v73, v73
	v_exp_f32_e32 v80, v74
	ds_read2_b32 v[74:75], v71 offset0:30 offset1:35
	v_sub_f32_e32 v71, v76, v72
	v_mul_f32_e32 v71, 0x3fb8aa3b, v71
	v_sub_f32_e32 v76, v77, v72
	v_exp_f32_e32 v71, v71
	v_mul_f32_e32 v76, 0x3fb8aa3b, v76
	v_exp_f32_e32 v76, v76
	s_waitcnt lgkmcnt(1)
	v_fma_f32 v73, v73, v78, 0
	v_fmac_f32_e32 v73, v80, v79
	s_waitcnt lgkmcnt(0)
	v_fmac_f32_e32 v73, v71, v74
	s_mul_i32 s0, s0, 3
	v_fmac_f32_e32 v73, v76, v75
	v_cmp_ne_u32_e32 vcc, 3, v85
	s_and_saveexec_b64 s[2:3], vcc
	s_cbranch_execz .LBB346_21
; %bb.20:
	s_mov_b32 s1, 0
	s_lshl_b64 s[4:5], s[0:1], 2
	s_add_u32 s10, s12, s4
	s_mov_b32 s17, s1
	s_addc_u32 s11, s13, s5
	s_lshl_b64 s[8:9], s[16:17], 2
	s_add_u32 s10, s10, s8
	s_addc_u32 s11, s11, s9
	s_add_u32 s1, s14, s4
	s_addc_u32 s5, s15, s5
	v_add_u32_e32 v71, s34, v85
	s_add_u32 s4, s1, s8
	v_mul_lo_u32 v74, s33, v71
	v_mov_b32_e32 v75, 0
	s_addc_u32 s5, s5, s9
	v_lshlrev_b64 v[74:75], 2, v[74:75]
	v_lshl_add_u64 v[76:77], s[10:11], 0, v[74:75]
	v_lshl_add_u64 v[74:75], s[4:5], 0, v[74:75]
	global_store_dword v[74:75], v72, off
	global_store_dword v[76:77], v73, off
.LBB346_21:
	s_or_b64 exec, exec, s[2:3]
	v_lshlrev_b32_e32 v71, 3, v84
	s_and_saveexec_b64 s[2:3], s[6:7]
	s_xor_b64 s[2:3], exec, s[2:3]
	s_cbranch_execz .LBB346_23
; %bb.22:
	s_mov_b32 s4, 0
	s_mov_b32 s5, s4
	s_waitcnt vmcnt(14)
	v_mad_u32_u24 v4, v1, 40, v71
	v_mov_b64_e32 v[2:3], s[4:5]
	ds_write2st64_b64 v4, v[2:3], v[2:3] offset1:5
                                        ; implicit-def: $vgpr69
                                        ; implicit-def: $vgpr67
                                        ; implicit-def: $vgpr15
                                        ; implicit-def: $vgpr3
                                        ; implicit-def: $vgpr7
                                        ; implicit-def: $vgpr11
                                        ; implicit-def: $vgpr19
                                        ; implicit-def: $vgpr23
                                        ; implicit-def: $vgpr27
                                        ; implicit-def: $vgpr39
                                        ; implicit-def: $vgpr31
                                        ; implicit-def: $vgpr35
                                        ; implicit-def: $vgpr43
                                        ; implicit-def: $vgpr47
                                        ; implicit-def: $vgpr51
                                        ; implicit-def: $vgpr55
                                        ; implicit-def: $vgpr59
                                        ; implicit-def: $vgpr63
                                        ; implicit-def: $vgpr70
                                        ; implicit-def: $vgpr72
                                        ; implicit-def: $vgpr73
                                        ; implicit-def: $vgpr71
.LBB346_23:
	s_andn2_saveexec_b64 s[2:3], s[2:3]
	s_cbranch_execz .LBB346_25
; %bb.24:
	v_add_f32_e32 v73, 0x358637bd, v73
	v_div_scale_f32 v74, s[4:5], v73, v73, 1.0
	v_rcp_f32_e32 v75, v74
	v_sub_f32_e32 v70, v70, v72
	v_mul_f32_e32 v70, 0x3fb8aa3b, v70
	v_exp_f32_e32 v70, v70
	v_fma_f32 v72, -v74, v75, 1.0
	v_fmac_f32_e32 v75, v72, v75
	v_div_scale_f32 v72, vcc, 1.0, v73, 1.0
	v_mul_f32_e32 v76, v72, v75
	v_fma_f32 v77, -v74, v76, v72
	v_fmac_f32_e32 v76, v77, v75
	v_fma_f32 v72, -v74, v76, v72
	v_div_fmas_f32 v72, v72, v75, v76
	v_div_fixup_f32 v72, v72, v73, 1.0
	v_mul_f32_e32 v70, v70, v72
	v_pk_mul_f32 v[68:69], v[68:69], v[70:71] op_sel_hi:[1,0]
	v_pk_mul_f32 v[66:67], v[66:67], v[70:71] op_sel_hi:[1,0]
	v_cvt_f16_f32_e32 v68, v68
	v_cvt_f16_f32_e32 v66, v66
	;; [unrolled: 1-line block ×4, first 2 shown]
	v_pack_b32_f16 v66, v66, v67
	v_pack_b32_f16 v67, v68, v69
	s_waitcnt vmcnt(15)
	s_nop 0
	v_mfma_f32_4x4x4_16b_f16 a[0:3], v[66:67], v[14:15], 0 cbsz:4
	s_nop 1
	v_mfma_f32_4x4x4_16b_f16 a[0:3], v[66:67], v[16:17], a[0:3] cbsz:4 abid:1
	s_waitcnt vmcnt(11)
	v_mfma_f32_4x4x4_16b_f16 a[4:7], v[66:67], v[30:31], 0 cbsz:4
	v_mfma_f32_4x4x4_16b_f16 a[0:3], v[66:67], v[2:3], a[0:3] cbsz:4 abid:2
	s_nop 0
	v_mfma_f32_4x4x4_16b_f16 a[4:7], v[66:67], v[32:33], a[4:7] cbsz:4 abid:1
	v_mfma_f32_4x4x4_16b_f16 a[0:3], v[66:67], v[4:5], a[0:3] cbsz:4 abid:3
	s_waitcnt vmcnt(10)
	v_mfma_f32_4x4x4_16b_f16 a[4:7], v[66:67], v[34:35], a[4:7] cbsz:4 abid:2
	v_mfma_f32_4x4x4_16b_f16 a[0:3], v[66:67], v[6:7], a[0:3] cbsz:4 abid:4
	s_nop 0
	v_mfma_f32_4x4x4_16b_f16 a[4:7], v[66:67], v[36:37], a[4:7] cbsz:4 abid:3
	v_mfma_f32_4x4x4_16b_f16 a[0:3], v[66:67], v[8:9], a[0:3] cbsz:4 abid:5
	v_mad_u32_u24 v9, v1, 40, v71
	s_waitcnt vmcnt(9)
	v_mfma_f32_4x4x4_16b_f16 a[4:7], v[66:67], v[42:43], a[4:7] cbsz:4 abid:4
	v_mfma_f32_4x4x4_16b_f16 a[0:3], v[66:67], v[10:11], a[0:3] cbsz:4 abid:6
	s_nop 0
	v_mfma_f32_4x4x4_16b_f16 a[4:7], v[66:67], v[44:45], a[4:7] cbsz:4 abid:5
	v_mfma_f32_4x4x4_16b_f16 a[0:3], v[66:67], v[12:13], a[0:3] cbsz:4 abid:7
	s_waitcnt vmcnt(8)
	v_mfma_f32_4x4x4_16b_f16 a[4:7], v[66:67], v[46:47], a[4:7] cbsz:4 abid:6
	s_waitcnt vmcnt(7)
	v_mfma_f32_4x4x4_16b_f16 a[0:3], v[66:67], v[18:19], a[0:3] cbsz:4 abid:8
	v_mfma_f32_4x4x4_16b_f16 a[4:7], v[66:67], v[48:49], a[4:7] cbsz:4 abid:7
	s_nop 0
	v_mfma_f32_4x4x4_16b_f16 a[0:3], v[66:67], v[20:21], a[0:3] cbsz:4 abid:9
	s_waitcnt vmcnt(3)
	v_mfma_f32_4x4x4_16b_f16 a[4:7], v[66:67], v[50:51], a[4:7] cbsz:4 abid:8
	v_mfma_f32_4x4x4_16b_f16 a[0:3], v[66:67], v[22:23], a[0:3] cbsz:4 abid:10
	s_nop 0
	v_mfma_f32_4x4x4_16b_f16 a[4:7], v[66:67], v[52:53], a[4:7] cbsz:4 abid:9
	v_mfma_f32_4x4x4_16b_f16 a[0:3], v[66:67], v[24:25], a[0:3] cbsz:4 abid:11
	s_waitcnt vmcnt(2)
	v_mfma_f32_4x4x4_16b_f16 a[4:7], v[66:67], v[54:55], a[4:7] cbsz:4 abid:10
	v_mfma_f32_4x4x4_16b_f16 a[0:3], v[66:67], v[26:27], a[0:3] cbsz:4 abid:12
	s_nop 0
	v_mfma_f32_4x4x4_16b_f16 a[4:7], v[66:67], v[56:57], a[4:7] cbsz:4 abid:11
	v_mfma_f32_4x4x4_16b_f16 a[0:3], v[66:67], v[28:29], a[0:3] cbsz:4 abid:13
	s_waitcnt vmcnt(1)
	v_mfma_f32_4x4x4_16b_f16 a[4:7], v[66:67], v[58:59], a[4:7] cbsz:4 abid:12
	v_mfma_f32_4x4x4_16b_f16 a[0:3], v[66:67], v[38:39], a[0:3] cbsz:4 abid:14
	s_nop 1
	v_mfma_f32_4x4x4_16b_f16 a[0:3], v[66:67], v[40:41], a[0:3] cbsz:4 abid:15
	s_nop 4
	v_accvgpr_read_b32 v2, a0
	v_accvgpr_read_b32 v3, a1
	;; [unrolled: 1-line block ×4, first 2 shown]
	v_mfma_f32_4x4x4_16b_f16 a[0:3], v[66:67], v[60:61], a[4:7] cbsz:4 abid:13
	v_cvt_f16_f32_e32 v2, v2
	v_cvt_f16_f32_e32 v3, v3
	s_waitcnt vmcnt(0)
	v_mfma_f32_4x4x4_16b_f16 a[0:3], v[66:67], v[62:63], a[0:3] cbsz:4 abid:14
	v_pack_b32_f16 v2, v2, v3
	s_nop 0
	v_mfma_f32_4x4x4_16b_f16 a[0:3], v[66:67], v[64:65], a[0:3] cbsz:4 abid:15
	v_cvt_f16_f32_e32 v3, v4
	v_cvt_f16_f32_e32 v4, v5
	v_pack_b32_f16 v3, v3, v4
	s_nop 1
	v_accvgpr_read_b32 v5, a0
	v_accvgpr_read_b32 v6, a1
	;; [unrolled: 1-line block ×4, first 2 shown]
	v_cvt_f16_f32_e32 v5, v5
	v_cvt_f16_f32_e32 v6, v6
	;; [unrolled: 1-line block ×4, first 2 shown]
	v_pack_b32_f16 v4, v5, v6
	v_pack_b32_f16 v5, v7, v8
	ds_write2st64_b64 v9, v[2:3], v[4:5] offset1:5
.LBB346_25:
	s_or_b64 exec, exec, s[2:3]
	v_cmp_gt_u32_e32 vcc, 64, v0
	s_waitcnt lgkmcnt(0)
	s_barrier
	s_and_saveexec_b64 s[2:3], vcc
	s_cbranch_execz .LBB346_27
; %bb.26:
	s_waitcnt vmcnt(13)
	v_mul_u32_u24_e32 v6, 40, v1
	ds_read2_b64 v[2:5], v6 offset1:1
	ds_read2_b64 v[6:9], v6 offset0:2 offset1:3
	s_mov_b32 s1, 0
	s_lshl_b32 s0, s0, 7
	s_lshl_b64 s[2:3], s[0:1], 1
	s_waitcnt lgkmcnt(1)
	v_pk_add_f16 v2, v2, 0
	v_pk_add_f16 v3, v3, 0
	;; [unrolled: 1-line block ×4, first 2 shown]
	s_waitcnt lgkmcnt(0)
	v_pk_add_f16 v2, v2, v6
	v_pk_add_f16 v6, v3, v7
	s_waitcnt vmcnt(12)
	v_pk_add_f16 v10, v2, v8
	v_mov_b32_e32 v2, 0xa00
	v_mad_u32_u24 v2, v1, 40, v2
	ds_read2_b64 v[2:5], v2 offset1:1
	v_pk_add_f16 v11, v6, v9
	v_mov_b32_e32 v6, 0xa10
	v_mad_u32_u24 v1, v1, 40, v6
	ds_read2_b64 v[6:9], v1 offset1:1
	s_add_u32 s2, s18, s2
	s_addc_u32 s3, s19, s3
	s_lshl_b32 s0, s16, 7
	s_lshl_b64 s[0:1], s[0:1], 1
	s_waitcnt lgkmcnt(1)
	v_pk_add_f16 v1, v2, 0
	v_pk_add_f16 v2, v3, 0
	s_add_u32 s0, s2, s0
	v_pk_add_f16 v2, v2, v5
	s_addc_u32 s1, s3, s1
	s_lshl_b32 s2, s33, 7
	s_waitcnt lgkmcnt(0)
	v_pk_add_f16 v2, v2, v7
	s_mul_i32 s3, s2, s34
	v_pk_add_f16 v9, v2, v9
	v_or_b32_e32 v2, s3, v0
	v_mov_b32_e32 v3, 0
	s_add_i32 s3, s3, s2
	v_pk_add_f16 v1, v1, v4
	v_lshl_add_u64 v[4:5], v[2:3], 1, s[0:1]
	v_or_b32_e32 v2, s3, v0
	s_add_i32 s3, s3, s2
	v_pk_add_f16 v1, v1, v6
	v_lshl_add_u64 v[6:7], v[2:3], 1, s[0:1]
	v_or_b32_e32 v2, s3, v0
	v_pk_add_f16 v8, v1, v8
	v_lshl_add_u64 v[0:1], v[2:3], 1, s[0:1]
	global_store_short v[4:5], v10, off
	global_store_short_d16_hi v[6:7], v10, off
	global_store_short v[0:1], v11, off
	global_store_short v[4:5], v8, off offset:128
	global_store_short_d16_hi v[6:7], v8, off offset:128
	global_store_short v[0:1], v9, off offset:128
.LBB346_27:
	s_endpgm
	.section	.rodata,"a",@progbits
	.p2align	6, 0x0
	.amdhsa_kernel _Z38paged_attention_ll4mi_QKV_mfma4_kernelIDF16_DF16_LN4vllm18Fp8KVCacheDataTypeE0EDF16_Li32ELi128ELi256ELb1ELi3EEvPKT_PKT0_S7_ifPKiS9_S9_iPKfiiiPfSC_PS2_PT2_iSB_SB_
		.amdhsa_group_segment_fixed_size 5280
		.amdhsa_private_segment_fixed_size 0
		.amdhsa_kernarg_size 400
		.amdhsa_user_sgpr_count 2
		.amdhsa_user_sgpr_dispatch_ptr 0
		.amdhsa_user_sgpr_queue_ptr 0
		.amdhsa_user_sgpr_kernarg_segment_ptr 1
		.amdhsa_user_sgpr_dispatch_id 0
		.amdhsa_user_sgpr_kernarg_preload_length 0
		.amdhsa_user_sgpr_kernarg_preload_offset 0
		.amdhsa_user_sgpr_private_segment_size 0
		.amdhsa_uses_dynamic_stack 0
		.amdhsa_enable_private_segment 0
		.amdhsa_system_sgpr_workgroup_id_x 1
		.amdhsa_system_sgpr_workgroup_id_y 1
		.amdhsa_system_sgpr_workgroup_id_z 1
		.amdhsa_system_sgpr_workgroup_info 0
		.amdhsa_system_vgpr_workitem_id 0
		.amdhsa_next_free_vgpr 100
		.amdhsa_next_free_sgpr 40
		.amdhsa_accum_offset 92
		.amdhsa_reserve_vcc 1
		.amdhsa_float_round_mode_32 0
		.amdhsa_float_round_mode_16_64 0
		.amdhsa_float_denorm_mode_32 3
		.amdhsa_float_denorm_mode_16_64 3
		.amdhsa_dx10_clamp 1
		.amdhsa_ieee_mode 1
		.amdhsa_fp16_overflow 0
		.amdhsa_tg_split 0
		.amdhsa_exception_fp_ieee_invalid_op 0
		.amdhsa_exception_fp_denorm_src 0
		.amdhsa_exception_fp_ieee_div_zero 0
		.amdhsa_exception_fp_ieee_overflow 0
		.amdhsa_exception_fp_ieee_underflow 0
		.amdhsa_exception_fp_ieee_inexact 0
		.amdhsa_exception_int_div_zero 0
	.end_amdhsa_kernel
	.section	.text._Z38paged_attention_ll4mi_QKV_mfma4_kernelIDF16_DF16_LN4vllm18Fp8KVCacheDataTypeE0EDF16_Li32ELi128ELi256ELb1ELi3EEvPKT_PKT0_S7_ifPKiS9_S9_iPKfiiiPfSC_PS2_PT2_iSB_SB_,"axG",@progbits,_Z38paged_attention_ll4mi_QKV_mfma4_kernelIDF16_DF16_LN4vllm18Fp8KVCacheDataTypeE0EDF16_Li32ELi128ELi256ELb1ELi3EEvPKT_PKT0_S7_ifPKiS9_S9_iPKfiiiPfSC_PS2_PT2_iSB_SB_,comdat
.Lfunc_end346:
	.size	_Z38paged_attention_ll4mi_QKV_mfma4_kernelIDF16_DF16_LN4vllm18Fp8KVCacheDataTypeE0EDF16_Li32ELi128ELi256ELb1ELi3EEvPKT_PKT0_S7_ifPKiS9_S9_iPKfiiiPfSC_PS2_PT2_iSB_SB_, .Lfunc_end346-_Z38paged_attention_ll4mi_QKV_mfma4_kernelIDF16_DF16_LN4vllm18Fp8KVCacheDataTypeE0EDF16_Li32ELi128ELi256ELb1ELi3EEvPKT_PKT0_S7_ifPKiS9_S9_iPKfiiiPfSC_PS2_PT2_iSB_SB_
                                        ; -- End function
	.section	.AMDGPU.csdata,"",@progbits
; Kernel info:
; codeLenInByte = 3980
; NumSgprs: 46
; NumVgprs: 90
; NumAgprs: 8
; TotalNumVgprs: 100
; ScratchSize: 0
; MemoryBound: 0
; FloatMode: 240
; IeeeMode: 1
; LDSByteSize: 5280 bytes/workgroup (compile time only)
; SGPRBlocks: 5
; VGPRBlocks: 12
; NumSGPRsForWavesPerEU: 46
; NumVGPRsForWavesPerEU: 100
; AccumOffset: 92
; Occupancy: 4
; WaveLimiterHint : 1
; COMPUTE_PGM_RSRC2:SCRATCH_EN: 0
; COMPUTE_PGM_RSRC2:USER_SGPR: 2
; COMPUTE_PGM_RSRC2:TRAP_HANDLER: 0
; COMPUTE_PGM_RSRC2:TGID_X_EN: 1
; COMPUTE_PGM_RSRC2:TGID_Y_EN: 1
; COMPUTE_PGM_RSRC2:TGID_Z_EN: 1
; COMPUTE_PGM_RSRC2:TIDIG_COMP_CNT: 0
; COMPUTE_PGM_RSRC3_GFX90A:ACCUM_OFFSET: 22
; COMPUTE_PGM_RSRC3_GFX90A:TG_SPLIT: 0
	.section	.text._Z38paged_attention_ll4mi_QKV_mfma4_kernelIDF16_DF16_LN4vllm18Fp8KVCacheDataTypeE0EDF16_Li32ELi128ELi256ELb1ELi4EEvPKT_PKT0_S7_ifPKiS9_S9_iPKfiiiPfSC_PS2_PT2_iSB_SB_,"axG",@progbits,_Z38paged_attention_ll4mi_QKV_mfma4_kernelIDF16_DF16_LN4vllm18Fp8KVCacheDataTypeE0EDF16_Li32ELi128ELi256ELb1ELi4EEvPKT_PKT0_S7_ifPKiS9_S9_iPKfiiiPfSC_PS2_PT2_iSB_SB_,comdat
	.protected	_Z38paged_attention_ll4mi_QKV_mfma4_kernelIDF16_DF16_LN4vllm18Fp8KVCacheDataTypeE0EDF16_Li32ELi128ELi256ELb1ELi4EEvPKT_PKT0_S7_ifPKiS9_S9_iPKfiiiPfSC_PS2_PT2_iSB_SB_ ; -- Begin function _Z38paged_attention_ll4mi_QKV_mfma4_kernelIDF16_DF16_LN4vllm18Fp8KVCacheDataTypeE0EDF16_Li32ELi128ELi256ELb1ELi4EEvPKT_PKT0_S7_ifPKiS9_S9_iPKfiiiPfSC_PS2_PT2_iSB_SB_
	.globl	_Z38paged_attention_ll4mi_QKV_mfma4_kernelIDF16_DF16_LN4vllm18Fp8KVCacheDataTypeE0EDF16_Li32ELi128ELi256ELb1ELi4EEvPKT_PKT0_S7_ifPKiS9_S9_iPKfiiiPfSC_PS2_PT2_iSB_SB_
	.p2align	8
	.type	_Z38paged_attention_ll4mi_QKV_mfma4_kernelIDF16_DF16_LN4vllm18Fp8KVCacheDataTypeE0EDF16_Li32ELi128ELi256ELb1ELi4EEvPKT_PKT0_S7_ifPKiS9_S9_iPKfiiiPfSC_PS2_PT2_iSB_SB_,@function
_Z38paged_attention_ll4mi_QKV_mfma4_kernelIDF16_DF16_LN4vllm18Fp8KVCacheDataTypeE0EDF16_Li32ELi128ELi256ELb1ELi4EEvPKT_PKT0_S7_ifPKiS9_S9_iPKfiiiPfSC_PS2_PT2_iSB_SB_: ; @_Z38paged_attention_ll4mi_QKV_mfma4_kernelIDF16_DF16_LN4vllm18Fp8KVCacheDataTypeE0EDF16_Li32ELi128ELi256ELb1ELi4EEvPKT_PKT0_S7_ifPKiS9_S9_iPKfiiiPfSC_PS2_PT2_iSB_SB_
; %bb.0:
	s_load_dwordx2 s[8:9], s[0:1], 0x30
	s_mov_b32 s20, s3
	s_mov_b64 s[6:7], 0
	s_waitcnt lgkmcnt(0)
	s_cmp_lg_u64 s[8:9], 0
	s_cselect_b64 s[10:11], -1, 0
	s_and_b64 vcc, exec, s[10:11]
	s_cbranch_vccz .LBB347_20
; %bb.1:
	s_add_i32 s12, s2, 1
	s_mov_b32 s13, 0
	s_lshl_b64 s[14:15], s[12:13], 2
	s_add_u32 s14, s8, s14
	s_mov_b32 s3, s13
	s_addc_u32 s15, s9, s15
	s_lshl_b64 s[12:13], s[2:3], 2
	s_add_u32 s12, s8, s12
	s_addc_u32 s13, s9, s13
	s_load_dword s5, s[14:15], 0x0
	s_load_dword s16, s[12:13], 0x0
	s_mov_b64 s[34:35], s[2:3]
	s_waitcnt lgkmcnt(0)
	s_sub_i32 s5, s5, s16
	s_cmp_eq_u32 s5, 1
	s_cselect_b64 s[12:13], -1, 0
	s_andn2_b64 vcc, exec, s[6:7]
	s_cbranch_vccnz .LBB347_3
.LBB347_2:
	s_mov_b32 s3, 0
	s_mov_b64 s[12:13], -1
	s_mov_b64 s[34:35], s[2:3]
.LBB347_3:
	s_andn2_b64 vcc, exec, s[12:13]
	s_cbranch_vccnz .LBB347_19
; %bb.4:
	s_load_dword s3, s[0:1], 0x9c
	s_load_dwordx2 s[6:7], s[0:1], 0x28
	s_add_u32 s24, s0, 0x90
	s_addc_u32 s25, s1, 0
	s_lshl_b64 s[36:37], s[34:35], 2
	s_waitcnt lgkmcnt(0)
	s_and_b32 s5, s3, 0xffff
	s_add_u32 s6, s6, s36
	s_addc_u32 s7, s7, s37
	s_load_dword s3, s[6:7], 0x0
	s_mul_i32 s5, s20, s5
	s_waitcnt lgkmcnt(0)
	s_cmp_ge_i32 s5, s3
	s_cbranch_scc1 .LBB347_19
; %bb.5:
	v_and_b32_e32 v1, 0xc0, v0
	v_and_b32_e32 v73, 3, v0
	s_lshl_b32 s33, s4, 2
	v_add_u32_e32 v2, s5, v1
	v_lshrrev_b32_e32 v72, 6, v0
	v_cmp_le_i32_e64 s[6:7], s3, v2
	v_or_b32_e32 v66, s33, v73
                                        ; implicit-def: $sgpr17
                                        ; implicit-def: $sgpr16
	s_and_saveexec_b64 s[12:13], s[6:7]
	s_xor_b64 s[12:13], exec, s[12:13]
	s_cbranch_execz .LBB347_7
; %bb.6:
	v_mul_u32_u24_e32 v1, 20, v72
	v_or_b32_e32 v1, 0x1400, v1
	v_mov_b32_e32 v2, 0x1450
	v_mov_b32_e32 v3, 0xff7fffff
	v_mad_u32_u24 v2, v72, 20, v2
	ds_write2_b32 v1, v3, v3 offset1:1
	v_mov_b32_e32 v1, 0
	ds_write2_b32 v2, v1, v1 offset1:1
	v_mov_b32_e32 v2, 0x1408
	s_mov_b32 s16, 0xff7fffff
	s_mov_b32 s17, 0
	v_mad_u32_u24 v2, v72, 20, v2
	v_mov_b32_e32 v4, 0x1458
	v_or_b32_e32 v66, s33, v73
	v_mad_u32_u24 v4, v72, 20, v4
	ds_write2_b32 v2, v3, v3 offset1:1
	ds_write2_b32 v4, v1, v1 offset1:1
                                        ; implicit-def: $vgpr2
.LBB347_7:
	s_or_saveexec_b64 s[26:27], s[12:13]
	s_load_dwordx2 s[22:23], s[0:1], 0x68
	s_load_dwordx4 s[12:15], s[0:1], 0x58
	s_load_dword s40, s[24:25], 0x4
	v_and_b32_e32 v1, 63, v0
	v_mov_b32_e32 v71, s17
	v_mov_b32_e32 v67, s16
	;; [unrolled: 1-line block ×5, first 2 shown]
                                        ; implicit-def: $vgpr31
                                        ; implicit-def: $vgpr19
                                        ; implicit-def: $vgpr23
                                        ; implicit-def: $vgpr27
                                        ; implicit-def: $vgpr3
                                        ; implicit-def: $vgpr7
                                        ; implicit-def: $vgpr11
                                        ; implicit-def: $vgpr15
                                        ; implicit-def: $vgpr51
                                        ; implicit-def: $vgpr55
                                        ; implicit-def: $vgpr59
                                        ; implicit-def: $vgpr63
                                        ; implicit-def: $vgpr39
                                        ; implicit-def: $vgpr47
                                        ; implicit-def: $vgpr35
                                        ; implicit-def: $vgpr43
	s_xor_b64 exec, exec, s[26:27]
	s_cbranch_execz .LBB347_13
; %bb.8:
	s_add_i32 s19, s3, 31
	s_load_dwordx2 s[16:17], s[0:1], 0x20
	s_load_dword s18, s[0:1], 0x38
	s_ashr_i32 s21, s19, 31
	s_lshr_b32 s21, s21, 27
	v_add_u32_e32 v68, s5, v0
	s_add_i32 s19, s19, s21
	v_ashrrev_i32_e32 v3, 31, v68
	s_ashr_i32 s19, s19, 5
	v_lshrrev_b32_e32 v3, 27, v3
	s_add_i32 s21, s19, -1
	v_add_u32_e32 v3, v68, v3
	s_waitcnt lgkmcnt(0)
	s_mul_i32 s38, s2, s18
	s_mov_b32 s39, 0
	v_ashrrev_i32_e32 v3, 5, v3
	v_mov_b32_e32 v4, s21
	v_cmp_gt_i32_e32 vcc, s3, v68
	s_lshl_b64 s[18:19], s[38:39], 2
	s_add_u32 s16, s16, s18
	v_cndmask_b32_e32 v4, v4, v3, vcc
	v_ashrrev_i32_e32 v3, 31, v2
	v_lshrrev_b32_e32 v3, 27, v3
	s_addc_u32 s17, s17, s19
	v_ashrrev_i32_e32 v5, 31, v4
	v_add_u32_e32 v2, v2, v3
	v_lshl_add_u64 v[6:7], v[4:5], 2, s[16:17]
	v_ashrrev_i32_e32 v4, 5, v2
	v_min_i32_e32 v2, s21, v4
	v_ashrrev_i32_e32 v3, 31, v2
	v_lshl_add_u64 v[8:9], v[2:3], 2, s[16:17]
	v_add_u32_e32 v2, 1, v4
	v_min_i32_e32 v2, s21, v2
	v_ashrrev_i32_e32 v3, 31, v2
	v_lshl_add_u64 v[10:11], v[2:3], 2, s[16:17]
	global_load_dword v2, v[6:7], off
	global_load_dword v4, v[8:9], off
	;; [unrolled: 1-line block ×3, first 2 shown]
	s_load_dwordx2 s[30:31], s[0:1], 0x40
	s_load_dwordx4 s[16:19], s[0:1], 0x0
	s_load_dwordx2 s[28:29], s[0:1], 0x10
	s_andn2_b64 vcc, exec, s[10:11]
	s_cbranch_vccnz .LBB347_10
; %bb.9:
	s_add_u32 s8, s8, s36
	s_addc_u32 s9, s9, s37
	s_load_dword s38, s[8:9], 0x0
	s_waitcnt lgkmcnt(0)
	s_mov_b64 s[34:35], s[38:39]
.LBB347_10:
	s_load_dwordx4 s[8:11], s[0:1], 0x48
	v_lshlrev_b32_e32 v3, 2, v1
	v_and_b32_e32 v3, 0xf0, v3
	v_lshl_or_b32 v3, v73, 8, v3
	v_and_b32_e32 v6, 31, v0
	s_waitcnt lgkmcnt(0)
	s_ashr_i32 s5, s8, 31
	s_mul_hi_u32 s11, s34, s8
	s_mul_i32 s5, s34, s5
	s_mul_i32 s21, s35, s8
	s_add_i32 s5, s11, s5
	s_mul_i32 s36, s34, s8
	s_add_i32 s37, s5, s21
	s_lshl_b64 s[34:35], s[36:37], 1
	s_add_u32 s5, s16, s34
	s_addc_u32 s8, s17, s35
	s_lshl_b32 s38, s4, 9
	s_lshl_b64 s[16:17], s[38:39], 1
	s_add_u32 s16, s5, s16
	s_addc_u32 s17, s8, s17
	global_load_dwordx4 v[74:77], v3, s[16:17]
	s_mul_i32 s38, s4, s10
	s_lshl_b64 s[4:5], s[38:39], 1
	s_add_u32 s10, s4, s18
	s_waitcnt vmcnt(3)
	v_mad_i64_i32 v[2:3], s[16:17], v2, s9, 0
	s_addc_u32 s11, s5, s19
	v_lshl_add_u64 v[2:3], v[2:3], 1, s[10:11]
	v_lshlrev_b32_e32 v18, 4, v6
	v_mov_b32_e32 v19, 0
	v_lshl_add_u64 v[36:37], v[2:3], 0, v[18:19]
	global_load_dwordx4 v[6:9], v[36:37], off
	global_load_dwordx4 v[10:13], v[36:37], off offset:512
	global_load_dwordx4 v[14:17], v[36:37], off offset:1024
	;; [unrolled: 1-line block ×6, first 2 shown]
	v_mov_b32_e32 v41, v19
	global_load_dwordx4 v[36:39], v[36:37], off offset:3584
	v_or_b32_e32 v40, 0x1000, v18
	v_lshl_add_u64 v[40:41], v[2:3], 0, v[40:41]
	global_load_dwordx4 v[40:43], v[40:41], off
	v_mov_b32_e32 v45, v19
	v_or_b32_e32 v44, 0x1200, v18
	v_lshl_add_u64 v[44:45], v[2:3], 0, v[44:45]
	global_load_dwordx4 v[44:47], v[44:45], off
	v_mov_b32_e32 v49, v19
	v_or_b32_e32 v48, 0x1400, v18
	v_lshl_add_u64 v[48:49], v[2:3], 0, v[48:49]
	global_load_dwordx4 v[48:51], v[48:49], off
	v_mov_b32_e32 v53, v19
	v_or_b32_e32 v52, 0x1600, v18
	v_lshl_add_u64 v[52:53], v[2:3], 0, v[52:53]
	global_load_dwordx4 v[52:55], v[52:53], off
	v_mov_b32_e32 v57, v19
	v_or_b32_e32 v56, 0x1800, v18
	v_lshl_add_u64 v[56:57], v[2:3], 0, v[56:57]
	global_load_dwordx4 v[56:59], v[56:57], off
	v_mov_b32_e32 v61, v19
	v_or_b32_e32 v60, 0x1a00, v18
	v_lshl_add_u64 v[60:61], v[2:3], 0, v[60:61]
	global_load_dwordx4 v[60:63], v[60:61], off
	v_or_b32_e32 v18, 0x1c00, v18
	v_lshl_add_u64 v[64:65], v[2:3], 0, v[18:19]
	global_load_dwordx4 v[78:81], v[64:65], off
	v_mov_b32_e32 v67, 0x1e00
	v_lshl_or_b32 v18, v0, 4, v67
	v_lshl_add_u64 v[2:3], v[2:3], 0, v[18:19]
	global_load_dwordx4 v[82:85], v[2:3], off
	v_mov_b32_e32 v67, v19
	v_lshl_add_u64 v[70:71], v[66:67], 2, s[30:31]
	global_load_dword v93, v[70:71], off
	v_and_b32_e32 v89, -4, v68
	v_subrev_u32_e32 v2, s3, v89
	v_add_u32_e32 v67, 1, v2
	v_add_u32_e32 v90, 2, v2
	;; [unrolled: 1-line block ×4, first 2 shown]
	s_waitcnt vmcnt(19)
	v_mul_hi_i32 v2, v4, s9
	v_mov_b32_e32 v3, v19
	s_add_u32 s4, s28, s4
	s_addc_u32 s5, s29, s5
	v_mov_b32_e32 v65, v19
	s_load_dword s0, s[0:1], 0x1c
	v_cmp_eq_u32_e32 vcc, 0, v73
	v_cvt_f32_i32_e32 v67, v67
	v_or_b32_e32 v68, 3, v68
	v_cndmask_b32_e64 v69, 0, 1.0, vcc
	v_cmp_eq_u32_e32 vcc, 1, v73
	s_waitcnt vmcnt(16)
	v_mfma_f32_4x4x4_16b_f16 a[0:3], v[74:75], v[6:7], 0 cbsz:4
	v_mul_hi_i32 v6, v5, s9
	s_nop 0
	v_mfma_f32_4x4x4_16b_f16 a[0:3], v[76:77], v[8:9], a[0:3] cbsz:4
	v_ashrrev_i32_e32 v7, 31, v2
	v_ashrrev_i32_e32 v2, 31, v6
	s_waitcnt vmcnt(15)
	v_mfma_f32_4x4x4_16b_f16 a[0:3], v[74:75], v[10:11], a[0:3] cbsz:4 abid:1
	v_lshrrev_b32_e32 v2, 29, v2
	v_mad_i64_i32 v[2:3], s[10:11], v5, s9, v[2:3]
	v_mfma_f32_4x4x4_16b_f16 a[0:3], v[76:77], v[12:13], a[0:3] cbsz:4 abid:1
	v_lshlrev_b64 v[2:3], 1, v[2:3]
	v_and_b32_e32 v2, -16, v2
	s_waitcnt vmcnt(14)
	v_mfma_f32_4x4x4_16b_f16 a[0:3], v[74:75], v[14:15], a[0:3] cbsz:4 abid:2
	v_lshrrev_b32_e32 v18, 29, v7
	v_cndmask_b32_e64 v86, 0, 1.0, vcc
	v_mfma_f32_4x4x4_16b_f16 a[0:3], v[76:77], v[16:17], a[0:3] cbsz:4 abid:2
	v_cmp_eq_u32_e32 vcc, 2, v73
	s_waitcnt vmcnt(13)
	v_mfma_f32_4x4x4_16b_f16 a[0:3], v[74:75], v[20:21], a[0:3] cbsz:4 abid:3
	v_lshl_add_u64 v[20:21], s[4:5], 0, v[2:3]
	v_mad_i64_i32 v[2:3], s[8:9], v4, s9, v[18:19]
	v_mfma_f32_4x4x4_16b_f16 a[0:3], v[76:77], v[22:23], a[0:3] cbsz:4 abid:3
	v_lshlrev_b64 v[22:23], 1, v[2:3]
	v_lshlrev_b32_e32 v18, 6, v1
	s_waitcnt vmcnt(12)
	v_mfma_f32_4x4x4_16b_f16 a[0:3], v[74:75], v[24:25], a[0:3] cbsz:4 abid:4
	v_and_b32_e32 v22, -16, v22
	v_or_b32_e32 v64, 0x1000, v18
	v_mfma_f32_4x4x4_16b_f16 a[0:3], v[76:77], v[26:27], a[0:3] cbsz:4 abid:4
	v_lshl_add_u64 v[22:23], s[4:5], 0, v[22:23]
	v_lshl_add_u64 v[24:25], v[20:21], 0, v[18:19]
	s_waitcnt vmcnt(11)
	v_mfma_f32_4x4x4_16b_f16 a[0:3], v[74:75], v[28:29], a[0:3] cbsz:4 abid:5
	v_lshl_add_u64 v[20:21], v[20:21], 0, v[64:65]
	v_lshl_add_u64 v[70:71], v[22:23], 0, v[64:65]
	v_mfma_f32_4x4x4_16b_f16 a[0:3], v[76:77], v[30:31], a[0:3] cbsz:4 abid:5
	global_load_dwordx4 v[2:5], v[24:25], off
	global_load_dwordx4 v[6:9], v[24:25], off offset:16
	s_waitcnt vmcnt(12)
	v_mfma_f32_4x4x4_16b_f16 a[0:3], v[74:75], v[32:33], a[0:3] cbsz:4 abid:6
	global_load_dwordx4 v[10:13], v[24:25], off offset:32
	global_load_dwordx4 v[14:17], v[24:25], off offset:48
	v_mfma_f32_4x4x4_16b_f16 a[0:3], v[76:77], v[34:35], a[0:3] cbsz:4 abid:6
	v_cndmask_b32_e64 v87, 0, 1.0, vcc
	v_cmp_eq_u32_e32 vcc, 3, v73
	s_waitcnt vmcnt(13)
	v_mfma_f32_4x4x4_16b_f16 a[0:3], v[74:75], v[36:37], a[0:3] cbsz:4 abid:7
	v_cmp_gt_i32_e64 s[8:9], s3, v68
	v_cndmask_b32_e64 v88, 0, 1.0, vcc
	v_mfma_f32_4x4x4_16b_f16 a[0:3], v[76:77], v[38:39], a[0:3] cbsz:4 abid:7
	v_cmp_gt_i32_e32 vcc, s3, v89
	s_waitcnt vmcnt(12)
	v_mfma_f32_4x4x4_16b_f16 a[0:3], v[74:75], v[40:41], a[0:3] cbsz:4 abid:8
	s_nop 1
	v_mfma_f32_4x4x4_16b_f16 a[0:3], v[76:77], v[42:43], a[0:3] cbsz:4 abid:8
	s_waitcnt vmcnt(11)
	s_nop 0
	v_mfma_f32_4x4x4_16b_f16 a[0:3], v[74:75], v[44:45], a[0:3] cbsz:4 abid:9
	s_nop 1
	v_mfma_f32_4x4x4_16b_f16 a[0:3], v[76:77], v[46:47], a[0:3] cbsz:4 abid:9
	s_waitcnt vmcnt(10)
	s_nop 0
	v_mfma_f32_4x4x4_16b_f16 a[0:3], v[74:75], v[48:49], a[0:3] cbsz:4 abid:10
	global_load_dwordx4 v[38:41], v[20:21], off
	global_load_dwordx4 v[46:49], v[20:21], off offset:16
	v_mfma_f32_4x4x4_16b_f16 a[0:3], v[76:77], v[50:51], a[0:3] cbsz:4 abid:10
	v_lshl_add_u64 v[50:51], v[22:23], 0, v[18:19]
	global_load_dwordx4 v[34:37], v[20:21], off offset:32
	global_load_dwordx4 v[42:45], v[20:21], off offset:48
	s_waitcnt vmcnt(13)
	v_mfma_f32_4x4x4_16b_f16 a[0:3], v[74:75], v[52:53], a[0:3] cbsz:4 abid:11
	global_load_dwordx4 v[30:33], v[50:51], off
	global_load_dwordx4 v[18:21], v[50:51], off offset:16
	v_mfma_f32_4x4x4_16b_f16 a[0:3], v[76:77], v[54:55], a[0:3] cbsz:4 abid:11
	global_load_dwordx4 v[22:25], v[50:51], off offset:32
	global_load_dwordx4 v[26:29], v[50:51], off offset:48
	s_waitcnt vmcnt(16)
	v_mfma_f32_4x4x4_16b_f16 a[0:3], v[74:75], v[56:57], a[0:3] cbsz:4 abid:12
	global_load_dwordx4 v[50:53], v[70:71], off
	global_load_dwordx4 v[54:57], v[70:71], off offset:16
	v_mfma_f32_4x4x4_16b_f16 a[0:3], v[76:77], v[58:59], a[0:3] cbsz:4 abid:12
	s_waitcnt vmcnt(17)
	s_nop 0
	v_mfma_f32_4x4x4_16b_f16 a[0:3], v[74:75], v[60:61], a[0:3] cbsz:4 abid:13
	s_nop 1
	v_mfma_f32_4x4x4_16b_f16 a[0:3], v[76:77], v[62:63], a[0:3] cbsz:4 abid:13
	global_load_dwordx4 v[58:61], v[70:71], off offset:32
	global_load_dwordx4 v[62:65], v[70:71], off offset:48
	s_waitcnt vmcnt(18)
	v_mfma_f32_4x4x4_16b_f16 a[0:3], v[74:75], v[78:79], a[0:3] cbsz:4 abid:14
	s_nop 1
	v_mfma_f32_4x4x4_16b_f16 a[0:3], v[76:77], v[80:81], a[0:3] cbsz:4 abid:14
	s_waitcnt vmcnt(17)
	s_nop 0
	v_mfma_f32_4x4x4_16b_f16 a[0:3], v[74:75], v[82:83], a[0:3] cbsz:4 abid:15
	s_nop 1
	v_mfma_f32_4x4x4_16b_f16 a[0:3], v[76:77], v[84:85], a[0:3] cbsz:4 abid:15
	s_nop 4
	v_accvgpr_read_b32 v71, a1
	v_accvgpr_read_b32 v70, a0
	s_waitcnt lgkmcnt(0)
	v_pk_mul_f32 v[70:71], s[0:1], v[70:71] op_sel_hi:[0,1]
	v_accvgpr_read_b32 v75, a3
	v_accvgpr_read_b32 v74, a2
	v_pk_mul_f32 v[74:75], s[0:1], v[74:75] op_sel_hi:[0,1]
	v_mfma_f32_4x4x1_16b_f32 a[0:3], v70, v69, 0
	v_cvt_f32_i32_e32 v69, v90
	s_nop 0
	v_mfma_f32_4x4x1_16b_f32 a[0:3], v71, v86, a[0:3]
	v_cvt_f32_i32_e32 v70, v91
	v_cvt_f32_i32_e32 v71, v92
	v_mfma_f32_4x4x1_16b_f32 a[0:3], v74, v87, a[0:3]
	s_nop 1
	v_mfma_f32_4x4x1_16b_f32 a[0:3], v75, v88, a[0:3]
	s_nop 3
	v_accvgpr_read_b32 v74, a0
	v_accvgpr_read_b32 v75, a1
	;; [unrolled: 1-line block ×3, first 2 shown]
	s_waitcnt vmcnt(16)
	v_fma_f32 v74, v93, v67, v74
	v_fma_f32 v69, v93, v69, v75
	v_accvgpr_read_b32 v75, a3
	v_fma_f32 v70, v93, v70, v76
	v_fmac_f32_e32 v75, v93, v71
	v_max_f32_e32 v71, 0xff7fffff, v74
	v_mov_b32_e32 v76, 0xff7fffff
	v_cndmask_b32_e32 v71, v76, v71, vcc
	v_or_b32_e32 v76, 1, v89
	v_max_f32_e32 v77, v71, v69
	v_cmp_gt_i32_e64 s[0:1], s3, v76
	v_or_b32_e32 v76, 2, v89
	v_cmp_gt_i32_e64 s[4:5], s3, v76
	v_cndmask_b32_e64 v71, v71, v77, s[0:1]
	v_max_f32_e32 v77, v71, v70
	v_lshlrev_b32_e32 v67, 2, v0
	v_cndmask_b32_e64 v71, v71, v77, s[4:5]
	v_and_or_b32 v67, v67, 48, v73
	v_max_f32_e32 v76, v71, v75
	v_cndmask_b32_e64 v68, v71, v76, s[8:9]
	v_lshlrev_b32_e32 v76, 2, v67
	;;#ASMSTART
	v_nop
 v_nop
 v_max_f32_dpp v67, v68, v68 row_ror:4
	;;#ASMEND
	s_nop 0
	;;#ASMSTART
	v_nop
 v_nop
 v_max_f32_dpp v67, v67, v67 row_ror:8
	;;#ASMEND
	ds_bpermute_b32 v67, v76, v67
	s_waitcnt lgkmcnt(0)
	;;#ASMSTART
	v_nop
 v_nop
 v_max_f32_dpp v67, v67, v67 row_ror:4
	;;#ASMEND
	s_nop 0
	;;#ASMSTART
	v_nop
 v_nop
 v_max_f32_dpp v67, v67, v67 row_ror:8
	;;#ASMEND
	s_nop 0
	v_sub_f32_e32 v68, v74, v67
	v_mul_f32_e32 v68, 0x3fb8aa3b, v68
	v_sub_f32_e32 v69, v69, v67
	v_exp_f32_e32 v68, v68
	v_mul_f32_e32 v69, 0x3fb8aa3b, v69
	v_sub_f32_e32 v70, v70, v67
	v_exp_f32_e32 v69, v69
	;; [unrolled: 3-line block ×3, first 2 shown]
	v_mul_f32_e32 v74, 0x3fb8aa3b, v74
	v_exp_f32_e32 v74, v74
	v_cndmask_b32_e32 v68, 0, v68, vcc
	v_add_f32_e32 v71, 0, v68
	v_cndmask_b32_e64 v69, 0, v69, s[0:1]
	v_add_f32_e32 v71, v71, v69
	v_cndmask_b32_e64 v70, 0, v70, s[4:5]
	;; [unrolled: 2-line block ×3, first 2 shown]
	v_add_f32_e32 v74, v75, v71
	;;#ASMSTART
	v_nop
 v_nop
 v_add_f32_dpp v74, v74, v74 row_ror:4
	;;#ASMEND
	v_cmp_gt_u32_e32 vcc, 4, v1
	;;#ASMSTART
	v_nop
 v_nop
 v_add_f32_dpp v74, v74, v74 row_ror:8
	;;#ASMEND
	ds_bpermute_b32 v74, v76, v74
	s_waitcnt lgkmcnt(0)
	;;#ASMSTART
	v_nop
 v_nop
 v_add_f32_dpp v74, v74, v74 row_ror:4
	;;#ASMEND
	s_nop 0
	;;#ASMSTART
	v_nop
 v_nop
 v_add_f32_dpp v74, v74, v74 row_ror:8
	;;#ASMEND
	s_and_saveexec_b64 s[0:1], vcc
	s_cbranch_execz .LBB347_12
; %bb.11:
	v_mul_u32_u24_e32 v75, 20, v72
	v_lshl_add_u32 v75, v73, 2, v75
	v_add_u32_e32 v75, 0x1400, v75
	ds_write2_b32 v75, v67, v74 offset1:20
.LBB347_12:
	s_or_b64 exec, exec, s[0:1]
.LBB347_13:
	s_or_b64 exec, exec, s[26:27]
	v_lshlrev_b32_e32 v73, 2, v73
	v_add_u32_e32 v80, 0x1400, v73
	s_waitcnt lgkmcnt(0)
	s_barrier
	s_load_dword s0, s[24:25], 0x8
	ds_read2_b32 v[74:75], v80 offset1:5
	ds_read2_b32 v[76:77], v80 offset0:10 offset1:15
	s_mov_b32 s4, 0xff7fffff
	s_mul_i32 s1, s2, s40
	ds_read2_b32 v[78:79], v80 offset0:20 offset1:25
	s_waitcnt lgkmcnt(0)
	v_max3_f32 v73, v74, s4, v75
	v_max3_f32 v73, v73, v76, v77
	s_mul_i32 s1, s1, s0
	v_sub_f32_e32 v74, v74, v73
	s_lshl_b32 s0, s1, 2
	s_mov_b32 s1, 0
	v_mul_f32_e32 v74, 0x3fb8aa3b, v74
	v_sub_f32_e32 v75, v75, v73
	s_lshl_b64 s[2:3], s[0:1], 2
	v_exp_f32_e32 v74, v74
	v_mul_f32_e32 v75, 0x3fb8aa3b, v75
	v_sub_f32_e32 v76, v76, v73
	s_add_u32 s8, s12, s2
	v_exp_f32_e32 v75, v75
	ds_read2_b32 v[80:81], v80 offset0:30 offset1:35
	v_mul_f32_e32 v76, 0x3fb8aa3b, v76
	v_sub_f32_e32 v77, v77, v73
	s_addc_u32 s9, s13, s3
	v_exp_f32_e32 v76, v76
	v_mul_f32_e32 v77, 0x3fb8aa3b, v77
	s_mov_b32 s21, s1
	s_add_u32 s4, s14, s2
	v_exp_f32_e32 v77, v77
	s_addc_u32 s5, s15, s3
	s_lshl_b64 s[2:3], s[20:21], 2
	v_fma_f32 v74, v74, v78, 0
	s_add_u32 s4, s4, s2
	v_fmac_f32_e32 v74, v75, v79
	s_addc_u32 s5, s5, s3
	s_waitcnt lgkmcnt(0)
	v_fmac_f32_e32 v74, v76, v80
	v_fmac_f32_e32 v74, v77, v81
	s_add_u32 s2, s8, s2
	v_mul_lo_u32 v76, s40, v66
	v_mov_b32_e32 v77, 0
	s_addc_u32 s3, s9, s3
	v_lshlrev_b64 v[76:77], 2, v[76:77]
	v_lshl_add_u64 v[78:79], s[4:5], 0, v[76:77]
	v_lshl_add_u64 v[76:77], s[2:3], 0, v[76:77]
	v_lshlrev_b32_e32 v66, 3, v72
	global_store_dword v[78:79], v73, off
	global_store_dword v[76:77], v74, off
	s_and_saveexec_b64 s[2:3], s[6:7]
	s_xor_b64 s[2:3], exec, s[2:3]
	s_cbranch_execz .LBB347_15
; %bb.14:
	s_mov_b32 s4, s1
	s_mov_b32 s5, s1
	s_waitcnt vmcnt(17)
	v_mad_u32_u24 v4, v1, 40, v66
	v_mov_b64_e32 v[2:3], s[4:5]
	ds_write2st64_b64 v4, v[2:3], v[2:3] offset1:5
                                        ; implicit-def: $vgpr71
                                        ; implicit-def: $vgpr69
                                        ; implicit-def: $vgpr31
                                        ; implicit-def: $vgpr19
                                        ; implicit-def: $vgpr23
                                        ; implicit-def: $vgpr27
                                        ; implicit-def: $vgpr3
                                        ; implicit-def: $vgpr7
                                        ; implicit-def: $vgpr11
                                        ; implicit-def: $vgpr15
                                        ; implicit-def: $vgpr51
                                        ; implicit-def: $vgpr55
                                        ; implicit-def: $vgpr59
                                        ; implicit-def: $vgpr63
                                        ; implicit-def: $vgpr39
                                        ; implicit-def: $vgpr47
                                        ; implicit-def: $vgpr35
                                        ; implicit-def: $vgpr43
                                        ; implicit-def: $vgpr67
                                        ; implicit-def: $vgpr73
                                        ; implicit-def: $vgpr74
                                        ; implicit-def: $vgpr66
.LBB347_15:
	s_andn2_saveexec_b64 s[2:3], s[2:3]
	s_cbranch_execz .LBB347_17
; %bb.16:
	v_add_f32_e32 v72, 0x358637bd, v74
	v_div_scale_f32 v74, s[4:5], v72, v72, 1.0
	v_rcp_f32_e32 v75, v74
	v_sub_f32_e32 v67, v67, v73
	v_mul_f32_e32 v67, 0x3fb8aa3b, v67
	v_exp_f32_e32 v67, v67
	v_fma_f32 v73, -v74, v75, 1.0
	v_fmac_f32_e32 v75, v73, v75
	v_div_scale_f32 v73, vcc, 1.0, v72, 1.0
	v_mul_f32_e32 v76, v73, v75
	v_fma_f32 v77, -v74, v76, v73
	v_fmac_f32_e32 v76, v77, v75
	v_fma_f32 v73, -v74, v76, v73
	v_div_fmas_f32 v73, v73, v75, v76
	v_div_fixup_f32 v72, v73, v72, 1.0
	v_mul_f32_e32 v72, v67, v72
	v_pk_mul_f32 v[70:71], v[70:71], v[72:73] op_sel_hi:[1,0]
	v_pk_mul_f32 v[68:69], v[68:69], v[72:73] op_sel_hi:[1,0]
	s_nop 0
	v_cvt_f16_f32_e32 v67, v68
	v_cvt_f16_f32_e32 v68, v69
	;; [unrolled: 1-line block ×4, first 2 shown]
	v_pack_b32_f16 v68, v67, v68
	v_pack_b32_f16 v69, v69, v70
	s_waitcnt vmcnt(9)
	s_nop 0
	v_mfma_f32_4x4x4_16b_f16 a[0:3], v[68:69], v[30:31], 0 cbsz:4
	s_nop 1
	v_mfma_f32_4x4x4_16b_f16 a[0:3], v[68:69], v[32:33], a[0:3] cbsz:4 abid:1
	s_waitcnt vmcnt(5)
	v_mfma_f32_4x4x4_16b_f16 a[4:7], v[68:69], v[50:51], 0 cbsz:4
	v_mfma_f32_4x4x4_16b_f16 a[0:3], v[68:69], v[18:19], a[0:3] cbsz:4 abid:2
	s_nop 0
	v_mfma_f32_4x4x4_16b_f16 a[4:7], v[68:69], v[52:53], a[4:7] cbsz:4 abid:1
	v_mfma_f32_4x4x4_16b_f16 a[0:3], v[68:69], v[20:21], a[0:3] cbsz:4 abid:3
	s_waitcnt vmcnt(4)
	v_mfma_f32_4x4x4_16b_f16 a[4:7], v[68:69], v[54:55], a[4:7] cbsz:4 abid:2
	v_mfma_f32_4x4x4_16b_f16 a[0:3], v[68:69], v[22:23], a[0:3] cbsz:4 abid:4
	s_nop 0
	v_mfma_f32_4x4x4_16b_f16 a[4:7], v[68:69], v[56:57], a[4:7] cbsz:4 abid:3
	v_mfma_f32_4x4x4_16b_f16 a[0:3], v[68:69], v[24:25], a[0:3] cbsz:4 abid:5
	s_waitcnt vmcnt(3)
	v_mfma_f32_4x4x4_16b_f16 a[4:7], v[68:69], v[58:59], a[4:7] cbsz:4 abid:4
	;; [unrolled: 6-line block ×3, first 2 shown]
	v_mfma_f32_4x4x4_16b_f16 a[0:3], v[68:69], v[2:3], a[0:3] cbsz:4 abid:8
	s_nop 0
	v_mfma_f32_4x4x4_16b_f16 a[4:7], v[68:69], v[64:65], a[4:7] cbsz:4 abid:7
	v_mfma_f32_4x4x4_16b_f16 a[0:3], v[68:69], v[4:5], a[0:3] cbsz:4 abid:9
	s_nop 0
	v_mfma_f32_4x4x4_16b_f16 a[4:7], v[68:69], v[38:39], a[4:7] cbsz:4 abid:8
	;; [unrolled: 3-line block ×3, first 2 shown]
	v_mfma_f32_4x4x4_16b_f16 a[0:3], v[68:69], v[8:9], a[0:3] cbsz:4 abid:11
	v_mad_u32_u24 v9, v1, 40, v66
	v_mfma_f32_4x4x4_16b_f16 a[4:7], v[68:69], v[46:47], a[4:7] cbsz:4 abid:10
	v_mfma_f32_4x4x4_16b_f16 a[0:3], v[68:69], v[10:11], a[0:3] cbsz:4 abid:12
	s_nop 0
	v_mfma_f32_4x4x4_16b_f16 a[4:7], v[68:69], v[48:49], a[4:7] cbsz:4 abid:11
	v_mfma_f32_4x4x4_16b_f16 a[0:3], v[68:69], v[12:13], a[0:3] cbsz:4 abid:13
	s_nop 0
	;; [unrolled: 3-line block ×3, first 2 shown]
	v_mfma_f32_4x4x4_16b_f16 a[0:3], v[68:69], v[16:17], a[0:3] cbsz:4 abid:15
	s_nop 4
	v_accvgpr_read_b32 v2, a0
	v_accvgpr_read_b32 v3, a1
	v_accvgpr_read_b32 v4, a2
	v_accvgpr_read_b32 v5, a3
	v_mfma_f32_4x4x4_16b_f16 a[0:3], v[68:69], v[36:37], a[4:7] cbsz:4 abid:13
	v_cvt_f16_f32_e32 v2, v2
	v_cvt_f16_f32_e32 v3, v3
	v_mfma_f32_4x4x4_16b_f16 a[0:3], v[68:69], v[42:43], a[0:3] cbsz:4 abid:14
	v_pack_b32_f16 v2, v2, v3
	s_nop 0
	v_mfma_f32_4x4x4_16b_f16 a[0:3], v[68:69], v[44:45], a[0:3] cbsz:4 abid:15
	v_cvt_f16_f32_e32 v3, v4
	v_cvt_f16_f32_e32 v4, v5
	v_pack_b32_f16 v3, v3, v4
	s_nop 1
	v_accvgpr_read_b32 v5, a0
	v_accvgpr_read_b32 v6, a1
	;; [unrolled: 1-line block ×4, first 2 shown]
	v_cvt_f16_f32_e32 v5, v5
	v_cvt_f16_f32_e32 v6, v6
	;; [unrolled: 1-line block ×4, first 2 shown]
	v_pack_b32_f16 v4, v5, v6
	v_pack_b32_f16 v5, v7, v8
	ds_write2st64_b64 v9, v[2:3], v[4:5] offset1:5
.LBB347_17:
	s_or_b64 exec, exec, s[2:3]
	v_cmp_gt_u32_e32 vcc, 64, v0
	s_waitcnt lgkmcnt(0)
	s_barrier
	s_and_saveexec_b64 s[2:3], vcc
	s_cbranch_execz .LBB347_19
; %bb.18:
	s_waitcnt vmcnt(16)
	v_mul_u32_u24_e32 v6, 40, v1
	ds_read2_b64 v[2:5], v6 offset1:1
	ds_read2_b64 v[6:9], v6 offset0:2 offset1:3
	s_lshl_b32 s0, s0, 7
	s_lshl_b64 s[2:3], s[0:1], 1
	s_add_u32 s2, s22, s2
	s_waitcnt lgkmcnt(1)
	v_pk_add_f16 v2, v2, 0
	v_pk_add_f16 v3, v3, 0
	;; [unrolled: 1-line block ×4, first 2 shown]
	s_waitcnt lgkmcnt(0)
	v_pk_add_f16 v2, v2, v6
	v_pk_add_f16 v6, v3, v7
	s_waitcnt vmcnt(15)
	v_pk_add_f16 v10, v2, v8
	v_mov_b32_e32 v2, 0xa00
	v_mad_u32_u24 v2, v1, 40, v2
	ds_read2_b64 v[2:5], v2 offset1:1
	v_pk_add_f16 v11, v6, v9
	v_mov_b32_e32 v6, 0xa10
	v_mad_u32_u24 v1, v1, 40, v6
	ds_read2_b64 v[6:9], v1 offset1:1
	s_addc_u32 s3, s23, s3
	s_lshl_b32 s0, s20, 7
	s_lshl_b64 s[0:1], s[0:1], 1
	s_waitcnt lgkmcnt(1)
	v_pk_add_f16 v1, v2, 0
	v_pk_add_f16 v2, v3, 0
	s_add_u32 s0, s2, s0
	v_pk_add_f16 v2, v2, v5
	s_addc_u32 s1, s3, s1
	s_lshl_b32 s2, s40, 7
	s_waitcnt lgkmcnt(0)
	v_pk_add_f16 v2, v2, v7
	s_mul_i32 s3, s2, s33
	v_pk_add_f16 v13, v2, v9
	v_or_b32_e32 v2, s3, v0
	v_mov_b32_e32 v3, 0
	s_add_i32 s3, s3, s2
	v_pk_add_f16 v1, v1, v4
	v_lshl_add_u64 v[4:5], v[2:3], 1, s[0:1]
	v_or_b32_e32 v2, s3, v0
	s_add_i32 s3, s3, s2
	v_pk_add_f16 v1, v1, v6
	v_lshl_add_u64 v[6:7], v[2:3], 1, s[0:1]
	v_or_b32_e32 v2, s3, v0
	;; [unrolled: 4-line block ×3, first 2 shown]
	v_lshl_add_u64 v[0:1], v[2:3], 1, s[0:1]
	global_store_short v[4:5], v10, off
	global_store_short_d16_hi v[6:7], v10, off
	global_store_short v[8:9], v11, off
	global_store_short_d16_hi v[0:1], v11, off
	global_store_short v[4:5], v12, off offset:128
	global_store_short_d16_hi v[6:7], v12, off offset:128
	global_store_short v[8:9], v13, off offset:128
	global_store_short_d16_hi v[0:1], v13, off offset:128
.LBB347_19:
	s_endpgm
.LBB347_20:
	s_mov_b64 s[12:13], 0
                                        ; implicit-def: $sgpr34_sgpr35
	s_branch .LBB347_2
	.section	.rodata,"a",@progbits
	.p2align	6, 0x0
	.amdhsa_kernel _Z38paged_attention_ll4mi_QKV_mfma4_kernelIDF16_DF16_LN4vllm18Fp8KVCacheDataTypeE0EDF16_Li32ELi128ELi256ELb1ELi4EEvPKT_PKT0_S7_ifPKiS9_S9_iPKfiiiPfSC_PS2_PT2_iSB_SB_
		.amdhsa_group_segment_fixed_size 5280
		.amdhsa_private_segment_fixed_size 0
		.amdhsa_kernarg_size 400
		.amdhsa_user_sgpr_count 2
		.amdhsa_user_sgpr_dispatch_ptr 0
		.amdhsa_user_sgpr_queue_ptr 0
		.amdhsa_user_sgpr_kernarg_segment_ptr 1
		.amdhsa_user_sgpr_dispatch_id 0
		.amdhsa_user_sgpr_kernarg_preload_length 0
		.amdhsa_user_sgpr_kernarg_preload_offset 0
		.amdhsa_user_sgpr_private_segment_size 0
		.amdhsa_uses_dynamic_stack 0
		.amdhsa_enable_private_segment 0
		.amdhsa_system_sgpr_workgroup_id_x 1
		.amdhsa_system_sgpr_workgroup_id_y 1
		.amdhsa_system_sgpr_workgroup_id_z 1
		.amdhsa_system_sgpr_workgroup_info 0
		.amdhsa_system_vgpr_workitem_id 0
		.amdhsa_next_free_vgpr 104
		.amdhsa_next_free_sgpr 41
		.amdhsa_accum_offset 96
		.amdhsa_reserve_vcc 1
		.amdhsa_float_round_mode_32 0
		.amdhsa_float_round_mode_16_64 0
		.amdhsa_float_denorm_mode_32 3
		.amdhsa_float_denorm_mode_16_64 3
		.amdhsa_dx10_clamp 1
		.amdhsa_ieee_mode 1
		.amdhsa_fp16_overflow 0
		.amdhsa_tg_split 0
		.amdhsa_exception_fp_ieee_invalid_op 0
		.amdhsa_exception_fp_denorm_src 0
		.amdhsa_exception_fp_ieee_div_zero 0
		.amdhsa_exception_fp_ieee_overflow 0
		.amdhsa_exception_fp_ieee_underflow 0
		.amdhsa_exception_fp_ieee_inexact 0
		.amdhsa_exception_int_div_zero 0
	.end_amdhsa_kernel
	.section	.text._Z38paged_attention_ll4mi_QKV_mfma4_kernelIDF16_DF16_LN4vllm18Fp8KVCacheDataTypeE0EDF16_Li32ELi128ELi256ELb1ELi4EEvPKT_PKT0_S7_ifPKiS9_S9_iPKfiiiPfSC_PS2_PT2_iSB_SB_,"axG",@progbits,_Z38paged_attention_ll4mi_QKV_mfma4_kernelIDF16_DF16_LN4vllm18Fp8KVCacheDataTypeE0EDF16_Li32ELi128ELi256ELb1ELi4EEvPKT_PKT0_S7_ifPKiS9_S9_iPKfiiiPfSC_PS2_PT2_iSB_SB_,comdat
.Lfunc_end347:
	.size	_Z38paged_attention_ll4mi_QKV_mfma4_kernelIDF16_DF16_LN4vllm18Fp8KVCacheDataTypeE0EDF16_Li32ELi128ELi256ELb1ELi4EEvPKT_PKT0_S7_ifPKiS9_S9_iPKfiiiPfSC_PS2_PT2_iSB_SB_, .Lfunc_end347-_Z38paged_attention_ll4mi_QKV_mfma4_kernelIDF16_DF16_LN4vllm18Fp8KVCacheDataTypeE0EDF16_Li32ELi128ELi256ELb1ELi4EEvPKT_PKT0_S7_ifPKiS9_S9_iPKfiiiPfSC_PS2_PT2_iSB_SB_
                                        ; -- End function
	.section	.AMDGPU.csdata,"",@progbits
; Kernel info:
; codeLenInByte = 3936
; NumSgprs: 47
; NumVgprs: 94
; NumAgprs: 8
; TotalNumVgprs: 104
; ScratchSize: 0
; MemoryBound: 0
; FloatMode: 240
; IeeeMode: 1
; LDSByteSize: 5280 bytes/workgroup (compile time only)
; SGPRBlocks: 5
; VGPRBlocks: 12
; NumSGPRsForWavesPerEU: 47
; NumVGPRsForWavesPerEU: 104
; AccumOffset: 96
; Occupancy: 4
; WaveLimiterHint : 1
; COMPUTE_PGM_RSRC2:SCRATCH_EN: 0
; COMPUTE_PGM_RSRC2:USER_SGPR: 2
; COMPUTE_PGM_RSRC2:TRAP_HANDLER: 0
; COMPUTE_PGM_RSRC2:TGID_X_EN: 1
; COMPUTE_PGM_RSRC2:TGID_Y_EN: 1
; COMPUTE_PGM_RSRC2:TGID_Z_EN: 1
; COMPUTE_PGM_RSRC2:TIDIG_COMP_CNT: 0
; COMPUTE_PGM_RSRC3_GFX90A:ACCUM_OFFSET: 23
; COMPUTE_PGM_RSRC3_GFX90A:TG_SPLIT: 0
	.section	.text._Z39paged_attention_ll4mi_QKV_mfma16_kernelIDF16_DF16_LN4vllm18Fp8KVCacheDataTypeE0EDF16_Li32ELi128ELi256ELb1ELi5EEvPKT_PKT0_S7_ifPKiS9_S9_iPKfiiiPfSC_PS2_PT2_iSB_SB_,"axG",@progbits,_Z39paged_attention_ll4mi_QKV_mfma16_kernelIDF16_DF16_LN4vllm18Fp8KVCacheDataTypeE0EDF16_Li32ELi128ELi256ELb1ELi5EEvPKT_PKT0_S7_ifPKiS9_S9_iPKfiiiPfSC_PS2_PT2_iSB_SB_,comdat
	.protected	_Z39paged_attention_ll4mi_QKV_mfma16_kernelIDF16_DF16_LN4vllm18Fp8KVCacheDataTypeE0EDF16_Li32ELi128ELi256ELb1ELi5EEvPKT_PKT0_S7_ifPKiS9_S9_iPKfiiiPfSC_PS2_PT2_iSB_SB_ ; -- Begin function _Z39paged_attention_ll4mi_QKV_mfma16_kernelIDF16_DF16_LN4vllm18Fp8KVCacheDataTypeE0EDF16_Li32ELi128ELi256ELb1ELi5EEvPKT_PKT0_S7_ifPKiS9_S9_iPKfiiiPfSC_PS2_PT2_iSB_SB_
	.globl	_Z39paged_attention_ll4mi_QKV_mfma16_kernelIDF16_DF16_LN4vllm18Fp8KVCacheDataTypeE0EDF16_Li32ELi128ELi256ELb1ELi5EEvPKT_PKT0_S7_ifPKiS9_S9_iPKfiiiPfSC_PS2_PT2_iSB_SB_
	.p2align	8
	.type	_Z39paged_attention_ll4mi_QKV_mfma16_kernelIDF16_DF16_LN4vllm18Fp8KVCacheDataTypeE0EDF16_Li32ELi128ELi256ELb1ELi5EEvPKT_PKT0_S7_ifPKiS9_S9_iPKfiiiPfSC_PS2_PT2_iSB_SB_,@function
_Z39paged_attention_ll4mi_QKV_mfma16_kernelIDF16_DF16_LN4vllm18Fp8KVCacheDataTypeE0EDF16_Li32ELi128ELi256ELb1ELi5EEvPKT_PKT0_S7_ifPKiS9_S9_iPKfiiiPfSC_PS2_PT2_iSB_SB_: ; @_Z39paged_attention_ll4mi_QKV_mfma16_kernelIDF16_DF16_LN4vllm18Fp8KVCacheDataTypeE0EDF16_Li32ELi128ELi256ELb1ELi5EEvPKT_PKT0_S7_ifPKiS9_S9_iPKfiiiPfSC_PS2_PT2_iSB_SB_
; %bb.0:
	s_load_dwordx2 s[8:9], s[0:1], 0x30
	s_mov_b32 s26, s3
	s_mov_b64 s[6:7], 0
	s_waitcnt lgkmcnt(0)
	s_cmp_lg_u64 s[8:9], 0
	s_cselect_b64 s[10:11], -1, 0
	s_and_b64 vcc, exec, s[10:11]
	s_cbranch_vccz .LBB348_7
; %bb.1:
	s_add_i32 s12, s2, 1
	s_mov_b32 s13, 0
	s_lshl_b64 s[14:15], s[12:13], 2
	s_add_u32 s14, s8, s14
	s_mov_b32 s3, s13
	s_addc_u32 s15, s9, s15
	s_lshl_b64 s[12:13], s[2:3], 2
	s_add_u32 s12, s8, s12
	s_addc_u32 s13, s9, s13
	s_load_dword s5, s[14:15], 0x0
	s_load_dword s16, s[12:13], 0x0
	s_waitcnt lgkmcnt(0)
	s_sub_i32 s5, s5, s16
	s_cmp_eq_u32 s5, 1
	s_cselect_b64 s[12:13], -1, 0
	s_andn2_b64 vcc, exec, s[6:7]
	s_cbranch_vccnz .LBB348_3
.LBB348_2:
	s_mov_b32 s3, 0
	s_mov_b64 s[12:13], -1
.LBB348_3:
	s_andn2_b64 vcc, exec, s[12:13]
	s_cbranch_vccnz .LBB348_22
; %bb.4:
	s_load_dwordx2 s[6:7], s[0:1], 0x28
	s_lshl_b64 s[12:13], s[2:3], 2
	s_waitcnt lgkmcnt(0)
	s_add_u32 s6, s6, s12
	s_addc_u32 s7, s7, s13
	s_load_dword s27, s[6:7], 0x0
	s_lshl_b32 s18, s26, 8
	s_waitcnt lgkmcnt(0)
	s_cmp_ge_i32 s18, s27
	s_cbranch_scc1 .LBB348_22
; %bb.5:
	s_load_dwordx2 s[6:7], s[0:1], 0x20
	s_load_dword s5, s[0:1], 0x38
	s_add_i32 s14, s27, 31
	s_ashr_i32 s15, s14, 31
	v_and_b32_e32 v1, 0xcf, v0
	s_lshr_b32 s15, s15, 27
	v_add_u32_e32 v1, s18, v1
	s_add_i32 s14, s14, s15
	v_ashrrev_i32_e32 v2, 31, v1
	s_ashr_i32 s19, s14, 5
	v_lshrrev_b32_e32 v4, 27, v2
	s_add_i32 s19, s19, -1
	s_waitcnt lgkmcnt(0)
	s_mul_i32 s14, s2, s5
	s_mov_b32 s15, 0
	v_add_u32_e32 v2, v1, v4
	s_lshl_b64 s[14:15], s[14:15], 2
	v_ashrrev_i32_e32 v2, 5, v2
	v_mov_b32_e32 v5, s19
	v_cmp_gt_i32_e32 vcc, s27, v1
	s_add_u32 s6, s6, s14
	s_addc_u32 s7, s7, s15
	v_cndmask_b32_e32 v2, v5, v2, vcc
	v_ashrrev_i32_e32 v3, 31, v2
	v_lshl_add_u64 v[6:7], v[2:3], 2, s[6:7]
	v_or_b32_e32 v2, 16, v1
	v_add_u32_e32 v3, v2, v4
	v_ashrrev_i32_e32 v3, 5, v3
	v_cmp_gt_i32_e32 vcc, s27, v2
	s_nop 1
	v_cndmask_b32_e32 v2, v5, v3, vcc
	v_ashrrev_i32_e32 v3, 31, v2
	v_lshl_add_u64 v[8:9], v[2:3], 2, s[6:7]
	v_or_b32_e32 v2, 32, v1
	v_add_u32_e32 v3, v2, v4
	v_ashrrev_i32_e32 v3, 5, v3
	v_cmp_gt_i32_e32 vcc, s27, v2
	v_or_b32_e32 v1, 48, v1
	s_nop 0
	v_cndmask_b32_e32 v2, v5, v3, vcc
	v_ashrrev_i32_e32 v3, 31, v2
	v_lshl_add_u64 v[10:11], v[2:3], 2, s[6:7]
	v_add_u32_e32 v2, v1, v4
	v_ashrrev_i32_e32 v2, 5, v2
	v_cmp_gt_i32_e32 vcc, s27, v1
	s_nop 1
	v_cndmask_b32_e32 v2, v5, v2, vcc
	v_ashrrev_i32_e32 v3, 31, v2
	v_lshl_add_u64 v[12:13], v[2:3], 2, s[6:7]
	global_load_dword v5, v[6:7], off
	global_load_dword v4, v[8:9], off
	;; [unrolled: 1-line block ×4, first 2 shown]
	s_andn2_b64 vcc, exec, s[10:11]
	s_cbranch_vccnz .LBB348_8
; %bb.6:
	s_add_u32 s8, s8, s12
	s_addc_u32 s9, s9, s13
	s_load_dword s5, s[8:9], 0x0
	s_branch .LBB348_9
.LBB348_7:
	s_mov_b64 s[12:13], 0
	s_branch .LBB348_2
.LBB348_8:
	s_mov_b32 s5, s2
.LBB348_9:
	s_load_dwordx2 s[14:15], s[0:1], 0x8
	s_load_dwordx4 s[8:11], s[0:1], 0x48
	v_lshrrev_b32_e32 v88, 6, v0
	v_bfe_u32 v1, v0, 4, 2
	v_lshl_or_b32 v6, v88, 2, v1
	v_and_b32_e32 v84, 15, v0
	v_lshlrev_b32_e32 v82, 3, v84
	v_cmp_lt_u32_e32 vcc, 4, v6
	s_and_saveexec_b64 s[12:13], vcc
	s_xor_b64 s[12:13], exec, s[12:13]
; %bb.10:
	v_mov_b32_e32 v83, 0
                                        ; implicit-def: $vgpr6
; %bb.11:
	s_or_saveexec_b64 s[16:17], s[12:13]
	s_load_dwordx2 s[12:13], s[0:1], 0x10
	s_mul_i32 s40, s4, 5
	s_xor_b64 exec, exec, s[16:17]
	s_cbranch_execz .LBB348_13
; %bb.12:
	s_load_dwordx2 s[20:21], s[0:1], 0x0
	s_waitcnt lgkmcnt(0)
	s_ashr_i32 s11, s8, 31
	s_mul_hi_u32 s22, s5, s8
	s_mul_i32 s11, s5, s11
	s_add_i32 s23, s22, s11
	s_mul_i32 s22, s5, s8
	s_lshl_b64 s[22:23], s[22:23], 1
	s_add_u32 s20, s20, s22
	v_add_lshl_u32 v8, v6, s40, 7
	s_addc_u32 s21, s21, s23
	v_ashrrev_i32_e32 v9, 31, v8
	v_mov_b32_e32 v83, 0
	v_lshl_add_u64 v[8:9], v[8:9], 1, s[20:21]
	v_lshlrev_b32_e32 v10, 1, v82
	v_mov_b32_e32 v11, v83
	v_lshl_add_u64 v[8:9], v[8:9], 0, v[10:11]
	global_load_dwordx4 v[8:11], v[8:9], off
	v_and_b32_e32 v7, 3, v0
	v_lshlrev_b32_e32 v12, 9, v84
	v_lshlrev_b32_e32 v6, 5, v6
	;; [unrolled: 1-line block ×3, first 2 shown]
	v_and_b32_e32 v12, 0x1800, v12
	v_or3_b32 v6, v12, v7, v6
	s_waitcnt vmcnt(0)
	ds_write_b128 v6, v[8:11]
.LBB348_13:
	s_or_b64 exec, exec, s[16:17]
	s_waitcnt lgkmcnt(0)
	s_mul_i32 s4, s4, s10
	s_mov_b32 s5, 0
	s_lshl_b64 s[4:5], s[4:5], 1
	s_add_u32 s10, s14, s4
	s_addc_u32 s11, s15, s5
	s_waitcnt vmcnt(3)
	v_mad_i64_i32 v[6:7], s[14:15], v5, s9, 0
	v_lshl_add_u64 v[6:7], v[6:7], 1, s[10:11]
	v_lshlrev_b64 v[8:9], 1, v[82:83]
	v_lshlrev_b32_e32 v86, 9, v1
	v_lshl_add_u64 v[6:7], v[6:7], 0, v[8:9]
	v_mov_b32_e32 v87, 0
	v_lshl_add_u64 v[10:11], v[6:7], 0, v[86:87]
	v_or_b32_e32 v14, 0x1000, v86
	v_mov_b32_e32 v15, v87
	v_or_b32_e32 v16, 0x1800, v86
	v_mov_b32_e32 v17, v87
	s_barrier
	global_load_dwordx4 v[66:69], v[10:11], off
	global_load_dwordx4 v[62:65], v[10:11], off offset:2048
	v_lshl_add_u64 v[10:11], v[6:7], 0, v[14:15]
	v_lshl_add_u64 v[6:7], v[6:7], 0, v[16:17]
	global_load_dwordx4 v[78:81], v[10:11], off
	global_load_dwordx4 v[74:77], v[6:7], off
	s_waitcnt vmcnt(6)
	v_mad_i64_i32 v[4:5], s[14:15], v4, s9, 0
	v_mov_b32_e32 v6, 0x100
	v_lshl_add_u64 v[4:5], v[4:5], 1, s[10:11]
	v_lshl_or_b32 v6, v84, 4, v6
	v_mov_b32_e32 v7, v87
	v_lshl_add_u64 v[4:5], v[4:5], 0, v[6:7]
	v_lshl_add_u64 v[10:11], v[4:5], 0, v[86:87]
	global_load_dwordx4 v[70:73], v[10:11], off
	global_load_dwordx4 v[58:61], v[10:11], off offset:2048
	v_lshl_add_u64 v[10:11], v[4:5], 0, v[14:15]
	v_lshl_add_u64 v[4:5], v[4:5], 0, v[16:17]
	global_load_dwordx4 v[54:57], v[10:11], off
	global_load_dwordx4 v[30:33], v[4:5], off
	s_waitcnt vmcnt(9)
	v_mad_i64_i32 v[4:5], s[14:15], v3, s9, 0
	v_lshl_add_u64 v[4:5], v[4:5], 1, s[10:11]
	s_waitcnt vmcnt(8)
	v_mad_i64_i32 v[2:3], s[14:15], v2, s9, 0
	v_lshl_add_u64 v[4:5], v[4:5], 0, v[8:9]
	v_lshl_add_u64 v[2:3], v[2:3], 1, s[10:11]
	;; [unrolled: 1-line block ×4, first 2 shown]
	global_load_dwordx4 v[26:29], v[8:9], off
	global_load_dwordx4 v[22:25], v[8:9], off offset:2048
	v_lshl_add_u64 v[8:9], v[4:5], 0, v[14:15]
	v_lshl_add_u64 v[4:5], v[4:5], 0, v[16:17]
	;; [unrolled: 1-line block ×4, first 2 shown]
	global_load_dwordx4 v[18:21], v[8:9], off
	global_load_dwordx4 v[10:13], v[4:5], off
	s_nop 0
	global_load_dwordx4 v[6:9], v[2:3], off
	s_nop 0
	global_load_dwordx4 v[2:5], v[2:3], off offset:2048
	v_lshl_add_u64 v[16:17], v[34:35], 0, v[16:17]
	global_load_dwordx4 v[38:41], v[14:15], off
	global_load_dwordx4 v[34:37], v[16:17], off
	v_mul_lo_u16_e32 v14, 52, v84
	v_mov_b32_e32 v15, 5
	v_mul_lo_u16_sdwa v14, v14, v15 dst_sel:DWORD dst_unused:UNUSED_PAD src0_sel:BYTE_1 src1_sel:DWORD
	v_sub_u16_e32 v14, v84, v14
	v_and_b32_e32 v14, 0xff, v14
	v_lshl_add_u32 v42, v14, 5, v86
	ds_read_b128 v[14:17], v42
	ds_read_b128 v[50:53], v42 offset:2048
	ds_read_b128 v[46:49], v42 offset:4096
	;; [unrolled: 1-line block ×3, first 2 shown]
	v_and_b32_e32 v85, 63, v0
	v_cmp_gt_u32_e32 vcc, 5, v84
	v_mov_b32_e32 v89, 0
	s_and_saveexec_b64 s[10:11], vcc
	s_cbranch_execz .LBB348_15
; %bb.14:
	s_load_dwordx2 s[14:15], s[0:1], 0x40
	v_add_u32_e32 v90, s40, v84
	v_ashrrev_i32_e32 v91, 31, v90
	s_waitcnt lgkmcnt(0)
	v_lshl_add_u64 v[90:91], v[90:91], 2, s[14:15]
	global_load_dword v89, v[90:91], off
.LBB348_15:
	s_or_b64 exec, exec, s[10:11]
	s_waitcnt vmcnt(15) lgkmcnt(3)
	v_mfma_f32_16x16x16_f16 v[90:93], v[66:67], v[14:15], 0
	s_ashr_i32 s8, s18, 31
	s_lshr_b32 s8, s8, 27
	s_add_u32 s4, s12, s4
	v_mfma_f32_16x16x16_f16 v[66:69], v[68:69], v[16:17], v[90:93]
	s_addc_u32 s5, s13, s5
	s_mov_b32 s33, 0xff7fffff
	s_waitcnt vmcnt(14) lgkmcnt(2)
	v_mfma_f32_16x16x16_f16 v[66:69], v[62:63], v[50:51], v[66:69]
	v_lshl_or_b32 v90, v88, 4, v84
	v_mfma_f32_16x16x16_f16 v[62:65], v[64:65], v[52:53], v[66:69]
	s_waitcnt vmcnt(13) lgkmcnt(1)
	v_mfma_f32_16x16x16_f16 v[62:65], v[78:79], v[46:47], v[62:65]
	v_mfma_f32_16x16x16_f16 v[62:65], v[80:81], v[48:49], v[62:65]
	s_waitcnt vmcnt(12) lgkmcnt(0)
	v_mfma_f32_16x16x16_f16 v[62:65], v[74:75], v[42:43], v[62:65]
	v_and_or_b32 v74, v0, 48, s18
	v_add_u32_e32 v66, s8, v74
	v_ashrrev_i32_e32 v75, 5, v66
	s_waitcnt vmcnt(11)
	v_mfma_f32_16x16x16_f16 v[66:69], v[70:71], v[14:15], 0
	v_cmp_gt_i32_e32 vcc, s27, v74
	v_mfma_f32_16x16x16_f16 v[66:69], v[72:73], v[16:17], v[66:69]
	v_or_b32_e32 v72, 64, v74
	v_add_u32_e32 v73, s8, v72
	s_waitcnt vmcnt(10)
	v_mfma_f32_16x16x16_f16 v[66:69], v[58:59], v[50:51], v[66:69]
	v_ashrrev_i32_e32 v58, 5, v73
	v_mfma_f32_16x16x16_f16 v[62:65], v[76:77], v[44:45], v[62:65]
	v_mov_b32_e32 v76, s19
	v_cndmask_b32_e32 v70, v76, v75, vcc
	v_cmp_gt_i32_e32 vcc, s27, v72
	v_ashrrev_i32_e32 v71, 31, v70
	v_lshl_add_u64 v[70:71], v[70:71], 2, s[6:7]
	v_cndmask_b32_e32 v72, v76, v58, vcc
	v_mfma_f32_16x16x16_f16 v[58:61], v[60:61], v[52:53], v[66:69]
	v_ashrrev_i32_e32 v73, 31, v72
	s_waitcnt vmcnt(9)
	v_mfma_f32_16x16x16_f16 v[58:61], v[54:55], v[46:47], v[58:61]
	v_lshl_add_u64 v[66:67], v[72:73], 2, s[6:7]
	global_load_dword v72, v[70:71], off
	global_load_dword v75, v[66:67], off
	v_or_b32_e32 v66, 0x80, v74
	v_add_u32_e32 v67, s8, v66
	v_mfma_f32_16x16x16_f16 v[54:57], v[56:57], v[48:49], v[58:61]
	v_cmp_gt_i32_e32 vcc, s27, v66
	s_nop 1
	v_ashrrev_i32_e32 v58, 5, v67
	v_cndmask_b32_e32 v58, v76, v58, vcc
	v_ashrrev_i32_e32 v59, 31, v58
	s_waitcnt vmcnt(10)
	v_mfma_f32_16x16x16_f16 v[54:57], v[30:31], v[42:43], v[54:57]
	v_lshl_add_u64 v[30:31], v[58:59], 2, s[6:7]
	global_load_dword v58, v[30:31], off
	v_mfma_f32_16x16x16_f16 v[66:69], v[32:33], v[44:45], v[54:57]
	s_nop 3
	v_or_b32_e32 v54, 0xc0, v74
	v_add_u32_e32 v30, s8, v54
	v_ashrrev_i32_e32 v55, 5, v30
	v_cmp_gt_i32_e32 vcc, s27, v54
	s_waitcnt vmcnt(10)
	v_mfma_f32_16x16x16_f16 v[30:33], v[26:27], v[14:15], 0
	v_cndmask_b32_e32 v26, v76, v55, vcc
	v_ashrrev_i32_e32 v27, 31, v26
	v_lshl_add_u64 v[54:55], v[26:27], 2, s[6:7]
	global_load_dword v59, v[54:55], off
	v_mfma_f32_16x16x16_f16 v[26:29], v[28:29], v[16:17], v[30:33]
	s_load_dword s6, s[0:1], 0x1c
	s_waitcnt lgkmcnt(0)
	v_pk_mul_f32 v[76:77], s[6:7], v[66:67] op_sel_hi:[0,1]
	s_waitcnt vmcnt(10)
	v_mfma_f32_16x16x16_f16 v[26:29], v[22:23], v[50:51], v[26:29]
	v_and_b32_e32 v30, 16, v0
	v_lshlrev_b32_e32 v86, 1, v30
	v_lshl_add_u64 v[60:61], s[4:5], 0, v[86:87]
	v_mfma_f32_16x16x16_f16 v[22:25], v[24:25], v[52:53], v[26:29]
	v_lshlrev_b32_e32 v86, 6, v90
	v_lshl_add_u64 v[70:71], v[60:61], 0, v[86:87]
	v_or_b32_e32 v86, 0x1000, v86
	s_waitcnt vmcnt(9)
	v_mfma_f32_16x16x16_f16 v[22:25], v[18:19], v[46:47], v[22:25]
	v_lshl_add_u64 v[80:81], v[60:61], 0, v[86:87]
	v_pk_mul_f32 v[78:79], s[6:7], v[64:65] op_sel_hi:[0,1]
	v_pk_mul_f32 v[60:61], s[6:7], v[62:63] op_sel_hi:[0,1]
	v_mfma_f32_16x16x16_f16 v[18:21], v[20:21], v[48:49], v[22:25]
	s_waitcnt vmcnt(8)
	v_mfma_f32_16x16x16_f16 v[18:21], v[10:11], v[42:43], v[18:21]
	s_waitcnt vmcnt(3)
	v_mad_i64_i32 v[22:23], s[4:5], v72, s9, 0
	s_waitcnt vmcnt(2)
	v_mad_i64_i32 v[10:11], s[4:5], v75, s9, 0
	v_lshlrev_b64 v[72:73], 1, v[22:23]
	v_lshlrev_b64 v[54:55], 1, v[10:11]
	v_lshl_add_u64 v[22:23], v[70:71], 0, v[72:73]
	v_lshl_add_u64 v[10:11], v[70:71], 0, v[54:55]
	global_load_dwordx4 v[30:33], v[22:23], off
	global_load_dwordx4 v[26:29], v[22:23], off offset:16
	v_mfma_f32_16x16x16_f16 v[92:95], v[12:13], v[44:45], v[18:21]
	global_load_dwordx4 v[22:25], v[10:11], off
	s_nop 1
	global_load_dwordx4 v[18:21], v[10:11], off offset:16
	v_pk_mul_f32 v[74:75], s[6:7], v[68:69] op_sel_hi:[0,1]
	v_mfma_f32_16x16x16_f16 v[10:13], v[6:7], v[14:15], 0
	s_waitcnt vmcnt(5)
	v_mad_i64_i32 v[6:7], s[4:5], v58, s9, 0
	v_lshlrev_b64 v[56:57], 1, v[6:7]
	v_mfma_f32_16x16x16_f16 v[6:9], v[8:9], v[16:17], v[10:13]
	v_mfma_f32_16x16x16_f16 v[6:9], v[2:3], v[50:51], v[6:9]
	s_nop 1
	v_lshl_add_u64 v[10:11], v[70:71], 0, v[56:57]
	global_load_dwordx4 v[14:17], v[10:11], off
	s_nop 0
	global_load_dwordx4 v[10:13], v[10:11], off offset:16
	s_waitcnt vmcnt(6)
	v_mad_i64_i32 v[2:3], s[4:5], v59, s9, 0
	v_mfma_f32_16x16x16_f16 v[50:53], v[4:5], v[52:53], v[6:9]
	v_lshlrev_b64 v[58:59], 1, v[2:3]
	v_lshl_add_u64 v[2:3], v[70:71], 0, v[58:59]
	v_pk_mul_f32 v[70:71], s[6:7], v[94:95] op_sel_hi:[0,1]
	v_mfma_f32_16x16x16_f16 v[50:53], v[38:39], v[46:47], v[50:53]
	v_lshl_add_u64 v[38:39], v[80:81], 0, v[72:73]
	v_pk_mul_f32 v[72:73], s[6:7], v[92:93] op_sel_hi:[0,1]
	v_lshl_add_u64 v[58:59], v[80:81], 0, v[58:59]
	v_mfma_f32_16x16x16_f16 v[46:49], v[40:41], v[48:49], v[50:53]
	global_load_dwordx4 v[6:9], v[2:3], off
	s_nop 0
	global_load_dwordx4 v[2:5], v[2:3], off offset:16
	v_mfma_f32_16x16x16_f16 v[40:43], v[34:35], v[42:43], v[46:49]
	v_mfma_f32_16x16x16_f16 v[34:37], v[36:37], v[44:45], v[40:43]
	s_nop 6
	v_pk_mul_f32 v[68:69], s[6:7], v[34:35] op_sel_hi:[0,1]
	v_and_b32_e32 v34, 0xc0, v0
	v_add_u32_e32 v34, s18, v34
	v_lshl_or_b32 v34, v1, 2, v34
	v_or_b32_e32 v35, 1, v34
	v_pk_mul_f32 v[66:67], s[6:7], v[36:37] op_sel_hi:[0,1]
	v_subrev_u32_e32 v36, s27, v35
	v_add_u32_e32 v40, 1, v36
	v_add_u32_e32 v41, 2, v36
	v_cvt_f32_i32_e32 v37, v36
	v_cvt_f32_i32_e32 v40, v40
	;; [unrolled: 1-line block ×3, first 2 shown]
	v_add_u32_e32 v42, 3, v36
	v_fma_f32 v60, v89, v37, v60
	v_fmac_f32_e32 v61, v89, v40
	v_fma_f32 v78, v89, v41, v78
	v_add_u32_e32 v37, 16, v36
	v_add_u32_e32 v40, 17, v36
	;; [unrolled: 1-line block ×3, first 2 shown]
	v_cvt_f32_i32_e32 v42, v42
	v_cvt_f32_i32_e32 v37, v37
	;; [unrolled: 1-line block ×4, first 2 shown]
	v_fmac_f32_e32 v79, v89, v42
	v_add_u32_e32 v42, 19, v36
	v_fma_f32 v76, v89, v37, v76
	v_fmac_f32_e32 v77, v89, v40
	v_fma_f32 v74, v89, v41, v74
	v_add_u32_e32 v37, 32, v36
	v_add_u32_e32 v40, 33, v36
	;; [unrolled: 1-line block ×3, first 2 shown]
	v_cvt_f32_i32_e32 v42, v42
	v_cvt_f32_i32_e32 v37, v37
	v_cvt_f32_i32_e32 v40, v40
	v_cvt_f32_i32_e32 v41, v41
	v_fmac_f32_e32 v75, v89, v42
	v_add_u32_e32 v42, 35, v36
	v_fma_f32 v72, v89, v37, v72
	v_fmac_f32_e32 v73, v89, v40
	v_fma_f32 v70, v89, v41, v70
	v_add_u32_e32 v37, 48, v36
	v_add_u32_e32 v40, 49, v36
	;; [unrolled: 1-line block ×4, first 2 shown]
	v_cvt_f32_i32_e32 v36, v36
	v_cvt_f32_i32_e32 v37, v37
	;; [unrolled: 1-line block ×3, first 2 shown]
	v_cmp_gt_i32_e64 s[28:29], s27, v34
	v_fmac_f32_e32 v67, v89, v36
	v_mov_b32_e32 v36, 0xff7fffff
	v_cmp_gt_i32_e64 s[30:31], s27, v35
	v_fma_f32 v68, v89, v37, v68
	v_cndmask_b32_e64 v37, v36, v60, s[28:29]
	v_cndmask_b32_e64 v35, v36, v61, s[30:31]
	v_fmac_f32_e32 v69, v89, v40
	v_max3_f32 v35, v37, s33, v35
	v_or_b32_e32 v37, 2, v34
	v_or_b32_e32 v40, 3, v34
	v_cmp_gt_i32_e64 s[34:35], s27, v37
	v_cmp_gt_i32_e64 s[36:37], s27, v40
	v_cvt_f32_i32_e32 v42, v42
	v_cndmask_b32_e64 v37, v36, v78, s[34:35]
	v_cndmask_b32_e64 v40, v36, v79, s[36:37]
	v_max3_f32 v35, v35, v37, v40
	v_or_b32_e32 v37, 16, v34
	v_or_b32_e32 v40, 17, v34
	v_cmp_gt_i32_e64 s[22:23], s27, v37
	v_cmp_gt_i32_e64 s[24:25], s27, v40
	v_fmac_f32_e32 v71, v89, v42
	v_cndmask_b32_e64 v37, v36, v76, s[22:23]
	v_cndmask_b32_e64 v40, v36, v77, s[24:25]
	v_max3_f32 v35, v35, v37, v40
	v_or_b32_e32 v37, 18, v34
	v_or_b32_e32 v40, 19, v34
	v_cmp_gt_i32_e64 s[18:19], s27, v37
	v_cmp_gt_i32_e64 s[20:21], s27, v40
	v_cvt_f32_i32_e32 v41, v41
	v_cndmask_b32_e64 v37, v36, v74, s[18:19]
	v_cndmask_b32_e64 v40, v36, v75, s[20:21]
	v_max3_f32 v35, v35, v37, v40
	v_or_b32_e32 v37, 32, v34
	v_or_b32_e32 v40, 33, v34
	v_cmp_gt_i32_e64 s[14:15], s27, v37
	v_cmp_gt_i32_e64 s[16:17], s27, v40
	v_fma_f32 v66, v89, v41, v66
	v_cndmask_b32_e64 v37, v36, v72, s[14:15]
	v_cndmask_b32_e64 v40, v36, v73, s[16:17]
	v_max3_f32 v35, v35, v37, v40
	v_or_b32_e32 v37, 34, v34
	v_or_b32_e32 v40, 35, v34
	v_cmp_gt_i32_e64 s[10:11], s27, v37
	v_cmp_gt_i32_e64 s[12:13], s27, v40
	s_nop 0
	v_cndmask_b32_e64 v37, v36, v70, s[10:11]
	v_cndmask_b32_e64 v40, v36, v71, s[12:13]
	v_max3_f32 v35, v35, v37, v40
	v_or_b32_e32 v37, 48, v34
	v_or_b32_e32 v40, 49, v34
	v_cmp_gt_i32_e64 s[6:7], s27, v37
	v_cmp_gt_i32_e64 s[8:9], s27, v40
	s_nop 0
	v_cndmask_b32_e64 v37, v36, v68, s[6:7]
	v_cndmask_b32_e64 v40, v36, v69, s[8:9]
	v_max3_f32 v35, v35, v37, v40
	v_or_b32_e32 v37, 50, v34
	v_or_b32_e32 v34, 51, v34
	v_cmp_gt_i32_e32 vcc, s27, v37
	v_cmp_gt_i32_e64 s[4:5], s27, v34
	global_load_dwordx4 v[46:49], v[38:39], off
	s_nop 0
	global_load_dwordx4 v[38:41], v[38:39], off offset:16
	v_cndmask_b32_e32 v37, v36, v66, vcc
	v_cndmask_b32_e64 v34, v36, v67, s[4:5]
	v_max3_f32 v50, v35, v37, v34
	v_mbcnt_lo_u32_b32 v34, -1, 0
	v_mbcnt_hi_u32_b32 v51, -1, v34
	v_and_b32_e32 v34, 64, v51
	v_add_u32_e32 v52, 64, v34
	v_xor_b32_e32 v34, 32, v51
	v_cmp_lt_i32_e64 s[38:39], v34, v52
	s_nop 1
	v_cndmask_b32_e64 v34, v51, v34, s[38:39]
	v_lshlrev_b32_e32 v87, 2, v34
	ds_bpermute_b32 v53, v87, v50
	v_lshl_add_u64 v[34:35], v[80:81], 0, v[54:55]
	global_load_dwordx4 v[42:45], v[34:35], off
	s_nop 0
	global_load_dwordx4 v[34:37], v[34:35], off offset:16
	s_waitcnt lgkmcnt(0)
	v_max_f32_e32 v53, v53, v53
	v_max_f32_e32 v62, v50, v53
	v_xor_b32_e32 v50, 16, v51
	v_cmp_lt_i32_e64 s[38:39], v50, v52
	s_nop 1
	v_cndmask_b32_e64 v50, v51, v50, s[38:39]
	v_lshlrev_b32_e32 v89, 2, v50
	ds_bpermute_b32 v63, v89, v62
	v_lshl_add_u64 v[50:51], v[80:81], 0, v[56:57]
	global_load_dwordx4 v[54:57], v[50:51], off
	s_nop 0
	global_load_dwordx4 v[50:53], v[50:51], off offset:16
	s_waitcnt lgkmcnt(0)
	v_max_f32_e32 v63, v63, v63
	v_max_f32_e32 v86, v62, v63
	v_sub_f32_e32 v60, v60, v86
	v_mul_f32_e32 v60, 0x3fb8aa3b, v60
	v_exp_f32_e32 v80, v60
	v_sub_f32_e32 v60, v61, v86
	v_mul_f32_e32 v60, 0x3fb8aa3b, v60
	v_exp_f32_e32 v81, v60
	global_load_dwordx4 v[62:65], v[58:59], off
	s_nop 0
	global_load_dwordx4 v[58:61], v[58:59], off offset:16
	v_sub_f32_e32 v78, v78, v86
	v_mul_f32_e32 v78, 0x3fb8aa3b, v78
	v_sub_f32_e32 v79, v79, v86
	v_exp_f32_e32 v78, v78
	v_mul_f32_e32 v79, 0x3fb8aa3b, v79
	v_sub_f32_e32 v76, v76, v86
	v_exp_f32_e32 v79, v79
	v_mul_f32_e32 v76, 0x3fb8aa3b, v76
	v_sub_f32_e32 v77, v77, v86
	v_cndmask_b32_e64 v80, 0, v80, s[28:29]
	v_exp_f32_e32 v76, v76
	v_mul_f32_e32 v77, 0x3fb8aa3b, v77
	v_sub_f32_e32 v74, v74, v86
	v_add_f32_e32 v91, 0, v80
	v_cndmask_b32_e64 v81, 0, v81, s[30:31]
	v_exp_f32_e32 v77, v77
	v_mul_f32_e32 v74, 0x3fb8aa3b, v74
	v_sub_f32_e32 v75, v75, v86
	v_add_f32_e32 v91, v91, v81
	;; [unrolled: 5-line block ×10, first 2 shown]
	v_cndmask_b32_e64 v70, 0, v70, s[10:11]
	v_exp_f32_e32 v66, v66
	v_mul_f32_e32 v67, 0x3fb8aa3b, v67
	v_add_f32_e32 v91, v91, v70
	v_cndmask_b32_e64 v71, 0, v71, s[12:13]
	v_exp_f32_e32 v67, v67
	v_add_f32_e32 v91, v91, v71
	v_cndmask_b32_e64 v68, 0, v68, s[6:7]
	v_add_f32_e32 v91, v91, v68
	v_cndmask_b32_e64 v69, 0, v69, s[8:9]
	v_add_f32_e32 v91, v91, v69
	v_cndmask_b32_e32 v66, 0, v66, vcc
	v_add_f32_e32 v91, v91, v66
	v_cndmask_b32_e64 v67, 0, v67, s[4:5]
	v_add_f32_e32 v91, v91, v67
	ds_bpermute_b32 v87, v87, v91
	s_load_dword s9, s[0:1], 0x98
	v_cmp_gt_u32_e64 s[4:5], 16, v85
	s_waitcnt lgkmcnt(0)
	s_barrier
	v_add_f32_e32 v87, v91, v87
	ds_bpermute_b32 v89, v89, v87
	s_waitcnt lgkmcnt(0)
	s_and_saveexec_b64 s[6:7], s[4:5]
	s_cbranch_execz .LBB348_17
; %bb.16:
	v_add_f32_e32 v85, v87, v89
	v_lshlrev_b32_e32 v87, 2, v90
	ds_write2st64_b32 v87, v86, v85 offset1:1
.LBB348_17:
	s_or_b64 exec, exec, s[6:7]
	v_lshlrev_b32_e32 v85, 2, v84
	s_load_dword s8, s[0:1], 0x94
	s_waitcnt lgkmcnt(0)
	s_barrier
	ds_read2_b32 v[90:91], v85 offset1:16
	ds_read2_b32 v[92:93], v85 offset0:32 offset1:48
	ds_read2_b32 v[94:95], v85 offset0:64 offset1:80
	s_mul_i32 s9, s9, 5
	s_waitcnt lgkmcnt(2)
	v_max3_f32 v86, v90, s33, v91
	s_waitcnt lgkmcnt(1)
	v_max3_f32 v86, v86, v92, v93
	v_sub_f32_e32 v87, v90, v86
	v_mul_f32_e32 v87, 0x3fb8aa3b, v87
	v_exp_f32_e32 v89, v87
	v_sub_f32_e32 v87, v91, v86
	v_mul_f32_e32 v87, 0x3fb8aa3b, v87
	v_exp_f32_e32 v88, v87
	v_sub_f32_e32 v87, v92, v86
	v_mul_f32_e32 v87, 0x3fb8aa3b, v87
	ds_read2_b32 v[90:91], v85 offset0:96 offset1:112
	v_sub_f32_e32 v85, v93, v86
	v_exp_f32_e32 v92, v87
	v_mul_f32_e32 v85, 0x3fb8aa3b, v85
	v_exp_f32_e32 v85, v85
	s_waitcnt lgkmcnt(1)
	v_fma_f32 v87, v89, v94, 0
	v_fmac_f32_e32 v87, v88, v95
	s_waitcnt lgkmcnt(0)
	v_fmac_f32_e32 v87, v92, v90
	v_fmac_f32_e32 v87, v85, v91
	v_add_f32_e32 v90, 0x358637bd, v87
	v_div_scale_f32 v91, s[6:7], v90, v90, 1.0
	v_rcp_f32_e32 v93, v91
	s_barrier
	v_fma_f32 v94, -v91, v93, 1.0
	v_fmac_f32_e32 v93, v94, v93
	v_div_scale_f32 v94, vcc, 1.0, v90, 1.0
	v_mul_f32_e32 v95, v94, v93
	v_fma_f32 v1, -v91, v95, v94
	v_fmac_f32_e32 v95, v1, v93
	v_fma_f32 v1, -v91, v95, v94
	v_lshrrev_b32_e32 v91, 6, v0
	v_div_fmas_f32 v1, v1, v93, v95
	v_cmp_eq_u32_e32 vcc, 1, v91
	v_div_fixup_f32 v1, v1, v90, 1.0
	s_nop 0
	v_cndmask_b32_e32 v88, v89, v88, vcc
	v_cmp_eq_u32_e32 vcc, 2, v91
	s_nop 1
	v_cndmask_b32_e32 v88, v88, v92, vcc
	v_cmp_eq_u32_e32 vcc, 3, v91
	s_nop 1
	v_cndmask_b32_e32 v85, v88, v85, vcc
	v_mul_f32_e32 v90, v85, v1
	v_pk_mul_f32 v[78:79], v[90:91], v[78:79] op_sel_hi:[0,1]
	v_cvt_f16_f32_e32 v78, v78
	v_cvt_f16_f32_e32 v79, v79
	v_pk_mul_f32 v[80:81], v[90:91], v[80:81] op_sel_hi:[0,1]
	v_cvt_f16_f32_e32 v1, v80
	v_cvt_f16_f32_e32 v80, v81
	v_pk_mul_f32 v[74:75], v[90:91], v[74:75] op_sel_hi:[0,1]
	v_pk_mul_f32 v[76:77], v[90:91], v[76:77] op_sel_hi:[0,1]
	v_pack_b32_f16 v81, v78, v79
	v_cvt_f16_f32_e32 v76, v76
	v_cvt_f16_f32_e32 v77, v77
	;; [unrolled: 1-line block ×4, first 2 shown]
	v_bfe_u32 v88, v0, 4, 2
	v_pack_b32_f16 v80, v1, v80
	v_lshlrev_b32_e32 v1, 3, v88
	v_lshlrev_b32_e32 v78, 5, v84
	;; [unrolled: 1-line block ×3, first 2 shown]
	v_or3_b32 v1, v74, v78, v1
	v_pack_b32_f16 v74, v76, v77
	v_pack_b32_f16 v75, v79, v75
	v_pk_mul_f32 v[70:71], v[90:91], v[70:71] op_sel_hi:[0,1]
	v_pk_mul_f32 v[72:73], v[90:91], v[72:73] op_sel_hi:[0,1]
	;; [unrolled: 1-line block ×4, first 2 shown]
	ds_write2st64_b64 v1, v[80:81], v[74:75] offset1:1
	v_cvt_f16_f32_e32 v72, v72
	v_cvt_f16_f32_e32 v73, v73
	;; [unrolled: 1-line block ×8, first 2 shown]
	v_pack_b32_f16 v66, v72, v73
	v_pack_b32_f16 v67, v70, v71
	;; [unrolled: 1-line block ×4, first 2 shown]
	v_cmp_gt_u32_e32 vcc, 5, v0
	ds_write2st64_b64 v1, v[66:67], v[68:69] offset0:2 offset1:3
	s_and_saveexec_b64 s[6:7], vcc
	s_cbranch_execz .LBB348_19
; %bb.18:
	s_mov_b32 s41, 0
	v_mov_b32_e32 v85, 0
	v_lshl_add_u64 v[66:67], s[40:41], 0, v[84:85]
	v_mov_b32_e32 v68, s9
	v_mad_u64_u32 v[66:67], s[10:11], s2, v68, v[66:67]
	s_mul_i32 s3, s3, s9
	v_mov_b32_e32 v68, s26
	v_mov_b32_e32 v69, v85
	s_load_dwordx4 s[12:15], s[0:1], 0x58
	v_add_u32_e32 v70, s3, v67
	v_mad_u64_u32 v[66:67], s[10:11], v66, s8, v[68:69]
	v_mov_b32_e32 v68, v67
	v_mad_u64_u32 v[68:69], s[10:11], v70, s8, v[68:69]
	v_mov_b32_e32 v67, v68
	v_lshlrev_b64 v[66:67], 2, v[66:67]
	s_waitcnt lgkmcnt(0)
	v_lshl_add_u64 v[68:69], s[14:15], 0, v[66:67]
	v_lshl_add_u64 v[66:67], s[12:13], 0, v[66:67]
	global_store_dword v[68:69], v86, off
	global_store_dword v[66:67], v87, off
.LBB348_19:
	s_or_b64 exec, exec, s[6:7]
	v_lshl_or_b32 v78, v88, 9, v78
	s_waitcnt lgkmcnt(0)
	s_barrier
	ds_read_b128 v[70:73], v78
	ds_read_b128 v[66:69], v78 offset:16
	s_waitcnt vmcnt(15) lgkmcnt(1)
	v_mfma_f32_16x16x16_f16 v[74:77], v[30:31], v[70:71], 0
	s_mov_b32 s3, 0
	v_cmp_gt_u32_e32 vcc, 64, v0
	v_mfma_f32_16x16x16_f16 v[30:33], v[32:33], v[72:73], v[74:77]
	s_waitcnt vmcnt(14) lgkmcnt(0)
	v_mfma_f32_16x16x16_f16 v[30:33], v[26:27], v[66:67], v[30:33]
	v_mfma_f32_16x16x16_f16 v[26:29], v[28:29], v[68:69], v[30:33]
	s_nop 5
	ds_read_b128 v[30:33], v78 offset:2048
	ds_read_b128 v[74:77], v78 offset:2064
	s_waitcnt vmcnt(13) lgkmcnt(1)
	v_mfma_f32_16x16x16_f16 v[26:29], v[22:23], v[30:31], v[26:29]
	v_mfma_f32_16x16x16_f16 v[22:25], v[24:25], v[32:33], v[26:29]
	s_waitcnt vmcnt(12) lgkmcnt(0)
	v_mfma_f32_16x16x16_f16 v[22:25], v[18:19], v[74:75], v[22:25]
	v_mfma_f32_16x16x16_f16 v[18:21], v[20:21], v[76:77], v[22:25]
	s_nop 5
	ds_read_b128 v[22:25], v78 offset:4096
	ds_read_b128 v[26:29], v78 offset:4112
	s_waitcnt vmcnt(11) lgkmcnt(1)
	v_mfma_f32_16x16x16_f16 v[18:21], v[14:15], v[22:23], v[18:21]
	v_mfma_f32_16x16x16_f16 v[14:17], v[16:17], v[24:25], v[18:21]
	s_waitcnt vmcnt(10) lgkmcnt(0)
	v_mfma_f32_16x16x16_f16 v[14:17], v[10:11], v[26:27], v[14:17]
	v_mfma_f32_16x16x16_f16 v[10:13], v[12:13], v[28:29], v[14:17]
	s_nop 5
	ds_read_b128 v[14:17], v78 offset:6144
	ds_read_b128 v[18:21], v78 offset:6160
	s_waitcnt lgkmcnt(0)
	s_barrier
	s_waitcnt vmcnt(9)
	v_mfma_f32_16x16x16_f16 v[10:13], v[6:7], v[14:15], v[10:13]
	v_mfma_f32_16x16x16_f16 v[6:9], v[8:9], v[16:17], v[10:13]
	s_waitcnt vmcnt(8)
	v_mfma_f32_16x16x16_f16 v[6:9], v[2:3], v[18:19], v[6:9]
	v_mfma_f32_16x16x16_f16 v[2:5], v[4:5], v[20:21], v[6:9]
	;; [unrolled: 3-line block ×3, first 2 shown]
	s_nop 3
	v_cvt_f16_f32_e32 v10, v2
	v_cvt_f16_f32_e32 v11, v3
	;; [unrolled: 1-line block ×3, first 2 shown]
	s_waitcnt vmcnt(6)
	v_mfma_f32_16x16x16_f16 v[6:9], v[38:39], v[66:67], v[6:9]
	v_cvt_f16_f32_e32 v13, v5
	v_mfma_f32_16x16x16_f16 v[6:9], v[40:41], v[68:69], v[6:9]
	s_waitcnt vmcnt(5)
	v_mfma_f32_16x16x16_f16 v[6:9], v[42:43], v[30:31], v[6:9]
	v_mfma_f32_16x16x16_f16 v[6:9], v[44:45], v[32:33], v[6:9]
	s_waitcnt vmcnt(4)
	v_mfma_f32_16x16x16_f16 v[6:9], v[34:35], v[74:75], v[6:9]
	;; [unrolled: 3-line block ×6, first 2 shown]
	v_mfma_f32_16x16x16_f16 v[2:5], v[60:61], v[20:21], v[6:9]
	s_nop 6
	v_cvt_f16_f32_e32 v6, v2
	v_cvt_f16_f32_e32 v7, v3
	;; [unrolled: 1-line block ×4, first 2 shown]
	v_pack_b32_f16 v2, v10, v11
	v_pack_b32_f16 v3, v12, v13
	;; [unrolled: 1-line block ×4, first 2 shown]
	ds_write2st64_b64 v1, v[2:3], v[4:5] offset1:1
	s_waitcnt lgkmcnt(0)
	s_barrier
	s_and_saveexec_b64 s[6:7], vcc
	s_cbranch_execz .LBB348_22
; %bb.20:
	s_load_dwordx2 s[6:7], s[0:1], 0x68
	s_lshl_b32 s0, s8, 7
	s_mul_i32 s1, s9, s2
	v_lshlrev_b32_e32 v3, 6, v84
	s_mul_hi_u32 s9, s1, s0
	s_mul_i32 s8, s1, s0
	v_lshlrev_b32_e32 v2, 4, v0
	v_lshl_or_b32 v0, v0, 10, v3
	s_lshl_b64 s[8:9], s[8:9], 1
	v_lshlrev_b32_e32 v1, 5, v88
	v_and_b32_e32 v2, 16, v2
	v_and_b32_e32 v0, 0x1a00, v0
	s_waitcnt lgkmcnt(0)
	s_add_u32 s1, s6, s8
	v_or3_b32 v2, v0, v1, v2
	s_addc_u32 s6, s7, s9
	s_lshl_b32 s2, s26, 7
	s_lshl_b64 s[2:3], s[2:3], 1
	ds_read_b128 v[4:7], v2
	s_add_u32 s2, s1, s2
	s_addc_u32 s3, s6, s3
	v_add_u32_e32 v3, s40, v88
	v_lshl_add_u64 v[0:1], v[82:83], 1, s[2:3]
	v_mad_u64_u32 v[8:9], s[2:3], v3, s0, 0
	v_lshl_add_u64 v[8:9], v[8:9], 1, v[0:1]
	s_waitcnt lgkmcnt(0)
	global_store_dwordx4 v[8:9], v[4:7], off
	s_and_b64 exec, exec, s[4:5]
	s_cbranch_execz .LBB348_22
; %bb.21:
	ds_read_b128 v[2:5], v2 offset:128
	v_add3_u32 v6, s40, v88, 4
	v_mad_u64_u32 v[6:7], s[0:1], v6, s0, 0
	v_lshl_add_u64 v[0:1], v[6:7], 1, v[0:1]
	s_waitcnt lgkmcnt(0)
	global_store_dwordx4 v[0:1], v[2:5], off
.LBB348_22:
	s_endpgm
	.section	.rodata,"a",@progbits
	.p2align	6, 0x0
	.amdhsa_kernel _Z39paged_attention_ll4mi_QKV_mfma16_kernelIDF16_DF16_LN4vllm18Fp8KVCacheDataTypeE0EDF16_Li32ELi128ELi256ELb1ELi5EEvPKT_PKT0_S7_ifPKiS9_S9_iPKfiiiPfSC_PS2_PT2_iSB_SB_
		.amdhsa_group_segment_fixed_size 8192
		.amdhsa_private_segment_fixed_size 0
		.amdhsa_kernarg_size 400
		.amdhsa_user_sgpr_count 2
		.amdhsa_user_sgpr_dispatch_ptr 0
		.amdhsa_user_sgpr_queue_ptr 0
		.amdhsa_user_sgpr_kernarg_segment_ptr 1
		.amdhsa_user_sgpr_dispatch_id 0
		.amdhsa_user_sgpr_kernarg_preload_length 0
		.amdhsa_user_sgpr_kernarg_preload_offset 0
		.amdhsa_user_sgpr_private_segment_size 0
		.amdhsa_uses_dynamic_stack 0
		.amdhsa_enable_private_segment 0
		.amdhsa_system_sgpr_workgroup_id_x 1
		.amdhsa_system_sgpr_workgroup_id_y 1
		.amdhsa_system_sgpr_workgroup_id_z 1
		.amdhsa_system_sgpr_workgroup_info 0
		.amdhsa_system_vgpr_workitem_id 0
		.amdhsa_next_free_vgpr 96
		.amdhsa_next_free_sgpr 42
		.amdhsa_accum_offset 96
		.amdhsa_reserve_vcc 1
		.amdhsa_float_round_mode_32 0
		.amdhsa_float_round_mode_16_64 0
		.amdhsa_float_denorm_mode_32 3
		.amdhsa_float_denorm_mode_16_64 3
		.amdhsa_dx10_clamp 1
		.amdhsa_ieee_mode 1
		.amdhsa_fp16_overflow 0
		.amdhsa_tg_split 0
		.amdhsa_exception_fp_ieee_invalid_op 0
		.amdhsa_exception_fp_denorm_src 0
		.amdhsa_exception_fp_ieee_div_zero 0
		.amdhsa_exception_fp_ieee_overflow 0
		.amdhsa_exception_fp_ieee_underflow 0
		.amdhsa_exception_fp_ieee_inexact 0
		.amdhsa_exception_int_div_zero 0
	.end_amdhsa_kernel
	.section	.text._Z39paged_attention_ll4mi_QKV_mfma16_kernelIDF16_DF16_LN4vllm18Fp8KVCacheDataTypeE0EDF16_Li32ELi128ELi256ELb1ELi5EEvPKT_PKT0_S7_ifPKiS9_S9_iPKfiiiPfSC_PS2_PT2_iSB_SB_,"axG",@progbits,_Z39paged_attention_ll4mi_QKV_mfma16_kernelIDF16_DF16_LN4vllm18Fp8KVCacheDataTypeE0EDF16_Li32ELi128ELi256ELb1ELi5EEvPKT_PKT0_S7_ifPKiS9_S9_iPKfiiiPfSC_PS2_PT2_iSB_SB_,comdat
.Lfunc_end348:
	.size	_Z39paged_attention_ll4mi_QKV_mfma16_kernelIDF16_DF16_LN4vllm18Fp8KVCacheDataTypeE0EDF16_Li32ELi128ELi256ELb1ELi5EEvPKT_PKT0_S7_ifPKiS9_S9_iPKfiiiPfSC_PS2_PT2_iSB_SB_, .Lfunc_end348-_Z39paged_attention_ll4mi_QKV_mfma16_kernelIDF16_DF16_LN4vllm18Fp8KVCacheDataTypeE0EDF16_Li32ELi128ELi256ELb1ELi5EEvPKT_PKT0_S7_ifPKiS9_S9_iPKfiiiPfSC_PS2_PT2_iSB_SB_
                                        ; -- End function
	.section	.AMDGPU.csdata,"",@progbits
; Kernel info:
; codeLenInByte = 4872
; NumSgprs: 48
; NumVgprs: 96
; NumAgprs: 0
; TotalNumVgprs: 96
; ScratchSize: 0
; MemoryBound: 0
; FloatMode: 240
; IeeeMode: 1
; LDSByteSize: 8192 bytes/workgroup (compile time only)
; SGPRBlocks: 5
; VGPRBlocks: 11
; NumSGPRsForWavesPerEU: 48
; NumVGPRsForWavesPerEU: 96
; AccumOffset: 96
; Occupancy: 5
; WaveLimiterHint : 1
; COMPUTE_PGM_RSRC2:SCRATCH_EN: 0
; COMPUTE_PGM_RSRC2:USER_SGPR: 2
; COMPUTE_PGM_RSRC2:TRAP_HANDLER: 0
; COMPUTE_PGM_RSRC2:TGID_X_EN: 1
; COMPUTE_PGM_RSRC2:TGID_Y_EN: 1
; COMPUTE_PGM_RSRC2:TGID_Z_EN: 1
; COMPUTE_PGM_RSRC2:TIDIG_COMP_CNT: 0
; COMPUTE_PGM_RSRC3_GFX90A:ACCUM_OFFSET: 23
; COMPUTE_PGM_RSRC3_GFX90A:TG_SPLIT: 0
	.section	.text._Z39paged_attention_ll4mi_QKV_mfma16_kernelIDF16_DF16_LN4vllm18Fp8KVCacheDataTypeE0EDF16_Li32ELi128ELi256ELb1ELi6EEvPKT_PKT0_S7_ifPKiS9_S9_iPKfiiiPfSC_PS2_PT2_iSB_SB_,"axG",@progbits,_Z39paged_attention_ll4mi_QKV_mfma16_kernelIDF16_DF16_LN4vllm18Fp8KVCacheDataTypeE0EDF16_Li32ELi128ELi256ELb1ELi6EEvPKT_PKT0_S7_ifPKiS9_S9_iPKfiiiPfSC_PS2_PT2_iSB_SB_,comdat
	.protected	_Z39paged_attention_ll4mi_QKV_mfma16_kernelIDF16_DF16_LN4vllm18Fp8KVCacheDataTypeE0EDF16_Li32ELi128ELi256ELb1ELi6EEvPKT_PKT0_S7_ifPKiS9_S9_iPKfiiiPfSC_PS2_PT2_iSB_SB_ ; -- Begin function _Z39paged_attention_ll4mi_QKV_mfma16_kernelIDF16_DF16_LN4vllm18Fp8KVCacheDataTypeE0EDF16_Li32ELi128ELi256ELb1ELi6EEvPKT_PKT0_S7_ifPKiS9_S9_iPKfiiiPfSC_PS2_PT2_iSB_SB_
	.globl	_Z39paged_attention_ll4mi_QKV_mfma16_kernelIDF16_DF16_LN4vllm18Fp8KVCacheDataTypeE0EDF16_Li32ELi128ELi256ELb1ELi6EEvPKT_PKT0_S7_ifPKiS9_S9_iPKfiiiPfSC_PS2_PT2_iSB_SB_
	.p2align	8
	.type	_Z39paged_attention_ll4mi_QKV_mfma16_kernelIDF16_DF16_LN4vllm18Fp8KVCacheDataTypeE0EDF16_Li32ELi128ELi256ELb1ELi6EEvPKT_PKT0_S7_ifPKiS9_S9_iPKfiiiPfSC_PS2_PT2_iSB_SB_,@function
_Z39paged_attention_ll4mi_QKV_mfma16_kernelIDF16_DF16_LN4vllm18Fp8KVCacheDataTypeE0EDF16_Li32ELi128ELi256ELb1ELi6EEvPKT_PKT0_S7_ifPKiS9_S9_iPKfiiiPfSC_PS2_PT2_iSB_SB_: ; @_Z39paged_attention_ll4mi_QKV_mfma16_kernelIDF16_DF16_LN4vllm18Fp8KVCacheDataTypeE0EDF16_Li32ELi128ELi256ELb1ELi6EEvPKT_PKT0_S7_ifPKiS9_S9_iPKfiiiPfSC_PS2_PT2_iSB_SB_
; %bb.0:
	s_load_dwordx2 s[8:9], s[0:1], 0x30
	s_mov_b32 s26, s3
	s_mov_b64 s[6:7], 0
	s_waitcnt lgkmcnt(0)
	s_cmp_lg_u64 s[8:9], 0
	s_cselect_b64 s[10:11], -1, 0
	s_and_b64 vcc, exec, s[10:11]
	s_cbranch_vccz .LBB349_7
; %bb.1:
	s_add_i32 s12, s2, 1
	s_mov_b32 s13, 0
	s_lshl_b64 s[14:15], s[12:13], 2
	s_add_u32 s14, s8, s14
	s_mov_b32 s3, s13
	s_addc_u32 s15, s9, s15
	s_lshl_b64 s[12:13], s[2:3], 2
	s_add_u32 s12, s8, s12
	s_addc_u32 s13, s9, s13
	s_load_dword s5, s[14:15], 0x0
	s_load_dword s16, s[12:13], 0x0
	s_waitcnt lgkmcnt(0)
	s_sub_i32 s5, s5, s16
	s_cmp_eq_u32 s5, 1
	s_cselect_b64 s[12:13], -1, 0
	s_andn2_b64 vcc, exec, s[6:7]
	s_cbranch_vccnz .LBB349_3
.LBB349_2:
	s_mov_b32 s3, 0
	s_mov_b64 s[12:13], -1
.LBB349_3:
	s_andn2_b64 vcc, exec, s[12:13]
	s_cbranch_vccnz .LBB349_22
; %bb.4:
	s_load_dwordx2 s[6:7], s[0:1], 0x28
	s_lshl_b64 s[12:13], s[2:3], 2
	s_waitcnt lgkmcnt(0)
	s_add_u32 s6, s6, s12
	s_addc_u32 s7, s7, s13
	s_load_dword s27, s[6:7], 0x0
	s_lshl_b32 s18, s26, 8
	s_waitcnt lgkmcnt(0)
	s_cmp_ge_i32 s18, s27
	s_cbranch_scc1 .LBB349_22
; %bb.5:
	s_load_dwordx2 s[6:7], s[0:1], 0x20
	s_load_dword s5, s[0:1], 0x38
	s_add_i32 s14, s27, 31
	s_ashr_i32 s15, s14, 31
	v_and_b32_e32 v1, 0xcf, v0
	s_lshr_b32 s15, s15, 27
	v_add_u32_e32 v1, s18, v1
	s_add_i32 s14, s14, s15
	v_ashrrev_i32_e32 v2, 31, v1
	s_ashr_i32 s19, s14, 5
	v_lshrrev_b32_e32 v4, 27, v2
	s_add_i32 s19, s19, -1
	s_waitcnt lgkmcnt(0)
	s_mul_i32 s14, s2, s5
	s_mov_b32 s15, 0
	v_add_u32_e32 v2, v1, v4
	s_lshl_b64 s[14:15], s[14:15], 2
	v_ashrrev_i32_e32 v2, 5, v2
	v_mov_b32_e32 v5, s19
	v_cmp_gt_i32_e32 vcc, s27, v1
	s_add_u32 s6, s6, s14
	s_addc_u32 s7, s7, s15
	v_cndmask_b32_e32 v2, v5, v2, vcc
	v_ashrrev_i32_e32 v3, 31, v2
	v_lshl_add_u64 v[6:7], v[2:3], 2, s[6:7]
	v_or_b32_e32 v2, 16, v1
	v_add_u32_e32 v3, v2, v4
	v_ashrrev_i32_e32 v3, 5, v3
	v_cmp_gt_i32_e32 vcc, s27, v2
	s_nop 1
	v_cndmask_b32_e32 v2, v5, v3, vcc
	v_ashrrev_i32_e32 v3, 31, v2
	v_lshl_add_u64 v[8:9], v[2:3], 2, s[6:7]
	v_or_b32_e32 v2, 32, v1
	v_add_u32_e32 v3, v2, v4
	v_ashrrev_i32_e32 v3, 5, v3
	v_cmp_gt_i32_e32 vcc, s27, v2
	v_or_b32_e32 v1, 48, v1
	s_nop 0
	v_cndmask_b32_e32 v2, v5, v3, vcc
	v_ashrrev_i32_e32 v3, 31, v2
	v_lshl_add_u64 v[10:11], v[2:3], 2, s[6:7]
	v_add_u32_e32 v2, v1, v4
	v_ashrrev_i32_e32 v2, 5, v2
	v_cmp_gt_i32_e32 vcc, s27, v1
	s_nop 1
	v_cndmask_b32_e32 v2, v5, v2, vcc
	v_ashrrev_i32_e32 v3, 31, v2
	v_lshl_add_u64 v[12:13], v[2:3], 2, s[6:7]
	global_load_dword v5, v[6:7], off
	global_load_dword v4, v[8:9], off
	;; [unrolled: 1-line block ×4, first 2 shown]
	s_andn2_b64 vcc, exec, s[10:11]
	s_cbranch_vccnz .LBB349_8
; %bb.6:
	s_add_u32 s8, s8, s12
	s_addc_u32 s9, s9, s13
	s_load_dword s5, s[8:9], 0x0
	s_branch .LBB349_9
.LBB349_7:
	s_mov_b64 s[12:13], 0
	s_branch .LBB349_2
.LBB349_8:
	s_mov_b32 s5, s2
.LBB349_9:
	s_load_dwordx2 s[14:15], s[0:1], 0x8
	s_load_dwordx4 s[8:11], s[0:1], 0x48
	v_lshrrev_b32_e32 v88, 6, v0
	v_bfe_u32 v1, v0, 4, 2
	v_lshl_or_b32 v6, v88, 2, v1
	v_and_b32_e32 v84, 15, v0
	v_lshlrev_b32_e32 v82, 3, v84
	v_cmp_lt_u32_e32 vcc, 5, v6
	s_and_saveexec_b64 s[12:13], vcc
	s_xor_b64 s[12:13], exec, s[12:13]
; %bb.10:
	v_mov_b32_e32 v83, 0
                                        ; implicit-def: $vgpr6
; %bb.11:
	s_or_saveexec_b64 s[16:17], s[12:13]
	s_load_dwordx2 s[12:13], s[0:1], 0x10
	s_mul_i32 s40, s4, 6
	s_xor_b64 exec, exec, s[16:17]
	s_cbranch_execz .LBB349_13
; %bb.12:
	s_load_dwordx2 s[20:21], s[0:1], 0x0
	s_waitcnt lgkmcnt(0)
	s_ashr_i32 s11, s8, 31
	s_mul_hi_u32 s22, s5, s8
	s_mul_i32 s11, s5, s11
	s_add_i32 s23, s22, s11
	s_mul_i32 s22, s5, s8
	s_lshl_b64 s[22:23], s[22:23], 1
	s_add_u32 s20, s20, s22
	v_add_lshl_u32 v8, v6, s40, 7
	s_addc_u32 s21, s21, s23
	v_ashrrev_i32_e32 v9, 31, v8
	v_mov_b32_e32 v83, 0
	v_lshl_add_u64 v[8:9], v[8:9], 1, s[20:21]
	v_lshlrev_b32_e32 v10, 1, v82
	v_mov_b32_e32 v11, v83
	v_lshl_add_u64 v[8:9], v[8:9], 0, v[10:11]
	global_load_dwordx4 v[8:11], v[8:9], off
	v_and_b32_e32 v7, 3, v0
	v_lshlrev_b32_e32 v12, 9, v84
	v_lshlrev_b32_e32 v6, 5, v6
	;; [unrolled: 1-line block ×3, first 2 shown]
	v_and_b32_e32 v12, 0x1800, v12
	v_or3_b32 v6, v12, v7, v6
	s_waitcnt vmcnt(0)
	ds_write_b128 v6, v[8:11]
.LBB349_13:
	s_or_b64 exec, exec, s[16:17]
	s_waitcnt lgkmcnt(0)
	s_mul_i32 s4, s4, s10
	s_mov_b32 s5, 0
	s_lshl_b64 s[4:5], s[4:5], 1
	s_add_u32 s10, s14, s4
	s_addc_u32 s11, s15, s5
	s_waitcnt vmcnt(3)
	v_mad_i64_i32 v[6:7], s[14:15], v5, s9, 0
	v_lshl_add_u64 v[6:7], v[6:7], 1, s[10:11]
	v_lshlrev_b64 v[8:9], 1, v[82:83]
	v_lshlrev_b32_e32 v86, 9, v1
	v_lshl_add_u64 v[6:7], v[6:7], 0, v[8:9]
	v_mov_b32_e32 v87, 0
	v_lshl_add_u64 v[10:11], v[6:7], 0, v[86:87]
	v_or_b32_e32 v14, 0x1000, v86
	v_mov_b32_e32 v15, v87
	v_or_b32_e32 v16, 0x1800, v86
	v_mov_b32_e32 v17, v87
	s_barrier
	global_load_dwordx4 v[66:69], v[10:11], off
	global_load_dwordx4 v[62:65], v[10:11], off offset:2048
	v_lshl_add_u64 v[10:11], v[6:7], 0, v[14:15]
	v_lshl_add_u64 v[6:7], v[6:7], 0, v[16:17]
	global_load_dwordx4 v[78:81], v[10:11], off
	global_load_dwordx4 v[74:77], v[6:7], off
	s_waitcnt vmcnt(6)
	v_mad_i64_i32 v[4:5], s[14:15], v4, s9, 0
	v_mov_b32_e32 v6, 0x100
	v_lshl_add_u64 v[4:5], v[4:5], 1, s[10:11]
	v_lshl_or_b32 v6, v84, 4, v6
	v_mov_b32_e32 v7, v87
	v_lshl_add_u64 v[4:5], v[4:5], 0, v[6:7]
	v_lshl_add_u64 v[10:11], v[4:5], 0, v[86:87]
	global_load_dwordx4 v[70:73], v[10:11], off
	global_load_dwordx4 v[58:61], v[10:11], off offset:2048
	v_lshl_add_u64 v[10:11], v[4:5], 0, v[14:15]
	v_lshl_add_u64 v[4:5], v[4:5], 0, v[16:17]
	global_load_dwordx4 v[54:57], v[10:11], off
	global_load_dwordx4 v[30:33], v[4:5], off
	s_waitcnt vmcnt(9)
	v_mad_i64_i32 v[4:5], s[14:15], v3, s9, 0
	v_lshl_add_u64 v[4:5], v[4:5], 1, s[10:11]
	s_waitcnt vmcnt(8)
	v_mad_i64_i32 v[2:3], s[14:15], v2, s9, 0
	v_lshl_add_u64 v[4:5], v[4:5], 0, v[8:9]
	v_lshl_add_u64 v[2:3], v[2:3], 1, s[10:11]
	;; [unrolled: 1-line block ×4, first 2 shown]
	global_load_dwordx4 v[26:29], v[8:9], off
	global_load_dwordx4 v[22:25], v[8:9], off offset:2048
	v_lshl_add_u64 v[8:9], v[4:5], 0, v[14:15]
	v_lshl_add_u64 v[4:5], v[4:5], 0, v[16:17]
	;; [unrolled: 1-line block ×4, first 2 shown]
	global_load_dwordx4 v[18:21], v[8:9], off
	global_load_dwordx4 v[10:13], v[4:5], off
	s_nop 0
	global_load_dwordx4 v[6:9], v[2:3], off
	s_nop 0
	global_load_dwordx4 v[2:5], v[2:3], off offset:2048
	v_lshl_add_u64 v[16:17], v[34:35], 0, v[16:17]
	global_load_dwordx4 v[38:41], v[14:15], off
	global_load_dwordx4 v[34:37], v[16:17], off
	v_mul_lo_u16_e32 v14, 43, v84
	v_mov_b32_e32 v15, 6
	v_mul_lo_u16_sdwa v14, v14, v15 dst_sel:DWORD dst_unused:UNUSED_PAD src0_sel:BYTE_1 src1_sel:DWORD
	v_sub_u16_e32 v14, v84, v14
	v_and_b32_e32 v14, 0xff, v14
	v_lshl_add_u32 v42, v14, 5, v86
	ds_read_b128 v[14:17], v42
	ds_read_b128 v[50:53], v42 offset:2048
	ds_read_b128 v[46:49], v42 offset:4096
	ds_read_b128 v[42:45], v42 offset:6144
	v_and_b32_e32 v85, 63, v0
	v_cmp_gt_u32_e32 vcc, 6, v84
	v_mov_b32_e32 v89, 0
	s_and_saveexec_b64 s[10:11], vcc
	s_cbranch_execz .LBB349_15
; %bb.14:
	s_load_dwordx2 s[14:15], s[0:1], 0x40
	v_add_u32_e32 v90, s40, v84
	v_ashrrev_i32_e32 v91, 31, v90
	s_waitcnt lgkmcnt(0)
	v_lshl_add_u64 v[90:91], v[90:91], 2, s[14:15]
	global_load_dword v89, v[90:91], off
.LBB349_15:
	s_or_b64 exec, exec, s[10:11]
	s_waitcnt vmcnt(15) lgkmcnt(3)
	v_mfma_f32_16x16x16_f16 v[90:93], v[66:67], v[14:15], 0
	s_ashr_i32 s8, s18, 31
	s_lshr_b32 s8, s8, 27
	s_add_u32 s4, s12, s4
	v_mfma_f32_16x16x16_f16 v[66:69], v[68:69], v[16:17], v[90:93]
	s_addc_u32 s5, s13, s5
	s_mov_b32 s33, 0xff7fffff
	s_waitcnt vmcnt(14) lgkmcnt(2)
	v_mfma_f32_16x16x16_f16 v[66:69], v[62:63], v[50:51], v[66:69]
	v_lshl_or_b32 v90, v88, 4, v84
	v_mfma_f32_16x16x16_f16 v[62:65], v[64:65], v[52:53], v[66:69]
	s_waitcnt vmcnt(13) lgkmcnt(1)
	v_mfma_f32_16x16x16_f16 v[62:65], v[78:79], v[46:47], v[62:65]
	v_mfma_f32_16x16x16_f16 v[62:65], v[80:81], v[48:49], v[62:65]
	s_waitcnt vmcnt(12) lgkmcnt(0)
	v_mfma_f32_16x16x16_f16 v[62:65], v[74:75], v[42:43], v[62:65]
	v_and_or_b32 v74, v0, 48, s18
	v_add_u32_e32 v66, s8, v74
	v_ashrrev_i32_e32 v75, 5, v66
	s_waitcnt vmcnt(11)
	v_mfma_f32_16x16x16_f16 v[66:69], v[70:71], v[14:15], 0
	v_cmp_gt_i32_e32 vcc, s27, v74
	v_mfma_f32_16x16x16_f16 v[66:69], v[72:73], v[16:17], v[66:69]
	v_or_b32_e32 v72, 64, v74
	v_add_u32_e32 v73, s8, v72
	s_waitcnt vmcnt(10)
	v_mfma_f32_16x16x16_f16 v[66:69], v[58:59], v[50:51], v[66:69]
	v_ashrrev_i32_e32 v58, 5, v73
	v_mfma_f32_16x16x16_f16 v[62:65], v[76:77], v[44:45], v[62:65]
	v_mov_b32_e32 v76, s19
	v_cndmask_b32_e32 v70, v76, v75, vcc
	v_cmp_gt_i32_e32 vcc, s27, v72
	v_ashrrev_i32_e32 v71, 31, v70
	v_lshl_add_u64 v[70:71], v[70:71], 2, s[6:7]
	v_cndmask_b32_e32 v72, v76, v58, vcc
	v_mfma_f32_16x16x16_f16 v[58:61], v[60:61], v[52:53], v[66:69]
	v_ashrrev_i32_e32 v73, 31, v72
	s_waitcnt vmcnt(9)
	v_mfma_f32_16x16x16_f16 v[58:61], v[54:55], v[46:47], v[58:61]
	v_lshl_add_u64 v[66:67], v[72:73], 2, s[6:7]
	global_load_dword v72, v[70:71], off
	global_load_dword v75, v[66:67], off
	v_or_b32_e32 v66, 0x80, v74
	v_add_u32_e32 v67, s8, v66
	v_mfma_f32_16x16x16_f16 v[54:57], v[56:57], v[48:49], v[58:61]
	v_cmp_gt_i32_e32 vcc, s27, v66
	s_nop 1
	v_ashrrev_i32_e32 v58, 5, v67
	v_cndmask_b32_e32 v58, v76, v58, vcc
	v_ashrrev_i32_e32 v59, 31, v58
	s_waitcnt vmcnt(10)
	v_mfma_f32_16x16x16_f16 v[54:57], v[30:31], v[42:43], v[54:57]
	v_lshl_add_u64 v[30:31], v[58:59], 2, s[6:7]
	global_load_dword v58, v[30:31], off
	v_mfma_f32_16x16x16_f16 v[66:69], v[32:33], v[44:45], v[54:57]
	s_nop 3
	v_or_b32_e32 v54, 0xc0, v74
	v_add_u32_e32 v30, s8, v54
	v_ashrrev_i32_e32 v55, 5, v30
	v_cmp_gt_i32_e32 vcc, s27, v54
	s_waitcnt vmcnt(10)
	v_mfma_f32_16x16x16_f16 v[30:33], v[26:27], v[14:15], 0
	v_cndmask_b32_e32 v26, v76, v55, vcc
	v_ashrrev_i32_e32 v27, 31, v26
	v_lshl_add_u64 v[54:55], v[26:27], 2, s[6:7]
	global_load_dword v59, v[54:55], off
	v_mfma_f32_16x16x16_f16 v[26:29], v[28:29], v[16:17], v[30:33]
	s_load_dword s6, s[0:1], 0x1c
	s_waitcnt lgkmcnt(0)
	v_pk_mul_f32 v[76:77], s[6:7], v[66:67] op_sel_hi:[0,1]
	s_waitcnt vmcnt(10)
	v_mfma_f32_16x16x16_f16 v[26:29], v[22:23], v[50:51], v[26:29]
	v_and_b32_e32 v30, 16, v0
	v_lshlrev_b32_e32 v86, 1, v30
	v_lshl_add_u64 v[60:61], s[4:5], 0, v[86:87]
	v_mfma_f32_16x16x16_f16 v[22:25], v[24:25], v[52:53], v[26:29]
	v_lshlrev_b32_e32 v86, 6, v90
	v_lshl_add_u64 v[70:71], v[60:61], 0, v[86:87]
	v_or_b32_e32 v86, 0x1000, v86
	s_waitcnt vmcnt(9)
	v_mfma_f32_16x16x16_f16 v[22:25], v[18:19], v[46:47], v[22:25]
	v_lshl_add_u64 v[80:81], v[60:61], 0, v[86:87]
	v_pk_mul_f32 v[78:79], s[6:7], v[64:65] op_sel_hi:[0,1]
	v_pk_mul_f32 v[60:61], s[6:7], v[62:63] op_sel_hi:[0,1]
	v_mfma_f32_16x16x16_f16 v[18:21], v[20:21], v[48:49], v[22:25]
	s_waitcnt vmcnt(8)
	v_mfma_f32_16x16x16_f16 v[18:21], v[10:11], v[42:43], v[18:21]
	s_waitcnt vmcnt(3)
	v_mad_i64_i32 v[22:23], s[4:5], v72, s9, 0
	s_waitcnt vmcnt(2)
	v_mad_i64_i32 v[10:11], s[4:5], v75, s9, 0
	v_lshlrev_b64 v[72:73], 1, v[22:23]
	v_lshlrev_b64 v[54:55], 1, v[10:11]
	v_lshl_add_u64 v[22:23], v[70:71], 0, v[72:73]
	v_lshl_add_u64 v[10:11], v[70:71], 0, v[54:55]
	global_load_dwordx4 v[30:33], v[22:23], off
	global_load_dwordx4 v[26:29], v[22:23], off offset:16
	v_mfma_f32_16x16x16_f16 v[92:95], v[12:13], v[44:45], v[18:21]
	global_load_dwordx4 v[22:25], v[10:11], off
	s_nop 1
	global_load_dwordx4 v[18:21], v[10:11], off offset:16
	v_pk_mul_f32 v[74:75], s[6:7], v[68:69] op_sel_hi:[0,1]
	v_mfma_f32_16x16x16_f16 v[10:13], v[6:7], v[14:15], 0
	s_waitcnt vmcnt(5)
	v_mad_i64_i32 v[6:7], s[4:5], v58, s9, 0
	v_lshlrev_b64 v[56:57], 1, v[6:7]
	v_mfma_f32_16x16x16_f16 v[6:9], v[8:9], v[16:17], v[10:13]
	v_mfma_f32_16x16x16_f16 v[6:9], v[2:3], v[50:51], v[6:9]
	s_nop 1
	v_lshl_add_u64 v[10:11], v[70:71], 0, v[56:57]
	global_load_dwordx4 v[14:17], v[10:11], off
	s_nop 0
	global_load_dwordx4 v[10:13], v[10:11], off offset:16
	s_waitcnt vmcnt(6)
	v_mad_i64_i32 v[2:3], s[4:5], v59, s9, 0
	v_mfma_f32_16x16x16_f16 v[50:53], v[4:5], v[52:53], v[6:9]
	v_lshlrev_b64 v[58:59], 1, v[2:3]
	v_lshl_add_u64 v[2:3], v[70:71], 0, v[58:59]
	v_pk_mul_f32 v[70:71], s[6:7], v[94:95] op_sel_hi:[0,1]
	v_mfma_f32_16x16x16_f16 v[50:53], v[38:39], v[46:47], v[50:53]
	v_lshl_add_u64 v[38:39], v[80:81], 0, v[72:73]
	v_pk_mul_f32 v[72:73], s[6:7], v[92:93] op_sel_hi:[0,1]
	v_lshl_add_u64 v[58:59], v[80:81], 0, v[58:59]
	v_mfma_f32_16x16x16_f16 v[46:49], v[40:41], v[48:49], v[50:53]
	global_load_dwordx4 v[6:9], v[2:3], off
	s_nop 0
	global_load_dwordx4 v[2:5], v[2:3], off offset:16
	v_mfma_f32_16x16x16_f16 v[40:43], v[34:35], v[42:43], v[46:49]
	v_mfma_f32_16x16x16_f16 v[34:37], v[36:37], v[44:45], v[40:43]
	s_nop 6
	v_pk_mul_f32 v[68:69], s[6:7], v[34:35] op_sel_hi:[0,1]
	v_and_b32_e32 v34, 0xc0, v0
	v_add_u32_e32 v34, s18, v34
	v_lshl_or_b32 v34, v1, 2, v34
	v_or_b32_e32 v35, 1, v34
	v_pk_mul_f32 v[66:67], s[6:7], v[36:37] op_sel_hi:[0,1]
	v_subrev_u32_e32 v36, s27, v35
	v_add_u32_e32 v40, 1, v36
	v_add_u32_e32 v41, 2, v36
	v_cvt_f32_i32_e32 v37, v36
	v_cvt_f32_i32_e32 v40, v40
	;; [unrolled: 1-line block ×3, first 2 shown]
	v_add_u32_e32 v42, 3, v36
	v_fma_f32 v60, v89, v37, v60
	v_fmac_f32_e32 v61, v89, v40
	v_fma_f32 v78, v89, v41, v78
	v_add_u32_e32 v37, 16, v36
	v_add_u32_e32 v40, 17, v36
	;; [unrolled: 1-line block ×3, first 2 shown]
	v_cvt_f32_i32_e32 v42, v42
	v_cvt_f32_i32_e32 v37, v37
	;; [unrolled: 1-line block ×4, first 2 shown]
	v_fmac_f32_e32 v79, v89, v42
	v_add_u32_e32 v42, 19, v36
	v_fma_f32 v76, v89, v37, v76
	v_fmac_f32_e32 v77, v89, v40
	v_fma_f32 v74, v89, v41, v74
	v_add_u32_e32 v37, 32, v36
	v_add_u32_e32 v40, 33, v36
	;; [unrolled: 1-line block ×3, first 2 shown]
	v_cvt_f32_i32_e32 v42, v42
	v_cvt_f32_i32_e32 v37, v37
	;; [unrolled: 1-line block ×4, first 2 shown]
	v_fmac_f32_e32 v75, v89, v42
	v_add_u32_e32 v42, 35, v36
	v_fma_f32 v72, v89, v37, v72
	v_fmac_f32_e32 v73, v89, v40
	v_fma_f32 v70, v89, v41, v70
	v_add_u32_e32 v37, 48, v36
	v_add_u32_e32 v40, 49, v36
	;; [unrolled: 1-line block ×4, first 2 shown]
	v_cvt_f32_i32_e32 v36, v36
	v_cvt_f32_i32_e32 v37, v37
	;; [unrolled: 1-line block ×3, first 2 shown]
	v_cmp_gt_i32_e64 s[28:29], s27, v34
	v_fmac_f32_e32 v67, v89, v36
	v_mov_b32_e32 v36, 0xff7fffff
	v_cmp_gt_i32_e64 s[30:31], s27, v35
	v_fma_f32 v68, v89, v37, v68
	v_cndmask_b32_e64 v37, v36, v60, s[28:29]
	v_cndmask_b32_e64 v35, v36, v61, s[30:31]
	v_fmac_f32_e32 v69, v89, v40
	v_max3_f32 v35, v37, s33, v35
	v_or_b32_e32 v37, 2, v34
	v_or_b32_e32 v40, 3, v34
	v_cmp_gt_i32_e64 s[34:35], s27, v37
	v_cmp_gt_i32_e64 s[36:37], s27, v40
	v_cvt_f32_i32_e32 v42, v42
	v_cndmask_b32_e64 v37, v36, v78, s[34:35]
	v_cndmask_b32_e64 v40, v36, v79, s[36:37]
	v_max3_f32 v35, v35, v37, v40
	v_or_b32_e32 v37, 16, v34
	v_or_b32_e32 v40, 17, v34
	v_cmp_gt_i32_e64 s[22:23], s27, v37
	v_cmp_gt_i32_e64 s[24:25], s27, v40
	v_fmac_f32_e32 v71, v89, v42
	v_cndmask_b32_e64 v37, v36, v76, s[22:23]
	v_cndmask_b32_e64 v40, v36, v77, s[24:25]
	v_max3_f32 v35, v35, v37, v40
	v_or_b32_e32 v37, 18, v34
	v_or_b32_e32 v40, 19, v34
	v_cmp_gt_i32_e64 s[18:19], s27, v37
	v_cmp_gt_i32_e64 s[20:21], s27, v40
	v_cvt_f32_i32_e32 v41, v41
	v_cndmask_b32_e64 v37, v36, v74, s[18:19]
	v_cndmask_b32_e64 v40, v36, v75, s[20:21]
	v_max3_f32 v35, v35, v37, v40
	v_or_b32_e32 v37, 32, v34
	v_or_b32_e32 v40, 33, v34
	v_cmp_gt_i32_e64 s[14:15], s27, v37
	v_cmp_gt_i32_e64 s[16:17], s27, v40
	v_fma_f32 v66, v89, v41, v66
	v_cndmask_b32_e64 v37, v36, v72, s[14:15]
	v_cndmask_b32_e64 v40, v36, v73, s[16:17]
	v_max3_f32 v35, v35, v37, v40
	v_or_b32_e32 v37, 34, v34
	v_or_b32_e32 v40, 35, v34
	v_cmp_gt_i32_e64 s[10:11], s27, v37
	v_cmp_gt_i32_e64 s[12:13], s27, v40
	s_nop 0
	v_cndmask_b32_e64 v37, v36, v70, s[10:11]
	v_cndmask_b32_e64 v40, v36, v71, s[12:13]
	v_max3_f32 v35, v35, v37, v40
	v_or_b32_e32 v37, 48, v34
	v_or_b32_e32 v40, 49, v34
	v_cmp_gt_i32_e64 s[6:7], s27, v37
	v_cmp_gt_i32_e64 s[8:9], s27, v40
	s_nop 0
	v_cndmask_b32_e64 v37, v36, v68, s[6:7]
	v_cndmask_b32_e64 v40, v36, v69, s[8:9]
	v_max3_f32 v35, v35, v37, v40
	v_or_b32_e32 v37, 50, v34
	v_or_b32_e32 v34, 51, v34
	v_cmp_gt_i32_e32 vcc, s27, v37
	v_cmp_gt_i32_e64 s[4:5], s27, v34
	global_load_dwordx4 v[46:49], v[38:39], off
	s_nop 0
	global_load_dwordx4 v[38:41], v[38:39], off offset:16
	v_cndmask_b32_e32 v37, v36, v66, vcc
	v_cndmask_b32_e64 v34, v36, v67, s[4:5]
	v_max3_f32 v50, v35, v37, v34
	v_mbcnt_lo_u32_b32 v34, -1, 0
	v_mbcnt_hi_u32_b32 v51, -1, v34
	v_and_b32_e32 v34, 64, v51
	v_add_u32_e32 v52, 64, v34
	v_xor_b32_e32 v34, 32, v51
	v_cmp_lt_i32_e64 s[38:39], v34, v52
	s_nop 1
	v_cndmask_b32_e64 v34, v51, v34, s[38:39]
	v_lshlrev_b32_e32 v87, 2, v34
	ds_bpermute_b32 v53, v87, v50
	v_lshl_add_u64 v[34:35], v[80:81], 0, v[54:55]
	global_load_dwordx4 v[42:45], v[34:35], off
	s_nop 0
	global_load_dwordx4 v[34:37], v[34:35], off offset:16
	s_waitcnt lgkmcnt(0)
	v_max_f32_e32 v53, v53, v53
	v_max_f32_e32 v62, v50, v53
	v_xor_b32_e32 v50, 16, v51
	v_cmp_lt_i32_e64 s[38:39], v50, v52
	s_nop 1
	v_cndmask_b32_e64 v50, v51, v50, s[38:39]
	v_lshlrev_b32_e32 v89, 2, v50
	ds_bpermute_b32 v63, v89, v62
	v_lshl_add_u64 v[50:51], v[80:81], 0, v[56:57]
	global_load_dwordx4 v[54:57], v[50:51], off
	s_nop 0
	global_load_dwordx4 v[50:53], v[50:51], off offset:16
	s_waitcnt lgkmcnt(0)
	v_max_f32_e32 v63, v63, v63
	v_max_f32_e32 v86, v62, v63
	v_sub_f32_e32 v60, v60, v86
	v_mul_f32_e32 v60, 0x3fb8aa3b, v60
	v_exp_f32_e32 v80, v60
	v_sub_f32_e32 v60, v61, v86
	v_mul_f32_e32 v60, 0x3fb8aa3b, v60
	v_exp_f32_e32 v81, v60
	global_load_dwordx4 v[62:65], v[58:59], off
	s_nop 0
	global_load_dwordx4 v[58:61], v[58:59], off offset:16
	v_sub_f32_e32 v78, v78, v86
	v_mul_f32_e32 v78, 0x3fb8aa3b, v78
	v_sub_f32_e32 v79, v79, v86
	v_exp_f32_e32 v78, v78
	v_mul_f32_e32 v79, 0x3fb8aa3b, v79
	v_sub_f32_e32 v76, v76, v86
	v_exp_f32_e32 v79, v79
	v_mul_f32_e32 v76, 0x3fb8aa3b, v76
	v_sub_f32_e32 v77, v77, v86
	v_cndmask_b32_e64 v80, 0, v80, s[28:29]
	v_exp_f32_e32 v76, v76
	v_mul_f32_e32 v77, 0x3fb8aa3b, v77
	v_sub_f32_e32 v74, v74, v86
	v_add_f32_e32 v91, 0, v80
	v_cndmask_b32_e64 v81, 0, v81, s[30:31]
	v_exp_f32_e32 v77, v77
	v_mul_f32_e32 v74, 0x3fb8aa3b, v74
	v_sub_f32_e32 v75, v75, v86
	v_add_f32_e32 v91, v91, v81
	;; [unrolled: 5-line block ×10, first 2 shown]
	v_cndmask_b32_e64 v70, 0, v70, s[10:11]
	v_exp_f32_e32 v66, v66
	v_mul_f32_e32 v67, 0x3fb8aa3b, v67
	v_add_f32_e32 v91, v91, v70
	v_cndmask_b32_e64 v71, 0, v71, s[12:13]
	v_exp_f32_e32 v67, v67
	v_add_f32_e32 v91, v91, v71
	v_cndmask_b32_e64 v68, 0, v68, s[6:7]
	v_add_f32_e32 v91, v91, v68
	v_cndmask_b32_e64 v69, 0, v69, s[8:9]
	v_add_f32_e32 v91, v91, v69
	v_cndmask_b32_e32 v66, 0, v66, vcc
	v_add_f32_e32 v91, v91, v66
	v_cndmask_b32_e64 v67, 0, v67, s[4:5]
	v_add_f32_e32 v91, v91, v67
	ds_bpermute_b32 v87, v87, v91
	s_load_dword s7, s[0:1], 0x98
	v_cmp_gt_u32_e32 vcc, 16, v85
	s_waitcnt lgkmcnt(0)
	s_barrier
	v_add_f32_e32 v87, v91, v87
	ds_bpermute_b32 v89, v89, v87
	s_waitcnt lgkmcnt(0)
	s_and_saveexec_b64 s[4:5], vcc
	s_cbranch_execz .LBB349_17
; %bb.16:
	v_add_f32_e32 v85, v87, v89
	v_lshlrev_b32_e32 v87, 2, v90
	ds_write2st64_b32 v87, v86, v85 offset1:1
.LBB349_17:
	s_or_b64 exec, exec, s[4:5]
	v_lshlrev_b32_e32 v85, 2, v84
	s_load_dword s6, s[0:1], 0x94
	s_waitcnt lgkmcnt(0)
	s_barrier
	ds_read2_b32 v[90:91], v85 offset1:16
	ds_read2_b32 v[92:93], v85 offset0:32 offset1:48
	ds_read2_b32 v[94:95], v85 offset0:64 offset1:80
	s_mul_i32 s7, s7, 6
	s_waitcnt lgkmcnt(2)
	v_max3_f32 v86, v90, s33, v91
	s_waitcnt lgkmcnt(1)
	v_max3_f32 v86, v86, v92, v93
	v_sub_f32_e32 v87, v90, v86
	v_mul_f32_e32 v87, 0x3fb8aa3b, v87
	v_exp_f32_e32 v89, v87
	v_sub_f32_e32 v87, v91, v86
	v_mul_f32_e32 v87, 0x3fb8aa3b, v87
	v_exp_f32_e32 v88, v87
	v_sub_f32_e32 v87, v92, v86
	v_mul_f32_e32 v87, 0x3fb8aa3b, v87
	ds_read2_b32 v[90:91], v85 offset0:96 offset1:112
	v_sub_f32_e32 v85, v93, v86
	v_exp_f32_e32 v92, v87
	v_mul_f32_e32 v85, 0x3fb8aa3b, v85
	v_exp_f32_e32 v85, v85
	s_waitcnt lgkmcnt(1)
	v_fma_f32 v87, v89, v94, 0
	v_fmac_f32_e32 v87, v88, v95
	s_waitcnt lgkmcnt(0)
	v_fmac_f32_e32 v87, v92, v90
	v_fmac_f32_e32 v87, v85, v91
	v_add_f32_e32 v90, 0x358637bd, v87
	v_div_scale_f32 v91, s[4:5], v90, v90, 1.0
	v_rcp_f32_e32 v93, v91
	s_barrier
	v_fma_f32 v94, -v91, v93, 1.0
	v_fmac_f32_e32 v93, v94, v93
	v_div_scale_f32 v94, vcc, 1.0, v90, 1.0
	v_mul_f32_e32 v95, v94, v93
	v_fma_f32 v1, -v91, v95, v94
	v_fmac_f32_e32 v95, v1, v93
	v_fma_f32 v1, -v91, v95, v94
	v_lshrrev_b32_e32 v91, 6, v0
	v_div_fmas_f32 v1, v1, v93, v95
	v_cmp_eq_u32_e32 vcc, 1, v91
	v_div_fixup_f32 v1, v1, v90, 1.0
	s_nop 0
	v_cndmask_b32_e32 v88, v89, v88, vcc
	v_cmp_eq_u32_e32 vcc, 2, v91
	s_nop 1
	v_cndmask_b32_e32 v88, v88, v92, vcc
	v_cmp_eq_u32_e32 vcc, 3, v91
	s_nop 1
	v_cndmask_b32_e32 v85, v88, v85, vcc
	v_mul_f32_e32 v90, v85, v1
	v_pk_mul_f32 v[78:79], v[90:91], v[78:79] op_sel_hi:[0,1]
	v_cvt_f16_f32_e32 v78, v78
	v_cvt_f16_f32_e32 v79, v79
	v_pk_mul_f32 v[80:81], v[90:91], v[80:81] op_sel_hi:[0,1]
	v_cvt_f16_f32_e32 v1, v80
	v_cvt_f16_f32_e32 v80, v81
	v_pk_mul_f32 v[74:75], v[90:91], v[74:75] op_sel_hi:[0,1]
	v_pk_mul_f32 v[76:77], v[90:91], v[76:77] op_sel_hi:[0,1]
	v_pack_b32_f16 v81, v78, v79
	v_cvt_f16_f32_e32 v76, v76
	v_cvt_f16_f32_e32 v77, v77
	;; [unrolled: 1-line block ×4, first 2 shown]
	v_bfe_u32 v88, v0, 4, 2
	v_pack_b32_f16 v80, v1, v80
	v_lshlrev_b32_e32 v1, 3, v88
	v_lshlrev_b32_e32 v78, 5, v84
	;; [unrolled: 1-line block ×3, first 2 shown]
	v_or3_b32 v1, v74, v78, v1
	v_pack_b32_f16 v74, v76, v77
	v_pack_b32_f16 v75, v79, v75
	v_pk_mul_f32 v[70:71], v[90:91], v[70:71] op_sel_hi:[0,1]
	v_pk_mul_f32 v[72:73], v[90:91], v[72:73] op_sel_hi:[0,1]
	v_pk_mul_f32 v[66:67], v[90:91], v[66:67] op_sel_hi:[0,1]
	v_pk_mul_f32 v[68:69], v[90:91], v[68:69] op_sel_hi:[0,1]
	ds_write2st64_b64 v1, v[80:81], v[74:75] offset1:1
	v_cvt_f16_f32_e32 v72, v72
	v_cvt_f16_f32_e32 v73, v73
	v_cvt_f16_f32_e32 v70, v70
	v_cvt_f16_f32_e32 v71, v71
	v_cvt_f16_f32_e32 v68, v68
	v_cvt_f16_f32_e32 v69, v69
	v_cvt_f16_f32_e32 v74, v66
	v_cvt_f16_f32_e32 v75, v67
	v_pack_b32_f16 v66, v72, v73
	v_pack_b32_f16 v67, v70, v71
	;; [unrolled: 1-line block ×4, first 2 shown]
	v_cmp_gt_u32_e32 vcc, 6, v0
	ds_write2st64_b64 v1, v[66:67], v[68:69] offset0:2 offset1:3
	s_and_saveexec_b64 s[4:5], vcc
	s_cbranch_execz .LBB349_19
; %bb.18:
	s_mov_b32 s41, 0
	v_mov_b32_e32 v85, 0
	v_lshl_add_u64 v[66:67], s[40:41], 0, v[84:85]
	v_mov_b32_e32 v68, s7
	v_mad_u64_u32 v[66:67], s[12:13], s2, v68, v[66:67]
	s_mul_i32 s3, s3, s7
	v_mov_b32_e32 v68, s26
	v_mov_b32_e32 v69, v85
	s_load_dwordx4 s[8:11], s[0:1], 0x58
	v_add_u32_e32 v70, s3, v67
	v_mad_u64_u32 v[66:67], s[12:13], v66, s6, v[68:69]
	v_mov_b32_e32 v68, v67
	v_mad_u64_u32 v[68:69], s[12:13], v70, s6, v[68:69]
	v_mov_b32_e32 v67, v68
	v_lshlrev_b64 v[66:67], 2, v[66:67]
	s_waitcnt lgkmcnt(0)
	v_lshl_add_u64 v[68:69], s[10:11], 0, v[66:67]
	v_lshl_add_u64 v[66:67], s[8:9], 0, v[66:67]
	global_store_dword v[68:69], v86, off
	global_store_dword v[66:67], v87, off
.LBB349_19:
	s_or_b64 exec, exec, s[4:5]
	v_lshl_or_b32 v78, v88, 9, v78
	s_waitcnt lgkmcnt(0)
	s_barrier
	ds_read_b128 v[70:73], v78
	ds_read_b128 v[66:69], v78 offset:16
	s_waitcnt vmcnt(15) lgkmcnt(1)
	v_mfma_f32_16x16x16_f16 v[74:77], v[30:31], v[70:71], 0
	s_mov_b32 s3, 0
	v_cmp_gt_u32_e32 vcc, 64, v0
	v_mfma_f32_16x16x16_f16 v[30:33], v[32:33], v[72:73], v[74:77]
	s_waitcnt vmcnt(14) lgkmcnt(0)
	v_mfma_f32_16x16x16_f16 v[30:33], v[26:27], v[66:67], v[30:33]
	v_mfma_f32_16x16x16_f16 v[26:29], v[28:29], v[68:69], v[30:33]
	s_nop 5
	ds_read_b128 v[30:33], v78 offset:2048
	ds_read_b128 v[74:77], v78 offset:2064
	s_waitcnt vmcnt(13) lgkmcnt(1)
	v_mfma_f32_16x16x16_f16 v[26:29], v[22:23], v[30:31], v[26:29]
	v_mfma_f32_16x16x16_f16 v[22:25], v[24:25], v[32:33], v[26:29]
	s_waitcnt vmcnt(12) lgkmcnt(0)
	v_mfma_f32_16x16x16_f16 v[22:25], v[18:19], v[74:75], v[22:25]
	v_mfma_f32_16x16x16_f16 v[18:21], v[20:21], v[76:77], v[22:25]
	s_nop 5
	ds_read_b128 v[22:25], v78 offset:4096
	ds_read_b128 v[26:29], v78 offset:4112
	s_waitcnt vmcnt(11) lgkmcnt(1)
	v_mfma_f32_16x16x16_f16 v[18:21], v[14:15], v[22:23], v[18:21]
	v_mfma_f32_16x16x16_f16 v[14:17], v[16:17], v[24:25], v[18:21]
	s_waitcnt vmcnt(10) lgkmcnt(0)
	v_mfma_f32_16x16x16_f16 v[14:17], v[10:11], v[26:27], v[14:17]
	v_mfma_f32_16x16x16_f16 v[10:13], v[12:13], v[28:29], v[14:17]
	s_nop 5
	ds_read_b128 v[14:17], v78 offset:6144
	ds_read_b128 v[18:21], v78 offset:6160
	s_waitcnt lgkmcnt(0)
	s_barrier
	s_waitcnt vmcnt(9)
	v_mfma_f32_16x16x16_f16 v[10:13], v[6:7], v[14:15], v[10:13]
	v_mfma_f32_16x16x16_f16 v[6:9], v[8:9], v[16:17], v[10:13]
	s_waitcnt vmcnt(8)
	v_mfma_f32_16x16x16_f16 v[6:9], v[2:3], v[18:19], v[6:9]
	v_mfma_f32_16x16x16_f16 v[2:5], v[4:5], v[20:21], v[6:9]
	;; [unrolled: 3-line block ×3, first 2 shown]
	s_nop 3
	v_cvt_f16_f32_e32 v10, v2
	v_cvt_f16_f32_e32 v11, v3
	;; [unrolled: 1-line block ×3, first 2 shown]
	s_waitcnt vmcnt(6)
	v_mfma_f32_16x16x16_f16 v[6:9], v[38:39], v[66:67], v[6:9]
	v_cvt_f16_f32_e32 v13, v5
	v_mfma_f32_16x16x16_f16 v[6:9], v[40:41], v[68:69], v[6:9]
	s_waitcnt vmcnt(5)
	v_mfma_f32_16x16x16_f16 v[6:9], v[42:43], v[30:31], v[6:9]
	v_mfma_f32_16x16x16_f16 v[6:9], v[44:45], v[32:33], v[6:9]
	s_waitcnt vmcnt(4)
	v_mfma_f32_16x16x16_f16 v[6:9], v[34:35], v[74:75], v[6:9]
	;; [unrolled: 3-line block ×6, first 2 shown]
	v_mfma_f32_16x16x16_f16 v[2:5], v[60:61], v[20:21], v[6:9]
	s_nop 6
	v_cvt_f16_f32_e32 v6, v2
	v_cvt_f16_f32_e32 v7, v3
	;; [unrolled: 1-line block ×4, first 2 shown]
	v_pack_b32_f16 v2, v10, v11
	v_pack_b32_f16 v3, v12, v13
	;; [unrolled: 1-line block ×4, first 2 shown]
	ds_write2st64_b64 v1, v[2:3], v[4:5] offset1:1
	s_waitcnt lgkmcnt(0)
	s_barrier
	s_and_saveexec_b64 s[4:5], vcc
	s_cbranch_execz .LBB349_22
; %bb.20:
	s_load_dwordx2 s[4:5], s[0:1], 0x68
	s_lshl_b32 s0, s6, 7
	s_mul_i32 s1, s7, s2
	v_lshlrev_b32_e32 v4, 6, v84
	s_mul_hi_u32 s7, s1, s0
	s_mul_i32 s6, s1, s0
	v_lshlrev_b32_e32 v3, 4, v0
	v_lshl_or_b32 v0, v0, 10, v4
	s_lshl_b64 s[6:7], s[6:7], 1
	v_lshlrev_b32_e32 v1, 5, v88
	v_and_b32_e32 v3, 16, v3
	v_and_b32_e32 v0, 0x1a00, v0
	s_waitcnt lgkmcnt(0)
	s_add_u32 s1, s4, s6
	v_or3_b32 v3, v0, v1, v3
	s_addc_u32 s4, s5, s7
	s_lshl_b32 s2, s26, 7
	s_lshl_b64 s[2:3], s[2:3], 1
	ds_read_b128 v[4:7], v3
	s_add_u32 s2, s1, s2
	s_addc_u32 s3, s4, s3
	v_add_u32_e32 v8, s40, v88
	v_or_b32_e32 v2, 4, v88
	v_lshl_add_u64 v[0:1], v[82:83], 1, s[2:3]
	v_mad_u64_u32 v[8:9], s[2:3], v8, s0, 0
	v_lshl_add_u64 v[8:9], v[8:9], 1, v[0:1]
	v_cmp_gt_u32_e32 vcc, 6, v2
	s_waitcnt lgkmcnt(0)
	global_store_dwordx4 v[8:9], v[4:7], off
	s_and_b64 exec, exec, vcc
	s_cbranch_execz .LBB349_22
; %bb.21:
	ds_read_b128 v[4:7], v3 offset:128
	v_add_u32_e32 v2, s40, v2
	v_mad_u64_u32 v[2:3], s[0:1], v2, s0, 0
	v_lshl_add_u64 v[0:1], v[2:3], 1, v[0:1]
	s_waitcnt lgkmcnt(0)
	global_store_dwordx4 v[0:1], v[4:7], off
.LBB349_22:
	s_endpgm
	.section	.rodata,"a",@progbits
	.p2align	6, 0x0
	.amdhsa_kernel _Z39paged_attention_ll4mi_QKV_mfma16_kernelIDF16_DF16_LN4vllm18Fp8KVCacheDataTypeE0EDF16_Li32ELi128ELi256ELb1ELi6EEvPKT_PKT0_S7_ifPKiS9_S9_iPKfiiiPfSC_PS2_PT2_iSB_SB_
		.amdhsa_group_segment_fixed_size 8192
		.amdhsa_private_segment_fixed_size 0
		.amdhsa_kernarg_size 400
		.amdhsa_user_sgpr_count 2
		.amdhsa_user_sgpr_dispatch_ptr 0
		.amdhsa_user_sgpr_queue_ptr 0
		.amdhsa_user_sgpr_kernarg_segment_ptr 1
		.amdhsa_user_sgpr_dispatch_id 0
		.amdhsa_user_sgpr_kernarg_preload_length 0
		.amdhsa_user_sgpr_kernarg_preload_offset 0
		.amdhsa_user_sgpr_private_segment_size 0
		.amdhsa_uses_dynamic_stack 0
		.amdhsa_enable_private_segment 0
		.amdhsa_system_sgpr_workgroup_id_x 1
		.amdhsa_system_sgpr_workgroup_id_y 1
		.amdhsa_system_sgpr_workgroup_id_z 1
		.amdhsa_system_sgpr_workgroup_info 0
		.amdhsa_system_vgpr_workitem_id 0
		.amdhsa_next_free_vgpr 96
		.amdhsa_next_free_sgpr 42
		.amdhsa_accum_offset 96
		.amdhsa_reserve_vcc 1
		.amdhsa_float_round_mode_32 0
		.amdhsa_float_round_mode_16_64 0
		.amdhsa_float_denorm_mode_32 3
		.amdhsa_float_denorm_mode_16_64 3
		.amdhsa_dx10_clamp 1
		.amdhsa_ieee_mode 1
		.amdhsa_fp16_overflow 0
		.amdhsa_tg_split 0
		.amdhsa_exception_fp_ieee_invalid_op 0
		.amdhsa_exception_fp_denorm_src 0
		.amdhsa_exception_fp_ieee_div_zero 0
		.amdhsa_exception_fp_ieee_overflow 0
		.amdhsa_exception_fp_ieee_underflow 0
		.amdhsa_exception_fp_ieee_inexact 0
		.amdhsa_exception_int_div_zero 0
	.end_amdhsa_kernel
	.section	.text._Z39paged_attention_ll4mi_QKV_mfma16_kernelIDF16_DF16_LN4vllm18Fp8KVCacheDataTypeE0EDF16_Li32ELi128ELi256ELb1ELi6EEvPKT_PKT0_S7_ifPKiS9_S9_iPKfiiiPfSC_PS2_PT2_iSB_SB_,"axG",@progbits,_Z39paged_attention_ll4mi_QKV_mfma16_kernelIDF16_DF16_LN4vllm18Fp8KVCacheDataTypeE0EDF16_Li32ELi128ELi256ELb1ELi6EEvPKT_PKT0_S7_ifPKiS9_S9_iPKfiiiPfSC_PS2_PT2_iSB_SB_,comdat
.Lfunc_end349:
	.size	_Z39paged_attention_ll4mi_QKV_mfma16_kernelIDF16_DF16_LN4vllm18Fp8KVCacheDataTypeE0EDF16_Li32ELi128ELi256ELb1ELi6EEvPKT_PKT0_S7_ifPKiS9_S9_iPKfiiiPfSC_PS2_PT2_iSB_SB_, .Lfunc_end349-_Z39paged_attention_ll4mi_QKV_mfma16_kernelIDF16_DF16_LN4vllm18Fp8KVCacheDataTypeE0EDF16_Li32ELi128ELi256ELb1ELi6EEvPKT_PKT0_S7_ifPKiS9_S9_iPKfiiiPfSC_PS2_PT2_iSB_SB_
                                        ; -- End function
	.section	.AMDGPU.csdata,"",@progbits
; Kernel info:
; codeLenInByte = 4872
; NumSgprs: 48
; NumVgprs: 96
; NumAgprs: 0
; TotalNumVgprs: 96
; ScratchSize: 0
; MemoryBound: 0
; FloatMode: 240
; IeeeMode: 1
; LDSByteSize: 8192 bytes/workgroup (compile time only)
; SGPRBlocks: 5
; VGPRBlocks: 11
; NumSGPRsForWavesPerEU: 48
; NumVGPRsForWavesPerEU: 96
; AccumOffset: 96
; Occupancy: 5
; WaveLimiterHint : 1
; COMPUTE_PGM_RSRC2:SCRATCH_EN: 0
; COMPUTE_PGM_RSRC2:USER_SGPR: 2
; COMPUTE_PGM_RSRC2:TRAP_HANDLER: 0
; COMPUTE_PGM_RSRC2:TGID_X_EN: 1
; COMPUTE_PGM_RSRC2:TGID_Y_EN: 1
; COMPUTE_PGM_RSRC2:TGID_Z_EN: 1
; COMPUTE_PGM_RSRC2:TIDIG_COMP_CNT: 0
; COMPUTE_PGM_RSRC3_GFX90A:ACCUM_OFFSET: 23
; COMPUTE_PGM_RSRC3_GFX90A:TG_SPLIT: 0
	.section	.text._Z39paged_attention_ll4mi_QKV_mfma16_kernelIDF16_DF16_LN4vllm18Fp8KVCacheDataTypeE0EDF16_Li32ELi128ELi256ELb1ELi7EEvPKT_PKT0_S7_ifPKiS9_S9_iPKfiiiPfSC_PS2_PT2_iSB_SB_,"axG",@progbits,_Z39paged_attention_ll4mi_QKV_mfma16_kernelIDF16_DF16_LN4vllm18Fp8KVCacheDataTypeE0EDF16_Li32ELi128ELi256ELb1ELi7EEvPKT_PKT0_S7_ifPKiS9_S9_iPKfiiiPfSC_PS2_PT2_iSB_SB_,comdat
	.protected	_Z39paged_attention_ll4mi_QKV_mfma16_kernelIDF16_DF16_LN4vllm18Fp8KVCacheDataTypeE0EDF16_Li32ELi128ELi256ELb1ELi7EEvPKT_PKT0_S7_ifPKiS9_S9_iPKfiiiPfSC_PS2_PT2_iSB_SB_ ; -- Begin function _Z39paged_attention_ll4mi_QKV_mfma16_kernelIDF16_DF16_LN4vllm18Fp8KVCacheDataTypeE0EDF16_Li32ELi128ELi256ELb1ELi7EEvPKT_PKT0_S7_ifPKiS9_S9_iPKfiiiPfSC_PS2_PT2_iSB_SB_
	.globl	_Z39paged_attention_ll4mi_QKV_mfma16_kernelIDF16_DF16_LN4vllm18Fp8KVCacheDataTypeE0EDF16_Li32ELi128ELi256ELb1ELi7EEvPKT_PKT0_S7_ifPKiS9_S9_iPKfiiiPfSC_PS2_PT2_iSB_SB_
	.p2align	8
	.type	_Z39paged_attention_ll4mi_QKV_mfma16_kernelIDF16_DF16_LN4vllm18Fp8KVCacheDataTypeE0EDF16_Li32ELi128ELi256ELb1ELi7EEvPKT_PKT0_S7_ifPKiS9_S9_iPKfiiiPfSC_PS2_PT2_iSB_SB_,@function
_Z39paged_attention_ll4mi_QKV_mfma16_kernelIDF16_DF16_LN4vllm18Fp8KVCacheDataTypeE0EDF16_Li32ELi128ELi256ELb1ELi7EEvPKT_PKT0_S7_ifPKiS9_S9_iPKfiiiPfSC_PS2_PT2_iSB_SB_: ; @_Z39paged_attention_ll4mi_QKV_mfma16_kernelIDF16_DF16_LN4vllm18Fp8KVCacheDataTypeE0EDF16_Li32ELi128ELi256ELb1ELi7EEvPKT_PKT0_S7_ifPKiS9_S9_iPKfiiiPfSC_PS2_PT2_iSB_SB_
; %bb.0:
	s_load_dwordx2 s[8:9], s[0:1], 0x30
	s_mov_b32 s26, s3
	s_mov_b64 s[6:7], 0
	s_waitcnt lgkmcnt(0)
	s_cmp_lg_u64 s[8:9], 0
	s_cselect_b64 s[10:11], -1, 0
	s_and_b64 vcc, exec, s[10:11]
	s_cbranch_vccz .LBB350_7
; %bb.1:
	s_add_i32 s12, s2, 1
	s_mov_b32 s13, 0
	s_lshl_b64 s[14:15], s[12:13], 2
	s_add_u32 s14, s8, s14
	s_mov_b32 s3, s13
	s_addc_u32 s15, s9, s15
	s_lshl_b64 s[12:13], s[2:3], 2
	s_add_u32 s12, s8, s12
	s_addc_u32 s13, s9, s13
	s_load_dword s5, s[14:15], 0x0
	s_load_dword s16, s[12:13], 0x0
	s_waitcnt lgkmcnt(0)
	s_sub_i32 s5, s5, s16
	s_cmp_eq_u32 s5, 1
	s_cselect_b64 s[12:13], -1, 0
	s_andn2_b64 vcc, exec, s[6:7]
	s_cbranch_vccnz .LBB350_3
.LBB350_2:
	s_mov_b32 s3, 0
	s_mov_b64 s[12:13], -1
.LBB350_3:
	s_andn2_b64 vcc, exec, s[12:13]
	s_cbranch_vccnz .LBB350_22
; %bb.4:
	s_load_dwordx2 s[6:7], s[0:1], 0x28
	s_lshl_b64 s[12:13], s[2:3], 2
	s_waitcnt lgkmcnt(0)
	s_add_u32 s6, s6, s12
	s_addc_u32 s7, s7, s13
	s_load_dword s27, s[6:7], 0x0
	s_lshl_b32 s18, s26, 8
	s_waitcnt lgkmcnt(0)
	s_cmp_ge_i32 s18, s27
	s_cbranch_scc1 .LBB350_22
; %bb.5:
	s_load_dwordx2 s[6:7], s[0:1], 0x20
	s_load_dword s5, s[0:1], 0x38
	s_add_i32 s14, s27, 31
	s_ashr_i32 s15, s14, 31
	v_and_b32_e32 v1, 0xcf, v0
	s_lshr_b32 s15, s15, 27
	v_add_u32_e32 v1, s18, v1
	s_add_i32 s14, s14, s15
	v_ashrrev_i32_e32 v2, 31, v1
	s_ashr_i32 s19, s14, 5
	v_lshrrev_b32_e32 v4, 27, v2
	s_add_i32 s19, s19, -1
	s_waitcnt lgkmcnt(0)
	s_mul_i32 s14, s2, s5
	s_mov_b32 s15, 0
	v_add_u32_e32 v2, v1, v4
	s_lshl_b64 s[14:15], s[14:15], 2
	v_ashrrev_i32_e32 v2, 5, v2
	v_mov_b32_e32 v5, s19
	v_cmp_gt_i32_e32 vcc, s27, v1
	s_add_u32 s6, s6, s14
	s_addc_u32 s7, s7, s15
	v_cndmask_b32_e32 v2, v5, v2, vcc
	v_ashrrev_i32_e32 v3, 31, v2
	v_lshl_add_u64 v[6:7], v[2:3], 2, s[6:7]
	v_or_b32_e32 v2, 16, v1
	v_add_u32_e32 v3, v2, v4
	v_ashrrev_i32_e32 v3, 5, v3
	v_cmp_gt_i32_e32 vcc, s27, v2
	s_nop 1
	v_cndmask_b32_e32 v2, v5, v3, vcc
	v_ashrrev_i32_e32 v3, 31, v2
	v_lshl_add_u64 v[8:9], v[2:3], 2, s[6:7]
	v_or_b32_e32 v2, 32, v1
	v_add_u32_e32 v3, v2, v4
	v_ashrrev_i32_e32 v3, 5, v3
	v_cmp_gt_i32_e32 vcc, s27, v2
	v_or_b32_e32 v1, 48, v1
	s_nop 0
	v_cndmask_b32_e32 v2, v5, v3, vcc
	v_ashrrev_i32_e32 v3, 31, v2
	v_lshl_add_u64 v[10:11], v[2:3], 2, s[6:7]
	v_add_u32_e32 v2, v1, v4
	v_ashrrev_i32_e32 v2, 5, v2
	v_cmp_gt_i32_e32 vcc, s27, v1
	s_nop 1
	v_cndmask_b32_e32 v2, v5, v2, vcc
	v_ashrrev_i32_e32 v3, 31, v2
	v_lshl_add_u64 v[12:13], v[2:3], 2, s[6:7]
	global_load_dword v5, v[6:7], off
	global_load_dword v4, v[8:9], off
	;; [unrolled: 1-line block ×4, first 2 shown]
	s_andn2_b64 vcc, exec, s[10:11]
	s_cbranch_vccnz .LBB350_8
; %bb.6:
	s_add_u32 s8, s8, s12
	s_addc_u32 s9, s9, s13
	s_load_dword s5, s[8:9], 0x0
	s_branch .LBB350_9
.LBB350_7:
	s_mov_b64 s[12:13], 0
	s_branch .LBB350_2
.LBB350_8:
	s_mov_b32 s5, s2
.LBB350_9:
	s_load_dwordx2 s[14:15], s[0:1], 0x8
	s_load_dwordx4 s[8:11], s[0:1], 0x48
	v_lshrrev_b32_e32 v88, 6, v0
	v_bfe_u32 v1, v0, 4, 2
	v_lshl_or_b32 v6, v88, 2, v1
	v_and_b32_e32 v84, 15, v0
	v_lshlrev_b32_e32 v82, 3, v84
	v_cmp_lt_u32_e32 vcc, 6, v6
	s_and_saveexec_b64 s[12:13], vcc
	s_xor_b64 s[12:13], exec, s[12:13]
; %bb.10:
	v_mov_b32_e32 v83, 0
                                        ; implicit-def: $vgpr6
; %bb.11:
	s_or_saveexec_b64 s[16:17], s[12:13]
	s_load_dwordx2 s[12:13], s[0:1], 0x10
	s_mul_i32 s40, s4, 7
	s_xor_b64 exec, exec, s[16:17]
	s_cbranch_execz .LBB350_13
; %bb.12:
	s_load_dwordx2 s[20:21], s[0:1], 0x0
	s_waitcnt lgkmcnt(0)
	s_ashr_i32 s11, s8, 31
	s_mul_hi_u32 s22, s5, s8
	s_mul_i32 s11, s5, s11
	s_add_i32 s23, s22, s11
	s_mul_i32 s22, s5, s8
	s_lshl_b64 s[22:23], s[22:23], 1
	s_add_u32 s20, s20, s22
	v_add_lshl_u32 v8, v6, s40, 7
	s_addc_u32 s21, s21, s23
	v_ashrrev_i32_e32 v9, 31, v8
	v_mov_b32_e32 v83, 0
	v_lshl_add_u64 v[8:9], v[8:9], 1, s[20:21]
	v_lshlrev_b32_e32 v10, 1, v82
	v_mov_b32_e32 v11, v83
	v_lshl_add_u64 v[8:9], v[8:9], 0, v[10:11]
	global_load_dwordx4 v[8:11], v[8:9], off
	v_and_b32_e32 v7, 3, v0
	v_lshlrev_b32_e32 v12, 9, v84
	v_lshlrev_b32_e32 v6, 5, v6
	;; [unrolled: 1-line block ×3, first 2 shown]
	v_and_b32_e32 v12, 0x1800, v12
	v_or3_b32 v6, v12, v7, v6
	s_waitcnt vmcnt(0)
	ds_write_b128 v6, v[8:11]
.LBB350_13:
	s_or_b64 exec, exec, s[16:17]
	s_waitcnt lgkmcnt(0)
	s_mul_i32 s4, s4, s10
	s_mov_b32 s5, 0
	s_lshl_b64 s[4:5], s[4:5], 1
	s_add_u32 s10, s14, s4
	s_addc_u32 s11, s15, s5
	s_waitcnt vmcnt(3)
	v_mad_i64_i32 v[6:7], s[14:15], v5, s9, 0
	v_lshl_add_u64 v[6:7], v[6:7], 1, s[10:11]
	v_lshlrev_b64 v[8:9], 1, v[82:83]
	v_lshlrev_b32_e32 v86, 9, v1
	v_lshl_add_u64 v[6:7], v[6:7], 0, v[8:9]
	v_mov_b32_e32 v87, 0
	v_lshl_add_u64 v[10:11], v[6:7], 0, v[86:87]
	v_or_b32_e32 v14, 0x1000, v86
	v_mov_b32_e32 v15, v87
	v_or_b32_e32 v16, 0x1800, v86
	v_mov_b32_e32 v17, v87
	s_barrier
	global_load_dwordx4 v[66:69], v[10:11], off
	global_load_dwordx4 v[62:65], v[10:11], off offset:2048
	v_lshl_add_u64 v[10:11], v[6:7], 0, v[14:15]
	v_lshl_add_u64 v[6:7], v[6:7], 0, v[16:17]
	global_load_dwordx4 v[78:81], v[10:11], off
	global_load_dwordx4 v[74:77], v[6:7], off
	s_waitcnt vmcnt(6)
	v_mad_i64_i32 v[4:5], s[14:15], v4, s9, 0
	v_mov_b32_e32 v6, 0x100
	v_lshl_add_u64 v[4:5], v[4:5], 1, s[10:11]
	v_lshl_or_b32 v6, v84, 4, v6
	v_mov_b32_e32 v7, v87
	v_lshl_add_u64 v[4:5], v[4:5], 0, v[6:7]
	v_lshl_add_u64 v[10:11], v[4:5], 0, v[86:87]
	global_load_dwordx4 v[70:73], v[10:11], off
	global_load_dwordx4 v[58:61], v[10:11], off offset:2048
	v_lshl_add_u64 v[10:11], v[4:5], 0, v[14:15]
	v_lshl_add_u64 v[4:5], v[4:5], 0, v[16:17]
	global_load_dwordx4 v[54:57], v[10:11], off
	global_load_dwordx4 v[30:33], v[4:5], off
	s_waitcnt vmcnt(9)
	v_mad_i64_i32 v[4:5], s[14:15], v3, s9, 0
	v_lshl_add_u64 v[4:5], v[4:5], 1, s[10:11]
	s_waitcnt vmcnt(8)
	v_mad_i64_i32 v[2:3], s[14:15], v2, s9, 0
	v_lshl_add_u64 v[4:5], v[4:5], 0, v[8:9]
	v_lshl_add_u64 v[2:3], v[2:3], 1, s[10:11]
	;; [unrolled: 1-line block ×4, first 2 shown]
	global_load_dwordx4 v[26:29], v[8:9], off
	global_load_dwordx4 v[22:25], v[8:9], off offset:2048
	v_lshl_add_u64 v[8:9], v[4:5], 0, v[14:15]
	v_lshl_add_u64 v[4:5], v[4:5], 0, v[16:17]
	v_lshl_add_u64 v[2:3], v[34:35], 0, v[86:87]
	v_lshl_add_u64 v[14:15], v[34:35], 0, v[14:15]
	global_load_dwordx4 v[18:21], v[8:9], off
	global_load_dwordx4 v[10:13], v[4:5], off
	s_nop 0
	global_load_dwordx4 v[6:9], v[2:3], off
	s_nop 0
	global_load_dwordx4 v[2:5], v[2:3], off offset:2048
	v_lshl_add_u64 v[16:17], v[34:35], 0, v[16:17]
	global_load_dwordx4 v[38:41], v[14:15], off
	global_load_dwordx4 v[34:37], v[16:17], off
	v_mul_lo_u16_e32 v14, 37, v84
	v_mov_b32_e32 v15, 7
	v_mul_lo_u16_sdwa v14, v14, v15 dst_sel:DWORD dst_unused:UNUSED_PAD src0_sel:BYTE_1 src1_sel:DWORD
	v_sub_u16_e32 v14, v84, v14
	v_and_b32_e32 v14, 0xff, v14
	v_lshl_add_u32 v42, v14, 5, v86
	ds_read_b128 v[14:17], v42
	ds_read_b128 v[50:53], v42 offset:2048
	ds_read_b128 v[46:49], v42 offset:4096
	;; [unrolled: 1-line block ×3, first 2 shown]
	v_and_b32_e32 v85, 63, v0
	v_cmp_gt_u32_e32 vcc, 7, v84
	v_mov_b32_e32 v89, 0
	s_and_saveexec_b64 s[10:11], vcc
	s_cbranch_execz .LBB350_15
; %bb.14:
	s_load_dwordx2 s[14:15], s[0:1], 0x40
	v_add_u32_e32 v90, s40, v84
	v_ashrrev_i32_e32 v91, 31, v90
	s_waitcnt lgkmcnt(0)
	v_lshl_add_u64 v[90:91], v[90:91], 2, s[14:15]
	global_load_dword v89, v[90:91], off
.LBB350_15:
	s_or_b64 exec, exec, s[10:11]
	s_waitcnt vmcnt(15) lgkmcnt(3)
	v_mfma_f32_16x16x16_f16 v[90:93], v[66:67], v[14:15], 0
	s_ashr_i32 s8, s18, 31
	s_lshr_b32 s8, s8, 27
	s_add_u32 s4, s12, s4
	v_mfma_f32_16x16x16_f16 v[66:69], v[68:69], v[16:17], v[90:93]
	s_addc_u32 s5, s13, s5
	s_mov_b32 s33, 0xff7fffff
	s_waitcnt vmcnt(14) lgkmcnt(2)
	v_mfma_f32_16x16x16_f16 v[66:69], v[62:63], v[50:51], v[66:69]
	v_lshl_or_b32 v90, v88, 4, v84
	v_mfma_f32_16x16x16_f16 v[62:65], v[64:65], v[52:53], v[66:69]
	s_waitcnt vmcnt(13) lgkmcnt(1)
	v_mfma_f32_16x16x16_f16 v[62:65], v[78:79], v[46:47], v[62:65]
	v_mfma_f32_16x16x16_f16 v[62:65], v[80:81], v[48:49], v[62:65]
	s_waitcnt vmcnt(12) lgkmcnt(0)
	v_mfma_f32_16x16x16_f16 v[62:65], v[74:75], v[42:43], v[62:65]
	v_and_or_b32 v74, v0, 48, s18
	v_add_u32_e32 v66, s8, v74
	v_ashrrev_i32_e32 v75, 5, v66
	s_waitcnt vmcnt(11)
	v_mfma_f32_16x16x16_f16 v[66:69], v[70:71], v[14:15], 0
	v_cmp_gt_i32_e32 vcc, s27, v74
	v_mfma_f32_16x16x16_f16 v[66:69], v[72:73], v[16:17], v[66:69]
	v_or_b32_e32 v72, 64, v74
	v_add_u32_e32 v73, s8, v72
	s_waitcnt vmcnt(10)
	v_mfma_f32_16x16x16_f16 v[66:69], v[58:59], v[50:51], v[66:69]
	v_ashrrev_i32_e32 v58, 5, v73
	v_mfma_f32_16x16x16_f16 v[62:65], v[76:77], v[44:45], v[62:65]
	v_mov_b32_e32 v76, s19
	v_cndmask_b32_e32 v70, v76, v75, vcc
	v_cmp_gt_i32_e32 vcc, s27, v72
	v_ashrrev_i32_e32 v71, 31, v70
	v_lshl_add_u64 v[70:71], v[70:71], 2, s[6:7]
	v_cndmask_b32_e32 v72, v76, v58, vcc
	v_mfma_f32_16x16x16_f16 v[58:61], v[60:61], v[52:53], v[66:69]
	v_ashrrev_i32_e32 v73, 31, v72
	s_waitcnt vmcnt(9)
	v_mfma_f32_16x16x16_f16 v[58:61], v[54:55], v[46:47], v[58:61]
	v_lshl_add_u64 v[66:67], v[72:73], 2, s[6:7]
	global_load_dword v72, v[70:71], off
	global_load_dword v75, v[66:67], off
	v_or_b32_e32 v66, 0x80, v74
	v_add_u32_e32 v67, s8, v66
	v_mfma_f32_16x16x16_f16 v[54:57], v[56:57], v[48:49], v[58:61]
	v_cmp_gt_i32_e32 vcc, s27, v66
	s_nop 1
	v_ashrrev_i32_e32 v58, 5, v67
	v_cndmask_b32_e32 v58, v76, v58, vcc
	v_ashrrev_i32_e32 v59, 31, v58
	s_waitcnt vmcnt(10)
	v_mfma_f32_16x16x16_f16 v[54:57], v[30:31], v[42:43], v[54:57]
	v_lshl_add_u64 v[30:31], v[58:59], 2, s[6:7]
	global_load_dword v58, v[30:31], off
	v_mfma_f32_16x16x16_f16 v[66:69], v[32:33], v[44:45], v[54:57]
	s_nop 3
	v_or_b32_e32 v54, 0xc0, v74
	v_add_u32_e32 v30, s8, v54
	v_ashrrev_i32_e32 v55, 5, v30
	v_cmp_gt_i32_e32 vcc, s27, v54
	s_waitcnt vmcnt(10)
	v_mfma_f32_16x16x16_f16 v[30:33], v[26:27], v[14:15], 0
	v_cndmask_b32_e32 v26, v76, v55, vcc
	v_ashrrev_i32_e32 v27, 31, v26
	v_lshl_add_u64 v[54:55], v[26:27], 2, s[6:7]
	global_load_dword v59, v[54:55], off
	v_mfma_f32_16x16x16_f16 v[26:29], v[28:29], v[16:17], v[30:33]
	s_load_dword s6, s[0:1], 0x1c
	s_waitcnt lgkmcnt(0)
	v_pk_mul_f32 v[76:77], s[6:7], v[66:67] op_sel_hi:[0,1]
	s_waitcnt vmcnt(10)
	v_mfma_f32_16x16x16_f16 v[26:29], v[22:23], v[50:51], v[26:29]
	v_and_b32_e32 v30, 16, v0
	v_lshlrev_b32_e32 v86, 1, v30
	v_lshl_add_u64 v[60:61], s[4:5], 0, v[86:87]
	v_mfma_f32_16x16x16_f16 v[22:25], v[24:25], v[52:53], v[26:29]
	v_lshlrev_b32_e32 v86, 6, v90
	v_lshl_add_u64 v[70:71], v[60:61], 0, v[86:87]
	v_or_b32_e32 v86, 0x1000, v86
	s_waitcnt vmcnt(9)
	v_mfma_f32_16x16x16_f16 v[22:25], v[18:19], v[46:47], v[22:25]
	v_lshl_add_u64 v[80:81], v[60:61], 0, v[86:87]
	v_pk_mul_f32 v[78:79], s[6:7], v[64:65] op_sel_hi:[0,1]
	v_pk_mul_f32 v[60:61], s[6:7], v[62:63] op_sel_hi:[0,1]
	v_mfma_f32_16x16x16_f16 v[18:21], v[20:21], v[48:49], v[22:25]
	s_waitcnt vmcnt(8)
	v_mfma_f32_16x16x16_f16 v[18:21], v[10:11], v[42:43], v[18:21]
	s_waitcnt vmcnt(3)
	v_mad_i64_i32 v[22:23], s[4:5], v72, s9, 0
	s_waitcnt vmcnt(2)
	v_mad_i64_i32 v[10:11], s[4:5], v75, s9, 0
	v_lshlrev_b64 v[72:73], 1, v[22:23]
	v_lshlrev_b64 v[54:55], 1, v[10:11]
	v_lshl_add_u64 v[22:23], v[70:71], 0, v[72:73]
	v_lshl_add_u64 v[10:11], v[70:71], 0, v[54:55]
	global_load_dwordx4 v[30:33], v[22:23], off
	global_load_dwordx4 v[26:29], v[22:23], off offset:16
	v_mfma_f32_16x16x16_f16 v[92:95], v[12:13], v[44:45], v[18:21]
	global_load_dwordx4 v[22:25], v[10:11], off
	s_nop 1
	global_load_dwordx4 v[18:21], v[10:11], off offset:16
	v_pk_mul_f32 v[74:75], s[6:7], v[68:69] op_sel_hi:[0,1]
	v_mfma_f32_16x16x16_f16 v[10:13], v[6:7], v[14:15], 0
	s_waitcnt vmcnt(5)
	v_mad_i64_i32 v[6:7], s[4:5], v58, s9, 0
	v_lshlrev_b64 v[56:57], 1, v[6:7]
	v_mfma_f32_16x16x16_f16 v[6:9], v[8:9], v[16:17], v[10:13]
	v_mfma_f32_16x16x16_f16 v[6:9], v[2:3], v[50:51], v[6:9]
	s_nop 1
	v_lshl_add_u64 v[10:11], v[70:71], 0, v[56:57]
	global_load_dwordx4 v[14:17], v[10:11], off
	s_nop 0
	global_load_dwordx4 v[10:13], v[10:11], off offset:16
	s_waitcnt vmcnt(6)
	v_mad_i64_i32 v[2:3], s[4:5], v59, s9, 0
	v_mfma_f32_16x16x16_f16 v[50:53], v[4:5], v[52:53], v[6:9]
	v_lshlrev_b64 v[58:59], 1, v[2:3]
	v_lshl_add_u64 v[2:3], v[70:71], 0, v[58:59]
	v_pk_mul_f32 v[70:71], s[6:7], v[94:95] op_sel_hi:[0,1]
	v_mfma_f32_16x16x16_f16 v[50:53], v[38:39], v[46:47], v[50:53]
	v_lshl_add_u64 v[38:39], v[80:81], 0, v[72:73]
	v_pk_mul_f32 v[72:73], s[6:7], v[92:93] op_sel_hi:[0,1]
	v_lshl_add_u64 v[58:59], v[80:81], 0, v[58:59]
	v_mfma_f32_16x16x16_f16 v[46:49], v[40:41], v[48:49], v[50:53]
	global_load_dwordx4 v[6:9], v[2:3], off
	s_nop 0
	global_load_dwordx4 v[2:5], v[2:3], off offset:16
	v_mfma_f32_16x16x16_f16 v[40:43], v[34:35], v[42:43], v[46:49]
	v_mfma_f32_16x16x16_f16 v[34:37], v[36:37], v[44:45], v[40:43]
	s_nop 6
	v_pk_mul_f32 v[68:69], s[6:7], v[34:35] op_sel_hi:[0,1]
	v_and_b32_e32 v34, 0xc0, v0
	v_add_u32_e32 v34, s18, v34
	v_lshl_or_b32 v34, v1, 2, v34
	v_or_b32_e32 v35, 1, v34
	v_pk_mul_f32 v[66:67], s[6:7], v[36:37] op_sel_hi:[0,1]
	v_subrev_u32_e32 v36, s27, v35
	v_add_u32_e32 v40, 1, v36
	v_add_u32_e32 v41, 2, v36
	v_cvt_f32_i32_e32 v37, v36
	v_cvt_f32_i32_e32 v40, v40
	;; [unrolled: 1-line block ×3, first 2 shown]
	v_add_u32_e32 v42, 3, v36
	v_fma_f32 v60, v89, v37, v60
	v_fmac_f32_e32 v61, v89, v40
	v_fma_f32 v78, v89, v41, v78
	v_add_u32_e32 v37, 16, v36
	v_add_u32_e32 v40, 17, v36
	;; [unrolled: 1-line block ×3, first 2 shown]
	v_cvt_f32_i32_e32 v42, v42
	v_cvt_f32_i32_e32 v37, v37
	;; [unrolled: 1-line block ×4, first 2 shown]
	v_fmac_f32_e32 v79, v89, v42
	v_add_u32_e32 v42, 19, v36
	v_fma_f32 v76, v89, v37, v76
	v_fmac_f32_e32 v77, v89, v40
	v_fma_f32 v74, v89, v41, v74
	v_add_u32_e32 v37, 32, v36
	v_add_u32_e32 v40, 33, v36
	;; [unrolled: 1-line block ×3, first 2 shown]
	v_cvt_f32_i32_e32 v42, v42
	v_cvt_f32_i32_e32 v37, v37
	;; [unrolled: 1-line block ×4, first 2 shown]
	v_fmac_f32_e32 v75, v89, v42
	v_add_u32_e32 v42, 35, v36
	v_fma_f32 v72, v89, v37, v72
	v_fmac_f32_e32 v73, v89, v40
	v_fma_f32 v70, v89, v41, v70
	v_add_u32_e32 v37, 48, v36
	v_add_u32_e32 v40, 49, v36
	v_add_u32_e32 v41, 50, v36
	v_add_u32_e32 v36, 51, v36
	v_cvt_f32_i32_e32 v36, v36
	v_cvt_f32_i32_e32 v37, v37
	;; [unrolled: 1-line block ×3, first 2 shown]
	v_cmp_gt_i32_e64 s[28:29], s27, v34
	v_fmac_f32_e32 v67, v89, v36
	v_mov_b32_e32 v36, 0xff7fffff
	v_cmp_gt_i32_e64 s[30:31], s27, v35
	v_fma_f32 v68, v89, v37, v68
	v_cndmask_b32_e64 v37, v36, v60, s[28:29]
	v_cndmask_b32_e64 v35, v36, v61, s[30:31]
	v_fmac_f32_e32 v69, v89, v40
	v_max3_f32 v35, v37, s33, v35
	v_or_b32_e32 v37, 2, v34
	v_or_b32_e32 v40, 3, v34
	v_cmp_gt_i32_e64 s[34:35], s27, v37
	v_cmp_gt_i32_e64 s[36:37], s27, v40
	v_cvt_f32_i32_e32 v42, v42
	v_cndmask_b32_e64 v37, v36, v78, s[34:35]
	v_cndmask_b32_e64 v40, v36, v79, s[36:37]
	v_max3_f32 v35, v35, v37, v40
	v_or_b32_e32 v37, 16, v34
	v_or_b32_e32 v40, 17, v34
	v_cmp_gt_i32_e64 s[22:23], s27, v37
	v_cmp_gt_i32_e64 s[24:25], s27, v40
	v_fmac_f32_e32 v71, v89, v42
	v_cndmask_b32_e64 v37, v36, v76, s[22:23]
	v_cndmask_b32_e64 v40, v36, v77, s[24:25]
	v_max3_f32 v35, v35, v37, v40
	v_or_b32_e32 v37, 18, v34
	v_or_b32_e32 v40, 19, v34
	v_cmp_gt_i32_e64 s[18:19], s27, v37
	v_cmp_gt_i32_e64 s[20:21], s27, v40
	v_cvt_f32_i32_e32 v41, v41
	v_cndmask_b32_e64 v37, v36, v74, s[18:19]
	v_cndmask_b32_e64 v40, v36, v75, s[20:21]
	v_max3_f32 v35, v35, v37, v40
	v_or_b32_e32 v37, 32, v34
	v_or_b32_e32 v40, 33, v34
	v_cmp_gt_i32_e64 s[14:15], s27, v37
	v_cmp_gt_i32_e64 s[16:17], s27, v40
	v_fma_f32 v66, v89, v41, v66
	v_cndmask_b32_e64 v37, v36, v72, s[14:15]
	v_cndmask_b32_e64 v40, v36, v73, s[16:17]
	v_max3_f32 v35, v35, v37, v40
	v_or_b32_e32 v37, 34, v34
	v_or_b32_e32 v40, 35, v34
	v_cmp_gt_i32_e64 s[10:11], s27, v37
	v_cmp_gt_i32_e64 s[12:13], s27, v40
	s_nop 0
	v_cndmask_b32_e64 v37, v36, v70, s[10:11]
	v_cndmask_b32_e64 v40, v36, v71, s[12:13]
	v_max3_f32 v35, v35, v37, v40
	v_or_b32_e32 v37, 48, v34
	v_or_b32_e32 v40, 49, v34
	v_cmp_gt_i32_e64 s[6:7], s27, v37
	v_cmp_gt_i32_e64 s[8:9], s27, v40
	s_nop 0
	v_cndmask_b32_e64 v37, v36, v68, s[6:7]
	v_cndmask_b32_e64 v40, v36, v69, s[8:9]
	v_max3_f32 v35, v35, v37, v40
	v_or_b32_e32 v37, 50, v34
	v_or_b32_e32 v34, 51, v34
	v_cmp_gt_i32_e32 vcc, s27, v37
	v_cmp_gt_i32_e64 s[4:5], s27, v34
	global_load_dwordx4 v[46:49], v[38:39], off
	s_nop 0
	global_load_dwordx4 v[38:41], v[38:39], off offset:16
	v_cndmask_b32_e32 v37, v36, v66, vcc
	v_cndmask_b32_e64 v34, v36, v67, s[4:5]
	v_max3_f32 v50, v35, v37, v34
	v_mbcnt_lo_u32_b32 v34, -1, 0
	v_mbcnt_hi_u32_b32 v51, -1, v34
	v_and_b32_e32 v34, 64, v51
	v_add_u32_e32 v52, 64, v34
	v_xor_b32_e32 v34, 32, v51
	v_cmp_lt_i32_e64 s[38:39], v34, v52
	s_nop 1
	v_cndmask_b32_e64 v34, v51, v34, s[38:39]
	v_lshlrev_b32_e32 v87, 2, v34
	ds_bpermute_b32 v53, v87, v50
	v_lshl_add_u64 v[34:35], v[80:81], 0, v[54:55]
	global_load_dwordx4 v[42:45], v[34:35], off
	s_nop 0
	global_load_dwordx4 v[34:37], v[34:35], off offset:16
	s_waitcnt lgkmcnt(0)
	v_max_f32_e32 v53, v53, v53
	v_max_f32_e32 v62, v50, v53
	v_xor_b32_e32 v50, 16, v51
	v_cmp_lt_i32_e64 s[38:39], v50, v52
	s_nop 1
	v_cndmask_b32_e64 v50, v51, v50, s[38:39]
	v_lshlrev_b32_e32 v89, 2, v50
	ds_bpermute_b32 v63, v89, v62
	v_lshl_add_u64 v[50:51], v[80:81], 0, v[56:57]
	global_load_dwordx4 v[54:57], v[50:51], off
	s_nop 0
	global_load_dwordx4 v[50:53], v[50:51], off offset:16
	s_waitcnt lgkmcnt(0)
	v_max_f32_e32 v63, v63, v63
	v_max_f32_e32 v86, v62, v63
	v_sub_f32_e32 v60, v60, v86
	v_mul_f32_e32 v60, 0x3fb8aa3b, v60
	v_exp_f32_e32 v80, v60
	v_sub_f32_e32 v60, v61, v86
	v_mul_f32_e32 v60, 0x3fb8aa3b, v60
	v_exp_f32_e32 v81, v60
	global_load_dwordx4 v[62:65], v[58:59], off
	s_nop 0
	global_load_dwordx4 v[58:61], v[58:59], off offset:16
	v_sub_f32_e32 v78, v78, v86
	v_mul_f32_e32 v78, 0x3fb8aa3b, v78
	v_sub_f32_e32 v79, v79, v86
	v_exp_f32_e32 v78, v78
	v_mul_f32_e32 v79, 0x3fb8aa3b, v79
	v_sub_f32_e32 v76, v76, v86
	v_exp_f32_e32 v79, v79
	v_mul_f32_e32 v76, 0x3fb8aa3b, v76
	v_sub_f32_e32 v77, v77, v86
	v_cndmask_b32_e64 v80, 0, v80, s[28:29]
	v_exp_f32_e32 v76, v76
	v_mul_f32_e32 v77, 0x3fb8aa3b, v77
	v_sub_f32_e32 v74, v74, v86
	v_add_f32_e32 v91, 0, v80
	v_cndmask_b32_e64 v81, 0, v81, s[30:31]
	v_exp_f32_e32 v77, v77
	v_mul_f32_e32 v74, 0x3fb8aa3b, v74
	v_sub_f32_e32 v75, v75, v86
	v_add_f32_e32 v91, v91, v81
	;; [unrolled: 5-line block ×10, first 2 shown]
	v_cndmask_b32_e64 v70, 0, v70, s[10:11]
	v_exp_f32_e32 v66, v66
	v_mul_f32_e32 v67, 0x3fb8aa3b, v67
	v_add_f32_e32 v91, v91, v70
	v_cndmask_b32_e64 v71, 0, v71, s[12:13]
	v_exp_f32_e32 v67, v67
	v_add_f32_e32 v91, v91, v71
	v_cndmask_b32_e64 v68, 0, v68, s[6:7]
	v_add_f32_e32 v91, v91, v68
	v_cndmask_b32_e64 v69, 0, v69, s[8:9]
	v_add_f32_e32 v91, v91, v69
	v_cndmask_b32_e32 v66, 0, v66, vcc
	v_add_f32_e32 v91, v91, v66
	v_cndmask_b32_e64 v67, 0, v67, s[4:5]
	v_add_f32_e32 v91, v91, v67
	ds_bpermute_b32 v87, v87, v91
	s_load_dword s7, s[0:1], 0x98
	v_cmp_gt_u32_e32 vcc, 16, v85
	s_waitcnt lgkmcnt(0)
	s_barrier
	v_add_f32_e32 v87, v91, v87
	ds_bpermute_b32 v89, v89, v87
	s_waitcnt lgkmcnt(0)
	s_and_saveexec_b64 s[4:5], vcc
	s_cbranch_execz .LBB350_17
; %bb.16:
	v_add_f32_e32 v85, v87, v89
	v_lshlrev_b32_e32 v87, 2, v90
	ds_write2st64_b32 v87, v86, v85 offset1:1
.LBB350_17:
	s_or_b64 exec, exec, s[4:5]
	v_lshlrev_b32_e32 v85, 2, v84
	s_load_dword s6, s[0:1], 0x94
	s_waitcnt lgkmcnt(0)
	s_barrier
	ds_read2_b32 v[90:91], v85 offset1:16
	ds_read2_b32 v[92:93], v85 offset0:32 offset1:48
	ds_read2_b32 v[94:95], v85 offset0:64 offset1:80
	s_mul_i32 s7, s7, 7
	s_waitcnt lgkmcnt(2)
	v_max3_f32 v86, v90, s33, v91
	s_waitcnt lgkmcnt(1)
	v_max3_f32 v86, v86, v92, v93
	v_sub_f32_e32 v87, v90, v86
	v_mul_f32_e32 v87, 0x3fb8aa3b, v87
	v_exp_f32_e32 v89, v87
	v_sub_f32_e32 v87, v91, v86
	v_mul_f32_e32 v87, 0x3fb8aa3b, v87
	v_exp_f32_e32 v88, v87
	v_sub_f32_e32 v87, v92, v86
	v_mul_f32_e32 v87, 0x3fb8aa3b, v87
	ds_read2_b32 v[90:91], v85 offset0:96 offset1:112
	v_sub_f32_e32 v85, v93, v86
	v_exp_f32_e32 v92, v87
	v_mul_f32_e32 v85, 0x3fb8aa3b, v85
	v_exp_f32_e32 v85, v85
	s_waitcnt lgkmcnt(1)
	v_fma_f32 v87, v89, v94, 0
	v_fmac_f32_e32 v87, v88, v95
	s_waitcnt lgkmcnt(0)
	v_fmac_f32_e32 v87, v92, v90
	v_fmac_f32_e32 v87, v85, v91
	v_add_f32_e32 v90, 0x358637bd, v87
	v_div_scale_f32 v91, s[4:5], v90, v90, 1.0
	v_rcp_f32_e32 v93, v91
	s_barrier
	v_fma_f32 v94, -v91, v93, 1.0
	v_fmac_f32_e32 v93, v94, v93
	v_div_scale_f32 v94, vcc, 1.0, v90, 1.0
	v_mul_f32_e32 v95, v94, v93
	v_fma_f32 v1, -v91, v95, v94
	v_fmac_f32_e32 v95, v1, v93
	v_fma_f32 v1, -v91, v95, v94
	v_lshrrev_b32_e32 v91, 6, v0
	v_div_fmas_f32 v1, v1, v93, v95
	v_cmp_eq_u32_e32 vcc, 1, v91
	v_div_fixup_f32 v1, v1, v90, 1.0
	s_nop 0
	v_cndmask_b32_e32 v88, v89, v88, vcc
	v_cmp_eq_u32_e32 vcc, 2, v91
	s_nop 1
	v_cndmask_b32_e32 v88, v88, v92, vcc
	v_cmp_eq_u32_e32 vcc, 3, v91
	s_nop 1
	v_cndmask_b32_e32 v85, v88, v85, vcc
	v_mul_f32_e32 v90, v85, v1
	v_pk_mul_f32 v[78:79], v[90:91], v[78:79] op_sel_hi:[0,1]
	v_cvt_f16_f32_e32 v78, v78
	v_cvt_f16_f32_e32 v79, v79
	v_pk_mul_f32 v[80:81], v[90:91], v[80:81] op_sel_hi:[0,1]
	v_cvt_f16_f32_e32 v1, v80
	v_cvt_f16_f32_e32 v80, v81
	v_pk_mul_f32 v[74:75], v[90:91], v[74:75] op_sel_hi:[0,1]
	v_pk_mul_f32 v[76:77], v[90:91], v[76:77] op_sel_hi:[0,1]
	v_pack_b32_f16 v81, v78, v79
	v_cvt_f16_f32_e32 v76, v76
	v_cvt_f16_f32_e32 v77, v77
	;; [unrolled: 1-line block ×4, first 2 shown]
	v_bfe_u32 v88, v0, 4, 2
	v_pack_b32_f16 v80, v1, v80
	v_lshlrev_b32_e32 v1, 3, v88
	v_lshlrev_b32_e32 v78, 5, v84
	;; [unrolled: 1-line block ×3, first 2 shown]
	v_or3_b32 v1, v74, v78, v1
	v_pack_b32_f16 v74, v76, v77
	v_pack_b32_f16 v75, v79, v75
	v_pk_mul_f32 v[70:71], v[90:91], v[70:71] op_sel_hi:[0,1]
	v_pk_mul_f32 v[72:73], v[90:91], v[72:73] op_sel_hi:[0,1]
	;; [unrolled: 1-line block ×4, first 2 shown]
	ds_write2st64_b64 v1, v[80:81], v[74:75] offset1:1
	v_cvt_f16_f32_e32 v72, v72
	v_cvt_f16_f32_e32 v73, v73
	v_cvt_f16_f32_e32 v70, v70
	v_cvt_f16_f32_e32 v71, v71
	v_cvt_f16_f32_e32 v68, v68
	v_cvt_f16_f32_e32 v69, v69
	v_cvt_f16_f32_e32 v74, v66
	v_cvt_f16_f32_e32 v75, v67
	v_pack_b32_f16 v66, v72, v73
	v_pack_b32_f16 v67, v70, v71
	;; [unrolled: 1-line block ×4, first 2 shown]
	v_cmp_gt_u32_e32 vcc, 7, v0
	ds_write2st64_b64 v1, v[66:67], v[68:69] offset0:2 offset1:3
	s_and_saveexec_b64 s[4:5], vcc
	s_cbranch_execz .LBB350_19
; %bb.18:
	s_mov_b32 s41, 0
	v_mov_b32_e32 v85, 0
	v_lshl_add_u64 v[66:67], s[40:41], 0, v[84:85]
	v_mov_b32_e32 v68, s7
	v_mad_u64_u32 v[66:67], s[12:13], s2, v68, v[66:67]
	s_mul_i32 s3, s3, s7
	v_mov_b32_e32 v68, s26
	v_mov_b32_e32 v69, v85
	s_load_dwordx4 s[8:11], s[0:1], 0x58
	v_add_u32_e32 v70, s3, v67
	v_mad_u64_u32 v[66:67], s[12:13], v66, s6, v[68:69]
	v_mov_b32_e32 v68, v67
	v_mad_u64_u32 v[68:69], s[12:13], v70, s6, v[68:69]
	v_mov_b32_e32 v67, v68
	v_lshlrev_b64 v[66:67], 2, v[66:67]
	s_waitcnt lgkmcnt(0)
	v_lshl_add_u64 v[68:69], s[10:11], 0, v[66:67]
	v_lshl_add_u64 v[66:67], s[8:9], 0, v[66:67]
	global_store_dword v[68:69], v86, off
	global_store_dword v[66:67], v87, off
.LBB350_19:
	s_or_b64 exec, exec, s[4:5]
	v_lshl_or_b32 v78, v88, 9, v78
	s_waitcnt lgkmcnt(0)
	s_barrier
	ds_read_b128 v[70:73], v78
	ds_read_b128 v[66:69], v78 offset:16
	s_waitcnt vmcnt(15) lgkmcnt(1)
	v_mfma_f32_16x16x16_f16 v[74:77], v[30:31], v[70:71], 0
	s_mov_b32 s3, 0
	v_cmp_gt_u32_e32 vcc, 64, v0
	v_mfma_f32_16x16x16_f16 v[30:33], v[32:33], v[72:73], v[74:77]
	s_waitcnt vmcnt(14) lgkmcnt(0)
	v_mfma_f32_16x16x16_f16 v[30:33], v[26:27], v[66:67], v[30:33]
	v_mfma_f32_16x16x16_f16 v[26:29], v[28:29], v[68:69], v[30:33]
	s_nop 5
	ds_read_b128 v[30:33], v78 offset:2048
	ds_read_b128 v[74:77], v78 offset:2064
	s_waitcnt vmcnt(13) lgkmcnt(1)
	v_mfma_f32_16x16x16_f16 v[26:29], v[22:23], v[30:31], v[26:29]
	v_mfma_f32_16x16x16_f16 v[22:25], v[24:25], v[32:33], v[26:29]
	s_waitcnt vmcnt(12) lgkmcnt(0)
	v_mfma_f32_16x16x16_f16 v[22:25], v[18:19], v[74:75], v[22:25]
	v_mfma_f32_16x16x16_f16 v[18:21], v[20:21], v[76:77], v[22:25]
	s_nop 5
	ds_read_b128 v[22:25], v78 offset:4096
	ds_read_b128 v[26:29], v78 offset:4112
	s_waitcnt vmcnt(11) lgkmcnt(1)
	v_mfma_f32_16x16x16_f16 v[18:21], v[14:15], v[22:23], v[18:21]
	v_mfma_f32_16x16x16_f16 v[14:17], v[16:17], v[24:25], v[18:21]
	s_waitcnt vmcnt(10) lgkmcnt(0)
	v_mfma_f32_16x16x16_f16 v[14:17], v[10:11], v[26:27], v[14:17]
	v_mfma_f32_16x16x16_f16 v[10:13], v[12:13], v[28:29], v[14:17]
	s_nop 5
	ds_read_b128 v[14:17], v78 offset:6144
	ds_read_b128 v[18:21], v78 offset:6160
	s_waitcnt lgkmcnt(0)
	s_barrier
	s_waitcnt vmcnt(9)
	v_mfma_f32_16x16x16_f16 v[10:13], v[6:7], v[14:15], v[10:13]
	v_mfma_f32_16x16x16_f16 v[6:9], v[8:9], v[16:17], v[10:13]
	s_waitcnt vmcnt(8)
	v_mfma_f32_16x16x16_f16 v[6:9], v[2:3], v[18:19], v[6:9]
	v_mfma_f32_16x16x16_f16 v[2:5], v[4:5], v[20:21], v[6:9]
	;; [unrolled: 3-line block ×3, first 2 shown]
	s_nop 3
	v_cvt_f16_f32_e32 v10, v2
	v_cvt_f16_f32_e32 v11, v3
	;; [unrolled: 1-line block ×3, first 2 shown]
	s_waitcnt vmcnt(6)
	v_mfma_f32_16x16x16_f16 v[6:9], v[38:39], v[66:67], v[6:9]
	v_cvt_f16_f32_e32 v13, v5
	v_mfma_f32_16x16x16_f16 v[6:9], v[40:41], v[68:69], v[6:9]
	s_waitcnt vmcnt(5)
	v_mfma_f32_16x16x16_f16 v[6:9], v[42:43], v[30:31], v[6:9]
	v_mfma_f32_16x16x16_f16 v[6:9], v[44:45], v[32:33], v[6:9]
	s_waitcnt vmcnt(4)
	v_mfma_f32_16x16x16_f16 v[6:9], v[34:35], v[74:75], v[6:9]
	;; [unrolled: 3-line block ×6, first 2 shown]
	v_mfma_f32_16x16x16_f16 v[2:5], v[60:61], v[20:21], v[6:9]
	s_nop 6
	v_cvt_f16_f32_e32 v6, v2
	v_cvt_f16_f32_e32 v7, v3
	;; [unrolled: 1-line block ×4, first 2 shown]
	v_pack_b32_f16 v2, v10, v11
	v_pack_b32_f16 v3, v12, v13
	;; [unrolled: 1-line block ×4, first 2 shown]
	ds_write2st64_b64 v1, v[2:3], v[4:5] offset1:1
	s_waitcnt lgkmcnt(0)
	s_barrier
	s_and_saveexec_b64 s[4:5], vcc
	s_cbranch_execz .LBB350_22
; %bb.20:
	s_load_dwordx2 s[4:5], s[0:1], 0x68
	s_lshl_b32 s0, s6, 7
	s_mul_i32 s1, s7, s2
	v_lshlrev_b32_e32 v3, 6, v84
	s_mul_hi_u32 s7, s1, s0
	s_mul_i32 s6, s1, s0
	v_lshlrev_b32_e32 v2, 4, v0
	v_lshl_or_b32 v0, v0, 10, v3
	s_lshl_b64 s[6:7], s[6:7], 1
	v_lshlrev_b32_e32 v1, 5, v88
	v_and_b32_e32 v2, 16, v2
	v_and_b32_e32 v0, 0x1a00, v0
	s_waitcnt lgkmcnt(0)
	s_add_u32 s1, s4, s6
	v_or3_b32 v2, v0, v1, v2
	s_addc_u32 s4, s5, s7
	s_lshl_b32 s2, s26, 7
	s_lshl_b64 s[2:3], s[2:3], 1
	ds_read_b128 v[4:7], v2
	s_add_u32 s2, s1, s2
	s_addc_u32 s3, s4, s3
	v_add_u32_e32 v3, s40, v88
	v_lshl_add_u64 v[0:1], v[82:83], 1, s[2:3]
	v_mad_u64_u32 v[8:9], s[2:3], v3, s0, 0
	v_lshl_add_u64 v[8:9], v[8:9], 1, v[0:1]
	v_cmp_ne_u32_e32 vcc, 3, v88
	s_waitcnt lgkmcnt(0)
	global_store_dwordx4 v[8:9], v[4:7], off
	s_and_b64 exec, exec, vcc
	s_cbranch_execz .LBB350_22
; %bb.21:
	ds_read_b128 v[2:5], v2 offset:128
	v_add3_u32 v6, s40, v88, 4
	v_mad_u64_u32 v[6:7], s[0:1], v6, s0, 0
	v_lshl_add_u64 v[0:1], v[6:7], 1, v[0:1]
	s_waitcnt lgkmcnt(0)
	global_store_dwordx4 v[0:1], v[2:5], off
.LBB350_22:
	s_endpgm
	.section	.rodata,"a",@progbits
	.p2align	6, 0x0
	.amdhsa_kernel _Z39paged_attention_ll4mi_QKV_mfma16_kernelIDF16_DF16_LN4vllm18Fp8KVCacheDataTypeE0EDF16_Li32ELi128ELi256ELb1ELi7EEvPKT_PKT0_S7_ifPKiS9_S9_iPKfiiiPfSC_PS2_PT2_iSB_SB_
		.amdhsa_group_segment_fixed_size 8192
		.amdhsa_private_segment_fixed_size 0
		.amdhsa_kernarg_size 400
		.amdhsa_user_sgpr_count 2
		.amdhsa_user_sgpr_dispatch_ptr 0
		.amdhsa_user_sgpr_queue_ptr 0
		.amdhsa_user_sgpr_kernarg_segment_ptr 1
		.amdhsa_user_sgpr_dispatch_id 0
		.amdhsa_user_sgpr_kernarg_preload_length 0
		.amdhsa_user_sgpr_kernarg_preload_offset 0
		.amdhsa_user_sgpr_private_segment_size 0
		.amdhsa_uses_dynamic_stack 0
		.amdhsa_enable_private_segment 0
		.amdhsa_system_sgpr_workgroup_id_x 1
		.amdhsa_system_sgpr_workgroup_id_y 1
		.amdhsa_system_sgpr_workgroup_id_z 1
		.amdhsa_system_sgpr_workgroup_info 0
		.amdhsa_system_vgpr_workitem_id 0
		.amdhsa_next_free_vgpr 96
		.amdhsa_next_free_sgpr 42
		.amdhsa_accum_offset 96
		.amdhsa_reserve_vcc 1
		.amdhsa_float_round_mode_32 0
		.amdhsa_float_round_mode_16_64 0
		.amdhsa_float_denorm_mode_32 3
		.amdhsa_float_denorm_mode_16_64 3
		.amdhsa_dx10_clamp 1
		.amdhsa_ieee_mode 1
		.amdhsa_fp16_overflow 0
		.amdhsa_tg_split 0
		.amdhsa_exception_fp_ieee_invalid_op 0
		.amdhsa_exception_fp_denorm_src 0
		.amdhsa_exception_fp_ieee_div_zero 0
		.amdhsa_exception_fp_ieee_overflow 0
		.amdhsa_exception_fp_ieee_underflow 0
		.amdhsa_exception_fp_ieee_inexact 0
		.amdhsa_exception_int_div_zero 0
	.end_amdhsa_kernel
	.section	.text._Z39paged_attention_ll4mi_QKV_mfma16_kernelIDF16_DF16_LN4vllm18Fp8KVCacheDataTypeE0EDF16_Li32ELi128ELi256ELb1ELi7EEvPKT_PKT0_S7_ifPKiS9_S9_iPKfiiiPfSC_PS2_PT2_iSB_SB_,"axG",@progbits,_Z39paged_attention_ll4mi_QKV_mfma16_kernelIDF16_DF16_LN4vllm18Fp8KVCacheDataTypeE0EDF16_Li32ELi128ELi256ELb1ELi7EEvPKT_PKT0_S7_ifPKiS9_S9_iPKfiiiPfSC_PS2_PT2_iSB_SB_,comdat
.Lfunc_end350:
	.size	_Z39paged_attention_ll4mi_QKV_mfma16_kernelIDF16_DF16_LN4vllm18Fp8KVCacheDataTypeE0EDF16_Li32ELi128ELi256ELb1ELi7EEvPKT_PKT0_S7_ifPKiS9_S9_iPKfiiiPfSC_PS2_PT2_iSB_SB_, .Lfunc_end350-_Z39paged_attention_ll4mi_QKV_mfma16_kernelIDF16_DF16_LN4vllm18Fp8KVCacheDataTypeE0EDF16_Li32ELi128ELi256ELb1ELi7EEvPKT_PKT0_S7_ifPKiS9_S9_iPKfiiiPfSC_PS2_PT2_iSB_SB_
                                        ; -- End function
	.section	.AMDGPU.csdata,"",@progbits
; Kernel info:
; codeLenInByte = 4872
; NumSgprs: 48
; NumVgprs: 96
; NumAgprs: 0
; TotalNumVgprs: 96
; ScratchSize: 0
; MemoryBound: 0
; FloatMode: 240
; IeeeMode: 1
; LDSByteSize: 8192 bytes/workgroup (compile time only)
; SGPRBlocks: 5
; VGPRBlocks: 11
; NumSGPRsForWavesPerEU: 48
; NumVGPRsForWavesPerEU: 96
; AccumOffset: 96
; Occupancy: 5
; WaveLimiterHint : 1
; COMPUTE_PGM_RSRC2:SCRATCH_EN: 0
; COMPUTE_PGM_RSRC2:USER_SGPR: 2
; COMPUTE_PGM_RSRC2:TRAP_HANDLER: 0
; COMPUTE_PGM_RSRC2:TGID_X_EN: 1
; COMPUTE_PGM_RSRC2:TGID_Y_EN: 1
; COMPUTE_PGM_RSRC2:TGID_Z_EN: 1
; COMPUTE_PGM_RSRC2:TIDIG_COMP_CNT: 0
; COMPUTE_PGM_RSRC3_GFX90A:ACCUM_OFFSET: 23
; COMPUTE_PGM_RSRC3_GFX90A:TG_SPLIT: 0
	.section	.text._Z39paged_attention_ll4mi_QKV_mfma16_kernelIDF16_DF16_LN4vllm18Fp8KVCacheDataTypeE0EDF16_Li32ELi128ELi256ELb1ELi8EEvPKT_PKT0_S7_ifPKiS9_S9_iPKfiiiPfSC_PS2_PT2_iSB_SB_,"axG",@progbits,_Z39paged_attention_ll4mi_QKV_mfma16_kernelIDF16_DF16_LN4vllm18Fp8KVCacheDataTypeE0EDF16_Li32ELi128ELi256ELb1ELi8EEvPKT_PKT0_S7_ifPKiS9_S9_iPKfiiiPfSC_PS2_PT2_iSB_SB_,comdat
	.protected	_Z39paged_attention_ll4mi_QKV_mfma16_kernelIDF16_DF16_LN4vllm18Fp8KVCacheDataTypeE0EDF16_Li32ELi128ELi256ELb1ELi8EEvPKT_PKT0_S7_ifPKiS9_S9_iPKfiiiPfSC_PS2_PT2_iSB_SB_ ; -- Begin function _Z39paged_attention_ll4mi_QKV_mfma16_kernelIDF16_DF16_LN4vllm18Fp8KVCacheDataTypeE0EDF16_Li32ELi128ELi256ELb1ELi8EEvPKT_PKT0_S7_ifPKiS9_S9_iPKfiiiPfSC_PS2_PT2_iSB_SB_
	.globl	_Z39paged_attention_ll4mi_QKV_mfma16_kernelIDF16_DF16_LN4vllm18Fp8KVCacheDataTypeE0EDF16_Li32ELi128ELi256ELb1ELi8EEvPKT_PKT0_S7_ifPKiS9_S9_iPKfiiiPfSC_PS2_PT2_iSB_SB_
	.p2align	8
	.type	_Z39paged_attention_ll4mi_QKV_mfma16_kernelIDF16_DF16_LN4vllm18Fp8KVCacheDataTypeE0EDF16_Li32ELi128ELi256ELb1ELi8EEvPKT_PKT0_S7_ifPKiS9_S9_iPKfiiiPfSC_PS2_PT2_iSB_SB_,@function
_Z39paged_attention_ll4mi_QKV_mfma16_kernelIDF16_DF16_LN4vllm18Fp8KVCacheDataTypeE0EDF16_Li32ELi128ELi256ELb1ELi8EEvPKT_PKT0_S7_ifPKiS9_S9_iPKfiiiPfSC_PS2_PT2_iSB_SB_: ; @_Z39paged_attention_ll4mi_QKV_mfma16_kernelIDF16_DF16_LN4vllm18Fp8KVCacheDataTypeE0EDF16_Li32ELi128ELi256ELb1ELi8EEvPKT_PKT0_S7_ifPKiS9_S9_iPKfiiiPfSC_PS2_PT2_iSB_SB_
; %bb.0:
	s_load_dwordx2 s[8:9], s[0:1], 0x30
	s_mov_b32 s26, s3
	s_mov_b64 s[6:7], 0
	s_waitcnt lgkmcnt(0)
	s_cmp_lg_u64 s[8:9], 0
	s_cselect_b64 s[10:11], -1, 0
	s_and_b64 vcc, exec, s[10:11]
	s_cbranch_vccz .LBB351_7
; %bb.1:
	s_add_i32 s12, s2, 1
	s_mov_b32 s13, 0
	s_lshl_b64 s[14:15], s[12:13], 2
	s_add_u32 s14, s8, s14
	s_mov_b32 s3, s13
	s_addc_u32 s15, s9, s15
	s_lshl_b64 s[12:13], s[2:3], 2
	s_add_u32 s12, s8, s12
	s_addc_u32 s13, s9, s13
	s_load_dword s5, s[14:15], 0x0
	s_load_dword s16, s[12:13], 0x0
	s_waitcnt lgkmcnt(0)
	s_sub_i32 s5, s5, s16
	s_cmp_eq_u32 s5, 1
	s_cselect_b64 s[12:13], -1, 0
	s_andn2_b64 vcc, exec, s[6:7]
	s_cbranch_vccnz .LBB351_3
.LBB351_2:
	s_mov_b32 s3, 0
	s_mov_b64 s[12:13], -1
.LBB351_3:
	s_andn2_b64 vcc, exec, s[12:13]
	s_cbranch_vccnz .LBB351_21
; %bb.4:
	s_load_dwordx2 s[6:7], s[0:1], 0x28
	s_lshl_b64 s[12:13], s[2:3], 2
	s_waitcnt lgkmcnt(0)
	s_add_u32 s6, s6, s12
	s_addc_u32 s7, s7, s13
	s_load_dword s33, s[6:7], 0x0
	s_lshl_b32 s18, s26, 8
	s_waitcnt lgkmcnt(0)
	s_cmp_ge_i32 s18, s33
	s_cbranch_scc1 .LBB351_21
; %bb.5:
	s_load_dwordx2 s[6:7], s[0:1], 0x20
	s_load_dword s5, s[0:1], 0x38
	s_add_i32 s14, s33, 31
	s_ashr_i32 s15, s14, 31
	v_and_b32_e32 v1, 0xcf, v0
	s_lshr_b32 s15, s15, 27
	v_add_u32_e32 v1, s18, v1
	s_add_i32 s14, s14, s15
	v_ashrrev_i32_e32 v2, 31, v1
	s_ashr_i32 s19, s14, 5
	v_lshrrev_b32_e32 v4, 27, v2
	s_add_i32 s19, s19, -1
	s_waitcnt lgkmcnt(0)
	s_mul_i32 s14, s2, s5
	s_mov_b32 s15, 0
	v_add_u32_e32 v2, v1, v4
	s_lshl_b64 s[14:15], s[14:15], 2
	v_ashrrev_i32_e32 v2, 5, v2
	v_mov_b32_e32 v5, s19
	v_cmp_gt_i32_e32 vcc, s33, v1
	s_add_u32 s6, s6, s14
	s_addc_u32 s7, s7, s15
	v_cndmask_b32_e32 v2, v5, v2, vcc
	v_ashrrev_i32_e32 v3, 31, v2
	v_lshl_add_u64 v[6:7], v[2:3], 2, s[6:7]
	v_or_b32_e32 v2, 16, v1
	v_add_u32_e32 v3, v2, v4
	v_ashrrev_i32_e32 v3, 5, v3
	v_cmp_gt_i32_e32 vcc, s33, v2
	s_nop 1
	v_cndmask_b32_e32 v2, v5, v3, vcc
	v_ashrrev_i32_e32 v3, 31, v2
	v_lshl_add_u64 v[8:9], v[2:3], 2, s[6:7]
	v_or_b32_e32 v2, 32, v1
	v_add_u32_e32 v3, v2, v4
	v_ashrrev_i32_e32 v3, 5, v3
	v_cmp_gt_i32_e32 vcc, s33, v2
	v_or_b32_e32 v1, 48, v1
	s_nop 0
	v_cndmask_b32_e32 v2, v5, v3, vcc
	v_ashrrev_i32_e32 v3, 31, v2
	v_lshl_add_u64 v[10:11], v[2:3], 2, s[6:7]
	v_add_u32_e32 v2, v1, v4
	v_ashrrev_i32_e32 v2, 5, v2
	v_cmp_gt_i32_e32 vcc, s33, v1
	s_nop 1
	v_cndmask_b32_e32 v2, v5, v2, vcc
	v_ashrrev_i32_e32 v3, 31, v2
	v_lshl_add_u64 v[12:13], v[2:3], 2, s[6:7]
	global_load_dword v5, v[6:7], off
	global_load_dword v4, v[8:9], off
	;; [unrolled: 1-line block ×4, first 2 shown]
	s_andn2_b64 vcc, exec, s[10:11]
	s_cbranch_vccnz .LBB351_8
; %bb.6:
	s_add_u32 s8, s8, s12
	s_addc_u32 s9, s9, s13
	s_load_dword s5, s[8:9], 0x0
	s_branch .LBB351_9
.LBB351_7:
	s_mov_b64 s[12:13], 0
	s_branch .LBB351_2
.LBB351_8:
	s_mov_b32 s5, s2
.LBB351_9:
	s_load_dwordx2 s[14:15], s[0:1], 0x8
	s_load_dwordx4 s[8:11], s[0:1], 0x48
	v_and_b32_e32 v1, 15, v0
	s_waitcnt lgkmcnt(0)
	s_movk_i32 s11, 0x7f
	v_lshlrev_b32_e32 v82, 3, v1
	v_cmp_lt_u32_e32 vcc, s11, v0
	s_and_saveexec_b64 s[12:13], vcc
	s_xor_b64 s[12:13], exec, s[12:13]
; %bb.10:
	v_mov_b32_e32 v83, 0
; %bb.11:
	s_or_saveexec_b64 s[16:17], s[12:13]
	s_load_dwordx2 s[12:13], s[0:1], 0x10
	v_lshrrev_b32_e32 v87, 6, v0
	s_lshl_b32 s27, s4, 3
	v_bfe_u32 v86, v0, 4, 2
	s_xor_b64 exec, exec, s[16:17]
	s_cbranch_execz .LBB351_13
; %bb.12:
	s_load_dwordx2 s[20:21], s[0:1], 0x0
	s_ashr_i32 s11, s8, 31
	s_mul_hi_u32 s22, s5, s8
	s_mul_i32 s11, s5, s11
	s_add_i32 s23, s22, s11
	s_mul_i32 s22, s5, s8
	v_lshl_or_b32 v10, v87, 2, v86
	s_lshl_b64 s[22:23], s[22:23], 1
	s_waitcnt lgkmcnt(0)
	s_add_u32 s20, s20, s22
	v_add_lshl_u32 v6, v10, s27, 7
	s_addc_u32 s21, s21, s23
	v_ashrrev_i32_e32 v7, 31, v6
	v_mov_b32_e32 v83, 0
	v_lshl_add_u64 v[6:7], v[6:7], 1, s[20:21]
	v_lshlrev_b32_e32 v8, 1, v82
	v_mov_b32_e32 v9, v83
	v_lshl_add_u64 v[6:7], v[6:7], 0, v[8:9]
	global_load_dwordx4 v[6:9], v[6:7], off
	v_and_b32_e32 v11, 3, v0
	v_lshlrev_b32_e32 v12, 9, v1
	v_lshlrev_b32_e32 v10, 5, v10
	;; [unrolled: 1-line block ×3, first 2 shown]
	v_and_b32_e32 v12, 0x1800, v12
	v_or3_b32 v10, v12, v11, v10
	s_waitcnt vmcnt(0)
	ds_write_b128 v10, v[6:9]
.LBB351_13:
	s_or_b64 exec, exec, s[16:17]
	s_mul_i32 s4, s4, s10
	s_mov_b32 s5, 0
	s_lshl_b64 s[4:5], s[4:5], 1
	s_add_u32 s10, s14, s4
	s_addc_u32 s11, s15, s5
	s_waitcnt vmcnt(3)
	v_mad_i64_i32 v[6:7], s[14:15], v5, s9, 0
	v_lshl_add_u64 v[6:7], v[6:7], 1, s[10:11]
	v_lshlrev_b64 v[8:9], 1, v[82:83]
	v_lshlrev_b32_e32 v84, 9, v86
	v_lshl_add_u64 v[6:7], v[6:7], 0, v[8:9]
	v_mov_b32_e32 v85, 0
	v_lshl_add_u64 v[10:11], v[6:7], 0, v[84:85]
	v_or_b32_e32 v14, 0x1000, v84
	v_mov_b32_e32 v15, v85
	v_or_b32_e32 v16, 0x1800, v84
	v_mov_b32_e32 v17, v85
	s_waitcnt lgkmcnt(0)
	s_barrier
	global_load_dwordx4 v[66:69], v[10:11], off
	global_load_dwordx4 v[62:65], v[10:11], off offset:2048
	v_lshl_add_u64 v[10:11], v[6:7], 0, v[14:15]
	v_lshl_add_u64 v[6:7], v[6:7], 0, v[16:17]
	global_load_dwordx4 v[78:81], v[10:11], off
	global_load_dwordx4 v[74:77], v[6:7], off
	s_waitcnt vmcnt(6)
	v_mad_i64_i32 v[4:5], s[14:15], v4, s9, 0
	v_mov_b32_e32 v6, 0x100
	v_lshl_add_u64 v[4:5], v[4:5], 1, s[10:11]
	v_lshl_or_b32 v6, v1, 4, v6
	v_mov_b32_e32 v7, v85
	v_lshl_add_u64 v[4:5], v[4:5], 0, v[6:7]
	v_lshl_add_u64 v[10:11], v[4:5], 0, v[84:85]
	global_load_dwordx4 v[70:73], v[10:11], off
	global_load_dwordx4 v[58:61], v[10:11], off offset:2048
	v_lshl_add_u64 v[10:11], v[4:5], 0, v[14:15]
	v_lshl_add_u64 v[4:5], v[4:5], 0, v[16:17]
	global_load_dwordx4 v[54:57], v[10:11], off
	global_load_dwordx4 v[30:33], v[4:5], off
	s_waitcnt vmcnt(9)
	v_mad_i64_i32 v[4:5], s[14:15], v3, s9, 0
	v_lshl_add_u64 v[4:5], v[4:5], 1, s[10:11]
	s_waitcnt vmcnt(8)
	v_mad_i64_i32 v[2:3], s[14:15], v2, s9, 0
	v_lshl_add_u64 v[4:5], v[4:5], 0, v[8:9]
	v_lshl_add_u64 v[2:3], v[2:3], 1, s[10:11]
	;; [unrolled: 1-line block ×4, first 2 shown]
	global_load_dwordx4 v[26:29], v[8:9], off
	global_load_dwordx4 v[22:25], v[8:9], off offset:2048
	v_lshl_add_u64 v[8:9], v[4:5], 0, v[14:15]
	v_lshl_add_u64 v[4:5], v[4:5], 0, v[16:17]
	;; [unrolled: 1-line block ×4, first 2 shown]
	global_load_dwordx4 v[18:21], v[8:9], off
	global_load_dwordx4 v[10:13], v[4:5], off
	s_nop 0
	global_load_dwordx4 v[6:9], v[2:3], off
	s_nop 0
	global_load_dwordx4 v[2:5], v[2:3], off offset:2048
	v_lshl_add_u64 v[16:17], v[34:35], 0, v[16:17]
	global_load_dwordx4 v[42:45], v[14:15], off
	global_load_dwordx4 v[34:37], v[16:17], off
	v_and_b32_e32 v14, 7, v0
	v_lshl_or_b32 v38, v14, 5, v84
	ds_read_b128 v[14:17], v38
	ds_read_b128 v[50:53], v38 offset:2048
	ds_read_b128 v[46:49], v38 offset:4096
	;; [unrolled: 1-line block ×3, first 2 shown]
	v_and_b32_e32 v88, 63, v0
	v_cmp_gt_u32_e32 vcc, 8, v1
	v_mov_b32_e32 v89, 0
	s_and_saveexec_b64 s[10:11], vcc
	s_cbranch_execz .LBB351_15
; %bb.14:
	s_load_dwordx2 s[14:15], s[0:1], 0x40
	v_or_b32_e32 v90, s27, v1
	v_ashrrev_i32_e32 v91, 31, v90
	s_waitcnt lgkmcnt(0)
	v_lshl_add_u64 v[90:91], v[90:91], 2, s[14:15]
	global_load_dword v89, v[90:91], off
.LBB351_15:
	s_or_b64 exec, exec, s[10:11]
	s_waitcnt vmcnt(15) lgkmcnt(3)
	v_mfma_f32_16x16x16_f16 v[90:93], v[66:67], v[14:15], 0
	s_ashr_i32 s8, s18, 31
	s_lshr_b32 s8, s8, 27
	s_add_u32 s4, s12, s4
	v_mfma_f32_16x16x16_f16 v[66:69], v[68:69], v[16:17], v[90:93]
	s_addc_u32 s5, s13, s5
	s_mov_b32 s40, 0xff7fffff
	s_waitcnt vmcnt(14) lgkmcnt(2)
	v_mfma_f32_16x16x16_f16 v[66:69], v[62:63], v[50:51], v[66:69]
	v_lshl_or_b32 v90, v87, 4, v1
	v_mfma_f32_16x16x16_f16 v[62:65], v[64:65], v[52:53], v[66:69]
	s_waitcnt vmcnt(13) lgkmcnt(1)
	v_mfma_f32_16x16x16_f16 v[62:65], v[78:79], v[46:47], v[62:65]
	v_mfma_f32_16x16x16_f16 v[62:65], v[80:81], v[48:49], v[62:65]
	s_waitcnt vmcnt(12) lgkmcnt(0)
	v_mfma_f32_16x16x16_f16 v[62:65], v[74:75], v[38:39], v[62:65]
	v_and_or_b32 v74, v0, 48, s18
	v_add_u32_e32 v66, s8, v74
	v_ashrrev_i32_e32 v75, 5, v66
	s_waitcnt vmcnt(11)
	v_mfma_f32_16x16x16_f16 v[66:69], v[70:71], v[14:15], 0
	v_cmp_gt_i32_e32 vcc, s33, v74
	v_mfma_f32_16x16x16_f16 v[66:69], v[72:73], v[16:17], v[66:69]
	v_or_b32_e32 v72, 64, v74
	v_add_u32_e32 v73, s8, v72
	s_waitcnt vmcnt(10)
	v_mfma_f32_16x16x16_f16 v[66:69], v[58:59], v[50:51], v[66:69]
	v_ashrrev_i32_e32 v58, 5, v73
	v_mfma_f32_16x16x16_f16 v[62:65], v[76:77], v[40:41], v[62:65]
	v_mov_b32_e32 v76, s19
	v_cndmask_b32_e32 v70, v76, v75, vcc
	v_cmp_gt_i32_e32 vcc, s33, v72
	v_ashrrev_i32_e32 v71, 31, v70
	v_lshl_add_u64 v[70:71], v[70:71], 2, s[6:7]
	v_cndmask_b32_e32 v72, v76, v58, vcc
	v_mfma_f32_16x16x16_f16 v[58:61], v[60:61], v[52:53], v[66:69]
	v_ashrrev_i32_e32 v73, 31, v72
	s_waitcnt vmcnt(9)
	v_mfma_f32_16x16x16_f16 v[58:61], v[54:55], v[46:47], v[58:61]
	v_lshl_add_u64 v[66:67], v[72:73], 2, s[6:7]
	global_load_dword v72, v[70:71], off
	global_load_dword v75, v[66:67], off
	v_or_b32_e32 v66, 0x80, v74
	v_add_u32_e32 v67, s8, v66
	v_mfma_f32_16x16x16_f16 v[54:57], v[56:57], v[48:49], v[58:61]
	v_cmp_gt_i32_e32 vcc, s33, v66
	s_nop 1
	v_ashrrev_i32_e32 v58, 5, v67
	v_cndmask_b32_e32 v58, v76, v58, vcc
	v_ashrrev_i32_e32 v59, 31, v58
	s_waitcnt vmcnt(10)
	v_mfma_f32_16x16x16_f16 v[54:57], v[30:31], v[38:39], v[54:57]
	v_lshl_add_u64 v[30:31], v[58:59], 2, s[6:7]
	global_load_dword v58, v[30:31], off
	v_mfma_f32_16x16x16_f16 v[66:69], v[32:33], v[40:41], v[54:57]
	s_nop 3
	v_or_b32_e32 v54, 0xc0, v74
	v_add_u32_e32 v30, s8, v54
	v_ashrrev_i32_e32 v55, 5, v30
	v_cmp_gt_i32_e32 vcc, s33, v54
	s_waitcnt vmcnt(10)
	v_mfma_f32_16x16x16_f16 v[30:33], v[26:27], v[14:15], 0
	v_cndmask_b32_e32 v26, v76, v55, vcc
	v_ashrrev_i32_e32 v27, 31, v26
	v_lshl_add_u64 v[54:55], v[26:27], 2, s[6:7]
	global_load_dword v59, v[54:55], off
	v_mfma_f32_16x16x16_f16 v[26:29], v[28:29], v[16:17], v[30:33]
	s_load_dword s6, s[0:1], 0x1c
	s_waitcnt lgkmcnt(0)
	v_pk_mul_f32 v[76:77], s[6:7], v[66:67] op_sel_hi:[0,1]
	s_waitcnt vmcnt(10)
	v_mfma_f32_16x16x16_f16 v[26:29], v[22:23], v[50:51], v[26:29]
	v_and_b32_e32 v30, 16, v0
	v_lshlrev_b32_e32 v84, 1, v30
	v_lshl_add_u64 v[60:61], s[4:5], 0, v[84:85]
	v_mfma_f32_16x16x16_f16 v[22:25], v[24:25], v[52:53], v[26:29]
	v_lshlrev_b32_e32 v84, 6, v90
	v_lshl_add_u64 v[70:71], v[60:61], 0, v[84:85]
	v_or_b32_e32 v84, 0x1000, v84
	s_waitcnt vmcnt(9)
	v_mfma_f32_16x16x16_f16 v[22:25], v[18:19], v[46:47], v[22:25]
	v_lshl_add_u64 v[80:81], v[60:61], 0, v[84:85]
	v_pk_mul_f32 v[78:79], s[6:7], v[64:65] op_sel_hi:[0,1]
	v_pk_mul_f32 v[60:61], s[6:7], v[62:63] op_sel_hi:[0,1]
	v_mfma_f32_16x16x16_f16 v[18:21], v[20:21], v[48:49], v[22:25]
	s_waitcnt vmcnt(8)
	v_mfma_f32_16x16x16_f16 v[18:21], v[10:11], v[38:39], v[18:21]
	s_waitcnt vmcnt(3)
	v_mad_i64_i32 v[22:23], s[4:5], v72, s9, 0
	s_waitcnt vmcnt(2)
	v_mad_i64_i32 v[10:11], s[4:5], v75, s9, 0
	v_lshlrev_b64 v[72:73], 1, v[22:23]
	v_lshlrev_b64 v[54:55], 1, v[10:11]
	v_lshl_add_u64 v[22:23], v[70:71], 0, v[72:73]
	v_lshl_add_u64 v[10:11], v[70:71], 0, v[54:55]
	global_load_dwordx4 v[30:33], v[22:23], off
	global_load_dwordx4 v[26:29], v[22:23], off offset:16
	v_mfma_f32_16x16x16_f16 v[92:95], v[12:13], v[40:41], v[18:21]
	global_load_dwordx4 v[22:25], v[10:11], off
	s_nop 1
	global_load_dwordx4 v[18:21], v[10:11], off offset:16
	v_pk_mul_f32 v[74:75], s[6:7], v[68:69] op_sel_hi:[0,1]
	v_mfma_f32_16x16x16_f16 v[10:13], v[6:7], v[14:15], 0
	s_waitcnt vmcnt(5)
	v_mad_i64_i32 v[6:7], s[4:5], v58, s9, 0
	v_lshlrev_b64 v[56:57], 1, v[6:7]
	v_mfma_f32_16x16x16_f16 v[6:9], v[8:9], v[16:17], v[10:13]
	v_mfma_f32_16x16x16_f16 v[6:9], v[2:3], v[50:51], v[6:9]
	s_nop 1
	v_lshl_add_u64 v[10:11], v[70:71], 0, v[56:57]
	global_load_dwordx4 v[14:17], v[10:11], off
	s_nop 0
	global_load_dwordx4 v[10:13], v[10:11], off offset:16
	s_waitcnt vmcnt(6)
	v_mad_i64_i32 v[2:3], s[4:5], v59, s9, 0
	v_mfma_f32_16x16x16_f16 v[50:53], v[4:5], v[52:53], v[6:9]
	v_lshlrev_b64 v[58:59], 1, v[2:3]
	v_lshl_add_u64 v[2:3], v[70:71], 0, v[58:59]
	v_pk_mul_f32 v[70:71], s[6:7], v[94:95] op_sel_hi:[0,1]
	v_mfma_f32_16x16x16_f16 v[50:53], v[42:43], v[46:47], v[50:53]
	v_lshl_add_u64 v[42:43], v[80:81], 0, v[72:73]
	v_pk_mul_f32 v[72:73], s[6:7], v[92:93] op_sel_hi:[0,1]
	v_lshl_add_u64 v[58:59], v[80:81], 0, v[58:59]
	v_mfma_f32_16x16x16_f16 v[44:47], v[44:45], v[48:49], v[50:53]
	global_load_dwordx4 v[6:9], v[2:3], off
	s_nop 0
	global_load_dwordx4 v[2:5], v[2:3], off offset:16
	v_mfma_f32_16x16x16_f16 v[44:47], v[34:35], v[38:39], v[44:47]
	v_mfma_f32_16x16x16_f16 v[34:37], v[36:37], v[40:41], v[44:47]
	s_nop 6
	v_pk_mul_f32 v[68:69], s[6:7], v[34:35] op_sel_hi:[0,1]
	v_and_b32_e32 v34, 0xc0, v0
	v_add_u32_e32 v34, s18, v34
	v_lshl_or_b32 v34, v86, 2, v34
	v_or_b32_e32 v35, 1, v34
	v_pk_mul_f32 v[66:67], s[6:7], v[36:37] op_sel_hi:[0,1]
	v_subrev_u32_e32 v36, s33, v35
	v_add_u32_e32 v38, 1, v36
	v_add_u32_e32 v39, 2, v36
	v_cvt_f32_i32_e32 v37, v36
	v_cvt_f32_i32_e32 v38, v38
	;; [unrolled: 1-line block ×3, first 2 shown]
	v_add_u32_e32 v40, 3, v36
	v_fma_f32 v60, v89, v37, v60
	v_fmac_f32_e32 v61, v89, v38
	v_fma_f32 v78, v89, v39, v78
	v_add_u32_e32 v37, 16, v36
	v_add_u32_e32 v38, 17, v36
	;; [unrolled: 1-line block ×3, first 2 shown]
	v_cvt_f32_i32_e32 v40, v40
	v_cvt_f32_i32_e32 v37, v37
	;; [unrolled: 1-line block ×4, first 2 shown]
	v_fmac_f32_e32 v79, v89, v40
	v_add_u32_e32 v40, 19, v36
	v_fma_f32 v76, v89, v37, v76
	v_fmac_f32_e32 v77, v89, v38
	v_fma_f32 v74, v89, v39, v74
	v_add_u32_e32 v37, 32, v36
	v_add_u32_e32 v38, 33, v36
	;; [unrolled: 1-line block ×3, first 2 shown]
	v_cvt_f32_i32_e32 v40, v40
	v_cvt_f32_i32_e32 v37, v37
	;; [unrolled: 1-line block ×4, first 2 shown]
	v_fmac_f32_e32 v75, v89, v40
	v_add_u32_e32 v40, 35, v36
	v_fma_f32 v72, v89, v37, v72
	v_fmac_f32_e32 v73, v89, v38
	v_fma_f32 v70, v89, v39, v70
	v_add_u32_e32 v37, 48, v36
	v_add_u32_e32 v38, 49, v36
	;; [unrolled: 1-line block ×4, first 2 shown]
	v_cvt_f32_i32_e32 v36, v36
	v_cvt_f32_i32_e32 v37, v37
	;; [unrolled: 1-line block ×3, first 2 shown]
	v_cmp_gt_i32_e64 s[28:29], s33, v34
	v_fmac_f32_e32 v67, v89, v36
	v_mov_b32_e32 v36, 0xff7fffff
	v_cmp_gt_i32_e64 s[30:31], s33, v35
	v_fma_f32 v68, v89, v37, v68
	v_cndmask_b32_e64 v37, v36, v60, s[28:29]
	v_cndmask_b32_e64 v35, v36, v61, s[30:31]
	v_fmac_f32_e32 v69, v89, v38
	v_max3_f32 v35, v37, s40, v35
	v_or_b32_e32 v37, 2, v34
	v_or_b32_e32 v38, 3, v34
	v_cmp_gt_i32_e64 s[34:35], s33, v37
	v_cmp_gt_i32_e64 s[36:37], s33, v38
	v_cvt_f32_i32_e32 v40, v40
	v_cndmask_b32_e64 v37, v36, v78, s[34:35]
	v_cndmask_b32_e64 v38, v36, v79, s[36:37]
	v_max3_f32 v35, v35, v37, v38
	v_or_b32_e32 v37, 16, v34
	v_or_b32_e32 v38, 17, v34
	v_cmp_gt_i32_e64 s[22:23], s33, v37
	v_cmp_gt_i32_e64 s[24:25], s33, v38
	v_fmac_f32_e32 v71, v89, v40
	v_cndmask_b32_e64 v37, v36, v76, s[22:23]
	v_cndmask_b32_e64 v38, v36, v77, s[24:25]
	v_max3_f32 v35, v35, v37, v38
	v_or_b32_e32 v37, 18, v34
	v_or_b32_e32 v38, 19, v34
	v_cmp_gt_i32_e64 s[18:19], s33, v37
	v_cmp_gt_i32_e64 s[20:21], s33, v38
	v_cvt_f32_i32_e32 v39, v39
	v_cndmask_b32_e64 v37, v36, v74, s[18:19]
	v_cndmask_b32_e64 v38, v36, v75, s[20:21]
	v_max3_f32 v35, v35, v37, v38
	v_or_b32_e32 v37, 32, v34
	v_or_b32_e32 v38, 33, v34
	v_cmp_gt_i32_e64 s[14:15], s33, v37
	v_cmp_gt_i32_e64 s[16:17], s33, v38
	v_fma_f32 v66, v89, v39, v66
	v_cndmask_b32_e64 v37, v36, v72, s[14:15]
	v_cndmask_b32_e64 v38, v36, v73, s[16:17]
	v_max3_f32 v35, v35, v37, v38
	v_or_b32_e32 v37, 34, v34
	v_or_b32_e32 v38, 35, v34
	v_cmp_gt_i32_e64 s[10:11], s33, v37
	v_cmp_gt_i32_e64 s[12:13], s33, v38
	s_nop 0
	v_cndmask_b32_e64 v37, v36, v70, s[10:11]
	v_cndmask_b32_e64 v38, v36, v71, s[12:13]
	v_max3_f32 v35, v35, v37, v38
	v_or_b32_e32 v37, 48, v34
	v_or_b32_e32 v38, 49, v34
	v_cmp_gt_i32_e64 s[6:7], s33, v37
	v_cmp_gt_i32_e64 s[8:9], s33, v38
	s_nop 0
	v_cndmask_b32_e64 v37, v36, v68, s[6:7]
	v_cndmask_b32_e64 v38, v36, v69, s[8:9]
	v_max3_f32 v35, v35, v37, v38
	v_or_b32_e32 v37, 50, v34
	v_or_b32_e32 v34, 51, v34
	v_cmp_gt_i32_e32 vcc, s33, v37
	v_cmp_gt_i32_e64 s[4:5], s33, v34
	global_load_dwordx4 v[46:49], v[42:43], off
	global_load_dwordx4 v[38:41], v[42:43], off offset:16
	v_cndmask_b32_e32 v37, v36, v66, vcc
	v_cndmask_b32_e64 v34, v36, v67, s[4:5]
	v_max3_f32 v50, v35, v37, v34
	v_mbcnt_lo_u32_b32 v34, -1, 0
	v_mbcnt_hi_u32_b32 v51, -1, v34
	v_and_b32_e32 v34, 64, v51
	v_add_u32_e32 v52, 64, v34
	v_xor_b32_e32 v34, 32, v51
	v_cmp_lt_i32_e64 s[38:39], v34, v52
	s_nop 1
	v_cndmask_b32_e64 v34, v51, v34, s[38:39]
	v_lshlrev_b32_e32 v85, 2, v34
	ds_bpermute_b32 v53, v85, v50
	v_lshl_add_u64 v[34:35], v[80:81], 0, v[54:55]
	global_load_dwordx4 v[42:45], v[34:35], off
	s_nop 0
	global_load_dwordx4 v[34:37], v[34:35], off offset:16
	s_waitcnt lgkmcnt(0)
	v_max_f32_e32 v53, v53, v53
	v_max_f32_e32 v62, v50, v53
	v_xor_b32_e32 v50, 16, v51
	v_cmp_lt_i32_e64 s[38:39], v50, v52
	s_nop 1
	v_cndmask_b32_e64 v50, v51, v50, s[38:39]
	v_lshlrev_b32_e32 v89, 2, v50
	ds_bpermute_b32 v63, v89, v62
	v_lshl_add_u64 v[50:51], v[80:81], 0, v[56:57]
	global_load_dwordx4 v[54:57], v[50:51], off
	s_nop 0
	global_load_dwordx4 v[50:53], v[50:51], off offset:16
	s_waitcnt lgkmcnt(0)
	v_max_f32_e32 v63, v63, v63
	v_max_f32_e32 v84, v62, v63
	v_sub_f32_e32 v60, v60, v84
	v_mul_f32_e32 v60, 0x3fb8aa3b, v60
	v_exp_f32_e32 v80, v60
	v_sub_f32_e32 v60, v61, v84
	v_mul_f32_e32 v60, 0x3fb8aa3b, v60
	v_exp_f32_e32 v81, v60
	global_load_dwordx4 v[62:65], v[58:59], off
	s_nop 0
	global_load_dwordx4 v[58:61], v[58:59], off offset:16
	v_sub_f32_e32 v78, v78, v84
	v_mul_f32_e32 v78, 0x3fb8aa3b, v78
	v_sub_f32_e32 v79, v79, v84
	v_exp_f32_e32 v78, v78
	v_mul_f32_e32 v79, 0x3fb8aa3b, v79
	v_sub_f32_e32 v76, v76, v84
	v_exp_f32_e32 v79, v79
	v_mul_f32_e32 v76, 0x3fb8aa3b, v76
	v_sub_f32_e32 v77, v77, v84
	v_cndmask_b32_e64 v80, 0, v80, s[28:29]
	v_exp_f32_e32 v76, v76
	v_mul_f32_e32 v77, 0x3fb8aa3b, v77
	v_sub_f32_e32 v74, v74, v84
	v_add_f32_e32 v91, 0, v80
	v_cndmask_b32_e64 v81, 0, v81, s[30:31]
	v_exp_f32_e32 v77, v77
	v_mul_f32_e32 v74, 0x3fb8aa3b, v74
	v_sub_f32_e32 v75, v75, v84
	v_add_f32_e32 v91, v91, v81
	;; [unrolled: 5-line block ×10, first 2 shown]
	v_cndmask_b32_e64 v70, 0, v70, s[10:11]
	v_exp_f32_e32 v66, v66
	v_mul_f32_e32 v67, 0x3fb8aa3b, v67
	v_add_f32_e32 v91, v91, v70
	v_cndmask_b32_e64 v71, 0, v71, s[12:13]
	v_exp_f32_e32 v67, v67
	v_add_f32_e32 v91, v91, v71
	v_cndmask_b32_e64 v68, 0, v68, s[6:7]
	v_add_f32_e32 v91, v91, v68
	v_cndmask_b32_e64 v69, 0, v69, s[8:9]
	v_add_f32_e32 v91, v91, v69
	v_cndmask_b32_e32 v66, 0, v66, vcc
	v_add_f32_e32 v91, v91, v66
	v_cndmask_b32_e64 v67, 0, v67, s[4:5]
	v_add_f32_e32 v91, v91, v67
	ds_bpermute_b32 v85, v85, v91
	s_load_dword s7, s[0:1], 0x98
	v_cmp_gt_u32_e32 vcc, 16, v88
	s_waitcnt lgkmcnt(0)
	s_barrier
	v_add_f32_e32 v85, v91, v85
	ds_bpermute_b32 v89, v89, v85
	s_waitcnt lgkmcnt(0)
	s_and_saveexec_b64 s[4:5], vcc
	s_cbranch_execz .LBB351_17
; %bb.16:
	v_add_f32_e32 v85, v85, v89
	v_lshlrev_b32_e32 v88, 2, v90
	ds_write2st64_b32 v88, v84, v85 offset1:1
.LBB351_17:
	s_or_b64 exec, exec, s[4:5]
	v_lshlrev_b32_e32 v85, 2, v1
	s_load_dword s6, s[0:1], 0x94
	s_waitcnt lgkmcnt(0)
	s_barrier
	ds_read2_b32 v[88:89], v85 offset1:16
	ds_read2_b32 v[90:91], v85 offset0:32 offset1:48
	ds_read2_b32 v[92:93], v85 offset0:64 offset1:80
	v_mov_b32_e32 v87, v1
	s_lshl_b32 s7, s7, 3
	s_waitcnt lgkmcnt(2)
	v_max3_f32 v84, v88, s40, v89
	s_waitcnt lgkmcnt(1)
	v_max3_f32 v84, v84, v90, v91
	v_sub_f32_e32 v88, v88, v84
	v_mul_f32_e32 v88, 0x3fb8aa3b, v88
	v_exp_f32_e32 v94, v88
	v_sub_f32_e32 v88, v89, v84
	v_mul_f32_e32 v88, 0x3fb8aa3b, v88
	v_exp_f32_e32 v95, v88
	;; [unrolled: 3-line block ×3, first 2 shown]
	ds_read2_b32 v[88:89], v85 offset0:96 offset1:112
	v_sub_f32_e32 v85, v91, v84
	v_mul_f32_e32 v85, 0x3fb8aa3b, v85
	v_exp_f32_e32 v91, v85
	s_waitcnt lgkmcnt(1)
	v_fma_f32 v85, v94, v92, 0
	v_fmac_f32_e32 v85, v95, v93
	s_waitcnt lgkmcnt(0)
	v_fmac_f32_e32 v85, v90, v88
	v_fmac_f32_e32 v85, v91, v89
	v_add_f32_e32 v88, 0x358637bd, v85
	v_div_scale_f32 v89, s[4:5], v88, v88, 1.0
	v_rcp_f32_e32 v92, v89
	s_barrier
	v_fma_f32 v93, -v89, v92, 1.0
	v_fmac_f32_e32 v92, v93, v92
	v_div_scale_f32 v93, vcc, 1.0, v88, 1.0
	v_mul_f32_e32 v86, v93, v92
	v_fma_f32 v1, -v89, v86, v93
	v_fmac_f32_e32 v86, v1, v92
	v_fma_f32 v1, -v89, v86, v93
	v_lshrrev_b32_e32 v89, 6, v0
	v_div_fmas_f32 v1, v1, v92, v86
	v_cmp_eq_u32_e32 vcc, 1, v89
	v_div_fixup_f32 v1, v1, v88, 1.0
	s_nop 0
	v_cndmask_b32_e32 v86, v94, v95, vcc
	v_cmp_eq_u32_e32 vcc, 2, v89
	s_nop 1
	v_cndmask_b32_e32 v86, v86, v90, vcc
	v_cmp_eq_u32_e32 vcc, 3, v89
	s_nop 1
	v_cndmask_b32_e32 v86, v86, v91, vcc
	v_mul_f32_e32 v88, v86, v1
	v_pk_mul_f32 v[78:79], v[88:89], v[78:79] op_sel_hi:[0,1]
	v_cvt_f16_f32_e32 v78, v78
	v_cvt_f16_f32_e32 v79, v79
	v_pk_mul_f32 v[80:81], v[88:89], v[80:81] op_sel_hi:[0,1]
	v_cvt_f16_f32_e32 v1, v80
	v_cvt_f16_f32_e32 v80, v81
	v_pk_mul_f32 v[74:75], v[88:89], v[74:75] op_sel_hi:[0,1]
	v_pk_mul_f32 v[76:77], v[88:89], v[76:77] op_sel_hi:[0,1]
	v_pack_b32_f16 v81, v78, v79
	v_cvt_f16_f32_e32 v76, v76
	v_cvt_f16_f32_e32 v77, v77
	;; [unrolled: 1-line block ×4, first 2 shown]
	v_mov_b32_e32 v86, v87
	v_bfe_u32 v87, v0, 4, 2
	v_pack_b32_f16 v80, v1, v80
	v_lshlrev_b32_e32 v1, 3, v87
	v_lshlrev_b32_e32 v78, 5, v86
	;; [unrolled: 1-line block ×3, first 2 shown]
	v_pk_mul_f32 v[70:71], v[88:89], v[70:71] op_sel_hi:[0,1]
	v_pk_mul_f32 v[72:73], v[88:89], v[72:73] op_sel_hi:[0,1]
	;; [unrolled: 1-line block ×4, first 2 shown]
	v_or3_b32 v74, v74, v78, v1
	v_pack_b32_f16 v76, v76, v77
	v_pack_b32_f16 v77, v79, v75
	v_cvt_f16_f32_e32 v1, v72
	v_cvt_f16_f32_e32 v72, v73
	v_cvt_f16_f32_e32 v70, v70
	v_cvt_f16_f32_e32 v71, v71
	v_cvt_f16_f32_e32 v68, v68
	v_cvt_f16_f32_e32 v69, v69
	v_cvt_f16_f32_e32 v73, v66
	v_cvt_f16_f32_e32 v75, v67
	v_pack_b32_f16 v66, v1, v72
	v_pack_b32_f16 v67, v70, v71
	;; [unrolled: 1-line block ×4, first 2 shown]
	v_cmp_gt_u32_e32 vcc, 8, v0
	ds_write2st64_b64 v74, v[80:81], v[76:77] offset1:1
	ds_write2st64_b64 v74, v[66:67], v[68:69] offset0:2 offset1:3
	s_and_saveexec_b64 s[4:5], vcc
	s_cbranch_execz .LBB351_19
; %bb.18:
	v_or_b32_e32 v66, s27, v0
	v_mov_b32_e32 v67, 0
	v_mov_b32_e32 v1, s7
	v_mad_u64_u32 v[68:69], s[12:13], s2, v1, v[66:67]
	v_mov_b32_e32 v66, s26
	s_load_dwordx4 s[8:11], s[0:1], 0x58
	s_mul_i32 s3, s3, s7
	v_mad_u64_u32 v[66:67], s[12:13], v68, s6, v[66:67]
	v_add_u32_e32 v1, s3, v69
	v_mov_b32_e32 v68, v67
	v_mad_u64_u32 v[68:69], s[12:13], v1, s6, v[68:69]
	v_mov_b32_e32 v67, v68
	v_lshlrev_b64 v[66:67], 2, v[66:67]
	s_waitcnt lgkmcnt(0)
	v_lshl_add_u64 v[68:69], s[10:11], 0, v[66:67]
	v_lshl_add_u64 v[66:67], s[8:9], 0, v[66:67]
	global_store_dword v[68:69], v84, off
	global_store_dword v[66:67], v85, off
.LBB351_19:
	s_or_b64 exec, exec, s[4:5]
	v_lshl_or_b32 v1, v87, 9, v78
	s_waitcnt lgkmcnt(0)
	s_barrier
	ds_read_b128 v[70:73], v1
	ds_read_b128 v[66:69], v1 offset:16
	s_waitcnt vmcnt(15) lgkmcnt(1)
	v_mfma_f32_16x16x16_f16 v[76:79], v[30:31], v[70:71], 0
	s_mov_b32 s3, 0
	v_cmp_gt_u32_e32 vcc, 64, v0
	v_mfma_f32_16x16x16_f16 v[30:33], v[32:33], v[72:73], v[76:79]
	s_waitcnt vmcnt(14) lgkmcnt(0)
	v_mfma_f32_16x16x16_f16 v[30:33], v[26:27], v[66:67], v[30:33]
	v_mfma_f32_16x16x16_f16 v[26:29], v[28:29], v[68:69], v[30:33]
	s_nop 5
	ds_read_b128 v[30:33], v1 offset:2048
	ds_read_b128 v[76:79], v1 offset:2064
	s_waitcnt vmcnt(13) lgkmcnt(1)
	v_mfma_f32_16x16x16_f16 v[26:29], v[22:23], v[30:31], v[26:29]
	v_mfma_f32_16x16x16_f16 v[22:25], v[24:25], v[32:33], v[26:29]
	s_waitcnt vmcnt(12) lgkmcnt(0)
	v_mfma_f32_16x16x16_f16 v[22:25], v[18:19], v[76:77], v[22:25]
	v_mfma_f32_16x16x16_f16 v[18:21], v[20:21], v[78:79], v[22:25]
	s_nop 5
	ds_read_b128 v[22:25], v1 offset:4096
	ds_read_b128 v[26:29], v1 offset:4112
	s_waitcnt vmcnt(11) lgkmcnt(1)
	v_mfma_f32_16x16x16_f16 v[18:21], v[14:15], v[22:23], v[18:21]
	v_mfma_f32_16x16x16_f16 v[14:17], v[16:17], v[24:25], v[18:21]
	s_waitcnt vmcnt(10) lgkmcnt(0)
	v_mfma_f32_16x16x16_f16 v[14:17], v[10:11], v[26:27], v[14:17]
	v_mfma_f32_16x16x16_f16 v[10:13], v[12:13], v[28:29], v[14:17]
	s_nop 5
	ds_read_b128 v[14:17], v1 offset:6144
	ds_read_b128 v[18:21], v1 offset:6160
	s_waitcnt lgkmcnt(0)
	s_barrier
	s_waitcnt vmcnt(9)
	v_mfma_f32_16x16x16_f16 v[10:13], v[6:7], v[14:15], v[10:13]
	v_mfma_f32_16x16x16_f16 v[6:9], v[8:9], v[16:17], v[10:13]
	s_waitcnt vmcnt(8)
	v_mfma_f32_16x16x16_f16 v[6:9], v[2:3], v[18:19], v[6:9]
	v_mfma_f32_16x16x16_f16 v[2:5], v[4:5], v[20:21], v[6:9]
	;; [unrolled: 3-line block ×3, first 2 shown]
	s_nop 3
	v_cvt_f16_f32_e32 v1, v2
	v_cvt_f16_f32_e32 v10, v3
	;; [unrolled: 1-line block ×3, first 2 shown]
	s_waitcnt vmcnt(6)
	v_mfma_f32_16x16x16_f16 v[6:9], v[38:39], v[66:67], v[6:9]
	v_cvt_f16_f32_e32 v12, v5
	v_mfma_f32_16x16x16_f16 v[6:9], v[40:41], v[68:69], v[6:9]
	s_waitcnt vmcnt(5)
	v_mfma_f32_16x16x16_f16 v[6:9], v[42:43], v[30:31], v[6:9]
	v_mfma_f32_16x16x16_f16 v[6:9], v[44:45], v[32:33], v[6:9]
	s_waitcnt vmcnt(4)
	v_mfma_f32_16x16x16_f16 v[6:9], v[34:35], v[76:77], v[6:9]
	v_mfma_f32_16x16x16_f16 v[6:9], v[36:37], v[78:79], v[6:9]
	s_waitcnt vmcnt(3)
	v_mfma_f32_16x16x16_f16 v[6:9], v[54:55], v[22:23], v[6:9]
	v_mfma_f32_16x16x16_f16 v[6:9], v[56:57], v[24:25], v[6:9]
	s_waitcnt vmcnt(2)
	v_mfma_f32_16x16x16_f16 v[6:9], v[50:51], v[26:27], v[6:9]
	v_mfma_f32_16x16x16_f16 v[6:9], v[52:53], v[28:29], v[6:9]
	s_waitcnt vmcnt(1)
	v_mfma_f32_16x16x16_f16 v[6:9], v[62:63], v[14:15], v[6:9]
	v_mfma_f32_16x16x16_f16 v[6:9], v[64:65], v[16:17], v[6:9]
	s_waitcnt vmcnt(0)
	v_mfma_f32_16x16x16_f16 v[6:9], v[58:59], v[18:19], v[6:9]
	v_mfma_f32_16x16x16_f16 v[2:5], v[60:61], v[20:21], v[6:9]
	s_nop 6
	v_cvt_f16_f32_e32 v6, v2
	v_cvt_f16_f32_e32 v7, v3
	;; [unrolled: 1-line block ×4, first 2 shown]
	v_pack_b32_f16 v2, v1, v10
	v_pack_b32_f16 v3, v11, v12
	;; [unrolled: 1-line block ×4, first 2 shown]
	ds_write2st64_b64 v74, v[2:3], v[4:5] offset1:1
	s_waitcnt lgkmcnt(0)
	s_barrier
	s_and_saveexec_b64 s[4:5], vcc
	s_cbranch_execz .LBB351_21
; %bb.20:
	s_load_dwordx2 s[0:1], s[0:1], 0x68
	s_lshl_b32 s6, s6, 7
	s_mul_i32 s2, s7, s2
	s_mul_hi_u32 s5, s2, s6
	s_mul_i32 s4, s2, s6
	v_lshlrev_b32_e32 v3, 6, v86
	s_lshl_b64 s[4:5], s[4:5], 1
	v_lshlrev_b32_e32 v2, 4, v0
	v_lshl_or_b32 v0, v0, 10, v3
	s_waitcnt lgkmcnt(0)
	s_add_u32 s4, s0, s4
	v_lshlrev_b32_e32 v1, 5, v87
	v_and_b32_e32 v2, 16, v2
	v_and_b32_e32 v0, 0x1a00, v0
	s_addc_u32 s5, s1, s5
	s_lshl_b32 s2, s26, 7
	v_or3_b32 v4, v0, v1, v2
	s_lshl_b64 s[0:1], s[2:3], 1
	ds_read_b128 v[0:3], v4
	ds_read_b128 v[4:7], v4 offset:128
	s_add_u32 s0, s4, s0
	s_addc_u32 s1, s5, s1
	v_or_b32_e32 v12, s27, v87
	v_lshl_add_u64 v[8:9], v[82:83], 1, s[0:1]
	v_mad_u64_u32 v[10:11], s[0:1], v12, s6, 0
	v_lshl_add_u64 v[10:11], v[10:11], 1, v[8:9]
	s_waitcnt lgkmcnt(1)
	global_store_dwordx4 v[10:11], v[0:3], off
	s_nop 1
	v_or_b32_e32 v0, 4, v12
	v_mad_u64_u32 v[0:1], s[0:1], v0, s6, 0
	v_lshl_add_u64 v[0:1], v[0:1], 1, v[8:9]
	s_waitcnt lgkmcnt(0)
	global_store_dwordx4 v[0:1], v[4:7], off
.LBB351_21:
	s_endpgm
	.section	.rodata,"a",@progbits
	.p2align	6, 0x0
	.amdhsa_kernel _Z39paged_attention_ll4mi_QKV_mfma16_kernelIDF16_DF16_LN4vllm18Fp8KVCacheDataTypeE0EDF16_Li32ELi128ELi256ELb1ELi8EEvPKT_PKT0_S7_ifPKiS9_S9_iPKfiiiPfSC_PS2_PT2_iSB_SB_
		.amdhsa_group_segment_fixed_size 8192
		.amdhsa_private_segment_fixed_size 0
		.amdhsa_kernarg_size 400
		.amdhsa_user_sgpr_count 2
		.amdhsa_user_sgpr_dispatch_ptr 0
		.amdhsa_user_sgpr_queue_ptr 0
		.amdhsa_user_sgpr_kernarg_segment_ptr 1
		.amdhsa_user_sgpr_dispatch_id 0
		.amdhsa_user_sgpr_kernarg_preload_length 0
		.amdhsa_user_sgpr_kernarg_preload_offset 0
		.amdhsa_user_sgpr_private_segment_size 0
		.amdhsa_uses_dynamic_stack 0
		.amdhsa_enable_private_segment 0
		.amdhsa_system_sgpr_workgroup_id_x 1
		.amdhsa_system_sgpr_workgroup_id_y 1
		.amdhsa_system_sgpr_workgroup_id_z 1
		.amdhsa_system_sgpr_workgroup_info 0
		.amdhsa_system_vgpr_workitem_id 0
		.amdhsa_next_free_vgpr 96
		.amdhsa_next_free_sgpr 41
		.amdhsa_accum_offset 96
		.amdhsa_reserve_vcc 1
		.amdhsa_float_round_mode_32 0
		.amdhsa_float_round_mode_16_64 0
		.amdhsa_float_denorm_mode_32 3
		.amdhsa_float_denorm_mode_16_64 3
		.amdhsa_dx10_clamp 1
		.amdhsa_ieee_mode 1
		.amdhsa_fp16_overflow 0
		.amdhsa_tg_split 0
		.amdhsa_exception_fp_ieee_invalid_op 0
		.amdhsa_exception_fp_denorm_src 0
		.amdhsa_exception_fp_ieee_div_zero 0
		.amdhsa_exception_fp_ieee_overflow 0
		.amdhsa_exception_fp_ieee_underflow 0
		.amdhsa_exception_fp_ieee_inexact 0
		.amdhsa_exception_int_div_zero 0
	.end_amdhsa_kernel
	.section	.text._Z39paged_attention_ll4mi_QKV_mfma16_kernelIDF16_DF16_LN4vllm18Fp8KVCacheDataTypeE0EDF16_Li32ELi128ELi256ELb1ELi8EEvPKT_PKT0_S7_ifPKiS9_S9_iPKfiiiPfSC_PS2_PT2_iSB_SB_,"axG",@progbits,_Z39paged_attention_ll4mi_QKV_mfma16_kernelIDF16_DF16_LN4vllm18Fp8KVCacheDataTypeE0EDF16_Li32ELi128ELi256ELb1ELi8EEvPKT_PKT0_S7_ifPKiS9_S9_iPKfiiiPfSC_PS2_PT2_iSB_SB_,comdat
.Lfunc_end351:
	.size	_Z39paged_attention_ll4mi_QKV_mfma16_kernelIDF16_DF16_LN4vllm18Fp8KVCacheDataTypeE0EDF16_Li32ELi128ELi256ELb1ELi8EEvPKT_PKT0_S7_ifPKiS9_S9_iPKfiiiPfSC_PS2_PT2_iSB_SB_, .Lfunc_end351-_Z39paged_attention_ll4mi_QKV_mfma16_kernelIDF16_DF16_LN4vllm18Fp8KVCacheDataTypeE0EDF16_Li32ELi128ELi256ELb1ELi8EEvPKT_PKT0_S7_ifPKiS9_S9_iPKfiiiPfSC_PS2_PT2_iSB_SB_
                                        ; -- End function
	.section	.AMDGPU.csdata,"",@progbits
; Kernel info:
; codeLenInByte = 4836
; NumSgprs: 47
; NumVgprs: 96
; NumAgprs: 0
; TotalNumVgprs: 96
; ScratchSize: 0
; MemoryBound: 0
; FloatMode: 240
; IeeeMode: 1
; LDSByteSize: 8192 bytes/workgroup (compile time only)
; SGPRBlocks: 5
; VGPRBlocks: 11
; NumSGPRsForWavesPerEU: 47
; NumVGPRsForWavesPerEU: 96
; AccumOffset: 96
; Occupancy: 5
; WaveLimiterHint : 1
; COMPUTE_PGM_RSRC2:SCRATCH_EN: 0
; COMPUTE_PGM_RSRC2:USER_SGPR: 2
; COMPUTE_PGM_RSRC2:TRAP_HANDLER: 0
; COMPUTE_PGM_RSRC2:TGID_X_EN: 1
; COMPUTE_PGM_RSRC2:TGID_Y_EN: 1
; COMPUTE_PGM_RSRC2:TGID_Z_EN: 1
; COMPUTE_PGM_RSRC2:TIDIG_COMP_CNT: 0
; COMPUTE_PGM_RSRC3_GFX90A:ACCUM_OFFSET: 23
; COMPUTE_PGM_RSRC3_GFX90A:TG_SPLIT: 0
	.section	.text._Z39paged_attention_ll4mi_QKV_mfma16_kernelIDF16_DF16_LN4vllm18Fp8KVCacheDataTypeE0EDF16_Li32ELi128ELi256ELb1ELi9EEvPKT_PKT0_S7_ifPKiS9_S9_iPKfiiiPfSC_PS2_PT2_iSB_SB_,"axG",@progbits,_Z39paged_attention_ll4mi_QKV_mfma16_kernelIDF16_DF16_LN4vllm18Fp8KVCacheDataTypeE0EDF16_Li32ELi128ELi256ELb1ELi9EEvPKT_PKT0_S7_ifPKiS9_S9_iPKfiiiPfSC_PS2_PT2_iSB_SB_,comdat
	.protected	_Z39paged_attention_ll4mi_QKV_mfma16_kernelIDF16_DF16_LN4vllm18Fp8KVCacheDataTypeE0EDF16_Li32ELi128ELi256ELb1ELi9EEvPKT_PKT0_S7_ifPKiS9_S9_iPKfiiiPfSC_PS2_PT2_iSB_SB_ ; -- Begin function _Z39paged_attention_ll4mi_QKV_mfma16_kernelIDF16_DF16_LN4vllm18Fp8KVCacheDataTypeE0EDF16_Li32ELi128ELi256ELb1ELi9EEvPKT_PKT0_S7_ifPKiS9_S9_iPKfiiiPfSC_PS2_PT2_iSB_SB_
	.globl	_Z39paged_attention_ll4mi_QKV_mfma16_kernelIDF16_DF16_LN4vllm18Fp8KVCacheDataTypeE0EDF16_Li32ELi128ELi256ELb1ELi9EEvPKT_PKT0_S7_ifPKiS9_S9_iPKfiiiPfSC_PS2_PT2_iSB_SB_
	.p2align	8
	.type	_Z39paged_attention_ll4mi_QKV_mfma16_kernelIDF16_DF16_LN4vllm18Fp8KVCacheDataTypeE0EDF16_Li32ELi128ELi256ELb1ELi9EEvPKT_PKT0_S7_ifPKiS9_S9_iPKfiiiPfSC_PS2_PT2_iSB_SB_,@function
_Z39paged_attention_ll4mi_QKV_mfma16_kernelIDF16_DF16_LN4vllm18Fp8KVCacheDataTypeE0EDF16_Li32ELi128ELi256ELb1ELi9EEvPKT_PKT0_S7_ifPKiS9_S9_iPKfiiiPfSC_PS2_PT2_iSB_SB_: ; @_Z39paged_attention_ll4mi_QKV_mfma16_kernelIDF16_DF16_LN4vllm18Fp8KVCacheDataTypeE0EDF16_Li32ELi128ELi256ELb1ELi9EEvPKT_PKT0_S7_ifPKiS9_S9_iPKfiiiPfSC_PS2_PT2_iSB_SB_
; %bb.0:
	s_load_dwordx2 s[8:9], s[0:1], 0x30
	s_mov_b32 s26, s3
	s_mov_b64 s[6:7], 0
	s_waitcnt lgkmcnt(0)
	s_cmp_lg_u64 s[8:9], 0
	s_cselect_b64 s[10:11], -1, 0
	s_and_b64 vcc, exec, s[10:11]
	s_cbranch_vccz .LBB352_7
; %bb.1:
	s_add_i32 s12, s2, 1
	s_mov_b32 s13, 0
	s_lshl_b64 s[14:15], s[12:13], 2
	s_add_u32 s14, s8, s14
	s_mov_b32 s3, s13
	s_addc_u32 s15, s9, s15
	s_lshl_b64 s[12:13], s[2:3], 2
	s_add_u32 s12, s8, s12
	s_addc_u32 s13, s9, s13
	s_load_dword s5, s[14:15], 0x0
	s_load_dword s16, s[12:13], 0x0
	s_waitcnt lgkmcnt(0)
	s_sub_i32 s5, s5, s16
	s_cmp_eq_u32 s5, 1
	s_cselect_b64 s[12:13], -1, 0
	s_andn2_b64 vcc, exec, s[6:7]
	s_cbranch_vccnz .LBB352_3
.LBB352_2:
	s_mov_b32 s3, 0
	s_mov_b64 s[12:13], -1
.LBB352_3:
	s_andn2_b64 vcc, exec, s[12:13]
	s_cbranch_vccnz .LBB352_22
; %bb.4:
	s_load_dwordx2 s[6:7], s[0:1], 0x28
	s_lshl_b64 s[12:13], s[2:3], 2
	s_waitcnt lgkmcnt(0)
	s_add_u32 s6, s6, s12
	s_addc_u32 s7, s7, s13
	s_load_dword s27, s[6:7], 0x0
	s_lshl_b32 s18, s26, 8
	s_waitcnt lgkmcnt(0)
	s_cmp_ge_i32 s18, s27
	s_cbranch_scc1 .LBB352_22
; %bb.5:
	s_load_dwordx2 s[6:7], s[0:1], 0x20
	s_load_dword s5, s[0:1], 0x38
	s_add_i32 s14, s27, 31
	s_ashr_i32 s15, s14, 31
	v_and_b32_e32 v1, 0xcf, v0
	s_lshr_b32 s15, s15, 27
	v_add_u32_e32 v1, s18, v1
	s_add_i32 s14, s14, s15
	v_ashrrev_i32_e32 v2, 31, v1
	s_ashr_i32 s19, s14, 5
	v_lshrrev_b32_e32 v4, 27, v2
	s_add_i32 s19, s19, -1
	s_waitcnt lgkmcnt(0)
	s_mul_i32 s14, s2, s5
	s_mov_b32 s15, 0
	v_add_u32_e32 v2, v1, v4
	s_lshl_b64 s[14:15], s[14:15], 2
	v_ashrrev_i32_e32 v2, 5, v2
	v_mov_b32_e32 v5, s19
	v_cmp_gt_i32_e32 vcc, s27, v1
	s_add_u32 s6, s6, s14
	s_addc_u32 s7, s7, s15
	v_cndmask_b32_e32 v2, v5, v2, vcc
	v_ashrrev_i32_e32 v3, 31, v2
	v_lshl_add_u64 v[6:7], v[2:3], 2, s[6:7]
	v_or_b32_e32 v2, 16, v1
	v_add_u32_e32 v3, v2, v4
	v_ashrrev_i32_e32 v3, 5, v3
	v_cmp_gt_i32_e32 vcc, s27, v2
	s_nop 1
	v_cndmask_b32_e32 v2, v5, v3, vcc
	v_ashrrev_i32_e32 v3, 31, v2
	v_lshl_add_u64 v[8:9], v[2:3], 2, s[6:7]
	v_or_b32_e32 v2, 32, v1
	v_add_u32_e32 v3, v2, v4
	v_ashrrev_i32_e32 v3, 5, v3
	v_cmp_gt_i32_e32 vcc, s27, v2
	v_or_b32_e32 v1, 48, v1
	s_nop 0
	v_cndmask_b32_e32 v2, v5, v3, vcc
	v_ashrrev_i32_e32 v3, 31, v2
	v_lshl_add_u64 v[10:11], v[2:3], 2, s[6:7]
	v_add_u32_e32 v2, v1, v4
	v_ashrrev_i32_e32 v2, 5, v2
	v_cmp_gt_i32_e32 vcc, s27, v1
	s_nop 1
	v_cndmask_b32_e32 v2, v5, v2, vcc
	v_ashrrev_i32_e32 v3, 31, v2
	v_lshl_add_u64 v[12:13], v[2:3], 2, s[6:7]
	global_load_dword v5, v[6:7], off
	global_load_dword v4, v[8:9], off
	;; [unrolled: 1-line block ×4, first 2 shown]
	s_andn2_b64 vcc, exec, s[10:11]
	s_cbranch_vccnz .LBB352_8
; %bb.6:
	s_add_u32 s8, s8, s12
	s_addc_u32 s9, s9, s13
	s_load_dword s5, s[8:9], 0x0
	s_branch .LBB352_9
.LBB352_7:
	s_mov_b64 s[12:13], 0
	s_branch .LBB352_2
.LBB352_8:
	s_mov_b32 s5, s2
.LBB352_9:
	s_load_dwordx2 s[14:15], s[0:1], 0x8
	s_load_dwordx4 s[8:11], s[0:1], 0x48
	v_lshrrev_b32_e32 v88, 6, v0
	v_bfe_u32 v1, v0, 4, 2
	v_lshl_or_b32 v6, v88, 2, v1
	v_and_b32_e32 v84, 15, v0
	v_lshlrev_b32_e32 v82, 3, v84
	v_cmp_lt_u32_e32 vcc, 8, v6
	s_and_saveexec_b64 s[12:13], vcc
	s_xor_b64 s[12:13], exec, s[12:13]
; %bb.10:
	v_mov_b32_e32 v83, 0
                                        ; implicit-def: $vgpr6
; %bb.11:
	s_or_saveexec_b64 s[16:17], s[12:13]
	s_load_dwordx2 s[12:13], s[0:1], 0x10
	s_mul_i32 s40, s4, 9
	s_xor_b64 exec, exec, s[16:17]
	s_cbranch_execz .LBB352_13
; %bb.12:
	s_load_dwordx2 s[20:21], s[0:1], 0x0
	s_waitcnt lgkmcnt(0)
	s_ashr_i32 s11, s8, 31
	s_mul_hi_u32 s22, s5, s8
	s_mul_i32 s11, s5, s11
	s_add_i32 s23, s22, s11
	s_mul_i32 s22, s5, s8
	s_lshl_b64 s[22:23], s[22:23], 1
	s_add_u32 s20, s20, s22
	v_add_lshl_u32 v8, v6, s40, 7
	s_addc_u32 s21, s21, s23
	v_ashrrev_i32_e32 v9, 31, v8
	v_mov_b32_e32 v83, 0
	v_lshl_add_u64 v[8:9], v[8:9], 1, s[20:21]
	v_lshlrev_b32_e32 v10, 1, v82
	v_mov_b32_e32 v11, v83
	v_lshl_add_u64 v[8:9], v[8:9], 0, v[10:11]
	global_load_dwordx4 v[8:11], v[8:9], off
	v_and_b32_e32 v7, 3, v0
	v_lshlrev_b32_e32 v12, 9, v84
	v_lshlrev_b32_e32 v6, 5, v6
	;; [unrolled: 1-line block ×3, first 2 shown]
	v_and_b32_e32 v12, 0x1800, v12
	v_or3_b32 v6, v12, v7, v6
	s_waitcnt vmcnt(0)
	ds_write_b128 v6, v[8:11]
.LBB352_13:
	s_or_b64 exec, exec, s[16:17]
	s_waitcnt lgkmcnt(0)
	s_mul_i32 s4, s4, s10
	s_mov_b32 s5, 0
	s_lshl_b64 s[4:5], s[4:5], 1
	s_add_u32 s10, s14, s4
	s_addc_u32 s11, s15, s5
	s_waitcnt vmcnt(3)
	v_mad_i64_i32 v[6:7], s[14:15], v5, s9, 0
	v_lshl_add_u64 v[6:7], v[6:7], 1, s[10:11]
	v_lshlrev_b64 v[8:9], 1, v[82:83]
	v_lshlrev_b32_e32 v86, 9, v1
	v_lshl_add_u64 v[6:7], v[6:7], 0, v[8:9]
	v_mov_b32_e32 v87, 0
	v_lshl_add_u64 v[10:11], v[6:7], 0, v[86:87]
	v_or_b32_e32 v14, 0x1000, v86
	v_mov_b32_e32 v15, v87
	v_or_b32_e32 v16, 0x1800, v86
	v_mov_b32_e32 v17, v87
	s_barrier
	global_load_dwordx4 v[66:69], v[10:11], off
	global_load_dwordx4 v[62:65], v[10:11], off offset:2048
	v_lshl_add_u64 v[10:11], v[6:7], 0, v[14:15]
	v_lshl_add_u64 v[6:7], v[6:7], 0, v[16:17]
	global_load_dwordx4 v[78:81], v[10:11], off
	global_load_dwordx4 v[74:77], v[6:7], off
	s_waitcnt vmcnt(6)
	v_mad_i64_i32 v[4:5], s[14:15], v4, s9, 0
	v_mov_b32_e32 v6, 0x100
	v_lshl_add_u64 v[4:5], v[4:5], 1, s[10:11]
	v_lshl_or_b32 v6, v84, 4, v6
	v_mov_b32_e32 v7, v87
	v_lshl_add_u64 v[4:5], v[4:5], 0, v[6:7]
	v_lshl_add_u64 v[10:11], v[4:5], 0, v[86:87]
	global_load_dwordx4 v[70:73], v[10:11], off
	global_load_dwordx4 v[58:61], v[10:11], off offset:2048
	v_lshl_add_u64 v[10:11], v[4:5], 0, v[14:15]
	v_lshl_add_u64 v[4:5], v[4:5], 0, v[16:17]
	global_load_dwordx4 v[54:57], v[10:11], off
	global_load_dwordx4 v[30:33], v[4:5], off
	s_waitcnt vmcnt(9)
	v_mad_i64_i32 v[4:5], s[14:15], v3, s9, 0
	v_lshl_add_u64 v[4:5], v[4:5], 1, s[10:11]
	s_waitcnt vmcnt(8)
	v_mad_i64_i32 v[2:3], s[14:15], v2, s9, 0
	v_lshl_add_u64 v[4:5], v[4:5], 0, v[8:9]
	v_lshl_add_u64 v[2:3], v[2:3], 1, s[10:11]
	;; [unrolled: 1-line block ×4, first 2 shown]
	global_load_dwordx4 v[26:29], v[8:9], off
	global_load_dwordx4 v[22:25], v[8:9], off offset:2048
	v_lshl_add_u64 v[8:9], v[4:5], 0, v[14:15]
	v_lshl_add_u64 v[4:5], v[4:5], 0, v[16:17]
	;; [unrolled: 1-line block ×4, first 2 shown]
	global_load_dwordx4 v[18:21], v[8:9], off
	global_load_dwordx4 v[10:13], v[4:5], off
	s_nop 0
	global_load_dwordx4 v[6:9], v[2:3], off
	s_nop 0
	global_load_dwordx4 v[2:5], v[2:3], off offset:2048
	v_lshl_add_u64 v[16:17], v[34:35], 0, v[16:17]
	global_load_dwordx4 v[38:41], v[14:15], off
	global_load_dwordx4 v[34:37], v[16:17], off
	v_add_u32_e32 v14, -9, v84
	v_cmp_gt_u32_e32 vcc, 9, v84
	v_and_b32_e32 v85, 63, v0
	v_mov_b32_e32 v89, 0
	v_cndmask_b32_e32 v14, v14, v84, vcc
	v_lshl_add_u32 v42, v14, 5, v86
	ds_read_b128 v[14:17], v42
	ds_read_b128 v[50:53], v42 offset:2048
	ds_read_b128 v[46:49], v42 offset:4096
	;; [unrolled: 1-line block ×3, first 2 shown]
	s_and_saveexec_b64 s[10:11], vcc
	s_cbranch_execz .LBB352_15
; %bb.14:
	s_load_dwordx2 s[14:15], s[0:1], 0x40
	v_add_u32_e32 v90, s40, v84
	v_ashrrev_i32_e32 v91, 31, v90
	s_waitcnt lgkmcnt(0)
	v_lshl_add_u64 v[90:91], v[90:91], 2, s[14:15]
	global_load_dword v89, v[90:91], off
.LBB352_15:
	s_or_b64 exec, exec, s[10:11]
	s_waitcnt vmcnt(15) lgkmcnt(3)
	v_mfma_f32_16x16x16_f16 v[90:93], v[66:67], v[14:15], 0
	s_ashr_i32 s8, s18, 31
	s_lshr_b32 s8, s8, 27
	s_add_u32 s4, s12, s4
	v_mfma_f32_16x16x16_f16 v[66:69], v[68:69], v[16:17], v[90:93]
	s_addc_u32 s5, s13, s5
	s_mov_b32 s33, 0xff7fffff
	s_waitcnt vmcnt(14) lgkmcnt(2)
	v_mfma_f32_16x16x16_f16 v[66:69], v[62:63], v[50:51], v[66:69]
	v_lshl_or_b32 v90, v88, 4, v84
	v_mfma_f32_16x16x16_f16 v[62:65], v[64:65], v[52:53], v[66:69]
	s_waitcnt vmcnt(13) lgkmcnt(1)
	v_mfma_f32_16x16x16_f16 v[62:65], v[78:79], v[46:47], v[62:65]
	v_mfma_f32_16x16x16_f16 v[62:65], v[80:81], v[48:49], v[62:65]
	s_waitcnt vmcnt(12) lgkmcnt(0)
	v_mfma_f32_16x16x16_f16 v[62:65], v[74:75], v[42:43], v[62:65]
	v_and_or_b32 v74, v0, 48, s18
	v_add_u32_e32 v66, s8, v74
	v_ashrrev_i32_e32 v75, 5, v66
	s_waitcnt vmcnt(11)
	v_mfma_f32_16x16x16_f16 v[66:69], v[70:71], v[14:15], 0
	v_cmp_gt_i32_e32 vcc, s27, v74
	v_mfma_f32_16x16x16_f16 v[66:69], v[72:73], v[16:17], v[66:69]
	v_or_b32_e32 v72, 64, v74
	v_add_u32_e32 v73, s8, v72
	s_waitcnt vmcnt(10)
	v_mfma_f32_16x16x16_f16 v[66:69], v[58:59], v[50:51], v[66:69]
	v_ashrrev_i32_e32 v58, 5, v73
	v_mfma_f32_16x16x16_f16 v[62:65], v[76:77], v[44:45], v[62:65]
	v_mov_b32_e32 v76, s19
	v_cndmask_b32_e32 v70, v76, v75, vcc
	v_cmp_gt_i32_e32 vcc, s27, v72
	v_ashrrev_i32_e32 v71, 31, v70
	v_lshl_add_u64 v[70:71], v[70:71], 2, s[6:7]
	v_cndmask_b32_e32 v72, v76, v58, vcc
	v_mfma_f32_16x16x16_f16 v[58:61], v[60:61], v[52:53], v[66:69]
	v_ashrrev_i32_e32 v73, 31, v72
	s_waitcnt vmcnt(9)
	v_mfma_f32_16x16x16_f16 v[58:61], v[54:55], v[46:47], v[58:61]
	v_lshl_add_u64 v[66:67], v[72:73], 2, s[6:7]
	global_load_dword v72, v[70:71], off
	global_load_dword v75, v[66:67], off
	v_or_b32_e32 v66, 0x80, v74
	v_add_u32_e32 v67, s8, v66
	v_mfma_f32_16x16x16_f16 v[54:57], v[56:57], v[48:49], v[58:61]
	v_cmp_gt_i32_e32 vcc, s27, v66
	s_nop 1
	v_ashrrev_i32_e32 v58, 5, v67
	v_cndmask_b32_e32 v58, v76, v58, vcc
	v_ashrrev_i32_e32 v59, 31, v58
	s_waitcnt vmcnt(10)
	v_mfma_f32_16x16x16_f16 v[54:57], v[30:31], v[42:43], v[54:57]
	v_lshl_add_u64 v[30:31], v[58:59], 2, s[6:7]
	global_load_dword v58, v[30:31], off
	v_mfma_f32_16x16x16_f16 v[66:69], v[32:33], v[44:45], v[54:57]
	s_nop 3
	v_or_b32_e32 v54, 0xc0, v74
	v_add_u32_e32 v30, s8, v54
	v_ashrrev_i32_e32 v55, 5, v30
	v_cmp_gt_i32_e32 vcc, s27, v54
	s_waitcnt vmcnt(10)
	v_mfma_f32_16x16x16_f16 v[30:33], v[26:27], v[14:15], 0
	v_cndmask_b32_e32 v26, v76, v55, vcc
	v_ashrrev_i32_e32 v27, 31, v26
	v_lshl_add_u64 v[54:55], v[26:27], 2, s[6:7]
	global_load_dword v59, v[54:55], off
	v_mfma_f32_16x16x16_f16 v[26:29], v[28:29], v[16:17], v[30:33]
	s_load_dword s6, s[0:1], 0x1c
	s_waitcnt lgkmcnt(0)
	v_pk_mul_f32 v[76:77], s[6:7], v[66:67] op_sel_hi:[0,1]
	s_waitcnt vmcnt(10)
	v_mfma_f32_16x16x16_f16 v[26:29], v[22:23], v[50:51], v[26:29]
	v_and_b32_e32 v30, 16, v0
	v_lshlrev_b32_e32 v86, 1, v30
	v_lshl_add_u64 v[60:61], s[4:5], 0, v[86:87]
	v_mfma_f32_16x16x16_f16 v[22:25], v[24:25], v[52:53], v[26:29]
	v_lshlrev_b32_e32 v86, 6, v90
	v_lshl_add_u64 v[70:71], v[60:61], 0, v[86:87]
	v_or_b32_e32 v86, 0x1000, v86
	s_waitcnt vmcnt(9)
	v_mfma_f32_16x16x16_f16 v[22:25], v[18:19], v[46:47], v[22:25]
	v_lshl_add_u64 v[80:81], v[60:61], 0, v[86:87]
	v_pk_mul_f32 v[78:79], s[6:7], v[64:65] op_sel_hi:[0,1]
	v_pk_mul_f32 v[60:61], s[6:7], v[62:63] op_sel_hi:[0,1]
	v_mfma_f32_16x16x16_f16 v[18:21], v[20:21], v[48:49], v[22:25]
	s_waitcnt vmcnt(8)
	v_mfma_f32_16x16x16_f16 v[18:21], v[10:11], v[42:43], v[18:21]
	s_waitcnt vmcnt(3)
	v_mad_i64_i32 v[22:23], s[4:5], v72, s9, 0
	s_waitcnt vmcnt(2)
	v_mad_i64_i32 v[10:11], s[4:5], v75, s9, 0
	v_lshlrev_b64 v[72:73], 1, v[22:23]
	v_lshlrev_b64 v[54:55], 1, v[10:11]
	v_lshl_add_u64 v[22:23], v[70:71], 0, v[72:73]
	v_lshl_add_u64 v[10:11], v[70:71], 0, v[54:55]
	global_load_dwordx4 v[30:33], v[22:23], off
	global_load_dwordx4 v[26:29], v[22:23], off offset:16
	v_mfma_f32_16x16x16_f16 v[92:95], v[12:13], v[44:45], v[18:21]
	global_load_dwordx4 v[22:25], v[10:11], off
	s_nop 1
	global_load_dwordx4 v[18:21], v[10:11], off offset:16
	v_pk_mul_f32 v[74:75], s[6:7], v[68:69] op_sel_hi:[0,1]
	v_mfma_f32_16x16x16_f16 v[10:13], v[6:7], v[14:15], 0
	s_waitcnt vmcnt(5)
	v_mad_i64_i32 v[6:7], s[4:5], v58, s9, 0
	v_lshlrev_b64 v[56:57], 1, v[6:7]
	v_mfma_f32_16x16x16_f16 v[6:9], v[8:9], v[16:17], v[10:13]
	v_mfma_f32_16x16x16_f16 v[6:9], v[2:3], v[50:51], v[6:9]
	s_nop 1
	v_lshl_add_u64 v[10:11], v[70:71], 0, v[56:57]
	global_load_dwordx4 v[14:17], v[10:11], off
	s_nop 0
	global_load_dwordx4 v[10:13], v[10:11], off offset:16
	s_waitcnt vmcnt(6)
	v_mad_i64_i32 v[2:3], s[4:5], v59, s9, 0
	v_mfma_f32_16x16x16_f16 v[50:53], v[4:5], v[52:53], v[6:9]
	v_lshlrev_b64 v[58:59], 1, v[2:3]
	v_lshl_add_u64 v[2:3], v[70:71], 0, v[58:59]
	v_pk_mul_f32 v[70:71], s[6:7], v[94:95] op_sel_hi:[0,1]
	v_mfma_f32_16x16x16_f16 v[50:53], v[38:39], v[46:47], v[50:53]
	v_lshl_add_u64 v[38:39], v[80:81], 0, v[72:73]
	v_pk_mul_f32 v[72:73], s[6:7], v[92:93] op_sel_hi:[0,1]
	v_lshl_add_u64 v[58:59], v[80:81], 0, v[58:59]
	v_mfma_f32_16x16x16_f16 v[46:49], v[40:41], v[48:49], v[50:53]
	global_load_dwordx4 v[6:9], v[2:3], off
	s_nop 0
	global_load_dwordx4 v[2:5], v[2:3], off offset:16
	v_mfma_f32_16x16x16_f16 v[40:43], v[34:35], v[42:43], v[46:49]
	v_mfma_f32_16x16x16_f16 v[34:37], v[36:37], v[44:45], v[40:43]
	s_nop 6
	v_pk_mul_f32 v[68:69], s[6:7], v[34:35] op_sel_hi:[0,1]
	v_and_b32_e32 v34, 0xc0, v0
	v_add_u32_e32 v34, s18, v34
	v_lshl_or_b32 v34, v1, 2, v34
	v_or_b32_e32 v35, 1, v34
	v_pk_mul_f32 v[66:67], s[6:7], v[36:37] op_sel_hi:[0,1]
	v_subrev_u32_e32 v36, s27, v35
	v_add_u32_e32 v40, 1, v36
	v_add_u32_e32 v41, 2, v36
	v_cvt_f32_i32_e32 v37, v36
	v_cvt_f32_i32_e32 v40, v40
	;; [unrolled: 1-line block ×3, first 2 shown]
	v_add_u32_e32 v42, 3, v36
	v_fma_f32 v60, v89, v37, v60
	v_fmac_f32_e32 v61, v89, v40
	v_fma_f32 v78, v89, v41, v78
	v_add_u32_e32 v37, 16, v36
	v_add_u32_e32 v40, 17, v36
	;; [unrolled: 1-line block ×3, first 2 shown]
	v_cvt_f32_i32_e32 v42, v42
	v_cvt_f32_i32_e32 v37, v37
	v_cvt_f32_i32_e32 v40, v40
	v_cvt_f32_i32_e32 v41, v41
	v_fmac_f32_e32 v79, v89, v42
	v_add_u32_e32 v42, 19, v36
	v_fma_f32 v76, v89, v37, v76
	v_fmac_f32_e32 v77, v89, v40
	v_fma_f32 v74, v89, v41, v74
	v_add_u32_e32 v37, 32, v36
	v_add_u32_e32 v40, 33, v36
	v_add_u32_e32 v41, 34, v36
	v_cvt_f32_i32_e32 v42, v42
	v_cvt_f32_i32_e32 v37, v37
	;; [unrolled: 1-line block ×4, first 2 shown]
	v_fmac_f32_e32 v75, v89, v42
	v_add_u32_e32 v42, 35, v36
	v_fma_f32 v72, v89, v37, v72
	v_fmac_f32_e32 v73, v89, v40
	v_fma_f32 v70, v89, v41, v70
	v_add_u32_e32 v37, 48, v36
	v_add_u32_e32 v40, 49, v36
	;; [unrolled: 1-line block ×4, first 2 shown]
	v_cvt_f32_i32_e32 v36, v36
	v_cvt_f32_i32_e32 v37, v37
	;; [unrolled: 1-line block ×3, first 2 shown]
	v_cmp_gt_i32_e64 s[28:29], s27, v34
	v_fmac_f32_e32 v67, v89, v36
	v_mov_b32_e32 v36, 0xff7fffff
	v_cmp_gt_i32_e64 s[30:31], s27, v35
	v_fma_f32 v68, v89, v37, v68
	v_cndmask_b32_e64 v37, v36, v60, s[28:29]
	v_cndmask_b32_e64 v35, v36, v61, s[30:31]
	v_fmac_f32_e32 v69, v89, v40
	v_max3_f32 v35, v37, s33, v35
	v_or_b32_e32 v37, 2, v34
	v_or_b32_e32 v40, 3, v34
	v_cmp_gt_i32_e64 s[34:35], s27, v37
	v_cmp_gt_i32_e64 s[36:37], s27, v40
	v_cvt_f32_i32_e32 v42, v42
	v_cndmask_b32_e64 v37, v36, v78, s[34:35]
	v_cndmask_b32_e64 v40, v36, v79, s[36:37]
	v_max3_f32 v35, v35, v37, v40
	v_or_b32_e32 v37, 16, v34
	v_or_b32_e32 v40, 17, v34
	v_cmp_gt_i32_e64 s[22:23], s27, v37
	v_cmp_gt_i32_e64 s[24:25], s27, v40
	v_fmac_f32_e32 v71, v89, v42
	v_cndmask_b32_e64 v37, v36, v76, s[22:23]
	v_cndmask_b32_e64 v40, v36, v77, s[24:25]
	v_max3_f32 v35, v35, v37, v40
	v_or_b32_e32 v37, 18, v34
	v_or_b32_e32 v40, 19, v34
	v_cmp_gt_i32_e64 s[18:19], s27, v37
	v_cmp_gt_i32_e64 s[20:21], s27, v40
	v_cvt_f32_i32_e32 v41, v41
	v_cndmask_b32_e64 v37, v36, v74, s[18:19]
	v_cndmask_b32_e64 v40, v36, v75, s[20:21]
	v_max3_f32 v35, v35, v37, v40
	v_or_b32_e32 v37, 32, v34
	v_or_b32_e32 v40, 33, v34
	v_cmp_gt_i32_e64 s[14:15], s27, v37
	v_cmp_gt_i32_e64 s[16:17], s27, v40
	v_fma_f32 v66, v89, v41, v66
	v_cndmask_b32_e64 v37, v36, v72, s[14:15]
	v_cndmask_b32_e64 v40, v36, v73, s[16:17]
	v_max3_f32 v35, v35, v37, v40
	v_or_b32_e32 v37, 34, v34
	v_or_b32_e32 v40, 35, v34
	v_cmp_gt_i32_e64 s[10:11], s27, v37
	v_cmp_gt_i32_e64 s[12:13], s27, v40
	s_nop 0
	v_cndmask_b32_e64 v37, v36, v70, s[10:11]
	v_cndmask_b32_e64 v40, v36, v71, s[12:13]
	v_max3_f32 v35, v35, v37, v40
	v_or_b32_e32 v37, 48, v34
	v_or_b32_e32 v40, 49, v34
	v_cmp_gt_i32_e64 s[6:7], s27, v37
	v_cmp_gt_i32_e64 s[8:9], s27, v40
	s_nop 0
	v_cndmask_b32_e64 v37, v36, v68, s[6:7]
	v_cndmask_b32_e64 v40, v36, v69, s[8:9]
	v_max3_f32 v35, v35, v37, v40
	v_or_b32_e32 v37, 50, v34
	v_or_b32_e32 v34, 51, v34
	v_cmp_gt_i32_e32 vcc, s27, v37
	v_cmp_gt_i32_e64 s[4:5], s27, v34
	global_load_dwordx4 v[46:49], v[38:39], off
	s_nop 0
	global_load_dwordx4 v[38:41], v[38:39], off offset:16
	v_cndmask_b32_e32 v37, v36, v66, vcc
	v_cndmask_b32_e64 v34, v36, v67, s[4:5]
	v_max3_f32 v50, v35, v37, v34
	v_mbcnt_lo_u32_b32 v34, -1, 0
	v_mbcnt_hi_u32_b32 v51, -1, v34
	v_and_b32_e32 v34, 64, v51
	v_add_u32_e32 v52, 64, v34
	v_xor_b32_e32 v34, 32, v51
	v_cmp_lt_i32_e64 s[38:39], v34, v52
	s_nop 1
	v_cndmask_b32_e64 v34, v51, v34, s[38:39]
	v_lshlrev_b32_e32 v87, 2, v34
	ds_bpermute_b32 v53, v87, v50
	v_lshl_add_u64 v[34:35], v[80:81], 0, v[54:55]
	global_load_dwordx4 v[42:45], v[34:35], off
	s_nop 0
	global_load_dwordx4 v[34:37], v[34:35], off offset:16
	s_waitcnt lgkmcnt(0)
	v_max_f32_e32 v53, v53, v53
	v_max_f32_e32 v62, v50, v53
	v_xor_b32_e32 v50, 16, v51
	v_cmp_lt_i32_e64 s[38:39], v50, v52
	s_nop 1
	v_cndmask_b32_e64 v50, v51, v50, s[38:39]
	v_lshlrev_b32_e32 v89, 2, v50
	ds_bpermute_b32 v63, v89, v62
	v_lshl_add_u64 v[50:51], v[80:81], 0, v[56:57]
	global_load_dwordx4 v[54:57], v[50:51], off
	s_nop 0
	global_load_dwordx4 v[50:53], v[50:51], off offset:16
	s_waitcnt lgkmcnt(0)
	v_max_f32_e32 v63, v63, v63
	v_max_f32_e32 v86, v62, v63
	v_sub_f32_e32 v60, v60, v86
	v_mul_f32_e32 v60, 0x3fb8aa3b, v60
	v_exp_f32_e32 v80, v60
	v_sub_f32_e32 v60, v61, v86
	v_mul_f32_e32 v60, 0x3fb8aa3b, v60
	v_exp_f32_e32 v81, v60
	global_load_dwordx4 v[62:65], v[58:59], off
	s_nop 0
	global_load_dwordx4 v[58:61], v[58:59], off offset:16
	v_sub_f32_e32 v78, v78, v86
	v_mul_f32_e32 v78, 0x3fb8aa3b, v78
	v_sub_f32_e32 v79, v79, v86
	v_exp_f32_e32 v78, v78
	v_mul_f32_e32 v79, 0x3fb8aa3b, v79
	v_sub_f32_e32 v76, v76, v86
	v_exp_f32_e32 v79, v79
	v_mul_f32_e32 v76, 0x3fb8aa3b, v76
	v_sub_f32_e32 v77, v77, v86
	v_cndmask_b32_e64 v80, 0, v80, s[28:29]
	v_exp_f32_e32 v76, v76
	v_mul_f32_e32 v77, 0x3fb8aa3b, v77
	v_sub_f32_e32 v74, v74, v86
	v_add_f32_e32 v91, 0, v80
	v_cndmask_b32_e64 v81, 0, v81, s[30:31]
	v_exp_f32_e32 v77, v77
	v_mul_f32_e32 v74, 0x3fb8aa3b, v74
	v_sub_f32_e32 v75, v75, v86
	v_add_f32_e32 v91, v91, v81
	;; [unrolled: 5-line block ×10, first 2 shown]
	v_cndmask_b32_e64 v70, 0, v70, s[10:11]
	v_exp_f32_e32 v66, v66
	v_mul_f32_e32 v67, 0x3fb8aa3b, v67
	v_add_f32_e32 v91, v91, v70
	v_cndmask_b32_e64 v71, 0, v71, s[12:13]
	v_exp_f32_e32 v67, v67
	v_add_f32_e32 v91, v91, v71
	v_cndmask_b32_e64 v68, 0, v68, s[6:7]
	v_add_f32_e32 v91, v91, v68
	v_cndmask_b32_e64 v69, 0, v69, s[8:9]
	v_add_f32_e32 v91, v91, v69
	v_cndmask_b32_e32 v66, 0, v66, vcc
	v_add_f32_e32 v91, v91, v66
	v_cndmask_b32_e64 v67, 0, v67, s[4:5]
	v_add_f32_e32 v91, v91, v67
	ds_bpermute_b32 v87, v87, v91
	s_load_dword s9, s[0:1], 0x98
	v_cmp_gt_u32_e64 s[4:5], 16, v85
	s_waitcnt lgkmcnt(0)
	s_barrier
	v_add_f32_e32 v87, v91, v87
	ds_bpermute_b32 v89, v89, v87
	s_waitcnt lgkmcnt(0)
	s_and_saveexec_b64 s[6:7], s[4:5]
	s_cbranch_execz .LBB352_17
; %bb.16:
	v_add_f32_e32 v85, v87, v89
	v_lshlrev_b32_e32 v87, 2, v90
	ds_write2st64_b32 v87, v86, v85 offset1:1
.LBB352_17:
	s_or_b64 exec, exec, s[6:7]
	v_lshlrev_b32_e32 v85, 2, v84
	s_load_dword s8, s[0:1], 0x94
	s_waitcnt lgkmcnt(0)
	s_barrier
	ds_read2_b32 v[90:91], v85 offset1:16
	ds_read2_b32 v[92:93], v85 offset0:32 offset1:48
	ds_read2_b32 v[94:95], v85 offset0:64 offset1:80
	s_mul_i32 s9, s9, 9
	s_waitcnt lgkmcnt(2)
	v_max3_f32 v86, v90, s33, v91
	s_waitcnt lgkmcnt(1)
	v_max3_f32 v86, v86, v92, v93
	v_sub_f32_e32 v87, v90, v86
	v_mul_f32_e32 v87, 0x3fb8aa3b, v87
	v_exp_f32_e32 v89, v87
	v_sub_f32_e32 v87, v91, v86
	v_mul_f32_e32 v87, 0x3fb8aa3b, v87
	v_exp_f32_e32 v88, v87
	v_sub_f32_e32 v87, v92, v86
	v_mul_f32_e32 v87, 0x3fb8aa3b, v87
	ds_read2_b32 v[90:91], v85 offset0:96 offset1:112
	v_sub_f32_e32 v85, v93, v86
	v_exp_f32_e32 v92, v87
	v_mul_f32_e32 v85, 0x3fb8aa3b, v85
	v_exp_f32_e32 v85, v85
	s_waitcnt lgkmcnt(1)
	v_fma_f32 v87, v89, v94, 0
	v_fmac_f32_e32 v87, v88, v95
	s_waitcnt lgkmcnt(0)
	v_fmac_f32_e32 v87, v92, v90
	v_fmac_f32_e32 v87, v85, v91
	v_add_f32_e32 v90, 0x358637bd, v87
	v_div_scale_f32 v91, s[6:7], v90, v90, 1.0
	v_rcp_f32_e32 v93, v91
	s_barrier
	v_fma_f32 v94, -v91, v93, 1.0
	v_fmac_f32_e32 v93, v94, v93
	v_div_scale_f32 v94, vcc, 1.0, v90, 1.0
	v_mul_f32_e32 v95, v94, v93
	v_fma_f32 v1, -v91, v95, v94
	v_fmac_f32_e32 v95, v1, v93
	v_fma_f32 v1, -v91, v95, v94
	v_lshrrev_b32_e32 v91, 6, v0
	v_div_fmas_f32 v1, v1, v93, v95
	v_cmp_eq_u32_e32 vcc, 1, v91
	v_div_fixup_f32 v1, v1, v90, 1.0
	s_nop 0
	v_cndmask_b32_e32 v88, v89, v88, vcc
	v_cmp_eq_u32_e32 vcc, 2, v91
	s_nop 1
	v_cndmask_b32_e32 v88, v88, v92, vcc
	v_cmp_eq_u32_e32 vcc, 3, v91
	s_nop 1
	v_cndmask_b32_e32 v85, v88, v85, vcc
	v_mul_f32_e32 v90, v85, v1
	v_pk_mul_f32 v[78:79], v[90:91], v[78:79] op_sel_hi:[0,1]
	v_cvt_f16_f32_e32 v78, v78
	v_cvt_f16_f32_e32 v79, v79
	v_pk_mul_f32 v[80:81], v[90:91], v[80:81] op_sel_hi:[0,1]
	v_cvt_f16_f32_e32 v1, v80
	v_cvt_f16_f32_e32 v80, v81
	v_pk_mul_f32 v[74:75], v[90:91], v[74:75] op_sel_hi:[0,1]
	v_pk_mul_f32 v[76:77], v[90:91], v[76:77] op_sel_hi:[0,1]
	v_pack_b32_f16 v81, v78, v79
	v_cvt_f16_f32_e32 v76, v76
	v_cvt_f16_f32_e32 v77, v77
	;; [unrolled: 1-line block ×4, first 2 shown]
	v_bfe_u32 v88, v0, 4, 2
	v_pack_b32_f16 v80, v1, v80
	v_lshlrev_b32_e32 v1, 3, v88
	v_lshlrev_b32_e32 v78, 5, v84
	;; [unrolled: 1-line block ×3, first 2 shown]
	v_or3_b32 v1, v74, v78, v1
	v_pack_b32_f16 v74, v76, v77
	v_pack_b32_f16 v75, v79, v75
	v_pk_mul_f32 v[70:71], v[90:91], v[70:71] op_sel_hi:[0,1]
	v_pk_mul_f32 v[72:73], v[90:91], v[72:73] op_sel_hi:[0,1]
	;; [unrolled: 1-line block ×4, first 2 shown]
	ds_write2st64_b64 v1, v[80:81], v[74:75] offset1:1
	v_cvt_f16_f32_e32 v72, v72
	v_cvt_f16_f32_e32 v73, v73
	;; [unrolled: 1-line block ×8, first 2 shown]
	v_pack_b32_f16 v66, v72, v73
	v_pack_b32_f16 v67, v70, v71
	;; [unrolled: 1-line block ×4, first 2 shown]
	v_cmp_gt_u32_e32 vcc, 9, v0
	ds_write2st64_b64 v1, v[66:67], v[68:69] offset0:2 offset1:3
	s_and_saveexec_b64 s[6:7], vcc
	s_cbranch_execz .LBB352_19
; %bb.18:
	s_mov_b32 s41, 0
	v_mov_b32_e32 v85, 0
	v_lshl_add_u64 v[66:67], s[40:41], 0, v[84:85]
	v_mov_b32_e32 v68, s9
	v_mad_u64_u32 v[66:67], s[10:11], s2, v68, v[66:67]
	s_mul_i32 s3, s3, s9
	v_mov_b32_e32 v68, s26
	v_mov_b32_e32 v69, v85
	s_load_dwordx4 s[12:15], s[0:1], 0x58
	v_add_u32_e32 v70, s3, v67
	v_mad_u64_u32 v[66:67], s[10:11], v66, s8, v[68:69]
	v_mov_b32_e32 v68, v67
	v_mad_u64_u32 v[68:69], s[10:11], v70, s8, v[68:69]
	v_mov_b32_e32 v67, v68
	v_lshlrev_b64 v[66:67], 2, v[66:67]
	s_waitcnt lgkmcnt(0)
	v_lshl_add_u64 v[68:69], s[14:15], 0, v[66:67]
	v_lshl_add_u64 v[66:67], s[12:13], 0, v[66:67]
	global_store_dword v[68:69], v86, off
	global_store_dword v[66:67], v87, off
.LBB352_19:
	s_or_b64 exec, exec, s[6:7]
	v_lshl_or_b32 v78, v88, 9, v78
	s_waitcnt lgkmcnt(0)
	s_barrier
	ds_read_b128 v[70:73], v78
	ds_read_b128 v[66:69], v78 offset:16
	s_waitcnt vmcnt(15) lgkmcnt(1)
	v_mfma_f32_16x16x16_f16 v[74:77], v[30:31], v[70:71], 0
	s_mov_b32 s3, 0
	v_cmp_gt_u32_e32 vcc, 64, v0
	v_mfma_f32_16x16x16_f16 v[30:33], v[32:33], v[72:73], v[74:77]
	s_waitcnt vmcnt(14) lgkmcnt(0)
	v_mfma_f32_16x16x16_f16 v[30:33], v[26:27], v[66:67], v[30:33]
	v_mfma_f32_16x16x16_f16 v[26:29], v[28:29], v[68:69], v[30:33]
	s_nop 5
	ds_read_b128 v[30:33], v78 offset:2048
	ds_read_b128 v[74:77], v78 offset:2064
	s_waitcnt vmcnt(13) lgkmcnt(1)
	v_mfma_f32_16x16x16_f16 v[26:29], v[22:23], v[30:31], v[26:29]
	v_mfma_f32_16x16x16_f16 v[22:25], v[24:25], v[32:33], v[26:29]
	s_waitcnt vmcnt(12) lgkmcnt(0)
	v_mfma_f32_16x16x16_f16 v[22:25], v[18:19], v[74:75], v[22:25]
	v_mfma_f32_16x16x16_f16 v[18:21], v[20:21], v[76:77], v[22:25]
	s_nop 5
	ds_read_b128 v[22:25], v78 offset:4096
	ds_read_b128 v[26:29], v78 offset:4112
	s_waitcnt vmcnt(11) lgkmcnt(1)
	v_mfma_f32_16x16x16_f16 v[18:21], v[14:15], v[22:23], v[18:21]
	v_mfma_f32_16x16x16_f16 v[14:17], v[16:17], v[24:25], v[18:21]
	s_waitcnt vmcnt(10) lgkmcnt(0)
	v_mfma_f32_16x16x16_f16 v[14:17], v[10:11], v[26:27], v[14:17]
	v_mfma_f32_16x16x16_f16 v[10:13], v[12:13], v[28:29], v[14:17]
	s_nop 5
	ds_read_b128 v[14:17], v78 offset:6144
	ds_read_b128 v[18:21], v78 offset:6160
	s_waitcnt lgkmcnt(0)
	s_barrier
	s_waitcnt vmcnt(9)
	v_mfma_f32_16x16x16_f16 v[10:13], v[6:7], v[14:15], v[10:13]
	v_mfma_f32_16x16x16_f16 v[6:9], v[8:9], v[16:17], v[10:13]
	s_waitcnt vmcnt(8)
	v_mfma_f32_16x16x16_f16 v[6:9], v[2:3], v[18:19], v[6:9]
	v_mfma_f32_16x16x16_f16 v[2:5], v[4:5], v[20:21], v[6:9]
	;; [unrolled: 3-line block ×3, first 2 shown]
	s_nop 3
	v_cvt_f16_f32_e32 v10, v2
	v_cvt_f16_f32_e32 v11, v3
	;; [unrolled: 1-line block ×3, first 2 shown]
	s_waitcnt vmcnt(6)
	v_mfma_f32_16x16x16_f16 v[6:9], v[38:39], v[66:67], v[6:9]
	v_cvt_f16_f32_e32 v13, v5
	v_mfma_f32_16x16x16_f16 v[6:9], v[40:41], v[68:69], v[6:9]
	s_waitcnt vmcnt(5)
	v_mfma_f32_16x16x16_f16 v[6:9], v[42:43], v[30:31], v[6:9]
	v_mfma_f32_16x16x16_f16 v[6:9], v[44:45], v[32:33], v[6:9]
	s_waitcnt vmcnt(4)
	v_mfma_f32_16x16x16_f16 v[6:9], v[34:35], v[74:75], v[6:9]
	;; [unrolled: 3-line block ×6, first 2 shown]
	v_mfma_f32_16x16x16_f16 v[2:5], v[60:61], v[20:21], v[6:9]
	s_nop 6
	v_cvt_f16_f32_e32 v6, v2
	v_cvt_f16_f32_e32 v7, v3
	;; [unrolled: 1-line block ×4, first 2 shown]
	v_pack_b32_f16 v2, v10, v11
	v_pack_b32_f16 v3, v12, v13
	;; [unrolled: 1-line block ×4, first 2 shown]
	ds_write2st64_b64 v1, v[2:3], v[4:5] offset1:1
	s_waitcnt lgkmcnt(0)
	s_barrier
	s_and_saveexec_b64 s[6:7], vcc
	s_cbranch_execz .LBB352_22
; %bb.20:
	s_load_dwordx2 s[6:7], s[0:1], 0x68
	s_lshl_b32 s0, s8, 7
	s_mul_i32 s1, s9, s2
	v_lshlrev_b32_e32 v3, 6, v84
	s_mul_hi_u32 s9, s1, s0
	s_mul_i32 s8, s1, s0
	v_lshlrev_b32_e32 v2, 4, v0
	v_lshl_or_b32 v0, v0, 10, v3
	s_lshl_b64 s[8:9], s[8:9], 1
	v_lshlrev_b32_e32 v1, 5, v88
	v_and_b32_e32 v2, 16, v2
	v_and_b32_e32 v0, 0x1a00, v0
	s_waitcnt lgkmcnt(0)
	s_add_u32 s1, s6, s8
	v_or3_b32 v2, v0, v1, v2
	s_addc_u32 s6, s7, s9
	s_lshl_b32 s2, s26, 7
	s_lshl_b64 s[2:3], s[2:3], 1
	ds_read_b128 v[4:7], v2 offset:128
	ds_read_b128 v[8:11], v2
	s_add_u32 s2, s1, s2
	s_addc_u32 s3, s6, s3
	v_add_u32_e32 v3, s40, v88
	v_lshl_add_u64 v[0:1], v[82:83], 1, s[2:3]
	v_mad_u64_u32 v[12:13], s[2:3], v3, s0, 0
	v_lshl_add_u64 v[12:13], v[12:13], 1, v[0:1]
	v_add_u32_e32 v3, 4, v3
	s_waitcnt lgkmcnt(0)
	global_store_dwordx4 v[12:13], v[8:11], off
	s_nop 1
	v_mad_u64_u32 v[8:9], s[2:3], v3, s0, 0
	v_lshl_add_u64 v[8:9], v[8:9], 1, v[0:1]
	global_store_dwordx4 v[8:9], v[4:7], off
	s_and_b64 exec, exec, s[4:5]
	s_cbranch_execz .LBB352_22
; %bb.21:
	ds_read_b128 v[2:5], v2 offset:256
	v_add3_u32 v6, s40, v88, 8
	v_mad_u64_u32 v[6:7], s[0:1], v6, s0, 0
	v_lshl_add_u64 v[0:1], v[6:7], 1, v[0:1]
	s_waitcnt lgkmcnt(0)
	global_store_dwordx4 v[0:1], v[2:5], off
.LBB352_22:
	s_endpgm
	.section	.rodata,"a",@progbits
	.p2align	6, 0x0
	.amdhsa_kernel _Z39paged_attention_ll4mi_QKV_mfma16_kernelIDF16_DF16_LN4vllm18Fp8KVCacheDataTypeE0EDF16_Li32ELi128ELi256ELb1ELi9EEvPKT_PKT0_S7_ifPKiS9_S9_iPKfiiiPfSC_PS2_PT2_iSB_SB_
		.amdhsa_group_segment_fixed_size 8192
		.amdhsa_private_segment_fixed_size 0
		.amdhsa_kernarg_size 400
		.amdhsa_user_sgpr_count 2
		.amdhsa_user_sgpr_dispatch_ptr 0
		.amdhsa_user_sgpr_queue_ptr 0
		.amdhsa_user_sgpr_kernarg_segment_ptr 1
		.amdhsa_user_sgpr_dispatch_id 0
		.amdhsa_user_sgpr_kernarg_preload_length 0
		.amdhsa_user_sgpr_kernarg_preload_offset 0
		.amdhsa_user_sgpr_private_segment_size 0
		.amdhsa_uses_dynamic_stack 0
		.amdhsa_enable_private_segment 0
		.amdhsa_system_sgpr_workgroup_id_x 1
		.amdhsa_system_sgpr_workgroup_id_y 1
		.amdhsa_system_sgpr_workgroup_id_z 1
		.amdhsa_system_sgpr_workgroup_info 0
		.amdhsa_system_vgpr_workitem_id 0
		.amdhsa_next_free_vgpr 96
		.amdhsa_next_free_sgpr 42
		.amdhsa_accum_offset 96
		.amdhsa_reserve_vcc 1
		.amdhsa_float_round_mode_32 0
		.amdhsa_float_round_mode_16_64 0
		.amdhsa_float_denorm_mode_32 3
		.amdhsa_float_denorm_mode_16_64 3
		.amdhsa_dx10_clamp 1
		.amdhsa_ieee_mode 1
		.amdhsa_fp16_overflow 0
		.amdhsa_tg_split 0
		.amdhsa_exception_fp_ieee_invalid_op 0
		.amdhsa_exception_fp_denorm_src 0
		.amdhsa_exception_fp_ieee_div_zero 0
		.amdhsa_exception_fp_ieee_overflow 0
		.amdhsa_exception_fp_ieee_underflow 0
		.amdhsa_exception_fp_ieee_inexact 0
		.amdhsa_exception_int_div_zero 0
	.end_amdhsa_kernel
	.section	.text._Z39paged_attention_ll4mi_QKV_mfma16_kernelIDF16_DF16_LN4vllm18Fp8KVCacheDataTypeE0EDF16_Li32ELi128ELi256ELb1ELi9EEvPKT_PKT0_S7_ifPKiS9_S9_iPKfiiiPfSC_PS2_PT2_iSB_SB_,"axG",@progbits,_Z39paged_attention_ll4mi_QKV_mfma16_kernelIDF16_DF16_LN4vllm18Fp8KVCacheDataTypeE0EDF16_Li32ELi128ELi256ELb1ELi9EEvPKT_PKT0_S7_ifPKiS9_S9_iPKfiiiPfSC_PS2_PT2_iSB_SB_,comdat
.Lfunc_end352:
	.size	_Z39paged_attention_ll4mi_QKV_mfma16_kernelIDF16_DF16_LN4vllm18Fp8KVCacheDataTypeE0EDF16_Li32ELi128ELi256ELb1ELi9EEvPKT_PKT0_S7_ifPKiS9_S9_iPKfiiiPfSC_PS2_PT2_iSB_SB_, .Lfunc_end352-_Z39paged_attention_ll4mi_QKV_mfma16_kernelIDF16_DF16_LN4vllm18Fp8KVCacheDataTypeE0EDF16_Li32ELi128ELi256ELb1ELi9EEvPKT_PKT0_S7_ifPKiS9_S9_iPKfiiiPfSC_PS2_PT2_iSB_SB_
                                        ; -- End function
	.section	.AMDGPU.csdata,"",@progbits
; Kernel info:
; codeLenInByte = 4892
; NumSgprs: 48
; NumVgprs: 96
; NumAgprs: 0
; TotalNumVgprs: 96
; ScratchSize: 0
; MemoryBound: 0
; FloatMode: 240
; IeeeMode: 1
; LDSByteSize: 8192 bytes/workgroup (compile time only)
; SGPRBlocks: 5
; VGPRBlocks: 11
; NumSGPRsForWavesPerEU: 48
; NumVGPRsForWavesPerEU: 96
; AccumOffset: 96
; Occupancy: 5
; WaveLimiterHint : 1
; COMPUTE_PGM_RSRC2:SCRATCH_EN: 0
; COMPUTE_PGM_RSRC2:USER_SGPR: 2
; COMPUTE_PGM_RSRC2:TRAP_HANDLER: 0
; COMPUTE_PGM_RSRC2:TGID_X_EN: 1
; COMPUTE_PGM_RSRC2:TGID_Y_EN: 1
; COMPUTE_PGM_RSRC2:TGID_Z_EN: 1
; COMPUTE_PGM_RSRC2:TIDIG_COMP_CNT: 0
; COMPUTE_PGM_RSRC3_GFX90A:ACCUM_OFFSET: 23
; COMPUTE_PGM_RSRC3_GFX90A:TG_SPLIT: 0
	.section	.text._Z39paged_attention_ll4mi_QKV_mfma16_kernelIDF16_DF16_LN4vllm18Fp8KVCacheDataTypeE0EDF16_Li32ELi128ELi256ELb1ELi10EEvPKT_PKT0_S7_ifPKiS9_S9_iPKfiiiPfSC_PS2_PT2_iSB_SB_,"axG",@progbits,_Z39paged_attention_ll4mi_QKV_mfma16_kernelIDF16_DF16_LN4vllm18Fp8KVCacheDataTypeE0EDF16_Li32ELi128ELi256ELb1ELi10EEvPKT_PKT0_S7_ifPKiS9_S9_iPKfiiiPfSC_PS2_PT2_iSB_SB_,comdat
	.protected	_Z39paged_attention_ll4mi_QKV_mfma16_kernelIDF16_DF16_LN4vllm18Fp8KVCacheDataTypeE0EDF16_Li32ELi128ELi256ELb1ELi10EEvPKT_PKT0_S7_ifPKiS9_S9_iPKfiiiPfSC_PS2_PT2_iSB_SB_ ; -- Begin function _Z39paged_attention_ll4mi_QKV_mfma16_kernelIDF16_DF16_LN4vllm18Fp8KVCacheDataTypeE0EDF16_Li32ELi128ELi256ELb1ELi10EEvPKT_PKT0_S7_ifPKiS9_S9_iPKfiiiPfSC_PS2_PT2_iSB_SB_
	.globl	_Z39paged_attention_ll4mi_QKV_mfma16_kernelIDF16_DF16_LN4vllm18Fp8KVCacheDataTypeE0EDF16_Li32ELi128ELi256ELb1ELi10EEvPKT_PKT0_S7_ifPKiS9_S9_iPKfiiiPfSC_PS2_PT2_iSB_SB_
	.p2align	8
	.type	_Z39paged_attention_ll4mi_QKV_mfma16_kernelIDF16_DF16_LN4vllm18Fp8KVCacheDataTypeE0EDF16_Li32ELi128ELi256ELb1ELi10EEvPKT_PKT0_S7_ifPKiS9_S9_iPKfiiiPfSC_PS2_PT2_iSB_SB_,@function
_Z39paged_attention_ll4mi_QKV_mfma16_kernelIDF16_DF16_LN4vllm18Fp8KVCacheDataTypeE0EDF16_Li32ELi128ELi256ELb1ELi10EEvPKT_PKT0_S7_ifPKiS9_S9_iPKfiiiPfSC_PS2_PT2_iSB_SB_: ; @_Z39paged_attention_ll4mi_QKV_mfma16_kernelIDF16_DF16_LN4vllm18Fp8KVCacheDataTypeE0EDF16_Li32ELi128ELi256ELb1ELi10EEvPKT_PKT0_S7_ifPKiS9_S9_iPKfiiiPfSC_PS2_PT2_iSB_SB_
; %bb.0:
	s_load_dwordx2 s[8:9], s[0:1], 0x30
	s_mov_b32 s26, s3
	s_mov_b64 s[6:7], 0
	s_waitcnt lgkmcnt(0)
	s_cmp_lg_u64 s[8:9], 0
	s_cselect_b64 s[10:11], -1, 0
	s_and_b64 vcc, exec, s[10:11]
	s_cbranch_vccz .LBB353_7
; %bb.1:
	s_add_i32 s12, s2, 1
	s_mov_b32 s13, 0
	s_lshl_b64 s[14:15], s[12:13], 2
	s_add_u32 s14, s8, s14
	s_mov_b32 s3, s13
	s_addc_u32 s15, s9, s15
	s_lshl_b64 s[12:13], s[2:3], 2
	s_add_u32 s12, s8, s12
	s_addc_u32 s13, s9, s13
	s_load_dword s5, s[14:15], 0x0
	s_load_dword s16, s[12:13], 0x0
	s_waitcnt lgkmcnt(0)
	s_sub_i32 s5, s5, s16
	s_cmp_eq_u32 s5, 1
	s_cselect_b64 s[12:13], -1, 0
	s_andn2_b64 vcc, exec, s[6:7]
	s_cbranch_vccnz .LBB353_3
.LBB353_2:
	s_mov_b32 s3, 0
	s_mov_b64 s[12:13], -1
.LBB353_3:
	s_andn2_b64 vcc, exec, s[12:13]
	s_cbranch_vccnz .LBB353_22
; %bb.4:
	s_load_dwordx2 s[6:7], s[0:1], 0x28
	s_lshl_b64 s[12:13], s[2:3], 2
	s_waitcnt lgkmcnt(0)
	s_add_u32 s6, s6, s12
	s_addc_u32 s7, s7, s13
	s_load_dword s27, s[6:7], 0x0
	s_lshl_b32 s18, s26, 8
	s_waitcnt lgkmcnt(0)
	s_cmp_ge_i32 s18, s27
	s_cbranch_scc1 .LBB353_22
; %bb.5:
	s_load_dwordx2 s[6:7], s[0:1], 0x20
	s_load_dword s5, s[0:1], 0x38
	s_add_i32 s14, s27, 31
	s_ashr_i32 s15, s14, 31
	v_and_b32_e32 v1, 0xcf, v0
	s_lshr_b32 s15, s15, 27
	v_add_u32_e32 v1, s18, v1
	s_add_i32 s14, s14, s15
	v_ashrrev_i32_e32 v2, 31, v1
	s_ashr_i32 s19, s14, 5
	v_lshrrev_b32_e32 v4, 27, v2
	s_add_i32 s19, s19, -1
	s_waitcnt lgkmcnt(0)
	s_mul_i32 s14, s2, s5
	s_mov_b32 s15, 0
	v_add_u32_e32 v2, v1, v4
	s_lshl_b64 s[14:15], s[14:15], 2
	v_ashrrev_i32_e32 v2, 5, v2
	v_mov_b32_e32 v5, s19
	v_cmp_gt_i32_e32 vcc, s27, v1
	s_add_u32 s6, s6, s14
	s_addc_u32 s7, s7, s15
	v_cndmask_b32_e32 v2, v5, v2, vcc
	v_ashrrev_i32_e32 v3, 31, v2
	v_lshl_add_u64 v[6:7], v[2:3], 2, s[6:7]
	v_or_b32_e32 v2, 16, v1
	v_add_u32_e32 v3, v2, v4
	v_ashrrev_i32_e32 v3, 5, v3
	v_cmp_gt_i32_e32 vcc, s27, v2
	s_nop 1
	v_cndmask_b32_e32 v2, v5, v3, vcc
	v_ashrrev_i32_e32 v3, 31, v2
	v_lshl_add_u64 v[8:9], v[2:3], 2, s[6:7]
	v_or_b32_e32 v2, 32, v1
	v_add_u32_e32 v3, v2, v4
	v_ashrrev_i32_e32 v3, 5, v3
	v_cmp_gt_i32_e32 vcc, s27, v2
	v_or_b32_e32 v1, 48, v1
	s_nop 0
	v_cndmask_b32_e32 v2, v5, v3, vcc
	v_ashrrev_i32_e32 v3, 31, v2
	v_lshl_add_u64 v[10:11], v[2:3], 2, s[6:7]
	v_add_u32_e32 v2, v1, v4
	v_ashrrev_i32_e32 v2, 5, v2
	v_cmp_gt_i32_e32 vcc, s27, v1
	s_nop 1
	v_cndmask_b32_e32 v2, v5, v2, vcc
	v_ashrrev_i32_e32 v3, 31, v2
	v_lshl_add_u64 v[12:13], v[2:3], 2, s[6:7]
	global_load_dword v5, v[6:7], off
	global_load_dword v4, v[8:9], off
	;; [unrolled: 1-line block ×4, first 2 shown]
	s_andn2_b64 vcc, exec, s[10:11]
	s_cbranch_vccnz .LBB353_8
; %bb.6:
	s_add_u32 s8, s8, s12
	s_addc_u32 s9, s9, s13
	s_load_dword s5, s[8:9], 0x0
	s_branch .LBB353_9
.LBB353_7:
	s_mov_b64 s[12:13], 0
	s_branch .LBB353_2
.LBB353_8:
	s_mov_b32 s5, s2
.LBB353_9:
	s_load_dwordx2 s[14:15], s[0:1], 0x8
	s_load_dwordx4 s[8:11], s[0:1], 0x48
	v_lshrrev_b32_e32 v88, 6, v0
	v_bfe_u32 v1, v0, 4, 2
	v_lshl_or_b32 v6, v88, 2, v1
	v_and_b32_e32 v84, 15, v0
	v_lshlrev_b32_e32 v82, 3, v84
	v_cmp_lt_u32_e32 vcc, 9, v6
	s_and_saveexec_b64 s[12:13], vcc
	s_xor_b64 s[12:13], exec, s[12:13]
; %bb.10:
	v_mov_b32_e32 v83, 0
                                        ; implicit-def: $vgpr6
; %bb.11:
	s_or_saveexec_b64 s[16:17], s[12:13]
	s_load_dwordx2 s[12:13], s[0:1], 0x10
	s_mul_i32 s40, s4, 10
	s_xor_b64 exec, exec, s[16:17]
	s_cbranch_execz .LBB353_13
; %bb.12:
	s_load_dwordx2 s[20:21], s[0:1], 0x0
	s_waitcnt lgkmcnt(0)
	s_ashr_i32 s11, s8, 31
	s_mul_hi_u32 s22, s5, s8
	s_mul_i32 s11, s5, s11
	s_add_i32 s23, s22, s11
	s_mul_i32 s22, s5, s8
	s_lshl_b64 s[22:23], s[22:23], 1
	s_add_u32 s20, s20, s22
	v_add_lshl_u32 v8, v6, s40, 7
	s_addc_u32 s21, s21, s23
	v_ashrrev_i32_e32 v9, 31, v8
	v_mov_b32_e32 v83, 0
	v_lshl_add_u64 v[8:9], v[8:9], 1, s[20:21]
	v_lshlrev_b32_e32 v10, 1, v82
	v_mov_b32_e32 v11, v83
	v_lshl_add_u64 v[8:9], v[8:9], 0, v[10:11]
	global_load_dwordx4 v[8:11], v[8:9], off
	v_and_b32_e32 v7, 3, v0
	v_lshlrev_b32_e32 v12, 9, v84
	v_lshlrev_b32_e32 v6, 5, v6
	;; [unrolled: 1-line block ×3, first 2 shown]
	v_and_b32_e32 v12, 0x1800, v12
	v_or3_b32 v6, v12, v7, v6
	s_waitcnt vmcnt(0)
	ds_write_b128 v6, v[8:11]
.LBB353_13:
	s_or_b64 exec, exec, s[16:17]
	s_waitcnt lgkmcnt(0)
	s_mul_i32 s4, s4, s10
	s_mov_b32 s5, 0
	s_lshl_b64 s[4:5], s[4:5], 1
	s_add_u32 s10, s14, s4
	s_addc_u32 s11, s15, s5
	s_waitcnt vmcnt(3)
	v_mad_i64_i32 v[6:7], s[14:15], v5, s9, 0
	v_lshl_add_u64 v[6:7], v[6:7], 1, s[10:11]
	v_lshlrev_b64 v[8:9], 1, v[82:83]
	v_lshlrev_b32_e32 v86, 9, v1
	v_lshl_add_u64 v[6:7], v[6:7], 0, v[8:9]
	v_mov_b32_e32 v87, 0
	v_lshl_add_u64 v[10:11], v[6:7], 0, v[86:87]
	v_or_b32_e32 v14, 0x1000, v86
	v_mov_b32_e32 v15, v87
	v_or_b32_e32 v16, 0x1800, v86
	v_mov_b32_e32 v17, v87
	s_barrier
	global_load_dwordx4 v[66:69], v[10:11], off
	global_load_dwordx4 v[62:65], v[10:11], off offset:2048
	v_lshl_add_u64 v[10:11], v[6:7], 0, v[14:15]
	v_lshl_add_u64 v[6:7], v[6:7], 0, v[16:17]
	global_load_dwordx4 v[78:81], v[10:11], off
	global_load_dwordx4 v[74:77], v[6:7], off
	s_waitcnt vmcnt(6)
	v_mad_i64_i32 v[4:5], s[14:15], v4, s9, 0
	v_mov_b32_e32 v6, 0x100
	v_lshl_add_u64 v[4:5], v[4:5], 1, s[10:11]
	v_lshl_or_b32 v6, v84, 4, v6
	v_mov_b32_e32 v7, v87
	v_lshl_add_u64 v[4:5], v[4:5], 0, v[6:7]
	v_lshl_add_u64 v[10:11], v[4:5], 0, v[86:87]
	global_load_dwordx4 v[70:73], v[10:11], off
	global_load_dwordx4 v[58:61], v[10:11], off offset:2048
	v_lshl_add_u64 v[10:11], v[4:5], 0, v[14:15]
	v_lshl_add_u64 v[4:5], v[4:5], 0, v[16:17]
	global_load_dwordx4 v[54:57], v[10:11], off
	global_load_dwordx4 v[30:33], v[4:5], off
	s_waitcnt vmcnt(9)
	v_mad_i64_i32 v[4:5], s[14:15], v3, s9, 0
	v_lshl_add_u64 v[4:5], v[4:5], 1, s[10:11]
	s_waitcnt vmcnt(8)
	v_mad_i64_i32 v[2:3], s[14:15], v2, s9, 0
	v_lshl_add_u64 v[4:5], v[4:5], 0, v[8:9]
	v_lshl_add_u64 v[2:3], v[2:3], 1, s[10:11]
	;; [unrolled: 1-line block ×4, first 2 shown]
	global_load_dwordx4 v[26:29], v[8:9], off
	global_load_dwordx4 v[22:25], v[8:9], off offset:2048
	v_lshl_add_u64 v[8:9], v[4:5], 0, v[14:15]
	v_lshl_add_u64 v[4:5], v[4:5], 0, v[16:17]
	;; [unrolled: 1-line block ×4, first 2 shown]
	global_load_dwordx4 v[18:21], v[8:9], off
	global_load_dwordx4 v[10:13], v[4:5], off
	s_nop 0
	global_load_dwordx4 v[6:9], v[2:3], off
	s_nop 0
	global_load_dwordx4 v[2:5], v[2:3], off offset:2048
	v_lshl_add_u64 v[16:17], v[34:35], 0, v[16:17]
	global_load_dwordx4 v[38:41], v[14:15], off
	global_load_dwordx4 v[34:37], v[16:17], off
	v_add_u32_e32 v14, -10, v84
	v_cmp_gt_u32_e32 vcc, 10, v84
	v_and_b32_e32 v85, 63, v0
	v_mov_b32_e32 v89, 0
	v_cndmask_b32_e32 v14, v14, v84, vcc
	v_lshl_add_u32 v42, v14, 5, v86
	ds_read_b128 v[14:17], v42
	ds_read_b128 v[50:53], v42 offset:2048
	ds_read_b128 v[46:49], v42 offset:4096
	;; [unrolled: 1-line block ×3, first 2 shown]
	s_and_saveexec_b64 s[10:11], vcc
	s_cbranch_execz .LBB353_15
; %bb.14:
	s_load_dwordx2 s[14:15], s[0:1], 0x40
	v_add_u32_e32 v90, s40, v84
	v_ashrrev_i32_e32 v91, 31, v90
	s_waitcnt lgkmcnt(0)
	v_lshl_add_u64 v[90:91], v[90:91], 2, s[14:15]
	global_load_dword v89, v[90:91], off
.LBB353_15:
	s_or_b64 exec, exec, s[10:11]
	s_waitcnt vmcnt(15) lgkmcnt(3)
	v_mfma_f32_16x16x16_f16 v[90:93], v[66:67], v[14:15], 0
	s_ashr_i32 s8, s18, 31
	s_lshr_b32 s8, s8, 27
	s_add_u32 s4, s12, s4
	v_mfma_f32_16x16x16_f16 v[66:69], v[68:69], v[16:17], v[90:93]
	s_addc_u32 s5, s13, s5
	s_mov_b32 s33, 0xff7fffff
	s_waitcnt vmcnt(14) lgkmcnt(2)
	v_mfma_f32_16x16x16_f16 v[66:69], v[62:63], v[50:51], v[66:69]
	v_lshl_or_b32 v90, v88, 4, v84
	v_mfma_f32_16x16x16_f16 v[62:65], v[64:65], v[52:53], v[66:69]
	s_waitcnt vmcnt(13) lgkmcnt(1)
	v_mfma_f32_16x16x16_f16 v[62:65], v[78:79], v[46:47], v[62:65]
	v_mfma_f32_16x16x16_f16 v[62:65], v[80:81], v[48:49], v[62:65]
	s_waitcnt vmcnt(12) lgkmcnt(0)
	v_mfma_f32_16x16x16_f16 v[62:65], v[74:75], v[42:43], v[62:65]
	v_and_or_b32 v74, v0, 48, s18
	v_add_u32_e32 v66, s8, v74
	v_ashrrev_i32_e32 v75, 5, v66
	s_waitcnt vmcnt(11)
	v_mfma_f32_16x16x16_f16 v[66:69], v[70:71], v[14:15], 0
	v_cmp_gt_i32_e32 vcc, s27, v74
	v_mfma_f32_16x16x16_f16 v[66:69], v[72:73], v[16:17], v[66:69]
	v_or_b32_e32 v72, 64, v74
	v_add_u32_e32 v73, s8, v72
	s_waitcnt vmcnt(10)
	v_mfma_f32_16x16x16_f16 v[66:69], v[58:59], v[50:51], v[66:69]
	v_ashrrev_i32_e32 v58, 5, v73
	v_mfma_f32_16x16x16_f16 v[62:65], v[76:77], v[44:45], v[62:65]
	v_mov_b32_e32 v76, s19
	v_cndmask_b32_e32 v70, v76, v75, vcc
	v_cmp_gt_i32_e32 vcc, s27, v72
	v_ashrrev_i32_e32 v71, 31, v70
	v_lshl_add_u64 v[70:71], v[70:71], 2, s[6:7]
	v_cndmask_b32_e32 v72, v76, v58, vcc
	v_mfma_f32_16x16x16_f16 v[58:61], v[60:61], v[52:53], v[66:69]
	v_ashrrev_i32_e32 v73, 31, v72
	s_waitcnt vmcnt(9)
	v_mfma_f32_16x16x16_f16 v[58:61], v[54:55], v[46:47], v[58:61]
	v_lshl_add_u64 v[66:67], v[72:73], 2, s[6:7]
	global_load_dword v72, v[70:71], off
	global_load_dword v75, v[66:67], off
	v_or_b32_e32 v66, 0x80, v74
	v_add_u32_e32 v67, s8, v66
	v_mfma_f32_16x16x16_f16 v[54:57], v[56:57], v[48:49], v[58:61]
	v_cmp_gt_i32_e32 vcc, s27, v66
	s_nop 1
	v_ashrrev_i32_e32 v58, 5, v67
	v_cndmask_b32_e32 v58, v76, v58, vcc
	v_ashrrev_i32_e32 v59, 31, v58
	s_waitcnt vmcnt(10)
	v_mfma_f32_16x16x16_f16 v[54:57], v[30:31], v[42:43], v[54:57]
	v_lshl_add_u64 v[30:31], v[58:59], 2, s[6:7]
	global_load_dword v58, v[30:31], off
	v_mfma_f32_16x16x16_f16 v[66:69], v[32:33], v[44:45], v[54:57]
	s_nop 3
	v_or_b32_e32 v54, 0xc0, v74
	v_add_u32_e32 v30, s8, v54
	v_ashrrev_i32_e32 v55, 5, v30
	v_cmp_gt_i32_e32 vcc, s27, v54
	s_waitcnt vmcnt(10)
	v_mfma_f32_16x16x16_f16 v[30:33], v[26:27], v[14:15], 0
	v_cndmask_b32_e32 v26, v76, v55, vcc
	v_ashrrev_i32_e32 v27, 31, v26
	v_lshl_add_u64 v[54:55], v[26:27], 2, s[6:7]
	global_load_dword v59, v[54:55], off
	v_mfma_f32_16x16x16_f16 v[26:29], v[28:29], v[16:17], v[30:33]
	s_load_dword s6, s[0:1], 0x1c
	s_waitcnt lgkmcnt(0)
	v_pk_mul_f32 v[76:77], s[6:7], v[66:67] op_sel_hi:[0,1]
	s_waitcnt vmcnt(10)
	v_mfma_f32_16x16x16_f16 v[26:29], v[22:23], v[50:51], v[26:29]
	v_and_b32_e32 v30, 16, v0
	v_lshlrev_b32_e32 v86, 1, v30
	v_lshl_add_u64 v[60:61], s[4:5], 0, v[86:87]
	v_mfma_f32_16x16x16_f16 v[22:25], v[24:25], v[52:53], v[26:29]
	v_lshlrev_b32_e32 v86, 6, v90
	v_lshl_add_u64 v[70:71], v[60:61], 0, v[86:87]
	v_or_b32_e32 v86, 0x1000, v86
	s_waitcnt vmcnt(9)
	v_mfma_f32_16x16x16_f16 v[22:25], v[18:19], v[46:47], v[22:25]
	v_lshl_add_u64 v[80:81], v[60:61], 0, v[86:87]
	v_pk_mul_f32 v[78:79], s[6:7], v[64:65] op_sel_hi:[0,1]
	v_pk_mul_f32 v[60:61], s[6:7], v[62:63] op_sel_hi:[0,1]
	v_mfma_f32_16x16x16_f16 v[18:21], v[20:21], v[48:49], v[22:25]
	s_waitcnt vmcnt(8)
	v_mfma_f32_16x16x16_f16 v[18:21], v[10:11], v[42:43], v[18:21]
	s_waitcnt vmcnt(3)
	v_mad_i64_i32 v[22:23], s[4:5], v72, s9, 0
	s_waitcnt vmcnt(2)
	v_mad_i64_i32 v[10:11], s[4:5], v75, s9, 0
	v_lshlrev_b64 v[72:73], 1, v[22:23]
	v_lshlrev_b64 v[54:55], 1, v[10:11]
	v_lshl_add_u64 v[22:23], v[70:71], 0, v[72:73]
	v_lshl_add_u64 v[10:11], v[70:71], 0, v[54:55]
	global_load_dwordx4 v[30:33], v[22:23], off
	global_load_dwordx4 v[26:29], v[22:23], off offset:16
	v_mfma_f32_16x16x16_f16 v[92:95], v[12:13], v[44:45], v[18:21]
	global_load_dwordx4 v[22:25], v[10:11], off
	s_nop 1
	global_load_dwordx4 v[18:21], v[10:11], off offset:16
	v_pk_mul_f32 v[74:75], s[6:7], v[68:69] op_sel_hi:[0,1]
	v_mfma_f32_16x16x16_f16 v[10:13], v[6:7], v[14:15], 0
	s_waitcnt vmcnt(5)
	v_mad_i64_i32 v[6:7], s[4:5], v58, s9, 0
	v_lshlrev_b64 v[56:57], 1, v[6:7]
	v_mfma_f32_16x16x16_f16 v[6:9], v[8:9], v[16:17], v[10:13]
	v_mfma_f32_16x16x16_f16 v[6:9], v[2:3], v[50:51], v[6:9]
	s_nop 1
	v_lshl_add_u64 v[10:11], v[70:71], 0, v[56:57]
	global_load_dwordx4 v[14:17], v[10:11], off
	s_nop 0
	global_load_dwordx4 v[10:13], v[10:11], off offset:16
	s_waitcnt vmcnt(6)
	v_mad_i64_i32 v[2:3], s[4:5], v59, s9, 0
	v_mfma_f32_16x16x16_f16 v[50:53], v[4:5], v[52:53], v[6:9]
	v_lshlrev_b64 v[58:59], 1, v[2:3]
	v_lshl_add_u64 v[2:3], v[70:71], 0, v[58:59]
	v_pk_mul_f32 v[70:71], s[6:7], v[94:95] op_sel_hi:[0,1]
	v_mfma_f32_16x16x16_f16 v[50:53], v[38:39], v[46:47], v[50:53]
	v_lshl_add_u64 v[38:39], v[80:81], 0, v[72:73]
	v_pk_mul_f32 v[72:73], s[6:7], v[92:93] op_sel_hi:[0,1]
	v_lshl_add_u64 v[58:59], v[80:81], 0, v[58:59]
	v_mfma_f32_16x16x16_f16 v[46:49], v[40:41], v[48:49], v[50:53]
	global_load_dwordx4 v[6:9], v[2:3], off
	s_nop 0
	global_load_dwordx4 v[2:5], v[2:3], off offset:16
	v_mfma_f32_16x16x16_f16 v[40:43], v[34:35], v[42:43], v[46:49]
	v_mfma_f32_16x16x16_f16 v[34:37], v[36:37], v[44:45], v[40:43]
	s_nop 6
	v_pk_mul_f32 v[68:69], s[6:7], v[34:35] op_sel_hi:[0,1]
	v_and_b32_e32 v34, 0xc0, v0
	v_add_u32_e32 v34, s18, v34
	v_lshl_or_b32 v34, v1, 2, v34
	v_or_b32_e32 v35, 1, v34
	v_pk_mul_f32 v[66:67], s[6:7], v[36:37] op_sel_hi:[0,1]
	v_subrev_u32_e32 v36, s27, v35
	v_add_u32_e32 v40, 1, v36
	v_add_u32_e32 v41, 2, v36
	v_cvt_f32_i32_e32 v37, v36
	v_cvt_f32_i32_e32 v40, v40
	;; [unrolled: 1-line block ×3, first 2 shown]
	v_add_u32_e32 v42, 3, v36
	v_fma_f32 v60, v89, v37, v60
	v_fmac_f32_e32 v61, v89, v40
	v_fma_f32 v78, v89, v41, v78
	v_add_u32_e32 v37, 16, v36
	v_add_u32_e32 v40, 17, v36
	v_add_u32_e32 v41, 18, v36
	v_cvt_f32_i32_e32 v42, v42
	v_cvt_f32_i32_e32 v37, v37
	v_cvt_f32_i32_e32 v40, v40
	v_cvt_f32_i32_e32 v41, v41
	v_fmac_f32_e32 v79, v89, v42
	v_add_u32_e32 v42, 19, v36
	v_fma_f32 v76, v89, v37, v76
	v_fmac_f32_e32 v77, v89, v40
	v_fma_f32 v74, v89, v41, v74
	v_add_u32_e32 v37, 32, v36
	v_add_u32_e32 v40, 33, v36
	;; [unrolled: 1-line block ×3, first 2 shown]
	v_cvt_f32_i32_e32 v42, v42
	v_cvt_f32_i32_e32 v37, v37
	;; [unrolled: 1-line block ×4, first 2 shown]
	v_fmac_f32_e32 v75, v89, v42
	v_add_u32_e32 v42, 35, v36
	v_fma_f32 v72, v89, v37, v72
	v_fmac_f32_e32 v73, v89, v40
	v_fma_f32 v70, v89, v41, v70
	v_add_u32_e32 v37, 48, v36
	v_add_u32_e32 v40, 49, v36
	;; [unrolled: 1-line block ×4, first 2 shown]
	v_cvt_f32_i32_e32 v36, v36
	v_cvt_f32_i32_e32 v37, v37
	;; [unrolled: 1-line block ×3, first 2 shown]
	v_cmp_gt_i32_e64 s[28:29], s27, v34
	v_fmac_f32_e32 v67, v89, v36
	v_mov_b32_e32 v36, 0xff7fffff
	v_cmp_gt_i32_e64 s[30:31], s27, v35
	v_fma_f32 v68, v89, v37, v68
	v_cndmask_b32_e64 v37, v36, v60, s[28:29]
	v_cndmask_b32_e64 v35, v36, v61, s[30:31]
	v_fmac_f32_e32 v69, v89, v40
	v_max3_f32 v35, v37, s33, v35
	v_or_b32_e32 v37, 2, v34
	v_or_b32_e32 v40, 3, v34
	v_cmp_gt_i32_e64 s[34:35], s27, v37
	v_cmp_gt_i32_e64 s[36:37], s27, v40
	v_cvt_f32_i32_e32 v42, v42
	v_cndmask_b32_e64 v37, v36, v78, s[34:35]
	v_cndmask_b32_e64 v40, v36, v79, s[36:37]
	v_max3_f32 v35, v35, v37, v40
	v_or_b32_e32 v37, 16, v34
	v_or_b32_e32 v40, 17, v34
	v_cmp_gt_i32_e64 s[22:23], s27, v37
	v_cmp_gt_i32_e64 s[24:25], s27, v40
	v_fmac_f32_e32 v71, v89, v42
	v_cndmask_b32_e64 v37, v36, v76, s[22:23]
	v_cndmask_b32_e64 v40, v36, v77, s[24:25]
	v_max3_f32 v35, v35, v37, v40
	v_or_b32_e32 v37, 18, v34
	v_or_b32_e32 v40, 19, v34
	v_cmp_gt_i32_e64 s[18:19], s27, v37
	v_cmp_gt_i32_e64 s[20:21], s27, v40
	v_cvt_f32_i32_e32 v41, v41
	v_cndmask_b32_e64 v37, v36, v74, s[18:19]
	v_cndmask_b32_e64 v40, v36, v75, s[20:21]
	v_max3_f32 v35, v35, v37, v40
	v_or_b32_e32 v37, 32, v34
	v_or_b32_e32 v40, 33, v34
	v_cmp_gt_i32_e64 s[14:15], s27, v37
	v_cmp_gt_i32_e64 s[16:17], s27, v40
	v_fma_f32 v66, v89, v41, v66
	v_cndmask_b32_e64 v37, v36, v72, s[14:15]
	v_cndmask_b32_e64 v40, v36, v73, s[16:17]
	v_max3_f32 v35, v35, v37, v40
	v_or_b32_e32 v37, 34, v34
	v_or_b32_e32 v40, 35, v34
	v_cmp_gt_i32_e64 s[10:11], s27, v37
	v_cmp_gt_i32_e64 s[12:13], s27, v40
	s_nop 0
	v_cndmask_b32_e64 v37, v36, v70, s[10:11]
	v_cndmask_b32_e64 v40, v36, v71, s[12:13]
	v_max3_f32 v35, v35, v37, v40
	v_or_b32_e32 v37, 48, v34
	v_or_b32_e32 v40, 49, v34
	v_cmp_gt_i32_e64 s[6:7], s27, v37
	v_cmp_gt_i32_e64 s[8:9], s27, v40
	s_nop 0
	v_cndmask_b32_e64 v37, v36, v68, s[6:7]
	v_cndmask_b32_e64 v40, v36, v69, s[8:9]
	v_max3_f32 v35, v35, v37, v40
	v_or_b32_e32 v37, 50, v34
	v_or_b32_e32 v34, 51, v34
	v_cmp_gt_i32_e32 vcc, s27, v37
	v_cmp_gt_i32_e64 s[4:5], s27, v34
	global_load_dwordx4 v[46:49], v[38:39], off
	s_nop 0
	global_load_dwordx4 v[38:41], v[38:39], off offset:16
	v_cndmask_b32_e32 v37, v36, v66, vcc
	v_cndmask_b32_e64 v34, v36, v67, s[4:5]
	v_max3_f32 v50, v35, v37, v34
	v_mbcnt_lo_u32_b32 v34, -1, 0
	v_mbcnt_hi_u32_b32 v51, -1, v34
	v_and_b32_e32 v34, 64, v51
	v_add_u32_e32 v52, 64, v34
	v_xor_b32_e32 v34, 32, v51
	v_cmp_lt_i32_e64 s[38:39], v34, v52
	s_nop 1
	v_cndmask_b32_e64 v34, v51, v34, s[38:39]
	v_lshlrev_b32_e32 v87, 2, v34
	ds_bpermute_b32 v53, v87, v50
	v_lshl_add_u64 v[34:35], v[80:81], 0, v[54:55]
	global_load_dwordx4 v[42:45], v[34:35], off
	s_nop 0
	global_load_dwordx4 v[34:37], v[34:35], off offset:16
	s_waitcnt lgkmcnt(0)
	v_max_f32_e32 v53, v53, v53
	v_max_f32_e32 v62, v50, v53
	v_xor_b32_e32 v50, 16, v51
	v_cmp_lt_i32_e64 s[38:39], v50, v52
	s_nop 1
	v_cndmask_b32_e64 v50, v51, v50, s[38:39]
	v_lshlrev_b32_e32 v89, 2, v50
	ds_bpermute_b32 v63, v89, v62
	v_lshl_add_u64 v[50:51], v[80:81], 0, v[56:57]
	global_load_dwordx4 v[54:57], v[50:51], off
	s_nop 0
	global_load_dwordx4 v[50:53], v[50:51], off offset:16
	s_waitcnt lgkmcnt(0)
	v_max_f32_e32 v63, v63, v63
	v_max_f32_e32 v86, v62, v63
	v_sub_f32_e32 v60, v60, v86
	v_mul_f32_e32 v60, 0x3fb8aa3b, v60
	v_exp_f32_e32 v80, v60
	v_sub_f32_e32 v60, v61, v86
	v_mul_f32_e32 v60, 0x3fb8aa3b, v60
	v_exp_f32_e32 v81, v60
	global_load_dwordx4 v[62:65], v[58:59], off
	s_nop 0
	global_load_dwordx4 v[58:61], v[58:59], off offset:16
	v_sub_f32_e32 v78, v78, v86
	v_mul_f32_e32 v78, 0x3fb8aa3b, v78
	v_sub_f32_e32 v79, v79, v86
	v_exp_f32_e32 v78, v78
	v_mul_f32_e32 v79, 0x3fb8aa3b, v79
	v_sub_f32_e32 v76, v76, v86
	v_exp_f32_e32 v79, v79
	v_mul_f32_e32 v76, 0x3fb8aa3b, v76
	v_sub_f32_e32 v77, v77, v86
	v_cndmask_b32_e64 v80, 0, v80, s[28:29]
	v_exp_f32_e32 v76, v76
	v_mul_f32_e32 v77, 0x3fb8aa3b, v77
	v_sub_f32_e32 v74, v74, v86
	v_add_f32_e32 v91, 0, v80
	v_cndmask_b32_e64 v81, 0, v81, s[30:31]
	v_exp_f32_e32 v77, v77
	v_mul_f32_e32 v74, 0x3fb8aa3b, v74
	v_sub_f32_e32 v75, v75, v86
	v_add_f32_e32 v91, v91, v81
	;; [unrolled: 5-line block ×10, first 2 shown]
	v_cndmask_b32_e64 v70, 0, v70, s[10:11]
	v_exp_f32_e32 v66, v66
	v_mul_f32_e32 v67, 0x3fb8aa3b, v67
	v_add_f32_e32 v91, v91, v70
	v_cndmask_b32_e64 v71, 0, v71, s[12:13]
	v_exp_f32_e32 v67, v67
	v_add_f32_e32 v91, v91, v71
	v_cndmask_b32_e64 v68, 0, v68, s[6:7]
	v_add_f32_e32 v91, v91, v68
	v_cndmask_b32_e64 v69, 0, v69, s[8:9]
	v_add_f32_e32 v91, v91, v69
	v_cndmask_b32_e32 v66, 0, v66, vcc
	v_add_f32_e32 v91, v91, v66
	v_cndmask_b32_e64 v67, 0, v67, s[4:5]
	v_add_f32_e32 v91, v91, v67
	ds_bpermute_b32 v87, v87, v91
	s_load_dword s7, s[0:1], 0x98
	v_cmp_gt_u32_e32 vcc, 16, v85
	s_waitcnt lgkmcnt(0)
	s_barrier
	v_add_f32_e32 v87, v91, v87
	ds_bpermute_b32 v89, v89, v87
	s_waitcnt lgkmcnt(0)
	s_and_saveexec_b64 s[4:5], vcc
	s_cbranch_execz .LBB353_17
; %bb.16:
	v_add_f32_e32 v85, v87, v89
	v_lshlrev_b32_e32 v87, 2, v90
	ds_write2st64_b32 v87, v86, v85 offset1:1
.LBB353_17:
	s_or_b64 exec, exec, s[4:5]
	v_lshlrev_b32_e32 v85, 2, v84
	s_load_dword s6, s[0:1], 0x94
	s_waitcnt lgkmcnt(0)
	s_barrier
	ds_read2_b32 v[90:91], v85 offset1:16
	ds_read2_b32 v[92:93], v85 offset0:32 offset1:48
	ds_read2_b32 v[94:95], v85 offset0:64 offset1:80
	s_mul_i32 s7, s7, 10
	s_waitcnt lgkmcnt(2)
	v_max3_f32 v86, v90, s33, v91
	s_waitcnt lgkmcnt(1)
	v_max3_f32 v86, v86, v92, v93
	v_sub_f32_e32 v87, v90, v86
	v_mul_f32_e32 v87, 0x3fb8aa3b, v87
	v_exp_f32_e32 v89, v87
	v_sub_f32_e32 v87, v91, v86
	v_mul_f32_e32 v87, 0x3fb8aa3b, v87
	v_exp_f32_e32 v88, v87
	v_sub_f32_e32 v87, v92, v86
	v_mul_f32_e32 v87, 0x3fb8aa3b, v87
	ds_read2_b32 v[90:91], v85 offset0:96 offset1:112
	v_sub_f32_e32 v85, v93, v86
	v_exp_f32_e32 v92, v87
	v_mul_f32_e32 v85, 0x3fb8aa3b, v85
	v_exp_f32_e32 v85, v85
	s_waitcnt lgkmcnt(1)
	v_fma_f32 v87, v89, v94, 0
	v_fmac_f32_e32 v87, v88, v95
	s_waitcnt lgkmcnt(0)
	v_fmac_f32_e32 v87, v92, v90
	v_fmac_f32_e32 v87, v85, v91
	v_add_f32_e32 v90, 0x358637bd, v87
	v_div_scale_f32 v91, s[4:5], v90, v90, 1.0
	v_rcp_f32_e32 v93, v91
	s_barrier
	v_fma_f32 v94, -v91, v93, 1.0
	v_fmac_f32_e32 v93, v94, v93
	v_div_scale_f32 v94, vcc, 1.0, v90, 1.0
	v_mul_f32_e32 v95, v94, v93
	v_fma_f32 v1, -v91, v95, v94
	v_fmac_f32_e32 v95, v1, v93
	v_fma_f32 v1, -v91, v95, v94
	v_lshrrev_b32_e32 v91, 6, v0
	v_div_fmas_f32 v1, v1, v93, v95
	v_cmp_eq_u32_e32 vcc, 1, v91
	v_div_fixup_f32 v1, v1, v90, 1.0
	s_nop 0
	v_cndmask_b32_e32 v88, v89, v88, vcc
	v_cmp_eq_u32_e32 vcc, 2, v91
	s_nop 1
	v_cndmask_b32_e32 v88, v88, v92, vcc
	v_cmp_eq_u32_e32 vcc, 3, v91
	s_nop 1
	v_cndmask_b32_e32 v85, v88, v85, vcc
	v_mul_f32_e32 v90, v85, v1
	v_pk_mul_f32 v[78:79], v[90:91], v[78:79] op_sel_hi:[0,1]
	v_cvt_f16_f32_e32 v78, v78
	v_cvt_f16_f32_e32 v79, v79
	v_pk_mul_f32 v[80:81], v[90:91], v[80:81] op_sel_hi:[0,1]
	v_cvt_f16_f32_e32 v1, v80
	v_cvt_f16_f32_e32 v80, v81
	v_pk_mul_f32 v[74:75], v[90:91], v[74:75] op_sel_hi:[0,1]
	v_pk_mul_f32 v[76:77], v[90:91], v[76:77] op_sel_hi:[0,1]
	v_pack_b32_f16 v81, v78, v79
	v_cvt_f16_f32_e32 v76, v76
	v_cvt_f16_f32_e32 v77, v77
	;; [unrolled: 1-line block ×4, first 2 shown]
	v_bfe_u32 v88, v0, 4, 2
	v_pack_b32_f16 v80, v1, v80
	v_lshlrev_b32_e32 v1, 3, v88
	v_lshlrev_b32_e32 v78, 5, v84
	;; [unrolled: 1-line block ×3, first 2 shown]
	v_or3_b32 v1, v74, v78, v1
	v_pack_b32_f16 v74, v76, v77
	v_pack_b32_f16 v75, v79, v75
	v_pk_mul_f32 v[70:71], v[90:91], v[70:71] op_sel_hi:[0,1]
	v_pk_mul_f32 v[72:73], v[90:91], v[72:73] op_sel_hi:[0,1]
	;; [unrolled: 1-line block ×4, first 2 shown]
	ds_write2st64_b64 v1, v[80:81], v[74:75] offset1:1
	v_cvt_f16_f32_e32 v72, v72
	v_cvt_f16_f32_e32 v73, v73
	;; [unrolled: 1-line block ×8, first 2 shown]
	v_pack_b32_f16 v66, v72, v73
	v_pack_b32_f16 v67, v70, v71
	v_pack_b32_f16 v68, v68, v69
	v_pack_b32_f16 v69, v74, v75
	v_cmp_gt_u32_e32 vcc, 10, v0
	ds_write2st64_b64 v1, v[66:67], v[68:69] offset0:2 offset1:3
	s_and_saveexec_b64 s[4:5], vcc
	s_cbranch_execz .LBB353_19
; %bb.18:
	s_mov_b32 s41, 0
	v_mov_b32_e32 v85, 0
	v_lshl_add_u64 v[66:67], s[40:41], 0, v[84:85]
	v_mov_b32_e32 v68, s7
	v_mad_u64_u32 v[66:67], s[12:13], s2, v68, v[66:67]
	s_mul_i32 s3, s3, s7
	v_mov_b32_e32 v68, s26
	v_mov_b32_e32 v69, v85
	s_load_dwordx4 s[8:11], s[0:1], 0x58
	v_add_u32_e32 v70, s3, v67
	v_mad_u64_u32 v[66:67], s[12:13], v66, s6, v[68:69]
	v_mov_b32_e32 v68, v67
	v_mad_u64_u32 v[68:69], s[12:13], v70, s6, v[68:69]
	v_mov_b32_e32 v67, v68
	v_lshlrev_b64 v[66:67], 2, v[66:67]
	s_waitcnt lgkmcnt(0)
	v_lshl_add_u64 v[68:69], s[10:11], 0, v[66:67]
	v_lshl_add_u64 v[66:67], s[8:9], 0, v[66:67]
	global_store_dword v[68:69], v86, off
	global_store_dword v[66:67], v87, off
.LBB353_19:
	s_or_b64 exec, exec, s[4:5]
	v_lshl_or_b32 v78, v88, 9, v78
	s_waitcnt lgkmcnt(0)
	s_barrier
	ds_read_b128 v[70:73], v78
	ds_read_b128 v[66:69], v78 offset:16
	s_waitcnt vmcnt(15) lgkmcnt(1)
	v_mfma_f32_16x16x16_f16 v[74:77], v[30:31], v[70:71], 0
	s_mov_b32 s3, 0
	v_cmp_gt_u32_e32 vcc, 64, v0
	v_mfma_f32_16x16x16_f16 v[30:33], v[32:33], v[72:73], v[74:77]
	s_waitcnt vmcnt(14) lgkmcnt(0)
	v_mfma_f32_16x16x16_f16 v[30:33], v[26:27], v[66:67], v[30:33]
	v_mfma_f32_16x16x16_f16 v[26:29], v[28:29], v[68:69], v[30:33]
	s_nop 5
	ds_read_b128 v[30:33], v78 offset:2048
	ds_read_b128 v[74:77], v78 offset:2064
	s_waitcnt vmcnt(13) lgkmcnt(1)
	v_mfma_f32_16x16x16_f16 v[26:29], v[22:23], v[30:31], v[26:29]
	v_mfma_f32_16x16x16_f16 v[22:25], v[24:25], v[32:33], v[26:29]
	s_waitcnt vmcnt(12) lgkmcnt(0)
	v_mfma_f32_16x16x16_f16 v[22:25], v[18:19], v[74:75], v[22:25]
	v_mfma_f32_16x16x16_f16 v[18:21], v[20:21], v[76:77], v[22:25]
	s_nop 5
	ds_read_b128 v[22:25], v78 offset:4096
	ds_read_b128 v[26:29], v78 offset:4112
	s_waitcnt vmcnt(11) lgkmcnt(1)
	v_mfma_f32_16x16x16_f16 v[18:21], v[14:15], v[22:23], v[18:21]
	v_mfma_f32_16x16x16_f16 v[14:17], v[16:17], v[24:25], v[18:21]
	s_waitcnt vmcnt(10) lgkmcnt(0)
	v_mfma_f32_16x16x16_f16 v[14:17], v[10:11], v[26:27], v[14:17]
	v_mfma_f32_16x16x16_f16 v[10:13], v[12:13], v[28:29], v[14:17]
	s_nop 5
	ds_read_b128 v[14:17], v78 offset:6144
	ds_read_b128 v[18:21], v78 offset:6160
	s_waitcnt lgkmcnt(0)
	s_barrier
	s_waitcnt vmcnt(9)
	v_mfma_f32_16x16x16_f16 v[10:13], v[6:7], v[14:15], v[10:13]
	v_mfma_f32_16x16x16_f16 v[6:9], v[8:9], v[16:17], v[10:13]
	s_waitcnt vmcnt(8)
	v_mfma_f32_16x16x16_f16 v[6:9], v[2:3], v[18:19], v[6:9]
	v_mfma_f32_16x16x16_f16 v[2:5], v[4:5], v[20:21], v[6:9]
	;; [unrolled: 3-line block ×3, first 2 shown]
	s_nop 3
	v_cvt_f16_f32_e32 v10, v2
	v_cvt_f16_f32_e32 v11, v3
	;; [unrolled: 1-line block ×3, first 2 shown]
	s_waitcnt vmcnt(6)
	v_mfma_f32_16x16x16_f16 v[6:9], v[38:39], v[66:67], v[6:9]
	v_cvt_f16_f32_e32 v13, v5
	v_mfma_f32_16x16x16_f16 v[6:9], v[40:41], v[68:69], v[6:9]
	s_waitcnt vmcnt(5)
	v_mfma_f32_16x16x16_f16 v[6:9], v[42:43], v[30:31], v[6:9]
	v_mfma_f32_16x16x16_f16 v[6:9], v[44:45], v[32:33], v[6:9]
	s_waitcnt vmcnt(4)
	v_mfma_f32_16x16x16_f16 v[6:9], v[34:35], v[74:75], v[6:9]
	v_mfma_f32_16x16x16_f16 v[6:9], v[36:37], v[76:77], v[6:9]
	s_waitcnt vmcnt(3)
	v_mfma_f32_16x16x16_f16 v[6:9], v[54:55], v[22:23], v[6:9]
	v_mfma_f32_16x16x16_f16 v[6:9], v[56:57], v[24:25], v[6:9]
	s_waitcnt vmcnt(2)
	v_mfma_f32_16x16x16_f16 v[6:9], v[50:51], v[26:27], v[6:9]
	v_mfma_f32_16x16x16_f16 v[6:9], v[52:53], v[28:29], v[6:9]
	s_waitcnt vmcnt(1)
	v_mfma_f32_16x16x16_f16 v[6:9], v[62:63], v[14:15], v[6:9]
	v_mfma_f32_16x16x16_f16 v[6:9], v[64:65], v[16:17], v[6:9]
	s_waitcnt vmcnt(0)
	v_mfma_f32_16x16x16_f16 v[6:9], v[58:59], v[18:19], v[6:9]
	v_mfma_f32_16x16x16_f16 v[2:5], v[60:61], v[20:21], v[6:9]
	s_nop 6
	v_cvt_f16_f32_e32 v6, v2
	v_cvt_f16_f32_e32 v7, v3
	;; [unrolled: 1-line block ×4, first 2 shown]
	v_pack_b32_f16 v2, v10, v11
	v_pack_b32_f16 v3, v12, v13
	;; [unrolled: 1-line block ×4, first 2 shown]
	ds_write2st64_b64 v1, v[2:3], v[4:5] offset1:1
	s_waitcnt lgkmcnt(0)
	s_barrier
	s_and_saveexec_b64 s[4:5], vcc
	s_cbranch_execz .LBB353_22
; %bb.20:
	s_load_dwordx2 s[4:5], s[0:1], 0x68
	s_lshl_b32 s0, s6, 7
	s_mul_i32 s1, s7, s2
	v_lshlrev_b32_e32 v3, 6, v84
	s_mul_hi_u32 s7, s1, s0
	s_mul_i32 s6, s1, s0
	v_lshlrev_b32_e32 v2, 4, v0
	v_lshl_or_b32 v0, v0, 10, v3
	s_lshl_b64 s[6:7], s[6:7], 1
	v_lshlrev_b32_e32 v1, 5, v88
	v_and_b32_e32 v2, 16, v2
	v_and_b32_e32 v0, 0x1a00, v0
	s_waitcnt lgkmcnt(0)
	s_add_u32 s1, s4, s6
	v_or3_b32 v2, v0, v1, v2
	s_addc_u32 s4, s5, s7
	s_lshl_b32 s2, s26, 7
	s_lshl_b64 s[2:3], s[2:3], 1
	ds_read_b128 v[4:7], v2 offset:128
	ds_read_b128 v[8:11], v2
	s_add_u32 s2, s1, s2
	s_addc_u32 s3, s4, s3
	v_add_u32_e32 v14, s40, v88
	v_lshl_add_u64 v[0:1], v[82:83], 1, s[2:3]
	v_mad_u64_u32 v[12:13], s[2:3], v14, s0, 0
	v_lshl_add_u64 v[12:13], v[12:13], 1, v[0:1]
	s_waitcnt lgkmcnt(0)
	global_store_dwordx4 v[12:13], v[8:11], off
	v_or_b32_e32 v3, 8, v88
	v_cmp_gt_u32_e32 vcc, 10, v3
	v_add_u32_e32 v8, 4, v14
	v_mad_u64_u32 v[8:9], s[2:3], v8, s0, 0
	v_lshl_add_u64 v[8:9], v[8:9], 1, v[0:1]
	global_store_dwordx4 v[8:9], v[4:7], off
	s_and_b64 exec, exec, vcc
	s_cbranch_execz .LBB353_22
; %bb.21:
	ds_read_b128 v[4:7], v2 offset:256
	v_add_u32_e32 v2, s40, v3
	v_mad_u64_u32 v[2:3], s[0:1], v2, s0, 0
	v_lshl_add_u64 v[0:1], v[2:3], 1, v[0:1]
	s_waitcnt lgkmcnt(0)
	global_store_dwordx4 v[0:1], v[4:7], off
.LBB353_22:
	s_endpgm
	.section	.rodata,"a",@progbits
	.p2align	6, 0x0
	.amdhsa_kernel _Z39paged_attention_ll4mi_QKV_mfma16_kernelIDF16_DF16_LN4vllm18Fp8KVCacheDataTypeE0EDF16_Li32ELi128ELi256ELb1ELi10EEvPKT_PKT0_S7_ifPKiS9_S9_iPKfiiiPfSC_PS2_PT2_iSB_SB_
		.amdhsa_group_segment_fixed_size 8192
		.amdhsa_private_segment_fixed_size 0
		.amdhsa_kernarg_size 400
		.amdhsa_user_sgpr_count 2
		.amdhsa_user_sgpr_dispatch_ptr 0
		.amdhsa_user_sgpr_queue_ptr 0
		.amdhsa_user_sgpr_kernarg_segment_ptr 1
		.amdhsa_user_sgpr_dispatch_id 0
		.amdhsa_user_sgpr_kernarg_preload_length 0
		.amdhsa_user_sgpr_kernarg_preload_offset 0
		.amdhsa_user_sgpr_private_segment_size 0
		.amdhsa_uses_dynamic_stack 0
		.amdhsa_enable_private_segment 0
		.amdhsa_system_sgpr_workgroup_id_x 1
		.amdhsa_system_sgpr_workgroup_id_y 1
		.amdhsa_system_sgpr_workgroup_id_z 1
		.amdhsa_system_sgpr_workgroup_info 0
		.amdhsa_system_vgpr_workitem_id 0
		.amdhsa_next_free_vgpr 96
		.amdhsa_next_free_sgpr 42
		.amdhsa_accum_offset 96
		.amdhsa_reserve_vcc 1
		.amdhsa_float_round_mode_32 0
		.amdhsa_float_round_mode_16_64 0
		.amdhsa_float_denorm_mode_32 3
		.amdhsa_float_denorm_mode_16_64 3
		.amdhsa_dx10_clamp 1
		.amdhsa_ieee_mode 1
		.amdhsa_fp16_overflow 0
		.amdhsa_tg_split 0
		.amdhsa_exception_fp_ieee_invalid_op 0
		.amdhsa_exception_fp_denorm_src 0
		.amdhsa_exception_fp_ieee_div_zero 0
		.amdhsa_exception_fp_ieee_overflow 0
		.amdhsa_exception_fp_ieee_underflow 0
		.amdhsa_exception_fp_ieee_inexact 0
		.amdhsa_exception_int_div_zero 0
	.end_amdhsa_kernel
	.section	.text._Z39paged_attention_ll4mi_QKV_mfma16_kernelIDF16_DF16_LN4vllm18Fp8KVCacheDataTypeE0EDF16_Li32ELi128ELi256ELb1ELi10EEvPKT_PKT0_S7_ifPKiS9_S9_iPKfiiiPfSC_PS2_PT2_iSB_SB_,"axG",@progbits,_Z39paged_attention_ll4mi_QKV_mfma16_kernelIDF16_DF16_LN4vllm18Fp8KVCacheDataTypeE0EDF16_Li32ELi128ELi256ELb1ELi10EEvPKT_PKT0_S7_ifPKiS9_S9_iPKfiiiPfSC_PS2_PT2_iSB_SB_,comdat
.Lfunc_end353:
	.size	_Z39paged_attention_ll4mi_QKV_mfma16_kernelIDF16_DF16_LN4vllm18Fp8KVCacheDataTypeE0EDF16_Li32ELi128ELi256ELb1ELi10EEvPKT_PKT0_S7_ifPKiS9_S9_iPKfiiiPfSC_PS2_PT2_iSB_SB_, .Lfunc_end353-_Z39paged_attention_ll4mi_QKV_mfma16_kernelIDF16_DF16_LN4vllm18Fp8KVCacheDataTypeE0EDF16_Li32ELi128ELi256ELb1ELi10EEvPKT_PKT0_S7_ifPKiS9_S9_iPKfiiiPfSC_PS2_PT2_iSB_SB_
                                        ; -- End function
	.section	.AMDGPU.csdata,"",@progbits
; Kernel info:
; codeLenInByte = 4888
; NumSgprs: 48
; NumVgprs: 96
; NumAgprs: 0
; TotalNumVgprs: 96
; ScratchSize: 0
; MemoryBound: 0
; FloatMode: 240
; IeeeMode: 1
; LDSByteSize: 8192 bytes/workgroup (compile time only)
; SGPRBlocks: 5
; VGPRBlocks: 11
; NumSGPRsForWavesPerEU: 48
; NumVGPRsForWavesPerEU: 96
; AccumOffset: 96
; Occupancy: 5
; WaveLimiterHint : 1
; COMPUTE_PGM_RSRC2:SCRATCH_EN: 0
; COMPUTE_PGM_RSRC2:USER_SGPR: 2
; COMPUTE_PGM_RSRC2:TRAP_HANDLER: 0
; COMPUTE_PGM_RSRC2:TGID_X_EN: 1
; COMPUTE_PGM_RSRC2:TGID_Y_EN: 1
; COMPUTE_PGM_RSRC2:TGID_Z_EN: 1
; COMPUTE_PGM_RSRC2:TIDIG_COMP_CNT: 0
; COMPUTE_PGM_RSRC3_GFX90A:ACCUM_OFFSET: 23
; COMPUTE_PGM_RSRC3_GFX90A:TG_SPLIT: 0
	.section	.text._Z39paged_attention_ll4mi_QKV_mfma16_kernelIDF16_DF16_LN4vllm18Fp8KVCacheDataTypeE0EDF16_Li32ELi128ELi256ELb1ELi11EEvPKT_PKT0_S7_ifPKiS9_S9_iPKfiiiPfSC_PS2_PT2_iSB_SB_,"axG",@progbits,_Z39paged_attention_ll4mi_QKV_mfma16_kernelIDF16_DF16_LN4vllm18Fp8KVCacheDataTypeE0EDF16_Li32ELi128ELi256ELb1ELi11EEvPKT_PKT0_S7_ifPKiS9_S9_iPKfiiiPfSC_PS2_PT2_iSB_SB_,comdat
	.protected	_Z39paged_attention_ll4mi_QKV_mfma16_kernelIDF16_DF16_LN4vllm18Fp8KVCacheDataTypeE0EDF16_Li32ELi128ELi256ELb1ELi11EEvPKT_PKT0_S7_ifPKiS9_S9_iPKfiiiPfSC_PS2_PT2_iSB_SB_ ; -- Begin function _Z39paged_attention_ll4mi_QKV_mfma16_kernelIDF16_DF16_LN4vllm18Fp8KVCacheDataTypeE0EDF16_Li32ELi128ELi256ELb1ELi11EEvPKT_PKT0_S7_ifPKiS9_S9_iPKfiiiPfSC_PS2_PT2_iSB_SB_
	.globl	_Z39paged_attention_ll4mi_QKV_mfma16_kernelIDF16_DF16_LN4vllm18Fp8KVCacheDataTypeE0EDF16_Li32ELi128ELi256ELb1ELi11EEvPKT_PKT0_S7_ifPKiS9_S9_iPKfiiiPfSC_PS2_PT2_iSB_SB_
	.p2align	8
	.type	_Z39paged_attention_ll4mi_QKV_mfma16_kernelIDF16_DF16_LN4vllm18Fp8KVCacheDataTypeE0EDF16_Li32ELi128ELi256ELb1ELi11EEvPKT_PKT0_S7_ifPKiS9_S9_iPKfiiiPfSC_PS2_PT2_iSB_SB_,@function
_Z39paged_attention_ll4mi_QKV_mfma16_kernelIDF16_DF16_LN4vllm18Fp8KVCacheDataTypeE0EDF16_Li32ELi128ELi256ELb1ELi11EEvPKT_PKT0_S7_ifPKiS9_S9_iPKfiiiPfSC_PS2_PT2_iSB_SB_: ; @_Z39paged_attention_ll4mi_QKV_mfma16_kernelIDF16_DF16_LN4vllm18Fp8KVCacheDataTypeE0EDF16_Li32ELi128ELi256ELb1ELi11EEvPKT_PKT0_S7_ifPKiS9_S9_iPKfiiiPfSC_PS2_PT2_iSB_SB_
; %bb.0:
	s_load_dwordx2 s[8:9], s[0:1], 0x30
	s_mov_b32 s26, s3
	s_mov_b64 s[6:7], 0
	s_waitcnt lgkmcnt(0)
	s_cmp_lg_u64 s[8:9], 0
	s_cselect_b64 s[10:11], -1, 0
	s_and_b64 vcc, exec, s[10:11]
	s_cbranch_vccz .LBB354_7
; %bb.1:
	s_add_i32 s12, s2, 1
	s_mov_b32 s13, 0
	s_lshl_b64 s[14:15], s[12:13], 2
	s_add_u32 s14, s8, s14
	s_mov_b32 s3, s13
	s_addc_u32 s15, s9, s15
	s_lshl_b64 s[12:13], s[2:3], 2
	s_add_u32 s12, s8, s12
	s_addc_u32 s13, s9, s13
	s_load_dword s5, s[14:15], 0x0
	s_load_dword s16, s[12:13], 0x0
	s_waitcnt lgkmcnt(0)
	s_sub_i32 s5, s5, s16
	s_cmp_eq_u32 s5, 1
	s_cselect_b64 s[12:13], -1, 0
	s_andn2_b64 vcc, exec, s[6:7]
	s_cbranch_vccnz .LBB354_3
.LBB354_2:
	s_mov_b32 s3, 0
	s_mov_b64 s[12:13], -1
.LBB354_3:
	s_andn2_b64 vcc, exec, s[12:13]
	s_cbranch_vccnz .LBB354_22
; %bb.4:
	s_load_dwordx2 s[6:7], s[0:1], 0x28
	s_lshl_b64 s[12:13], s[2:3], 2
	s_waitcnt lgkmcnt(0)
	s_add_u32 s6, s6, s12
	s_addc_u32 s7, s7, s13
	s_load_dword s27, s[6:7], 0x0
	s_lshl_b32 s18, s26, 8
	s_waitcnt lgkmcnt(0)
	s_cmp_ge_i32 s18, s27
	s_cbranch_scc1 .LBB354_22
; %bb.5:
	s_load_dwordx2 s[6:7], s[0:1], 0x20
	s_load_dword s5, s[0:1], 0x38
	s_add_i32 s14, s27, 31
	s_ashr_i32 s15, s14, 31
	v_and_b32_e32 v1, 0xcf, v0
	s_lshr_b32 s15, s15, 27
	v_add_u32_e32 v1, s18, v1
	s_add_i32 s14, s14, s15
	v_ashrrev_i32_e32 v2, 31, v1
	s_ashr_i32 s19, s14, 5
	v_lshrrev_b32_e32 v4, 27, v2
	s_add_i32 s19, s19, -1
	s_waitcnt lgkmcnt(0)
	s_mul_i32 s14, s2, s5
	s_mov_b32 s15, 0
	v_add_u32_e32 v2, v1, v4
	s_lshl_b64 s[14:15], s[14:15], 2
	v_ashrrev_i32_e32 v2, 5, v2
	v_mov_b32_e32 v5, s19
	v_cmp_gt_i32_e32 vcc, s27, v1
	s_add_u32 s6, s6, s14
	s_addc_u32 s7, s7, s15
	v_cndmask_b32_e32 v2, v5, v2, vcc
	v_ashrrev_i32_e32 v3, 31, v2
	v_lshl_add_u64 v[6:7], v[2:3], 2, s[6:7]
	v_or_b32_e32 v2, 16, v1
	v_add_u32_e32 v3, v2, v4
	v_ashrrev_i32_e32 v3, 5, v3
	v_cmp_gt_i32_e32 vcc, s27, v2
	s_nop 1
	v_cndmask_b32_e32 v2, v5, v3, vcc
	v_ashrrev_i32_e32 v3, 31, v2
	v_lshl_add_u64 v[8:9], v[2:3], 2, s[6:7]
	v_or_b32_e32 v2, 32, v1
	v_add_u32_e32 v3, v2, v4
	v_ashrrev_i32_e32 v3, 5, v3
	v_cmp_gt_i32_e32 vcc, s27, v2
	v_or_b32_e32 v1, 48, v1
	s_nop 0
	v_cndmask_b32_e32 v2, v5, v3, vcc
	v_ashrrev_i32_e32 v3, 31, v2
	v_lshl_add_u64 v[10:11], v[2:3], 2, s[6:7]
	v_add_u32_e32 v2, v1, v4
	v_ashrrev_i32_e32 v2, 5, v2
	v_cmp_gt_i32_e32 vcc, s27, v1
	s_nop 1
	v_cndmask_b32_e32 v2, v5, v2, vcc
	v_ashrrev_i32_e32 v3, 31, v2
	v_lshl_add_u64 v[12:13], v[2:3], 2, s[6:7]
	global_load_dword v5, v[6:7], off
	global_load_dword v4, v[8:9], off
	;; [unrolled: 1-line block ×4, first 2 shown]
	s_andn2_b64 vcc, exec, s[10:11]
	s_cbranch_vccnz .LBB354_8
; %bb.6:
	s_add_u32 s8, s8, s12
	s_addc_u32 s9, s9, s13
	s_load_dword s5, s[8:9], 0x0
	s_branch .LBB354_9
.LBB354_7:
	s_mov_b64 s[12:13], 0
	s_branch .LBB354_2
.LBB354_8:
	s_mov_b32 s5, s2
.LBB354_9:
	s_load_dwordx2 s[14:15], s[0:1], 0x8
	s_load_dwordx4 s[8:11], s[0:1], 0x48
	v_lshrrev_b32_e32 v88, 6, v0
	v_bfe_u32 v1, v0, 4, 2
	v_lshl_or_b32 v6, v88, 2, v1
	v_and_b32_e32 v84, 15, v0
	v_lshlrev_b32_e32 v82, 3, v84
	v_cmp_lt_u32_e32 vcc, 10, v6
	s_and_saveexec_b64 s[12:13], vcc
	s_xor_b64 s[12:13], exec, s[12:13]
; %bb.10:
	v_mov_b32_e32 v83, 0
                                        ; implicit-def: $vgpr6
; %bb.11:
	s_or_saveexec_b64 s[16:17], s[12:13]
	s_load_dwordx2 s[12:13], s[0:1], 0x10
	s_mul_i32 s40, s4, 11
	s_xor_b64 exec, exec, s[16:17]
	s_cbranch_execz .LBB354_13
; %bb.12:
	s_load_dwordx2 s[20:21], s[0:1], 0x0
	s_waitcnt lgkmcnt(0)
	s_ashr_i32 s11, s8, 31
	s_mul_hi_u32 s22, s5, s8
	s_mul_i32 s11, s5, s11
	s_add_i32 s23, s22, s11
	s_mul_i32 s22, s5, s8
	s_lshl_b64 s[22:23], s[22:23], 1
	s_add_u32 s20, s20, s22
	v_add_lshl_u32 v8, v6, s40, 7
	s_addc_u32 s21, s21, s23
	v_ashrrev_i32_e32 v9, 31, v8
	v_mov_b32_e32 v83, 0
	v_lshl_add_u64 v[8:9], v[8:9], 1, s[20:21]
	v_lshlrev_b32_e32 v10, 1, v82
	v_mov_b32_e32 v11, v83
	v_lshl_add_u64 v[8:9], v[8:9], 0, v[10:11]
	global_load_dwordx4 v[8:11], v[8:9], off
	v_and_b32_e32 v7, 3, v0
	v_lshlrev_b32_e32 v12, 9, v84
	v_lshlrev_b32_e32 v6, 5, v6
	;; [unrolled: 1-line block ×3, first 2 shown]
	v_and_b32_e32 v12, 0x1800, v12
	v_or3_b32 v6, v12, v7, v6
	s_waitcnt vmcnt(0)
	ds_write_b128 v6, v[8:11]
.LBB354_13:
	s_or_b64 exec, exec, s[16:17]
	s_waitcnt lgkmcnt(0)
	s_mul_i32 s4, s4, s10
	s_mov_b32 s5, 0
	s_lshl_b64 s[4:5], s[4:5], 1
	s_add_u32 s10, s14, s4
	s_addc_u32 s11, s15, s5
	s_waitcnt vmcnt(3)
	v_mad_i64_i32 v[6:7], s[14:15], v5, s9, 0
	v_lshl_add_u64 v[6:7], v[6:7], 1, s[10:11]
	v_lshlrev_b64 v[8:9], 1, v[82:83]
	v_lshlrev_b32_e32 v86, 9, v1
	v_lshl_add_u64 v[6:7], v[6:7], 0, v[8:9]
	v_mov_b32_e32 v87, 0
	v_lshl_add_u64 v[10:11], v[6:7], 0, v[86:87]
	v_or_b32_e32 v14, 0x1000, v86
	v_mov_b32_e32 v15, v87
	v_or_b32_e32 v16, 0x1800, v86
	v_mov_b32_e32 v17, v87
	s_barrier
	global_load_dwordx4 v[66:69], v[10:11], off
	global_load_dwordx4 v[62:65], v[10:11], off offset:2048
	v_lshl_add_u64 v[10:11], v[6:7], 0, v[14:15]
	v_lshl_add_u64 v[6:7], v[6:7], 0, v[16:17]
	global_load_dwordx4 v[78:81], v[10:11], off
	global_load_dwordx4 v[74:77], v[6:7], off
	s_waitcnt vmcnt(6)
	v_mad_i64_i32 v[4:5], s[14:15], v4, s9, 0
	v_mov_b32_e32 v6, 0x100
	v_lshl_add_u64 v[4:5], v[4:5], 1, s[10:11]
	v_lshl_or_b32 v6, v84, 4, v6
	v_mov_b32_e32 v7, v87
	v_lshl_add_u64 v[4:5], v[4:5], 0, v[6:7]
	v_lshl_add_u64 v[10:11], v[4:5], 0, v[86:87]
	global_load_dwordx4 v[70:73], v[10:11], off
	global_load_dwordx4 v[58:61], v[10:11], off offset:2048
	v_lshl_add_u64 v[10:11], v[4:5], 0, v[14:15]
	v_lshl_add_u64 v[4:5], v[4:5], 0, v[16:17]
	global_load_dwordx4 v[54:57], v[10:11], off
	global_load_dwordx4 v[30:33], v[4:5], off
	s_waitcnt vmcnt(9)
	v_mad_i64_i32 v[4:5], s[14:15], v3, s9, 0
	v_lshl_add_u64 v[4:5], v[4:5], 1, s[10:11]
	s_waitcnt vmcnt(8)
	v_mad_i64_i32 v[2:3], s[14:15], v2, s9, 0
	v_lshl_add_u64 v[4:5], v[4:5], 0, v[8:9]
	v_lshl_add_u64 v[2:3], v[2:3], 1, s[10:11]
	;; [unrolled: 1-line block ×4, first 2 shown]
	global_load_dwordx4 v[26:29], v[8:9], off
	global_load_dwordx4 v[22:25], v[8:9], off offset:2048
	v_lshl_add_u64 v[8:9], v[4:5], 0, v[14:15]
	v_lshl_add_u64 v[4:5], v[4:5], 0, v[16:17]
	v_lshl_add_u64 v[2:3], v[34:35], 0, v[86:87]
	v_lshl_add_u64 v[14:15], v[34:35], 0, v[14:15]
	global_load_dwordx4 v[18:21], v[8:9], off
	global_load_dwordx4 v[10:13], v[4:5], off
	s_nop 0
	global_load_dwordx4 v[6:9], v[2:3], off
	s_nop 0
	global_load_dwordx4 v[2:5], v[2:3], off offset:2048
	v_lshl_add_u64 v[16:17], v[34:35], 0, v[16:17]
	global_load_dwordx4 v[38:41], v[14:15], off
	global_load_dwordx4 v[34:37], v[16:17], off
	v_add_u32_e32 v14, -11, v84
	v_cmp_gt_u32_e32 vcc, 11, v84
	v_and_b32_e32 v85, 63, v0
	v_mov_b32_e32 v89, 0
	v_cndmask_b32_e32 v14, v14, v84, vcc
	v_lshl_add_u32 v42, v14, 5, v86
	ds_read_b128 v[14:17], v42
	ds_read_b128 v[50:53], v42 offset:2048
	ds_read_b128 v[46:49], v42 offset:4096
	;; [unrolled: 1-line block ×3, first 2 shown]
	s_and_saveexec_b64 s[10:11], vcc
	s_cbranch_execz .LBB354_15
; %bb.14:
	s_load_dwordx2 s[14:15], s[0:1], 0x40
	v_add_u32_e32 v90, s40, v84
	v_ashrrev_i32_e32 v91, 31, v90
	s_waitcnt lgkmcnt(0)
	v_lshl_add_u64 v[90:91], v[90:91], 2, s[14:15]
	global_load_dword v89, v[90:91], off
.LBB354_15:
	s_or_b64 exec, exec, s[10:11]
	s_waitcnt vmcnt(15) lgkmcnt(3)
	v_mfma_f32_16x16x16_f16 v[90:93], v[66:67], v[14:15], 0
	s_ashr_i32 s8, s18, 31
	s_lshr_b32 s8, s8, 27
	s_add_u32 s4, s12, s4
	v_mfma_f32_16x16x16_f16 v[66:69], v[68:69], v[16:17], v[90:93]
	s_addc_u32 s5, s13, s5
	s_mov_b32 s33, 0xff7fffff
	s_waitcnt vmcnt(14) lgkmcnt(2)
	v_mfma_f32_16x16x16_f16 v[66:69], v[62:63], v[50:51], v[66:69]
	v_lshl_or_b32 v90, v88, 4, v84
	v_mfma_f32_16x16x16_f16 v[62:65], v[64:65], v[52:53], v[66:69]
	s_waitcnt vmcnt(13) lgkmcnt(1)
	v_mfma_f32_16x16x16_f16 v[62:65], v[78:79], v[46:47], v[62:65]
	v_mfma_f32_16x16x16_f16 v[62:65], v[80:81], v[48:49], v[62:65]
	s_waitcnt vmcnt(12) lgkmcnt(0)
	v_mfma_f32_16x16x16_f16 v[62:65], v[74:75], v[42:43], v[62:65]
	v_and_or_b32 v74, v0, 48, s18
	v_add_u32_e32 v66, s8, v74
	v_ashrrev_i32_e32 v75, 5, v66
	s_waitcnt vmcnt(11)
	v_mfma_f32_16x16x16_f16 v[66:69], v[70:71], v[14:15], 0
	v_cmp_gt_i32_e32 vcc, s27, v74
	v_mfma_f32_16x16x16_f16 v[66:69], v[72:73], v[16:17], v[66:69]
	v_or_b32_e32 v72, 64, v74
	v_add_u32_e32 v73, s8, v72
	s_waitcnt vmcnt(10)
	v_mfma_f32_16x16x16_f16 v[66:69], v[58:59], v[50:51], v[66:69]
	v_ashrrev_i32_e32 v58, 5, v73
	v_mfma_f32_16x16x16_f16 v[62:65], v[76:77], v[44:45], v[62:65]
	v_mov_b32_e32 v76, s19
	v_cndmask_b32_e32 v70, v76, v75, vcc
	v_cmp_gt_i32_e32 vcc, s27, v72
	v_ashrrev_i32_e32 v71, 31, v70
	v_lshl_add_u64 v[70:71], v[70:71], 2, s[6:7]
	v_cndmask_b32_e32 v72, v76, v58, vcc
	v_mfma_f32_16x16x16_f16 v[58:61], v[60:61], v[52:53], v[66:69]
	v_ashrrev_i32_e32 v73, 31, v72
	s_waitcnt vmcnt(9)
	v_mfma_f32_16x16x16_f16 v[58:61], v[54:55], v[46:47], v[58:61]
	v_lshl_add_u64 v[66:67], v[72:73], 2, s[6:7]
	global_load_dword v72, v[70:71], off
	global_load_dword v75, v[66:67], off
	v_or_b32_e32 v66, 0x80, v74
	v_add_u32_e32 v67, s8, v66
	v_mfma_f32_16x16x16_f16 v[54:57], v[56:57], v[48:49], v[58:61]
	v_cmp_gt_i32_e32 vcc, s27, v66
	s_nop 1
	v_ashrrev_i32_e32 v58, 5, v67
	v_cndmask_b32_e32 v58, v76, v58, vcc
	v_ashrrev_i32_e32 v59, 31, v58
	s_waitcnt vmcnt(10)
	v_mfma_f32_16x16x16_f16 v[54:57], v[30:31], v[42:43], v[54:57]
	v_lshl_add_u64 v[30:31], v[58:59], 2, s[6:7]
	global_load_dword v58, v[30:31], off
	v_mfma_f32_16x16x16_f16 v[66:69], v[32:33], v[44:45], v[54:57]
	s_nop 3
	v_or_b32_e32 v54, 0xc0, v74
	v_add_u32_e32 v30, s8, v54
	v_ashrrev_i32_e32 v55, 5, v30
	v_cmp_gt_i32_e32 vcc, s27, v54
	s_waitcnt vmcnt(10)
	v_mfma_f32_16x16x16_f16 v[30:33], v[26:27], v[14:15], 0
	v_cndmask_b32_e32 v26, v76, v55, vcc
	v_ashrrev_i32_e32 v27, 31, v26
	v_lshl_add_u64 v[54:55], v[26:27], 2, s[6:7]
	global_load_dword v59, v[54:55], off
	v_mfma_f32_16x16x16_f16 v[26:29], v[28:29], v[16:17], v[30:33]
	s_load_dword s6, s[0:1], 0x1c
	s_waitcnt lgkmcnt(0)
	v_pk_mul_f32 v[76:77], s[6:7], v[66:67] op_sel_hi:[0,1]
	s_waitcnt vmcnt(10)
	v_mfma_f32_16x16x16_f16 v[26:29], v[22:23], v[50:51], v[26:29]
	v_and_b32_e32 v30, 16, v0
	v_lshlrev_b32_e32 v86, 1, v30
	v_lshl_add_u64 v[60:61], s[4:5], 0, v[86:87]
	v_mfma_f32_16x16x16_f16 v[22:25], v[24:25], v[52:53], v[26:29]
	v_lshlrev_b32_e32 v86, 6, v90
	v_lshl_add_u64 v[70:71], v[60:61], 0, v[86:87]
	v_or_b32_e32 v86, 0x1000, v86
	s_waitcnt vmcnt(9)
	v_mfma_f32_16x16x16_f16 v[22:25], v[18:19], v[46:47], v[22:25]
	v_lshl_add_u64 v[80:81], v[60:61], 0, v[86:87]
	v_pk_mul_f32 v[78:79], s[6:7], v[64:65] op_sel_hi:[0,1]
	v_pk_mul_f32 v[60:61], s[6:7], v[62:63] op_sel_hi:[0,1]
	v_mfma_f32_16x16x16_f16 v[18:21], v[20:21], v[48:49], v[22:25]
	s_waitcnt vmcnt(8)
	v_mfma_f32_16x16x16_f16 v[18:21], v[10:11], v[42:43], v[18:21]
	s_waitcnt vmcnt(3)
	v_mad_i64_i32 v[22:23], s[4:5], v72, s9, 0
	s_waitcnt vmcnt(2)
	v_mad_i64_i32 v[10:11], s[4:5], v75, s9, 0
	v_lshlrev_b64 v[72:73], 1, v[22:23]
	v_lshlrev_b64 v[54:55], 1, v[10:11]
	v_lshl_add_u64 v[22:23], v[70:71], 0, v[72:73]
	v_lshl_add_u64 v[10:11], v[70:71], 0, v[54:55]
	global_load_dwordx4 v[30:33], v[22:23], off
	global_load_dwordx4 v[26:29], v[22:23], off offset:16
	v_mfma_f32_16x16x16_f16 v[92:95], v[12:13], v[44:45], v[18:21]
	global_load_dwordx4 v[22:25], v[10:11], off
	s_nop 1
	global_load_dwordx4 v[18:21], v[10:11], off offset:16
	v_pk_mul_f32 v[74:75], s[6:7], v[68:69] op_sel_hi:[0,1]
	v_mfma_f32_16x16x16_f16 v[10:13], v[6:7], v[14:15], 0
	s_waitcnt vmcnt(5)
	v_mad_i64_i32 v[6:7], s[4:5], v58, s9, 0
	v_lshlrev_b64 v[56:57], 1, v[6:7]
	v_mfma_f32_16x16x16_f16 v[6:9], v[8:9], v[16:17], v[10:13]
	v_mfma_f32_16x16x16_f16 v[6:9], v[2:3], v[50:51], v[6:9]
	s_nop 1
	v_lshl_add_u64 v[10:11], v[70:71], 0, v[56:57]
	global_load_dwordx4 v[14:17], v[10:11], off
	s_nop 0
	global_load_dwordx4 v[10:13], v[10:11], off offset:16
	s_waitcnt vmcnt(6)
	v_mad_i64_i32 v[2:3], s[4:5], v59, s9, 0
	v_mfma_f32_16x16x16_f16 v[50:53], v[4:5], v[52:53], v[6:9]
	v_lshlrev_b64 v[58:59], 1, v[2:3]
	v_lshl_add_u64 v[2:3], v[70:71], 0, v[58:59]
	v_pk_mul_f32 v[70:71], s[6:7], v[94:95] op_sel_hi:[0,1]
	v_mfma_f32_16x16x16_f16 v[50:53], v[38:39], v[46:47], v[50:53]
	v_lshl_add_u64 v[38:39], v[80:81], 0, v[72:73]
	v_pk_mul_f32 v[72:73], s[6:7], v[92:93] op_sel_hi:[0,1]
	v_lshl_add_u64 v[58:59], v[80:81], 0, v[58:59]
	v_mfma_f32_16x16x16_f16 v[46:49], v[40:41], v[48:49], v[50:53]
	global_load_dwordx4 v[6:9], v[2:3], off
	s_nop 0
	global_load_dwordx4 v[2:5], v[2:3], off offset:16
	v_mfma_f32_16x16x16_f16 v[40:43], v[34:35], v[42:43], v[46:49]
	v_mfma_f32_16x16x16_f16 v[34:37], v[36:37], v[44:45], v[40:43]
	s_nop 6
	v_pk_mul_f32 v[68:69], s[6:7], v[34:35] op_sel_hi:[0,1]
	v_and_b32_e32 v34, 0xc0, v0
	v_add_u32_e32 v34, s18, v34
	v_lshl_or_b32 v34, v1, 2, v34
	v_or_b32_e32 v35, 1, v34
	v_pk_mul_f32 v[66:67], s[6:7], v[36:37] op_sel_hi:[0,1]
	v_subrev_u32_e32 v36, s27, v35
	v_add_u32_e32 v40, 1, v36
	v_add_u32_e32 v41, 2, v36
	v_cvt_f32_i32_e32 v37, v36
	v_cvt_f32_i32_e32 v40, v40
	;; [unrolled: 1-line block ×3, first 2 shown]
	v_add_u32_e32 v42, 3, v36
	v_fma_f32 v60, v89, v37, v60
	v_fmac_f32_e32 v61, v89, v40
	v_fma_f32 v78, v89, v41, v78
	v_add_u32_e32 v37, 16, v36
	v_add_u32_e32 v40, 17, v36
	;; [unrolled: 1-line block ×3, first 2 shown]
	v_cvt_f32_i32_e32 v42, v42
	v_cvt_f32_i32_e32 v37, v37
	;; [unrolled: 1-line block ×4, first 2 shown]
	v_fmac_f32_e32 v79, v89, v42
	v_add_u32_e32 v42, 19, v36
	v_fma_f32 v76, v89, v37, v76
	v_fmac_f32_e32 v77, v89, v40
	v_fma_f32 v74, v89, v41, v74
	v_add_u32_e32 v37, 32, v36
	v_add_u32_e32 v40, 33, v36
	v_add_u32_e32 v41, 34, v36
	v_cvt_f32_i32_e32 v42, v42
	v_cvt_f32_i32_e32 v37, v37
	;; [unrolled: 1-line block ×4, first 2 shown]
	v_fmac_f32_e32 v75, v89, v42
	v_add_u32_e32 v42, 35, v36
	v_fma_f32 v72, v89, v37, v72
	v_fmac_f32_e32 v73, v89, v40
	v_fma_f32 v70, v89, v41, v70
	v_add_u32_e32 v37, 48, v36
	v_add_u32_e32 v40, 49, v36
	;; [unrolled: 1-line block ×4, first 2 shown]
	v_cvt_f32_i32_e32 v36, v36
	v_cvt_f32_i32_e32 v37, v37
	;; [unrolled: 1-line block ×3, first 2 shown]
	v_cmp_gt_i32_e64 s[28:29], s27, v34
	v_fmac_f32_e32 v67, v89, v36
	v_mov_b32_e32 v36, 0xff7fffff
	v_cmp_gt_i32_e64 s[30:31], s27, v35
	v_fma_f32 v68, v89, v37, v68
	v_cndmask_b32_e64 v37, v36, v60, s[28:29]
	v_cndmask_b32_e64 v35, v36, v61, s[30:31]
	v_fmac_f32_e32 v69, v89, v40
	v_max3_f32 v35, v37, s33, v35
	v_or_b32_e32 v37, 2, v34
	v_or_b32_e32 v40, 3, v34
	v_cmp_gt_i32_e64 s[34:35], s27, v37
	v_cmp_gt_i32_e64 s[36:37], s27, v40
	v_cvt_f32_i32_e32 v42, v42
	v_cndmask_b32_e64 v37, v36, v78, s[34:35]
	v_cndmask_b32_e64 v40, v36, v79, s[36:37]
	v_max3_f32 v35, v35, v37, v40
	v_or_b32_e32 v37, 16, v34
	v_or_b32_e32 v40, 17, v34
	v_cmp_gt_i32_e64 s[22:23], s27, v37
	v_cmp_gt_i32_e64 s[24:25], s27, v40
	v_fmac_f32_e32 v71, v89, v42
	v_cndmask_b32_e64 v37, v36, v76, s[22:23]
	v_cndmask_b32_e64 v40, v36, v77, s[24:25]
	v_max3_f32 v35, v35, v37, v40
	v_or_b32_e32 v37, 18, v34
	v_or_b32_e32 v40, 19, v34
	v_cmp_gt_i32_e64 s[18:19], s27, v37
	v_cmp_gt_i32_e64 s[20:21], s27, v40
	v_cvt_f32_i32_e32 v41, v41
	v_cndmask_b32_e64 v37, v36, v74, s[18:19]
	v_cndmask_b32_e64 v40, v36, v75, s[20:21]
	v_max3_f32 v35, v35, v37, v40
	v_or_b32_e32 v37, 32, v34
	v_or_b32_e32 v40, 33, v34
	v_cmp_gt_i32_e64 s[14:15], s27, v37
	v_cmp_gt_i32_e64 s[16:17], s27, v40
	v_fma_f32 v66, v89, v41, v66
	v_cndmask_b32_e64 v37, v36, v72, s[14:15]
	v_cndmask_b32_e64 v40, v36, v73, s[16:17]
	v_max3_f32 v35, v35, v37, v40
	v_or_b32_e32 v37, 34, v34
	v_or_b32_e32 v40, 35, v34
	v_cmp_gt_i32_e64 s[10:11], s27, v37
	v_cmp_gt_i32_e64 s[12:13], s27, v40
	s_nop 0
	v_cndmask_b32_e64 v37, v36, v70, s[10:11]
	v_cndmask_b32_e64 v40, v36, v71, s[12:13]
	v_max3_f32 v35, v35, v37, v40
	v_or_b32_e32 v37, 48, v34
	v_or_b32_e32 v40, 49, v34
	v_cmp_gt_i32_e64 s[6:7], s27, v37
	v_cmp_gt_i32_e64 s[8:9], s27, v40
	s_nop 0
	v_cndmask_b32_e64 v37, v36, v68, s[6:7]
	v_cndmask_b32_e64 v40, v36, v69, s[8:9]
	v_max3_f32 v35, v35, v37, v40
	v_or_b32_e32 v37, 50, v34
	v_or_b32_e32 v34, 51, v34
	v_cmp_gt_i32_e32 vcc, s27, v37
	v_cmp_gt_i32_e64 s[4:5], s27, v34
	global_load_dwordx4 v[46:49], v[38:39], off
	s_nop 0
	global_load_dwordx4 v[38:41], v[38:39], off offset:16
	v_cndmask_b32_e32 v37, v36, v66, vcc
	v_cndmask_b32_e64 v34, v36, v67, s[4:5]
	v_max3_f32 v50, v35, v37, v34
	v_mbcnt_lo_u32_b32 v34, -1, 0
	v_mbcnt_hi_u32_b32 v51, -1, v34
	v_and_b32_e32 v34, 64, v51
	v_add_u32_e32 v52, 64, v34
	v_xor_b32_e32 v34, 32, v51
	v_cmp_lt_i32_e64 s[38:39], v34, v52
	s_nop 1
	v_cndmask_b32_e64 v34, v51, v34, s[38:39]
	v_lshlrev_b32_e32 v87, 2, v34
	ds_bpermute_b32 v53, v87, v50
	v_lshl_add_u64 v[34:35], v[80:81], 0, v[54:55]
	global_load_dwordx4 v[42:45], v[34:35], off
	s_nop 0
	global_load_dwordx4 v[34:37], v[34:35], off offset:16
	s_waitcnt lgkmcnt(0)
	v_max_f32_e32 v53, v53, v53
	v_max_f32_e32 v62, v50, v53
	v_xor_b32_e32 v50, 16, v51
	v_cmp_lt_i32_e64 s[38:39], v50, v52
	s_nop 1
	v_cndmask_b32_e64 v50, v51, v50, s[38:39]
	v_lshlrev_b32_e32 v89, 2, v50
	ds_bpermute_b32 v63, v89, v62
	v_lshl_add_u64 v[50:51], v[80:81], 0, v[56:57]
	global_load_dwordx4 v[54:57], v[50:51], off
	s_nop 0
	global_load_dwordx4 v[50:53], v[50:51], off offset:16
	s_waitcnt lgkmcnt(0)
	v_max_f32_e32 v63, v63, v63
	v_max_f32_e32 v86, v62, v63
	v_sub_f32_e32 v60, v60, v86
	v_mul_f32_e32 v60, 0x3fb8aa3b, v60
	v_exp_f32_e32 v80, v60
	v_sub_f32_e32 v60, v61, v86
	v_mul_f32_e32 v60, 0x3fb8aa3b, v60
	v_exp_f32_e32 v81, v60
	global_load_dwordx4 v[62:65], v[58:59], off
	s_nop 0
	global_load_dwordx4 v[58:61], v[58:59], off offset:16
	v_sub_f32_e32 v78, v78, v86
	v_mul_f32_e32 v78, 0x3fb8aa3b, v78
	v_sub_f32_e32 v79, v79, v86
	v_exp_f32_e32 v78, v78
	v_mul_f32_e32 v79, 0x3fb8aa3b, v79
	v_sub_f32_e32 v76, v76, v86
	v_exp_f32_e32 v79, v79
	v_mul_f32_e32 v76, 0x3fb8aa3b, v76
	v_sub_f32_e32 v77, v77, v86
	v_cndmask_b32_e64 v80, 0, v80, s[28:29]
	v_exp_f32_e32 v76, v76
	v_mul_f32_e32 v77, 0x3fb8aa3b, v77
	v_sub_f32_e32 v74, v74, v86
	v_add_f32_e32 v91, 0, v80
	v_cndmask_b32_e64 v81, 0, v81, s[30:31]
	v_exp_f32_e32 v77, v77
	v_mul_f32_e32 v74, 0x3fb8aa3b, v74
	v_sub_f32_e32 v75, v75, v86
	v_add_f32_e32 v91, v91, v81
	;; [unrolled: 5-line block ×10, first 2 shown]
	v_cndmask_b32_e64 v70, 0, v70, s[10:11]
	v_exp_f32_e32 v66, v66
	v_mul_f32_e32 v67, 0x3fb8aa3b, v67
	v_add_f32_e32 v91, v91, v70
	v_cndmask_b32_e64 v71, 0, v71, s[12:13]
	v_exp_f32_e32 v67, v67
	v_add_f32_e32 v91, v91, v71
	v_cndmask_b32_e64 v68, 0, v68, s[6:7]
	v_add_f32_e32 v91, v91, v68
	v_cndmask_b32_e64 v69, 0, v69, s[8:9]
	v_add_f32_e32 v91, v91, v69
	v_cndmask_b32_e32 v66, 0, v66, vcc
	v_add_f32_e32 v91, v91, v66
	v_cndmask_b32_e64 v67, 0, v67, s[4:5]
	v_add_f32_e32 v91, v91, v67
	ds_bpermute_b32 v87, v87, v91
	s_load_dword s7, s[0:1], 0x98
	v_cmp_gt_u32_e32 vcc, 16, v85
	s_waitcnt lgkmcnt(0)
	s_barrier
	v_add_f32_e32 v87, v91, v87
	ds_bpermute_b32 v89, v89, v87
	s_waitcnt lgkmcnt(0)
	s_and_saveexec_b64 s[4:5], vcc
	s_cbranch_execz .LBB354_17
; %bb.16:
	v_add_f32_e32 v85, v87, v89
	v_lshlrev_b32_e32 v87, 2, v90
	ds_write2st64_b32 v87, v86, v85 offset1:1
.LBB354_17:
	s_or_b64 exec, exec, s[4:5]
	v_lshlrev_b32_e32 v85, 2, v84
	s_load_dword s6, s[0:1], 0x94
	s_waitcnt lgkmcnt(0)
	s_barrier
	ds_read2_b32 v[90:91], v85 offset1:16
	ds_read2_b32 v[92:93], v85 offset0:32 offset1:48
	ds_read2_b32 v[94:95], v85 offset0:64 offset1:80
	s_mul_i32 s7, s7, 11
	s_waitcnt lgkmcnt(2)
	v_max3_f32 v86, v90, s33, v91
	s_waitcnt lgkmcnt(1)
	v_max3_f32 v86, v86, v92, v93
	v_sub_f32_e32 v87, v90, v86
	v_mul_f32_e32 v87, 0x3fb8aa3b, v87
	v_exp_f32_e32 v89, v87
	v_sub_f32_e32 v87, v91, v86
	v_mul_f32_e32 v87, 0x3fb8aa3b, v87
	v_exp_f32_e32 v88, v87
	v_sub_f32_e32 v87, v92, v86
	v_mul_f32_e32 v87, 0x3fb8aa3b, v87
	ds_read2_b32 v[90:91], v85 offset0:96 offset1:112
	v_sub_f32_e32 v85, v93, v86
	v_exp_f32_e32 v92, v87
	v_mul_f32_e32 v85, 0x3fb8aa3b, v85
	v_exp_f32_e32 v85, v85
	s_waitcnt lgkmcnt(1)
	v_fma_f32 v87, v89, v94, 0
	v_fmac_f32_e32 v87, v88, v95
	s_waitcnt lgkmcnt(0)
	v_fmac_f32_e32 v87, v92, v90
	v_fmac_f32_e32 v87, v85, v91
	v_add_f32_e32 v90, 0x358637bd, v87
	v_div_scale_f32 v91, s[4:5], v90, v90, 1.0
	v_rcp_f32_e32 v93, v91
	s_barrier
	v_fma_f32 v94, -v91, v93, 1.0
	v_fmac_f32_e32 v93, v94, v93
	v_div_scale_f32 v94, vcc, 1.0, v90, 1.0
	v_mul_f32_e32 v95, v94, v93
	v_fma_f32 v1, -v91, v95, v94
	v_fmac_f32_e32 v95, v1, v93
	v_fma_f32 v1, -v91, v95, v94
	v_lshrrev_b32_e32 v91, 6, v0
	v_div_fmas_f32 v1, v1, v93, v95
	v_cmp_eq_u32_e32 vcc, 1, v91
	v_div_fixup_f32 v1, v1, v90, 1.0
	s_nop 0
	v_cndmask_b32_e32 v88, v89, v88, vcc
	v_cmp_eq_u32_e32 vcc, 2, v91
	s_nop 1
	v_cndmask_b32_e32 v88, v88, v92, vcc
	v_cmp_eq_u32_e32 vcc, 3, v91
	s_nop 1
	v_cndmask_b32_e32 v85, v88, v85, vcc
	v_mul_f32_e32 v90, v85, v1
	v_pk_mul_f32 v[78:79], v[90:91], v[78:79] op_sel_hi:[0,1]
	v_cvt_f16_f32_e32 v78, v78
	v_cvt_f16_f32_e32 v79, v79
	v_pk_mul_f32 v[80:81], v[90:91], v[80:81] op_sel_hi:[0,1]
	v_cvt_f16_f32_e32 v1, v80
	v_cvt_f16_f32_e32 v80, v81
	v_pk_mul_f32 v[74:75], v[90:91], v[74:75] op_sel_hi:[0,1]
	v_pk_mul_f32 v[76:77], v[90:91], v[76:77] op_sel_hi:[0,1]
	v_pack_b32_f16 v81, v78, v79
	v_cvt_f16_f32_e32 v76, v76
	v_cvt_f16_f32_e32 v77, v77
	;; [unrolled: 1-line block ×4, first 2 shown]
	v_bfe_u32 v88, v0, 4, 2
	v_pack_b32_f16 v80, v1, v80
	v_lshlrev_b32_e32 v1, 3, v88
	v_lshlrev_b32_e32 v78, 5, v84
	;; [unrolled: 1-line block ×3, first 2 shown]
	v_or3_b32 v1, v74, v78, v1
	v_pack_b32_f16 v74, v76, v77
	v_pack_b32_f16 v75, v79, v75
	v_pk_mul_f32 v[70:71], v[90:91], v[70:71] op_sel_hi:[0,1]
	v_pk_mul_f32 v[72:73], v[90:91], v[72:73] op_sel_hi:[0,1]
	v_pk_mul_f32 v[66:67], v[90:91], v[66:67] op_sel_hi:[0,1]
	v_pk_mul_f32 v[68:69], v[90:91], v[68:69] op_sel_hi:[0,1]
	ds_write2st64_b64 v1, v[80:81], v[74:75] offset1:1
	v_cvt_f16_f32_e32 v72, v72
	v_cvt_f16_f32_e32 v73, v73
	;; [unrolled: 1-line block ×8, first 2 shown]
	v_pack_b32_f16 v66, v72, v73
	v_pack_b32_f16 v67, v70, v71
	;; [unrolled: 1-line block ×4, first 2 shown]
	v_cmp_gt_u32_e32 vcc, 11, v0
	ds_write2st64_b64 v1, v[66:67], v[68:69] offset0:2 offset1:3
	s_and_saveexec_b64 s[4:5], vcc
	s_cbranch_execz .LBB354_19
; %bb.18:
	s_mov_b32 s41, 0
	v_mov_b32_e32 v85, 0
	v_lshl_add_u64 v[66:67], s[40:41], 0, v[84:85]
	v_mov_b32_e32 v68, s7
	v_mad_u64_u32 v[66:67], s[12:13], s2, v68, v[66:67]
	s_mul_i32 s3, s3, s7
	v_mov_b32_e32 v68, s26
	v_mov_b32_e32 v69, v85
	s_load_dwordx4 s[8:11], s[0:1], 0x58
	v_add_u32_e32 v70, s3, v67
	v_mad_u64_u32 v[66:67], s[12:13], v66, s6, v[68:69]
	v_mov_b32_e32 v68, v67
	v_mad_u64_u32 v[68:69], s[12:13], v70, s6, v[68:69]
	v_mov_b32_e32 v67, v68
	v_lshlrev_b64 v[66:67], 2, v[66:67]
	s_waitcnt lgkmcnt(0)
	v_lshl_add_u64 v[68:69], s[10:11], 0, v[66:67]
	v_lshl_add_u64 v[66:67], s[8:9], 0, v[66:67]
	global_store_dword v[68:69], v86, off
	global_store_dword v[66:67], v87, off
.LBB354_19:
	s_or_b64 exec, exec, s[4:5]
	v_lshl_or_b32 v78, v88, 9, v78
	s_waitcnt lgkmcnt(0)
	s_barrier
	ds_read_b128 v[70:73], v78
	ds_read_b128 v[66:69], v78 offset:16
	s_waitcnt vmcnt(15) lgkmcnt(1)
	v_mfma_f32_16x16x16_f16 v[74:77], v[30:31], v[70:71], 0
	s_mov_b32 s3, 0
	v_cmp_gt_u32_e32 vcc, 64, v0
	v_mfma_f32_16x16x16_f16 v[30:33], v[32:33], v[72:73], v[74:77]
	s_waitcnt vmcnt(14) lgkmcnt(0)
	v_mfma_f32_16x16x16_f16 v[30:33], v[26:27], v[66:67], v[30:33]
	v_mfma_f32_16x16x16_f16 v[26:29], v[28:29], v[68:69], v[30:33]
	s_nop 5
	ds_read_b128 v[30:33], v78 offset:2048
	ds_read_b128 v[74:77], v78 offset:2064
	s_waitcnt vmcnt(13) lgkmcnt(1)
	v_mfma_f32_16x16x16_f16 v[26:29], v[22:23], v[30:31], v[26:29]
	v_mfma_f32_16x16x16_f16 v[22:25], v[24:25], v[32:33], v[26:29]
	s_waitcnt vmcnt(12) lgkmcnt(0)
	v_mfma_f32_16x16x16_f16 v[22:25], v[18:19], v[74:75], v[22:25]
	v_mfma_f32_16x16x16_f16 v[18:21], v[20:21], v[76:77], v[22:25]
	s_nop 5
	ds_read_b128 v[22:25], v78 offset:4096
	ds_read_b128 v[26:29], v78 offset:4112
	s_waitcnt vmcnt(11) lgkmcnt(1)
	v_mfma_f32_16x16x16_f16 v[18:21], v[14:15], v[22:23], v[18:21]
	v_mfma_f32_16x16x16_f16 v[14:17], v[16:17], v[24:25], v[18:21]
	s_waitcnt vmcnt(10) lgkmcnt(0)
	v_mfma_f32_16x16x16_f16 v[14:17], v[10:11], v[26:27], v[14:17]
	v_mfma_f32_16x16x16_f16 v[10:13], v[12:13], v[28:29], v[14:17]
	s_nop 5
	ds_read_b128 v[14:17], v78 offset:6144
	ds_read_b128 v[18:21], v78 offset:6160
	s_waitcnt lgkmcnt(0)
	s_barrier
	s_waitcnt vmcnt(9)
	v_mfma_f32_16x16x16_f16 v[10:13], v[6:7], v[14:15], v[10:13]
	v_mfma_f32_16x16x16_f16 v[6:9], v[8:9], v[16:17], v[10:13]
	s_waitcnt vmcnt(8)
	v_mfma_f32_16x16x16_f16 v[6:9], v[2:3], v[18:19], v[6:9]
	v_mfma_f32_16x16x16_f16 v[2:5], v[4:5], v[20:21], v[6:9]
	;; [unrolled: 3-line block ×3, first 2 shown]
	s_nop 3
	v_cvt_f16_f32_e32 v10, v2
	v_cvt_f16_f32_e32 v11, v3
	;; [unrolled: 1-line block ×3, first 2 shown]
	s_waitcnt vmcnt(6)
	v_mfma_f32_16x16x16_f16 v[6:9], v[38:39], v[66:67], v[6:9]
	v_cvt_f16_f32_e32 v13, v5
	v_mfma_f32_16x16x16_f16 v[6:9], v[40:41], v[68:69], v[6:9]
	s_waitcnt vmcnt(5)
	v_mfma_f32_16x16x16_f16 v[6:9], v[42:43], v[30:31], v[6:9]
	v_mfma_f32_16x16x16_f16 v[6:9], v[44:45], v[32:33], v[6:9]
	s_waitcnt vmcnt(4)
	v_mfma_f32_16x16x16_f16 v[6:9], v[34:35], v[74:75], v[6:9]
	;; [unrolled: 3-line block ×6, first 2 shown]
	v_mfma_f32_16x16x16_f16 v[2:5], v[60:61], v[20:21], v[6:9]
	s_nop 6
	v_cvt_f16_f32_e32 v6, v2
	v_cvt_f16_f32_e32 v7, v3
	;; [unrolled: 1-line block ×4, first 2 shown]
	v_pack_b32_f16 v2, v10, v11
	v_pack_b32_f16 v3, v12, v13
	;; [unrolled: 1-line block ×4, first 2 shown]
	ds_write2st64_b64 v1, v[2:3], v[4:5] offset1:1
	s_waitcnt lgkmcnt(0)
	s_barrier
	s_and_saveexec_b64 s[4:5], vcc
	s_cbranch_execz .LBB354_22
; %bb.20:
	s_load_dwordx2 s[4:5], s[0:1], 0x68
	s_lshl_b32 s0, s6, 7
	s_mul_i32 s1, s7, s2
	v_lshlrev_b32_e32 v3, 6, v84
	s_mul_hi_u32 s7, s1, s0
	s_mul_i32 s6, s1, s0
	v_lshlrev_b32_e32 v2, 4, v0
	v_lshl_or_b32 v0, v0, 10, v3
	s_lshl_b64 s[6:7], s[6:7], 1
	v_lshlrev_b32_e32 v1, 5, v88
	v_and_b32_e32 v2, 16, v2
	v_and_b32_e32 v0, 0x1a00, v0
	s_waitcnt lgkmcnt(0)
	s_add_u32 s1, s4, s6
	v_or3_b32 v2, v0, v1, v2
	s_addc_u32 s4, s5, s7
	s_lshl_b32 s2, s26, 7
	s_lshl_b64 s[2:3], s[2:3], 1
	ds_read_b128 v[4:7], v2 offset:128
	ds_read_b128 v[8:11], v2
	s_add_u32 s2, s1, s2
	s_addc_u32 s3, s4, s3
	v_add_u32_e32 v3, s40, v88
	v_lshl_add_u64 v[0:1], v[82:83], 1, s[2:3]
	v_mad_u64_u32 v[12:13], s[2:3], v3, s0, 0
	v_lshl_add_u64 v[12:13], v[12:13], 1, v[0:1]
	v_add_u32_e32 v3, 4, v3
	s_waitcnt lgkmcnt(0)
	global_store_dwordx4 v[12:13], v[8:11], off
	v_cmp_ne_u32_e32 vcc, 3, v88
	s_nop 0
	v_mad_u64_u32 v[8:9], s[2:3], v3, s0, 0
	v_lshl_add_u64 v[8:9], v[8:9], 1, v[0:1]
	global_store_dwordx4 v[8:9], v[4:7], off
	s_and_b64 exec, exec, vcc
	s_cbranch_execz .LBB354_22
; %bb.21:
	ds_read_b128 v[2:5], v2 offset:256
	v_add3_u32 v6, s40, v88, 8
	v_mad_u64_u32 v[6:7], s[0:1], v6, s0, 0
	v_lshl_add_u64 v[0:1], v[6:7], 1, v[0:1]
	s_waitcnt lgkmcnt(0)
	global_store_dwordx4 v[0:1], v[2:5], off
.LBB354_22:
	s_endpgm
	.section	.rodata,"a",@progbits
	.p2align	6, 0x0
	.amdhsa_kernel _Z39paged_attention_ll4mi_QKV_mfma16_kernelIDF16_DF16_LN4vllm18Fp8KVCacheDataTypeE0EDF16_Li32ELi128ELi256ELb1ELi11EEvPKT_PKT0_S7_ifPKiS9_S9_iPKfiiiPfSC_PS2_PT2_iSB_SB_
		.amdhsa_group_segment_fixed_size 8192
		.amdhsa_private_segment_fixed_size 0
		.amdhsa_kernarg_size 400
		.amdhsa_user_sgpr_count 2
		.amdhsa_user_sgpr_dispatch_ptr 0
		.amdhsa_user_sgpr_queue_ptr 0
		.amdhsa_user_sgpr_kernarg_segment_ptr 1
		.amdhsa_user_sgpr_dispatch_id 0
		.amdhsa_user_sgpr_kernarg_preload_length 0
		.amdhsa_user_sgpr_kernarg_preload_offset 0
		.amdhsa_user_sgpr_private_segment_size 0
		.amdhsa_uses_dynamic_stack 0
		.amdhsa_enable_private_segment 0
		.amdhsa_system_sgpr_workgroup_id_x 1
		.amdhsa_system_sgpr_workgroup_id_y 1
		.amdhsa_system_sgpr_workgroup_id_z 1
		.amdhsa_system_sgpr_workgroup_info 0
		.amdhsa_system_vgpr_workitem_id 0
		.amdhsa_next_free_vgpr 96
		.amdhsa_next_free_sgpr 42
		.amdhsa_accum_offset 96
		.amdhsa_reserve_vcc 1
		.amdhsa_float_round_mode_32 0
		.amdhsa_float_round_mode_16_64 0
		.amdhsa_float_denorm_mode_32 3
		.amdhsa_float_denorm_mode_16_64 3
		.amdhsa_dx10_clamp 1
		.amdhsa_ieee_mode 1
		.amdhsa_fp16_overflow 0
		.amdhsa_tg_split 0
		.amdhsa_exception_fp_ieee_invalid_op 0
		.amdhsa_exception_fp_denorm_src 0
		.amdhsa_exception_fp_ieee_div_zero 0
		.amdhsa_exception_fp_ieee_overflow 0
		.amdhsa_exception_fp_ieee_underflow 0
		.amdhsa_exception_fp_ieee_inexact 0
		.amdhsa_exception_int_div_zero 0
	.end_amdhsa_kernel
	.section	.text._Z39paged_attention_ll4mi_QKV_mfma16_kernelIDF16_DF16_LN4vllm18Fp8KVCacheDataTypeE0EDF16_Li32ELi128ELi256ELb1ELi11EEvPKT_PKT0_S7_ifPKiS9_S9_iPKfiiiPfSC_PS2_PT2_iSB_SB_,"axG",@progbits,_Z39paged_attention_ll4mi_QKV_mfma16_kernelIDF16_DF16_LN4vllm18Fp8KVCacheDataTypeE0EDF16_Li32ELi128ELi256ELb1ELi11EEvPKT_PKT0_S7_ifPKiS9_S9_iPKfiiiPfSC_PS2_PT2_iSB_SB_,comdat
.Lfunc_end354:
	.size	_Z39paged_attention_ll4mi_QKV_mfma16_kernelIDF16_DF16_LN4vllm18Fp8KVCacheDataTypeE0EDF16_Li32ELi128ELi256ELb1ELi11EEvPKT_PKT0_S7_ifPKiS9_S9_iPKfiiiPfSC_PS2_PT2_iSB_SB_, .Lfunc_end354-_Z39paged_attention_ll4mi_QKV_mfma16_kernelIDF16_DF16_LN4vllm18Fp8KVCacheDataTypeE0EDF16_Li32ELi128ELi256ELb1ELi11EEvPKT_PKT0_S7_ifPKiS9_S9_iPKfiiiPfSC_PS2_PT2_iSB_SB_
                                        ; -- End function
	.section	.AMDGPU.csdata,"",@progbits
; Kernel info:
; codeLenInByte = 4892
; NumSgprs: 48
; NumVgprs: 96
; NumAgprs: 0
; TotalNumVgprs: 96
; ScratchSize: 0
; MemoryBound: 0
; FloatMode: 240
; IeeeMode: 1
; LDSByteSize: 8192 bytes/workgroup (compile time only)
; SGPRBlocks: 5
; VGPRBlocks: 11
; NumSGPRsForWavesPerEU: 48
; NumVGPRsForWavesPerEU: 96
; AccumOffset: 96
; Occupancy: 5
; WaveLimiterHint : 1
; COMPUTE_PGM_RSRC2:SCRATCH_EN: 0
; COMPUTE_PGM_RSRC2:USER_SGPR: 2
; COMPUTE_PGM_RSRC2:TRAP_HANDLER: 0
; COMPUTE_PGM_RSRC2:TGID_X_EN: 1
; COMPUTE_PGM_RSRC2:TGID_Y_EN: 1
; COMPUTE_PGM_RSRC2:TGID_Z_EN: 1
; COMPUTE_PGM_RSRC2:TIDIG_COMP_CNT: 0
; COMPUTE_PGM_RSRC3_GFX90A:ACCUM_OFFSET: 23
; COMPUTE_PGM_RSRC3_GFX90A:TG_SPLIT: 0
	.section	.text._Z39paged_attention_ll4mi_QKV_mfma16_kernelIDF16_DF16_LN4vllm18Fp8KVCacheDataTypeE0EDF16_Li32ELi128ELi256ELb1ELi12EEvPKT_PKT0_S7_ifPKiS9_S9_iPKfiiiPfSC_PS2_PT2_iSB_SB_,"axG",@progbits,_Z39paged_attention_ll4mi_QKV_mfma16_kernelIDF16_DF16_LN4vllm18Fp8KVCacheDataTypeE0EDF16_Li32ELi128ELi256ELb1ELi12EEvPKT_PKT0_S7_ifPKiS9_S9_iPKfiiiPfSC_PS2_PT2_iSB_SB_,comdat
	.protected	_Z39paged_attention_ll4mi_QKV_mfma16_kernelIDF16_DF16_LN4vllm18Fp8KVCacheDataTypeE0EDF16_Li32ELi128ELi256ELb1ELi12EEvPKT_PKT0_S7_ifPKiS9_S9_iPKfiiiPfSC_PS2_PT2_iSB_SB_ ; -- Begin function _Z39paged_attention_ll4mi_QKV_mfma16_kernelIDF16_DF16_LN4vllm18Fp8KVCacheDataTypeE0EDF16_Li32ELi128ELi256ELb1ELi12EEvPKT_PKT0_S7_ifPKiS9_S9_iPKfiiiPfSC_PS2_PT2_iSB_SB_
	.globl	_Z39paged_attention_ll4mi_QKV_mfma16_kernelIDF16_DF16_LN4vllm18Fp8KVCacheDataTypeE0EDF16_Li32ELi128ELi256ELb1ELi12EEvPKT_PKT0_S7_ifPKiS9_S9_iPKfiiiPfSC_PS2_PT2_iSB_SB_
	.p2align	8
	.type	_Z39paged_attention_ll4mi_QKV_mfma16_kernelIDF16_DF16_LN4vllm18Fp8KVCacheDataTypeE0EDF16_Li32ELi128ELi256ELb1ELi12EEvPKT_PKT0_S7_ifPKiS9_S9_iPKfiiiPfSC_PS2_PT2_iSB_SB_,@function
_Z39paged_attention_ll4mi_QKV_mfma16_kernelIDF16_DF16_LN4vllm18Fp8KVCacheDataTypeE0EDF16_Li32ELi128ELi256ELb1ELi12EEvPKT_PKT0_S7_ifPKiS9_S9_iPKfiiiPfSC_PS2_PT2_iSB_SB_: ; @_Z39paged_attention_ll4mi_QKV_mfma16_kernelIDF16_DF16_LN4vllm18Fp8KVCacheDataTypeE0EDF16_Li32ELi128ELi256ELb1ELi12EEvPKT_PKT0_S7_ifPKiS9_S9_iPKfiiiPfSC_PS2_PT2_iSB_SB_
; %bb.0:
	s_load_dwordx2 s[8:9], s[0:1], 0x30
	s_mov_b32 s26, s3
	s_mov_b64 s[6:7], 0
	s_waitcnt lgkmcnt(0)
	s_cmp_lg_u64 s[8:9], 0
	s_cselect_b64 s[10:11], -1, 0
	s_and_b64 vcc, exec, s[10:11]
	s_cbranch_vccz .LBB355_7
; %bb.1:
	s_add_i32 s12, s2, 1
	s_mov_b32 s13, 0
	s_lshl_b64 s[14:15], s[12:13], 2
	s_add_u32 s14, s8, s14
	s_mov_b32 s3, s13
	s_addc_u32 s15, s9, s15
	s_lshl_b64 s[12:13], s[2:3], 2
	s_add_u32 s12, s8, s12
	s_addc_u32 s13, s9, s13
	s_load_dword s5, s[14:15], 0x0
	s_load_dword s16, s[12:13], 0x0
	s_waitcnt lgkmcnt(0)
	s_sub_i32 s5, s5, s16
	s_cmp_eq_u32 s5, 1
	s_cselect_b64 s[12:13], -1, 0
	s_andn2_b64 vcc, exec, s[6:7]
	s_cbranch_vccnz .LBB355_3
.LBB355_2:
	s_mov_b32 s3, 0
	s_mov_b64 s[12:13], -1
.LBB355_3:
	s_andn2_b64 vcc, exec, s[12:13]
	s_cbranch_vccnz .LBB355_21
; %bb.4:
	s_load_dwordx2 s[6:7], s[0:1], 0x28
	s_lshl_b64 s[12:13], s[2:3], 2
	s_waitcnt lgkmcnt(0)
	s_add_u32 s6, s6, s12
	s_addc_u32 s7, s7, s13
	s_load_dword s27, s[6:7], 0x0
	s_lshl_b32 s18, s26, 8
	s_waitcnt lgkmcnt(0)
	s_cmp_ge_i32 s18, s27
	s_cbranch_scc1 .LBB355_21
; %bb.5:
	s_load_dwordx2 s[6:7], s[0:1], 0x20
	s_load_dword s5, s[0:1], 0x38
	s_add_i32 s14, s27, 31
	s_ashr_i32 s15, s14, 31
	v_and_b32_e32 v1, 0xcf, v0
	s_lshr_b32 s15, s15, 27
	v_add_u32_e32 v1, s18, v1
	s_add_i32 s14, s14, s15
	v_ashrrev_i32_e32 v2, 31, v1
	s_ashr_i32 s19, s14, 5
	v_lshrrev_b32_e32 v4, 27, v2
	s_add_i32 s19, s19, -1
	s_waitcnt lgkmcnt(0)
	s_mul_i32 s14, s2, s5
	s_mov_b32 s15, 0
	v_add_u32_e32 v2, v1, v4
	s_lshl_b64 s[14:15], s[14:15], 2
	v_ashrrev_i32_e32 v2, 5, v2
	v_mov_b32_e32 v5, s19
	v_cmp_gt_i32_e32 vcc, s27, v1
	s_add_u32 s6, s6, s14
	s_addc_u32 s7, s7, s15
	v_cndmask_b32_e32 v2, v5, v2, vcc
	v_ashrrev_i32_e32 v3, 31, v2
	v_lshl_add_u64 v[6:7], v[2:3], 2, s[6:7]
	v_or_b32_e32 v2, 16, v1
	v_add_u32_e32 v3, v2, v4
	v_ashrrev_i32_e32 v3, 5, v3
	v_cmp_gt_i32_e32 vcc, s27, v2
	s_nop 1
	v_cndmask_b32_e32 v2, v5, v3, vcc
	v_ashrrev_i32_e32 v3, 31, v2
	v_lshl_add_u64 v[8:9], v[2:3], 2, s[6:7]
	v_or_b32_e32 v2, 32, v1
	v_add_u32_e32 v3, v2, v4
	v_ashrrev_i32_e32 v3, 5, v3
	v_cmp_gt_i32_e32 vcc, s27, v2
	v_or_b32_e32 v1, 48, v1
	s_nop 0
	v_cndmask_b32_e32 v2, v5, v3, vcc
	v_ashrrev_i32_e32 v3, 31, v2
	v_lshl_add_u64 v[10:11], v[2:3], 2, s[6:7]
	v_add_u32_e32 v2, v1, v4
	v_ashrrev_i32_e32 v2, 5, v2
	v_cmp_gt_i32_e32 vcc, s27, v1
	s_nop 1
	v_cndmask_b32_e32 v2, v5, v2, vcc
	v_ashrrev_i32_e32 v3, 31, v2
	v_lshl_add_u64 v[12:13], v[2:3], 2, s[6:7]
	global_load_dword v5, v[6:7], off
	global_load_dword v4, v[8:9], off
	;; [unrolled: 1-line block ×4, first 2 shown]
	s_andn2_b64 vcc, exec, s[10:11]
	s_cbranch_vccnz .LBB355_8
; %bb.6:
	s_add_u32 s8, s8, s12
	s_addc_u32 s9, s9, s13
	s_load_dword s5, s[8:9], 0x0
	s_branch .LBB355_9
.LBB355_7:
	s_mov_b64 s[12:13], 0
	s_branch .LBB355_2
.LBB355_8:
	s_mov_b32 s5, s2
.LBB355_9:
	s_load_dwordx2 s[14:15], s[0:1], 0x8
	s_load_dwordx4 s[8:11], s[0:1], 0x48
	v_and_b32_e32 v84, 15, v0
	s_waitcnt lgkmcnt(0)
	s_movk_i32 s11, 0xbf
	v_lshlrev_b32_e32 v82, 3, v84
	v_cmp_lt_u32_e32 vcc, s11, v0
	s_and_saveexec_b64 s[12:13], vcc
	s_xor_b64 s[12:13], exec, s[12:13]
; %bb.10:
	v_mov_b32_e32 v83, 0
; %bb.11:
	s_or_saveexec_b64 s[16:17], s[12:13]
	s_load_dwordx2 s[12:13], s[0:1], 0x10
	v_lshrrev_b32_e32 v85, 6, v0
	v_bfe_u32 v1, v0, 4, 2
	s_mul_i32 s40, s4, 12
	s_xor_b64 exec, exec, s[16:17]
	s_cbranch_execz .LBB355_13
; %bb.12:
	s_load_dwordx2 s[20:21], s[0:1], 0x0
	s_ashr_i32 s11, s8, 31
	s_mul_hi_u32 s22, s5, s8
	s_mul_i32 s11, s5, s11
	s_add_i32 s23, s22, s11
	s_mul_i32 s22, s5, s8
	v_lshl_or_b32 v10, v85, 2, v1
	s_lshl_b64 s[22:23], s[22:23], 1
	s_waitcnt lgkmcnt(0)
	s_add_u32 s20, s20, s22
	v_add_lshl_u32 v6, v10, s40, 7
	s_addc_u32 s21, s21, s23
	v_ashrrev_i32_e32 v7, 31, v6
	v_mov_b32_e32 v83, 0
	v_lshl_add_u64 v[6:7], v[6:7], 1, s[20:21]
	v_lshlrev_b32_e32 v8, 1, v82
	v_mov_b32_e32 v9, v83
	v_lshl_add_u64 v[6:7], v[6:7], 0, v[8:9]
	global_load_dwordx4 v[6:9], v[6:7], off
	v_and_b32_e32 v11, 3, v0
	v_lshlrev_b32_e32 v12, 9, v84
	v_lshlrev_b32_e32 v10, 5, v10
	;; [unrolled: 1-line block ×3, first 2 shown]
	v_and_b32_e32 v12, 0x1800, v12
	v_or3_b32 v10, v12, v11, v10
	s_waitcnt vmcnt(0)
	ds_write_b128 v10, v[6:9]
.LBB355_13:
	s_or_b64 exec, exec, s[16:17]
	s_mul_i32 s4, s4, s10
	s_mov_b32 s5, 0
	s_lshl_b64 s[4:5], s[4:5], 1
	s_add_u32 s10, s14, s4
	s_addc_u32 s11, s15, s5
	s_waitcnt vmcnt(3)
	v_mad_i64_i32 v[6:7], s[14:15], v5, s9, 0
	v_lshl_add_u64 v[6:7], v[6:7], 1, s[10:11]
	v_lshlrev_b64 v[8:9], 1, v[82:83]
	v_lshlrev_b32_e32 v86, 9, v1
	v_lshl_add_u64 v[6:7], v[6:7], 0, v[8:9]
	v_mov_b32_e32 v87, 0
	v_lshl_add_u64 v[10:11], v[6:7], 0, v[86:87]
	v_or_b32_e32 v14, 0x1000, v86
	v_mov_b32_e32 v15, v87
	v_or_b32_e32 v16, 0x1800, v86
	v_mov_b32_e32 v17, v87
	s_waitcnt lgkmcnt(0)
	s_barrier
	global_load_dwordx4 v[66:69], v[10:11], off
	global_load_dwordx4 v[62:65], v[10:11], off offset:2048
	v_lshl_add_u64 v[10:11], v[6:7], 0, v[14:15]
	v_lshl_add_u64 v[6:7], v[6:7], 0, v[16:17]
	global_load_dwordx4 v[78:81], v[10:11], off
	global_load_dwordx4 v[74:77], v[6:7], off
	s_waitcnt vmcnt(6)
	v_mad_i64_i32 v[4:5], s[14:15], v4, s9, 0
	v_mov_b32_e32 v6, 0x100
	v_lshl_add_u64 v[4:5], v[4:5], 1, s[10:11]
	v_lshl_or_b32 v6, v84, 4, v6
	v_mov_b32_e32 v7, v87
	v_lshl_add_u64 v[4:5], v[4:5], 0, v[6:7]
	v_lshl_add_u64 v[10:11], v[4:5], 0, v[86:87]
	global_load_dwordx4 v[70:73], v[10:11], off
	global_load_dwordx4 v[58:61], v[10:11], off offset:2048
	v_lshl_add_u64 v[10:11], v[4:5], 0, v[14:15]
	v_lshl_add_u64 v[4:5], v[4:5], 0, v[16:17]
	global_load_dwordx4 v[54:57], v[10:11], off
	global_load_dwordx4 v[30:33], v[4:5], off
	s_waitcnt vmcnt(9)
	v_mad_i64_i32 v[4:5], s[14:15], v3, s9, 0
	v_lshl_add_u64 v[4:5], v[4:5], 1, s[10:11]
	s_waitcnt vmcnt(8)
	v_mad_i64_i32 v[2:3], s[14:15], v2, s9, 0
	v_lshl_add_u64 v[4:5], v[4:5], 0, v[8:9]
	v_lshl_add_u64 v[2:3], v[2:3], 1, s[10:11]
	;; [unrolled: 1-line block ×4, first 2 shown]
	global_load_dwordx4 v[26:29], v[8:9], off
	global_load_dwordx4 v[22:25], v[8:9], off offset:2048
	v_lshl_add_u64 v[8:9], v[4:5], 0, v[14:15]
	v_lshl_add_u64 v[4:5], v[4:5], 0, v[16:17]
	;; [unrolled: 1-line block ×4, first 2 shown]
	global_load_dwordx4 v[18:21], v[8:9], off
	global_load_dwordx4 v[10:13], v[4:5], off
	s_nop 0
	global_load_dwordx4 v[6:9], v[2:3], off
	s_nop 0
	global_load_dwordx4 v[2:5], v[2:3], off offset:2048
	v_lshl_add_u64 v[16:17], v[34:35], 0, v[16:17]
	global_load_dwordx4 v[38:41], v[14:15], off
	global_load_dwordx4 v[34:37], v[16:17], off
	v_add_u32_e32 v14, -12, v84
	v_cmp_gt_u32_e32 vcc, 12, v84
	v_and_b32_e32 v88, 63, v0
	v_mov_b32_e32 v89, 0
	v_cndmask_b32_e32 v14, v14, v84, vcc
	v_lshl_add_u32 v42, v14, 5, v86
	ds_read_b128 v[14:17], v42
	ds_read_b128 v[50:53], v42 offset:2048
	ds_read_b128 v[46:49], v42 offset:4096
	;; [unrolled: 1-line block ×3, first 2 shown]
	s_and_saveexec_b64 s[10:11], vcc
	s_cbranch_execz .LBB355_15
; %bb.14:
	s_load_dwordx2 s[14:15], s[0:1], 0x40
	v_add_u32_e32 v90, s40, v84
	v_ashrrev_i32_e32 v91, 31, v90
	s_waitcnt lgkmcnt(0)
	v_lshl_add_u64 v[90:91], v[90:91], 2, s[14:15]
	global_load_dword v89, v[90:91], off
.LBB355_15:
	s_or_b64 exec, exec, s[10:11]
	s_waitcnt vmcnt(15) lgkmcnt(3)
	v_mfma_f32_16x16x16_f16 v[90:93], v[66:67], v[14:15], 0
	s_ashr_i32 s8, s18, 31
	s_lshr_b32 s8, s8, 27
	s_add_u32 s4, s12, s4
	v_mfma_f32_16x16x16_f16 v[66:69], v[68:69], v[16:17], v[90:93]
	s_addc_u32 s5, s13, s5
	s_mov_b32 s33, 0xff7fffff
	s_waitcnt vmcnt(14) lgkmcnt(2)
	v_mfma_f32_16x16x16_f16 v[66:69], v[62:63], v[50:51], v[66:69]
	v_lshl_or_b32 v90, v85, 4, v84
	v_mfma_f32_16x16x16_f16 v[62:65], v[64:65], v[52:53], v[66:69]
	s_waitcnt vmcnt(13) lgkmcnt(1)
	v_mfma_f32_16x16x16_f16 v[62:65], v[78:79], v[46:47], v[62:65]
	v_mfma_f32_16x16x16_f16 v[62:65], v[80:81], v[48:49], v[62:65]
	s_waitcnt vmcnt(12) lgkmcnt(0)
	v_mfma_f32_16x16x16_f16 v[62:65], v[74:75], v[42:43], v[62:65]
	v_and_or_b32 v74, v0, 48, s18
	v_add_u32_e32 v66, s8, v74
	v_ashrrev_i32_e32 v75, 5, v66
	s_waitcnt vmcnt(11)
	v_mfma_f32_16x16x16_f16 v[66:69], v[70:71], v[14:15], 0
	v_cmp_gt_i32_e32 vcc, s27, v74
	v_mfma_f32_16x16x16_f16 v[66:69], v[72:73], v[16:17], v[66:69]
	v_or_b32_e32 v72, 64, v74
	v_add_u32_e32 v73, s8, v72
	s_waitcnt vmcnt(10)
	v_mfma_f32_16x16x16_f16 v[66:69], v[58:59], v[50:51], v[66:69]
	v_ashrrev_i32_e32 v58, 5, v73
	v_mfma_f32_16x16x16_f16 v[62:65], v[76:77], v[44:45], v[62:65]
	v_mov_b32_e32 v76, s19
	v_cndmask_b32_e32 v70, v76, v75, vcc
	v_cmp_gt_i32_e32 vcc, s27, v72
	v_ashrrev_i32_e32 v71, 31, v70
	v_lshl_add_u64 v[70:71], v[70:71], 2, s[6:7]
	v_cndmask_b32_e32 v72, v76, v58, vcc
	v_mfma_f32_16x16x16_f16 v[58:61], v[60:61], v[52:53], v[66:69]
	v_ashrrev_i32_e32 v73, 31, v72
	s_waitcnt vmcnt(9)
	v_mfma_f32_16x16x16_f16 v[58:61], v[54:55], v[46:47], v[58:61]
	v_lshl_add_u64 v[66:67], v[72:73], 2, s[6:7]
	global_load_dword v72, v[70:71], off
	global_load_dword v75, v[66:67], off
	v_or_b32_e32 v66, 0x80, v74
	v_add_u32_e32 v67, s8, v66
	v_mfma_f32_16x16x16_f16 v[54:57], v[56:57], v[48:49], v[58:61]
	v_cmp_gt_i32_e32 vcc, s27, v66
	s_nop 1
	v_ashrrev_i32_e32 v58, 5, v67
	v_cndmask_b32_e32 v58, v76, v58, vcc
	v_ashrrev_i32_e32 v59, 31, v58
	s_waitcnt vmcnt(10)
	v_mfma_f32_16x16x16_f16 v[54:57], v[30:31], v[42:43], v[54:57]
	v_lshl_add_u64 v[30:31], v[58:59], 2, s[6:7]
	global_load_dword v58, v[30:31], off
	v_mfma_f32_16x16x16_f16 v[66:69], v[32:33], v[44:45], v[54:57]
	s_nop 3
	v_or_b32_e32 v54, 0xc0, v74
	v_add_u32_e32 v30, s8, v54
	v_ashrrev_i32_e32 v55, 5, v30
	v_cmp_gt_i32_e32 vcc, s27, v54
	s_waitcnt vmcnt(10)
	v_mfma_f32_16x16x16_f16 v[30:33], v[26:27], v[14:15], 0
	v_cndmask_b32_e32 v26, v76, v55, vcc
	v_ashrrev_i32_e32 v27, 31, v26
	v_lshl_add_u64 v[54:55], v[26:27], 2, s[6:7]
	global_load_dword v59, v[54:55], off
	v_mfma_f32_16x16x16_f16 v[26:29], v[28:29], v[16:17], v[30:33]
	s_load_dword s6, s[0:1], 0x1c
	s_waitcnt lgkmcnt(0)
	v_pk_mul_f32 v[76:77], s[6:7], v[66:67] op_sel_hi:[0,1]
	s_waitcnt vmcnt(10)
	v_mfma_f32_16x16x16_f16 v[26:29], v[22:23], v[50:51], v[26:29]
	v_and_b32_e32 v30, 16, v0
	v_lshlrev_b32_e32 v86, 1, v30
	v_lshl_add_u64 v[60:61], s[4:5], 0, v[86:87]
	v_mfma_f32_16x16x16_f16 v[22:25], v[24:25], v[52:53], v[26:29]
	v_lshlrev_b32_e32 v86, 6, v90
	v_lshl_add_u64 v[70:71], v[60:61], 0, v[86:87]
	v_or_b32_e32 v86, 0x1000, v86
	s_waitcnt vmcnt(9)
	v_mfma_f32_16x16x16_f16 v[22:25], v[18:19], v[46:47], v[22:25]
	v_lshl_add_u64 v[80:81], v[60:61], 0, v[86:87]
	v_pk_mul_f32 v[78:79], s[6:7], v[64:65] op_sel_hi:[0,1]
	v_pk_mul_f32 v[60:61], s[6:7], v[62:63] op_sel_hi:[0,1]
	v_mfma_f32_16x16x16_f16 v[18:21], v[20:21], v[48:49], v[22:25]
	s_waitcnt vmcnt(8)
	v_mfma_f32_16x16x16_f16 v[18:21], v[10:11], v[42:43], v[18:21]
	s_waitcnt vmcnt(3)
	v_mad_i64_i32 v[22:23], s[4:5], v72, s9, 0
	s_waitcnt vmcnt(2)
	v_mad_i64_i32 v[10:11], s[4:5], v75, s9, 0
	v_lshlrev_b64 v[72:73], 1, v[22:23]
	v_lshlrev_b64 v[54:55], 1, v[10:11]
	v_lshl_add_u64 v[22:23], v[70:71], 0, v[72:73]
	v_lshl_add_u64 v[10:11], v[70:71], 0, v[54:55]
	global_load_dwordx4 v[30:33], v[22:23], off
	global_load_dwordx4 v[26:29], v[22:23], off offset:16
	v_mfma_f32_16x16x16_f16 v[92:95], v[12:13], v[44:45], v[18:21]
	global_load_dwordx4 v[22:25], v[10:11], off
	s_nop 1
	global_load_dwordx4 v[18:21], v[10:11], off offset:16
	v_pk_mul_f32 v[74:75], s[6:7], v[68:69] op_sel_hi:[0,1]
	v_mfma_f32_16x16x16_f16 v[10:13], v[6:7], v[14:15], 0
	s_waitcnt vmcnt(5)
	v_mad_i64_i32 v[6:7], s[4:5], v58, s9, 0
	v_lshlrev_b64 v[56:57], 1, v[6:7]
	v_mfma_f32_16x16x16_f16 v[6:9], v[8:9], v[16:17], v[10:13]
	v_mfma_f32_16x16x16_f16 v[6:9], v[2:3], v[50:51], v[6:9]
	s_nop 1
	v_lshl_add_u64 v[10:11], v[70:71], 0, v[56:57]
	global_load_dwordx4 v[14:17], v[10:11], off
	s_nop 0
	global_load_dwordx4 v[10:13], v[10:11], off offset:16
	s_waitcnt vmcnt(6)
	v_mad_i64_i32 v[2:3], s[4:5], v59, s9, 0
	v_mfma_f32_16x16x16_f16 v[50:53], v[4:5], v[52:53], v[6:9]
	v_lshlrev_b64 v[58:59], 1, v[2:3]
	v_lshl_add_u64 v[2:3], v[70:71], 0, v[58:59]
	v_pk_mul_f32 v[70:71], s[6:7], v[94:95] op_sel_hi:[0,1]
	v_mfma_f32_16x16x16_f16 v[50:53], v[38:39], v[46:47], v[50:53]
	v_lshl_add_u64 v[38:39], v[80:81], 0, v[72:73]
	v_pk_mul_f32 v[72:73], s[6:7], v[92:93] op_sel_hi:[0,1]
	v_lshl_add_u64 v[58:59], v[80:81], 0, v[58:59]
	v_mfma_f32_16x16x16_f16 v[46:49], v[40:41], v[48:49], v[50:53]
	global_load_dwordx4 v[6:9], v[2:3], off
	s_nop 0
	global_load_dwordx4 v[2:5], v[2:3], off offset:16
	v_mfma_f32_16x16x16_f16 v[40:43], v[34:35], v[42:43], v[46:49]
	v_mfma_f32_16x16x16_f16 v[34:37], v[36:37], v[44:45], v[40:43]
	s_nop 6
	v_pk_mul_f32 v[68:69], s[6:7], v[34:35] op_sel_hi:[0,1]
	v_and_b32_e32 v34, 0xc0, v0
	v_add_u32_e32 v34, s18, v34
	v_lshl_or_b32 v34, v1, 2, v34
	v_or_b32_e32 v35, 1, v34
	v_pk_mul_f32 v[66:67], s[6:7], v[36:37] op_sel_hi:[0,1]
	v_subrev_u32_e32 v36, s27, v35
	v_add_u32_e32 v40, 1, v36
	v_add_u32_e32 v41, 2, v36
	v_cvt_f32_i32_e32 v37, v36
	v_cvt_f32_i32_e32 v40, v40
	;; [unrolled: 1-line block ×3, first 2 shown]
	v_add_u32_e32 v42, 3, v36
	v_fma_f32 v60, v89, v37, v60
	v_fmac_f32_e32 v61, v89, v40
	v_fma_f32 v78, v89, v41, v78
	v_add_u32_e32 v37, 16, v36
	v_add_u32_e32 v40, 17, v36
	;; [unrolled: 1-line block ×3, first 2 shown]
	v_cvt_f32_i32_e32 v42, v42
	v_cvt_f32_i32_e32 v37, v37
	;; [unrolled: 1-line block ×4, first 2 shown]
	v_fmac_f32_e32 v79, v89, v42
	v_add_u32_e32 v42, 19, v36
	v_fma_f32 v76, v89, v37, v76
	v_fmac_f32_e32 v77, v89, v40
	v_fma_f32 v74, v89, v41, v74
	v_add_u32_e32 v37, 32, v36
	v_add_u32_e32 v40, 33, v36
	;; [unrolled: 1-line block ×3, first 2 shown]
	v_cvt_f32_i32_e32 v42, v42
	v_cvt_f32_i32_e32 v37, v37
	;; [unrolled: 1-line block ×4, first 2 shown]
	v_fmac_f32_e32 v75, v89, v42
	v_add_u32_e32 v42, 35, v36
	v_fma_f32 v72, v89, v37, v72
	v_fmac_f32_e32 v73, v89, v40
	v_fma_f32 v70, v89, v41, v70
	v_add_u32_e32 v37, 48, v36
	v_add_u32_e32 v40, 49, v36
	v_add_u32_e32 v41, 50, v36
	v_add_u32_e32 v36, 51, v36
	v_cvt_f32_i32_e32 v36, v36
	v_cvt_f32_i32_e32 v37, v37
	;; [unrolled: 1-line block ×3, first 2 shown]
	v_cmp_gt_i32_e64 s[28:29], s27, v34
	v_fmac_f32_e32 v67, v89, v36
	v_mov_b32_e32 v36, 0xff7fffff
	v_cmp_gt_i32_e64 s[30:31], s27, v35
	v_fma_f32 v68, v89, v37, v68
	v_cndmask_b32_e64 v37, v36, v60, s[28:29]
	v_cndmask_b32_e64 v35, v36, v61, s[30:31]
	v_fmac_f32_e32 v69, v89, v40
	v_max3_f32 v35, v37, s33, v35
	v_or_b32_e32 v37, 2, v34
	v_or_b32_e32 v40, 3, v34
	v_cmp_gt_i32_e64 s[34:35], s27, v37
	v_cmp_gt_i32_e64 s[36:37], s27, v40
	v_cvt_f32_i32_e32 v42, v42
	v_cndmask_b32_e64 v37, v36, v78, s[34:35]
	v_cndmask_b32_e64 v40, v36, v79, s[36:37]
	v_max3_f32 v35, v35, v37, v40
	v_or_b32_e32 v37, 16, v34
	v_or_b32_e32 v40, 17, v34
	v_cmp_gt_i32_e64 s[22:23], s27, v37
	v_cmp_gt_i32_e64 s[24:25], s27, v40
	v_fmac_f32_e32 v71, v89, v42
	v_cndmask_b32_e64 v37, v36, v76, s[22:23]
	v_cndmask_b32_e64 v40, v36, v77, s[24:25]
	v_max3_f32 v35, v35, v37, v40
	v_or_b32_e32 v37, 18, v34
	v_or_b32_e32 v40, 19, v34
	v_cmp_gt_i32_e64 s[18:19], s27, v37
	v_cmp_gt_i32_e64 s[20:21], s27, v40
	v_cvt_f32_i32_e32 v41, v41
	v_cndmask_b32_e64 v37, v36, v74, s[18:19]
	v_cndmask_b32_e64 v40, v36, v75, s[20:21]
	v_max3_f32 v35, v35, v37, v40
	v_or_b32_e32 v37, 32, v34
	v_or_b32_e32 v40, 33, v34
	v_cmp_gt_i32_e64 s[14:15], s27, v37
	v_cmp_gt_i32_e64 s[16:17], s27, v40
	v_fma_f32 v66, v89, v41, v66
	v_cndmask_b32_e64 v37, v36, v72, s[14:15]
	v_cndmask_b32_e64 v40, v36, v73, s[16:17]
	v_max3_f32 v35, v35, v37, v40
	v_or_b32_e32 v37, 34, v34
	v_or_b32_e32 v40, 35, v34
	v_cmp_gt_i32_e64 s[10:11], s27, v37
	v_cmp_gt_i32_e64 s[12:13], s27, v40
	s_nop 0
	v_cndmask_b32_e64 v37, v36, v70, s[10:11]
	v_cndmask_b32_e64 v40, v36, v71, s[12:13]
	v_max3_f32 v35, v35, v37, v40
	v_or_b32_e32 v37, 48, v34
	v_or_b32_e32 v40, 49, v34
	v_cmp_gt_i32_e64 s[6:7], s27, v37
	v_cmp_gt_i32_e64 s[8:9], s27, v40
	s_nop 0
	v_cndmask_b32_e64 v37, v36, v68, s[6:7]
	v_cndmask_b32_e64 v40, v36, v69, s[8:9]
	v_max3_f32 v35, v35, v37, v40
	v_or_b32_e32 v37, 50, v34
	v_or_b32_e32 v34, 51, v34
	v_cmp_gt_i32_e32 vcc, s27, v37
	v_cmp_gt_i32_e64 s[4:5], s27, v34
	global_load_dwordx4 v[46:49], v[38:39], off
	s_nop 0
	global_load_dwordx4 v[38:41], v[38:39], off offset:16
	v_cndmask_b32_e32 v37, v36, v66, vcc
	v_cndmask_b32_e64 v34, v36, v67, s[4:5]
	v_max3_f32 v50, v35, v37, v34
	v_mbcnt_lo_u32_b32 v34, -1, 0
	v_mbcnt_hi_u32_b32 v51, -1, v34
	v_and_b32_e32 v34, 64, v51
	v_add_u32_e32 v52, 64, v34
	v_xor_b32_e32 v34, 32, v51
	v_cmp_lt_i32_e64 s[38:39], v34, v52
	s_nop 1
	v_cndmask_b32_e64 v34, v51, v34, s[38:39]
	v_lshlrev_b32_e32 v87, 2, v34
	ds_bpermute_b32 v53, v87, v50
	v_lshl_add_u64 v[34:35], v[80:81], 0, v[54:55]
	global_load_dwordx4 v[42:45], v[34:35], off
	s_nop 0
	global_load_dwordx4 v[34:37], v[34:35], off offset:16
	s_waitcnt lgkmcnt(0)
	v_max_f32_e32 v53, v53, v53
	v_max_f32_e32 v62, v50, v53
	v_xor_b32_e32 v50, 16, v51
	v_cmp_lt_i32_e64 s[38:39], v50, v52
	s_nop 1
	v_cndmask_b32_e64 v50, v51, v50, s[38:39]
	v_lshlrev_b32_e32 v89, 2, v50
	ds_bpermute_b32 v63, v89, v62
	v_lshl_add_u64 v[50:51], v[80:81], 0, v[56:57]
	global_load_dwordx4 v[54:57], v[50:51], off
	s_nop 0
	global_load_dwordx4 v[50:53], v[50:51], off offset:16
	s_waitcnt lgkmcnt(0)
	v_max_f32_e32 v63, v63, v63
	v_max_f32_e32 v86, v62, v63
	v_sub_f32_e32 v60, v60, v86
	v_mul_f32_e32 v60, 0x3fb8aa3b, v60
	v_exp_f32_e32 v80, v60
	v_sub_f32_e32 v60, v61, v86
	v_mul_f32_e32 v60, 0x3fb8aa3b, v60
	v_exp_f32_e32 v81, v60
	global_load_dwordx4 v[62:65], v[58:59], off
	s_nop 0
	global_load_dwordx4 v[58:61], v[58:59], off offset:16
	v_sub_f32_e32 v78, v78, v86
	v_mul_f32_e32 v78, 0x3fb8aa3b, v78
	v_sub_f32_e32 v79, v79, v86
	v_exp_f32_e32 v78, v78
	v_mul_f32_e32 v79, 0x3fb8aa3b, v79
	v_sub_f32_e32 v76, v76, v86
	v_exp_f32_e32 v79, v79
	v_mul_f32_e32 v76, 0x3fb8aa3b, v76
	v_sub_f32_e32 v77, v77, v86
	v_cndmask_b32_e64 v80, 0, v80, s[28:29]
	v_exp_f32_e32 v76, v76
	v_mul_f32_e32 v77, 0x3fb8aa3b, v77
	v_sub_f32_e32 v74, v74, v86
	v_add_f32_e32 v91, 0, v80
	v_cndmask_b32_e64 v81, 0, v81, s[30:31]
	v_exp_f32_e32 v77, v77
	v_mul_f32_e32 v74, 0x3fb8aa3b, v74
	v_sub_f32_e32 v75, v75, v86
	v_add_f32_e32 v91, v91, v81
	;; [unrolled: 5-line block ×10, first 2 shown]
	v_cndmask_b32_e64 v70, 0, v70, s[10:11]
	v_exp_f32_e32 v66, v66
	v_mul_f32_e32 v67, 0x3fb8aa3b, v67
	v_add_f32_e32 v91, v91, v70
	v_cndmask_b32_e64 v71, 0, v71, s[12:13]
	v_exp_f32_e32 v67, v67
	v_add_f32_e32 v91, v91, v71
	v_cndmask_b32_e64 v68, 0, v68, s[6:7]
	v_add_f32_e32 v91, v91, v68
	v_cndmask_b32_e64 v69, 0, v69, s[8:9]
	v_add_f32_e32 v91, v91, v69
	v_cndmask_b32_e32 v66, 0, v66, vcc
	v_add_f32_e32 v91, v91, v66
	v_cndmask_b32_e64 v67, 0, v67, s[4:5]
	v_add_f32_e32 v91, v91, v67
	ds_bpermute_b32 v87, v87, v91
	s_load_dword s7, s[0:1], 0x98
	v_cmp_gt_u32_e32 vcc, 16, v88
	s_waitcnt lgkmcnt(0)
	s_barrier
	v_add_f32_e32 v87, v91, v87
	ds_bpermute_b32 v89, v89, v87
	s_waitcnt lgkmcnt(0)
	s_and_saveexec_b64 s[4:5], vcc
	s_cbranch_execz .LBB355_17
; %bb.16:
	v_add_f32_e32 v87, v87, v89
	v_lshlrev_b32_e32 v88, 2, v90
	ds_write2st64_b32 v88, v86, v87 offset1:1
.LBB355_17:
	s_or_b64 exec, exec, s[4:5]
	v_lshlrev_b32_e32 v87, 2, v84
	s_load_dword s6, s[0:1], 0x94
	s_waitcnt lgkmcnt(0)
	s_barrier
	ds_read2_b32 v[88:89], v87 offset1:16
	ds_read2_b32 v[90:91], v87 offset0:32 offset1:48
	ds_read2_b32 v[92:93], v87 offset0:64 offset1:80
	s_mul_i32 s7, s7, 12
	s_waitcnt lgkmcnt(2)
	v_max3_f32 v86, v88, s33, v89
	s_waitcnt lgkmcnt(1)
	v_max3_f32 v86, v86, v90, v91
	v_sub_f32_e32 v88, v88, v86
	v_mul_f32_e32 v88, 0x3fb8aa3b, v88
	v_exp_f32_e32 v94, v88
	v_sub_f32_e32 v88, v89, v86
	v_mul_f32_e32 v88, 0x3fb8aa3b, v88
	v_exp_f32_e32 v95, v88
	;; [unrolled: 3-line block ×3, first 2 shown]
	ds_read2_b32 v[88:89], v87 offset0:96 offset1:112
	v_sub_f32_e32 v87, v91, v86
	v_mul_f32_e32 v87, 0x3fb8aa3b, v87
	v_exp_f32_e32 v91, v87
	s_waitcnt lgkmcnt(1)
	v_fma_f32 v87, v94, v92, 0
	v_fmac_f32_e32 v87, v95, v93
	s_waitcnt lgkmcnt(0)
	v_fmac_f32_e32 v87, v90, v88
	v_fmac_f32_e32 v87, v91, v89
	v_add_f32_e32 v88, 0x358637bd, v87
	v_div_scale_f32 v89, s[4:5], v88, v88, 1.0
	v_rcp_f32_e32 v92, v89
	s_barrier
	v_fma_f32 v93, -v89, v92, 1.0
	v_fmac_f32_e32 v92, v93, v92
	v_div_scale_f32 v93, vcc, 1.0, v88, 1.0
	v_mul_f32_e32 v1, v93, v92
	v_fma_f32 v85, -v89, v1, v93
	v_fmac_f32_e32 v1, v85, v92
	v_fma_f32 v85, -v89, v1, v93
	v_lshrrev_b32_e32 v89, 6, v0
	v_div_fmas_f32 v1, v85, v92, v1
	v_cmp_eq_u32_e32 vcc, 1, v89
	v_div_fixup_f32 v1, v1, v88, 1.0
	s_nop 0
	v_cndmask_b32_e32 v85, v94, v95, vcc
	v_cmp_eq_u32_e32 vcc, 2, v89
	s_nop 1
	v_cndmask_b32_e32 v85, v85, v90, vcc
	v_cmp_eq_u32_e32 vcc, 3, v89
	s_nop 1
	v_cndmask_b32_e32 v85, v85, v91, vcc
	v_mul_f32_e32 v88, v85, v1
	v_pk_mul_f32 v[78:79], v[88:89], v[78:79] op_sel_hi:[0,1]
	v_cvt_f16_f32_e32 v78, v78
	v_cvt_f16_f32_e32 v79, v79
	v_pk_mul_f32 v[80:81], v[88:89], v[80:81] op_sel_hi:[0,1]
	v_cvt_f16_f32_e32 v1, v80
	v_cvt_f16_f32_e32 v80, v81
	v_pk_mul_f32 v[74:75], v[88:89], v[74:75] op_sel_hi:[0,1]
	v_pk_mul_f32 v[76:77], v[88:89], v[76:77] op_sel_hi:[0,1]
	v_pack_b32_f16 v81, v78, v79
	v_cvt_f16_f32_e32 v76, v76
	v_cvt_f16_f32_e32 v77, v77
	;; [unrolled: 1-line block ×4, first 2 shown]
	v_bfe_u32 v85, v0, 4, 2
	v_pack_b32_f16 v80, v1, v80
	v_lshlrev_b32_e32 v1, 3, v85
	v_lshlrev_b32_e32 v78, 5, v84
	;; [unrolled: 1-line block ×3, first 2 shown]
	v_pk_mul_f32 v[70:71], v[88:89], v[70:71] op_sel_hi:[0,1]
	v_pk_mul_f32 v[72:73], v[88:89], v[72:73] op_sel_hi:[0,1]
	;; [unrolled: 1-line block ×4, first 2 shown]
	v_or3_b32 v74, v74, v78, v1
	v_pack_b32_f16 v76, v76, v77
	v_pack_b32_f16 v77, v79, v75
	v_cvt_f16_f32_e32 v1, v72
	v_cvt_f16_f32_e32 v72, v73
	;; [unrolled: 1-line block ×8, first 2 shown]
	v_pack_b32_f16 v66, v1, v72
	v_pack_b32_f16 v67, v70, v71
	;; [unrolled: 1-line block ×4, first 2 shown]
	v_cmp_gt_u32_e32 vcc, 12, v0
	ds_write2st64_b64 v74, v[80:81], v[76:77] offset1:1
	ds_write2st64_b64 v74, v[66:67], v[68:69] offset0:2 offset1:3
	s_and_saveexec_b64 s[4:5], vcc
	s_cbranch_execz .LBB355_19
; %bb.18:
	s_mov_b32 s41, 0
	v_mov_b32_e32 v85, 0
	v_lshl_add_u64 v[66:67], s[40:41], 0, v[84:85]
	v_mov_b32_e32 v1, s7
	v_mad_u64_u32 v[66:67], s[12:13], s2, v1, v[66:67]
	s_mul_i32 s3, s3, s7
	v_mov_b32_e32 v68, s26
	v_mov_b32_e32 v69, v85
	s_load_dwordx4 s[8:11], s[0:1], 0x58
	v_add_u32_e32 v1, s3, v67
	v_mad_u64_u32 v[66:67], s[12:13], v66, s6, v[68:69]
	v_mov_b32_e32 v68, v67
	v_mad_u64_u32 v[68:69], s[12:13], v1, s6, v[68:69]
	v_mov_b32_e32 v67, v68
	v_lshlrev_b64 v[66:67], 2, v[66:67]
	v_bfe_u32 v85, v0, 4, 2
	s_waitcnt lgkmcnt(0)
	v_lshl_add_u64 v[68:69], s[10:11], 0, v[66:67]
	v_lshl_add_u64 v[66:67], s[8:9], 0, v[66:67]
	global_store_dword v[68:69], v86, off
	global_store_dword v[66:67], v87, off
.LBB355_19:
	s_or_b64 exec, exec, s[4:5]
	v_lshl_or_b32 v1, v85, 9, v78
	s_waitcnt lgkmcnt(0)
	s_barrier
	ds_read_b128 v[70:73], v1
	ds_read_b128 v[66:69], v1 offset:16
	s_waitcnt vmcnt(15) lgkmcnt(1)
	v_mfma_f32_16x16x16_f16 v[76:79], v[30:31], v[70:71], 0
	s_mov_b32 s3, 0
	v_cmp_gt_u32_e32 vcc, 64, v0
	v_mfma_f32_16x16x16_f16 v[30:33], v[32:33], v[72:73], v[76:79]
	s_waitcnt vmcnt(14) lgkmcnt(0)
	v_mfma_f32_16x16x16_f16 v[30:33], v[26:27], v[66:67], v[30:33]
	v_mfma_f32_16x16x16_f16 v[26:29], v[28:29], v[68:69], v[30:33]
	s_nop 5
	ds_read_b128 v[30:33], v1 offset:2048
	ds_read_b128 v[76:79], v1 offset:2064
	s_waitcnt vmcnt(13) lgkmcnt(1)
	v_mfma_f32_16x16x16_f16 v[26:29], v[22:23], v[30:31], v[26:29]
	v_mfma_f32_16x16x16_f16 v[22:25], v[24:25], v[32:33], v[26:29]
	s_waitcnt vmcnt(12) lgkmcnt(0)
	v_mfma_f32_16x16x16_f16 v[22:25], v[18:19], v[76:77], v[22:25]
	v_mfma_f32_16x16x16_f16 v[18:21], v[20:21], v[78:79], v[22:25]
	s_nop 5
	ds_read_b128 v[22:25], v1 offset:4096
	ds_read_b128 v[26:29], v1 offset:4112
	s_waitcnt vmcnt(11) lgkmcnt(1)
	v_mfma_f32_16x16x16_f16 v[18:21], v[14:15], v[22:23], v[18:21]
	v_mfma_f32_16x16x16_f16 v[14:17], v[16:17], v[24:25], v[18:21]
	s_waitcnt vmcnt(10) lgkmcnt(0)
	v_mfma_f32_16x16x16_f16 v[14:17], v[10:11], v[26:27], v[14:17]
	v_mfma_f32_16x16x16_f16 v[10:13], v[12:13], v[28:29], v[14:17]
	s_nop 5
	ds_read_b128 v[14:17], v1 offset:6144
	ds_read_b128 v[18:21], v1 offset:6160
	s_waitcnt lgkmcnt(0)
	s_barrier
	s_waitcnt vmcnt(9)
	v_mfma_f32_16x16x16_f16 v[10:13], v[6:7], v[14:15], v[10:13]
	v_mfma_f32_16x16x16_f16 v[6:9], v[8:9], v[16:17], v[10:13]
	s_waitcnt vmcnt(8)
	v_mfma_f32_16x16x16_f16 v[6:9], v[2:3], v[18:19], v[6:9]
	v_mfma_f32_16x16x16_f16 v[2:5], v[4:5], v[20:21], v[6:9]
	;; [unrolled: 3-line block ×3, first 2 shown]
	s_nop 3
	v_cvt_f16_f32_e32 v1, v2
	v_cvt_f16_f32_e32 v10, v3
	;; [unrolled: 1-line block ×3, first 2 shown]
	s_waitcnt vmcnt(6)
	v_mfma_f32_16x16x16_f16 v[6:9], v[38:39], v[66:67], v[6:9]
	v_cvt_f16_f32_e32 v12, v5
	v_mfma_f32_16x16x16_f16 v[6:9], v[40:41], v[68:69], v[6:9]
	s_waitcnt vmcnt(5)
	v_mfma_f32_16x16x16_f16 v[6:9], v[42:43], v[30:31], v[6:9]
	v_mfma_f32_16x16x16_f16 v[6:9], v[44:45], v[32:33], v[6:9]
	s_waitcnt vmcnt(4)
	v_mfma_f32_16x16x16_f16 v[6:9], v[34:35], v[76:77], v[6:9]
	;; [unrolled: 3-line block ×6, first 2 shown]
	v_mfma_f32_16x16x16_f16 v[2:5], v[60:61], v[20:21], v[6:9]
	s_nop 6
	v_cvt_f16_f32_e32 v6, v2
	v_cvt_f16_f32_e32 v7, v3
	;; [unrolled: 1-line block ×4, first 2 shown]
	v_pack_b32_f16 v2, v1, v10
	v_pack_b32_f16 v3, v11, v12
	;; [unrolled: 1-line block ×4, first 2 shown]
	ds_write2st64_b64 v74, v[2:3], v[4:5] offset1:1
	s_waitcnt lgkmcnt(0)
	s_barrier
	s_and_saveexec_b64 s[4:5], vcc
	s_cbranch_execz .LBB355_21
; %bb.20:
	s_load_dwordx2 s[0:1], s[0:1], 0x68
	s_lshl_b32 s6, s6, 7
	s_mul_i32 s2, s7, s2
	s_mul_hi_u32 s5, s2, s6
	s_mul_i32 s4, s2, s6
	s_lshl_b64 s[4:5], s[4:5], 1
	v_lshlrev_b32_e32 v3, 6, v84
	s_waitcnt lgkmcnt(0)
	s_add_u32 s4, s0, s4
	v_lshlrev_b32_e32 v2, 4, v0
	v_lshl_or_b32 v0, v0, 10, v3
	s_addc_u32 s5, s1, s5
	s_lshl_b32 s2, s26, 7
	v_lshlrev_b32_e32 v1, 5, v85
	v_and_b32_e32 v2, 16, v2
	v_and_b32_e32 v0, 0x1a00, v0
	s_lshl_b64 s[0:1], s[2:3], 1
	v_or3_b32 v0, v0, v1, v2
	s_add_u32 s0, s4, s0
	ds_read_b128 v[2:5], v0
	ds_read_b128 v[6:9], v0 offset:128
	ds_read_b128 v[10:13], v0 offset:256
	s_addc_u32 s1, s5, s1
	v_or_b32_e32 v16, s40, v85
	v_lshl_add_u64 v[0:1], v[82:83], 1, s[0:1]
	v_mad_u64_u32 v[14:15], s[0:1], v16, s6, 0
	v_lshl_add_u64 v[14:15], v[14:15], 1, v[0:1]
	s_waitcnt lgkmcnt(2)
	global_store_dwordx4 v[14:15], v[2:5], off
	s_nop 1
	v_add_u32_e32 v2, 4, v16
	v_mad_u64_u32 v[2:3], s[0:1], v2, s6, 0
	v_lshl_add_u64 v[2:3], v[2:3], 1, v[0:1]
	s_waitcnt lgkmcnt(1)
	global_store_dwordx4 v[2:3], v[6:9], off
	v_add_u32_e32 v2, 8, v16
	v_mad_u64_u32 v[2:3], s[0:1], v2, s6, 0
	v_lshl_add_u64 v[0:1], v[2:3], 1, v[0:1]
	s_waitcnt lgkmcnt(0)
	global_store_dwordx4 v[0:1], v[10:13], off
.LBB355_21:
	s_endpgm
	.section	.rodata,"a",@progbits
	.p2align	6, 0x0
	.amdhsa_kernel _Z39paged_attention_ll4mi_QKV_mfma16_kernelIDF16_DF16_LN4vllm18Fp8KVCacheDataTypeE0EDF16_Li32ELi128ELi256ELb1ELi12EEvPKT_PKT0_S7_ifPKiS9_S9_iPKfiiiPfSC_PS2_PT2_iSB_SB_
		.amdhsa_group_segment_fixed_size 8192
		.amdhsa_private_segment_fixed_size 0
		.amdhsa_kernarg_size 400
		.amdhsa_user_sgpr_count 2
		.amdhsa_user_sgpr_dispatch_ptr 0
		.amdhsa_user_sgpr_queue_ptr 0
		.amdhsa_user_sgpr_kernarg_segment_ptr 1
		.amdhsa_user_sgpr_dispatch_id 0
		.amdhsa_user_sgpr_kernarg_preload_length 0
		.amdhsa_user_sgpr_kernarg_preload_offset 0
		.amdhsa_user_sgpr_private_segment_size 0
		.amdhsa_uses_dynamic_stack 0
		.amdhsa_enable_private_segment 0
		.amdhsa_system_sgpr_workgroup_id_x 1
		.amdhsa_system_sgpr_workgroup_id_y 1
		.amdhsa_system_sgpr_workgroup_id_z 1
		.amdhsa_system_sgpr_workgroup_info 0
		.amdhsa_system_vgpr_workitem_id 0
		.amdhsa_next_free_vgpr 96
		.amdhsa_next_free_sgpr 42
		.amdhsa_accum_offset 96
		.amdhsa_reserve_vcc 1
		.amdhsa_float_round_mode_32 0
		.amdhsa_float_round_mode_16_64 0
		.amdhsa_float_denorm_mode_32 3
		.amdhsa_float_denorm_mode_16_64 3
		.amdhsa_dx10_clamp 1
		.amdhsa_ieee_mode 1
		.amdhsa_fp16_overflow 0
		.amdhsa_tg_split 0
		.amdhsa_exception_fp_ieee_invalid_op 0
		.amdhsa_exception_fp_denorm_src 0
		.amdhsa_exception_fp_ieee_div_zero 0
		.amdhsa_exception_fp_ieee_overflow 0
		.amdhsa_exception_fp_ieee_underflow 0
		.amdhsa_exception_fp_ieee_inexact 0
		.amdhsa_exception_int_div_zero 0
	.end_amdhsa_kernel
	.section	.text._Z39paged_attention_ll4mi_QKV_mfma16_kernelIDF16_DF16_LN4vllm18Fp8KVCacheDataTypeE0EDF16_Li32ELi128ELi256ELb1ELi12EEvPKT_PKT0_S7_ifPKiS9_S9_iPKfiiiPfSC_PS2_PT2_iSB_SB_,"axG",@progbits,_Z39paged_attention_ll4mi_QKV_mfma16_kernelIDF16_DF16_LN4vllm18Fp8KVCacheDataTypeE0EDF16_Li32ELi128ELi256ELb1ELi12EEvPKT_PKT0_S7_ifPKiS9_S9_iPKfiiiPfSC_PS2_PT2_iSB_SB_,comdat
.Lfunc_end355:
	.size	_Z39paged_attention_ll4mi_QKV_mfma16_kernelIDF16_DF16_LN4vllm18Fp8KVCacheDataTypeE0EDF16_Li32ELi128ELi256ELb1ELi12EEvPKT_PKT0_S7_ifPKiS9_S9_iPKfiiiPfSC_PS2_PT2_iSB_SB_, .Lfunc_end355-_Z39paged_attention_ll4mi_QKV_mfma16_kernelIDF16_DF16_LN4vllm18Fp8KVCacheDataTypeE0EDF16_Li32ELi128ELi256ELb1ELi12EEvPKT_PKT0_S7_ifPKiS9_S9_iPKfiiiPfSC_PS2_PT2_iSB_SB_
                                        ; -- End function
	.section	.AMDGPU.csdata,"",@progbits
; Kernel info:
; codeLenInByte = 4896
; NumSgprs: 48
; NumVgprs: 96
; NumAgprs: 0
; TotalNumVgprs: 96
; ScratchSize: 0
; MemoryBound: 0
; FloatMode: 240
; IeeeMode: 1
; LDSByteSize: 8192 bytes/workgroup (compile time only)
; SGPRBlocks: 5
; VGPRBlocks: 11
; NumSGPRsForWavesPerEU: 48
; NumVGPRsForWavesPerEU: 96
; AccumOffset: 96
; Occupancy: 5
; WaveLimiterHint : 1
; COMPUTE_PGM_RSRC2:SCRATCH_EN: 0
; COMPUTE_PGM_RSRC2:USER_SGPR: 2
; COMPUTE_PGM_RSRC2:TRAP_HANDLER: 0
; COMPUTE_PGM_RSRC2:TGID_X_EN: 1
; COMPUTE_PGM_RSRC2:TGID_Y_EN: 1
; COMPUTE_PGM_RSRC2:TGID_Z_EN: 1
; COMPUTE_PGM_RSRC2:TIDIG_COMP_CNT: 0
; COMPUTE_PGM_RSRC3_GFX90A:ACCUM_OFFSET: 23
; COMPUTE_PGM_RSRC3_GFX90A:TG_SPLIT: 0
	.section	.text._Z39paged_attention_ll4mi_QKV_mfma16_kernelIDF16_DF16_LN4vllm18Fp8KVCacheDataTypeE0EDF16_Li32ELi128ELi256ELb1ELi13EEvPKT_PKT0_S7_ifPKiS9_S9_iPKfiiiPfSC_PS2_PT2_iSB_SB_,"axG",@progbits,_Z39paged_attention_ll4mi_QKV_mfma16_kernelIDF16_DF16_LN4vllm18Fp8KVCacheDataTypeE0EDF16_Li32ELi128ELi256ELb1ELi13EEvPKT_PKT0_S7_ifPKiS9_S9_iPKfiiiPfSC_PS2_PT2_iSB_SB_,comdat
	.protected	_Z39paged_attention_ll4mi_QKV_mfma16_kernelIDF16_DF16_LN4vllm18Fp8KVCacheDataTypeE0EDF16_Li32ELi128ELi256ELb1ELi13EEvPKT_PKT0_S7_ifPKiS9_S9_iPKfiiiPfSC_PS2_PT2_iSB_SB_ ; -- Begin function _Z39paged_attention_ll4mi_QKV_mfma16_kernelIDF16_DF16_LN4vllm18Fp8KVCacheDataTypeE0EDF16_Li32ELi128ELi256ELb1ELi13EEvPKT_PKT0_S7_ifPKiS9_S9_iPKfiiiPfSC_PS2_PT2_iSB_SB_
	.globl	_Z39paged_attention_ll4mi_QKV_mfma16_kernelIDF16_DF16_LN4vllm18Fp8KVCacheDataTypeE0EDF16_Li32ELi128ELi256ELb1ELi13EEvPKT_PKT0_S7_ifPKiS9_S9_iPKfiiiPfSC_PS2_PT2_iSB_SB_
	.p2align	8
	.type	_Z39paged_attention_ll4mi_QKV_mfma16_kernelIDF16_DF16_LN4vllm18Fp8KVCacheDataTypeE0EDF16_Li32ELi128ELi256ELb1ELi13EEvPKT_PKT0_S7_ifPKiS9_S9_iPKfiiiPfSC_PS2_PT2_iSB_SB_,@function
_Z39paged_attention_ll4mi_QKV_mfma16_kernelIDF16_DF16_LN4vllm18Fp8KVCacheDataTypeE0EDF16_Li32ELi128ELi256ELb1ELi13EEvPKT_PKT0_S7_ifPKiS9_S9_iPKfiiiPfSC_PS2_PT2_iSB_SB_: ; @_Z39paged_attention_ll4mi_QKV_mfma16_kernelIDF16_DF16_LN4vllm18Fp8KVCacheDataTypeE0EDF16_Li32ELi128ELi256ELb1ELi13EEvPKT_PKT0_S7_ifPKiS9_S9_iPKfiiiPfSC_PS2_PT2_iSB_SB_
; %bb.0:
	s_load_dwordx2 s[8:9], s[0:1], 0x30
	s_mov_b32 s26, s3
	s_mov_b64 s[6:7], 0
	s_waitcnt lgkmcnt(0)
	s_cmp_lg_u64 s[8:9], 0
	s_cselect_b64 s[10:11], -1, 0
	s_and_b64 vcc, exec, s[10:11]
	s_cbranch_vccz .LBB356_7
; %bb.1:
	s_add_i32 s12, s2, 1
	s_mov_b32 s13, 0
	s_lshl_b64 s[14:15], s[12:13], 2
	s_add_u32 s14, s8, s14
	s_mov_b32 s3, s13
	s_addc_u32 s15, s9, s15
	s_lshl_b64 s[12:13], s[2:3], 2
	s_add_u32 s12, s8, s12
	s_addc_u32 s13, s9, s13
	s_load_dword s5, s[14:15], 0x0
	s_load_dword s16, s[12:13], 0x0
	s_waitcnt lgkmcnt(0)
	s_sub_i32 s5, s5, s16
	s_cmp_eq_u32 s5, 1
	s_cselect_b64 s[12:13], -1, 0
	s_andn2_b64 vcc, exec, s[6:7]
	s_cbranch_vccnz .LBB356_3
.LBB356_2:
	s_mov_b32 s3, 0
	s_mov_b64 s[12:13], -1
.LBB356_3:
	s_andn2_b64 vcc, exec, s[12:13]
	s_cbranch_vccnz .LBB356_22
; %bb.4:
	s_load_dwordx2 s[6:7], s[0:1], 0x28
	s_lshl_b64 s[12:13], s[2:3], 2
	s_waitcnt lgkmcnt(0)
	s_add_u32 s6, s6, s12
	s_addc_u32 s7, s7, s13
	s_load_dword s27, s[6:7], 0x0
	s_lshl_b32 s18, s26, 8
	s_waitcnt lgkmcnt(0)
	s_cmp_ge_i32 s18, s27
	s_cbranch_scc1 .LBB356_22
; %bb.5:
	s_load_dwordx2 s[6:7], s[0:1], 0x20
	s_load_dword s5, s[0:1], 0x38
	s_add_i32 s14, s27, 31
	s_ashr_i32 s15, s14, 31
	v_and_b32_e32 v1, 0xcf, v0
	s_lshr_b32 s15, s15, 27
	v_add_u32_e32 v1, s18, v1
	s_add_i32 s14, s14, s15
	v_ashrrev_i32_e32 v2, 31, v1
	s_ashr_i32 s19, s14, 5
	v_lshrrev_b32_e32 v4, 27, v2
	s_add_i32 s19, s19, -1
	s_waitcnt lgkmcnt(0)
	s_mul_i32 s14, s2, s5
	s_mov_b32 s15, 0
	v_add_u32_e32 v2, v1, v4
	s_lshl_b64 s[14:15], s[14:15], 2
	v_ashrrev_i32_e32 v2, 5, v2
	v_mov_b32_e32 v5, s19
	v_cmp_gt_i32_e32 vcc, s27, v1
	s_add_u32 s6, s6, s14
	s_addc_u32 s7, s7, s15
	v_cndmask_b32_e32 v2, v5, v2, vcc
	v_ashrrev_i32_e32 v3, 31, v2
	v_lshl_add_u64 v[6:7], v[2:3], 2, s[6:7]
	v_or_b32_e32 v2, 16, v1
	v_add_u32_e32 v3, v2, v4
	v_ashrrev_i32_e32 v3, 5, v3
	v_cmp_gt_i32_e32 vcc, s27, v2
	s_nop 1
	v_cndmask_b32_e32 v2, v5, v3, vcc
	v_ashrrev_i32_e32 v3, 31, v2
	v_lshl_add_u64 v[8:9], v[2:3], 2, s[6:7]
	v_or_b32_e32 v2, 32, v1
	v_add_u32_e32 v3, v2, v4
	v_ashrrev_i32_e32 v3, 5, v3
	v_cmp_gt_i32_e32 vcc, s27, v2
	v_or_b32_e32 v1, 48, v1
	s_nop 0
	v_cndmask_b32_e32 v2, v5, v3, vcc
	v_ashrrev_i32_e32 v3, 31, v2
	v_lshl_add_u64 v[10:11], v[2:3], 2, s[6:7]
	v_add_u32_e32 v2, v1, v4
	v_ashrrev_i32_e32 v2, 5, v2
	v_cmp_gt_i32_e32 vcc, s27, v1
	s_nop 1
	v_cndmask_b32_e32 v2, v5, v2, vcc
	v_ashrrev_i32_e32 v3, 31, v2
	v_lshl_add_u64 v[12:13], v[2:3], 2, s[6:7]
	global_load_dword v5, v[6:7], off
	global_load_dword v4, v[8:9], off
	;; [unrolled: 1-line block ×4, first 2 shown]
	s_andn2_b64 vcc, exec, s[10:11]
	s_cbranch_vccnz .LBB356_8
; %bb.6:
	s_add_u32 s8, s8, s12
	s_addc_u32 s9, s9, s13
	s_load_dword s5, s[8:9], 0x0
	s_branch .LBB356_9
.LBB356_7:
	s_mov_b64 s[12:13], 0
	s_branch .LBB356_2
.LBB356_8:
	s_mov_b32 s5, s2
.LBB356_9:
	s_load_dwordx2 s[14:15], s[0:1], 0x8
	s_load_dwordx4 s[8:11], s[0:1], 0x48
	v_lshrrev_b32_e32 v88, 6, v0
	v_bfe_u32 v1, v0, 4, 2
	v_lshl_or_b32 v6, v88, 2, v1
	v_and_b32_e32 v84, 15, v0
	v_lshlrev_b32_e32 v82, 3, v84
	v_cmp_lt_u32_e32 vcc, 12, v6
	s_and_saveexec_b64 s[12:13], vcc
	s_xor_b64 s[12:13], exec, s[12:13]
; %bb.10:
	v_mov_b32_e32 v83, 0
                                        ; implicit-def: $vgpr6
; %bb.11:
	s_or_saveexec_b64 s[16:17], s[12:13]
	s_load_dwordx2 s[12:13], s[0:1], 0x10
	s_mul_i32 s40, s4, 13
	s_xor_b64 exec, exec, s[16:17]
	s_cbranch_execz .LBB356_13
; %bb.12:
	s_load_dwordx2 s[20:21], s[0:1], 0x0
	s_waitcnt lgkmcnt(0)
	s_ashr_i32 s11, s8, 31
	s_mul_hi_u32 s22, s5, s8
	s_mul_i32 s11, s5, s11
	s_add_i32 s23, s22, s11
	s_mul_i32 s22, s5, s8
	s_lshl_b64 s[22:23], s[22:23], 1
	s_add_u32 s20, s20, s22
	v_add_lshl_u32 v8, v6, s40, 7
	s_addc_u32 s21, s21, s23
	v_ashrrev_i32_e32 v9, 31, v8
	v_mov_b32_e32 v83, 0
	v_lshl_add_u64 v[8:9], v[8:9], 1, s[20:21]
	v_lshlrev_b32_e32 v10, 1, v82
	v_mov_b32_e32 v11, v83
	v_lshl_add_u64 v[8:9], v[8:9], 0, v[10:11]
	global_load_dwordx4 v[8:11], v[8:9], off
	v_and_b32_e32 v7, 3, v0
	v_lshlrev_b32_e32 v12, 9, v84
	v_lshlrev_b32_e32 v6, 5, v6
	;; [unrolled: 1-line block ×3, first 2 shown]
	v_and_b32_e32 v12, 0x1800, v12
	v_or3_b32 v6, v12, v7, v6
	s_waitcnt vmcnt(0)
	ds_write_b128 v6, v[8:11]
.LBB356_13:
	s_or_b64 exec, exec, s[16:17]
	s_waitcnt lgkmcnt(0)
	s_mul_i32 s4, s4, s10
	s_mov_b32 s5, 0
	s_lshl_b64 s[4:5], s[4:5], 1
	s_add_u32 s10, s14, s4
	s_addc_u32 s11, s15, s5
	s_waitcnt vmcnt(3)
	v_mad_i64_i32 v[6:7], s[14:15], v5, s9, 0
	v_lshl_add_u64 v[6:7], v[6:7], 1, s[10:11]
	v_lshlrev_b64 v[8:9], 1, v[82:83]
	v_lshlrev_b32_e32 v86, 9, v1
	v_lshl_add_u64 v[6:7], v[6:7], 0, v[8:9]
	v_mov_b32_e32 v87, 0
	v_lshl_add_u64 v[10:11], v[6:7], 0, v[86:87]
	v_or_b32_e32 v14, 0x1000, v86
	v_mov_b32_e32 v15, v87
	v_or_b32_e32 v16, 0x1800, v86
	v_mov_b32_e32 v17, v87
	s_barrier
	global_load_dwordx4 v[66:69], v[10:11], off
	global_load_dwordx4 v[62:65], v[10:11], off offset:2048
	v_lshl_add_u64 v[10:11], v[6:7], 0, v[14:15]
	v_lshl_add_u64 v[6:7], v[6:7], 0, v[16:17]
	global_load_dwordx4 v[78:81], v[10:11], off
	global_load_dwordx4 v[74:77], v[6:7], off
	s_waitcnt vmcnt(6)
	v_mad_i64_i32 v[4:5], s[14:15], v4, s9, 0
	v_mov_b32_e32 v6, 0x100
	v_lshl_add_u64 v[4:5], v[4:5], 1, s[10:11]
	v_lshl_or_b32 v6, v84, 4, v6
	v_mov_b32_e32 v7, v87
	v_lshl_add_u64 v[4:5], v[4:5], 0, v[6:7]
	v_lshl_add_u64 v[10:11], v[4:5], 0, v[86:87]
	global_load_dwordx4 v[70:73], v[10:11], off
	global_load_dwordx4 v[58:61], v[10:11], off offset:2048
	v_lshl_add_u64 v[10:11], v[4:5], 0, v[14:15]
	v_lshl_add_u64 v[4:5], v[4:5], 0, v[16:17]
	global_load_dwordx4 v[54:57], v[10:11], off
	global_load_dwordx4 v[30:33], v[4:5], off
	s_waitcnt vmcnt(9)
	v_mad_i64_i32 v[4:5], s[14:15], v3, s9, 0
	v_lshl_add_u64 v[4:5], v[4:5], 1, s[10:11]
	s_waitcnt vmcnt(8)
	v_mad_i64_i32 v[2:3], s[14:15], v2, s9, 0
	v_lshl_add_u64 v[4:5], v[4:5], 0, v[8:9]
	v_lshl_add_u64 v[2:3], v[2:3], 1, s[10:11]
	;; [unrolled: 1-line block ×4, first 2 shown]
	global_load_dwordx4 v[26:29], v[8:9], off
	global_load_dwordx4 v[22:25], v[8:9], off offset:2048
	v_lshl_add_u64 v[8:9], v[4:5], 0, v[14:15]
	v_lshl_add_u64 v[4:5], v[4:5], 0, v[16:17]
	;; [unrolled: 1-line block ×4, first 2 shown]
	global_load_dwordx4 v[18:21], v[8:9], off
	global_load_dwordx4 v[10:13], v[4:5], off
	s_nop 0
	global_load_dwordx4 v[6:9], v[2:3], off
	s_nop 0
	global_load_dwordx4 v[2:5], v[2:3], off offset:2048
	v_lshl_add_u64 v[16:17], v[34:35], 0, v[16:17]
	global_load_dwordx4 v[38:41], v[14:15], off
	global_load_dwordx4 v[34:37], v[16:17], off
	v_add_u32_e32 v14, -13, v84
	v_cmp_gt_u32_e32 vcc, 13, v84
	v_and_b32_e32 v85, 63, v0
	v_mov_b32_e32 v89, 0
	v_cndmask_b32_e32 v14, v14, v84, vcc
	v_lshl_add_u32 v42, v14, 5, v86
	ds_read_b128 v[14:17], v42
	ds_read_b128 v[50:53], v42 offset:2048
	ds_read_b128 v[46:49], v42 offset:4096
	;; [unrolled: 1-line block ×3, first 2 shown]
	s_and_saveexec_b64 s[10:11], vcc
	s_cbranch_execz .LBB356_15
; %bb.14:
	s_load_dwordx2 s[14:15], s[0:1], 0x40
	v_add_u32_e32 v90, s40, v84
	v_ashrrev_i32_e32 v91, 31, v90
	s_waitcnt lgkmcnt(0)
	v_lshl_add_u64 v[90:91], v[90:91], 2, s[14:15]
	global_load_dword v89, v[90:91], off
.LBB356_15:
	s_or_b64 exec, exec, s[10:11]
	s_waitcnt vmcnt(15) lgkmcnt(3)
	v_mfma_f32_16x16x16_f16 v[90:93], v[66:67], v[14:15], 0
	s_ashr_i32 s8, s18, 31
	s_lshr_b32 s8, s8, 27
	s_add_u32 s4, s12, s4
	v_mfma_f32_16x16x16_f16 v[66:69], v[68:69], v[16:17], v[90:93]
	s_addc_u32 s5, s13, s5
	s_mov_b32 s33, 0xff7fffff
	s_waitcnt vmcnt(14) lgkmcnt(2)
	v_mfma_f32_16x16x16_f16 v[66:69], v[62:63], v[50:51], v[66:69]
	v_lshl_or_b32 v90, v88, 4, v84
	v_mfma_f32_16x16x16_f16 v[62:65], v[64:65], v[52:53], v[66:69]
	s_waitcnt vmcnt(13) lgkmcnt(1)
	v_mfma_f32_16x16x16_f16 v[62:65], v[78:79], v[46:47], v[62:65]
	v_mfma_f32_16x16x16_f16 v[62:65], v[80:81], v[48:49], v[62:65]
	s_waitcnt vmcnt(12) lgkmcnt(0)
	v_mfma_f32_16x16x16_f16 v[62:65], v[74:75], v[42:43], v[62:65]
	v_and_or_b32 v74, v0, 48, s18
	v_add_u32_e32 v66, s8, v74
	v_ashrrev_i32_e32 v75, 5, v66
	s_waitcnt vmcnt(11)
	v_mfma_f32_16x16x16_f16 v[66:69], v[70:71], v[14:15], 0
	v_cmp_gt_i32_e32 vcc, s27, v74
	v_mfma_f32_16x16x16_f16 v[66:69], v[72:73], v[16:17], v[66:69]
	v_or_b32_e32 v72, 64, v74
	v_add_u32_e32 v73, s8, v72
	s_waitcnt vmcnt(10)
	v_mfma_f32_16x16x16_f16 v[66:69], v[58:59], v[50:51], v[66:69]
	v_ashrrev_i32_e32 v58, 5, v73
	v_mfma_f32_16x16x16_f16 v[62:65], v[76:77], v[44:45], v[62:65]
	v_mov_b32_e32 v76, s19
	v_cndmask_b32_e32 v70, v76, v75, vcc
	v_cmp_gt_i32_e32 vcc, s27, v72
	v_ashrrev_i32_e32 v71, 31, v70
	v_lshl_add_u64 v[70:71], v[70:71], 2, s[6:7]
	v_cndmask_b32_e32 v72, v76, v58, vcc
	v_mfma_f32_16x16x16_f16 v[58:61], v[60:61], v[52:53], v[66:69]
	v_ashrrev_i32_e32 v73, 31, v72
	s_waitcnt vmcnt(9)
	v_mfma_f32_16x16x16_f16 v[58:61], v[54:55], v[46:47], v[58:61]
	v_lshl_add_u64 v[66:67], v[72:73], 2, s[6:7]
	global_load_dword v72, v[70:71], off
	global_load_dword v75, v[66:67], off
	v_or_b32_e32 v66, 0x80, v74
	v_add_u32_e32 v67, s8, v66
	v_mfma_f32_16x16x16_f16 v[54:57], v[56:57], v[48:49], v[58:61]
	v_cmp_gt_i32_e32 vcc, s27, v66
	s_nop 1
	v_ashrrev_i32_e32 v58, 5, v67
	v_cndmask_b32_e32 v58, v76, v58, vcc
	v_ashrrev_i32_e32 v59, 31, v58
	s_waitcnt vmcnt(10)
	v_mfma_f32_16x16x16_f16 v[54:57], v[30:31], v[42:43], v[54:57]
	v_lshl_add_u64 v[30:31], v[58:59], 2, s[6:7]
	global_load_dword v58, v[30:31], off
	v_mfma_f32_16x16x16_f16 v[66:69], v[32:33], v[44:45], v[54:57]
	s_nop 3
	v_or_b32_e32 v54, 0xc0, v74
	v_add_u32_e32 v30, s8, v54
	v_ashrrev_i32_e32 v55, 5, v30
	v_cmp_gt_i32_e32 vcc, s27, v54
	s_waitcnt vmcnt(10)
	v_mfma_f32_16x16x16_f16 v[30:33], v[26:27], v[14:15], 0
	v_cndmask_b32_e32 v26, v76, v55, vcc
	v_ashrrev_i32_e32 v27, 31, v26
	v_lshl_add_u64 v[54:55], v[26:27], 2, s[6:7]
	global_load_dword v59, v[54:55], off
	v_mfma_f32_16x16x16_f16 v[26:29], v[28:29], v[16:17], v[30:33]
	s_load_dword s6, s[0:1], 0x1c
	s_waitcnt lgkmcnt(0)
	v_pk_mul_f32 v[76:77], s[6:7], v[66:67] op_sel_hi:[0,1]
	s_waitcnt vmcnt(10)
	v_mfma_f32_16x16x16_f16 v[26:29], v[22:23], v[50:51], v[26:29]
	v_and_b32_e32 v30, 16, v0
	v_lshlrev_b32_e32 v86, 1, v30
	v_lshl_add_u64 v[60:61], s[4:5], 0, v[86:87]
	v_mfma_f32_16x16x16_f16 v[22:25], v[24:25], v[52:53], v[26:29]
	v_lshlrev_b32_e32 v86, 6, v90
	v_lshl_add_u64 v[70:71], v[60:61], 0, v[86:87]
	v_or_b32_e32 v86, 0x1000, v86
	s_waitcnt vmcnt(9)
	v_mfma_f32_16x16x16_f16 v[22:25], v[18:19], v[46:47], v[22:25]
	v_lshl_add_u64 v[80:81], v[60:61], 0, v[86:87]
	v_pk_mul_f32 v[78:79], s[6:7], v[64:65] op_sel_hi:[0,1]
	v_pk_mul_f32 v[60:61], s[6:7], v[62:63] op_sel_hi:[0,1]
	v_mfma_f32_16x16x16_f16 v[18:21], v[20:21], v[48:49], v[22:25]
	s_waitcnt vmcnt(8)
	v_mfma_f32_16x16x16_f16 v[18:21], v[10:11], v[42:43], v[18:21]
	s_waitcnt vmcnt(3)
	v_mad_i64_i32 v[22:23], s[4:5], v72, s9, 0
	s_waitcnt vmcnt(2)
	v_mad_i64_i32 v[10:11], s[4:5], v75, s9, 0
	v_lshlrev_b64 v[72:73], 1, v[22:23]
	v_lshlrev_b64 v[54:55], 1, v[10:11]
	v_lshl_add_u64 v[22:23], v[70:71], 0, v[72:73]
	v_lshl_add_u64 v[10:11], v[70:71], 0, v[54:55]
	global_load_dwordx4 v[30:33], v[22:23], off
	global_load_dwordx4 v[26:29], v[22:23], off offset:16
	v_mfma_f32_16x16x16_f16 v[92:95], v[12:13], v[44:45], v[18:21]
	global_load_dwordx4 v[22:25], v[10:11], off
	s_nop 1
	global_load_dwordx4 v[18:21], v[10:11], off offset:16
	v_pk_mul_f32 v[74:75], s[6:7], v[68:69] op_sel_hi:[0,1]
	v_mfma_f32_16x16x16_f16 v[10:13], v[6:7], v[14:15], 0
	s_waitcnt vmcnt(5)
	v_mad_i64_i32 v[6:7], s[4:5], v58, s9, 0
	v_lshlrev_b64 v[56:57], 1, v[6:7]
	v_mfma_f32_16x16x16_f16 v[6:9], v[8:9], v[16:17], v[10:13]
	v_mfma_f32_16x16x16_f16 v[6:9], v[2:3], v[50:51], v[6:9]
	s_nop 1
	v_lshl_add_u64 v[10:11], v[70:71], 0, v[56:57]
	global_load_dwordx4 v[14:17], v[10:11], off
	s_nop 0
	global_load_dwordx4 v[10:13], v[10:11], off offset:16
	s_waitcnt vmcnt(6)
	v_mad_i64_i32 v[2:3], s[4:5], v59, s9, 0
	v_mfma_f32_16x16x16_f16 v[50:53], v[4:5], v[52:53], v[6:9]
	v_lshlrev_b64 v[58:59], 1, v[2:3]
	v_lshl_add_u64 v[2:3], v[70:71], 0, v[58:59]
	v_pk_mul_f32 v[70:71], s[6:7], v[94:95] op_sel_hi:[0,1]
	v_mfma_f32_16x16x16_f16 v[50:53], v[38:39], v[46:47], v[50:53]
	v_lshl_add_u64 v[38:39], v[80:81], 0, v[72:73]
	v_pk_mul_f32 v[72:73], s[6:7], v[92:93] op_sel_hi:[0,1]
	v_lshl_add_u64 v[58:59], v[80:81], 0, v[58:59]
	v_mfma_f32_16x16x16_f16 v[46:49], v[40:41], v[48:49], v[50:53]
	global_load_dwordx4 v[6:9], v[2:3], off
	s_nop 0
	global_load_dwordx4 v[2:5], v[2:3], off offset:16
	v_mfma_f32_16x16x16_f16 v[40:43], v[34:35], v[42:43], v[46:49]
	v_mfma_f32_16x16x16_f16 v[34:37], v[36:37], v[44:45], v[40:43]
	s_nop 6
	v_pk_mul_f32 v[68:69], s[6:7], v[34:35] op_sel_hi:[0,1]
	v_and_b32_e32 v34, 0xc0, v0
	v_add_u32_e32 v34, s18, v34
	v_lshl_or_b32 v34, v1, 2, v34
	v_or_b32_e32 v35, 1, v34
	v_pk_mul_f32 v[66:67], s[6:7], v[36:37] op_sel_hi:[0,1]
	v_subrev_u32_e32 v36, s27, v35
	v_add_u32_e32 v40, 1, v36
	v_add_u32_e32 v41, 2, v36
	v_cvt_f32_i32_e32 v37, v36
	v_cvt_f32_i32_e32 v40, v40
	;; [unrolled: 1-line block ×3, first 2 shown]
	v_add_u32_e32 v42, 3, v36
	v_fma_f32 v60, v89, v37, v60
	v_fmac_f32_e32 v61, v89, v40
	v_fma_f32 v78, v89, v41, v78
	v_add_u32_e32 v37, 16, v36
	v_add_u32_e32 v40, 17, v36
	;; [unrolled: 1-line block ×3, first 2 shown]
	v_cvt_f32_i32_e32 v42, v42
	v_cvt_f32_i32_e32 v37, v37
	;; [unrolled: 1-line block ×4, first 2 shown]
	v_fmac_f32_e32 v79, v89, v42
	v_add_u32_e32 v42, 19, v36
	v_fma_f32 v76, v89, v37, v76
	v_fmac_f32_e32 v77, v89, v40
	v_fma_f32 v74, v89, v41, v74
	v_add_u32_e32 v37, 32, v36
	v_add_u32_e32 v40, 33, v36
	;; [unrolled: 1-line block ×3, first 2 shown]
	v_cvt_f32_i32_e32 v42, v42
	v_cvt_f32_i32_e32 v37, v37
	;; [unrolled: 1-line block ×4, first 2 shown]
	v_fmac_f32_e32 v75, v89, v42
	v_add_u32_e32 v42, 35, v36
	v_fma_f32 v72, v89, v37, v72
	v_fmac_f32_e32 v73, v89, v40
	v_fma_f32 v70, v89, v41, v70
	v_add_u32_e32 v37, 48, v36
	v_add_u32_e32 v40, 49, v36
	;; [unrolled: 1-line block ×4, first 2 shown]
	v_cvt_f32_i32_e32 v36, v36
	v_cvt_f32_i32_e32 v37, v37
	;; [unrolled: 1-line block ×3, first 2 shown]
	v_cmp_gt_i32_e64 s[28:29], s27, v34
	v_fmac_f32_e32 v67, v89, v36
	v_mov_b32_e32 v36, 0xff7fffff
	v_cmp_gt_i32_e64 s[30:31], s27, v35
	v_fma_f32 v68, v89, v37, v68
	v_cndmask_b32_e64 v37, v36, v60, s[28:29]
	v_cndmask_b32_e64 v35, v36, v61, s[30:31]
	v_fmac_f32_e32 v69, v89, v40
	v_max3_f32 v35, v37, s33, v35
	v_or_b32_e32 v37, 2, v34
	v_or_b32_e32 v40, 3, v34
	v_cmp_gt_i32_e64 s[34:35], s27, v37
	v_cmp_gt_i32_e64 s[36:37], s27, v40
	v_cvt_f32_i32_e32 v42, v42
	v_cndmask_b32_e64 v37, v36, v78, s[34:35]
	v_cndmask_b32_e64 v40, v36, v79, s[36:37]
	v_max3_f32 v35, v35, v37, v40
	v_or_b32_e32 v37, 16, v34
	v_or_b32_e32 v40, 17, v34
	v_cmp_gt_i32_e64 s[22:23], s27, v37
	v_cmp_gt_i32_e64 s[24:25], s27, v40
	v_fmac_f32_e32 v71, v89, v42
	v_cndmask_b32_e64 v37, v36, v76, s[22:23]
	v_cndmask_b32_e64 v40, v36, v77, s[24:25]
	v_max3_f32 v35, v35, v37, v40
	v_or_b32_e32 v37, 18, v34
	v_or_b32_e32 v40, 19, v34
	v_cmp_gt_i32_e64 s[18:19], s27, v37
	v_cmp_gt_i32_e64 s[20:21], s27, v40
	v_cvt_f32_i32_e32 v41, v41
	v_cndmask_b32_e64 v37, v36, v74, s[18:19]
	v_cndmask_b32_e64 v40, v36, v75, s[20:21]
	v_max3_f32 v35, v35, v37, v40
	v_or_b32_e32 v37, 32, v34
	v_or_b32_e32 v40, 33, v34
	v_cmp_gt_i32_e64 s[14:15], s27, v37
	v_cmp_gt_i32_e64 s[16:17], s27, v40
	v_fma_f32 v66, v89, v41, v66
	v_cndmask_b32_e64 v37, v36, v72, s[14:15]
	v_cndmask_b32_e64 v40, v36, v73, s[16:17]
	v_max3_f32 v35, v35, v37, v40
	v_or_b32_e32 v37, 34, v34
	v_or_b32_e32 v40, 35, v34
	v_cmp_gt_i32_e64 s[10:11], s27, v37
	v_cmp_gt_i32_e64 s[12:13], s27, v40
	s_nop 0
	v_cndmask_b32_e64 v37, v36, v70, s[10:11]
	v_cndmask_b32_e64 v40, v36, v71, s[12:13]
	v_max3_f32 v35, v35, v37, v40
	v_or_b32_e32 v37, 48, v34
	v_or_b32_e32 v40, 49, v34
	v_cmp_gt_i32_e64 s[6:7], s27, v37
	v_cmp_gt_i32_e64 s[8:9], s27, v40
	s_nop 0
	v_cndmask_b32_e64 v37, v36, v68, s[6:7]
	v_cndmask_b32_e64 v40, v36, v69, s[8:9]
	v_max3_f32 v35, v35, v37, v40
	v_or_b32_e32 v37, 50, v34
	v_or_b32_e32 v34, 51, v34
	v_cmp_gt_i32_e32 vcc, s27, v37
	v_cmp_gt_i32_e64 s[4:5], s27, v34
	global_load_dwordx4 v[46:49], v[38:39], off
	s_nop 0
	global_load_dwordx4 v[38:41], v[38:39], off offset:16
	v_cndmask_b32_e32 v37, v36, v66, vcc
	v_cndmask_b32_e64 v34, v36, v67, s[4:5]
	v_max3_f32 v50, v35, v37, v34
	v_mbcnt_lo_u32_b32 v34, -1, 0
	v_mbcnt_hi_u32_b32 v51, -1, v34
	v_and_b32_e32 v34, 64, v51
	v_add_u32_e32 v52, 64, v34
	v_xor_b32_e32 v34, 32, v51
	v_cmp_lt_i32_e64 s[38:39], v34, v52
	s_nop 1
	v_cndmask_b32_e64 v34, v51, v34, s[38:39]
	v_lshlrev_b32_e32 v87, 2, v34
	ds_bpermute_b32 v53, v87, v50
	v_lshl_add_u64 v[34:35], v[80:81], 0, v[54:55]
	global_load_dwordx4 v[42:45], v[34:35], off
	s_nop 0
	global_load_dwordx4 v[34:37], v[34:35], off offset:16
	s_waitcnt lgkmcnt(0)
	v_max_f32_e32 v53, v53, v53
	v_max_f32_e32 v62, v50, v53
	v_xor_b32_e32 v50, 16, v51
	v_cmp_lt_i32_e64 s[38:39], v50, v52
	s_nop 1
	v_cndmask_b32_e64 v50, v51, v50, s[38:39]
	v_lshlrev_b32_e32 v89, 2, v50
	ds_bpermute_b32 v63, v89, v62
	v_lshl_add_u64 v[50:51], v[80:81], 0, v[56:57]
	global_load_dwordx4 v[54:57], v[50:51], off
	s_nop 0
	global_load_dwordx4 v[50:53], v[50:51], off offset:16
	s_waitcnt lgkmcnt(0)
	v_max_f32_e32 v63, v63, v63
	v_max_f32_e32 v86, v62, v63
	v_sub_f32_e32 v60, v60, v86
	v_mul_f32_e32 v60, 0x3fb8aa3b, v60
	v_exp_f32_e32 v80, v60
	v_sub_f32_e32 v60, v61, v86
	v_mul_f32_e32 v60, 0x3fb8aa3b, v60
	v_exp_f32_e32 v81, v60
	global_load_dwordx4 v[62:65], v[58:59], off
	s_nop 0
	global_load_dwordx4 v[58:61], v[58:59], off offset:16
	v_sub_f32_e32 v78, v78, v86
	v_mul_f32_e32 v78, 0x3fb8aa3b, v78
	v_sub_f32_e32 v79, v79, v86
	v_exp_f32_e32 v78, v78
	v_mul_f32_e32 v79, 0x3fb8aa3b, v79
	v_sub_f32_e32 v76, v76, v86
	v_exp_f32_e32 v79, v79
	v_mul_f32_e32 v76, 0x3fb8aa3b, v76
	v_sub_f32_e32 v77, v77, v86
	v_cndmask_b32_e64 v80, 0, v80, s[28:29]
	v_exp_f32_e32 v76, v76
	v_mul_f32_e32 v77, 0x3fb8aa3b, v77
	v_sub_f32_e32 v74, v74, v86
	v_add_f32_e32 v91, 0, v80
	v_cndmask_b32_e64 v81, 0, v81, s[30:31]
	v_exp_f32_e32 v77, v77
	v_mul_f32_e32 v74, 0x3fb8aa3b, v74
	v_sub_f32_e32 v75, v75, v86
	v_add_f32_e32 v91, v91, v81
	v_cndmask_b32_e64 v78, 0, v78, s[34:35]
	v_exp_f32_e32 v74, v74
	v_mul_f32_e32 v75, 0x3fb8aa3b, v75
	v_sub_f32_e32 v72, v72, v86
	v_add_f32_e32 v91, v91, v78
	v_cndmask_b32_e64 v79, 0, v79, s[36:37]
	v_exp_f32_e32 v75, v75
	v_mul_f32_e32 v72, 0x3fb8aa3b, v72
	v_sub_f32_e32 v73, v73, v86
	v_add_f32_e32 v91, v91, v79
	v_cndmask_b32_e64 v76, 0, v76, s[22:23]
	v_exp_f32_e32 v72, v72
	v_mul_f32_e32 v73, 0x3fb8aa3b, v73
	v_sub_f32_e32 v70, v70, v86
	v_add_f32_e32 v91, v91, v76
	v_cndmask_b32_e64 v77, 0, v77, s[24:25]
	v_exp_f32_e32 v73, v73
	v_mul_f32_e32 v70, 0x3fb8aa3b, v70
	v_sub_f32_e32 v71, v71, v86
	v_add_f32_e32 v91, v91, v77
	v_cndmask_b32_e64 v74, 0, v74, s[18:19]
	v_exp_f32_e32 v70, v70
	v_mul_f32_e32 v71, 0x3fb8aa3b, v71
	v_sub_f32_e32 v68, v68, v86
	v_add_f32_e32 v91, v91, v74
	v_cndmask_b32_e64 v75, 0, v75, s[20:21]
	v_exp_f32_e32 v71, v71
	v_mul_f32_e32 v68, 0x3fb8aa3b, v68
	v_sub_f32_e32 v69, v69, v86
	v_add_f32_e32 v91, v91, v75
	v_cndmask_b32_e64 v72, 0, v72, s[14:15]
	v_exp_f32_e32 v68, v68
	v_mul_f32_e32 v69, 0x3fb8aa3b, v69
	v_sub_f32_e32 v66, v66, v86
	v_add_f32_e32 v91, v91, v72
	v_cndmask_b32_e64 v73, 0, v73, s[16:17]
	v_exp_f32_e32 v69, v69
	v_mul_f32_e32 v66, 0x3fb8aa3b, v66
	v_sub_f32_e32 v67, v67, v86
	v_add_f32_e32 v91, v91, v73
	v_cndmask_b32_e64 v70, 0, v70, s[10:11]
	v_exp_f32_e32 v66, v66
	v_mul_f32_e32 v67, 0x3fb8aa3b, v67
	v_add_f32_e32 v91, v91, v70
	v_cndmask_b32_e64 v71, 0, v71, s[12:13]
	v_exp_f32_e32 v67, v67
	v_add_f32_e32 v91, v91, v71
	v_cndmask_b32_e64 v68, 0, v68, s[6:7]
	v_add_f32_e32 v91, v91, v68
	v_cndmask_b32_e64 v69, 0, v69, s[8:9]
	v_add_f32_e32 v91, v91, v69
	v_cndmask_b32_e32 v66, 0, v66, vcc
	v_add_f32_e32 v91, v91, v66
	v_cndmask_b32_e64 v67, 0, v67, s[4:5]
	v_add_f32_e32 v91, v91, v67
	ds_bpermute_b32 v87, v87, v91
	s_load_dword s9, s[0:1], 0x98
	v_cmp_gt_u32_e64 s[4:5], 16, v85
	s_waitcnt lgkmcnt(0)
	s_barrier
	v_add_f32_e32 v87, v91, v87
	ds_bpermute_b32 v89, v89, v87
	s_waitcnt lgkmcnt(0)
	s_and_saveexec_b64 s[6:7], s[4:5]
	s_cbranch_execz .LBB356_17
; %bb.16:
	v_add_f32_e32 v85, v87, v89
	v_lshlrev_b32_e32 v87, 2, v90
	ds_write2st64_b32 v87, v86, v85 offset1:1
.LBB356_17:
	s_or_b64 exec, exec, s[6:7]
	v_lshlrev_b32_e32 v85, 2, v84
	s_load_dword s8, s[0:1], 0x94
	s_waitcnt lgkmcnt(0)
	s_barrier
	ds_read2_b32 v[90:91], v85 offset1:16
	ds_read2_b32 v[92:93], v85 offset0:32 offset1:48
	ds_read2_b32 v[94:95], v85 offset0:64 offset1:80
	s_mul_i32 s9, s9, 13
	s_waitcnt lgkmcnt(2)
	v_max3_f32 v86, v90, s33, v91
	s_waitcnt lgkmcnt(1)
	v_max3_f32 v86, v86, v92, v93
	v_sub_f32_e32 v87, v90, v86
	v_mul_f32_e32 v87, 0x3fb8aa3b, v87
	v_exp_f32_e32 v89, v87
	v_sub_f32_e32 v87, v91, v86
	v_mul_f32_e32 v87, 0x3fb8aa3b, v87
	v_exp_f32_e32 v88, v87
	v_sub_f32_e32 v87, v92, v86
	v_mul_f32_e32 v87, 0x3fb8aa3b, v87
	ds_read2_b32 v[90:91], v85 offset0:96 offset1:112
	v_sub_f32_e32 v85, v93, v86
	v_exp_f32_e32 v92, v87
	v_mul_f32_e32 v85, 0x3fb8aa3b, v85
	v_exp_f32_e32 v85, v85
	s_waitcnt lgkmcnt(1)
	v_fma_f32 v87, v89, v94, 0
	v_fmac_f32_e32 v87, v88, v95
	s_waitcnt lgkmcnt(0)
	v_fmac_f32_e32 v87, v92, v90
	v_fmac_f32_e32 v87, v85, v91
	v_add_f32_e32 v90, 0x358637bd, v87
	v_div_scale_f32 v91, s[6:7], v90, v90, 1.0
	v_rcp_f32_e32 v93, v91
	s_barrier
	v_fma_f32 v94, -v91, v93, 1.0
	v_fmac_f32_e32 v93, v94, v93
	v_div_scale_f32 v94, vcc, 1.0, v90, 1.0
	v_mul_f32_e32 v95, v94, v93
	v_fma_f32 v1, -v91, v95, v94
	v_fmac_f32_e32 v95, v1, v93
	v_fma_f32 v1, -v91, v95, v94
	v_lshrrev_b32_e32 v91, 6, v0
	v_div_fmas_f32 v1, v1, v93, v95
	v_cmp_eq_u32_e32 vcc, 1, v91
	v_div_fixup_f32 v1, v1, v90, 1.0
	s_nop 0
	v_cndmask_b32_e32 v88, v89, v88, vcc
	v_cmp_eq_u32_e32 vcc, 2, v91
	s_nop 1
	v_cndmask_b32_e32 v88, v88, v92, vcc
	v_cmp_eq_u32_e32 vcc, 3, v91
	s_nop 1
	v_cndmask_b32_e32 v85, v88, v85, vcc
	v_mul_f32_e32 v90, v85, v1
	v_pk_mul_f32 v[78:79], v[90:91], v[78:79] op_sel_hi:[0,1]
	v_cvt_f16_f32_e32 v78, v78
	v_cvt_f16_f32_e32 v79, v79
	v_pk_mul_f32 v[80:81], v[90:91], v[80:81] op_sel_hi:[0,1]
	v_cvt_f16_f32_e32 v1, v80
	v_cvt_f16_f32_e32 v80, v81
	v_pk_mul_f32 v[74:75], v[90:91], v[74:75] op_sel_hi:[0,1]
	v_pk_mul_f32 v[76:77], v[90:91], v[76:77] op_sel_hi:[0,1]
	v_pack_b32_f16 v81, v78, v79
	v_cvt_f16_f32_e32 v76, v76
	v_cvt_f16_f32_e32 v77, v77
	;; [unrolled: 1-line block ×4, first 2 shown]
	v_bfe_u32 v88, v0, 4, 2
	v_pack_b32_f16 v80, v1, v80
	v_lshlrev_b32_e32 v1, 3, v88
	v_lshlrev_b32_e32 v78, 5, v84
	;; [unrolled: 1-line block ×3, first 2 shown]
	v_or3_b32 v1, v74, v78, v1
	v_pack_b32_f16 v74, v76, v77
	v_pack_b32_f16 v75, v79, v75
	v_pk_mul_f32 v[70:71], v[90:91], v[70:71] op_sel_hi:[0,1]
	v_pk_mul_f32 v[72:73], v[90:91], v[72:73] op_sel_hi:[0,1]
	;; [unrolled: 1-line block ×4, first 2 shown]
	ds_write2st64_b64 v1, v[80:81], v[74:75] offset1:1
	v_cvt_f16_f32_e32 v72, v72
	v_cvt_f16_f32_e32 v73, v73
	;; [unrolled: 1-line block ×8, first 2 shown]
	v_pack_b32_f16 v66, v72, v73
	v_pack_b32_f16 v67, v70, v71
	;; [unrolled: 1-line block ×4, first 2 shown]
	v_cmp_gt_u32_e32 vcc, 13, v0
	ds_write2st64_b64 v1, v[66:67], v[68:69] offset0:2 offset1:3
	s_and_saveexec_b64 s[6:7], vcc
	s_cbranch_execz .LBB356_19
; %bb.18:
	s_mov_b32 s41, 0
	v_mov_b32_e32 v85, 0
	v_lshl_add_u64 v[66:67], s[40:41], 0, v[84:85]
	v_mov_b32_e32 v68, s9
	v_mad_u64_u32 v[66:67], s[10:11], s2, v68, v[66:67]
	s_mul_i32 s3, s3, s9
	v_mov_b32_e32 v68, s26
	v_mov_b32_e32 v69, v85
	s_load_dwordx4 s[12:15], s[0:1], 0x58
	v_add_u32_e32 v70, s3, v67
	v_mad_u64_u32 v[66:67], s[10:11], v66, s8, v[68:69]
	v_mov_b32_e32 v68, v67
	v_mad_u64_u32 v[68:69], s[10:11], v70, s8, v[68:69]
	v_mov_b32_e32 v67, v68
	v_lshlrev_b64 v[66:67], 2, v[66:67]
	s_waitcnt lgkmcnt(0)
	v_lshl_add_u64 v[68:69], s[14:15], 0, v[66:67]
	v_lshl_add_u64 v[66:67], s[12:13], 0, v[66:67]
	global_store_dword v[68:69], v86, off
	global_store_dword v[66:67], v87, off
.LBB356_19:
	s_or_b64 exec, exec, s[6:7]
	v_lshl_or_b32 v78, v88, 9, v78
	s_waitcnt lgkmcnt(0)
	s_barrier
	ds_read_b128 v[70:73], v78
	ds_read_b128 v[66:69], v78 offset:16
	s_waitcnt vmcnt(15) lgkmcnt(1)
	v_mfma_f32_16x16x16_f16 v[74:77], v[30:31], v[70:71], 0
	s_mov_b32 s3, 0
	v_cmp_gt_u32_e32 vcc, 64, v0
	v_mfma_f32_16x16x16_f16 v[30:33], v[32:33], v[72:73], v[74:77]
	s_waitcnt vmcnt(14) lgkmcnt(0)
	v_mfma_f32_16x16x16_f16 v[30:33], v[26:27], v[66:67], v[30:33]
	v_mfma_f32_16x16x16_f16 v[26:29], v[28:29], v[68:69], v[30:33]
	s_nop 5
	ds_read_b128 v[30:33], v78 offset:2048
	ds_read_b128 v[74:77], v78 offset:2064
	s_waitcnt vmcnt(13) lgkmcnt(1)
	v_mfma_f32_16x16x16_f16 v[26:29], v[22:23], v[30:31], v[26:29]
	v_mfma_f32_16x16x16_f16 v[22:25], v[24:25], v[32:33], v[26:29]
	s_waitcnt vmcnt(12) lgkmcnt(0)
	v_mfma_f32_16x16x16_f16 v[22:25], v[18:19], v[74:75], v[22:25]
	v_mfma_f32_16x16x16_f16 v[18:21], v[20:21], v[76:77], v[22:25]
	s_nop 5
	ds_read_b128 v[22:25], v78 offset:4096
	ds_read_b128 v[26:29], v78 offset:4112
	s_waitcnt vmcnt(11) lgkmcnt(1)
	v_mfma_f32_16x16x16_f16 v[18:21], v[14:15], v[22:23], v[18:21]
	v_mfma_f32_16x16x16_f16 v[14:17], v[16:17], v[24:25], v[18:21]
	s_waitcnt vmcnt(10) lgkmcnt(0)
	v_mfma_f32_16x16x16_f16 v[14:17], v[10:11], v[26:27], v[14:17]
	v_mfma_f32_16x16x16_f16 v[10:13], v[12:13], v[28:29], v[14:17]
	s_nop 5
	ds_read_b128 v[14:17], v78 offset:6144
	ds_read_b128 v[18:21], v78 offset:6160
	s_waitcnt lgkmcnt(0)
	s_barrier
	s_waitcnt vmcnt(9)
	v_mfma_f32_16x16x16_f16 v[10:13], v[6:7], v[14:15], v[10:13]
	v_mfma_f32_16x16x16_f16 v[6:9], v[8:9], v[16:17], v[10:13]
	s_waitcnt vmcnt(8)
	v_mfma_f32_16x16x16_f16 v[6:9], v[2:3], v[18:19], v[6:9]
	v_mfma_f32_16x16x16_f16 v[2:5], v[4:5], v[20:21], v[6:9]
	;; [unrolled: 3-line block ×3, first 2 shown]
	s_nop 3
	v_cvt_f16_f32_e32 v10, v2
	v_cvt_f16_f32_e32 v11, v3
	;; [unrolled: 1-line block ×3, first 2 shown]
	s_waitcnt vmcnt(6)
	v_mfma_f32_16x16x16_f16 v[6:9], v[38:39], v[66:67], v[6:9]
	v_cvt_f16_f32_e32 v13, v5
	v_mfma_f32_16x16x16_f16 v[6:9], v[40:41], v[68:69], v[6:9]
	s_waitcnt vmcnt(5)
	v_mfma_f32_16x16x16_f16 v[6:9], v[42:43], v[30:31], v[6:9]
	v_mfma_f32_16x16x16_f16 v[6:9], v[44:45], v[32:33], v[6:9]
	s_waitcnt vmcnt(4)
	v_mfma_f32_16x16x16_f16 v[6:9], v[34:35], v[74:75], v[6:9]
	;; [unrolled: 3-line block ×6, first 2 shown]
	v_mfma_f32_16x16x16_f16 v[2:5], v[60:61], v[20:21], v[6:9]
	s_nop 6
	v_cvt_f16_f32_e32 v6, v2
	v_cvt_f16_f32_e32 v7, v3
	;; [unrolled: 1-line block ×4, first 2 shown]
	v_pack_b32_f16 v2, v10, v11
	v_pack_b32_f16 v3, v12, v13
	;; [unrolled: 1-line block ×4, first 2 shown]
	ds_write2st64_b64 v1, v[2:3], v[4:5] offset1:1
	s_waitcnt lgkmcnt(0)
	s_barrier
	s_and_saveexec_b64 s[6:7], vcc
	s_cbranch_execz .LBB356_22
; %bb.20:
	s_load_dwordx2 s[6:7], s[0:1], 0x68
	s_lshl_b32 s0, s8, 7
	s_mul_i32 s1, s9, s2
	v_lshlrev_b32_e32 v3, 6, v84
	s_mul_hi_u32 s9, s1, s0
	s_mul_i32 s8, s1, s0
	v_lshlrev_b32_e32 v2, 4, v0
	v_lshl_or_b32 v0, v0, 10, v3
	s_lshl_b64 s[8:9], s[8:9], 1
	v_lshlrev_b32_e32 v1, 5, v88
	v_and_b32_e32 v2, 16, v2
	v_and_b32_e32 v0, 0x1a00, v0
	s_waitcnt lgkmcnt(0)
	s_add_u32 s1, s6, s8
	v_or3_b32 v2, v0, v1, v2
	s_addc_u32 s6, s7, s9
	s_lshl_b32 s2, s26, 7
	ds_read_b128 v[4:7], v2 offset:256
	s_lshl_b64 s[2:3], s[2:3], 1
	ds_read_b128 v[8:11], v2 offset:128
	ds_read_b128 v[12:15], v2
	s_add_u32 s2, s1, s2
	s_addc_u32 s3, s6, s3
	v_add_u32_e32 v3, s40, v88
	v_lshl_add_u64 v[0:1], v[82:83], 1, s[2:3]
	v_mad_u64_u32 v[16:17], s[2:3], v3, s0, 0
	v_lshl_add_u64 v[16:17], v[16:17], 1, v[0:1]
	s_waitcnt lgkmcnt(0)
	global_store_dwordx4 v[16:17], v[12:15], off
	s_nop 1
	v_add_u32_e32 v12, 4, v3
	v_mad_u64_u32 v[12:13], s[2:3], v12, s0, 0
	v_lshl_add_u64 v[12:13], v[12:13], 1, v[0:1]
	v_add_u32_e32 v3, 8, v3
	global_store_dwordx4 v[12:13], v[8:11], off
	s_nop 1
	v_mad_u64_u32 v[8:9], s[2:3], v3, s0, 0
	v_lshl_add_u64 v[8:9], v[8:9], 1, v[0:1]
	global_store_dwordx4 v[8:9], v[4:7], off
	s_and_b64 exec, exec, s[4:5]
	s_cbranch_execz .LBB356_22
; %bb.21:
	ds_read_b128 v[2:5], v2 offset:384
	v_add3_u32 v6, s40, v88, 12
	v_mad_u64_u32 v[6:7], s[0:1], v6, s0, 0
	v_lshl_add_u64 v[0:1], v[6:7], 1, v[0:1]
	s_waitcnt lgkmcnt(0)
	global_store_dwordx4 v[0:1], v[2:5], off
.LBB356_22:
	s_endpgm
	.section	.rodata,"a",@progbits
	.p2align	6, 0x0
	.amdhsa_kernel _Z39paged_attention_ll4mi_QKV_mfma16_kernelIDF16_DF16_LN4vllm18Fp8KVCacheDataTypeE0EDF16_Li32ELi128ELi256ELb1ELi13EEvPKT_PKT0_S7_ifPKiS9_S9_iPKfiiiPfSC_PS2_PT2_iSB_SB_
		.amdhsa_group_segment_fixed_size 8192
		.amdhsa_private_segment_fixed_size 0
		.amdhsa_kernarg_size 400
		.amdhsa_user_sgpr_count 2
		.amdhsa_user_sgpr_dispatch_ptr 0
		.amdhsa_user_sgpr_queue_ptr 0
		.amdhsa_user_sgpr_kernarg_segment_ptr 1
		.amdhsa_user_sgpr_dispatch_id 0
		.amdhsa_user_sgpr_kernarg_preload_length 0
		.amdhsa_user_sgpr_kernarg_preload_offset 0
		.amdhsa_user_sgpr_private_segment_size 0
		.amdhsa_uses_dynamic_stack 0
		.amdhsa_enable_private_segment 0
		.amdhsa_system_sgpr_workgroup_id_x 1
		.amdhsa_system_sgpr_workgroup_id_y 1
		.amdhsa_system_sgpr_workgroup_id_z 1
		.amdhsa_system_sgpr_workgroup_info 0
		.amdhsa_system_vgpr_workitem_id 0
		.amdhsa_next_free_vgpr 96
		.amdhsa_next_free_sgpr 42
		.amdhsa_accum_offset 96
		.amdhsa_reserve_vcc 1
		.amdhsa_float_round_mode_32 0
		.amdhsa_float_round_mode_16_64 0
		.amdhsa_float_denorm_mode_32 3
		.amdhsa_float_denorm_mode_16_64 3
		.amdhsa_dx10_clamp 1
		.amdhsa_ieee_mode 1
		.amdhsa_fp16_overflow 0
		.amdhsa_tg_split 0
		.amdhsa_exception_fp_ieee_invalid_op 0
		.amdhsa_exception_fp_denorm_src 0
		.amdhsa_exception_fp_ieee_div_zero 0
		.amdhsa_exception_fp_ieee_overflow 0
		.amdhsa_exception_fp_ieee_underflow 0
		.amdhsa_exception_fp_ieee_inexact 0
		.amdhsa_exception_int_div_zero 0
	.end_amdhsa_kernel
	.section	.text._Z39paged_attention_ll4mi_QKV_mfma16_kernelIDF16_DF16_LN4vllm18Fp8KVCacheDataTypeE0EDF16_Li32ELi128ELi256ELb1ELi13EEvPKT_PKT0_S7_ifPKiS9_S9_iPKfiiiPfSC_PS2_PT2_iSB_SB_,"axG",@progbits,_Z39paged_attention_ll4mi_QKV_mfma16_kernelIDF16_DF16_LN4vllm18Fp8KVCacheDataTypeE0EDF16_Li32ELi128ELi256ELb1ELi13EEvPKT_PKT0_S7_ifPKiS9_S9_iPKfiiiPfSC_PS2_PT2_iSB_SB_,comdat
.Lfunc_end356:
	.size	_Z39paged_attention_ll4mi_QKV_mfma16_kernelIDF16_DF16_LN4vllm18Fp8KVCacheDataTypeE0EDF16_Li32ELi128ELi256ELb1ELi13EEvPKT_PKT0_S7_ifPKiS9_S9_iPKfiiiPfSC_PS2_PT2_iSB_SB_, .Lfunc_end356-_Z39paged_attention_ll4mi_QKV_mfma16_kernelIDF16_DF16_LN4vllm18Fp8KVCacheDataTypeE0EDF16_Li32ELi128ELi256ELb1ELi13EEvPKT_PKT0_S7_ifPKiS9_S9_iPKfiiiPfSC_PS2_PT2_iSB_SB_
                                        ; -- End function
	.section	.AMDGPU.csdata,"",@progbits
; Kernel info:
; codeLenInByte = 4932
; NumSgprs: 48
; NumVgprs: 96
; NumAgprs: 0
; TotalNumVgprs: 96
; ScratchSize: 0
; MemoryBound: 0
; FloatMode: 240
; IeeeMode: 1
; LDSByteSize: 8192 bytes/workgroup (compile time only)
; SGPRBlocks: 5
; VGPRBlocks: 11
; NumSGPRsForWavesPerEU: 48
; NumVGPRsForWavesPerEU: 96
; AccumOffset: 96
; Occupancy: 5
; WaveLimiterHint : 1
; COMPUTE_PGM_RSRC2:SCRATCH_EN: 0
; COMPUTE_PGM_RSRC2:USER_SGPR: 2
; COMPUTE_PGM_RSRC2:TRAP_HANDLER: 0
; COMPUTE_PGM_RSRC2:TGID_X_EN: 1
; COMPUTE_PGM_RSRC2:TGID_Y_EN: 1
; COMPUTE_PGM_RSRC2:TGID_Z_EN: 1
; COMPUTE_PGM_RSRC2:TIDIG_COMP_CNT: 0
; COMPUTE_PGM_RSRC3_GFX90A:ACCUM_OFFSET: 23
; COMPUTE_PGM_RSRC3_GFX90A:TG_SPLIT: 0
	.section	.text._Z39paged_attention_ll4mi_QKV_mfma16_kernelIDF16_DF16_LN4vllm18Fp8KVCacheDataTypeE0EDF16_Li32ELi128ELi256ELb1ELi14EEvPKT_PKT0_S7_ifPKiS9_S9_iPKfiiiPfSC_PS2_PT2_iSB_SB_,"axG",@progbits,_Z39paged_attention_ll4mi_QKV_mfma16_kernelIDF16_DF16_LN4vllm18Fp8KVCacheDataTypeE0EDF16_Li32ELi128ELi256ELb1ELi14EEvPKT_PKT0_S7_ifPKiS9_S9_iPKfiiiPfSC_PS2_PT2_iSB_SB_,comdat
	.protected	_Z39paged_attention_ll4mi_QKV_mfma16_kernelIDF16_DF16_LN4vllm18Fp8KVCacheDataTypeE0EDF16_Li32ELi128ELi256ELb1ELi14EEvPKT_PKT0_S7_ifPKiS9_S9_iPKfiiiPfSC_PS2_PT2_iSB_SB_ ; -- Begin function _Z39paged_attention_ll4mi_QKV_mfma16_kernelIDF16_DF16_LN4vllm18Fp8KVCacheDataTypeE0EDF16_Li32ELi128ELi256ELb1ELi14EEvPKT_PKT0_S7_ifPKiS9_S9_iPKfiiiPfSC_PS2_PT2_iSB_SB_
	.globl	_Z39paged_attention_ll4mi_QKV_mfma16_kernelIDF16_DF16_LN4vllm18Fp8KVCacheDataTypeE0EDF16_Li32ELi128ELi256ELb1ELi14EEvPKT_PKT0_S7_ifPKiS9_S9_iPKfiiiPfSC_PS2_PT2_iSB_SB_
	.p2align	8
	.type	_Z39paged_attention_ll4mi_QKV_mfma16_kernelIDF16_DF16_LN4vllm18Fp8KVCacheDataTypeE0EDF16_Li32ELi128ELi256ELb1ELi14EEvPKT_PKT0_S7_ifPKiS9_S9_iPKfiiiPfSC_PS2_PT2_iSB_SB_,@function
_Z39paged_attention_ll4mi_QKV_mfma16_kernelIDF16_DF16_LN4vllm18Fp8KVCacheDataTypeE0EDF16_Li32ELi128ELi256ELb1ELi14EEvPKT_PKT0_S7_ifPKiS9_S9_iPKfiiiPfSC_PS2_PT2_iSB_SB_: ; @_Z39paged_attention_ll4mi_QKV_mfma16_kernelIDF16_DF16_LN4vllm18Fp8KVCacheDataTypeE0EDF16_Li32ELi128ELi256ELb1ELi14EEvPKT_PKT0_S7_ifPKiS9_S9_iPKfiiiPfSC_PS2_PT2_iSB_SB_
; %bb.0:
	s_load_dwordx2 s[8:9], s[0:1], 0x30
	s_mov_b32 s26, s3
	s_mov_b64 s[6:7], 0
	s_waitcnt lgkmcnt(0)
	s_cmp_lg_u64 s[8:9], 0
	s_cselect_b64 s[10:11], -1, 0
	s_and_b64 vcc, exec, s[10:11]
	s_cbranch_vccz .LBB357_7
; %bb.1:
	s_add_i32 s12, s2, 1
	s_mov_b32 s13, 0
	s_lshl_b64 s[14:15], s[12:13], 2
	s_add_u32 s14, s8, s14
	s_mov_b32 s3, s13
	s_addc_u32 s15, s9, s15
	s_lshl_b64 s[12:13], s[2:3], 2
	s_add_u32 s12, s8, s12
	s_addc_u32 s13, s9, s13
	s_load_dword s5, s[14:15], 0x0
	s_load_dword s16, s[12:13], 0x0
	s_waitcnt lgkmcnt(0)
	s_sub_i32 s5, s5, s16
	s_cmp_eq_u32 s5, 1
	s_cselect_b64 s[12:13], -1, 0
	s_andn2_b64 vcc, exec, s[6:7]
	s_cbranch_vccnz .LBB357_3
.LBB357_2:
	s_mov_b32 s3, 0
	s_mov_b64 s[12:13], -1
.LBB357_3:
	s_andn2_b64 vcc, exec, s[12:13]
	s_cbranch_vccnz .LBB357_22
; %bb.4:
	s_load_dwordx2 s[6:7], s[0:1], 0x28
	s_lshl_b64 s[12:13], s[2:3], 2
	s_waitcnt lgkmcnt(0)
	s_add_u32 s6, s6, s12
	s_addc_u32 s7, s7, s13
	s_load_dword s27, s[6:7], 0x0
	s_lshl_b32 s18, s26, 8
	s_waitcnt lgkmcnt(0)
	s_cmp_ge_i32 s18, s27
	s_cbranch_scc1 .LBB357_22
; %bb.5:
	s_load_dwordx2 s[6:7], s[0:1], 0x20
	s_load_dword s5, s[0:1], 0x38
	s_add_i32 s14, s27, 31
	s_ashr_i32 s15, s14, 31
	v_and_b32_e32 v1, 0xcf, v0
	s_lshr_b32 s15, s15, 27
	v_add_u32_e32 v1, s18, v1
	s_add_i32 s14, s14, s15
	v_ashrrev_i32_e32 v2, 31, v1
	s_ashr_i32 s19, s14, 5
	v_lshrrev_b32_e32 v4, 27, v2
	s_add_i32 s19, s19, -1
	s_waitcnt lgkmcnt(0)
	s_mul_i32 s14, s2, s5
	s_mov_b32 s15, 0
	v_add_u32_e32 v2, v1, v4
	s_lshl_b64 s[14:15], s[14:15], 2
	v_ashrrev_i32_e32 v2, 5, v2
	v_mov_b32_e32 v5, s19
	v_cmp_gt_i32_e32 vcc, s27, v1
	s_add_u32 s6, s6, s14
	s_addc_u32 s7, s7, s15
	v_cndmask_b32_e32 v2, v5, v2, vcc
	v_ashrrev_i32_e32 v3, 31, v2
	v_lshl_add_u64 v[6:7], v[2:3], 2, s[6:7]
	v_or_b32_e32 v2, 16, v1
	v_add_u32_e32 v3, v2, v4
	v_ashrrev_i32_e32 v3, 5, v3
	v_cmp_gt_i32_e32 vcc, s27, v2
	s_nop 1
	v_cndmask_b32_e32 v2, v5, v3, vcc
	v_ashrrev_i32_e32 v3, 31, v2
	v_lshl_add_u64 v[8:9], v[2:3], 2, s[6:7]
	v_or_b32_e32 v2, 32, v1
	v_add_u32_e32 v3, v2, v4
	v_ashrrev_i32_e32 v3, 5, v3
	v_cmp_gt_i32_e32 vcc, s27, v2
	v_or_b32_e32 v1, 48, v1
	s_nop 0
	v_cndmask_b32_e32 v2, v5, v3, vcc
	v_ashrrev_i32_e32 v3, 31, v2
	v_lshl_add_u64 v[10:11], v[2:3], 2, s[6:7]
	v_add_u32_e32 v2, v1, v4
	v_ashrrev_i32_e32 v2, 5, v2
	v_cmp_gt_i32_e32 vcc, s27, v1
	s_nop 1
	v_cndmask_b32_e32 v2, v5, v2, vcc
	v_ashrrev_i32_e32 v3, 31, v2
	v_lshl_add_u64 v[12:13], v[2:3], 2, s[6:7]
	global_load_dword v5, v[6:7], off
	global_load_dword v4, v[8:9], off
	;; [unrolled: 1-line block ×4, first 2 shown]
	s_andn2_b64 vcc, exec, s[10:11]
	s_cbranch_vccnz .LBB357_8
; %bb.6:
	s_add_u32 s8, s8, s12
	s_addc_u32 s9, s9, s13
	s_load_dword s5, s[8:9], 0x0
	s_branch .LBB357_9
.LBB357_7:
	s_mov_b64 s[12:13], 0
	s_branch .LBB357_2
.LBB357_8:
	s_mov_b32 s5, s2
.LBB357_9:
	s_load_dwordx2 s[14:15], s[0:1], 0x8
	s_load_dwordx4 s[8:11], s[0:1], 0x48
	v_lshrrev_b32_e32 v88, 6, v0
	v_bfe_u32 v1, v0, 4, 2
	v_lshl_or_b32 v6, v88, 2, v1
	v_and_b32_e32 v84, 15, v0
	v_lshlrev_b32_e32 v82, 3, v84
	v_cmp_lt_u32_e32 vcc, 13, v6
	s_and_saveexec_b64 s[12:13], vcc
	s_xor_b64 s[12:13], exec, s[12:13]
; %bb.10:
	v_mov_b32_e32 v83, 0
                                        ; implicit-def: $vgpr6
; %bb.11:
	s_or_saveexec_b64 s[16:17], s[12:13]
	s_load_dwordx2 s[12:13], s[0:1], 0x10
	s_mul_i32 s40, s4, 14
	s_xor_b64 exec, exec, s[16:17]
	s_cbranch_execz .LBB357_13
; %bb.12:
	s_load_dwordx2 s[20:21], s[0:1], 0x0
	s_waitcnt lgkmcnt(0)
	s_ashr_i32 s11, s8, 31
	s_mul_hi_u32 s22, s5, s8
	s_mul_i32 s11, s5, s11
	s_add_i32 s23, s22, s11
	s_mul_i32 s22, s5, s8
	s_lshl_b64 s[22:23], s[22:23], 1
	s_add_u32 s20, s20, s22
	v_add_lshl_u32 v8, v6, s40, 7
	s_addc_u32 s21, s21, s23
	v_ashrrev_i32_e32 v9, 31, v8
	v_mov_b32_e32 v83, 0
	v_lshl_add_u64 v[8:9], v[8:9], 1, s[20:21]
	v_lshlrev_b32_e32 v10, 1, v82
	v_mov_b32_e32 v11, v83
	v_lshl_add_u64 v[8:9], v[8:9], 0, v[10:11]
	global_load_dwordx4 v[8:11], v[8:9], off
	v_and_b32_e32 v7, 3, v0
	v_lshlrev_b32_e32 v12, 9, v84
	v_lshlrev_b32_e32 v6, 5, v6
	;; [unrolled: 1-line block ×3, first 2 shown]
	v_and_b32_e32 v12, 0x1800, v12
	v_or3_b32 v6, v12, v7, v6
	s_waitcnt vmcnt(0)
	ds_write_b128 v6, v[8:11]
.LBB357_13:
	s_or_b64 exec, exec, s[16:17]
	s_waitcnt lgkmcnt(0)
	s_mul_i32 s4, s4, s10
	s_mov_b32 s5, 0
	s_lshl_b64 s[4:5], s[4:5], 1
	s_add_u32 s10, s14, s4
	s_addc_u32 s11, s15, s5
	s_waitcnt vmcnt(3)
	v_mad_i64_i32 v[6:7], s[14:15], v5, s9, 0
	v_lshl_add_u64 v[6:7], v[6:7], 1, s[10:11]
	v_lshlrev_b64 v[8:9], 1, v[82:83]
	v_lshlrev_b32_e32 v86, 9, v1
	v_lshl_add_u64 v[6:7], v[6:7], 0, v[8:9]
	v_mov_b32_e32 v87, 0
	v_lshl_add_u64 v[10:11], v[6:7], 0, v[86:87]
	v_or_b32_e32 v14, 0x1000, v86
	v_mov_b32_e32 v15, v87
	v_or_b32_e32 v16, 0x1800, v86
	v_mov_b32_e32 v17, v87
	s_barrier
	global_load_dwordx4 v[66:69], v[10:11], off
	global_load_dwordx4 v[62:65], v[10:11], off offset:2048
	v_lshl_add_u64 v[10:11], v[6:7], 0, v[14:15]
	v_lshl_add_u64 v[6:7], v[6:7], 0, v[16:17]
	global_load_dwordx4 v[78:81], v[10:11], off
	global_load_dwordx4 v[74:77], v[6:7], off
	s_waitcnt vmcnt(6)
	v_mad_i64_i32 v[4:5], s[14:15], v4, s9, 0
	v_mov_b32_e32 v6, 0x100
	v_lshl_add_u64 v[4:5], v[4:5], 1, s[10:11]
	v_lshl_or_b32 v6, v84, 4, v6
	v_mov_b32_e32 v7, v87
	v_lshl_add_u64 v[4:5], v[4:5], 0, v[6:7]
	v_lshl_add_u64 v[10:11], v[4:5], 0, v[86:87]
	global_load_dwordx4 v[70:73], v[10:11], off
	global_load_dwordx4 v[58:61], v[10:11], off offset:2048
	v_lshl_add_u64 v[10:11], v[4:5], 0, v[14:15]
	v_lshl_add_u64 v[4:5], v[4:5], 0, v[16:17]
	global_load_dwordx4 v[54:57], v[10:11], off
	global_load_dwordx4 v[30:33], v[4:5], off
	s_waitcnt vmcnt(9)
	v_mad_i64_i32 v[4:5], s[14:15], v3, s9, 0
	v_lshl_add_u64 v[4:5], v[4:5], 1, s[10:11]
	s_waitcnt vmcnt(8)
	v_mad_i64_i32 v[2:3], s[14:15], v2, s9, 0
	v_lshl_add_u64 v[4:5], v[4:5], 0, v[8:9]
	v_lshl_add_u64 v[2:3], v[2:3], 1, s[10:11]
	;; [unrolled: 1-line block ×4, first 2 shown]
	global_load_dwordx4 v[26:29], v[8:9], off
	global_load_dwordx4 v[22:25], v[8:9], off offset:2048
	v_lshl_add_u64 v[8:9], v[4:5], 0, v[14:15]
	v_lshl_add_u64 v[4:5], v[4:5], 0, v[16:17]
	v_lshl_add_u64 v[2:3], v[34:35], 0, v[86:87]
	v_lshl_add_u64 v[14:15], v[34:35], 0, v[14:15]
	global_load_dwordx4 v[18:21], v[8:9], off
	global_load_dwordx4 v[10:13], v[4:5], off
	s_nop 0
	global_load_dwordx4 v[6:9], v[2:3], off
	s_nop 0
	global_load_dwordx4 v[2:5], v[2:3], off offset:2048
	v_lshl_add_u64 v[16:17], v[34:35], 0, v[16:17]
	global_load_dwordx4 v[38:41], v[14:15], off
	global_load_dwordx4 v[34:37], v[16:17], off
	v_add_u32_e32 v14, -14, v84
	v_cmp_gt_u32_e32 vcc, 14, v84
	v_and_b32_e32 v85, 63, v0
	v_mov_b32_e32 v89, 0
	v_cndmask_b32_e32 v14, v14, v84, vcc
	v_lshl_add_u32 v42, v14, 5, v86
	ds_read_b128 v[14:17], v42
	ds_read_b128 v[50:53], v42 offset:2048
	ds_read_b128 v[46:49], v42 offset:4096
	;; [unrolled: 1-line block ×3, first 2 shown]
	s_and_saveexec_b64 s[10:11], vcc
	s_cbranch_execz .LBB357_15
; %bb.14:
	s_load_dwordx2 s[14:15], s[0:1], 0x40
	v_add_u32_e32 v90, s40, v84
	v_ashrrev_i32_e32 v91, 31, v90
	s_waitcnt lgkmcnt(0)
	v_lshl_add_u64 v[90:91], v[90:91], 2, s[14:15]
	global_load_dword v89, v[90:91], off
.LBB357_15:
	s_or_b64 exec, exec, s[10:11]
	s_waitcnt vmcnt(15) lgkmcnt(3)
	v_mfma_f32_16x16x16_f16 v[90:93], v[66:67], v[14:15], 0
	s_ashr_i32 s8, s18, 31
	s_lshr_b32 s8, s8, 27
	s_add_u32 s4, s12, s4
	v_mfma_f32_16x16x16_f16 v[66:69], v[68:69], v[16:17], v[90:93]
	s_addc_u32 s5, s13, s5
	s_mov_b32 s33, 0xff7fffff
	s_waitcnt vmcnt(14) lgkmcnt(2)
	v_mfma_f32_16x16x16_f16 v[66:69], v[62:63], v[50:51], v[66:69]
	v_lshl_or_b32 v90, v88, 4, v84
	v_mfma_f32_16x16x16_f16 v[62:65], v[64:65], v[52:53], v[66:69]
	s_waitcnt vmcnt(13) lgkmcnt(1)
	v_mfma_f32_16x16x16_f16 v[62:65], v[78:79], v[46:47], v[62:65]
	v_mfma_f32_16x16x16_f16 v[62:65], v[80:81], v[48:49], v[62:65]
	s_waitcnt vmcnt(12) lgkmcnt(0)
	v_mfma_f32_16x16x16_f16 v[62:65], v[74:75], v[42:43], v[62:65]
	v_and_or_b32 v74, v0, 48, s18
	v_add_u32_e32 v66, s8, v74
	v_ashrrev_i32_e32 v75, 5, v66
	s_waitcnt vmcnt(11)
	v_mfma_f32_16x16x16_f16 v[66:69], v[70:71], v[14:15], 0
	v_cmp_gt_i32_e32 vcc, s27, v74
	v_mfma_f32_16x16x16_f16 v[66:69], v[72:73], v[16:17], v[66:69]
	v_or_b32_e32 v72, 64, v74
	v_add_u32_e32 v73, s8, v72
	s_waitcnt vmcnt(10)
	v_mfma_f32_16x16x16_f16 v[66:69], v[58:59], v[50:51], v[66:69]
	v_ashrrev_i32_e32 v58, 5, v73
	v_mfma_f32_16x16x16_f16 v[62:65], v[76:77], v[44:45], v[62:65]
	v_mov_b32_e32 v76, s19
	v_cndmask_b32_e32 v70, v76, v75, vcc
	v_cmp_gt_i32_e32 vcc, s27, v72
	v_ashrrev_i32_e32 v71, 31, v70
	v_lshl_add_u64 v[70:71], v[70:71], 2, s[6:7]
	v_cndmask_b32_e32 v72, v76, v58, vcc
	v_mfma_f32_16x16x16_f16 v[58:61], v[60:61], v[52:53], v[66:69]
	v_ashrrev_i32_e32 v73, 31, v72
	s_waitcnt vmcnt(9)
	v_mfma_f32_16x16x16_f16 v[58:61], v[54:55], v[46:47], v[58:61]
	v_lshl_add_u64 v[66:67], v[72:73], 2, s[6:7]
	global_load_dword v72, v[70:71], off
	global_load_dword v75, v[66:67], off
	v_or_b32_e32 v66, 0x80, v74
	v_add_u32_e32 v67, s8, v66
	v_mfma_f32_16x16x16_f16 v[54:57], v[56:57], v[48:49], v[58:61]
	v_cmp_gt_i32_e32 vcc, s27, v66
	s_nop 1
	v_ashrrev_i32_e32 v58, 5, v67
	v_cndmask_b32_e32 v58, v76, v58, vcc
	v_ashrrev_i32_e32 v59, 31, v58
	s_waitcnt vmcnt(10)
	v_mfma_f32_16x16x16_f16 v[54:57], v[30:31], v[42:43], v[54:57]
	v_lshl_add_u64 v[30:31], v[58:59], 2, s[6:7]
	global_load_dword v58, v[30:31], off
	v_mfma_f32_16x16x16_f16 v[66:69], v[32:33], v[44:45], v[54:57]
	s_nop 3
	v_or_b32_e32 v54, 0xc0, v74
	v_add_u32_e32 v30, s8, v54
	v_ashrrev_i32_e32 v55, 5, v30
	v_cmp_gt_i32_e32 vcc, s27, v54
	s_waitcnt vmcnt(10)
	v_mfma_f32_16x16x16_f16 v[30:33], v[26:27], v[14:15], 0
	v_cndmask_b32_e32 v26, v76, v55, vcc
	v_ashrrev_i32_e32 v27, 31, v26
	v_lshl_add_u64 v[54:55], v[26:27], 2, s[6:7]
	global_load_dword v59, v[54:55], off
	v_mfma_f32_16x16x16_f16 v[26:29], v[28:29], v[16:17], v[30:33]
	s_load_dword s6, s[0:1], 0x1c
	s_waitcnt lgkmcnt(0)
	v_pk_mul_f32 v[76:77], s[6:7], v[66:67] op_sel_hi:[0,1]
	s_waitcnt vmcnt(10)
	v_mfma_f32_16x16x16_f16 v[26:29], v[22:23], v[50:51], v[26:29]
	v_and_b32_e32 v30, 16, v0
	v_lshlrev_b32_e32 v86, 1, v30
	v_lshl_add_u64 v[60:61], s[4:5], 0, v[86:87]
	v_mfma_f32_16x16x16_f16 v[22:25], v[24:25], v[52:53], v[26:29]
	v_lshlrev_b32_e32 v86, 6, v90
	v_lshl_add_u64 v[70:71], v[60:61], 0, v[86:87]
	v_or_b32_e32 v86, 0x1000, v86
	s_waitcnt vmcnt(9)
	v_mfma_f32_16x16x16_f16 v[22:25], v[18:19], v[46:47], v[22:25]
	v_lshl_add_u64 v[80:81], v[60:61], 0, v[86:87]
	v_pk_mul_f32 v[78:79], s[6:7], v[64:65] op_sel_hi:[0,1]
	v_pk_mul_f32 v[60:61], s[6:7], v[62:63] op_sel_hi:[0,1]
	v_mfma_f32_16x16x16_f16 v[18:21], v[20:21], v[48:49], v[22:25]
	s_waitcnt vmcnt(8)
	v_mfma_f32_16x16x16_f16 v[18:21], v[10:11], v[42:43], v[18:21]
	s_waitcnt vmcnt(3)
	v_mad_i64_i32 v[22:23], s[4:5], v72, s9, 0
	s_waitcnt vmcnt(2)
	v_mad_i64_i32 v[10:11], s[4:5], v75, s9, 0
	v_lshlrev_b64 v[72:73], 1, v[22:23]
	v_lshlrev_b64 v[54:55], 1, v[10:11]
	v_lshl_add_u64 v[22:23], v[70:71], 0, v[72:73]
	v_lshl_add_u64 v[10:11], v[70:71], 0, v[54:55]
	global_load_dwordx4 v[30:33], v[22:23], off
	global_load_dwordx4 v[26:29], v[22:23], off offset:16
	v_mfma_f32_16x16x16_f16 v[92:95], v[12:13], v[44:45], v[18:21]
	global_load_dwordx4 v[22:25], v[10:11], off
	s_nop 1
	global_load_dwordx4 v[18:21], v[10:11], off offset:16
	v_pk_mul_f32 v[74:75], s[6:7], v[68:69] op_sel_hi:[0,1]
	v_mfma_f32_16x16x16_f16 v[10:13], v[6:7], v[14:15], 0
	s_waitcnt vmcnt(5)
	v_mad_i64_i32 v[6:7], s[4:5], v58, s9, 0
	v_lshlrev_b64 v[56:57], 1, v[6:7]
	v_mfma_f32_16x16x16_f16 v[6:9], v[8:9], v[16:17], v[10:13]
	v_mfma_f32_16x16x16_f16 v[6:9], v[2:3], v[50:51], v[6:9]
	s_nop 1
	v_lshl_add_u64 v[10:11], v[70:71], 0, v[56:57]
	global_load_dwordx4 v[14:17], v[10:11], off
	s_nop 0
	global_load_dwordx4 v[10:13], v[10:11], off offset:16
	s_waitcnt vmcnt(6)
	v_mad_i64_i32 v[2:3], s[4:5], v59, s9, 0
	v_mfma_f32_16x16x16_f16 v[50:53], v[4:5], v[52:53], v[6:9]
	v_lshlrev_b64 v[58:59], 1, v[2:3]
	v_lshl_add_u64 v[2:3], v[70:71], 0, v[58:59]
	v_pk_mul_f32 v[70:71], s[6:7], v[94:95] op_sel_hi:[0,1]
	v_mfma_f32_16x16x16_f16 v[50:53], v[38:39], v[46:47], v[50:53]
	v_lshl_add_u64 v[38:39], v[80:81], 0, v[72:73]
	v_pk_mul_f32 v[72:73], s[6:7], v[92:93] op_sel_hi:[0,1]
	v_lshl_add_u64 v[58:59], v[80:81], 0, v[58:59]
	v_mfma_f32_16x16x16_f16 v[46:49], v[40:41], v[48:49], v[50:53]
	global_load_dwordx4 v[6:9], v[2:3], off
	s_nop 0
	global_load_dwordx4 v[2:5], v[2:3], off offset:16
	v_mfma_f32_16x16x16_f16 v[40:43], v[34:35], v[42:43], v[46:49]
	v_mfma_f32_16x16x16_f16 v[34:37], v[36:37], v[44:45], v[40:43]
	s_nop 6
	v_pk_mul_f32 v[68:69], s[6:7], v[34:35] op_sel_hi:[0,1]
	v_and_b32_e32 v34, 0xc0, v0
	v_add_u32_e32 v34, s18, v34
	v_lshl_or_b32 v34, v1, 2, v34
	v_or_b32_e32 v35, 1, v34
	v_pk_mul_f32 v[66:67], s[6:7], v[36:37] op_sel_hi:[0,1]
	v_subrev_u32_e32 v36, s27, v35
	v_add_u32_e32 v40, 1, v36
	v_add_u32_e32 v41, 2, v36
	v_cvt_f32_i32_e32 v37, v36
	v_cvt_f32_i32_e32 v40, v40
	;; [unrolled: 1-line block ×3, first 2 shown]
	v_add_u32_e32 v42, 3, v36
	v_fma_f32 v60, v89, v37, v60
	v_fmac_f32_e32 v61, v89, v40
	v_fma_f32 v78, v89, v41, v78
	v_add_u32_e32 v37, 16, v36
	v_add_u32_e32 v40, 17, v36
	v_add_u32_e32 v41, 18, v36
	v_cvt_f32_i32_e32 v42, v42
	v_cvt_f32_i32_e32 v37, v37
	;; [unrolled: 1-line block ×4, first 2 shown]
	v_fmac_f32_e32 v79, v89, v42
	v_add_u32_e32 v42, 19, v36
	v_fma_f32 v76, v89, v37, v76
	v_fmac_f32_e32 v77, v89, v40
	v_fma_f32 v74, v89, v41, v74
	v_add_u32_e32 v37, 32, v36
	v_add_u32_e32 v40, 33, v36
	;; [unrolled: 1-line block ×3, first 2 shown]
	v_cvt_f32_i32_e32 v42, v42
	v_cvt_f32_i32_e32 v37, v37
	;; [unrolled: 1-line block ×4, first 2 shown]
	v_fmac_f32_e32 v75, v89, v42
	v_add_u32_e32 v42, 35, v36
	v_fma_f32 v72, v89, v37, v72
	v_fmac_f32_e32 v73, v89, v40
	v_fma_f32 v70, v89, v41, v70
	v_add_u32_e32 v37, 48, v36
	v_add_u32_e32 v40, 49, v36
	v_add_u32_e32 v41, 50, v36
	v_add_u32_e32 v36, 51, v36
	v_cvt_f32_i32_e32 v36, v36
	v_cvt_f32_i32_e32 v37, v37
	v_cvt_f32_i32_e32 v40, v40
	v_cmp_gt_i32_e64 s[28:29], s27, v34
	v_fmac_f32_e32 v67, v89, v36
	v_mov_b32_e32 v36, 0xff7fffff
	v_cmp_gt_i32_e64 s[30:31], s27, v35
	v_fma_f32 v68, v89, v37, v68
	v_cndmask_b32_e64 v37, v36, v60, s[28:29]
	v_cndmask_b32_e64 v35, v36, v61, s[30:31]
	v_fmac_f32_e32 v69, v89, v40
	v_max3_f32 v35, v37, s33, v35
	v_or_b32_e32 v37, 2, v34
	v_or_b32_e32 v40, 3, v34
	v_cmp_gt_i32_e64 s[34:35], s27, v37
	v_cmp_gt_i32_e64 s[36:37], s27, v40
	v_cvt_f32_i32_e32 v42, v42
	v_cndmask_b32_e64 v37, v36, v78, s[34:35]
	v_cndmask_b32_e64 v40, v36, v79, s[36:37]
	v_max3_f32 v35, v35, v37, v40
	v_or_b32_e32 v37, 16, v34
	v_or_b32_e32 v40, 17, v34
	v_cmp_gt_i32_e64 s[22:23], s27, v37
	v_cmp_gt_i32_e64 s[24:25], s27, v40
	v_fmac_f32_e32 v71, v89, v42
	v_cndmask_b32_e64 v37, v36, v76, s[22:23]
	v_cndmask_b32_e64 v40, v36, v77, s[24:25]
	v_max3_f32 v35, v35, v37, v40
	v_or_b32_e32 v37, 18, v34
	v_or_b32_e32 v40, 19, v34
	v_cmp_gt_i32_e64 s[18:19], s27, v37
	v_cmp_gt_i32_e64 s[20:21], s27, v40
	v_cvt_f32_i32_e32 v41, v41
	v_cndmask_b32_e64 v37, v36, v74, s[18:19]
	v_cndmask_b32_e64 v40, v36, v75, s[20:21]
	v_max3_f32 v35, v35, v37, v40
	v_or_b32_e32 v37, 32, v34
	v_or_b32_e32 v40, 33, v34
	v_cmp_gt_i32_e64 s[14:15], s27, v37
	v_cmp_gt_i32_e64 s[16:17], s27, v40
	v_fma_f32 v66, v89, v41, v66
	v_cndmask_b32_e64 v37, v36, v72, s[14:15]
	v_cndmask_b32_e64 v40, v36, v73, s[16:17]
	v_max3_f32 v35, v35, v37, v40
	v_or_b32_e32 v37, 34, v34
	v_or_b32_e32 v40, 35, v34
	v_cmp_gt_i32_e64 s[10:11], s27, v37
	v_cmp_gt_i32_e64 s[12:13], s27, v40
	s_nop 0
	v_cndmask_b32_e64 v37, v36, v70, s[10:11]
	v_cndmask_b32_e64 v40, v36, v71, s[12:13]
	v_max3_f32 v35, v35, v37, v40
	v_or_b32_e32 v37, 48, v34
	v_or_b32_e32 v40, 49, v34
	v_cmp_gt_i32_e64 s[6:7], s27, v37
	v_cmp_gt_i32_e64 s[8:9], s27, v40
	s_nop 0
	v_cndmask_b32_e64 v37, v36, v68, s[6:7]
	v_cndmask_b32_e64 v40, v36, v69, s[8:9]
	v_max3_f32 v35, v35, v37, v40
	v_or_b32_e32 v37, 50, v34
	v_or_b32_e32 v34, 51, v34
	v_cmp_gt_i32_e32 vcc, s27, v37
	v_cmp_gt_i32_e64 s[4:5], s27, v34
	global_load_dwordx4 v[46:49], v[38:39], off
	s_nop 0
	global_load_dwordx4 v[38:41], v[38:39], off offset:16
	v_cndmask_b32_e32 v37, v36, v66, vcc
	v_cndmask_b32_e64 v34, v36, v67, s[4:5]
	v_max3_f32 v50, v35, v37, v34
	v_mbcnt_lo_u32_b32 v34, -1, 0
	v_mbcnt_hi_u32_b32 v51, -1, v34
	v_and_b32_e32 v34, 64, v51
	v_add_u32_e32 v52, 64, v34
	v_xor_b32_e32 v34, 32, v51
	v_cmp_lt_i32_e64 s[38:39], v34, v52
	s_nop 1
	v_cndmask_b32_e64 v34, v51, v34, s[38:39]
	v_lshlrev_b32_e32 v87, 2, v34
	ds_bpermute_b32 v53, v87, v50
	v_lshl_add_u64 v[34:35], v[80:81], 0, v[54:55]
	global_load_dwordx4 v[42:45], v[34:35], off
	s_nop 0
	global_load_dwordx4 v[34:37], v[34:35], off offset:16
	s_waitcnt lgkmcnt(0)
	v_max_f32_e32 v53, v53, v53
	v_max_f32_e32 v62, v50, v53
	v_xor_b32_e32 v50, 16, v51
	v_cmp_lt_i32_e64 s[38:39], v50, v52
	s_nop 1
	v_cndmask_b32_e64 v50, v51, v50, s[38:39]
	v_lshlrev_b32_e32 v89, 2, v50
	ds_bpermute_b32 v63, v89, v62
	v_lshl_add_u64 v[50:51], v[80:81], 0, v[56:57]
	global_load_dwordx4 v[54:57], v[50:51], off
	s_nop 0
	global_load_dwordx4 v[50:53], v[50:51], off offset:16
	s_waitcnt lgkmcnt(0)
	v_max_f32_e32 v63, v63, v63
	v_max_f32_e32 v86, v62, v63
	v_sub_f32_e32 v60, v60, v86
	v_mul_f32_e32 v60, 0x3fb8aa3b, v60
	v_exp_f32_e32 v80, v60
	v_sub_f32_e32 v60, v61, v86
	v_mul_f32_e32 v60, 0x3fb8aa3b, v60
	v_exp_f32_e32 v81, v60
	global_load_dwordx4 v[62:65], v[58:59], off
	s_nop 0
	global_load_dwordx4 v[58:61], v[58:59], off offset:16
	v_sub_f32_e32 v78, v78, v86
	v_mul_f32_e32 v78, 0x3fb8aa3b, v78
	v_sub_f32_e32 v79, v79, v86
	v_exp_f32_e32 v78, v78
	v_mul_f32_e32 v79, 0x3fb8aa3b, v79
	v_sub_f32_e32 v76, v76, v86
	v_exp_f32_e32 v79, v79
	v_mul_f32_e32 v76, 0x3fb8aa3b, v76
	v_sub_f32_e32 v77, v77, v86
	v_cndmask_b32_e64 v80, 0, v80, s[28:29]
	v_exp_f32_e32 v76, v76
	v_mul_f32_e32 v77, 0x3fb8aa3b, v77
	v_sub_f32_e32 v74, v74, v86
	v_add_f32_e32 v91, 0, v80
	v_cndmask_b32_e64 v81, 0, v81, s[30:31]
	v_exp_f32_e32 v77, v77
	v_mul_f32_e32 v74, 0x3fb8aa3b, v74
	v_sub_f32_e32 v75, v75, v86
	v_add_f32_e32 v91, v91, v81
	;; [unrolled: 5-line block ×10, first 2 shown]
	v_cndmask_b32_e64 v70, 0, v70, s[10:11]
	v_exp_f32_e32 v66, v66
	v_mul_f32_e32 v67, 0x3fb8aa3b, v67
	v_add_f32_e32 v91, v91, v70
	v_cndmask_b32_e64 v71, 0, v71, s[12:13]
	v_exp_f32_e32 v67, v67
	v_add_f32_e32 v91, v91, v71
	v_cndmask_b32_e64 v68, 0, v68, s[6:7]
	v_add_f32_e32 v91, v91, v68
	v_cndmask_b32_e64 v69, 0, v69, s[8:9]
	v_add_f32_e32 v91, v91, v69
	v_cndmask_b32_e32 v66, 0, v66, vcc
	v_add_f32_e32 v91, v91, v66
	v_cndmask_b32_e64 v67, 0, v67, s[4:5]
	v_add_f32_e32 v91, v91, v67
	ds_bpermute_b32 v87, v87, v91
	s_load_dword s7, s[0:1], 0x98
	v_cmp_gt_u32_e32 vcc, 16, v85
	s_waitcnt lgkmcnt(0)
	s_barrier
	v_add_f32_e32 v87, v91, v87
	ds_bpermute_b32 v89, v89, v87
	s_waitcnt lgkmcnt(0)
	s_and_saveexec_b64 s[4:5], vcc
	s_cbranch_execz .LBB357_17
; %bb.16:
	v_add_f32_e32 v85, v87, v89
	v_lshlrev_b32_e32 v87, 2, v90
	ds_write2st64_b32 v87, v86, v85 offset1:1
.LBB357_17:
	s_or_b64 exec, exec, s[4:5]
	v_lshlrev_b32_e32 v85, 2, v84
	s_load_dword s6, s[0:1], 0x94
	s_waitcnt lgkmcnt(0)
	s_barrier
	ds_read2_b32 v[90:91], v85 offset1:16
	ds_read2_b32 v[92:93], v85 offset0:32 offset1:48
	ds_read2_b32 v[94:95], v85 offset0:64 offset1:80
	s_mul_i32 s7, s7, 14
	s_waitcnt lgkmcnt(2)
	v_max3_f32 v86, v90, s33, v91
	s_waitcnt lgkmcnt(1)
	v_max3_f32 v86, v86, v92, v93
	v_sub_f32_e32 v87, v90, v86
	v_mul_f32_e32 v87, 0x3fb8aa3b, v87
	v_exp_f32_e32 v89, v87
	v_sub_f32_e32 v87, v91, v86
	v_mul_f32_e32 v87, 0x3fb8aa3b, v87
	v_exp_f32_e32 v88, v87
	v_sub_f32_e32 v87, v92, v86
	v_mul_f32_e32 v87, 0x3fb8aa3b, v87
	ds_read2_b32 v[90:91], v85 offset0:96 offset1:112
	v_sub_f32_e32 v85, v93, v86
	v_exp_f32_e32 v92, v87
	v_mul_f32_e32 v85, 0x3fb8aa3b, v85
	v_exp_f32_e32 v85, v85
	s_waitcnt lgkmcnt(1)
	v_fma_f32 v87, v89, v94, 0
	v_fmac_f32_e32 v87, v88, v95
	s_waitcnt lgkmcnt(0)
	v_fmac_f32_e32 v87, v92, v90
	v_fmac_f32_e32 v87, v85, v91
	v_add_f32_e32 v90, 0x358637bd, v87
	v_div_scale_f32 v91, s[4:5], v90, v90, 1.0
	v_rcp_f32_e32 v93, v91
	s_barrier
	v_fma_f32 v94, -v91, v93, 1.0
	v_fmac_f32_e32 v93, v94, v93
	v_div_scale_f32 v94, vcc, 1.0, v90, 1.0
	v_mul_f32_e32 v95, v94, v93
	v_fma_f32 v1, -v91, v95, v94
	v_fmac_f32_e32 v95, v1, v93
	v_fma_f32 v1, -v91, v95, v94
	v_lshrrev_b32_e32 v91, 6, v0
	v_div_fmas_f32 v1, v1, v93, v95
	v_cmp_eq_u32_e32 vcc, 1, v91
	v_div_fixup_f32 v1, v1, v90, 1.0
	s_nop 0
	v_cndmask_b32_e32 v88, v89, v88, vcc
	v_cmp_eq_u32_e32 vcc, 2, v91
	s_nop 1
	v_cndmask_b32_e32 v88, v88, v92, vcc
	v_cmp_eq_u32_e32 vcc, 3, v91
	s_nop 1
	v_cndmask_b32_e32 v85, v88, v85, vcc
	v_mul_f32_e32 v90, v85, v1
	v_pk_mul_f32 v[78:79], v[90:91], v[78:79] op_sel_hi:[0,1]
	v_cvt_f16_f32_e32 v78, v78
	v_cvt_f16_f32_e32 v79, v79
	v_pk_mul_f32 v[80:81], v[90:91], v[80:81] op_sel_hi:[0,1]
	v_cvt_f16_f32_e32 v1, v80
	v_cvt_f16_f32_e32 v80, v81
	v_pk_mul_f32 v[74:75], v[90:91], v[74:75] op_sel_hi:[0,1]
	v_pk_mul_f32 v[76:77], v[90:91], v[76:77] op_sel_hi:[0,1]
	v_pack_b32_f16 v81, v78, v79
	v_cvt_f16_f32_e32 v76, v76
	v_cvt_f16_f32_e32 v77, v77
	;; [unrolled: 1-line block ×4, first 2 shown]
	v_bfe_u32 v88, v0, 4, 2
	v_pack_b32_f16 v80, v1, v80
	v_lshlrev_b32_e32 v1, 3, v88
	v_lshlrev_b32_e32 v78, 5, v84
	;; [unrolled: 1-line block ×3, first 2 shown]
	v_or3_b32 v1, v74, v78, v1
	v_pack_b32_f16 v74, v76, v77
	v_pack_b32_f16 v75, v79, v75
	v_pk_mul_f32 v[70:71], v[90:91], v[70:71] op_sel_hi:[0,1]
	v_pk_mul_f32 v[72:73], v[90:91], v[72:73] op_sel_hi:[0,1]
	;; [unrolled: 1-line block ×4, first 2 shown]
	ds_write2st64_b64 v1, v[80:81], v[74:75] offset1:1
	v_cvt_f16_f32_e32 v72, v72
	v_cvt_f16_f32_e32 v73, v73
	;; [unrolled: 1-line block ×8, first 2 shown]
	v_pack_b32_f16 v66, v72, v73
	v_pack_b32_f16 v67, v70, v71
	;; [unrolled: 1-line block ×4, first 2 shown]
	v_cmp_gt_u32_e32 vcc, 14, v0
	ds_write2st64_b64 v1, v[66:67], v[68:69] offset0:2 offset1:3
	s_and_saveexec_b64 s[4:5], vcc
	s_cbranch_execz .LBB357_19
; %bb.18:
	s_mov_b32 s41, 0
	v_mov_b32_e32 v85, 0
	v_lshl_add_u64 v[66:67], s[40:41], 0, v[84:85]
	v_mov_b32_e32 v68, s7
	v_mad_u64_u32 v[66:67], s[12:13], s2, v68, v[66:67]
	s_mul_i32 s3, s3, s7
	v_mov_b32_e32 v68, s26
	v_mov_b32_e32 v69, v85
	s_load_dwordx4 s[8:11], s[0:1], 0x58
	v_add_u32_e32 v70, s3, v67
	v_mad_u64_u32 v[66:67], s[12:13], v66, s6, v[68:69]
	v_mov_b32_e32 v68, v67
	v_mad_u64_u32 v[68:69], s[12:13], v70, s6, v[68:69]
	v_mov_b32_e32 v67, v68
	v_lshlrev_b64 v[66:67], 2, v[66:67]
	s_waitcnt lgkmcnt(0)
	v_lshl_add_u64 v[68:69], s[10:11], 0, v[66:67]
	v_lshl_add_u64 v[66:67], s[8:9], 0, v[66:67]
	global_store_dword v[68:69], v86, off
	global_store_dword v[66:67], v87, off
.LBB357_19:
	s_or_b64 exec, exec, s[4:5]
	v_lshl_or_b32 v78, v88, 9, v78
	s_waitcnt lgkmcnt(0)
	s_barrier
	ds_read_b128 v[70:73], v78
	ds_read_b128 v[66:69], v78 offset:16
	s_waitcnt vmcnt(15) lgkmcnt(1)
	v_mfma_f32_16x16x16_f16 v[74:77], v[30:31], v[70:71], 0
	s_mov_b32 s3, 0
	v_cmp_gt_u32_e32 vcc, 64, v0
	v_mfma_f32_16x16x16_f16 v[30:33], v[32:33], v[72:73], v[74:77]
	s_waitcnt vmcnt(14) lgkmcnt(0)
	v_mfma_f32_16x16x16_f16 v[30:33], v[26:27], v[66:67], v[30:33]
	v_mfma_f32_16x16x16_f16 v[26:29], v[28:29], v[68:69], v[30:33]
	s_nop 5
	ds_read_b128 v[30:33], v78 offset:2048
	ds_read_b128 v[74:77], v78 offset:2064
	s_waitcnt vmcnt(13) lgkmcnt(1)
	v_mfma_f32_16x16x16_f16 v[26:29], v[22:23], v[30:31], v[26:29]
	v_mfma_f32_16x16x16_f16 v[22:25], v[24:25], v[32:33], v[26:29]
	s_waitcnt vmcnt(12) lgkmcnt(0)
	v_mfma_f32_16x16x16_f16 v[22:25], v[18:19], v[74:75], v[22:25]
	v_mfma_f32_16x16x16_f16 v[18:21], v[20:21], v[76:77], v[22:25]
	s_nop 5
	ds_read_b128 v[22:25], v78 offset:4096
	ds_read_b128 v[26:29], v78 offset:4112
	s_waitcnt vmcnt(11) lgkmcnt(1)
	v_mfma_f32_16x16x16_f16 v[18:21], v[14:15], v[22:23], v[18:21]
	v_mfma_f32_16x16x16_f16 v[14:17], v[16:17], v[24:25], v[18:21]
	s_waitcnt vmcnt(10) lgkmcnt(0)
	v_mfma_f32_16x16x16_f16 v[14:17], v[10:11], v[26:27], v[14:17]
	v_mfma_f32_16x16x16_f16 v[10:13], v[12:13], v[28:29], v[14:17]
	s_nop 5
	ds_read_b128 v[14:17], v78 offset:6144
	ds_read_b128 v[18:21], v78 offset:6160
	s_waitcnt lgkmcnt(0)
	s_barrier
	s_waitcnt vmcnt(9)
	v_mfma_f32_16x16x16_f16 v[10:13], v[6:7], v[14:15], v[10:13]
	v_mfma_f32_16x16x16_f16 v[6:9], v[8:9], v[16:17], v[10:13]
	s_waitcnt vmcnt(8)
	v_mfma_f32_16x16x16_f16 v[6:9], v[2:3], v[18:19], v[6:9]
	v_mfma_f32_16x16x16_f16 v[2:5], v[4:5], v[20:21], v[6:9]
	;; [unrolled: 3-line block ×3, first 2 shown]
	s_nop 3
	v_cvt_f16_f32_e32 v10, v2
	v_cvt_f16_f32_e32 v11, v3
	;; [unrolled: 1-line block ×3, first 2 shown]
	s_waitcnt vmcnt(6)
	v_mfma_f32_16x16x16_f16 v[6:9], v[38:39], v[66:67], v[6:9]
	v_cvt_f16_f32_e32 v13, v5
	v_mfma_f32_16x16x16_f16 v[6:9], v[40:41], v[68:69], v[6:9]
	s_waitcnt vmcnt(5)
	v_mfma_f32_16x16x16_f16 v[6:9], v[42:43], v[30:31], v[6:9]
	v_mfma_f32_16x16x16_f16 v[6:9], v[44:45], v[32:33], v[6:9]
	s_waitcnt vmcnt(4)
	v_mfma_f32_16x16x16_f16 v[6:9], v[34:35], v[74:75], v[6:9]
	;; [unrolled: 3-line block ×6, first 2 shown]
	v_mfma_f32_16x16x16_f16 v[2:5], v[60:61], v[20:21], v[6:9]
	s_nop 6
	v_cvt_f16_f32_e32 v6, v2
	v_cvt_f16_f32_e32 v7, v3
	;; [unrolled: 1-line block ×4, first 2 shown]
	v_pack_b32_f16 v2, v10, v11
	v_pack_b32_f16 v3, v12, v13
	;; [unrolled: 1-line block ×4, first 2 shown]
	ds_write2st64_b64 v1, v[2:3], v[4:5] offset1:1
	s_waitcnt lgkmcnt(0)
	s_barrier
	s_and_saveexec_b64 s[4:5], vcc
	s_cbranch_execz .LBB357_22
; %bb.20:
	s_load_dwordx2 s[4:5], s[0:1], 0x68
	s_lshl_b32 s0, s6, 7
	s_mul_i32 s1, s7, s2
	v_lshlrev_b32_e32 v3, 6, v84
	s_mul_hi_u32 s7, s1, s0
	s_mul_i32 s6, s1, s0
	v_lshlrev_b32_e32 v2, 4, v0
	v_lshl_or_b32 v0, v0, 10, v3
	s_lshl_b64 s[6:7], s[6:7], 1
	v_lshlrev_b32_e32 v1, 5, v88
	v_and_b32_e32 v2, 16, v2
	v_and_b32_e32 v0, 0x1a00, v0
	s_waitcnt lgkmcnt(0)
	s_add_u32 s1, s4, s6
	v_or3_b32 v2, v0, v1, v2
	s_addc_u32 s4, s5, s7
	s_lshl_b32 s2, s26, 7
	ds_read_b128 v[4:7], v2 offset:256
	s_lshl_b64 s[2:3], s[2:3], 1
	ds_read_b128 v[8:11], v2 offset:128
	ds_read_b128 v[12:15], v2
	s_add_u32 s2, s1, s2
	s_addc_u32 s3, s4, s3
	v_add_u32_e32 v18, s40, v88
	v_lshl_add_u64 v[0:1], v[82:83], 1, s[2:3]
	v_mad_u64_u32 v[16:17], s[2:3], v18, s0, 0
	v_lshl_add_u64 v[16:17], v[16:17], 1, v[0:1]
	s_waitcnt lgkmcnt(0)
	global_store_dwordx4 v[16:17], v[12:15], off
	v_or_b32_e32 v3, 12, v88
	v_cmp_gt_u32_e32 vcc, 14, v3
	v_add_u32_e32 v12, 4, v18
	v_mad_u64_u32 v[12:13], s[2:3], v12, s0, 0
	v_lshl_add_u64 v[12:13], v[12:13], 1, v[0:1]
	global_store_dwordx4 v[12:13], v[8:11], off
	s_nop 1
	v_add_u32_e32 v8, 8, v18
	v_mad_u64_u32 v[8:9], s[2:3], v8, s0, 0
	v_lshl_add_u64 v[8:9], v[8:9], 1, v[0:1]
	global_store_dwordx4 v[8:9], v[4:7], off
	s_and_b64 exec, exec, vcc
	s_cbranch_execz .LBB357_22
; %bb.21:
	ds_read_b128 v[4:7], v2 offset:384
	v_add_u32_e32 v2, s40, v3
	v_mad_u64_u32 v[2:3], s[0:1], v2, s0, 0
	v_lshl_add_u64 v[0:1], v[2:3], 1, v[0:1]
	s_waitcnt lgkmcnt(0)
	global_store_dwordx4 v[0:1], v[4:7], off
.LBB357_22:
	s_endpgm
	.section	.rodata,"a",@progbits
	.p2align	6, 0x0
	.amdhsa_kernel _Z39paged_attention_ll4mi_QKV_mfma16_kernelIDF16_DF16_LN4vllm18Fp8KVCacheDataTypeE0EDF16_Li32ELi128ELi256ELb1ELi14EEvPKT_PKT0_S7_ifPKiS9_S9_iPKfiiiPfSC_PS2_PT2_iSB_SB_
		.amdhsa_group_segment_fixed_size 8192
		.amdhsa_private_segment_fixed_size 0
		.amdhsa_kernarg_size 400
		.amdhsa_user_sgpr_count 2
		.amdhsa_user_sgpr_dispatch_ptr 0
		.amdhsa_user_sgpr_queue_ptr 0
		.amdhsa_user_sgpr_kernarg_segment_ptr 1
		.amdhsa_user_sgpr_dispatch_id 0
		.amdhsa_user_sgpr_kernarg_preload_length 0
		.amdhsa_user_sgpr_kernarg_preload_offset 0
		.amdhsa_user_sgpr_private_segment_size 0
		.amdhsa_uses_dynamic_stack 0
		.amdhsa_enable_private_segment 0
		.amdhsa_system_sgpr_workgroup_id_x 1
		.amdhsa_system_sgpr_workgroup_id_y 1
		.amdhsa_system_sgpr_workgroup_id_z 1
		.amdhsa_system_sgpr_workgroup_info 0
		.amdhsa_system_vgpr_workitem_id 0
		.amdhsa_next_free_vgpr 96
		.amdhsa_next_free_sgpr 42
		.amdhsa_accum_offset 96
		.amdhsa_reserve_vcc 1
		.amdhsa_float_round_mode_32 0
		.amdhsa_float_round_mode_16_64 0
		.amdhsa_float_denorm_mode_32 3
		.amdhsa_float_denorm_mode_16_64 3
		.amdhsa_dx10_clamp 1
		.amdhsa_ieee_mode 1
		.amdhsa_fp16_overflow 0
		.amdhsa_tg_split 0
		.amdhsa_exception_fp_ieee_invalid_op 0
		.amdhsa_exception_fp_denorm_src 0
		.amdhsa_exception_fp_ieee_div_zero 0
		.amdhsa_exception_fp_ieee_overflow 0
		.amdhsa_exception_fp_ieee_underflow 0
		.amdhsa_exception_fp_ieee_inexact 0
		.amdhsa_exception_int_div_zero 0
	.end_amdhsa_kernel
	.section	.text._Z39paged_attention_ll4mi_QKV_mfma16_kernelIDF16_DF16_LN4vllm18Fp8KVCacheDataTypeE0EDF16_Li32ELi128ELi256ELb1ELi14EEvPKT_PKT0_S7_ifPKiS9_S9_iPKfiiiPfSC_PS2_PT2_iSB_SB_,"axG",@progbits,_Z39paged_attention_ll4mi_QKV_mfma16_kernelIDF16_DF16_LN4vllm18Fp8KVCacheDataTypeE0EDF16_Li32ELi128ELi256ELb1ELi14EEvPKT_PKT0_S7_ifPKiS9_S9_iPKfiiiPfSC_PS2_PT2_iSB_SB_,comdat
.Lfunc_end357:
	.size	_Z39paged_attention_ll4mi_QKV_mfma16_kernelIDF16_DF16_LN4vllm18Fp8KVCacheDataTypeE0EDF16_Li32ELi128ELi256ELb1ELi14EEvPKT_PKT0_S7_ifPKiS9_S9_iPKfiiiPfSC_PS2_PT2_iSB_SB_, .Lfunc_end357-_Z39paged_attention_ll4mi_QKV_mfma16_kernelIDF16_DF16_LN4vllm18Fp8KVCacheDataTypeE0EDF16_Li32ELi128ELi256ELb1ELi14EEvPKT_PKT0_S7_ifPKiS9_S9_iPKfiiiPfSC_PS2_PT2_iSB_SB_
                                        ; -- End function
	.section	.AMDGPU.csdata,"",@progbits
; Kernel info:
; codeLenInByte = 4928
; NumSgprs: 48
; NumVgprs: 96
; NumAgprs: 0
; TotalNumVgprs: 96
; ScratchSize: 0
; MemoryBound: 0
; FloatMode: 240
; IeeeMode: 1
; LDSByteSize: 8192 bytes/workgroup (compile time only)
; SGPRBlocks: 5
; VGPRBlocks: 11
; NumSGPRsForWavesPerEU: 48
; NumVGPRsForWavesPerEU: 96
; AccumOffset: 96
; Occupancy: 5
; WaveLimiterHint : 1
; COMPUTE_PGM_RSRC2:SCRATCH_EN: 0
; COMPUTE_PGM_RSRC2:USER_SGPR: 2
; COMPUTE_PGM_RSRC2:TRAP_HANDLER: 0
; COMPUTE_PGM_RSRC2:TGID_X_EN: 1
; COMPUTE_PGM_RSRC2:TGID_Y_EN: 1
; COMPUTE_PGM_RSRC2:TGID_Z_EN: 1
; COMPUTE_PGM_RSRC2:TIDIG_COMP_CNT: 0
; COMPUTE_PGM_RSRC3_GFX90A:ACCUM_OFFSET: 23
; COMPUTE_PGM_RSRC3_GFX90A:TG_SPLIT: 0
	.section	.text._Z39paged_attention_ll4mi_QKV_mfma16_kernelIDF16_DF16_LN4vllm18Fp8KVCacheDataTypeE0EDF16_Li32ELi128ELi256ELb1ELi15EEvPKT_PKT0_S7_ifPKiS9_S9_iPKfiiiPfSC_PS2_PT2_iSB_SB_,"axG",@progbits,_Z39paged_attention_ll4mi_QKV_mfma16_kernelIDF16_DF16_LN4vllm18Fp8KVCacheDataTypeE0EDF16_Li32ELi128ELi256ELb1ELi15EEvPKT_PKT0_S7_ifPKiS9_S9_iPKfiiiPfSC_PS2_PT2_iSB_SB_,comdat
	.protected	_Z39paged_attention_ll4mi_QKV_mfma16_kernelIDF16_DF16_LN4vllm18Fp8KVCacheDataTypeE0EDF16_Li32ELi128ELi256ELb1ELi15EEvPKT_PKT0_S7_ifPKiS9_S9_iPKfiiiPfSC_PS2_PT2_iSB_SB_ ; -- Begin function _Z39paged_attention_ll4mi_QKV_mfma16_kernelIDF16_DF16_LN4vllm18Fp8KVCacheDataTypeE0EDF16_Li32ELi128ELi256ELb1ELi15EEvPKT_PKT0_S7_ifPKiS9_S9_iPKfiiiPfSC_PS2_PT2_iSB_SB_
	.globl	_Z39paged_attention_ll4mi_QKV_mfma16_kernelIDF16_DF16_LN4vllm18Fp8KVCacheDataTypeE0EDF16_Li32ELi128ELi256ELb1ELi15EEvPKT_PKT0_S7_ifPKiS9_S9_iPKfiiiPfSC_PS2_PT2_iSB_SB_
	.p2align	8
	.type	_Z39paged_attention_ll4mi_QKV_mfma16_kernelIDF16_DF16_LN4vllm18Fp8KVCacheDataTypeE0EDF16_Li32ELi128ELi256ELb1ELi15EEvPKT_PKT0_S7_ifPKiS9_S9_iPKfiiiPfSC_PS2_PT2_iSB_SB_,@function
_Z39paged_attention_ll4mi_QKV_mfma16_kernelIDF16_DF16_LN4vllm18Fp8KVCacheDataTypeE0EDF16_Li32ELi128ELi256ELb1ELi15EEvPKT_PKT0_S7_ifPKiS9_S9_iPKfiiiPfSC_PS2_PT2_iSB_SB_: ; @_Z39paged_attention_ll4mi_QKV_mfma16_kernelIDF16_DF16_LN4vllm18Fp8KVCacheDataTypeE0EDF16_Li32ELi128ELi256ELb1ELi15EEvPKT_PKT0_S7_ifPKiS9_S9_iPKfiiiPfSC_PS2_PT2_iSB_SB_
; %bb.0:
	s_load_dwordx2 s[8:9], s[0:1], 0x30
	s_mov_b32 s26, s3
	s_mov_b64 s[6:7], 0
	s_waitcnt lgkmcnt(0)
	s_cmp_lg_u64 s[8:9], 0
	s_cselect_b64 s[10:11], -1, 0
	s_and_b64 vcc, exec, s[10:11]
	s_cbranch_vccz .LBB358_7
; %bb.1:
	s_add_i32 s12, s2, 1
	s_mov_b32 s13, 0
	s_lshl_b64 s[14:15], s[12:13], 2
	s_add_u32 s14, s8, s14
	s_mov_b32 s3, s13
	s_addc_u32 s15, s9, s15
	s_lshl_b64 s[12:13], s[2:3], 2
	s_add_u32 s12, s8, s12
	s_addc_u32 s13, s9, s13
	s_load_dword s5, s[14:15], 0x0
	s_load_dword s16, s[12:13], 0x0
	s_waitcnt lgkmcnt(0)
	s_sub_i32 s5, s5, s16
	s_cmp_eq_u32 s5, 1
	s_cselect_b64 s[12:13], -1, 0
	s_andn2_b64 vcc, exec, s[6:7]
	s_cbranch_vccnz .LBB358_3
.LBB358_2:
	s_mov_b32 s3, 0
	s_mov_b64 s[12:13], -1
.LBB358_3:
	s_andn2_b64 vcc, exec, s[12:13]
	s_cbranch_vccnz .LBB358_22
; %bb.4:
	s_load_dwordx2 s[6:7], s[0:1], 0x28
	s_lshl_b64 s[12:13], s[2:3], 2
	s_waitcnt lgkmcnt(0)
	s_add_u32 s6, s6, s12
	s_addc_u32 s7, s7, s13
	s_load_dword s27, s[6:7], 0x0
	s_lshl_b32 s18, s26, 8
	s_waitcnt lgkmcnt(0)
	s_cmp_ge_i32 s18, s27
	s_cbranch_scc1 .LBB358_22
; %bb.5:
	s_load_dwordx2 s[6:7], s[0:1], 0x20
	s_load_dword s5, s[0:1], 0x38
	s_add_i32 s14, s27, 31
	s_ashr_i32 s15, s14, 31
	v_and_b32_e32 v1, 0xcf, v0
	s_lshr_b32 s15, s15, 27
	v_add_u32_e32 v1, s18, v1
	s_add_i32 s14, s14, s15
	v_ashrrev_i32_e32 v2, 31, v1
	s_ashr_i32 s19, s14, 5
	v_lshrrev_b32_e32 v4, 27, v2
	s_add_i32 s19, s19, -1
	s_waitcnt lgkmcnt(0)
	s_mul_i32 s14, s2, s5
	s_mov_b32 s15, 0
	v_add_u32_e32 v2, v1, v4
	s_lshl_b64 s[14:15], s[14:15], 2
	v_ashrrev_i32_e32 v2, 5, v2
	v_mov_b32_e32 v5, s19
	v_cmp_gt_i32_e32 vcc, s27, v1
	s_add_u32 s6, s6, s14
	s_addc_u32 s7, s7, s15
	v_cndmask_b32_e32 v2, v5, v2, vcc
	v_ashrrev_i32_e32 v3, 31, v2
	v_lshl_add_u64 v[6:7], v[2:3], 2, s[6:7]
	v_or_b32_e32 v2, 16, v1
	v_add_u32_e32 v3, v2, v4
	v_ashrrev_i32_e32 v3, 5, v3
	v_cmp_gt_i32_e32 vcc, s27, v2
	s_nop 1
	v_cndmask_b32_e32 v2, v5, v3, vcc
	v_ashrrev_i32_e32 v3, 31, v2
	v_lshl_add_u64 v[8:9], v[2:3], 2, s[6:7]
	v_or_b32_e32 v2, 32, v1
	v_add_u32_e32 v3, v2, v4
	v_ashrrev_i32_e32 v3, 5, v3
	v_cmp_gt_i32_e32 vcc, s27, v2
	v_or_b32_e32 v1, 48, v1
	s_nop 0
	v_cndmask_b32_e32 v2, v5, v3, vcc
	v_ashrrev_i32_e32 v3, 31, v2
	v_lshl_add_u64 v[10:11], v[2:3], 2, s[6:7]
	v_add_u32_e32 v2, v1, v4
	v_ashrrev_i32_e32 v2, 5, v2
	v_cmp_gt_i32_e32 vcc, s27, v1
	s_nop 1
	v_cndmask_b32_e32 v2, v5, v2, vcc
	v_ashrrev_i32_e32 v3, 31, v2
	v_lshl_add_u64 v[12:13], v[2:3], 2, s[6:7]
	global_load_dword v5, v[6:7], off
	global_load_dword v4, v[8:9], off
	;; [unrolled: 1-line block ×4, first 2 shown]
	s_andn2_b64 vcc, exec, s[10:11]
	s_cbranch_vccnz .LBB358_8
; %bb.6:
	s_add_u32 s8, s8, s12
	s_addc_u32 s9, s9, s13
	s_load_dword s5, s[8:9], 0x0
	s_branch .LBB358_9
.LBB358_7:
	s_mov_b64 s[12:13], 0
	s_branch .LBB358_2
.LBB358_8:
	s_mov_b32 s5, s2
.LBB358_9:
	s_load_dwordx2 s[14:15], s[0:1], 0x8
	s_load_dwordx4 s[8:11], s[0:1], 0x48
	v_lshrrev_b32_e32 v88, 6, v0
	v_bfe_u32 v1, v0, 4, 2
	v_lshl_or_b32 v6, v88, 2, v1
	v_and_b32_e32 v84, 15, v0
	v_lshlrev_b32_e32 v82, 3, v84
	v_cmp_lt_u32_e32 vcc, 14, v6
	s_and_saveexec_b64 s[12:13], vcc
	s_xor_b64 s[12:13], exec, s[12:13]
; %bb.10:
	v_mov_b32_e32 v83, 0
                                        ; implicit-def: $vgpr6
; %bb.11:
	s_or_saveexec_b64 s[16:17], s[12:13]
	s_load_dwordx2 s[12:13], s[0:1], 0x10
	s_mul_i32 s40, s4, 15
	s_xor_b64 exec, exec, s[16:17]
	s_cbranch_execz .LBB358_13
; %bb.12:
	s_load_dwordx2 s[20:21], s[0:1], 0x0
	s_waitcnt lgkmcnt(0)
	s_ashr_i32 s11, s8, 31
	s_mul_hi_u32 s22, s5, s8
	s_mul_i32 s11, s5, s11
	s_add_i32 s23, s22, s11
	s_mul_i32 s22, s5, s8
	s_lshl_b64 s[22:23], s[22:23], 1
	s_add_u32 s20, s20, s22
	v_add_lshl_u32 v8, v6, s40, 7
	s_addc_u32 s21, s21, s23
	v_ashrrev_i32_e32 v9, 31, v8
	v_mov_b32_e32 v83, 0
	v_lshl_add_u64 v[8:9], v[8:9], 1, s[20:21]
	v_lshlrev_b32_e32 v10, 1, v82
	v_mov_b32_e32 v11, v83
	v_lshl_add_u64 v[8:9], v[8:9], 0, v[10:11]
	global_load_dwordx4 v[8:11], v[8:9], off
	v_and_b32_e32 v7, 3, v0
	v_lshlrev_b32_e32 v12, 9, v84
	v_lshlrev_b32_e32 v6, 5, v6
	;; [unrolled: 1-line block ×3, first 2 shown]
	v_and_b32_e32 v12, 0x1800, v12
	v_or3_b32 v6, v12, v7, v6
	s_waitcnt vmcnt(0)
	ds_write_b128 v6, v[8:11]
.LBB358_13:
	s_or_b64 exec, exec, s[16:17]
	s_waitcnt lgkmcnt(0)
	s_mov_b32 s5, 0
	s_mul_i32 s4, s4, s10
	s_lshl_b64 s[4:5], s[4:5], 1
	s_add_u32 s10, s14, s4
	s_addc_u32 s11, s15, s5
	s_waitcnt vmcnt(3)
	v_mad_i64_i32 v[6:7], s[14:15], v5, s9, 0
	v_lshl_add_u64 v[6:7], v[6:7], 1, s[10:11]
	v_lshlrev_b64 v[8:9], 1, v[82:83]
	v_mov_b32_e32 v87, 0
	v_lshlrev_b32_e32 v86, 9, v1
	v_lshl_add_u64 v[6:7], v[6:7], 0, v[8:9]
	v_lshl_add_u64 v[10:11], v[6:7], 0, v[86:87]
	v_or_b32_e32 v14, 0x1000, v86
	v_mov_b32_e32 v15, v87
	v_or_b32_e32 v16, 0x1800, v86
	v_mov_b32_e32 v17, v87
	s_barrier
	global_load_dwordx4 v[66:69], v[10:11], off
	global_load_dwordx4 v[62:65], v[10:11], off offset:2048
	v_lshl_add_u64 v[10:11], v[6:7], 0, v[14:15]
	v_lshl_add_u64 v[6:7], v[6:7], 0, v[16:17]
	global_load_dwordx4 v[78:81], v[10:11], off
	global_load_dwordx4 v[74:77], v[6:7], off
	s_waitcnt vmcnt(6)
	v_mad_i64_i32 v[4:5], s[14:15], v4, s9, 0
	v_mov_b32_e32 v6, 0x100
	v_lshl_add_u64 v[4:5], v[4:5], 1, s[10:11]
	v_lshl_or_b32 v6, v84, 4, v6
	v_mov_b32_e32 v7, v87
	v_lshl_add_u64 v[4:5], v[4:5], 0, v[6:7]
	v_lshl_add_u64 v[10:11], v[4:5], 0, v[86:87]
	global_load_dwordx4 v[70:73], v[10:11], off
	global_load_dwordx4 v[58:61], v[10:11], off offset:2048
	v_lshl_add_u64 v[10:11], v[4:5], 0, v[14:15]
	v_lshl_add_u64 v[4:5], v[4:5], 0, v[16:17]
	global_load_dwordx4 v[54:57], v[10:11], off
	global_load_dwordx4 v[30:33], v[4:5], off
	s_waitcnt vmcnt(9)
	v_mad_i64_i32 v[4:5], s[14:15], v3, s9, 0
	v_lshl_add_u64 v[4:5], v[4:5], 1, s[10:11]
	s_waitcnt vmcnt(8)
	v_mad_i64_i32 v[2:3], s[14:15], v2, s9, 0
	v_lshl_add_u64 v[4:5], v[4:5], 0, v[8:9]
	v_lshl_add_u64 v[2:3], v[2:3], 1, s[10:11]
	;; [unrolled: 1-line block ×4, first 2 shown]
	global_load_dwordx4 v[26:29], v[8:9], off
	global_load_dwordx4 v[22:25], v[8:9], off offset:2048
	v_lshl_add_u64 v[8:9], v[4:5], 0, v[14:15]
	v_lshl_add_u64 v[4:5], v[4:5], 0, v[16:17]
	;; [unrolled: 1-line block ×4, first 2 shown]
	global_load_dwordx4 v[18:21], v[8:9], off
	global_load_dwordx4 v[10:13], v[4:5], off
	s_nop 0
	global_load_dwordx4 v[6:9], v[2:3], off
	s_nop 0
	global_load_dwordx4 v[2:5], v[2:3], off offset:2048
	v_lshl_add_u64 v[16:17], v[34:35], 0, v[16:17]
	global_load_dwordx4 v[42:45], v[14:15], off
	global_load_dwordx4 v[34:37], v[16:17], off
	v_cmp_ne_u32_e32 vcc, 15, v84
	v_and_b32_e32 v85, 63, v0
	v_mov_b32_e32 v89, 0
	v_cndmask_b32_e32 v14, 0, v84, vcc
	v_lshl_or_b32 v38, v14, 5, v86
	ds_read_b128 v[14:17], v38
	ds_read_b128 v[50:53], v38 offset:2048
	ds_read_b128 v[46:49], v38 offset:4096
	;; [unrolled: 1-line block ×3, first 2 shown]
	s_and_saveexec_b64 s[10:11], vcc
	s_cbranch_execz .LBB358_15
; %bb.14:
	s_load_dwordx2 s[14:15], s[0:1], 0x40
	v_add_u32_e32 v90, s40, v84
	v_ashrrev_i32_e32 v91, 31, v90
	s_waitcnt lgkmcnt(0)
	v_lshl_add_u64 v[90:91], v[90:91], 2, s[14:15]
	global_load_dword v89, v[90:91], off
.LBB358_15:
	s_or_b64 exec, exec, s[10:11]
	s_waitcnt vmcnt(15) lgkmcnt(3)
	v_mfma_f32_16x16x16_f16 v[90:93], v[66:67], v[14:15], 0
	s_ashr_i32 s8, s18, 31
	s_lshr_b32 s8, s8, 27
	s_add_u32 s4, s12, s4
	v_mfma_f32_16x16x16_f16 v[66:69], v[68:69], v[16:17], v[90:93]
	s_addc_u32 s5, s13, s5
	s_mov_b32 s33, 0xff7fffff
	s_waitcnt vmcnt(14) lgkmcnt(2)
	v_mfma_f32_16x16x16_f16 v[66:69], v[62:63], v[50:51], v[66:69]
	v_lshl_or_b32 v90, v88, 4, v84
	v_mfma_f32_16x16x16_f16 v[62:65], v[64:65], v[52:53], v[66:69]
	s_waitcnt vmcnt(13) lgkmcnt(1)
	v_mfma_f32_16x16x16_f16 v[62:65], v[78:79], v[46:47], v[62:65]
	v_mfma_f32_16x16x16_f16 v[62:65], v[80:81], v[48:49], v[62:65]
	s_waitcnt vmcnt(12) lgkmcnt(0)
	v_mfma_f32_16x16x16_f16 v[62:65], v[74:75], v[38:39], v[62:65]
	v_and_or_b32 v74, v0, 48, s18
	v_add_u32_e32 v66, s8, v74
	v_ashrrev_i32_e32 v75, 5, v66
	s_waitcnt vmcnt(11)
	v_mfma_f32_16x16x16_f16 v[66:69], v[70:71], v[14:15], 0
	v_cmp_gt_i32_e32 vcc, s27, v74
	v_mfma_f32_16x16x16_f16 v[66:69], v[72:73], v[16:17], v[66:69]
	v_or_b32_e32 v72, 64, v74
	v_add_u32_e32 v73, s8, v72
	s_waitcnt vmcnt(10)
	v_mfma_f32_16x16x16_f16 v[66:69], v[58:59], v[50:51], v[66:69]
	v_ashrrev_i32_e32 v58, 5, v73
	v_mfma_f32_16x16x16_f16 v[62:65], v[76:77], v[40:41], v[62:65]
	v_mov_b32_e32 v76, s19
	v_cndmask_b32_e32 v70, v76, v75, vcc
	v_cmp_gt_i32_e32 vcc, s27, v72
	v_ashrrev_i32_e32 v71, 31, v70
	v_lshl_add_u64 v[70:71], v[70:71], 2, s[6:7]
	v_cndmask_b32_e32 v72, v76, v58, vcc
	v_mfma_f32_16x16x16_f16 v[58:61], v[60:61], v[52:53], v[66:69]
	v_ashrrev_i32_e32 v73, 31, v72
	s_waitcnt vmcnt(9)
	v_mfma_f32_16x16x16_f16 v[58:61], v[54:55], v[46:47], v[58:61]
	v_lshl_add_u64 v[66:67], v[72:73], 2, s[6:7]
	global_load_dword v72, v[70:71], off
	global_load_dword v75, v[66:67], off
	v_or_b32_e32 v66, 0x80, v74
	v_add_u32_e32 v67, s8, v66
	v_mfma_f32_16x16x16_f16 v[54:57], v[56:57], v[48:49], v[58:61]
	v_cmp_gt_i32_e32 vcc, s27, v66
	s_nop 1
	v_ashrrev_i32_e32 v58, 5, v67
	v_cndmask_b32_e32 v58, v76, v58, vcc
	v_ashrrev_i32_e32 v59, 31, v58
	s_waitcnt vmcnt(10)
	v_mfma_f32_16x16x16_f16 v[54:57], v[30:31], v[38:39], v[54:57]
	v_lshl_add_u64 v[30:31], v[58:59], 2, s[6:7]
	global_load_dword v58, v[30:31], off
	v_mfma_f32_16x16x16_f16 v[66:69], v[32:33], v[40:41], v[54:57]
	s_nop 3
	v_or_b32_e32 v54, 0xc0, v74
	v_add_u32_e32 v30, s8, v54
	v_ashrrev_i32_e32 v55, 5, v30
	v_cmp_gt_i32_e32 vcc, s27, v54
	s_waitcnt vmcnt(10)
	v_mfma_f32_16x16x16_f16 v[30:33], v[26:27], v[14:15], 0
	v_cndmask_b32_e32 v26, v76, v55, vcc
	v_ashrrev_i32_e32 v27, 31, v26
	v_lshl_add_u64 v[54:55], v[26:27], 2, s[6:7]
	global_load_dword v59, v[54:55], off
	v_mfma_f32_16x16x16_f16 v[26:29], v[28:29], v[16:17], v[30:33]
	s_load_dword s6, s[0:1], 0x1c
	s_waitcnt lgkmcnt(0)
	v_pk_mul_f32 v[76:77], s[6:7], v[66:67] op_sel_hi:[0,1]
	s_waitcnt vmcnt(10)
	v_mfma_f32_16x16x16_f16 v[26:29], v[22:23], v[50:51], v[26:29]
	v_and_b32_e32 v30, 16, v0
	v_lshlrev_b32_e32 v86, 1, v30
	v_lshl_add_u64 v[60:61], s[4:5], 0, v[86:87]
	v_mfma_f32_16x16x16_f16 v[22:25], v[24:25], v[52:53], v[26:29]
	v_lshlrev_b32_e32 v86, 6, v90
	v_lshl_add_u64 v[70:71], v[60:61], 0, v[86:87]
	v_or_b32_e32 v86, 0x1000, v86
	s_waitcnt vmcnt(9)
	v_mfma_f32_16x16x16_f16 v[22:25], v[18:19], v[46:47], v[22:25]
	v_lshl_add_u64 v[80:81], v[60:61], 0, v[86:87]
	v_pk_mul_f32 v[78:79], s[6:7], v[64:65] op_sel_hi:[0,1]
	v_pk_mul_f32 v[60:61], s[6:7], v[62:63] op_sel_hi:[0,1]
	v_mfma_f32_16x16x16_f16 v[18:21], v[20:21], v[48:49], v[22:25]
	s_waitcnt vmcnt(8)
	v_mfma_f32_16x16x16_f16 v[18:21], v[10:11], v[38:39], v[18:21]
	s_waitcnt vmcnt(3)
	v_mad_i64_i32 v[22:23], s[4:5], v72, s9, 0
	s_waitcnt vmcnt(2)
	v_mad_i64_i32 v[10:11], s[4:5], v75, s9, 0
	v_lshlrev_b64 v[72:73], 1, v[22:23]
	v_lshlrev_b64 v[54:55], 1, v[10:11]
	v_lshl_add_u64 v[22:23], v[70:71], 0, v[72:73]
	v_lshl_add_u64 v[10:11], v[70:71], 0, v[54:55]
	global_load_dwordx4 v[30:33], v[22:23], off
	global_load_dwordx4 v[26:29], v[22:23], off offset:16
	v_mfma_f32_16x16x16_f16 v[92:95], v[12:13], v[40:41], v[18:21]
	global_load_dwordx4 v[22:25], v[10:11], off
	s_nop 1
	global_load_dwordx4 v[18:21], v[10:11], off offset:16
	v_pk_mul_f32 v[74:75], s[6:7], v[68:69] op_sel_hi:[0,1]
	v_mfma_f32_16x16x16_f16 v[10:13], v[6:7], v[14:15], 0
	s_waitcnt vmcnt(5)
	v_mad_i64_i32 v[6:7], s[4:5], v58, s9, 0
	v_lshlrev_b64 v[56:57], 1, v[6:7]
	v_mfma_f32_16x16x16_f16 v[6:9], v[8:9], v[16:17], v[10:13]
	v_mfma_f32_16x16x16_f16 v[6:9], v[2:3], v[50:51], v[6:9]
	s_nop 1
	v_lshl_add_u64 v[10:11], v[70:71], 0, v[56:57]
	global_load_dwordx4 v[14:17], v[10:11], off
	s_nop 0
	global_load_dwordx4 v[10:13], v[10:11], off offset:16
	s_waitcnt vmcnt(6)
	v_mad_i64_i32 v[2:3], s[4:5], v59, s9, 0
	v_mfma_f32_16x16x16_f16 v[50:53], v[4:5], v[52:53], v[6:9]
	v_lshlrev_b64 v[58:59], 1, v[2:3]
	v_lshl_add_u64 v[2:3], v[70:71], 0, v[58:59]
	v_pk_mul_f32 v[70:71], s[6:7], v[94:95] op_sel_hi:[0,1]
	v_mfma_f32_16x16x16_f16 v[50:53], v[42:43], v[46:47], v[50:53]
	v_lshl_add_u64 v[42:43], v[80:81], 0, v[72:73]
	v_pk_mul_f32 v[72:73], s[6:7], v[92:93] op_sel_hi:[0,1]
	v_lshl_add_u64 v[58:59], v[80:81], 0, v[58:59]
	v_mfma_f32_16x16x16_f16 v[44:47], v[44:45], v[48:49], v[50:53]
	global_load_dwordx4 v[6:9], v[2:3], off
	s_nop 0
	global_load_dwordx4 v[2:5], v[2:3], off offset:16
	v_mfma_f32_16x16x16_f16 v[44:47], v[34:35], v[38:39], v[44:47]
	v_mfma_f32_16x16x16_f16 v[34:37], v[36:37], v[40:41], v[44:47]
	s_nop 6
	v_pk_mul_f32 v[68:69], s[6:7], v[34:35] op_sel_hi:[0,1]
	v_and_b32_e32 v34, 0xc0, v0
	v_add_u32_e32 v34, s18, v34
	v_lshl_or_b32 v34, v1, 2, v34
	v_or_b32_e32 v35, 1, v34
	v_pk_mul_f32 v[66:67], s[6:7], v[36:37] op_sel_hi:[0,1]
	v_subrev_u32_e32 v36, s27, v35
	v_add_u32_e32 v38, 1, v36
	v_add_u32_e32 v39, 2, v36
	v_cvt_f32_i32_e32 v37, v36
	v_cvt_f32_i32_e32 v38, v38
	;; [unrolled: 1-line block ×3, first 2 shown]
	v_add_u32_e32 v40, 3, v36
	v_fma_f32 v60, v89, v37, v60
	v_fmac_f32_e32 v61, v89, v38
	v_fma_f32 v78, v89, v39, v78
	v_add_u32_e32 v37, 16, v36
	v_add_u32_e32 v38, 17, v36
	;; [unrolled: 1-line block ×3, first 2 shown]
	v_cvt_f32_i32_e32 v40, v40
	v_cvt_f32_i32_e32 v37, v37
	;; [unrolled: 1-line block ×4, first 2 shown]
	v_fmac_f32_e32 v79, v89, v40
	v_add_u32_e32 v40, 19, v36
	v_fma_f32 v76, v89, v37, v76
	v_fmac_f32_e32 v77, v89, v38
	v_fma_f32 v74, v89, v39, v74
	v_add_u32_e32 v37, 32, v36
	v_add_u32_e32 v38, 33, v36
	v_add_u32_e32 v39, 34, v36
	v_cvt_f32_i32_e32 v40, v40
	v_cvt_f32_i32_e32 v37, v37
	;; [unrolled: 1-line block ×4, first 2 shown]
	v_fmac_f32_e32 v75, v89, v40
	v_add_u32_e32 v40, 35, v36
	v_fma_f32 v72, v89, v37, v72
	v_fmac_f32_e32 v73, v89, v38
	v_fma_f32 v70, v89, v39, v70
	v_add_u32_e32 v37, 48, v36
	v_add_u32_e32 v38, 49, v36
	v_add_u32_e32 v39, 50, v36
	v_add_u32_e32 v36, 51, v36
	v_cvt_f32_i32_e32 v36, v36
	v_cvt_f32_i32_e32 v37, v37
	;; [unrolled: 1-line block ×3, first 2 shown]
	v_cmp_gt_i32_e64 s[28:29], s27, v34
	v_fmac_f32_e32 v67, v89, v36
	v_mov_b32_e32 v36, 0xff7fffff
	v_cmp_gt_i32_e64 s[30:31], s27, v35
	v_fma_f32 v68, v89, v37, v68
	v_cndmask_b32_e64 v37, v36, v60, s[28:29]
	v_cndmask_b32_e64 v35, v36, v61, s[30:31]
	v_fmac_f32_e32 v69, v89, v38
	v_max3_f32 v35, v37, s33, v35
	v_or_b32_e32 v37, 2, v34
	v_or_b32_e32 v38, 3, v34
	v_cmp_gt_i32_e64 s[34:35], s27, v37
	v_cmp_gt_i32_e64 s[36:37], s27, v38
	v_cvt_f32_i32_e32 v40, v40
	v_cndmask_b32_e64 v37, v36, v78, s[34:35]
	v_cndmask_b32_e64 v38, v36, v79, s[36:37]
	v_max3_f32 v35, v35, v37, v38
	v_or_b32_e32 v37, 16, v34
	v_or_b32_e32 v38, 17, v34
	v_cmp_gt_i32_e64 s[22:23], s27, v37
	v_cmp_gt_i32_e64 s[24:25], s27, v38
	v_fmac_f32_e32 v71, v89, v40
	v_cndmask_b32_e64 v37, v36, v76, s[22:23]
	v_cndmask_b32_e64 v38, v36, v77, s[24:25]
	v_max3_f32 v35, v35, v37, v38
	v_or_b32_e32 v37, 18, v34
	v_or_b32_e32 v38, 19, v34
	v_cmp_gt_i32_e64 s[18:19], s27, v37
	v_cmp_gt_i32_e64 s[20:21], s27, v38
	v_cvt_f32_i32_e32 v39, v39
	v_cndmask_b32_e64 v37, v36, v74, s[18:19]
	v_cndmask_b32_e64 v38, v36, v75, s[20:21]
	v_max3_f32 v35, v35, v37, v38
	v_or_b32_e32 v37, 32, v34
	v_or_b32_e32 v38, 33, v34
	v_cmp_gt_i32_e64 s[14:15], s27, v37
	v_cmp_gt_i32_e64 s[16:17], s27, v38
	v_fma_f32 v66, v89, v39, v66
	v_cndmask_b32_e64 v37, v36, v72, s[14:15]
	v_cndmask_b32_e64 v38, v36, v73, s[16:17]
	v_max3_f32 v35, v35, v37, v38
	v_or_b32_e32 v37, 34, v34
	v_or_b32_e32 v38, 35, v34
	v_cmp_gt_i32_e64 s[10:11], s27, v37
	v_cmp_gt_i32_e64 s[12:13], s27, v38
	s_nop 0
	v_cndmask_b32_e64 v37, v36, v70, s[10:11]
	v_cndmask_b32_e64 v38, v36, v71, s[12:13]
	v_max3_f32 v35, v35, v37, v38
	v_or_b32_e32 v37, 48, v34
	v_or_b32_e32 v38, 49, v34
	v_cmp_gt_i32_e64 s[6:7], s27, v37
	v_cmp_gt_i32_e64 s[8:9], s27, v38
	s_nop 0
	v_cndmask_b32_e64 v37, v36, v68, s[6:7]
	v_cndmask_b32_e64 v38, v36, v69, s[8:9]
	v_max3_f32 v35, v35, v37, v38
	v_or_b32_e32 v37, 50, v34
	v_or_b32_e32 v34, 51, v34
	v_cmp_gt_i32_e32 vcc, s27, v37
	v_cmp_gt_i32_e64 s[4:5], s27, v34
	global_load_dwordx4 v[46:49], v[42:43], off
	global_load_dwordx4 v[38:41], v[42:43], off offset:16
	v_cndmask_b32_e32 v37, v36, v66, vcc
	v_cndmask_b32_e64 v34, v36, v67, s[4:5]
	v_max3_f32 v50, v35, v37, v34
	v_mbcnt_lo_u32_b32 v34, -1, 0
	v_mbcnt_hi_u32_b32 v51, -1, v34
	v_and_b32_e32 v34, 64, v51
	v_add_u32_e32 v52, 64, v34
	v_xor_b32_e32 v34, 32, v51
	v_cmp_lt_i32_e64 s[38:39], v34, v52
	s_nop 1
	v_cndmask_b32_e64 v34, v51, v34, s[38:39]
	v_lshlrev_b32_e32 v87, 2, v34
	ds_bpermute_b32 v53, v87, v50
	v_lshl_add_u64 v[34:35], v[80:81], 0, v[54:55]
	global_load_dwordx4 v[42:45], v[34:35], off
	s_nop 0
	global_load_dwordx4 v[34:37], v[34:35], off offset:16
	s_waitcnt lgkmcnt(0)
	v_max_f32_e32 v53, v53, v53
	v_max_f32_e32 v62, v50, v53
	v_xor_b32_e32 v50, 16, v51
	v_cmp_lt_i32_e64 s[38:39], v50, v52
	s_nop 1
	v_cndmask_b32_e64 v50, v51, v50, s[38:39]
	v_lshlrev_b32_e32 v89, 2, v50
	ds_bpermute_b32 v63, v89, v62
	v_lshl_add_u64 v[50:51], v[80:81], 0, v[56:57]
	global_load_dwordx4 v[54:57], v[50:51], off
	s_nop 0
	global_load_dwordx4 v[50:53], v[50:51], off offset:16
	s_waitcnt lgkmcnt(0)
	v_max_f32_e32 v63, v63, v63
	v_max_f32_e32 v86, v62, v63
	v_sub_f32_e32 v60, v60, v86
	v_mul_f32_e32 v60, 0x3fb8aa3b, v60
	v_exp_f32_e32 v80, v60
	v_sub_f32_e32 v60, v61, v86
	v_mul_f32_e32 v60, 0x3fb8aa3b, v60
	v_exp_f32_e32 v81, v60
	global_load_dwordx4 v[62:65], v[58:59], off
	s_nop 0
	global_load_dwordx4 v[58:61], v[58:59], off offset:16
	v_sub_f32_e32 v78, v78, v86
	v_mul_f32_e32 v78, 0x3fb8aa3b, v78
	v_sub_f32_e32 v79, v79, v86
	v_exp_f32_e32 v78, v78
	v_mul_f32_e32 v79, 0x3fb8aa3b, v79
	v_sub_f32_e32 v76, v76, v86
	v_exp_f32_e32 v79, v79
	v_mul_f32_e32 v76, 0x3fb8aa3b, v76
	v_sub_f32_e32 v77, v77, v86
	v_cndmask_b32_e64 v80, 0, v80, s[28:29]
	v_exp_f32_e32 v76, v76
	v_mul_f32_e32 v77, 0x3fb8aa3b, v77
	v_sub_f32_e32 v74, v74, v86
	v_add_f32_e32 v91, 0, v80
	v_cndmask_b32_e64 v81, 0, v81, s[30:31]
	v_exp_f32_e32 v77, v77
	v_mul_f32_e32 v74, 0x3fb8aa3b, v74
	v_sub_f32_e32 v75, v75, v86
	v_add_f32_e32 v91, v91, v81
	;; [unrolled: 5-line block ×10, first 2 shown]
	v_cndmask_b32_e64 v70, 0, v70, s[10:11]
	v_exp_f32_e32 v66, v66
	v_mul_f32_e32 v67, 0x3fb8aa3b, v67
	v_add_f32_e32 v91, v91, v70
	v_cndmask_b32_e64 v71, 0, v71, s[12:13]
	v_exp_f32_e32 v67, v67
	v_add_f32_e32 v91, v91, v71
	v_cndmask_b32_e64 v68, 0, v68, s[6:7]
	v_add_f32_e32 v91, v91, v68
	v_cndmask_b32_e64 v69, 0, v69, s[8:9]
	v_add_f32_e32 v91, v91, v69
	v_cndmask_b32_e32 v66, 0, v66, vcc
	v_add_f32_e32 v91, v91, v66
	v_cndmask_b32_e64 v67, 0, v67, s[4:5]
	v_add_f32_e32 v91, v91, v67
	ds_bpermute_b32 v87, v87, v91
	s_load_dword s7, s[0:1], 0x98
	v_cmp_gt_u32_e32 vcc, 16, v85
	s_waitcnt lgkmcnt(0)
	s_barrier
	v_add_f32_e32 v87, v91, v87
	ds_bpermute_b32 v89, v89, v87
	s_waitcnt lgkmcnt(0)
	s_and_saveexec_b64 s[4:5], vcc
	s_cbranch_execz .LBB358_17
; %bb.16:
	v_add_f32_e32 v85, v87, v89
	v_lshlrev_b32_e32 v87, 2, v90
	ds_write2st64_b32 v87, v86, v85 offset1:1
.LBB358_17:
	s_or_b64 exec, exec, s[4:5]
	v_lshlrev_b32_e32 v85, 2, v84
	s_load_dword s6, s[0:1], 0x94
	s_waitcnt lgkmcnt(0)
	s_barrier
	ds_read2_b32 v[90:91], v85 offset1:16
	ds_read2_b32 v[92:93], v85 offset0:32 offset1:48
	ds_read2_b32 v[94:95], v85 offset0:64 offset1:80
	s_mul_i32 s7, s7, 15
	s_waitcnt lgkmcnt(2)
	v_max3_f32 v86, v90, s33, v91
	s_waitcnt lgkmcnt(1)
	v_max3_f32 v86, v86, v92, v93
	v_sub_f32_e32 v87, v90, v86
	v_mul_f32_e32 v87, 0x3fb8aa3b, v87
	v_exp_f32_e32 v89, v87
	v_sub_f32_e32 v87, v91, v86
	v_mul_f32_e32 v87, 0x3fb8aa3b, v87
	v_exp_f32_e32 v88, v87
	v_sub_f32_e32 v87, v92, v86
	v_mul_f32_e32 v87, 0x3fb8aa3b, v87
	ds_read2_b32 v[90:91], v85 offset0:96 offset1:112
	v_sub_f32_e32 v85, v93, v86
	v_exp_f32_e32 v92, v87
	v_mul_f32_e32 v85, 0x3fb8aa3b, v85
	v_exp_f32_e32 v85, v85
	s_waitcnt lgkmcnt(1)
	v_fma_f32 v87, v89, v94, 0
	v_fmac_f32_e32 v87, v88, v95
	s_waitcnt lgkmcnt(0)
	v_fmac_f32_e32 v87, v92, v90
	v_fmac_f32_e32 v87, v85, v91
	v_add_f32_e32 v90, 0x358637bd, v87
	v_div_scale_f32 v91, s[4:5], v90, v90, 1.0
	v_rcp_f32_e32 v93, v91
	s_barrier
	v_fma_f32 v94, -v91, v93, 1.0
	v_fmac_f32_e32 v93, v94, v93
	v_div_scale_f32 v94, vcc, 1.0, v90, 1.0
	v_mul_f32_e32 v95, v94, v93
	v_fma_f32 v1, -v91, v95, v94
	v_fmac_f32_e32 v95, v1, v93
	v_fma_f32 v1, -v91, v95, v94
	v_lshrrev_b32_e32 v91, 6, v0
	v_div_fmas_f32 v1, v1, v93, v95
	v_cmp_eq_u32_e32 vcc, 1, v91
	v_div_fixup_f32 v1, v1, v90, 1.0
	s_nop 0
	v_cndmask_b32_e32 v88, v89, v88, vcc
	v_cmp_eq_u32_e32 vcc, 2, v91
	s_nop 1
	v_cndmask_b32_e32 v88, v88, v92, vcc
	v_cmp_eq_u32_e32 vcc, 3, v91
	s_nop 1
	v_cndmask_b32_e32 v85, v88, v85, vcc
	v_mul_f32_e32 v90, v85, v1
	v_pk_mul_f32 v[78:79], v[90:91], v[78:79] op_sel_hi:[0,1]
	v_cvt_f16_f32_e32 v78, v78
	v_cvt_f16_f32_e32 v79, v79
	v_pk_mul_f32 v[80:81], v[90:91], v[80:81] op_sel_hi:[0,1]
	v_cvt_f16_f32_e32 v1, v80
	v_cvt_f16_f32_e32 v80, v81
	v_pk_mul_f32 v[74:75], v[90:91], v[74:75] op_sel_hi:[0,1]
	v_pk_mul_f32 v[76:77], v[90:91], v[76:77] op_sel_hi:[0,1]
	v_pack_b32_f16 v81, v78, v79
	v_cvt_f16_f32_e32 v76, v76
	v_cvt_f16_f32_e32 v77, v77
	;; [unrolled: 1-line block ×4, first 2 shown]
	v_bfe_u32 v88, v0, 4, 2
	v_pack_b32_f16 v80, v1, v80
	v_lshlrev_b32_e32 v1, 3, v88
	v_lshlrev_b32_e32 v78, 5, v84
	;; [unrolled: 1-line block ×3, first 2 shown]
	v_or3_b32 v1, v74, v78, v1
	v_pack_b32_f16 v74, v76, v77
	v_pack_b32_f16 v75, v79, v75
	v_pk_mul_f32 v[70:71], v[90:91], v[70:71] op_sel_hi:[0,1]
	v_pk_mul_f32 v[72:73], v[90:91], v[72:73] op_sel_hi:[0,1]
	;; [unrolled: 1-line block ×4, first 2 shown]
	ds_write2st64_b64 v1, v[80:81], v[74:75] offset1:1
	v_cvt_f16_f32_e32 v72, v72
	v_cvt_f16_f32_e32 v73, v73
	;; [unrolled: 1-line block ×8, first 2 shown]
	v_pack_b32_f16 v66, v72, v73
	v_pack_b32_f16 v67, v70, v71
	;; [unrolled: 1-line block ×4, first 2 shown]
	v_cmp_gt_u32_e32 vcc, 15, v0
	ds_write2st64_b64 v1, v[66:67], v[68:69] offset0:2 offset1:3
	s_and_saveexec_b64 s[4:5], vcc
	s_cbranch_execz .LBB358_19
; %bb.18:
	s_mov_b32 s41, 0
	v_mov_b32_e32 v85, 0
	v_lshl_add_u64 v[66:67], s[40:41], 0, v[84:85]
	v_mov_b32_e32 v68, s7
	v_mad_u64_u32 v[66:67], s[12:13], s2, v68, v[66:67]
	s_mul_i32 s3, s3, s7
	v_mov_b32_e32 v68, s26
	v_mov_b32_e32 v69, v85
	s_load_dwordx4 s[8:11], s[0:1], 0x58
	v_add_u32_e32 v70, s3, v67
	v_mad_u64_u32 v[66:67], s[12:13], v66, s6, v[68:69]
	v_mov_b32_e32 v68, v67
	v_mad_u64_u32 v[68:69], s[12:13], v70, s6, v[68:69]
	v_mov_b32_e32 v67, v68
	v_lshlrev_b64 v[66:67], 2, v[66:67]
	s_waitcnt lgkmcnt(0)
	v_lshl_add_u64 v[68:69], s[10:11], 0, v[66:67]
	v_lshl_add_u64 v[66:67], s[8:9], 0, v[66:67]
	global_store_dword v[68:69], v86, off
	global_store_dword v[66:67], v87, off
.LBB358_19:
	s_or_b64 exec, exec, s[4:5]
	v_lshl_or_b32 v78, v88, 9, v78
	s_waitcnt lgkmcnt(0)
	s_barrier
	ds_read_b128 v[70:73], v78
	ds_read_b128 v[66:69], v78 offset:16
	s_waitcnt vmcnt(15) lgkmcnt(1)
	v_mfma_f32_16x16x16_f16 v[74:77], v[30:31], v[70:71], 0
	s_mov_b32 s3, 0
	v_cmp_gt_u32_e32 vcc, 64, v0
	v_mfma_f32_16x16x16_f16 v[30:33], v[32:33], v[72:73], v[74:77]
	s_waitcnt vmcnt(14) lgkmcnt(0)
	v_mfma_f32_16x16x16_f16 v[30:33], v[26:27], v[66:67], v[30:33]
	v_mfma_f32_16x16x16_f16 v[26:29], v[28:29], v[68:69], v[30:33]
	s_nop 5
	ds_read_b128 v[30:33], v78 offset:2048
	ds_read_b128 v[74:77], v78 offset:2064
	s_waitcnt vmcnt(13) lgkmcnt(1)
	v_mfma_f32_16x16x16_f16 v[26:29], v[22:23], v[30:31], v[26:29]
	v_mfma_f32_16x16x16_f16 v[22:25], v[24:25], v[32:33], v[26:29]
	s_waitcnt vmcnt(12) lgkmcnt(0)
	v_mfma_f32_16x16x16_f16 v[22:25], v[18:19], v[74:75], v[22:25]
	v_mfma_f32_16x16x16_f16 v[18:21], v[20:21], v[76:77], v[22:25]
	s_nop 5
	ds_read_b128 v[22:25], v78 offset:4096
	ds_read_b128 v[26:29], v78 offset:4112
	s_waitcnt vmcnt(11) lgkmcnt(1)
	v_mfma_f32_16x16x16_f16 v[18:21], v[14:15], v[22:23], v[18:21]
	v_mfma_f32_16x16x16_f16 v[14:17], v[16:17], v[24:25], v[18:21]
	s_waitcnt vmcnt(10) lgkmcnt(0)
	v_mfma_f32_16x16x16_f16 v[14:17], v[10:11], v[26:27], v[14:17]
	v_mfma_f32_16x16x16_f16 v[10:13], v[12:13], v[28:29], v[14:17]
	s_nop 5
	ds_read_b128 v[14:17], v78 offset:6144
	ds_read_b128 v[18:21], v78 offset:6160
	s_waitcnt lgkmcnt(0)
	s_barrier
	s_waitcnt vmcnt(9)
	v_mfma_f32_16x16x16_f16 v[10:13], v[6:7], v[14:15], v[10:13]
	v_mfma_f32_16x16x16_f16 v[6:9], v[8:9], v[16:17], v[10:13]
	s_waitcnt vmcnt(8)
	v_mfma_f32_16x16x16_f16 v[6:9], v[2:3], v[18:19], v[6:9]
	v_mfma_f32_16x16x16_f16 v[2:5], v[4:5], v[20:21], v[6:9]
	;; [unrolled: 3-line block ×3, first 2 shown]
	s_nop 3
	v_cvt_f16_f32_e32 v10, v2
	v_cvt_f16_f32_e32 v11, v3
	;; [unrolled: 1-line block ×3, first 2 shown]
	s_waitcnt vmcnt(6)
	v_mfma_f32_16x16x16_f16 v[6:9], v[38:39], v[66:67], v[6:9]
	v_cvt_f16_f32_e32 v13, v5
	v_mfma_f32_16x16x16_f16 v[6:9], v[40:41], v[68:69], v[6:9]
	s_waitcnt vmcnt(5)
	v_mfma_f32_16x16x16_f16 v[6:9], v[42:43], v[30:31], v[6:9]
	v_mfma_f32_16x16x16_f16 v[6:9], v[44:45], v[32:33], v[6:9]
	s_waitcnt vmcnt(4)
	v_mfma_f32_16x16x16_f16 v[6:9], v[34:35], v[74:75], v[6:9]
	;; [unrolled: 3-line block ×6, first 2 shown]
	v_mfma_f32_16x16x16_f16 v[2:5], v[60:61], v[20:21], v[6:9]
	s_nop 6
	v_cvt_f16_f32_e32 v6, v2
	v_cvt_f16_f32_e32 v7, v3
	;; [unrolled: 1-line block ×4, first 2 shown]
	v_pack_b32_f16 v2, v10, v11
	v_pack_b32_f16 v3, v12, v13
	;; [unrolled: 1-line block ×4, first 2 shown]
	ds_write2st64_b64 v1, v[2:3], v[4:5] offset1:1
	s_waitcnt lgkmcnt(0)
	s_barrier
	s_and_saveexec_b64 s[4:5], vcc
	s_cbranch_execz .LBB358_22
; %bb.20:
	s_load_dwordx2 s[4:5], s[0:1], 0x68
	s_lshl_b32 s0, s6, 7
	s_mul_i32 s1, s7, s2
	v_lshlrev_b32_e32 v3, 6, v84
	s_mul_hi_u32 s7, s1, s0
	s_mul_i32 s6, s1, s0
	v_lshlrev_b32_e32 v2, 4, v0
	v_lshl_or_b32 v0, v0, 10, v3
	s_lshl_b64 s[6:7], s[6:7], 1
	v_lshlrev_b32_e32 v1, 5, v88
	v_and_b32_e32 v2, 16, v2
	v_and_b32_e32 v0, 0x1a00, v0
	s_waitcnt lgkmcnt(0)
	s_add_u32 s1, s4, s6
	v_or3_b32 v2, v0, v1, v2
	s_addc_u32 s4, s5, s7
	s_lshl_b32 s2, s26, 7
	ds_read_b128 v[4:7], v2 offset:256
	s_lshl_b64 s[2:3], s[2:3], 1
	ds_read_b128 v[8:11], v2 offset:128
	ds_read_b128 v[12:15], v2
	s_add_u32 s2, s1, s2
	s_addc_u32 s3, s4, s3
	v_add_u32_e32 v3, s40, v88
	v_lshl_add_u64 v[0:1], v[82:83], 1, s[2:3]
	v_mad_u64_u32 v[16:17], s[2:3], v3, s0, 0
	v_lshl_add_u64 v[16:17], v[16:17], 1, v[0:1]
	s_waitcnt lgkmcnt(0)
	global_store_dwordx4 v[16:17], v[12:15], off
	v_cmp_ne_u32_e32 vcc, 3, v88
	s_nop 0
	v_add_u32_e32 v12, 4, v3
	v_mad_u64_u32 v[12:13], s[2:3], v12, s0, 0
	v_lshl_add_u64 v[12:13], v[12:13], 1, v[0:1]
	v_add_u32_e32 v3, 8, v3
	global_store_dwordx4 v[12:13], v[8:11], off
	s_nop 1
	v_mad_u64_u32 v[8:9], s[2:3], v3, s0, 0
	v_lshl_add_u64 v[8:9], v[8:9], 1, v[0:1]
	global_store_dwordx4 v[8:9], v[4:7], off
	s_and_b64 exec, exec, vcc
	s_cbranch_execz .LBB358_22
; %bb.21:
	ds_read_b128 v[2:5], v2 offset:384
	v_add3_u32 v6, s40, v88, 12
	v_mad_u64_u32 v[6:7], s[0:1], v6, s0, 0
	v_lshl_add_u64 v[0:1], v[6:7], 1, v[0:1]
	s_waitcnt lgkmcnt(0)
	global_store_dwordx4 v[0:1], v[2:5], off
.LBB358_22:
	s_endpgm
	.section	.rodata,"a",@progbits
	.p2align	6, 0x0
	.amdhsa_kernel _Z39paged_attention_ll4mi_QKV_mfma16_kernelIDF16_DF16_LN4vllm18Fp8KVCacheDataTypeE0EDF16_Li32ELi128ELi256ELb1ELi15EEvPKT_PKT0_S7_ifPKiS9_S9_iPKfiiiPfSC_PS2_PT2_iSB_SB_
		.amdhsa_group_segment_fixed_size 8192
		.amdhsa_private_segment_fixed_size 0
		.amdhsa_kernarg_size 400
		.amdhsa_user_sgpr_count 2
		.amdhsa_user_sgpr_dispatch_ptr 0
		.amdhsa_user_sgpr_queue_ptr 0
		.amdhsa_user_sgpr_kernarg_segment_ptr 1
		.amdhsa_user_sgpr_dispatch_id 0
		.amdhsa_user_sgpr_kernarg_preload_length 0
		.amdhsa_user_sgpr_kernarg_preload_offset 0
		.amdhsa_user_sgpr_private_segment_size 0
		.amdhsa_uses_dynamic_stack 0
		.amdhsa_enable_private_segment 0
		.amdhsa_system_sgpr_workgroup_id_x 1
		.amdhsa_system_sgpr_workgroup_id_y 1
		.amdhsa_system_sgpr_workgroup_id_z 1
		.amdhsa_system_sgpr_workgroup_info 0
		.amdhsa_system_vgpr_workitem_id 0
		.amdhsa_next_free_vgpr 96
		.amdhsa_next_free_sgpr 42
		.amdhsa_accum_offset 96
		.amdhsa_reserve_vcc 1
		.amdhsa_float_round_mode_32 0
		.amdhsa_float_round_mode_16_64 0
		.amdhsa_float_denorm_mode_32 3
		.amdhsa_float_denorm_mode_16_64 3
		.amdhsa_dx10_clamp 1
		.amdhsa_ieee_mode 1
		.amdhsa_fp16_overflow 0
		.amdhsa_tg_split 0
		.amdhsa_exception_fp_ieee_invalid_op 0
		.amdhsa_exception_fp_denorm_src 0
		.amdhsa_exception_fp_ieee_div_zero 0
		.amdhsa_exception_fp_ieee_overflow 0
		.amdhsa_exception_fp_ieee_underflow 0
		.amdhsa_exception_fp_ieee_inexact 0
		.amdhsa_exception_int_div_zero 0
	.end_amdhsa_kernel
	.section	.text._Z39paged_attention_ll4mi_QKV_mfma16_kernelIDF16_DF16_LN4vllm18Fp8KVCacheDataTypeE0EDF16_Li32ELi128ELi256ELb1ELi15EEvPKT_PKT0_S7_ifPKiS9_S9_iPKfiiiPfSC_PS2_PT2_iSB_SB_,"axG",@progbits,_Z39paged_attention_ll4mi_QKV_mfma16_kernelIDF16_DF16_LN4vllm18Fp8KVCacheDataTypeE0EDF16_Li32ELi128ELi256ELb1ELi15EEvPKT_PKT0_S7_ifPKiS9_S9_iPKfiiiPfSC_PS2_PT2_iSB_SB_,comdat
.Lfunc_end358:
	.size	_Z39paged_attention_ll4mi_QKV_mfma16_kernelIDF16_DF16_LN4vllm18Fp8KVCacheDataTypeE0EDF16_Li32ELi128ELi256ELb1ELi15EEvPKT_PKT0_S7_ifPKiS9_S9_iPKfiiiPfSC_PS2_PT2_iSB_SB_, .Lfunc_end358-_Z39paged_attention_ll4mi_QKV_mfma16_kernelIDF16_DF16_LN4vllm18Fp8KVCacheDataTypeE0EDF16_Li32ELi128ELi256ELb1ELi15EEvPKT_PKT0_S7_ifPKiS9_S9_iPKfiiiPfSC_PS2_PT2_iSB_SB_
                                        ; -- End function
	.section	.AMDGPU.csdata,"",@progbits
; Kernel info:
; codeLenInByte = 4924
; NumSgprs: 48
; NumVgprs: 96
; NumAgprs: 0
; TotalNumVgprs: 96
; ScratchSize: 0
; MemoryBound: 0
; FloatMode: 240
; IeeeMode: 1
; LDSByteSize: 8192 bytes/workgroup (compile time only)
; SGPRBlocks: 5
; VGPRBlocks: 11
; NumSGPRsForWavesPerEU: 48
; NumVGPRsForWavesPerEU: 96
; AccumOffset: 96
; Occupancy: 5
; WaveLimiterHint : 1
; COMPUTE_PGM_RSRC2:SCRATCH_EN: 0
; COMPUTE_PGM_RSRC2:USER_SGPR: 2
; COMPUTE_PGM_RSRC2:TRAP_HANDLER: 0
; COMPUTE_PGM_RSRC2:TGID_X_EN: 1
; COMPUTE_PGM_RSRC2:TGID_Y_EN: 1
; COMPUTE_PGM_RSRC2:TGID_Z_EN: 1
; COMPUTE_PGM_RSRC2:TIDIG_COMP_CNT: 0
; COMPUTE_PGM_RSRC3_GFX90A:ACCUM_OFFSET: 23
; COMPUTE_PGM_RSRC3_GFX90A:TG_SPLIT: 0
	.section	.text._Z39paged_attention_ll4mi_QKV_mfma16_kernelIDF16_DF16_LN4vllm18Fp8KVCacheDataTypeE0EDF16_Li32ELi128ELi256ELb1ELi16EEvPKT_PKT0_S7_ifPKiS9_S9_iPKfiiiPfSC_PS2_PT2_iSB_SB_,"axG",@progbits,_Z39paged_attention_ll4mi_QKV_mfma16_kernelIDF16_DF16_LN4vllm18Fp8KVCacheDataTypeE0EDF16_Li32ELi128ELi256ELb1ELi16EEvPKT_PKT0_S7_ifPKiS9_S9_iPKfiiiPfSC_PS2_PT2_iSB_SB_,comdat
	.protected	_Z39paged_attention_ll4mi_QKV_mfma16_kernelIDF16_DF16_LN4vllm18Fp8KVCacheDataTypeE0EDF16_Li32ELi128ELi256ELb1ELi16EEvPKT_PKT0_S7_ifPKiS9_S9_iPKfiiiPfSC_PS2_PT2_iSB_SB_ ; -- Begin function _Z39paged_attention_ll4mi_QKV_mfma16_kernelIDF16_DF16_LN4vllm18Fp8KVCacheDataTypeE0EDF16_Li32ELi128ELi256ELb1ELi16EEvPKT_PKT0_S7_ifPKiS9_S9_iPKfiiiPfSC_PS2_PT2_iSB_SB_
	.globl	_Z39paged_attention_ll4mi_QKV_mfma16_kernelIDF16_DF16_LN4vllm18Fp8KVCacheDataTypeE0EDF16_Li32ELi128ELi256ELb1ELi16EEvPKT_PKT0_S7_ifPKiS9_S9_iPKfiiiPfSC_PS2_PT2_iSB_SB_
	.p2align	8
	.type	_Z39paged_attention_ll4mi_QKV_mfma16_kernelIDF16_DF16_LN4vllm18Fp8KVCacheDataTypeE0EDF16_Li32ELi128ELi256ELb1ELi16EEvPKT_PKT0_S7_ifPKiS9_S9_iPKfiiiPfSC_PS2_PT2_iSB_SB_,@function
_Z39paged_attention_ll4mi_QKV_mfma16_kernelIDF16_DF16_LN4vllm18Fp8KVCacheDataTypeE0EDF16_Li32ELi128ELi256ELb1ELi16EEvPKT_PKT0_S7_ifPKiS9_S9_iPKfiiiPfSC_PS2_PT2_iSB_SB_: ; @_Z39paged_attention_ll4mi_QKV_mfma16_kernelIDF16_DF16_LN4vllm18Fp8KVCacheDataTypeE0EDF16_Li32ELi128ELi256ELb1ELi16EEvPKT_PKT0_S7_ifPKiS9_S9_iPKfiiiPfSC_PS2_PT2_iSB_SB_
; %bb.0:
	s_load_dwordx2 s[8:9], s[0:1], 0x30
	s_mov_b32 s26, s3
	s_mov_b64 s[6:7], 0
	s_waitcnt lgkmcnt(0)
	s_cmp_lg_u64 s[8:9], 0
	s_cselect_b64 s[10:11], -1, 0
	s_and_b64 vcc, exec, s[10:11]
	s_cbranch_vccz .LBB359_7
; %bb.1:
	s_add_i32 s12, s2, 1
	s_mov_b32 s13, 0
	s_lshl_b64 s[14:15], s[12:13], 2
	s_add_u32 s14, s8, s14
	s_mov_b32 s3, s13
	s_addc_u32 s15, s9, s15
	s_lshl_b64 s[12:13], s[2:3], 2
	s_add_u32 s12, s8, s12
	s_addc_u32 s13, s9, s13
	s_load_dword s5, s[14:15], 0x0
	s_load_dword s16, s[12:13], 0x0
	s_waitcnt lgkmcnt(0)
	s_sub_i32 s5, s5, s16
	s_cmp_eq_u32 s5, 1
	s_cselect_b64 s[12:13], -1, 0
	s_andn2_b64 vcc, exec, s[6:7]
	s_cbranch_vccnz .LBB359_3
.LBB359_2:
	s_mov_b32 s3, 0
	s_mov_b64 s[12:13], -1
.LBB359_3:
	s_andn2_b64 vcc, exec, s[12:13]
	s_cbranch_vccnz .LBB359_19
; %bb.4:
	s_load_dwordx2 s[6:7], s[0:1], 0x28
	s_lshl_b64 s[12:13], s[2:3], 2
	s_waitcnt lgkmcnt(0)
	s_add_u32 s6, s6, s12
	s_addc_u32 s7, s7, s13
	s_load_dword s38, s[6:7], 0x0
	s_lshl_b32 s20, s26, 8
	s_waitcnt lgkmcnt(0)
	s_cmp_ge_i32 s20, s38
	s_cbranch_scc1 .LBB359_19
; %bb.5:
	s_load_dwordx2 s[6:7], s[0:1], 0x20
	s_load_dword s5, s[0:1], 0x38
	s_add_i32 s14, s38, 31
	s_ashr_i32 s15, s14, 31
	v_and_b32_e32 v1, 0xcf, v0
	s_lshr_b32 s15, s15, 27
	v_add_u32_e32 v1, s20, v1
	s_add_i32 s14, s14, s15
	v_ashrrev_i32_e32 v2, 31, v1
	s_ashr_i32 s21, s14, 5
	v_lshrrev_b32_e32 v10, 27, v2
	s_add_i32 s21, s21, -1
	s_waitcnt lgkmcnt(0)
	s_mul_i32 s14, s2, s5
	s_mov_b32 s15, 0
	v_add_u32_e32 v2, v1, v10
	s_lshl_b64 s[14:15], s[14:15], 2
	v_ashrrev_i32_e32 v2, 5, v2
	v_mov_b32_e32 v11, s21
	v_cmp_gt_i32_e32 vcc, s38, v1
	s_add_u32 s6, s6, s14
	s_addc_u32 s7, s7, s15
	v_cndmask_b32_e32 v2, v11, v2, vcc
	v_ashrrev_i32_e32 v3, 31, v2
	v_lshl_add_u64 v[4:5], v[2:3], 2, s[6:7]
	v_or_b32_e32 v2, 16, v1
	v_add_u32_e32 v3, v2, v10
	v_ashrrev_i32_e32 v3, 5, v3
	v_cmp_gt_i32_e32 vcc, s38, v2
	s_nop 1
	v_cndmask_b32_e32 v2, v11, v3, vcc
	v_ashrrev_i32_e32 v3, 31, v2
	v_lshl_add_u64 v[6:7], v[2:3], 2, s[6:7]
	v_or_b32_e32 v2, 32, v1
	v_add_u32_e32 v3, v2, v10
	v_ashrrev_i32_e32 v3, 5, v3
	v_cmp_gt_i32_e32 vcc, s38, v2
	v_or_b32_e32 v1, 48, v1
	s_nop 0
	v_cndmask_b32_e32 v2, v11, v3, vcc
	v_ashrrev_i32_e32 v3, 31, v2
	v_lshl_add_u64 v[8:9], v[2:3], 2, s[6:7]
	v_add_u32_e32 v2, v1, v10
	v_ashrrev_i32_e32 v2, 5, v2
	v_cmp_gt_i32_e32 vcc, s38, v1
	s_nop 1
	v_cndmask_b32_e32 v2, v11, v2, vcc
	v_ashrrev_i32_e32 v3, 31, v2
	v_lshl_add_u64 v[10:11], v[2:3], 2, s[6:7]
	global_load_dword v3, v[4:5], off
	global_load_dword v2, v[6:7], off
	;; [unrolled: 1-line block ×4, first 2 shown]
	s_andn2_b64 vcc, exec, s[10:11]
	s_cbranch_vccnz .LBB359_8
; %bb.6:
	s_add_u32 s8, s8, s12
	s_addc_u32 s9, s9, s13
	s_load_dword s5, s[8:9], 0x0
	s_branch .LBB359_9
.LBB359_7:
	s_mov_b64 s[12:13], 0
	s_branch .LBB359_2
.LBB359_8:
	s_mov_b32 s5, s2
.LBB359_9:
	s_load_dwordx2 s[16:17], s[0:1], 0x40
	s_load_dwordx4 s[12:15], s[0:1], 0x8
	s_load_dwordx4 s[8:11], s[0:1], 0x48
	v_and_b32_e32 v1, 15, v0
	s_waitcnt lgkmcnt(0)
	s_movk_i32 s11, 0xff
	v_lshlrev_b32_e32 v12, 3, v1
	v_cmp_lt_u32_e32 vcc, s11, v0
	s_and_saveexec_b64 s[18:19], vcc
	s_xor_b64 s[18:19], exec, s[18:19]
; %bb.10:
	v_mov_b32_e32 v13, 0
; %bb.11:
	s_or_saveexec_b64 s[18:19], s[18:19]
	v_lshrrev_b32_e32 v74, 6, v0
	v_and_b32_e32 v75, 63, v0
	s_lshl_b32 s27, s4, 4
	v_bfe_u32 v95, v0, 4, 2
	s_xor_b64 exec, exec, s[18:19]
	s_cbranch_execz .LBB359_13
; %bb.12:
	s_load_dwordx2 s[22:23], s[0:1], 0x0
	s_ashr_i32 s11, s8, 31
	s_mul_hi_u32 s24, s5, s8
	s_mul_i32 s11, s5, s11
	s_add_i32 s25, s24, s11
	s_mul_i32 s24, s5, s8
	v_lshl_or_b32 v8, v74, 2, v95
	s_lshl_b64 s[24:25], s[24:25], 1
	s_waitcnt lgkmcnt(0)
	s_add_u32 s22, s22, s24
	v_add_lshl_u32 v4, v8, s27, 7
	s_addc_u32 s23, s23, s25
	v_ashrrev_i32_e32 v5, 31, v4
	v_mov_b32_e32 v13, 0
	v_lshl_add_u64 v[4:5], v[4:5], 1, s[22:23]
	v_lshlrev_b32_e32 v6, 1, v12
	v_mov_b32_e32 v7, v13
	v_lshl_add_u64 v[4:5], v[4:5], 0, v[6:7]
	global_load_dwordx4 v[4:7], v[4:5], off
	v_and_b32_e32 v9, 3, v0
	v_lshlrev_b32_e32 v10, 9, v1
	v_lshlrev_b32_e32 v8, 5, v8
	;; [unrolled: 1-line block ×3, first 2 shown]
	v_and_b32_e32 v10, 0x1800, v10
	v_or3_b32 v8, v10, v9, v8
	s_waitcnt vmcnt(0)
	ds_write_b128 v8, v[4:7]
.LBB359_13:
	s_or_b64 exec, exec, s[18:19]
	s_mul_i32 s4, s4, s10
	s_mov_b32 s5, 0
	s_lshl_b64 s[4:5], s[4:5], 1
	s_add_u32 s10, s12, s4
	s_addc_u32 s11, s13, s5
	s_waitcnt vmcnt(3)
	v_mad_i64_i32 v[4:5], s[12:13], v3, s9, 0
	v_lshl_add_u64 v[4:5], v[4:5], 1, s[10:11]
	v_lshlrev_b64 v[58:59], 1, v[12:13]
	v_lshlrev_b32_e32 v50, 9, v95
	v_lshl_add_u64 v[4:5], v[4:5], 0, v[58:59]
	v_mov_b32_e32 v51, 0
	v_lshl_add_u64 v[6:7], v[4:5], 0, v[50:51]
	s_load_dword s33, s[0:1], 0x98
	s_load_dword s8, s[0:1], 0x1c
	s_waitcnt lgkmcnt(0)
	s_barrier
	global_load_dwordx4 v[26:29], v[6:7], off
	s_waitcnt vmcnt(3)
	v_mad_i64_i32 v[2:3], s[12:13], v2, s9, 0
	v_mov_b32_e32 v8, 0x100
	v_lshl_add_u64 v[2:3], v[2:3], 1, s[10:11]
	v_lshl_or_b32 v54, v1, 4, v8
	v_mov_b32_e32 v55, v51
	v_lshl_add_u64 v[14:15], v[2:3], 0, v[54:55]
	scratch_store_dwordx2 off, v[12:13], off offset:16 ; 8-byte Folded Spill
	v_lshl_add_u64 v[2:3], v[14:15], 0, v[50:51]
	global_load_dwordx4 v[30:33], v[2:3], off
	global_load_dwordx4 v[10:13], v[6:7], off offset:2048
	global_load_dwordx4 v[18:21], v[2:3], off offset:2048
	v_or_b32_e32 v56, 0x1000, v50
	v_mov_b32_e32 v57, v51
	v_lshl_add_u64 v[2:3], v[4:5], 0, v[56:57]
	global_load_dwordx4 v[6:9], v[2:3], off
	v_or_b32_e32 v52, 0x1800, v50
	v_mov_b32_e32 v53, v51
	v_lshl_add_u64 v[2:3], v[14:15], 0, v[56:57]
	v_lshl_add_u64 v[14:15], v[14:15], 0, v[52:53]
	global_load_dwordx4 v[22:25], v[2:3], off
	s_waitcnt vmcnt(8)
	v_mad_i64_i32 v[62:63], s[12:13], v35, s9, 0
	global_load_dwordx4 v[14:17], v[14:15], off
	v_lshl_add_u64 v[2:3], v[4:5], 0, v[52:53]
	global_load_dwordx4 v[2:5], v[2:3], off
	v_lshl_add_u64 v[62:63], v[62:63], 1, s[10:11]
	v_lshl_add_u64 v[70:71], v[62:63], 0, v[58:59]
	v_lshl_or_b32 v88, v1, 5, v50
	v_lshl_add_u64 v[72:73], v[70:71], 0, v[50:51]
	s_waitcnt vmcnt(9)
	v_mad_i64_i32 v[60:61], s[12:13], v34, s9, 0
	ds_read_b128 v[46:49], v88
	ds_read_b128 v[42:45], v88 offset:2048
	ds_read_b128 v[38:41], v88 offset:4096
	;; [unrolled: 1-line block ×3, first 2 shown]
	global_load_dwordx4 v[66:69], v[72:73], off
	s_ashr_i32 s12, s20, 31
	v_and_or_b32 v78, v0, 48, s20
	v_mov_b32_e32 v79, s21
	v_or_b32_e32 v82, 64, v78
	v_cmp_gt_i32_e32 vcc, s38, v78
	v_or_b32_e32 v83, 0x80, v78
	v_or_b32_e32 v84, 0xc0, v78
	s_mov_b32 s40, 0xff7fffff
	s_waitcnt vmcnt(9) lgkmcnt(3)
	v_mfma_f32_16x16x16_f16 v[62:65], v[26:27], v[46:47], 0
	v_lshl_add_u64 v[26:27], v[60:61], 1, s[10:11]
	v_lshl_add_u64 v[80:81], v[26:27], 0, v[54:55]
	s_lshr_b32 s10, s12, 27
	s_waitcnt vmcnt(7)
	v_mfma_f32_16x16x16_f16 v[58:61], v[30:31], v[46:47], 0
	v_lshl_add_u64 v[54:55], v[70:71], 0, v[56:57]
	v_add_u32_e32 v85, s10, v78
	v_add_u32_e32 v86, s10, v82
	v_mfma_f32_16x16x16_f16 v[26:29], v[28:29], v[48:49], v[62:65]
	v_lshl_add_u64 v[76:77], v[80:81], 0, v[56:57]
	v_add_u32_e32 v87, s10, v83
	v_add_u32_e32 v90, s10, v84
	v_mfma_f32_16x16x16_f16 v[30:33], v[32:33], v[48:49], v[58:61]
	v_lshl_add_u64 v[64:65], v[80:81], 0, v[50:51]
	v_ashrrev_i32_e32 v50, 5, v85
	v_lshl_add_u64 v[62:63], v[70:71], 0, v[52:53]
	global_load_dwordx4 v[58:61], v[72:73], off offset:2048
	s_waitcnt vmcnt(7) lgkmcnt(2)
	v_mfma_f32_16x16x16_f16 v[26:29], v[10:11], v[42:43], v[26:29]
	v_ashrrev_i32_e32 v70, 5, v86
	v_ashrrev_i32_e32 v71, 5, v87
	s_add_u32 s4, s14, s4
	v_mfma_f32_16x16x16_f16 v[10:13], v[12:13], v[44:45], v[26:29]
	s_addc_u32 s5, s15, s5
	s_waitcnt vmcnt(6)
	v_mfma_f32_16x16x16_f16 v[30:33], v[18:19], v[42:43], v[30:33]
	global_load_dwordx4 v[26:29], v[54:55], off
	v_cndmask_b32_e32 v54, v79, v50, vcc
	v_ashrrev_i32_e32 v55, 31, v54
	s_waitcnt vmcnt(6) lgkmcnt(1)
	v_mfma_f32_16x16x16_f16 v[10:13], v[6:7], v[38:39], v[10:13]
	v_cmp_gt_i32_e32 vcc, s38, v82
	v_mfma_f32_16x16x16_f16 v[18:21], v[20:21], v[44:45], v[30:33]
	s_nop 0
	v_cndmask_b32_e32 v6, v79, v70, vcc
	v_ashrrev_i32_e32 v7, 31, v6
	v_lshl_add_u64 v[6:7], v[6:7], 2, s[6:7]
	v_lshl_add_u64 v[30:31], v[54:55], 2, s[6:7]
	global_load_dword v30, v[30:31], off
	v_cmp_gt_i32_e32 vcc, s38, v83
	global_load_dword v82, v[6:7], off
	global_load_dwordx4 v[54:57], v[62:63], off
	v_mfma_f32_16x16x16_f16 v[6:9], v[8:9], v[40:41], v[10:13]
	s_nop 2
	global_load_dwordx4 v[10:13], v[64:65], off
	s_waitcnt vmcnt(9)
	v_mfma_f32_16x16x16_f16 v[18:21], v[22:23], v[38:39], v[18:21]
	global_load_dwordx4 v[62:65], v[64:65], off offset:2048
	v_ashrrev_i32_e32 v72, 5, v90
	v_cndmask_b32_e32 v22, v79, v71, vcc
	v_cmp_gt_i32_e32 vcc, s38, v84
	s_waitcnt vmcnt(8) lgkmcnt(0)
	v_mfma_f32_16x16x16_f16 v[6:9], v[2:3], v[34:35], v[6:9]
	v_ashrrev_i32_e32 v23, 31, v22
	v_cndmask_b32_e32 v2, v79, v72, vcc
	v_ashrrev_i32_e32 v3, 31, v2
	v_lshl_add_u64 v[22:23], v[22:23], 2, s[6:7]
	v_lshl_add_u64 v[2:3], v[2:3], 2, s[6:7]
	global_load_dword v83, v[22:23], off
	global_load_dword v89, v[2:3], off
	v_lshl_add_u64 v[2:3], v[80:81], 0, v[52:53]
	global_load_dwordx4 v[76:79], v[76:77], off
	v_mfma_f32_16x16x16_f16 v[70:73], v[4:5], v[36:37], v[6:9]
	global_load_dwordx4 v[84:87], v[2:3], off
	s_waitcnt vmcnt(11)
	v_mfma_f32_16x16x16_f16 v[2:5], v[66:67], v[46:47], 0
	v_or_b32_e32 v66, s27, v1
	v_ashrrev_i32_e32 v67, 31, v66
	v_lshl_add_u64 v[6:7], v[66:67], 2, s[16:17]
	global_load_dword v94, v[6:7], off
	v_mfma_f32_16x16x16_f16 v[2:5], v[68:69], v[48:49], v[2:5]
	v_and_b32_e32 v6, 16, v0
	v_lshlrev_b32_e32 v50, 1, v6
	v_lshl_or_b32 v67, v74, 4, v1
	v_mfma_f32_16x16x16_f16 v[18:21], v[24:25], v[40:41], v[18:21]
	v_lshl_add_u64 v[68:69], s[4:5], 0, v[50:51]
	v_lshlrev_b32_e32 v50, 6, v67
	s_waitcnt vmcnt(9)
	v_mad_i64_i32 v[6:7], s[4:5], v30, s9, 0
	v_mfma_f32_16x16x16_f16 v[2:5], v[58:59], v[42:43], v[2:5]
	v_lshlrev_b64 v[80:81], 1, v[6:7]
	v_mfma_f32_16x16x16_f16 v[2:5], v[60:61], v[44:45], v[2:5]
	v_lshl_add_u64 v[60:61], v[68:69], 0, v[50:51]
	v_lshl_add_u64 v[6:7], v[60:61], 0, v[80:81]
	v_or_b32_e32 v50, 0x1000, v50
	v_mfma_f32_16x16x16_f16 v[2:5], v[26:27], v[38:39], v[2:5]
	v_mfma_f32_16x16x16_f16 v[18:21], v[14:15], v[34:35], v[18:21]
	;; [unrolled: 1-line block ×3, first 2 shown]
	global_load_dwordx4 v[30:33], v[6:7], off
	global_load_dwordx4 v[26:29], v[6:7], off offset:16
	s_waitcnt vmcnt(10)
	v_mad_i64_i32 v[6:7], s[4:5], v82, s9, 0
	v_lshlrev_b64 v[52:53], 1, v[6:7]
	v_lshl_add_u64 v[6:7], v[60:61], 0, v[52:53]
	v_mfma_f32_16x16x16_f16 v[90:93], v[16:17], v[36:37], v[18:21]
	global_load_dwordx4 v[22:25], v[6:7], off
	s_nop 1
	global_load_dwordx4 v[18:21], v[6:7], off offset:16
	s_waitcnt vmcnt(10)
	v_mfma_f32_16x16x16_f16 v[6:9], v[10:11], v[46:47], 0
	s_waitcnt vmcnt(8)
	v_mad_i64_i32 v[10:11], s[4:5], v83, s9, 0
	v_pk_mul_f32 v[82:83], s[8:9], v[72:73] op_sel_hi:[0,1]
	v_mfma_f32_16x16x16_f16 v[6:9], v[12:13], v[48:49], v[6:9]
	v_mfma_f32_16x16x16_f16 v[6:9], v[62:63], v[42:43], v[6:9]
	s_waitcnt vmcnt(7)
	v_mad_i64_i32 v[42:43], s[4:5], v89, s9, 0
	v_lshlrev_b64 v[58:59], 1, v[42:43]
	v_mfma_f32_16x16x16_f16 v[2:5], v[54:55], v[34:35], v[2:5]
	v_lshlrev_b64 v[54:55], 1, v[10:11]
	v_lshl_add_u64 v[10:11], v[60:61], 0, v[54:55]
	v_lshl_add_u64 v[46:47], v[60:61], 0, v[58:59]
	global_load_dwordx4 v[14:17], v[10:11], off
	s_nop 0
	global_load_dwordx4 v[10:13], v[10:11], off offset:16
	v_mfma_f32_16x16x16_f16 v[42:45], v[64:65], v[44:45], v[6:9]
	s_nop 2
	global_load_dwordx4 v[6:9], v[46:47], off
	s_nop 0
	global_load_dwordx4 v[46:49], v[46:47], off offset:16
	v_pk_mul_f32 v[60:61], s[8:9], v[70:71] op_sel_hi:[0,1]
	v_lshl_add_u64 v[62:63], v[68:69], 0, v[50:51]
	s_waitcnt vmcnt(10)
	v_mfma_f32_16x16x16_f16 v[42:45], v[76:77], v[38:39], v[42:45]
	v_lshl_add_u64 v[38:39], v[62:63], 0, v[80:81]
	v_pk_mul_f32 v[80:81], s[8:9], v[90:91] op_sel_hi:[0,1]
	s_waitcnt vmcnt(0)
	scratch_store_dwordx4 off, v[46:49], off ; 16-byte Folded Spill
	v_mfma_f32_16x16x16_f16 v[40:43], v[78:79], v[40:41], v[42:45]
	v_pk_mul_f32 v[78:79], s[8:9], v[92:93] op_sel_hi:[0,1]
	v_mfma_f32_16x16x16_f16 v[2:5], v[56:57], v[36:37], v[2:5]
	v_mfma_f32_16x16x16_f16 v[40:43], v[84:85], v[34:35], v[40:43]
	s_nop 5
	v_pk_mul_f32 v[72:73], s[8:9], v[4:5] op_sel_hi:[0,1]
	v_pk_mul_f32 v[76:77], s[8:9], v[2:3] op_sel_hi:[0,1]
	v_mfma_f32_16x16x16_f16 v[2:5], v[86:87], v[36:37], v[40:43]
	global_load_dwordx4 v[46:49], v[38:39], off
	s_nop 1
	global_load_dwordx4 v[38:41], v[38:39], off offset:16
	s_nop 2
	v_pk_mul_f32 v[70:71], s[8:9], v[2:3] op_sel_hi:[0,1]
	v_and_b32_e32 v2, 0xc0, v0
	v_add_u32_e32 v2, s20, v2
	v_lshl_or_b32 v2, v95, 2, v2
	v_or_b32_e32 v3, 1, v2
	v_pk_mul_f32 v[68:69], s[8:9], v[4:5] op_sel_hi:[0,1]
	v_subrev_u32_e32 v4, s38, v3
	v_add_u32_e32 v34, 1, v4
	v_add_u32_e32 v35, 2, v4
	;; [unrolled: 1-line block ×3, first 2 shown]
	v_cvt_f32_i32_e32 v34, v34
	v_cvt_f32_i32_e32 v35, v35
	;; [unrolled: 1-line block ×3, first 2 shown]
	v_add_u32_e32 v37, 19, v4
	v_fmac_f32_e32 v61, v94, v34
	v_fma_f32 v82, v94, v35, v82
	v_fmac_f32_e32 v83, v94, v36
	v_add_u32_e32 v34, 16, v4
	v_add_u32_e32 v35, 17, v4
	;; [unrolled: 1-line block ×3, first 2 shown]
	v_cvt_f32_i32_e32 v34, v34
	v_cvt_f32_i32_e32 v35, v35
	;; [unrolled: 1-line block ×4, first 2 shown]
	v_fma_f32 v80, v94, v34, v80
	v_fmac_f32_e32 v81, v94, v35
	v_fma_f32 v78, v94, v36, v78
	v_add_u32_e32 v34, 32, v4
	v_add_u32_e32 v35, 33, v4
	;; [unrolled: 1-line block ×3, first 2 shown]
	v_cvt_f32_i32_e32 v34, v34
	v_cvt_f32_i32_e32 v35, v35
	;; [unrolled: 1-line block ×4, first 2 shown]
	v_fmac_f32_e32 v79, v94, v37
	v_add_u32_e32 v37, 35, v4
	v_fma_f32 v76, v94, v34, v76
	v_fmac_f32_e32 v77, v94, v35
	v_fma_f32 v72, v94, v36, v72
	v_add_u32_e32 v34, 48, v4
	v_add_u32_e32 v35, 49, v4
	;; [unrolled: 1-line block ×4, first 2 shown]
	v_cvt_f32_i32_e32 v4, v4
	v_cvt_f32_i32_e32 v34, v34
	;; [unrolled: 1-line block ×3, first 2 shown]
	v_fma_f32 v5, v94, v5, v60
	v_fmac_f32_e32 v69, v94, v4
	v_mov_b32_e32 v4, 0xff7fffff
	v_cmp_gt_i32_e64 s[28:29], s38, v2
	v_cmp_gt_i32_e64 s[30:31], s38, v3
	v_fma_f32 v70, v94, v34, v70
	v_cndmask_b32_e64 v34, v4, v5, s[28:29]
	v_cndmask_b32_e64 v3, v4, v61, s[30:31]
	v_fmac_f32_e32 v71, v94, v35
	v_max3_f32 v3, v34, s40, v3
	v_or_b32_e32 v34, 2, v2
	v_or_b32_e32 v35, 3, v2
	v_cmp_gt_i32_e64 s[34:35], s38, v34
	v_cmp_gt_i32_e64 s[36:37], s38, v35
	v_cvt_f32_i32_e32 v37, v37
	v_cndmask_b32_e64 v34, v4, v82, s[34:35]
	v_cndmask_b32_e64 v35, v4, v83, s[36:37]
	v_max3_f32 v3, v3, v34, v35
	v_or_b32_e32 v34, 16, v2
	v_or_b32_e32 v35, 17, v2
	v_cmp_gt_i32_e64 s[22:23], s38, v34
	v_cmp_gt_i32_e64 s[24:25], s38, v35
	v_fmac_f32_e32 v73, v94, v37
	v_cndmask_b32_e64 v34, v4, v80, s[22:23]
	v_cndmask_b32_e64 v35, v4, v81, s[24:25]
	v_max3_f32 v3, v3, v34, v35
	v_or_b32_e32 v34, 18, v2
	v_or_b32_e32 v35, 19, v2
	v_cmp_gt_i32_e64 s[18:19], s38, v34
	v_cmp_gt_i32_e64 s[20:21], s38, v35
	v_cvt_f32_i32_e32 v36, v36
	v_cndmask_b32_e64 v34, v4, v78, s[18:19]
	v_cndmask_b32_e64 v35, v4, v79, s[20:21]
	v_max3_f32 v3, v3, v34, v35
	v_or_b32_e32 v34, 32, v2
	v_or_b32_e32 v35, 33, v2
	v_cmp_gt_i32_e64 s[14:15], s38, v34
	v_cmp_gt_i32_e64 s[16:17], s38, v35
	v_fma_f32 v68, v94, v36, v68
	v_cndmask_b32_e64 v34, v4, v76, s[14:15]
	v_cndmask_b32_e64 v35, v4, v77, s[16:17]
	v_max3_f32 v3, v3, v34, v35
	v_or_b32_e32 v34, 34, v2
	v_or_b32_e32 v35, 35, v2
	v_cmp_gt_i32_e64 s[10:11], s38, v34
	v_cmp_gt_i32_e64 s[12:13], s38, v35
	s_nop 0
	v_cndmask_b32_e64 v34, v4, v72, s[10:11]
	v_cndmask_b32_e64 v35, v4, v73, s[12:13]
	v_max3_f32 v3, v3, v34, v35
	v_or_b32_e32 v34, 48, v2
	v_or_b32_e32 v35, 49, v2
	v_cmp_gt_i32_e64 s[6:7], s38, v34
	v_cmp_gt_i32_e64 s[8:9], s38, v35
	s_nop 0
	v_cndmask_b32_e64 v34, v4, v70, s[6:7]
	v_cndmask_b32_e64 v35, v4, v71, s[8:9]
	v_max3_f32 v3, v3, v34, v35
	v_or_b32_e32 v34, 50, v2
	v_or_b32_e32 v2, 51, v2
	v_cmp_gt_i32_e32 vcc, s38, v34
	v_cmp_gt_i32_e64 s[4:5], s38, v2
	s_nop 0
	v_cndmask_b32_e32 v34, v4, v68, vcc
	v_cndmask_b32_e64 v2, v4, v69, s[4:5]
	v_max3_f32 v4, v3, v34, v2
	v_mbcnt_lo_u32_b32 v2, -1, 0
	v_mbcnt_hi_u32_b32 v50, -1, v2
	v_and_b32_e32 v2, 64, v50
	v_add_u32_e32 v51, 64, v2
	v_xor_b32_e32 v2, 32, v50
	v_cmp_lt_i32_e64 s[38:39], v2, v51
	s_nop 1
	v_cndmask_b32_e64 v2, v50, v2, s[38:39]
	v_lshlrev_b32_e32 v86, 2, v2
	ds_bpermute_b32 v56, v86, v4
	v_lshl_add_u64 v[2:3], v[62:63], 0, v[52:53]
	global_load_dwordx4 v[42:45], v[2:3], off
	global_load_dwordx4 v[34:37], v[2:3], off offset:16
	s_waitcnt lgkmcnt(0)
	v_max_f32_e32 v2, v56, v56
	v_max_f32_e32 v4, v4, v2
	v_xor_b32_e32 v2, 16, v50
	v_cmp_lt_i32_e64 s[38:39], v2, v51
	s_nop 1
	v_cndmask_b32_e64 v2, v50, v2, s[38:39]
	v_lshlrev_b32_e32 v87, 2, v2
	ds_bpermute_b32 v60, v87, v4
	v_lshl_add_u64 v[2:3], v[62:63], 0, v[54:55]
	global_load_dwordx4 v[54:57], v[2:3], off
	global_load_dwordx4 v[50:53], v[2:3], off offset:16
	v_lshl_add_u64 v[2:3], v[62:63], 0, v[58:59]
	s_waitcnt lgkmcnt(0)
	v_max_f32_e32 v58, v60, v60
	v_max_f32_e32 v90, v4, v58
	v_sub_f32_e32 v4, v5, v90
	v_sub_f32_e32 v5, v61, v90
	global_load_dwordx4 v[62:65], v[2:3], off
	global_load_dwordx4 v[58:61], v[2:3], off offset:16
	v_mul_f32_e32 v4, 0x3fb8aa3b, v4
	v_exp_f32_e32 v4, v4
	v_sub_f32_e32 v3, v82, v90
	v_mul_f32_e32 v3, 0x3fb8aa3b, v3
	v_exp_f32_e32 v3, v3
	v_cndmask_b32_e64 v84, 0, v4, s[28:29]
	v_sub_f32_e32 v4, v83, v90
	v_mul_f32_e32 v4, 0x3fb8aa3b, v4
	v_exp_f32_e32 v4, v4
	v_cndmask_b32_e64 v82, 0, v3, s[34:35]
	v_sub_f32_e32 v3, v80, v90
	v_mul_f32_e32 v3, 0x3fb8aa3b, v3
	v_cndmask_b32_e64 v83, 0, v4, s[36:37]
	v_sub_f32_e32 v4, v81, v90
	v_exp_f32_e32 v3, v3
	v_mul_f32_e32 v4, 0x3fb8aa3b, v4
	v_exp_f32_e32 v4, v4
	v_mul_f32_e32 v5, 0x3fb8aa3b, v5
	v_cndmask_b32_e64 v80, 0, v3, s[22:23]
	v_sub_f32_e32 v3, v78, v90
	v_cndmask_b32_e64 v81, 0, v4, s[24:25]
	v_mul_f32_e32 v3, 0x3fb8aa3b, v3
	v_sub_f32_e32 v4, v79, v90
	v_exp_f32_e32 v3, v3
	v_mul_f32_e32 v4, 0x3fb8aa3b, v4
	v_exp_f32_e32 v4, v4
	v_exp_f32_e32 v5, v5
	v_cndmask_b32_e64 v78, 0, v3, s[18:19]
	v_sub_f32_e32 v3, v76, v90
	v_cndmask_b32_e64 v79, 0, v4, s[20:21]
	v_mul_f32_e32 v3, 0x3fb8aa3b, v3
	v_sub_f32_e32 v4, v77, v90
	v_exp_f32_e32 v3, v3
	v_mul_f32_e32 v4, 0x3fb8aa3b, v4
	v_exp_f32_e32 v4, v4
	v_add_f32_e32 v2, 0, v84
	v_cndmask_b32_e64 v76, 0, v3, s[14:15]
	v_sub_f32_e32 v3, v72, v90
	v_cndmask_b32_e64 v77, 0, v4, s[16:17]
	v_mul_f32_e32 v3, 0x3fb8aa3b, v3
	v_sub_f32_e32 v4, v73, v90
	v_exp_f32_e32 v3, v3
	v_mul_f32_e32 v4, 0x3fb8aa3b, v4
	v_exp_f32_e32 v4, v4
	v_cndmask_b32_e64 v85, 0, v5, s[30:31]
	v_add_f32_e32 v2, v2, v85
	v_cndmask_b32_e64 v72, 0, v3, s[10:11]
	v_sub_f32_e32 v3, v70, v90
	v_add_f32_e32 v2, v2, v82
	v_cndmask_b32_e64 v73, 0, v4, s[12:13]
	v_mul_f32_e32 v3, 0x3fb8aa3b, v3
	v_sub_f32_e32 v4, v71, v90
	v_add_f32_e32 v2, v2, v83
	v_exp_f32_e32 v3, v3
	v_mul_f32_e32 v4, 0x3fb8aa3b, v4
	v_add_f32_e32 v2, v2, v80
	v_exp_f32_e32 v4, v4
	v_add_f32_e32 v2, v2, v81
	v_add_f32_e32 v2, v2, v78
	;; [unrolled: 1-line block ×3, first 2 shown]
	v_cndmask_b32_e64 v70, 0, v3, s[6:7]
	v_sub_f32_e32 v3, v68, v90
	v_add_f32_e32 v2, v2, v76
	v_cndmask_b32_e64 v71, 0, v4, s[8:9]
	v_mul_f32_e32 v3, 0x3fb8aa3b, v3
	v_sub_f32_e32 v4, v69, v90
	v_add_f32_e32 v2, v2, v77
	v_exp_f32_e32 v3, v3
	v_mul_f32_e32 v4, 0x3fb8aa3b, v4
	v_add_f32_e32 v2, v2, v72
	v_exp_f32_e32 v4, v4
	v_add_f32_e32 v2, v2, v73
	v_add_f32_e32 v2, v2, v70
	;; [unrolled: 1-line block ×3, first 2 shown]
	v_cndmask_b32_e32 v68, 0, v3, vcc
	v_add_f32_e32 v2, v2, v68
	v_cndmask_b32_e64 v69, 0, v4, s[4:5]
	v_add_f32_e32 v2, v2, v69
	ds_bpermute_b32 v3, v86, v2
	v_cmp_gt_u32_e32 vcc, 16, v75
	s_waitcnt lgkmcnt(0)
	s_barrier
	v_add_f32_e32 v91, v2, v3
	ds_bpermute_b32 v92, v87, v91
	s_and_saveexec_b64 s[4:5], vcc
	s_cbranch_execz .LBB359_15
; %bb.14:
	s_waitcnt lgkmcnt(0)
	v_add_f32_e32 v2, v91, v92
	v_lshlrev_b32_e32 v3, 2, v67
	ds_write2st64_b32 v3, v90, v2 offset1:1
.LBB359_15:
	s_or_b64 exec, exec, s[4:5]
	v_and_b32_e32 v1, 15, v0
	v_lshlrev_b32_e32 v67, 2, v1
	s_load_dword s6, s[0:1], 0x94
	s_waitcnt lgkmcnt(0)
	s_barrier
	ds_read2_b32 v[2:3], v67 offset1:16
	ds_read2_b32 v[4:5], v67 offset0:32 offset1:48
	v_lshrrev_b32_e32 v74, 6, v0
	s_lshl_b32 s7, s33, 4
	s_waitcnt lgkmcnt(1)
	v_max3_f32 v86, v2, s40, v3
	s_waitcnt lgkmcnt(0)
	v_max3_f32 v89, v86, v4, v5
	v_sub_f32_e32 v2, v2, v89
	v_mul_f32_e32 v2, 0x3fb8aa3b, v2
	v_exp_f32_e32 v91, v2
	v_sub_f32_e32 v2, v3, v89
	v_mul_f32_e32 v2, 0x3fb8aa3b, v2
	ds_read2_b32 v[86:87], v67 offset0:64 offset1:80
	v_exp_f32_e32 v92, v2
	v_sub_f32_e32 v2, v4, v89
	v_mul_f32_e32 v2, 0x3fb8aa3b, v2
	v_exp_f32_e32 v4, v2
	ds_read2_b32 v[2:3], v67 offset0:96 offset1:112
	v_sub_f32_e32 v5, v5, v89
	v_mul_f32_e32 v5, 0x3fb8aa3b, v5
	v_exp_f32_e32 v5, v5
	s_waitcnt lgkmcnt(1)
	v_fma_f32 v90, v91, v86, 0
	v_fmac_f32_e32 v90, v92, v87
	s_waitcnt lgkmcnt(0)
	v_fmac_f32_e32 v90, v4, v2
	v_fmac_f32_e32 v90, v5, v3
	v_add_f32_e32 v2, 0x358637bd, v90
	v_div_scale_f32 v3, s[4:5], v2, v2, 1.0
	v_rcp_f32_e32 v67, v3
	s_barrier
	v_fma_f32 v86, -v3, v67, 1.0
	v_fmac_f32_e32 v67, v86, v67
	v_div_scale_f32 v86, vcc, 1.0, v2, 1.0
	v_mul_f32_e32 v87, v86, v67
	v_fma_f32 v93, -v3, v87, v86
	v_fmac_f32_e32 v87, v93, v67
	v_fma_f32 v3, -v3, v87, v86
	v_div_fmas_f32 v3, v3, v67, v87
	v_cmp_eq_u32_e32 vcc, 1, v74
	v_div_fixup_f32 v2, v3, v2, 1.0
	s_nop 0
	v_cndmask_b32_e32 v3, v91, v92, vcc
	v_cmp_eq_u32_e32 vcc, 2, v74
	s_nop 1
	v_cndmask_b32_e32 v3, v3, v4, vcc
	v_cmp_eq_u32_e32 vcc, 3, v74
	s_nop 1
	v_cndmask_b32_e32 v3, v3, v5, vcc
	v_mul_f32_e32 v2, v3, v2
	v_pk_mul_f32 v[4:5], v[2:3], v[82:83] op_sel_hi:[0,1]
	v_pk_mul_f32 v[82:83], v[2:3], v[84:85] op_sel_hi:[0,1]
	v_cvt_f16_f32_e32 v3, v82
	v_cvt_f16_f32_e32 v67, v83
	;; [unrolled: 1-line block ×4, first 2 shown]
	v_bfe_u32 v83, v0, 4, 2
	v_pack_b32_f16 v4, v3, v67
	v_lshlrev_b32_e32 v3, 3, v83
	v_pk_mul_f32 v[78:79], v[2:3], v[78:79] op_sel_hi:[0,1]
	v_pk_mul_f32 v[80:81], v[2:3], v[80:81] op_sel_hi:[0,1]
	v_pack_b32_f16 v5, v82, v5
	v_cvt_f16_f32_e32 v80, v80
	v_cvt_f16_f32_e32 v81, v81
	;; [unrolled: 1-line block ×4, first 2 shown]
	v_lshlrev_b32_e32 v67, 5, v1
	v_lshlrev_b32_e32 v78, 11, v74
	v_or3_b32 v78, v78, v67, v3
	v_pack_b32_f16 v80, v80, v81
	v_pack_b32_f16 v81, v82, v79
	ds_write2st64_b64 v78, v[4:5], v[80:81] offset1:1
	v_pk_mul_f32 v[4:5], v[2:3], v[72:73] op_sel_hi:[0,1]
	v_pk_mul_f32 v[72:73], v[2:3], v[76:77] op_sel_hi:[0,1]
	v_cvt_f16_f32_e32 v67, v72
	v_cvt_f16_f32_e32 v72, v73
	;; [unrolled: 1-line block ×4, first 2 shown]
	v_pk_mul_f32 v[4:5], v[2:3], v[68:69] op_sel_hi:[0,1]
	v_pk_mul_f32 v[2:3], v[2:3], v[70:71] op_sel_hi:[0,1]
	v_cvt_f16_f32_e32 v68, v2
	v_cvt_f16_f32_e32 v69, v3
	;; [unrolled: 1-line block ×4, first 2 shown]
	v_pack_b32_f16 v2, v67, v72
	v_pack_b32_f16 v3, v73, v76
	;; [unrolled: 1-line block ×4, first 2 shown]
	v_cmp_gt_u32_e32 vcc, 16, v0
	ds_write2st64_b64 v78, v[2:3], v[4:5] offset0:2 offset1:3
	s_and_saveexec_b64 s[4:5], vcc
	s_cbranch_execz .LBB359_17
; %bb.16:
	v_mov_b32_e32 v67, 0
	v_mov_b32_e32 v2, s7
	s_mul_i32 s3, s3, s7
	v_mad_u64_u32 v[2:3], s[12:13], s2, v2, v[66:67]
	v_mov_b32_e32 v66, s26
	s_load_dwordx4 s[8:11], s[0:1], 0x58
	v_add_u32_e32 v5, s3, v3
	v_mad_u64_u32 v[2:3], s[12:13], v2, s6, v[66:67]
	v_mov_b32_e32 v4, v3
	v_mad_u64_u32 v[4:5], s[12:13], v5, s6, v[4:5]
	v_mov_b32_e32 v3, v4
	v_lshlrev_b64 v[2:3], 2, v[2:3]
	s_waitcnt lgkmcnt(0)
	v_lshl_add_u64 v[4:5], s[10:11], 0, v[2:3]
	v_lshl_add_u64 v[2:3], s[8:9], 0, v[2:3]
	global_store_dword v[4:5], v89, off
	global_store_dword v[2:3], v90, off
.LBB359_17:
	s_or_b64 exec, exec, s[4:5]
	s_waitcnt lgkmcnt(0)
	s_barrier
	ds_read_b128 v[70:73], v88
	ds_read_b128 v[66:69], v88 offset:16
	s_waitcnt lgkmcnt(1)
	v_mfma_f32_16x16x16_f16 v[2:5], v[30:31], v[70:71], 0
	s_mov_b32 s3, 0
	v_cmp_gt_u32_e32 vcc, 64, v0
	v_mfma_f32_16x16x16_f16 v[2:5], v[32:33], v[72:73], v[2:5]
	s_waitcnt lgkmcnt(0)
	v_mfma_f32_16x16x16_f16 v[2:5], v[26:27], v[66:67], v[2:5]
	v_mfma_f32_16x16x16_f16 v[2:5], v[28:29], v[68:69], v[2:5]
	ds_read_b128 v[26:29], v88 offset:2048
	ds_read_b128 v[30:33], v88 offset:2064
	s_waitcnt lgkmcnt(1)
	v_mfma_f32_16x16x16_f16 v[2:5], v[22:23], v[26:27], v[2:5]
	v_mfma_f32_16x16x16_f16 v[2:5], v[24:25], v[28:29], v[2:5]
	s_waitcnt lgkmcnt(0)
	v_mfma_f32_16x16x16_f16 v[2:5], v[18:19], v[30:31], v[2:5]
	v_mfma_f32_16x16x16_f16 v[2:5], v[20:21], v[32:33], v[2:5]
	ds_read_b128 v[18:21], v88 offset:4096
	ds_read_b128 v[22:25], v88 offset:4112
	s_waitcnt lgkmcnt(1)
	v_mfma_f32_16x16x16_f16 v[2:5], v[14:15], v[18:19], v[2:5]
	;; [unrolled: 8-line block ×3, first 2 shown]
	v_mfma_f32_16x16x16_f16 v[2:5], v[8:9], v[12:13], v[2:5]
	scratch_load_dwordx4 v[6:9], off, off   ; 16-byte Folded Reload
	s_waitcnt lgkmcnt(0)
	s_barrier
	s_waitcnt vmcnt(0)
	v_mfma_f32_16x16x16_f16 v[2:5], v[6:7], v[14:15], v[2:5]
	v_mfma_f32_16x16x16_f16 v[2:5], v[8:9], v[16:17], v[2:5]
	;; [unrolled: 1-line block ×15, first 2 shown]
	v_cvt_f16_f32_e32 v10, v2
	v_cvt_f16_f32_e32 v11, v3
	v_mfma_f32_16x16x16_f16 v[6:9], v[64:65], v[12:13], v[6:9]
	v_cvt_f16_f32_e32 v12, v4
	v_cvt_f16_f32_e32 v13, v5
	v_mfma_f32_16x16x16_f16 v[6:9], v[58:59], v[14:15], v[6:9]
	v_mfma_f32_16x16x16_f16 v[2:5], v[60:61], v[16:17], v[6:9]
	s_nop 6
	v_cvt_f16_f32_e32 v6, v2
	v_cvt_f16_f32_e32 v7, v3
	;; [unrolled: 1-line block ×4, first 2 shown]
	v_pack_b32_f16 v2, v10, v11
	v_pack_b32_f16 v3, v12, v13
	;; [unrolled: 1-line block ×4, first 2 shown]
	ds_write2st64_b64 v78, v[2:3], v[4:5] offset1:1
	s_waitcnt lgkmcnt(0)
	s_barrier
	s_and_saveexec_b64 s[4:5], vcc
	s_cbranch_execz .LBB359_19
; %bb.18:
	v_lshlrev_b32_e32 v1, 6, v1
	v_lshlrev_b32_e32 v3, 4, v0
	v_lshl_or_b32 v0, v0, 10, v1
	v_lshlrev_b32_e32 v2, 5, v83
	v_and_b32_e32 v3, 16, v3
	v_and_b32_e32 v0, 0x1a00, v0
	v_or3_b32 v12, v0, v2, v3
	ds_read_b128 v[0:3], v12
	ds_read_b128 v[4:7], v12 offset:128
	ds_read_b128 v[8:11], v12 offset:256
	;; [unrolled: 1-line block ×3, first 2 shown]
	scratch_load_dwordx2 v[16:17], off, off offset:16 ; 8-byte Folded Reload
	s_load_dwordx2 s[0:1], s[0:1], 0x68
	s_lshl_b32 s6, s6, 7
	s_mul_i32 s2, s7, s2
	s_mul_hi_u32 s5, s2, s6
	s_mul_i32 s4, s2, s6
	s_lshl_b64 s[4:5], s[4:5], 1
	s_waitcnt lgkmcnt(0)
	s_add_u32 s4, s0, s4
	s_addc_u32 s5, s1, s5
	s_lshl_b32 s2, s26, 7
	s_lshl_b64 s[0:1], s[2:3], 1
	s_add_u32 s0, s4, s0
	s_addc_u32 s1, s5, s1
	v_or_b32_e32 v20, s27, v83
	s_waitcnt vmcnt(0)
	v_lshl_add_u64 v[16:17], v[16:17], 1, s[0:1]
	v_mad_u64_u32 v[18:19], s[0:1], v20, s6, 0
	v_lshl_add_u64 v[18:19], v[18:19], 1, v[16:17]
	global_store_dwordx4 v[18:19], v[0:3], off
	s_nop 1
	v_or_b32_e32 v0, 4, v20
	v_mad_u64_u32 v[0:1], s[0:1], v0, s6, 0
	v_lshl_add_u64 v[0:1], v[0:1], 1, v[16:17]
	global_store_dwordx4 v[0:1], v[4:7], off
	v_or_b32_e32 v0, 8, v20
	v_mad_u64_u32 v[0:1], s[0:1], v0, s6, 0
	v_lshl_add_u64 v[0:1], v[0:1], 1, v[16:17]
	global_store_dwordx4 v[0:1], v[8:11], off
	;; [unrolled: 4-line block ×3, first 2 shown]
.LBB359_19:
	s_endpgm
	.section	.rodata,"a",@progbits
	.p2align	6, 0x0
	.amdhsa_kernel _Z39paged_attention_ll4mi_QKV_mfma16_kernelIDF16_DF16_LN4vllm18Fp8KVCacheDataTypeE0EDF16_Li32ELi128ELi256ELb1ELi16EEvPKT_PKT0_S7_ifPKiS9_S9_iPKfiiiPfSC_PS2_PT2_iSB_SB_
		.amdhsa_group_segment_fixed_size 8192
		.amdhsa_private_segment_fixed_size 28
		.amdhsa_kernarg_size 400
		.amdhsa_user_sgpr_count 2
		.amdhsa_user_sgpr_dispatch_ptr 0
		.amdhsa_user_sgpr_queue_ptr 0
		.amdhsa_user_sgpr_kernarg_segment_ptr 1
		.amdhsa_user_sgpr_dispatch_id 0
		.amdhsa_user_sgpr_kernarg_preload_length 0
		.amdhsa_user_sgpr_kernarg_preload_offset 0
		.amdhsa_user_sgpr_private_segment_size 0
		.amdhsa_uses_dynamic_stack 0
		.amdhsa_enable_private_segment 1
		.amdhsa_system_sgpr_workgroup_id_x 1
		.amdhsa_system_sgpr_workgroup_id_y 1
		.amdhsa_system_sgpr_workgroup_id_z 1
		.amdhsa_system_sgpr_workgroup_info 0
		.amdhsa_system_vgpr_workitem_id 0
		.amdhsa_next_free_vgpr 96
		.amdhsa_next_free_sgpr 41
		.amdhsa_accum_offset 96
		.amdhsa_reserve_vcc 1
		.amdhsa_float_round_mode_32 0
		.amdhsa_float_round_mode_16_64 0
		.amdhsa_float_denorm_mode_32 3
		.amdhsa_float_denorm_mode_16_64 3
		.amdhsa_dx10_clamp 1
		.amdhsa_ieee_mode 1
		.amdhsa_fp16_overflow 0
		.amdhsa_tg_split 0
		.amdhsa_exception_fp_ieee_invalid_op 0
		.amdhsa_exception_fp_denorm_src 0
		.amdhsa_exception_fp_ieee_div_zero 0
		.amdhsa_exception_fp_ieee_overflow 0
		.amdhsa_exception_fp_ieee_underflow 0
		.amdhsa_exception_fp_ieee_inexact 0
		.amdhsa_exception_int_div_zero 0
	.end_amdhsa_kernel
	.section	.text._Z39paged_attention_ll4mi_QKV_mfma16_kernelIDF16_DF16_LN4vllm18Fp8KVCacheDataTypeE0EDF16_Li32ELi128ELi256ELb1ELi16EEvPKT_PKT0_S7_ifPKiS9_S9_iPKfiiiPfSC_PS2_PT2_iSB_SB_,"axG",@progbits,_Z39paged_attention_ll4mi_QKV_mfma16_kernelIDF16_DF16_LN4vllm18Fp8KVCacheDataTypeE0EDF16_Li32ELi128ELi256ELb1ELi16EEvPKT_PKT0_S7_ifPKiS9_S9_iPKfiiiPfSC_PS2_PT2_iSB_SB_,comdat
.Lfunc_end359:
	.size	_Z39paged_attention_ll4mi_QKV_mfma16_kernelIDF16_DF16_LN4vllm18Fp8KVCacheDataTypeE0EDF16_Li32ELi128ELi256ELb1ELi16EEvPKT_PKT0_S7_ifPKiS9_S9_iPKfiiiPfSC_PS2_PT2_iSB_SB_, .Lfunc_end359-_Z39paged_attention_ll4mi_QKV_mfma16_kernelIDF16_DF16_LN4vllm18Fp8KVCacheDataTypeE0EDF16_Li32ELi128ELi256ELb1ELi16EEvPKT_PKT0_S7_ifPKiS9_S9_iPKfiiiPfSC_PS2_PT2_iSB_SB_
                                        ; -- End function
	.section	.AMDGPU.csdata,"",@progbits
; Kernel info:
; codeLenInByte = 4820
; NumSgprs: 47
; NumVgprs: 96
; NumAgprs: 0
; TotalNumVgprs: 96
; ScratchSize: 28
; MemoryBound: 0
; FloatMode: 240
; IeeeMode: 1
; LDSByteSize: 8192 bytes/workgroup (compile time only)
; SGPRBlocks: 5
; VGPRBlocks: 11
; NumSGPRsForWavesPerEU: 47
; NumVGPRsForWavesPerEU: 96
; AccumOffset: 96
; Occupancy: 5
; WaveLimiterHint : 1
; COMPUTE_PGM_RSRC2:SCRATCH_EN: 1
; COMPUTE_PGM_RSRC2:USER_SGPR: 2
; COMPUTE_PGM_RSRC2:TRAP_HANDLER: 0
; COMPUTE_PGM_RSRC2:TGID_X_EN: 1
; COMPUTE_PGM_RSRC2:TGID_Y_EN: 1
; COMPUTE_PGM_RSRC2:TGID_Z_EN: 1
; COMPUTE_PGM_RSRC2:TIDIG_COMP_CNT: 0
; COMPUTE_PGM_RSRC3_GFX90A:ACCUM_OFFSET: 23
; COMPUTE_PGM_RSRC3_GFX90A:TG_SPLIT: 0
	.section	.text._Z39paged_attention_ll4mi_QKV_mfma16_kernelIDF16_DF16_LN4vllm18Fp8KVCacheDataTypeE0EDF16_Li32ELi128ELi256ELb1ELi1EEvPKT_PKT0_S7_ifPKiS9_S9_iPKfiiiPfSC_PS2_PT2_iSB_SB_,"axG",@progbits,_Z39paged_attention_ll4mi_QKV_mfma16_kernelIDF16_DF16_LN4vllm18Fp8KVCacheDataTypeE0EDF16_Li32ELi128ELi256ELb1ELi1EEvPKT_PKT0_S7_ifPKiS9_S9_iPKfiiiPfSC_PS2_PT2_iSB_SB_,comdat
	.protected	_Z39paged_attention_ll4mi_QKV_mfma16_kernelIDF16_DF16_LN4vllm18Fp8KVCacheDataTypeE0EDF16_Li32ELi128ELi256ELb1ELi1EEvPKT_PKT0_S7_ifPKiS9_S9_iPKfiiiPfSC_PS2_PT2_iSB_SB_ ; -- Begin function _Z39paged_attention_ll4mi_QKV_mfma16_kernelIDF16_DF16_LN4vllm18Fp8KVCacheDataTypeE0EDF16_Li32ELi128ELi256ELb1ELi1EEvPKT_PKT0_S7_ifPKiS9_S9_iPKfiiiPfSC_PS2_PT2_iSB_SB_
	.globl	_Z39paged_attention_ll4mi_QKV_mfma16_kernelIDF16_DF16_LN4vllm18Fp8KVCacheDataTypeE0EDF16_Li32ELi128ELi256ELb1ELi1EEvPKT_PKT0_S7_ifPKiS9_S9_iPKfiiiPfSC_PS2_PT2_iSB_SB_
	.p2align	8
	.type	_Z39paged_attention_ll4mi_QKV_mfma16_kernelIDF16_DF16_LN4vllm18Fp8KVCacheDataTypeE0EDF16_Li32ELi128ELi256ELb1ELi1EEvPKT_PKT0_S7_ifPKiS9_S9_iPKfiiiPfSC_PS2_PT2_iSB_SB_,@function
_Z39paged_attention_ll4mi_QKV_mfma16_kernelIDF16_DF16_LN4vllm18Fp8KVCacheDataTypeE0EDF16_Li32ELi128ELi256ELb1ELi1EEvPKT_PKT0_S7_ifPKiS9_S9_iPKfiiiPfSC_PS2_PT2_iSB_SB_: ; @_Z39paged_attention_ll4mi_QKV_mfma16_kernelIDF16_DF16_LN4vllm18Fp8KVCacheDataTypeE0EDF16_Li32ELi128ELi256ELb1ELi1EEvPKT_PKT0_S7_ifPKiS9_S9_iPKfiiiPfSC_PS2_PT2_iSB_SB_
; %bb.0:
	s_load_dwordx2 s[8:9], s[0:1], 0x30
	s_mov_b32 s28, s3
	s_mov_b64 s[6:7], 0
	s_waitcnt lgkmcnt(0)
	s_cmp_lg_u64 s[8:9], 0
	s_cselect_b64 s[10:11], -1, 0
	s_and_b64 vcc, exec, s[10:11]
	s_cbranch_vccz .LBB360_7
; %bb.1:
	s_add_i32 s12, s2, 1
	s_mov_b32 s13, 0
	s_lshl_b64 s[14:15], s[12:13], 2
	s_add_u32 s14, s8, s14
	s_mov_b32 s3, s13
	s_addc_u32 s15, s9, s15
	s_lshl_b64 s[12:13], s[2:3], 2
	s_add_u32 s12, s8, s12
	s_addc_u32 s13, s9, s13
	s_load_dword s5, s[14:15], 0x0
	s_load_dword s16, s[12:13], 0x0
	s_waitcnt lgkmcnt(0)
	s_sub_i32 s5, s5, s16
	s_cmp_eq_u32 s5, 1
	s_cselect_b64 s[12:13], -1, 0
	s_andn2_b64 vcc, exec, s[6:7]
	s_cbranch_vccnz .LBB360_3
.LBB360_2:
	s_mov_b32 s3, 0
	s_mov_b64 s[12:13], -1
.LBB360_3:
	s_andn2_b64 vcc, exec, s[12:13]
	s_cbranch_vccnz .LBB360_21
; %bb.4:
	s_load_dwordx2 s[6:7], s[0:1], 0x28
	s_lshl_b64 s[12:13], s[2:3], 2
	s_waitcnt lgkmcnt(0)
	s_add_u32 s6, s6, s12
	s_addc_u32 s7, s7, s13
	s_load_dword s29, s[6:7], 0x0
	s_lshl_b32 s18, s28, 8
	s_waitcnt lgkmcnt(0)
	s_cmp_ge_i32 s18, s29
	s_cbranch_scc1 .LBB360_21
; %bb.5:
	s_load_dwordx2 s[6:7], s[0:1], 0x20
	s_load_dword s5, s[0:1], 0x38
	s_add_i32 s14, s29, 31
	s_ashr_i32 s15, s14, 31
	v_and_b32_e32 v1, 0xcf, v0
	s_lshr_b32 s15, s15, 27
	v_add_u32_e32 v1, s18, v1
	s_add_i32 s14, s14, s15
	v_ashrrev_i32_e32 v2, 31, v1
	s_ashr_i32 s19, s14, 5
	v_lshrrev_b32_e32 v4, 27, v2
	s_add_i32 s19, s19, -1
	s_waitcnt lgkmcnt(0)
	s_mul_i32 s14, s2, s5
	s_mov_b32 s15, 0
	v_add_u32_e32 v2, v1, v4
	s_lshl_b64 s[14:15], s[14:15], 2
	v_ashrrev_i32_e32 v2, 5, v2
	v_mov_b32_e32 v5, s19
	v_cmp_gt_i32_e32 vcc, s29, v1
	s_add_u32 s6, s6, s14
	s_addc_u32 s7, s7, s15
	v_cndmask_b32_e32 v2, v5, v2, vcc
	v_ashrrev_i32_e32 v3, 31, v2
	v_lshl_add_u64 v[6:7], v[2:3], 2, s[6:7]
	v_or_b32_e32 v2, 16, v1
	v_add_u32_e32 v3, v2, v4
	v_ashrrev_i32_e32 v3, 5, v3
	v_cmp_gt_i32_e32 vcc, s29, v2
	s_nop 1
	v_cndmask_b32_e32 v2, v5, v3, vcc
	v_ashrrev_i32_e32 v3, 31, v2
	v_lshl_add_u64 v[8:9], v[2:3], 2, s[6:7]
	v_or_b32_e32 v2, 32, v1
	v_add_u32_e32 v3, v2, v4
	v_ashrrev_i32_e32 v3, 5, v3
	v_cmp_gt_i32_e32 vcc, s29, v2
	v_or_b32_e32 v1, 48, v1
	s_nop 0
	v_cndmask_b32_e32 v2, v5, v3, vcc
	v_ashrrev_i32_e32 v3, 31, v2
	v_lshl_add_u64 v[10:11], v[2:3], 2, s[6:7]
	v_add_u32_e32 v2, v1, v4
	v_ashrrev_i32_e32 v2, 5, v2
	v_cmp_gt_i32_e32 vcc, s29, v1
	s_nop 1
	v_cndmask_b32_e32 v2, v5, v2, vcc
	v_ashrrev_i32_e32 v3, 31, v2
	v_lshl_add_u64 v[12:13], v[2:3], 2, s[6:7]
	global_load_dword v5, v[6:7], off
	global_load_dword v4, v[8:9], off
	;; [unrolled: 1-line block ×4, first 2 shown]
	s_andn2_b64 vcc, exec, s[10:11]
	s_cbranch_vccnz .LBB360_8
; %bb.6:
	s_add_u32 s8, s8, s12
	s_addc_u32 s9, s9, s13
	s_load_dword s5, s[8:9], 0x0
	s_branch .LBB360_9
.LBB360_7:
	s_mov_b64 s[12:13], 0
	s_branch .LBB360_2
.LBB360_8:
	s_mov_b32 s5, s2
.LBB360_9:
	s_load_dwordx2 s[14:15], s[0:1], 0x8
	s_load_dwordx4 s[8:11], s[0:1], 0x48
	v_lshrrev_b32_e32 v83, 6, v0
	v_bfe_u32 v1, v0, 4, 2
	v_lshl_or_b32 v6, v83, 2, v1
	v_and_b32_e32 v82, 15, v0
	v_lshlrev_b32_e32 v8, 3, v82
	v_cmp_ne_u32_e32 vcc, 0, v6
	scratch_store_dwordx2 off, v[8:9], off  ; 8-byte Folded Spill
	s_and_saveexec_b64 s[12:13], vcc
	s_xor_b64 s[12:13], exec, s[12:13]
	s_cbranch_execz .LBB360_11
; %bb.10:
	scratch_load_dwordx2 v[6:7], off, off   ; 8-byte Folded Reload
	s_waitcnt vmcnt(0)
	v_mov_b32_e32 v7, 0
	scratch_store_dwordx2 off, v[6:7], off  ; 8-byte Folded Spill
.LBB360_11:
	s_or_saveexec_b64 s[16:17], s[12:13]
	s_load_dwordx2 s[12:13], s[0:1], 0x10
	s_xor_b64 exec, exec, s[16:17]
	s_cbranch_execz .LBB360_13
; %bb.12:
	scratch_load_dwordx2 v[6:7], off, off   ; 8-byte Folded Reload
	s_load_dwordx2 s[20:21], s[0:1], 0x0
	s_waitcnt lgkmcnt(0)
	s_ashr_i32 s11, s8, 31
	s_mul_hi_u32 s22, s5, s8
	s_mul_i32 s11, s5, s11
	s_add_i32 s23, s22, s11
	s_mul_i32 s22, s5, s8
	s_lshl_b64 s[22:23], s[22:23], 1
	s_add_u32 s5, s20, s22
	s_addc_u32 s8, s21, s23
	s_lshl_b32 s20, s4, 7
	s_ashr_i32 s21, s20, 31
	s_lshl_b64 s[20:21], s[20:21], 1
	s_add_u32 s20, s5, s20
	s_addc_u32 s21, s8, s21
	v_and_b32_e32 v10, 3, v0
	v_lshlrev_b32_e32 v11, 9, v82
	v_lshlrev_b32_e32 v10, 9, v10
	s_movk_i32 s5, 0x1800
	v_mov_b32_e32 v13, 0
	v_and_or_b32 v10, v11, s5, v10
	s_waitcnt vmcnt(0)
	v_mov_b32_e32 v12, v6
	v_lshlrev_b32_e32 v6, 1, v12
	global_load_dwordx4 v[6:9], v6, s[20:21]
	s_waitcnt vmcnt(0)
	ds_write_b128 v10, v[6:9]
	scratch_store_dwordx2 off, v[12:13], off ; 8-byte Folded Spill
.LBB360_13:
	s_or_b64 exec, exec, s[16:17]
	s_waitcnt lgkmcnt(0)
	s_barrier
	scratch_load_dwordx2 v[8:9], off, off   ; 8-byte Folded Reload
	s_mul_i32 s10, s4, s10
	s_mov_b32 s11, 0
	s_lshl_b64 s[10:11], s[10:11], 1
	s_add_u32 s14, s14, s10
	s_addc_u32 s15, s15, s11
	s_waitcnt vmcnt(5)
	v_mad_i64_i32 v[6:7], s[16:17], v5, s9, 0
	v_lshl_add_u64 v[6:7], v[6:7], 1, s[14:15]
	v_lshlrev_b32_e32 v84, 9, v1
	v_mov_b32_e32 v85, 0
	v_or_b32_e32 v14, 0x1000, v84
	v_mov_b32_e32 v15, v85
	v_or_b32_e32 v16, 0x1800, v84
	v_mov_b32_e32 v17, v85
	s_waitcnt vmcnt(4)
	v_mad_i64_i32 v[4:5], s[16:17], v4, s9, 0
	v_lshl_add_u64 v[4:5], v[4:5], 1, s[14:15]
	v_and_b32_e32 v88, 63, v0
	v_cmp_eq_u32_e32 vcc, 0, v82
	v_mov_b32_e32 v89, 0
	s_waitcnt vmcnt(0)
	v_lshlrev_b64 v[8:9], 1, v[8:9]
	v_lshl_add_u64 v[6:7], v[6:7], 0, v[8:9]
	v_lshl_add_u64 v[10:11], v[6:7], 0, v[84:85]
	global_load_dwordx4 v[66:69], v[10:11], off
	global_load_dwordx4 v[62:65], v[10:11], off offset:2048
	v_lshl_add_u64 v[10:11], v[6:7], 0, v[14:15]
	v_lshl_add_u64 v[6:7], v[6:7], 0, v[16:17]
	global_load_dwordx4 v[78:81], v[10:11], off
	global_load_dwordx4 v[74:77], v[6:7], off
	v_mov_b32_e32 v6, 0x100
	v_lshl_or_b32 v6, v82, 4, v6
	v_mov_b32_e32 v7, v85
	v_lshl_add_u64 v[4:5], v[4:5], 0, v[6:7]
	v_lshl_add_u64 v[10:11], v[4:5], 0, v[84:85]
	global_load_dwordx4 v[70:73], v[10:11], off
	global_load_dwordx4 v[58:61], v[10:11], off offset:2048
	v_lshl_add_u64 v[10:11], v[4:5], 0, v[14:15]
	v_lshl_add_u64 v[4:5], v[4:5], 0, v[16:17]
	global_load_dwordx4 v[54:57], v[10:11], off
	global_load_dwordx4 v[30:33], v[4:5], off
	v_mad_i64_i32 v[4:5], s[16:17], v3, s9, 0
	v_lshl_add_u64 v[4:5], v[4:5], 1, s[14:15]
	v_mad_i64_i32 v[2:3], s[16:17], v2, s9, 0
	v_lshl_add_u64 v[4:5], v[4:5], 0, v[8:9]
	v_lshl_add_u64 v[2:3], v[2:3], 1, s[14:15]
	;; [unrolled: 1-line block ×4, first 2 shown]
	global_load_dwordx4 v[26:29], v[8:9], off
	global_load_dwordx4 v[22:25], v[8:9], off offset:2048
	v_lshl_add_u64 v[8:9], v[4:5], 0, v[14:15]
	v_lshl_add_u64 v[4:5], v[4:5], 0, v[16:17]
	;; [unrolled: 1-line block ×4, first 2 shown]
	global_load_dwordx4 v[18:21], v[8:9], off
	global_load_dwordx4 v[10:13], v[4:5], off
	s_nop 0
	global_load_dwordx4 v[6:9], v[2:3], off
	s_nop 0
	global_load_dwordx4 v[2:5], v[2:3], off offset:2048
	v_lshl_add_u64 v[16:17], v[34:35], 0, v[16:17]
	global_load_dwordx4 v[42:45], v[14:15], off
	global_load_dwordx4 v[34:37], v[16:17], off
	ds_read_b128 v[14:17], v84
	ds_read_b128 v[50:53], v84 offset:2048
	ds_read_b128 v[46:49], v84 offset:4096
	;; [unrolled: 1-line block ×3, first 2 shown]
	s_and_saveexec_b64 s[14:15], vcc
	s_cbranch_execz .LBB360_15
; %bb.14:
	s_load_dwordx2 s[16:17], s[0:1], 0x40
	s_ashr_i32 s5, s4, 31
	s_lshl_b64 s[20:21], s[4:5], 2
	s_waitcnt lgkmcnt(0)
	s_add_u32 s16, s16, s20
	s_addc_u32 s17, s17, s21
	s_load_dword s5, s[16:17], 0x0
	s_waitcnt lgkmcnt(0)
	v_mov_b32_e32 v89, s5
.LBB360_15:
	s_or_b64 exec, exec, s[14:15]
	s_waitcnt vmcnt(15) lgkmcnt(3)
	v_mfma_f32_16x16x16_f16 v[90:93], v[66:67], v[14:15], 0
	s_ashr_i32 s5, s18, 31
	s_lshr_b32 s5, s5, 27
	s_add_u32 s10, s12, s10
	v_mfma_f32_16x16x16_f16 v[66:69], v[68:69], v[16:17], v[90:93]
	s_addc_u32 s11, s13, s11
	s_waitcnt vmcnt(14) lgkmcnt(2)
	v_mfma_f32_16x16x16_f16 v[66:69], v[62:63], v[50:51], v[66:69]
	v_lshl_or_b32 v90, v83, 4, v82
	v_mfma_f32_16x16x16_f16 v[62:65], v[64:65], v[52:53], v[66:69]
	s_waitcnt vmcnt(13) lgkmcnt(1)
	v_mfma_f32_16x16x16_f16 v[62:65], v[78:79], v[46:47], v[62:65]
	v_mfma_f32_16x16x16_f16 v[62:65], v[80:81], v[48:49], v[62:65]
	s_waitcnt vmcnt(12) lgkmcnt(0)
	v_mfma_f32_16x16x16_f16 v[62:65], v[74:75], v[38:39], v[62:65]
	v_and_or_b32 v74, v0, 48, s18
	v_add_u32_e32 v66, s5, v74
	v_ashrrev_i32_e32 v75, 5, v66
	s_waitcnt vmcnt(11)
	v_mfma_f32_16x16x16_f16 v[66:69], v[70:71], v[14:15], 0
	v_cmp_gt_i32_e32 vcc, s29, v74
	v_mfma_f32_16x16x16_f16 v[66:69], v[72:73], v[16:17], v[66:69]
	v_or_b32_e32 v72, 64, v74
	v_add_u32_e32 v73, s5, v72
	s_waitcnt vmcnt(10)
	v_mfma_f32_16x16x16_f16 v[66:69], v[58:59], v[50:51], v[66:69]
	v_ashrrev_i32_e32 v58, 5, v73
	v_mfma_f32_16x16x16_f16 v[62:65], v[76:77], v[40:41], v[62:65]
	v_mov_b32_e32 v76, s19
	v_cndmask_b32_e32 v70, v76, v75, vcc
	v_cmp_gt_i32_e32 vcc, s29, v72
	v_ashrrev_i32_e32 v71, 31, v70
	v_lshl_add_u64 v[70:71], v[70:71], 2, s[6:7]
	v_cndmask_b32_e32 v72, v76, v58, vcc
	v_mfma_f32_16x16x16_f16 v[58:61], v[60:61], v[52:53], v[66:69]
	v_ashrrev_i32_e32 v73, 31, v72
	s_waitcnt vmcnt(9)
	v_mfma_f32_16x16x16_f16 v[58:61], v[54:55], v[46:47], v[58:61]
	v_lshl_add_u64 v[66:67], v[72:73], 2, s[6:7]
	global_load_dword v72, v[70:71], off
	global_load_dword v75, v[66:67], off
	v_or_b32_e32 v66, 0x80, v74
	v_add_u32_e32 v67, s5, v66
	v_mfma_f32_16x16x16_f16 v[54:57], v[56:57], v[48:49], v[58:61]
	v_cmp_gt_i32_e32 vcc, s29, v66
	s_nop 1
	v_ashrrev_i32_e32 v58, 5, v67
	v_cndmask_b32_e32 v58, v76, v58, vcc
	v_ashrrev_i32_e32 v59, 31, v58
	s_waitcnt vmcnt(10)
	v_mfma_f32_16x16x16_f16 v[54:57], v[30:31], v[38:39], v[54:57]
	v_lshl_add_u64 v[30:31], v[58:59], 2, s[6:7]
	global_load_dword v58, v[30:31], off
	v_mfma_f32_16x16x16_f16 v[66:69], v[32:33], v[40:41], v[54:57]
	s_nop 3
	v_or_b32_e32 v54, 0xc0, v74
	v_add_u32_e32 v30, s5, v54
	v_ashrrev_i32_e32 v55, 5, v30
	v_cmp_gt_i32_e32 vcc, s29, v54
	s_waitcnt vmcnt(10)
	v_mfma_f32_16x16x16_f16 v[30:33], v[26:27], v[14:15], 0
	s_mov_b32 s5, 0xff7fffff
	v_cndmask_b32_e32 v26, v76, v55, vcc
	v_ashrrev_i32_e32 v27, 31, v26
	v_lshl_add_u64 v[54:55], v[26:27], 2, s[6:7]
	global_load_dword v59, v[54:55], off
	v_mfma_f32_16x16x16_f16 v[26:29], v[28:29], v[16:17], v[30:33]
	s_load_dword s6, s[0:1], 0x1c
	s_waitcnt lgkmcnt(0)
	v_pk_mul_f32 v[76:77], s[6:7], v[66:67] op_sel_hi:[0,1]
	s_waitcnt vmcnt(10)
	v_mfma_f32_16x16x16_f16 v[26:29], v[22:23], v[50:51], v[26:29]
	v_and_b32_e32 v30, 16, v0
	v_lshlrev_b32_e32 v84, 1, v30
	v_lshl_add_u64 v[60:61], s[10:11], 0, v[84:85]
	v_mfma_f32_16x16x16_f16 v[22:25], v[24:25], v[52:53], v[26:29]
	v_lshlrev_b32_e32 v84, 6, v90
	v_lshl_add_u64 v[70:71], v[60:61], 0, v[84:85]
	v_or_b32_e32 v84, 0x1000, v84
	s_waitcnt vmcnt(9)
	v_mfma_f32_16x16x16_f16 v[22:25], v[18:19], v[46:47], v[22:25]
	v_lshl_add_u64 v[80:81], v[60:61], 0, v[84:85]
	v_pk_mul_f32 v[78:79], s[6:7], v[64:65] op_sel_hi:[0,1]
	v_pk_mul_f32 v[60:61], s[6:7], v[62:63] op_sel_hi:[0,1]
	v_mfma_f32_16x16x16_f16 v[18:21], v[20:21], v[48:49], v[22:25]
	s_waitcnt vmcnt(8)
	v_mfma_f32_16x16x16_f16 v[18:21], v[10:11], v[38:39], v[18:21]
	s_waitcnt vmcnt(3)
	v_mad_i64_i32 v[22:23], s[10:11], v72, s9, 0
	s_waitcnt vmcnt(2)
	v_mad_i64_i32 v[10:11], s[10:11], v75, s9, 0
	v_lshlrev_b64 v[72:73], 1, v[22:23]
	v_lshlrev_b64 v[54:55], 1, v[10:11]
	v_lshl_add_u64 v[22:23], v[70:71], 0, v[72:73]
	v_lshl_add_u64 v[10:11], v[70:71], 0, v[54:55]
	global_load_dwordx4 v[30:33], v[22:23], off
	global_load_dwordx4 v[26:29], v[22:23], off offset:16
	v_mfma_f32_16x16x16_f16 v[92:95], v[12:13], v[40:41], v[18:21]
	global_load_dwordx4 v[22:25], v[10:11], off
	s_nop 1
	global_load_dwordx4 v[18:21], v[10:11], off offset:16
	v_pk_mul_f32 v[74:75], s[6:7], v[68:69] op_sel_hi:[0,1]
	v_mfma_f32_16x16x16_f16 v[10:13], v[6:7], v[14:15], 0
	s_waitcnt vmcnt(5)
	v_mad_i64_i32 v[6:7], s[10:11], v58, s9, 0
	v_lshlrev_b64 v[56:57], 1, v[6:7]
	v_mfma_f32_16x16x16_f16 v[6:9], v[8:9], v[16:17], v[10:13]
	v_mfma_f32_16x16x16_f16 v[6:9], v[2:3], v[50:51], v[6:9]
	s_nop 1
	v_lshl_add_u64 v[10:11], v[70:71], 0, v[56:57]
	global_load_dwordx4 v[14:17], v[10:11], off
	s_nop 0
	global_load_dwordx4 v[10:13], v[10:11], off offset:16
	s_waitcnt vmcnt(6)
	v_mad_i64_i32 v[2:3], s[8:9], v59, s9, 0
	v_mfma_f32_16x16x16_f16 v[50:53], v[4:5], v[52:53], v[6:9]
	v_lshlrev_b64 v[58:59], 1, v[2:3]
	v_lshl_add_u64 v[2:3], v[70:71], 0, v[58:59]
	v_pk_mul_f32 v[70:71], s[6:7], v[94:95] op_sel_hi:[0,1]
	v_mfma_f32_16x16x16_f16 v[50:53], v[42:43], v[46:47], v[50:53]
	v_lshl_add_u64 v[42:43], v[80:81], 0, v[72:73]
	v_pk_mul_f32 v[72:73], s[6:7], v[92:93] op_sel_hi:[0,1]
	v_lshl_add_u64 v[58:59], v[80:81], 0, v[58:59]
	v_mfma_f32_16x16x16_f16 v[44:47], v[44:45], v[48:49], v[50:53]
	global_load_dwordx4 v[6:9], v[2:3], off
	s_nop 0
	global_load_dwordx4 v[2:5], v[2:3], off offset:16
	v_mfma_f32_16x16x16_f16 v[44:47], v[34:35], v[38:39], v[44:47]
	v_mfma_f32_16x16x16_f16 v[34:37], v[36:37], v[40:41], v[44:47]
	s_nop 6
	v_pk_mul_f32 v[68:69], s[6:7], v[34:35] op_sel_hi:[0,1]
	v_and_b32_e32 v34, 0xc0, v0
	v_add_u32_e32 v34, s18, v34
	v_lshl_or_b32 v34, v1, 2, v34
	v_or_b32_e32 v35, 1, v34
	v_pk_mul_f32 v[66:67], s[6:7], v[36:37] op_sel_hi:[0,1]
	v_subrev_u32_e32 v36, s29, v35
	v_add_u32_e32 v38, 1, v36
	v_add_u32_e32 v39, 2, v36
	v_cvt_f32_i32_e32 v37, v36
	v_cvt_f32_i32_e32 v38, v38
	;; [unrolled: 1-line block ×3, first 2 shown]
	v_add_u32_e32 v40, 3, v36
	v_fma_f32 v60, v89, v37, v60
	v_fmac_f32_e32 v61, v89, v38
	v_fma_f32 v78, v89, v39, v78
	v_add_u32_e32 v37, 16, v36
	v_add_u32_e32 v38, 17, v36
	;; [unrolled: 1-line block ×3, first 2 shown]
	v_cvt_f32_i32_e32 v40, v40
	v_cvt_f32_i32_e32 v37, v37
	v_cvt_f32_i32_e32 v38, v38
	v_cvt_f32_i32_e32 v39, v39
	v_fmac_f32_e32 v79, v89, v40
	v_add_u32_e32 v40, 19, v36
	v_fma_f32 v76, v89, v37, v76
	v_fmac_f32_e32 v77, v89, v38
	v_fma_f32 v74, v89, v39, v74
	v_add_u32_e32 v37, 32, v36
	v_add_u32_e32 v38, 33, v36
	;; [unrolled: 1-line block ×3, first 2 shown]
	v_cvt_f32_i32_e32 v40, v40
	v_cvt_f32_i32_e32 v37, v37
	v_cvt_f32_i32_e32 v38, v38
	v_cvt_f32_i32_e32 v39, v39
	v_fmac_f32_e32 v75, v89, v40
	v_add_u32_e32 v40, 35, v36
	v_fma_f32 v72, v89, v37, v72
	v_fmac_f32_e32 v73, v89, v38
	v_fma_f32 v70, v89, v39, v70
	v_add_u32_e32 v37, 48, v36
	v_add_u32_e32 v38, 49, v36
	;; [unrolled: 1-line block ×4, first 2 shown]
	v_cvt_f32_i32_e32 v36, v36
	v_cvt_f32_i32_e32 v37, v37
	;; [unrolled: 1-line block ×3, first 2 shown]
	v_cmp_gt_i32_e64 s[30:31], s29, v34
	v_fmac_f32_e32 v67, v89, v36
	v_mov_b32_e32 v36, 0xff7fffff
	v_cmp_gt_i32_e64 s[34:35], s29, v35
	v_fma_f32 v68, v89, v37, v68
	v_cndmask_b32_e64 v37, v36, v60, s[30:31]
	v_cndmask_b32_e64 v35, v36, v61, s[34:35]
	v_fmac_f32_e32 v69, v89, v38
	v_max3_f32 v35, v37, s5, v35
	v_or_b32_e32 v37, 2, v34
	v_or_b32_e32 v38, 3, v34
	v_cmp_gt_i32_e64 s[36:37], s29, v37
	v_cmp_gt_i32_e64 s[38:39], s29, v38
	v_cvt_f32_i32_e32 v40, v40
	v_cndmask_b32_e64 v37, v36, v78, s[36:37]
	v_cndmask_b32_e64 v38, v36, v79, s[38:39]
	v_max3_f32 v35, v35, v37, v38
	v_or_b32_e32 v37, 16, v34
	v_or_b32_e32 v38, 17, v34
	v_cmp_gt_i32_e64 s[24:25], s29, v37
	v_cmp_gt_i32_e64 s[26:27], s29, v38
	v_fmac_f32_e32 v71, v89, v40
	v_cndmask_b32_e64 v37, v36, v76, s[24:25]
	v_cndmask_b32_e64 v38, v36, v77, s[26:27]
	v_max3_f32 v35, v35, v37, v38
	v_or_b32_e32 v37, 18, v34
	v_or_b32_e32 v38, 19, v34
	v_cmp_gt_i32_e64 s[20:21], s29, v37
	v_cmp_gt_i32_e64 s[22:23], s29, v38
	v_cvt_f32_i32_e32 v39, v39
	v_cndmask_b32_e64 v37, v36, v74, s[20:21]
	v_cndmask_b32_e64 v38, v36, v75, s[22:23]
	v_max3_f32 v35, v35, v37, v38
	v_or_b32_e32 v37, 32, v34
	v_or_b32_e32 v38, 33, v34
	v_cmp_gt_i32_e64 s[16:17], s29, v37
	v_cmp_gt_i32_e64 s[18:19], s29, v38
	v_fma_f32 v66, v89, v39, v66
	v_cndmask_b32_e64 v37, v36, v72, s[16:17]
	v_cndmask_b32_e64 v38, v36, v73, s[18:19]
	v_max3_f32 v35, v35, v37, v38
	v_or_b32_e32 v37, 34, v34
	v_or_b32_e32 v38, 35, v34
	v_cmp_gt_i32_e64 s[12:13], s29, v37
	v_cmp_gt_i32_e64 s[14:15], s29, v38
	s_nop 0
	v_cndmask_b32_e64 v37, v36, v70, s[12:13]
	v_cndmask_b32_e64 v38, v36, v71, s[14:15]
	v_max3_f32 v35, v35, v37, v38
	v_or_b32_e32 v37, 48, v34
	v_or_b32_e32 v38, 49, v34
	v_cmp_gt_i32_e64 s[8:9], s29, v37
	v_cmp_gt_i32_e64 s[10:11], s29, v38
	s_nop 0
	v_cndmask_b32_e64 v37, v36, v68, s[8:9]
	v_cndmask_b32_e64 v38, v36, v69, s[10:11]
	v_max3_f32 v35, v35, v37, v38
	v_or_b32_e32 v37, 50, v34
	v_or_b32_e32 v34, 51, v34
	v_cmp_gt_i32_e32 vcc, s29, v37
	v_cmp_gt_i32_e64 s[6:7], s29, v34
	global_load_dwordx4 v[46:49], v[42:43], off
	global_load_dwordx4 v[38:41], v[42:43], off offset:16
	v_cndmask_b32_e32 v37, v36, v66, vcc
	v_cndmask_b32_e64 v34, v36, v67, s[6:7]
	v_max3_f32 v50, v35, v37, v34
	v_mbcnt_lo_u32_b32 v34, -1, 0
	v_mbcnt_hi_u32_b32 v51, -1, v34
	v_and_b32_e32 v34, 64, v51
	v_add_u32_e32 v52, 64, v34
	v_xor_b32_e32 v34, 32, v51
	v_cmp_lt_i32_e64 s[40:41], v34, v52
	s_nop 1
	v_cndmask_b32_e64 v34, v51, v34, s[40:41]
	v_lshlrev_b32_e32 v85, 2, v34
	ds_bpermute_b32 v53, v85, v50
	v_lshl_add_u64 v[34:35], v[80:81], 0, v[54:55]
	global_load_dwordx4 v[42:45], v[34:35], off
	s_nop 0
	global_load_dwordx4 v[34:37], v[34:35], off offset:16
	s_waitcnt lgkmcnt(0)
	v_max_f32_e32 v53, v53, v53
	v_max_f32_e32 v62, v50, v53
	v_xor_b32_e32 v50, 16, v51
	v_cmp_lt_i32_e64 s[40:41], v50, v52
	s_nop 1
	v_cndmask_b32_e64 v50, v51, v50, s[40:41]
	v_lshlrev_b32_e32 v89, 2, v50
	ds_bpermute_b32 v63, v89, v62
	v_lshl_add_u64 v[50:51], v[80:81], 0, v[56:57]
	global_load_dwordx4 v[54:57], v[50:51], off
	s_nop 0
	global_load_dwordx4 v[50:53], v[50:51], off offset:16
	s_waitcnt lgkmcnt(0)
	v_max_f32_e32 v63, v63, v63
	v_max_f32_e32 v84, v62, v63
	v_sub_f32_e32 v60, v60, v84
	v_mul_f32_e32 v60, 0x3fb8aa3b, v60
	v_exp_f32_e32 v80, v60
	v_sub_f32_e32 v60, v61, v84
	v_mul_f32_e32 v60, 0x3fb8aa3b, v60
	v_exp_f32_e32 v81, v60
	global_load_dwordx4 v[62:65], v[58:59], off
	s_nop 0
	global_load_dwordx4 v[58:61], v[58:59], off offset:16
	v_sub_f32_e32 v78, v78, v84
	v_mul_f32_e32 v78, 0x3fb8aa3b, v78
	v_sub_f32_e32 v79, v79, v84
	v_exp_f32_e32 v78, v78
	v_mul_f32_e32 v79, 0x3fb8aa3b, v79
	v_sub_f32_e32 v76, v76, v84
	v_exp_f32_e32 v79, v79
	v_mul_f32_e32 v76, 0x3fb8aa3b, v76
	v_sub_f32_e32 v77, v77, v84
	v_cndmask_b32_e64 v80, 0, v80, s[30:31]
	v_exp_f32_e32 v76, v76
	v_mul_f32_e32 v77, 0x3fb8aa3b, v77
	v_sub_f32_e32 v74, v74, v84
	v_add_f32_e32 v91, 0, v80
	v_cndmask_b32_e64 v81, 0, v81, s[34:35]
	v_exp_f32_e32 v77, v77
	v_mul_f32_e32 v74, 0x3fb8aa3b, v74
	v_sub_f32_e32 v75, v75, v84
	v_add_f32_e32 v91, v91, v81
	;; [unrolled: 5-line block ×10, first 2 shown]
	v_cndmask_b32_e64 v70, 0, v70, s[12:13]
	v_exp_f32_e32 v66, v66
	v_mul_f32_e32 v67, 0x3fb8aa3b, v67
	v_add_f32_e32 v91, v91, v70
	v_cndmask_b32_e64 v71, 0, v71, s[14:15]
	v_exp_f32_e32 v67, v67
	v_add_f32_e32 v91, v91, v71
	v_cndmask_b32_e64 v68, 0, v68, s[8:9]
	v_add_f32_e32 v91, v91, v68
	v_cndmask_b32_e64 v69, 0, v69, s[10:11]
	v_add_f32_e32 v91, v91, v69
	v_cndmask_b32_e32 v66, 0, v66, vcc
	v_add_f32_e32 v91, v91, v66
	v_cndmask_b32_e64 v67, 0, v67, s[6:7]
	v_add_f32_e32 v91, v91, v67
	ds_bpermute_b32 v85, v85, v91
	v_cmp_lt_u32_e64 s[6:7], 15, v88
	v_cmp_gt_u32_e32 vcc, 16, v88
	s_waitcnt lgkmcnt(0)
	s_barrier
	v_add_f32_e32 v85, v91, v85
	ds_bpermute_b32 v89, v89, v85
	s_waitcnt lgkmcnt(0)
	s_and_saveexec_b64 s[8:9], vcc
	s_cbranch_execz .LBB360_17
; %bb.16:
	v_add_f32_e32 v85, v85, v89
	v_lshlrev_b32_e32 v88, 2, v90
	ds_write2st64_b32 v88, v84, v85 offset1:1
.LBB360_17:
	s_or_b64 exec, exec, s[8:9]
	v_lshlrev_b32_e32 v85, 2, v82
	s_load_dwordx2 s[8:9], s[0:1], 0x94
	s_waitcnt lgkmcnt(0)
	s_barrier
	ds_read2_b32 v[88:89], v85 offset1:16
	ds_read2_b32 v[90:91], v85 offset0:32 offset1:48
	ds_read2_b32 v[92:93], v85 offset0:64 offset1:80
	s_waitcnt lgkmcnt(2)
	v_max3_f32 v84, v88, s5, v89
	s_waitcnt lgkmcnt(1)
	v_max3_f32 v84, v84, v90, v91
	v_sub_f32_e32 v88, v88, v84
	v_mul_f32_e32 v88, 0x3fb8aa3b, v88
	v_exp_f32_e32 v94, v88
	v_sub_f32_e32 v88, v89, v84
	v_mul_f32_e32 v88, 0x3fb8aa3b, v88
	v_exp_f32_e32 v95, v88
	;; [unrolled: 3-line block ×3, first 2 shown]
	ds_read2_b32 v[88:89], v85 offset0:96 offset1:112
	v_sub_f32_e32 v85, v91, v84
	v_mul_f32_e32 v85, 0x3fb8aa3b, v85
	v_exp_f32_e32 v91, v85
	s_waitcnt lgkmcnt(1)
	v_fma_f32 v85, v94, v92, 0
	v_fmac_f32_e32 v85, v95, v93
	s_waitcnt lgkmcnt(0)
	v_fmac_f32_e32 v85, v90, v88
	v_fmac_f32_e32 v85, v91, v89
	v_add_f32_e32 v89, 0x358637bd, v85
	v_div_scale_f32 v92, s[10:11], v89, v89, 1.0
	v_rcp_f32_e32 v93, v92
	v_mov_b32_e32 v88, 0
	s_barrier
	v_fma_f32 v1, -v92, v93, 1.0
	v_fmac_f32_e32 v93, v1, v93
	v_div_scale_f32 v1, vcc, 1.0, v89, 1.0
	v_mul_f32_e32 v86, v1, v93
	v_fma_f32 v87, -v92, v86, v1
	v_fmac_f32_e32 v86, v87, v93
	v_fma_f32 v1, -v92, v86, v1
	v_div_fmas_f32 v1, v1, v93, v86
	v_cmp_eq_u32_e32 vcc, 1, v83
	v_div_fixup_f32 v1, v1, v89, 1.0
	s_nop 0
	v_cndmask_b32_e32 v86, v94, v95, vcc
	v_cmp_eq_u32_e32 vcc, 2, v83
	s_nop 1
	v_cndmask_b32_e32 v86, v86, v90, vcc
	v_cmp_eq_u32_e32 vcc, 3, v83
	s_nop 1
	v_cndmask_b32_e32 v86, v86, v91, vcc
	v_mul_f32_e32 v90, v86, v1
	v_pk_mul_f32 v[78:79], v[90:91], v[78:79] op_sel_hi:[0,1]
	v_cvt_f16_f32_e32 v78, v78
	v_cvt_f16_f32_e32 v79, v79
	v_pk_mul_f32 v[80:81], v[90:91], v[80:81] op_sel_hi:[0,1]
	v_cvt_f16_f32_e32 v1, v80
	v_cvt_f16_f32_e32 v80, v81
	v_pk_mul_f32 v[74:75], v[90:91], v[74:75] op_sel_hi:[0,1]
	v_pk_mul_f32 v[76:77], v[90:91], v[76:77] op_sel_hi:[0,1]
	v_pack_b32_f16 v81, v78, v79
	v_cvt_f16_f32_e32 v76, v76
	v_cvt_f16_f32_e32 v77, v77
	;; [unrolled: 1-line block ×4, first 2 shown]
	v_bfe_u32 v86, v0, 4, 2
	v_pack_b32_f16 v80, v1, v80
	v_lshlrev_b32_e32 v1, 3, v86
	v_lshlrev_b32_e32 v78, 5, v82
	;; [unrolled: 1-line block ×3, first 2 shown]
	v_pk_mul_f32 v[70:71], v[90:91], v[70:71] op_sel_hi:[0,1]
	v_pk_mul_f32 v[72:73], v[90:91], v[72:73] op_sel_hi:[0,1]
	;; [unrolled: 1-line block ×4, first 2 shown]
	v_or3_b32 v74, v74, v78, v1
	v_pack_b32_f16 v76, v76, v77
	v_pack_b32_f16 v77, v79, v75
	v_cvt_f16_f32_e32 v1, v72
	v_cvt_f16_f32_e32 v72, v73
	;; [unrolled: 1-line block ×8, first 2 shown]
	v_pack_b32_f16 v66, v1, v72
	v_pack_b32_f16 v67, v70, v71
	;; [unrolled: 1-line block ×4, first 2 shown]
	v_cmp_eq_u32_e32 vcc, 0, v0
	ds_write2st64_b64 v74, v[80:81], v[76:77] offset1:1
	ds_write2st64_b64 v74, v[66:67], v[68:69] offset0:2 offset1:3
	s_and_saveexec_b64 s[10:11], vcc
	s_cbranch_execz .LBB360_19
; %bb.18:
	s_mul_i32 s3, s3, s9
	s_mul_hi_u32 s5, s2, s9
	s_add_i32 s5, s5, s3
	s_mul_i32 s3, s2, s9
	s_add_u32 s3, s3, s4
	s_addc_u32 s5, s5, 0
	s_load_dwordx4 s[12:15], s[0:1], 0x58
	s_mul_i32 s5, s5, s8
	s_mul_hi_u32 s16, s3, s8
	s_add_i32 s5, s16, s5
	s_mul_i32 s3, s3, s8
	s_add_u32 s16, s3, s28
	s_addc_u32 s17, s5, 0
	s_lshl_b64 s[16:17], s[16:17], 2
	s_waitcnt lgkmcnt(0)
	s_add_u32 s14, s14, s16
	s_addc_u32 s15, s15, s17
	s_add_u32 s12, s12, s16
	s_addc_u32 s13, s13, s17
	global_store_dword v88, v84, s[14:15]
	global_store_dword v88, v85, s[12:13]
.LBB360_19:
	s_or_b64 exec, exec, s[10:11]
	v_lshl_or_b32 v1, v86, 9, v78
	s_waitcnt lgkmcnt(0)
	s_barrier
	ds_read_b128 v[70:73], v1
	ds_read_b128 v[66:69], v1 offset:16
	s_waitcnt vmcnt(15) lgkmcnt(1)
	v_mfma_f32_16x16x16_f16 v[76:79], v[30:31], v[70:71], 0
	v_cmp_gt_u32_e32 vcc, 64, v0
	s_xor_b64 s[6:7], s[6:7], -1
	s_mov_b32 s3, 0
	v_mfma_f32_16x16x16_f16 v[30:33], v[32:33], v[72:73], v[76:79]
	s_and_b64 s[6:7], vcc, s[6:7]
	s_waitcnt vmcnt(14) lgkmcnt(0)
	v_mfma_f32_16x16x16_f16 v[30:33], v[26:27], v[66:67], v[30:33]
	v_mfma_f32_16x16x16_f16 v[26:29], v[28:29], v[68:69], v[30:33]
	s_nop 5
	ds_read_b128 v[30:33], v1 offset:2048
	ds_read_b128 v[76:79], v1 offset:2064
	s_waitcnt vmcnt(13) lgkmcnt(1)
	v_mfma_f32_16x16x16_f16 v[26:29], v[22:23], v[30:31], v[26:29]
	v_mfma_f32_16x16x16_f16 v[22:25], v[24:25], v[32:33], v[26:29]
	s_waitcnt vmcnt(12) lgkmcnt(0)
	v_mfma_f32_16x16x16_f16 v[22:25], v[18:19], v[76:77], v[22:25]
	v_mfma_f32_16x16x16_f16 v[18:21], v[20:21], v[78:79], v[22:25]
	s_nop 5
	ds_read_b128 v[22:25], v1 offset:4096
	ds_read_b128 v[26:29], v1 offset:4112
	s_waitcnt vmcnt(11) lgkmcnt(1)
	v_mfma_f32_16x16x16_f16 v[18:21], v[14:15], v[22:23], v[18:21]
	v_mfma_f32_16x16x16_f16 v[14:17], v[16:17], v[24:25], v[18:21]
	s_waitcnt vmcnt(10) lgkmcnt(0)
	v_mfma_f32_16x16x16_f16 v[14:17], v[10:11], v[26:27], v[14:17]
	v_mfma_f32_16x16x16_f16 v[10:13], v[12:13], v[28:29], v[14:17]
	s_nop 5
	ds_read_b128 v[14:17], v1 offset:6144
	ds_read_b128 v[18:21], v1 offset:6160
	s_waitcnt lgkmcnt(0)
	s_barrier
	s_waitcnt vmcnt(9)
	v_mfma_f32_16x16x16_f16 v[10:13], v[6:7], v[14:15], v[10:13]
	v_mfma_f32_16x16x16_f16 v[6:9], v[8:9], v[16:17], v[10:13]
	s_waitcnt vmcnt(8)
	v_mfma_f32_16x16x16_f16 v[6:9], v[2:3], v[18:19], v[6:9]
	v_mfma_f32_16x16x16_f16 v[2:5], v[4:5], v[20:21], v[6:9]
	;; [unrolled: 3-line block ×3, first 2 shown]
	s_nop 3
	v_cvt_f16_f32_e32 v1, v2
	v_cvt_f16_f32_e32 v10, v3
	;; [unrolled: 1-line block ×3, first 2 shown]
	s_waitcnt vmcnt(6)
	v_mfma_f32_16x16x16_f16 v[6:9], v[38:39], v[66:67], v[6:9]
	v_cvt_f16_f32_e32 v12, v5
	v_mfma_f32_16x16x16_f16 v[6:9], v[40:41], v[68:69], v[6:9]
	s_waitcnt vmcnt(5)
	v_mfma_f32_16x16x16_f16 v[6:9], v[42:43], v[30:31], v[6:9]
	v_mfma_f32_16x16x16_f16 v[6:9], v[44:45], v[32:33], v[6:9]
	s_waitcnt vmcnt(4)
	v_mfma_f32_16x16x16_f16 v[6:9], v[34:35], v[76:77], v[6:9]
	;; [unrolled: 3-line block ×6, first 2 shown]
	v_mfma_f32_16x16x16_f16 v[2:5], v[60:61], v[20:21], v[6:9]
	s_nop 6
	v_cvt_f16_f32_e32 v6, v2
	v_cvt_f16_f32_e32 v7, v3
	;; [unrolled: 1-line block ×4, first 2 shown]
	v_pack_b32_f16 v2, v1, v10
	v_pack_b32_f16 v3, v11, v12
	v_pack_b32_f16 v4, v6, v7
	v_pack_b32_f16 v5, v8, v5
	ds_write2st64_b64 v74, v[2:3], v[4:5] offset1:1
	s_waitcnt lgkmcnt(0)
	s_barrier
	s_and_saveexec_b64 s[10:11], s[6:7]
	s_cbranch_execz .LBB360_21
; %bb.20:
	scratch_load_dwordx2 v[4:5], off, off   ; 8-byte Folded Reload
	s_load_dwordx2 s[0:1], s[0:1], 0x68
	s_mul_i32 s2, s9, s2
	s_lshl_b32 s5, s8, 7
	s_mul_hi_u32 s7, s2, s5
	s_mul_i32 s6, s2, s5
	s_lshl_b64 s[6:7], s[6:7], 1
	v_lshlrev_b32_e32 v3, 6, v82
	s_waitcnt lgkmcnt(0)
	s_add_u32 s6, s0, s6
	v_lshlrev_b32_e32 v2, 4, v0
	v_lshl_or_b32 v0, v0, 10, v3
	s_addc_u32 s7, s1, s7
	s_lshl_b32 s2, s28, 7
	v_lshlrev_b32_e32 v1, 5, v86
	v_and_b32_e32 v2, 16, v2
	v_and_b32_e32 v0, 0x1a00, v0
	s_lshl_b64 s[0:1], s[2:3], 1
	v_or3_b32 v0, v0, v1, v2
	s_add_u32 s2, s6, s0
	ds_read_b128 v[0:3], v0
	s_addc_u32 s3, s7, s1
	s_mul_hi_u32 s1, s5, s4
	s_mul_i32 s0, s5, s4
	s_lshl_b64 s[0:1], s[0:1], 1
	s_add_u32 s0, s2, s0
	s_addc_u32 s1, s3, s1
	s_waitcnt vmcnt(0)
	v_lshl_add_u64 v[4:5], v[4:5], 1, s[0:1]
	s_waitcnt lgkmcnt(0)
	global_store_dwordx4 v[4:5], v[0:3], off
.LBB360_21:
	s_endpgm
	.section	.rodata,"a",@progbits
	.p2align	6, 0x0
	.amdhsa_kernel _Z39paged_attention_ll4mi_QKV_mfma16_kernelIDF16_DF16_LN4vllm18Fp8KVCacheDataTypeE0EDF16_Li32ELi128ELi256ELb1ELi1EEvPKT_PKT0_S7_ifPKiS9_S9_iPKfiiiPfSC_PS2_PT2_iSB_SB_
		.amdhsa_group_segment_fixed_size 8192
		.amdhsa_private_segment_fixed_size 12
		.amdhsa_kernarg_size 400
		.amdhsa_user_sgpr_count 2
		.amdhsa_user_sgpr_dispatch_ptr 0
		.amdhsa_user_sgpr_queue_ptr 0
		.amdhsa_user_sgpr_kernarg_segment_ptr 1
		.amdhsa_user_sgpr_dispatch_id 0
		.amdhsa_user_sgpr_kernarg_preload_length 0
		.amdhsa_user_sgpr_kernarg_preload_offset 0
		.amdhsa_user_sgpr_private_segment_size 0
		.amdhsa_uses_dynamic_stack 0
		.amdhsa_enable_private_segment 1
		.amdhsa_system_sgpr_workgroup_id_x 1
		.amdhsa_system_sgpr_workgroup_id_y 1
		.amdhsa_system_sgpr_workgroup_id_z 1
		.amdhsa_system_sgpr_workgroup_info 0
		.amdhsa_system_vgpr_workitem_id 0
		.amdhsa_next_free_vgpr 96
		.amdhsa_next_free_sgpr 42
		.amdhsa_accum_offset 96
		.amdhsa_reserve_vcc 1
		.amdhsa_float_round_mode_32 0
		.amdhsa_float_round_mode_16_64 0
		.amdhsa_float_denorm_mode_32 3
		.amdhsa_float_denorm_mode_16_64 3
		.amdhsa_dx10_clamp 1
		.amdhsa_ieee_mode 1
		.amdhsa_fp16_overflow 0
		.amdhsa_tg_split 0
		.amdhsa_exception_fp_ieee_invalid_op 0
		.amdhsa_exception_fp_denorm_src 0
		.amdhsa_exception_fp_ieee_div_zero 0
		.amdhsa_exception_fp_ieee_overflow 0
		.amdhsa_exception_fp_ieee_underflow 0
		.amdhsa_exception_fp_ieee_inexact 0
		.amdhsa_exception_int_div_zero 0
	.end_amdhsa_kernel
	.section	.text._Z39paged_attention_ll4mi_QKV_mfma16_kernelIDF16_DF16_LN4vllm18Fp8KVCacheDataTypeE0EDF16_Li32ELi128ELi256ELb1ELi1EEvPKT_PKT0_S7_ifPKiS9_S9_iPKfiiiPfSC_PS2_PT2_iSB_SB_,"axG",@progbits,_Z39paged_attention_ll4mi_QKV_mfma16_kernelIDF16_DF16_LN4vllm18Fp8KVCacheDataTypeE0EDF16_Li32ELi128ELi256ELb1ELi1EEvPKT_PKT0_S7_ifPKiS9_S9_iPKfiiiPfSC_PS2_PT2_iSB_SB_,comdat
.Lfunc_end360:
	.size	_Z39paged_attention_ll4mi_QKV_mfma16_kernelIDF16_DF16_LN4vllm18Fp8KVCacheDataTypeE0EDF16_Li32ELi128ELi256ELb1ELi1EEvPKT_PKT0_S7_ifPKiS9_S9_iPKfiiiPfSC_PS2_PT2_iSB_SB_, .Lfunc_end360-_Z39paged_attention_ll4mi_QKV_mfma16_kernelIDF16_DF16_LN4vllm18Fp8KVCacheDataTypeE0EDF16_Li32ELi128ELi256ELb1ELi1EEvPKT_PKT0_S7_ifPKiS9_S9_iPKfiiiPfSC_PS2_PT2_iSB_SB_
                                        ; -- End function
	.section	.AMDGPU.csdata,"",@progbits
; Kernel info:
; codeLenInByte = 4812
; NumSgprs: 48
; NumVgprs: 96
; NumAgprs: 0
; TotalNumVgprs: 96
; ScratchSize: 12
; MemoryBound: 0
; FloatMode: 240
; IeeeMode: 1
; LDSByteSize: 8192 bytes/workgroup (compile time only)
; SGPRBlocks: 5
; VGPRBlocks: 11
; NumSGPRsForWavesPerEU: 48
; NumVGPRsForWavesPerEU: 96
; AccumOffset: 96
; Occupancy: 5
; WaveLimiterHint : 1
; COMPUTE_PGM_RSRC2:SCRATCH_EN: 1
; COMPUTE_PGM_RSRC2:USER_SGPR: 2
; COMPUTE_PGM_RSRC2:TRAP_HANDLER: 0
; COMPUTE_PGM_RSRC2:TGID_X_EN: 1
; COMPUTE_PGM_RSRC2:TGID_Y_EN: 1
; COMPUTE_PGM_RSRC2:TGID_Z_EN: 1
; COMPUTE_PGM_RSRC2:TIDIG_COMP_CNT: 0
; COMPUTE_PGM_RSRC3_GFX90A:ACCUM_OFFSET: 23
; COMPUTE_PGM_RSRC3_GFX90A:TG_SPLIT: 0
	.section	.text._Z39paged_attention_ll4mi_QKV_mfma16_kernelIDF16_DF16_LN4vllm18Fp8KVCacheDataTypeE0EDF16_Li32ELi128ELi256ELb1ELi2EEvPKT_PKT0_S7_ifPKiS9_S9_iPKfiiiPfSC_PS2_PT2_iSB_SB_,"axG",@progbits,_Z39paged_attention_ll4mi_QKV_mfma16_kernelIDF16_DF16_LN4vllm18Fp8KVCacheDataTypeE0EDF16_Li32ELi128ELi256ELb1ELi2EEvPKT_PKT0_S7_ifPKiS9_S9_iPKfiiiPfSC_PS2_PT2_iSB_SB_,comdat
	.protected	_Z39paged_attention_ll4mi_QKV_mfma16_kernelIDF16_DF16_LN4vllm18Fp8KVCacheDataTypeE0EDF16_Li32ELi128ELi256ELb1ELi2EEvPKT_PKT0_S7_ifPKiS9_S9_iPKfiiiPfSC_PS2_PT2_iSB_SB_ ; -- Begin function _Z39paged_attention_ll4mi_QKV_mfma16_kernelIDF16_DF16_LN4vllm18Fp8KVCacheDataTypeE0EDF16_Li32ELi128ELi256ELb1ELi2EEvPKT_PKT0_S7_ifPKiS9_S9_iPKfiiiPfSC_PS2_PT2_iSB_SB_
	.globl	_Z39paged_attention_ll4mi_QKV_mfma16_kernelIDF16_DF16_LN4vllm18Fp8KVCacheDataTypeE0EDF16_Li32ELi128ELi256ELb1ELi2EEvPKT_PKT0_S7_ifPKiS9_S9_iPKfiiiPfSC_PS2_PT2_iSB_SB_
	.p2align	8
	.type	_Z39paged_attention_ll4mi_QKV_mfma16_kernelIDF16_DF16_LN4vllm18Fp8KVCacheDataTypeE0EDF16_Li32ELi128ELi256ELb1ELi2EEvPKT_PKT0_S7_ifPKiS9_S9_iPKfiiiPfSC_PS2_PT2_iSB_SB_,@function
_Z39paged_attention_ll4mi_QKV_mfma16_kernelIDF16_DF16_LN4vllm18Fp8KVCacheDataTypeE0EDF16_Li32ELi128ELi256ELb1ELi2EEvPKT_PKT0_S7_ifPKiS9_S9_iPKfiiiPfSC_PS2_PT2_iSB_SB_: ; @_Z39paged_attention_ll4mi_QKV_mfma16_kernelIDF16_DF16_LN4vllm18Fp8KVCacheDataTypeE0EDF16_Li32ELi128ELi256ELb1ELi2EEvPKT_PKT0_S7_ifPKiS9_S9_iPKfiiiPfSC_PS2_PT2_iSB_SB_
; %bb.0:
	s_load_dwordx2 s[8:9], s[0:1], 0x30
	s_mov_b32 s26, s3
	s_mov_b64 s[6:7], 0
	s_waitcnt lgkmcnt(0)
	s_cmp_lg_u64 s[8:9], 0
	s_cselect_b64 s[10:11], -1, 0
	s_and_b64 vcc, exec, s[10:11]
	s_cbranch_vccz .LBB361_7
; %bb.1:
	s_add_i32 s12, s2, 1
	s_mov_b32 s13, 0
	s_lshl_b64 s[14:15], s[12:13], 2
	s_add_u32 s14, s8, s14
	s_mov_b32 s3, s13
	s_addc_u32 s15, s9, s15
	s_lshl_b64 s[12:13], s[2:3], 2
	s_add_u32 s12, s8, s12
	s_addc_u32 s13, s9, s13
	s_load_dword s5, s[14:15], 0x0
	s_load_dword s16, s[12:13], 0x0
	s_waitcnt lgkmcnt(0)
	s_sub_i32 s5, s5, s16
	s_cmp_eq_u32 s5, 1
	s_cselect_b64 s[12:13], -1, 0
	s_andn2_b64 vcc, exec, s[6:7]
	s_cbranch_vccnz .LBB361_3
.LBB361_2:
	s_mov_b32 s3, 0
	s_mov_b64 s[12:13], -1
.LBB361_3:
	s_andn2_b64 vcc, exec, s[12:13]
	s_cbranch_vccnz .LBB361_21
; %bb.4:
	s_load_dwordx2 s[6:7], s[0:1], 0x28
	s_lshl_b64 s[12:13], s[2:3], 2
	s_waitcnt lgkmcnt(0)
	s_add_u32 s6, s6, s12
	s_addc_u32 s7, s7, s13
	s_load_dword s33, s[6:7], 0x0
	s_lshl_b32 s18, s26, 8
	s_waitcnt lgkmcnt(0)
	s_cmp_ge_i32 s18, s33
	s_cbranch_scc1 .LBB361_21
; %bb.5:
	s_load_dwordx2 s[6:7], s[0:1], 0x20
	s_load_dword s5, s[0:1], 0x38
	s_add_i32 s14, s33, 31
	s_ashr_i32 s15, s14, 31
	v_and_b32_e32 v1, 0xcf, v0
	s_lshr_b32 s15, s15, 27
	v_add_u32_e32 v1, s18, v1
	s_add_i32 s14, s14, s15
	v_ashrrev_i32_e32 v2, 31, v1
	s_ashr_i32 s19, s14, 5
	v_lshrrev_b32_e32 v4, 27, v2
	s_add_i32 s19, s19, -1
	s_waitcnt lgkmcnt(0)
	s_mul_i32 s14, s2, s5
	s_mov_b32 s15, 0
	v_add_u32_e32 v2, v1, v4
	s_lshl_b64 s[14:15], s[14:15], 2
	v_ashrrev_i32_e32 v2, 5, v2
	v_mov_b32_e32 v5, s19
	v_cmp_gt_i32_e32 vcc, s33, v1
	s_add_u32 s6, s6, s14
	s_addc_u32 s7, s7, s15
	v_cndmask_b32_e32 v2, v5, v2, vcc
	v_ashrrev_i32_e32 v3, 31, v2
	v_lshl_add_u64 v[6:7], v[2:3], 2, s[6:7]
	v_or_b32_e32 v2, 16, v1
	v_add_u32_e32 v3, v2, v4
	v_ashrrev_i32_e32 v3, 5, v3
	v_cmp_gt_i32_e32 vcc, s33, v2
	s_nop 1
	v_cndmask_b32_e32 v2, v5, v3, vcc
	v_ashrrev_i32_e32 v3, 31, v2
	v_lshl_add_u64 v[8:9], v[2:3], 2, s[6:7]
	v_or_b32_e32 v2, 32, v1
	v_add_u32_e32 v3, v2, v4
	v_ashrrev_i32_e32 v3, 5, v3
	v_cmp_gt_i32_e32 vcc, s33, v2
	v_or_b32_e32 v1, 48, v1
	s_nop 0
	v_cndmask_b32_e32 v2, v5, v3, vcc
	v_ashrrev_i32_e32 v3, 31, v2
	v_lshl_add_u64 v[10:11], v[2:3], 2, s[6:7]
	v_add_u32_e32 v2, v1, v4
	v_ashrrev_i32_e32 v2, 5, v2
	v_cmp_gt_i32_e32 vcc, s33, v1
	s_nop 1
	v_cndmask_b32_e32 v2, v5, v2, vcc
	v_ashrrev_i32_e32 v3, 31, v2
	v_lshl_add_u64 v[12:13], v[2:3], 2, s[6:7]
	global_load_dword v5, v[6:7], off
	global_load_dword v4, v[8:9], off
	;; [unrolled: 1-line block ×4, first 2 shown]
	s_andn2_b64 vcc, exec, s[10:11]
	s_cbranch_vccnz .LBB361_8
; %bb.6:
	s_add_u32 s8, s8, s12
	s_addc_u32 s9, s9, s13
	s_load_dword s5, s[8:9], 0x0
	s_branch .LBB361_9
.LBB361_7:
	s_mov_b64 s[12:13], 0
	s_branch .LBB361_2
.LBB361_8:
	s_mov_b32 s5, s2
.LBB361_9:
	s_load_dwordx2 s[14:15], s[0:1], 0x8
	s_load_dwordx4 s[8:11], s[0:1], 0x48
	v_lshrrev_b32_e32 v87, 6, v0
	v_bfe_u32 v1, v0, 4, 2
	v_lshl_or_b32 v6, v87, 2, v1
	v_and_b32_e32 v88, 15, v0
	v_lshlrev_b32_e32 v82, 3, v88
	v_cmp_lt_u32_e32 vcc, 1, v6
	s_and_saveexec_b64 s[12:13], vcc
	s_xor_b64 s[12:13], exec, s[12:13]
; %bb.10:
	v_mov_b32_e32 v83, 0
                                        ; implicit-def: $vgpr6
; %bb.11:
	s_or_saveexec_b64 s[16:17], s[12:13]
	s_load_dwordx2 s[12:13], s[0:1], 0x10
	s_lshl_b32 s27, s4, 1
	s_xor_b64 exec, exec, s[16:17]
	s_cbranch_execz .LBB361_13
; %bb.12:
	s_load_dwordx2 s[20:21], s[0:1], 0x0
	s_waitcnt lgkmcnt(0)
	s_ashr_i32 s11, s8, 31
	s_mul_hi_u32 s22, s5, s8
	s_mul_i32 s11, s5, s11
	s_add_i32 s23, s22, s11
	s_mul_i32 s22, s5, s8
	s_lshl_b64 s[22:23], s[22:23], 1
	s_add_u32 s20, s20, s22
	v_add_lshl_u32 v8, v1, s27, 7
	s_addc_u32 s21, s21, s23
	v_ashrrev_i32_e32 v9, 31, v8
	v_mov_b32_e32 v83, 0
	v_lshl_add_u64 v[8:9], v[8:9], 1, s[20:21]
	v_lshlrev_b32_e32 v10, 1, v82
	v_mov_b32_e32 v11, v83
	v_lshl_add_u64 v[8:9], v[8:9], 0, v[10:11]
	global_load_dwordx4 v[8:11], v[8:9], off
	v_and_b32_e32 v7, 3, v0
	v_lshlrev_b32_e32 v12, 9, v88
	v_lshlrev_b32_e32 v6, 5, v6
	;; [unrolled: 1-line block ×3, first 2 shown]
	v_and_b32_e32 v12, 0x1800, v12
	v_or3_b32 v6, v12, v7, v6
	s_waitcnt vmcnt(0)
	ds_write_b128 v6, v[8:11]
.LBB361_13:
	s_or_b64 exec, exec, s[16:17]
	s_waitcnt lgkmcnt(0)
	s_mul_i32 s4, s4, s10
	s_mov_b32 s5, 0
	s_lshl_b64 s[4:5], s[4:5], 1
	s_add_u32 s10, s14, s4
	s_addc_u32 s11, s15, s5
	s_waitcnt vmcnt(3)
	v_mad_i64_i32 v[6:7], s[14:15], v5, s9, 0
	v_lshl_add_u64 v[6:7], v[6:7], 1, s[10:11]
	v_lshlrev_b64 v[8:9], 1, v[82:83]
	v_lshlrev_b32_e32 v84, 9, v1
	v_lshl_add_u64 v[6:7], v[6:7], 0, v[8:9]
	v_mov_b32_e32 v85, 0
	v_lshl_add_u64 v[10:11], v[6:7], 0, v[84:85]
	v_or_b32_e32 v14, 0x1000, v84
	v_mov_b32_e32 v15, v85
	v_or_b32_e32 v16, 0x1800, v84
	v_mov_b32_e32 v17, v85
	s_barrier
	global_load_dwordx4 v[66:69], v[10:11], off
	global_load_dwordx4 v[62:65], v[10:11], off offset:2048
	v_lshl_add_u64 v[10:11], v[6:7], 0, v[14:15]
	v_lshl_add_u64 v[6:7], v[6:7], 0, v[16:17]
	global_load_dwordx4 v[78:81], v[10:11], off
	global_load_dwordx4 v[74:77], v[6:7], off
	s_waitcnt vmcnt(6)
	v_mad_i64_i32 v[4:5], s[14:15], v4, s9, 0
	v_mov_b32_e32 v6, 0x100
	v_lshl_add_u64 v[4:5], v[4:5], 1, s[10:11]
	v_lshl_or_b32 v6, v88, 4, v6
	v_mov_b32_e32 v7, v85
	v_lshl_add_u64 v[4:5], v[4:5], 0, v[6:7]
	v_lshl_add_u64 v[10:11], v[4:5], 0, v[84:85]
	global_load_dwordx4 v[70:73], v[10:11], off
	global_load_dwordx4 v[58:61], v[10:11], off offset:2048
	v_lshl_add_u64 v[10:11], v[4:5], 0, v[14:15]
	v_lshl_add_u64 v[4:5], v[4:5], 0, v[16:17]
	global_load_dwordx4 v[54:57], v[10:11], off
	global_load_dwordx4 v[30:33], v[4:5], off
	s_waitcnt vmcnt(9)
	v_mad_i64_i32 v[4:5], s[14:15], v3, s9, 0
	v_lshl_add_u64 v[4:5], v[4:5], 1, s[10:11]
	s_waitcnt vmcnt(8)
	v_mad_i64_i32 v[2:3], s[14:15], v2, s9, 0
	v_lshl_add_u64 v[4:5], v[4:5], 0, v[8:9]
	v_lshl_add_u64 v[2:3], v[2:3], 1, s[10:11]
	;; [unrolled: 1-line block ×4, first 2 shown]
	global_load_dwordx4 v[26:29], v[8:9], off
	global_load_dwordx4 v[22:25], v[8:9], off offset:2048
	v_lshl_add_u64 v[8:9], v[4:5], 0, v[14:15]
	v_lshl_add_u64 v[4:5], v[4:5], 0, v[16:17]
	;; [unrolled: 1-line block ×4, first 2 shown]
	global_load_dwordx4 v[18:21], v[8:9], off
	global_load_dwordx4 v[10:13], v[4:5], off
	s_nop 0
	global_load_dwordx4 v[6:9], v[2:3], off
	s_nop 0
	global_load_dwordx4 v[2:5], v[2:3], off offset:2048
	v_lshl_add_u64 v[16:17], v[34:35], 0, v[16:17]
	global_load_dwordx4 v[42:45], v[14:15], off
	global_load_dwordx4 v[34:37], v[16:17], off
	v_and_b32_e32 v14, 1, v0
	v_lshl_or_b32 v38, v14, 5, v84
	ds_read_b128 v[14:17], v38
	ds_read_b128 v[50:53], v38 offset:2048
	ds_read_b128 v[46:49], v38 offset:4096
	;; [unrolled: 1-line block ×3, first 2 shown]
	v_cmp_gt_u32_e32 vcc, 2, v88
	v_mov_b32_e32 v89, 0
	s_and_saveexec_b64 s[10:11], vcc
	s_cbranch_execz .LBB361_15
; %bb.14:
	s_load_dwordx2 s[14:15], s[0:1], 0x40
	v_or_b32_e32 v90, s27, v88
	v_ashrrev_i32_e32 v91, 31, v90
	s_waitcnt lgkmcnt(0)
	v_lshl_add_u64 v[90:91], v[90:91], 2, s[14:15]
	global_load_dword v89, v[90:91], off
.LBB361_15:
	s_or_b64 exec, exec, s[10:11]
	s_waitcnt vmcnt(15) lgkmcnt(3)
	v_mfma_f32_16x16x16_f16 v[90:93], v[66:67], v[14:15], 0
	s_ashr_i32 s8, s18, 31
	s_lshr_b32 s8, s8, 27
	s_add_u32 s4, s12, s4
	v_mfma_f32_16x16x16_f16 v[66:69], v[68:69], v[16:17], v[90:93]
	s_addc_u32 s5, s13, s5
	s_mov_b32 s40, 0xff7fffff
	s_waitcnt vmcnt(14) lgkmcnt(2)
	v_mfma_f32_16x16x16_f16 v[66:69], v[62:63], v[50:51], v[66:69]
	v_lshl_or_b32 v90, v87, 4, v88
	v_mfma_f32_16x16x16_f16 v[62:65], v[64:65], v[52:53], v[66:69]
	s_waitcnt vmcnt(13) lgkmcnt(1)
	v_mfma_f32_16x16x16_f16 v[62:65], v[78:79], v[46:47], v[62:65]
	v_mfma_f32_16x16x16_f16 v[62:65], v[80:81], v[48:49], v[62:65]
	s_waitcnt vmcnt(12) lgkmcnt(0)
	v_mfma_f32_16x16x16_f16 v[62:65], v[74:75], v[38:39], v[62:65]
	v_and_or_b32 v74, v0, 48, s18
	v_add_u32_e32 v66, s8, v74
	v_ashrrev_i32_e32 v75, 5, v66
	s_waitcnt vmcnt(11)
	v_mfma_f32_16x16x16_f16 v[66:69], v[70:71], v[14:15], 0
	v_cmp_gt_i32_e32 vcc, s33, v74
	v_mfma_f32_16x16x16_f16 v[66:69], v[72:73], v[16:17], v[66:69]
	v_or_b32_e32 v72, 64, v74
	v_add_u32_e32 v73, s8, v72
	s_waitcnt vmcnt(10)
	v_mfma_f32_16x16x16_f16 v[66:69], v[58:59], v[50:51], v[66:69]
	v_ashrrev_i32_e32 v58, 5, v73
	v_mfma_f32_16x16x16_f16 v[62:65], v[76:77], v[40:41], v[62:65]
	v_mov_b32_e32 v76, s19
	v_cndmask_b32_e32 v70, v76, v75, vcc
	v_cmp_gt_i32_e32 vcc, s33, v72
	v_ashrrev_i32_e32 v71, 31, v70
	v_lshl_add_u64 v[70:71], v[70:71], 2, s[6:7]
	v_cndmask_b32_e32 v72, v76, v58, vcc
	v_mfma_f32_16x16x16_f16 v[58:61], v[60:61], v[52:53], v[66:69]
	v_ashrrev_i32_e32 v73, 31, v72
	s_waitcnt vmcnt(9)
	v_mfma_f32_16x16x16_f16 v[58:61], v[54:55], v[46:47], v[58:61]
	v_lshl_add_u64 v[66:67], v[72:73], 2, s[6:7]
	global_load_dword v72, v[70:71], off
	global_load_dword v75, v[66:67], off
	v_or_b32_e32 v66, 0x80, v74
	v_add_u32_e32 v67, s8, v66
	v_mfma_f32_16x16x16_f16 v[54:57], v[56:57], v[48:49], v[58:61]
	v_cmp_gt_i32_e32 vcc, s33, v66
	s_nop 1
	v_ashrrev_i32_e32 v58, 5, v67
	v_cndmask_b32_e32 v58, v76, v58, vcc
	v_ashrrev_i32_e32 v59, 31, v58
	s_waitcnt vmcnt(10)
	v_mfma_f32_16x16x16_f16 v[54:57], v[30:31], v[38:39], v[54:57]
	v_lshl_add_u64 v[30:31], v[58:59], 2, s[6:7]
	global_load_dword v58, v[30:31], off
	v_mfma_f32_16x16x16_f16 v[66:69], v[32:33], v[40:41], v[54:57]
	s_nop 3
	v_or_b32_e32 v54, 0xc0, v74
	v_add_u32_e32 v30, s8, v54
	v_ashrrev_i32_e32 v55, 5, v30
	v_cmp_gt_i32_e32 vcc, s33, v54
	s_waitcnt vmcnt(10)
	v_mfma_f32_16x16x16_f16 v[30:33], v[26:27], v[14:15], 0
	v_cndmask_b32_e32 v26, v76, v55, vcc
	v_ashrrev_i32_e32 v27, 31, v26
	v_lshl_add_u64 v[54:55], v[26:27], 2, s[6:7]
	global_load_dword v59, v[54:55], off
	v_mfma_f32_16x16x16_f16 v[26:29], v[28:29], v[16:17], v[30:33]
	s_load_dword s6, s[0:1], 0x1c
	s_waitcnt lgkmcnt(0)
	v_pk_mul_f32 v[76:77], s[6:7], v[66:67] op_sel_hi:[0,1]
	s_waitcnt vmcnt(10)
	v_mfma_f32_16x16x16_f16 v[26:29], v[22:23], v[50:51], v[26:29]
	v_and_b32_e32 v30, 16, v0
	v_lshlrev_b32_e32 v84, 1, v30
	v_lshl_add_u64 v[60:61], s[4:5], 0, v[84:85]
	v_mfma_f32_16x16x16_f16 v[22:25], v[24:25], v[52:53], v[26:29]
	v_lshlrev_b32_e32 v84, 6, v90
	v_lshl_add_u64 v[70:71], v[60:61], 0, v[84:85]
	v_or_b32_e32 v84, 0x1000, v84
	s_waitcnt vmcnt(9)
	v_mfma_f32_16x16x16_f16 v[22:25], v[18:19], v[46:47], v[22:25]
	v_lshl_add_u64 v[80:81], v[60:61], 0, v[84:85]
	v_pk_mul_f32 v[78:79], s[6:7], v[64:65] op_sel_hi:[0,1]
	v_pk_mul_f32 v[60:61], s[6:7], v[62:63] op_sel_hi:[0,1]
	v_mfma_f32_16x16x16_f16 v[18:21], v[20:21], v[48:49], v[22:25]
	s_waitcnt vmcnt(8)
	v_mfma_f32_16x16x16_f16 v[18:21], v[10:11], v[38:39], v[18:21]
	s_waitcnt vmcnt(3)
	v_mad_i64_i32 v[22:23], s[4:5], v72, s9, 0
	s_waitcnt vmcnt(2)
	v_mad_i64_i32 v[10:11], s[4:5], v75, s9, 0
	v_lshlrev_b64 v[72:73], 1, v[22:23]
	v_lshlrev_b64 v[54:55], 1, v[10:11]
	v_lshl_add_u64 v[22:23], v[70:71], 0, v[72:73]
	v_lshl_add_u64 v[10:11], v[70:71], 0, v[54:55]
	global_load_dwordx4 v[30:33], v[22:23], off
	global_load_dwordx4 v[26:29], v[22:23], off offset:16
	v_mfma_f32_16x16x16_f16 v[92:95], v[12:13], v[40:41], v[18:21]
	global_load_dwordx4 v[22:25], v[10:11], off
	s_nop 1
	global_load_dwordx4 v[18:21], v[10:11], off offset:16
	v_pk_mul_f32 v[74:75], s[6:7], v[68:69] op_sel_hi:[0,1]
	v_mfma_f32_16x16x16_f16 v[10:13], v[6:7], v[14:15], 0
	s_waitcnt vmcnt(5)
	v_mad_i64_i32 v[6:7], s[4:5], v58, s9, 0
	v_lshlrev_b64 v[56:57], 1, v[6:7]
	v_mfma_f32_16x16x16_f16 v[6:9], v[8:9], v[16:17], v[10:13]
	v_mfma_f32_16x16x16_f16 v[6:9], v[2:3], v[50:51], v[6:9]
	s_nop 1
	v_lshl_add_u64 v[10:11], v[70:71], 0, v[56:57]
	global_load_dwordx4 v[14:17], v[10:11], off
	s_nop 0
	global_load_dwordx4 v[10:13], v[10:11], off offset:16
	s_waitcnt vmcnt(6)
	v_mad_i64_i32 v[2:3], s[4:5], v59, s9, 0
	v_mfma_f32_16x16x16_f16 v[50:53], v[4:5], v[52:53], v[6:9]
	v_lshlrev_b64 v[58:59], 1, v[2:3]
	v_lshl_add_u64 v[2:3], v[70:71], 0, v[58:59]
	v_pk_mul_f32 v[70:71], s[6:7], v[94:95] op_sel_hi:[0,1]
	v_mfma_f32_16x16x16_f16 v[50:53], v[42:43], v[46:47], v[50:53]
	v_lshl_add_u64 v[42:43], v[80:81], 0, v[72:73]
	v_pk_mul_f32 v[72:73], s[6:7], v[92:93] op_sel_hi:[0,1]
	v_lshl_add_u64 v[58:59], v[80:81], 0, v[58:59]
	v_mfma_f32_16x16x16_f16 v[44:47], v[44:45], v[48:49], v[50:53]
	global_load_dwordx4 v[6:9], v[2:3], off
	s_nop 0
	global_load_dwordx4 v[2:5], v[2:3], off offset:16
	v_mfma_f32_16x16x16_f16 v[44:47], v[34:35], v[38:39], v[44:47]
	v_mfma_f32_16x16x16_f16 v[34:37], v[36:37], v[40:41], v[44:47]
	s_nop 6
	v_pk_mul_f32 v[68:69], s[6:7], v[34:35] op_sel_hi:[0,1]
	v_and_b32_e32 v34, 0xc0, v0
	v_add_u32_e32 v34, s18, v34
	v_lshl_or_b32 v34, v1, 2, v34
	v_or_b32_e32 v35, 1, v34
	v_pk_mul_f32 v[66:67], s[6:7], v[36:37] op_sel_hi:[0,1]
	v_subrev_u32_e32 v36, s33, v35
	v_add_u32_e32 v38, 1, v36
	v_add_u32_e32 v39, 2, v36
	v_cvt_f32_i32_e32 v37, v36
	v_cvt_f32_i32_e32 v38, v38
	;; [unrolled: 1-line block ×3, first 2 shown]
	v_add_u32_e32 v40, 3, v36
	v_fma_f32 v60, v89, v37, v60
	v_fmac_f32_e32 v61, v89, v38
	v_fma_f32 v78, v89, v39, v78
	v_add_u32_e32 v37, 16, v36
	v_add_u32_e32 v38, 17, v36
	;; [unrolled: 1-line block ×3, first 2 shown]
	v_cvt_f32_i32_e32 v40, v40
	v_cvt_f32_i32_e32 v37, v37
	;; [unrolled: 1-line block ×4, first 2 shown]
	v_fmac_f32_e32 v79, v89, v40
	v_add_u32_e32 v40, 19, v36
	v_fma_f32 v76, v89, v37, v76
	v_fmac_f32_e32 v77, v89, v38
	v_fma_f32 v74, v89, v39, v74
	v_add_u32_e32 v37, 32, v36
	v_add_u32_e32 v38, 33, v36
	v_add_u32_e32 v39, 34, v36
	v_cvt_f32_i32_e32 v40, v40
	v_cvt_f32_i32_e32 v37, v37
	;; [unrolled: 1-line block ×4, first 2 shown]
	v_fmac_f32_e32 v75, v89, v40
	v_add_u32_e32 v40, 35, v36
	v_fma_f32 v72, v89, v37, v72
	v_fmac_f32_e32 v73, v89, v38
	v_fma_f32 v70, v89, v39, v70
	v_add_u32_e32 v37, 48, v36
	v_add_u32_e32 v38, 49, v36
	v_add_u32_e32 v39, 50, v36
	v_add_u32_e32 v36, 51, v36
	v_cvt_f32_i32_e32 v36, v36
	v_cvt_f32_i32_e32 v37, v37
	;; [unrolled: 1-line block ×3, first 2 shown]
	v_cmp_gt_i32_e64 s[28:29], s33, v34
	v_fmac_f32_e32 v67, v89, v36
	v_mov_b32_e32 v36, 0xff7fffff
	v_cmp_gt_i32_e64 s[30:31], s33, v35
	v_fma_f32 v68, v89, v37, v68
	v_cndmask_b32_e64 v37, v36, v60, s[28:29]
	v_cndmask_b32_e64 v35, v36, v61, s[30:31]
	v_fmac_f32_e32 v69, v89, v38
	v_max3_f32 v35, v37, s40, v35
	v_or_b32_e32 v37, 2, v34
	v_or_b32_e32 v38, 3, v34
	v_cmp_gt_i32_e64 s[34:35], s33, v37
	v_cmp_gt_i32_e64 s[36:37], s33, v38
	v_cvt_f32_i32_e32 v40, v40
	v_cndmask_b32_e64 v37, v36, v78, s[34:35]
	v_cndmask_b32_e64 v38, v36, v79, s[36:37]
	v_max3_f32 v35, v35, v37, v38
	v_or_b32_e32 v37, 16, v34
	v_or_b32_e32 v38, 17, v34
	v_cmp_gt_i32_e64 s[22:23], s33, v37
	v_cmp_gt_i32_e64 s[24:25], s33, v38
	v_fmac_f32_e32 v71, v89, v40
	v_cndmask_b32_e64 v37, v36, v76, s[22:23]
	v_cndmask_b32_e64 v38, v36, v77, s[24:25]
	v_max3_f32 v35, v35, v37, v38
	v_or_b32_e32 v37, 18, v34
	v_or_b32_e32 v38, 19, v34
	v_cmp_gt_i32_e64 s[18:19], s33, v37
	v_cmp_gt_i32_e64 s[20:21], s33, v38
	v_cvt_f32_i32_e32 v39, v39
	v_cndmask_b32_e64 v37, v36, v74, s[18:19]
	v_cndmask_b32_e64 v38, v36, v75, s[20:21]
	v_max3_f32 v35, v35, v37, v38
	v_or_b32_e32 v37, 32, v34
	v_or_b32_e32 v38, 33, v34
	v_cmp_gt_i32_e64 s[14:15], s33, v37
	v_cmp_gt_i32_e64 s[16:17], s33, v38
	v_fma_f32 v66, v89, v39, v66
	v_cndmask_b32_e64 v37, v36, v72, s[14:15]
	v_cndmask_b32_e64 v38, v36, v73, s[16:17]
	v_max3_f32 v35, v35, v37, v38
	v_or_b32_e32 v37, 34, v34
	v_or_b32_e32 v38, 35, v34
	v_cmp_gt_i32_e64 s[10:11], s33, v37
	v_cmp_gt_i32_e64 s[12:13], s33, v38
	v_and_b32_e32 v1, 63, v0
	v_cndmask_b32_e64 v37, v36, v70, s[10:11]
	v_cndmask_b32_e64 v38, v36, v71, s[12:13]
	v_max3_f32 v35, v35, v37, v38
	v_or_b32_e32 v37, 48, v34
	v_or_b32_e32 v38, 49, v34
	v_cmp_gt_i32_e64 s[6:7], s33, v37
	v_cmp_gt_i32_e64 s[8:9], s33, v38
	s_nop 0
	v_cndmask_b32_e64 v37, v36, v68, s[6:7]
	v_cndmask_b32_e64 v38, v36, v69, s[8:9]
	v_max3_f32 v35, v35, v37, v38
	v_or_b32_e32 v37, 50, v34
	v_or_b32_e32 v34, 51, v34
	v_cmp_gt_i32_e32 vcc, s33, v37
	v_cmp_gt_i32_e64 s[4:5], s33, v34
	global_load_dwordx4 v[46:49], v[42:43], off
	global_load_dwordx4 v[38:41], v[42:43], off offset:16
	v_cndmask_b32_e32 v37, v36, v66, vcc
	v_cndmask_b32_e64 v34, v36, v67, s[4:5]
	v_max3_f32 v50, v35, v37, v34
	v_mbcnt_lo_u32_b32 v34, -1, 0
	v_mbcnt_hi_u32_b32 v51, -1, v34
	v_and_b32_e32 v34, 64, v51
	v_add_u32_e32 v52, 64, v34
	v_xor_b32_e32 v34, 32, v51
	v_cmp_lt_i32_e64 s[38:39], v34, v52
	s_nop 1
	v_cndmask_b32_e64 v34, v51, v34, s[38:39]
	v_lshlrev_b32_e32 v85, 2, v34
	ds_bpermute_b32 v53, v85, v50
	v_lshl_add_u64 v[34:35], v[80:81], 0, v[54:55]
	global_load_dwordx4 v[42:45], v[34:35], off
	s_nop 0
	global_load_dwordx4 v[34:37], v[34:35], off offset:16
	s_waitcnt lgkmcnt(0)
	v_max_f32_e32 v53, v53, v53
	v_max_f32_e32 v62, v50, v53
	v_xor_b32_e32 v50, 16, v51
	v_cmp_lt_i32_e64 s[38:39], v50, v52
	s_nop 1
	v_cndmask_b32_e64 v50, v51, v50, s[38:39]
	v_lshlrev_b32_e32 v89, 2, v50
	ds_bpermute_b32 v63, v89, v62
	v_lshl_add_u64 v[50:51], v[80:81], 0, v[56:57]
	global_load_dwordx4 v[54:57], v[50:51], off
	s_nop 0
	global_load_dwordx4 v[50:53], v[50:51], off offset:16
	s_waitcnt lgkmcnt(0)
	v_max_f32_e32 v63, v63, v63
	v_max_f32_e32 v84, v62, v63
	v_sub_f32_e32 v60, v60, v84
	v_mul_f32_e32 v60, 0x3fb8aa3b, v60
	v_exp_f32_e32 v80, v60
	v_sub_f32_e32 v60, v61, v84
	v_mul_f32_e32 v60, 0x3fb8aa3b, v60
	v_exp_f32_e32 v81, v60
	global_load_dwordx4 v[62:65], v[58:59], off
	s_nop 0
	global_load_dwordx4 v[58:61], v[58:59], off offset:16
	v_sub_f32_e32 v78, v78, v84
	v_mul_f32_e32 v78, 0x3fb8aa3b, v78
	v_sub_f32_e32 v79, v79, v84
	v_exp_f32_e32 v78, v78
	v_mul_f32_e32 v79, 0x3fb8aa3b, v79
	v_sub_f32_e32 v76, v76, v84
	v_exp_f32_e32 v79, v79
	v_mul_f32_e32 v76, 0x3fb8aa3b, v76
	v_sub_f32_e32 v77, v77, v84
	v_cndmask_b32_e64 v80, 0, v80, s[28:29]
	v_exp_f32_e32 v76, v76
	v_mul_f32_e32 v77, 0x3fb8aa3b, v77
	v_sub_f32_e32 v74, v74, v84
	v_add_f32_e32 v91, 0, v80
	v_cndmask_b32_e64 v81, 0, v81, s[30:31]
	v_exp_f32_e32 v77, v77
	v_mul_f32_e32 v74, 0x3fb8aa3b, v74
	v_sub_f32_e32 v75, v75, v84
	v_add_f32_e32 v91, v91, v81
	;; [unrolled: 5-line block ×10, first 2 shown]
	v_cndmask_b32_e64 v70, 0, v70, s[10:11]
	v_exp_f32_e32 v66, v66
	v_mul_f32_e32 v67, 0x3fb8aa3b, v67
	v_add_f32_e32 v91, v91, v70
	v_cndmask_b32_e64 v71, 0, v71, s[12:13]
	v_exp_f32_e32 v67, v67
	v_add_f32_e32 v91, v91, v71
	v_cndmask_b32_e64 v68, 0, v68, s[6:7]
	v_add_f32_e32 v91, v91, v68
	v_cndmask_b32_e64 v69, 0, v69, s[8:9]
	v_add_f32_e32 v91, v91, v69
	v_cndmask_b32_e32 v66, 0, v66, vcc
	v_add_f32_e32 v91, v91, v66
	v_cndmask_b32_e64 v67, 0, v67, s[4:5]
	v_add_f32_e32 v91, v91, v67
	ds_bpermute_b32 v85, v85, v91
	s_load_dword s7, s[0:1], 0x98
	v_cmp_gt_u32_e32 vcc, 16, v1
	s_waitcnt lgkmcnt(0)
	s_barrier
	v_add_f32_e32 v85, v91, v85
	ds_bpermute_b32 v89, v89, v85
	s_waitcnt lgkmcnt(0)
	s_and_saveexec_b64 s[4:5], vcc
	s_cbranch_execz .LBB361_17
; %bb.16:
	v_add_f32_e32 v85, v85, v89
	v_lshlrev_b32_e32 v89, 2, v90
	ds_write2st64_b32 v89, v84, v85 offset1:1
.LBB361_17:
	s_or_b64 exec, exec, s[4:5]
	v_lshlrev_b32_e32 v85, 2, v88
	s_load_dword s6, s[0:1], 0x94
	s_waitcnt lgkmcnt(0)
	s_barrier
	ds_read2_b32 v[90:91], v85 offset1:16
	ds_read2_b32 v[92:93], v85 offset0:32 offset1:48
	ds_read2_b32 v[94:95], v85 offset0:64 offset1:80
	s_lshl_b32 s7, s7, 1
	s_waitcnt lgkmcnt(2)
	v_max3_f32 v84, v90, s40, v91
	s_waitcnt lgkmcnt(1)
	v_max3_f32 v84, v84, v92, v93
	v_sub_f32_e32 v89, v90, v84
	v_sub_f32_e32 v90, v91, v84
	v_mul_f32_e32 v90, 0x3fb8aa3b, v90
	v_mul_f32_e32 v89, 0x3fb8aa3b, v89
	v_exp_f32_e32 v87, v90
	v_sub_f32_e32 v90, v92, v84
	v_exp_f32_e32 v89, v89
	v_mul_f32_e32 v90, 0x3fb8aa3b, v90
	v_exp_f32_e32 v92, v90
	ds_read2_b32 v[90:91], v85 offset0:96 offset1:112
	v_sub_f32_e32 v85, v93, v84
	v_mul_f32_e32 v85, 0x3fb8aa3b, v85
	v_exp_f32_e32 v93, v85
	s_waitcnt lgkmcnt(1)
	v_fma_f32 v85, v89, v94, 0
	v_fmac_f32_e32 v85, v87, v95
	s_waitcnt lgkmcnt(0)
	v_fmac_f32_e32 v85, v92, v90
	v_fmac_f32_e32 v85, v93, v91
	v_add_f32_e32 v90, 0x358637bd, v85
	v_div_scale_f32 v91, s[4:5], v90, v90, 1.0
	v_rcp_f32_e32 v94, v91
	s_barrier
	v_fma_f32 v95, -v91, v94, 1.0
	v_fmac_f32_e32 v94, v95, v94
	v_div_scale_f32 v95, vcc, 1.0, v90, 1.0
	v_mul_f32_e32 v1, v95, v94
	v_fma_f32 v86, -v91, v1, v95
	v_fmac_f32_e32 v1, v86, v94
	v_fma_f32 v86, -v91, v1, v95
	v_lshrrev_b32_e32 v91, 6, v0
	v_div_fmas_f32 v1, v86, v94, v1
	v_cmp_eq_u32_e32 vcc, 1, v91
	v_div_fixup_f32 v1, v1, v90, 1.0
	s_nop 0
	v_cndmask_b32_e32 v86, v89, v87, vcc
	v_cmp_eq_u32_e32 vcc, 2, v91
	s_nop 1
	v_cndmask_b32_e32 v86, v86, v92, vcc
	v_cmp_eq_u32_e32 vcc, 3, v91
	s_nop 1
	v_cndmask_b32_e32 v86, v86, v93, vcc
	v_mul_f32_e32 v90, v86, v1
	v_pk_mul_f32 v[78:79], v[90:91], v[78:79] op_sel_hi:[0,1]
	v_cvt_f16_f32_e32 v78, v78
	v_cvt_f16_f32_e32 v79, v79
	v_pk_mul_f32 v[80:81], v[90:91], v[80:81] op_sel_hi:[0,1]
	v_cvt_f16_f32_e32 v1, v80
	v_cvt_f16_f32_e32 v80, v81
	v_pk_mul_f32 v[74:75], v[90:91], v[74:75] op_sel_hi:[0,1]
	v_pk_mul_f32 v[76:77], v[90:91], v[76:77] op_sel_hi:[0,1]
	v_pack_b32_f16 v81, v78, v79
	v_cvt_f16_f32_e32 v76, v76
	v_cvt_f16_f32_e32 v77, v77
	;; [unrolled: 1-line block ×4, first 2 shown]
	v_bfe_u32 v86, v0, 4, 2
	v_pack_b32_f16 v80, v1, v80
	v_lshlrev_b32_e32 v1, 3, v86
	v_lshlrev_b32_e32 v78, 5, v88
	;; [unrolled: 1-line block ×3, first 2 shown]
	v_pk_mul_f32 v[70:71], v[90:91], v[70:71] op_sel_hi:[0,1]
	v_pk_mul_f32 v[72:73], v[90:91], v[72:73] op_sel_hi:[0,1]
	;; [unrolled: 1-line block ×4, first 2 shown]
	v_or3_b32 v74, v74, v78, v1
	v_pack_b32_f16 v76, v76, v77
	v_pack_b32_f16 v77, v79, v75
	v_cvt_f16_f32_e32 v1, v72
	v_cvt_f16_f32_e32 v72, v73
	;; [unrolled: 1-line block ×8, first 2 shown]
	v_pack_b32_f16 v66, v1, v72
	v_pack_b32_f16 v67, v70, v71
	v_pack_b32_f16 v68, v68, v69
	v_pack_b32_f16 v69, v73, v75
	v_cmp_gt_u32_e32 vcc, 2, v0
	ds_write2st64_b64 v74, v[80:81], v[76:77] offset1:1
	ds_write2st64_b64 v74, v[66:67], v[68:69] offset0:2 offset1:3
	s_and_saveexec_b64 s[4:5], vcc
	s_cbranch_execz .LBB361_19
; %bb.18:
	v_or_b32_e32 v66, s27, v0
	v_mov_b32_e32 v67, 0
	v_mov_b32_e32 v1, s7
	v_mad_u64_u32 v[68:69], s[12:13], s2, v1, v[66:67]
	v_mov_b32_e32 v66, s26
	s_load_dwordx4 s[8:11], s[0:1], 0x58
	s_mul_i32 s3, s3, s7
	v_mad_u64_u32 v[66:67], s[12:13], v68, s6, v[66:67]
	v_add_u32_e32 v1, s3, v69
	v_mov_b32_e32 v68, v67
	v_mad_u64_u32 v[68:69], s[12:13], v1, s6, v[68:69]
	v_mov_b32_e32 v67, v68
	v_lshlrev_b64 v[66:67], 2, v[66:67]
	s_waitcnt lgkmcnt(0)
	v_lshl_add_u64 v[68:69], s[10:11], 0, v[66:67]
	v_lshl_add_u64 v[66:67], s[8:9], 0, v[66:67]
	global_store_dword v[68:69], v84, off
	global_store_dword v[66:67], v85, off
.LBB361_19:
	s_or_b64 exec, exec, s[4:5]
	v_lshl_or_b32 v1, v86, 9, v78
	s_waitcnt lgkmcnt(0)
	s_barrier
	ds_read_b128 v[70:73], v1
	ds_read_b128 v[66:69], v1 offset:16
	s_waitcnt vmcnt(15) lgkmcnt(1)
	v_mfma_f32_16x16x16_f16 v[76:79], v[30:31], v[70:71], 0
	v_cmp_gt_u32_e32 vcc, 64, v0
	s_mov_b32 s3, 0
	v_mfma_f32_16x16x16_f16 v[30:33], v[32:33], v[72:73], v[76:79]
	s_waitcnt vmcnt(14) lgkmcnt(0)
	v_mfma_f32_16x16x16_f16 v[30:33], v[26:27], v[66:67], v[30:33]
	v_mfma_f32_16x16x16_f16 v[26:29], v[28:29], v[68:69], v[30:33]
	s_nop 5
	ds_read_b128 v[30:33], v1 offset:2048
	ds_read_b128 v[76:79], v1 offset:2064
	s_waitcnt vmcnt(13) lgkmcnt(1)
	v_mfma_f32_16x16x16_f16 v[26:29], v[22:23], v[30:31], v[26:29]
	v_mfma_f32_16x16x16_f16 v[22:25], v[24:25], v[32:33], v[26:29]
	s_waitcnt vmcnt(12) lgkmcnt(0)
	v_mfma_f32_16x16x16_f16 v[22:25], v[18:19], v[76:77], v[22:25]
	v_mfma_f32_16x16x16_f16 v[18:21], v[20:21], v[78:79], v[22:25]
	s_nop 5
	ds_read_b128 v[22:25], v1 offset:4096
	ds_read_b128 v[26:29], v1 offset:4112
	s_waitcnt vmcnt(11) lgkmcnt(1)
	v_mfma_f32_16x16x16_f16 v[18:21], v[14:15], v[22:23], v[18:21]
	v_mfma_f32_16x16x16_f16 v[14:17], v[16:17], v[24:25], v[18:21]
	s_waitcnt vmcnt(10) lgkmcnt(0)
	v_mfma_f32_16x16x16_f16 v[14:17], v[10:11], v[26:27], v[14:17]
	v_mfma_f32_16x16x16_f16 v[10:13], v[12:13], v[28:29], v[14:17]
	s_nop 5
	ds_read_b128 v[14:17], v1 offset:6144
	ds_read_b128 v[18:21], v1 offset:6160
	s_waitcnt lgkmcnt(0)
	s_barrier
	s_waitcnt vmcnt(9)
	v_mfma_f32_16x16x16_f16 v[10:13], v[6:7], v[14:15], v[10:13]
	v_mfma_f32_16x16x16_f16 v[6:9], v[8:9], v[16:17], v[10:13]
	s_waitcnt vmcnt(8)
	v_mfma_f32_16x16x16_f16 v[6:9], v[2:3], v[18:19], v[6:9]
	v_mfma_f32_16x16x16_f16 v[2:5], v[4:5], v[20:21], v[6:9]
	;; [unrolled: 3-line block ×3, first 2 shown]
	s_nop 3
	v_cvt_f16_f32_e32 v1, v2
	v_cvt_f16_f32_e32 v10, v3
	;; [unrolled: 1-line block ×3, first 2 shown]
	s_waitcnt vmcnt(6)
	v_mfma_f32_16x16x16_f16 v[6:9], v[38:39], v[66:67], v[6:9]
	v_cvt_f16_f32_e32 v12, v5
	v_mfma_f32_16x16x16_f16 v[6:9], v[40:41], v[68:69], v[6:9]
	s_waitcnt vmcnt(5)
	v_mfma_f32_16x16x16_f16 v[6:9], v[42:43], v[30:31], v[6:9]
	v_mfma_f32_16x16x16_f16 v[6:9], v[44:45], v[32:33], v[6:9]
	s_waitcnt vmcnt(4)
	v_mfma_f32_16x16x16_f16 v[6:9], v[34:35], v[76:77], v[6:9]
	v_mfma_f32_16x16x16_f16 v[6:9], v[36:37], v[78:79], v[6:9]
	s_waitcnt vmcnt(3)
	v_mfma_f32_16x16x16_f16 v[6:9], v[54:55], v[22:23], v[6:9]
	v_mfma_f32_16x16x16_f16 v[6:9], v[56:57], v[24:25], v[6:9]
	s_waitcnt vmcnt(2)
	v_mfma_f32_16x16x16_f16 v[6:9], v[50:51], v[26:27], v[6:9]
	v_mfma_f32_16x16x16_f16 v[6:9], v[52:53], v[28:29], v[6:9]
	s_waitcnt vmcnt(1)
	v_mfma_f32_16x16x16_f16 v[6:9], v[62:63], v[14:15], v[6:9]
	v_mfma_f32_16x16x16_f16 v[6:9], v[64:65], v[16:17], v[6:9]
	s_waitcnt vmcnt(0)
	v_mfma_f32_16x16x16_f16 v[6:9], v[58:59], v[18:19], v[6:9]
	v_mfma_f32_16x16x16_f16 v[2:5], v[60:61], v[20:21], v[6:9]
	s_nop 6
	v_cvt_f16_f32_e32 v6, v2
	v_cvt_f16_f32_e32 v7, v3
	;; [unrolled: 1-line block ×4, first 2 shown]
	v_pack_b32_f16 v2, v1, v10
	v_and_b32_e32 v1, 63, v0
	v_cmp_gt_u32_e64 s[4:5], 32, v1
	v_pack_b32_f16 v3, v11, v12
	v_pack_b32_f16 v4, v6, v7
	;; [unrolled: 1-line block ×3, first 2 shown]
	s_and_b64 s[4:5], vcc, s[4:5]
	ds_write2st64_b64 v74, v[2:3], v[4:5] offset1:1
	s_waitcnt lgkmcnt(0)
	s_barrier
	s_and_saveexec_b64 s[8:9], s[4:5]
	s_cbranch_execz .LBB361_21
; %bb.20:
	s_load_dwordx2 s[0:1], s[0:1], 0x68
	s_mul_i32 s2, s7, s2
	s_lshl_b32 s6, s6, 7
	v_lshlrev_b32_e32 v3, 6, v88
	s_mul_hi_u32 s5, s2, s6
	s_mul_i32 s4, s2, s6
	v_lshlrev_b32_e32 v2, 4, v0
	v_lshl_or_b32 v0, v0, 10, v3
	s_lshl_b64 s[4:5], s[4:5], 1
	v_lshlrev_b32_e32 v1, 5, v86
	v_and_b32_e32 v2, 16, v2
	v_and_b32_e32 v0, 0x1a00, v0
	s_waitcnt lgkmcnt(0)
	s_add_u32 s4, s0, s4
	v_or3_b32 v0, v0, v1, v2
	s_addc_u32 s5, s1, s5
	s_lshl_b32 s2, s26, 7
	ds_read_b128 v[2:5], v0
	s_lshl_b64 s[0:1], s[2:3], 1
	s_add_u32 s0, s4, s0
	v_or_b32_e32 v0, s27, v86
	s_addc_u32 s1, s5, s1
	v_mad_u64_u32 v[0:1], s[2:3], s6, v0, 0
	v_lshl_add_u64 v[0:1], v[0:1], 1, s[0:1]
	v_lshl_add_u64 v[0:1], v[82:83], 1, v[0:1]
	s_waitcnt lgkmcnt(0)
	global_store_dwordx4 v[0:1], v[2:5], off
.LBB361_21:
	s_endpgm
	.section	.rodata,"a",@progbits
	.p2align	6, 0x0
	.amdhsa_kernel _Z39paged_attention_ll4mi_QKV_mfma16_kernelIDF16_DF16_LN4vllm18Fp8KVCacheDataTypeE0EDF16_Li32ELi128ELi256ELb1ELi2EEvPKT_PKT0_S7_ifPKiS9_S9_iPKfiiiPfSC_PS2_PT2_iSB_SB_
		.amdhsa_group_segment_fixed_size 8192
		.amdhsa_private_segment_fixed_size 0
		.amdhsa_kernarg_size 400
		.amdhsa_user_sgpr_count 2
		.amdhsa_user_sgpr_dispatch_ptr 0
		.amdhsa_user_sgpr_queue_ptr 0
		.amdhsa_user_sgpr_kernarg_segment_ptr 1
		.amdhsa_user_sgpr_dispatch_id 0
		.amdhsa_user_sgpr_kernarg_preload_length 0
		.amdhsa_user_sgpr_kernarg_preload_offset 0
		.amdhsa_user_sgpr_private_segment_size 0
		.amdhsa_uses_dynamic_stack 0
		.amdhsa_enable_private_segment 0
		.amdhsa_system_sgpr_workgroup_id_x 1
		.amdhsa_system_sgpr_workgroup_id_y 1
		.amdhsa_system_sgpr_workgroup_id_z 1
		.amdhsa_system_sgpr_workgroup_info 0
		.amdhsa_system_vgpr_workitem_id 0
		.amdhsa_next_free_vgpr 96
		.amdhsa_next_free_sgpr 41
		.amdhsa_accum_offset 96
		.amdhsa_reserve_vcc 1
		.amdhsa_float_round_mode_32 0
		.amdhsa_float_round_mode_16_64 0
		.amdhsa_float_denorm_mode_32 3
		.amdhsa_float_denorm_mode_16_64 3
		.amdhsa_dx10_clamp 1
		.amdhsa_ieee_mode 1
		.amdhsa_fp16_overflow 0
		.amdhsa_tg_split 0
		.amdhsa_exception_fp_ieee_invalid_op 0
		.amdhsa_exception_fp_denorm_src 0
		.amdhsa_exception_fp_ieee_div_zero 0
		.amdhsa_exception_fp_ieee_overflow 0
		.amdhsa_exception_fp_ieee_underflow 0
		.amdhsa_exception_fp_ieee_inexact 0
		.amdhsa_exception_int_div_zero 0
	.end_amdhsa_kernel
	.section	.text._Z39paged_attention_ll4mi_QKV_mfma16_kernelIDF16_DF16_LN4vllm18Fp8KVCacheDataTypeE0EDF16_Li32ELi128ELi256ELb1ELi2EEvPKT_PKT0_S7_ifPKiS9_S9_iPKfiiiPfSC_PS2_PT2_iSB_SB_,"axG",@progbits,_Z39paged_attention_ll4mi_QKV_mfma16_kernelIDF16_DF16_LN4vllm18Fp8KVCacheDataTypeE0EDF16_Li32ELi128ELi256ELb1ELi2EEvPKT_PKT0_S7_ifPKiS9_S9_iPKfiiiPfSC_PS2_PT2_iSB_SB_,comdat
.Lfunc_end361:
	.size	_Z39paged_attention_ll4mi_QKV_mfma16_kernelIDF16_DF16_LN4vllm18Fp8KVCacheDataTypeE0EDF16_Li32ELi128ELi256ELb1ELi2EEvPKT_PKT0_S7_ifPKiS9_S9_iPKfiiiPfSC_PS2_PT2_iSB_SB_, .Lfunc_end361-_Z39paged_attention_ll4mi_QKV_mfma16_kernelIDF16_DF16_LN4vllm18Fp8KVCacheDataTypeE0EDF16_Li32ELi128ELi256ELb1ELi2EEvPKT_PKT0_S7_ifPKiS9_S9_iPKfiiiPfSC_PS2_PT2_iSB_SB_
                                        ; -- End function
	.section	.AMDGPU.csdata,"",@progbits
; Kernel info:
; codeLenInByte = 4788
; NumSgprs: 47
; NumVgprs: 96
; NumAgprs: 0
; TotalNumVgprs: 96
; ScratchSize: 0
; MemoryBound: 0
; FloatMode: 240
; IeeeMode: 1
; LDSByteSize: 8192 bytes/workgroup (compile time only)
; SGPRBlocks: 5
; VGPRBlocks: 11
; NumSGPRsForWavesPerEU: 47
; NumVGPRsForWavesPerEU: 96
; AccumOffset: 96
; Occupancy: 5
; WaveLimiterHint : 1
; COMPUTE_PGM_RSRC2:SCRATCH_EN: 0
; COMPUTE_PGM_RSRC2:USER_SGPR: 2
; COMPUTE_PGM_RSRC2:TRAP_HANDLER: 0
; COMPUTE_PGM_RSRC2:TGID_X_EN: 1
; COMPUTE_PGM_RSRC2:TGID_Y_EN: 1
; COMPUTE_PGM_RSRC2:TGID_Z_EN: 1
; COMPUTE_PGM_RSRC2:TIDIG_COMP_CNT: 0
; COMPUTE_PGM_RSRC3_GFX90A:ACCUM_OFFSET: 23
; COMPUTE_PGM_RSRC3_GFX90A:TG_SPLIT: 0
	.section	.text._Z39paged_attention_ll4mi_QKV_mfma16_kernelIDF16_DF16_LN4vllm18Fp8KVCacheDataTypeE0EDF16_Li32ELi128ELi256ELb1ELi3EEvPKT_PKT0_S7_ifPKiS9_S9_iPKfiiiPfSC_PS2_PT2_iSB_SB_,"axG",@progbits,_Z39paged_attention_ll4mi_QKV_mfma16_kernelIDF16_DF16_LN4vllm18Fp8KVCacheDataTypeE0EDF16_Li32ELi128ELi256ELb1ELi3EEvPKT_PKT0_S7_ifPKiS9_S9_iPKfiiiPfSC_PS2_PT2_iSB_SB_,comdat
	.protected	_Z39paged_attention_ll4mi_QKV_mfma16_kernelIDF16_DF16_LN4vllm18Fp8KVCacheDataTypeE0EDF16_Li32ELi128ELi256ELb1ELi3EEvPKT_PKT0_S7_ifPKiS9_S9_iPKfiiiPfSC_PS2_PT2_iSB_SB_ ; -- Begin function _Z39paged_attention_ll4mi_QKV_mfma16_kernelIDF16_DF16_LN4vllm18Fp8KVCacheDataTypeE0EDF16_Li32ELi128ELi256ELb1ELi3EEvPKT_PKT0_S7_ifPKiS9_S9_iPKfiiiPfSC_PS2_PT2_iSB_SB_
	.globl	_Z39paged_attention_ll4mi_QKV_mfma16_kernelIDF16_DF16_LN4vllm18Fp8KVCacheDataTypeE0EDF16_Li32ELi128ELi256ELb1ELi3EEvPKT_PKT0_S7_ifPKiS9_S9_iPKfiiiPfSC_PS2_PT2_iSB_SB_
	.p2align	8
	.type	_Z39paged_attention_ll4mi_QKV_mfma16_kernelIDF16_DF16_LN4vllm18Fp8KVCacheDataTypeE0EDF16_Li32ELi128ELi256ELb1ELi3EEvPKT_PKT0_S7_ifPKiS9_S9_iPKfiiiPfSC_PS2_PT2_iSB_SB_,@function
_Z39paged_attention_ll4mi_QKV_mfma16_kernelIDF16_DF16_LN4vllm18Fp8KVCacheDataTypeE0EDF16_Li32ELi128ELi256ELb1ELi3EEvPKT_PKT0_S7_ifPKiS9_S9_iPKfiiiPfSC_PS2_PT2_iSB_SB_: ; @_Z39paged_attention_ll4mi_QKV_mfma16_kernelIDF16_DF16_LN4vllm18Fp8KVCacheDataTypeE0EDF16_Li32ELi128ELi256ELb1ELi3EEvPKT_PKT0_S7_ifPKiS9_S9_iPKfiiiPfSC_PS2_PT2_iSB_SB_
; %bb.0:
	s_load_dwordx2 s[8:9], s[0:1], 0x30
	s_mov_b32 s26, s3
	s_mov_b64 s[6:7], 0
	s_waitcnt lgkmcnt(0)
	s_cmp_lg_u64 s[8:9], 0
	s_cselect_b64 s[10:11], -1, 0
	s_and_b64 vcc, exec, s[10:11]
	s_cbranch_vccz .LBB362_7
; %bb.1:
	s_add_i32 s12, s2, 1
	s_mov_b32 s13, 0
	s_lshl_b64 s[14:15], s[12:13], 2
	s_add_u32 s14, s8, s14
	s_mov_b32 s3, s13
	s_addc_u32 s15, s9, s15
	s_lshl_b64 s[12:13], s[2:3], 2
	s_add_u32 s12, s8, s12
	s_addc_u32 s13, s9, s13
	s_load_dword s5, s[14:15], 0x0
	s_load_dword s16, s[12:13], 0x0
	s_waitcnt lgkmcnt(0)
	s_sub_i32 s5, s5, s16
	s_cmp_eq_u32 s5, 1
	s_cselect_b64 s[12:13], -1, 0
	s_andn2_b64 vcc, exec, s[6:7]
	s_cbranch_vccnz .LBB362_3
.LBB362_2:
	s_mov_b32 s3, 0
	s_mov_b64 s[12:13], -1
.LBB362_3:
	s_andn2_b64 vcc, exec, s[12:13]
	s_cbranch_vccnz .LBB362_21
; %bb.4:
	s_load_dwordx2 s[6:7], s[0:1], 0x28
	s_lshl_b64 s[12:13], s[2:3], 2
	s_waitcnt lgkmcnt(0)
	s_add_u32 s6, s6, s12
	s_addc_u32 s7, s7, s13
	s_load_dword s27, s[6:7], 0x0
	s_lshl_b32 s18, s26, 8
	s_waitcnt lgkmcnt(0)
	s_cmp_ge_i32 s18, s27
	s_cbranch_scc1 .LBB362_21
; %bb.5:
	s_load_dwordx2 s[6:7], s[0:1], 0x20
	s_load_dword s5, s[0:1], 0x38
	s_add_i32 s14, s27, 31
	s_ashr_i32 s15, s14, 31
	v_and_b32_e32 v1, 0xcf, v0
	s_lshr_b32 s15, s15, 27
	v_add_u32_e32 v1, s18, v1
	s_add_i32 s14, s14, s15
	v_ashrrev_i32_e32 v2, 31, v1
	s_ashr_i32 s19, s14, 5
	v_lshrrev_b32_e32 v4, 27, v2
	s_add_i32 s19, s19, -1
	s_waitcnt lgkmcnt(0)
	s_mul_i32 s14, s2, s5
	s_mov_b32 s15, 0
	v_add_u32_e32 v2, v1, v4
	s_lshl_b64 s[14:15], s[14:15], 2
	v_ashrrev_i32_e32 v2, 5, v2
	v_mov_b32_e32 v5, s19
	v_cmp_gt_i32_e32 vcc, s27, v1
	s_add_u32 s6, s6, s14
	s_addc_u32 s7, s7, s15
	v_cndmask_b32_e32 v2, v5, v2, vcc
	v_ashrrev_i32_e32 v3, 31, v2
	v_lshl_add_u64 v[6:7], v[2:3], 2, s[6:7]
	v_or_b32_e32 v2, 16, v1
	v_add_u32_e32 v3, v2, v4
	v_ashrrev_i32_e32 v3, 5, v3
	v_cmp_gt_i32_e32 vcc, s27, v2
	s_nop 1
	v_cndmask_b32_e32 v2, v5, v3, vcc
	v_ashrrev_i32_e32 v3, 31, v2
	v_lshl_add_u64 v[8:9], v[2:3], 2, s[6:7]
	v_or_b32_e32 v2, 32, v1
	v_add_u32_e32 v3, v2, v4
	v_ashrrev_i32_e32 v3, 5, v3
	v_cmp_gt_i32_e32 vcc, s27, v2
	v_or_b32_e32 v1, 48, v1
	s_nop 0
	v_cndmask_b32_e32 v2, v5, v3, vcc
	v_ashrrev_i32_e32 v3, 31, v2
	v_lshl_add_u64 v[10:11], v[2:3], 2, s[6:7]
	v_add_u32_e32 v2, v1, v4
	v_ashrrev_i32_e32 v2, 5, v2
	v_cmp_gt_i32_e32 vcc, s27, v1
	s_nop 1
	v_cndmask_b32_e32 v2, v5, v2, vcc
	v_ashrrev_i32_e32 v3, 31, v2
	v_lshl_add_u64 v[12:13], v[2:3], 2, s[6:7]
	global_load_dword v5, v[6:7], off
	global_load_dword v4, v[8:9], off
	;; [unrolled: 1-line block ×4, first 2 shown]
	s_andn2_b64 vcc, exec, s[10:11]
	s_cbranch_vccnz .LBB362_8
; %bb.6:
	s_add_u32 s8, s8, s12
	s_addc_u32 s9, s9, s13
	s_load_dword s5, s[8:9], 0x0
	s_branch .LBB362_9
.LBB362_7:
	s_mov_b64 s[12:13], 0
	s_branch .LBB362_2
.LBB362_8:
	s_mov_b32 s5, s2
.LBB362_9:
	s_load_dwordx2 s[14:15], s[0:1], 0x8
	s_load_dwordx4 s[8:11], s[0:1], 0x48
	v_lshrrev_b32_e32 v85, 6, v0
	v_bfe_u32 v1, v0, 4, 2
	v_lshl_or_b32 v6, v85, 2, v1
	v_and_b32_e32 v84, 15, v0
	s_mul_i32 s40, s4, 3
	v_lshlrev_b32_e32 v82, 3, v84
	v_cmp_lt_u32_e32 vcc, 2, v6
	s_and_saveexec_b64 s[12:13], vcc
	s_xor_b64 s[12:13], exec, s[12:13]
; %bb.10:
	v_mov_b32_e32 v83, 0
                                        ; implicit-def: $vgpr6
; %bb.11:
	s_or_saveexec_b64 s[16:17], s[12:13]
	s_load_dwordx2 s[12:13], s[0:1], 0x10
	v_add_u32_e32 v7, s40, v1
	scratch_store_dword off, v7, off        ; 4-byte Folded Spill
	s_xor_b64 exec, exec, s[16:17]
	s_cbranch_execz .LBB362_13
; %bb.12:
	scratch_load_dword v7, off, off         ; 4-byte Folded Reload
	s_load_dwordx2 s[20:21], s[0:1], 0x0
	s_waitcnt lgkmcnt(0)
	s_ashr_i32 s11, s8, 31
	s_mul_hi_u32 s22, s5, s8
	s_mul_i32 s11, s5, s11
	s_add_i32 s23, s22, s11
	s_mul_i32 s22, s5, s8
	s_lshl_b64 s[22:23], s[22:23], 1
	s_add_u32 s20, s20, s22
	s_addc_u32 s21, s21, s23
	v_mov_b32_e32 v83, 0
	v_lshlrev_b32_e32 v10, 1, v82
	v_mov_b32_e32 v11, v83
	v_lshlrev_b32_e32 v12, 9, v84
	v_lshlrev_b32_e32 v6, 5, v6
	v_and_b32_e32 v12, 0x1800, v12
	s_waitcnt vmcnt(0)
	v_lshlrev_b32_e32 v8, 7, v7
	v_ashrrev_i32_e32 v9, 31, v8
	v_lshl_add_u64 v[8:9], v[8:9], 1, s[20:21]
	v_lshl_add_u64 v[8:9], v[8:9], 0, v[10:11]
	global_load_dwordx4 v[8:11], v[8:9], off
	v_and_b32_e32 v7, 3, v0
	v_lshlrev_b32_e32 v7, 9, v7
	v_or3_b32 v6, v12, v7, v6
	s_waitcnt vmcnt(0)
	ds_write_b128 v6, v[8:11]
.LBB362_13:
	s_or_b64 exec, exec, s[16:17]
	s_waitcnt lgkmcnt(0)
	s_mul_i32 s4, s4, s10
	s_mov_b32 s5, 0
	s_lshl_b64 s[4:5], s[4:5], 1
	s_add_u32 s10, s14, s4
	s_addc_u32 s11, s15, s5
	s_waitcnt vmcnt(4)
	v_mad_i64_i32 v[6:7], s[14:15], v5, s9, 0
	v_lshl_add_u64 v[6:7], v[6:7], 1, s[10:11]
	v_lshlrev_b64 v[8:9], 1, v[82:83]
	v_lshlrev_b32_e32 v86, 9, v1
	v_lshl_add_u64 v[6:7], v[6:7], 0, v[8:9]
	v_mov_b32_e32 v87, 0
	v_lshl_add_u64 v[10:11], v[6:7], 0, v[86:87]
	v_or_b32_e32 v14, 0x1000, v86
	v_mov_b32_e32 v15, v87
	v_or_b32_e32 v16, 0x1800, v86
	v_mov_b32_e32 v17, v87
	s_barrier
	global_load_dwordx4 v[66:69], v[10:11], off
	global_load_dwordx4 v[62:65], v[10:11], off offset:2048
	v_lshl_add_u64 v[10:11], v[6:7], 0, v[14:15]
	v_lshl_add_u64 v[6:7], v[6:7], 0, v[16:17]
	global_load_dwordx4 v[78:81], v[10:11], off
	global_load_dwordx4 v[74:77], v[6:7], off
	s_waitcnt vmcnt(7)
	v_mad_i64_i32 v[4:5], s[14:15], v4, s9, 0
	v_mov_b32_e32 v6, 0x100
	v_lshl_add_u64 v[4:5], v[4:5], 1, s[10:11]
	v_lshl_or_b32 v6, v84, 4, v6
	v_mov_b32_e32 v7, v87
	v_lshl_add_u64 v[4:5], v[4:5], 0, v[6:7]
	v_lshl_add_u64 v[10:11], v[4:5], 0, v[86:87]
	global_load_dwordx4 v[70:73], v[10:11], off
	global_load_dwordx4 v[58:61], v[10:11], off offset:2048
	v_lshl_add_u64 v[10:11], v[4:5], 0, v[14:15]
	v_lshl_add_u64 v[4:5], v[4:5], 0, v[16:17]
	global_load_dwordx4 v[54:57], v[10:11], off
	global_load_dwordx4 v[30:33], v[4:5], off
	s_waitcnt vmcnt(10)
	v_mad_i64_i32 v[4:5], s[14:15], v3, s9, 0
	v_lshl_add_u64 v[4:5], v[4:5], 1, s[10:11]
	s_waitcnt vmcnt(9)
	v_mad_i64_i32 v[2:3], s[14:15], v2, s9, 0
	v_lshl_add_u64 v[4:5], v[4:5], 0, v[8:9]
	v_lshl_add_u64 v[2:3], v[2:3], 1, s[10:11]
	;; [unrolled: 1-line block ×4, first 2 shown]
	global_load_dwordx4 v[26:29], v[8:9], off
	global_load_dwordx4 v[22:25], v[8:9], off offset:2048
	v_lshl_add_u64 v[8:9], v[4:5], 0, v[14:15]
	v_lshl_add_u64 v[4:5], v[4:5], 0, v[16:17]
	;; [unrolled: 1-line block ×4, first 2 shown]
	global_load_dwordx4 v[18:21], v[8:9], off
	global_load_dwordx4 v[10:13], v[4:5], off
	s_nop 0
	global_load_dwordx4 v[6:9], v[2:3], off
	s_nop 0
	global_load_dwordx4 v[2:5], v[2:3], off offset:2048
	v_lshl_add_u64 v[16:17], v[34:35], 0, v[16:17]
	global_load_dwordx4 v[38:41], v[14:15], off
	global_load_dwordx4 v[34:37], v[16:17], off
	v_mul_lo_u16_e32 v14, 0x56, v84
	v_mov_b32_e32 v15, 3
	v_mul_lo_u16_sdwa v14, v14, v15 dst_sel:DWORD dst_unused:UNUSED_PAD src0_sel:BYTE_1 src1_sel:DWORD
	v_sub_u16_e32 v14, v84, v14
	v_and_b32_e32 v14, 0xff, v14
	v_lshl_add_u32 v42, v14, 5, v86
	ds_read_b128 v[14:17], v42
	ds_read_b128 v[50:53], v42 offset:2048
	ds_read_b128 v[46:49], v42 offset:4096
	;; [unrolled: 1-line block ×3, first 2 shown]
	v_and_b32_e32 v89, 63, v0
	v_cmp_gt_u32_e32 vcc, 3, v84
	v_mov_b32_e32 v90, 0
	s_and_saveexec_b64 s[10:11], vcc
	s_cbranch_execz .LBB362_15
; %bb.14:
	s_load_dwordx2 s[14:15], s[0:1], 0x40
	v_add_u32_e32 v90, s40, v84
	v_ashrrev_i32_e32 v91, 31, v90
	s_waitcnt lgkmcnt(0)
	v_lshl_add_u64 v[90:91], v[90:91], 2, s[14:15]
	global_load_dword v90, v[90:91], off
.LBB362_15:
	s_or_b64 exec, exec, s[10:11]
	s_waitcnt vmcnt(15) lgkmcnt(3)
	v_mfma_f32_16x16x16_f16 v[92:95], v[66:67], v[14:15], 0
	s_ashr_i32 s8, s18, 31
	s_lshr_b32 s8, s8, 27
	s_add_u32 s4, s12, s4
	v_mfma_f32_16x16x16_f16 v[66:69], v[68:69], v[16:17], v[92:95]
	s_addc_u32 s5, s13, s5
	v_lshl_or_b32 v91, v85, 4, v84
	s_mov_b32 s33, 0xff7fffff
	s_waitcnt vmcnt(14) lgkmcnt(2)
	v_mfma_f32_16x16x16_f16 v[66:69], v[62:63], v[50:51], v[66:69]
	v_mfma_f32_16x16x16_f16 v[62:65], v[64:65], v[52:53], v[66:69]
	s_waitcnt vmcnt(13) lgkmcnt(1)
	v_mfma_f32_16x16x16_f16 v[62:65], v[78:79], v[46:47], v[62:65]
	v_mfma_f32_16x16x16_f16 v[62:65], v[80:81], v[48:49], v[62:65]
	s_waitcnt vmcnt(12) lgkmcnt(0)
	v_mfma_f32_16x16x16_f16 v[62:65], v[74:75], v[42:43], v[62:65]
	v_and_or_b32 v74, v0, 48, s18
	v_add_u32_e32 v66, s8, v74
	v_ashrrev_i32_e32 v75, 5, v66
	s_waitcnt vmcnt(11)
	v_mfma_f32_16x16x16_f16 v[66:69], v[70:71], v[14:15], 0
	v_cmp_gt_i32_e32 vcc, s27, v74
	v_mfma_f32_16x16x16_f16 v[66:69], v[72:73], v[16:17], v[66:69]
	v_or_b32_e32 v72, 64, v74
	v_add_u32_e32 v73, s8, v72
	s_waitcnt vmcnt(10)
	v_mfma_f32_16x16x16_f16 v[66:69], v[58:59], v[50:51], v[66:69]
	v_ashrrev_i32_e32 v58, 5, v73
	v_mfma_f32_16x16x16_f16 v[62:65], v[76:77], v[44:45], v[62:65]
	v_mov_b32_e32 v76, s19
	v_cndmask_b32_e32 v70, v76, v75, vcc
	v_cmp_gt_i32_e32 vcc, s27, v72
	v_ashrrev_i32_e32 v71, 31, v70
	v_lshl_add_u64 v[70:71], v[70:71], 2, s[6:7]
	v_cndmask_b32_e32 v72, v76, v58, vcc
	v_mfma_f32_16x16x16_f16 v[58:61], v[60:61], v[52:53], v[66:69]
	v_ashrrev_i32_e32 v73, 31, v72
	s_waitcnt vmcnt(9)
	v_mfma_f32_16x16x16_f16 v[58:61], v[54:55], v[46:47], v[58:61]
	v_lshl_add_u64 v[66:67], v[72:73], 2, s[6:7]
	global_load_dword v72, v[70:71], off
	global_load_dword v75, v[66:67], off
	v_or_b32_e32 v66, 0x80, v74
	v_add_u32_e32 v67, s8, v66
	v_mfma_f32_16x16x16_f16 v[54:57], v[56:57], v[48:49], v[58:61]
	v_cmp_gt_i32_e32 vcc, s27, v66
	s_nop 1
	v_ashrrev_i32_e32 v58, 5, v67
	v_cndmask_b32_e32 v58, v76, v58, vcc
	v_ashrrev_i32_e32 v59, 31, v58
	s_waitcnt vmcnt(10)
	v_mfma_f32_16x16x16_f16 v[54:57], v[30:31], v[42:43], v[54:57]
	v_lshl_add_u64 v[30:31], v[58:59], 2, s[6:7]
	global_load_dword v58, v[30:31], off
	v_mfma_f32_16x16x16_f16 v[66:69], v[32:33], v[44:45], v[54:57]
	s_nop 3
	v_or_b32_e32 v54, 0xc0, v74
	v_add_u32_e32 v30, s8, v54
	v_ashrrev_i32_e32 v55, 5, v30
	v_cmp_gt_i32_e32 vcc, s27, v54
	s_waitcnt vmcnt(10)
	v_mfma_f32_16x16x16_f16 v[30:33], v[26:27], v[14:15], 0
	v_cndmask_b32_e32 v26, v76, v55, vcc
	v_ashrrev_i32_e32 v27, 31, v26
	v_lshl_add_u64 v[54:55], v[26:27], 2, s[6:7]
	global_load_dword v59, v[54:55], off
	v_mfma_f32_16x16x16_f16 v[26:29], v[28:29], v[16:17], v[30:33]
	s_load_dword s6, s[0:1], 0x1c
	s_waitcnt lgkmcnt(0)
	v_pk_mul_f32 v[76:77], s[6:7], v[66:67] op_sel_hi:[0,1]
	s_waitcnt vmcnt(10)
	v_mfma_f32_16x16x16_f16 v[26:29], v[22:23], v[50:51], v[26:29]
	v_and_b32_e32 v30, 16, v0
	v_lshlrev_b32_e32 v86, 1, v30
	v_lshl_add_u64 v[60:61], s[4:5], 0, v[86:87]
	v_mfma_f32_16x16x16_f16 v[22:25], v[24:25], v[52:53], v[26:29]
	v_lshlrev_b32_e32 v86, 6, v91
	v_lshl_add_u64 v[70:71], v[60:61], 0, v[86:87]
	v_or_b32_e32 v86, 0x1000, v86
	s_waitcnt vmcnt(9)
	v_mfma_f32_16x16x16_f16 v[22:25], v[18:19], v[46:47], v[22:25]
	v_lshl_add_u64 v[80:81], v[60:61], 0, v[86:87]
	v_pk_mul_f32 v[78:79], s[6:7], v[64:65] op_sel_hi:[0,1]
	v_pk_mul_f32 v[60:61], s[6:7], v[62:63] op_sel_hi:[0,1]
	v_mfma_f32_16x16x16_f16 v[18:21], v[20:21], v[48:49], v[22:25]
	s_waitcnt vmcnt(8)
	v_mfma_f32_16x16x16_f16 v[18:21], v[10:11], v[42:43], v[18:21]
	s_waitcnt vmcnt(3)
	v_mad_i64_i32 v[22:23], s[4:5], v72, s9, 0
	s_waitcnt vmcnt(2)
	v_mad_i64_i32 v[10:11], s[4:5], v75, s9, 0
	v_lshlrev_b64 v[72:73], 1, v[22:23]
	v_lshlrev_b64 v[54:55], 1, v[10:11]
	v_lshl_add_u64 v[22:23], v[70:71], 0, v[72:73]
	v_lshl_add_u64 v[10:11], v[70:71], 0, v[54:55]
	global_load_dwordx4 v[30:33], v[22:23], off
	global_load_dwordx4 v[26:29], v[22:23], off offset:16
	v_mfma_f32_16x16x16_f16 v[92:95], v[12:13], v[44:45], v[18:21]
	global_load_dwordx4 v[22:25], v[10:11], off
	s_nop 1
	global_load_dwordx4 v[18:21], v[10:11], off offset:16
	v_pk_mul_f32 v[74:75], s[6:7], v[68:69] op_sel_hi:[0,1]
	v_mfma_f32_16x16x16_f16 v[10:13], v[6:7], v[14:15], 0
	s_waitcnt vmcnt(5)
	v_mad_i64_i32 v[6:7], s[4:5], v58, s9, 0
	v_lshlrev_b64 v[56:57], 1, v[6:7]
	v_mfma_f32_16x16x16_f16 v[6:9], v[8:9], v[16:17], v[10:13]
	v_mfma_f32_16x16x16_f16 v[6:9], v[2:3], v[50:51], v[6:9]
	s_nop 1
	v_lshl_add_u64 v[10:11], v[70:71], 0, v[56:57]
	global_load_dwordx4 v[14:17], v[10:11], off
	s_nop 0
	global_load_dwordx4 v[10:13], v[10:11], off offset:16
	s_waitcnt vmcnt(6)
	v_mad_i64_i32 v[2:3], s[4:5], v59, s9, 0
	v_mfma_f32_16x16x16_f16 v[50:53], v[4:5], v[52:53], v[6:9]
	v_lshlrev_b64 v[58:59], 1, v[2:3]
	v_lshl_add_u64 v[2:3], v[70:71], 0, v[58:59]
	v_pk_mul_f32 v[70:71], s[6:7], v[94:95] op_sel_hi:[0,1]
	v_mfma_f32_16x16x16_f16 v[50:53], v[38:39], v[46:47], v[50:53]
	v_lshl_add_u64 v[38:39], v[80:81], 0, v[72:73]
	v_pk_mul_f32 v[72:73], s[6:7], v[92:93] op_sel_hi:[0,1]
	v_lshl_add_u64 v[58:59], v[80:81], 0, v[58:59]
	v_mfma_f32_16x16x16_f16 v[46:49], v[40:41], v[48:49], v[50:53]
	global_load_dwordx4 v[6:9], v[2:3], off
	s_nop 0
	global_load_dwordx4 v[2:5], v[2:3], off offset:16
	v_mfma_f32_16x16x16_f16 v[40:43], v[34:35], v[42:43], v[46:49]
	v_mfma_f32_16x16x16_f16 v[34:37], v[36:37], v[44:45], v[40:43]
	s_nop 6
	v_pk_mul_f32 v[68:69], s[6:7], v[34:35] op_sel_hi:[0,1]
	v_and_b32_e32 v34, 0xc0, v0
	v_add_u32_e32 v34, s18, v34
	v_lshl_or_b32 v34, v1, 2, v34
	v_or_b32_e32 v35, 1, v34
	v_pk_mul_f32 v[66:67], s[6:7], v[36:37] op_sel_hi:[0,1]
	v_subrev_u32_e32 v36, s27, v35
	v_add_u32_e32 v40, 1, v36
	v_add_u32_e32 v41, 2, v36
	v_cvt_f32_i32_e32 v37, v36
	v_cvt_f32_i32_e32 v40, v40
	;; [unrolled: 1-line block ×3, first 2 shown]
	v_add_u32_e32 v42, 3, v36
	v_fma_f32 v60, v90, v37, v60
	v_fmac_f32_e32 v61, v90, v40
	v_fma_f32 v78, v90, v41, v78
	v_add_u32_e32 v37, 16, v36
	v_add_u32_e32 v40, 17, v36
	;; [unrolled: 1-line block ×3, first 2 shown]
	v_cvt_f32_i32_e32 v42, v42
	v_cvt_f32_i32_e32 v37, v37
	;; [unrolled: 1-line block ×4, first 2 shown]
	v_fmac_f32_e32 v79, v90, v42
	v_add_u32_e32 v42, 19, v36
	v_fma_f32 v76, v90, v37, v76
	v_fmac_f32_e32 v77, v90, v40
	v_fma_f32 v74, v90, v41, v74
	v_add_u32_e32 v37, 32, v36
	v_add_u32_e32 v40, 33, v36
	v_add_u32_e32 v41, 34, v36
	v_cvt_f32_i32_e32 v42, v42
	v_cvt_f32_i32_e32 v37, v37
	;; [unrolled: 1-line block ×4, first 2 shown]
	v_fmac_f32_e32 v75, v90, v42
	v_add_u32_e32 v42, 35, v36
	v_fma_f32 v72, v90, v37, v72
	v_fmac_f32_e32 v73, v90, v40
	v_fma_f32 v70, v90, v41, v70
	v_add_u32_e32 v37, 48, v36
	v_add_u32_e32 v40, 49, v36
	;; [unrolled: 1-line block ×4, first 2 shown]
	v_cvt_f32_i32_e32 v36, v36
	v_cvt_f32_i32_e32 v37, v37
	;; [unrolled: 1-line block ×3, first 2 shown]
	v_cmp_gt_i32_e64 s[28:29], s27, v34
	v_fmac_f32_e32 v67, v90, v36
	v_mov_b32_e32 v36, 0xff7fffff
	v_cmp_gt_i32_e64 s[30:31], s27, v35
	v_fma_f32 v68, v90, v37, v68
	v_cndmask_b32_e64 v37, v36, v60, s[28:29]
	v_cndmask_b32_e64 v35, v36, v61, s[30:31]
	v_fmac_f32_e32 v69, v90, v40
	v_max3_f32 v35, v37, s33, v35
	v_or_b32_e32 v37, 2, v34
	v_or_b32_e32 v40, 3, v34
	v_cmp_gt_i32_e64 s[34:35], s27, v37
	v_cmp_gt_i32_e64 s[36:37], s27, v40
	v_cvt_f32_i32_e32 v42, v42
	v_cndmask_b32_e64 v37, v36, v78, s[34:35]
	v_cndmask_b32_e64 v40, v36, v79, s[36:37]
	v_max3_f32 v35, v35, v37, v40
	v_or_b32_e32 v37, 16, v34
	v_or_b32_e32 v40, 17, v34
	v_cmp_gt_i32_e64 s[22:23], s27, v37
	v_cmp_gt_i32_e64 s[24:25], s27, v40
	v_fmac_f32_e32 v71, v90, v42
	v_cndmask_b32_e64 v37, v36, v76, s[22:23]
	v_cndmask_b32_e64 v40, v36, v77, s[24:25]
	v_max3_f32 v35, v35, v37, v40
	v_or_b32_e32 v37, 18, v34
	v_or_b32_e32 v40, 19, v34
	v_cmp_gt_i32_e64 s[18:19], s27, v37
	v_cmp_gt_i32_e64 s[20:21], s27, v40
	v_cvt_f32_i32_e32 v41, v41
	v_cndmask_b32_e64 v37, v36, v74, s[18:19]
	v_cndmask_b32_e64 v40, v36, v75, s[20:21]
	v_max3_f32 v35, v35, v37, v40
	v_or_b32_e32 v37, 32, v34
	v_or_b32_e32 v40, 33, v34
	v_cmp_gt_i32_e64 s[14:15], s27, v37
	v_cmp_gt_i32_e64 s[16:17], s27, v40
	v_fma_f32 v66, v90, v41, v66
	v_cndmask_b32_e64 v37, v36, v72, s[14:15]
	v_cndmask_b32_e64 v40, v36, v73, s[16:17]
	v_max3_f32 v35, v35, v37, v40
	v_or_b32_e32 v37, 34, v34
	v_or_b32_e32 v40, 35, v34
	v_cmp_gt_i32_e64 s[10:11], s27, v37
	v_cmp_gt_i32_e64 s[12:13], s27, v40
	s_nop 0
	v_cndmask_b32_e64 v37, v36, v70, s[10:11]
	v_cndmask_b32_e64 v40, v36, v71, s[12:13]
	v_max3_f32 v35, v35, v37, v40
	v_or_b32_e32 v37, 48, v34
	v_or_b32_e32 v40, 49, v34
	v_cmp_gt_i32_e64 s[6:7], s27, v37
	v_cmp_gt_i32_e64 s[8:9], s27, v40
	s_nop 0
	v_cndmask_b32_e64 v37, v36, v68, s[6:7]
	v_cndmask_b32_e64 v40, v36, v69, s[8:9]
	v_max3_f32 v35, v35, v37, v40
	v_or_b32_e32 v37, 50, v34
	v_or_b32_e32 v34, 51, v34
	v_cmp_gt_i32_e32 vcc, s27, v37
	v_cmp_gt_i32_e64 s[4:5], s27, v34
	global_load_dwordx4 v[46:49], v[38:39], off
	s_nop 0
	global_load_dwordx4 v[38:41], v[38:39], off offset:16
	v_cndmask_b32_e32 v37, v36, v66, vcc
	v_cndmask_b32_e64 v34, v36, v67, s[4:5]
	v_max3_f32 v50, v35, v37, v34
	v_mbcnt_lo_u32_b32 v34, -1, 0
	v_mbcnt_hi_u32_b32 v51, -1, v34
	v_and_b32_e32 v34, 64, v51
	v_add_u32_e32 v52, 64, v34
	v_xor_b32_e32 v34, 32, v51
	v_cmp_lt_i32_e64 s[38:39], v34, v52
	s_nop 1
	v_cndmask_b32_e64 v34, v51, v34, s[38:39]
	v_lshlrev_b32_e32 v87, 2, v34
	ds_bpermute_b32 v53, v87, v50
	v_lshl_add_u64 v[34:35], v[80:81], 0, v[54:55]
	global_load_dwordx4 v[42:45], v[34:35], off
	s_nop 0
	global_load_dwordx4 v[34:37], v[34:35], off offset:16
	s_waitcnt lgkmcnt(0)
	v_max_f32_e32 v53, v53, v53
	v_max_f32_e32 v62, v50, v53
	v_xor_b32_e32 v50, 16, v51
	v_cmp_lt_i32_e64 s[38:39], v50, v52
	s_nop 1
	v_cndmask_b32_e64 v50, v51, v50, s[38:39]
	v_lshlrev_b32_e32 v90, 2, v50
	ds_bpermute_b32 v63, v90, v62
	v_lshl_add_u64 v[50:51], v[80:81], 0, v[56:57]
	global_load_dwordx4 v[54:57], v[50:51], off
	s_nop 0
	global_load_dwordx4 v[50:53], v[50:51], off offset:16
	s_waitcnt lgkmcnt(0)
	v_max_f32_e32 v63, v63, v63
	v_max_f32_e32 v86, v62, v63
	v_sub_f32_e32 v60, v60, v86
	v_mul_f32_e32 v60, 0x3fb8aa3b, v60
	v_exp_f32_e32 v80, v60
	v_sub_f32_e32 v60, v61, v86
	v_mul_f32_e32 v60, 0x3fb8aa3b, v60
	v_exp_f32_e32 v81, v60
	global_load_dwordx4 v[62:65], v[58:59], off
	s_nop 0
	global_load_dwordx4 v[58:61], v[58:59], off offset:16
	v_sub_f32_e32 v78, v78, v86
	v_mul_f32_e32 v78, 0x3fb8aa3b, v78
	v_sub_f32_e32 v79, v79, v86
	v_exp_f32_e32 v78, v78
	v_mul_f32_e32 v79, 0x3fb8aa3b, v79
	v_sub_f32_e32 v76, v76, v86
	v_exp_f32_e32 v79, v79
	v_mul_f32_e32 v76, 0x3fb8aa3b, v76
	v_sub_f32_e32 v77, v77, v86
	v_cndmask_b32_e64 v80, 0, v80, s[28:29]
	v_exp_f32_e32 v76, v76
	v_mul_f32_e32 v77, 0x3fb8aa3b, v77
	v_sub_f32_e32 v74, v74, v86
	v_add_f32_e32 v92, 0, v80
	v_cndmask_b32_e64 v81, 0, v81, s[30:31]
	v_exp_f32_e32 v77, v77
	v_mul_f32_e32 v74, 0x3fb8aa3b, v74
	v_sub_f32_e32 v75, v75, v86
	v_add_f32_e32 v92, v92, v81
	;; [unrolled: 5-line block ×10, first 2 shown]
	v_cndmask_b32_e64 v70, 0, v70, s[10:11]
	v_exp_f32_e32 v66, v66
	v_mul_f32_e32 v67, 0x3fb8aa3b, v67
	v_add_f32_e32 v92, v92, v70
	v_cndmask_b32_e64 v71, 0, v71, s[12:13]
	v_exp_f32_e32 v67, v67
	v_add_f32_e32 v92, v92, v71
	v_cndmask_b32_e64 v68, 0, v68, s[6:7]
	v_add_f32_e32 v92, v92, v68
	v_cndmask_b32_e64 v69, 0, v69, s[8:9]
	v_add_f32_e32 v92, v92, v69
	v_cndmask_b32_e32 v66, 0, v66, vcc
	v_add_f32_e32 v92, v92, v66
	v_cndmask_b32_e64 v67, 0, v67, s[4:5]
	v_add_f32_e32 v92, v92, v67
	ds_bpermute_b32 v87, v87, v92
	s_load_dword s7, s[0:1], 0x98
	v_cmp_gt_u32_e32 vcc, 16, v89
	s_waitcnt lgkmcnt(0)
	s_barrier
	v_add_f32_e32 v87, v92, v87
	ds_bpermute_b32 v90, v90, v87
	s_waitcnt lgkmcnt(0)
	s_and_saveexec_b64 s[4:5], vcc
	s_cbranch_execz .LBB362_17
; %bb.16:
	v_add_f32_e32 v87, v87, v90
	v_lshlrev_b32_e32 v89, 2, v91
	ds_write2st64_b32 v89, v86, v87 offset1:1
.LBB362_17:
	s_or_b64 exec, exec, s[4:5]
	v_lshlrev_b32_e32 v87, 2, v84
	s_load_dword s6, s[0:1], 0x94
	s_waitcnt lgkmcnt(0)
	s_barrier
	ds_read2_b32 v[90:91], v87 offset1:16
	ds_read2_b32 v[92:93], v87 offset0:32 offset1:48
	ds_read2_b32 v[94:95], v87 offset0:64 offset1:80
	s_mul_i32 s7, s7, 3
	s_waitcnt lgkmcnt(2)
	v_max3_f32 v86, v90, s33, v91
	s_waitcnt lgkmcnt(1)
	v_max3_f32 v86, v86, v92, v93
	v_sub_f32_e32 v89, v90, v86
	v_sub_f32_e32 v90, v91, v86
	v_mul_f32_e32 v90, 0x3fb8aa3b, v90
	v_mul_f32_e32 v89, 0x3fb8aa3b, v89
	v_exp_f32_e32 v88, v90
	v_sub_f32_e32 v90, v92, v86
	v_exp_f32_e32 v89, v89
	v_mul_f32_e32 v90, 0x3fb8aa3b, v90
	v_exp_f32_e32 v92, v90
	ds_read2_b32 v[90:91], v87 offset0:96 offset1:112
	v_sub_f32_e32 v87, v93, v86
	v_mul_f32_e32 v87, 0x3fb8aa3b, v87
	v_exp_f32_e32 v93, v87
	s_waitcnt lgkmcnt(1)
	v_fma_f32 v87, v89, v94, 0
	v_fmac_f32_e32 v87, v88, v95
	s_waitcnt lgkmcnt(0)
	v_fmac_f32_e32 v87, v92, v90
	v_fmac_f32_e32 v87, v93, v91
	v_add_f32_e32 v90, 0x358637bd, v87
	v_div_scale_f32 v91, s[4:5], v90, v90, 1.0
	v_rcp_f32_e32 v94, v91
	s_barrier
	v_fma_f32 v95, -v91, v94, 1.0
	v_fmac_f32_e32 v94, v95, v94
	v_div_scale_f32 v95, vcc, 1.0, v90, 1.0
	v_mul_f32_e32 v1, v95, v94
	v_fma_f32 v85, -v91, v1, v95
	v_fmac_f32_e32 v1, v85, v94
	v_fma_f32 v85, -v91, v1, v95
	v_lshrrev_b32_e32 v91, 6, v0
	v_div_fmas_f32 v1, v85, v94, v1
	v_cmp_eq_u32_e32 vcc, 1, v91
	v_div_fixup_f32 v1, v1, v90, 1.0
	s_nop 0
	v_cndmask_b32_e32 v85, v89, v88, vcc
	v_cmp_eq_u32_e32 vcc, 2, v91
	v_bfe_u32 v88, v0, 4, 2
	s_nop 0
	v_cndmask_b32_e32 v85, v85, v92, vcc
	v_cmp_eq_u32_e32 vcc, 3, v91
	s_nop 1
	v_cndmask_b32_e32 v85, v85, v93, vcc
	v_mul_f32_e32 v90, v85, v1
	v_pk_mul_f32 v[78:79], v[90:91], v[78:79] op_sel_hi:[0,1]
	v_cvt_f16_f32_e32 v78, v78
	v_cvt_f16_f32_e32 v79, v79
	v_pk_mul_f32 v[80:81], v[90:91], v[80:81] op_sel_hi:[0,1]
	v_cvt_f16_f32_e32 v1, v80
	v_cvt_f16_f32_e32 v80, v81
	v_pk_mul_f32 v[74:75], v[90:91], v[74:75] op_sel_hi:[0,1]
	v_pk_mul_f32 v[76:77], v[90:91], v[76:77] op_sel_hi:[0,1]
	v_pack_b32_f16 v81, v78, v79
	v_cvt_f16_f32_e32 v76, v76
	v_cvt_f16_f32_e32 v77, v77
	;; [unrolled: 1-line block ×4, first 2 shown]
	v_pack_b32_f16 v80, v1, v80
	v_lshlrev_b32_e32 v1, 3, v88
	v_lshlrev_b32_e32 v78, 5, v84
	;; [unrolled: 1-line block ×3, first 2 shown]
	v_pk_mul_f32 v[70:71], v[90:91], v[70:71] op_sel_hi:[0,1]
	v_pk_mul_f32 v[72:73], v[90:91], v[72:73] op_sel_hi:[0,1]
	;; [unrolled: 1-line block ×4, first 2 shown]
	v_or3_b32 v74, v74, v78, v1
	v_pack_b32_f16 v76, v76, v77
	v_pack_b32_f16 v77, v79, v75
	v_cvt_f16_f32_e32 v1, v72
	v_cvt_f16_f32_e32 v72, v73
	;; [unrolled: 1-line block ×8, first 2 shown]
	v_pack_b32_f16 v66, v1, v72
	v_pack_b32_f16 v67, v70, v71
	;; [unrolled: 1-line block ×4, first 2 shown]
	v_cmp_gt_u32_e32 vcc, 3, v0
	ds_write2st64_b64 v74, v[80:81], v[76:77] offset1:1
	ds_write2st64_b64 v74, v[66:67], v[68:69] offset0:2 offset1:3
	s_and_saveexec_b64 s[4:5], vcc
	s_cbranch_execz .LBB362_19
; %bb.18:
	s_mov_b32 s41, 0
	v_mov_b32_e32 v85, 0
	v_lshl_add_u64 v[66:67], s[40:41], 0, v[84:85]
	v_mov_b32_e32 v1, s7
	v_mad_u64_u32 v[66:67], s[12:13], s2, v1, v[66:67]
	s_mul_i32 s3, s3, s7
	v_mov_b32_e32 v68, s26
	v_mov_b32_e32 v69, v85
	s_load_dwordx4 s[8:11], s[0:1], 0x58
	v_add_u32_e32 v1, s3, v67
	v_mad_u64_u32 v[66:67], s[12:13], v66, s6, v[68:69]
	v_mov_b32_e32 v68, v67
	v_mad_u64_u32 v[68:69], s[12:13], v1, s6, v[68:69]
	v_mov_b32_e32 v67, v68
	v_lshlrev_b64 v[66:67], 2, v[66:67]
	s_waitcnt lgkmcnt(0)
	v_lshl_add_u64 v[68:69], s[10:11], 0, v[66:67]
	v_lshl_add_u64 v[66:67], s[8:9], 0, v[66:67]
	global_store_dword v[68:69], v86, off
	global_store_dword v[66:67], v87, off
.LBB362_19:
	s_or_b64 exec, exec, s[4:5]
	v_lshl_or_b32 v1, v88, 9, v78
	s_waitcnt lgkmcnt(0)
	s_barrier
	ds_read_b128 v[70:73], v1
	ds_read_b128 v[66:69], v1 offset:16
	s_waitcnt vmcnt(15) lgkmcnt(1)
	v_mfma_f32_16x16x16_f16 v[76:79], v[30:31], v[70:71], 0
	v_cmp_gt_u32_e32 vcc, 64, v0
	v_cmp_ne_u32_e64 s[4:5], 3, v88
	s_mov_b32 s3, 0
	v_mfma_f32_16x16x16_f16 v[30:33], v[32:33], v[72:73], v[76:79]
	s_and_b64 s[4:5], vcc, s[4:5]
	s_waitcnt vmcnt(14) lgkmcnt(0)
	v_mfma_f32_16x16x16_f16 v[30:33], v[26:27], v[66:67], v[30:33]
	v_mfma_f32_16x16x16_f16 v[26:29], v[28:29], v[68:69], v[30:33]
	s_nop 5
	ds_read_b128 v[30:33], v1 offset:2048
	ds_read_b128 v[76:79], v1 offset:2064
	s_waitcnt vmcnt(13) lgkmcnt(1)
	v_mfma_f32_16x16x16_f16 v[26:29], v[22:23], v[30:31], v[26:29]
	v_mfma_f32_16x16x16_f16 v[22:25], v[24:25], v[32:33], v[26:29]
	s_waitcnt vmcnt(12) lgkmcnt(0)
	v_mfma_f32_16x16x16_f16 v[22:25], v[18:19], v[76:77], v[22:25]
	v_mfma_f32_16x16x16_f16 v[18:21], v[20:21], v[78:79], v[22:25]
	s_nop 5
	ds_read_b128 v[22:25], v1 offset:4096
	ds_read_b128 v[26:29], v1 offset:4112
	s_waitcnt vmcnt(11) lgkmcnt(1)
	v_mfma_f32_16x16x16_f16 v[18:21], v[14:15], v[22:23], v[18:21]
	v_mfma_f32_16x16x16_f16 v[14:17], v[16:17], v[24:25], v[18:21]
	s_waitcnt vmcnt(10) lgkmcnt(0)
	v_mfma_f32_16x16x16_f16 v[14:17], v[10:11], v[26:27], v[14:17]
	v_mfma_f32_16x16x16_f16 v[10:13], v[12:13], v[28:29], v[14:17]
	s_nop 5
	ds_read_b128 v[14:17], v1 offset:6144
	ds_read_b128 v[18:21], v1 offset:6160
	s_waitcnt lgkmcnt(0)
	s_barrier
	s_waitcnt vmcnt(9)
	v_mfma_f32_16x16x16_f16 v[10:13], v[6:7], v[14:15], v[10:13]
	v_mfma_f32_16x16x16_f16 v[6:9], v[8:9], v[16:17], v[10:13]
	s_waitcnt vmcnt(8)
	v_mfma_f32_16x16x16_f16 v[6:9], v[2:3], v[18:19], v[6:9]
	v_mfma_f32_16x16x16_f16 v[2:5], v[4:5], v[20:21], v[6:9]
	;; [unrolled: 3-line block ×3, first 2 shown]
	s_nop 3
	v_cvt_f16_f32_e32 v1, v2
	v_cvt_f16_f32_e32 v10, v3
	;; [unrolled: 1-line block ×3, first 2 shown]
	s_waitcnt vmcnt(6)
	v_mfma_f32_16x16x16_f16 v[6:9], v[38:39], v[66:67], v[6:9]
	v_cvt_f16_f32_e32 v12, v5
	v_mfma_f32_16x16x16_f16 v[6:9], v[40:41], v[68:69], v[6:9]
	s_waitcnt vmcnt(5)
	v_mfma_f32_16x16x16_f16 v[6:9], v[42:43], v[30:31], v[6:9]
	v_mfma_f32_16x16x16_f16 v[6:9], v[44:45], v[32:33], v[6:9]
	s_waitcnt vmcnt(4)
	v_mfma_f32_16x16x16_f16 v[6:9], v[34:35], v[76:77], v[6:9]
	;; [unrolled: 3-line block ×6, first 2 shown]
	v_mfma_f32_16x16x16_f16 v[2:5], v[60:61], v[20:21], v[6:9]
	s_nop 6
	v_cvt_f16_f32_e32 v6, v2
	v_cvt_f16_f32_e32 v7, v3
	v_cvt_f16_f32_e32 v8, v4
	v_cvt_f16_f32_e32 v5, v5
	v_pack_b32_f16 v2, v1, v10
	v_pack_b32_f16 v3, v11, v12
	;; [unrolled: 1-line block ×4, first 2 shown]
	ds_write2st64_b64 v74, v[2:3], v[4:5] offset1:1
	s_waitcnt lgkmcnt(0)
	s_barrier
	s_and_saveexec_b64 s[8:9], s[4:5]
	s_cbranch_execz .LBB362_21
; %bb.20:
	scratch_load_dword v4, off, off         ; 4-byte Folded Reload
	s_load_dwordx2 s[0:1], s[0:1], 0x68
	s_mul_i32 s2, s7, s2
	s_lshl_b32 s6, s6, 7
	v_lshlrev_b32_e32 v3, 6, v84
	s_mul_hi_u32 s5, s2, s6
	s_mul_i32 s4, s2, s6
	v_lshlrev_b32_e32 v2, 4, v0
	v_lshl_or_b32 v0, v0, 10, v3
	s_lshl_b64 s[4:5], s[4:5], 1
	v_lshlrev_b32_e32 v1, 5, v88
	v_and_b32_e32 v2, 16, v2
	v_and_b32_e32 v0, 0x1a00, v0
	s_waitcnt lgkmcnt(0)
	s_add_u32 s4, s0, s4
	v_or3_b32 v0, v0, v1, v2
	s_addc_u32 s5, s1, s5
	s_lshl_b32 s2, s26, 7
	ds_read_b128 v[0:3], v0
	s_lshl_b64 s[0:1], s[2:3], 1
	s_add_u32 s0, s4, s0
	s_addc_u32 s1, s5, s1
	s_waitcnt vmcnt(0)
	v_mad_u64_u32 v[4:5], s[2:3], s6, v4, 0
	v_lshl_add_u64 v[4:5], v[4:5], 1, s[0:1]
	v_lshl_add_u64 v[4:5], v[82:83], 1, v[4:5]
	s_waitcnt lgkmcnt(0)
	global_store_dwordx4 v[4:5], v[0:3], off
.LBB362_21:
	s_endpgm
	.section	.rodata,"a",@progbits
	.p2align	6, 0x0
	.amdhsa_kernel _Z39paged_attention_ll4mi_QKV_mfma16_kernelIDF16_DF16_LN4vllm18Fp8KVCacheDataTypeE0EDF16_Li32ELi128ELi256ELb1ELi3EEvPKT_PKT0_S7_ifPKiS9_S9_iPKfiiiPfSC_PS2_PT2_iSB_SB_
		.amdhsa_group_segment_fixed_size 8192
		.amdhsa_private_segment_fixed_size 8
		.amdhsa_kernarg_size 400
		.amdhsa_user_sgpr_count 2
		.amdhsa_user_sgpr_dispatch_ptr 0
		.amdhsa_user_sgpr_queue_ptr 0
		.amdhsa_user_sgpr_kernarg_segment_ptr 1
		.amdhsa_user_sgpr_dispatch_id 0
		.amdhsa_user_sgpr_kernarg_preload_length 0
		.amdhsa_user_sgpr_kernarg_preload_offset 0
		.amdhsa_user_sgpr_private_segment_size 0
		.amdhsa_uses_dynamic_stack 0
		.amdhsa_enable_private_segment 1
		.amdhsa_system_sgpr_workgroup_id_x 1
		.amdhsa_system_sgpr_workgroup_id_y 1
		.amdhsa_system_sgpr_workgroup_id_z 1
		.amdhsa_system_sgpr_workgroup_info 0
		.amdhsa_system_vgpr_workitem_id 0
		.amdhsa_next_free_vgpr 96
		.amdhsa_next_free_sgpr 42
		.amdhsa_accum_offset 96
		.amdhsa_reserve_vcc 1
		.amdhsa_float_round_mode_32 0
		.amdhsa_float_round_mode_16_64 0
		.amdhsa_float_denorm_mode_32 3
		.amdhsa_float_denorm_mode_16_64 3
		.amdhsa_dx10_clamp 1
		.amdhsa_ieee_mode 1
		.amdhsa_fp16_overflow 0
		.amdhsa_tg_split 0
		.amdhsa_exception_fp_ieee_invalid_op 0
		.amdhsa_exception_fp_denorm_src 0
		.amdhsa_exception_fp_ieee_div_zero 0
		.amdhsa_exception_fp_ieee_overflow 0
		.amdhsa_exception_fp_ieee_underflow 0
		.amdhsa_exception_fp_ieee_inexact 0
		.amdhsa_exception_int_div_zero 0
	.end_amdhsa_kernel
	.section	.text._Z39paged_attention_ll4mi_QKV_mfma16_kernelIDF16_DF16_LN4vllm18Fp8KVCacheDataTypeE0EDF16_Li32ELi128ELi256ELb1ELi3EEvPKT_PKT0_S7_ifPKiS9_S9_iPKfiiiPfSC_PS2_PT2_iSB_SB_,"axG",@progbits,_Z39paged_attention_ll4mi_QKV_mfma16_kernelIDF16_DF16_LN4vllm18Fp8KVCacheDataTypeE0EDF16_Li32ELi128ELi256ELb1ELi3EEvPKT_PKT0_S7_ifPKiS9_S9_iPKfiiiPfSC_PS2_PT2_iSB_SB_,comdat
.Lfunc_end362:
	.size	_Z39paged_attention_ll4mi_QKV_mfma16_kernelIDF16_DF16_LN4vllm18Fp8KVCacheDataTypeE0EDF16_Li32ELi128ELi256ELb1ELi3EEvPKT_PKT0_S7_ifPKiS9_S9_iPKfiiiPfSC_PS2_PT2_iSB_SB_, .Lfunc_end362-_Z39paged_attention_ll4mi_QKV_mfma16_kernelIDF16_DF16_LN4vllm18Fp8KVCacheDataTypeE0EDF16_Li32ELi128ELi256ELb1ELi3EEvPKT_PKT0_S7_ifPKiS9_S9_iPKfiiiPfSC_PS2_PT2_iSB_SB_
                                        ; -- End function
	.section	.AMDGPU.csdata,"",@progbits
; Kernel info:
; codeLenInByte = 4860
; NumSgprs: 48
; NumVgprs: 96
; NumAgprs: 0
; TotalNumVgprs: 96
; ScratchSize: 8
; MemoryBound: 0
; FloatMode: 240
; IeeeMode: 1
; LDSByteSize: 8192 bytes/workgroup (compile time only)
; SGPRBlocks: 5
; VGPRBlocks: 11
; NumSGPRsForWavesPerEU: 48
; NumVGPRsForWavesPerEU: 96
; AccumOffset: 96
; Occupancy: 5
; WaveLimiterHint : 1
; COMPUTE_PGM_RSRC2:SCRATCH_EN: 1
; COMPUTE_PGM_RSRC2:USER_SGPR: 2
; COMPUTE_PGM_RSRC2:TRAP_HANDLER: 0
; COMPUTE_PGM_RSRC2:TGID_X_EN: 1
; COMPUTE_PGM_RSRC2:TGID_Y_EN: 1
; COMPUTE_PGM_RSRC2:TGID_Z_EN: 1
; COMPUTE_PGM_RSRC2:TIDIG_COMP_CNT: 0
; COMPUTE_PGM_RSRC3_GFX90A:ACCUM_OFFSET: 23
; COMPUTE_PGM_RSRC3_GFX90A:TG_SPLIT: 0
	.section	.text._Z39paged_attention_ll4mi_QKV_mfma16_kernelIDF16_DF16_LN4vllm18Fp8KVCacheDataTypeE0EDF16_Li32ELi128ELi256ELb1ELi4EEvPKT_PKT0_S7_ifPKiS9_S9_iPKfiiiPfSC_PS2_PT2_iSB_SB_,"axG",@progbits,_Z39paged_attention_ll4mi_QKV_mfma16_kernelIDF16_DF16_LN4vllm18Fp8KVCacheDataTypeE0EDF16_Li32ELi128ELi256ELb1ELi4EEvPKT_PKT0_S7_ifPKiS9_S9_iPKfiiiPfSC_PS2_PT2_iSB_SB_,comdat
	.protected	_Z39paged_attention_ll4mi_QKV_mfma16_kernelIDF16_DF16_LN4vllm18Fp8KVCacheDataTypeE0EDF16_Li32ELi128ELi256ELb1ELi4EEvPKT_PKT0_S7_ifPKiS9_S9_iPKfiiiPfSC_PS2_PT2_iSB_SB_ ; -- Begin function _Z39paged_attention_ll4mi_QKV_mfma16_kernelIDF16_DF16_LN4vllm18Fp8KVCacheDataTypeE0EDF16_Li32ELi128ELi256ELb1ELi4EEvPKT_PKT0_S7_ifPKiS9_S9_iPKfiiiPfSC_PS2_PT2_iSB_SB_
	.globl	_Z39paged_attention_ll4mi_QKV_mfma16_kernelIDF16_DF16_LN4vllm18Fp8KVCacheDataTypeE0EDF16_Li32ELi128ELi256ELb1ELi4EEvPKT_PKT0_S7_ifPKiS9_S9_iPKfiiiPfSC_PS2_PT2_iSB_SB_
	.p2align	8
	.type	_Z39paged_attention_ll4mi_QKV_mfma16_kernelIDF16_DF16_LN4vllm18Fp8KVCacheDataTypeE0EDF16_Li32ELi128ELi256ELb1ELi4EEvPKT_PKT0_S7_ifPKiS9_S9_iPKfiiiPfSC_PS2_PT2_iSB_SB_,@function
_Z39paged_attention_ll4mi_QKV_mfma16_kernelIDF16_DF16_LN4vllm18Fp8KVCacheDataTypeE0EDF16_Li32ELi128ELi256ELb1ELi4EEvPKT_PKT0_S7_ifPKiS9_S9_iPKfiiiPfSC_PS2_PT2_iSB_SB_: ; @_Z39paged_attention_ll4mi_QKV_mfma16_kernelIDF16_DF16_LN4vllm18Fp8KVCacheDataTypeE0EDF16_Li32ELi128ELi256ELb1ELi4EEvPKT_PKT0_S7_ifPKiS9_S9_iPKfiiiPfSC_PS2_PT2_iSB_SB_
; %bb.0:
	s_load_dwordx2 s[8:9], s[0:1], 0x30
	s_mov_b32 s20, s3
	s_mov_b64 s[6:7], 0
	s_waitcnt lgkmcnt(0)
	s_cmp_lg_u64 s[8:9], 0
	s_cselect_b64 s[10:11], -1, 0
	s_and_b64 vcc, exec, s[10:11]
	s_cbranch_vccz .LBB363_7
; %bb.1:
	s_add_i32 s12, s2, 1
	s_mov_b32 s13, 0
	s_lshl_b64 s[14:15], s[12:13], 2
	s_add_u32 s14, s8, s14
	s_mov_b32 s3, s13
	s_addc_u32 s15, s9, s15
	s_lshl_b64 s[12:13], s[2:3], 2
	s_add_u32 s12, s8, s12
	s_addc_u32 s13, s9, s13
	s_load_dword s5, s[14:15], 0x0
	s_load_dword s16, s[12:13], 0x0
	s_waitcnt lgkmcnt(0)
	s_sub_i32 s5, s5, s16
	s_cmp_eq_u32 s5, 1
	s_cselect_b64 s[12:13], -1, 0
	s_andn2_b64 vcc, exec, s[6:7]
	s_cbranch_vccnz .LBB363_3
.LBB363_2:
	s_mov_b32 s3, 0
	s_mov_b64 s[12:13], -1
.LBB363_3:
	s_andn2_b64 vcc, exec, s[12:13]
	s_cbranch_vccnz .LBB363_21
; %bb.4:
	s_load_dwordx2 s[6:7], s[0:1], 0x28
	s_lshl_b64 s[12:13], s[2:3], 2
	s_waitcnt lgkmcnt(0)
	s_add_u32 s6, s6, s12
	s_addc_u32 s7, s7, s13
	s_load_dword s33, s[6:7], 0x0
	s_lshl_b32 s18, s20, 8
	s_waitcnt lgkmcnt(0)
	s_cmp_ge_i32 s18, s33
	s_cbranch_scc1 .LBB363_21
; %bb.5:
	s_load_dwordx2 s[6:7], s[0:1], 0x20
	s_load_dword s5, s[0:1], 0x38
	s_add_i32 s14, s33, 31
	s_ashr_i32 s15, s14, 31
	v_and_b32_e32 v1, 0xcf, v0
	s_lshr_b32 s15, s15, 27
	v_add_u32_e32 v1, s18, v1
	s_add_i32 s14, s14, s15
	v_ashrrev_i32_e32 v2, 31, v1
	s_ashr_i32 s19, s14, 5
	v_lshrrev_b32_e32 v4, 27, v2
	s_add_i32 s19, s19, -1
	s_waitcnt lgkmcnt(0)
	s_mul_i32 s14, s2, s5
	s_mov_b32 s15, 0
	v_add_u32_e32 v2, v1, v4
	s_lshl_b64 s[14:15], s[14:15], 2
	v_ashrrev_i32_e32 v2, 5, v2
	v_mov_b32_e32 v5, s19
	v_cmp_gt_i32_e32 vcc, s33, v1
	s_add_u32 s6, s6, s14
	s_addc_u32 s7, s7, s15
	v_cndmask_b32_e32 v2, v5, v2, vcc
	v_ashrrev_i32_e32 v3, 31, v2
	v_lshl_add_u64 v[6:7], v[2:3], 2, s[6:7]
	v_or_b32_e32 v2, 16, v1
	v_add_u32_e32 v3, v2, v4
	v_ashrrev_i32_e32 v3, 5, v3
	v_cmp_gt_i32_e32 vcc, s33, v2
	s_nop 1
	v_cndmask_b32_e32 v2, v5, v3, vcc
	v_ashrrev_i32_e32 v3, 31, v2
	v_lshl_add_u64 v[8:9], v[2:3], 2, s[6:7]
	v_or_b32_e32 v2, 32, v1
	v_add_u32_e32 v3, v2, v4
	v_ashrrev_i32_e32 v3, 5, v3
	v_cmp_gt_i32_e32 vcc, s33, v2
	v_or_b32_e32 v1, 48, v1
	s_nop 0
	v_cndmask_b32_e32 v2, v5, v3, vcc
	v_ashrrev_i32_e32 v3, 31, v2
	v_lshl_add_u64 v[10:11], v[2:3], 2, s[6:7]
	v_add_u32_e32 v2, v1, v4
	v_ashrrev_i32_e32 v2, 5, v2
	v_cmp_gt_i32_e32 vcc, s33, v1
	s_nop 1
	v_cndmask_b32_e32 v2, v5, v2, vcc
	v_ashrrev_i32_e32 v3, 31, v2
	v_lshl_add_u64 v[12:13], v[2:3], 2, s[6:7]
	global_load_dword v5, v[6:7], off
	global_load_dword v4, v[8:9], off
	;; [unrolled: 1-line block ×4, first 2 shown]
	s_andn2_b64 vcc, exec, s[10:11]
	s_cbranch_vccnz .LBB363_8
; %bb.6:
	s_add_u32 s8, s8, s12
	s_addc_u32 s9, s9, s13
	s_load_dword s5, s[8:9], 0x0
	s_branch .LBB363_9
.LBB363_7:
	s_mov_b64 s[12:13], 0
	s_branch .LBB363_2
.LBB363_8:
	s_mov_b32 s5, s2
.LBB363_9:
	s_load_dwordx2 s[14:15], s[0:1], 0x8
	s_load_dwordx4 s[8:11], s[0:1], 0x48
	v_and_b32_e32 v1, 15, v0
	v_bfe_u32 v90, v0, 4, 2
	s_lshl_b32 s21, s4, 2
	v_lshlrev_b32_e32 v82, 3, v1
	v_cmp_gt_u32_e64 s[22:23], 64, v0
	v_cmp_lt_u32_e32 vcc, 63, v0
	s_and_saveexec_b64 s[12:13], vcc
	s_xor_b64 s[12:13], exec, s[12:13]
; %bb.10:
	v_mov_b32_e32 v83, 0
; %bb.11:
	s_or_saveexec_b64 s[16:17], s[12:13]
	s_load_dwordx2 s[12:13], s[0:1], 0x10
	v_or_b32_e32 v6, s21, v90
	v_lshrrev_b32_e32 v91, 6, v0
	scratch_store_dword off, v6, off        ; 4-byte Folded Spill
	v_and_b32_e32 v14, 3, v0
	v_lshlrev_b32_e32 v6, 5, v90
	scratch_store_dword off, v6, off offset:4 ; 4-byte Folded Spill
	s_xor_b64 exec, exec, s[16:17]
	s_cbranch_execz .LBB363_13
; %bb.12:
	scratch_load_dword v6, off, off         ; 4-byte Folded Reload
	s_load_dwordx2 s[24:25], s[0:1], 0x0
	s_waitcnt lgkmcnt(0)
	s_ashr_i32 s11, s8, 31
	s_mul_hi_u32 s26, s5, s8
	s_mul_i32 s11, s5, s11
	s_add_i32 s27, s26, s11
	s_mul_i32 s26, s5, s8
	s_lshl_b64 s[26:27], s[26:27], 1
	s_add_u32 s24, s24, s26
	s_addc_u32 s25, s25, s27
	v_mov_b32_e32 v83, 0
	v_lshlrev_b32_e32 v8, 1, v82
	v_mov_b32_e32 v9, v83
	v_lshlrev_b32_e32 v10, 5, v90
	v_lshlrev_b32_e32 v12, 9, v1
	v_lshl_or_b32 v10, v91, 7, v10
	v_lshlrev_b32_e32 v11, 9, v14
	v_and_b32_e32 v12, 0x1800, v12
	v_or3_b32 v10, v12, v11, v10
	s_waitcnt vmcnt(0)
	v_lshlrev_b32_e32 v6, 7, v6
	v_ashrrev_i32_e32 v7, 31, v6
	v_lshl_add_u64 v[6:7], v[6:7], 1, s[24:25]
	v_lshl_add_u64 v[6:7], v[6:7], 0, v[8:9]
	global_load_dwordx4 v[6:9], v[6:7], off
	s_waitcnt vmcnt(0)
	ds_write_b128 v10, v[6:9]
.LBB363_13:
	s_or_b64 exec, exec, s[16:17]
	s_waitcnt lgkmcnt(0)
	s_mul_i32 s4, s4, s10
	s_mov_b32 s5, 0
	s_lshl_b64 s[4:5], s[4:5], 1
	s_add_u32 s10, s14, s4
	s_addc_u32 s11, s15, s5
	s_waitcnt vmcnt(5)
	v_mad_i64_i32 v[6:7], s[14:15], v5, s9, 0
	v_lshl_add_u64 v[6:7], v[6:7], 1, s[10:11]
	v_lshlrev_b64 v[8:9], 1, v[82:83]
	v_lshlrev_b32_e32 v84, 9, v90
	v_lshl_add_u64 v[6:7], v[6:7], 0, v[8:9]
	v_mov_b32_e32 v85, 0
	v_lshl_add_u64 v[10:11], v[6:7], 0, v[84:85]
	v_or_b32_e32 v16, 0x1000, v84
	v_mov_b32_e32 v17, v85
	v_or_b32_e32 v34, 0x1800, v84
	v_mov_b32_e32 v35, v85
	s_barrier
	global_load_dwordx4 v[74:77], v[10:11], off
	global_load_dwordx4 v[66:69], v[10:11], off offset:2048
	v_lshl_add_u64 v[10:11], v[6:7], 0, v[16:17]
	v_lshl_add_u64 v[6:7], v[6:7], 0, v[34:35]
	global_load_dwordx4 v[78:81], v[10:11], off
	global_load_dwordx4 v[70:73], v[6:7], off
	s_waitcnt vmcnt(8)
	v_mad_i64_i32 v[4:5], s[14:15], v4, s9, 0
	v_mov_b32_e32 v6, 0x100
	v_lshl_add_u64 v[4:5], v[4:5], 1, s[10:11]
	v_lshl_or_b32 v6, v1, 4, v6
	v_mov_b32_e32 v7, v85
	v_lshl_add_u64 v[4:5], v[4:5], 0, v[6:7]
	v_lshl_add_u64 v[10:11], v[4:5], 0, v[84:85]
	global_load_dwordx4 v[62:65], v[10:11], off
	global_load_dwordx4 v[58:61], v[10:11], off offset:2048
	v_lshl_add_u64 v[10:11], v[4:5], 0, v[16:17]
	v_lshl_add_u64 v[4:5], v[4:5], 0, v[34:35]
	global_load_dwordx4 v[54:57], v[10:11], off
	global_load_dwordx4 v[30:33], v[4:5], off
	s_waitcnt vmcnt(11)
	v_mad_i64_i32 v[4:5], s[14:15], v3, s9, 0
	v_lshl_add_u64 v[4:5], v[4:5], 1, s[10:11]
	s_waitcnt vmcnt(10)
	v_mad_i64_i32 v[2:3], s[14:15], v2, s9, 0
	v_lshl_add_u64 v[4:5], v[4:5], 0, v[8:9]
	v_lshl_add_u64 v[2:3], v[2:3], 1, s[10:11]
	;; [unrolled: 1-line block ×4, first 2 shown]
	global_load_dwordx4 v[26:29], v[8:9], off
	global_load_dwordx4 v[22:25], v[8:9], off offset:2048
	v_lshl_add_u64 v[8:9], v[4:5], 0, v[16:17]
	v_lshl_add_u64 v[4:5], v[4:5], 0, v[34:35]
	;; [unrolled: 1-line block ×5, first 2 shown]
	global_load_dwordx4 v[18:21], v[8:9], off
	global_load_dwordx4 v[10:13], v[4:5], off
	s_nop 0
	global_load_dwordx4 v[6:9], v[2:3], off
	s_nop 0
	global_load_dwordx4 v[2:5], v[2:3], off offset:2048
	s_nop 0
	global_load_dwordx4 v[42:45], v[16:17], off
	s_nop 0
	global_load_dwordx4 v[34:37], v[34:35], off
	v_lshl_or_b32 v38, v14, 5, v84
	ds_read_b128 v[14:17], v38
	ds_read_b128 v[50:53], v38 offset:2048
	ds_read_b128 v[46:49], v38 offset:4096
	;; [unrolled: 1-line block ×3, first 2 shown]
	v_and_b32_e32 v94, 63, v0
	v_cmp_gt_u32_e32 vcc, 4, v1
	v_mov_b32_e32 v92, 0
	s_and_saveexec_b64 s[10:11], vcc
	s_cbranch_execz .LBB363_15
; %bb.14:
	s_load_dwordx2 s[14:15], s[0:1], 0x40
	v_or_b32_e32 v86, s21, v1
	v_ashrrev_i32_e32 v87, 31, v86
	s_waitcnt lgkmcnt(0)
	v_lshl_add_u64 v[86:87], v[86:87], 2, s[14:15]
	global_load_dword v92, v[86:87], off
.LBB363_15:
	s_or_b64 exec, exec, s[10:11]
	s_waitcnt vmcnt(15) lgkmcnt(3)
	v_mfma_f32_16x16x16_f16 v[86:89], v[74:75], v[14:15], 0
	s_ashr_i32 s8, s18, 31
	s_lshr_b32 s8, s8, 27
	s_add_u32 s4, s12, s4
	v_mfma_f32_16x16x16_f16 v[74:77], v[76:77], v[16:17], v[86:89]
	s_addc_u32 s5, s13, s5
	s_mov_b32 s42, 0xff7fffff
	s_waitcnt vmcnt(14) lgkmcnt(2)
	v_mfma_f32_16x16x16_f16 v[74:77], v[66:67], v[50:51], v[74:77]
	v_lshl_or_b32 v86, v91, 4, v1
	v_mfma_f32_16x16x16_f16 v[66:69], v[68:69], v[52:53], v[74:77]
	s_waitcnt vmcnt(13) lgkmcnt(1)
	v_mfma_f32_16x16x16_f16 v[66:69], v[78:79], v[46:47], v[66:69]
	s_nop 2
	v_and_or_b32 v76, v0, 48, s18
	v_mov_b32_e32 v77, s19
	v_cmp_gt_i32_e32 vcc, s33, v76
	v_mfma_f32_16x16x16_f16 v[66:69], v[80:81], v[48:49], v[66:69]
	s_waitcnt vmcnt(12) lgkmcnt(0)
	v_mfma_f32_16x16x16_f16 v[66:69], v[70:71], v[38:39], v[66:69]
	v_add_u32_e32 v70, s8, v76
	v_ashrrev_i32_e32 v74, 5, v70
	v_cndmask_b32_e32 v74, v77, v74, vcc
	v_mfma_f32_16x16x16_f16 v[66:69], v[72:73], v[40:41], v[66:69]
	v_ashrrev_i32_e32 v75, 31, v74
	s_waitcnt vmcnt(11)
	v_mfma_f32_16x16x16_f16 v[70:73], v[62:63], v[14:15], 0
	v_mfma_f32_16x16x16_f16 v[62:65], v[64:65], v[16:17], v[70:73]
	s_waitcnt vmcnt(10)
	v_mfma_f32_16x16x16_f16 v[62:65], v[58:59], v[50:51], v[62:65]
	s_nop 3
	v_or_b32_e32 v72, 64, v76
	v_add_u32_e32 v73, s8, v72
	v_ashrrev_i32_e32 v58, 5, v73
	v_cmp_gt_i32_e32 vcc, s33, v72
	v_lshl_add_u64 v[70:71], v[74:75], 2, s[6:7]
	global_load_dword v70, v[70:71], off
	v_cndmask_b32_e32 v72, v77, v58, vcc
	v_mfma_f32_16x16x16_f16 v[58:61], v[60:61], v[52:53], v[62:65]
	v_ashrrev_i32_e32 v73, 31, v72
	s_waitcnt vmcnt(10)
	v_mfma_f32_16x16x16_f16 v[58:61], v[54:55], v[46:47], v[58:61]
	v_lshl_add_u64 v[62:63], v[72:73], 2, s[6:7]
	global_load_dword v62, v[62:63], off
	v_or_b32_e32 v63, 0x80, v76
	v_add_u32_e32 v64, s8, v63
	v_mfma_f32_16x16x16_f16 v[54:57], v[56:57], v[48:49], v[58:61]
	v_cmp_gt_i32_e32 vcc, s33, v63
	s_nop 1
	v_ashrrev_i32_e32 v58, 5, v64
	v_cndmask_b32_e32 v58, v77, v58, vcc
	v_ashrrev_i32_e32 v59, 31, v58
	s_waitcnt vmcnt(10)
	v_mfma_f32_16x16x16_f16 v[54:57], v[30:31], v[38:39], v[54:57]
	v_lshl_add_u64 v[30:31], v[58:59], 2, s[6:7]
	global_load_dword v60, v[30:31], off
	v_or_b32_e32 v58, 0xc0, v76
	v_add_u32_e32 v30, s8, v58
	v_ashrrev_i32_e32 v59, 5, v30
	v_cmp_gt_i32_e32 vcc, s33, v58
	v_mfma_f32_16x16x16_f16 v[54:57], v[32:33], v[40:41], v[54:57]
	s_waitcnt vmcnt(10)
	v_mfma_f32_16x16x16_f16 v[30:33], v[26:27], v[14:15], 0
	v_cndmask_b32_e32 v26, v77, v59, vcc
	v_ashrrev_i32_e32 v27, 31, v26
	v_lshl_add_u64 v[58:59], v[26:27], 2, s[6:7]
	global_load_dword v63, v[58:59], off
	v_mfma_f32_16x16x16_f16 v[26:29], v[28:29], v[16:17], v[30:33]
	s_load_dword s6, s[0:1], 0x1c
	s_waitcnt vmcnt(10)
	v_mfma_f32_16x16x16_f16 v[26:29], v[22:23], v[50:51], v[26:29]
	v_and_b32_e32 v30, 16, v0
	v_lshlrev_b32_e32 v84, 1, v30
	v_lshl_add_u64 v[64:65], s[4:5], 0, v[84:85]
	v_mfma_f32_16x16x16_f16 v[22:25], v[24:25], v[52:53], v[26:29]
	v_lshlrev_b32_e32 v84, 6, v86
	v_lshl_add_u64 v[74:75], v[64:65], 0, v[84:85]
	v_or_b32_e32 v84, 0x1000, v84
	s_waitcnt vmcnt(9)
	v_mfma_f32_16x16x16_f16 v[22:25], v[18:19], v[46:47], v[22:25]
	v_lshl_add_u64 v[84:85], v[64:65], 0, v[84:85]
	s_waitcnt lgkmcnt(0)
	v_pk_mul_f32 v[64:65], s[6:7], v[66:67] op_sel_hi:[0,1]
	v_pk_mul_f32 v[66:67], s[6:7], v[54:55] op_sel_hi:[0,1]
	v_mfma_f32_16x16x16_f16 v[18:21], v[20:21], v[48:49], v[22:25]
	s_waitcnt vmcnt(8)
	v_mfma_f32_16x16x16_f16 v[18:21], v[10:11], v[38:39], v[18:21]
	s_waitcnt vmcnt(3)
	v_mad_i64_i32 v[22:23], s[4:5], v70, s9, 0
	v_lshlrev_b64 v[76:77], 1, v[22:23]
	v_lshl_add_u64 v[22:23], v[74:75], 0, v[76:77]
	global_load_dwordx4 v[30:33], v[22:23], off
	global_load_dwordx4 v[26:29], v[22:23], off offset:16
	v_mfma_f32_16x16x16_f16 v[70:73], v[12:13], v[40:41], v[18:21]
	s_waitcnt vmcnt(4)
	v_mad_i64_i32 v[10:11], s[4:5], v62, s9, 0
	v_lshlrev_b64 v[58:59], 1, v[10:11]
	v_lshl_add_u64 v[10:11], v[74:75], 0, v[58:59]
	global_load_dwordx4 v[22:25], v[10:11], off
	global_load_dwordx4 v[18:21], v[10:11], off offset:16
	v_mfma_f32_16x16x16_f16 v[10:13], v[6:7], v[14:15], 0
	v_pk_mul_f32 v[78:79], s[6:7], v[72:73] op_sel_hi:[0,1]
	v_pk_mul_f32 v[70:71], s[6:7], v[70:71] op_sel_hi:[0,1]
	s_waitcnt vmcnt(5)
	v_mad_i64_i32 v[6:7], s[4:5], v60, s9, 0
	v_lshlrev_b64 v[60:61], 1, v[6:7]
	v_mfma_f32_16x16x16_f16 v[6:9], v[8:9], v[16:17], v[10:13]
	v_mfma_f32_16x16x16_f16 v[6:9], v[2:3], v[50:51], v[6:9]
	s_nop 1
	v_lshl_add_u64 v[10:11], v[74:75], 0, v[60:61]
	global_load_dwordx4 v[14:17], v[10:11], off
	s_nop 0
	global_load_dwordx4 v[10:13], v[10:11], off offset:16
	s_waitcnt vmcnt(6)
	v_mad_i64_i32 v[2:3], s[4:5], v63, s9, 0
	v_mfma_f32_16x16x16_f16 v[50:53], v[4:5], v[52:53], v[6:9]
	v_lshlrev_b64 v[62:63], 1, v[2:3]
	v_lshl_add_u64 v[2:3], v[74:75], 0, v[62:63]
	v_pk_mul_f32 v[74:75], s[6:7], v[56:57] op_sel_hi:[0,1]
	v_mfma_f32_16x16x16_f16 v[50:53], v[42:43], v[46:47], v[50:53]
	v_lshl_add_u64 v[42:43], v[84:85], 0, v[76:77]
	v_pk_mul_f32 v[76:77], s[6:7], v[68:69] op_sel_hi:[0,1]
	global_load_dwordx4 v[6:9], v[2:3], off
	s_nop 0
	global_load_dwordx4 v[2:5], v[2:3], off offset:16
	v_mfma_f32_16x16x16_f16 v[44:47], v[44:45], v[48:49], v[50:53]
	v_mfma_f32_16x16x16_f16 v[44:47], v[34:35], v[38:39], v[44:47]
	;; [unrolled: 1-line block ×3, first 2 shown]
	s_nop 6
	v_pk_mul_f32 v[72:73], s[6:7], v[34:35] op_sel_hi:[0,1]
	v_and_b32_e32 v34, 0xc0, v0
	v_add_u32_e32 v34, s18, v34
	v_lshl_or_b32 v34, v90, 2, v34
	v_or_b32_e32 v35, 1, v34
	v_pk_mul_f32 v[80:81], s[6:7], v[36:37] op_sel_hi:[0,1]
	v_subrev_u32_e32 v36, s33, v35
	v_add_u32_e32 v38, 1, v36
	v_add_u32_e32 v39, 2, v36
	v_cvt_f32_i32_e32 v37, v36
	v_cvt_f32_i32_e32 v38, v38
	v_cvt_f32_i32_e32 v39, v39
	v_add_u32_e32 v40, 3, v36
	v_fma_f32 v64, v92, v37, v64
	v_fmac_f32_e32 v65, v92, v38
	v_fma_f32 v76, v92, v39, v76
	v_add_u32_e32 v37, 16, v36
	v_add_u32_e32 v38, 17, v36
	;; [unrolled: 1-line block ×3, first 2 shown]
	v_cvt_f32_i32_e32 v40, v40
	v_cvt_f32_i32_e32 v37, v37
	;; [unrolled: 1-line block ×4, first 2 shown]
	v_fmac_f32_e32 v77, v92, v40
	v_add_u32_e32 v40, 19, v36
	v_fma_f32 v66, v92, v37, v66
	v_fmac_f32_e32 v67, v92, v38
	v_fma_f32 v74, v92, v39, v74
	v_add_u32_e32 v37, 32, v36
	v_add_u32_e32 v38, 33, v36
	;; [unrolled: 1-line block ×3, first 2 shown]
	v_cvt_f32_i32_e32 v40, v40
	v_cvt_f32_i32_e32 v37, v37
	;; [unrolled: 1-line block ×4, first 2 shown]
	v_fmac_f32_e32 v75, v92, v40
	v_add_u32_e32 v40, 35, v36
	v_fma_f32 v70, v92, v37, v70
	v_fmac_f32_e32 v71, v92, v38
	v_fma_f32 v78, v92, v39, v78
	v_add_u32_e32 v37, 48, v36
	v_add_u32_e32 v38, 49, v36
	;; [unrolled: 1-line block ×4, first 2 shown]
	v_cvt_f32_i32_e32 v36, v36
	v_cvt_f32_i32_e32 v37, v37
	;; [unrolled: 1-line block ×3, first 2 shown]
	v_cmp_gt_i32_e64 s[4:5], s33, v34
	v_fmac_f32_e32 v81, v92, v36
	v_mov_b32_e32 v36, 0xff7fffff
	v_cmp_gt_i32_e64 s[24:25], s33, v35
	v_fma_f32 v72, v92, v37, v72
	v_cndmask_b32_e64 v37, v36, v64, s[4:5]
	v_cndmask_b32_e64 v35, v36, v65, s[24:25]
	v_fmac_f32_e32 v73, v92, v38
	v_max3_f32 v35, v37, s42, v35
	v_or_b32_e32 v37, 2, v34
	v_or_b32_e32 v38, 3, v34
	v_cmp_gt_i32_e64 s[26:27], s33, v37
	v_cmp_gt_i32_e64 s[28:29], s33, v38
	v_cvt_f32_i32_e32 v40, v40
	v_cndmask_b32_e64 v37, v36, v76, s[26:27]
	v_cndmask_b32_e64 v38, v36, v77, s[28:29]
	v_max3_f32 v35, v35, v37, v38
	v_or_b32_e32 v37, 16, v34
	v_or_b32_e32 v38, 17, v34
	v_cmp_gt_i32_e64 s[30:31], s33, v37
	v_cmp_gt_i32_e64 s[34:35], s33, v38
	v_fmac_f32_e32 v79, v92, v40
	v_cndmask_b32_e64 v37, v36, v66, s[30:31]
	v_cndmask_b32_e64 v38, v36, v67, s[34:35]
	v_max3_f32 v35, v35, v37, v38
	v_or_b32_e32 v37, 18, v34
	v_or_b32_e32 v38, 19, v34
	v_cmp_gt_i32_e64 s[36:37], s33, v37
	v_cmp_gt_i32_e64 s[38:39], s33, v38
	v_cvt_f32_i32_e32 v39, v39
	v_cndmask_b32_e64 v37, v36, v74, s[36:37]
	v_cndmask_b32_e64 v38, v36, v75, s[38:39]
	v_max3_f32 v35, v35, v37, v38
	v_or_b32_e32 v37, 32, v34
	v_or_b32_e32 v38, 33, v34
	v_cmp_gt_i32_e64 s[16:17], s33, v37
	v_cmp_gt_i32_e64 s[18:19], s33, v38
	v_fma_f32 v80, v92, v39, v80
	v_cndmask_b32_e64 v37, v36, v70, s[16:17]
	v_cndmask_b32_e64 v38, v36, v71, s[18:19]
	v_max3_f32 v35, v35, v37, v38
	v_or_b32_e32 v37, 34, v34
	v_or_b32_e32 v38, 35, v34
	v_cmp_gt_i32_e64 s[12:13], s33, v37
	v_cmp_gt_i32_e64 s[14:15], s33, v38
	s_nop 0
	v_cndmask_b32_e64 v37, v36, v78, s[12:13]
	v_cndmask_b32_e64 v38, v36, v79, s[14:15]
	v_max3_f32 v35, v35, v37, v38
	v_or_b32_e32 v37, 48, v34
	v_or_b32_e32 v38, 49, v34
	v_cmp_gt_i32_e64 s[8:9], s33, v37
	v_cmp_gt_i32_e64 s[10:11], s33, v38
	s_nop 0
	v_cndmask_b32_e64 v37, v36, v72, s[8:9]
	v_cndmask_b32_e64 v38, v36, v73, s[10:11]
	v_max3_f32 v35, v35, v37, v38
	v_or_b32_e32 v37, 50, v34
	v_or_b32_e32 v34, 51, v34
	v_cmp_gt_i32_e32 vcc, s33, v37
	v_cmp_gt_i32_e64 s[6:7], s33, v34
	global_load_dwordx4 v[46:49], v[42:43], off
	global_load_dwordx4 v[38:41], v[42:43], off offset:16
	v_cndmask_b32_e32 v37, v36, v80, vcc
	v_cndmask_b32_e64 v34, v36, v81, s[6:7]
	v_max3_f32 v50, v35, v37, v34
	v_mbcnt_lo_u32_b32 v34, -1, 0
	v_mbcnt_hi_u32_b32 v51, -1, v34
	v_and_b32_e32 v34, 64, v51
	v_add_u32_e32 v52, 64, v34
	v_xor_b32_e32 v34, 32, v51
	v_cmp_lt_i32_e64 s[40:41], v34, v52
	s_nop 1
	v_cndmask_b32_e64 v34, v51, v34, s[40:41]
	v_lshlrev_b32_e32 v87, 2, v34
	ds_bpermute_b32 v53, v87, v50
	v_lshl_add_u64 v[34:35], v[84:85], 0, v[58:59]
	v_lshl_add_u64 v[58:59], v[84:85], 0, v[62:63]
	global_load_dwordx4 v[42:45], v[34:35], off
	s_nop 0
	global_load_dwordx4 v[34:37], v[34:35], off offset:16
	s_waitcnt lgkmcnt(0)
	v_max_f32_e32 v53, v53, v53
	v_max_f32_e32 v68, v50, v53
	v_xor_b32_e32 v50, 16, v51
	v_cmp_lt_i32_e64 s[40:41], v50, v52
	s_nop 1
	v_cndmask_b32_e64 v50, v51, v50, s[40:41]
	v_lshlrev_b32_e32 v92, 2, v50
	ds_bpermute_b32 v69, v92, v68
	v_lshl_add_u64 v[50:51], v[84:85], 0, v[60:61]
	global_load_dwordx4 v[54:57], v[50:51], off
	s_nop 0
	global_load_dwordx4 v[50:53], v[50:51], off offset:16
	s_waitcnt lgkmcnt(0)
	v_max_f32_e32 v60, v69, v69
	v_max_f32_e32 v84, v68, v60
	v_sub_f32_e32 v60, v64, v84
	v_mul_f32_e32 v60, 0x3fb8aa3b, v60
	v_exp_f32_e32 v68, v60
	v_sub_f32_e32 v60, v65, v84
	v_mul_f32_e32 v60, 0x3fb8aa3b, v60
	v_exp_f32_e32 v69, v60
	global_load_dwordx4 v[62:65], v[58:59], off
	s_nop 0
	global_load_dwordx4 v[58:61], v[58:59], off offset:16
	v_sub_f32_e32 v76, v76, v84
	v_mul_f32_e32 v76, 0x3fb8aa3b, v76
	v_sub_f32_e32 v77, v77, v84
	v_exp_f32_e32 v76, v76
	v_mul_f32_e32 v77, 0x3fb8aa3b, v77
	v_sub_f32_e32 v66, v66, v84
	v_exp_f32_e32 v77, v77
	v_mul_f32_e32 v66, 0x3fb8aa3b, v66
	v_sub_f32_e32 v67, v67, v84
	v_cndmask_b32_e64 v68, 0, v68, s[4:5]
	v_exp_f32_e32 v66, v66
	v_mul_f32_e32 v67, 0x3fb8aa3b, v67
	v_sub_f32_e32 v74, v74, v84
	v_add_f32_e32 v85, 0, v68
	v_cndmask_b32_e64 v69, 0, v69, s[24:25]
	v_exp_f32_e32 v67, v67
	v_mul_f32_e32 v74, 0x3fb8aa3b, v74
	v_sub_f32_e32 v75, v75, v84
	v_add_f32_e32 v85, v85, v69
	;; [unrolled: 5-line block ×10, first 2 shown]
	v_cndmask_b32_e64 v78, 0, v78, s[12:13]
	v_exp_f32_e32 v80, v80
	v_mul_f32_e32 v81, 0x3fb8aa3b, v81
	v_add_f32_e32 v85, v85, v78
	v_cndmask_b32_e64 v79, 0, v79, s[14:15]
	v_exp_f32_e32 v81, v81
	v_add_f32_e32 v85, v85, v79
	v_cndmask_b32_e64 v72, 0, v72, s[8:9]
	v_add_f32_e32 v85, v85, v72
	v_cndmask_b32_e64 v73, 0, v73, s[10:11]
	v_add_f32_e32 v85, v85, v73
	v_cndmask_b32_e32 v80, 0, v80, vcc
	v_add_f32_e32 v85, v85, v80
	v_cndmask_b32_e64 v81, 0, v81, s[6:7]
	v_add_f32_e32 v85, v85, v81
	ds_bpermute_b32 v93, v87, v85
	s_load_dword s7, s[0:1], 0x98
	v_cmp_gt_u32_e32 vcc, 16, v94
	s_waitcnt lgkmcnt(0)
	s_barrier
	v_add_f32_e32 v85, v85, v93
	ds_bpermute_b32 v92, v92, v85
	s_waitcnt lgkmcnt(0)
	s_and_saveexec_b64 s[4:5], vcc
	s_cbranch_execz .LBB363_17
; %bb.16:
	v_add_f32_e32 v85, v85, v92
	v_lshlrev_b32_e32 v86, 2, v86
	ds_write2st64_b32 v86, v84, v85 offset1:1
.LBB363_17:
	s_or_b64 exec, exec, s[4:5]
	v_lshlrev_b32_e32 v85, 2, v1
	s_load_dword s6, s[0:1], 0x94
	s_waitcnt lgkmcnt(0)
	s_barrier
	ds_read2_b32 v[86:87], v85 offset1:16
	ds_read2_b32 v[88:89], v85 offset0:32 offset1:48
	ds_read2_b32 v[92:93], v85 offset0:64 offset1:80
	s_lshl_b32 s7, s7, 2
	s_waitcnt lgkmcnt(2)
	v_max3_f32 v84, v86, s42, v87
	s_waitcnt lgkmcnt(1)
	v_max3_f32 v84, v84, v88, v89
	v_sub_f32_e32 v86, v86, v84
	v_mul_f32_e32 v86, 0x3fb8aa3b, v86
	v_exp_f32_e32 v94, v86
	v_sub_f32_e32 v86, v87, v84
	v_mul_f32_e32 v86, 0x3fb8aa3b, v86
	v_exp_f32_e32 v95, v86
	;; [unrolled: 3-line block ×3, first 2 shown]
	ds_read2_b32 v[86:87], v85 offset0:96 offset1:112
	v_sub_f32_e32 v85, v89, v84
	v_mul_f32_e32 v85, 0x3fb8aa3b, v85
	v_exp_f32_e32 v89, v85
	s_waitcnt lgkmcnt(1)
	v_fma_f32 v85, v94, v92, 0
	v_fmac_f32_e32 v85, v95, v93
	s_waitcnt lgkmcnt(0)
	v_fmac_f32_e32 v85, v88, v86
	v_fmac_f32_e32 v85, v89, v87
	v_add_f32_e32 v86, 0x358637bd, v85
	v_div_scale_f32 v87, s[4:5], v86, v86, 1.0
	v_rcp_f32_e32 v92, v87
	s_barrier
	v_fma_f32 v93, -v87, v92, 1.0
	v_fmac_f32_e32 v92, v93, v92
	v_div_scale_f32 v93, vcc, 1.0, v86, 1.0
	v_mul_f32_e32 v90, v93, v92
	v_fma_f32 v91, -v87, v90, v93
	v_fmac_f32_e32 v90, v91, v92
	v_fma_f32 v87, -v87, v90, v93
	v_div_fmas_f32 v87, v87, v92, v90
	v_lshrrev_b32_e32 v90, 6, v0
	v_cmp_eq_u32_e32 vcc, 1, v90
	v_div_fixup_f32 v86, v87, v86, 1.0
	s_nop 0
	v_cndmask_b32_e32 v87, v94, v95, vcc
	v_cmp_eq_u32_e32 vcc, 2, v90
	s_nop 1
	v_cndmask_b32_e32 v87, v87, v88, vcc
	v_cmp_eq_u32_e32 vcc, 3, v90
	v_bfe_u32 v88, v0, 4, 2
	s_nop 0
	v_cndmask_b32_e32 v87, v87, v89, vcc
	v_mul_f32_e32 v86, v87, v86
	v_pk_mul_f32 v[76:77], v[86:87], v[76:77] op_sel_hi:[0,1]
	v_pk_mul_f32 v[68:69], v[86:87], v[68:69] op_sel_hi:[0,1]
	v_cvt_f16_f32_e32 v87, v76
	v_cvt_f16_f32_e32 v77, v77
	v_cvt_f16_f32_e32 v68, v68
	v_cvt_f16_f32_e32 v69, v69
	v_pk_mul_f32 v[74:75], v[86:87], v[74:75] op_sel_hi:[0,1]
	v_pk_mul_f32 v[66:67], v[86:87], v[66:67] op_sel_hi:[0,1]
	v_pack_b32_f16 v77, v87, v77
	v_cvt_f16_f32_e32 v66, v66
	v_cvt_f16_f32_e32 v67, v67
	;; [unrolled: 1-line block ×4, first 2 shown]
	v_pack_b32_f16 v76, v68, v69
	v_lshlrev_b32_e32 v69, 3, v88
	v_lshlrev_b32_e32 v68, 5, v1
	;; [unrolled: 1-line block ×3, first 2 shown]
	v_or3_b32 v74, v74, v68, v69
	v_pack_b32_f16 v66, v66, v67
	v_pack_b32_f16 v67, v87, v75
	ds_write2st64_b64 v74, v[76:77], v[66:67] offset1:1
	v_pk_mul_f32 v[66:67], v[86:87], v[78:79] op_sel_hi:[0,1]
	v_pk_mul_f32 v[70:71], v[86:87], v[70:71] op_sel_hi:[0,1]
	v_cvt_f16_f32_e32 v69, v70
	v_cvt_f16_f32_e32 v75, v71
	;; [unrolled: 1-line block ×4, first 2 shown]
	v_pk_mul_f32 v[66:67], v[86:87], v[80:81] op_sel_hi:[0,1]
	v_pk_mul_f32 v[70:71], v[86:87], v[72:73] op_sel_hi:[0,1]
	v_cvt_f16_f32_e32 v70, v70
	v_cvt_f16_f32_e32 v71, v71
	;; [unrolled: 1-line block ×4, first 2 shown]
	v_pack_b32_f16 v66, v69, v75
	v_pack_b32_f16 v67, v76, v77
	;; [unrolled: 1-line block ×4, first 2 shown]
	v_cmp_gt_u32_e32 vcc, 4, v0
	ds_write2st64_b64 v74, v[66:67], v[70:71] offset0:2 offset1:3
	s_and_saveexec_b64 s[4:5], vcc
	s_cbranch_execz .LBB363_19
; %bb.18:
	v_or_b32_e32 v66, s21, v0
	v_mov_b32_e32 v67, 0
	v_mov_b32_e32 v69, s7
	v_mad_u64_u32 v[70:71], s[12:13], s2, v69, v[66:67]
	v_mov_b32_e32 v66, s20
	s_load_dwordx4 s[8:11], s[0:1], 0x58
	s_mul_i32 s3, s3, s7
	v_mad_u64_u32 v[66:67], s[12:13], v70, s6, v[66:67]
	v_add_u32_e32 v69, s3, v71
	v_mov_b32_e32 v70, v67
	v_mad_u64_u32 v[70:71], s[12:13], v69, s6, v[70:71]
	v_mov_b32_e32 v67, v70
	v_lshlrev_b64 v[66:67], 2, v[66:67]
	s_waitcnt lgkmcnt(0)
	v_lshl_add_u64 v[70:71], s[10:11], 0, v[66:67]
	v_lshl_add_u64 v[66:67], s[8:9], 0, v[66:67]
	global_store_dword v[70:71], v84, off
	global_store_dword v[66:67], v85, off
.LBB363_19:
	s_or_b64 exec, exec, s[4:5]
	v_lshl_or_b32 v75, v88, 9, v68
	s_waitcnt lgkmcnt(0)
	s_barrier
	ds_read_b128 v[70:73], v75
	ds_read_b128 v[66:69], v75 offset:16
	s_waitcnt vmcnt(15) lgkmcnt(1)
	v_mfma_f32_16x16x16_f16 v[76:79], v[30:31], v[70:71], 0
	s_mov_b32 s3, 0
	v_mfma_f32_16x16x16_f16 v[30:33], v[32:33], v[72:73], v[76:79]
	s_waitcnt vmcnt(14) lgkmcnt(0)
	v_mfma_f32_16x16x16_f16 v[30:33], v[26:27], v[66:67], v[30:33]
	v_mfma_f32_16x16x16_f16 v[26:29], v[28:29], v[68:69], v[30:33]
	s_nop 5
	ds_read_b128 v[30:33], v75 offset:2048
	ds_read_b128 v[76:79], v75 offset:2064
	s_waitcnt vmcnt(13) lgkmcnt(1)
	v_mfma_f32_16x16x16_f16 v[26:29], v[22:23], v[30:31], v[26:29]
	v_mfma_f32_16x16x16_f16 v[22:25], v[24:25], v[32:33], v[26:29]
	s_waitcnt vmcnt(12) lgkmcnt(0)
	v_mfma_f32_16x16x16_f16 v[22:25], v[18:19], v[76:77], v[22:25]
	v_mfma_f32_16x16x16_f16 v[18:21], v[20:21], v[78:79], v[22:25]
	s_nop 5
	ds_read_b128 v[22:25], v75 offset:4096
	ds_read_b128 v[26:29], v75 offset:4112
	s_waitcnt vmcnt(11) lgkmcnt(1)
	v_mfma_f32_16x16x16_f16 v[18:21], v[14:15], v[22:23], v[18:21]
	v_mfma_f32_16x16x16_f16 v[14:17], v[16:17], v[24:25], v[18:21]
	s_waitcnt vmcnt(10) lgkmcnt(0)
	v_mfma_f32_16x16x16_f16 v[14:17], v[10:11], v[26:27], v[14:17]
	v_mfma_f32_16x16x16_f16 v[10:13], v[12:13], v[28:29], v[14:17]
	s_nop 5
	ds_read_b128 v[14:17], v75 offset:6144
	ds_read_b128 v[18:21], v75 offset:6160
	s_waitcnt lgkmcnt(0)
	s_barrier
	s_waitcnt vmcnt(9)
	v_mfma_f32_16x16x16_f16 v[10:13], v[6:7], v[14:15], v[10:13]
	v_mfma_f32_16x16x16_f16 v[6:9], v[8:9], v[16:17], v[10:13]
	s_waitcnt vmcnt(8)
	v_mfma_f32_16x16x16_f16 v[6:9], v[2:3], v[18:19], v[6:9]
	v_mfma_f32_16x16x16_f16 v[2:5], v[4:5], v[20:21], v[6:9]
	;; [unrolled: 3-line block ×3, first 2 shown]
	s_nop 3
	v_cvt_f16_f32_e32 v10, v2
	v_cvt_f16_f32_e32 v11, v3
	;; [unrolled: 1-line block ×3, first 2 shown]
	s_waitcnt vmcnt(6)
	v_mfma_f32_16x16x16_f16 v[6:9], v[38:39], v[66:67], v[6:9]
	v_cvt_f16_f32_e32 v13, v5
	v_mfma_f32_16x16x16_f16 v[6:9], v[40:41], v[68:69], v[6:9]
	s_waitcnt vmcnt(5)
	v_mfma_f32_16x16x16_f16 v[6:9], v[42:43], v[30:31], v[6:9]
	v_mfma_f32_16x16x16_f16 v[6:9], v[44:45], v[32:33], v[6:9]
	s_waitcnt vmcnt(4)
	v_mfma_f32_16x16x16_f16 v[6:9], v[34:35], v[76:77], v[6:9]
	v_mfma_f32_16x16x16_f16 v[6:9], v[36:37], v[78:79], v[6:9]
	s_waitcnt vmcnt(3)
	v_mfma_f32_16x16x16_f16 v[6:9], v[54:55], v[22:23], v[6:9]
	v_mfma_f32_16x16x16_f16 v[6:9], v[56:57], v[24:25], v[6:9]
	s_waitcnt vmcnt(2)
	v_mfma_f32_16x16x16_f16 v[6:9], v[50:51], v[26:27], v[6:9]
	v_mfma_f32_16x16x16_f16 v[6:9], v[52:53], v[28:29], v[6:9]
	s_waitcnt vmcnt(1)
	v_mfma_f32_16x16x16_f16 v[6:9], v[62:63], v[14:15], v[6:9]
	v_mfma_f32_16x16x16_f16 v[6:9], v[64:65], v[16:17], v[6:9]
	s_waitcnt vmcnt(0)
	v_mfma_f32_16x16x16_f16 v[6:9], v[58:59], v[18:19], v[6:9]
	v_mfma_f32_16x16x16_f16 v[2:5], v[60:61], v[20:21], v[6:9]
	s_nop 6
	v_cvt_f16_f32_e32 v6, v2
	v_cvt_f16_f32_e32 v7, v3
	;; [unrolled: 1-line block ×4, first 2 shown]
	v_pack_b32_f16 v2, v10, v11
	v_pack_b32_f16 v3, v12, v13
	;; [unrolled: 1-line block ×4, first 2 shown]
	ds_write2st64_b64 v74, v[2:3], v[4:5] offset1:1
	s_waitcnt lgkmcnt(0)
	s_barrier
	s_and_saveexec_b64 s[4:5], s[22:23]
	s_cbranch_execz .LBB363_21
; %bb.20:
	v_lshlrev_b32_e32 v1, 6, v1
	v_lshlrev_b32_e32 v2, 4, v0
	v_lshl_or_b32 v0, v0, 10, v1
	scratch_load_dword v1, off, off offset:4 ; 4-byte Folded Reload
	scratch_load_dword v4, off, off         ; 4-byte Folded Reload
	s_load_dwordx2 s[0:1], s[0:1], 0x68
	s_lshl_b32 s6, s6, 7
	s_mul_i32 s2, s7, s2
	s_mul_hi_u32 s5, s2, s6
	s_mul_i32 s4, s2, s6
	s_lshl_b64 s[4:5], s[4:5], 1
	v_and_b32_e32 v2, 16, v2
	v_and_b32_e32 v0, 0x1a00, v0
	s_waitcnt lgkmcnt(0)
	s_add_u32 s4, s0, s4
	s_addc_u32 s5, s1, s5
	s_lshl_b32 s2, s20, 7
	s_lshl_b64 s[0:1], s[2:3], 1
	s_add_u32 s0, s4, s0
	s_addc_u32 s1, s5, s1
	s_waitcnt vmcnt(1)
	v_or3_b32 v0, v0, v1, v2
	ds_read_b128 v[0:3], v0
	s_waitcnt vmcnt(0)
	v_mad_u64_u32 v[4:5], s[2:3], s6, v4, 0
	v_lshl_add_u64 v[4:5], v[4:5], 1, s[0:1]
	v_lshl_add_u64 v[4:5], v[82:83], 1, v[4:5]
	s_waitcnt lgkmcnt(0)
	global_store_dwordx4 v[4:5], v[0:3], off
.LBB363_21:
	s_endpgm
	.section	.rodata,"a",@progbits
	.p2align	6, 0x0
	.amdhsa_kernel _Z39paged_attention_ll4mi_QKV_mfma16_kernelIDF16_DF16_LN4vllm18Fp8KVCacheDataTypeE0EDF16_Li32ELi128ELi256ELb1ELi4EEvPKT_PKT0_S7_ifPKiS9_S9_iPKfiiiPfSC_PS2_PT2_iSB_SB_
		.amdhsa_group_segment_fixed_size 8192
		.amdhsa_private_segment_fixed_size 12
		.amdhsa_kernarg_size 400
		.amdhsa_user_sgpr_count 2
		.amdhsa_user_sgpr_dispatch_ptr 0
		.amdhsa_user_sgpr_queue_ptr 0
		.amdhsa_user_sgpr_kernarg_segment_ptr 1
		.amdhsa_user_sgpr_dispatch_id 0
		.amdhsa_user_sgpr_kernarg_preload_length 0
		.amdhsa_user_sgpr_kernarg_preload_offset 0
		.amdhsa_user_sgpr_private_segment_size 0
		.amdhsa_uses_dynamic_stack 0
		.amdhsa_enable_private_segment 1
		.amdhsa_system_sgpr_workgroup_id_x 1
		.amdhsa_system_sgpr_workgroup_id_y 1
		.amdhsa_system_sgpr_workgroup_id_z 1
		.amdhsa_system_sgpr_workgroup_info 0
		.amdhsa_system_vgpr_workitem_id 0
		.amdhsa_next_free_vgpr 96
		.amdhsa_next_free_sgpr 43
		.amdhsa_accum_offset 96
		.amdhsa_reserve_vcc 1
		.amdhsa_float_round_mode_32 0
		.amdhsa_float_round_mode_16_64 0
		.amdhsa_float_denorm_mode_32 3
		.amdhsa_float_denorm_mode_16_64 3
		.amdhsa_dx10_clamp 1
		.amdhsa_ieee_mode 1
		.amdhsa_fp16_overflow 0
		.amdhsa_tg_split 0
		.amdhsa_exception_fp_ieee_invalid_op 0
		.amdhsa_exception_fp_denorm_src 0
		.amdhsa_exception_fp_ieee_div_zero 0
		.amdhsa_exception_fp_ieee_overflow 0
		.amdhsa_exception_fp_ieee_underflow 0
		.amdhsa_exception_fp_ieee_inexact 0
		.amdhsa_exception_int_div_zero 0
	.end_amdhsa_kernel
	.section	.text._Z39paged_attention_ll4mi_QKV_mfma16_kernelIDF16_DF16_LN4vllm18Fp8KVCacheDataTypeE0EDF16_Li32ELi128ELi256ELb1ELi4EEvPKT_PKT0_S7_ifPKiS9_S9_iPKfiiiPfSC_PS2_PT2_iSB_SB_,"axG",@progbits,_Z39paged_attention_ll4mi_QKV_mfma16_kernelIDF16_DF16_LN4vllm18Fp8KVCacheDataTypeE0EDF16_Li32ELi128ELi256ELb1ELi4EEvPKT_PKT0_S7_ifPKiS9_S9_iPKfiiiPfSC_PS2_PT2_iSB_SB_,comdat
.Lfunc_end363:
	.size	_Z39paged_attention_ll4mi_QKV_mfma16_kernelIDF16_DF16_LN4vllm18Fp8KVCacheDataTypeE0EDF16_Li32ELi128ELi256ELb1ELi4EEvPKT_PKT0_S7_ifPKiS9_S9_iPKfiiiPfSC_PS2_PT2_iSB_SB_, .Lfunc_end363-_Z39paged_attention_ll4mi_QKV_mfma16_kernelIDF16_DF16_LN4vllm18Fp8KVCacheDataTypeE0EDF16_Li32ELi128ELi256ELb1ELi4EEvPKT_PKT0_S7_ifPKiS9_S9_iPKfiiiPfSC_PS2_PT2_iSB_SB_
                                        ; -- End function
	.section	.AMDGPU.csdata,"",@progbits
; Kernel info:
; codeLenInByte = 4832
; NumSgprs: 49
; NumVgprs: 96
; NumAgprs: 0
; TotalNumVgprs: 96
; ScratchSize: 12
; MemoryBound: 0
; FloatMode: 240
; IeeeMode: 1
; LDSByteSize: 8192 bytes/workgroup (compile time only)
; SGPRBlocks: 6
; VGPRBlocks: 11
; NumSGPRsForWavesPerEU: 49
; NumVGPRsForWavesPerEU: 96
; AccumOffset: 96
; Occupancy: 5
; WaveLimiterHint : 1
; COMPUTE_PGM_RSRC2:SCRATCH_EN: 1
; COMPUTE_PGM_RSRC2:USER_SGPR: 2
; COMPUTE_PGM_RSRC2:TRAP_HANDLER: 0
; COMPUTE_PGM_RSRC2:TGID_X_EN: 1
; COMPUTE_PGM_RSRC2:TGID_Y_EN: 1
; COMPUTE_PGM_RSRC2:TGID_Z_EN: 1
; COMPUTE_PGM_RSRC2:TIDIG_COMP_CNT: 0
; COMPUTE_PGM_RSRC3_GFX90A:ACCUM_OFFSET: 23
; COMPUTE_PGM_RSRC3_GFX90A:TG_SPLIT: 0
	.section	.text._Z38paged_attention_ll4mi_QKV_mfma4_kernelIDF16_DF16_LN4vllm18Fp8KVCacheDataTypeE0EDF16_Li32ELi128ELi256ELb0ELi1EEvPKT_PKT0_S7_ifPKiS9_S9_iPKfiiiPfSC_PS2_PT2_iSB_SB_,"axG",@progbits,_Z38paged_attention_ll4mi_QKV_mfma4_kernelIDF16_DF16_LN4vllm18Fp8KVCacheDataTypeE0EDF16_Li32ELi128ELi256ELb0ELi1EEvPKT_PKT0_S7_ifPKiS9_S9_iPKfiiiPfSC_PS2_PT2_iSB_SB_,comdat
	.protected	_Z38paged_attention_ll4mi_QKV_mfma4_kernelIDF16_DF16_LN4vllm18Fp8KVCacheDataTypeE0EDF16_Li32ELi128ELi256ELb0ELi1EEvPKT_PKT0_S7_ifPKiS9_S9_iPKfiiiPfSC_PS2_PT2_iSB_SB_ ; -- Begin function _Z38paged_attention_ll4mi_QKV_mfma4_kernelIDF16_DF16_LN4vllm18Fp8KVCacheDataTypeE0EDF16_Li32ELi128ELi256ELb0ELi1EEvPKT_PKT0_S7_ifPKiS9_S9_iPKfiiiPfSC_PS2_PT2_iSB_SB_
	.globl	_Z38paged_attention_ll4mi_QKV_mfma4_kernelIDF16_DF16_LN4vllm18Fp8KVCacheDataTypeE0EDF16_Li32ELi128ELi256ELb0ELi1EEvPKT_PKT0_S7_ifPKiS9_S9_iPKfiiiPfSC_PS2_PT2_iSB_SB_
	.p2align	8
	.type	_Z38paged_attention_ll4mi_QKV_mfma4_kernelIDF16_DF16_LN4vllm18Fp8KVCacheDataTypeE0EDF16_Li32ELi128ELi256ELb0ELi1EEvPKT_PKT0_S7_ifPKiS9_S9_iPKfiiiPfSC_PS2_PT2_iSB_SB_,@function
_Z38paged_attention_ll4mi_QKV_mfma4_kernelIDF16_DF16_LN4vllm18Fp8KVCacheDataTypeE0EDF16_Li32ELi128ELi256ELb0ELi1EEvPKT_PKT0_S7_ifPKiS9_S9_iPKfiiiPfSC_PS2_PT2_iSB_SB_: ; @_Z38paged_attention_ll4mi_QKV_mfma4_kernelIDF16_DF16_LN4vllm18Fp8KVCacheDataTypeE0EDF16_Li32ELi128ELi256ELb0ELi1EEvPKT_PKT0_S7_ifPKiS9_S9_iPKfiiiPfSC_PS2_PT2_iSB_SB_
; %bb.0:
	s_load_dwordx2 s[16:17], s[0:1], 0x30
	s_mov_b32 s20, s3
	s_mov_b64 s[6:7], 0
	s_waitcnt lgkmcnt(0)
	s_cmp_lg_u64 s[16:17], 0
	s_cselect_b64 s[18:19], -1, 0
	s_and_b64 vcc, exec, s[18:19]
	s_cbranch_vccz .LBB364_10
; %bb.1:
	s_add_i32 s8, s2, 1
	s_mov_b32 s9, 0
	s_lshl_b64 s[10:11], s[8:9], 2
	s_add_u32 s10, s16, s10
	s_mov_b32 s3, s9
	s_addc_u32 s11, s17, s11
	s_lshl_b64 s[8:9], s[2:3], 2
	s_add_u32 s8, s16, s8
	s_addc_u32 s9, s17, s9
	s_load_dword s5, s[10:11], 0x0
	s_load_dword s12, s[8:9], 0x0
	s_waitcnt lgkmcnt(0)
	s_sub_i32 s5, s5, s12
	s_cmp_eq_u32 s5, 1
	s_cselect_b64 s[8:9], -1, 0
	s_andn2_b64 vcc, exec, s[6:7]
	s_cbranch_vccnz .LBB364_3
.LBB364_2:
	s_mov_b32 s3, 0
	s_mov_b64 s[8:9], -1
.LBB364_3:
	s_andn2_b64 vcc, exec, s[8:9]
	s_cbranch_vccnz .LBB364_25
; %bb.4:
	s_load_dword s5, s[0:1], 0x9c
	s_load_dwordx2 s[6:7], s[0:1], 0x28
	s_add_u32 s24, s0, 0x90
	s_addc_u32 s25, s1, 0
	s_lshl_b64 s[28:29], s[2:3], 2
	s_waitcnt lgkmcnt(0)
	s_and_b32 s5, s5, 0xffff
	s_add_u32 s6, s6, s28
	s_addc_u32 s7, s7, s29
	s_load_dword s3, s[6:7], 0x0
	s_mul_i32 s10, s20, s5
	s_waitcnt lgkmcnt(0)
	s_cmp_ge_i32 s10, s3
	s_cbranch_scc1 .LBB364_25
; %bb.5:
	v_and_b32_e32 v1, 0xc0, v0
	v_add_u32_e32 v2, s10, v1
	v_lshrrev_b32_e32 v70, 6, v0
	v_cmp_le_i32_e64 s[6:7], s3, v2
                                        ; implicit-def: $sgpr21
                                        ; implicit-def: $sgpr11
	s_and_saveexec_b64 s[8:9], s[6:7]
	s_xor_b64 s[8:9], exec, s[8:9]
	s_cbranch_execz .LBB364_7
; %bb.6:
	v_mul_u32_u24_e32 v1, 20, v70
	v_or_b32_e32 v1, 0x1400, v1
	v_mov_b32_e32 v2, 0x1450
	v_mov_b32_e32 v3, 0xff7fffff
	v_mad_u32_u24 v2, v70, 20, v2
	ds_write2_b32 v1, v3, v3 offset1:1
	v_mov_b32_e32 v1, 0
	ds_write2_b32 v2, v1, v1 offset1:1
	v_mov_b32_e32 v2, 0x1408
	s_mov_b32 s11, 0xff7fffff
	s_mov_b32 s21, 0
	v_mad_u32_u24 v2, v70, 20, v2
	v_mov_b32_e32 v4, 0x1458
	v_mad_u32_u24 v4, v70, 20, v4
	ds_write2_b32 v2, v3, v3 offset1:1
	ds_write2_b32 v4, v1, v1 offset1:1
                                        ; implicit-def: $vgpr2
.LBB364_7:
	s_or_saveexec_b64 s[26:27], s[8:9]
	s_load_dwordx2 s[22:23], s[0:1], 0x68
	s_load_dwordx4 s[12:15], s[0:1], 0x58
	s_load_dword s5, s[24:25], 0x4
	v_and_b32_e32 v1, 63, v0
	v_and_b32_e32 v71, 3, v0
	v_mov_b32_e32 v67, s21
	v_mov_b32_e32 v72, s11
	;; [unrolled: 1-line block ×5, first 2 shown]
                                        ; implicit-def: $vgpr31
                                        ; implicit-def: $vgpr19
                                        ; implicit-def: $vgpr23
                                        ; implicit-def: $vgpr27
                                        ; implicit-def: $vgpr3
                                        ; implicit-def: $vgpr7
                                        ; implicit-def: $vgpr11
                                        ; implicit-def: $vgpr15
                                        ; implicit-def: $vgpr51
                                        ; implicit-def: $vgpr55
                                        ; implicit-def: $vgpr59
                                        ; implicit-def: $vgpr63
                                        ; implicit-def: $vgpr39
                                        ; implicit-def: $vgpr47
                                        ; implicit-def: $vgpr35
                                        ; implicit-def: $vgpr43
	s_xor_b64 exec, exec, s[26:27]
	s_cbranch_execz .LBB364_17
; %bb.8:
	s_add_i32 s21, s3, 31
	s_load_dwordx2 s[8:9], s[0:1], 0x20
	s_load_dword s11, s[0:1], 0x38
	s_ashr_i32 s30, s21, 31
	s_lshr_b32 s30, s30, 27
	v_add_u32_e32 v72, s10, v0
	s_add_i32 s21, s21, s30
	v_ashrrev_i32_e32 v3, 31, v72
	s_ashr_i32 s21, s21, 5
	v_lshrrev_b32_e32 v3, 27, v3
	s_add_i32 s21, s21, -1
	v_add_u32_e32 v3, v72, v3
	s_waitcnt lgkmcnt(0)
	s_mul_i32 s30, s2, s11
	s_mov_b32 s31, 0
	v_ashrrev_i32_e32 v3, 5, v3
	v_mov_b32_e32 v4, s21
	v_cmp_gt_i32_e32 vcc, s3, v72
	s_lshl_b64 s[30:31], s[30:31], 2
	s_add_u32 s8, s8, s30
	v_cndmask_b32_e32 v4, v4, v3, vcc
	v_ashrrev_i32_e32 v3, 31, v2
	v_lshrrev_b32_e32 v3, 27, v3
	s_addc_u32 s9, s9, s31
	v_ashrrev_i32_e32 v5, 31, v4
	v_add_u32_e32 v2, v2, v3
	v_lshl_add_u64 v[6:7], v[4:5], 2, s[8:9]
	v_ashrrev_i32_e32 v4, 5, v2
	v_min_i32_e32 v2, s21, v4
	v_ashrrev_i32_e32 v3, 31, v2
	v_lshl_add_u64 v[8:9], v[2:3], 2, s[8:9]
	v_add_u32_e32 v2, 1, v4
	v_min_i32_e32 v2, s21, v2
	v_ashrrev_i32_e32 v3, 31, v2
	v_lshl_add_u64 v[10:11], v[2:3], 2, s[8:9]
	global_load_dword v4, v[6:7], off
	global_load_dword v2, v[8:9], off
	;; [unrolled: 1-line block ×3, first 2 shown]
	s_load_dwordx4 s[8:11], s[0:1], 0x8
	s_andn2_b64 vcc, exec, s[18:19]
	s_cbranch_vccnz .LBB364_11
; %bb.9:
	s_add_u32 s16, s16, s28
	s_addc_u32 s17, s17, s29
	s_load_dword s21, s[16:17], 0x0
	s_branch .LBB364_12
.LBB364_10:
	s_mov_b64 s[8:9], 0
	s_branch .LBB364_2
.LBB364_11:
	s_mov_b32 s21, s2
.LBB364_12:
	s_load_dwordx4 s[16:19], s[0:1], 0x48
	v_cmp_eq_u32_e32 vcc, 0, v71
	s_mov_b32 s29, 0
	v_mov_b32_e32 v73, 0
	v_mov_b32_e32 v19, 0
	;; [unrolled: 1-line block ×6, first 2 shown]
	s_and_saveexec_b64 s[30:31], vcc
	s_cbranch_execz .LBB364_14
; %bb.13:
	s_load_dwordx2 s[34:35], s[0:1], 0x0
	s_waitcnt lgkmcnt(0)
	s_ashr_i32 s19, s16, 31
	s_mul_hi_u32 s28, s21, s16
	s_mul_i32 s19, s21, s19
	s_add_i32 s37, s28, s19
	s_mul_i32 s36, s21, s16
	s_lshl_b64 s[36:37], s[36:37], 1
	s_add_u32 s16, s34, s36
	s_addc_u32 s19, s35, s37
	s_lshl_b32 s28, s4, 7
	s_lshl_b64 s[34:35], s[28:29], 1
	s_add_u32 s34, s16, s34
	s_addc_u32 s35, s19, s35
	v_lshlrev_b32_e32 v5, 2, v1
	global_load_dwordx4 v[66:69], v5, s[34:35]
	v_mov_b32_e32 v73, 1.0
.LBB364_14:
	s_or_b64 exec, exec, s[30:31]
	s_waitcnt lgkmcnt(0)
	s_mul_i32 s28, s4, s18
	s_lshl_b64 s[18:19], s[28:29], 1
	s_add_u32 s8, s18, s8
	s_waitcnt vmcnt(2)
	v_mad_i64_i32 v[4:5], s[30:31], v4, s17, 0
	s_addc_u32 s9, s19, s9
	v_lshl_add_u64 v[16:17], v[4:5], 1, s[8:9]
	v_and_b32_e32 v4, 31, v0
	v_lshlrev_b32_e32 v18, 4, v4
	v_lshl_add_u64 v[40:41], v[16:17], 0, v[18:19]
	global_load_dwordx4 v[4:7], v[40:41], off
	global_load_dwordx4 v[8:11], v[40:41], off offset:512
	global_load_dwordx4 v[12:15], v[40:41], off offset:1024
	;; [unrolled: 1-line block ×7, first 2 shown]
	v_mov_b32_e32 v41, v19
	v_or_b32_e32 v40, 0x1000, v18
	v_lshl_add_u64 v[40:41], v[16:17], 0, v[40:41]
	global_load_dwordx4 v[40:43], v[40:41], off
	v_mov_b32_e32 v45, v19
	v_or_b32_e32 v44, 0x1200, v18
	v_lshl_add_u64 v[44:45], v[16:17], 0, v[44:45]
	global_load_dwordx4 v[44:47], v[44:45], off
	;; [unrolled: 4-line block ×6, first 2 shown]
	v_or_b32_e32 v18, 0x1c00, v18
	v_lshl_add_u64 v[64:65], v[16:17], 0, v[18:19]
	global_load_dwordx4 v[74:77], v[64:65], off
	v_mov_b32_e32 v78, 0x1e00
	v_lshl_or_b32 v18, v0, 4, v78
	v_lshl_add_u64 v[16:17], v[16:17], 0, v[18:19]
	global_load_dwordx4 v[78:81], v[16:17], off
	s_waitcnt vmcnt(16)
	v_mul_hi_i32 v16, v3, s17
	v_mul_hi_i32 v64, v2, s17
	v_mov_b32_e32 v17, v19
	v_mov_b32_e32 v65, v19
	s_load_dword s0, s[0:1], 0x1c
	v_cmp_eq_u32_e32 vcc, 1, v71
	v_and_b32_e32 v87, -4, v72
	v_lshlrev_b32_e32 v88, 2, v0
	v_cndmask_b32_e64 v84, 0, 1.0, vcc
	v_cmp_eq_u32_e32 vcc, 2, v71
	v_or_b32_e32 v72, 3, v72
	s_waitcnt vmcnt(15)
	v_mfma_f32_4x4x4_16b_f16 a[0:3], v[66:67], v[4:5], 0 cbsz:4
	v_ashrrev_i32_e32 v4, 31, v16
	s_nop 0
	v_mfma_f32_4x4x4_16b_f16 a[0:3], v[68:69], v[6:7], a[0:3] cbsz:4
	v_lshrrev_b32_e32 v16, 29, v4
	v_ashrrev_i32_e32 v6, 31, v64
	s_waitcnt vmcnt(14)
	v_mfma_f32_4x4x4_16b_f16 a[0:3], v[66:67], v[8:9], a[0:3] cbsz:4 abid:1
	v_mad_i64_i32 v[4:5], s[8:9], v3, s17, v[16:17]
	s_nop 0
	v_mfma_f32_4x4x4_16b_f16 a[0:3], v[68:69], v[10:11], a[0:3] cbsz:4 abid:1
	s_add_u32 s8, s10, s18
	v_lshrrev_b32_e32 v18, 29, v6
	s_waitcnt vmcnt(13)
	v_mfma_f32_4x4x4_16b_f16 a[0:3], v[66:67], v[12:13], a[0:3] cbsz:4 abid:2
	s_addc_u32 s9, s11, s19
	v_mad_i64_i32 v[2:3], s[10:11], v2, s17, v[18:19]
	v_mfma_f32_4x4x4_16b_f16 a[0:3], v[68:69], v[14:15], a[0:3] cbsz:4 abid:2
	v_lshlrev_b64 v[4:5], 1, v[4:5]
	v_and_b32_e32 v4, -16, v4
	s_waitcnt vmcnt(12)
	v_mfma_f32_4x4x4_16b_f16 a[0:3], v[66:67], v[20:21], a[0:3] cbsz:4 abid:3
	v_lshlrev_b32_e32 v18, 6, v1
	v_lshl_add_u64 v[20:21], s[8:9], 0, v[4:5]
	v_mfma_f32_4x4x4_16b_f16 a[0:3], v[68:69], v[22:23], a[0:3] cbsz:4 abid:3
	v_lshlrev_b64 v[22:23], 1, v[2:3]
	v_and_b32_e32 v22, -16, v22
	s_waitcnt vmcnt(11)
	v_mfma_f32_4x4x4_16b_f16 a[0:3], v[66:67], v[24:25], a[0:3] cbsz:4 abid:4
	v_or_b32_e32 v64, 0x1000, v18
	v_lshl_add_u64 v[22:23], s[8:9], 0, v[22:23]
	v_mfma_f32_4x4x4_16b_f16 a[0:3], v[68:69], v[26:27], a[0:3] cbsz:4 abid:4
	v_lshl_add_u64 v[24:25], v[20:21], 0, v[18:19]
	v_lshl_add_u64 v[20:21], v[20:21], 0, v[64:65]
	s_waitcnt vmcnt(10)
	v_mfma_f32_4x4x4_16b_f16 a[0:3], v[66:67], v[28:29], a[0:3] cbsz:4 abid:5
	v_lshl_add_u64 v[82:83], v[22:23], 0, v[64:65]
	global_load_dwordx4 v[2:5], v[24:25], off
	global_load_dwordx4 v[6:9], v[24:25], off offset:16
	v_mfma_f32_4x4x4_16b_f16 a[0:3], v[68:69], v[30:31], a[0:3] cbsz:4 abid:5
	global_load_dwordx4 v[10:13], v[24:25], off offset:32
	global_load_dwordx4 v[14:17], v[24:25], off offset:48
	s_waitcnt vmcnt(13)
	v_mfma_f32_4x4x4_16b_f16 a[0:3], v[66:67], v[32:33], a[0:3] cbsz:4 abid:6
	v_cndmask_b32_e64 v85, 0, 1.0, vcc
	v_cmp_eq_u32_e32 vcc, 3, v71
	v_mfma_f32_4x4x4_16b_f16 a[0:3], v[68:69], v[34:35], a[0:3] cbsz:4 abid:6
	v_cmp_gt_i32_e64 s[10:11], s3, v72
	v_cndmask_b32_e64 v86, 0, 1.0, vcc
	s_waitcnt vmcnt(12)
	v_mfma_f32_4x4x4_16b_f16 a[0:3], v[66:67], v[36:37], a[0:3] cbsz:4 abid:7
	v_cmp_gt_i32_e32 vcc, s3, v87
	s_nop 0
	v_mfma_f32_4x4x4_16b_f16 a[0:3], v[68:69], v[38:39], a[0:3] cbsz:4 abid:7
	s_waitcnt vmcnt(11)
	s_nop 0
	v_mfma_f32_4x4x4_16b_f16 a[0:3], v[66:67], v[40:41], a[0:3] cbsz:4 abid:8
	s_nop 1
	v_mfma_f32_4x4x4_16b_f16 a[0:3], v[68:69], v[42:43], a[0:3] cbsz:4 abid:8
	s_waitcnt vmcnt(10)
	s_nop 0
	v_mfma_f32_4x4x4_16b_f16 a[0:3], v[66:67], v[44:45], a[0:3] cbsz:4 abid:9
	;; [unrolled: 5-line block ×3, first 2 shown]
	global_load_dwordx4 v[38:41], v[20:21], off
	global_load_dwordx4 v[46:49], v[20:21], off offset:16
	v_mfma_f32_4x4x4_16b_f16 a[0:3], v[68:69], v[50:51], a[0:3] cbsz:4 abid:10
	v_lshl_add_u64 v[50:51], v[22:23], 0, v[18:19]
	global_load_dwordx4 v[34:37], v[20:21], off offset:32
	global_load_dwordx4 v[42:45], v[20:21], off offset:48
	s_waitcnt vmcnt(12)
	v_mfma_f32_4x4x4_16b_f16 a[0:3], v[66:67], v[52:53], a[0:3] cbsz:4 abid:11
	global_load_dwordx4 v[30:33], v[50:51], off
	global_load_dwordx4 v[18:21], v[50:51], off offset:16
	v_mfma_f32_4x4x4_16b_f16 a[0:3], v[68:69], v[54:55], a[0:3] cbsz:4 abid:11
	global_load_dwordx4 v[22:25], v[50:51], off offset:32
	global_load_dwordx4 v[26:29], v[50:51], off offset:48
	s_waitcnt vmcnt(15)
	v_mfma_f32_4x4x4_16b_f16 a[0:3], v[66:67], v[56:57], a[0:3] cbsz:4 abid:12
	global_load_dwordx4 v[50:53], v[82:83], off
	global_load_dwordx4 v[54:57], v[82:83], off offset:16
	v_mfma_f32_4x4x4_16b_f16 a[0:3], v[68:69], v[58:59], a[0:3] cbsz:4 abid:12
	s_waitcnt vmcnt(16)
	s_nop 0
	v_mfma_f32_4x4x4_16b_f16 a[0:3], v[66:67], v[60:61], a[0:3] cbsz:4 abid:13
	s_nop 1
	v_mfma_f32_4x4x4_16b_f16 a[0:3], v[68:69], v[62:63], a[0:3] cbsz:4 abid:13
	global_load_dwordx4 v[58:61], v[82:83], off offset:32
	global_load_dwordx4 v[62:65], v[82:83], off offset:48
	s_waitcnt vmcnt(17)
	v_mfma_f32_4x4x4_16b_f16 a[0:3], v[66:67], v[74:75], a[0:3] cbsz:4 abid:14
	v_mov_b32_e32 v74, 0xff7fffff
	v_and_or_b32 v75, v88, 48, v71
	v_mfma_f32_4x4x4_16b_f16 a[0:3], v[68:69], v[76:77], a[0:3] cbsz:4 abid:14
	s_waitcnt vmcnt(16)
	s_nop 0
	v_mfma_f32_4x4x4_16b_f16 a[0:3], v[66:67], v[78:79], a[0:3] cbsz:4 abid:15
	s_nop 1
	v_mfma_f32_4x4x4_16b_f16 a[0:3], v[68:69], v[80:81], a[0:3] cbsz:4 abid:15
	s_nop 4
	v_accvgpr_read_b32 v67, a1
	v_accvgpr_read_b32 v66, a0
	s_waitcnt lgkmcnt(0)
	v_pk_mul_f32 v[66:67], s[0:1], v[66:67] op_sel_hi:[0,1]
	v_accvgpr_read_b32 v69, a3
	v_accvgpr_read_b32 v68, a2
	v_pk_mul_f32 v[68:69], s[0:1], v[68:69] op_sel_hi:[0,1]
	v_mfma_f32_4x4x1_16b_f32 a[0:3], v66, v73, 0
	v_or_b32_e32 v66, 1, v87
	s_nop 0
	v_mfma_f32_4x4x1_16b_f32 a[0:3], v67, v84, a[0:3]
	v_lshlrev_b32_e32 v73, 2, v75
	v_cmp_gt_i32_e64 s[0:1], s3, v66
	v_mfma_f32_4x4x1_16b_f32 a[0:3], v68, v85, a[0:3]
	v_or_b32_e32 v67, 2, v87
	v_cmp_gt_i32_e64 s[8:9], s3, v67
	v_mfma_f32_4x4x1_16b_f32 a[0:3], v69, v86, a[0:3]
	s_nop 3
	v_accvgpr_read_b32 v68, a0
	v_max_f32_e32 v77, v68, v68
	v_accvgpr_read_b32 v69, a1
	v_max_f32_e32 v77, 0xff7fffff, v77
	v_max_f32_e32 v78, v69, v69
	v_cndmask_b32_e32 v74, v74, v77, vcc
	v_accvgpr_read_b32 v75, a2
	v_max_f32_e32 v77, v74, v78
	v_max_f32_e32 v79, v75, v75
	v_cndmask_b32_e64 v66, v74, v77, s[0:1]
	v_accvgpr_read_b32 v76, a3
	v_max_f32_e32 v74, v66, v79
	v_max_f32_e32 v80, v76, v76
	v_cndmask_b32_e64 v66, v66, v74, s[8:9]
	v_max_f32_e32 v67, v66, v80
	v_cndmask_b32_e64 v66, v66, v67, s[10:11]
	;;#ASMSTART
	v_nop
 v_nop
 v_max_f32_dpp v66, v66, v66 row_ror:4
	;;#ASMEND
	s_nop 0
	;;#ASMSTART
	v_nop
 v_nop
 v_max_f32_dpp v66, v66, v66 row_ror:8
	;;#ASMEND
	ds_bpermute_b32 v66, v73, v66
	s_waitcnt lgkmcnt(0)
	;;#ASMSTART
	v_nop
 v_nop
 v_max_f32_dpp v66, v66, v66 row_ror:4
	;;#ASMEND
	s_nop 0
	;;#ASMSTART
	v_nop
 v_nop
 v_max_f32_dpp v72, v66, v66 row_ror:8
	;;#ASMEND
	s_nop 0
	v_sub_f32_e32 v66, v68, v72
	v_sub_f32_e32 v67, v69, v72
	;; [unrolled: 1-line block ×3, first 2 shown]
	v_mul_f32_e32 v66, 0x3fb8aa3b, v66
	v_mul_f32_e32 v67, 0x3fb8aa3b, v67
	;; [unrolled: 1-line block ×3, first 2 shown]
	v_exp_f32_e32 v66, v66
	v_sub_f32_e32 v69, v76, v72
	v_exp_f32_e32 v67, v67
	v_exp_f32_e32 v74, v68
	v_mul_f32_e32 v69, 0x3fb8aa3b, v69
	v_exp_f32_e32 v75, v69
	v_cndmask_b32_e32 v68, 0, v66, vcc
	v_cndmask_b32_e64 v69, 0, v67, s[0:1]
	v_cndmask_b32_e64 v66, 0, v74, s[8:9]
	v_add_f32_e32 v74, 0, v68
	v_add_f32_e32 v74, v74, v69
	v_cndmask_b32_e64 v67, 0, v75, s[10:11]
	v_add_f32_e32 v74, v74, v66
	v_add_f32_e32 v74, v74, v67
	;;#ASMSTART
	v_nop
 v_nop
 v_add_f32_dpp v74, v74, v74 row_ror:4
	;;#ASMEND
	v_cmp_gt_u32_e32 vcc, 4, v1
	;;#ASMSTART
	v_nop
 v_nop
 v_add_f32_dpp v74, v74, v74 row_ror:8
	;;#ASMEND
	ds_bpermute_b32 v73, v73, v74
	s_waitcnt lgkmcnt(0)
	;;#ASMSTART
	v_nop
 v_nop
 v_add_f32_dpp v73, v73, v73 row_ror:4
	;;#ASMEND
	s_nop 0
	;;#ASMSTART
	v_nop
 v_nop
 v_add_f32_dpp v73, v73, v73 row_ror:8
	;;#ASMEND
	s_and_saveexec_b64 s[0:1], vcc
	s_cbranch_execz .LBB364_16
; %bb.15:
	v_mul_u32_u24_e32 v74, 20, v70
	v_lshl_add_u32 v74, v71, 2, v74
	v_add_u32_e32 v74, 0x1400, v74
	ds_write2_b32 v74, v72, v73 offset1:20
.LBB364_16:
	s_or_b64 exec, exec, s[0:1]
.LBB364_17:
	s_or_b64 exec, exec, s[26:27]
	s_waitcnt lgkmcnt(0)
	s_barrier
	s_load_dword s0, s[24:25], 0x8
	v_lshlrev_b32_e32 v73, 2, v71
	v_add_u32_e32 v74, 0x1400, v73
	ds_read2_b32 v[76:77], v74 offset1:5
	ds_read2_b32 v[78:79], v74 offset0:10 offset1:15
	s_mul_i32 s1, s5, s2
	s_waitcnt lgkmcnt(0)
	s_mul_i32 s0, s1, s0
	s_mov_b32 s1, 0xff7fffff
	v_max3_f32 v73, v76, s1, v77
	v_max3_f32 v73, v73, v78, v79
	v_sub_f32_e32 v75, v76, v73
	v_sub_f32_e32 v76, v77, v73
	v_mul_f32_e32 v76, 0x3fb8aa3b, v76
	ds_read2_b32 v[80:81], v74 offset0:20 offset1:25
	v_mul_f32_e32 v75, 0x3fb8aa3b, v75
	v_exp_f32_e32 v83, v76
	ds_read2_b32 v[76:77], v74 offset0:30 offset1:35
	v_sub_f32_e32 v74, v78, v73
	v_exp_f32_e32 v82, v75
	v_mul_f32_e32 v74, 0x3fb8aa3b, v74
	v_exp_f32_e32 v78, v74
	v_sub_f32_e32 v74, v79, v73
	v_mul_f32_e32 v74, 0x3fb8aa3b, v74
	v_exp_f32_e32 v79, v74
	s_waitcnt lgkmcnt(1)
	v_fma_f32 v74, v82, v80, 0
	v_fmac_f32_e32 v74, v83, v81
	s_waitcnt lgkmcnt(0)
	v_fmac_f32_e32 v74, v78, v76
	v_mov_b32_e32 v75, 0
	v_fmac_f32_e32 v74, v79, v77
	s_mov_b32 s1, 0
	v_cmp_eq_u32_e32 vcc, 0, v71
	s_and_saveexec_b64 s[2:3], vcc
	s_cbranch_execz .LBB364_19
; %bb.18:
	s_lshl_b64 s[8:9], s[0:1], 2
	s_add_u32 s12, s12, s8
	s_mov_b32 s21, s1
	s_addc_u32 s13, s13, s9
	s_lshl_b64 s[10:11], s[20:21], 2
	s_add_u32 s12, s12, s10
	s_addc_u32 s13, s13, s11
	s_add_u32 s8, s14, s8
	s_addc_u32 s9, s15, s9
	s_add_u32 s14, s8, s10
	s_addc_u32 s15, s9, s11
	s_mul_i32 s8, s5, s4
	s_mov_b32 s9, s1
	s_lshl_b64 s[8:9], s[8:9], 2
	s_add_u32 s10, s12, s8
	s_addc_u32 s11, s13, s9
	s_add_u32 s8, s14, s8
	s_addc_u32 s9, s15, s9
	global_store_dword v75, v73, s[8:9]
	global_store_dword v75, v74, s[10:11]
.LBB364_19:
	s_or_b64 exec, exec, s[2:3]
	v_lshlrev_b32_e32 v70, 3, v70
	s_and_saveexec_b64 s[2:3], s[6:7]
	s_xor_b64 s[2:3], exec, s[2:3]
	s_cbranch_execz .LBB364_21
; %bb.20:
	s_mov_b32 s6, 0
	s_mov_b32 s7, s6
	s_waitcnt vmcnt(15)
	v_mad_u32_u24 v4, v1, 40, v70
	v_mov_b64_e32 v[2:3], s[6:7]
	ds_write2st64_b64 v4, v[2:3], v[2:3] offset1:5
                                        ; implicit-def: $vgpr67
                                        ; implicit-def: $vgpr69
                                        ; implicit-def: $vgpr31
                                        ; implicit-def: $vgpr19
                                        ; implicit-def: $vgpr23
                                        ; implicit-def: $vgpr27
                                        ; implicit-def: $vgpr3
                                        ; implicit-def: $vgpr7
                                        ; implicit-def: $vgpr11
                                        ; implicit-def: $vgpr15
                                        ; implicit-def: $vgpr51
                                        ; implicit-def: $vgpr55
                                        ; implicit-def: $vgpr59
                                        ; implicit-def: $vgpr63
                                        ; implicit-def: $vgpr39
                                        ; implicit-def: $vgpr47
                                        ; implicit-def: $vgpr35
                                        ; implicit-def: $vgpr43
                                        ; implicit-def: $vgpr72
                                        ; implicit-def: $vgpr73
                                        ; implicit-def: $vgpr74
                                        ; implicit-def: $vgpr70
.LBB364_21:
	s_andn2_saveexec_b64 s[2:3], s[2:3]
	s_cbranch_execz .LBB364_23
; %bb.22:
	v_add_f32_e32 v71, 0x358637bd, v74
	v_div_scale_f32 v74, s[6:7], v71, v71, 1.0
	v_rcp_f32_e32 v75, v74
	v_sub_f32_e32 v72, v72, v73
	v_mul_f32_e32 v72, 0x3fb8aa3b, v72
	v_exp_f32_e32 v72, v72
	v_fma_f32 v73, -v74, v75, 1.0
	v_fmac_f32_e32 v75, v73, v75
	v_div_scale_f32 v73, vcc, 1.0, v71, 1.0
	v_mul_f32_e32 v76, v73, v75
	v_fma_f32 v77, -v74, v76, v73
	v_fmac_f32_e32 v76, v77, v75
	v_fma_f32 v73, -v74, v76, v73
	v_div_fmas_f32 v73, v73, v75, v76
	v_div_fixup_f32 v71, v73, v71, 1.0
	v_mul_f32_e32 v72, v72, v71
	v_pk_mul_f32 v[66:67], v[66:67], v[72:73] op_sel_hi:[1,0]
	v_pk_mul_f32 v[68:69], v[68:69], v[72:73] op_sel_hi:[1,0]
	v_cvt_f16_f32_e32 v71, v66
	v_cvt_f16_f32_e32 v68, v68
	;; [unrolled: 1-line block ×4, first 2 shown]
	v_pack_b32_f16 v66, v68, v69
	v_pack_b32_f16 v67, v71, v67
	s_waitcnt vmcnt(7)
	s_nop 0
	v_mfma_f32_4x4x4_16b_f16 a[0:3], v[66:67], v[30:31], 0 cbsz:4
	s_nop 1
	v_mfma_f32_4x4x4_16b_f16 a[0:3], v[66:67], v[32:33], a[0:3] cbsz:4 abid:1
	s_waitcnt vmcnt(3)
	v_mfma_f32_4x4x4_16b_f16 a[4:7], v[66:67], v[50:51], 0 cbsz:4
	v_mfma_f32_4x4x4_16b_f16 a[0:3], v[66:67], v[18:19], a[0:3] cbsz:4 abid:2
	s_nop 0
	v_mfma_f32_4x4x4_16b_f16 a[4:7], v[66:67], v[52:53], a[4:7] cbsz:4 abid:1
	v_mfma_f32_4x4x4_16b_f16 a[0:3], v[66:67], v[20:21], a[0:3] cbsz:4 abid:3
	s_waitcnt vmcnt(2)
	v_mfma_f32_4x4x4_16b_f16 a[4:7], v[66:67], v[54:55], a[4:7] cbsz:4 abid:2
	v_mfma_f32_4x4x4_16b_f16 a[0:3], v[66:67], v[22:23], a[0:3] cbsz:4 abid:4
	s_nop 0
	v_mfma_f32_4x4x4_16b_f16 a[4:7], v[66:67], v[56:57], a[4:7] cbsz:4 abid:3
	v_mfma_f32_4x4x4_16b_f16 a[0:3], v[66:67], v[24:25], a[0:3] cbsz:4 abid:5
	s_waitcnt vmcnt(1)
	v_mfma_f32_4x4x4_16b_f16 a[4:7], v[66:67], v[58:59], a[4:7] cbsz:4 abid:4
	v_mfma_f32_4x4x4_16b_f16 a[0:3], v[66:67], v[26:27], a[0:3] cbsz:4 abid:6
	s_nop 0
	v_mfma_f32_4x4x4_16b_f16 a[4:7], v[66:67], v[60:61], a[4:7] cbsz:4 abid:5
	v_mfma_f32_4x4x4_16b_f16 a[0:3], v[66:67], v[28:29], a[0:3] cbsz:4 abid:7
	s_waitcnt vmcnt(0)
	v_mfma_f32_4x4x4_16b_f16 a[4:7], v[66:67], v[62:63], a[4:7] cbsz:4 abid:6
	v_mfma_f32_4x4x4_16b_f16 a[0:3], v[66:67], v[2:3], a[0:3] cbsz:4 abid:8
	s_nop 0
	v_mfma_f32_4x4x4_16b_f16 a[4:7], v[66:67], v[64:65], a[4:7] cbsz:4 abid:7
	v_mfma_f32_4x4x4_16b_f16 a[0:3], v[66:67], v[4:5], a[0:3] cbsz:4 abid:9
	s_nop 0
	v_mfma_f32_4x4x4_16b_f16 a[4:7], v[66:67], v[38:39], a[4:7] cbsz:4 abid:8
	;; [unrolled: 3-line block ×3, first 2 shown]
	v_mfma_f32_4x4x4_16b_f16 a[0:3], v[66:67], v[8:9], a[0:3] cbsz:4 abid:11
	v_mad_u32_u24 v9, v1, 40, v70
	v_mfma_f32_4x4x4_16b_f16 a[4:7], v[66:67], v[46:47], a[4:7] cbsz:4 abid:10
	v_mfma_f32_4x4x4_16b_f16 a[0:3], v[66:67], v[10:11], a[0:3] cbsz:4 abid:12
	s_nop 0
	v_mfma_f32_4x4x4_16b_f16 a[4:7], v[66:67], v[48:49], a[4:7] cbsz:4 abid:11
	v_mfma_f32_4x4x4_16b_f16 a[0:3], v[66:67], v[12:13], a[0:3] cbsz:4 abid:13
	s_nop 0
	;; [unrolled: 3-line block ×3, first 2 shown]
	v_mfma_f32_4x4x4_16b_f16 a[0:3], v[66:67], v[16:17], a[0:3] cbsz:4 abid:15
	s_nop 4
	v_accvgpr_read_b32 v2, a0
	v_accvgpr_read_b32 v3, a1
	v_accvgpr_read_b32 v4, a2
	v_accvgpr_read_b32 v5, a3
	v_mfma_f32_4x4x4_16b_f16 a[0:3], v[66:67], v[36:37], a[4:7] cbsz:4 abid:13
	v_cvt_f16_f32_e32 v2, v2
	v_cvt_f16_f32_e32 v3, v3
	v_mfma_f32_4x4x4_16b_f16 a[0:3], v[66:67], v[42:43], a[0:3] cbsz:4 abid:14
	v_pack_b32_f16 v2, v2, v3
	s_nop 0
	v_mfma_f32_4x4x4_16b_f16 a[0:3], v[66:67], v[44:45], a[0:3] cbsz:4 abid:15
	v_cvt_f16_f32_e32 v3, v4
	v_cvt_f16_f32_e32 v4, v5
	v_pack_b32_f16 v3, v3, v4
	s_nop 1
	v_accvgpr_read_b32 v5, a0
	v_accvgpr_read_b32 v6, a1
	;; [unrolled: 1-line block ×4, first 2 shown]
	v_cvt_f16_f32_e32 v5, v5
	v_cvt_f16_f32_e32 v6, v6
	v_cvt_f16_f32_e32 v7, v7
	v_cvt_f16_f32_e32 v8, v8
	v_pack_b32_f16 v4, v5, v6
	v_pack_b32_f16 v5, v7, v8
	ds_write2st64_b64 v9, v[2:3], v[4:5] offset1:5
.LBB364_23:
	s_or_b64 exec, exec, s[2:3]
	v_cmp_gt_u32_e32 vcc, 64, v0
	s_waitcnt lgkmcnt(0)
	s_barrier
	s_and_saveexec_b64 s[2:3], vcc
	s_cbranch_execz .LBB364_25
; %bb.24:
	s_waitcnt vmcnt(15)
	v_mov_b32_e32 v2, 0xa00
	v_mad_u32_u24 v2, v1, 40, v2
	s_waitcnt vmcnt(14)
	v_mov_b32_e32 v6, 0xa10
	ds_read2_b64 v[2:5], v2 offset1:1
	s_waitcnt lgkmcnt(0)
	v_mad_u32_u24 v3, v1, 40, v6
	ds_read2_b64 v[6:9], v3 offset1:1
	v_mul_u32_u24_e32 v1, 40, v1
	s_lshl_b32 s0, s0, 7
	v_pk_add_f16 v2, v2, 0
	s_lshl_b64 s[2:3], s[0:1], 1
	v_pk_add_f16 v2, v2, v4
	s_add_u32 s2, s22, s2
	s_waitcnt lgkmcnt(0)
	v_pk_add_f16 v2, v2, v6
	s_addc_u32 s3, s23, s3
	s_waitcnt vmcnt(13)
	v_pk_add_f16 v10, v2, v8
	ds_read2_b64 v[2:5], v1 offset1:1
	ds_read2_b64 v[6:9], v1 offset0:2 offset1:3
	s_lshl_b32 s0, s20, 7
	s_lshl_b64 s[0:1], s[0:1], 1
	s_add_u32 s0, s2, s0
	s_waitcnt lgkmcnt(1)
	v_pk_add_f16 v2, v2, 0
	s_mul_i32 s4, s4, s5
	v_pk_add_f16 v2, v2, v4
	s_addc_u32 s1, s3, s1
	v_lshl_or_b32 v0, s4, 7, v0
	v_mov_b32_e32 v1, 0
	s_waitcnt lgkmcnt(0)
	v_pk_add_f16 v2, v2, v6
	v_lshl_add_u64 v[0:1], v[0:1], 1, s[0:1]
	v_pk_add_f16 v2, v2, v8
	global_store_short v[0:1], v2, off
	global_store_short v[0:1], v10, off offset:128
.LBB364_25:
	s_endpgm
	.section	.rodata,"a",@progbits
	.p2align	6, 0x0
	.amdhsa_kernel _Z38paged_attention_ll4mi_QKV_mfma4_kernelIDF16_DF16_LN4vllm18Fp8KVCacheDataTypeE0EDF16_Li32ELi128ELi256ELb0ELi1EEvPKT_PKT0_S7_ifPKiS9_S9_iPKfiiiPfSC_PS2_PT2_iSB_SB_
		.amdhsa_group_segment_fixed_size 5280
		.amdhsa_private_segment_fixed_size 0
		.amdhsa_kernarg_size 400
		.amdhsa_user_sgpr_count 2
		.amdhsa_user_sgpr_dispatch_ptr 0
		.amdhsa_user_sgpr_queue_ptr 0
		.amdhsa_user_sgpr_kernarg_segment_ptr 1
		.amdhsa_user_sgpr_dispatch_id 0
		.amdhsa_user_sgpr_kernarg_preload_length 0
		.amdhsa_user_sgpr_kernarg_preload_offset 0
		.amdhsa_user_sgpr_private_segment_size 0
		.amdhsa_uses_dynamic_stack 0
		.amdhsa_enable_private_segment 0
		.amdhsa_system_sgpr_workgroup_id_x 1
		.amdhsa_system_sgpr_workgroup_id_y 1
		.amdhsa_system_sgpr_workgroup_id_z 1
		.amdhsa_system_sgpr_workgroup_info 0
		.amdhsa_system_vgpr_workitem_id 0
		.amdhsa_next_free_vgpr 100
		.amdhsa_next_free_sgpr 38
		.amdhsa_accum_offset 92
		.amdhsa_reserve_vcc 1
		.amdhsa_float_round_mode_32 0
		.amdhsa_float_round_mode_16_64 0
		.amdhsa_float_denorm_mode_32 3
		.amdhsa_float_denorm_mode_16_64 3
		.amdhsa_dx10_clamp 1
		.amdhsa_ieee_mode 1
		.amdhsa_fp16_overflow 0
		.amdhsa_tg_split 0
		.amdhsa_exception_fp_ieee_invalid_op 0
		.amdhsa_exception_fp_denorm_src 0
		.amdhsa_exception_fp_ieee_div_zero 0
		.amdhsa_exception_fp_ieee_overflow 0
		.amdhsa_exception_fp_ieee_underflow 0
		.amdhsa_exception_fp_ieee_inexact 0
		.amdhsa_exception_int_div_zero 0
	.end_amdhsa_kernel
	.section	.text._Z38paged_attention_ll4mi_QKV_mfma4_kernelIDF16_DF16_LN4vllm18Fp8KVCacheDataTypeE0EDF16_Li32ELi128ELi256ELb0ELi1EEvPKT_PKT0_S7_ifPKiS9_S9_iPKfiiiPfSC_PS2_PT2_iSB_SB_,"axG",@progbits,_Z38paged_attention_ll4mi_QKV_mfma4_kernelIDF16_DF16_LN4vllm18Fp8KVCacheDataTypeE0EDF16_Li32ELi128ELi256ELb0ELi1EEvPKT_PKT0_S7_ifPKiS9_S9_iPKfiiiPfSC_PS2_PT2_iSB_SB_,comdat
.Lfunc_end364:
	.size	_Z38paged_attention_ll4mi_QKV_mfma4_kernelIDF16_DF16_LN4vllm18Fp8KVCacheDataTypeE0EDF16_Li32ELi128ELi256ELb0ELi1EEvPKT_PKT0_S7_ifPKiS9_S9_iPKfiiiPfSC_PS2_PT2_iSB_SB_, .Lfunc_end364-_Z38paged_attention_ll4mi_QKV_mfma4_kernelIDF16_DF16_LN4vllm18Fp8KVCacheDataTypeE0EDF16_Li32ELi128ELi256ELb0ELi1EEvPKT_PKT0_S7_ifPKiS9_S9_iPKfiiiPfSC_PS2_PT2_iSB_SB_
                                        ; -- End function
	.section	.AMDGPU.csdata,"",@progbits
; Kernel info:
; codeLenInByte = 3704
; NumSgprs: 44
; NumVgprs: 89
; NumAgprs: 8
; TotalNumVgprs: 100
; ScratchSize: 0
; MemoryBound: 0
; FloatMode: 240
; IeeeMode: 1
; LDSByteSize: 5280 bytes/workgroup (compile time only)
; SGPRBlocks: 5
; VGPRBlocks: 12
; NumSGPRsForWavesPerEU: 44
; NumVGPRsForWavesPerEU: 100
; AccumOffset: 92
; Occupancy: 4
; WaveLimiterHint : 1
; COMPUTE_PGM_RSRC2:SCRATCH_EN: 0
; COMPUTE_PGM_RSRC2:USER_SGPR: 2
; COMPUTE_PGM_RSRC2:TRAP_HANDLER: 0
; COMPUTE_PGM_RSRC2:TGID_X_EN: 1
; COMPUTE_PGM_RSRC2:TGID_Y_EN: 1
; COMPUTE_PGM_RSRC2:TGID_Z_EN: 1
; COMPUTE_PGM_RSRC2:TIDIG_COMP_CNT: 0
; COMPUTE_PGM_RSRC3_GFX90A:ACCUM_OFFSET: 22
; COMPUTE_PGM_RSRC3_GFX90A:TG_SPLIT: 0
	.section	.text._Z38paged_attention_ll4mi_QKV_mfma4_kernelIDF16_DF16_LN4vllm18Fp8KVCacheDataTypeE0EDF16_Li32ELi128ELi256ELb0ELi2EEvPKT_PKT0_S7_ifPKiS9_S9_iPKfiiiPfSC_PS2_PT2_iSB_SB_,"axG",@progbits,_Z38paged_attention_ll4mi_QKV_mfma4_kernelIDF16_DF16_LN4vllm18Fp8KVCacheDataTypeE0EDF16_Li32ELi128ELi256ELb0ELi2EEvPKT_PKT0_S7_ifPKiS9_S9_iPKfiiiPfSC_PS2_PT2_iSB_SB_,comdat
	.protected	_Z38paged_attention_ll4mi_QKV_mfma4_kernelIDF16_DF16_LN4vllm18Fp8KVCacheDataTypeE0EDF16_Li32ELi128ELi256ELb0ELi2EEvPKT_PKT0_S7_ifPKiS9_S9_iPKfiiiPfSC_PS2_PT2_iSB_SB_ ; -- Begin function _Z38paged_attention_ll4mi_QKV_mfma4_kernelIDF16_DF16_LN4vllm18Fp8KVCacheDataTypeE0EDF16_Li32ELi128ELi256ELb0ELi2EEvPKT_PKT0_S7_ifPKiS9_S9_iPKfiiiPfSC_PS2_PT2_iSB_SB_
	.globl	_Z38paged_attention_ll4mi_QKV_mfma4_kernelIDF16_DF16_LN4vllm18Fp8KVCacheDataTypeE0EDF16_Li32ELi128ELi256ELb0ELi2EEvPKT_PKT0_S7_ifPKiS9_S9_iPKfiiiPfSC_PS2_PT2_iSB_SB_
	.p2align	8
	.type	_Z38paged_attention_ll4mi_QKV_mfma4_kernelIDF16_DF16_LN4vllm18Fp8KVCacheDataTypeE0EDF16_Li32ELi128ELi256ELb0ELi2EEvPKT_PKT0_S7_ifPKiS9_S9_iPKfiiiPfSC_PS2_PT2_iSB_SB_,@function
_Z38paged_attention_ll4mi_QKV_mfma4_kernelIDF16_DF16_LN4vllm18Fp8KVCacheDataTypeE0EDF16_Li32ELi128ELi256ELb0ELi2EEvPKT_PKT0_S7_ifPKiS9_S9_iPKfiiiPfSC_PS2_PT2_iSB_SB_: ; @_Z38paged_attention_ll4mi_QKV_mfma4_kernelIDF16_DF16_LN4vllm18Fp8KVCacheDataTypeE0EDF16_Li32ELi128ELi256ELb0ELi2EEvPKT_PKT0_S7_ifPKiS9_S9_iPKfiiiPfSC_PS2_PT2_iSB_SB_
; %bb.0:
	s_load_dwordx2 s[16:17], s[0:1], 0x30
	s_mov_b32 s20, s3
	s_mov_b64 s[6:7], 0
	s_waitcnt lgkmcnt(0)
	s_cmp_lg_u64 s[16:17], 0
	s_cselect_b64 s[18:19], -1, 0
	s_and_b64 vcc, exec, s[18:19]
	s_cbranch_vccz .LBB365_10
; %bb.1:
	s_add_i32 s8, s2, 1
	s_mov_b32 s9, 0
	s_lshl_b64 s[10:11], s[8:9], 2
	s_add_u32 s10, s16, s10
	s_mov_b32 s3, s9
	s_addc_u32 s11, s17, s11
	s_lshl_b64 s[8:9], s[2:3], 2
	s_add_u32 s8, s16, s8
	s_addc_u32 s9, s17, s9
	s_load_dword s5, s[10:11], 0x0
	s_load_dword s12, s[8:9], 0x0
	s_waitcnt lgkmcnt(0)
	s_sub_i32 s5, s5, s12
	s_cmp_eq_u32 s5, 1
	s_cselect_b64 s[8:9], -1, 0
	s_andn2_b64 vcc, exec, s[6:7]
	s_cbranch_vccnz .LBB365_3
.LBB365_2:
	s_mov_b32 s3, 0
	s_mov_b64 s[8:9], -1
.LBB365_3:
	s_andn2_b64 vcc, exec, s[8:9]
	s_cbranch_vccnz .LBB365_25
; %bb.4:
	s_load_dword s5, s[0:1], 0x9c
	s_load_dwordx2 s[6:7], s[0:1], 0x28
	s_add_u32 s24, s0, 0x90
	s_addc_u32 s25, s1, 0
	s_lshl_b64 s[28:29], s[2:3], 2
	s_waitcnt lgkmcnt(0)
	s_and_b32 s5, s5, 0xffff
	s_add_u32 s6, s6, s28
	s_addc_u32 s7, s7, s29
	s_load_dword s3, s[6:7], 0x0
	s_mul_i32 s10, s20, s5
	s_waitcnt lgkmcnt(0)
	s_cmp_ge_i32 s10, s3
	s_cbranch_scc1 .LBB365_25
; %bb.5:
	v_and_b32_e32 v1, 0xc0, v0
	v_add_u32_e32 v2, s10, v1
	v_lshrrev_b32_e32 v70, 6, v0
	v_cmp_le_i32_e64 s[6:7], s3, v2
                                        ; implicit-def: $sgpr21
                                        ; implicit-def: $sgpr11
	s_and_saveexec_b64 s[8:9], s[6:7]
	s_xor_b64 s[8:9], exec, s[8:9]
	s_cbranch_execz .LBB365_7
; %bb.6:
	v_mul_u32_u24_e32 v1, 20, v70
	v_or_b32_e32 v1, 0x1400, v1
	v_mov_b32_e32 v2, 0x1450
	v_mov_b32_e32 v3, 0xff7fffff
	v_mad_u32_u24 v2, v70, 20, v2
	ds_write2_b32 v1, v3, v3 offset1:1
	v_mov_b32_e32 v1, 0
	ds_write2_b32 v2, v1, v1 offset1:1
	v_mov_b32_e32 v2, 0x1408
	s_mov_b32 s11, 0xff7fffff
	s_mov_b32 s21, 0
	v_mad_u32_u24 v2, v70, 20, v2
	v_mov_b32_e32 v4, 0x1458
	v_mad_u32_u24 v4, v70, 20, v4
	ds_write2_b32 v2, v3, v3 offset1:1
	ds_write2_b32 v4, v1, v1 offset1:1
                                        ; implicit-def: $vgpr2
.LBB365_7:
	s_or_saveexec_b64 s[26:27], s[8:9]
	s_load_dwordx2 s[22:23], s[0:1], 0x68
	s_load_dwordx4 s[12:15], s[0:1], 0x58
	s_load_dword s5, s[24:25], 0x4
	v_and_b32_e32 v1, 63, v0
	v_and_b32_e32 v71, 3, v0
	v_mov_b32_e32 v67, s21
	v_mov_b32_e32 v72, s11
	;; [unrolled: 1-line block ×5, first 2 shown]
                                        ; implicit-def: $vgpr31
                                        ; implicit-def: $vgpr19
                                        ; implicit-def: $vgpr23
                                        ; implicit-def: $vgpr27
                                        ; implicit-def: $vgpr3
                                        ; implicit-def: $vgpr7
                                        ; implicit-def: $vgpr11
                                        ; implicit-def: $vgpr15
                                        ; implicit-def: $vgpr51
                                        ; implicit-def: $vgpr55
                                        ; implicit-def: $vgpr59
                                        ; implicit-def: $vgpr63
                                        ; implicit-def: $vgpr39
                                        ; implicit-def: $vgpr47
                                        ; implicit-def: $vgpr35
                                        ; implicit-def: $vgpr43
	s_xor_b64 exec, exec, s[26:27]
	s_cbranch_execz .LBB365_17
; %bb.8:
	s_add_i32 s21, s3, 31
	s_load_dwordx2 s[8:9], s[0:1], 0x20
	s_load_dword s11, s[0:1], 0x38
	s_ashr_i32 s30, s21, 31
	s_lshr_b32 s30, s30, 27
	v_add_u32_e32 v72, s10, v0
	s_add_i32 s21, s21, s30
	v_ashrrev_i32_e32 v3, 31, v72
	s_ashr_i32 s21, s21, 5
	v_lshrrev_b32_e32 v3, 27, v3
	s_add_i32 s21, s21, -1
	v_add_u32_e32 v3, v72, v3
	s_waitcnt lgkmcnt(0)
	s_mul_i32 s30, s2, s11
	s_mov_b32 s31, 0
	v_ashrrev_i32_e32 v3, 5, v3
	v_mov_b32_e32 v4, s21
	v_cmp_gt_i32_e32 vcc, s3, v72
	s_lshl_b64 s[30:31], s[30:31], 2
	s_add_u32 s8, s8, s30
	v_cndmask_b32_e32 v4, v4, v3, vcc
	v_ashrrev_i32_e32 v3, 31, v2
	v_lshrrev_b32_e32 v3, 27, v3
	s_addc_u32 s9, s9, s31
	v_ashrrev_i32_e32 v5, 31, v4
	v_add_u32_e32 v2, v2, v3
	v_lshl_add_u64 v[6:7], v[4:5], 2, s[8:9]
	v_ashrrev_i32_e32 v4, 5, v2
	v_min_i32_e32 v2, s21, v4
	v_ashrrev_i32_e32 v3, 31, v2
	v_lshl_add_u64 v[8:9], v[2:3], 2, s[8:9]
	v_add_u32_e32 v2, 1, v4
	v_min_i32_e32 v2, s21, v2
	v_ashrrev_i32_e32 v3, 31, v2
	v_lshl_add_u64 v[10:11], v[2:3], 2, s[8:9]
	global_load_dword v4, v[6:7], off
	global_load_dword v2, v[8:9], off
	;; [unrolled: 1-line block ×3, first 2 shown]
	s_load_dwordx4 s[8:11], s[0:1], 0x8
	s_andn2_b64 vcc, exec, s[18:19]
	s_cbranch_vccnz .LBB365_11
; %bb.9:
	s_add_u32 s16, s16, s28
	s_addc_u32 s17, s17, s29
	s_load_dword s21, s[16:17], 0x0
	s_branch .LBB365_12
.LBB365_10:
	s_mov_b64 s[8:9], 0
	s_branch .LBB365_2
.LBB365_11:
	s_mov_b32 s21, s2
.LBB365_12:
	s_load_dwordx4 s[16:19], s[0:1], 0x48
	v_cmp_gt_u32_e32 vcc, 2, v71
	s_mov_b32 s29, 0
	v_mov_b32_e32 v19, 0
	v_mov_b32_e32 v66, 0
	;; [unrolled: 1-line block ×5, first 2 shown]
	s_and_saveexec_b64 s[30:31], vcc
	s_cbranch_execz .LBB365_14
; %bb.13:
	s_load_dwordx2 s[34:35], s[0:1], 0x0
	s_waitcnt lgkmcnt(0)
	s_ashr_i32 s19, s16, 31
	s_mul_hi_u32 s28, s21, s16
	s_mul_i32 s19, s21, s19
	s_add_i32 s37, s28, s19
	s_mul_i32 s36, s21, s16
	s_lshl_b64 s[36:37], s[36:37], 1
	s_add_u32 s16, s34, s36
	s_addc_u32 s19, s35, s37
	s_lshl_b32 s28, s4, 8
	s_lshl_b64 s[34:35], s[28:29], 1
	v_lshlrev_b32_e32 v5, 2, v1
	s_add_u32 s34, s16, s34
	v_and_b32_e32 v5, 0xf0, v5
	s_addc_u32 s35, s19, s35
	v_lshl_or_b32 v5, v71, 8, v5
	global_load_dwordx4 v[66:69], v5, s[34:35]
.LBB365_14:
	s_or_b64 exec, exec, s[30:31]
	s_waitcnt lgkmcnt(0)
	s_mul_i32 s28, s4, s18
	s_lshl_b64 s[18:19], s[28:29], 1
	s_add_u32 s8, s18, s8
	s_waitcnt vmcnt(2)
	v_mad_i64_i32 v[4:5], s[30:31], v4, s17, 0
	s_addc_u32 s9, s19, s9
	v_lshl_add_u64 v[16:17], v[4:5], 1, s[8:9]
	v_and_b32_e32 v4, 31, v0
	v_lshlrev_b32_e32 v18, 4, v4
	v_lshl_add_u64 v[40:41], v[16:17], 0, v[18:19]
	global_load_dwordx4 v[4:7], v[40:41], off
	global_load_dwordx4 v[8:11], v[40:41], off offset:512
	global_load_dwordx4 v[12:15], v[40:41], off offset:1024
	;; [unrolled: 1-line block ×7, first 2 shown]
	v_mov_b32_e32 v41, v19
	v_or_b32_e32 v40, 0x1000, v18
	v_lshl_add_u64 v[40:41], v[16:17], 0, v[40:41]
	global_load_dwordx4 v[40:43], v[40:41], off
	v_mov_b32_e32 v45, v19
	v_or_b32_e32 v44, 0x1200, v18
	v_lshl_add_u64 v[44:45], v[16:17], 0, v[44:45]
	global_load_dwordx4 v[44:47], v[44:45], off
	;; [unrolled: 4-line block ×6, first 2 shown]
	v_or_b32_e32 v18, 0x1c00, v18
	v_lshl_add_u64 v[74:75], v[16:17], 0, v[18:19]
	global_load_dwordx4 v[74:77], v[74:75], off
	v_mov_b32_e32 v64, 0x1e00
	v_lshl_or_b32 v18, v0, 4, v64
	v_lshl_add_u64 v[16:17], v[16:17], 0, v[18:19]
	global_load_dwordx4 v[78:81], v[16:17], off
	s_waitcnt vmcnt(16)
	v_mul_hi_i32 v82, v3, s17
	v_mul_hi_i32 v73, v2, s17
	v_mov_b32_e32 v83, v19
	v_mov_b32_e32 v65, v19
	s_load_dword s0, s[0:1], 0x1c
	v_cmp_eq_u32_e32 vcc, 0, v71
	v_and_b32_e32 v88, -4, v72
	v_or_b32_e32 v72, 3, v72
	v_cndmask_b32_e64 v84, 0, 1.0, vcc
	v_cmp_eq_u32_e32 vcc, 1, v71
	v_lshlrev_b32_e32 v89, 2, v0
	s_waitcnt vmcnt(15)
	v_mfma_f32_4x4x4_16b_f16 a[0:3], v[66:67], v[4:5], 0 cbsz:4
	v_ashrrev_i32_e32 v4, 31, v82
	s_nop 0
	v_mfma_f32_4x4x4_16b_f16 a[0:3], v[68:69], v[6:7], a[0:3] cbsz:4
	v_lshrrev_b32_e32 v82, 29, v4
	v_ashrrev_i32_e32 v6, 31, v73
	s_waitcnt vmcnt(14)
	v_mfma_f32_4x4x4_16b_f16 a[0:3], v[66:67], v[8:9], a[0:3] cbsz:4 abid:1
	v_mad_i64_i32 v[4:5], s[8:9], v3, s17, v[82:83]
	s_nop 0
	v_mfma_f32_4x4x4_16b_f16 a[0:3], v[68:69], v[10:11], a[0:3] cbsz:4 abid:1
	s_add_u32 s8, s10, s18
	v_lshrrev_b32_e32 v18, 29, v6
	s_waitcnt vmcnt(13)
	v_mfma_f32_4x4x4_16b_f16 a[0:3], v[66:67], v[12:13], a[0:3] cbsz:4 abid:2
	s_addc_u32 s9, s11, s19
	v_mad_i64_i32 v[2:3], s[10:11], v2, s17, v[18:19]
	v_mfma_f32_4x4x4_16b_f16 a[0:3], v[68:69], v[14:15], a[0:3] cbsz:4 abid:2
	v_lshlrev_b64 v[4:5], 1, v[4:5]
	v_and_b32_e32 v4, -16, v4
	s_waitcnt vmcnt(12)
	v_mfma_f32_4x4x4_16b_f16 a[0:3], v[66:67], v[20:21], a[0:3] cbsz:4 abid:3
	v_lshlrev_b32_e32 v18, 6, v1
	v_lshl_add_u64 v[20:21], s[8:9], 0, v[4:5]
	v_mfma_f32_4x4x4_16b_f16 a[0:3], v[68:69], v[22:23], a[0:3] cbsz:4 abid:3
	v_lshlrev_b64 v[22:23], 1, v[2:3]
	v_and_b32_e32 v22, -16, v22
	s_waitcnt vmcnt(11)
	v_mfma_f32_4x4x4_16b_f16 a[0:3], v[66:67], v[24:25], a[0:3] cbsz:4 abid:4
	v_or_b32_e32 v64, 0x1000, v18
	v_lshl_add_u64 v[22:23], s[8:9], 0, v[22:23]
	v_mfma_f32_4x4x4_16b_f16 a[0:3], v[68:69], v[26:27], a[0:3] cbsz:4 abid:4
	v_lshl_add_u64 v[24:25], v[20:21], 0, v[18:19]
	v_lshl_add_u64 v[20:21], v[20:21], 0, v[64:65]
	s_waitcnt vmcnt(10)
	v_mfma_f32_4x4x4_16b_f16 a[0:3], v[66:67], v[28:29], a[0:3] cbsz:4 abid:5
	v_lshl_add_u64 v[82:83], v[22:23], 0, v[64:65]
	global_load_dwordx4 v[2:5], v[24:25], off
	global_load_dwordx4 v[6:9], v[24:25], off offset:16
	v_mfma_f32_4x4x4_16b_f16 a[0:3], v[68:69], v[30:31], a[0:3] cbsz:4 abid:5
	global_load_dwordx4 v[10:13], v[24:25], off offset:32
	global_load_dwordx4 v[14:17], v[24:25], off offset:48
	s_waitcnt vmcnt(13)
	v_mfma_f32_4x4x4_16b_f16 a[0:3], v[66:67], v[32:33], a[0:3] cbsz:4 abid:6
	v_cndmask_b32_e64 v85, 0, 1.0, vcc
	v_cmp_eq_u32_e32 vcc, 2, v71
	v_mfma_f32_4x4x4_16b_f16 a[0:3], v[68:69], v[34:35], a[0:3] cbsz:4 abid:6
	v_mov_b32_e32 v73, 0xff7fffff
	v_cndmask_b32_e64 v86, 0, 1.0, vcc
	s_waitcnt vmcnt(12)
	v_mfma_f32_4x4x4_16b_f16 a[0:3], v[66:67], v[36:37], a[0:3] cbsz:4 abid:7
	v_cmp_eq_u32_e32 vcc, 3, v71
	v_cmp_gt_i32_e64 s[10:11], s3, v72
	v_mfma_f32_4x4x4_16b_f16 a[0:3], v[68:69], v[38:39], a[0:3] cbsz:4 abid:7
	v_cndmask_b32_e64 v87, 0, 1.0, vcc
	v_cmp_gt_i32_e32 vcc, s3, v88
	s_waitcnt vmcnt(11)
	v_mfma_f32_4x4x4_16b_f16 a[0:3], v[66:67], v[40:41], a[0:3] cbsz:4 abid:8
	s_nop 1
	v_mfma_f32_4x4x4_16b_f16 a[0:3], v[68:69], v[42:43], a[0:3] cbsz:4 abid:8
	s_waitcnt vmcnt(10)
	s_nop 0
	v_mfma_f32_4x4x4_16b_f16 a[0:3], v[66:67], v[44:45], a[0:3] cbsz:4 abid:9
	s_nop 1
	v_mfma_f32_4x4x4_16b_f16 a[0:3], v[68:69], v[46:47], a[0:3] cbsz:4 abid:9
	s_waitcnt vmcnt(9)
	s_nop 0
	v_mfma_f32_4x4x4_16b_f16 a[0:3], v[66:67], v[48:49], a[0:3] cbsz:4 abid:10
	global_load_dwordx4 v[38:41], v[20:21], off
	global_load_dwordx4 v[46:49], v[20:21], off offset:16
	v_mfma_f32_4x4x4_16b_f16 a[0:3], v[68:69], v[50:51], a[0:3] cbsz:4 abid:10
	v_lshl_add_u64 v[50:51], v[22:23], 0, v[18:19]
	global_load_dwordx4 v[34:37], v[20:21], off offset:32
	global_load_dwordx4 v[42:45], v[20:21], off offset:48
	s_waitcnt vmcnt(12)
	v_mfma_f32_4x4x4_16b_f16 a[0:3], v[66:67], v[52:53], a[0:3] cbsz:4 abid:11
	global_load_dwordx4 v[30:33], v[50:51], off
	global_load_dwordx4 v[18:21], v[50:51], off offset:16
	v_mfma_f32_4x4x4_16b_f16 a[0:3], v[68:69], v[54:55], a[0:3] cbsz:4 abid:11
	global_load_dwordx4 v[22:25], v[50:51], off offset:32
	global_load_dwordx4 v[26:29], v[50:51], off offset:48
	s_waitcnt vmcnt(15)
	v_mfma_f32_4x4x4_16b_f16 a[0:3], v[66:67], v[56:57], a[0:3] cbsz:4 abid:12
	global_load_dwordx4 v[50:53], v[82:83], off
	global_load_dwordx4 v[54:57], v[82:83], off offset:16
	v_mfma_f32_4x4x4_16b_f16 a[0:3], v[68:69], v[58:59], a[0:3] cbsz:4 abid:12
	s_waitcnt vmcnt(16)
	s_nop 0
	v_mfma_f32_4x4x4_16b_f16 a[0:3], v[66:67], v[60:61], a[0:3] cbsz:4 abid:13
	s_nop 1
	v_mfma_f32_4x4x4_16b_f16 a[0:3], v[68:69], v[62:63], a[0:3] cbsz:4 abid:13
	global_load_dwordx4 v[58:61], v[82:83], off offset:32
	global_load_dwordx4 v[62:65], v[82:83], off offset:48
	s_waitcnt vmcnt(17)
	v_mfma_f32_4x4x4_16b_f16 a[0:3], v[66:67], v[74:75], a[0:3] cbsz:4 abid:14
	v_and_or_b32 v74, v89, 48, v71
	v_lshlrev_b32_e32 v74, 2, v74
	v_mfma_f32_4x4x4_16b_f16 a[0:3], v[68:69], v[76:77], a[0:3] cbsz:4 abid:14
	s_waitcnt vmcnt(16)
	s_nop 0
	v_mfma_f32_4x4x4_16b_f16 a[0:3], v[66:67], v[78:79], a[0:3] cbsz:4 abid:15
	s_nop 1
	v_mfma_f32_4x4x4_16b_f16 a[0:3], v[68:69], v[80:81], a[0:3] cbsz:4 abid:15
	s_nop 4
	v_accvgpr_read_b32 v67, a1
	v_accvgpr_read_b32 v66, a0
	s_waitcnt lgkmcnt(0)
	v_pk_mul_f32 v[66:67], s[0:1], v[66:67] op_sel_hi:[0,1]
	v_accvgpr_read_b32 v69, a3
	v_accvgpr_read_b32 v68, a2
	v_pk_mul_f32 v[68:69], s[0:1], v[68:69] op_sel_hi:[0,1]
	v_mfma_f32_4x4x1_16b_f32 a[0:3], v66, v84, 0
	v_or_b32_e32 v66, 1, v88
	s_nop 0
	v_mfma_f32_4x4x1_16b_f32 a[0:3], v67, v85, a[0:3]
	v_cmp_gt_i32_e64 s[0:1], s3, v66
	v_or_b32_e32 v67, 2, v88
	v_mfma_f32_4x4x1_16b_f32 a[0:3], v68, v86, a[0:3]
	v_cmp_gt_i32_e64 s[8:9], s3, v67
	s_nop 0
	v_mfma_f32_4x4x1_16b_f32 a[0:3], v69, v87, a[0:3]
	s_nop 3
	v_accvgpr_read_b32 v68, a0
	v_max_f32_e32 v77, v68, v68
	v_accvgpr_read_b32 v69, a1
	v_max_f32_e32 v77, 0xff7fffff, v77
	v_max_f32_e32 v78, v69, v69
	v_cndmask_b32_e32 v73, v73, v77, vcc
	v_accvgpr_read_b32 v75, a2
	v_max_f32_e32 v77, v73, v78
	v_max_f32_e32 v79, v75, v75
	v_cndmask_b32_e64 v66, v73, v77, s[0:1]
	v_accvgpr_read_b32 v76, a3
	v_max_f32_e32 v73, v66, v79
	v_max_f32_e32 v80, v76, v76
	v_cndmask_b32_e64 v66, v66, v73, s[8:9]
	v_max_f32_e32 v67, v66, v80
	v_cndmask_b32_e64 v66, v66, v67, s[10:11]
	;;#ASMSTART
	v_nop
 v_nop
 v_max_f32_dpp v66, v66, v66 row_ror:4
	;;#ASMEND
	s_nop 0
	;;#ASMSTART
	v_nop
 v_nop
 v_max_f32_dpp v66, v66, v66 row_ror:8
	;;#ASMEND
	ds_bpermute_b32 v66, v74, v66
	s_waitcnt lgkmcnt(0)
	;;#ASMSTART
	v_nop
 v_nop
 v_max_f32_dpp v66, v66, v66 row_ror:4
	;;#ASMEND
	s_nop 0
	;;#ASMSTART
	v_nop
 v_nop
 v_max_f32_dpp v72, v66, v66 row_ror:8
	;;#ASMEND
	s_nop 0
	v_sub_f32_e32 v66, v68, v72
	v_sub_f32_e32 v67, v69, v72
	;; [unrolled: 1-line block ×3, first 2 shown]
	v_mul_f32_e32 v66, 0x3fb8aa3b, v66
	v_mul_f32_e32 v67, 0x3fb8aa3b, v67
	;; [unrolled: 1-line block ×3, first 2 shown]
	v_exp_f32_e32 v66, v66
	v_sub_f32_e32 v69, v76, v72
	v_exp_f32_e32 v67, v67
	v_exp_f32_e32 v73, v68
	v_mul_f32_e32 v69, 0x3fb8aa3b, v69
	v_exp_f32_e32 v75, v69
	v_cndmask_b32_e32 v68, 0, v66, vcc
	v_cndmask_b32_e64 v69, 0, v67, s[0:1]
	v_cndmask_b32_e64 v66, 0, v73, s[8:9]
	v_add_f32_e32 v73, 0, v68
	v_add_f32_e32 v73, v73, v69
	v_cndmask_b32_e64 v67, 0, v75, s[10:11]
	v_add_f32_e32 v73, v73, v66
	v_add_f32_e32 v73, v73, v67
	;;#ASMSTART
	v_nop
 v_nop
 v_add_f32_dpp v73, v73, v73 row_ror:4
	;;#ASMEND
	v_cmp_gt_u32_e32 vcc, 4, v1
	;;#ASMSTART
	v_nop
 v_nop
 v_add_f32_dpp v73, v73, v73 row_ror:8
	;;#ASMEND
	ds_bpermute_b32 v73, v74, v73
	s_waitcnt lgkmcnt(0)
	;;#ASMSTART
	v_nop
 v_nop
 v_add_f32_dpp v73, v73, v73 row_ror:4
	;;#ASMEND
	s_nop 0
	;;#ASMSTART
	v_nop
 v_nop
 v_add_f32_dpp v73, v73, v73 row_ror:8
	;;#ASMEND
	s_and_saveexec_b64 s[0:1], vcc
	s_cbranch_execz .LBB365_16
; %bb.15:
	v_mul_u32_u24_e32 v74, 20, v70
	v_lshl_add_u32 v74, v71, 2, v74
	v_add_u32_e32 v74, 0x1400, v74
	ds_write2_b32 v74, v72, v73 offset1:20
.LBB365_16:
	s_or_b64 exec, exec, s[0:1]
.LBB365_17:
	s_or_b64 exec, exec, s[26:27]
	s_waitcnt lgkmcnt(0)
	s_barrier
	s_load_dword s0, s[24:25], 0x8
	v_lshlrev_b32_e32 v73, 2, v71
	v_add_u32_e32 v80, 0x1400, v73
	ds_read2_b32 v[74:75], v80 offset1:5
	ds_read2_b32 v[76:77], v80 offset0:10 offset1:15
	s_mul_i32 s1, s2, s5
	s_waitcnt lgkmcnt(0)
	s_mul_i32 s1, s1, s0
	s_lshl_b32 s0, s1, 1
	s_mov_b32 s1, 0xff7fffff
	v_max3_f32 v73, v74, s1, v75
	v_max3_f32 v73, v73, v76, v77
	v_sub_f32_e32 v74, v74, v73
	ds_read2_b32 v[78:79], v80 offset0:20 offset1:25
	v_mul_f32_e32 v74, 0x3fb8aa3b, v74
	v_sub_f32_e32 v75, v75, v73
	v_exp_f32_e32 v74, v74
	v_mul_f32_e32 v75, 0x3fb8aa3b, v75
	v_sub_f32_e32 v76, v76, v73
	v_exp_f32_e32 v75, v75
	ds_read2_b32 v[80:81], v80 offset0:30 offset1:35
	v_mul_f32_e32 v76, 0x3fb8aa3b, v76
	v_sub_f32_e32 v77, v77, v73
	v_exp_f32_e32 v76, v76
	v_mul_f32_e32 v77, 0x3fb8aa3b, v77
	v_exp_f32_e32 v77, v77
	s_waitcnt lgkmcnt(1)
	v_fma_f32 v74, v74, v78, 0
	v_fmac_f32_e32 v74, v75, v79
	s_waitcnt lgkmcnt(0)
	v_fmac_f32_e32 v74, v76, v80
	s_lshl_b32 s4, s4, 1
	v_fmac_f32_e32 v74, v77, v81
	v_cmp_gt_u32_e32 vcc, 2, v71
	s_and_saveexec_b64 s[2:3], vcc
	s_cbranch_execz .LBB365_19
; %bb.18:
	s_mov_b32 s1, 0
	s_lshl_b64 s[8:9], s[0:1], 2
	s_add_u32 s12, s12, s8
	s_mov_b32 s21, s1
	s_addc_u32 s13, s13, s9
	s_lshl_b64 s[10:11], s[20:21], 2
	s_add_u32 s12, s12, s10
	s_addc_u32 s13, s13, s11
	s_add_u32 s1, s14, s8
	s_addc_u32 s9, s15, s9
	v_or_b32_e32 v71, s4, v71
	s_add_u32 s8, s1, s10
	v_mul_lo_u32 v76, s5, v71
	v_mov_b32_e32 v77, 0
	s_addc_u32 s9, s9, s11
	v_lshlrev_b64 v[76:77], 2, v[76:77]
	v_lshl_add_u64 v[78:79], s[12:13], 0, v[76:77]
	v_lshl_add_u64 v[76:77], s[8:9], 0, v[76:77]
	global_store_dword v[76:77], v73, off
	global_store_dword v[78:79], v74, off
.LBB365_19:
	s_or_b64 exec, exec, s[2:3]
	v_lshlrev_b32_e32 v70, 3, v70
	s_and_saveexec_b64 s[2:3], s[6:7]
	s_xor_b64 s[2:3], exec, s[2:3]
	s_cbranch_execz .LBB365_21
; %bb.20:
	s_mov_b32 s6, 0
	s_mov_b32 s7, s6
	s_waitcnt vmcnt(15)
	v_mad_u32_u24 v4, v1, 40, v70
	v_mov_b64_e32 v[2:3], s[6:7]
	ds_write2st64_b64 v4, v[2:3], v[2:3] offset1:5
                                        ; implicit-def: $vgpr67
                                        ; implicit-def: $vgpr69
                                        ; implicit-def: $vgpr31
                                        ; implicit-def: $vgpr19
                                        ; implicit-def: $vgpr23
                                        ; implicit-def: $vgpr27
                                        ; implicit-def: $vgpr3
                                        ; implicit-def: $vgpr7
                                        ; implicit-def: $vgpr11
                                        ; implicit-def: $vgpr15
                                        ; implicit-def: $vgpr51
                                        ; implicit-def: $vgpr55
                                        ; implicit-def: $vgpr59
                                        ; implicit-def: $vgpr63
                                        ; implicit-def: $vgpr39
                                        ; implicit-def: $vgpr47
                                        ; implicit-def: $vgpr35
                                        ; implicit-def: $vgpr43
                                        ; implicit-def: $vgpr72
                                        ; implicit-def: $vgpr73
                                        ; implicit-def: $vgpr74
                                        ; implicit-def: $vgpr70
.LBB365_21:
	s_andn2_saveexec_b64 s[2:3], s[2:3]
	s_cbranch_execz .LBB365_23
; %bb.22:
	v_add_f32_e32 v71, 0x358637bd, v74
	v_div_scale_f32 v74, s[6:7], v71, v71, 1.0
	v_rcp_f32_e32 v75, v74
	v_sub_f32_e32 v72, v72, v73
	v_mul_f32_e32 v72, 0x3fb8aa3b, v72
	v_exp_f32_e32 v72, v72
	v_fma_f32 v73, -v74, v75, 1.0
	v_fmac_f32_e32 v75, v73, v75
	v_div_scale_f32 v73, vcc, 1.0, v71, 1.0
	v_mul_f32_e32 v76, v73, v75
	v_fma_f32 v77, -v74, v76, v73
	v_fmac_f32_e32 v76, v77, v75
	v_fma_f32 v73, -v74, v76, v73
	v_div_fmas_f32 v73, v73, v75, v76
	v_div_fixup_f32 v71, v73, v71, 1.0
	v_mul_f32_e32 v72, v72, v71
	v_pk_mul_f32 v[66:67], v[66:67], v[72:73] op_sel_hi:[1,0]
	v_pk_mul_f32 v[68:69], v[68:69], v[72:73] op_sel_hi:[1,0]
	v_cvt_f16_f32_e32 v71, v66
	v_cvt_f16_f32_e32 v68, v68
	;; [unrolled: 1-line block ×4, first 2 shown]
	v_pack_b32_f16 v66, v68, v69
	v_pack_b32_f16 v67, v71, v67
	s_waitcnt vmcnt(7)
	s_nop 0
	v_mfma_f32_4x4x4_16b_f16 a[0:3], v[66:67], v[30:31], 0 cbsz:4
	s_nop 1
	v_mfma_f32_4x4x4_16b_f16 a[0:3], v[66:67], v[32:33], a[0:3] cbsz:4 abid:1
	s_waitcnt vmcnt(3)
	v_mfma_f32_4x4x4_16b_f16 a[4:7], v[66:67], v[50:51], 0 cbsz:4
	v_mfma_f32_4x4x4_16b_f16 a[0:3], v[66:67], v[18:19], a[0:3] cbsz:4 abid:2
	s_nop 0
	v_mfma_f32_4x4x4_16b_f16 a[4:7], v[66:67], v[52:53], a[4:7] cbsz:4 abid:1
	v_mfma_f32_4x4x4_16b_f16 a[0:3], v[66:67], v[20:21], a[0:3] cbsz:4 abid:3
	s_waitcnt vmcnt(2)
	v_mfma_f32_4x4x4_16b_f16 a[4:7], v[66:67], v[54:55], a[4:7] cbsz:4 abid:2
	v_mfma_f32_4x4x4_16b_f16 a[0:3], v[66:67], v[22:23], a[0:3] cbsz:4 abid:4
	s_nop 0
	v_mfma_f32_4x4x4_16b_f16 a[4:7], v[66:67], v[56:57], a[4:7] cbsz:4 abid:3
	v_mfma_f32_4x4x4_16b_f16 a[0:3], v[66:67], v[24:25], a[0:3] cbsz:4 abid:5
	s_waitcnt vmcnt(1)
	v_mfma_f32_4x4x4_16b_f16 a[4:7], v[66:67], v[58:59], a[4:7] cbsz:4 abid:4
	;; [unrolled: 6-line block ×3, first 2 shown]
	v_mfma_f32_4x4x4_16b_f16 a[0:3], v[66:67], v[2:3], a[0:3] cbsz:4 abid:8
	s_nop 0
	v_mfma_f32_4x4x4_16b_f16 a[4:7], v[66:67], v[64:65], a[4:7] cbsz:4 abid:7
	v_mfma_f32_4x4x4_16b_f16 a[0:3], v[66:67], v[4:5], a[0:3] cbsz:4 abid:9
	s_nop 0
	v_mfma_f32_4x4x4_16b_f16 a[4:7], v[66:67], v[38:39], a[4:7] cbsz:4 abid:8
	;; [unrolled: 3-line block ×3, first 2 shown]
	v_mfma_f32_4x4x4_16b_f16 a[0:3], v[66:67], v[8:9], a[0:3] cbsz:4 abid:11
	v_mad_u32_u24 v9, v1, 40, v70
	v_mfma_f32_4x4x4_16b_f16 a[4:7], v[66:67], v[46:47], a[4:7] cbsz:4 abid:10
	v_mfma_f32_4x4x4_16b_f16 a[0:3], v[66:67], v[10:11], a[0:3] cbsz:4 abid:12
	s_nop 0
	v_mfma_f32_4x4x4_16b_f16 a[4:7], v[66:67], v[48:49], a[4:7] cbsz:4 abid:11
	v_mfma_f32_4x4x4_16b_f16 a[0:3], v[66:67], v[12:13], a[0:3] cbsz:4 abid:13
	s_nop 0
	;; [unrolled: 3-line block ×3, first 2 shown]
	v_mfma_f32_4x4x4_16b_f16 a[0:3], v[66:67], v[16:17], a[0:3] cbsz:4 abid:15
	s_nop 4
	v_accvgpr_read_b32 v2, a0
	v_accvgpr_read_b32 v3, a1
	;; [unrolled: 1-line block ×4, first 2 shown]
	v_mfma_f32_4x4x4_16b_f16 a[0:3], v[66:67], v[36:37], a[4:7] cbsz:4 abid:13
	v_cvt_f16_f32_e32 v2, v2
	v_cvt_f16_f32_e32 v3, v3
	v_mfma_f32_4x4x4_16b_f16 a[0:3], v[66:67], v[42:43], a[0:3] cbsz:4 abid:14
	v_pack_b32_f16 v2, v2, v3
	s_nop 0
	v_mfma_f32_4x4x4_16b_f16 a[0:3], v[66:67], v[44:45], a[0:3] cbsz:4 abid:15
	v_cvt_f16_f32_e32 v3, v4
	v_cvt_f16_f32_e32 v4, v5
	v_pack_b32_f16 v3, v3, v4
	s_nop 1
	v_accvgpr_read_b32 v5, a0
	v_accvgpr_read_b32 v6, a1
	;; [unrolled: 1-line block ×4, first 2 shown]
	v_cvt_f16_f32_e32 v5, v5
	v_cvt_f16_f32_e32 v6, v6
	;; [unrolled: 1-line block ×4, first 2 shown]
	v_pack_b32_f16 v4, v5, v6
	v_pack_b32_f16 v5, v7, v8
	ds_write2st64_b64 v9, v[2:3], v[4:5] offset1:5
.LBB365_23:
	s_or_b64 exec, exec, s[2:3]
	v_cmp_gt_u32_e32 vcc, 64, v0
	s_waitcnt lgkmcnt(0)
	s_barrier
	s_and_saveexec_b64 s[2:3], vcc
	s_cbranch_execz .LBB365_25
; %bb.24:
	s_waitcnt vmcnt(14)
	v_mul_u32_u24_e32 v6, 40, v1
	ds_read2_b64 v[2:5], v6 offset1:1
	s_mov_b32 s1, 0
	s_waitcnt lgkmcnt(0)
	v_mov_b32_e32 v3, 0xa00
	s_lshl_b32 s0, s0, 7
	ds_read2_b64 v[6:9], v6 offset0:2 offset1:3
	v_mad_u32_u24 v3, v1, 40, v3
	v_pk_add_f16 v2, v2, 0
	s_lshl_b64 s[2:3], s[0:1], 1
	s_waitcnt lgkmcnt(0)
	v_pk_add_f16 v7, v2, v4
	v_mov_b32_e32 v9, 0xa10
	ds_read2_b64 v[2:5], v3 offset1:1
	s_add_u32 s2, s22, s2
	v_mad_u32_u24 v1, v1, 40, v9
	s_waitcnt vmcnt(13)
	ds_read2_b64 v[10:13], v1 offset1:1
	s_addc_u32 s3, s23, s3
	s_lshl_b32 s0, s20, 7
	s_lshl_b64 s[0:1], s[0:1], 1
	s_add_u32 s0, s2, s0
	v_pk_add_f16 v1, v7, v6
	s_addc_u32 s1, s3, s1
	s_lshl_b32 s2, s5, 7
	v_pk_add_f16 v6, v1, v8
	s_waitcnt lgkmcnt(1)
	v_pk_add_f16 v1, v2, 0
	s_mul_i32 s3, s2, s4
	v_pk_add_f16 v1, v1, v4
	v_or_b32_e32 v2, s3, v0
	v_mov_b32_e32 v3, 0
	s_add_i32 s3, s3, s2
	s_waitcnt lgkmcnt(0)
	v_pk_add_f16 v1, v1, v10
	v_lshl_add_u64 v[4:5], v[2:3], 1, s[0:1]
	v_or_b32_e32 v2, s3, v0
	v_pk_add_f16 v7, v1, v12
	v_lshl_add_u64 v[0:1], v[2:3], 1, s[0:1]
	global_store_short v[4:5], v6, off
	global_store_short_d16_hi v[0:1], v6, off
	global_store_short v[4:5], v7, off offset:128
	global_store_short_d16_hi v[0:1], v7, off offset:128
.LBB365_25:
	s_endpgm
	.section	.rodata,"a",@progbits
	.p2align	6, 0x0
	.amdhsa_kernel _Z38paged_attention_ll4mi_QKV_mfma4_kernelIDF16_DF16_LN4vllm18Fp8KVCacheDataTypeE0EDF16_Li32ELi128ELi256ELb0ELi2EEvPKT_PKT0_S7_ifPKiS9_S9_iPKfiiiPfSC_PS2_PT2_iSB_SB_
		.amdhsa_group_segment_fixed_size 5280
		.amdhsa_private_segment_fixed_size 0
		.amdhsa_kernarg_size 400
		.amdhsa_user_sgpr_count 2
		.amdhsa_user_sgpr_dispatch_ptr 0
		.amdhsa_user_sgpr_queue_ptr 0
		.amdhsa_user_sgpr_kernarg_segment_ptr 1
		.amdhsa_user_sgpr_dispatch_id 0
		.amdhsa_user_sgpr_kernarg_preload_length 0
		.amdhsa_user_sgpr_kernarg_preload_offset 0
		.amdhsa_user_sgpr_private_segment_size 0
		.amdhsa_uses_dynamic_stack 0
		.amdhsa_enable_private_segment 0
		.amdhsa_system_sgpr_workgroup_id_x 1
		.amdhsa_system_sgpr_workgroup_id_y 1
		.amdhsa_system_sgpr_workgroup_id_z 1
		.amdhsa_system_sgpr_workgroup_info 0
		.amdhsa_system_vgpr_workitem_id 0
		.amdhsa_next_free_vgpr 100
		.amdhsa_next_free_sgpr 38
		.amdhsa_accum_offset 92
		.amdhsa_reserve_vcc 1
		.amdhsa_float_round_mode_32 0
		.amdhsa_float_round_mode_16_64 0
		.amdhsa_float_denorm_mode_32 3
		.amdhsa_float_denorm_mode_16_64 3
		.amdhsa_dx10_clamp 1
		.amdhsa_ieee_mode 1
		.amdhsa_fp16_overflow 0
		.amdhsa_tg_split 0
		.amdhsa_exception_fp_ieee_invalid_op 0
		.amdhsa_exception_fp_denorm_src 0
		.amdhsa_exception_fp_ieee_div_zero 0
		.amdhsa_exception_fp_ieee_overflow 0
		.amdhsa_exception_fp_ieee_underflow 0
		.amdhsa_exception_fp_ieee_inexact 0
		.amdhsa_exception_int_div_zero 0
	.end_amdhsa_kernel
	.section	.text._Z38paged_attention_ll4mi_QKV_mfma4_kernelIDF16_DF16_LN4vllm18Fp8KVCacheDataTypeE0EDF16_Li32ELi128ELi256ELb0ELi2EEvPKT_PKT0_S7_ifPKiS9_S9_iPKfiiiPfSC_PS2_PT2_iSB_SB_,"axG",@progbits,_Z38paged_attention_ll4mi_QKV_mfma4_kernelIDF16_DF16_LN4vllm18Fp8KVCacheDataTypeE0EDF16_Li32ELi128ELi256ELb0ELi2EEvPKT_PKT0_S7_ifPKiS9_S9_iPKfiiiPfSC_PS2_PT2_iSB_SB_,comdat
.Lfunc_end365:
	.size	_Z38paged_attention_ll4mi_QKV_mfma4_kernelIDF16_DF16_LN4vllm18Fp8KVCacheDataTypeE0EDF16_Li32ELi128ELi256ELb0ELi2EEvPKT_PKT0_S7_ifPKiS9_S9_iPKfiiiPfSC_PS2_PT2_iSB_SB_, .Lfunc_end365-_Z38paged_attention_ll4mi_QKV_mfma4_kernelIDF16_DF16_LN4vllm18Fp8KVCacheDataTypeE0EDF16_Li32ELi128ELi256ELb0ELi2EEvPKT_PKT0_S7_ifPKiS9_S9_iPKfiiiPfSC_PS2_PT2_iSB_SB_
                                        ; -- End function
	.section	.AMDGPU.csdata,"",@progbits
; Kernel info:
; codeLenInByte = 3768
; NumSgprs: 44
; NumVgprs: 90
; NumAgprs: 8
; TotalNumVgprs: 100
; ScratchSize: 0
; MemoryBound: 0
; FloatMode: 240
; IeeeMode: 1
; LDSByteSize: 5280 bytes/workgroup (compile time only)
; SGPRBlocks: 5
; VGPRBlocks: 12
; NumSGPRsForWavesPerEU: 44
; NumVGPRsForWavesPerEU: 100
; AccumOffset: 92
; Occupancy: 4
; WaveLimiterHint : 1
; COMPUTE_PGM_RSRC2:SCRATCH_EN: 0
; COMPUTE_PGM_RSRC2:USER_SGPR: 2
; COMPUTE_PGM_RSRC2:TRAP_HANDLER: 0
; COMPUTE_PGM_RSRC2:TGID_X_EN: 1
; COMPUTE_PGM_RSRC2:TGID_Y_EN: 1
; COMPUTE_PGM_RSRC2:TGID_Z_EN: 1
; COMPUTE_PGM_RSRC2:TIDIG_COMP_CNT: 0
; COMPUTE_PGM_RSRC3_GFX90A:ACCUM_OFFSET: 22
; COMPUTE_PGM_RSRC3_GFX90A:TG_SPLIT: 0
	.section	.text._Z38paged_attention_ll4mi_QKV_mfma4_kernelIDF16_DF16_LN4vllm18Fp8KVCacheDataTypeE0EDF16_Li32ELi128ELi256ELb0ELi3EEvPKT_PKT0_S7_ifPKiS9_S9_iPKfiiiPfSC_PS2_PT2_iSB_SB_,"axG",@progbits,_Z38paged_attention_ll4mi_QKV_mfma4_kernelIDF16_DF16_LN4vllm18Fp8KVCacheDataTypeE0EDF16_Li32ELi128ELi256ELb0ELi3EEvPKT_PKT0_S7_ifPKiS9_S9_iPKfiiiPfSC_PS2_PT2_iSB_SB_,comdat
	.protected	_Z38paged_attention_ll4mi_QKV_mfma4_kernelIDF16_DF16_LN4vllm18Fp8KVCacheDataTypeE0EDF16_Li32ELi128ELi256ELb0ELi3EEvPKT_PKT0_S7_ifPKiS9_S9_iPKfiiiPfSC_PS2_PT2_iSB_SB_ ; -- Begin function _Z38paged_attention_ll4mi_QKV_mfma4_kernelIDF16_DF16_LN4vllm18Fp8KVCacheDataTypeE0EDF16_Li32ELi128ELi256ELb0ELi3EEvPKT_PKT0_S7_ifPKiS9_S9_iPKfiiiPfSC_PS2_PT2_iSB_SB_
	.globl	_Z38paged_attention_ll4mi_QKV_mfma4_kernelIDF16_DF16_LN4vllm18Fp8KVCacheDataTypeE0EDF16_Li32ELi128ELi256ELb0ELi3EEvPKT_PKT0_S7_ifPKiS9_S9_iPKfiiiPfSC_PS2_PT2_iSB_SB_
	.p2align	8
	.type	_Z38paged_attention_ll4mi_QKV_mfma4_kernelIDF16_DF16_LN4vllm18Fp8KVCacheDataTypeE0EDF16_Li32ELi128ELi256ELb0ELi3EEvPKT_PKT0_S7_ifPKiS9_S9_iPKfiiiPfSC_PS2_PT2_iSB_SB_,@function
_Z38paged_attention_ll4mi_QKV_mfma4_kernelIDF16_DF16_LN4vllm18Fp8KVCacheDataTypeE0EDF16_Li32ELi128ELi256ELb0ELi3EEvPKT_PKT0_S7_ifPKiS9_S9_iPKfiiiPfSC_PS2_PT2_iSB_SB_: ; @_Z38paged_attention_ll4mi_QKV_mfma4_kernelIDF16_DF16_LN4vllm18Fp8KVCacheDataTypeE0EDF16_Li32ELi128ELi256ELb0ELi3EEvPKT_PKT0_S7_ifPKiS9_S9_iPKfiiiPfSC_PS2_PT2_iSB_SB_
; %bb.0:
	s_load_dwordx2 s[16:17], s[0:1], 0x30
	s_mov_b32 s20, s3
	s_mov_b64 s[6:7], 0
	s_waitcnt lgkmcnt(0)
	s_cmp_lg_u64 s[16:17], 0
	s_cselect_b64 s[18:19], -1, 0
	s_and_b64 vcc, exec, s[18:19]
	s_cbranch_vccz .LBB366_10
; %bb.1:
	s_add_i32 s8, s2, 1
	s_mov_b32 s9, 0
	s_lshl_b64 s[10:11], s[8:9], 2
	s_add_u32 s10, s16, s10
	s_mov_b32 s3, s9
	s_addc_u32 s11, s17, s11
	s_lshl_b64 s[8:9], s[2:3], 2
	s_add_u32 s8, s16, s8
	s_addc_u32 s9, s17, s9
	s_load_dword s5, s[10:11], 0x0
	s_load_dword s12, s[8:9], 0x0
	s_waitcnt lgkmcnt(0)
	s_sub_i32 s5, s5, s12
	s_cmp_eq_u32 s5, 1
	s_cselect_b64 s[8:9], -1, 0
	s_andn2_b64 vcc, exec, s[6:7]
	s_cbranch_vccnz .LBB366_3
.LBB366_2:
	s_mov_b32 s3, 0
	s_mov_b64 s[8:9], -1
.LBB366_3:
	s_andn2_b64 vcc, exec, s[8:9]
	s_cbranch_vccnz .LBB366_25
; %bb.4:
	s_load_dword s5, s[0:1], 0x9c
	s_load_dwordx2 s[6:7], s[0:1], 0x28
	s_add_u32 s24, s0, 0x90
	s_addc_u32 s25, s1, 0
	s_lshl_b64 s[28:29], s[2:3], 2
	s_waitcnt lgkmcnt(0)
	s_and_b32 s5, s5, 0xffff
	s_add_u32 s6, s6, s28
	s_addc_u32 s7, s7, s29
	s_load_dword s3, s[6:7], 0x0
	s_mul_i32 s10, s20, s5
	s_waitcnt lgkmcnt(0)
	s_cmp_ge_i32 s10, s3
	s_cbranch_scc1 .LBB366_25
; %bb.5:
	v_and_b32_e32 v1, 0xc0, v0
	v_add_u32_e32 v2, s10, v1
	v_lshrrev_b32_e32 v70, 6, v0
	v_cmp_le_i32_e64 s[6:7], s3, v2
                                        ; implicit-def: $sgpr21
                                        ; implicit-def: $sgpr11
	s_and_saveexec_b64 s[8:9], s[6:7]
	s_xor_b64 s[8:9], exec, s[8:9]
	s_cbranch_execz .LBB366_7
; %bb.6:
	v_mul_u32_u24_e32 v1, 20, v70
	v_or_b32_e32 v1, 0x1400, v1
	v_mov_b32_e32 v2, 0x1450
	v_mov_b32_e32 v3, 0xff7fffff
	v_mad_u32_u24 v2, v70, 20, v2
	ds_write2_b32 v1, v3, v3 offset1:1
	v_mov_b32_e32 v1, 0
	ds_write2_b32 v2, v1, v1 offset1:1
	v_mov_b32_e32 v2, 0x1408
	s_mov_b32 s11, 0xff7fffff
	s_mov_b32 s21, 0
	v_mad_u32_u24 v2, v70, 20, v2
	v_mov_b32_e32 v4, 0x1458
	v_mad_u32_u24 v4, v70, 20, v4
	ds_write2_b32 v2, v3, v3 offset1:1
	ds_write2_b32 v4, v1, v1 offset1:1
                                        ; implicit-def: $vgpr2
.LBB366_7:
	s_or_saveexec_b64 s[26:27], s[8:9]
	s_load_dwordx2 s[22:23], s[0:1], 0x68
	s_load_dwordx4 s[12:15], s[0:1], 0x58
	s_load_dword s5, s[24:25], 0x4
	v_and_b32_e32 v1, 63, v0
	v_and_b32_e32 v71, 3, v0
	v_mov_b32_e32 v67, s21
	v_mov_b32_e32 v72, s11
	v_mov_b32_e32 v66, s21
	v_mov_b32_e32 v69, s21
	v_mov_b32_e32 v68, s21
                                        ; implicit-def: $vgpr31
                                        ; implicit-def: $vgpr19
                                        ; implicit-def: $vgpr23
                                        ; implicit-def: $vgpr27
                                        ; implicit-def: $vgpr3
                                        ; implicit-def: $vgpr7
                                        ; implicit-def: $vgpr11
                                        ; implicit-def: $vgpr15
                                        ; implicit-def: $vgpr51
                                        ; implicit-def: $vgpr55
                                        ; implicit-def: $vgpr59
                                        ; implicit-def: $vgpr63
                                        ; implicit-def: $vgpr39
                                        ; implicit-def: $vgpr47
                                        ; implicit-def: $vgpr35
                                        ; implicit-def: $vgpr43
	s_xor_b64 exec, exec, s[26:27]
	s_cbranch_execz .LBB366_17
; %bb.8:
	s_add_i32 s21, s3, 31
	s_load_dwordx2 s[8:9], s[0:1], 0x20
	s_load_dword s11, s[0:1], 0x38
	s_ashr_i32 s30, s21, 31
	s_lshr_b32 s30, s30, 27
	v_add_u32_e32 v72, s10, v0
	s_add_i32 s21, s21, s30
	v_ashrrev_i32_e32 v3, 31, v72
	s_ashr_i32 s21, s21, 5
	v_lshrrev_b32_e32 v3, 27, v3
	s_add_i32 s21, s21, -1
	v_add_u32_e32 v3, v72, v3
	s_waitcnt lgkmcnt(0)
	s_mul_i32 s30, s2, s11
	s_mov_b32 s31, 0
	v_ashrrev_i32_e32 v3, 5, v3
	v_mov_b32_e32 v4, s21
	v_cmp_gt_i32_e32 vcc, s3, v72
	s_lshl_b64 s[30:31], s[30:31], 2
	s_add_u32 s8, s8, s30
	v_cndmask_b32_e32 v4, v4, v3, vcc
	v_ashrrev_i32_e32 v3, 31, v2
	v_lshrrev_b32_e32 v3, 27, v3
	s_addc_u32 s9, s9, s31
	v_ashrrev_i32_e32 v5, 31, v4
	v_add_u32_e32 v2, v2, v3
	v_lshl_add_u64 v[6:7], v[4:5], 2, s[8:9]
	v_ashrrev_i32_e32 v4, 5, v2
	v_min_i32_e32 v2, s21, v4
	v_ashrrev_i32_e32 v3, 31, v2
	v_lshl_add_u64 v[8:9], v[2:3], 2, s[8:9]
	v_add_u32_e32 v2, 1, v4
	v_min_i32_e32 v2, s21, v2
	v_ashrrev_i32_e32 v3, 31, v2
	v_lshl_add_u64 v[10:11], v[2:3], 2, s[8:9]
	global_load_dword v4, v[6:7], off
	global_load_dword v2, v[8:9], off
	;; [unrolled: 1-line block ×3, first 2 shown]
	s_load_dwordx4 s[8:11], s[0:1], 0x8
	s_andn2_b64 vcc, exec, s[18:19]
	s_cbranch_vccnz .LBB366_11
; %bb.9:
	s_add_u32 s16, s16, s28
	s_addc_u32 s17, s17, s29
	s_load_dword s21, s[16:17], 0x0
	s_branch .LBB366_12
.LBB366_10:
	s_mov_b64 s[8:9], 0
	s_branch .LBB366_2
.LBB366_11:
	s_mov_b32 s21, s2
.LBB366_12:
	s_load_dwordx4 s[16:19], s[0:1], 0x48
	v_cmp_ne_u32_e32 vcc, 3, v71
	s_mov_b32 s29, 0
	v_mov_b32_e32 v73, 1.0
	v_mov_b32_e32 v19, 0
	v_mov_b32_e32 v66, 0
	;; [unrolled: 1-line block ×5, first 2 shown]
	s_and_saveexec_b64 s[30:31], vcc
	s_cbranch_execz .LBB366_14
; %bb.13:
	s_load_dwordx2 s[34:35], s[0:1], 0x0
	s_waitcnt lgkmcnt(0)
	s_ashr_i32 s19, s16, 31
	s_mul_hi_u32 s28, s21, s16
	s_mul_i32 s19, s21, s19
	s_add_i32 s37, s28, s19
	s_mul_i32 s36, s21, s16
	s_lshl_b64 s[36:37], s[36:37], 1
	s_add_u32 s16, s34, s36
	s_mul_i32 s28, s4, 0x180
	s_addc_u32 s19, s35, s37
	s_lshl_b64 s[34:35], s[28:29], 1
	v_lshlrev_b32_e32 v5, 2, v1
	s_add_u32 s34, s16, s34
	v_and_b32_e32 v5, 0xf0, v5
	s_addc_u32 s35, s19, s35
	v_lshl_or_b32 v5, v71, 8, v5
	global_load_dwordx4 v[66:69], v5, s[34:35]
	v_mov_b32_e32 v73, 0
.LBB366_14:
	s_or_b64 exec, exec, s[30:31]
	s_waitcnt lgkmcnt(0)
	s_mul_i32 s28, s4, s18
	s_lshl_b64 s[18:19], s[28:29], 1
	s_add_u32 s8, s18, s8
	s_waitcnt vmcnt(2)
	v_mad_i64_i32 v[4:5], s[30:31], v4, s17, 0
	s_addc_u32 s9, s19, s9
	v_lshl_add_u64 v[16:17], v[4:5], 1, s[8:9]
	v_and_b32_e32 v4, 31, v0
	v_lshlrev_b32_e32 v18, 4, v4
	v_lshl_add_u64 v[40:41], v[16:17], 0, v[18:19]
	global_load_dwordx4 v[4:7], v[40:41], off
	global_load_dwordx4 v[8:11], v[40:41], off offset:512
	global_load_dwordx4 v[12:15], v[40:41], off offset:1024
	;; [unrolled: 1-line block ×7, first 2 shown]
	v_mov_b32_e32 v41, v19
	v_or_b32_e32 v40, 0x1000, v18
	v_lshl_add_u64 v[40:41], v[16:17], 0, v[40:41]
	global_load_dwordx4 v[40:43], v[40:41], off
	v_mov_b32_e32 v45, v19
	v_or_b32_e32 v44, 0x1200, v18
	v_lshl_add_u64 v[44:45], v[16:17], 0, v[44:45]
	global_load_dwordx4 v[44:47], v[44:45], off
	;; [unrolled: 4-line block ×6, first 2 shown]
	v_or_b32_e32 v18, 0x1c00, v18
	v_lshl_add_u64 v[64:65], v[16:17], 0, v[18:19]
	global_load_dwordx4 v[74:77], v[64:65], off
	v_mov_b32_e32 v78, 0x1e00
	v_lshl_or_b32 v18, v0, 4, v78
	v_lshl_add_u64 v[16:17], v[16:17], 0, v[18:19]
	global_load_dwordx4 v[78:81], v[16:17], off
	s_waitcnt vmcnt(16)
	v_mul_hi_i32 v16, v3, s17
	v_mul_hi_i32 v64, v2, s17
	v_mov_b32_e32 v17, v19
	v_mov_b32_e32 v65, v19
	s_load_dword s0, s[0:1], 0x1c
	v_cmp_eq_u32_e32 vcc, 0, v71
	v_and_b32_e32 v87, -4, v72
	v_or_b32_e32 v72, 3, v72
	v_cndmask_b32_e64 v84, 0, 1.0, vcc
	v_cmp_eq_u32_e32 vcc, 1, v71
	v_lshlrev_b32_e32 v88, 2, v0
	s_waitcnt vmcnt(15)
	v_mfma_f32_4x4x4_16b_f16 a[0:3], v[66:67], v[4:5], 0 cbsz:4
	v_ashrrev_i32_e32 v4, 31, v16
	s_nop 0
	v_mfma_f32_4x4x4_16b_f16 a[0:3], v[68:69], v[6:7], a[0:3] cbsz:4
	v_lshrrev_b32_e32 v16, 29, v4
	v_ashrrev_i32_e32 v6, 31, v64
	s_waitcnt vmcnt(14)
	v_mfma_f32_4x4x4_16b_f16 a[0:3], v[66:67], v[8:9], a[0:3] cbsz:4 abid:1
	v_mad_i64_i32 v[4:5], s[8:9], v3, s17, v[16:17]
	s_nop 0
	v_mfma_f32_4x4x4_16b_f16 a[0:3], v[68:69], v[10:11], a[0:3] cbsz:4 abid:1
	s_add_u32 s8, s10, s18
	v_lshrrev_b32_e32 v18, 29, v6
	s_waitcnt vmcnt(13)
	v_mfma_f32_4x4x4_16b_f16 a[0:3], v[66:67], v[12:13], a[0:3] cbsz:4 abid:2
	s_addc_u32 s9, s11, s19
	v_mad_i64_i32 v[2:3], s[10:11], v2, s17, v[18:19]
	v_mfma_f32_4x4x4_16b_f16 a[0:3], v[68:69], v[14:15], a[0:3] cbsz:4 abid:2
	v_lshlrev_b64 v[4:5], 1, v[4:5]
	v_and_b32_e32 v4, -16, v4
	s_waitcnt vmcnt(12)
	v_mfma_f32_4x4x4_16b_f16 a[0:3], v[66:67], v[20:21], a[0:3] cbsz:4 abid:3
	v_lshlrev_b32_e32 v18, 6, v1
	v_lshl_add_u64 v[20:21], s[8:9], 0, v[4:5]
	v_mfma_f32_4x4x4_16b_f16 a[0:3], v[68:69], v[22:23], a[0:3] cbsz:4 abid:3
	v_lshlrev_b64 v[22:23], 1, v[2:3]
	v_and_b32_e32 v22, -16, v22
	s_waitcnt vmcnt(11)
	v_mfma_f32_4x4x4_16b_f16 a[0:3], v[66:67], v[24:25], a[0:3] cbsz:4 abid:4
	v_or_b32_e32 v64, 0x1000, v18
	v_lshl_add_u64 v[22:23], s[8:9], 0, v[22:23]
	v_mfma_f32_4x4x4_16b_f16 a[0:3], v[68:69], v[26:27], a[0:3] cbsz:4 abid:4
	v_lshl_add_u64 v[24:25], v[20:21], 0, v[18:19]
	v_lshl_add_u64 v[20:21], v[20:21], 0, v[64:65]
	s_waitcnt vmcnt(10)
	v_mfma_f32_4x4x4_16b_f16 a[0:3], v[66:67], v[28:29], a[0:3] cbsz:4 abid:5
	v_lshl_add_u64 v[82:83], v[22:23], 0, v[64:65]
	global_load_dwordx4 v[2:5], v[24:25], off
	global_load_dwordx4 v[6:9], v[24:25], off offset:16
	v_mfma_f32_4x4x4_16b_f16 a[0:3], v[68:69], v[30:31], a[0:3] cbsz:4 abid:5
	global_load_dwordx4 v[10:13], v[24:25], off offset:32
	global_load_dwordx4 v[14:17], v[24:25], off offset:48
	s_waitcnt vmcnt(13)
	v_mfma_f32_4x4x4_16b_f16 a[0:3], v[66:67], v[32:33], a[0:3] cbsz:4 abid:6
	v_cndmask_b32_e64 v85, 0, 1.0, vcc
	v_cmp_eq_u32_e32 vcc, 2, v71
	v_mfma_f32_4x4x4_16b_f16 a[0:3], v[68:69], v[34:35], a[0:3] cbsz:4 abid:6
	v_cmp_gt_i32_e64 s[10:11], s3, v72
	v_cndmask_b32_e64 v86, 0, 1.0, vcc
	s_waitcnt vmcnt(12)
	v_mfma_f32_4x4x4_16b_f16 a[0:3], v[66:67], v[36:37], a[0:3] cbsz:4 abid:7
	v_cmp_gt_i32_e32 vcc, s3, v87
	s_nop 0
	v_mfma_f32_4x4x4_16b_f16 a[0:3], v[68:69], v[38:39], a[0:3] cbsz:4 abid:7
	s_waitcnt vmcnt(11)
	s_nop 0
	v_mfma_f32_4x4x4_16b_f16 a[0:3], v[66:67], v[40:41], a[0:3] cbsz:4 abid:8
	s_nop 1
	v_mfma_f32_4x4x4_16b_f16 a[0:3], v[68:69], v[42:43], a[0:3] cbsz:4 abid:8
	s_waitcnt vmcnt(10)
	s_nop 0
	v_mfma_f32_4x4x4_16b_f16 a[0:3], v[66:67], v[44:45], a[0:3] cbsz:4 abid:9
	;; [unrolled: 5-line block ×3, first 2 shown]
	global_load_dwordx4 v[38:41], v[20:21], off
	global_load_dwordx4 v[46:49], v[20:21], off offset:16
	v_mfma_f32_4x4x4_16b_f16 a[0:3], v[68:69], v[50:51], a[0:3] cbsz:4 abid:10
	v_lshl_add_u64 v[50:51], v[22:23], 0, v[18:19]
	global_load_dwordx4 v[34:37], v[20:21], off offset:32
	global_load_dwordx4 v[42:45], v[20:21], off offset:48
	s_waitcnt vmcnt(12)
	v_mfma_f32_4x4x4_16b_f16 a[0:3], v[66:67], v[52:53], a[0:3] cbsz:4 abid:11
	global_load_dwordx4 v[30:33], v[50:51], off
	global_load_dwordx4 v[18:21], v[50:51], off offset:16
	v_mfma_f32_4x4x4_16b_f16 a[0:3], v[68:69], v[54:55], a[0:3] cbsz:4 abid:11
	global_load_dwordx4 v[22:25], v[50:51], off offset:32
	global_load_dwordx4 v[26:29], v[50:51], off offset:48
	s_waitcnt vmcnt(15)
	v_mfma_f32_4x4x4_16b_f16 a[0:3], v[66:67], v[56:57], a[0:3] cbsz:4 abid:12
	global_load_dwordx4 v[50:53], v[82:83], off
	global_load_dwordx4 v[54:57], v[82:83], off offset:16
	v_mfma_f32_4x4x4_16b_f16 a[0:3], v[68:69], v[58:59], a[0:3] cbsz:4 abid:12
	s_waitcnt vmcnt(16)
	s_nop 0
	v_mfma_f32_4x4x4_16b_f16 a[0:3], v[66:67], v[60:61], a[0:3] cbsz:4 abid:13
	s_nop 1
	v_mfma_f32_4x4x4_16b_f16 a[0:3], v[68:69], v[62:63], a[0:3] cbsz:4 abid:13
	global_load_dwordx4 v[58:61], v[82:83], off offset:32
	global_load_dwordx4 v[62:65], v[82:83], off offset:48
	s_waitcnt vmcnt(17)
	v_mfma_f32_4x4x4_16b_f16 a[0:3], v[66:67], v[74:75], a[0:3] cbsz:4 abid:14
	v_mov_b32_e32 v74, 0xff7fffff
	v_and_or_b32 v75, v88, 48, v71
	v_mfma_f32_4x4x4_16b_f16 a[0:3], v[68:69], v[76:77], a[0:3] cbsz:4 abid:14
	v_lshlrev_b32_e32 v75, 2, v75
	s_waitcnt vmcnt(16)
	v_mfma_f32_4x4x4_16b_f16 a[0:3], v[66:67], v[78:79], a[0:3] cbsz:4 abid:15
	s_nop 1
	v_mfma_f32_4x4x4_16b_f16 a[0:3], v[68:69], v[80:81], a[0:3] cbsz:4 abid:15
	s_nop 4
	v_accvgpr_read_b32 v67, a1
	v_accvgpr_read_b32 v66, a0
	s_waitcnt lgkmcnt(0)
	v_pk_mul_f32 v[66:67], s[0:1], v[66:67] op_sel_hi:[0,1]
	v_accvgpr_read_b32 v69, a3
	v_accvgpr_read_b32 v68, a2
	v_pk_mul_f32 v[68:69], s[0:1], v[68:69] op_sel_hi:[0,1]
	v_mfma_f32_4x4x1_16b_f32 a[0:3], v66, v84, 0
	v_or_b32_e32 v66, 1, v87
	s_nop 0
	v_mfma_f32_4x4x1_16b_f32 a[0:3], v67, v85, a[0:3]
	v_cmp_gt_i32_e64 s[0:1], s3, v66
	v_or_b32_e32 v67, 2, v87
	v_mfma_f32_4x4x1_16b_f32 a[0:3], v68, v86, a[0:3]
	v_cmp_gt_i32_e64 s[8:9], s3, v67
	s_nop 0
	v_mfma_f32_4x4x1_16b_f32 a[0:3], v69, v73, a[0:3]
	s_nop 3
	v_accvgpr_read_b32 v68, a0
	v_max_f32_e32 v77, v68, v68
	v_accvgpr_read_b32 v69, a1
	v_max_f32_e32 v77, 0xff7fffff, v77
	v_max_f32_e32 v78, v69, v69
	v_cndmask_b32_e32 v74, v74, v77, vcc
	v_accvgpr_read_b32 v73, a2
	v_max_f32_e32 v77, v74, v78
	v_max_f32_e32 v79, v73, v73
	v_cndmask_b32_e64 v66, v74, v77, s[0:1]
	v_accvgpr_read_b32 v76, a3
	v_max_f32_e32 v74, v66, v79
	v_max_f32_e32 v80, v76, v76
	v_cndmask_b32_e64 v66, v66, v74, s[8:9]
	v_max_f32_e32 v67, v66, v80
	v_cndmask_b32_e64 v66, v66, v67, s[10:11]
	;;#ASMSTART
	v_nop
 v_nop
 v_max_f32_dpp v66, v66, v66 row_ror:4
	;;#ASMEND
	s_nop 0
	;;#ASMSTART
	v_nop
 v_nop
 v_max_f32_dpp v66, v66, v66 row_ror:8
	;;#ASMEND
	ds_bpermute_b32 v66, v75, v66
	s_waitcnt lgkmcnt(0)
	;;#ASMSTART
	v_nop
 v_nop
 v_max_f32_dpp v66, v66, v66 row_ror:4
	;;#ASMEND
	s_nop 0
	;;#ASMSTART
	v_nop
 v_nop
 v_max_f32_dpp v72, v66, v66 row_ror:8
	;;#ASMEND
	s_nop 0
	v_sub_f32_e32 v66, v68, v72
	v_sub_f32_e32 v67, v69, v72
	;; [unrolled: 1-line block ×3, first 2 shown]
	v_mul_f32_e32 v66, 0x3fb8aa3b, v66
	v_mul_f32_e32 v67, 0x3fb8aa3b, v67
	;; [unrolled: 1-line block ×3, first 2 shown]
	v_exp_f32_e32 v66, v66
	v_sub_f32_e32 v69, v76, v72
	v_exp_f32_e32 v67, v67
	v_exp_f32_e32 v73, v68
	v_mul_f32_e32 v69, 0x3fb8aa3b, v69
	v_exp_f32_e32 v74, v69
	v_cndmask_b32_e32 v68, 0, v66, vcc
	v_cndmask_b32_e64 v69, 0, v67, s[0:1]
	v_cndmask_b32_e64 v66, 0, v73, s[8:9]
	v_add_f32_e32 v73, 0, v68
	v_add_f32_e32 v73, v73, v69
	v_cndmask_b32_e64 v67, 0, v74, s[10:11]
	v_add_f32_e32 v73, v73, v66
	v_add_f32_e32 v73, v73, v67
	;;#ASMSTART
	v_nop
 v_nop
 v_add_f32_dpp v73, v73, v73 row_ror:4
	;;#ASMEND
	v_cmp_gt_u32_e32 vcc, 4, v1
	;;#ASMSTART
	v_nop
 v_nop
 v_add_f32_dpp v73, v73, v73 row_ror:8
	;;#ASMEND
	ds_bpermute_b32 v73, v75, v73
	s_waitcnt lgkmcnt(0)
	;;#ASMSTART
	v_nop
 v_nop
 v_add_f32_dpp v73, v73, v73 row_ror:4
	;;#ASMEND
	s_nop 0
	;;#ASMSTART
	v_nop
 v_nop
 v_add_f32_dpp v73, v73, v73 row_ror:8
	;;#ASMEND
	s_and_saveexec_b64 s[0:1], vcc
	s_cbranch_execz .LBB366_16
; %bb.15:
	v_mul_u32_u24_e32 v74, 20, v70
	v_lshl_add_u32 v74, v71, 2, v74
	v_add_u32_e32 v74, 0x1400, v74
	ds_write2_b32 v74, v72, v73 offset1:20
.LBB366_16:
	s_or_b64 exec, exec, s[0:1]
.LBB366_17:
	s_or_b64 exec, exec, s[26:27]
	s_waitcnt lgkmcnt(0)
	s_barrier
	s_load_dword s0, s[24:25], 0x8
	v_lshlrev_b32_e32 v73, 2, v71
	v_add_u32_e32 v80, 0x1400, v73
	ds_read2_b32 v[74:75], v80 offset1:5
	ds_read2_b32 v[76:77], v80 offset0:10 offset1:15
	s_mul_i32 s1, s2, s5
	s_waitcnt lgkmcnt(0)
	s_mul_i32 s0, s1, s0
	s_mov_b32 s1, 0xff7fffff
	v_max3_f32 v73, v74, s1, v75
	v_max3_f32 v73, v73, v76, v77
	v_sub_f32_e32 v74, v74, v73
	ds_read2_b32 v[78:79], v80 offset0:20 offset1:25
	v_mul_f32_e32 v74, 0x3fb8aa3b, v74
	v_sub_f32_e32 v75, v75, v73
	v_exp_f32_e32 v74, v74
	v_mul_f32_e32 v75, 0x3fb8aa3b, v75
	v_sub_f32_e32 v76, v76, v73
	v_exp_f32_e32 v75, v75
	ds_read2_b32 v[80:81], v80 offset0:30 offset1:35
	v_mul_f32_e32 v76, 0x3fb8aa3b, v76
	v_sub_f32_e32 v77, v77, v73
	v_exp_f32_e32 v76, v76
	v_mul_f32_e32 v77, 0x3fb8aa3b, v77
	v_exp_f32_e32 v77, v77
	s_waitcnt lgkmcnt(1)
	v_fma_f32 v74, v74, v78, 0
	v_fmac_f32_e32 v74, v75, v79
	s_waitcnt lgkmcnt(0)
	v_fmac_f32_e32 v74, v76, v80
	s_mul_i32 s4, s4, 3
	s_mul_i32 s0, s0, 3
	v_fmac_f32_e32 v74, v77, v81
	v_cmp_ne_u32_e32 vcc, 3, v71
	s_and_saveexec_b64 s[2:3], vcc
	s_cbranch_execz .LBB366_19
; %bb.18:
	s_mov_b32 s1, 0
	s_lshl_b64 s[8:9], s[0:1], 2
	s_add_u32 s12, s12, s8
	s_mov_b32 s21, s1
	s_addc_u32 s13, s13, s9
	s_lshl_b64 s[10:11], s[20:21], 2
	s_add_u32 s12, s12, s10
	s_addc_u32 s13, s13, s11
	s_add_u32 s1, s14, s8
	s_addc_u32 s9, s15, s9
	v_add_u32_e32 v71, s4, v71
	s_add_u32 s8, s1, s10
	v_mul_lo_u32 v76, s5, v71
	v_mov_b32_e32 v77, 0
	s_addc_u32 s9, s9, s11
	v_lshlrev_b64 v[76:77], 2, v[76:77]
	v_lshl_add_u64 v[78:79], s[12:13], 0, v[76:77]
	v_lshl_add_u64 v[76:77], s[8:9], 0, v[76:77]
	global_store_dword v[76:77], v73, off
	global_store_dword v[78:79], v74, off
.LBB366_19:
	s_or_b64 exec, exec, s[2:3]
	v_lshlrev_b32_e32 v70, 3, v70
	s_and_saveexec_b64 s[2:3], s[6:7]
	s_xor_b64 s[2:3], exec, s[2:3]
	s_cbranch_execz .LBB366_21
; %bb.20:
	s_mov_b32 s6, 0
	s_mov_b32 s7, s6
	s_waitcnt vmcnt(15)
	v_mad_u32_u24 v4, v1, 40, v70
	v_mov_b64_e32 v[2:3], s[6:7]
	ds_write2st64_b64 v4, v[2:3], v[2:3] offset1:5
                                        ; implicit-def: $vgpr67
                                        ; implicit-def: $vgpr69
                                        ; implicit-def: $vgpr31
                                        ; implicit-def: $vgpr19
                                        ; implicit-def: $vgpr23
                                        ; implicit-def: $vgpr27
                                        ; implicit-def: $vgpr3
                                        ; implicit-def: $vgpr7
                                        ; implicit-def: $vgpr11
                                        ; implicit-def: $vgpr15
                                        ; implicit-def: $vgpr51
                                        ; implicit-def: $vgpr55
                                        ; implicit-def: $vgpr59
                                        ; implicit-def: $vgpr63
                                        ; implicit-def: $vgpr39
                                        ; implicit-def: $vgpr47
                                        ; implicit-def: $vgpr35
                                        ; implicit-def: $vgpr43
                                        ; implicit-def: $vgpr72
                                        ; implicit-def: $vgpr73
                                        ; implicit-def: $vgpr74
                                        ; implicit-def: $vgpr70
.LBB366_21:
	s_andn2_saveexec_b64 s[2:3], s[2:3]
	s_cbranch_execz .LBB366_23
; %bb.22:
	v_add_f32_e32 v71, 0x358637bd, v74
	v_div_scale_f32 v74, s[6:7], v71, v71, 1.0
	v_rcp_f32_e32 v75, v74
	v_sub_f32_e32 v72, v72, v73
	v_mul_f32_e32 v72, 0x3fb8aa3b, v72
	v_exp_f32_e32 v72, v72
	v_fma_f32 v73, -v74, v75, 1.0
	v_fmac_f32_e32 v75, v73, v75
	v_div_scale_f32 v73, vcc, 1.0, v71, 1.0
	v_mul_f32_e32 v76, v73, v75
	v_fma_f32 v77, -v74, v76, v73
	v_fmac_f32_e32 v76, v77, v75
	v_fma_f32 v73, -v74, v76, v73
	v_div_fmas_f32 v73, v73, v75, v76
	v_div_fixup_f32 v71, v73, v71, 1.0
	v_mul_f32_e32 v72, v72, v71
	v_pk_mul_f32 v[66:67], v[66:67], v[72:73] op_sel_hi:[1,0]
	v_pk_mul_f32 v[68:69], v[68:69], v[72:73] op_sel_hi:[1,0]
	v_cvt_f16_f32_e32 v71, v66
	v_cvt_f16_f32_e32 v68, v68
	;; [unrolled: 1-line block ×4, first 2 shown]
	v_pack_b32_f16 v66, v68, v69
	v_pack_b32_f16 v67, v71, v67
	s_waitcnt vmcnt(7)
	s_nop 0
	v_mfma_f32_4x4x4_16b_f16 a[0:3], v[66:67], v[30:31], 0 cbsz:4
	s_nop 1
	v_mfma_f32_4x4x4_16b_f16 a[0:3], v[66:67], v[32:33], a[0:3] cbsz:4 abid:1
	s_waitcnt vmcnt(3)
	v_mfma_f32_4x4x4_16b_f16 a[4:7], v[66:67], v[50:51], 0 cbsz:4
	v_mfma_f32_4x4x4_16b_f16 a[0:3], v[66:67], v[18:19], a[0:3] cbsz:4 abid:2
	s_nop 0
	v_mfma_f32_4x4x4_16b_f16 a[4:7], v[66:67], v[52:53], a[4:7] cbsz:4 abid:1
	v_mfma_f32_4x4x4_16b_f16 a[0:3], v[66:67], v[20:21], a[0:3] cbsz:4 abid:3
	s_waitcnt vmcnt(2)
	v_mfma_f32_4x4x4_16b_f16 a[4:7], v[66:67], v[54:55], a[4:7] cbsz:4 abid:2
	v_mfma_f32_4x4x4_16b_f16 a[0:3], v[66:67], v[22:23], a[0:3] cbsz:4 abid:4
	s_nop 0
	v_mfma_f32_4x4x4_16b_f16 a[4:7], v[66:67], v[56:57], a[4:7] cbsz:4 abid:3
	v_mfma_f32_4x4x4_16b_f16 a[0:3], v[66:67], v[24:25], a[0:3] cbsz:4 abid:5
	s_waitcnt vmcnt(1)
	v_mfma_f32_4x4x4_16b_f16 a[4:7], v[66:67], v[58:59], a[4:7] cbsz:4 abid:4
	;; [unrolled: 6-line block ×3, first 2 shown]
	v_mfma_f32_4x4x4_16b_f16 a[0:3], v[66:67], v[2:3], a[0:3] cbsz:4 abid:8
	s_nop 0
	v_mfma_f32_4x4x4_16b_f16 a[4:7], v[66:67], v[64:65], a[4:7] cbsz:4 abid:7
	v_mfma_f32_4x4x4_16b_f16 a[0:3], v[66:67], v[4:5], a[0:3] cbsz:4 abid:9
	s_nop 0
	v_mfma_f32_4x4x4_16b_f16 a[4:7], v[66:67], v[38:39], a[4:7] cbsz:4 abid:8
	;; [unrolled: 3-line block ×3, first 2 shown]
	v_mfma_f32_4x4x4_16b_f16 a[0:3], v[66:67], v[8:9], a[0:3] cbsz:4 abid:11
	v_mad_u32_u24 v9, v1, 40, v70
	v_mfma_f32_4x4x4_16b_f16 a[4:7], v[66:67], v[46:47], a[4:7] cbsz:4 abid:10
	v_mfma_f32_4x4x4_16b_f16 a[0:3], v[66:67], v[10:11], a[0:3] cbsz:4 abid:12
	s_nop 0
	v_mfma_f32_4x4x4_16b_f16 a[4:7], v[66:67], v[48:49], a[4:7] cbsz:4 abid:11
	v_mfma_f32_4x4x4_16b_f16 a[0:3], v[66:67], v[12:13], a[0:3] cbsz:4 abid:13
	s_nop 0
	;; [unrolled: 3-line block ×3, first 2 shown]
	v_mfma_f32_4x4x4_16b_f16 a[0:3], v[66:67], v[16:17], a[0:3] cbsz:4 abid:15
	s_nop 4
	v_accvgpr_read_b32 v2, a0
	v_accvgpr_read_b32 v3, a1
	;; [unrolled: 1-line block ×4, first 2 shown]
	v_mfma_f32_4x4x4_16b_f16 a[0:3], v[66:67], v[36:37], a[4:7] cbsz:4 abid:13
	v_cvt_f16_f32_e32 v2, v2
	v_cvt_f16_f32_e32 v3, v3
	v_mfma_f32_4x4x4_16b_f16 a[0:3], v[66:67], v[42:43], a[0:3] cbsz:4 abid:14
	v_pack_b32_f16 v2, v2, v3
	s_nop 0
	v_mfma_f32_4x4x4_16b_f16 a[0:3], v[66:67], v[44:45], a[0:3] cbsz:4 abid:15
	v_cvt_f16_f32_e32 v3, v4
	v_cvt_f16_f32_e32 v4, v5
	v_pack_b32_f16 v3, v3, v4
	s_nop 1
	v_accvgpr_read_b32 v5, a0
	v_accvgpr_read_b32 v6, a1
	;; [unrolled: 1-line block ×4, first 2 shown]
	v_cvt_f16_f32_e32 v5, v5
	v_cvt_f16_f32_e32 v6, v6
	;; [unrolled: 1-line block ×4, first 2 shown]
	v_pack_b32_f16 v4, v5, v6
	v_pack_b32_f16 v5, v7, v8
	ds_write2st64_b64 v9, v[2:3], v[4:5] offset1:5
.LBB366_23:
	s_or_b64 exec, exec, s[2:3]
	v_cmp_gt_u32_e32 vcc, 64, v0
	s_waitcnt lgkmcnt(0)
	s_barrier
	s_and_saveexec_b64 s[2:3], vcc
	s_cbranch_execz .LBB366_25
; %bb.24:
	s_waitcnt vmcnt(14)
	v_mul_u32_u24_e32 v6, 40, v1
	ds_read2_b64 v[2:5], v6 offset1:1
	ds_read2_b64 v[6:9], v6 offset0:2 offset1:3
	s_mov_b32 s1, 0
	s_lshl_b32 s0, s0, 7
	s_lshl_b64 s[2:3], s[0:1], 1
	s_waitcnt lgkmcnt(1)
	v_pk_add_f16 v2, v2, 0
	v_pk_add_f16 v3, v3, 0
	;; [unrolled: 1-line block ×4, first 2 shown]
	s_waitcnt lgkmcnt(0)
	v_pk_add_f16 v2, v2, v6
	v_pk_add_f16 v6, v3, v7
	s_waitcnt vmcnt(13)
	v_pk_add_f16 v10, v2, v8
	v_mov_b32_e32 v2, 0xa00
	v_mad_u32_u24 v2, v1, 40, v2
	ds_read2_b64 v[2:5], v2 offset1:1
	v_pk_add_f16 v11, v6, v9
	v_mov_b32_e32 v6, 0xa10
	v_mad_u32_u24 v1, v1, 40, v6
	ds_read2_b64 v[6:9], v1 offset1:1
	s_add_u32 s2, s22, s2
	s_addc_u32 s3, s23, s3
	s_lshl_b32 s0, s20, 7
	s_lshl_b64 s[0:1], s[0:1], 1
	s_waitcnt lgkmcnt(1)
	v_pk_add_f16 v1, v2, 0
	v_pk_add_f16 v2, v3, 0
	s_add_u32 s0, s2, s0
	v_pk_add_f16 v2, v2, v5
	s_addc_u32 s1, s3, s1
	s_lshl_b32 s2, s5, 7
	s_waitcnt lgkmcnt(0)
	v_pk_add_f16 v2, v2, v7
	s_mul_i32 s3, s2, s4
	v_pk_add_f16 v9, v2, v9
	v_or_b32_e32 v2, s3, v0
	v_mov_b32_e32 v3, 0
	s_add_i32 s3, s3, s2
	v_pk_add_f16 v1, v1, v4
	v_lshl_add_u64 v[4:5], v[2:3], 1, s[0:1]
	v_or_b32_e32 v2, s3, v0
	s_add_i32 s3, s3, s2
	v_pk_add_f16 v1, v1, v6
	v_lshl_add_u64 v[6:7], v[2:3], 1, s[0:1]
	v_or_b32_e32 v2, s3, v0
	v_pk_add_f16 v8, v1, v8
	v_lshl_add_u64 v[0:1], v[2:3], 1, s[0:1]
	global_store_short v[4:5], v10, off
	global_store_short_d16_hi v[6:7], v10, off
	global_store_short v[0:1], v11, off
	global_store_short v[4:5], v8, off offset:128
	global_store_short_d16_hi v[6:7], v8, off offset:128
	global_store_short v[0:1], v9, off offset:128
.LBB366_25:
	s_endpgm
	.section	.rodata,"a",@progbits
	.p2align	6, 0x0
	.amdhsa_kernel _Z38paged_attention_ll4mi_QKV_mfma4_kernelIDF16_DF16_LN4vllm18Fp8KVCacheDataTypeE0EDF16_Li32ELi128ELi256ELb0ELi3EEvPKT_PKT0_S7_ifPKiS9_S9_iPKfiiiPfSC_PS2_PT2_iSB_SB_
		.amdhsa_group_segment_fixed_size 5280
		.amdhsa_private_segment_fixed_size 0
		.amdhsa_kernarg_size 400
		.amdhsa_user_sgpr_count 2
		.amdhsa_user_sgpr_dispatch_ptr 0
		.amdhsa_user_sgpr_queue_ptr 0
		.amdhsa_user_sgpr_kernarg_segment_ptr 1
		.amdhsa_user_sgpr_dispatch_id 0
		.amdhsa_user_sgpr_kernarg_preload_length 0
		.amdhsa_user_sgpr_kernarg_preload_offset 0
		.amdhsa_user_sgpr_private_segment_size 0
		.amdhsa_uses_dynamic_stack 0
		.amdhsa_enable_private_segment 0
		.amdhsa_system_sgpr_workgroup_id_x 1
		.amdhsa_system_sgpr_workgroup_id_y 1
		.amdhsa_system_sgpr_workgroup_id_z 1
		.amdhsa_system_sgpr_workgroup_info 0
		.amdhsa_system_vgpr_workitem_id 0
		.amdhsa_next_free_vgpr 100
		.amdhsa_next_free_sgpr 38
		.amdhsa_accum_offset 92
		.amdhsa_reserve_vcc 1
		.amdhsa_float_round_mode_32 0
		.amdhsa_float_round_mode_16_64 0
		.amdhsa_float_denorm_mode_32 3
		.amdhsa_float_denorm_mode_16_64 3
		.amdhsa_dx10_clamp 1
		.amdhsa_ieee_mode 1
		.amdhsa_fp16_overflow 0
		.amdhsa_tg_split 0
		.amdhsa_exception_fp_ieee_invalid_op 0
		.amdhsa_exception_fp_denorm_src 0
		.amdhsa_exception_fp_ieee_div_zero 0
		.amdhsa_exception_fp_ieee_overflow 0
		.amdhsa_exception_fp_ieee_underflow 0
		.amdhsa_exception_fp_ieee_inexact 0
		.amdhsa_exception_int_div_zero 0
	.end_amdhsa_kernel
	.section	.text._Z38paged_attention_ll4mi_QKV_mfma4_kernelIDF16_DF16_LN4vllm18Fp8KVCacheDataTypeE0EDF16_Li32ELi128ELi256ELb0ELi3EEvPKT_PKT0_S7_ifPKiS9_S9_iPKfiiiPfSC_PS2_PT2_iSB_SB_,"axG",@progbits,_Z38paged_attention_ll4mi_QKV_mfma4_kernelIDF16_DF16_LN4vllm18Fp8KVCacheDataTypeE0EDF16_Li32ELi128ELi256ELb0ELi3EEvPKT_PKT0_S7_ifPKiS9_S9_iPKfiiiPfSC_PS2_PT2_iSB_SB_,comdat
.Lfunc_end366:
	.size	_Z38paged_attention_ll4mi_QKV_mfma4_kernelIDF16_DF16_LN4vllm18Fp8KVCacheDataTypeE0EDF16_Li32ELi128ELi256ELb0ELi3EEvPKT_PKT0_S7_ifPKiS9_S9_iPKfiiiPfSC_PS2_PT2_iSB_SB_, .Lfunc_end366-_Z38paged_attention_ll4mi_QKV_mfma4_kernelIDF16_DF16_LN4vllm18Fp8KVCacheDataTypeE0EDF16_Li32ELi128ELi256ELb0ELi3EEvPKT_PKT0_S7_ifPKiS9_S9_iPKfiiiPfSC_PS2_PT2_iSB_SB_
                                        ; -- End function
	.section	.AMDGPU.csdata,"",@progbits
; Kernel info:
; codeLenInByte = 3868
; NumSgprs: 44
; NumVgprs: 89
; NumAgprs: 8
; TotalNumVgprs: 100
; ScratchSize: 0
; MemoryBound: 0
; FloatMode: 240
; IeeeMode: 1
; LDSByteSize: 5280 bytes/workgroup (compile time only)
; SGPRBlocks: 5
; VGPRBlocks: 12
; NumSGPRsForWavesPerEU: 44
; NumVGPRsForWavesPerEU: 100
; AccumOffset: 92
; Occupancy: 4
; WaveLimiterHint : 1
; COMPUTE_PGM_RSRC2:SCRATCH_EN: 0
; COMPUTE_PGM_RSRC2:USER_SGPR: 2
; COMPUTE_PGM_RSRC2:TRAP_HANDLER: 0
; COMPUTE_PGM_RSRC2:TGID_X_EN: 1
; COMPUTE_PGM_RSRC2:TGID_Y_EN: 1
; COMPUTE_PGM_RSRC2:TGID_Z_EN: 1
; COMPUTE_PGM_RSRC2:TIDIG_COMP_CNT: 0
; COMPUTE_PGM_RSRC3_GFX90A:ACCUM_OFFSET: 22
; COMPUTE_PGM_RSRC3_GFX90A:TG_SPLIT: 0
	.section	.text._Z38paged_attention_ll4mi_QKV_mfma4_kernelIDF16_DF16_LN4vllm18Fp8KVCacheDataTypeE0EDF16_Li32ELi128ELi256ELb0ELi4EEvPKT_PKT0_S7_ifPKiS9_S9_iPKfiiiPfSC_PS2_PT2_iSB_SB_,"axG",@progbits,_Z38paged_attention_ll4mi_QKV_mfma4_kernelIDF16_DF16_LN4vllm18Fp8KVCacheDataTypeE0EDF16_Li32ELi128ELi256ELb0ELi4EEvPKT_PKT0_S7_ifPKiS9_S9_iPKfiiiPfSC_PS2_PT2_iSB_SB_,comdat
	.protected	_Z38paged_attention_ll4mi_QKV_mfma4_kernelIDF16_DF16_LN4vllm18Fp8KVCacheDataTypeE0EDF16_Li32ELi128ELi256ELb0ELi4EEvPKT_PKT0_S7_ifPKiS9_S9_iPKfiiiPfSC_PS2_PT2_iSB_SB_ ; -- Begin function _Z38paged_attention_ll4mi_QKV_mfma4_kernelIDF16_DF16_LN4vllm18Fp8KVCacheDataTypeE0EDF16_Li32ELi128ELi256ELb0ELi4EEvPKT_PKT0_S7_ifPKiS9_S9_iPKfiiiPfSC_PS2_PT2_iSB_SB_
	.globl	_Z38paged_attention_ll4mi_QKV_mfma4_kernelIDF16_DF16_LN4vllm18Fp8KVCacheDataTypeE0EDF16_Li32ELi128ELi256ELb0ELi4EEvPKT_PKT0_S7_ifPKiS9_S9_iPKfiiiPfSC_PS2_PT2_iSB_SB_
	.p2align	8
	.type	_Z38paged_attention_ll4mi_QKV_mfma4_kernelIDF16_DF16_LN4vllm18Fp8KVCacheDataTypeE0EDF16_Li32ELi128ELi256ELb0ELi4EEvPKT_PKT0_S7_ifPKiS9_S9_iPKfiiiPfSC_PS2_PT2_iSB_SB_,@function
_Z38paged_attention_ll4mi_QKV_mfma4_kernelIDF16_DF16_LN4vllm18Fp8KVCacheDataTypeE0EDF16_Li32ELi128ELi256ELb0ELi4EEvPKT_PKT0_S7_ifPKiS9_S9_iPKfiiiPfSC_PS2_PT2_iSB_SB_: ; @_Z38paged_attention_ll4mi_QKV_mfma4_kernelIDF16_DF16_LN4vllm18Fp8KVCacheDataTypeE0EDF16_Li32ELi128ELi256ELb0ELi4EEvPKT_PKT0_S7_ifPKiS9_S9_iPKfiiiPfSC_PS2_PT2_iSB_SB_
; %bb.0:
	s_load_dwordx2 s[8:9], s[0:1], 0x30
	s_mov_b32 s20, s3
	s_mov_b64 s[6:7], 0
	s_waitcnt lgkmcnt(0)
	s_cmp_lg_u64 s[8:9], 0
	s_cselect_b64 s[10:11], -1, 0
	s_and_b64 vcc, exec, s[10:11]
	s_cbranch_vccz .LBB367_20
; %bb.1:
	s_add_i32 s12, s2, 1
	s_mov_b32 s13, 0
	s_lshl_b64 s[14:15], s[12:13], 2
	s_add_u32 s14, s8, s14
	s_mov_b32 s3, s13
	s_addc_u32 s15, s9, s15
	s_lshl_b64 s[12:13], s[2:3], 2
	s_add_u32 s12, s8, s12
	s_addc_u32 s13, s9, s13
	s_load_dword s5, s[14:15], 0x0
	s_load_dword s16, s[12:13], 0x0
	s_mov_b64 s[30:31], s[2:3]
	s_waitcnt lgkmcnt(0)
	s_sub_i32 s5, s5, s16
	s_cmp_eq_u32 s5, 1
	s_cselect_b64 s[12:13], -1, 0
	s_andn2_b64 vcc, exec, s[6:7]
	s_cbranch_vccnz .LBB367_3
.LBB367_2:
	s_mov_b32 s3, 0
	s_mov_b64 s[12:13], -1
	s_mov_b64 s[30:31], s[2:3]
.LBB367_3:
	s_andn2_b64 vcc, exec, s[12:13]
	s_cbranch_vccnz .LBB367_19
; %bb.4:
	s_load_dword s3, s[0:1], 0x9c
	s_load_dwordx2 s[6:7], s[0:1], 0x28
	s_add_u32 s24, s0, 0x90
	s_addc_u32 s25, s1, 0
	s_lshl_b64 s[34:35], s[30:31], 2
	s_waitcnt lgkmcnt(0)
	s_and_b32 s5, s3, 0xffff
	s_add_u32 s6, s6, s34
	s_addc_u32 s7, s7, s35
	s_load_dword s3, s[6:7], 0x0
	s_mul_i32 s16, s20, s5
	s_waitcnt lgkmcnt(0)
	s_cmp_ge_i32 s16, s3
	s_cbranch_scc1 .LBB367_19
; %bb.5:
	v_and_b32_e32 v1, 0xc0, v0
	v_add_u32_e32 v2, s16, v1
	v_lshrrev_b32_e32 v70, 6, v0
	v_cmp_le_i32_e64 s[6:7], s3, v2
                                        ; implicit-def: $sgpr18
                                        ; implicit-def: $sgpr17
	s_and_saveexec_b64 s[12:13], s[6:7]
	s_xor_b64 s[12:13], exec, s[12:13]
	s_cbranch_execz .LBB367_7
; %bb.6:
	v_mul_u32_u24_e32 v1, 20, v70
	v_or_b32_e32 v1, 0x1400, v1
	v_mov_b32_e32 v2, 0x1450
	v_mov_b32_e32 v3, 0xff7fffff
	v_mad_u32_u24 v2, v70, 20, v2
	ds_write2_b32 v1, v3, v3 offset1:1
	v_mov_b32_e32 v1, 0
	ds_write2_b32 v2, v1, v1 offset1:1
	v_mov_b32_e32 v2, 0x1408
	s_mov_b32 s17, 0xff7fffff
	s_mov_b32 s18, 0
	v_mad_u32_u24 v2, v70, 20, v2
	v_mov_b32_e32 v4, 0x1458
	v_mad_u32_u24 v4, v70, 20, v4
	ds_write2_b32 v2, v3, v3 offset1:1
	ds_write2_b32 v4, v1, v1 offset1:1
                                        ; implicit-def: $vgpr2
.LBB367_7:
	s_or_saveexec_b64 s[26:27], s[12:13]
	s_load_dwordx2 s[22:23], s[0:1], 0x68
	s_load_dwordx4 s[12:15], s[0:1], 0x58
	s_load_dword s5, s[24:25], 0x4
	v_and_b32_e32 v1, 63, v0
	v_and_b32_e32 v71, 3, v0
	v_mov_b32_e32 v69, s18
	v_mov_b32_e32 v72, s17
	v_mov_b32_e32 v68, s18
	v_mov_b32_e32 v67, s18
	v_mov_b32_e32 v66, s18
                                        ; implicit-def: $vgpr31
                                        ; implicit-def: $vgpr19
                                        ; implicit-def: $vgpr23
                                        ; implicit-def: $vgpr27
                                        ; implicit-def: $vgpr3
                                        ; implicit-def: $vgpr7
                                        ; implicit-def: $vgpr11
                                        ; implicit-def: $vgpr15
                                        ; implicit-def: $vgpr51
                                        ; implicit-def: $vgpr55
                                        ; implicit-def: $vgpr59
                                        ; implicit-def: $vgpr63
                                        ; implicit-def: $vgpr39
                                        ; implicit-def: $vgpr47
                                        ; implicit-def: $vgpr35
                                        ; implicit-def: $vgpr43
	s_xor_b64 exec, exec, s[26:27]
	s_cbranch_execz .LBB367_13
; %bb.8:
	s_add_i32 s21, s3, 31
	s_load_dwordx2 s[18:19], s[0:1], 0x20
	s_load_dword s17, s[0:1], 0x38
	s_ashr_i32 s28, s21, 31
	s_lshr_b32 s28, s28, 27
	v_add_u32_e32 v66, s16, v0
	s_add_i32 s21, s21, s28
	v_ashrrev_i32_e32 v3, 31, v66
	s_ashr_i32 s21, s21, 5
	v_lshrrev_b32_e32 v3, 27, v3
	s_add_i32 s21, s21, -1
	v_add_u32_e32 v3, v66, v3
	s_waitcnt lgkmcnt(0)
	s_mul_i32 s36, s2, s17
	s_mov_b32 s37, 0
	v_ashrrev_i32_e32 v3, 5, v3
	v_mov_b32_e32 v4, s21
	v_cmp_gt_i32_e32 vcc, s3, v66
	s_lshl_b64 s[28:29], s[36:37], 2
	s_add_u32 s18, s18, s28
	v_cndmask_b32_e32 v4, v4, v3, vcc
	v_ashrrev_i32_e32 v3, 31, v2
	v_lshrrev_b32_e32 v3, 27, v3
	s_addc_u32 s19, s19, s29
	v_ashrrev_i32_e32 v5, 31, v4
	v_add_u32_e32 v2, v2, v3
	v_lshl_add_u64 v[6:7], v[4:5], 2, s[18:19]
	v_ashrrev_i32_e32 v4, 5, v2
	v_min_i32_e32 v2, s21, v4
	v_ashrrev_i32_e32 v3, 31, v2
	v_lshl_add_u64 v[8:9], v[2:3], 2, s[18:19]
	v_add_u32_e32 v2, 1, v4
	v_min_i32_e32 v2, s21, v2
	v_ashrrev_i32_e32 v3, 31, v2
	v_lshl_add_u64 v[10:11], v[2:3], 2, s[18:19]
	global_load_dword v2, v[6:7], off
	global_load_dword v4, v[8:9], off
	;; [unrolled: 1-line block ×3, first 2 shown]
	s_load_dwordx4 s[16:19], s[0:1], 0x0
	s_load_dwordx2 s[28:29], s[0:1], 0x10
	s_andn2_b64 vcc, exec, s[10:11]
	s_cbranch_vccnz .LBB367_10
; %bb.9:
	s_add_u32 s8, s8, s34
	s_addc_u32 s9, s9, s35
	s_load_dword s36, s[8:9], 0x0
	s_waitcnt lgkmcnt(0)
	s_mov_b64 s[30:31], s[36:37]
.LBB367_10:
	s_load_dwordx4 s[8:11], s[0:1], 0x48
	v_lshlrev_b32_e32 v3, 2, v1
	v_and_b32_e32 v3, 0xf0, v3
	v_lshl_or_b32 v3, v71, 8, v3
	v_and_b32_e32 v6, 31, v0
	s_waitcnt lgkmcnt(0)
	s_ashr_i32 s11, s8, 31
	s_mul_hi_u32 s21, s30, s8
	s_mul_i32 s31, s31, s8
	s_mul_i32 s34, s30, s8
	;; [unrolled: 1-line block ×3, first 2 shown]
	s_add_i32 s8, s21, s8
	s_add_i32 s35, s8, s31
	s_lshl_b64 s[30:31], s[34:35], 1
	s_add_u32 s8, s16, s30
	s_addc_u32 s11, s17, s31
	s_lshl_b32 s36, s4, 9
	s_lshl_b64 s[16:17], s[36:37], 1
	s_add_u32 s16, s8, s16
	s_addc_u32 s17, s11, s17
	global_load_dwordx4 v[72:75], v3, s[16:17]
	s_mul_i32 s36, s4, s10
	s_waitcnt vmcnt(3)
	v_mad_i64_i32 v[2:3], s[16:17], v2, s9, 0
	s_lshl_b64 s[10:11], s[36:37], 1
	s_add_u32 s16, s10, s18
	s_addc_u32 s17, s11, s19
	v_lshl_add_u64 v[2:3], v[2:3], 1, s[16:17]
	v_lshlrev_b32_e32 v18, 4, v6
	v_mov_b32_e32 v19, 0
	v_lshl_add_u64 v[40:41], v[2:3], 0, v[18:19]
	global_load_dwordx4 v[6:9], v[40:41], off
	global_load_dwordx4 v[10:13], v[40:41], off offset:512
	global_load_dwordx4 v[14:17], v[40:41], off offset:1024
	;; [unrolled: 1-line block ×7, first 2 shown]
	v_mov_b32_e32 v41, v19
	v_or_b32_e32 v40, 0x1000, v18
	v_lshl_add_u64 v[40:41], v[2:3], 0, v[40:41]
	global_load_dwordx4 v[40:43], v[40:41], off
	v_mov_b32_e32 v45, v19
	v_or_b32_e32 v44, 0x1200, v18
	v_lshl_add_u64 v[44:45], v[2:3], 0, v[44:45]
	global_load_dwordx4 v[44:47], v[44:45], off
	;; [unrolled: 4-line block ×6, first 2 shown]
	v_or_b32_e32 v18, 0x1c00, v18
	v_lshl_add_u64 v[64:65], v[2:3], 0, v[18:19]
	global_load_dwordx4 v[76:79], v[64:65], off
	v_mov_b32_e32 v67, 0x1e00
	v_lshl_or_b32 v18, v0, 4, v67
	v_lshl_add_u64 v[2:3], v[2:3], 0, v[18:19]
	global_load_dwordx4 v[80:83], v[2:3], off
	s_waitcnt vmcnt(18)
	v_mul_hi_i32 v2, v4, s9
	v_mov_b32_e32 v3, v19
	s_add_u32 s10, s28, s10
	s_addc_u32 s11, s29, s11
	v_mov_b32_e32 v65, v19
	s_load_dword s0, s[0:1], 0x1c
	v_cmp_eq_u32_e32 vcc, 0, v71
	v_and_b32_e32 v88, -4, v66
	v_lshlrev_b32_e32 v89, 2, v0
	v_cndmask_b32_e64 v84, 0, 1.0, vcc
	v_cmp_eq_u32_e32 vcc, 1, v71
	s_waitcnt vmcnt(15)
	v_mfma_f32_4x4x4_16b_f16 a[0:3], v[72:73], v[6:7], 0 cbsz:4
	v_mul_hi_i32 v6, v5, s9
	s_nop 0
	v_mfma_f32_4x4x4_16b_f16 a[0:3], v[74:75], v[8:9], a[0:3] cbsz:4
	v_ashrrev_i32_e32 v7, 31, v2
	v_ashrrev_i32_e32 v2, 31, v6
	s_waitcnt vmcnt(14)
	v_mfma_f32_4x4x4_16b_f16 a[0:3], v[72:73], v[10:11], a[0:3] cbsz:4 abid:1
	v_lshrrev_b32_e32 v2, 29, v2
	v_mad_i64_i32 v[2:3], s[16:17], v5, s9, v[2:3]
	v_mfma_f32_4x4x4_16b_f16 a[0:3], v[74:75], v[12:13], a[0:3] cbsz:4 abid:1
	v_lshlrev_b64 v[2:3], 1, v[2:3]
	v_and_b32_e32 v2, -16, v2
	s_waitcnt vmcnt(13)
	v_mfma_f32_4x4x4_16b_f16 a[0:3], v[72:73], v[14:15], a[0:3] cbsz:4 abid:2
	v_lshrrev_b32_e32 v18, 29, v7
	v_cndmask_b32_e64 v85, 0, 1.0, vcc
	v_mfma_f32_4x4x4_16b_f16 a[0:3], v[74:75], v[16:17], a[0:3] cbsz:4 abid:2
	v_cmp_eq_u32_e32 vcc, 2, v71
	s_waitcnt vmcnt(12)
	v_mfma_f32_4x4x4_16b_f16 a[0:3], v[72:73], v[20:21], a[0:3] cbsz:4 abid:3
	v_lshl_add_u64 v[20:21], s[10:11], 0, v[2:3]
	v_mad_i64_i32 v[2:3], s[8:9], v4, s9, v[18:19]
	v_mfma_f32_4x4x4_16b_f16 a[0:3], v[74:75], v[22:23], a[0:3] cbsz:4 abid:3
	v_lshlrev_b64 v[22:23], 1, v[2:3]
	v_lshlrev_b32_e32 v18, 6, v1
	s_waitcnt vmcnt(11)
	v_mfma_f32_4x4x4_16b_f16 a[0:3], v[72:73], v[24:25], a[0:3] cbsz:4 abid:4
	v_and_b32_e32 v22, -16, v22
	v_or_b32_e32 v64, 0x1000, v18
	v_mfma_f32_4x4x4_16b_f16 a[0:3], v[74:75], v[26:27], a[0:3] cbsz:4 abid:4
	v_lshl_add_u64 v[22:23], s[10:11], 0, v[22:23]
	v_lshl_add_u64 v[24:25], v[20:21], 0, v[18:19]
	s_waitcnt vmcnt(10)
	v_mfma_f32_4x4x4_16b_f16 a[0:3], v[72:73], v[28:29], a[0:3] cbsz:4 abid:5
	v_lshl_add_u64 v[20:21], v[20:21], 0, v[64:65]
	v_lshl_add_u64 v[68:69], v[22:23], 0, v[64:65]
	v_mfma_f32_4x4x4_16b_f16 a[0:3], v[74:75], v[30:31], a[0:3] cbsz:4 abid:5
	global_load_dwordx4 v[2:5], v[24:25], off
	global_load_dwordx4 v[6:9], v[24:25], off offset:16
	s_waitcnt vmcnt(11)
	v_mfma_f32_4x4x4_16b_f16 a[0:3], v[72:73], v[32:33], a[0:3] cbsz:4 abid:6
	global_load_dwordx4 v[10:13], v[24:25], off offset:32
	global_load_dwordx4 v[14:17], v[24:25], off offset:48
	v_mfma_f32_4x4x4_16b_f16 a[0:3], v[74:75], v[34:35], a[0:3] cbsz:4 abid:6
	v_cndmask_b32_e64 v86, 0, 1.0, vcc
	v_cmp_eq_u32_e32 vcc, 3, v71
	s_waitcnt vmcnt(12)
	v_mfma_f32_4x4x4_16b_f16 a[0:3], v[72:73], v[36:37], a[0:3] cbsz:4 abid:7
	v_cndmask_b32_e64 v87, 0, 1.0, vcc
	s_nop 0
	v_mfma_f32_4x4x4_16b_f16 a[0:3], v[74:75], v[38:39], a[0:3] cbsz:4 abid:7
	v_cmp_gt_i32_e32 vcc, s3, v88
	s_waitcnt vmcnt(11)
	v_mfma_f32_4x4x4_16b_f16 a[0:3], v[72:73], v[40:41], a[0:3] cbsz:4 abid:8
	s_nop 1
	v_mfma_f32_4x4x4_16b_f16 a[0:3], v[74:75], v[42:43], a[0:3] cbsz:4 abid:8
	s_waitcnt vmcnt(10)
	s_nop 0
	v_mfma_f32_4x4x4_16b_f16 a[0:3], v[72:73], v[44:45], a[0:3] cbsz:4 abid:9
	s_nop 1
	v_mfma_f32_4x4x4_16b_f16 a[0:3], v[74:75], v[46:47], a[0:3] cbsz:4 abid:9
	s_waitcnt vmcnt(9)
	s_nop 0
	v_mfma_f32_4x4x4_16b_f16 a[0:3], v[72:73], v[48:49], a[0:3] cbsz:4 abid:10
	global_load_dwordx4 v[38:41], v[20:21], off
	global_load_dwordx4 v[46:49], v[20:21], off offset:16
	v_mfma_f32_4x4x4_16b_f16 a[0:3], v[74:75], v[50:51], a[0:3] cbsz:4 abid:10
	v_lshl_add_u64 v[50:51], v[22:23], 0, v[18:19]
	global_load_dwordx4 v[34:37], v[20:21], off offset:32
	global_load_dwordx4 v[42:45], v[20:21], off offset:48
	s_waitcnt vmcnt(12)
	v_mfma_f32_4x4x4_16b_f16 a[0:3], v[72:73], v[52:53], a[0:3] cbsz:4 abid:11
	global_load_dwordx4 v[30:33], v[50:51], off
	global_load_dwordx4 v[18:21], v[50:51], off offset:16
	v_mfma_f32_4x4x4_16b_f16 a[0:3], v[74:75], v[54:55], a[0:3] cbsz:4 abid:11
	global_load_dwordx4 v[22:25], v[50:51], off offset:32
	global_load_dwordx4 v[26:29], v[50:51], off offset:48
	s_waitcnt vmcnt(15)
	v_mfma_f32_4x4x4_16b_f16 a[0:3], v[72:73], v[56:57], a[0:3] cbsz:4 abid:12
	global_load_dwordx4 v[50:53], v[68:69], off
	global_load_dwordx4 v[54:57], v[68:69], off offset:16
	v_mfma_f32_4x4x4_16b_f16 a[0:3], v[74:75], v[58:59], a[0:3] cbsz:4 abid:12
	s_waitcnt vmcnt(16)
	s_nop 0
	v_mfma_f32_4x4x4_16b_f16 a[0:3], v[72:73], v[60:61], a[0:3] cbsz:4 abid:13
	s_nop 1
	v_mfma_f32_4x4x4_16b_f16 a[0:3], v[74:75], v[62:63], a[0:3] cbsz:4 abid:13
	global_load_dwordx4 v[58:61], v[68:69], off offset:32
	global_load_dwordx4 v[62:65], v[68:69], off offset:48
	s_waitcnt vmcnt(17)
	v_mfma_f32_4x4x4_16b_f16 a[0:3], v[72:73], v[76:77], a[0:3] cbsz:4 abid:14
	s_nop 1
	v_mfma_f32_4x4x4_16b_f16 a[0:3], v[74:75], v[78:79], a[0:3] cbsz:4 abid:14
	s_waitcnt vmcnt(16)
	s_nop 0
	v_mfma_f32_4x4x4_16b_f16 a[0:3], v[72:73], v[80:81], a[0:3] cbsz:4 abid:15
	v_or_b32_e32 v73, 3, v66
	v_mov_b32_e32 v72, 0xff7fffff
	v_mfma_f32_4x4x4_16b_f16 a[0:3], v[74:75], v[82:83], a[0:3] cbsz:4 abid:15
	v_cmp_gt_i32_e64 s[10:11], s3, v73
	s_nop 3
	v_accvgpr_read_b32 v69, a1
	v_accvgpr_read_b32 v68, a0
	s_waitcnt lgkmcnt(0)
	v_pk_mul_f32 v[68:69], s[0:1], v[68:69] op_sel_hi:[0,1]
	v_accvgpr_read_b32 v67, a3
	v_accvgpr_read_b32 v66, a2
	v_pk_mul_f32 v[66:67], s[0:1], v[66:67] op_sel_hi:[0,1]
	v_mfma_f32_4x4x1_16b_f32 a[0:3], v68, v84, 0
	v_and_or_b32 v68, v89, 48, v71
	s_nop 0
	v_mfma_f32_4x4x1_16b_f32 a[0:3], v69, v85, a[0:3]
	v_or_b32_e32 v69, 1, v88
	v_cmp_gt_i32_e64 s[0:1], s3, v69
	v_mfma_f32_4x4x1_16b_f32 a[0:3], v66, v86, a[0:3]
	v_or_b32_e32 v66, 2, v88
	v_cmp_gt_i32_e64 s[8:9], s3, v66
	v_mfma_f32_4x4x1_16b_f32 a[0:3], v67, v87, a[0:3]
	v_lshlrev_b32_e32 v73, 2, v68
	s_nop 2
	v_accvgpr_read_b32 v67, a0
	v_max_f32_e32 v77, v67, v67
	v_accvgpr_read_b32 v74, a1
	v_max_f32_e32 v77, 0xff7fffff, v77
	v_max_f32_e32 v78, v74, v74
	v_cndmask_b32_e32 v72, v72, v77, vcc
	v_accvgpr_read_b32 v75, a2
	v_max_f32_e32 v77, v72, v78
	v_max_f32_e32 v79, v75, v75
	v_cndmask_b32_e64 v69, v72, v77, s[0:1]
	v_accvgpr_read_b32 v76, a3
	v_max_f32_e32 v72, v69, v79
	v_max_f32_e32 v80, v76, v76
	v_cndmask_b32_e64 v66, v69, v72, s[8:9]
	v_max_f32_e32 v69, v66, v80
	v_cndmask_b32_e64 v66, v66, v69, s[10:11]
	;;#ASMSTART
	v_nop
 v_nop
 v_max_f32_dpp v66, v66, v66 row_ror:4
	;;#ASMEND
	s_nop 0
	;;#ASMSTART
	v_nop
 v_nop
 v_max_f32_dpp v66, v66, v66 row_ror:8
	;;#ASMEND
	ds_bpermute_b32 v66, v73, v66
	s_waitcnt lgkmcnt(0)
	;;#ASMSTART
	v_nop
 v_nop
 v_max_f32_dpp v66, v66, v66 row_ror:4
	;;#ASMEND
	s_nop 0
	;;#ASMSTART
	v_nop
 v_nop
 v_max_f32_dpp v72, v66, v66 row_ror:8
	;;#ASMEND
	s_nop 0
	v_sub_f32_e32 v66, v67, v72
	v_sub_f32_e32 v67, v74, v72
	v_mul_f32_e32 v66, 0x3fb8aa3b, v66
	v_mul_f32_e32 v67, 0x3fb8aa3b, v67
	v_exp_f32_e32 v66, v66
	v_sub_f32_e32 v68, v75, v72
	v_exp_f32_e32 v67, v67
	v_mul_f32_e32 v68, 0x3fb8aa3b, v68
	v_sub_f32_e32 v74, v76, v72
	v_exp_f32_e32 v68, v68
	v_mul_f32_e32 v74, 0x3fb8aa3b, v74
	v_exp_f32_e32 v74, v74
	v_cndmask_b32_e32 v66, 0, v66, vcc
	v_cndmask_b32_e64 v67, 0, v67, s[0:1]
	v_add_f32_e32 v69, 0, v66
	v_add_f32_e32 v69, v69, v67
	v_cndmask_b32_e64 v68, 0, v68, s[8:9]
	v_add_f32_e32 v75, v69, v68
	v_cndmask_b32_e64 v69, 0, v74, s[10:11]
	v_add_f32_e32 v74, v75, v69
	;;#ASMSTART
	v_nop
 v_nop
 v_add_f32_dpp v74, v74, v74 row_ror:4
	;;#ASMEND
	v_cmp_gt_u32_e32 vcc, 4, v1
	;;#ASMSTART
	v_nop
 v_nop
 v_add_f32_dpp v74, v74, v74 row_ror:8
	;;#ASMEND
	ds_bpermute_b32 v73, v73, v74
	s_waitcnt lgkmcnt(0)
	;;#ASMSTART
	v_nop
 v_nop
 v_add_f32_dpp v73, v73, v73 row_ror:4
	;;#ASMEND
	s_nop 0
	;;#ASMSTART
	v_nop
 v_nop
 v_add_f32_dpp v73, v73, v73 row_ror:8
	;;#ASMEND
	s_and_saveexec_b64 s[0:1], vcc
	s_cbranch_execz .LBB367_12
; %bb.11:
	v_mul_u32_u24_e32 v74, 20, v70
	v_lshl_add_u32 v74, v71, 2, v74
	v_add_u32_e32 v74, 0x1400, v74
	ds_write2_b32 v74, v72, v73 offset1:20
.LBB367_12:
	s_or_b64 exec, exec, s[0:1]
.LBB367_13:
	s_or_b64 exec, exec, s[26:27]
	v_lshlrev_b32_e32 v73, 2, v71
	v_add_u32_e32 v80, 0x1400, v73
	s_waitcnt lgkmcnt(0)
	s_barrier
	s_load_dword s0, s[24:25], 0x8
	ds_read2_b32 v[74:75], v80 offset1:5
	ds_read2_b32 v[76:77], v80 offset0:10 offset1:15
	s_mov_b32 s8, 0xff7fffff
	s_mul_i32 s1, s2, s5
	ds_read2_b32 v[78:79], v80 offset0:20 offset1:25
	s_waitcnt lgkmcnt(0)
	v_max3_f32 v73, v74, s8, v75
	v_max3_f32 v73, v73, v76, v77
	s_mul_i32 s1, s1, s0
	v_sub_f32_e32 v74, v74, v73
	s_lshl_b32 s0, s1, 2
	s_mov_b32 s1, 0
	v_mul_f32_e32 v74, 0x3fb8aa3b, v74
	v_sub_f32_e32 v75, v75, v73
	s_lshl_b32 s4, s4, 2
	s_lshl_b64 s[2:3], s[0:1], 2
	v_exp_f32_e32 v74, v74
	v_mul_f32_e32 v75, 0x3fb8aa3b, v75
	v_sub_f32_e32 v76, v76, v73
	s_add_u32 s10, s12, s2
	v_exp_f32_e32 v75, v75
	ds_read2_b32 v[80:81], v80 offset0:30 offset1:35
	v_mul_f32_e32 v76, 0x3fb8aa3b, v76
	v_sub_f32_e32 v77, v77, v73
	s_addc_u32 s11, s13, s3
	v_exp_f32_e32 v76, v76
	v_mul_f32_e32 v77, 0x3fb8aa3b, v77
	s_mov_b32 s21, s1
	s_add_u32 s8, s14, s2
	v_exp_f32_e32 v77, v77
	s_addc_u32 s9, s15, s3
	s_lshl_b64 s[2:3], s[20:21], 2
	v_fma_f32 v74, v74, v78, 0
	s_add_u32 s8, s8, s2
	v_fmac_f32_e32 v74, v75, v79
	s_addc_u32 s9, s9, s3
	s_waitcnt lgkmcnt(0)
	v_fmac_f32_e32 v74, v76, v80
	v_or_b32_e32 v71, s4, v71
	v_fmac_f32_e32 v74, v77, v81
	s_add_u32 s2, s10, s2
	v_mul_lo_u32 v76, s5, v71
	v_mov_b32_e32 v77, 0
	s_addc_u32 s3, s11, s3
	v_lshlrev_b64 v[76:77], 2, v[76:77]
	v_lshl_add_u64 v[78:79], s[8:9], 0, v[76:77]
	v_lshl_add_u64 v[76:77], s[2:3], 0, v[76:77]
	v_lshlrev_b32_e32 v70, 3, v70
	global_store_dword v[78:79], v73, off
	global_store_dword v[76:77], v74, off
	s_and_saveexec_b64 s[2:3], s[6:7]
	s_xor_b64 s[2:3], exec, s[2:3]
	s_cbranch_execz .LBB367_15
; %bb.14:
	s_mov_b32 s6, s1
	s_mov_b32 s7, s1
	s_waitcnt vmcnt(17)
	v_mad_u32_u24 v4, v1, 40, v70
	v_mov_b64_e32 v[2:3], s[6:7]
	ds_write2st64_b64 v4, v[2:3], v[2:3] offset1:5
                                        ; implicit-def: $vgpr69
                                        ; implicit-def: $vgpr67
                                        ; implicit-def: $vgpr31
                                        ; implicit-def: $vgpr19
                                        ; implicit-def: $vgpr23
                                        ; implicit-def: $vgpr27
                                        ; implicit-def: $vgpr3
                                        ; implicit-def: $vgpr7
                                        ; implicit-def: $vgpr11
                                        ; implicit-def: $vgpr15
                                        ; implicit-def: $vgpr51
                                        ; implicit-def: $vgpr55
                                        ; implicit-def: $vgpr59
                                        ; implicit-def: $vgpr63
                                        ; implicit-def: $vgpr39
                                        ; implicit-def: $vgpr47
                                        ; implicit-def: $vgpr35
                                        ; implicit-def: $vgpr43
                                        ; implicit-def: $vgpr72
                                        ; implicit-def: $vgpr73
                                        ; implicit-def: $vgpr74
                                        ; implicit-def: $vgpr70
.LBB367_15:
	s_andn2_saveexec_b64 s[2:3], s[2:3]
	s_cbranch_execz .LBB367_17
; %bb.16:
	v_add_f32_e32 v71, 0x358637bd, v74
	v_div_scale_f32 v74, s[6:7], v71, v71, 1.0
	v_rcp_f32_e32 v75, v74
	v_sub_f32_e32 v72, v72, v73
	v_mul_f32_e32 v72, 0x3fb8aa3b, v72
	v_exp_f32_e32 v72, v72
	v_fma_f32 v73, -v74, v75, 1.0
	v_fmac_f32_e32 v75, v73, v75
	v_div_scale_f32 v73, vcc, 1.0, v71, 1.0
	v_mul_f32_e32 v76, v73, v75
	v_fma_f32 v77, -v74, v76, v73
	v_fmac_f32_e32 v76, v77, v75
	v_fma_f32 v73, -v74, v76, v73
	v_div_fmas_f32 v73, v73, v75, v76
	v_div_fixup_f32 v71, v73, v71, 1.0
	v_mul_f32_e32 v72, v72, v71
	v_pk_mul_f32 v[68:69], v[68:69], v[72:73] op_sel_hi:[1,0]
	v_pk_mul_f32 v[66:67], v[66:67], v[72:73] op_sel_hi:[1,0]
	v_cvt_f16_f32_e32 v68, v68
	v_cvt_f16_f32_e32 v66, v66
	;; [unrolled: 1-line block ×4, first 2 shown]
	v_pack_b32_f16 v66, v66, v67
	v_pack_b32_f16 v67, v68, v69
	s_waitcnt vmcnt(9)
	s_nop 0
	v_mfma_f32_4x4x4_16b_f16 a[0:3], v[66:67], v[30:31], 0 cbsz:4
	s_nop 1
	v_mfma_f32_4x4x4_16b_f16 a[0:3], v[66:67], v[32:33], a[0:3] cbsz:4 abid:1
	s_waitcnt vmcnt(5)
	v_mfma_f32_4x4x4_16b_f16 a[4:7], v[66:67], v[50:51], 0 cbsz:4
	v_mfma_f32_4x4x4_16b_f16 a[0:3], v[66:67], v[18:19], a[0:3] cbsz:4 abid:2
	s_nop 0
	v_mfma_f32_4x4x4_16b_f16 a[4:7], v[66:67], v[52:53], a[4:7] cbsz:4 abid:1
	v_mfma_f32_4x4x4_16b_f16 a[0:3], v[66:67], v[20:21], a[0:3] cbsz:4 abid:3
	s_waitcnt vmcnt(4)
	v_mfma_f32_4x4x4_16b_f16 a[4:7], v[66:67], v[54:55], a[4:7] cbsz:4 abid:2
	v_mfma_f32_4x4x4_16b_f16 a[0:3], v[66:67], v[22:23], a[0:3] cbsz:4 abid:4
	s_nop 0
	v_mfma_f32_4x4x4_16b_f16 a[4:7], v[66:67], v[56:57], a[4:7] cbsz:4 abid:3
	v_mfma_f32_4x4x4_16b_f16 a[0:3], v[66:67], v[24:25], a[0:3] cbsz:4 abid:5
	s_waitcnt vmcnt(3)
	v_mfma_f32_4x4x4_16b_f16 a[4:7], v[66:67], v[58:59], a[4:7] cbsz:4 abid:4
	;; [unrolled: 6-line block ×3, first 2 shown]
	v_mfma_f32_4x4x4_16b_f16 a[0:3], v[66:67], v[2:3], a[0:3] cbsz:4 abid:8
	s_nop 0
	v_mfma_f32_4x4x4_16b_f16 a[4:7], v[66:67], v[64:65], a[4:7] cbsz:4 abid:7
	v_mfma_f32_4x4x4_16b_f16 a[0:3], v[66:67], v[4:5], a[0:3] cbsz:4 abid:9
	s_nop 0
	v_mfma_f32_4x4x4_16b_f16 a[4:7], v[66:67], v[38:39], a[4:7] cbsz:4 abid:8
	;; [unrolled: 3-line block ×3, first 2 shown]
	v_mfma_f32_4x4x4_16b_f16 a[0:3], v[66:67], v[8:9], a[0:3] cbsz:4 abid:11
	v_mad_u32_u24 v9, v1, 40, v70
	v_mfma_f32_4x4x4_16b_f16 a[4:7], v[66:67], v[46:47], a[4:7] cbsz:4 abid:10
	v_mfma_f32_4x4x4_16b_f16 a[0:3], v[66:67], v[10:11], a[0:3] cbsz:4 abid:12
	s_nop 0
	v_mfma_f32_4x4x4_16b_f16 a[4:7], v[66:67], v[48:49], a[4:7] cbsz:4 abid:11
	v_mfma_f32_4x4x4_16b_f16 a[0:3], v[66:67], v[12:13], a[0:3] cbsz:4 abid:13
	s_nop 0
	;; [unrolled: 3-line block ×3, first 2 shown]
	v_mfma_f32_4x4x4_16b_f16 a[0:3], v[66:67], v[16:17], a[0:3] cbsz:4 abid:15
	s_nop 4
	v_accvgpr_read_b32 v2, a0
	v_accvgpr_read_b32 v3, a1
	;; [unrolled: 1-line block ×4, first 2 shown]
	v_mfma_f32_4x4x4_16b_f16 a[0:3], v[66:67], v[36:37], a[4:7] cbsz:4 abid:13
	v_cvt_f16_f32_e32 v2, v2
	v_cvt_f16_f32_e32 v3, v3
	v_mfma_f32_4x4x4_16b_f16 a[0:3], v[66:67], v[42:43], a[0:3] cbsz:4 abid:14
	v_pack_b32_f16 v2, v2, v3
	s_nop 0
	v_mfma_f32_4x4x4_16b_f16 a[0:3], v[66:67], v[44:45], a[0:3] cbsz:4 abid:15
	v_cvt_f16_f32_e32 v3, v4
	v_cvt_f16_f32_e32 v4, v5
	v_pack_b32_f16 v3, v3, v4
	s_nop 1
	v_accvgpr_read_b32 v5, a0
	v_accvgpr_read_b32 v6, a1
	v_accvgpr_read_b32 v7, a2
	v_accvgpr_read_b32 v8, a3
	v_cvt_f16_f32_e32 v5, v5
	v_cvt_f16_f32_e32 v6, v6
	;; [unrolled: 1-line block ×4, first 2 shown]
	v_pack_b32_f16 v4, v5, v6
	v_pack_b32_f16 v5, v7, v8
	ds_write2st64_b64 v9, v[2:3], v[4:5] offset1:5
.LBB367_17:
	s_or_b64 exec, exec, s[2:3]
	v_cmp_gt_u32_e32 vcc, 64, v0
	s_waitcnt lgkmcnt(0)
	s_barrier
	s_and_saveexec_b64 s[2:3], vcc
	s_cbranch_execz .LBB367_19
; %bb.18:
	s_waitcnt vmcnt(16)
	v_mul_u32_u24_e32 v6, 40, v1
	ds_read2_b64 v[2:5], v6 offset1:1
	ds_read2_b64 v[6:9], v6 offset0:2 offset1:3
	s_lshl_b32 s0, s0, 7
	s_lshl_b64 s[2:3], s[0:1], 1
	s_add_u32 s2, s22, s2
	s_waitcnt lgkmcnt(1)
	v_pk_add_f16 v2, v2, 0
	v_pk_add_f16 v3, v3, 0
	;; [unrolled: 1-line block ×4, first 2 shown]
	s_waitcnt lgkmcnt(0)
	v_pk_add_f16 v2, v2, v6
	v_pk_add_f16 v6, v3, v7
	s_waitcnt vmcnt(15)
	v_pk_add_f16 v10, v2, v8
	v_mov_b32_e32 v2, 0xa00
	v_mad_u32_u24 v2, v1, 40, v2
	ds_read2_b64 v[2:5], v2 offset1:1
	v_pk_add_f16 v11, v6, v9
	v_mov_b32_e32 v6, 0xa10
	v_mad_u32_u24 v1, v1, 40, v6
	ds_read2_b64 v[6:9], v1 offset1:1
	s_addc_u32 s3, s23, s3
	s_lshl_b32 s0, s20, 7
	s_lshl_b64 s[0:1], s[0:1], 1
	s_waitcnt lgkmcnt(1)
	v_pk_add_f16 v1, v2, 0
	v_pk_add_f16 v2, v3, 0
	s_add_u32 s0, s2, s0
	v_pk_add_f16 v2, v2, v5
	s_addc_u32 s1, s3, s1
	s_lshl_b32 s2, s5, 7
	s_waitcnt lgkmcnt(0)
	v_pk_add_f16 v2, v2, v7
	s_mul_i32 s3, s2, s4
	v_pk_add_f16 v13, v2, v9
	v_or_b32_e32 v2, s3, v0
	v_mov_b32_e32 v3, 0
	s_add_i32 s3, s3, s2
	v_pk_add_f16 v1, v1, v4
	v_lshl_add_u64 v[4:5], v[2:3], 1, s[0:1]
	v_or_b32_e32 v2, s3, v0
	s_add_i32 s3, s3, s2
	v_pk_add_f16 v1, v1, v6
	v_lshl_add_u64 v[6:7], v[2:3], 1, s[0:1]
	v_or_b32_e32 v2, s3, v0
	;; [unrolled: 4-line block ×3, first 2 shown]
	v_lshl_add_u64 v[0:1], v[2:3], 1, s[0:1]
	global_store_short v[4:5], v10, off
	global_store_short_d16_hi v[6:7], v10, off
	global_store_short v[8:9], v11, off
	global_store_short_d16_hi v[0:1], v11, off
	global_store_short v[4:5], v12, off offset:128
	global_store_short_d16_hi v[6:7], v12, off offset:128
	global_store_short v[8:9], v13, off offset:128
	global_store_short_d16_hi v[0:1], v13, off offset:128
.LBB367_19:
	s_endpgm
.LBB367_20:
	s_mov_b64 s[12:13], 0
                                        ; implicit-def: $sgpr30_sgpr31
	s_branch .LBB367_2
	.section	.rodata,"a",@progbits
	.p2align	6, 0x0
	.amdhsa_kernel _Z38paged_attention_ll4mi_QKV_mfma4_kernelIDF16_DF16_LN4vllm18Fp8KVCacheDataTypeE0EDF16_Li32ELi128ELi256ELb0ELi4EEvPKT_PKT0_S7_ifPKiS9_S9_iPKfiiiPfSC_PS2_PT2_iSB_SB_
		.amdhsa_group_segment_fixed_size 5280
		.amdhsa_private_segment_fixed_size 0
		.amdhsa_kernarg_size 400
		.amdhsa_user_sgpr_count 2
		.amdhsa_user_sgpr_dispatch_ptr 0
		.amdhsa_user_sgpr_queue_ptr 0
		.amdhsa_user_sgpr_kernarg_segment_ptr 1
		.amdhsa_user_sgpr_dispatch_id 0
		.amdhsa_user_sgpr_kernarg_preload_length 0
		.amdhsa_user_sgpr_kernarg_preload_offset 0
		.amdhsa_user_sgpr_private_segment_size 0
		.amdhsa_uses_dynamic_stack 0
		.amdhsa_enable_private_segment 0
		.amdhsa_system_sgpr_workgroup_id_x 1
		.amdhsa_system_sgpr_workgroup_id_y 1
		.amdhsa_system_sgpr_workgroup_id_z 1
		.amdhsa_system_sgpr_workgroup_info 0
		.amdhsa_system_vgpr_workitem_id 0
		.amdhsa_next_free_vgpr 100
		.amdhsa_next_free_sgpr 38
		.amdhsa_accum_offset 92
		.amdhsa_reserve_vcc 1
		.amdhsa_float_round_mode_32 0
		.amdhsa_float_round_mode_16_64 0
		.amdhsa_float_denorm_mode_32 3
		.amdhsa_float_denorm_mode_16_64 3
		.amdhsa_dx10_clamp 1
		.amdhsa_ieee_mode 1
		.amdhsa_fp16_overflow 0
		.amdhsa_tg_split 0
		.amdhsa_exception_fp_ieee_invalid_op 0
		.amdhsa_exception_fp_denorm_src 0
		.amdhsa_exception_fp_ieee_div_zero 0
		.amdhsa_exception_fp_ieee_overflow 0
		.amdhsa_exception_fp_ieee_underflow 0
		.amdhsa_exception_fp_ieee_inexact 0
		.amdhsa_exception_int_div_zero 0
	.end_amdhsa_kernel
	.section	.text._Z38paged_attention_ll4mi_QKV_mfma4_kernelIDF16_DF16_LN4vllm18Fp8KVCacheDataTypeE0EDF16_Li32ELi128ELi256ELb0ELi4EEvPKT_PKT0_S7_ifPKiS9_S9_iPKfiiiPfSC_PS2_PT2_iSB_SB_,"axG",@progbits,_Z38paged_attention_ll4mi_QKV_mfma4_kernelIDF16_DF16_LN4vllm18Fp8KVCacheDataTypeE0EDF16_Li32ELi128ELi256ELb0ELi4EEvPKT_PKT0_S7_ifPKiS9_S9_iPKfiiiPfSC_PS2_PT2_iSB_SB_,comdat
.Lfunc_end367:
	.size	_Z38paged_attention_ll4mi_QKV_mfma4_kernelIDF16_DF16_LN4vllm18Fp8KVCacheDataTypeE0EDF16_Li32ELi128ELi256ELb0ELi4EEvPKT_PKT0_S7_ifPKiS9_S9_iPKfiiiPfSC_PS2_PT2_iSB_SB_, .Lfunc_end367-_Z38paged_attention_ll4mi_QKV_mfma4_kernelIDF16_DF16_LN4vllm18Fp8KVCacheDataTypeE0EDF16_Li32ELi128ELi256ELb0ELi4EEvPKT_PKT0_S7_ifPKiS9_S9_iPKfiiiPfSC_PS2_PT2_iSB_SB_
                                        ; -- End function
	.section	.AMDGPU.csdata,"",@progbits
; Kernel info:
; codeLenInByte = 3844
; NumSgprs: 44
; NumVgprs: 90
; NumAgprs: 8
; TotalNumVgprs: 100
; ScratchSize: 0
; MemoryBound: 0
; FloatMode: 240
; IeeeMode: 1
; LDSByteSize: 5280 bytes/workgroup (compile time only)
; SGPRBlocks: 5
; VGPRBlocks: 12
; NumSGPRsForWavesPerEU: 44
; NumVGPRsForWavesPerEU: 100
; AccumOffset: 92
; Occupancy: 4
; WaveLimiterHint : 1
; COMPUTE_PGM_RSRC2:SCRATCH_EN: 0
; COMPUTE_PGM_RSRC2:USER_SGPR: 2
; COMPUTE_PGM_RSRC2:TRAP_HANDLER: 0
; COMPUTE_PGM_RSRC2:TGID_X_EN: 1
; COMPUTE_PGM_RSRC2:TGID_Y_EN: 1
; COMPUTE_PGM_RSRC2:TGID_Z_EN: 1
; COMPUTE_PGM_RSRC2:TIDIG_COMP_CNT: 0
; COMPUTE_PGM_RSRC3_GFX90A:ACCUM_OFFSET: 22
; COMPUTE_PGM_RSRC3_GFX90A:TG_SPLIT: 0
	.section	.text._Z39paged_attention_ll4mi_QKV_mfma16_kernelIDF16_DF16_LN4vllm18Fp8KVCacheDataTypeE0EDF16_Li32ELi128ELi256ELb0ELi5EEvPKT_PKT0_S7_ifPKiS9_S9_iPKfiiiPfSC_PS2_PT2_iSB_SB_,"axG",@progbits,_Z39paged_attention_ll4mi_QKV_mfma16_kernelIDF16_DF16_LN4vllm18Fp8KVCacheDataTypeE0EDF16_Li32ELi128ELi256ELb0ELi5EEvPKT_PKT0_S7_ifPKiS9_S9_iPKfiiiPfSC_PS2_PT2_iSB_SB_,comdat
	.protected	_Z39paged_attention_ll4mi_QKV_mfma16_kernelIDF16_DF16_LN4vllm18Fp8KVCacheDataTypeE0EDF16_Li32ELi128ELi256ELb0ELi5EEvPKT_PKT0_S7_ifPKiS9_S9_iPKfiiiPfSC_PS2_PT2_iSB_SB_ ; -- Begin function _Z39paged_attention_ll4mi_QKV_mfma16_kernelIDF16_DF16_LN4vllm18Fp8KVCacheDataTypeE0EDF16_Li32ELi128ELi256ELb0ELi5EEvPKT_PKT0_S7_ifPKiS9_S9_iPKfiiiPfSC_PS2_PT2_iSB_SB_
	.globl	_Z39paged_attention_ll4mi_QKV_mfma16_kernelIDF16_DF16_LN4vllm18Fp8KVCacheDataTypeE0EDF16_Li32ELi128ELi256ELb0ELi5EEvPKT_PKT0_S7_ifPKiS9_S9_iPKfiiiPfSC_PS2_PT2_iSB_SB_
	.p2align	8
	.type	_Z39paged_attention_ll4mi_QKV_mfma16_kernelIDF16_DF16_LN4vllm18Fp8KVCacheDataTypeE0EDF16_Li32ELi128ELi256ELb0ELi5EEvPKT_PKT0_S7_ifPKiS9_S9_iPKfiiiPfSC_PS2_PT2_iSB_SB_,@function
_Z39paged_attention_ll4mi_QKV_mfma16_kernelIDF16_DF16_LN4vllm18Fp8KVCacheDataTypeE0EDF16_Li32ELi128ELi256ELb0ELi5EEvPKT_PKT0_S7_ifPKiS9_S9_iPKfiiiPfSC_PS2_PT2_iSB_SB_: ; @_Z39paged_attention_ll4mi_QKV_mfma16_kernelIDF16_DF16_LN4vllm18Fp8KVCacheDataTypeE0EDF16_Li32ELi128ELi256ELb0ELi5EEvPKT_PKT0_S7_ifPKiS9_S9_iPKfiiiPfSC_PS2_PT2_iSB_SB_
; %bb.0:
	s_load_dwordx2 s[8:9], s[0:1], 0x30
	s_mov_b32 s26, s3
	s_mov_b64 s[6:7], 0
	s_waitcnt lgkmcnt(0)
	s_cmp_lg_u64 s[8:9], 0
	s_cselect_b64 s[10:11], -1, 0
	s_and_b64 vcc, exec, s[10:11]
	s_cbranch_vccz .LBB368_7
; %bb.1:
	s_add_i32 s12, s2, 1
	s_mov_b32 s13, 0
	s_lshl_b64 s[14:15], s[12:13], 2
	s_add_u32 s14, s8, s14
	s_mov_b32 s3, s13
	s_addc_u32 s15, s9, s15
	s_lshl_b64 s[12:13], s[2:3], 2
	s_add_u32 s12, s8, s12
	s_addc_u32 s13, s9, s13
	s_load_dword s5, s[14:15], 0x0
	s_load_dword s16, s[12:13], 0x0
	s_waitcnt lgkmcnt(0)
	s_sub_i32 s5, s5, s16
	s_cmp_eq_u32 s5, 1
	s_cselect_b64 s[12:13], -1, 0
	s_andn2_b64 vcc, exec, s[6:7]
	s_cbranch_vccnz .LBB368_3
.LBB368_2:
	s_mov_b32 s3, 0
	s_mov_b64 s[12:13], -1
.LBB368_3:
	s_andn2_b64 vcc, exec, s[12:13]
	s_cbranch_vccnz .LBB368_20
; %bb.4:
	s_load_dwordx2 s[6:7], s[0:1], 0x28
	s_lshl_b64 s[12:13], s[2:3], 2
	s_waitcnt lgkmcnt(0)
	s_add_u32 s6, s6, s12
	s_addc_u32 s7, s7, s13
	s_load_dword s33, s[6:7], 0x0
	s_lshl_b32 s18, s26, 8
	s_waitcnt lgkmcnt(0)
	s_cmp_ge_i32 s18, s33
	s_cbranch_scc1 .LBB368_20
; %bb.5:
	s_load_dwordx2 s[6:7], s[0:1], 0x20
	s_load_dword s5, s[0:1], 0x38
	s_add_i32 s14, s33, 31
	s_ashr_i32 s15, s14, 31
	v_and_b32_e32 v1, 0xcf, v0
	s_lshr_b32 s15, s15, 27
	v_add_u32_e32 v1, s18, v1
	s_add_i32 s14, s14, s15
	v_ashrrev_i32_e32 v2, 31, v1
	s_ashr_i32 s19, s14, 5
	v_lshrrev_b32_e32 v4, 27, v2
	s_add_i32 s19, s19, -1
	s_waitcnt lgkmcnt(0)
	s_mul_i32 s14, s2, s5
	s_mov_b32 s15, 0
	v_add_u32_e32 v2, v1, v4
	s_lshl_b64 s[14:15], s[14:15], 2
	v_ashrrev_i32_e32 v2, 5, v2
	v_mov_b32_e32 v5, s19
	v_cmp_gt_i32_e32 vcc, s33, v1
	s_add_u32 s6, s6, s14
	s_addc_u32 s7, s7, s15
	v_cndmask_b32_e32 v2, v5, v2, vcc
	v_ashrrev_i32_e32 v3, 31, v2
	v_lshl_add_u64 v[6:7], v[2:3], 2, s[6:7]
	v_or_b32_e32 v2, 16, v1
	v_add_u32_e32 v3, v2, v4
	v_ashrrev_i32_e32 v3, 5, v3
	v_cmp_gt_i32_e32 vcc, s33, v2
	s_nop 1
	v_cndmask_b32_e32 v2, v5, v3, vcc
	v_ashrrev_i32_e32 v3, 31, v2
	v_lshl_add_u64 v[8:9], v[2:3], 2, s[6:7]
	v_or_b32_e32 v2, 32, v1
	v_add_u32_e32 v3, v2, v4
	v_ashrrev_i32_e32 v3, 5, v3
	v_cmp_gt_i32_e32 vcc, s33, v2
	v_or_b32_e32 v1, 48, v1
	s_nop 0
	v_cndmask_b32_e32 v2, v5, v3, vcc
	v_ashrrev_i32_e32 v3, 31, v2
	v_lshl_add_u64 v[10:11], v[2:3], 2, s[6:7]
	v_add_u32_e32 v2, v1, v4
	v_ashrrev_i32_e32 v2, 5, v2
	v_cmp_gt_i32_e32 vcc, s33, v1
	s_nop 1
	v_cndmask_b32_e32 v2, v5, v2, vcc
	v_ashrrev_i32_e32 v3, 31, v2
	v_lshl_add_u64 v[12:13], v[2:3], 2, s[6:7]
	global_load_dword v2, v[6:7], off
	global_load_dword v5, v[8:9], off
	;; [unrolled: 1-line block ×4, first 2 shown]
	s_andn2_b64 vcc, exec, s[10:11]
	s_cbranch_vccnz .LBB368_8
; %bb.6:
	s_add_u32 s8, s8, s12
	s_addc_u32 s9, s9, s13
	s_load_dword s5, s[8:9], 0x0
	s_branch .LBB368_9
.LBB368_7:
	s_mov_b64 s[12:13], 0
	s_branch .LBB368_2
.LBB368_8:
	s_mov_b32 s5, s2
.LBB368_9:
	s_load_dwordx4 s[12:15], s[0:1], 0x8
	s_load_dwordx4 s[8:11], s[0:1], 0x48
	v_lshrrev_b32_e32 v86, 6, v0
	v_bfe_u32 v1, v0, 4, 2
	v_lshl_or_b32 v3, v86, 2, v1
	v_and_b32_e32 v76, 15, v0
	v_lshlrev_b32_e32 v74, 3, v76
	v_cmp_lt_u32_e32 vcc, 4, v3
	s_and_saveexec_b64 s[16:17], vcc
	s_xor_b64 s[16:17], exec, s[16:17]
; %bb.10:
	v_mov_b32_e32 v75, 0
                                        ; implicit-def: $vgpr3
; %bb.11:
	s_or_saveexec_b64 s[16:17], s[16:17]
	v_and_b32_e32 v77, 63, v0
	s_mul_i32 s40, s4, 5
	s_xor_b64 exec, exec, s[16:17]
	s_cbranch_execz .LBB368_13
; %bb.12:
	s_load_dwordx2 s[20:21], s[0:1], 0x0
	s_waitcnt lgkmcnt(0)
	s_ashr_i32 s11, s8, 31
	s_mul_hi_u32 s22, s5, s8
	s_mul_i32 s11, s5, s11
	s_add_i32 s23, s22, s11
	s_mul_i32 s22, s5, s8
	s_lshl_b64 s[22:23], s[22:23], 1
	s_add_u32 s20, s20, s22
	v_add_lshl_u32 v6, v3, s40, 7
	s_addc_u32 s21, s21, s23
	v_ashrrev_i32_e32 v7, 31, v6
	v_mov_b32_e32 v75, 0
	v_lshl_add_u64 v[6:7], v[6:7], 1, s[20:21]
	v_lshlrev_b32_e32 v8, 1, v74
	v_mov_b32_e32 v9, v75
	v_lshl_add_u64 v[6:7], v[6:7], 0, v[8:9]
	global_load_dwordx4 v[6:9], v[6:7], off
	v_and_b32_e32 v10, 3, v0
	v_lshlrev_b32_e32 v11, 9, v76
	v_lshlrev_b32_e32 v3, 5, v3
	;; [unrolled: 1-line block ×3, first 2 shown]
	v_and_b32_e32 v11, 0x1800, v11
	v_or3_b32 v3, v11, v10, v3
	s_waitcnt vmcnt(0)
	ds_write_b128 v3, v[6:9]
.LBB368_13:
	s_or_b64 exec, exec, s[16:17]
	s_waitcnt lgkmcnt(0)
	s_mul_i32 s4, s4, s10
	s_mov_b32 s5, 0
	s_lshl_b64 s[4:5], s[4:5], 1
	s_add_u32 s10, s12, s4
	s_addc_u32 s11, s13, s5
	s_waitcnt vmcnt(3)
	v_mad_i64_i32 v[2:3], s[12:13], v2, s9, 0
	v_lshl_add_u64 v[6:7], v[2:3], 1, s[10:11]
	v_lshlrev_b64 v[2:3], 1, v[74:75]
	v_lshlrev_b32_e32 v46, 9, v1
	v_lshl_add_u64 v[6:7], v[6:7], 0, v[2:3]
	v_mov_b32_e32 v47, 0
	v_lshl_add_u64 v[8:9], v[6:7], 0, v[46:47]
	s_load_dword s27, s[0:1], 0x98
	s_load_dword s8, s[0:1], 0x1c
	s_waitcnt lgkmcnt(0)
	s_barrier
	global_load_dwordx4 v[38:41], v[8:9], off
	s_waitcnt vmcnt(3)
	v_mad_i64_i32 v[10:11], s[12:13], v5, s9, 0
	v_mov_b32_e32 v5, 0x100
	v_lshl_add_u64 v[10:11], v[10:11], 1, s[10:11]
	v_lshl_or_b32 v50, v76, 4, v5
	v_mov_b32_e32 v51, v47
	v_lshl_add_u64 v[22:23], v[10:11], 0, v[50:51]
	v_lshl_add_u64 v[10:11], v[22:23], 0, v[46:47]
	global_load_dwordx4 v[42:45], v[10:11], off
	global_load_dwordx4 v[18:21], v[8:9], off offset:2048
	global_load_dwordx4 v[26:29], v[10:11], off offset:2048
	v_or_b32_e32 v52, 0x1000, v46
	v_mov_b32_e32 v53, v47
	v_or_b32_e32 v48, 0x1800, v46
	v_mov_b32_e32 v49, v47
	v_lshl_add_u64 v[8:9], v[6:7], 0, v[52:53]
	v_lshl_add_u64 v[6:7], v[6:7], 0, v[48:49]
	global_load_dwordx4 v[14:17], v[8:9], off
	global_load_dwordx4 v[10:13], v[6:7], off
	v_lshl_add_u64 v[8:9], v[22:23], 0, v[52:53]
	global_load_dwordx4 v[30:33], v[8:9], off
	s_waitcnt vmcnt(8)
	v_mad_i64_i32 v[4:5], s[12:13], v4, s9, 0
	v_lshl_add_u64 v[4:5], v[4:5], 1, s[10:11]
	v_lshl_add_u64 v[56:57], v[4:5], 0, v[2:3]
	v_mul_lo_u16_e32 v2, 52, v76
	v_mov_b32_e32 v3, 5
	v_mul_lo_u16_sdwa v2, v2, v3 dst_sel:DWORD dst_unused:UNUSED_PAD src0_sel:BYTE_1 src1_sel:DWORD
	v_sub_u16_e32 v2, v76, v2
	v_and_b32_e32 v2, 0xff, v2
	v_lshl_add_u64 v[6:7], v[22:23], 0, v[48:49]
	global_load_dwordx4 v[22:25], v[6:7], off
	v_lshl_add_u64 v[54:55], v[56:57], 0, v[46:47]
	v_lshl_add_u32 v59, v2, 5, v46
	global_load_dwordx4 v[34:37], v[54:55], off
	ds_read_b128 v[6:9], v59
	ds_read_b128 v[2:5], v59 offset:2048
	v_and_or_b32 v70, v0, 48, s18
	v_or_b32_e32 v71, 64, v70
	v_mov_b32_e32 v78, s19
	v_cmp_gt_i32_e32 vcc, s33, v70
	v_or_b32_e32 v79, 0x80, v70
	v_or_b32_e32 v80, 0xc0, v70
	s_mov_b32 s41, 0xff7fffff
	s_waitcnt vmcnt(7) lgkmcnt(1)
	v_mfma_f32_16x16x16_f16 v[64:67], v[42:43], v[6:7], 0
	v_mfma_f32_16x16x16_f16 v[60:63], v[38:39], v[6:7], 0
	v_mad_i64_i32 v[38:39], s[12:13], v58, s9, 0
	v_lshl_add_u64 v[68:69], v[38:39], 1, s[10:11]
	v_mfma_f32_16x16x16_f16 v[60:63], v[40:41], v[8:9], v[60:63]
	v_lshl_add_u64 v[72:73], v[68:69], 0, v[50:51]
	v_lshl_add_u64 v[50:51], v[56:57], 0, v[52:53]
	s_ashr_i32 s12, s18, 31
	v_mfma_f32_16x16x16_f16 v[64:67], v[44:45], v[8:9], v[64:67]
	ds_read_b128 v[42:45], v59 offset:4096
	ds_read_b128 v[38:41], v59 offset:6144
	v_lshl_add_u64 v[82:83], v[72:73], 0, v[52:53]
	global_load_dwordx4 v[50:53], v[50:51], off
	s_waitcnt vmcnt(7) lgkmcnt(2)
	v_mfma_f32_16x16x16_f16 v[58:61], v[18:19], v[2:3], v[60:63]
	s_lshr_b32 s10, s12, 27
	v_add_u32_e32 v81, s10, v70
	v_add_u32_e32 v84, s10, v71
	s_waitcnt vmcnt(6)
	v_mfma_f32_16x16x16_f16 v[62:65], v[26:27], v[2:3], v[64:67]
	v_lshl_add_u64 v[68:69], v[72:73], 0, v[46:47]
	v_ashrrev_i32_e32 v46, 5, v81
	v_add_u32_e32 v85, s10, v79
	v_lshl_add_u64 v[66:67], v[56:57], 0, v[48:49]
	global_load_dwordx4 v[54:57], v[54:55], off offset:2048
	v_mfma_f32_16x16x16_f16 v[18:21], v[20:21], v[4:5], v[58:61]
	v_add_u32_e32 v87, s10, v80
	s_add_u32 s4, s14, s4
	s_addc_u32 s5, s15, s5
	v_mfma_f32_16x16x16_f16 v[26:29], v[28:29], v[4:5], v[62:65]
	v_ashrrev_i32_e32 v58, 5, v84
	s_waitcnt vmcnt(6) lgkmcnt(1)
	v_mfma_f32_16x16x16_f16 v[18:21], v[14:15], v[42:43], v[18:21]
	v_cndmask_b32_e32 v14, v78, v46, vcc
	v_cmp_gt_i32_e32 vcc, s33, v71
	v_ashrrev_i32_e32 v15, 31, v14
	s_waitcnt vmcnt(4)
	v_mfma_f32_16x16x16_f16 v[26:29], v[30:31], v[42:43], v[26:29]
	v_cndmask_b32_e32 v30, v78, v58, vcc
	v_ashrrev_i32_e32 v31, 31, v30
	v_lshl_add_u64 v[14:15], v[14:15], 2, s[6:7]
	v_lshl_add_u64 v[30:31], v[30:31], 2, s[6:7]
	global_load_dword v92, v[14:15], off
	global_load_dword v93, v[30:31], off
	v_mfma_f32_16x16x16_f16 v[14:17], v[16:17], v[44:45], v[18:21]
	global_load_dwordx4 v[58:61], v[68:69], off
	v_ashrrev_i32_e32 v62, 5, v85
	global_load_dwordx4 v[82:85], v[82:83], off
	v_cmp_gt_i32_e32 vcc, s33, v79
	global_load_dwordx4 v[18:21], v[66:67], off
	s_waitcnt lgkmcnt(0)
	v_mfma_f32_16x16x16_f16 v[14:17], v[10:11], v[38:39], v[14:17]
	v_cndmask_b32_e32 v10, v78, v62, vcc
	v_ashrrev_i32_e32 v11, 31, v10
	v_lshl_add_u64 v[10:11], v[10:11], 2, s[6:7]
	global_load_dword v62, v[10:11], off
	v_ashrrev_i32_e32 v63, 5, v87
	global_load_dwordx4 v[68:71], v[68:69], off offset:2048
	v_cmp_gt_i32_e32 vcc, s33, v80
	v_mfma_f32_16x16x16_f16 v[64:67], v[12:13], v[40:41], v[14:17]
	v_lshl_or_b32 v87, v86, 4, v76
	v_cndmask_b32_e32 v10, v78, v63, vcc
	v_ashrrev_i32_e32 v11, 31, v10
	v_lshl_add_u64 v[10:11], v[10:11], 2, s[6:7]
	global_load_dword v63, v[10:11], off
	v_lshl_add_u64 v[14:15], v[72:73], 0, v[48:49]
	global_load_dwordx4 v[88:91], v[14:15], off
	s_waitcnt vmcnt(11)
	v_mfma_f32_16x16x16_f16 v[10:13], v[34:35], v[6:7], 0
	v_and_b32_e32 v14, 16, v0
	v_lshlrev_b32_e32 v46, 1, v14
	v_mfma_f32_16x16x16_f16 v[10:13], v[36:37], v[8:9], v[10:13]
	v_lshl_add_u64 v[36:37], s[4:5], 0, v[46:47]
	v_lshlrev_b32_e32 v46, 6, v87
	v_lshl_add_u64 v[48:49], v[36:37], 0, v[46:47]
	v_mfma_f32_16x16x16_f16 v[26:29], v[32:33], v[44:45], v[26:29]
	v_or_b32_e32 v46, 0x1000, v46
	s_waitcnt vmcnt(8)
	v_mad_i64_i32 v[14:15], s[4:5], v92, s9, 0
	v_mfma_f32_16x16x16_f16 v[10:13], v[54:55], v[2:3], v[10:13]
	v_mfma_f32_16x16x16_f16 v[10:13], v[56:57], v[4:5], v[10:13]
	v_lshlrev_b64 v[56:57], 1, v[14:15]
	v_lshl_add_u64 v[14:15], v[48:49], 0, v[56:57]
	v_mfma_f32_16x16x16_f16 v[10:13], v[50:51], v[42:43], v[10:13]
	v_mfma_f32_16x16x16_f16 v[10:13], v[52:53], v[44:45], v[10:13]
	;; [unrolled: 1-line block ×3, first 2 shown]
	s_waitcnt vmcnt(4)
	v_mfma_f32_16x16x16_f16 v[10:13], v[18:19], v[38:39], v[10:13]
	v_mfma_f32_16x16x16_f16 v[78:81], v[24:25], v[40:41], v[26:29]
	global_load_dwordx4 v[30:33], v[14:15], off
	s_nop 2
	global_load_dwordx4 v[26:29], v[14:15], off offset:16
	v_mad_i64_i32 v[14:15], s[4:5], v93, s9, 0
	v_lshlrev_b64 v[34:35], 1, v[14:15]
	v_mfma_f32_16x16x16_f16 v[52:55], v[20:21], v[40:41], v[10:13]
	s_nop 2
	v_lshl_add_u64 v[10:11], v[48:49], 0, v[34:35]
	global_load_dwordx4 v[22:25], v[10:11], off
	global_load_dwordx4 v[18:21], v[10:11], off offset:16
	v_mfma_f32_16x16x16_f16 v[10:13], v[58:59], v[6:7], 0
	s_waitcnt vmcnt(7)
	v_mad_i64_i32 v[6:7], s[4:5], v62, s9, 0
	v_lshlrev_b64 v[50:51], 1, v[6:7]
	v_mfma_f32_16x16x16_f16 v[6:9], v[60:61], v[8:9], v[10:13]
	s_waitcnt vmcnt(6)
	v_mfma_f32_16x16x16_f16 v[6:9], v[68:69], v[2:3], v[6:9]
	s_waitcnt vmcnt(5)
	v_mad_i64_i32 v[2:3], s[4:5], v63, s9, 0
	v_lshlrev_b64 v[58:59], 1, v[2:3]
	v_mfma_f32_16x16x16_f16 v[60:63], v[70:71], v[4:5], v[6:9]
	v_lshl_add_u64 v[10:11], v[48:49], 0, v[50:51]
	v_lshl_add_u64 v[2:3], v[48:49], 0, v[58:59]
	global_load_dwordx4 v[14:17], v[10:11], off
	s_nop 0
	global_load_dwordx4 v[10:13], v[10:11], off offset:16
	v_mfma_f32_16x16x16_f16 v[68:71], v[82:83], v[42:43], v[60:63]
	v_pk_mul_f32 v[82:83], s[8:9], v[66:67] op_sel_hi:[0,1]
	global_load_dwordx4 v[6:9], v[2:3], off
	s_nop 0
	global_load_dwordx4 v[2:5], v[2:3], off offset:16
	v_lshl_add_u64 v[62:63], v[36:37], 0, v[46:47]
	v_mfma_f32_16x16x16_f16 v[42:45], v[84:85], v[44:45], v[68:71]
	v_pk_mul_f32 v[60:61], s[8:9], v[64:65] op_sel_hi:[0,1]
	v_pk_mul_f32 v[84:85], s[8:9], v[80:81] op_sel_hi:[0,1]
	;; [unrolled: 1-line block ×3, first 2 shown]
	s_waitcnt vmcnt(8)
	v_mfma_f32_16x16x16_f16 v[36:39], v[88:89], v[38:39], v[42:45]
	v_pk_mul_f32 v[70:71], s[8:9], v[78:79] op_sel_hi:[0,1]
	v_pk_mul_f32 v[78:79], s[8:9], v[54:55] op_sel_hi:[0,1]
	v_lshl_add_u64 v[56:57], v[62:63], 0, v[56:57]
	v_mfma_f32_16x16x16_f16 v[36:39], v[90:91], v[40:41], v[36:39]
	v_lshl_add_u64 v[34:35], v[62:63], 0, v[34:35]
	v_lshl_add_u64 v[50:51], v[62:63], 0, v[50:51]
	;; [unrolled: 1-line block ×3, first 2 shown]
	s_nop 3
	v_pk_mul_f32 v[72:73], s[8:9], v[36:37] op_sel_hi:[0,1]
	v_and_b32_e32 v36, 0xc0, v0
	v_add_u32_e32 v36, s18, v36
	v_lshl_or_b32 v36, v1, 2, v36
	v_pk_mul_f32 v[66:67], s[8:9], v[38:39] op_sel_hi:[0,1]
	v_or_b32_e32 v39, 1, v36
	v_mov_b32_e32 v37, 0xff7fffff
	v_cmp_gt_i32_e64 s[28:29], s33, v36
	v_cmp_gt_i32_e64 s[30:31], s33, v39
	v_or_b32_e32 v40, 3, v36
	v_cndmask_b32_e64 v38, v37, v60, s[28:29]
	v_cndmask_b32_e64 v39, v37, v61, s[30:31]
	v_max3_f32 v38, v38, s41, v39
	v_or_b32_e32 v39, 2, v36
	v_cmp_gt_i32_e64 s[34:35], s33, v39
	v_cmp_gt_i32_e64 s[36:37], s33, v40
	s_nop 0
	v_cndmask_b32_e64 v39, v37, v82, s[34:35]
	v_cndmask_b32_e64 v40, v37, v83, s[36:37]
	v_max3_f32 v38, v38, v39, v40
	v_or_b32_e32 v39, 16, v36
	v_or_b32_e32 v40, 17, v36
	v_cmp_gt_i32_e64 s[22:23], s33, v39
	v_cmp_gt_i32_e64 s[24:25], s33, v40
	s_nop 0
	v_cndmask_b32_e64 v39, v37, v70, s[22:23]
	v_cndmask_b32_e64 v40, v37, v71, s[24:25]
	v_max3_f32 v38, v38, v39, v40
	v_or_b32_e32 v39, 18, v36
	;; [unrolled: 8-line block ×6, first 2 shown]
	v_or_b32_e32 v36, 51, v36
	v_cmp_gt_i32_e32 vcc, s33, v39
	v_cmp_gt_i32_e64 s[4:5], s33, v36
	s_nop 0
	v_cndmask_b32_e32 v39, v37, v66, vcc
	v_cndmask_b32_e64 v36, v37, v67, s[4:5]
	v_max3_f32 v52, v38, v39, v36
	v_mbcnt_lo_u32_b32 v36, -1, 0
	v_mbcnt_hi_u32_b32 v53, -1, v36
	v_and_b32_e32 v36, 64, v53
	v_add_u32_e32 v54, 64, v36
	v_xor_b32_e32 v36, 32, v53
	v_cmp_lt_i32_e64 s[38:39], v36, v54
	global_load_dwordx4 v[46:49], v[56:57], off
	global_load_dwordx4 v[38:41], v[56:57], off offset:16
	v_cndmask_b32_e64 v36, v53, v36, s[38:39]
	v_lshlrev_b32_e32 v89, 2, v36
	ds_bpermute_b32 v55, v89, v52
	global_load_dwordx4 v[42:45], v[34:35], off
	s_nop 0
	global_load_dwordx4 v[34:37], v[34:35], off offset:16
	s_waitcnt lgkmcnt(0)
	v_max_f32_e32 v55, v55, v55
	v_max_f32_e32 v64, v52, v55
	v_xor_b32_e32 v52, 16, v53
	v_cmp_lt_i32_e64 s[38:39], v52, v54
	s_nop 1
	v_cndmask_b32_e64 v52, v53, v52, s[38:39]
	v_lshlrev_b32_e32 v90, 2, v52
	ds_bpermute_b32 v65, v90, v64
	global_load_dwordx4 v[54:57], v[50:51], off
	s_nop 0
	global_load_dwordx4 v[50:53], v[50:51], off offset:16
	s_waitcnt lgkmcnt(0)
	v_max_f32_e32 v62, v65, v65
	v_max_f32_e32 v88, v64, v62
	v_sub_f32_e32 v60, v60, v88
	v_mul_f32_e32 v60, 0x3fb8aa3b, v60
	v_exp_f32_e32 v68, v60
	v_sub_f32_e32 v60, v61, v88
	v_mul_f32_e32 v60, 0x3fb8aa3b, v60
	v_exp_f32_e32 v69, v60
	global_load_dwordx4 v[62:65], v[58:59], off
	s_nop 0
	global_load_dwordx4 v[58:61], v[58:59], off offset:16
	v_sub_f32_e32 v82, v82, v88
	v_mul_f32_e32 v82, 0x3fb8aa3b, v82
	v_sub_f32_e32 v83, v83, v88
	v_exp_f32_e32 v82, v82
	v_mul_f32_e32 v83, 0x3fb8aa3b, v83
	v_sub_f32_e32 v70, v70, v88
	v_exp_f32_e32 v83, v83
	v_mul_f32_e32 v70, 0x3fb8aa3b, v70
	v_sub_f32_e32 v71, v71, v88
	v_cndmask_b32_e64 v68, 0, v68, s[28:29]
	v_exp_f32_e32 v70, v70
	v_mul_f32_e32 v71, 0x3fb8aa3b, v71
	v_sub_f32_e32 v84, v84, v88
	v_add_f32_e32 v91, 0, v68
	v_cndmask_b32_e64 v69, 0, v69, s[30:31]
	v_exp_f32_e32 v71, v71
	v_mul_f32_e32 v84, 0x3fb8aa3b, v84
	v_sub_f32_e32 v85, v85, v88
	v_add_f32_e32 v91, v91, v69
	;; [unrolled: 5-line block ×10, first 2 shown]
	v_cndmask_b32_e64 v78, 0, v78, s[10:11]
	v_exp_f32_e32 v66, v66
	v_mul_f32_e32 v67, 0x3fb8aa3b, v67
	v_add_f32_e32 v91, v91, v78
	v_cndmask_b32_e64 v79, 0, v79, s[12:13]
	v_exp_f32_e32 v67, v67
	v_add_f32_e32 v91, v91, v79
	v_cndmask_b32_e64 v72, 0, v72, s[6:7]
	v_add_f32_e32 v91, v91, v72
	v_cndmask_b32_e64 v73, 0, v73, s[8:9]
	v_add_f32_e32 v91, v91, v73
	v_cndmask_b32_e32 v66, 0, v66, vcc
	v_add_f32_e32 v91, v91, v66
	v_cndmask_b32_e64 v67, 0, v67, s[4:5]
	v_add_f32_e32 v91, v91, v67
	ds_bpermute_b32 v89, v89, v91
	v_cmp_gt_u32_e64 s[4:5], 16, v77
	s_waitcnt lgkmcnt(0)
	s_barrier
	v_add_f32_e32 v89, v91, v89
	ds_bpermute_b32 v90, v90, v89
	s_and_saveexec_b64 s[6:7], s[4:5]
	s_cbranch_execz .LBB368_15
; %bb.14:
	s_waitcnt lgkmcnt(0)
	v_add_f32_e32 v77, v89, v90
	v_lshlrev_b32_e32 v87, 2, v87
	ds_write2st64_b32 v87, v88, v77 offset1:1
.LBB368_15:
	s_or_b64 exec, exec, s[6:7]
	v_lshlrev_b32_e32 v77, 2, v76
	s_load_dword s8, s[0:1], 0x94
	s_waitcnt lgkmcnt(0)
	s_barrier
	ds_read2_b32 v[88:89], v77 offset1:16
	ds_read2_b32 v[90:91], v77 offset0:32 offset1:48
	ds_read2_b32 v[92:93], v77 offset0:64 offset1:80
	;; [unrolled: 1-line block ×3, first 2 shown]
	s_waitcnt lgkmcnt(0)
	v_max3_f32 v87, v88, s41, v89
	v_max3_f32 v87, v87, v90, v91
	v_sub_f32_e32 v88, v88, v87
	v_mul_f32_e32 v88, 0x3fb8aa3b, v88
	v_exp_f32_e32 v86, v88
	v_sub_f32_e32 v88, v89, v87
	v_mul_f32_e32 v88, 0x3fb8aa3b, v88
	v_exp_f32_e32 v89, v88
	v_sub_f32_e32 v88, v90, v87
	v_mul_f32_e32 v88, 0x3fb8aa3b, v88
	v_sub_f32_e32 v77, v91, v87
	v_exp_f32_e32 v90, v88
	v_mul_f32_e32 v77, 0x3fb8aa3b, v77
	v_exp_f32_e32 v77, v77
	v_fma_f32 v88, v86, v92, 0
	v_fmac_f32_e32 v88, v89, v93
	v_fmac_f32_e32 v88, v90, v94
	;; [unrolled: 1-line block ×3, first 2 shown]
	v_add_f32_e32 v91, 0x358637bd, v88
	v_div_scale_f32 v92, s[6:7], v91, v91, 1.0
	v_rcp_f32_e32 v93, v92
	s_barrier
	s_mul_i32 s9, s27, 5
	v_fma_f32 v94, -v92, v93, 1.0
	v_fmac_f32_e32 v93, v94, v93
	v_div_scale_f32 v94, vcc, 1.0, v91, 1.0
	v_mul_f32_e32 v95, v94, v93
	v_fma_f32 v1, -v92, v95, v94
	v_fmac_f32_e32 v95, v1, v93
	v_fma_f32 v1, -v92, v95, v94
	v_div_fmas_f32 v1, v1, v93, v95
	v_div_fixup_f32 v1, v1, v91, 1.0
	v_lshrrev_b32_e32 v91, 6, v0
	v_cmp_eq_u32_e32 vcc, 1, v91
	s_nop 1
	v_cndmask_b32_e32 v86, v86, v89, vcc
	v_cmp_eq_u32_e32 vcc, 2, v91
	s_nop 1
	v_cndmask_b32_e32 v86, v86, v90, vcc
	;; [unrolled: 3-line block ×3, first 2 shown]
	v_mul_f32_e32 v90, v77, v1
	v_pk_mul_f32 v[82:83], v[90:91], v[82:83] op_sel_hi:[0,1]
	v_pk_mul_f32 v[68:69], v[90:91], v[68:69] op_sel_hi:[0,1]
	v_cvt_f16_f32_e32 v1, v68
	v_cvt_f16_f32_e32 v68, v69
	;; [unrolled: 1-line block ×4, first 2 shown]
	v_pk_mul_f32 v[84:85], v[90:91], v[84:85] op_sel_hi:[0,1]
	v_pk_mul_f32 v[70:71], v[90:91], v[70:71] op_sel_hi:[0,1]
	v_bfe_u32 v86, v0, 4, 2
	v_pack_b32_f16 v83, v69, v77
	v_cvt_f16_f32_e32 v69, v70
	v_cvt_f16_f32_e32 v70, v71
	;; [unrolled: 1-line block ×4, first 2 shown]
	v_pack_b32_f16 v82, v1, v68
	v_lshlrev_b32_e32 v1, 3, v86
	v_lshlrev_b32_e32 v68, 5, v76
	;; [unrolled: 1-line block ×3, first 2 shown]
	v_or3_b32 v1, v84, v68, v1
	v_pack_b32_f16 v70, v69, v70
	v_pack_b32_f16 v71, v71, v77
	ds_write2st64_b64 v1, v[82:83], v[70:71] offset1:1
	v_pk_mul_f32 v[70:71], v[90:91], v[78:79] op_sel_hi:[0,1]
	v_pk_mul_f32 v[78:79], v[90:91], v[80:81] op_sel_hi:[0,1]
	v_cvt_f16_f32_e32 v69, v78
	v_cvt_f16_f32_e32 v77, v79
	;; [unrolled: 1-line block ×4, first 2 shown]
	v_pk_mul_f32 v[66:67], v[90:91], v[66:67] op_sel_hi:[0,1]
	v_pk_mul_f32 v[70:71], v[90:91], v[72:73] op_sel_hi:[0,1]
	v_cvt_f16_f32_e32 v70, v70
	v_cvt_f16_f32_e32 v71, v71
	;; [unrolled: 1-line block ×4, first 2 shown]
	v_pack_b32_f16 v66, v69, v77
	v_pack_b32_f16 v67, v78, v79
	;; [unrolled: 1-line block ×4, first 2 shown]
	v_cmp_gt_u32_e32 vcc, 5, v0
	ds_write2st64_b64 v1, v[66:67], v[70:71] offset0:2 offset1:3
	s_and_saveexec_b64 s[6:7], vcc
	s_cbranch_execz .LBB368_17
; %bb.16:
	s_mov_b32 s41, 0
	v_mov_b32_e32 v77, 0
	v_lshl_add_u64 v[66:67], s[40:41], 0, v[76:77]
	v_mov_b32_e32 v69, s9
	v_mad_u64_u32 v[66:67], s[10:11], s2, v69, v[66:67]
	s_mul_i32 s3, s3, s9
	v_mov_b32_e32 v70, s26
	v_mov_b32_e32 v71, v77
	s_load_dwordx4 s[12:15], s[0:1], 0x58
	v_add_u32_e32 v69, s3, v67
	v_mad_u64_u32 v[66:67], s[10:11], v66, s8, v[70:71]
	v_mov_b32_e32 v70, v67
	v_mad_u64_u32 v[70:71], s[10:11], v69, s8, v[70:71]
	v_mov_b32_e32 v67, v70
	v_lshlrev_b64 v[66:67], 2, v[66:67]
	s_waitcnt lgkmcnt(0)
	v_lshl_add_u64 v[70:71], s[14:15], 0, v[66:67]
	v_lshl_add_u64 v[66:67], s[12:13], 0, v[66:67]
	global_store_dword v[70:71], v87, off
	global_store_dword v[66:67], v88, off
.LBB368_17:
	s_or_b64 exec, exec, s[6:7]
	v_lshl_or_b32 v77, v86, 9, v68
	s_waitcnt lgkmcnt(0)
	s_barrier
	ds_read_b128 v[70:73], v77
	ds_read_b128 v[66:69], v77 offset:16
	s_waitcnt vmcnt(15) lgkmcnt(1)
	v_mfma_f32_16x16x16_f16 v[78:81], v[30:31], v[70:71], 0
	s_mov_b32 s3, 0
	v_cmp_gt_u32_e32 vcc, 64, v0
	v_mfma_f32_16x16x16_f16 v[30:33], v[32:33], v[72:73], v[78:81]
	s_waitcnt vmcnt(14) lgkmcnt(0)
	v_mfma_f32_16x16x16_f16 v[30:33], v[26:27], v[66:67], v[30:33]
	v_mfma_f32_16x16x16_f16 v[26:29], v[28:29], v[68:69], v[30:33]
	s_nop 5
	ds_read_b128 v[30:33], v77 offset:2048
	ds_read_b128 v[78:81], v77 offset:2064
	s_waitcnt vmcnt(13) lgkmcnt(1)
	v_mfma_f32_16x16x16_f16 v[26:29], v[22:23], v[30:31], v[26:29]
	v_mfma_f32_16x16x16_f16 v[22:25], v[24:25], v[32:33], v[26:29]
	s_waitcnt vmcnt(12) lgkmcnt(0)
	v_mfma_f32_16x16x16_f16 v[22:25], v[18:19], v[78:79], v[22:25]
	v_mfma_f32_16x16x16_f16 v[18:21], v[20:21], v[80:81], v[22:25]
	s_nop 5
	ds_read_b128 v[22:25], v77 offset:4096
	ds_read_b128 v[26:29], v77 offset:4112
	s_waitcnt vmcnt(11) lgkmcnt(1)
	v_mfma_f32_16x16x16_f16 v[18:21], v[14:15], v[22:23], v[18:21]
	v_mfma_f32_16x16x16_f16 v[14:17], v[16:17], v[24:25], v[18:21]
	s_waitcnt vmcnt(10) lgkmcnt(0)
	v_mfma_f32_16x16x16_f16 v[14:17], v[10:11], v[26:27], v[14:17]
	v_mfma_f32_16x16x16_f16 v[10:13], v[12:13], v[28:29], v[14:17]
	s_nop 5
	ds_read_b128 v[14:17], v77 offset:6144
	ds_read_b128 v[18:21], v77 offset:6160
	s_waitcnt lgkmcnt(0)
	s_barrier
	s_waitcnt vmcnt(9)
	v_mfma_f32_16x16x16_f16 v[10:13], v[6:7], v[14:15], v[10:13]
	v_mfma_f32_16x16x16_f16 v[6:9], v[8:9], v[16:17], v[10:13]
	s_waitcnt vmcnt(8)
	v_mfma_f32_16x16x16_f16 v[6:9], v[2:3], v[18:19], v[6:9]
	v_mfma_f32_16x16x16_f16 v[2:5], v[4:5], v[20:21], v[6:9]
	;; [unrolled: 3-line block ×3, first 2 shown]
	s_nop 3
	v_cvt_f16_f32_e32 v10, v2
	v_cvt_f16_f32_e32 v11, v3
	;; [unrolled: 1-line block ×3, first 2 shown]
	s_waitcnt vmcnt(6)
	v_mfma_f32_16x16x16_f16 v[6:9], v[38:39], v[66:67], v[6:9]
	v_cvt_f16_f32_e32 v13, v5
	v_mfma_f32_16x16x16_f16 v[6:9], v[40:41], v[68:69], v[6:9]
	s_waitcnt vmcnt(5)
	v_mfma_f32_16x16x16_f16 v[6:9], v[42:43], v[30:31], v[6:9]
	v_mfma_f32_16x16x16_f16 v[6:9], v[44:45], v[32:33], v[6:9]
	s_waitcnt vmcnt(4)
	v_mfma_f32_16x16x16_f16 v[6:9], v[34:35], v[78:79], v[6:9]
	;; [unrolled: 3-line block ×6, first 2 shown]
	v_mfma_f32_16x16x16_f16 v[2:5], v[60:61], v[20:21], v[6:9]
	s_nop 6
	v_cvt_f16_f32_e32 v6, v2
	v_cvt_f16_f32_e32 v7, v3
	;; [unrolled: 1-line block ×4, first 2 shown]
	v_pack_b32_f16 v2, v10, v11
	v_pack_b32_f16 v3, v12, v13
	;; [unrolled: 1-line block ×4, first 2 shown]
	ds_write2st64_b64 v1, v[2:3], v[4:5] offset1:1
	s_waitcnt lgkmcnt(0)
	s_barrier
	s_and_saveexec_b64 s[6:7], vcc
	s_cbranch_execz .LBB368_20
; %bb.18:
	s_load_dwordx2 s[6:7], s[0:1], 0x68
	s_lshl_b32 s0, s8, 7
	s_mul_i32 s1, s9, s2
	v_lshlrev_b32_e32 v3, 6, v76
	s_mul_hi_u32 s9, s1, s0
	s_mul_i32 s8, s1, s0
	v_lshlrev_b32_e32 v2, 4, v0
	v_lshl_or_b32 v0, v0, 10, v3
	s_lshl_b64 s[8:9], s[8:9], 1
	v_lshlrev_b32_e32 v1, 5, v86
	v_and_b32_e32 v2, 16, v2
	v_and_b32_e32 v0, 0x1a00, v0
	s_waitcnt lgkmcnt(0)
	s_add_u32 s1, s6, s8
	v_or3_b32 v2, v0, v1, v2
	s_addc_u32 s6, s7, s9
	s_lshl_b32 s2, s26, 7
	s_lshl_b64 s[2:3], s[2:3], 1
	ds_read_b128 v[4:7], v2
	s_add_u32 s2, s1, s2
	s_addc_u32 s3, s6, s3
	v_add_u32_e32 v3, s40, v86
	v_lshl_add_u64 v[0:1], v[74:75], 1, s[2:3]
	v_mad_u64_u32 v[8:9], s[2:3], v3, s0, 0
	v_lshl_add_u64 v[8:9], v[8:9], 1, v[0:1]
	s_waitcnt lgkmcnt(0)
	global_store_dwordx4 v[8:9], v[4:7], off
	s_and_b64 exec, exec, s[4:5]
	s_cbranch_execz .LBB368_20
; %bb.19:
	ds_read_b128 v[2:5], v2 offset:128
	v_add3_u32 v6, s40, v86, 4
	v_mad_u64_u32 v[6:7], s[0:1], v6, s0, 0
	v_lshl_add_u64 v[0:1], v[6:7], 1, v[0:1]
	s_waitcnt lgkmcnt(0)
	global_store_dwordx4 v[0:1], v[2:5], off
.LBB368_20:
	s_endpgm
	.section	.rodata,"a",@progbits
	.p2align	6, 0x0
	.amdhsa_kernel _Z39paged_attention_ll4mi_QKV_mfma16_kernelIDF16_DF16_LN4vllm18Fp8KVCacheDataTypeE0EDF16_Li32ELi128ELi256ELb0ELi5EEvPKT_PKT0_S7_ifPKiS9_S9_iPKfiiiPfSC_PS2_PT2_iSB_SB_
		.amdhsa_group_segment_fixed_size 8192
		.amdhsa_private_segment_fixed_size 0
		.amdhsa_kernarg_size 400
		.amdhsa_user_sgpr_count 2
		.amdhsa_user_sgpr_dispatch_ptr 0
		.amdhsa_user_sgpr_queue_ptr 0
		.amdhsa_user_sgpr_kernarg_segment_ptr 1
		.amdhsa_user_sgpr_dispatch_id 0
		.amdhsa_user_sgpr_kernarg_preload_length 0
		.amdhsa_user_sgpr_kernarg_preload_offset 0
		.amdhsa_user_sgpr_private_segment_size 0
		.amdhsa_uses_dynamic_stack 0
		.amdhsa_enable_private_segment 0
		.amdhsa_system_sgpr_workgroup_id_x 1
		.amdhsa_system_sgpr_workgroup_id_y 1
		.amdhsa_system_sgpr_workgroup_id_z 1
		.amdhsa_system_sgpr_workgroup_info 0
		.amdhsa_system_vgpr_workitem_id 0
		.amdhsa_next_free_vgpr 96
		.amdhsa_next_free_sgpr 42
		.amdhsa_accum_offset 96
		.amdhsa_reserve_vcc 1
		.amdhsa_float_round_mode_32 0
		.amdhsa_float_round_mode_16_64 0
		.amdhsa_float_denorm_mode_32 3
		.amdhsa_float_denorm_mode_16_64 3
		.amdhsa_dx10_clamp 1
		.amdhsa_ieee_mode 1
		.amdhsa_fp16_overflow 0
		.amdhsa_tg_split 0
		.amdhsa_exception_fp_ieee_invalid_op 0
		.amdhsa_exception_fp_denorm_src 0
		.amdhsa_exception_fp_ieee_div_zero 0
		.amdhsa_exception_fp_ieee_overflow 0
		.amdhsa_exception_fp_ieee_underflow 0
		.amdhsa_exception_fp_ieee_inexact 0
		.amdhsa_exception_int_div_zero 0
	.end_amdhsa_kernel
	.section	.text._Z39paged_attention_ll4mi_QKV_mfma16_kernelIDF16_DF16_LN4vllm18Fp8KVCacheDataTypeE0EDF16_Li32ELi128ELi256ELb0ELi5EEvPKT_PKT0_S7_ifPKiS9_S9_iPKfiiiPfSC_PS2_PT2_iSB_SB_,"axG",@progbits,_Z39paged_attention_ll4mi_QKV_mfma16_kernelIDF16_DF16_LN4vllm18Fp8KVCacheDataTypeE0EDF16_Li32ELi128ELi256ELb0ELi5EEvPKT_PKT0_S7_ifPKiS9_S9_iPKfiiiPfSC_PS2_PT2_iSB_SB_,comdat
.Lfunc_end368:
	.size	_Z39paged_attention_ll4mi_QKV_mfma16_kernelIDF16_DF16_LN4vllm18Fp8KVCacheDataTypeE0EDF16_Li32ELi128ELi256ELb0ELi5EEvPKT_PKT0_S7_ifPKiS9_S9_iPKfiiiPfSC_PS2_PT2_iSB_SB_, .Lfunc_end368-_Z39paged_attention_ll4mi_QKV_mfma16_kernelIDF16_DF16_LN4vllm18Fp8KVCacheDataTypeE0EDF16_Li32ELi128ELi256ELb0ELi5EEvPKT_PKT0_S7_ifPKiS9_S9_iPKfiiiPfSC_PS2_PT2_iSB_SB_
                                        ; -- End function
	.section	.AMDGPU.csdata,"",@progbits
; Kernel info:
; codeLenInByte = 4552
; NumSgprs: 48
; NumVgprs: 96
; NumAgprs: 0
; TotalNumVgprs: 96
; ScratchSize: 0
; MemoryBound: 0
; FloatMode: 240
; IeeeMode: 1
; LDSByteSize: 8192 bytes/workgroup (compile time only)
; SGPRBlocks: 5
; VGPRBlocks: 11
; NumSGPRsForWavesPerEU: 48
; NumVGPRsForWavesPerEU: 96
; AccumOffset: 96
; Occupancy: 5
; WaveLimiterHint : 1
; COMPUTE_PGM_RSRC2:SCRATCH_EN: 0
; COMPUTE_PGM_RSRC2:USER_SGPR: 2
; COMPUTE_PGM_RSRC2:TRAP_HANDLER: 0
; COMPUTE_PGM_RSRC2:TGID_X_EN: 1
; COMPUTE_PGM_RSRC2:TGID_Y_EN: 1
; COMPUTE_PGM_RSRC2:TGID_Z_EN: 1
; COMPUTE_PGM_RSRC2:TIDIG_COMP_CNT: 0
; COMPUTE_PGM_RSRC3_GFX90A:ACCUM_OFFSET: 23
; COMPUTE_PGM_RSRC3_GFX90A:TG_SPLIT: 0
	.section	.text._Z39paged_attention_ll4mi_QKV_mfma16_kernelIDF16_DF16_LN4vllm18Fp8KVCacheDataTypeE0EDF16_Li32ELi128ELi256ELb0ELi6EEvPKT_PKT0_S7_ifPKiS9_S9_iPKfiiiPfSC_PS2_PT2_iSB_SB_,"axG",@progbits,_Z39paged_attention_ll4mi_QKV_mfma16_kernelIDF16_DF16_LN4vllm18Fp8KVCacheDataTypeE0EDF16_Li32ELi128ELi256ELb0ELi6EEvPKT_PKT0_S7_ifPKiS9_S9_iPKfiiiPfSC_PS2_PT2_iSB_SB_,comdat
	.protected	_Z39paged_attention_ll4mi_QKV_mfma16_kernelIDF16_DF16_LN4vllm18Fp8KVCacheDataTypeE0EDF16_Li32ELi128ELi256ELb0ELi6EEvPKT_PKT0_S7_ifPKiS9_S9_iPKfiiiPfSC_PS2_PT2_iSB_SB_ ; -- Begin function _Z39paged_attention_ll4mi_QKV_mfma16_kernelIDF16_DF16_LN4vllm18Fp8KVCacheDataTypeE0EDF16_Li32ELi128ELi256ELb0ELi6EEvPKT_PKT0_S7_ifPKiS9_S9_iPKfiiiPfSC_PS2_PT2_iSB_SB_
	.globl	_Z39paged_attention_ll4mi_QKV_mfma16_kernelIDF16_DF16_LN4vllm18Fp8KVCacheDataTypeE0EDF16_Li32ELi128ELi256ELb0ELi6EEvPKT_PKT0_S7_ifPKiS9_S9_iPKfiiiPfSC_PS2_PT2_iSB_SB_
	.p2align	8
	.type	_Z39paged_attention_ll4mi_QKV_mfma16_kernelIDF16_DF16_LN4vllm18Fp8KVCacheDataTypeE0EDF16_Li32ELi128ELi256ELb0ELi6EEvPKT_PKT0_S7_ifPKiS9_S9_iPKfiiiPfSC_PS2_PT2_iSB_SB_,@function
_Z39paged_attention_ll4mi_QKV_mfma16_kernelIDF16_DF16_LN4vllm18Fp8KVCacheDataTypeE0EDF16_Li32ELi128ELi256ELb0ELi6EEvPKT_PKT0_S7_ifPKiS9_S9_iPKfiiiPfSC_PS2_PT2_iSB_SB_: ; @_Z39paged_attention_ll4mi_QKV_mfma16_kernelIDF16_DF16_LN4vllm18Fp8KVCacheDataTypeE0EDF16_Li32ELi128ELi256ELb0ELi6EEvPKT_PKT0_S7_ifPKiS9_S9_iPKfiiiPfSC_PS2_PT2_iSB_SB_
; %bb.0:
	s_load_dwordx2 s[8:9], s[0:1], 0x30
	s_mov_b32 s26, s3
	s_mov_b64 s[6:7], 0
	s_waitcnt lgkmcnt(0)
	s_cmp_lg_u64 s[8:9], 0
	s_cselect_b64 s[10:11], -1, 0
	s_and_b64 vcc, exec, s[10:11]
	s_cbranch_vccz .LBB369_7
; %bb.1:
	s_add_i32 s12, s2, 1
	s_mov_b32 s13, 0
	s_lshl_b64 s[14:15], s[12:13], 2
	s_add_u32 s14, s8, s14
	s_mov_b32 s3, s13
	s_addc_u32 s15, s9, s15
	s_lshl_b64 s[12:13], s[2:3], 2
	s_add_u32 s12, s8, s12
	s_addc_u32 s13, s9, s13
	s_load_dword s5, s[14:15], 0x0
	s_load_dword s16, s[12:13], 0x0
	s_waitcnt lgkmcnt(0)
	s_sub_i32 s5, s5, s16
	s_cmp_eq_u32 s5, 1
	s_cselect_b64 s[12:13], -1, 0
	s_andn2_b64 vcc, exec, s[6:7]
	s_cbranch_vccnz .LBB369_3
.LBB369_2:
	s_mov_b32 s3, 0
	s_mov_b64 s[12:13], -1
.LBB369_3:
	s_andn2_b64 vcc, exec, s[12:13]
	s_cbranch_vccnz .LBB369_20
; %bb.4:
	s_load_dwordx2 s[6:7], s[0:1], 0x28
	s_lshl_b64 s[12:13], s[2:3], 2
	s_waitcnt lgkmcnt(0)
	s_add_u32 s6, s6, s12
	s_addc_u32 s7, s7, s13
	s_load_dword s33, s[6:7], 0x0
	s_lshl_b32 s18, s26, 8
	s_waitcnt lgkmcnt(0)
	s_cmp_ge_i32 s18, s33
	s_cbranch_scc1 .LBB369_20
; %bb.5:
	s_load_dwordx2 s[6:7], s[0:1], 0x20
	s_load_dword s5, s[0:1], 0x38
	s_add_i32 s14, s33, 31
	s_ashr_i32 s15, s14, 31
	v_and_b32_e32 v1, 0xcf, v0
	s_lshr_b32 s15, s15, 27
	v_add_u32_e32 v1, s18, v1
	s_add_i32 s14, s14, s15
	v_ashrrev_i32_e32 v2, 31, v1
	s_ashr_i32 s19, s14, 5
	v_lshrrev_b32_e32 v4, 27, v2
	s_add_i32 s19, s19, -1
	s_waitcnt lgkmcnt(0)
	s_mul_i32 s14, s2, s5
	s_mov_b32 s15, 0
	v_add_u32_e32 v2, v1, v4
	s_lshl_b64 s[14:15], s[14:15], 2
	v_ashrrev_i32_e32 v2, 5, v2
	v_mov_b32_e32 v5, s19
	v_cmp_gt_i32_e32 vcc, s33, v1
	s_add_u32 s6, s6, s14
	s_addc_u32 s7, s7, s15
	v_cndmask_b32_e32 v2, v5, v2, vcc
	v_ashrrev_i32_e32 v3, 31, v2
	v_lshl_add_u64 v[6:7], v[2:3], 2, s[6:7]
	v_or_b32_e32 v2, 16, v1
	v_add_u32_e32 v3, v2, v4
	v_ashrrev_i32_e32 v3, 5, v3
	v_cmp_gt_i32_e32 vcc, s33, v2
	s_nop 1
	v_cndmask_b32_e32 v2, v5, v3, vcc
	v_ashrrev_i32_e32 v3, 31, v2
	v_lshl_add_u64 v[8:9], v[2:3], 2, s[6:7]
	v_or_b32_e32 v2, 32, v1
	v_add_u32_e32 v3, v2, v4
	v_ashrrev_i32_e32 v3, 5, v3
	v_cmp_gt_i32_e32 vcc, s33, v2
	v_or_b32_e32 v1, 48, v1
	s_nop 0
	v_cndmask_b32_e32 v2, v5, v3, vcc
	v_ashrrev_i32_e32 v3, 31, v2
	v_lshl_add_u64 v[10:11], v[2:3], 2, s[6:7]
	v_add_u32_e32 v2, v1, v4
	v_ashrrev_i32_e32 v2, 5, v2
	v_cmp_gt_i32_e32 vcc, s33, v1
	s_nop 1
	v_cndmask_b32_e32 v2, v5, v2, vcc
	v_ashrrev_i32_e32 v3, 31, v2
	v_lshl_add_u64 v[12:13], v[2:3], 2, s[6:7]
	global_load_dword v2, v[6:7], off
	global_load_dword v5, v[8:9], off
	;; [unrolled: 1-line block ×4, first 2 shown]
	s_andn2_b64 vcc, exec, s[10:11]
	s_cbranch_vccnz .LBB369_8
; %bb.6:
	s_add_u32 s8, s8, s12
	s_addc_u32 s9, s9, s13
	s_load_dword s5, s[8:9], 0x0
	s_branch .LBB369_9
.LBB369_7:
	s_mov_b64 s[12:13], 0
	s_branch .LBB369_2
.LBB369_8:
	s_mov_b32 s5, s2
.LBB369_9:
	s_load_dwordx4 s[12:15], s[0:1], 0x8
	s_load_dwordx4 s[8:11], s[0:1], 0x48
	v_lshrrev_b32_e32 v86, 6, v0
	v_bfe_u32 v1, v0, 4, 2
	v_lshl_or_b32 v3, v86, 2, v1
	v_and_b32_e32 v76, 15, v0
	v_lshlrev_b32_e32 v74, 3, v76
	v_cmp_lt_u32_e32 vcc, 5, v3
	s_and_saveexec_b64 s[16:17], vcc
	s_xor_b64 s[16:17], exec, s[16:17]
; %bb.10:
	v_mov_b32_e32 v75, 0
                                        ; implicit-def: $vgpr3
; %bb.11:
	s_or_saveexec_b64 s[16:17], s[16:17]
	v_and_b32_e32 v77, 63, v0
	s_mul_i32 s40, s4, 6
	s_xor_b64 exec, exec, s[16:17]
	s_cbranch_execz .LBB369_13
; %bb.12:
	s_load_dwordx2 s[20:21], s[0:1], 0x0
	s_waitcnt lgkmcnt(0)
	s_ashr_i32 s11, s8, 31
	s_mul_hi_u32 s22, s5, s8
	s_mul_i32 s11, s5, s11
	s_add_i32 s23, s22, s11
	s_mul_i32 s22, s5, s8
	s_lshl_b64 s[22:23], s[22:23], 1
	s_add_u32 s20, s20, s22
	v_add_lshl_u32 v6, v3, s40, 7
	s_addc_u32 s21, s21, s23
	v_ashrrev_i32_e32 v7, 31, v6
	v_mov_b32_e32 v75, 0
	v_lshl_add_u64 v[6:7], v[6:7], 1, s[20:21]
	v_lshlrev_b32_e32 v8, 1, v74
	v_mov_b32_e32 v9, v75
	v_lshl_add_u64 v[6:7], v[6:7], 0, v[8:9]
	global_load_dwordx4 v[6:9], v[6:7], off
	v_and_b32_e32 v10, 3, v0
	v_lshlrev_b32_e32 v11, 9, v76
	v_lshlrev_b32_e32 v3, 5, v3
	;; [unrolled: 1-line block ×3, first 2 shown]
	v_and_b32_e32 v11, 0x1800, v11
	v_or3_b32 v3, v11, v10, v3
	s_waitcnt vmcnt(0)
	ds_write_b128 v3, v[6:9]
.LBB369_13:
	s_or_b64 exec, exec, s[16:17]
	s_waitcnt lgkmcnt(0)
	s_mul_i32 s4, s4, s10
	s_mov_b32 s5, 0
	s_lshl_b64 s[4:5], s[4:5], 1
	s_add_u32 s10, s12, s4
	s_addc_u32 s11, s13, s5
	s_waitcnt vmcnt(3)
	v_mad_i64_i32 v[2:3], s[12:13], v2, s9, 0
	v_lshl_add_u64 v[6:7], v[2:3], 1, s[10:11]
	v_lshlrev_b64 v[2:3], 1, v[74:75]
	v_lshlrev_b32_e32 v46, 9, v1
	v_lshl_add_u64 v[6:7], v[6:7], 0, v[2:3]
	v_mov_b32_e32 v47, 0
	v_lshl_add_u64 v[8:9], v[6:7], 0, v[46:47]
	s_load_dword s27, s[0:1], 0x98
	s_load_dword s8, s[0:1], 0x1c
	s_waitcnt lgkmcnt(0)
	s_barrier
	global_load_dwordx4 v[38:41], v[8:9], off
	s_waitcnt vmcnt(3)
	v_mad_i64_i32 v[10:11], s[12:13], v5, s9, 0
	v_mov_b32_e32 v5, 0x100
	v_lshl_add_u64 v[10:11], v[10:11], 1, s[10:11]
	v_lshl_or_b32 v50, v76, 4, v5
	v_mov_b32_e32 v51, v47
	v_lshl_add_u64 v[22:23], v[10:11], 0, v[50:51]
	v_lshl_add_u64 v[10:11], v[22:23], 0, v[46:47]
	global_load_dwordx4 v[42:45], v[10:11], off
	global_load_dwordx4 v[18:21], v[8:9], off offset:2048
	global_load_dwordx4 v[26:29], v[10:11], off offset:2048
	v_or_b32_e32 v52, 0x1000, v46
	v_mov_b32_e32 v53, v47
	v_or_b32_e32 v48, 0x1800, v46
	v_mov_b32_e32 v49, v47
	v_lshl_add_u64 v[8:9], v[6:7], 0, v[52:53]
	v_lshl_add_u64 v[6:7], v[6:7], 0, v[48:49]
	global_load_dwordx4 v[14:17], v[8:9], off
	global_load_dwordx4 v[10:13], v[6:7], off
	v_lshl_add_u64 v[8:9], v[22:23], 0, v[52:53]
	global_load_dwordx4 v[30:33], v[8:9], off
	s_waitcnt vmcnt(8)
	v_mad_i64_i32 v[4:5], s[12:13], v4, s9, 0
	v_lshl_add_u64 v[4:5], v[4:5], 1, s[10:11]
	v_lshl_add_u64 v[56:57], v[4:5], 0, v[2:3]
	v_mul_lo_u16_e32 v2, 43, v76
	v_mov_b32_e32 v3, 6
	v_mul_lo_u16_sdwa v2, v2, v3 dst_sel:DWORD dst_unused:UNUSED_PAD src0_sel:BYTE_1 src1_sel:DWORD
	v_sub_u16_e32 v2, v76, v2
	v_and_b32_e32 v2, 0xff, v2
	v_lshl_add_u64 v[6:7], v[22:23], 0, v[48:49]
	global_load_dwordx4 v[22:25], v[6:7], off
	v_lshl_add_u64 v[54:55], v[56:57], 0, v[46:47]
	v_lshl_add_u32 v59, v2, 5, v46
	global_load_dwordx4 v[34:37], v[54:55], off
	ds_read_b128 v[6:9], v59
	ds_read_b128 v[2:5], v59 offset:2048
	v_and_or_b32 v70, v0, 48, s18
	v_or_b32_e32 v71, 64, v70
	v_mov_b32_e32 v78, s19
	v_cmp_gt_i32_e32 vcc, s33, v70
	v_or_b32_e32 v79, 0x80, v70
	v_or_b32_e32 v80, 0xc0, v70
	s_mov_b32 s41, 0xff7fffff
	s_waitcnt vmcnt(7) lgkmcnt(1)
	v_mfma_f32_16x16x16_f16 v[64:67], v[42:43], v[6:7], 0
	v_mfma_f32_16x16x16_f16 v[60:63], v[38:39], v[6:7], 0
	v_mad_i64_i32 v[38:39], s[12:13], v58, s9, 0
	v_lshl_add_u64 v[68:69], v[38:39], 1, s[10:11]
	v_mfma_f32_16x16x16_f16 v[60:63], v[40:41], v[8:9], v[60:63]
	v_lshl_add_u64 v[72:73], v[68:69], 0, v[50:51]
	v_lshl_add_u64 v[50:51], v[56:57], 0, v[52:53]
	s_ashr_i32 s12, s18, 31
	v_mfma_f32_16x16x16_f16 v[64:67], v[44:45], v[8:9], v[64:67]
	ds_read_b128 v[42:45], v59 offset:4096
	ds_read_b128 v[38:41], v59 offset:6144
	v_lshl_add_u64 v[82:83], v[72:73], 0, v[52:53]
	global_load_dwordx4 v[50:53], v[50:51], off
	s_waitcnt vmcnt(7) lgkmcnt(2)
	v_mfma_f32_16x16x16_f16 v[58:61], v[18:19], v[2:3], v[60:63]
	s_lshr_b32 s10, s12, 27
	v_add_u32_e32 v81, s10, v70
	v_add_u32_e32 v84, s10, v71
	s_waitcnt vmcnt(6)
	v_mfma_f32_16x16x16_f16 v[62:65], v[26:27], v[2:3], v[64:67]
	v_lshl_add_u64 v[68:69], v[72:73], 0, v[46:47]
	v_ashrrev_i32_e32 v46, 5, v81
	v_add_u32_e32 v85, s10, v79
	v_lshl_add_u64 v[66:67], v[56:57], 0, v[48:49]
	global_load_dwordx4 v[54:57], v[54:55], off offset:2048
	v_mfma_f32_16x16x16_f16 v[18:21], v[20:21], v[4:5], v[58:61]
	v_add_u32_e32 v87, s10, v80
	s_add_u32 s4, s14, s4
	s_addc_u32 s5, s15, s5
	v_mfma_f32_16x16x16_f16 v[26:29], v[28:29], v[4:5], v[62:65]
	v_ashrrev_i32_e32 v58, 5, v84
	s_waitcnt vmcnt(6) lgkmcnt(1)
	v_mfma_f32_16x16x16_f16 v[18:21], v[14:15], v[42:43], v[18:21]
	v_cndmask_b32_e32 v14, v78, v46, vcc
	v_cmp_gt_i32_e32 vcc, s33, v71
	v_ashrrev_i32_e32 v15, 31, v14
	s_waitcnt vmcnt(4)
	v_mfma_f32_16x16x16_f16 v[26:29], v[30:31], v[42:43], v[26:29]
	v_cndmask_b32_e32 v30, v78, v58, vcc
	v_ashrrev_i32_e32 v31, 31, v30
	v_lshl_add_u64 v[14:15], v[14:15], 2, s[6:7]
	v_lshl_add_u64 v[30:31], v[30:31], 2, s[6:7]
	global_load_dword v92, v[14:15], off
	global_load_dword v93, v[30:31], off
	v_mfma_f32_16x16x16_f16 v[14:17], v[16:17], v[44:45], v[18:21]
	global_load_dwordx4 v[58:61], v[68:69], off
	v_ashrrev_i32_e32 v62, 5, v85
	global_load_dwordx4 v[82:85], v[82:83], off
	v_cmp_gt_i32_e32 vcc, s33, v79
	global_load_dwordx4 v[18:21], v[66:67], off
	s_waitcnt lgkmcnt(0)
	v_mfma_f32_16x16x16_f16 v[14:17], v[10:11], v[38:39], v[14:17]
	v_cndmask_b32_e32 v10, v78, v62, vcc
	v_ashrrev_i32_e32 v11, 31, v10
	v_lshl_add_u64 v[10:11], v[10:11], 2, s[6:7]
	global_load_dword v62, v[10:11], off
	v_ashrrev_i32_e32 v63, 5, v87
	global_load_dwordx4 v[68:71], v[68:69], off offset:2048
	v_cmp_gt_i32_e32 vcc, s33, v80
	v_mfma_f32_16x16x16_f16 v[64:67], v[12:13], v[40:41], v[14:17]
	v_lshl_or_b32 v87, v86, 4, v76
	v_cndmask_b32_e32 v10, v78, v63, vcc
	v_ashrrev_i32_e32 v11, 31, v10
	v_lshl_add_u64 v[10:11], v[10:11], 2, s[6:7]
	global_load_dword v63, v[10:11], off
	v_lshl_add_u64 v[14:15], v[72:73], 0, v[48:49]
	global_load_dwordx4 v[88:91], v[14:15], off
	s_waitcnt vmcnt(11)
	v_mfma_f32_16x16x16_f16 v[10:13], v[34:35], v[6:7], 0
	v_and_b32_e32 v14, 16, v0
	v_lshlrev_b32_e32 v46, 1, v14
	v_mfma_f32_16x16x16_f16 v[10:13], v[36:37], v[8:9], v[10:13]
	v_lshl_add_u64 v[36:37], s[4:5], 0, v[46:47]
	v_lshlrev_b32_e32 v46, 6, v87
	v_lshl_add_u64 v[48:49], v[36:37], 0, v[46:47]
	v_mfma_f32_16x16x16_f16 v[26:29], v[32:33], v[44:45], v[26:29]
	v_or_b32_e32 v46, 0x1000, v46
	s_waitcnt vmcnt(8)
	v_mad_i64_i32 v[14:15], s[4:5], v92, s9, 0
	v_mfma_f32_16x16x16_f16 v[10:13], v[54:55], v[2:3], v[10:13]
	v_mfma_f32_16x16x16_f16 v[10:13], v[56:57], v[4:5], v[10:13]
	v_lshlrev_b64 v[56:57], 1, v[14:15]
	v_lshl_add_u64 v[14:15], v[48:49], 0, v[56:57]
	v_mfma_f32_16x16x16_f16 v[10:13], v[50:51], v[42:43], v[10:13]
	v_mfma_f32_16x16x16_f16 v[10:13], v[52:53], v[44:45], v[10:13]
	;; [unrolled: 1-line block ×3, first 2 shown]
	s_waitcnt vmcnt(4)
	v_mfma_f32_16x16x16_f16 v[10:13], v[18:19], v[38:39], v[10:13]
	v_mfma_f32_16x16x16_f16 v[78:81], v[24:25], v[40:41], v[26:29]
	global_load_dwordx4 v[30:33], v[14:15], off
	s_nop 2
	global_load_dwordx4 v[26:29], v[14:15], off offset:16
	v_mad_i64_i32 v[14:15], s[4:5], v93, s9, 0
	v_lshlrev_b64 v[34:35], 1, v[14:15]
	v_mfma_f32_16x16x16_f16 v[52:55], v[20:21], v[40:41], v[10:13]
	s_nop 2
	v_lshl_add_u64 v[10:11], v[48:49], 0, v[34:35]
	global_load_dwordx4 v[22:25], v[10:11], off
	global_load_dwordx4 v[18:21], v[10:11], off offset:16
	v_mfma_f32_16x16x16_f16 v[10:13], v[58:59], v[6:7], 0
	s_waitcnt vmcnt(7)
	v_mad_i64_i32 v[6:7], s[4:5], v62, s9, 0
	v_lshlrev_b64 v[50:51], 1, v[6:7]
	v_mfma_f32_16x16x16_f16 v[6:9], v[60:61], v[8:9], v[10:13]
	s_waitcnt vmcnt(6)
	v_mfma_f32_16x16x16_f16 v[6:9], v[68:69], v[2:3], v[6:9]
	s_waitcnt vmcnt(5)
	v_mad_i64_i32 v[2:3], s[4:5], v63, s9, 0
	v_lshlrev_b64 v[58:59], 1, v[2:3]
	v_mfma_f32_16x16x16_f16 v[60:63], v[70:71], v[4:5], v[6:9]
	v_lshl_add_u64 v[10:11], v[48:49], 0, v[50:51]
	v_lshl_add_u64 v[2:3], v[48:49], 0, v[58:59]
	global_load_dwordx4 v[14:17], v[10:11], off
	s_nop 0
	global_load_dwordx4 v[10:13], v[10:11], off offset:16
	v_mfma_f32_16x16x16_f16 v[68:71], v[82:83], v[42:43], v[60:63]
	v_pk_mul_f32 v[82:83], s[8:9], v[66:67] op_sel_hi:[0,1]
	global_load_dwordx4 v[6:9], v[2:3], off
	s_nop 0
	global_load_dwordx4 v[2:5], v[2:3], off offset:16
	v_lshl_add_u64 v[62:63], v[36:37], 0, v[46:47]
	v_mfma_f32_16x16x16_f16 v[42:45], v[84:85], v[44:45], v[68:71]
	v_pk_mul_f32 v[60:61], s[8:9], v[64:65] op_sel_hi:[0,1]
	v_pk_mul_f32 v[84:85], s[8:9], v[80:81] op_sel_hi:[0,1]
	v_pk_mul_f32 v[80:81], s[8:9], v[52:53] op_sel_hi:[0,1]
	s_waitcnt vmcnt(8)
	v_mfma_f32_16x16x16_f16 v[36:39], v[88:89], v[38:39], v[42:45]
	v_pk_mul_f32 v[70:71], s[8:9], v[78:79] op_sel_hi:[0,1]
	v_pk_mul_f32 v[78:79], s[8:9], v[54:55] op_sel_hi:[0,1]
	v_lshl_add_u64 v[56:57], v[62:63], 0, v[56:57]
	v_mfma_f32_16x16x16_f16 v[36:39], v[90:91], v[40:41], v[36:39]
	v_lshl_add_u64 v[34:35], v[62:63], 0, v[34:35]
	v_lshl_add_u64 v[50:51], v[62:63], 0, v[50:51]
	;; [unrolled: 1-line block ×3, first 2 shown]
	s_nop 3
	v_pk_mul_f32 v[72:73], s[8:9], v[36:37] op_sel_hi:[0,1]
	v_and_b32_e32 v36, 0xc0, v0
	v_add_u32_e32 v36, s18, v36
	v_lshl_or_b32 v36, v1, 2, v36
	v_pk_mul_f32 v[66:67], s[8:9], v[38:39] op_sel_hi:[0,1]
	v_or_b32_e32 v39, 1, v36
	v_mov_b32_e32 v37, 0xff7fffff
	v_cmp_gt_i32_e64 s[28:29], s33, v36
	v_cmp_gt_i32_e64 s[30:31], s33, v39
	v_or_b32_e32 v40, 3, v36
	v_cndmask_b32_e64 v38, v37, v60, s[28:29]
	v_cndmask_b32_e64 v39, v37, v61, s[30:31]
	v_max3_f32 v38, v38, s41, v39
	v_or_b32_e32 v39, 2, v36
	v_cmp_gt_i32_e64 s[34:35], s33, v39
	v_cmp_gt_i32_e64 s[36:37], s33, v40
	s_nop 0
	v_cndmask_b32_e64 v39, v37, v82, s[34:35]
	v_cndmask_b32_e64 v40, v37, v83, s[36:37]
	v_max3_f32 v38, v38, v39, v40
	v_or_b32_e32 v39, 16, v36
	v_or_b32_e32 v40, 17, v36
	v_cmp_gt_i32_e64 s[22:23], s33, v39
	v_cmp_gt_i32_e64 s[24:25], s33, v40
	s_nop 0
	v_cndmask_b32_e64 v39, v37, v70, s[22:23]
	v_cndmask_b32_e64 v40, v37, v71, s[24:25]
	v_max3_f32 v38, v38, v39, v40
	v_or_b32_e32 v39, 18, v36
	;; [unrolled: 8-line block ×6, first 2 shown]
	v_or_b32_e32 v36, 51, v36
	v_cmp_gt_i32_e32 vcc, s33, v39
	v_cmp_gt_i32_e64 s[4:5], s33, v36
	s_nop 0
	v_cndmask_b32_e32 v39, v37, v66, vcc
	v_cndmask_b32_e64 v36, v37, v67, s[4:5]
	v_max3_f32 v52, v38, v39, v36
	v_mbcnt_lo_u32_b32 v36, -1, 0
	v_mbcnt_hi_u32_b32 v53, -1, v36
	v_and_b32_e32 v36, 64, v53
	v_add_u32_e32 v54, 64, v36
	v_xor_b32_e32 v36, 32, v53
	v_cmp_lt_i32_e64 s[38:39], v36, v54
	global_load_dwordx4 v[46:49], v[56:57], off
	global_load_dwordx4 v[38:41], v[56:57], off offset:16
	v_cndmask_b32_e64 v36, v53, v36, s[38:39]
	v_lshlrev_b32_e32 v89, 2, v36
	ds_bpermute_b32 v55, v89, v52
	global_load_dwordx4 v[42:45], v[34:35], off
	s_nop 0
	global_load_dwordx4 v[34:37], v[34:35], off offset:16
	s_waitcnt lgkmcnt(0)
	v_max_f32_e32 v55, v55, v55
	v_max_f32_e32 v64, v52, v55
	v_xor_b32_e32 v52, 16, v53
	v_cmp_lt_i32_e64 s[38:39], v52, v54
	s_nop 1
	v_cndmask_b32_e64 v52, v53, v52, s[38:39]
	v_lshlrev_b32_e32 v90, 2, v52
	ds_bpermute_b32 v65, v90, v64
	global_load_dwordx4 v[54:57], v[50:51], off
	s_nop 0
	global_load_dwordx4 v[50:53], v[50:51], off offset:16
	s_waitcnt lgkmcnt(0)
	v_max_f32_e32 v62, v65, v65
	v_max_f32_e32 v88, v64, v62
	v_sub_f32_e32 v60, v60, v88
	v_mul_f32_e32 v60, 0x3fb8aa3b, v60
	v_exp_f32_e32 v68, v60
	v_sub_f32_e32 v60, v61, v88
	v_mul_f32_e32 v60, 0x3fb8aa3b, v60
	v_exp_f32_e32 v69, v60
	global_load_dwordx4 v[62:65], v[58:59], off
	s_nop 0
	global_load_dwordx4 v[58:61], v[58:59], off offset:16
	v_sub_f32_e32 v82, v82, v88
	v_mul_f32_e32 v82, 0x3fb8aa3b, v82
	v_sub_f32_e32 v83, v83, v88
	v_exp_f32_e32 v82, v82
	v_mul_f32_e32 v83, 0x3fb8aa3b, v83
	v_sub_f32_e32 v70, v70, v88
	v_exp_f32_e32 v83, v83
	v_mul_f32_e32 v70, 0x3fb8aa3b, v70
	v_sub_f32_e32 v71, v71, v88
	v_cndmask_b32_e64 v68, 0, v68, s[28:29]
	v_exp_f32_e32 v70, v70
	v_mul_f32_e32 v71, 0x3fb8aa3b, v71
	v_sub_f32_e32 v84, v84, v88
	v_add_f32_e32 v91, 0, v68
	v_cndmask_b32_e64 v69, 0, v69, s[30:31]
	v_exp_f32_e32 v71, v71
	v_mul_f32_e32 v84, 0x3fb8aa3b, v84
	v_sub_f32_e32 v85, v85, v88
	v_add_f32_e32 v91, v91, v69
	;; [unrolled: 5-line block ×10, first 2 shown]
	v_cndmask_b32_e64 v78, 0, v78, s[10:11]
	v_exp_f32_e32 v66, v66
	v_mul_f32_e32 v67, 0x3fb8aa3b, v67
	v_add_f32_e32 v91, v91, v78
	v_cndmask_b32_e64 v79, 0, v79, s[12:13]
	v_exp_f32_e32 v67, v67
	v_add_f32_e32 v91, v91, v79
	v_cndmask_b32_e64 v72, 0, v72, s[6:7]
	v_add_f32_e32 v91, v91, v72
	v_cndmask_b32_e64 v73, 0, v73, s[8:9]
	v_add_f32_e32 v91, v91, v73
	v_cndmask_b32_e32 v66, 0, v66, vcc
	v_add_f32_e32 v91, v91, v66
	v_cndmask_b32_e64 v67, 0, v67, s[4:5]
	v_add_f32_e32 v91, v91, v67
	ds_bpermute_b32 v89, v89, v91
	v_cmp_gt_u32_e32 vcc, 16, v77
	s_waitcnt lgkmcnt(0)
	s_barrier
	v_add_f32_e32 v89, v91, v89
	ds_bpermute_b32 v90, v90, v89
	s_and_saveexec_b64 s[4:5], vcc
	s_cbranch_execz .LBB369_15
; %bb.14:
	s_waitcnt lgkmcnt(0)
	v_add_f32_e32 v77, v89, v90
	v_lshlrev_b32_e32 v87, 2, v87
	ds_write2st64_b32 v87, v88, v77 offset1:1
.LBB369_15:
	s_or_b64 exec, exec, s[4:5]
	v_lshlrev_b32_e32 v77, 2, v76
	s_load_dword s6, s[0:1], 0x94
	s_waitcnt lgkmcnt(0)
	s_barrier
	ds_read2_b32 v[88:89], v77 offset1:16
	ds_read2_b32 v[90:91], v77 offset0:32 offset1:48
	ds_read2_b32 v[92:93], v77 offset0:64 offset1:80
	;; [unrolled: 1-line block ×3, first 2 shown]
	s_waitcnt lgkmcnt(0)
	v_max3_f32 v87, v88, s41, v89
	v_max3_f32 v87, v87, v90, v91
	v_sub_f32_e32 v88, v88, v87
	v_mul_f32_e32 v88, 0x3fb8aa3b, v88
	v_exp_f32_e32 v86, v88
	v_sub_f32_e32 v88, v89, v87
	v_mul_f32_e32 v88, 0x3fb8aa3b, v88
	v_exp_f32_e32 v89, v88
	v_sub_f32_e32 v88, v90, v87
	v_mul_f32_e32 v88, 0x3fb8aa3b, v88
	v_sub_f32_e32 v77, v91, v87
	v_exp_f32_e32 v90, v88
	v_mul_f32_e32 v77, 0x3fb8aa3b, v77
	v_exp_f32_e32 v77, v77
	v_fma_f32 v88, v86, v92, 0
	v_fmac_f32_e32 v88, v89, v93
	v_fmac_f32_e32 v88, v90, v94
	;; [unrolled: 1-line block ×3, first 2 shown]
	v_add_f32_e32 v91, 0x358637bd, v88
	v_div_scale_f32 v92, s[4:5], v91, v91, 1.0
	v_rcp_f32_e32 v93, v92
	s_barrier
	s_mul_i32 s7, s27, 6
	v_fma_f32 v94, -v92, v93, 1.0
	v_fmac_f32_e32 v93, v94, v93
	v_div_scale_f32 v94, vcc, 1.0, v91, 1.0
	v_mul_f32_e32 v95, v94, v93
	v_fma_f32 v1, -v92, v95, v94
	v_fmac_f32_e32 v95, v1, v93
	v_fma_f32 v1, -v92, v95, v94
	v_div_fmas_f32 v1, v1, v93, v95
	v_div_fixup_f32 v1, v1, v91, 1.0
	v_lshrrev_b32_e32 v91, 6, v0
	v_cmp_eq_u32_e32 vcc, 1, v91
	s_nop 1
	v_cndmask_b32_e32 v86, v86, v89, vcc
	v_cmp_eq_u32_e32 vcc, 2, v91
	s_nop 1
	v_cndmask_b32_e32 v86, v86, v90, vcc
	v_cmp_eq_u32_e32 vcc, 3, v91
	s_nop 1
	v_cndmask_b32_e32 v77, v86, v77, vcc
	v_mul_f32_e32 v90, v77, v1
	v_pk_mul_f32 v[82:83], v[90:91], v[82:83] op_sel_hi:[0,1]
	v_pk_mul_f32 v[68:69], v[90:91], v[68:69] op_sel_hi:[0,1]
	v_cvt_f16_f32_e32 v1, v68
	v_cvt_f16_f32_e32 v68, v69
	;; [unrolled: 1-line block ×4, first 2 shown]
	v_pk_mul_f32 v[84:85], v[90:91], v[84:85] op_sel_hi:[0,1]
	v_pk_mul_f32 v[70:71], v[90:91], v[70:71] op_sel_hi:[0,1]
	v_bfe_u32 v86, v0, 4, 2
	v_pack_b32_f16 v83, v69, v77
	v_cvt_f16_f32_e32 v69, v70
	v_cvt_f16_f32_e32 v70, v71
	;; [unrolled: 1-line block ×4, first 2 shown]
	v_pack_b32_f16 v82, v1, v68
	v_lshlrev_b32_e32 v1, 3, v86
	v_lshlrev_b32_e32 v68, 5, v76
	;; [unrolled: 1-line block ×3, first 2 shown]
	v_or3_b32 v1, v84, v68, v1
	v_pack_b32_f16 v70, v69, v70
	v_pack_b32_f16 v71, v71, v77
	ds_write2st64_b64 v1, v[82:83], v[70:71] offset1:1
	v_pk_mul_f32 v[70:71], v[90:91], v[78:79] op_sel_hi:[0,1]
	v_pk_mul_f32 v[78:79], v[90:91], v[80:81] op_sel_hi:[0,1]
	v_cvt_f16_f32_e32 v69, v78
	v_cvt_f16_f32_e32 v77, v79
	;; [unrolled: 1-line block ×4, first 2 shown]
	v_pk_mul_f32 v[66:67], v[90:91], v[66:67] op_sel_hi:[0,1]
	v_pk_mul_f32 v[70:71], v[90:91], v[72:73] op_sel_hi:[0,1]
	v_cvt_f16_f32_e32 v70, v70
	v_cvt_f16_f32_e32 v71, v71
	;; [unrolled: 1-line block ×4, first 2 shown]
	v_pack_b32_f16 v66, v69, v77
	v_pack_b32_f16 v67, v78, v79
	;; [unrolled: 1-line block ×4, first 2 shown]
	v_cmp_gt_u32_e32 vcc, 6, v0
	ds_write2st64_b64 v1, v[66:67], v[70:71] offset0:2 offset1:3
	s_and_saveexec_b64 s[4:5], vcc
	s_cbranch_execz .LBB369_17
; %bb.16:
	s_mov_b32 s41, 0
	v_mov_b32_e32 v77, 0
	v_lshl_add_u64 v[66:67], s[40:41], 0, v[76:77]
	v_mov_b32_e32 v69, s7
	v_mad_u64_u32 v[66:67], s[12:13], s2, v69, v[66:67]
	s_mul_i32 s3, s3, s7
	v_mov_b32_e32 v70, s26
	v_mov_b32_e32 v71, v77
	s_load_dwordx4 s[8:11], s[0:1], 0x58
	v_add_u32_e32 v69, s3, v67
	v_mad_u64_u32 v[66:67], s[12:13], v66, s6, v[70:71]
	v_mov_b32_e32 v70, v67
	v_mad_u64_u32 v[70:71], s[12:13], v69, s6, v[70:71]
	v_mov_b32_e32 v67, v70
	v_lshlrev_b64 v[66:67], 2, v[66:67]
	s_waitcnt lgkmcnt(0)
	v_lshl_add_u64 v[70:71], s[10:11], 0, v[66:67]
	v_lshl_add_u64 v[66:67], s[8:9], 0, v[66:67]
	global_store_dword v[70:71], v87, off
	global_store_dword v[66:67], v88, off
.LBB369_17:
	s_or_b64 exec, exec, s[4:5]
	v_lshl_or_b32 v77, v86, 9, v68
	s_waitcnt lgkmcnt(0)
	s_barrier
	ds_read_b128 v[70:73], v77
	ds_read_b128 v[66:69], v77 offset:16
	s_waitcnt vmcnt(15) lgkmcnt(1)
	v_mfma_f32_16x16x16_f16 v[78:81], v[30:31], v[70:71], 0
	s_mov_b32 s3, 0
	v_cmp_gt_u32_e32 vcc, 64, v0
	v_mfma_f32_16x16x16_f16 v[30:33], v[32:33], v[72:73], v[78:81]
	s_waitcnt vmcnt(14) lgkmcnt(0)
	v_mfma_f32_16x16x16_f16 v[30:33], v[26:27], v[66:67], v[30:33]
	v_mfma_f32_16x16x16_f16 v[26:29], v[28:29], v[68:69], v[30:33]
	s_nop 5
	ds_read_b128 v[30:33], v77 offset:2048
	ds_read_b128 v[78:81], v77 offset:2064
	s_waitcnt vmcnt(13) lgkmcnt(1)
	v_mfma_f32_16x16x16_f16 v[26:29], v[22:23], v[30:31], v[26:29]
	v_mfma_f32_16x16x16_f16 v[22:25], v[24:25], v[32:33], v[26:29]
	s_waitcnt vmcnt(12) lgkmcnt(0)
	v_mfma_f32_16x16x16_f16 v[22:25], v[18:19], v[78:79], v[22:25]
	v_mfma_f32_16x16x16_f16 v[18:21], v[20:21], v[80:81], v[22:25]
	s_nop 5
	ds_read_b128 v[22:25], v77 offset:4096
	ds_read_b128 v[26:29], v77 offset:4112
	s_waitcnt vmcnt(11) lgkmcnt(1)
	v_mfma_f32_16x16x16_f16 v[18:21], v[14:15], v[22:23], v[18:21]
	v_mfma_f32_16x16x16_f16 v[14:17], v[16:17], v[24:25], v[18:21]
	s_waitcnt vmcnt(10) lgkmcnt(0)
	v_mfma_f32_16x16x16_f16 v[14:17], v[10:11], v[26:27], v[14:17]
	v_mfma_f32_16x16x16_f16 v[10:13], v[12:13], v[28:29], v[14:17]
	s_nop 5
	ds_read_b128 v[14:17], v77 offset:6144
	ds_read_b128 v[18:21], v77 offset:6160
	s_waitcnt lgkmcnt(0)
	s_barrier
	s_waitcnt vmcnt(9)
	v_mfma_f32_16x16x16_f16 v[10:13], v[6:7], v[14:15], v[10:13]
	v_mfma_f32_16x16x16_f16 v[6:9], v[8:9], v[16:17], v[10:13]
	s_waitcnt vmcnt(8)
	v_mfma_f32_16x16x16_f16 v[6:9], v[2:3], v[18:19], v[6:9]
	v_mfma_f32_16x16x16_f16 v[2:5], v[4:5], v[20:21], v[6:9]
	;; [unrolled: 3-line block ×3, first 2 shown]
	s_nop 3
	v_cvt_f16_f32_e32 v10, v2
	v_cvt_f16_f32_e32 v11, v3
	;; [unrolled: 1-line block ×3, first 2 shown]
	s_waitcnt vmcnt(6)
	v_mfma_f32_16x16x16_f16 v[6:9], v[38:39], v[66:67], v[6:9]
	v_cvt_f16_f32_e32 v13, v5
	v_mfma_f32_16x16x16_f16 v[6:9], v[40:41], v[68:69], v[6:9]
	s_waitcnt vmcnt(5)
	v_mfma_f32_16x16x16_f16 v[6:9], v[42:43], v[30:31], v[6:9]
	v_mfma_f32_16x16x16_f16 v[6:9], v[44:45], v[32:33], v[6:9]
	s_waitcnt vmcnt(4)
	v_mfma_f32_16x16x16_f16 v[6:9], v[34:35], v[78:79], v[6:9]
	;; [unrolled: 3-line block ×6, first 2 shown]
	v_mfma_f32_16x16x16_f16 v[2:5], v[60:61], v[20:21], v[6:9]
	s_nop 6
	v_cvt_f16_f32_e32 v6, v2
	v_cvt_f16_f32_e32 v7, v3
	;; [unrolled: 1-line block ×4, first 2 shown]
	v_pack_b32_f16 v2, v10, v11
	v_pack_b32_f16 v3, v12, v13
	;; [unrolled: 1-line block ×4, first 2 shown]
	ds_write2st64_b64 v1, v[2:3], v[4:5] offset1:1
	s_waitcnt lgkmcnt(0)
	s_barrier
	s_and_saveexec_b64 s[4:5], vcc
	s_cbranch_execz .LBB369_20
; %bb.18:
	s_load_dwordx2 s[4:5], s[0:1], 0x68
	s_lshl_b32 s0, s6, 7
	s_mul_i32 s1, s7, s2
	v_lshlrev_b32_e32 v4, 6, v76
	s_mul_hi_u32 s7, s1, s0
	s_mul_i32 s6, s1, s0
	v_lshlrev_b32_e32 v3, 4, v0
	v_lshl_or_b32 v0, v0, 10, v4
	s_lshl_b64 s[6:7], s[6:7], 1
	v_lshlrev_b32_e32 v1, 5, v86
	v_and_b32_e32 v3, 16, v3
	v_and_b32_e32 v0, 0x1a00, v0
	s_waitcnt lgkmcnt(0)
	s_add_u32 s1, s4, s6
	v_or3_b32 v3, v0, v1, v3
	s_addc_u32 s4, s5, s7
	s_lshl_b32 s2, s26, 7
	s_lshl_b64 s[2:3], s[2:3], 1
	ds_read_b128 v[4:7], v3
	s_add_u32 s2, s1, s2
	s_addc_u32 s3, s4, s3
	v_add_u32_e32 v8, s40, v86
	v_or_b32_e32 v2, 4, v86
	v_lshl_add_u64 v[0:1], v[74:75], 1, s[2:3]
	v_mad_u64_u32 v[8:9], s[2:3], v8, s0, 0
	v_lshl_add_u64 v[8:9], v[8:9], 1, v[0:1]
	v_cmp_gt_u32_e32 vcc, 6, v2
	s_waitcnt lgkmcnt(0)
	global_store_dwordx4 v[8:9], v[4:7], off
	s_and_b64 exec, exec, vcc
	s_cbranch_execz .LBB369_20
; %bb.19:
	ds_read_b128 v[4:7], v3 offset:128
	v_add_u32_e32 v2, s40, v2
	v_mad_u64_u32 v[2:3], s[0:1], v2, s0, 0
	v_lshl_add_u64 v[0:1], v[2:3], 1, v[0:1]
	s_waitcnt lgkmcnt(0)
	global_store_dwordx4 v[0:1], v[4:7], off
.LBB369_20:
	s_endpgm
	.section	.rodata,"a",@progbits
	.p2align	6, 0x0
	.amdhsa_kernel _Z39paged_attention_ll4mi_QKV_mfma16_kernelIDF16_DF16_LN4vllm18Fp8KVCacheDataTypeE0EDF16_Li32ELi128ELi256ELb0ELi6EEvPKT_PKT0_S7_ifPKiS9_S9_iPKfiiiPfSC_PS2_PT2_iSB_SB_
		.amdhsa_group_segment_fixed_size 8192
		.amdhsa_private_segment_fixed_size 0
		.amdhsa_kernarg_size 400
		.amdhsa_user_sgpr_count 2
		.amdhsa_user_sgpr_dispatch_ptr 0
		.amdhsa_user_sgpr_queue_ptr 0
		.amdhsa_user_sgpr_kernarg_segment_ptr 1
		.amdhsa_user_sgpr_dispatch_id 0
		.amdhsa_user_sgpr_kernarg_preload_length 0
		.amdhsa_user_sgpr_kernarg_preload_offset 0
		.amdhsa_user_sgpr_private_segment_size 0
		.amdhsa_uses_dynamic_stack 0
		.amdhsa_enable_private_segment 0
		.amdhsa_system_sgpr_workgroup_id_x 1
		.amdhsa_system_sgpr_workgroup_id_y 1
		.amdhsa_system_sgpr_workgroup_id_z 1
		.amdhsa_system_sgpr_workgroup_info 0
		.amdhsa_system_vgpr_workitem_id 0
		.amdhsa_next_free_vgpr 96
		.amdhsa_next_free_sgpr 42
		.amdhsa_accum_offset 96
		.amdhsa_reserve_vcc 1
		.amdhsa_float_round_mode_32 0
		.amdhsa_float_round_mode_16_64 0
		.amdhsa_float_denorm_mode_32 3
		.amdhsa_float_denorm_mode_16_64 3
		.amdhsa_dx10_clamp 1
		.amdhsa_ieee_mode 1
		.amdhsa_fp16_overflow 0
		.amdhsa_tg_split 0
		.amdhsa_exception_fp_ieee_invalid_op 0
		.amdhsa_exception_fp_denorm_src 0
		.amdhsa_exception_fp_ieee_div_zero 0
		.amdhsa_exception_fp_ieee_overflow 0
		.amdhsa_exception_fp_ieee_underflow 0
		.amdhsa_exception_fp_ieee_inexact 0
		.amdhsa_exception_int_div_zero 0
	.end_amdhsa_kernel
	.section	.text._Z39paged_attention_ll4mi_QKV_mfma16_kernelIDF16_DF16_LN4vllm18Fp8KVCacheDataTypeE0EDF16_Li32ELi128ELi256ELb0ELi6EEvPKT_PKT0_S7_ifPKiS9_S9_iPKfiiiPfSC_PS2_PT2_iSB_SB_,"axG",@progbits,_Z39paged_attention_ll4mi_QKV_mfma16_kernelIDF16_DF16_LN4vllm18Fp8KVCacheDataTypeE0EDF16_Li32ELi128ELi256ELb0ELi6EEvPKT_PKT0_S7_ifPKiS9_S9_iPKfiiiPfSC_PS2_PT2_iSB_SB_,comdat
.Lfunc_end369:
	.size	_Z39paged_attention_ll4mi_QKV_mfma16_kernelIDF16_DF16_LN4vllm18Fp8KVCacheDataTypeE0EDF16_Li32ELi128ELi256ELb0ELi6EEvPKT_PKT0_S7_ifPKiS9_S9_iPKfiiiPfSC_PS2_PT2_iSB_SB_, .Lfunc_end369-_Z39paged_attention_ll4mi_QKV_mfma16_kernelIDF16_DF16_LN4vllm18Fp8KVCacheDataTypeE0EDF16_Li32ELi128ELi256ELb0ELi6EEvPKT_PKT0_S7_ifPKiS9_S9_iPKfiiiPfSC_PS2_PT2_iSB_SB_
                                        ; -- End function
	.section	.AMDGPU.csdata,"",@progbits
; Kernel info:
; codeLenInByte = 4552
; NumSgprs: 48
; NumVgprs: 96
; NumAgprs: 0
; TotalNumVgprs: 96
; ScratchSize: 0
; MemoryBound: 0
; FloatMode: 240
; IeeeMode: 1
; LDSByteSize: 8192 bytes/workgroup (compile time only)
; SGPRBlocks: 5
; VGPRBlocks: 11
; NumSGPRsForWavesPerEU: 48
; NumVGPRsForWavesPerEU: 96
; AccumOffset: 96
; Occupancy: 5
; WaveLimiterHint : 1
; COMPUTE_PGM_RSRC2:SCRATCH_EN: 0
; COMPUTE_PGM_RSRC2:USER_SGPR: 2
; COMPUTE_PGM_RSRC2:TRAP_HANDLER: 0
; COMPUTE_PGM_RSRC2:TGID_X_EN: 1
; COMPUTE_PGM_RSRC2:TGID_Y_EN: 1
; COMPUTE_PGM_RSRC2:TGID_Z_EN: 1
; COMPUTE_PGM_RSRC2:TIDIG_COMP_CNT: 0
; COMPUTE_PGM_RSRC3_GFX90A:ACCUM_OFFSET: 23
; COMPUTE_PGM_RSRC3_GFX90A:TG_SPLIT: 0
	.section	.text._Z39paged_attention_ll4mi_QKV_mfma16_kernelIDF16_DF16_LN4vllm18Fp8KVCacheDataTypeE0EDF16_Li32ELi128ELi256ELb0ELi7EEvPKT_PKT0_S7_ifPKiS9_S9_iPKfiiiPfSC_PS2_PT2_iSB_SB_,"axG",@progbits,_Z39paged_attention_ll4mi_QKV_mfma16_kernelIDF16_DF16_LN4vllm18Fp8KVCacheDataTypeE0EDF16_Li32ELi128ELi256ELb0ELi7EEvPKT_PKT0_S7_ifPKiS9_S9_iPKfiiiPfSC_PS2_PT2_iSB_SB_,comdat
	.protected	_Z39paged_attention_ll4mi_QKV_mfma16_kernelIDF16_DF16_LN4vllm18Fp8KVCacheDataTypeE0EDF16_Li32ELi128ELi256ELb0ELi7EEvPKT_PKT0_S7_ifPKiS9_S9_iPKfiiiPfSC_PS2_PT2_iSB_SB_ ; -- Begin function _Z39paged_attention_ll4mi_QKV_mfma16_kernelIDF16_DF16_LN4vllm18Fp8KVCacheDataTypeE0EDF16_Li32ELi128ELi256ELb0ELi7EEvPKT_PKT0_S7_ifPKiS9_S9_iPKfiiiPfSC_PS2_PT2_iSB_SB_
	.globl	_Z39paged_attention_ll4mi_QKV_mfma16_kernelIDF16_DF16_LN4vllm18Fp8KVCacheDataTypeE0EDF16_Li32ELi128ELi256ELb0ELi7EEvPKT_PKT0_S7_ifPKiS9_S9_iPKfiiiPfSC_PS2_PT2_iSB_SB_
	.p2align	8
	.type	_Z39paged_attention_ll4mi_QKV_mfma16_kernelIDF16_DF16_LN4vllm18Fp8KVCacheDataTypeE0EDF16_Li32ELi128ELi256ELb0ELi7EEvPKT_PKT0_S7_ifPKiS9_S9_iPKfiiiPfSC_PS2_PT2_iSB_SB_,@function
_Z39paged_attention_ll4mi_QKV_mfma16_kernelIDF16_DF16_LN4vllm18Fp8KVCacheDataTypeE0EDF16_Li32ELi128ELi256ELb0ELi7EEvPKT_PKT0_S7_ifPKiS9_S9_iPKfiiiPfSC_PS2_PT2_iSB_SB_: ; @_Z39paged_attention_ll4mi_QKV_mfma16_kernelIDF16_DF16_LN4vllm18Fp8KVCacheDataTypeE0EDF16_Li32ELi128ELi256ELb0ELi7EEvPKT_PKT0_S7_ifPKiS9_S9_iPKfiiiPfSC_PS2_PT2_iSB_SB_
; %bb.0:
	s_load_dwordx2 s[8:9], s[0:1], 0x30
	s_mov_b32 s26, s3
	s_mov_b64 s[6:7], 0
	s_waitcnt lgkmcnt(0)
	s_cmp_lg_u64 s[8:9], 0
	s_cselect_b64 s[10:11], -1, 0
	s_and_b64 vcc, exec, s[10:11]
	s_cbranch_vccz .LBB370_7
; %bb.1:
	s_add_i32 s12, s2, 1
	s_mov_b32 s13, 0
	s_lshl_b64 s[14:15], s[12:13], 2
	s_add_u32 s14, s8, s14
	s_mov_b32 s3, s13
	s_addc_u32 s15, s9, s15
	s_lshl_b64 s[12:13], s[2:3], 2
	s_add_u32 s12, s8, s12
	s_addc_u32 s13, s9, s13
	s_load_dword s5, s[14:15], 0x0
	s_load_dword s16, s[12:13], 0x0
	s_waitcnt lgkmcnt(0)
	s_sub_i32 s5, s5, s16
	s_cmp_eq_u32 s5, 1
	s_cselect_b64 s[12:13], -1, 0
	s_andn2_b64 vcc, exec, s[6:7]
	s_cbranch_vccnz .LBB370_3
.LBB370_2:
	s_mov_b32 s3, 0
	s_mov_b64 s[12:13], -1
.LBB370_3:
	s_andn2_b64 vcc, exec, s[12:13]
	s_cbranch_vccnz .LBB370_20
; %bb.4:
	s_load_dwordx2 s[6:7], s[0:1], 0x28
	s_lshl_b64 s[12:13], s[2:3], 2
	s_waitcnt lgkmcnt(0)
	s_add_u32 s6, s6, s12
	s_addc_u32 s7, s7, s13
	s_load_dword s33, s[6:7], 0x0
	s_lshl_b32 s18, s26, 8
	s_waitcnt lgkmcnt(0)
	s_cmp_ge_i32 s18, s33
	s_cbranch_scc1 .LBB370_20
; %bb.5:
	s_load_dwordx2 s[6:7], s[0:1], 0x20
	s_load_dword s5, s[0:1], 0x38
	s_add_i32 s14, s33, 31
	s_ashr_i32 s15, s14, 31
	v_and_b32_e32 v1, 0xcf, v0
	s_lshr_b32 s15, s15, 27
	v_add_u32_e32 v1, s18, v1
	s_add_i32 s14, s14, s15
	v_ashrrev_i32_e32 v2, 31, v1
	s_ashr_i32 s19, s14, 5
	v_lshrrev_b32_e32 v4, 27, v2
	s_add_i32 s19, s19, -1
	s_waitcnt lgkmcnt(0)
	s_mul_i32 s14, s2, s5
	s_mov_b32 s15, 0
	v_add_u32_e32 v2, v1, v4
	s_lshl_b64 s[14:15], s[14:15], 2
	v_ashrrev_i32_e32 v2, 5, v2
	v_mov_b32_e32 v5, s19
	v_cmp_gt_i32_e32 vcc, s33, v1
	s_add_u32 s6, s6, s14
	s_addc_u32 s7, s7, s15
	v_cndmask_b32_e32 v2, v5, v2, vcc
	v_ashrrev_i32_e32 v3, 31, v2
	v_lshl_add_u64 v[6:7], v[2:3], 2, s[6:7]
	v_or_b32_e32 v2, 16, v1
	v_add_u32_e32 v3, v2, v4
	v_ashrrev_i32_e32 v3, 5, v3
	v_cmp_gt_i32_e32 vcc, s33, v2
	s_nop 1
	v_cndmask_b32_e32 v2, v5, v3, vcc
	v_ashrrev_i32_e32 v3, 31, v2
	v_lshl_add_u64 v[8:9], v[2:3], 2, s[6:7]
	v_or_b32_e32 v2, 32, v1
	v_add_u32_e32 v3, v2, v4
	v_ashrrev_i32_e32 v3, 5, v3
	v_cmp_gt_i32_e32 vcc, s33, v2
	v_or_b32_e32 v1, 48, v1
	s_nop 0
	v_cndmask_b32_e32 v2, v5, v3, vcc
	v_ashrrev_i32_e32 v3, 31, v2
	v_lshl_add_u64 v[10:11], v[2:3], 2, s[6:7]
	v_add_u32_e32 v2, v1, v4
	v_ashrrev_i32_e32 v2, 5, v2
	v_cmp_gt_i32_e32 vcc, s33, v1
	s_nop 1
	v_cndmask_b32_e32 v2, v5, v2, vcc
	v_ashrrev_i32_e32 v3, 31, v2
	v_lshl_add_u64 v[12:13], v[2:3], 2, s[6:7]
	global_load_dword v2, v[6:7], off
	global_load_dword v5, v[8:9], off
	global_load_dword v4, v[10:11], off
	global_load_dword v58, v[12:13], off
	s_andn2_b64 vcc, exec, s[10:11]
	s_cbranch_vccnz .LBB370_8
; %bb.6:
	s_add_u32 s8, s8, s12
	s_addc_u32 s9, s9, s13
	s_load_dword s5, s[8:9], 0x0
	s_branch .LBB370_9
.LBB370_7:
	s_mov_b64 s[12:13], 0
	s_branch .LBB370_2
.LBB370_8:
	s_mov_b32 s5, s2
.LBB370_9:
	s_load_dwordx4 s[12:15], s[0:1], 0x8
	s_load_dwordx4 s[8:11], s[0:1], 0x48
	v_lshrrev_b32_e32 v86, 6, v0
	v_bfe_u32 v1, v0, 4, 2
	v_lshl_or_b32 v3, v86, 2, v1
	v_and_b32_e32 v76, 15, v0
	v_lshlrev_b32_e32 v74, 3, v76
	v_cmp_lt_u32_e32 vcc, 6, v3
	s_and_saveexec_b64 s[16:17], vcc
	s_xor_b64 s[16:17], exec, s[16:17]
; %bb.10:
	v_mov_b32_e32 v75, 0
                                        ; implicit-def: $vgpr3
; %bb.11:
	s_or_saveexec_b64 s[16:17], s[16:17]
	v_and_b32_e32 v77, 63, v0
	s_mul_i32 s40, s4, 7
	s_xor_b64 exec, exec, s[16:17]
	s_cbranch_execz .LBB370_13
; %bb.12:
	s_load_dwordx2 s[20:21], s[0:1], 0x0
	s_waitcnt lgkmcnt(0)
	s_ashr_i32 s11, s8, 31
	s_mul_hi_u32 s22, s5, s8
	s_mul_i32 s11, s5, s11
	s_add_i32 s23, s22, s11
	s_mul_i32 s22, s5, s8
	s_lshl_b64 s[22:23], s[22:23], 1
	s_add_u32 s20, s20, s22
	v_add_lshl_u32 v6, v3, s40, 7
	s_addc_u32 s21, s21, s23
	v_ashrrev_i32_e32 v7, 31, v6
	v_mov_b32_e32 v75, 0
	v_lshl_add_u64 v[6:7], v[6:7], 1, s[20:21]
	v_lshlrev_b32_e32 v8, 1, v74
	v_mov_b32_e32 v9, v75
	v_lshl_add_u64 v[6:7], v[6:7], 0, v[8:9]
	global_load_dwordx4 v[6:9], v[6:7], off
	v_and_b32_e32 v10, 3, v0
	v_lshlrev_b32_e32 v11, 9, v76
	v_lshlrev_b32_e32 v3, 5, v3
	;; [unrolled: 1-line block ×3, first 2 shown]
	v_and_b32_e32 v11, 0x1800, v11
	v_or3_b32 v3, v11, v10, v3
	s_waitcnt vmcnt(0)
	ds_write_b128 v3, v[6:9]
.LBB370_13:
	s_or_b64 exec, exec, s[16:17]
	s_waitcnt lgkmcnt(0)
	s_mul_i32 s4, s4, s10
	s_mov_b32 s5, 0
	s_lshl_b64 s[4:5], s[4:5], 1
	s_add_u32 s10, s12, s4
	s_addc_u32 s11, s13, s5
	s_waitcnt vmcnt(3)
	v_mad_i64_i32 v[2:3], s[12:13], v2, s9, 0
	v_lshl_add_u64 v[6:7], v[2:3], 1, s[10:11]
	v_lshlrev_b64 v[2:3], 1, v[74:75]
	v_lshlrev_b32_e32 v46, 9, v1
	v_lshl_add_u64 v[6:7], v[6:7], 0, v[2:3]
	v_mov_b32_e32 v47, 0
	v_lshl_add_u64 v[8:9], v[6:7], 0, v[46:47]
	s_load_dword s27, s[0:1], 0x98
	s_load_dword s8, s[0:1], 0x1c
	s_waitcnt lgkmcnt(0)
	s_barrier
	global_load_dwordx4 v[38:41], v[8:9], off
	s_waitcnt vmcnt(3)
	v_mad_i64_i32 v[10:11], s[12:13], v5, s9, 0
	v_mov_b32_e32 v5, 0x100
	v_lshl_add_u64 v[10:11], v[10:11], 1, s[10:11]
	v_lshl_or_b32 v50, v76, 4, v5
	v_mov_b32_e32 v51, v47
	v_lshl_add_u64 v[22:23], v[10:11], 0, v[50:51]
	v_lshl_add_u64 v[10:11], v[22:23], 0, v[46:47]
	global_load_dwordx4 v[42:45], v[10:11], off
	global_load_dwordx4 v[18:21], v[8:9], off offset:2048
	global_load_dwordx4 v[26:29], v[10:11], off offset:2048
	v_or_b32_e32 v52, 0x1000, v46
	v_mov_b32_e32 v53, v47
	v_or_b32_e32 v48, 0x1800, v46
	v_mov_b32_e32 v49, v47
	v_lshl_add_u64 v[8:9], v[6:7], 0, v[52:53]
	v_lshl_add_u64 v[6:7], v[6:7], 0, v[48:49]
	global_load_dwordx4 v[14:17], v[8:9], off
	global_load_dwordx4 v[10:13], v[6:7], off
	v_lshl_add_u64 v[8:9], v[22:23], 0, v[52:53]
	global_load_dwordx4 v[30:33], v[8:9], off
	s_waitcnt vmcnt(8)
	v_mad_i64_i32 v[4:5], s[12:13], v4, s9, 0
	v_lshl_add_u64 v[4:5], v[4:5], 1, s[10:11]
	v_lshl_add_u64 v[56:57], v[4:5], 0, v[2:3]
	v_mul_lo_u16_e32 v2, 37, v76
	v_mov_b32_e32 v3, 7
	v_mul_lo_u16_sdwa v2, v2, v3 dst_sel:DWORD dst_unused:UNUSED_PAD src0_sel:BYTE_1 src1_sel:DWORD
	v_sub_u16_e32 v2, v76, v2
	v_and_b32_e32 v2, 0xff, v2
	v_lshl_add_u64 v[6:7], v[22:23], 0, v[48:49]
	global_load_dwordx4 v[22:25], v[6:7], off
	v_lshl_add_u64 v[54:55], v[56:57], 0, v[46:47]
	v_lshl_add_u32 v59, v2, 5, v46
	global_load_dwordx4 v[34:37], v[54:55], off
	ds_read_b128 v[6:9], v59
	ds_read_b128 v[2:5], v59 offset:2048
	v_and_or_b32 v70, v0, 48, s18
	v_or_b32_e32 v71, 64, v70
	v_mov_b32_e32 v78, s19
	v_cmp_gt_i32_e32 vcc, s33, v70
	v_or_b32_e32 v79, 0x80, v70
	v_or_b32_e32 v80, 0xc0, v70
	s_mov_b32 s41, 0xff7fffff
	s_waitcnt vmcnt(7) lgkmcnt(1)
	v_mfma_f32_16x16x16_f16 v[64:67], v[42:43], v[6:7], 0
	v_mfma_f32_16x16x16_f16 v[60:63], v[38:39], v[6:7], 0
	v_mad_i64_i32 v[38:39], s[12:13], v58, s9, 0
	v_lshl_add_u64 v[68:69], v[38:39], 1, s[10:11]
	v_mfma_f32_16x16x16_f16 v[60:63], v[40:41], v[8:9], v[60:63]
	v_lshl_add_u64 v[72:73], v[68:69], 0, v[50:51]
	v_lshl_add_u64 v[50:51], v[56:57], 0, v[52:53]
	s_ashr_i32 s12, s18, 31
	v_mfma_f32_16x16x16_f16 v[64:67], v[44:45], v[8:9], v[64:67]
	ds_read_b128 v[42:45], v59 offset:4096
	ds_read_b128 v[38:41], v59 offset:6144
	v_lshl_add_u64 v[82:83], v[72:73], 0, v[52:53]
	global_load_dwordx4 v[50:53], v[50:51], off
	s_waitcnt vmcnt(7) lgkmcnt(2)
	v_mfma_f32_16x16x16_f16 v[58:61], v[18:19], v[2:3], v[60:63]
	s_lshr_b32 s10, s12, 27
	v_add_u32_e32 v81, s10, v70
	v_add_u32_e32 v84, s10, v71
	s_waitcnt vmcnt(6)
	v_mfma_f32_16x16x16_f16 v[62:65], v[26:27], v[2:3], v[64:67]
	v_lshl_add_u64 v[68:69], v[72:73], 0, v[46:47]
	v_ashrrev_i32_e32 v46, 5, v81
	v_add_u32_e32 v85, s10, v79
	v_lshl_add_u64 v[66:67], v[56:57], 0, v[48:49]
	global_load_dwordx4 v[54:57], v[54:55], off offset:2048
	v_mfma_f32_16x16x16_f16 v[18:21], v[20:21], v[4:5], v[58:61]
	v_add_u32_e32 v87, s10, v80
	s_add_u32 s4, s14, s4
	s_addc_u32 s5, s15, s5
	v_mfma_f32_16x16x16_f16 v[26:29], v[28:29], v[4:5], v[62:65]
	v_ashrrev_i32_e32 v58, 5, v84
	s_waitcnt vmcnt(6) lgkmcnt(1)
	v_mfma_f32_16x16x16_f16 v[18:21], v[14:15], v[42:43], v[18:21]
	v_cndmask_b32_e32 v14, v78, v46, vcc
	v_cmp_gt_i32_e32 vcc, s33, v71
	v_ashrrev_i32_e32 v15, 31, v14
	s_waitcnt vmcnt(4)
	v_mfma_f32_16x16x16_f16 v[26:29], v[30:31], v[42:43], v[26:29]
	v_cndmask_b32_e32 v30, v78, v58, vcc
	v_ashrrev_i32_e32 v31, 31, v30
	v_lshl_add_u64 v[14:15], v[14:15], 2, s[6:7]
	v_lshl_add_u64 v[30:31], v[30:31], 2, s[6:7]
	global_load_dword v92, v[14:15], off
	global_load_dword v93, v[30:31], off
	v_mfma_f32_16x16x16_f16 v[14:17], v[16:17], v[44:45], v[18:21]
	global_load_dwordx4 v[58:61], v[68:69], off
	v_ashrrev_i32_e32 v62, 5, v85
	global_load_dwordx4 v[82:85], v[82:83], off
	v_cmp_gt_i32_e32 vcc, s33, v79
	global_load_dwordx4 v[18:21], v[66:67], off
	s_waitcnt lgkmcnt(0)
	v_mfma_f32_16x16x16_f16 v[14:17], v[10:11], v[38:39], v[14:17]
	v_cndmask_b32_e32 v10, v78, v62, vcc
	v_ashrrev_i32_e32 v11, 31, v10
	v_lshl_add_u64 v[10:11], v[10:11], 2, s[6:7]
	global_load_dword v62, v[10:11], off
	v_ashrrev_i32_e32 v63, 5, v87
	global_load_dwordx4 v[68:71], v[68:69], off offset:2048
	v_cmp_gt_i32_e32 vcc, s33, v80
	v_mfma_f32_16x16x16_f16 v[64:67], v[12:13], v[40:41], v[14:17]
	v_lshl_or_b32 v87, v86, 4, v76
	v_cndmask_b32_e32 v10, v78, v63, vcc
	v_ashrrev_i32_e32 v11, 31, v10
	v_lshl_add_u64 v[10:11], v[10:11], 2, s[6:7]
	global_load_dword v63, v[10:11], off
	v_lshl_add_u64 v[14:15], v[72:73], 0, v[48:49]
	global_load_dwordx4 v[88:91], v[14:15], off
	s_waitcnt vmcnt(11)
	v_mfma_f32_16x16x16_f16 v[10:13], v[34:35], v[6:7], 0
	v_and_b32_e32 v14, 16, v0
	v_lshlrev_b32_e32 v46, 1, v14
	v_mfma_f32_16x16x16_f16 v[10:13], v[36:37], v[8:9], v[10:13]
	v_lshl_add_u64 v[36:37], s[4:5], 0, v[46:47]
	v_lshlrev_b32_e32 v46, 6, v87
	v_lshl_add_u64 v[48:49], v[36:37], 0, v[46:47]
	v_mfma_f32_16x16x16_f16 v[26:29], v[32:33], v[44:45], v[26:29]
	v_or_b32_e32 v46, 0x1000, v46
	s_waitcnt vmcnt(8)
	v_mad_i64_i32 v[14:15], s[4:5], v92, s9, 0
	v_mfma_f32_16x16x16_f16 v[10:13], v[54:55], v[2:3], v[10:13]
	v_mfma_f32_16x16x16_f16 v[10:13], v[56:57], v[4:5], v[10:13]
	v_lshlrev_b64 v[56:57], 1, v[14:15]
	v_lshl_add_u64 v[14:15], v[48:49], 0, v[56:57]
	v_mfma_f32_16x16x16_f16 v[10:13], v[50:51], v[42:43], v[10:13]
	v_mfma_f32_16x16x16_f16 v[10:13], v[52:53], v[44:45], v[10:13]
	;; [unrolled: 1-line block ×3, first 2 shown]
	s_waitcnt vmcnt(4)
	v_mfma_f32_16x16x16_f16 v[10:13], v[18:19], v[38:39], v[10:13]
	v_mfma_f32_16x16x16_f16 v[78:81], v[24:25], v[40:41], v[26:29]
	global_load_dwordx4 v[30:33], v[14:15], off
	s_nop 2
	global_load_dwordx4 v[26:29], v[14:15], off offset:16
	v_mad_i64_i32 v[14:15], s[4:5], v93, s9, 0
	v_lshlrev_b64 v[34:35], 1, v[14:15]
	v_mfma_f32_16x16x16_f16 v[52:55], v[20:21], v[40:41], v[10:13]
	s_nop 2
	v_lshl_add_u64 v[10:11], v[48:49], 0, v[34:35]
	global_load_dwordx4 v[22:25], v[10:11], off
	global_load_dwordx4 v[18:21], v[10:11], off offset:16
	v_mfma_f32_16x16x16_f16 v[10:13], v[58:59], v[6:7], 0
	s_waitcnt vmcnt(7)
	v_mad_i64_i32 v[6:7], s[4:5], v62, s9, 0
	v_lshlrev_b64 v[50:51], 1, v[6:7]
	v_mfma_f32_16x16x16_f16 v[6:9], v[60:61], v[8:9], v[10:13]
	s_waitcnt vmcnt(6)
	v_mfma_f32_16x16x16_f16 v[6:9], v[68:69], v[2:3], v[6:9]
	s_waitcnt vmcnt(5)
	v_mad_i64_i32 v[2:3], s[4:5], v63, s9, 0
	v_lshlrev_b64 v[58:59], 1, v[2:3]
	v_mfma_f32_16x16x16_f16 v[60:63], v[70:71], v[4:5], v[6:9]
	v_lshl_add_u64 v[10:11], v[48:49], 0, v[50:51]
	v_lshl_add_u64 v[2:3], v[48:49], 0, v[58:59]
	global_load_dwordx4 v[14:17], v[10:11], off
	s_nop 0
	global_load_dwordx4 v[10:13], v[10:11], off offset:16
	v_mfma_f32_16x16x16_f16 v[68:71], v[82:83], v[42:43], v[60:63]
	v_pk_mul_f32 v[82:83], s[8:9], v[66:67] op_sel_hi:[0,1]
	global_load_dwordx4 v[6:9], v[2:3], off
	s_nop 0
	global_load_dwordx4 v[2:5], v[2:3], off offset:16
	v_lshl_add_u64 v[62:63], v[36:37], 0, v[46:47]
	v_mfma_f32_16x16x16_f16 v[42:45], v[84:85], v[44:45], v[68:71]
	v_pk_mul_f32 v[60:61], s[8:9], v[64:65] op_sel_hi:[0,1]
	v_pk_mul_f32 v[84:85], s[8:9], v[80:81] op_sel_hi:[0,1]
	;; [unrolled: 1-line block ×3, first 2 shown]
	s_waitcnt vmcnt(8)
	v_mfma_f32_16x16x16_f16 v[36:39], v[88:89], v[38:39], v[42:45]
	v_pk_mul_f32 v[70:71], s[8:9], v[78:79] op_sel_hi:[0,1]
	v_pk_mul_f32 v[78:79], s[8:9], v[54:55] op_sel_hi:[0,1]
	v_lshl_add_u64 v[56:57], v[62:63], 0, v[56:57]
	v_mfma_f32_16x16x16_f16 v[36:39], v[90:91], v[40:41], v[36:39]
	v_lshl_add_u64 v[34:35], v[62:63], 0, v[34:35]
	v_lshl_add_u64 v[50:51], v[62:63], 0, v[50:51]
	v_lshl_add_u64 v[58:59], v[62:63], 0, v[58:59]
	s_nop 3
	v_pk_mul_f32 v[72:73], s[8:9], v[36:37] op_sel_hi:[0,1]
	v_and_b32_e32 v36, 0xc0, v0
	v_add_u32_e32 v36, s18, v36
	v_lshl_or_b32 v36, v1, 2, v36
	v_pk_mul_f32 v[66:67], s[8:9], v[38:39] op_sel_hi:[0,1]
	v_or_b32_e32 v39, 1, v36
	v_mov_b32_e32 v37, 0xff7fffff
	v_cmp_gt_i32_e64 s[28:29], s33, v36
	v_cmp_gt_i32_e64 s[30:31], s33, v39
	v_or_b32_e32 v40, 3, v36
	v_cndmask_b32_e64 v38, v37, v60, s[28:29]
	v_cndmask_b32_e64 v39, v37, v61, s[30:31]
	v_max3_f32 v38, v38, s41, v39
	v_or_b32_e32 v39, 2, v36
	v_cmp_gt_i32_e64 s[34:35], s33, v39
	v_cmp_gt_i32_e64 s[36:37], s33, v40
	s_nop 0
	v_cndmask_b32_e64 v39, v37, v82, s[34:35]
	v_cndmask_b32_e64 v40, v37, v83, s[36:37]
	v_max3_f32 v38, v38, v39, v40
	v_or_b32_e32 v39, 16, v36
	v_or_b32_e32 v40, 17, v36
	v_cmp_gt_i32_e64 s[22:23], s33, v39
	v_cmp_gt_i32_e64 s[24:25], s33, v40
	s_nop 0
	v_cndmask_b32_e64 v39, v37, v70, s[22:23]
	v_cndmask_b32_e64 v40, v37, v71, s[24:25]
	v_max3_f32 v38, v38, v39, v40
	v_or_b32_e32 v39, 18, v36
	;; [unrolled: 8-line block ×6, first 2 shown]
	v_or_b32_e32 v36, 51, v36
	v_cmp_gt_i32_e32 vcc, s33, v39
	v_cmp_gt_i32_e64 s[4:5], s33, v36
	s_nop 0
	v_cndmask_b32_e32 v39, v37, v66, vcc
	v_cndmask_b32_e64 v36, v37, v67, s[4:5]
	v_max3_f32 v52, v38, v39, v36
	v_mbcnt_lo_u32_b32 v36, -1, 0
	v_mbcnt_hi_u32_b32 v53, -1, v36
	v_and_b32_e32 v36, 64, v53
	v_add_u32_e32 v54, 64, v36
	v_xor_b32_e32 v36, 32, v53
	v_cmp_lt_i32_e64 s[38:39], v36, v54
	global_load_dwordx4 v[46:49], v[56:57], off
	global_load_dwordx4 v[38:41], v[56:57], off offset:16
	v_cndmask_b32_e64 v36, v53, v36, s[38:39]
	v_lshlrev_b32_e32 v89, 2, v36
	ds_bpermute_b32 v55, v89, v52
	global_load_dwordx4 v[42:45], v[34:35], off
	s_nop 0
	global_load_dwordx4 v[34:37], v[34:35], off offset:16
	s_waitcnt lgkmcnt(0)
	v_max_f32_e32 v55, v55, v55
	v_max_f32_e32 v64, v52, v55
	v_xor_b32_e32 v52, 16, v53
	v_cmp_lt_i32_e64 s[38:39], v52, v54
	s_nop 1
	v_cndmask_b32_e64 v52, v53, v52, s[38:39]
	v_lshlrev_b32_e32 v90, 2, v52
	ds_bpermute_b32 v65, v90, v64
	global_load_dwordx4 v[54:57], v[50:51], off
	s_nop 0
	global_load_dwordx4 v[50:53], v[50:51], off offset:16
	s_waitcnt lgkmcnt(0)
	v_max_f32_e32 v62, v65, v65
	v_max_f32_e32 v88, v64, v62
	v_sub_f32_e32 v60, v60, v88
	v_mul_f32_e32 v60, 0x3fb8aa3b, v60
	v_exp_f32_e32 v68, v60
	v_sub_f32_e32 v60, v61, v88
	v_mul_f32_e32 v60, 0x3fb8aa3b, v60
	v_exp_f32_e32 v69, v60
	global_load_dwordx4 v[62:65], v[58:59], off
	s_nop 0
	global_load_dwordx4 v[58:61], v[58:59], off offset:16
	v_sub_f32_e32 v82, v82, v88
	v_mul_f32_e32 v82, 0x3fb8aa3b, v82
	v_sub_f32_e32 v83, v83, v88
	v_exp_f32_e32 v82, v82
	v_mul_f32_e32 v83, 0x3fb8aa3b, v83
	v_sub_f32_e32 v70, v70, v88
	v_exp_f32_e32 v83, v83
	v_mul_f32_e32 v70, 0x3fb8aa3b, v70
	v_sub_f32_e32 v71, v71, v88
	v_cndmask_b32_e64 v68, 0, v68, s[28:29]
	v_exp_f32_e32 v70, v70
	v_mul_f32_e32 v71, 0x3fb8aa3b, v71
	v_sub_f32_e32 v84, v84, v88
	v_add_f32_e32 v91, 0, v68
	v_cndmask_b32_e64 v69, 0, v69, s[30:31]
	v_exp_f32_e32 v71, v71
	v_mul_f32_e32 v84, 0x3fb8aa3b, v84
	v_sub_f32_e32 v85, v85, v88
	v_add_f32_e32 v91, v91, v69
	;; [unrolled: 5-line block ×10, first 2 shown]
	v_cndmask_b32_e64 v78, 0, v78, s[10:11]
	v_exp_f32_e32 v66, v66
	v_mul_f32_e32 v67, 0x3fb8aa3b, v67
	v_add_f32_e32 v91, v91, v78
	v_cndmask_b32_e64 v79, 0, v79, s[12:13]
	v_exp_f32_e32 v67, v67
	v_add_f32_e32 v91, v91, v79
	v_cndmask_b32_e64 v72, 0, v72, s[6:7]
	v_add_f32_e32 v91, v91, v72
	v_cndmask_b32_e64 v73, 0, v73, s[8:9]
	v_add_f32_e32 v91, v91, v73
	v_cndmask_b32_e32 v66, 0, v66, vcc
	v_add_f32_e32 v91, v91, v66
	v_cndmask_b32_e64 v67, 0, v67, s[4:5]
	v_add_f32_e32 v91, v91, v67
	ds_bpermute_b32 v89, v89, v91
	v_cmp_gt_u32_e32 vcc, 16, v77
	s_waitcnt lgkmcnt(0)
	s_barrier
	v_add_f32_e32 v89, v91, v89
	ds_bpermute_b32 v90, v90, v89
	s_and_saveexec_b64 s[4:5], vcc
	s_cbranch_execz .LBB370_15
; %bb.14:
	s_waitcnt lgkmcnt(0)
	v_add_f32_e32 v77, v89, v90
	v_lshlrev_b32_e32 v87, 2, v87
	ds_write2st64_b32 v87, v88, v77 offset1:1
.LBB370_15:
	s_or_b64 exec, exec, s[4:5]
	v_lshlrev_b32_e32 v77, 2, v76
	s_load_dword s6, s[0:1], 0x94
	s_waitcnt lgkmcnt(0)
	s_barrier
	ds_read2_b32 v[88:89], v77 offset1:16
	ds_read2_b32 v[90:91], v77 offset0:32 offset1:48
	ds_read2_b32 v[92:93], v77 offset0:64 offset1:80
	;; [unrolled: 1-line block ×3, first 2 shown]
	s_waitcnt lgkmcnt(0)
	v_max3_f32 v87, v88, s41, v89
	v_max3_f32 v87, v87, v90, v91
	v_sub_f32_e32 v88, v88, v87
	v_mul_f32_e32 v88, 0x3fb8aa3b, v88
	v_exp_f32_e32 v86, v88
	v_sub_f32_e32 v88, v89, v87
	v_mul_f32_e32 v88, 0x3fb8aa3b, v88
	v_exp_f32_e32 v89, v88
	v_sub_f32_e32 v88, v90, v87
	v_mul_f32_e32 v88, 0x3fb8aa3b, v88
	v_sub_f32_e32 v77, v91, v87
	v_exp_f32_e32 v90, v88
	v_mul_f32_e32 v77, 0x3fb8aa3b, v77
	v_exp_f32_e32 v77, v77
	v_fma_f32 v88, v86, v92, 0
	v_fmac_f32_e32 v88, v89, v93
	v_fmac_f32_e32 v88, v90, v94
	;; [unrolled: 1-line block ×3, first 2 shown]
	v_add_f32_e32 v91, 0x358637bd, v88
	v_div_scale_f32 v92, s[4:5], v91, v91, 1.0
	v_rcp_f32_e32 v93, v92
	s_barrier
	s_mul_i32 s7, s27, 7
	v_fma_f32 v94, -v92, v93, 1.0
	v_fmac_f32_e32 v93, v94, v93
	v_div_scale_f32 v94, vcc, 1.0, v91, 1.0
	v_mul_f32_e32 v95, v94, v93
	v_fma_f32 v1, -v92, v95, v94
	v_fmac_f32_e32 v95, v1, v93
	v_fma_f32 v1, -v92, v95, v94
	v_div_fmas_f32 v1, v1, v93, v95
	v_div_fixup_f32 v1, v1, v91, 1.0
	v_lshrrev_b32_e32 v91, 6, v0
	v_cmp_eq_u32_e32 vcc, 1, v91
	s_nop 1
	v_cndmask_b32_e32 v86, v86, v89, vcc
	v_cmp_eq_u32_e32 vcc, 2, v91
	s_nop 1
	v_cndmask_b32_e32 v86, v86, v90, vcc
	;; [unrolled: 3-line block ×3, first 2 shown]
	v_mul_f32_e32 v90, v77, v1
	v_pk_mul_f32 v[82:83], v[90:91], v[82:83] op_sel_hi:[0,1]
	v_pk_mul_f32 v[68:69], v[90:91], v[68:69] op_sel_hi:[0,1]
	v_cvt_f16_f32_e32 v1, v68
	v_cvt_f16_f32_e32 v68, v69
	;; [unrolled: 1-line block ×4, first 2 shown]
	v_pk_mul_f32 v[84:85], v[90:91], v[84:85] op_sel_hi:[0,1]
	v_pk_mul_f32 v[70:71], v[90:91], v[70:71] op_sel_hi:[0,1]
	v_bfe_u32 v86, v0, 4, 2
	v_pack_b32_f16 v83, v69, v77
	v_cvt_f16_f32_e32 v69, v70
	v_cvt_f16_f32_e32 v70, v71
	;; [unrolled: 1-line block ×4, first 2 shown]
	v_pack_b32_f16 v82, v1, v68
	v_lshlrev_b32_e32 v1, 3, v86
	v_lshlrev_b32_e32 v68, 5, v76
	v_lshlrev_b32_e32 v84, 11, v91
	v_or3_b32 v1, v84, v68, v1
	v_pack_b32_f16 v70, v69, v70
	v_pack_b32_f16 v71, v71, v77
	ds_write2st64_b64 v1, v[82:83], v[70:71] offset1:1
	v_pk_mul_f32 v[70:71], v[90:91], v[78:79] op_sel_hi:[0,1]
	v_pk_mul_f32 v[78:79], v[90:91], v[80:81] op_sel_hi:[0,1]
	v_cvt_f16_f32_e32 v69, v78
	v_cvt_f16_f32_e32 v77, v79
	v_cvt_f16_f32_e32 v78, v70
	v_cvt_f16_f32_e32 v79, v71
	v_pk_mul_f32 v[66:67], v[90:91], v[66:67] op_sel_hi:[0,1]
	v_pk_mul_f32 v[70:71], v[90:91], v[72:73] op_sel_hi:[0,1]
	v_cvt_f16_f32_e32 v70, v70
	v_cvt_f16_f32_e32 v71, v71
	;; [unrolled: 1-line block ×4, first 2 shown]
	v_pack_b32_f16 v66, v69, v77
	v_pack_b32_f16 v67, v78, v79
	v_pack_b32_f16 v70, v70, v71
	v_pack_b32_f16 v71, v72, v73
	v_cmp_gt_u32_e32 vcc, 7, v0
	ds_write2st64_b64 v1, v[66:67], v[70:71] offset0:2 offset1:3
	s_and_saveexec_b64 s[4:5], vcc
	s_cbranch_execz .LBB370_17
; %bb.16:
	s_mov_b32 s41, 0
	v_mov_b32_e32 v77, 0
	v_lshl_add_u64 v[66:67], s[40:41], 0, v[76:77]
	v_mov_b32_e32 v69, s7
	v_mad_u64_u32 v[66:67], s[12:13], s2, v69, v[66:67]
	s_mul_i32 s3, s3, s7
	v_mov_b32_e32 v70, s26
	v_mov_b32_e32 v71, v77
	s_load_dwordx4 s[8:11], s[0:1], 0x58
	v_add_u32_e32 v69, s3, v67
	v_mad_u64_u32 v[66:67], s[12:13], v66, s6, v[70:71]
	v_mov_b32_e32 v70, v67
	v_mad_u64_u32 v[70:71], s[12:13], v69, s6, v[70:71]
	v_mov_b32_e32 v67, v70
	v_lshlrev_b64 v[66:67], 2, v[66:67]
	s_waitcnt lgkmcnt(0)
	v_lshl_add_u64 v[70:71], s[10:11], 0, v[66:67]
	v_lshl_add_u64 v[66:67], s[8:9], 0, v[66:67]
	global_store_dword v[70:71], v87, off
	global_store_dword v[66:67], v88, off
.LBB370_17:
	s_or_b64 exec, exec, s[4:5]
	v_lshl_or_b32 v77, v86, 9, v68
	s_waitcnt lgkmcnt(0)
	s_barrier
	ds_read_b128 v[70:73], v77
	ds_read_b128 v[66:69], v77 offset:16
	s_waitcnt vmcnt(15) lgkmcnt(1)
	v_mfma_f32_16x16x16_f16 v[78:81], v[30:31], v[70:71], 0
	s_mov_b32 s3, 0
	v_cmp_gt_u32_e32 vcc, 64, v0
	v_mfma_f32_16x16x16_f16 v[30:33], v[32:33], v[72:73], v[78:81]
	s_waitcnt vmcnt(14) lgkmcnt(0)
	v_mfma_f32_16x16x16_f16 v[30:33], v[26:27], v[66:67], v[30:33]
	v_mfma_f32_16x16x16_f16 v[26:29], v[28:29], v[68:69], v[30:33]
	s_nop 5
	ds_read_b128 v[30:33], v77 offset:2048
	ds_read_b128 v[78:81], v77 offset:2064
	s_waitcnt vmcnt(13) lgkmcnt(1)
	v_mfma_f32_16x16x16_f16 v[26:29], v[22:23], v[30:31], v[26:29]
	v_mfma_f32_16x16x16_f16 v[22:25], v[24:25], v[32:33], v[26:29]
	s_waitcnt vmcnt(12) lgkmcnt(0)
	v_mfma_f32_16x16x16_f16 v[22:25], v[18:19], v[78:79], v[22:25]
	v_mfma_f32_16x16x16_f16 v[18:21], v[20:21], v[80:81], v[22:25]
	s_nop 5
	ds_read_b128 v[22:25], v77 offset:4096
	ds_read_b128 v[26:29], v77 offset:4112
	s_waitcnt vmcnt(11) lgkmcnt(1)
	v_mfma_f32_16x16x16_f16 v[18:21], v[14:15], v[22:23], v[18:21]
	v_mfma_f32_16x16x16_f16 v[14:17], v[16:17], v[24:25], v[18:21]
	s_waitcnt vmcnt(10) lgkmcnt(0)
	v_mfma_f32_16x16x16_f16 v[14:17], v[10:11], v[26:27], v[14:17]
	v_mfma_f32_16x16x16_f16 v[10:13], v[12:13], v[28:29], v[14:17]
	s_nop 5
	ds_read_b128 v[14:17], v77 offset:6144
	ds_read_b128 v[18:21], v77 offset:6160
	s_waitcnt lgkmcnt(0)
	s_barrier
	s_waitcnt vmcnt(9)
	v_mfma_f32_16x16x16_f16 v[10:13], v[6:7], v[14:15], v[10:13]
	v_mfma_f32_16x16x16_f16 v[6:9], v[8:9], v[16:17], v[10:13]
	s_waitcnt vmcnt(8)
	v_mfma_f32_16x16x16_f16 v[6:9], v[2:3], v[18:19], v[6:9]
	v_mfma_f32_16x16x16_f16 v[2:5], v[4:5], v[20:21], v[6:9]
	;; [unrolled: 3-line block ×3, first 2 shown]
	s_nop 3
	v_cvt_f16_f32_e32 v10, v2
	v_cvt_f16_f32_e32 v11, v3
	;; [unrolled: 1-line block ×3, first 2 shown]
	s_waitcnt vmcnt(6)
	v_mfma_f32_16x16x16_f16 v[6:9], v[38:39], v[66:67], v[6:9]
	v_cvt_f16_f32_e32 v13, v5
	v_mfma_f32_16x16x16_f16 v[6:9], v[40:41], v[68:69], v[6:9]
	s_waitcnt vmcnt(5)
	v_mfma_f32_16x16x16_f16 v[6:9], v[42:43], v[30:31], v[6:9]
	v_mfma_f32_16x16x16_f16 v[6:9], v[44:45], v[32:33], v[6:9]
	s_waitcnt vmcnt(4)
	v_mfma_f32_16x16x16_f16 v[6:9], v[34:35], v[78:79], v[6:9]
	v_mfma_f32_16x16x16_f16 v[6:9], v[36:37], v[80:81], v[6:9]
	s_waitcnt vmcnt(3)
	v_mfma_f32_16x16x16_f16 v[6:9], v[54:55], v[22:23], v[6:9]
	v_mfma_f32_16x16x16_f16 v[6:9], v[56:57], v[24:25], v[6:9]
	s_waitcnt vmcnt(2)
	v_mfma_f32_16x16x16_f16 v[6:9], v[50:51], v[26:27], v[6:9]
	v_mfma_f32_16x16x16_f16 v[6:9], v[52:53], v[28:29], v[6:9]
	s_waitcnt vmcnt(1)
	v_mfma_f32_16x16x16_f16 v[6:9], v[62:63], v[14:15], v[6:9]
	v_mfma_f32_16x16x16_f16 v[6:9], v[64:65], v[16:17], v[6:9]
	s_waitcnt vmcnt(0)
	v_mfma_f32_16x16x16_f16 v[6:9], v[58:59], v[18:19], v[6:9]
	v_mfma_f32_16x16x16_f16 v[2:5], v[60:61], v[20:21], v[6:9]
	s_nop 6
	v_cvt_f16_f32_e32 v6, v2
	v_cvt_f16_f32_e32 v7, v3
	;; [unrolled: 1-line block ×4, first 2 shown]
	v_pack_b32_f16 v2, v10, v11
	v_pack_b32_f16 v3, v12, v13
	;; [unrolled: 1-line block ×4, first 2 shown]
	ds_write2st64_b64 v1, v[2:3], v[4:5] offset1:1
	s_waitcnt lgkmcnt(0)
	s_barrier
	s_and_saveexec_b64 s[4:5], vcc
	s_cbranch_execz .LBB370_20
; %bb.18:
	s_load_dwordx2 s[4:5], s[0:1], 0x68
	s_lshl_b32 s0, s6, 7
	s_mul_i32 s1, s7, s2
	v_lshlrev_b32_e32 v3, 6, v76
	s_mul_hi_u32 s7, s1, s0
	s_mul_i32 s6, s1, s0
	v_lshlrev_b32_e32 v2, 4, v0
	v_lshl_or_b32 v0, v0, 10, v3
	s_lshl_b64 s[6:7], s[6:7], 1
	v_lshlrev_b32_e32 v1, 5, v86
	v_and_b32_e32 v2, 16, v2
	v_and_b32_e32 v0, 0x1a00, v0
	s_waitcnt lgkmcnt(0)
	s_add_u32 s1, s4, s6
	v_or3_b32 v2, v0, v1, v2
	s_addc_u32 s4, s5, s7
	s_lshl_b32 s2, s26, 7
	s_lshl_b64 s[2:3], s[2:3], 1
	ds_read_b128 v[4:7], v2
	s_add_u32 s2, s1, s2
	s_addc_u32 s3, s4, s3
	v_add_u32_e32 v3, s40, v86
	v_lshl_add_u64 v[0:1], v[74:75], 1, s[2:3]
	v_mad_u64_u32 v[8:9], s[2:3], v3, s0, 0
	v_lshl_add_u64 v[8:9], v[8:9], 1, v[0:1]
	v_cmp_ne_u32_e32 vcc, 3, v86
	s_waitcnt lgkmcnt(0)
	global_store_dwordx4 v[8:9], v[4:7], off
	s_and_b64 exec, exec, vcc
	s_cbranch_execz .LBB370_20
; %bb.19:
	ds_read_b128 v[2:5], v2 offset:128
	v_add3_u32 v6, s40, v86, 4
	v_mad_u64_u32 v[6:7], s[0:1], v6, s0, 0
	v_lshl_add_u64 v[0:1], v[6:7], 1, v[0:1]
	s_waitcnt lgkmcnt(0)
	global_store_dwordx4 v[0:1], v[2:5], off
.LBB370_20:
	s_endpgm
	.section	.rodata,"a",@progbits
	.p2align	6, 0x0
	.amdhsa_kernel _Z39paged_attention_ll4mi_QKV_mfma16_kernelIDF16_DF16_LN4vllm18Fp8KVCacheDataTypeE0EDF16_Li32ELi128ELi256ELb0ELi7EEvPKT_PKT0_S7_ifPKiS9_S9_iPKfiiiPfSC_PS2_PT2_iSB_SB_
		.amdhsa_group_segment_fixed_size 8192
		.amdhsa_private_segment_fixed_size 0
		.amdhsa_kernarg_size 400
		.amdhsa_user_sgpr_count 2
		.amdhsa_user_sgpr_dispatch_ptr 0
		.amdhsa_user_sgpr_queue_ptr 0
		.amdhsa_user_sgpr_kernarg_segment_ptr 1
		.amdhsa_user_sgpr_dispatch_id 0
		.amdhsa_user_sgpr_kernarg_preload_length 0
		.amdhsa_user_sgpr_kernarg_preload_offset 0
		.amdhsa_user_sgpr_private_segment_size 0
		.amdhsa_uses_dynamic_stack 0
		.amdhsa_enable_private_segment 0
		.amdhsa_system_sgpr_workgroup_id_x 1
		.amdhsa_system_sgpr_workgroup_id_y 1
		.amdhsa_system_sgpr_workgroup_id_z 1
		.amdhsa_system_sgpr_workgroup_info 0
		.amdhsa_system_vgpr_workitem_id 0
		.amdhsa_next_free_vgpr 96
		.amdhsa_next_free_sgpr 42
		.amdhsa_accum_offset 96
		.amdhsa_reserve_vcc 1
		.amdhsa_float_round_mode_32 0
		.amdhsa_float_round_mode_16_64 0
		.amdhsa_float_denorm_mode_32 3
		.amdhsa_float_denorm_mode_16_64 3
		.amdhsa_dx10_clamp 1
		.amdhsa_ieee_mode 1
		.amdhsa_fp16_overflow 0
		.amdhsa_tg_split 0
		.amdhsa_exception_fp_ieee_invalid_op 0
		.amdhsa_exception_fp_denorm_src 0
		.amdhsa_exception_fp_ieee_div_zero 0
		.amdhsa_exception_fp_ieee_overflow 0
		.amdhsa_exception_fp_ieee_underflow 0
		.amdhsa_exception_fp_ieee_inexact 0
		.amdhsa_exception_int_div_zero 0
	.end_amdhsa_kernel
	.section	.text._Z39paged_attention_ll4mi_QKV_mfma16_kernelIDF16_DF16_LN4vllm18Fp8KVCacheDataTypeE0EDF16_Li32ELi128ELi256ELb0ELi7EEvPKT_PKT0_S7_ifPKiS9_S9_iPKfiiiPfSC_PS2_PT2_iSB_SB_,"axG",@progbits,_Z39paged_attention_ll4mi_QKV_mfma16_kernelIDF16_DF16_LN4vllm18Fp8KVCacheDataTypeE0EDF16_Li32ELi128ELi256ELb0ELi7EEvPKT_PKT0_S7_ifPKiS9_S9_iPKfiiiPfSC_PS2_PT2_iSB_SB_,comdat
.Lfunc_end370:
	.size	_Z39paged_attention_ll4mi_QKV_mfma16_kernelIDF16_DF16_LN4vllm18Fp8KVCacheDataTypeE0EDF16_Li32ELi128ELi256ELb0ELi7EEvPKT_PKT0_S7_ifPKiS9_S9_iPKfiiiPfSC_PS2_PT2_iSB_SB_, .Lfunc_end370-_Z39paged_attention_ll4mi_QKV_mfma16_kernelIDF16_DF16_LN4vllm18Fp8KVCacheDataTypeE0EDF16_Li32ELi128ELi256ELb0ELi7EEvPKT_PKT0_S7_ifPKiS9_S9_iPKfiiiPfSC_PS2_PT2_iSB_SB_
                                        ; -- End function
	.section	.AMDGPU.csdata,"",@progbits
; Kernel info:
; codeLenInByte = 4552
; NumSgprs: 48
; NumVgprs: 96
; NumAgprs: 0
; TotalNumVgprs: 96
; ScratchSize: 0
; MemoryBound: 0
; FloatMode: 240
; IeeeMode: 1
; LDSByteSize: 8192 bytes/workgroup (compile time only)
; SGPRBlocks: 5
; VGPRBlocks: 11
; NumSGPRsForWavesPerEU: 48
; NumVGPRsForWavesPerEU: 96
; AccumOffset: 96
; Occupancy: 5
; WaveLimiterHint : 1
; COMPUTE_PGM_RSRC2:SCRATCH_EN: 0
; COMPUTE_PGM_RSRC2:USER_SGPR: 2
; COMPUTE_PGM_RSRC2:TRAP_HANDLER: 0
; COMPUTE_PGM_RSRC2:TGID_X_EN: 1
; COMPUTE_PGM_RSRC2:TGID_Y_EN: 1
; COMPUTE_PGM_RSRC2:TGID_Z_EN: 1
; COMPUTE_PGM_RSRC2:TIDIG_COMP_CNT: 0
; COMPUTE_PGM_RSRC3_GFX90A:ACCUM_OFFSET: 23
; COMPUTE_PGM_RSRC3_GFX90A:TG_SPLIT: 0
	.section	.text._Z39paged_attention_ll4mi_QKV_mfma16_kernelIDF16_DF16_LN4vllm18Fp8KVCacheDataTypeE0EDF16_Li32ELi128ELi256ELb0ELi8EEvPKT_PKT0_S7_ifPKiS9_S9_iPKfiiiPfSC_PS2_PT2_iSB_SB_,"axG",@progbits,_Z39paged_attention_ll4mi_QKV_mfma16_kernelIDF16_DF16_LN4vllm18Fp8KVCacheDataTypeE0EDF16_Li32ELi128ELi256ELb0ELi8EEvPKT_PKT0_S7_ifPKiS9_S9_iPKfiiiPfSC_PS2_PT2_iSB_SB_,comdat
	.protected	_Z39paged_attention_ll4mi_QKV_mfma16_kernelIDF16_DF16_LN4vllm18Fp8KVCacheDataTypeE0EDF16_Li32ELi128ELi256ELb0ELi8EEvPKT_PKT0_S7_ifPKiS9_S9_iPKfiiiPfSC_PS2_PT2_iSB_SB_ ; -- Begin function _Z39paged_attention_ll4mi_QKV_mfma16_kernelIDF16_DF16_LN4vllm18Fp8KVCacheDataTypeE0EDF16_Li32ELi128ELi256ELb0ELi8EEvPKT_PKT0_S7_ifPKiS9_S9_iPKfiiiPfSC_PS2_PT2_iSB_SB_
	.globl	_Z39paged_attention_ll4mi_QKV_mfma16_kernelIDF16_DF16_LN4vllm18Fp8KVCacheDataTypeE0EDF16_Li32ELi128ELi256ELb0ELi8EEvPKT_PKT0_S7_ifPKiS9_S9_iPKfiiiPfSC_PS2_PT2_iSB_SB_
	.p2align	8
	.type	_Z39paged_attention_ll4mi_QKV_mfma16_kernelIDF16_DF16_LN4vllm18Fp8KVCacheDataTypeE0EDF16_Li32ELi128ELi256ELb0ELi8EEvPKT_PKT0_S7_ifPKiS9_S9_iPKfiiiPfSC_PS2_PT2_iSB_SB_,@function
_Z39paged_attention_ll4mi_QKV_mfma16_kernelIDF16_DF16_LN4vllm18Fp8KVCacheDataTypeE0EDF16_Li32ELi128ELi256ELb0ELi8EEvPKT_PKT0_S7_ifPKiS9_S9_iPKfiiiPfSC_PS2_PT2_iSB_SB_: ; @_Z39paged_attention_ll4mi_QKV_mfma16_kernelIDF16_DF16_LN4vllm18Fp8KVCacheDataTypeE0EDF16_Li32ELi128ELi256ELb0ELi8EEvPKT_PKT0_S7_ifPKiS9_S9_iPKfiiiPfSC_PS2_PT2_iSB_SB_
; %bb.0:
	s_load_dwordx2 s[8:9], s[0:1], 0x30
	s_mov_b32 s26, s3
	s_mov_b64 s[6:7], 0
	s_waitcnt lgkmcnt(0)
	s_cmp_lg_u64 s[8:9], 0
	s_cselect_b64 s[10:11], -1, 0
	s_and_b64 vcc, exec, s[10:11]
	s_cbranch_vccz .LBB371_7
; %bb.1:
	s_add_i32 s12, s2, 1
	s_mov_b32 s13, 0
	s_lshl_b64 s[14:15], s[12:13], 2
	s_add_u32 s14, s8, s14
	s_mov_b32 s3, s13
	s_addc_u32 s15, s9, s15
	s_lshl_b64 s[12:13], s[2:3], 2
	s_add_u32 s12, s8, s12
	s_addc_u32 s13, s9, s13
	s_load_dword s5, s[14:15], 0x0
	s_load_dword s16, s[12:13], 0x0
	s_waitcnt lgkmcnt(0)
	s_sub_i32 s5, s5, s16
	s_cmp_eq_u32 s5, 1
	s_cselect_b64 s[12:13], -1, 0
	s_andn2_b64 vcc, exec, s[6:7]
	s_cbranch_vccnz .LBB371_3
.LBB371_2:
	s_mov_b32 s3, 0
	s_mov_b64 s[12:13], -1
.LBB371_3:
	s_andn2_b64 vcc, exec, s[12:13]
	s_cbranch_vccnz .LBB371_19
; %bb.4:
	s_load_dwordx2 s[6:7], s[0:1], 0x28
	s_lshl_b64 s[12:13], s[2:3], 2
	s_waitcnt lgkmcnt(0)
	s_add_u32 s6, s6, s12
	s_addc_u32 s7, s7, s13
	s_load_dword s38, s[6:7], 0x0
	s_lshl_b32 s18, s26, 8
	s_waitcnt lgkmcnt(0)
	s_cmp_ge_i32 s18, s38
	s_cbranch_scc1 .LBB371_19
; %bb.5:
	s_load_dwordx2 s[6:7], s[0:1], 0x20
	s_load_dword s5, s[0:1], 0x38
	s_add_i32 s14, s38, 31
	s_ashr_i32 s15, s14, 31
	v_and_b32_e32 v1, 0xcf, v0
	s_lshr_b32 s15, s15, 27
	v_add_u32_e32 v1, s18, v1
	s_add_i32 s14, s14, s15
	v_ashrrev_i32_e32 v2, 31, v1
	s_ashr_i32 s19, s14, 5
	v_lshrrev_b32_e32 v8, 27, v2
	s_add_i32 s19, s19, -1
	s_waitcnt lgkmcnt(0)
	s_mul_i32 s14, s2, s5
	s_mov_b32 s15, 0
	v_add_u32_e32 v2, v1, v8
	s_lshl_b64 s[14:15], s[14:15], 2
	v_ashrrev_i32_e32 v2, 5, v2
	v_mov_b32_e32 v9, s19
	v_cmp_gt_i32_e32 vcc, s38, v1
	s_add_u32 s6, s6, s14
	s_addc_u32 s7, s7, s15
	v_cndmask_b32_e32 v2, v9, v2, vcc
	v_ashrrev_i32_e32 v3, 31, v2
	v_lshl_add_u64 v[4:5], v[2:3], 2, s[6:7]
	v_or_b32_e32 v2, 16, v1
	v_add_u32_e32 v3, v2, v8
	v_ashrrev_i32_e32 v3, 5, v3
	v_cmp_gt_i32_e32 vcc, s38, v2
	s_nop 1
	v_cndmask_b32_e32 v2, v9, v3, vcc
	v_ashrrev_i32_e32 v3, 31, v2
	v_lshl_add_u64 v[6:7], v[2:3], 2, s[6:7]
	v_or_b32_e32 v2, 32, v1
	v_add_u32_e32 v3, v2, v8
	v_ashrrev_i32_e32 v3, 5, v3
	v_cmp_gt_i32_e32 vcc, s38, v2
	v_or_b32_e32 v1, 48, v1
	s_nop 0
	v_cndmask_b32_e32 v2, v9, v3, vcc
	v_ashrrev_i32_e32 v3, 31, v2
	v_lshl_add_u64 v[10:11], v[2:3], 2, s[6:7]
	v_add_u32_e32 v2, v1, v8
	v_ashrrev_i32_e32 v2, 5, v2
	v_cmp_gt_i32_e32 vcc, s38, v1
	s_nop 1
	v_cndmask_b32_e32 v2, v9, v2, vcc
	v_ashrrev_i32_e32 v3, 31, v2
	v_lshl_add_u64 v[12:13], v[2:3], 2, s[6:7]
	global_load_dword v2, v[4:5], off
	global_load_dword v9, v[6:7], off
	;; [unrolled: 1-line block ×4, first 2 shown]
	s_andn2_b64 vcc, exec, s[10:11]
	s_cbranch_vccnz .LBB371_8
; %bb.6:
	s_add_u32 s8, s8, s12
	s_addc_u32 s9, s9, s13
	s_load_dword s5, s[8:9], 0x0
	s_branch .LBB371_9
.LBB371_7:
	s_mov_b64 s[12:13], 0
	s_branch .LBB371_2
.LBB371_8:
	s_mov_b32 s5, s2
.LBB371_9:
	s_load_dwordx4 s[12:15], s[0:1], 0x8
	s_load_dwordx4 s[8:11], s[0:1], 0x48
	v_and_b32_e32 v1, 15, v0
	s_waitcnt lgkmcnt(0)
	s_movk_i32 s11, 0x7f
	v_lshlrev_b32_e32 v12, 3, v1
	v_cmp_lt_u32_e32 vcc, s11, v0
	s_and_saveexec_b64 s[16:17], vcc
	s_xor_b64 s[16:17], exec, s[16:17]
; %bb.10:
	v_mov_b32_e32 v13, 0
; %bb.11:
	s_or_saveexec_b64 s[16:17], s[16:17]
	v_lshrrev_b32_e32 v85, 6, v0
	s_lshl_b32 s27, s4, 3
	v_bfe_u32 v84, v0, 4, 2
	s_xor_b64 exec, exec, s[16:17]
	s_cbranch_execz .LBB371_13
; %bb.12:
	s_load_dwordx2 s[20:21], s[0:1], 0x0
	s_ashr_i32 s11, s8, 31
	s_mul_hi_u32 s22, s5, s8
	s_mul_i32 s11, s5, s11
	s_add_i32 s23, s22, s11
	s_mul_i32 s22, s5, s8
	v_lshl_or_b32 v3, v85, 2, v84
	s_lshl_b64 s[22:23], s[22:23], 1
	s_waitcnt lgkmcnt(0)
	s_add_u32 s20, s20, s22
	v_add_lshl_u32 v4, v3, s27, 7
	s_addc_u32 s21, s21, s23
	v_ashrrev_i32_e32 v5, 31, v4
	v_mov_b32_e32 v13, 0
	v_lshl_add_u64 v[4:5], v[4:5], 1, s[20:21]
	v_lshlrev_b32_e32 v6, 1, v12
	v_mov_b32_e32 v7, v13
	v_lshl_add_u64 v[4:5], v[4:5], 0, v[6:7]
	global_load_dwordx4 v[4:7], v[4:5], off
	v_and_b32_e32 v1, 15, v0
	v_and_b32_e32 v10, 3, v0
	v_lshlrev_b32_e32 v11, 9, v1
	v_lshlrev_b32_e32 v3, 5, v3
	;; [unrolled: 1-line block ×3, first 2 shown]
	v_and_b32_e32 v11, 0x1800, v11
	v_or3_b32 v3, v11, v10, v3
	s_waitcnt vmcnt(0)
	ds_write_b128 v3, v[4:7]
.LBB371_13:
	s_or_b64 exec, exec, s[16:17]
	s_mul_i32 s4, s4, s10
	s_mov_b32 s5, 0
	s_lshl_b64 s[4:5], s[4:5], 1
	s_add_u32 s10, s12, s4
	s_addc_u32 s11, s13, s5
	s_waitcnt vmcnt(3)
	v_mad_i64_i32 v[2:3], s[12:13], v2, s9, 0
	v_mov_b32_e32 v55, 0
	s_waitcnt vmcnt(2)
	v_mad_i64_i32 v[10:11], s[12:13], v9, s9, 0
	v_mov_b32_e32 v9, 0x100
	v_and_b32_e32 v1, 15, v0
	v_lshl_add_u64 v[2:3], v[2:3], 1, s[10:11]
	v_lshlrev_b64 v[6:7], 1, v[12:13]
	v_lshl_add_u64 v[10:11], v[10:11], 1, s[10:11]
	v_lshl_or_b32 v56, v1, 4, v9
	v_mov_b32_e32 v57, v55
	v_lshlrev_b32_e32 v54, 9, v84
	v_lshl_add_u64 v[2:3], v[2:3], 0, v[6:7]
	v_lshl_add_u64 v[18:19], v[10:11], 0, v[56:57]
	;; [unrolled: 1-line block ×4, first 2 shown]
	s_load_dword s33, s[0:1], 0x98
	s_load_dword s8, s[0:1], 0x1c
	s_waitcnt lgkmcnt(0)
	s_barrier
	scratch_store_dwordx2 off, v[12:13], off ; 8-byte Folded Spill
	global_load_dwordx4 v[14:17], v[4:5], off
	s_waitcnt vmcnt(3)
	v_mad_i64_i32 v[8:9], s[12:13], v8, s9, 0
	global_load_dwordx4 v[10:13], v[20:21], off
	v_lshl_add_u64 v[8:9], v[8:9], 1, s[10:11]
	v_lshl_add_u64 v[60:61], v[8:9], 0, v[6:7]
	v_lshl_add_u64 v[46:47], v[60:61], 0, v[54:55]
	global_load_dwordx4 v[6:9], v[46:47], off
	global_load_dwordx4 v[42:45], v[4:5], off offset:2048
	global_load_dwordx4 v[38:41], v[20:21], off offset:2048
	v_or_b32_e32 v62, 0x1000, v54
	v_mov_b32_e32 v63, v55
	v_lshl_add_u64 v[4:5], v[2:3], 0, v[62:63]
	global_load_dwordx4 v[30:33], v[4:5], off
	v_or_b32_e32 v58, 0x1800, v54
	v_mov_b32_e32 v59, v55
	v_lshl_add_u64 v[2:3], v[2:3], 0, v[58:59]
	global_load_dwordx4 v[22:25], v[2:3], off
	v_lshl_add_u64 v[4:5], v[18:19], 0, v[62:63]
	global_load_dwordx4 v[26:29], v[4:5], off
	;; [unrolled: 2-line block ×3, first 2 shown]
	v_and_b32_e32 v2, 7, v0
	v_lshl_or_b32 v48, v2, 5, v54
	ds_read_b128 v[2:5], v48
	s_waitcnt vmcnt(10)
	v_mad_i64_i32 v[64:65], s[12:13], v34, s9, 0
	ds_read_b128 v[34:37], v48 offset:2048
	global_load_dwordx4 v[76:79], v[46:47], off offset:2048
	ds_read_b128 v[50:53], v48 offset:4096
	ds_read_b128 v[46:49], v48 offset:6144
	s_ashr_i32 s12, s18, 31
	v_and_or_b32 v74, v0, 48, s18
	v_mov_b32_e32 v75, s19
	v_cmp_gt_i32_e32 vcc, s38, v74
	v_or_b32_e32 v87, 64, v74
	v_or_b32_e32 v88, 0x80, v74
	;; [unrolled: 1-line block ×3, first 2 shown]
	s_mov_b32 s40, 0xff7fffff
	s_waitcnt vmcnt(7) lgkmcnt(3)
	v_mfma_f32_16x16x16_f16 v[80:83], v[6:7], v[2:3], 0
	v_lshl_add_u64 v[6:7], v[64:65], 1, s[10:11]
	s_lshr_b32 s10, s12, 27
	v_lshl_add_u64 v[6:7], v[6:7], 0, v[56:57]
	v_mfma_f32_16x16x16_f16 v[70:73], v[10:11], v[2:3], 0
	v_lshl_add_u64 v[64:65], v[6:7], 0, v[54:55]
	v_lshl_add_u64 v[56:57], v[60:61], 0, v[58:59]
	s_add_u32 s4, s14, s4
	v_mfma_f32_16x16x16_f16 v[66:69], v[14:15], v[2:3], 0
	s_addc_u32 s5, s15, s5
	v_mfma_f32_16x16x16_f16 v[10:13], v[12:13], v[4:5], v[70:73]
	v_mfma_f32_16x16x16_f16 v[14:17], v[16:17], v[4:5], v[66:69]
	s_nop 1
	v_lshl_add_u64 v[72:73], v[6:7], 0, v[62:63]
	global_load_dwordx4 v[92:95], v[72:73], off
	s_waitcnt vmcnt(6) lgkmcnt(2)
	v_mfma_f32_16x16x16_f16 v[10:13], v[38:39], v[34:35], v[10:13]
	v_add_u32_e32 v66, s10, v74
	v_ashrrev_i32_e32 v54, 5, v66
	v_add_u32_e32 v67, s10, v87
	v_mfma_f32_16x16x16_f16 v[14:17], v[42:43], v[34:35], v[14:17]
	v_lshl_add_u64 v[42:43], v[60:61], 0, v[62:63]
	v_ashrrev_i32_e32 v60, 5, v67
	v_add_u32_e32 v68, s10, v88
	v_mfma_f32_16x16x16_f16 v[10:13], v[40:41], v[36:37], v[10:13]
	global_load_dwordx4 v[38:41], v[42:43], off
	v_cndmask_b32_e32 v42, v75, v54, vcc
	v_ashrrev_i32_e32 v43, 31, v42
	v_mfma_f32_16x16x16_f16 v[14:17], v[44:45], v[36:37], v[14:17]
	v_cmp_gt_i32_e32 vcc, s38, v87
	v_ashrrev_i32_e32 v66, 5, v68
	v_add_u32_e32 v69, s10, v89
	s_waitcnt vmcnt(6) lgkmcnt(1)
	v_mfma_f32_16x16x16_f16 v[14:17], v[30:31], v[50:51], v[14:17]
	v_lshl_add_u64 v[30:31], v[42:43], 2, s[6:7]
	global_load_dwordx4 v[42:45], v[56:57], off
	v_ashrrev_i32_e32 v68, 5, v69
	global_load_dword v30, v[30:31], off
	s_waitcnt vmcnt(6)
	v_mfma_f32_16x16x16_f16 v[10:13], v[26:27], v[50:51], v[10:13]
	v_cndmask_b32_e32 v26, v75, v60, vcc
	v_ashrrev_i32_e32 v27, 31, v26
	v_lshl_add_u64 v[26:27], v[26:27], 2, s[6:7]
	global_load_dwordx4 v[60:63], v[64:65], off
	global_load_dword v56, v[26:27], off
	v_mfma_f32_16x16x16_f16 v[14:17], v[32:33], v[52:53], v[14:17]
	v_cmp_gt_i32_e32 vcc, s38, v88
	v_lshl_or_b32 v87, v85, 4, v1
	v_and_b32_e32 v1, 63, v0
	v_cndmask_b32_e32 v26, v75, v66, vcc
	v_ashrrev_i32_e32 v27, 31, v26
	s_waitcnt lgkmcnt(0)
	v_mfma_f32_16x16x16_f16 v[14:17], v[22:23], v[46:47], v[14:17]
	v_lshl_add_u64 v[22:23], v[26:27], 2, s[6:7]
	global_load_dword v57, v[22:23], off
	v_cmp_gt_i32_e32 vcc, s38, v89
	global_load_dwordx4 v[64:67], v[64:65], off offset:2048
	v_mfma_f32_16x16x16_f16 v[10:13], v[28:29], v[52:53], v[10:13]
	s_waitcnt vmcnt(9)
	v_mfma_f32_16x16x16_f16 v[10:13], v[18:19], v[46:47], v[10:13]
	v_cndmask_b32_e32 v18, v75, v68, vcc
	v_ashrrev_i32_e32 v19, 31, v18
	v_mfma_f32_16x16x16_f16 v[88:91], v[20:21], v[48:49], v[10:13]
	s_nop 3
	v_lshl_add_u64 v[10:11], v[6:7], 0, v[58:59]
	global_load_dwordx4 v[72:75], v[10:11], off
	v_mfma_f32_16x16x16_f16 v[68:71], v[24:25], v[48:49], v[14:17]
	v_and_b32_e32 v10, 16, v0
	v_lshlrev_b32_e32 v54, 1, v10
	s_nop 0
	v_lshl_add_u64 v[14:15], v[18:19], 2, s[6:7]
	global_load_dword v86, v[14:15], off
	v_mfma_f32_16x16x16_f16 v[6:9], v[8:9], v[4:5], v[80:83]
	s_waitcnt vmcnt(10)
	v_mfma_f32_16x16x16_f16 v[6:9], v[76:77], v[34:35], v[6:9]
	v_lshl_add_u64 v[76:77], s[4:5], 0, v[54:55]
	v_lshlrev_b32_e32 v54, 6, v87
	v_pk_mul_f32 v[82:83], s[8:9], v[90:91] op_sel_hi:[0,1]
	v_mfma_f32_16x16x16_f16 v[6:9], v[78:79], v[36:37], v[6:9]
	v_lshl_add_u64 v[78:79], v[76:77], 0, v[54:55]
	v_or_b32_e32 v54, 0x1000, v54
	s_waitcnt vmcnt(6)
	v_mad_i64_i32 v[10:11], s[4:5], v30, s9, 0
	v_mfma_f32_16x16x16_f16 v[6:9], v[38:39], v[50:51], v[6:9]
	v_lshlrev_b64 v[80:81], 1, v[10:11]
	v_lshl_add_u64 v[10:11], v[78:79], 0, v[80:81]
	global_load_dwordx4 v[30:33], v[10:11], off
	global_load_dwordx4 v[26:29], v[10:11], off offset:16
	v_mfma_f32_16x16x16_f16 v[6:9], v[40:41], v[52:53], v[6:9]
	s_waitcnt vmcnt(6)
	v_mad_i64_i32 v[10:11], s[4:5], v56, s9, 0
	v_mfma_f32_16x16x16_f16 v[6:9], v[42:43], v[46:47], v[6:9]
	v_lshlrev_b64 v[42:43], 1, v[10:11]
	v_mfma_f32_16x16x16_f16 v[38:41], v[44:45], v[48:49], v[6:9]
	s_nop 4
	v_lshl_add_u64 v[6:7], v[78:79], 0, v[42:43]
	global_load_dwordx4 v[22:25], v[6:7], off
	global_load_dwordx4 v[18:21], v[6:7], off offset:16
	v_mfma_f32_16x16x16_f16 v[6:9], v[60:61], v[2:3], 0
	s_waitcnt vmcnt(7)
	v_mad_i64_i32 v[2:3], s[4:5], v57, s9, 0
	v_lshlrev_b64 v[56:57], 1, v[2:3]
	v_mfma_f32_16x16x16_f16 v[2:5], v[62:63], v[4:5], v[6:9]
	v_pk_mul_f32 v[60:61], s[8:9], v[68:69] op_sel_hi:[0,1]
	v_lshl_add_u64 v[62:63], v[76:77], 0, v[54:55]
	v_lshl_add_u64 v[44:45], v[62:63], 0, v[80:81]
	s_waitcnt vmcnt(6)
	v_mfma_f32_16x16x16_f16 v[2:5], v[64:65], v[34:35], v[2:5]
	v_lshl_add_u64 v[6:7], v[78:79], 0, v[56:57]
	global_load_dwordx4 v[14:17], v[6:7], off
	global_load_dwordx4 v[10:13], v[6:7], off offset:16
	v_pk_mul_f32 v[80:81], s[8:9], v[70:71] op_sel_hi:[0,1]
	v_mfma_f32_16x16x16_f16 v[34:37], v[66:67], v[36:37], v[2:5]
	v_pk_mul_f32 v[70:71], s[8:9], v[88:89] op_sel_hi:[0,1]
	v_pk_mul_f32 v[76:77], s[8:9], v[40:41] op_sel_hi:[0,1]
	s_waitcnt vmcnt(6)
	v_mad_i64_i32 v[6:7], s[4:5], v86, s9, 0
	v_mfma_f32_16x16x16_f16 v[34:37], v[92:93], v[50:51], v[34:37]
	v_lshlrev_b64 v[58:59], 1, v[6:7]
	v_lshl_add_u64 v[2:3], v[78:79], 0, v[58:59]
	v_pk_mul_f32 v[78:79], s[8:9], v[38:39] op_sel_hi:[0,1]
	v_mfma_f32_16x16x16_f16 v[34:37], v[94:95], v[52:53], v[34:37]
	v_lshl_add_u64 v[58:59], v[62:63], 0, v[58:59]
	global_load_dwordx4 v[6:9], v[2:3], off
	s_nop 0
	global_load_dwordx4 v[2:5], v[2:3], off offset:16
	v_mfma_f32_16x16x16_f16 v[34:37], v[72:73], v[46:47], v[34:37]
	v_mfma_f32_16x16x16_f16 v[34:37], v[74:75], v[48:49], v[34:37]
	s_nop 6
	v_pk_mul_f32 v[72:73], s[8:9], v[34:35] op_sel_hi:[0,1]
	v_and_b32_e32 v34, 0xc0, v0
	v_add_u32_e32 v34, s18, v34
	v_lshl_or_b32 v34, v84, 2, v34
	v_pk_mul_f32 v[66:67], s[8:9], v[36:37] op_sel_hi:[0,1]
	v_or_b32_e32 v37, 1, v34
	v_mov_b32_e32 v35, 0xff7fffff
	v_cmp_gt_i32_e64 s[28:29], s38, v34
	v_cmp_gt_i32_e64 s[30:31], s38, v37
	v_or_b32_e32 v38, 3, v34
	v_cndmask_b32_e64 v36, v35, v60, s[28:29]
	v_cndmask_b32_e64 v37, v35, v61, s[30:31]
	v_max3_f32 v36, v36, s40, v37
	v_or_b32_e32 v37, 2, v34
	v_cmp_gt_i32_e64 s[34:35], s38, v37
	v_cmp_gt_i32_e64 s[36:37], s38, v38
	s_nop 0
	v_cndmask_b32_e64 v37, v35, v80, s[34:35]
	v_cndmask_b32_e64 v38, v35, v81, s[36:37]
	v_max3_f32 v36, v36, v37, v38
	v_or_b32_e32 v37, 16, v34
	v_or_b32_e32 v38, 17, v34
	v_cmp_gt_i32_e64 s[22:23], s38, v37
	v_cmp_gt_i32_e64 s[24:25], s38, v38
	s_nop 0
	v_cndmask_b32_e64 v37, v35, v70, s[22:23]
	v_cndmask_b32_e64 v38, v35, v71, s[24:25]
	v_max3_f32 v36, v36, v37, v38
	v_or_b32_e32 v37, 18, v34
	;; [unrolled: 8-line block ×6, first 2 shown]
	v_or_b32_e32 v34, 51, v34
	v_cmp_gt_i32_e32 vcc, s38, v37
	v_cmp_gt_i32_e64 s[4:5], s38, v34
	global_load_dwordx4 v[46:49], v[44:45], off
	global_load_dwordx4 v[38:41], v[44:45], off offset:16
	v_cndmask_b32_e32 v37, v35, v66, vcc
	v_cndmask_b32_e64 v34, v35, v67, s[4:5]
	v_max3_f32 v50, v36, v37, v34
	v_mbcnt_lo_u32_b32 v34, -1, 0
	v_mbcnt_hi_u32_b32 v51, -1, v34
	v_and_b32_e32 v34, 64, v51
	v_add_u32_e32 v52, 64, v34
	v_xor_b32_e32 v34, 32, v51
	v_cmp_lt_i32_e64 s[38:39], v34, v52
	s_nop 1
	v_cndmask_b32_e64 v34, v51, v34, s[38:39]
	v_lshlrev_b32_e32 v74, 2, v34
	ds_bpermute_b32 v53, v74, v50
	v_lshl_add_u64 v[34:35], v[62:63], 0, v[42:43]
	global_load_dwordx4 v[42:45], v[34:35], off
	s_nop 0
	global_load_dwordx4 v[34:37], v[34:35], off offset:16
	s_waitcnt lgkmcnt(0)
	v_max_f32_e32 v53, v53, v53
	v_max_f32_e32 v64, v50, v53
	v_xor_b32_e32 v50, 16, v51
	v_cmp_lt_i32_e64 s[38:39], v50, v52
	s_nop 1
	v_cndmask_b32_e64 v50, v51, v50, s[38:39]
	v_lshlrev_b32_e32 v75, 2, v50
	ds_bpermute_b32 v65, v75, v64
	v_lshl_add_u64 v[50:51], v[62:63], 0, v[56:57]
	global_load_dwordx4 v[54:57], v[50:51], off
	s_nop 0
	global_load_dwordx4 v[50:53], v[50:51], off offset:16
	s_waitcnt lgkmcnt(0)
	v_max_f32_e32 v62, v65, v65
	v_max_f32_e32 v88, v64, v62
	v_sub_f32_e32 v60, v60, v88
	v_mul_f32_e32 v60, 0x3fb8aa3b, v60
	v_exp_f32_e32 v68, v60
	v_sub_f32_e32 v60, v61, v88
	v_mul_f32_e32 v60, 0x3fb8aa3b, v60
	v_exp_f32_e32 v69, v60
	global_load_dwordx4 v[62:65], v[58:59], off
	s_nop 0
	global_load_dwordx4 v[58:61], v[58:59], off offset:16
	v_sub_f32_e32 v80, v80, v88
	v_mul_f32_e32 v80, 0x3fb8aa3b, v80
	v_sub_f32_e32 v81, v81, v88
	v_exp_f32_e32 v80, v80
	v_mul_f32_e32 v81, 0x3fb8aa3b, v81
	v_sub_f32_e32 v70, v70, v88
	v_exp_f32_e32 v81, v81
	v_mul_f32_e32 v70, 0x3fb8aa3b, v70
	v_sub_f32_e32 v71, v71, v88
	v_cndmask_b32_e64 v68, 0, v68, s[28:29]
	v_exp_f32_e32 v70, v70
	v_mul_f32_e32 v71, 0x3fb8aa3b, v71
	v_sub_f32_e32 v82, v82, v88
	v_add_f32_e32 v86, 0, v68
	v_cndmask_b32_e64 v69, 0, v69, s[30:31]
	v_exp_f32_e32 v71, v71
	v_mul_f32_e32 v82, 0x3fb8aa3b, v82
	v_sub_f32_e32 v83, v83, v88
	v_add_f32_e32 v86, v86, v69
	;; [unrolled: 5-line block ×10, first 2 shown]
	v_cndmask_b32_e64 v76, 0, v76, s[10:11]
	v_exp_f32_e32 v66, v66
	v_mul_f32_e32 v67, 0x3fb8aa3b, v67
	v_add_f32_e32 v86, v86, v76
	v_cndmask_b32_e64 v77, 0, v77, s[12:13]
	v_exp_f32_e32 v67, v67
	v_add_f32_e32 v86, v86, v77
	v_cndmask_b32_e64 v72, 0, v72, s[6:7]
	v_add_f32_e32 v86, v86, v72
	v_cndmask_b32_e64 v73, 0, v73, s[8:9]
	v_add_f32_e32 v86, v86, v73
	v_cndmask_b32_e32 v66, 0, v66, vcc
	v_add_f32_e32 v86, v86, v66
	v_cndmask_b32_e64 v67, 0, v67, s[4:5]
	v_add_f32_e32 v86, v86, v67
	ds_bpermute_b32 v74, v74, v86
	v_cmp_gt_u32_e32 vcc, 16, v1
	s_waitcnt lgkmcnt(0)
	s_barrier
	v_add_f32_e32 v89, v86, v74
	ds_bpermute_b32 v90, v75, v89
	s_and_saveexec_b64 s[4:5], vcc
	s_cbranch_execz .LBB371_15
; %bb.14:
	s_waitcnt lgkmcnt(0)
	v_add_f32_e32 v74, v89, v90
	v_lshlrev_b32_e32 v75, 2, v87
	ds_write2st64_b32 v75, v88, v74 offset1:1
.LBB371_15:
	s_or_b64 exec, exec, s[4:5]
	v_and_b32_e32 v1, 15, v0
	v_lshlrev_b32_e32 v87, 2, v1
	s_load_dword s6, s[0:1], 0x94
	s_waitcnt lgkmcnt(0)
	s_barrier
	ds_read2_b32 v[74:75], v87 offset1:16
	ds_read2_b32 v[88:89], v87 offset0:32 offset1:48
	ds_read2_b32 v[90:91], v87 offset0:64 offset1:80
	s_lshl_b32 s7, s33, 3
	s_waitcnt lgkmcnt(2)
	v_max3_f32 v86, v74, s40, v75
	s_waitcnt lgkmcnt(1)
	v_max3_f32 v86, v86, v88, v89
	v_sub_f32_e32 v74, v74, v86
	v_mul_f32_e32 v74, 0x3fb8aa3b, v74
	v_exp_f32_e32 v92, v74
	v_sub_f32_e32 v74, v75, v86
	v_mul_f32_e32 v74, 0x3fb8aa3b, v74
	v_exp_f32_e32 v93, v74
	;; [unrolled: 3-line block ×3, first 2 shown]
	ds_read2_b32 v[74:75], v87 offset0:96 offset1:112
	v_sub_f32_e32 v87, v89, v86
	v_mul_f32_e32 v87, 0x3fb8aa3b, v87
	v_exp_f32_e32 v89, v87
	s_waitcnt lgkmcnt(1)
	v_fma_f32 v87, v92, v90, 0
	v_fmac_f32_e32 v87, v93, v91
	s_waitcnt lgkmcnt(0)
	v_fmac_f32_e32 v87, v88, v74
	v_fmac_f32_e32 v87, v89, v75
	v_add_f32_e32 v74, 0x358637bd, v87
	v_div_scale_f32 v75, s[4:5], v74, v74, 1.0
	v_rcp_f32_e32 v90, v75
	s_barrier
	v_fma_f32 v91, -v75, v90, 1.0
	v_fmac_f32_e32 v90, v91, v90
	v_div_scale_f32 v91, vcc, 1.0, v74, 1.0
	v_mul_f32_e32 v94, v91, v90
	v_fma_f32 v95, -v75, v94, v91
	v_fmac_f32_e32 v94, v95, v90
	v_fma_f32 v75, -v75, v94, v91
	v_div_fmas_f32 v75, v75, v90, v94
	v_cmp_eq_u32_e32 vcc, 1, v85
	v_div_fixup_f32 v74, v75, v74, 1.0
	v_bfe_u32 v90, v0, 4, 2
	v_cndmask_b32_e32 v75, v92, v93, vcc
	v_cmp_eq_u32_e32 vcc, 2, v85
	s_nop 1
	v_cndmask_b32_e32 v75, v75, v88, vcc
	v_cmp_eq_u32_e32 vcc, 3, v85
	s_nop 1
	v_cndmask_b32_e32 v75, v75, v89, vcc
	v_mul_f32_e32 v74, v75, v74
	v_pk_mul_f32 v[80:81], v[74:75], v[80:81] op_sel_hi:[0,1]
	v_pk_mul_f32 v[68:69], v[74:75], v[68:69] op_sel_hi:[0,1]
	v_cvt_f16_f32_e32 v75, v80
	v_cvt_f16_f32_e32 v80, v81
	;; [unrolled: 1-line block ×4, first 2 shown]
	v_pk_mul_f32 v[70:71], v[74:75], v[70:71] op_sel_hi:[0,1]
	v_pack_b32_f16 v89, v75, v80
	v_pk_mul_f32 v[80:81], v[74:75], v[82:83] op_sel_hi:[0,1]
	v_cvt_f16_f32_e32 v70, v70
	v_cvt_f16_f32_e32 v71, v71
	;; [unrolled: 1-line block ×4, first 2 shown]
	v_pack_b32_f16 v88, v68, v69
	v_lshlrev_b32_e32 v69, 3, v90
	v_lshlrev_b32_e32 v68, 5, v1
	;; [unrolled: 1-line block ×3, first 2 shown]
	v_or3_b32 v80, v1, v68, v69
	v_pack_b32_f16 v70, v70, v71
	v_pack_b32_f16 v71, v75, v81
	ds_write2st64_b64 v80, v[88:89], v[70:71] offset1:1
	v_pk_mul_f32 v[70:71], v[74:75], v[76:77] op_sel_hi:[0,1]
	v_pk_mul_f32 v[76:77], v[74:75], v[78:79] op_sel_hi:[0,1]
	v_cvt_f16_f32_e32 v75, v70
	v_cvt_f16_f32_e32 v1, v76
	;; [unrolled: 1-line block ×4, first 2 shown]
	v_pk_mul_f32 v[66:67], v[74:75], v[66:67] op_sel_hi:[0,1]
	v_pk_mul_f32 v[70:71], v[74:75], v[72:73] op_sel_hi:[0,1]
	v_cvt_f16_f32_e32 v70, v70
	v_cvt_f16_f32_e32 v71, v71
	;; [unrolled: 1-line block ×4, first 2 shown]
	v_pack_b32_f16 v66, v1, v69
	v_pack_b32_f16 v67, v75, v76
	;; [unrolled: 1-line block ×4, first 2 shown]
	v_cmp_gt_u32_e32 vcc, 8, v0
	ds_write2st64_b64 v80, v[66:67], v[70:71] offset0:2 offset1:3
	s_and_saveexec_b64 s[4:5], vcc
	s_cbranch_execz .LBB371_17
; %bb.16:
	v_or_b32_e32 v66, s27, v0
	v_mov_b32_e32 v67, 0
	v_mov_b32_e32 v1, s7
	v_mad_u64_u32 v[70:71], s[12:13], s2, v1, v[66:67]
	v_mov_b32_e32 v66, s26
	s_load_dwordx4 s[8:11], s[0:1], 0x58
	s_mul_i32 s3, s3, s7
	v_mad_u64_u32 v[66:67], s[12:13], v70, s6, v[66:67]
	v_add_u32_e32 v1, s3, v71
	v_mov_b32_e32 v70, v67
	v_mad_u64_u32 v[70:71], s[12:13], v1, s6, v[70:71]
	v_mov_b32_e32 v67, v70
	v_lshlrev_b64 v[66:67], 2, v[66:67]
	s_waitcnt lgkmcnt(0)
	v_lshl_add_u64 v[70:71], s[10:11], 0, v[66:67]
	v_lshl_add_u64 v[66:67], s[8:9], 0, v[66:67]
	global_store_dword v[70:71], v86, off
	global_store_dword v[66:67], v87, off
.LBB371_17:
	s_or_b64 exec, exec, s[4:5]
	v_lshl_or_b32 v1, v90, 9, v68
	s_waitcnt lgkmcnt(0)
	s_barrier
	ds_read_b128 v[70:73], v1
	ds_read_b128 v[66:69], v1 offset:16
	s_waitcnt vmcnt(15) lgkmcnt(1)
	v_mfma_f32_16x16x16_f16 v[74:77], v[30:31], v[70:71], 0
	s_mov_b32 s3, 0
	v_cmp_gt_u32_e32 vcc, 64, v0
	v_mfma_f32_16x16x16_f16 v[30:33], v[32:33], v[72:73], v[74:77]
	s_waitcnt vmcnt(14) lgkmcnt(0)
	v_mfma_f32_16x16x16_f16 v[30:33], v[26:27], v[66:67], v[30:33]
	v_mfma_f32_16x16x16_f16 v[26:29], v[28:29], v[68:69], v[30:33]
	s_nop 5
	ds_read_b128 v[30:33], v1 offset:2048
	ds_read_b128 v[74:77], v1 offset:2064
	s_waitcnt vmcnt(13) lgkmcnt(1)
	v_mfma_f32_16x16x16_f16 v[26:29], v[22:23], v[30:31], v[26:29]
	v_mfma_f32_16x16x16_f16 v[22:25], v[24:25], v[32:33], v[26:29]
	s_waitcnt vmcnt(12) lgkmcnt(0)
	v_mfma_f32_16x16x16_f16 v[22:25], v[18:19], v[74:75], v[22:25]
	v_mfma_f32_16x16x16_f16 v[18:21], v[20:21], v[76:77], v[22:25]
	s_nop 5
	ds_read_b128 v[22:25], v1 offset:4096
	ds_read_b128 v[26:29], v1 offset:4112
	s_waitcnt vmcnt(11) lgkmcnt(1)
	v_mfma_f32_16x16x16_f16 v[18:21], v[14:15], v[22:23], v[18:21]
	v_mfma_f32_16x16x16_f16 v[14:17], v[16:17], v[24:25], v[18:21]
	s_waitcnt vmcnt(10) lgkmcnt(0)
	v_mfma_f32_16x16x16_f16 v[14:17], v[10:11], v[26:27], v[14:17]
	v_mfma_f32_16x16x16_f16 v[10:13], v[12:13], v[28:29], v[14:17]
	s_nop 5
	ds_read_b128 v[14:17], v1 offset:6144
	ds_read_b128 v[18:21], v1 offset:6160
	s_waitcnt lgkmcnt(0)
	s_barrier
	s_waitcnt vmcnt(9)
	v_mfma_f32_16x16x16_f16 v[10:13], v[6:7], v[14:15], v[10:13]
	v_mfma_f32_16x16x16_f16 v[6:9], v[8:9], v[16:17], v[10:13]
	s_waitcnt vmcnt(8)
	v_mfma_f32_16x16x16_f16 v[6:9], v[2:3], v[18:19], v[6:9]
	v_mfma_f32_16x16x16_f16 v[2:5], v[4:5], v[20:21], v[6:9]
	;; [unrolled: 3-line block ×3, first 2 shown]
	s_nop 3
	v_cvt_f16_f32_e32 v1, v2
	v_cvt_f16_f32_e32 v10, v3
	;; [unrolled: 1-line block ×3, first 2 shown]
	s_waitcnt vmcnt(6)
	v_mfma_f32_16x16x16_f16 v[6:9], v[38:39], v[66:67], v[6:9]
	v_cvt_f16_f32_e32 v12, v5
	v_mfma_f32_16x16x16_f16 v[6:9], v[40:41], v[68:69], v[6:9]
	s_waitcnt vmcnt(5)
	v_mfma_f32_16x16x16_f16 v[6:9], v[42:43], v[30:31], v[6:9]
	v_mfma_f32_16x16x16_f16 v[6:9], v[44:45], v[32:33], v[6:9]
	s_waitcnt vmcnt(4)
	v_mfma_f32_16x16x16_f16 v[6:9], v[34:35], v[74:75], v[6:9]
	;; [unrolled: 3-line block ×6, first 2 shown]
	v_mfma_f32_16x16x16_f16 v[2:5], v[60:61], v[20:21], v[6:9]
	s_nop 6
	v_cvt_f16_f32_e32 v6, v2
	v_cvt_f16_f32_e32 v7, v3
	;; [unrolled: 1-line block ×4, first 2 shown]
	v_pack_b32_f16 v2, v1, v10
	v_pack_b32_f16 v3, v11, v12
	;; [unrolled: 1-line block ×4, first 2 shown]
	ds_write2st64_b64 v80, v[2:3], v[4:5] offset1:1
	s_waitcnt lgkmcnt(0)
	s_barrier
	s_mov_b64 s[4:5], exec
	scratch_load_dwordx2 v[8:9], off, off   ; 8-byte Folded Reload
	s_and_b64 s[4:5], s[4:5], vcc
	s_mov_b64 exec, s[4:5]
	s_cbranch_execz .LBB371_19
; %bb.18:
	s_load_dwordx2 s[0:1], s[0:1], 0x68
	s_lshl_b32 s6, s6, 7
	s_mul_i32 s2, s7, s2
	v_and_b32_e32 v3, 15, v0
	s_mul_hi_u32 s5, s2, s6
	s_mul_i32 s4, s2, s6
	v_lshlrev_b32_e32 v3, 6, v3
	s_lshl_b64 s[4:5], s[4:5], 1
	v_lshlrev_b32_e32 v2, 4, v0
	v_lshl_or_b32 v0, v0, 10, v3
	s_waitcnt lgkmcnt(0)
	s_add_u32 s4, s0, s4
	v_lshlrev_b32_e32 v1, 5, v90
	v_and_b32_e32 v2, 16, v2
	v_and_b32_e32 v0, 0x1a00, v0
	s_addc_u32 s5, s1, s5
	s_lshl_b32 s2, s26, 7
	v_or3_b32 v4, v0, v1, v2
	s_lshl_b64 s[0:1], s[2:3], 1
	ds_read_b128 v[0:3], v4
	ds_read_b128 v[4:7], v4 offset:128
	s_add_u32 s0, s4, s0
	s_addc_u32 s1, s5, s1
	v_or_b32_e32 v12, s27, v90
	s_waitcnt vmcnt(0)
	v_lshl_add_u64 v[8:9], v[8:9], 1, s[0:1]
	v_mad_u64_u32 v[10:11], s[0:1], v12, s6, 0
	v_lshl_add_u64 v[10:11], v[10:11], 1, v[8:9]
	s_waitcnt lgkmcnt(1)
	global_store_dwordx4 v[10:11], v[0:3], off
	s_nop 1
	v_or_b32_e32 v0, 4, v12
	v_mad_u64_u32 v[0:1], s[0:1], v0, s6, 0
	v_lshl_add_u64 v[0:1], v[0:1], 1, v[8:9]
	s_waitcnt lgkmcnt(0)
	global_store_dwordx4 v[0:1], v[4:7], off
.LBB371_19:
	s_endpgm
	.section	.rodata,"a",@progbits
	.p2align	6, 0x0
	.amdhsa_kernel _Z39paged_attention_ll4mi_QKV_mfma16_kernelIDF16_DF16_LN4vllm18Fp8KVCacheDataTypeE0EDF16_Li32ELi128ELi256ELb0ELi8EEvPKT_PKT0_S7_ifPKiS9_S9_iPKfiiiPfSC_PS2_PT2_iSB_SB_
		.amdhsa_group_segment_fixed_size 8192
		.amdhsa_private_segment_fixed_size 12
		.amdhsa_kernarg_size 400
		.amdhsa_user_sgpr_count 2
		.amdhsa_user_sgpr_dispatch_ptr 0
		.amdhsa_user_sgpr_queue_ptr 0
		.amdhsa_user_sgpr_kernarg_segment_ptr 1
		.amdhsa_user_sgpr_dispatch_id 0
		.amdhsa_user_sgpr_kernarg_preload_length 0
		.amdhsa_user_sgpr_kernarg_preload_offset 0
		.amdhsa_user_sgpr_private_segment_size 0
		.amdhsa_uses_dynamic_stack 0
		.amdhsa_enable_private_segment 1
		.amdhsa_system_sgpr_workgroup_id_x 1
		.amdhsa_system_sgpr_workgroup_id_y 1
		.amdhsa_system_sgpr_workgroup_id_z 1
		.amdhsa_system_sgpr_workgroup_info 0
		.amdhsa_system_vgpr_workitem_id 0
		.amdhsa_next_free_vgpr 96
		.amdhsa_next_free_sgpr 41
		.amdhsa_accum_offset 96
		.amdhsa_reserve_vcc 1
		.amdhsa_float_round_mode_32 0
		.amdhsa_float_round_mode_16_64 0
		.amdhsa_float_denorm_mode_32 3
		.amdhsa_float_denorm_mode_16_64 3
		.amdhsa_dx10_clamp 1
		.amdhsa_ieee_mode 1
		.amdhsa_fp16_overflow 0
		.amdhsa_tg_split 0
		.amdhsa_exception_fp_ieee_invalid_op 0
		.amdhsa_exception_fp_denorm_src 0
		.amdhsa_exception_fp_ieee_div_zero 0
		.amdhsa_exception_fp_ieee_overflow 0
		.amdhsa_exception_fp_ieee_underflow 0
		.amdhsa_exception_fp_ieee_inexact 0
		.amdhsa_exception_int_div_zero 0
	.end_amdhsa_kernel
	.section	.text._Z39paged_attention_ll4mi_QKV_mfma16_kernelIDF16_DF16_LN4vllm18Fp8KVCacheDataTypeE0EDF16_Li32ELi128ELi256ELb0ELi8EEvPKT_PKT0_S7_ifPKiS9_S9_iPKfiiiPfSC_PS2_PT2_iSB_SB_,"axG",@progbits,_Z39paged_attention_ll4mi_QKV_mfma16_kernelIDF16_DF16_LN4vllm18Fp8KVCacheDataTypeE0EDF16_Li32ELi128ELi256ELb0ELi8EEvPKT_PKT0_S7_ifPKiS9_S9_iPKfiiiPfSC_PS2_PT2_iSB_SB_,comdat
.Lfunc_end371:
	.size	_Z39paged_attention_ll4mi_QKV_mfma16_kernelIDF16_DF16_LN4vllm18Fp8KVCacheDataTypeE0EDF16_Li32ELi128ELi256ELb0ELi8EEvPKT_PKT0_S7_ifPKiS9_S9_iPKfiiiPfSC_PS2_PT2_iSB_SB_, .Lfunc_end371-_Z39paged_attention_ll4mi_QKV_mfma16_kernelIDF16_DF16_LN4vllm18Fp8KVCacheDataTypeE0EDF16_Li32ELi128ELi256ELb0ELi8EEvPKT_PKT0_S7_ifPKiS9_S9_iPKfiiiPfSC_PS2_PT2_iSB_SB_
                                        ; -- End function
	.section	.AMDGPU.csdata,"",@progbits
; Kernel info:
; codeLenInByte = 4560
; NumSgprs: 47
; NumVgprs: 96
; NumAgprs: 0
; TotalNumVgprs: 96
; ScratchSize: 12
; MemoryBound: 0
; FloatMode: 240
; IeeeMode: 1
; LDSByteSize: 8192 bytes/workgroup (compile time only)
; SGPRBlocks: 5
; VGPRBlocks: 11
; NumSGPRsForWavesPerEU: 47
; NumVGPRsForWavesPerEU: 96
; AccumOffset: 96
; Occupancy: 5
; WaveLimiterHint : 1
; COMPUTE_PGM_RSRC2:SCRATCH_EN: 1
; COMPUTE_PGM_RSRC2:USER_SGPR: 2
; COMPUTE_PGM_RSRC2:TRAP_HANDLER: 0
; COMPUTE_PGM_RSRC2:TGID_X_EN: 1
; COMPUTE_PGM_RSRC2:TGID_Y_EN: 1
; COMPUTE_PGM_RSRC2:TGID_Z_EN: 1
; COMPUTE_PGM_RSRC2:TIDIG_COMP_CNT: 0
; COMPUTE_PGM_RSRC3_GFX90A:ACCUM_OFFSET: 23
; COMPUTE_PGM_RSRC3_GFX90A:TG_SPLIT: 0
	.section	.text._Z39paged_attention_ll4mi_QKV_mfma16_kernelIDF16_DF16_LN4vllm18Fp8KVCacheDataTypeE0EDF16_Li32ELi128ELi256ELb0ELi9EEvPKT_PKT0_S7_ifPKiS9_S9_iPKfiiiPfSC_PS2_PT2_iSB_SB_,"axG",@progbits,_Z39paged_attention_ll4mi_QKV_mfma16_kernelIDF16_DF16_LN4vllm18Fp8KVCacheDataTypeE0EDF16_Li32ELi128ELi256ELb0ELi9EEvPKT_PKT0_S7_ifPKiS9_S9_iPKfiiiPfSC_PS2_PT2_iSB_SB_,comdat
	.protected	_Z39paged_attention_ll4mi_QKV_mfma16_kernelIDF16_DF16_LN4vllm18Fp8KVCacheDataTypeE0EDF16_Li32ELi128ELi256ELb0ELi9EEvPKT_PKT0_S7_ifPKiS9_S9_iPKfiiiPfSC_PS2_PT2_iSB_SB_ ; -- Begin function _Z39paged_attention_ll4mi_QKV_mfma16_kernelIDF16_DF16_LN4vllm18Fp8KVCacheDataTypeE0EDF16_Li32ELi128ELi256ELb0ELi9EEvPKT_PKT0_S7_ifPKiS9_S9_iPKfiiiPfSC_PS2_PT2_iSB_SB_
	.globl	_Z39paged_attention_ll4mi_QKV_mfma16_kernelIDF16_DF16_LN4vllm18Fp8KVCacheDataTypeE0EDF16_Li32ELi128ELi256ELb0ELi9EEvPKT_PKT0_S7_ifPKiS9_S9_iPKfiiiPfSC_PS2_PT2_iSB_SB_
	.p2align	8
	.type	_Z39paged_attention_ll4mi_QKV_mfma16_kernelIDF16_DF16_LN4vllm18Fp8KVCacheDataTypeE0EDF16_Li32ELi128ELi256ELb0ELi9EEvPKT_PKT0_S7_ifPKiS9_S9_iPKfiiiPfSC_PS2_PT2_iSB_SB_,@function
_Z39paged_attention_ll4mi_QKV_mfma16_kernelIDF16_DF16_LN4vllm18Fp8KVCacheDataTypeE0EDF16_Li32ELi128ELi256ELb0ELi9EEvPKT_PKT0_S7_ifPKiS9_S9_iPKfiiiPfSC_PS2_PT2_iSB_SB_: ; @_Z39paged_attention_ll4mi_QKV_mfma16_kernelIDF16_DF16_LN4vllm18Fp8KVCacheDataTypeE0EDF16_Li32ELi128ELi256ELb0ELi9EEvPKT_PKT0_S7_ifPKiS9_S9_iPKfiiiPfSC_PS2_PT2_iSB_SB_
; %bb.0:
	s_load_dwordx2 s[8:9], s[0:1], 0x30
	s_mov_b32 s26, s3
	s_mov_b64 s[6:7], 0
	s_waitcnt lgkmcnt(0)
	s_cmp_lg_u64 s[8:9], 0
	s_cselect_b64 s[10:11], -1, 0
	s_and_b64 vcc, exec, s[10:11]
	s_cbranch_vccz .LBB372_7
; %bb.1:
	s_add_i32 s12, s2, 1
	s_mov_b32 s13, 0
	s_lshl_b64 s[14:15], s[12:13], 2
	s_add_u32 s14, s8, s14
	s_mov_b32 s3, s13
	s_addc_u32 s15, s9, s15
	s_lshl_b64 s[12:13], s[2:3], 2
	s_add_u32 s12, s8, s12
	s_addc_u32 s13, s9, s13
	s_load_dword s5, s[14:15], 0x0
	s_load_dword s16, s[12:13], 0x0
	s_waitcnt lgkmcnt(0)
	s_sub_i32 s5, s5, s16
	s_cmp_eq_u32 s5, 1
	s_cselect_b64 s[12:13], -1, 0
	s_andn2_b64 vcc, exec, s[6:7]
	s_cbranch_vccnz .LBB372_3
.LBB372_2:
	s_mov_b32 s3, 0
	s_mov_b64 s[12:13], -1
.LBB372_3:
	s_andn2_b64 vcc, exec, s[12:13]
	s_cbranch_vccnz .LBB372_20
; %bb.4:
	s_load_dwordx2 s[6:7], s[0:1], 0x28
	s_lshl_b64 s[12:13], s[2:3], 2
	s_waitcnt lgkmcnt(0)
	s_add_u32 s6, s6, s12
	s_addc_u32 s7, s7, s13
	s_load_dword s33, s[6:7], 0x0
	s_lshl_b32 s18, s26, 8
	s_waitcnt lgkmcnt(0)
	s_cmp_ge_i32 s18, s33
	s_cbranch_scc1 .LBB372_20
; %bb.5:
	s_load_dwordx2 s[6:7], s[0:1], 0x20
	s_load_dword s5, s[0:1], 0x38
	s_add_i32 s14, s33, 31
	s_ashr_i32 s15, s14, 31
	v_and_b32_e32 v1, 0xcf, v0
	s_lshr_b32 s15, s15, 27
	v_add_u32_e32 v1, s18, v1
	s_add_i32 s14, s14, s15
	v_ashrrev_i32_e32 v2, 31, v1
	s_ashr_i32 s19, s14, 5
	v_lshrrev_b32_e32 v4, 27, v2
	s_add_i32 s19, s19, -1
	s_waitcnt lgkmcnt(0)
	s_mul_i32 s14, s2, s5
	s_mov_b32 s15, 0
	v_add_u32_e32 v2, v1, v4
	s_lshl_b64 s[14:15], s[14:15], 2
	v_ashrrev_i32_e32 v2, 5, v2
	v_mov_b32_e32 v5, s19
	v_cmp_gt_i32_e32 vcc, s33, v1
	s_add_u32 s6, s6, s14
	s_addc_u32 s7, s7, s15
	v_cndmask_b32_e32 v2, v5, v2, vcc
	v_ashrrev_i32_e32 v3, 31, v2
	v_lshl_add_u64 v[6:7], v[2:3], 2, s[6:7]
	v_or_b32_e32 v2, 16, v1
	v_add_u32_e32 v3, v2, v4
	v_ashrrev_i32_e32 v3, 5, v3
	v_cmp_gt_i32_e32 vcc, s33, v2
	s_nop 1
	v_cndmask_b32_e32 v2, v5, v3, vcc
	v_ashrrev_i32_e32 v3, 31, v2
	v_lshl_add_u64 v[8:9], v[2:3], 2, s[6:7]
	v_or_b32_e32 v2, 32, v1
	v_add_u32_e32 v3, v2, v4
	v_ashrrev_i32_e32 v3, 5, v3
	v_cmp_gt_i32_e32 vcc, s33, v2
	v_or_b32_e32 v1, 48, v1
	s_nop 0
	v_cndmask_b32_e32 v2, v5, v3, vcc
	v_ashrrev_i32_e32 v3, 31, v2
	v_lshl_add_u64 v[10:11], v[2:3], 2, s[6:7]
	v_add_u32_e32 v2, v1, v4
	v_ashrrev_i32_e32 v2, 5, v2
	v_cmp_gt_i32_e32 vcc, s33, v1
	s_nop 1
	v_cndmask_b32_e32 v2, v5, v2, vcc
	v_ashrrev_i32_e32 v3, 31, v2
	v_lshl_add_u64 v[12:13], v[2:3], 2, s[6:7]
	global_load_dword v2, v[6:7], off
	global_load_dword v5, v[8:9], off
	;; [unrolled: 1-line block ×4, first 2 shown]
	s_andn2_b64 vcc, exec, s[10:11]
	s_cbranch_vccnz .LBB372_8
; %bb.6:
	s_add_u32 s8, s8, s12
	s_addc_u32 s9, s9, s13
	s_load_dword s5, s[8:9], 0x0
	s_branch .LBB372_9
.LBB372_7:
	s_mov_b64 s[12:13], 0
	s_branch .LBB372_2
.LBB372_8:
	s_mov_b32 s5, s2
.LBB372_9:
	s_load_dwordx4 s[12:15], s[0:1], 0x8
	s_load_dwordx4 s[8:11], s[0:1], 0x48
	v_lshrrev_b32_e32 v86, 6, v0
	v_bfe_u32 v1, v0, 4, 2
	v_lshl_or_b32 v3, v86, 2, v1
	v_and_b32_e32 v76, 15, v0
	v_lshlrev_b32_e32 v74, 3, v76
	v_cmp_lt_u32_e32 vcc, 8, v3
	s_and_saveexec_b64 s[16:17], vcc
	s_xor_b64 s[16:17], exec, s[16:17]
; %bb.10:
	v_mov_b32_e32 v75, 0
                                        ; implicit-def: $vgpr3
; %bb.11:
	s_or_saveexec_b64 s[16:17], s[16:17]
	v_and_b32_e32 v77, 63, v0
	s_mul_i32 s40, s4, 9
	s_xor_b64 exec, exec, s[16:17]
	s_cbranch_execz .LBB372_13
; %bb.12:
	s_load_dwordx2 s[20:21], s[0:1], 0x0
	s_waitcnt lgkmcnt(0)
	s_ashr_i32 s11, s8, 31
	s_mul_hi_u32 s22, s5, s8
	s_mul_i32 s11, s5, s11
	s_add_i32 s23, s22, s11
	s_mul_i32 s22, s5, s8
	s_lshl_b64 s[22:23], s[22:23], 1
	s_add_u32 s20, s20, s22
	v_add_lshl_u32 v6, v3, s40, 7
	s_addc_u32 s21, s21, s23
	v_ashrrev_i32_e32 v7, 31, v6
	v_mov_b32_e32 v75, 0
	v_lshl_add_u64 v[6:7], v[6:7], 1, s[20:21]
	v_lshlrev_b32_e32 v8, 1, v74
	v_mov_b32_e32 v9, v75
	v_lshl_add_u64 v[6:7], v[6:7], 0, v[8:9]
	global_load_dwordx4 v[6:9], v[6:7], off
	v_and_b32_e32 v10, 3, v0
	v_lshlrev_b32_e32 v11, 9, v76
	v_lshlrev_b32_e32 v3, 5, v3
	;; [unrolled: 1-line block ×3, first 2 shown]
	v_and_b32_e32 v11, 0x1800, v11
	v_or3_b32 v3, v11, v10, v3
	s_waitcnt vmcnt(0)
	ds_write_b128 v3, v[6:9]
.LBB372_13:
	s_or_b64 exec, exec, s[16:17]
	s_waitcnt lgkmcnt(0)
	s_mul_i32 s4, s4, s10
	s_mov_b32 s5, 0
	s_lshl_b64 s[4:5], s[4:5], 1
	s_add_u32 s10, s12, s4
	s_addc_u32 s11, s13, s5
	s_waitcnt vmcnt(3)
	v_mad_i64_i32 v[2:3], s[12:13], v2, s9, 0
	v_lshl_add_u64 v[6:7], v[2:3], 1, s[10:11]
	v_lshlrev_b64 v[2:3], 1, v[74:75]
	v_lshlrev_b32_e32 v50, 9, v1
	v_lshl_add_u64 v[6:7], v[6:7], 0, v[2:3]
	v_mov_b32_e32 v51, 0
	v_lshl_add_u64 v[8:9], v[6:7], 0, v[50:51]
	s_load_dword s27, s[0:1], 0x98
	s_load_dword s8, s[0:1], 0x1c
	s_waitcnt lgkmcnt(0)
	s_barrier
	global_load_dwordx4 v[38:41], v[8:9], off
	s_waitcnt vmcnt(3)
	v_mad_i64_i32 v[10:11], s[12:13], v5, s9, 0
	v_mov_b32_e32 v5, 0x100
	v_lshl_add_u64 v[10:11], v[10:11], 1, s[10:11]
	v_lshl_or_b32 v54, v76, 4, v5
	v_mov_b32_e32 v55, v51
	v_lshl_add_u64 v[22:23], v[10:11], 0, v[54:55]
	v_lshl_add_u64 v[10:11], v[22:23], 0, v[50:51]
	global_load_dwordx4 v[42:45], v[10:11], off
	global_load_dwordx4 v[18:21], v[8:9], off offset:2048
	global_load_dwordx4 v[26:29], v[10:11], off offset:2048
	v_or_b32_e32 v56, 0x1000, v50
	v_mov_b32_e32 v57, v51
	v_or_b32_e32 v52, 0x1800, v50
	v_mov_b32_e32 v53, v51
	v_lshl_add_u64 v[8:9], v[6:7], 0, v[56:57]
	v_lshl_add_u64 v[6:7], v[6:7], 0, v[52:53]
	global_load_dwordx4 v[14:17], v[8:9], off
	global_load_dwordx4 v[10:13], v[6:7], off
	v_lshl_add_u64 v[8:9], v[22:23], 0, v[56:57]
	global_load_dwordx4 v[30:33], v[8:9], off
	s_waitcnt vmcnt(8)
	v_mad_i64_i32 v[4:5], s[12:13], v4, s9, 0
	v_lshl_add_u64 v[4:5], v[4:5], 1, s[10:11]
	v_lshl_add_u64 v[60:61], v[4:5], 0, v[2:3]
	v_add_u32_e32 v2, -9, v76
	v_cmp_gt_u32_e32 vcc, 9, v76
	v_lshl_add_u64 v[6:7], v[22:23], 0, v[52:53]
	global_load_dwordx4 v[22:25], v[6:7], off
	v_cndmask_b32_e32 v2, v2, v76, vcc
	v_lshl_add_u64 v[58:59], v[60:61], 0, v[50:51]
	v_lshl_add_u32 v62, v2, 5, v50
	global_load_dwordx4 v[34:37], v[58:59], off
	ds_read_b128 v[6:9], v62
	ds_read_b128 v[2:5], v62 offset:2048
	s_waitcnt vmcnt(9)
	v_mad_i64_i32 v[72:73], s[12:13], v46, s9, 0
	s_ashr_i32 s12, s18, 31
	v_and_or_b32 v78, v0, 48, s18
	v_or_b32_e32 v80, 64, v78
	v_mov_b32_e32 v79, s19
	v_cmp_gt_i32_e32 vcc, s33, v78
	v_or_b32_e32 v81, 0x80, v78
	v_or_b32_e32 v82, 0xc0, v78
	v_lshl_or_b32 v87, v86, 4, v76
	s_mov_b32 s41, 0xff7fffff
	s_waitcnt vmcnt(7) lgkmcnt(1)
	v_mfma_f32_16x16x16_f16 v[68:71], v[42:43], v[6:7], 0
	v_mfma_f32_16x16x16_f16 v[64:67], v[38:39], v[6:7], 0
	;; [unrolled: 1-line block ×3, first 2 shown]
	ds_read_b128 v[46:49], v62 offset:4096
	ds_read_b128 v[38:41], v62 offset:6144
	v_lshl_add_u64 v[62:63], v[72:73], 1, s[10:11]
	v_lshl_add_u64 v[72:73], v[62:63], 0, v[54:55]
	v_mfma_f32_16x16x16_f16 v[42:45], v[44:45], v[8:9], v[68:71]
	v_lshl_add_u64 v[54:55], v[60:61], 0, v[56:57]
	s_lshr_b32 s10, s12, 27
	v_add_u32_e32 v83, s10, v81
	s_waitcnt vmcnt(6) lgkmcnt(2)
	v_mfma_f32_16x16x16_f16 v[62:65], v[18:19], v[2:3], v[64:67]
	v_add_u32_e32 v70, s10, v78
	v_add_u32_e32 v71, s10, v80
	v_lshl_add_u64 v[68:69], v[72:73], 0, v[50:51]
	v_lshl_add_u64 v[66:67], v[60:61], 0, v[52:53]
	global_load_dwordx4 v[58:61], v[58:59], off offset:2048
	s_waitcnt vmcnt(6)
	v_mfma_f32_16x16x16_f16 v[42:45], v[26:27], v[2:3], v[42:45]
	v_ashrrev_i32_e32 v50, 5, v70
	v_add_u32_e32 v84, s10, v82
	s_add_u32 s4, s14, s4
	v_mfma_f32_16x16x16_f16 v[18:21], v[20:21], v[4:5], v[62:65]
	s_addc_u32 s5, s15, s5
	v_mfma_f32_16x16x16_f16 v[26:29], v[28:29], v[4:5], v[42:45]
	s_nop 0
	v_lshl_add_u64 v[62:63], v[72:73], 0, v[56:57]
	v_ashrrev_i32_e32 v56, 5, v71
	v_ashrrev_i32_e32 v64, 5, v83
	s_waitcnt vmcnt(5) lgkmcnt(1)
	v_mfma_f32_16x16x16_f16 v[18:21], v[14:15], v[46:47], v[18:21]
	global_load_dwordx4 v[42:45], v[54:55], off
	v_cndmask_b32_e32 v14, v79, v50, vcc
	v_cmp_gt_i32_e32 vcc, s33, v80
	s_waitcnt vmcnt(4)
	v_mfma_f32_16x16x16_f16 v[26:29], v[30:31], v[46:47], v[26:29]
	v_ashrrev_i32_e32 v15, 31, v14
	v_cndmask_b32_e32 v30, v79, v56, vcc
	v_ashrrev_i32_e32 v31, 31, v30
	v_lshl_add_u64 v[14:15], v[14:15], 2, s[6:7]
	v_lshl_add_u64 v[30:31], v[30:31], 2, s[6:7]
	global_load_dword v92, v[14:15], off
	global_load_dword v93, v[30:31], off
	v_mfma_f32_16x16x16_f16 v[14:17], v[16:17], v[48:49], v[18:21]
	v_cmp_gt_i32_e32 vcc, s33, v81
	v_ashrrev_i32_e32 v83, 5, v84
	s_nop 0
	global_load_dwordx4 v[18:21], v[66:67], off
	s_waitcnt lgkmcnt(0)
	v_mfma_f32_16x16x16_f16 v[14:17], v[10:11], v[38:39], v[14:17]
	v_cndmask_b32_e32 v10, v79, v64, vcc
	v_ashrrev_i32_e32 v11, 31, v10
	v_lshl_add_u64 v[10:11], v[10:11], 2, s[6:7]
	v_mfma_f32_16x16x16_f16 v[64:67], v[12:13], v[40:41], v[14:17]
	global_load_dword v94, v[10:11], off
	v_cmp_gt_i32_e32 vcc, s33, v82
	s_nop 0
	v_lshl_add_u64 v[14:15], v[72:73], 0, v[52:53]
	global_load_dwordx4 v[88:91], v[14:15], off
	global_load_dwordx4 v[54:57], v[68:69], off
	v_cndmask_b32_e32 v10, v79, v83, vcc
	global_load_dwordx4 v[68:71], v[68:69], off offset:2048
	v_ashrrev_i32_e32 v11, 31, v10
	global_load_dwordx4 v[82:85], v[62:63], off
	v_lshl_add_u64 v[10:11], v[10:11], 2, s[6:7]
	global_load_dword v95, v[10:11], off
	s_waitcnt vmcnt(11)
	v_mfma_f32_16x16x16_f16 v[10:13], v[34:35], v[6:7], 0
	v_and_b32_e32 v14, 16, v0
	v_lshlrev_b32_e32 v50, 1, v14
	v_mfma_f32_16x16x16_f16 v[10:13], v[36:37], v[8:9], v[10:13]
	v_lshl_add_u64 v[36:37], s[4:5], 0, v[50:51]
	v_lshlrev_b32_e32 v50, 6, v87
	s_waitcnt vmcnt(8)
	v_mad_i64_i32 v[14:15], s[4:5], v92, s9, 0
	v_mfma_f32_16x16x16_f16 v[10:13], v[58:59], v[2:3], v[10:13]
	v_lshlrev_b64 v[72:73], 1, v[14:15]
	v_mfma_f32_16x16x16_f16 v[10:13], v[60:61], v[4:5], v[10:13]
	v_lshl_add_u64 v[60:61], v[36:37], 0, v[50:51]
	v_lshl_add_u64 v[14:15], v[60:61], 0, v[72:73]
	v_or_b32_e32 v50, 0x1000, v50
	v_mfma_f32_16x16x16_f16 v[10:13], v[42:43], v[46:47], v[10:13]
	v_lshl_add_u64 v[62:63], v[36:37], 0, v[50:51]
	v_lshl_add_u64 v[50:51], v[62:63], 0, v[72:73]
	v_mfma_f32_16x16x16_f16 v[26:29], v[32:33], v[48:49], v[26:29]
	v_mfma_f32_16x16x16_f16 v[10:13], v[44:45], v[48:49], v[10:13]
	;; [unrolled: 1-line block ×3, first 2 shown]
	s_waitcnt vmcnt(6)
	v_mfma_f32_16x16x16_f16 v[10:13], v[18:19], v[38:39], v[10:13]
	v_mfma_f32_16x16x16_f16 v[78:81], v[24:25], v[40:41], v[26:29]
	global_load_dwordx4 v[30:33], v[14:15], off
	s_nop 2
	global_load_dwordx4 v[26:29], v[14:15], off offset:16
	v_mad_i64_i32 v[14:15], s[4:5], v93, s9, 0
	v_lshlrev_b64 v[34:35], 1, v[14:15]
	v_mfma_f32_16x16x16_f16 v[42:45], v[20:21], v[40:41], v[10:13]
	s_nop 2
	v_lshl_add_u64 v[10:11], v[60:61], 0, v[34:35]
	global_load_dwordx4 v[22:25], v[10:11], off
	global_load_dwordx4 v[18:21], v[10:11], off offset:16
	s_waitcnt vmcnt(7)
	v_mfma_f32_16x16x16_f16 v[10:13], v[54:55], v[6:7], 0
	v_mad_i64_i32 v[6:7], s[4:5], v94, s9, 0
	v_lshlrev_b64 v[52:53], 1, v[6:7]
	v_mfma_f32_16x16x16_f16 v[6:9], v[56:57], v[8:9], v[10:13]
	v_lshl_add_u64 v[34:35], v[62:63], 0, v[34:35]
	s_waitcnt vmcnt(6)
	v_mfma_f32_16x16x16_f16 v[6:9], v[68:69], v[2:3], v[6:9]
	s_waitcnt vmcnt(4)
	v_mad_i64_i32 v[2:3], s[4:5], v95, s9, 0
	v_lshlrev_b64 v[58:59], 1, v[2:3]
	v_mfma_f32_16x16x16_f16 v[54:57], v[70:71], v[4:5], v[6:9]
	v_lshl_add_u64 v[10:11], v[60:61], 0, v[52:53]
	v_lshl_add_u64 v[2:3], v[60:61], 0, v[58:59]
	v_pk_mul_f32 v[60:61], s[8:9], v[64:65] op_sel_hi:[0,1]
	v_mfma_f32_16x16x16_f16 v[54:57], v[82:83], v[46:47], v[54:57]
	v_pk_mul_f32 v[82:83], s[8:9], v[66:67] op_sel_hi:[0,1]
	v_pk_mul_f32 v[70:71], s[8:9], v[78:79] op_sel_hi:[0,1]
	;; [unrolled: 1-line block ×3, first 2 shown]
	v_mfma_f32_16x16x16_f16 v[46:49], v[84:85], v[48:49], v[54:57]
	v_pk_mul_f32 v[84:85], s[8:9], v[80:81] op_sel_hi:[0,1]
	v_pk_mul_f32 v[80:81], s[8:9], v[42:43] op_sel_hi:[0,1]
	global_load_dwordx4 v[14:17], v[10:11], off
	s_nop 0
	global_load_dwordx4 v[10:13], v[10:11], off offset:16
	v_mfma_f32_16x16x16_f16 v[36:39], v[88:89], v[38:39], v[46:49]
	global_load_dwordx4 v[6:9], v[2:3], off
	s_nop 0
	global_load_dwordx4 v[2:5], v[2:3], off offset:16
	v_lshl_add_u64 v[58:59], v[62:63], 0, v[58:59]
	v_mfma_f32_16x16x16_f16 v[36:39], v[90:91], v[40:41], v[36:39]
	s_nop 6
	v_pk_mul_f32 v[72:73], s[8:9], v[36:37] op_sel_hi:[0,1]
	v_and_b32_e32 v36, 0xc0, v0
	v_add_u32_e32 v36, s18, v36
	v_lshl_or_b32 v36, v1, 2, v36
	v_pk_mul_f32 v[66:67], s[8:9], v[38:39] op_sel_hi:[0,1]
	v_or_b32_e32 v39, 1, v36
	v_mov_b32_e32 v37, 0xff7fffff
	v_cmp_gt_i32_e64 s[28:29], s33, v36
	v_cmp_gt_i32_e64 s[30:31], s33, v39
	v_or_b32_e32 v40, 3, v36
	v_cndmask_b32_e64 v38, v37, v60, s[28:29]
	v_cndmask_b32_e64 v39, v37, v61, s[30:31]
	v_max3_f32 v38, v38, s41, v39
	v_or_b32_e32 v39, 2, v36
	v_cmp_gt_i32_e64 s[34:35], s33, v39
	v_cmp_gt_i32_e64 s[36:37], s33, v40
	s_nop 0
	v_cndmask_b32_e64 v39, v37, v82, s[34:35]
	v_cndmask_b32_e64 v40, v37, v83, s[36:37]
	v_max3_f32 v38, v38, v39, v40
	v_or_b32_e32 v39, 16, v36
	v_or_b32_e32 v40, 17, v36
	v_cmp_gt_i32_e64 s[22:23], s33, v39
	v_cmp_gt_i32_e64 s[24:25], s33, v40
	s_nop 0
	v_cndmask_b32_e64 v39, v37, v70, s[22:23]
	v_cndmask_b32_e64 v40, v37, v71, s[24:25]
	v_max3_f32 v38, v38, v39, v40
	v_or_b32_e32 v39, 18, v36
	;; [unrolled: 8-line block ×6, first 2 shown]
	v_or_b32_e32 v36, 51, v36
	v_cmp_gt_i32_e32 vcc, s33, v39
	v_cmp_gt_i32_e64 s[4:5], s33, v36
	s_nop 0
	v_cndmask_b32_e32 v39, v37, v66, vcc
	v_cndmask_b32_e64 v36, v37, v67, s[4:5]
	v_max3_f32 v54, v38, v39, v36
	v_mbcnt_lo_u32_b32 v36, -1, 0
	v_mbcnt_hi_u32_b32 v55, -1, v36
	v_and_b32_e32 v36, 64, v55
	v_add_u32_e32 v56, 64, v36
	v_xor_b32_e32 v36, 32, v55
	v_cmp_lt_i32_e64 s[38:39], v36, v56
	global_load_dwordx4 v[46:49], v[50:51], off
	global_load_dwordx4 v[38:41], v[50:51], off offset:16
	v_cndmask_b32_e64 v36, v55, v36, s[38:39]
	v_lshlrev_b32_e32 v89, 2, v36
	ds_bpermute_b32 v57, v89, v54
	global_load_dwordx4 v[42:45], v[34:35], off
	s_nop 0
	global_load_dwordx4 v[34:37], v[34:35], off offset:16
	s_waitcnt lgkmcnt(0)
	v_max_f32_e32 v50, v57, v57
	v_max_f32_e32 v64, v54, v50
	v_xor_b32_e32 v50, 16, v55
	v_cmp_lt_i32_e64 s[38:39], v50, v56
	s_nop 1
	v_cndmask_b32_e64 v50, v55, v50, s[38:39]
	v_lshlrev_b32_e32 v90, 2, v50
	ds_bpermute_b32 v65, v90, v64
	v_lshl_add_u64 v[50:51], v[62:63], 0, v[52:53]
	global_load_dwordx4 v[54:57], v[50:51], off
	s_nop 0
	global_load_dwordx4 v[50:53], v[50:51], off offset:16
	s_waitcnt lgkmcnt(0)
	v_max_f32_e32 v62, v65, v65
	v_max_f32_e32 v88, v64, v62
	v_sub_f32_e32 v60, v60, v88
	v_mul_f32_e32 v60, 0x3fb8aa3b, v60
	v_exp_f32_e32 v68, v60
	v_sub_f32_e32 v60, v61, v88
	v_mul_f32_e32 v60, 0x3fb8aa3b, v60
	v_exp_f32_e32 v69, v60
	global_load_dwordx4 v[62:65], v[58:59], off
	s_nop 0
	global_load_dwordx4 v[58:61], v[58:59], off offset:16
	v_sub_f32_e32 v82, v82, v88
	v_mul_f32_e32 v82, 0x3fb8aa3b, v82
	v_sub_f32_e32 v83, v83, v88
	v_exp_f32_e32 v82, v82
	v_mul_f32_e32 v83, 0x3fb8aa3b, v83
	v_sub_f32_e32 v70, v70, v88
	v_exp_f32_e32 v83, v83
	v_mul_f32_e32 v70, 0x3fb8aa3b, v70
	v_sub_f32_e32 v71, v71, v88
	v_cndmask_b32_e64 v68, 0, v68, s[28:29]
	v_exp_f32_e32 v70, v70
	v_mul_f32_e32 v71, 0x3fb8aa3b, v71
	v_sub_f32_e32 v84, v84, v88
	v_add_f32_e32 v91, 0, v68
	v_cndmask_b32_e64 v69, 0, v69, s[30:31]
	v_exp_f32_e32 v71, v71
	v_mul_f32_e32 v84, 0x3fb8aa3b, v84
	v_sub_f32_e32 v85, v85, v88
	v_add_f32_e32 v91, v91, v69
	;; [unrolled: 5-line block ×10, first 2 shown]
	v_cndmask_b32_e64 v78, 0, v78, s[10:11]
	v_exp_f32_e32 v66, v66
	v_mul_f32_e32 v67, 0x3fb8aa3b, v67
	v_add_f32_e32 v91, v91, v78
	v_cndmask_b32_e64 v79, 0, v79, s[12:13]
	v_exp_f32_e32 v67, v67
	v_add_f32_e32 v91, v91, v79
	v_cndmask_b32_e64 v72, 0, v72, s[6:7]
	v_add_f32_e32 v91, v91, v72
	v_cndmask_b32_e64 v73, 0, v73, s[8:9]
	v_add_f32_e32 v91, v91, v73
	v_cndmask_b32_e32 v66, 0, v66, vcc
	v_add_f32_e32 v91, v91, v66
	v_cndmask_b32_e64 v67, 0, v67, s[4:5]
	v_add_f32_e32 v91, v91, v67
	ds_bpermute_b32 v89, v89, v91
	v_cmp_gt_u32_e64 s[4:5], 16, v77
	s_waitcnt lgkmcnt(0)
	s_barrier
	v_add_f32_e32 v89, v91, v89
	ds_bpermute_b32 v90, v90, v89
	s_and_saveexec_b64 s[6:7], s[4:5]
	s_cbranch_execz .LBB372_15
; %bb.14:
	s_waitcnt lgkmcnt(0)
	v_add_f32_e32 v77, v89, v90
	v_lshlrev_b32_e32 v87, 2, v87
	ds_write2st64_b32 v87, v88, v77 offset1:1
.LBB372_15:
	s_or_b64 exec, exec, s[6:7]
	v_lshlrev_b32_e32 v77, 2, v76
	s_load_dword s8, s[0:1], 0x94
	s_waitcnt lgkmcnt(0)
	s_barrier
	ds_read2_b32 v[88:89], v77 offset1:16
	ds_read2_b32 v[90:91], v77 offset0:32 offset1:48
	ds_read2_b32 v[92:93], v77 offset0:64 offset1:80
	;; [unrolled: 1-line block ×3, first 2 shown]
	s_waitcnt lgkmcnt(0)
	v_max3_f32 v87, v88, s41, v89
	v_max3_f32 v87, v87, v90, v91
	v_sub_f32_e32 v88, v88, v87
	v_mul_f32_e32 v88, 0x3fb8aa3b, v88
	v_exp_f32_e32 v86, v88
	v_sub_f32_e32 v88, v89, v87
	v_mul_f32_e32 v88, 0x3fb8aa3b, v88
	v_exp_f32_e32 v89, v88
	v_sub_f32_e32 v88, v90, v87
	v_mul_f32_e32 v88, 0x3fb8aa3b, v88
	v_sub_f32_e32 v77, v91, v87
	v_exp_f32_e32 v90, v88
	v_mul_f32_e32 v77, 0x3fb8aa3b, v77
	v_exp_f32_e32 v77, v77
	v_fma_f32 v88, v86, v92, 0
	v_fmac_f32_e32 v88, v89, v93
	v_fmac_f32_e32 v88, v90, v94
	;; [unrolled: 1-line block ×3, first 2 shown]
	v_add_f32_e32 v91, 0x358637bd, v88
	v_div_scale_f32 v92, s[6:7], v91, v91, 1.0
	v_rcp_f32_e32 v93, v92
	s_barrier
	s_mul_i32 s9, s27, 9
	v_fma_f32 v94, -v92, v93, 1.0
	v_fmac_f32_e32 v93, v94, v93
	v_div_scale_f32 v94, vcc, 1.0, v91, 1.0
	v_mul_f32_e32 v95, v94, v93
	v_fma_f32 v1, -v92, v95, v94
	v_fmac_f32_e32 v95, v1, v93
	v_fma_f32 v1, -v92, v95, v94
	v_div_fmas_f32 v1, v1, v93, v95
	v_div_fixup_f32 v1, v1, v91, 1.0
	v_lshrrev_b32_e32 v91, 6, v0
	v_cmp_eq_u32_e32 vcc, 1, v91
	s_nop 1
	v_cndmask_b32_e32 v86, v86, v89, vcc
	v_cmp_eq_u32_e32 vcc, 2, v91
	s_nop 1
	v_cndmask_b32_e32 v86, v86, v90, vcc
	;; [unrolled: 3-line block ×3, first 2 shown]
	v_mul_f32_e32 v90, v77, v1
	v_pk_mul_f32 v[82:83], v[90:91], v[82:83] op_sel_hi:[0,1]
	v_pk_mul_f32 v[68:69], v[90:91], v[68:69] op_sel_hi:[0,1]
	v_cvt_f16_f32_e32 v1, v68
	v_cvt_f16_f32_e32 v68, v69
	;; [unrolled: 1-line block ×4, first 2 shown]
	v_pk_mul_f32 v[84:85], v[90:91], v[84:85] op_sel_hi:[0,1]
	v_pk_mul_f32 v[70:71], v[90:91], v[70:71] op_sel_hi:[0,1]
	v_bfe_u32 v86, v0, 4, 2
	v_pack_b32_f16 v83, v69, v77
	v_cvt_f16_f32_e32 v69, v70
	v_cvt_f16_f32_e32 v70, v71
	;; [unrolled: 1-line block ×4, first 2 shown]
	v_pack_b32_f16 v82, v1, v68
	v_lshlrev_b32_e32 v1, 3, v86
	v_lshlrev_b32_e32 v68, 5, v76
	;; [unrolled: 1-line block ×3, first 2 shown]
	v_or3_b32 v1, v84, v68, v1
	v_pack_b32_f16 v70, v69, v70
	v_pack_b32_f16 v71, v71, v77
	ds_write2st64_b64 v1, v[82:83], v[70:71] offset1:1
	v_pk_mul_f32 v[70:71], v[90:91], v[78:79] op_sel_hi:[0,1]
	v_pk_mul_f32 v[78:79], v[90:91], v[80:81] op_sel_hi:[0,1]
	v_cvt_f16_f32_e32 v69, v78
	v_cvt_f16_f32_e32 v77, v79
	;; [unrolled: 1-line block ×4, first 2 shown]
	v_pk_mul_f32 v[66:67], v[90:91], v[66:67] op_sel_hi:[0,1]
	v_pk_mul_f32 v[70:71], v[90:91], v[72:73] op_sel_hi:[0,1]
	v_cvt_f16_f32_e32 v70, v70
	v_cvt_f16_f32_e32 v71, v71
	;; [unrolled: 1-line block ×4, first 2 shown]
	v_pack_b32_f16 v66, v69, v77
	v_pack_b32_f16 v67, v78, v79
	;; [unrolled: 1-line block ×4, first 2 shown]
	v_cmp_gt_u32_e32 vcc, 9, v0
	ds_write2st64_b64 v1, v[66:67], v[70:71] offset0:2 offset1:3
	s_and_saveexec_b64 s[6:7], vcc
	s_cbranch_execz .LBB372_17
; %bb.16:
	s_mov_b32 s41, 0
	v_mov_b32_e32 v77, 0
	v_lshl_add_u64 v[66:67], s[40:41], 0, v[76:77]
	v_mov_b32_e32 v69, s9
	v_mad_u64_u32 v[66:67], s[10:11], s2, v69, v[66:67]
	s_mul_i32 s3, s3, s9
	v_mov_b32_e32 v70, s26
	v_mov_b32_e32 v71, v77
	s_load_dwordx4 s[12:15], s[0:1], 0x58
	v_add_u32_e32 v69, s3, v67
	v_mad_u64_u32 v[66:67], s[10:11], v66, s8, v[70:71]
	v_mov_b32_e32 v70, v67
	v_mad_u64_u32 v[70:71], s[10:11], v69, s8, v[70:71]
	v_mov_b32_e32 v67, v70
	v_lshlrev_b64 v[66:67], 2, v[66:67]
	s_waitcnt lgkmcnt(0)
	v_lshl_add_u64 v[70:71], s[14:15], 0, v[66:67]
	v_lshl_add_u64 v[66:67], s[12:13], 0, v[66:67]
	global_store_dword v[70:71], v87, off
	global_store_dword v[66:67], v88, off
.LBB372_17:
	s_or_b64 exec, exec, s[6:7]
	v_lshl_or_b32 v77, v86, 9, v68
	s_waitcnt lgkmcnt(0)
	s_barrier
	ds_read_b128 v[70:73], v77
	ds_read_b128 v[66:69], v77 offset:16
	s_waitcnt vmcnt(15) lgkmcnt(1)
	v_mfma_f32_16x16x16_f16 v[78:81], v[30:31], v[70:71], 0
	s_mov_b32 s3, 0
	v_cmp_gt_u32_e32 vcc, 64, v0
	v_mfma_f32_16x16x16_f16 v[30:33], v[32:33], v[72:73], v[78:81]
	s_waitcnt vmcnt(14) lgkmcnt(0)
	v_mfma_f32_16x16x16_f16 v[30:33], v[26:27], v[66:67], v[30:33]
	v_mfma_f32_16x16x16_f16 v[26:29], v[28:29], v[68:69], v[30:33]
	s_nop 5
	ds_read_b128 v[30:33], v77 offset:2048
	ds_read_b128 v[78:81], v77 offset:2064
	s_waitcnt vmcnt(13) lgkmcnt(1)
	v_mfma_f32_16x16x16_f16 v[26:29], v[22:23], v[30:31], v[26:29]
	v_mfma_f32_16x16x16_f16 v[22:25], v[24:25], v[32:33], v[26:29]
	s_waitcnt vmcnt(12) lgkmcnt(0)
	v_mfma_f32_16x16x16_f16 v[22:25], v[18:19], v[78:79], v[22:25]
	v_mfma_f32_16x16x16_f16 v[18:21], v[20:21], v[80:81], v[22:25]
	s_nop 5
	ds_read_b128 v[22:25], v77 offset:4096
	ds_read_b128 v[26:29], v77 offset:4112
	s_waitcnt vmcnt(11) lgkmcnt(1)
	v_mfma_f32_16x16x16_f16 v[18:21], v[14:15], v[22:23], v[18:21]
	v_mfma_f32_16x16x16_f16 v[14:17], v[16:17], v[24:25], v[18:21]
	s_waitcnt vmcnt(10) lgkmcnt(0)
	v_mfma_f32_16x16x16_f16 v[14:17], v[10:11], v[26:27], v[14:17]
	v_mfma_f32_16x16x16_f16 v[10:13], v[12:13], v[28:29], v[14:17]
	s_nop 5
	ds_read_b128 v[14:17], v77 offset:6144
	ds_read_b128 v[18:21], v77 offset:6160
	s_waitcnt lgkmcnt(0)
	s_barrier
	s_waitcnt vmcnt(9)
	v_mfma_f32_16x16x16_f16 v[10:13], v[6:7], v[14:15], v[10:13]
	v_mfma_f32_16x16x16_f16 v[6:9], v[8:9], v[16:17], v[10:13]
	s_waitcnt vmcnt(8)
	v_mfma_f32_16x16x16_f16 v[6:9], v[2:3], v[18:19], v[6:9]
	v_mfma_f32_16x16x16_f16 v[2:5], v[4:5], v[20:21], v[6:9]
	s_waitcnt vmcnt(7)
	v_mfma_f32_16x16x16_f16 v[6:9], v[46:47], v[70:71], 0
	v_mfma_f32_16x16x16_f16 v[6:9], v[48:49], v[72:73], v[6:9]
	s_nop 3
	v_cvt_f16_f32_e32 v10, v2
	v_cvt_f16_f32_e32 v11, v3
	v_cvt_f16_f32_e32 v12, v4
	s_waitcnt vmcnt(6)
	v_mfma_f32_16x16x16_f16 v[6:9], v[38:39], v[66:67], v[6:9]
	v_cvt_f16_f32_e32 v13, v5
	v_mfma_f32_16x16x16_f16 v[6:9], v[40:41], v[68:69], v[6:9]
	s_waitcnt vmcnt(5)
	v_mfma_f32_16x16x16_f16 v[6:9], v[42:43], v[30:31], v[6:9]
	v_mfma_f32_16x16x16_f16 v[6:9], v[44:45], v[32:33], v[6:9]
	s_waitcnt vmcnt(4)
	v_mfma_f32_16x16x16_f16 v[6:9], v[34:35], v[78:79], v[6:9]
	v_mfma_f32_16x16x16_f16 v[6:9], v[36:37], v[80:81], v[6:9]
	s_waitcnt vmcnt(3)
	v_mfma_f32_16x16x16_f16 v[6:9], v[54:55], v[22:23], v[6:9]
	v_mfma_f32_16x16x16_f16 v[6:9], v[56:57], v[24:25], v[6:9]
	s_waitcnt vmcnt(2)
	v_mfma_f32_16x16x16_f16 v[6:9], v[50:51], v[26:27], v[6:9]
	v_mfma_f32_16x16x16_f16 v[6:9], v[52:53], v[28:29], v[6:9]
	s_waitcnt vmcnt(1)
	v_mfma_f32_16x16x16_f16 v[6:9], v[62:63], v[14:15], v[6:9]
	v_mfma_f32_16x16x16_f16 v[6:9], v[64:65], v[16:17], v[6:9]
	s_waitcnt vmcnt(0)
	v_mfma_f32_16x16x16_f16 v[6:9], v[58:59], v[18:19], v[6:9]
	v_mfma_f32_16x16x16_f16 v[2:5], v[60:61], v[20:21], v[6:9]
	s_nop 6
	v_cvt_f16_f32_e32 v6, v2
	v_cvt_f16_f32_e32 v7, v3
	v_cvt_f16_f32_e32 v8, v4
	v_cvt_f16_f32_e32 v5, v5
	v_pack_b32_f16 v2, v10, v11
	v_pack_b32_f16 v3, v12, v13
	;; [unrolled: 1-line block ×4, first 2 shown]
	ds_write2st64_b64 v1, v[2:3], v[4:5] offset1:1
	s_waitcnt lgkmcnt(0)
	s_barrier
	s_and_saveexec_b64 s[6:7], vcc
	s_cbranch_execz .LBB372_20
; %bb.18:
	s_load_dwordx2 s[6:7], s[0:1], 0x68
	s_lshl_b32 s0, s8, 7
	s_mul_i32 s1, s9, s2
	v_lshlrev_b32_e32 v3, 6, v76
	s_mul_hi_u32 s9, s1, s0
	s_mul_i32 s8, s1, s0
	v_lshlrev_b32_e32 v2, 4, v0
	v_lshl_or_b32 v0, v0, 10, v3
	s_lshl_b64 s[8:9], s[8:9], 1
	v_lshlrev_b32_e32 v1, 5, v86
	v_and_b32_e32 v2, 16, v2
	v_and_b32_e32 v0, 0x1a00, v0
	s_waitcnt lgkmcnt(0)
	s_add_u32 s1, s6, s8
	v_or3_b32 v2, v0, v1, v2
	s_addc_u32 s6, s7, s9
	s_lshl_b32 s2, s26, 7
	s_lshl_b64 s[2:3], s[2:3], 1
	ds_read_b128 v[4:7], v2 offset:128
	ds_read_b128 v[8:11], v2
	s_add_u32 s2, s1, s2
	s_addc_u32 s3, s6, s3
	v_add_u32_e32 v3, s40, v86
	v_lshl_add_u64 v[0:1], v[74:75], 1, s[2:3]
	v_mad_u64_u32 v[12:13], s[2:3], v3, s0, 0
	v_lshl_add_u64 v[12:13], v[12:13], 1, v[0:1]
	v_add_u32_e32 v3, 4, v3
	s_waitcnt lgkmcnt(0)
	global_store_dwordx4 v[12:13], v[8:11], off
	s_nop 1
	v_mad_u64_u32 v[8:9], s[2:3], v3, s0, 0
	v_lshl_add_u64 v[8:9], v[8:9], 1, v[0:1]
	global_store_dwordx4 v[8:9], v[4:7], off
	s_and_b64 exec, exec, s[4:5]
	s_cbranch_execz .LBB372_20
; %bb.19:
	ds_read_b128 v[2:5], v2 offset:256
	v_add3_u32 v6, s40, v86, 8
	v_mad_u64_u32 v[6:7], s[0:1], v6, s0, 0
	v_lshl_add_u64 v[0:1], v[6:7], 1, v[0:1]
	s_waitcnt lgkmcnt(0)
	global_store_dwordx4 v[0:1], v[2:5], off
.LBB372_20:
	s_endpgm
	.section	.rodata,"a",@progbits
	.p2align	6, 0x0
	.amdhsa_kernel _Z39paged_attention_ll4mi_QKV_mfma16_kernelIDF16_DF16_LN4vllm18Fp8KVCacheDataTypeE0EDF16_Li32ELi128ELi256ELb0ELi9EEvPKT_PKT0_S7_ifPKiS9_S9_iPKfiiiPfSC_PS2_PT2_iSB_SB_
		.amdhsa_group_segment_fixed_size 8192
		.amdhsa_private_segment_fixed_size 0
		.amdhsa_kernarg_size 400
		.amdhsa_user_sgpr_count 2
		.amdhsa_user_sgpr_dispatch_ptr 0
		.amdhsa_user_sgpr_queue_ptr 0
		.amdhsa_user_sgpr_kernarg_segment_ptr 1
		.amdhsa_user_sgpr_dispatch_id 0
		.amdhsa_user_sgpr_kernarg_preload_length 0
		.amdhsa_user_sgpr_kernarg_preload_offset 0
		.amdhsa_user_sgpr_private_segment_size 0
		.amdhsa_uses_dynamic_stack 0
		.amdhsa_enable_private_segment 0
		.amdhsa_system_sgpr_workgroup_id_x 1
		.amdhsa_system_sgpr_workgroup_id_y 1
		.amdhsa_system_sgpr_workgroup_id_z 1
		.amdhsa_system_sgpr_workgroup_info 0
		.amdhsa_system_vgpr_workitem_id 0
		.amdhsa_next_free_vgpr 96
		.amdhsa_next_free_sgpr 42
		.amdhsa_accum_offset 96
		.amdhsa_reserve_vcc 1
		.amdhsa_float_round_mode_32 0
		.amdhsa_float_round_mode_16_64 0
		.amdhsa_float_denorm_mode_32 3
		.amdhsa_float_denorm_mode_16_64 3
		.amdhsa_dx10_clamp 1
		.amdhsa_ieee_mode 1
		.amdhsa_fp16_overflow 0
		.amdhsa_tg_split 0
		.amdhsa_exception_fp_ieee_invalid_op 0
		.amdhsa_exception_fp_denorm_src 0
		.amdhsa_exception_fp_ieee_div_zero 0
		.amdhsa_exception_fp_ieee_overflow 0
		.amdhsa_exception_fp_ieee_underflow 0
		.amdhsa_exception_fp_ieee_inexact 0
		.amdhsa_exception_int_div_zero 0
	.end_amdhsa_kernel
	.section	.text._Z39paged_attention_ll4mi_QKV_mfma16_kernelIDF16_DF16_LN4vllm18Fp8KVCacheDataTypeE0EDF16_Li32ELi128ELi256ELb0ELi9EEvPKT_PKT0_S7_ifPKiS9_S9_iPKfiiiPfSC_PS2_PT2_iSB_SB_,"axG",@progbits,_Z39paged_attention_ll4mi_QKV_mfma16_kernelIDF16_DF16_LN4vllm18Fp8KVCacheDataTypeE0EDF16_Li32ELi128ELi256ELb0ELi9EEvPKT_PKT0_S7_ifPKiS9_S9_iPKfiiiPfSC_PS2_PT2_iSB_SB_,comdat
.Lfunc_end372:
	.size	_Z39paged_attention_ll4mi_QKV_mfma16_kernelIDF16_DF16_LN4vllm18Fp8KVCacheDataTypeE0EDF16_Li32ELi128ELi256ELb0ELi9EEvPKT_PKT0_S7_ifPKiS9_S9_iPKfiiiPfSC_PS2_PT2_iSB_SB_, .Lfunc_end372-_Z39paged_attention_ll4mi_QKV_mfma16_kernelIDF16_DF16_LN4vllm18Fp8KVCacheDataTypeE0EDF16_Li32ELi128ELi256ELb0ELi9EEvPKT_PKT0_S7_ifPKiS9_S9_iPKfiiiPfSC_PS2_PT2_iSB_SB_
                                        ; -- End function
	.section	.AMDGPU.csdata,"",@progbits
; Kernel info:
; codeLenInByte = 4588
; NumSgprs: 48
; NumVgprs: 96
; NumAgprs: 0
; TotalNumVgprs: 96
; ScratchSize: 0
; MemoryBound: 0
; FloatMode: 240
; IeeeMode: 1
; LDSByteSize: 8192 bytes/workgroup (compile time only)
; SGPRBlocks: 5
; VGPRBlocks: 11
; NumSGPRsForWavesPerEU: 48
; NumVGPRsForWavesPerEU: 96
; AccumOffset: 96
; Occupancy: 5
; WaveLimiterHint : 1
; COMPUTE_PGM_RSRC2:SCRATCH_EN: 0
; COMPUTE_PGM_RSRC2:USER_SGPR: 2
; COMPUTE_PGM_RSRC2:TRAP_HANDLER: 0
; COMPUTE_PGM_RSRC2:TGID_X_EN: 1
; COMPUTE_PGM_RSRC2:TGID_Y_EN: 1
; COMPUTE_PGM_RSRC2:TGID_Z_EN: 1
; COMPUTE_PGM_RSRC2:TIDIG_COMP_CNT: 0
; COMPUTE_PGM_RSRC3_GFX90A:ACCUM_OFFSET: 23
; COMPUTE_PGM_RSRC3_GFX90A:TG_SPLIT: 0
	.section	.text._Z39paged_attention_ll4mi_QKV_mfma16_kernelIDF16_DF16_LN4vllm18Fp8KVCacheDataTypeE0EDF16_Li32ELi128ELi256ELb0ELi10EEvPKT_PKT0_S7_ifPKiS9_S9_iPKfiiiPfSC_PS2_PT2_iSB_SB_,"axG",@progbits,_Z39paged_attention_ll4mi_QKV_mfma16_kernelIDF16_DF16_LN4vllm18Fp8KVCacheDataTypeE0EDF16_Li32ELi128ELi256ELb0ELi10EEvPKT_PKT0_S7_ifPKiS9_S9_iPKfiiiPfSC_PS2_PT2_iSB_SB_,comdat
	.protected	_Z39paged_attention_ll4mi_QKV_mfma16_kernelIDF16_DF16_LN4vllm18Fp8KVCacheDataTypeE0EDF16_Li32ELi128ELi256ELb0ELi10EEvPKT_PKT0_S7_ifPKiS9_S9_iPKfiiiPfSC_PS2_PT2_iSB_SB_ ; -- Begin function _Z39paged_attention_ll4mi_QKV_mfma16_kernelIDF16_DF16_LN4vllm18Fp8KVCacheDataTypeE0EDF16_Li32ELi128ELi256ELb0ELi10EEvPKT_PKT0_S7_ifPKiS9_S9_iPKfiiiPfSC_PS2_PT2_iSB_SB_
	.globl	_Z39paged_attention_ll4mi_QKV_mfma16_kernelIDF16_DF16_LN4vllm18Fp8KVCacheDataTypeE0EDF16_Li32ELi128ELi256ELb0ELi10EEvPKT_PKT0_S7_ifPKiS9_S9_iPKfiiiPfSC_PS2_PT2_iSB_SB_
	.p2align	8
	.type	_Z39paged_attention_ll4mi_QKV_mfma16_kernelIDF16_DF16_LN4vllm18Fp8KVCacheDataTypeE0EDF16_Li32ELi128ELi256ELb0ELi10EEvPKT_PKT0_S7_ifPKiS9_S9_iPKfiiiPfSC_PS2_PT2_iSB_SB_,@function
_Z39paged_attention_ll4mi_QKV_mfma16_kernelIDF16_DF16_LN4vllm18Fp8KVCacheDataTypeE0EDF16_Li32ELi128ELi256ELb0ELi10EEvPKT_PKT0_S7_ifPKiS9_S9_iPKfiiiPfSC_PS2_PT2_iSB_SB_: ; @_Z39paged_attention_ll4mi_QKV_mfma16_kernelIDF16_DF16_LN4vllm18Fp8KVCacheDataTypeE0EDF16_Li32ELi128ELi256ELb0ELi10EEvPKT_PKT0_S7_ifPKiS9_S9_iPKfiiiPfSC_PS2_PT2_iSB_SB_
; %bb.0:
	s_load_dwordx2 s[8:9], s[0:1], 0x30
	s_mov_b32 s26, s3
	s_mov_b64 s[6:7], 0
	s_waitcnt lgkmcnt(0)
	s_cmp_lg_u64 s[8:9], 0
	s_cselect_b64 s[10:11], -1, 0
	s_and_b64 vcc, exec, s[10:11]
	s_cbranch_vccz .LBB373_7
; %bb.1:
	s_add_i32 s12, s2, 1
	s_mov_b32 s13, 0
	s_lshl_b64 s[14:15], s[12:13], 2
	s_add_u32 s14, s8, s14
	s_mov_b32 s3, s13
	s_addc_u32 s15, s9, s15
	s_lshl_b64 s[12:13], s[2:3], 2
	s_add_u32 s12, s8, s12
	s_addc_u32 s13, s9, s13
	s_load_dword s5, s[14:15], 0x0
	s_load_dword s16, s[12:13], 0x0
	s_waitcnt lgkmcnt(0)
	s_sub_i32 s5, s5, s16
	s_cmp_eq_u32 s5, 1
	s_cselect_b64 s[12:13], -1, 0
	s_andn2_b64 vcc, exec, s[6:7]
	s_cbranch_vccnz .LBB373_3
.LBB373_2:
	s_mov_b32 s3, 0
	s_mov_b64 s[12:13], -1
.LBB373_3:
	s_andn2_b64 vcc, exec, s[12:13]
	s_cbranch_vccnz .LBB373_20
; %bb.4:
	s_load_dwordx2 s[6:7], s[0:1], 0x28
	s_lshl_b64 s[12:13], s[2:3], 2
	s_waitcnt lgkmcnt(0)
	s_add_u32 s6, s6, s12
	s_addc_u32 s7, s7, s13
	s_load_dword s33, s[6:7], 0x0
	s_lshl_b32 s18, s26, 8
	s_waitcnt lgkmcnt(0)
	s_cmp_ge_i32 s18, s33
	s_cbranch_scc1 .LBB373_20
; %bb.5:
	s_load_dwordx2 s[6:7], s[0:1], 0x20
	s_load_dword s5, s[0:1], 0x38
	s_add_i32 s14, s33, 31
	s_ashr_i32 s15, s14, 31
	v_and_b32_e32 v1, 0xcf, v0
	s_lshr_b32 s15, s15, 27
	v_add_u32_e32 v1, s18, v1
	s_add_i32 s14, s14, s15
	v_ashrrev_i32_e32 v2, 31, v1
	s_ashr_i32 s19, s14, 5
	v_lshrrev_b32_e32 v4, 27, v2
	s_add_i32 s19, s19, -1
	s_waitcnt lgkmcnt(0)
	s_mul_i32 s14, s2, s5
	s_mov_b32 s15, 0
	v_add_u32_e32 v2, v1, v4
	s_lshl_b64 s[14:15], s[14:15], 2
	v_ashrrev_i32_e32 v2, 5, v2
	v_mov_b32_e32 v5, s19
	v_cmp_gt_i32_e32 vcc, s33, v1
	s_add_u32 s6, s6, s14
	s_addc_u32 s7, s7, s15
	v_cndmask_b32_e32 v2, v5, v2, vcc
	v_ashrrev_i32_e32 v3, 31, v2
	v_lshl_add_u64 v[6:7], v[2:3], 2, s[6:7]
	v_or_b32_e32 v2, 16, v1
	v_add_u32_e32 v3, v2, v4
	v_ashrrev_i32_e32 v3, 5, v3
	v_cmp_gt_i32_e32 vcc, s33, v2
	s_nop 1
	v_cndmask_b32_e32 v2, v5, v3, vcc
	v_ashrrev_i32_e32 v3, 31, v2
	v_lshl_add_u64 v[8:9], v[2:3], 2, s[6:7]
	v_or_b32_e32 v2, 32, v1
	v_add_u32_e32 v3, v2, v4
	v_ashrrev_i32_e32 v3, 5, v3
	v_cmp_gt_i32_e32 vcc, s33, v2
	v_or_b32_e32 v1, 48, v1
	s_nop 0
	v_cndmask_b32_e32 v2, v5, v3, vcc
	v_ashrrev_i32_e32 v3, 31, v2
	v_lshl_add_u64 v[10:11], v[2:3], 2, s[6:7]
	v_add_u32_e32 v2, v1, v4
	v_ashrrev_i32_e32 v2, 5, v2
	v_cmp_gt_i32_e32 vcc, s33, v1
	s_nop 1
	v_cndmask_b32_e32 v2, v5, v2, vcc
	v_ashrrev_i32_e32 v3, 31, v2
	v_lshl_add_u64 v[12:13], v[2:3], 2, s[6:7]
	global_load_dword v2, v[6:7], off
	global_load_dword v5, v[8:9], off
	;; [unrolled: 1-line block ×4, first 2 shown]
	s_andn2_b64 vcc, exec, s[10:11]
	s_cbranch_vccnz .LBB373_8
; %bb.6:
	s_add_u32 s8, s8, s12
	s_addc_u32 s9, s9, s13
	s_load_dword s5, s[8:9], 0x0
	s_branch .LBB373_9
.LBB373_7:
	s_mov_b64 s[12:13], 0
	s_branch .LBB373_2
.LBB373_8:
	s_mov_b32 s5, s2
.LBB373_9:
	s_load_dwordx4 s[12:15], s[0:1], 0x8
	s_load_dwordx4 s[8:11], s[0:1], 0x48
	v_lshrrev_b32_e32 v86, 6, v0
	v_bfe_u32 v1, v0, 4, 2
	v_lshl_or_b32 v3, v86, 2, v1
	v_and_b32_e32 v76, 15, v0
	v_lshlrev_b32_e32 v74, 3, v76
	v_cmp_lt_u32_e32 vcc, 9, v3
	s_and_saveexec_b64 s[16:17], vcc
	s_xor_b64 s[16:17], exec, s[16:17]
; %bb.10:
	v_mov_b32_e32 v75, 0
                                        ; implicit-def: $vgpr3
; %bb.11:
	s_or_saveexec_b64 s[16:17], s[16:17]
	v_and_b32_e32 v77, 63, v0
	s_mul_i32 s40, s4, 10
	s_xor_b64 exec, exec, s[16:17]
	s_cbranch_execz .LBB373_13
; %bb.12:
	s_load_dwordx2 s[20:21], s[0:1], 0x0
	s_waitcnt lgkmcnt(0)
	s_ashr_i32 s11, s8, 31
	s_mul_hi_u32 s22, s5, s8
	s_mul_i32 s11, s5, s11
	s_add_i32 s23, s22, s11
	s_mul_i32 s22, s5, s8
	s_lshl_b64 s[22:23], s[22:23], 1
	s_add_u32 s20, s20, s22
	v_add_lshl_u32 v6, v3, s40, 7
	s_addc_u32 s21, s21, s23
	v_ashrrev_i32_e32 v7, 31, v6
	v_mov_b32_e32 v75, 0
	v_lshl_add_u64 v[6:7], v[6:7], 1, s[20:21]
	v_lshlrev_b32_e32 v8, 1, v74
	v_mov_b32_e32 v9, v75
	v_lshl_add_u64 v[6:7], v[6:7], 0, v[8:9]
	global_load_dwordx4 v[6:9], v[6:7], off
	v_and_b32_e32 v10, 3, v0
	v_lshlrev_b32_e32 v11, 9, v76
	v_lshlrev_b32_e32 v3, 5, v3
	;; [unrolled: 1-line block ×3, first 2 shown]
	v_and_b32_e32 v11, 0x1800, v11
	v_or3_b32 v3, v11, v10, v3
	s_waitcnt vmcnt(0)
	ds_write_b128 v3, v[6:9]
.LBB373_13:
	s_or_b64 exec, exec, s[16:17]
	s_waitcnt lgkmcnt(0)
	s_mul_i32 s4, s4, s10
	s_mov_b32 s5, 0
	s_lshl_b64 s[4:5], s[4:5], 1
	s_add_u32 s10, s12, s4
	s_addc_u32 s11, s13, s5
	s_waitcnt vmcnt(3)
	v_mad_i64_i32 v[2:3], s[12:13], v2, s9, 0
	v_lshl_add_u64 v[6:7], v[2:3], 1, s[10:11]
	v_lshlrev_b64 v[2:3], 1, v[74:75]
	v_lshlrev_b32_e32 v50, 9, v1
	v_lshl_add_u64 v[6:7], v[6:7], 0, v[2:3]
	v_mov_b32_e32 v51, 0
	v_lshl_add_u64 v[8:9], v[6:7], 0, v[50:51]
	s_load_dword s27, s[0:1], 0x98
	s_load_dword s8, s[0:1], 0x1c
	s_waitcnt lgkmcnt(0)
	s_barrier
	global_load_dwordx4 v[38:41], v[8:9], off
	s_waitcnt vmcnt(3)
	v_mad_i64_i32 v[10:11], s[12:13], v5, s9, 0
	v_mov_b32_e32 v5, 0x100
	v_lshl_add_u64 v[10:11], v[10:11], 1, s[10:11]
	v_lshl_or_b32 v54, v76, 4, v5
	v_mov_b32_e32 v55, v51
	v_lshl_add_u64 v[22:23], v[10:11], 0, v[54:55]
	v_lshl_add_u64 v[10:11], v[22:23], 0, v[50:51]
	global_load_dwordx4 v[42:45], v[10:11], off
	global_load_dwordx4 v[18:21], v[8:9], off offset:2048
	global_load_dwordx4 v[26:29], v[10:11], off offset:2048
	v_or_b32_e32 v56, 0x1000, v50
	v_mov_b32_e32 v57, v51
	v_or_b32_e32 v52, 0x1800, v50
	v_mov_b32_e32 v53, v51
	v_lshl_add_u64 v[8:9], v[6:7], 0, v[56:57]
	v_lshl_add_u64 v[6:7], v[6:7], 0, v[52:53]
	global_load_dwordx4 v[14:17], v[8:9], off
	global_load_dwordx4 v[10:13], v[6:7], off
	v_lshl_add_u64 v[8:9], v[22:23], 0, v[56:57]
	global_load_dwordx4 v[30:33], v[8:9], off
	s_waitcnt vmcnt(8)
	v_mad_i64_i32 v[4:5], s[12:13], v4, s9, 0
	v_lshl_add_u64 v[4:5], v[4:5], 1, s[10:11]
	v_lshl_add_u64 v[60:61], v[4:5], 0, v[2:3]
	v_add_u32_e32 v2, -10, v76
	v_cmp_gt_u32_e32 vcc, 10, v76
	v_lshl_add_u64 v[6:7], v[22:23], 0, v[52:53]
	global_load_dwordx4 v[22:25], v[6:7], off
	v_cndmask_b32_e32 v2, v2, v76, vcc
	v_lshl_add_u64 v[58:59], v[60:61], 0, v[50:51]
	v_lshl_add_u32 v62, v2, 5, v50
	global_load_dwordx4 v[34:37], v[58:59], off
	ds_read_b128 v[6:9], v62
	ds_read_b128 v[2:5], v62 offset:2048
	s_waitcnt vmcnt(9)
	v_mad_i64_i32 v[72:73], s[12:13], v46, s9, 0
	s_ashr_i32 s12, s18, 31
	v_and_or_b32 v78, v0, 48, s18
	v_or_b32_e32 v80, 64, v78
	v_mov_b32_e32 v79, s19
	v_cmp_gt_i32_e32 vcc, s33, v78
	v_or_b32_e32 v81, 0x80, v78
	v_or_b32_e32 v82, 0xc0, v78
	v_lshl_or_b32 v87, v86, 4, v76
	s_mov_b32 s41, 0xff7fffff
	s_waitcnt vmcnt(7) lgkmcnt(1)
	v_mfma_f32_16x16x16_f16 v[68:71], v[42:43], v[6:7], 0
	v_mfma_f32_16x16x16_f16 v[64:67], v[38:39], v[6:7], 0
	;; [unrolled: 1-line block ×3, first 2 shown]
	ds_read_b128 v[46:49], v62 offset:4096
	ds_read_b128 v[38:41], v62 offset:6144
	v_lshl_add_u64 v[62:63], v[72:73], 1, s[10:11]
	v_lshl_add_u64 v[72:73], v[62:63], 0, v[54:55]
	v_mfma_f32_16x16x16_f16 v[42:45], v[44:45], v[8:9], v[68:71]
	v_lshl_add_u64 v[54:55], v[60:61], 0, v[56:57]
	s_lshr_b32 s10, s12, 27
	v_add_u32_e32 v83, s10, v81
	s_waitcnt vmcnt(6) lgkmcnt(2)
	v_mfma_f32_16x16x16_f16 v[62:65], v[18:19], v[2:3], v[64:67]
	v_add_u32_e32 v70, s10, v78
	v_add_u32_e32 v71, s10, v80
	v_lshl_add_u64 v[68:69], v[72:73], 0, v[50:51]
	v_lshl_add_u64 v[66:67], v[60:61], 0, v[52:53]
	global_load_dwordx4 v[58:61], v[58:59], off offset:2048
	s_waitcnt vmcnt(6)
	v_mfma_f32_16x16x16_f16 v[42:45], v[26:27], v[2:3], v[42:45]
	v_ashrrev_i32_e32 v50, 5, v70
	v_add_u32_e32 v84, s10, v82
	s_add_u32 s4, s14, s4
	v_mfma_f32_16x16x16_f16 v[18:21], v[20:21], v[4:5], v[62:65]
	s_addc_u32 s5, s15, s5
	v_mfma_f32_16x16x16_f16 v[26:29], v[28:29], v[4:5], v[42:45]
	s_nop 0
	v_lshl_add_u64 v[62:63], v[72:73], 0, v[56:57]
	v_ashrrev_i32_e32 v56, 5, v71
	v_ashrrev_i32_e32 v64, 5, v83
	s_waitcnt vmcnt(5) lgkmcnt(1)
	v_mfma_f32_16x16x16_f16 v[18:21], v[14:15], v[46:47], v[18:21]
	global_load_dwordx4 v[42:45], v[54:55], off
	v_cndmask_b32_e32 v14, v79, v50, vcc
	v_cmp_gt_i32_e32 vcc, s33, v80
	s_waitcnt vmcnt(4)
	v_mfma_f32_16x16x16_f16 v[26:29], v[30:31], v[46:47], v[26:29]
	v_ashrrev_i32_e32 v15, 31, v14
	v_cndmask_b32_e32 v30, v79, v56, vcc
	v_ashrrev_i32_e32 v31, 31, v30
	v_lshl_add_u64 v[14:15], v[14:15], 2, s[6:7]
	v_lshl_add_u64 v[30:31], v[30:31], 2, s[6:7]
	global_load_dword v92, v[14:15], off
	global_load_dword v93, v[30:31], off
	v_mfma_f32_16x16x16_f16 v[14:17], v[16:17], v[48:49], v[18:21]
	v_cmp_gt_i32_e32 vcc, s33, v81
	v_ashrrev_i32_e32 v83, 5, v84
	s_nop 0
	global_load_dwordx4 v[18:21], v[66:67], off
	s_waitcnt lgkmcnt(0)
	v_mfma_f32_16x16x16_f16 v[14:17], v[10:11], v[38:39], v[14:17]
	v_cndmask_b32_e32 v10, v79, v64, vcc
	v_ashrrev_i32_e32 v11, 31, v10
	v_lshl_add_u64 v[10:11], v[10:11], 2, s[6:7]
	v_mfma_f32_16x16x16_f16 v[64:67], v[12:13], v[40:41], v[14:17]
	global_load_dword v94, v[10:11], off
	v_cmp_gt_i32_e32 vcc, s33, v82
	s_nop 0
	v_lshl_add_u64 v[14:15], v[72:73], 0, v[52:53]
	global_load_dwordx4 v[88:91], v[14:15], off
	global_load_dwordx4 v[54:57], v[68:69], off
	v_cndmask_b32_e32 v10, v79, v83, vcc
	global_load_dwordx4 v[68:71], v[68:69], off offset:2048
	v_ashrrev_i32_e32 v11, 31, v10
	global_load_dwordx4 v[82:85], v[62:63], off
	v_lshl_add_u64 v[10:11], v[10:11], 2, s[6:7]
	global_load_dword v95, v[10:11], off
	s_waitcnt vmcnt(11)
	v_mfma_f32_16x16x16_f16 v[10:13], v[34:35], v[6:7], 0
	v_and_b32_e32 v14, 16, v0
	v_lshlrev_b32_e32 v50, 1, v14
	v_mfma_f32_16x16x16_f16 v[10:13], v[36:37], v[8:9], v[10:13]
	v_lshl_add_u64 v[36:37], s[4:5], 0, v[50:51]
	v_lshlrev_b32_e32 v50, 6, v87
	s_waitcnt vmcnt(8)
	v_mad_i64_i32 v[14:15], s[4:5], v92, s9, 0
	v_mfma_f32_16x16x16_f16 v[10:13], v[58:59], v[2:3], v[10:13]
	v_lshlrev_b64 v[72:73], 1, v[14:15]
	v_mfma_f32_16x16x16_f16 v[10:13], v[60:61], v[4:5], v[10:13]
	v_lshl_add_u64 v[60:61], v[36:37], 0, v[50:51]
	v_lshl_add_u64 v[14:15], v[60:61], 0, v[72:73]
	v_or_b32_e32 v50, 0x1000, v50
	v_mfma_f32_16x16x16_f16 v[10:13], v[42:43], v[46:47], v[10:13]
	v_lshl_add_u64 v[62:63], v[36:37], 0, v[50:51]
	v_lshl_add_u64 v[50:51], v[62:63], 0, v[72:73]
	v_mfma_f32_16x16x16_f16 v[26:29], v[32:33], v[48:49], v[26:29]
	v_mfma_f32_16x16x16_f16 v[10:13], v[44:45], v[48:49], v[10:13]
	;; [unrolled: 1-line block ×3, first 2 shown]
	s_waitcnt vmcnt(6)
	v_mfma_f32_16x16x16_f16 v[10:13], v[18:19], v[38:39], v[10:13]
	v_mfma_f32_16x16x16_f16 v[78:81], v[24:25], v[40:41], v[26:29]
	global_load_dwordx4 v[30:33], v[14:15], off
	s_nop 2
	global_load_dwordx4 v[26:29], v[14:15], off offset:16
	v_mad_i64_i32 v[14:15], s[4:5], v93, s9, 0
	v_lshlrev_b64 v[34:35], 1, v[14:15]
	v_mfma_f32_16x16x16_f16 v[42:45], v[20:21], v[40:41], v[10:13]
	s_nop 2
	v_lshl_add_u64 v[10:11], v[60:61], 0, v[34:35]
	global_load_dwordx4 v[22:25], v[10:11], off
	global_load_dwordx4 v[18:21], v[10:11], off offset:16
	s_waitcnt vmcnt(7)
	v_mfma_f32_16x16x16_f16 v[10:13], v[54:55], v[6:7], 0
	v_mad_i64_i32 v[6:7], s[4:5], v94, s9, 0
	v_lshlrev_b64 v[52:53], 1, v[6:7]
	v_mfma_f32_16x16x16_f16 v[6:9], v[56:57], v[8:9], v[10:13]
	v_lshl_add_u64 v[34:35], v[62:63], 0, v[34:35]
	s_waitcnt vmcnt(6)
	v_mfma_f32_16x16x16_f16 v[6:9], v[68:69], v[2:3], v[6:9]
	s_waitcnt vmcnt(4)
	v_mad_i64_i32 v[2:3], s[4:5], v95, s9, 0
	v_lshlrev_b64 v[58:59], 1, v[2:3]
	v_mfma_f32_16x16x16_f16 v[54:57], v[70:71], v[4:5], v[6:9]
	v_lshl_add_u64 v[10:11], v[60:61], 0, v[52:53]
	v_lshl_add_u64 v[2:3], v[60:61], 0, v[58:59]
	v_pk_mul_f32 v[60:61], s[8:9], v[64:65] op_sel_hi:[0,1]
	v_mfma_f32_16x16x16_f16 v[54:57], v[82:83], v[46:47], v[54:57]
	v_pk_mul_f32 v[82:83], s[8:9], v[66:67] op_sel_hi:[0,1]
	v_pk_mul_f32 v[70:71], s[8:9], v[78:79] op_sel_hi:[0,1]
	;; [unrolled: 1-line block ×3, first 2 shown]
	v_mfma_f32_16x16x16_f16 v[46:49], v[84:85], v[48:49], v[54:57]
	v_pk_mul_f32 v[84:85], s[8:9], v[80:81] op_sel_hi:[0,1]
	v_pk_mul_f32 v[80:81], s[8:9], v[42:43] op_sel_hi:[0,1]
	global_load_dwordx4 v[14:17], v[10:11], off
	s_nop 0
	global_load_dwordx4 v[10:13], v[10:11], off offset:16
	v_mfma_f32_16x16x16_f16 v[36:39], v[88:89], v[38:39], v[46:49]
	global_load_dwordx4 v[6:9], v[2:3], off
	s_nop 0
	global_load_dwordx4 v[2:5], v[2:3], off offset:16
	v_lshl_add_u64 v[58:59], v[62:63], 0, v[58:59]
	v_mfma_f32_16x16x16_f16 v[36:39], v[90:91], v[40:41], v[36:39]
	s_nop 6
	v_pk_mul_f32 v[72:73], s[8:9], v[36:37] op_sel_hi:[0,1]
	v_and_b32_e32 v36, 0xc0, v0
	v_add_u32_e32 v36, s18, v36
	v_lshl_or_b32 v36, v1, 2, v36
	v_pk_mul_f32 v[66:67], s[8:9], v[38:39] op_sel_hi:[0,1]
	v_or_b32_e32 v39, 1, v36
	v_mov_b32_e32 v37, 0xff7fffff
	v_cmp_gt_i32_e64 s[28:29], s33, v36
	v_cmp_gt_i32_e64 s[30:31], s33, v39
	v_or_b32_e32 v40, 3, v36
	v_cndmask_b32_e64 v38, v37, v60, s[28:29]
	v_cndmask_b32_e64 v39, v37, v61, s[30:31]
	v_max3_f32 v38, v38, s41, v39
	v_or_b32_e32 v39, 2, v36
	v_cmp_gt_i32_e64 s[34:35], s33, v39
	v_cmp_gt_i32_e64 s[36:37], s33, v40
	s_nop 0
	v_cndmask_b32_e64 v39, v37, v82, s[34:35]
	v_cndmask_b32_e64 v40, v37, v83, s[36:37]
	v_max3_f32 v38, v38, v39, v40
	v_or_b32_e32 v39, 16, v36
	v_or_b32_e32 v40, 17, v36
	v_cmp_gt_i32_e64 s[22:23], s33, v39
	v_cmp_gt_i32_e64 s[24:25], s33, v40
	s_nop 0
	v_cndmask_b32_e64 v39, v37, v70, s[22:23]
	v_cndmask_b32_e64 v40, v37, v71, s[24:25]
	v_max3_f32 v38, v38, v39, v40
	v_or_b32_e32 v39, 18, v36
	;; [unrolled: 8-line block ×6, first 2 shown]
	v_or_b32_e32 v36, 51, v36
	v_cmp_gt_i32_e32 vcc, s33, v39
	v_cmp_gt_i32_e64 s[4:5], s33, v36
	s_nop 0
	v_cndmask_b32_e32 v39, v37, v66, vcc
	v_cndmask_b32_e64 v36, v37, v67, s[4:5]
	v_max3_f32 v54, v38, v39, v36
	v_mbcnt_lo_u32_b32 v36, -1, 0
	v_mbcnt_hi_u32_b32 v55, -1, v36
	v_and_b32_e32 v36, 64, v55
	v_add_u32_e32 v56, 64, v36
	v_xor_b32_e32 v36, 32, v55
	v_cmp_lt_i32_e64 s[38:39], v36, v56
	global_load_dwordx4 v[46:49], v[50:51], off
	global_load_dwordx4 v[38:41], v[50:51], off offset:16
	v_cndmask_b32_e64 v36, v55, v36, s[38:39]
	v_lshlrev_b32_e32 v89, 2, v36
	ds_bpermute_b32 v57, v89, v54
	global_load_dwordx4 v[42:45], v[34:35], off
	s_nop 0
	global_load_dwordx4 v[34:37], v[34:35], off offset:16
	s_waitcnt lgkmcnt(0)
	v_max_f32_e32 v50, v57, v57
	v_max_f32_e32 v64, v54, v50
	v_xor_b32_e32 v50, 16, v55
	v_cmp_lt_i32_e64 s[38:39], v50, v56
	s_nop 1
	v_cndmask_b32_e64 v50, v55, v50, s[38:39]
	v_lshlrev_b32_e32 v90, 2, v50
	ds_bpermute_b32 v65, v90, v64
	v_lshl_add_u64 v[50:51], v[62:63], 0, v[52:53]
	global_load_dwordx4 v[54:57], v[50:51], off
	s_nop 0
	global_load_dwordx4 v[50:53], v[50:51], off offset:16
	s_waitcnt lgkmcnt(0)
	v_max_f32_e32 v62, v65, v65
	v_max_f32_e32 v88, v64, v62
	v_sub_f32_e32 v60, v60, v88
	v_mul_f32_e32 v60, 0x3fb8aa3b, v60
	v_exp_f32_e32 v68, v60
	v_sub_f32_e32 v60, v61, v88
	v_mul_f32_e32 v60, 0x3fb8aa3b, v60
	v_exp_f32_e32 v69, v60
	global_load_dwordx4 v[62:65], v[58:59], off
	s_nop 0
	global_load_dwordx4 v[58:61], v[58:59], off offset:16
	v_sub_f32_e32 v82, v82, v88
	v_mul_f32_e32 v82, 0x3fb8aa3b, v82
	v_sub_f32_e32 v83, v83, v88
	v_exp_f32_e32 v82, v82
	v_mul_f32_e32 v83, 0x3fb8aa3b, v83
	v_sub_f32_e32 v70, v70, v88
	v_exp_f32_e32 v83, v83
	v_mul_f32_e32 v70, 0x3fb8aa3b, v70
	v_sub_f32_e32 v71, v71, v88
	v_cndmask_b32_e64 v68, 0, v68, s[28:29]
	v_exp_f32_e32 v70, v70
	v_mul_f32_e32 v71, 0x3fb8aa3b, v71
	v_sub_f32_e32 v84, v84, v88
	v_add_f32_e32 v91, 0, v68
	v_cndmask_b32_e64 v69, 0, v69, s[30:31]
	v_exp_f32_e32 v71, v71
	v_mul_f32_e32 v84, 0x3fb8aa3b, v84
	v_sub_f32_e32 v85, v85, v88
	v_add_f32_e32 v91, v91, v69
	;; [unrolled: 5-line block ×10, first 2 shown]
	v_cndmask_b32_e64 v78, 0, v78, s[10:11]
	v_exp_f32_e32 v66, v66
	v_mul_f32_e32 v67, 0x3fb8aa3b, v67
	v_add_f32_e32 v91, v91, v78
	v_cndmask_b32_e64 v79, 0, v79, s[12:13]
	v_exp_f32_e32 v67, v67
	v_add_f32_e32 v91, v91, v79
	v_cndmask_b32_e64 v72, 0, v72, s[6:7]
	v_add_f32_e32 v91, v91, v72
	v_cndmask_b32_e64 v73, 0, v73, s[8:9]
	v_add_f32_e32 v91, v91, v73
	v_cndmask_b32_e32 v66, 0, v66, vcc
	v_add_f32_e32 v91, v91, v66
	v_cndmask_b32_e64 v67, 0, v67, s[4:5]
	v_add_f32_e32 v91, v91, v67
	ds_bpermute_b32 v89, v89, v91
	v_cmp_gt_u32_e32 vcc, 16, v77
	s_waitcnt lgkmcnt(0)
	s_barrier
	v_add_f32_e32 v89, v91, v89
	ds_bpermute_b32 v90, v90, v89
	s_and_saveexec_b64 s[4:5], vcc
	s_cbranch_execz .LBB373_15
; %bb.14:
	s_waitcnt lgkmcnt(0)
	v_add_f32_e32 v77, v89, v90
	v_lshlrev_b32_e32 v87, 2, v87
	ds_write2st64_b32 v87, v88, v77 offset1:1
.LBB373_15:
	s_or_b64 exec, exec, s[4:5]
	v_lshlrev_b32_e32 v77, 2, v76
	s_load_dword s6, s[0:1], 0x94
	s_waitcnt lgkmcnt(0)
	s_barrier
	ds_read2_b32 v[88:89], v77 offset1:16
	ds_read2_b32 v[90:91], v77 offset0:32 offset1:48
	ds_read2_b32 v[92:93], v77 offset0:64 offset1:80
	;; [unrolled: 1-line block ×3, first 2 shown]
	s_waitcnt lgkmcnt(0)
	v_max3_f32 v87, v88, s41, v89
	v_max3_f32 v87, v87, v90, v91
	v_sub_f32_e32 v88, v88, v87
	v_mul_f32_e32 v88, 0x3fb8aa3b, v88
	v_exp_f32_e32 v86, v88
	v_sub_f32_e32 v88, v89, v87
	v_mul_f32_e32 v88, 0x3fb8aa3b, v88
	v_exp_f32_e32 v89, v88
	v_sub_f32_e32 v88, v90, v87
	v_mul_f32_e32 v88, 0x3fb8aa3b, v88
	v_sub_f32_e32 v77, v91, v87
	v_exp_f32_e32 v90, v88
	v_mul_f32_e32 v77, 0x3fb8aa3b, v77
	v_exp_f32_e32 v77, v77
	v_fma_f32 v88, v86, v92, 0
	v_fmac_f32_e32 v88, v89, v93
	v_fmac_f32_e32 v88, v90, v94
	;; [unrolled: 1-line block ×3, first 2 shown]
	v_add_f32_e32 v91, 0x358637bd, v88
	v_div_scale_f32 v92, s[4:5], v91, v91, 1.0
	v_rcp_f32_e32 v93, v92
	s_barrier
	s_mul_i32 s7, s27, 10
	v_fma_f32 v94, -v92, v93, 1.0
	v_fmac_f32_e32 v93, v94, v93
	v_div_scale_f32 v94, vcc, 1.0, v91, 1.0
	v_mul_f32_e32 v95, v94, v93
	v_fma_f32 v1, -v92, v95, v94
	v_fmac_f32_e32 v95, v1, v93
	v_fma_f32 v1, -v92, v95, v94
	v_div_fmas_f32 v1, v1, v93, v95
	v_div_fixup_f32 v1, v1, v91, 1.0
	v_lshrrev_b32_e32 v91, 6, v0
	v_cmp_eq_u32_e32 vcc, 1, v91
	s_nop 1
	v_cndmask_b32_e32 v86, v86, v89, vcc
	v_cmp_eq_u32_e32 vcc, 2, v91
	s_nop 1
	v_cndmask_b32_e32 v86, v86, v90, vcc
	;; [unrolled: 3-line block ×3, first 2 shown]
	v_mul_f32_e32 v90, v77, v1
	v_pk_mul_f32 v[82:83], v[90:91], v[82:83] op_sel_hi:[0,1]
	v_pk_mul_f32 v[68:69], v[90:91], v[68:69] op_sel_hi:[0,1]
	v_cvt_f16_f32_e32 v1, v68
	v_cvt_f16_f32_e32 v68, v69
	;; [unrolled: 1-line block ×4, first 2 shown]
	v_pk_mul_f32 v[84:85], v[90:91], v[84:85] op_sel_hi:[0,1]
	v_pk_mul_f32 v[70:71], v[90:91], v[70:71] op_sel_hi:[0,1]
	v_bfe_u32 v86, v0, 4, 2
	v_pack_b32_f16 v83, v69, v77
	v_cvt_f16_f32_e32 v69, v70
	v_cvt_f16_f32_e32 v70, v71
	;; [unrolled: 1-line block ×4, first 2 shown]
	v_pack_b32_f16 v82, v1, v68
	v_lshlrev_b32_e32 v1, 3, v86
	v_lshlrev_b32_e32 v68, 5, v76
	;; [unrolled: 1-line block ×3, first 2 shown]
	v_or3_b32 v1, v84, v68, v1
	v_pack_b32_f16 v70, v69, v70
	v_pack_b32_f16 v71, v71, v77
	ds_write2st64_b64 v1, v[82:83], v[70:71] offset1:1
	v_pk_mul_f32 v[70:71], v[90:91], v[78:79] op_sel_hi:[0,1]
	v_pk_mul_f32 v[78:79], v[90:91], v[80:81] op_sel_hi:[0,1]
	v_cvt_f16_f32_e32 v69, v78
	v_cvt_f16_f32_e32 v77, v79
	;; [unrolled: 1-line block ×4, first 2 shown]
	v_pk_mul_f32 v[66:67], v[90:91], v[66:67] op_sel_hi:[0,1]
	v_pk_mul_f32 v[70:71], v[90:91], v[72:73] op_sel_hi:[0,1]
	v_cvt_f16_f32_e32 v70, v70
	v_cvt_f16_f32_e32 v71, v71
	;; [unrolled: 1-line block ×4, first 2 shown]
	v_pack_b32_f16 v66, v69, v77
	v_pack_b32_f16 v67, v78, v79
	;; [unrolled: 1-line block ×4, first 2 shown]
	v_cmp_gt_u32_e32 vcc, 10, v0
	ds_write2st64_b64 v1, v[66:67], v[70:71] offset0:2 offset1:3
	s_and_saveexec_b64 s[4:5], vcc
	s_cbranch_execz .LBB373_17
; %bb.16:
	s_mov_b32 s41, 0
	v_mov_b32_e32 v77, 0
	v_lshl_add_u64 v[66:67], s[40:41], 0, v[76:77]
	v_mov_b32_e32 v69, s7
	v_mad_u64_u32 v[66:67], s[12:13], s2, v69, v[66:67]
	s_mul_i32 s3, s3, s7
	v_mov_b32_e32 v70, s26
	v_mov_b32_e32 v71, v77
	s_load_dwordx4 s[8:11], s[0:1], 0x58
	v_add_u32_e32 v69, s3, v67
	v_mad_u64_u32 v[66:67], s[12:13], v66, s6, v[70:71]
	v_mov_b32_e32 v70, v67
	v_mad_u64_u32 v[70:71], s[12:13], v69, s6, v[70:71]
	v_mov_b32_e32 v67, v70
	v_lshlrev_b64 v[66:67], 2, v[66:67]
	s_waitcnt lgkmcnt(0)
	v_lshl_add_u64 v[70:71], s[10:11], 0, v[66:67]
	v_lshl_add_u64 v[66:67], s[8:9], 0, v[66:67]
	global_store_dword v[70:71], v87, off
	global_store_dword v[66:67], v88, off
.LBB373_17:
	s_or_b64 exec, exec, s[4:5]
	v_lshl_or_b32 v77, v86, 9, v68
	s_waitcnt lgkmcnt(0)
	s_barrier
	ds_read_b128 v[70:73], v77
	ds_read_b128 v[66:69], v77 offset:16
	s_waitcnt vmcnt(15) lgkmcnt(1)
	v_mfma_f32_16x16x16_f16 v[78:81], v[30:31], v[70:71], 0
	s_mov_b32 s3, 0
	v_cmp_gt_u32_e32 vcc, 64, v0
	v_mfma_f32_16x16x16_f16 v[30:33], v[32:33], v[72:73], v[78:81]
	s_waitcnt vmcnt(14) lgkmcnt(0)
	v_mfma_f32_16x16x16_f16 v[30:33], v[26:27], v[66:67], v[30:33]
	v_mfma_f32_16x16x16_f16 v[26:29], v[28:29], v[68:69], v[30:33]
	s_nop 5
	ds_read_b128 v[30:33], v77 offset:2048
	ds_read_b128 v[78:81], v77 offset:2064
	s_waitcnt vmcnt(13) lgkmcnt(1)
	v_mfma_f32_16x16x16_f16 v[26:29], v[22:23], v[30:31], v[26:29]
	v_mfma_f32_16x16x16_f16 v[22:25], v[24:25], v[32:33], v[26:29]
	s_waitcnt vmcnt(12) lgkmcnt(0)
	v_mfma_f32_16x16x16_f16 v[22:25], v[18:19], v[78:79], v[22:25]
	v_mfma_f32_16x16x16_f16 v[18:21], v[20:21], v[80:81], v[22:25]
	s_nop 5
	ds_read_b128 v[22:25], v77 offset:4096
	ds_read_b128 v[26:29], v77 offset:4112
	s_waitcnt vmcnt(11) lgkmcnt(1)
	v_mfma_f32_16x16x16_f16 v[18:21], v[14:15], v[22:23], v[18:21]
	v_mfma_f32_16x16x16_f16 v[14:17], v[16:17], v[24:25], v[18:21]
	s_waitcnt vmcnt(10) lgkmcnt(0)
	v_mfma_f32_16x16x16_f16 v[14:17], v[10:11], v[26:27], v[14:17]
	v_mfma_f32_16x16x16_f16 v[10:13], v[12:13], v[28:29], v[14:17]
	s_nop 5
	ds_read_b128 v[14:17], v77 offset:6144
	ds_read_b128 v[18:21], v77 offset:6160
	s_waitcnt lgkmcnt(0)
	s_barrier
	s_waitcnt vmcnt(9)
	v_mfma_f32_16x16x16_f16 v[10:13], v[6:7], v[14:15], v[10:13]
	v_mfma_f32_16x16x16_f16 v[6:9], v[8:9], v[16:17], v[10:13]
	s_waitcnt vmcnt(8)
	v_mfma_f32_16x16x16_f16 v[6:9], v[2:3], v[18:19], v[6:9]
	v_mfma_f32_16x16x16_f16 v[2:5], v[4:5], v[20:21], v[6:9]
	s_waitcnt vmcnt(7)
	v_mfma_f32_16x16x16_f16 v[6:9], v[46:47], v[70:71], 0
	v_mfma_f32_16x16x16_f16 v[6:9], v[48:49], v[72:73], v[6:9]
	s_nop 3
	v_cvt_f16_f32_e32 v10, v2
	v_cvt_f16_f32_e32 v11, v3
	;; [unrolled: 1-line block ×3, first 2 shown]
	s_waitcnt vmcnt(6)
	v_mfma_f32_16x16x16_f16 v[6:9], v[38:39], v[66:67], v[6:9]
	v_cvt_f16_f32_e32 v13, v5
	v_mfma_f32_16x16x16_f16 v[6:9], v[40:41], v[68:69], v[6:9]
	s_waitcnt vmcnt(5)
	v_mfma_f32_16x16x16_f16 v[6:9], v[42:43], v[30:31], v[6:9]
	v_mfma_f32_16x16x16_f16 v[6:9], v[44:45], v[32:33], v[6:9]
	s_waitcnt vmcnt(4)
	v_mfma_f32_16x16x16_f16 v[6:9], v[34:35], v[78:79], v[6:9]
	;; [unrolled: 3-line block ×6, first 2 shown]
	v_mfma_f32_16x16x16_f16 v[2:5], v[60:61], v[20:21], v[6:9]
	s_nop 6
	v_cvt_f16_f32_e32 v6, v2
	v_cvt_f16_f32_e32 v7, v3
	;; [unrolled: 1-line block ×4, first 2 shown]
	v_pack_b32_f16 v2, v10, v11
	v_pack_b32_f16 v3, v12, v13
	;; [unrolled: 1-line block ×4, first 2 shown]
	ds_write2st64_b64 v1, v[2:3], v[4:5] offset1:1
	s_waitcnt lgkmcnt(0)
	s_barrier
	s_and_saveexec_b64 s[4:5], vcc
	s_cbranch_execz .LBB373_20
; %bb.18:
	s_load_dwordx2 s[4:5], s[0:1], 0x68
	s_lshl_b32 s0, s6, 7
	s_mul_i32 s1, s7, s2
	v_lshlrev_b32_e32 v3, 6, v76
	s_mul_hi_u32 s7, s1, s0
	s_mul_i32 s6, s1, s0
	v_lshlrev_b32_e32 v2, 4, v0
	v_lshl_or_b32 v0, v0, 10, v3
	s_lshl_b64 s[6:7], s[6:7], 1
	v_lshlrev_b32_e32 v1, 5, v86
	v_and_b32_e32 v2, 16, v2
	v_and_b32_e32 v0, 0x1a00, v0
	s_waitcnt lgkmcnt(0)
	s_add_u32 s1, s4, s6
	v_or3_b32 v2, v0, v1, v2
	s_addc_u32 s4, s5, s7
	s_lshl_b32 s2, s26, 7
	s_lshl_b64 s[2:3], s[2:3], 1
	ds_read_b128 v[4:7], v2 offset:128
	ds_read_b128 v[8:11], v2
	s_add_u32 s2, s1, s2
	s_addc_u32 s3, s4, s3
	v_add_u32_e32 v14, s40, v86
	v_lshl_add_u64 v[0:1], v[74:75], 1, s[2:3]
	v_mad_u64_u32 v[12:13], s[2:3], v14, s0, 0
	v_lshl_add_u64 v[12:13], v[12:13], 1, v[0:1]
	s_waitcnt lgkmcnt(0)
	global_store_dwordx4 v[12:13], v[8:11], off
	v_or_b32_e32 v3, 8, v86
	v_cmp_gt_u32_e32 vcc, 10, v3
	v_add_u32_e32 v8, 4, v14
	v_mad_u64_u32 v[8:9], s[2:3], v8, s0, 0
	v_lshl_add_u64 v[8:9], v[8:9], 1, v[0:1]
	global_store_dwordx4 v[8:9], v[4:7], off
	s_and_b64 exec, exec, vcc
	s_cbranch_execz .LBB373_20
; %bb.19:
	ds_read_b128 v[4:7], v2 offset:256
	v_add_u32_e32 v2, s40, v3
	v_mad_u64_u32 v[2:3], s[0:1], v2, s0, 0
	v_lshl_add_u64 v[0:1], v[2:3], 1, v[0:1]
	s_waitcnt lgkmcnt(0)
	global_store_dwordx4 v[0:1], v[4:7], off
.LBB373_20:
	s_endpgm
	.section	.rodata,"a",@progbits
	.p2align	6, 0x0
	.amdhsa_kernel _Z39paged_attention_ll4mi_QKV_mfma16_kernelIDF16_DF16_LN4vllm18Fp8KVCacheDataTypeE0EDF16_Li32ELi128ELi256ELb0ELi10EEvPKT_PKT0_S7_ifPKiS9_S9_iPKfiiiPfSC_PS2_PT2_iSB_SB_
		.amdhsa_group_segment_fixed_size 8192
		.amdhsa_private_segment_fixed_size 0
		.amdhsa_kernarg_size 400
		.amdhsa_user_sgpr_count 2
		.amdhsa_user_sgpr_dispatch_ptr 0
		.amdhsa_user_sgpr_queue_ptr 0
		.amdhsa_user_sgpr_kernarg_segment_ptr 1
		.amdhsa_user_sgpr_dispatch_id 0
		.amdhsa_user_sgpr_kernarg_preload_length 0
		.amdhsa_user_sgpr_kernarg_preload_offset 0
		.amdhsa_user_sgpr_private_segment_size 0
		.amdhsa_uses_dynamic_stack 0
		.amdhsa_enable_private_segment 0
		.amdhsa_system_sgpr_workgroup_id_x 1
		.amdhsa_system_sgpr_workgroup_id_y 1
		.amdhsa_system_sgpr_workgroup_id_z 1
		.amdhsa_system_sgpr_workgroup_info 0
		.amdhsa_system_vgpr_workitem_id 0
		.amdhsa_next_free_vgpr 96
		.amdhsa_next_free_sgpr 42
		.amdhsa_accum_offset 96
		.amdhsa_reserve_vcc 1
		.amdhsa_float_round_mode_32 0
		.amdhsa_float_round_mode_16_64 0
		.amdhsa_float_denorm_mode_32 3
		.amdhsa_float_denorm_mode_16_64 3
		.amdhsa_dx10_clamp 1
		.amdhsa_ieee_mode 1
		.amdhsa_fp16_overflow 0
		.amdhsa_tg_split 0
		.amdhsa_exception_fp_ieee_invalid_op 0
		.amdhsa_exception_fp_denorm_src 0
		.amdhsa_exception_fp_ieee_div_zero 0
		.amdhsa_exception_fp_ieee_overflow 0
		.amdhsa_exception_fp_ieee_underflow 0
		.amdhsa_exception_fp_ieee_inexact 0
		.amdhsa_exception_int_div_zero 0
	.end_amdhsa_kernel
	.section	.text._Z39paged_attention_ll4mi_QKV_mfma16_kernelIDF16_DF16_LN4vllm18Fp8KVCacheDataTypeE0EDF16_Li32ELi128ELi256ELb0ELi10EEvPKT_PKT0_S7_ifPKiS9_S9_iPKfiiiPfSC_PS2_PT2_iSB_SB_,"axG",@progbits,_Z39paged_attention_ll4mi_QKV_mfma16_kernelIDF16_DF16_LN4vllm18Fp8KVCacheDataTypeE0EDF16_Li32ELi128ELi256ELb0ELi10EEvPKT_PKT0_S7_ifPKiS9_S9_iPKfiiiPfSC_PS2_PT2_iSB_SB_,comdat
.Lfunc_end373:
	.size	_Z39paged_attention_ll4mi_QKV_mfma16_kernelIDF16_DF16_LN4vllm18Fp8KVCacheDataTypeE0EDF16_Li32ELi128ELi256ELb0ELi10EEvPKT_PKT0_S7_ifPKiS9_S9_iPKfiiiPfSC_PS2_PT2_iSB_SB_, .Lfunc_end373-_Z39paged_attention_ll4mi_QKV_mfma16_kernelIDF16_DF16_LN4vllm18Fp8KVCacheDataTypeE0EDF16_Li32ELi128ELi256ELb0ELi10EEvPKT_PKT0_S7_ifPKiS9_S9_iPKfiiiPfSC_PS2_PT2_iSB_SB_
                                        ; -- End function
	.section	.AMDGPU.csdata,"",@progbits
; Kernel info:
; codeLenInByte = 4584
; NumSgprs: 48
; NumVgprs: 96
; NumAgprs: 0
; TotalNumVgprs: 96
; ScratchSize: 0
; MemoryBound: 0
; FloatMode: 240
; IeeeMode: 1
; LDSByteSize: 8192 bytes/workgroup (compile time only)
; SGPRBlocks: 5
; VGPRBlocks: 11
; NumSGPRsForWavesPerEU: 48
; NumVGPRsForWavesPerEU: 96
; AccumOffset: 96
; Occupancy: 5
; WaveLimiterHint : 1
; COMPUTE_PGM_RSRC2:SCRATCH_EN: 0
; COMPUTE_PGM_RSRC2:USER_SGPR: 2
; COMPUTE_PGM_RSRC2:TRAP_HANDLER: 0
; COMPUTE_PGM_RSRC2:TGID_X_EN: 1
; COMPUTE_PGM_RSRC2:TGID_Y_EN: 1
; COMPUTE_PGM_RSRC2:TGID_Z_EN: 1
; COMPUTE_PGM_RSRC2:TIDIG_COMP_CNT: 0
; COMPUTE_PGM_RSRC3_GFX90A:ACCUM_OFFSET: 23
; COMPUTE_PGM_RSRC3_GFX90A:TG_SPLIT: 0
	.section	.text._Z39paged_attention_ll4mi_QKV_mfma16_kernelIDF16_DF16_LN4vllm18Fp8KVCacheDataTypeE0EDF16_Li32ELi128ELi256ELb0ELi11EEvPKT_PKT0_S7_ifPKiS9_S9_iPKfiiiPfSC_PS2_PT2_iSB_SB_,"axG",@progbits,_Z39paged_attention_ll4mi_QKV_mfma16_kernelIDF16_DF16_LN4vllm18Fp8KVCacheDataTypeE0EDF16_Li32ELi128ELi256ELb0ELi11EEvPKT_PKT0_S7_ifPKiS9_S9_iPKfiiiPfSC_PS2_PT2_iSB_SB_,comdat
	.protected	_Z39paged_attention_ll4mi_QKV_mfma16_kernelIDF16_DF16_LN4vllm18Fp8KVCacheDataTypeE0EDF16_Li32ELi128ELi256ELb0ELi11EEvPKT_PKT0_S7_ifPKiS9_S9_iPKfiiiPfSC_PS2_PT2_iSB_SB_ ; -- Begin function _Z39paged_attention_ll4mi_QKV_mfma16_kernelIDF16_DF16_LN4vllm18Fp8KVCacheDataTypeE0EDF16_Li32ELi128ELi256ELb0ELi11EEvPKT_PKT0_S7_ifPKiS9_S9_iPKfiiiPfSC_PS2_PT2_iSB_SB_
	.globl	_Z39paged_attention_ll4mi_QKV_mfma16_kernelIDF16_DF16_LN4vllm18Fp8KVCacheDataTypeE0EDF16_Li32ELi128ELi256ELb0ELi11EEvPKT_PKT0_S7_ifPKiS9_S9_iPKfiiiPfSC_PS2_PT2_iSB_SB_
	.p2align	8
	.type	_Z39paged_attention_ll4mi_QKV_mfma16_kernelIDF16_DF16_LN4vllm18Fp8KVCacheDataTypeE0EDF16_Li32ELi128ELi256ELb0ELi11EEvPKT_PKT0_S7_ifPKiS9_S9_iPKfiiiPfSC_PS2_PT2_iSB_SB_,@function
_Z39paged_attention_ll4mi_QKV_mfma16_kernelIDF16_DF16_LN4vllm18Fp8KVCacheDataTypeE0EDF16_Li32ELi128ELi256ELb0ELi11EEvPKT_PKT0_S7_ifPKiS9_S9_iPKfiiiPfSC_PS2_PT2_iSB_SB_: ; @_Z39paged_attention_ll4mi_QKV_mfma16_kernelIDF16_DF16_LN4vllm18Fp8KVCacheDataTypeE0EDF16_Li32ELi128ELi256ELb0ELi11EEvPKT_PKT0_S7_ifPKiS9_S9_iPKfiiiPfSC_PS2_PT2_iSB_SB_
; %bb.0:
	s_load_dwordx2 s[8:9], s[0:1], 0x30
	s_mov_b32 s26, s3
	s_mov_b64 s[6:7], 0
	s_waitcnt lgkmcnt(0)
	s_cmp_lg_u64 s[8:9], 0
	s_cselect_b64 s[10:11], -1, 0
	s_and_b64 vcc, exec, s[10:11]
	s_cbranch_vccz .LBB374_7
; %bb.1:
	s_add_i32 s12, s2, 1
	s_mov_b32 s13, 0
	s_lshl_b64 s[14:15], s[12:13], 2
	s_add_u32 s14, s8, s14
	s_mov_b32 s3, s13
	s_addc_u32 s15, s9, s15
	s_lshl_b64 s[12:13], s[2:3], 2
	s_add_u32 s12, s8, s12
	s_addc_u32 s13, s9, s13
	s_load_dword s5, s[14:15], 0x0
	s_load_dword s16, s[12:13], 0x0
	s_waitcnt lgkmcnt(0)
	s_sub_i32 s5, s5, s16
	s_cmp_eq_u32 s5, 1
	s_cselect_b64 s[12:13], -1, 0
	s_andn2_b64 vcc, exec, s[6:7]
	s_cbranch_vccnz .LBB374_3
.LBB374_2:
	s_mov_b32 s3, 0
	s_mov_b64 s[12:13], -1
.LBB374_3:
	s_andn2_b64 vcc, exec, s[12:13]
	s_cbranch_vccnz .LBB374_20
; %bb.4:
	s_load_dwordx2 s[6:7], s[0:1], 0x28
	s_lshl_b64 s[12:13], s[2:3], 2
	s_waitcnt lgkmcnt(0)
	s_add_u32 s6, s6, s12
	s_addc_u32 s7, s7, s13
	s_load_dword s33, s[6:7], 0x0
	s_lshl_b32 s18, s26, 8
	s_waitcnt lgkmcnt(0)
	s_cmp_ge_i32 s18, s33
	s_cbranch_scc1 .LBB374_20
; %bb.5:
	s_load_dwordx2 s[6:7], s[0:1], 0x20
	s_load_dword s5, s[0:1], 0x38
	s_add_i32 s14, s33, 31
	s_ashr_i32 s15, s14, 31
	v_and_b32_e32 v1, 0xcf, v0
	s_lshr_b32 s15, s15, 27
	v_add_u32_e32 v1, s18, v1
	s_add_i32 s14, s14, s15
	v_ashrrev_i32_e32 v2, 31, v1
	s_ashr_i32 s19, s14, 5
	v_lshrrev_b32_e32 v4, 27, v2
	s_add_i32 s19, s19, -1
	s_waitcnt lgkmcnt(0)
	s_mul_i32 s14, s2, s5
	s_mov_b32 s15, 0
	v_add_u32_e32 v2, v1, v4
	s_lshl_b64 s[14:15], s[14:15], 2
	v_ashrrev_i32_e32 v2, 5, v2
	v_mov_b32_e32 v5, s19
	v_cmp_gt_i32_e32 vcc, s33, v1
	s_add_u32 s6, s6, s14
	s_addc_u32 s7, s7, s15
	v_cndmask_b32_e32 v2, v5, v2, vcc
	v_ashrrev_i32_e32 v3, 31, v2
	v_lshl_add_u64 v[6:7], v[2:3], 2, s[6:7]
	v_or_b32_e32 v2, 16, v1
	v_add_u32_e32 v3, v2, v4
	v_ashrrev_i32_e32 v3, 5, v3
	v_cmp_gt_i32_e32 vcc, s33, v2
	s_nop 1
	v_cndmask_b32_e32 v2, v5, v3, vcc
	v_ashrrev_i32_e32 v3, 31, v2
	v_lshl_add_u64 v[8:9], v[2:3], 2, s[6:7]
	v_or_b32_e32 v2, 32, v1
	v_add_u32_e32 v3, v2, v4
	v_ashrrev_i32_e32 v3, 5, v3
	v_cmp_gt_i32_e32 vcc, s33, v2
	v_or_b32_e32 v1, 48, v1
	s_nop 0
	v_cndmask_b32_e32 v2, v5, v3, vcc
	v_ashrrev_i32_e32 v3, 31, v2
	v_lshl_add_u64 v[10:11], v[2:3], 2, s[6:7]
	v_add_u32_e32 v2, v1, v4
	v_ashrrev_i32_e32 v2, 5, v2
	v_cmp_gt_i32_e32 vcc, s33, v1
	s_nop 1
	v_cndmask_b32_e32 v2, v5, v2, vcc
	v_ashrrev_i32_e32 v3, 31, v2
	v_lshl_add_u64 v[12:13], v[2:3], 2, s[6:7]
	global_load_dword v2, v[6:7], off
	global_load_dword v5, v[8:9], off
	;; [unrolled: 1-line block ×4, first 2 shown]
	s_andn2_b64 vcc, exec, s[10:11]
	s_cbranch_vccnz .LBB374_8
; %bb.6:
	s_add_u32 s8, s8, s12
	s_addc_u32 s9, s9, s13
	s_load_dword s5, s[8:9], 0x0
	s_branch .LBB374_9
.LBB374_7:
	s_mov_b64 s[12:13], 0
	s_branch .LBB374_2
.LBB374_8:
	s_mov_b32 s5, s2
.LBB374_9:
	s_load_dwordx4 s[12:15], s[0:1], 0x8
	s_load_dwordx4 s[8:11], s[0:1], 0x48
	v_lshrrev_b32_e32 v86, 6, v0
	v_bfe_u32 v1, v0, 4, 2
	v_lshl_or_b32 v3, v86, 2, v1
	v_and_b32_e32 v76, 15, v0
	v_lshlrev_b32_e32 v74, 3, v76
	v_cmp_lt_u32_e32 vcc, 10, v3
	s_and_saveexec_b64 s[16:17], vcc
	s_xor_b64 s[16:17], exec, s[16:17]
; %bb.10:
	v_mov_b32_e32 v75, 0
                                        ; implicit-def: $vgpr3
; %bb.11:
	s_or_saveexec_b64 s[16:17], s[16:17]
	v_and_b32_e32 v77, 63, v0
	s_mul_i32 s40, s4, 11
	s_xor_b64 exec, exec, s[16:17]
	s_cbranch_execz .LBB374_13
; %bb.12:
	s_load_dwordx2 s[20:21], s[0:1], 0x0
	s_waitcnt lgkmcnt(0)
	s_ashr_i32 s11, s8, 31
	s_mul_hi_u32 s22, s5, s8
	s_mul_i32 s11, s5, s11
	s_add_i32 s23, s22, s11
	s_mul_i32 s22, s5, s8
	s_lshl_b64 s[22:23], s[22:23], 1
	s_add_u32 s20, s20, s22
	v_add_lshl_u32 v6, v3, s40, 7
	s_addc_u32 s21, s21, s23
	v_ashrrev_i32_e32 v7, 31, v6
	v_mov_b32_e32 v75, 0
	v_lshl_add_u64 v[6:7], v[6:7], 1, s[20:21]
	v_lshlrev_b32_e32 v8, 1, v74
	v_mov_b32_e32 v9, v75
	v_lshl_add_u64 v[6:7], v[6:7], 0, v[8:9]
	global_load_dwordx4 v[6:9], v[6:7], off
	v_and_b32_e32 v10, 3, v0
	v_lshlrev_b32_e32 v11, 9, v76
	v_lshlrev_b32_e32 v3, 5, v3
	;; [unrolled: 1-line block ×3, first 2 shown]
	v_and_b32_e32 v11, 0x1800, v11
	v_or3_b32 v3, v11, v10, v3
	s_waitcnt vmcnt(0)
	ds_write_b128 v3, v[6:9]
.LBB374_13:
	s_or_b64 exec, exec, s[16:17]
	s_waitcnt lgkmcnt(0)
	s_mul_i32 s4, s4, s10
	s_mov_b32 s5, 0
	s_lshl_b64 s[4:5], s[4:5], 1
	s_add_u32 s10, s12, s4
	s_addc_u32 s11, s13, s5
	s_waitcnt vmcnt(3)
	v_mad_i64_i32 v[2:3], s[12:13], v2, s9, 0
	v_lshl_add_u64 v[6:7], v[2:3], 1, s[10:11]
	v_lshlrev_b64 v[2:3], 1, v[74:75]
	v_lshlrev_b32_e32 v50, 9, v1
	v_lshl_add_u64 v[6:7], v[6:7], 0, v[2:3]
	v_mov_b32_e32 v51, 0
	v_lshl_add_u64 v[8:9], v[6:7], 0, v[50:51]
	s_load_dword s27, s[0:1], 0x98
	s_load_dword s8, s[0:1], 0x1c
	s_waitcnt lgkmcnt(0)
	s_barrier
	global_load_dwordx4 v[38:41], v[8:9], off
	s_waitcnt vmcnt(3)
	v_mad_i64_i32 v[10:11], s[12:13], v5, s9, 0
	v_mov_b32_e32 v5, 0x100
	v_lshl_add_u64 v[10:11], v[10:11], 1, s[10:11]
	v_lshl_or_b32 v54, v76, 4, v5
	v_mov_b32_e32 v55, v51
	v_lshl_add_u64 v[22:23], v[10:11], 0, v[54:55]
	v_lshl_add_u64 v[10:11], v[22:23], 0, v[50:51]
	global_load_dwordx4 v[42:45], v[10:11], off
	global_load_dwordx4 v[18:21], v[8:9], off offset:2048
	global_load_dwordx4 v[26:29], v[10:11], off offset:2048
	v_or_b32_e32 v56, 0x1000, v50
	v_mov_b32_e32 v57, v51
	v_or_b32_e32 v52, 0x1800, v50
	v_mov_b32_e32 v53, v51
	v_lshl_add_u64 v[8:9], v[6:7], 0, v[56:57]
	v_lshl_add_u64 v[6:7], v[6:7], 0, v[52:53]
	global_load_dwordx4 v[14:17], v[8:9], off
	global_load_dwordx4 v[10:13], v[6:7], off
	v_lshl_add_u64 v[8:9], v[22:23], 0, v[56:57]
	global_load_dwordx4 v[30:33], v[8:9], off
	s_waitcnt vmcnt(8)
	v_mad_i64_i32 v[4:5], s[12:13], v4, s9, 0
	v_lshl_add_u64 v[4:5], v[4:5], 1, s[10:11]
	v_lshl_add_u64 v[60:61], v[4:5], 0, v[2:3]
	v_add_u32_e32 v2, -11, v76
	v_cmp_gt_u32_e32 vcc, 11, v76
	v_lshl_add_u64 v[6:7], v[22:23], 0, v[52:53]
	global_load_dwordx4 v[22:25], v[6:7], off
	v_cndmask_b32_e32 v2, v2, v76, vcc
	v_lshl_add_u64 v[58:59], v[60:61], 0, v[50:51]
	v_lshl_add_u32 v62, v2, 5, v50
	global_load_dwordx4 v[34:37], v[58:59], off
	ds_read_b128 v[6:9], v62
	ds_read_b128 v[2:5], v62 offset:2048
	s_waitcnt vmcnt(9)
	v_mad_i64_i32 v[72:73], s[12:13], v46, s9, 0
	s_ashr_i32 s12, s18, 31
	v_and_or_b32 v78, v0, 48, s18
	v_or_b32_e32 v80, 64, v78
	v_mov_b32_e32 v79, s19
	v_cmp_gt_i32_e32 vcc, s33, v78
	v_or_b32_e32 v81, 0x80, v78
	v_or_b32_e32 v82, 0xc0, v78
	v_lshl_or_b32 v87, v86, 4, v76
	s_mov_b32 s41, 0xff7fffff
	s_waitcnt vmcnt(7) lgkmcnt(1)
	v_mfma_f32_16x16x16_f16 v[68:71], v[42:43], v[6:7], 0
	v_mfma_f32_16x16x16_f16 v[64:67], v[38:39], v[6:7], 0
	;; [unrolled: 1-line block ×3, first 2 shown]
	ds_read_b128 v[46:49], v62 offset:4096
	ds_read_b128 v[38:41], v62 offset:6144
	v_lshl_add_u64 v[62:63], v[72:73], 1, s[10:11]
	v_lshl_add_u64 v[72:73], v[62:63], 0, v[54:55]
	v_mfma_f32_16x16x16_f16 v[42:45], v[44:45], v[8:9], v[68:71]
	v_lshl_add_u64 v[54:55], v[60:61], 0, v[56:57]
	s_lshr_b32 s10, s12, 27
	v_add_u32_e32 v83, s10, v81
	s_waitcnt vmcnt(6) lgkmcnt(2)
	v_mfma_f32_16x16x16_f16 v[62:65], v[18:19], v[2:3], v[64:67]
	v_add_u32_e32 v70, s10, v78
	v_add_u32_e32 v71, s10, v80
	v_lshl_add_u64 v[68:69], v[72:73], 0, v[50:51]
	v_lshl_add_u64 v[66:67], v[60:61], 0, v[52:53]
	global_load_dwordx4 v[58:61], v[58:59], off offset:2048
	s_waitcnt vmcnt(6)
	v_mfma_f32_16x16x16_f16 v[42:45], v[26:27], v[2:3], v[42:45]
	v_ashrrev_i32_e32 v50, 5, v70
	v_add_u32_e32 v84, s10, v82
	s_add_u32 s4, s14, s4
	v_mfma_f32_16x16x16_f16 v[18:21], v[20:21], v[4:5], v[62:65]
	s_addc_u32 s5, s15, s5
	v_mfma_f32_16x16x16_f16 v[26:29], v[28:29], v[4:5], v[42:45]
	s_nop 0
	v_lshl_add_u64 v[62:63], v[72:73], 0, v[56:57]
	v_ashrrev_i32_e32 v56, 5, v71
	v_ashrrev_i32_e32 v64, 5, v83
	s_waitcnt vmcnt(5) lgkmcnt(1)
	v_mfma_f32_16x16x16_f16 v[18:21], v[14:15], v[46:47], v[18:21]
	global_load_dwordx4 v[42:45], v[54:55], off
	v_cndmask_b32_e32 v14, v79, v50, vcc
	v_cmp_gt_i32_e32 vcc, s33, v80
	s_waitcnt vmcnt(4)
	v_mfma_f32_16x16x16_f16 v[26:29], v[30:31], v[46:47], v[26:29]
	v_ashrrev_i32_e32 v15, 31, v14
	v_cndmask_b32_e32 v30, v79, v56, vcc
	v_ashrrev_i32_e32 v31, 31, v30
	v_lshl_add_u64 v[14:15], v[14:15], 2, s[6:7]
	v_lshl_add_u64 v[30:31], v[30:31], 2, s[6:7]
	global_load_dword v92, v[14:15], off
	global_load_dword v93, v[30:31], off
	v_mfma_f32_16x16x16_f16 v[14:17], v[16:17], v[48:49], v[18:21]
	v_cmp_gt_i32_e32 vcc, s33, v81
	v_ashrrev_i32_e32 v83, 5, v84
	s_nop 0
	global_load_dwordx4 v[18:21], v[66:67], off
	s_waitcnt lgkmcnt(0)
	v_mfma_f32_16x16x16_f16 v[14:17], v[10:11], v[38:39], v[14:17]
	v_cndmask_b32_e32 v10, v79, v64, vcc
	v_ashrrev_i32_e32 v11, 31, v10
	v_lshl_add_u64 v[10:11], v[10:11], 2, s[6:7]
	v_mfma_f32_16x16x16_f16 v[64:67], v[12:13], v[40:41], v[14:17]
	global_load_dword v94, v[10:11], off
	v_cmp_gt_i32_e32 vcc, s33, v82
	s_nop 0
	v_lshl_add_u64 v[14:15], v[72:73], 0, v[52:53]
	global_load_dwordx4 v[88:91], v[14:15], off
	global_load_dwordx4 v[54:57], v[68:69], off
	v_cndmask_b32_e32 v10, v79, v83, vcc
	global_load_dwordx4 v[68:71], v[68:69], off offset:2048
	v_ashrrev_i32_e32 v11, 31, v10
	global_load_dwordx4 v[82:85], v[62:63], off
	v_lshl_add_u64 v[10:11], v[10:11], 2, s[6:7]
	global_load_dword v95, v[10:11], off
	s_waitcnt vmcnt(11)
	v_mfma_f32_16x16x16_f16 v[10:13], v[34:35], v[6:7], 0
	v_and_b32_e32 v14, 16, v0
	v_lshlrev_b32_e32 v50, 1, v14
	v_mfma_f32_16x16x16_f16 v[10:13], v[36:37], v[8:9], v[10:13]
	v_lshl_add_u64 v[36:37], s[4:5], 0, v[50:51]
	v_lshlrev_b32_e32 v50, 6, v87
	s_waitcnt vmcnt(8)
	v_mad_i64_i32 v[14:15], s[4:5], v92, s9, 0
	v_mfma_f32_16x16x16_f16 v[10:13], v[58:59], v[2:3], v[10:13]
	v_lshlrev_b64 v[72:73], 1, v[14:15]
	v_mfma_f32_16x16x16_f16 v[10:13], v[60:61], v[4:5], v[10:13]
	v_lshl_add_u64 v[60:61], v[36:37], 0, v[50:51]
	v_lshl_add_u64 v[14:15], v[60:61], 0, v[72:73]
	v_or_b32_e32 v50, 0x1000, v50
	v_mfma_f32_16x16x16_f16 v[10:13], v[42:43], v[46:47], v[10:13]
	v_lshl_add_u64 v[62:63], v[36:37], 0, v[50:51]
	v_lshl_add_u64 v[50:51], v[62:63], 0, v[72:73]
	v_mfma_f32_16x16x16_f16 v[26:29], v[32:33], v[48:49], v[26:29]
	v_mfma_f32_16x16x16_f16 v[10:13], v[44:45], v[48:49], v[10:13]
	;; [unrolled: 1-line block ×3, first 2 shown]
	s_waitcnt vmcnt(6)
	v_mfma_f32_16x16x16_f16 v[10:13], v[18:19], v[38:39], v[10:13]
	v_mfma_f32_16x16x16_f16 v[78:81], v[24:25], v[40:41], v[26:29]
	global_load_dwordx4 v[30:33], v[14:15], off
	s_nop 2
	global_load_dwordx4 v[26:29], v[14:15], off offset:16
	v_mad_i64_i32 v[14:15], s[4:5], v93, s9, 0
	v_lshlrev_b64 v[34:35], 1, v[14:15]
	v_mfma_f32_16x16x16_f16 v[42:45], v[20:21], v[40:41], v[10:13]
	s_nop 2
	v_lshl_add_u64 v[10:11], v[60:61], 0, v[34:35]
	global_load_dwordx4 v[22:25], v[10:11], off
	global_load_dwordx4 v[18:21], v[10:11], off offset:16
	s_waitcnt vmcnt(7)
	v_mfma_f32_16x16x16_f16 v[10:13], v[54:55], v[6:7], 0
	v_mad_i64_i32 v[6:7], s[4:5], v94, s9, 0
	v_lshlrev_b64 v[52:53], 1, v[6:7]
	v_mfma_f32_16x16x16_f16 v[6:9], v[56:57], v[8:9], v[10:13]
	v_lshl_add_u64 v[34:35], v[62:63], 0, v[34:35]
	s_waitcnt vmcnt(6)
	v_mfma_f32_16x16x16_f16 v[6:9], v[68:69], v[2:3], v[6:9]
	s_waitcnt vmcnt(4)
	v_mad_i64_i32 v[2:3], s[4:5], v95, s9, 0
	v_lshlrev_b64 v[58:59], 1, v[2:3]
	v_mfma_f32_16x16x16_f16 v[54:57], v[70:71], v[4:5], v[6:9]
	v_lshl_add_u64 v[10:11], v[60:61], 0, v[52:53]
	v_lshl_add_u64 v[2:3], v[60:61], 0, v[58:59]
	v_pk_mul_f32 v[60:61], s[8:9], v[64:65] op_sel_hi:[0,1]
	v_mfma_f32_16x16x16_f16 v[54:57], v[82:83], v[46:47], v[54:57]
	v_pk_mul_f32 v[82:83], s[8:9], v[66:67] op_sel_hi:[0,1]
	v_pk_mul_f32 v[70:71], s[8:9], v[78:79] op_sel_hi:[0,1]
	;; [unrolled: 1-line block ×3, first 2 shown]
	v_mfma_f32_16x16x16_f16 v[46:49], v[84:85], v[48:49], v[54:57]
	v_pk_mul_f32 v[84:85], s[8:9], v[80:81] op_sel_hi:[0,1]
	v_pk_mul_f32 v[80:81], s[8:9], v[42:43] op_sel_hi:[0,1]
	global_load_dwordx4 v[14:17], v[10:11], off
	s_nop 0
	global_load_dwordx4 v[10:13], v[10:11], off offset:16
	v_mfma_f32_16x16x16_f16 v[36:39], v[88:89], v[38:39], v[46:49]
	global_load_dwordx4 v[6:9], v[2:3], off
	s_nop 0
	global_load_dwordx4 v[2:5], v[2:3], off offset:16
	v_lshl_add_u64 v[58:59], v[62:63], 0, v[58:59]
	v_mfma_f32_16x16x16_f16 v[36:39], v[90:91], v[40:41], v[36:39]
	s_nop 6
	v_pk_mul_f32 v[72:73], s[8:9], v[36:37] op_sel_hi:[0,1]
	v_and_b32_e32 v36, 0xc0, v0
	v_add_u32_e32 v36, s18, v36
	v_lshl_or_b32 v36, v1, 2, v36
	v_pk_mul_f32 v[66:67], s[8:9], v[38:39] op_sel_hi:[0,1]
	v_or_b32_e32 v39, 1, v36
	v_mov_b32_e32 v37, 0xff7fffff
	v_cmp_gt_i32_e64 s[28:29], s33, v36
	v_cmp_gt_i32_e64 s[30:31], s33, v39
	v_or_b32_e32 v40, 3, v36
	v_cndmask_b32_e64 v38, v37, v60, s[28:29]
	v_cndmask_b32_e64 v39, v37, v61, s[30:31]
	v_max3_f32 v38, v38, s41, v39
	v_or_b32_e32 v39, 2, v36
	v_cmp_gt_i32_e64 s[34:35], s33, v39
	v_cmp_gt_i32_e64 s[36:37], s33, v40
	s_nop 0
	v_cndmask_b32_e64 v39, v37, v82, s[34:35]
	v_cndmask_b32_e64 v40, v37, v83, s[36:37]
	v_max3_f32 v38, v38, v39, v40
	v_or_b32_e32 v39, 16, v36
	v_or_b32_e32 v40, 17, v36
	v_cmp_gt_i32_e64 s[22:23], s33, v39
	v_cmp_gt_i32_e64 s[24:25], s33, v40
	s_nop 0
	v_cndmask_b32_e64 v39, v37, v70, s[22:23]
	v_cndmask_b32_e64 v40, v37, v71, s[24:25]
	v_max3_f32 v38, v38, v39, v40
	v_or_b32_e32 v39, 18, v36
	;; [unrolled: 8-line block ×6, first 2 shown]
	v_or_b32_e32 v36, 51, v36
	v_cmp_gt_i32_e32 vcc, s33, v39
	v_cmp_gt_i32_e64 s[4:5], s33, v36
	s_nop 0
	v_cndmask_b32_e32 v39, v37, v66, vcc
	v_cndmask_b32_e64 v36, v37, v67, s[4:5]
	v_max3_f32 v54, v38, v39, v36
	v_mbcnt_lo_u32_b32 v36, -1, 0
	v_mbcnt_hi_u32_b32 v55, -1, v36
	v_and_b32_e32 v36, 64, v55
	v_add_u32_e32 v56, 64, v36
	v_xor_b32_e32 v36, 32, v55
	v_cmp_lt_i32_e64 s[38:39], v36, v56
	global_load_dwordx4 v[46:49], v[50:51], off
	global_load_dwordx4 v[38:41], v[50:51], off offset:16
	v_cndmask_b32_e64 v36, v55, v36, s[38:39]
	v_lshlrev_b32_e32 v89, 2, v36
	ds_bpermute_b32 v57, v89, v54
	global_load_dwordx4 v[42:45], v[34:35], off
	s_nop 0
	global_load_dwordx4 v[34:37], v[34:35], off offset:16
	s_waitcnt lgkmcnt(0)
	v_max_f32_e32 v50, v57, v57
	v_max_f32_e32 v64, v54, v50
	v_xor_b32_e32 v50, 16, v55
	v_cmp_lt_i32_e64 s[38:39], v50, v56
	s_nop 1
	v_cndmask_b32_e64 v50, v55, v50, s[38:39]
	v_lshlrev_b32_e32 v90, 2, v50
	ds_bpermute_b32 v65, v90, v64
	v_lshl_add_u64 v[50:51], v[62:63], 0, v[52:53]
	global_load_dwordx4 v[54:57], v[50:51], off
	s_nop 0
	global_load_dwordx4 v[50:53], v[50:51], off offset:16
	s_waitcnt lgkmcnt(0)
	v_max_f32_e32 v62, v65, v65
	v_max_f32_e32 v88, v64, v62
	v_sub_f32_e32 v60, v60, v88
	v_mul_f32_e32 v60, 0x3fb8aa3b, v60
	v_exp_f32_e32 v68, v60
	v_sub_f32_e32 v60, v61, v88
	v_mul_f32_e32 v60, 0x3fb8aa3b, v60
	v_exp_f32_e32 v69, v60
	global_load_dwordx4 v[62:65], v[58:59], off
	s_nop 0
	global_load_dwordx4 v[58:61], v[58:59], off offset:16
	v_sub_f32_e32 v82, v82, v88
	v_mul_f32_e32 v82, 0x3fb8aa3b, v82
	v_sub_f32_e32 v83, v83, v88
	v_exp_f32_e32 v82, v82
	v_mul_f32_e32 v83, 0x3fb8aa3b, v83
	v_sub_f32_e32 v70, v70, v88
	v_exp_f32_e32 v83, v83
	v_mul_f32_e32 v70, 0x3fb8aa3b, v70
	v_sub_f32_e32 v71, v71, v88
	v_cndmask_b32_e64 v68, 0, v68, s[28:29]
	v_exp_f32_e32 v70, v70
	v_mul_f32_e32 v71, 0x3fb8aa3b, v71
	v_sub_f32_e32 v84, v84, v88
	v_add_f32_e32 v91, 0, v68
	v_cndmask_b32_e64 v69, 0, v69, s[30:31]
	v_exp_f32_e32 v71, v71
	v_mul_f32_e32 v84, 0x3fb8aa3b, v84
	v_sub_f32_e32 v85, v85, v88
	v_add_f32_e32 v91, v91, v69
	;; [unrolled: 5-line block ×10, first 2 shown]
	v_cndmask_b32_e64 v78, 0, v78, s[10:11]
	v_exp_f32_e32 v66, v66
	v_mul_f32_e32 v67, 0x3fb8aa3b, v67
	v_add_f32_e32 v91, v91, v78
	v_cndmask_b32_e64 v79, 0, v79, s[12:13]
	v_exp_f32_e32 v67, v67
	v_add_f32_e32 v91, v91, v79
	v_cndmask_b32_e64 v72, 0, v72, s[6:7]
	v_add_f32_e32 v91, v91, v72
	v_cndmask_b32_e64 v73, 0, v73, s[8:9]
	v_add_f32_e32 v91, v91, v73
	v_cndmask_b32_e32 v66, 0, v66, vcc
	v_add_f32_e32 v91, v91, v66
	v_cndmask_b32_e64 v67, 0, v67, s[4:5]
	v_add_f32_e32 v91, v91, v67
	ds_bpermute_b32 v89, v89, v91
	v_cmp_gt_u32_e32 vcc, 16, v77
	s_waitcnt lgkmcnt(0)
	s_barrier
	v_add_f32_e32 v89, v91, v89
	ds_bpermute_b32 v90, v90, v89
	s_and_saveexec_b64 s[4:5], vcc
	s_cbranch_execz .LBB374_15
; %bb.14:
	s_waitcnt lgkmcnt(0)
	v_add_f32_e32 v77, v89, v90
	v_lshlrev_b32_e32 v87, 2, v87
	ds_write2st64_b32 v87, v88, v77 offset1:1
.LBB374_15:
	s_or_b64 exec, exec, s[4:5]
	v_lshlrev_b32_e32 v77, 2, v76
	s_load_dword s6, s[0:1], 0x94
	s_waitcnt lgkmcnt(0)
	s_barrier
	ds_read2_b32 v[88:89], v77 offset1:16
	ds_read2_b32 v[90:91], v77 offset0:32 offset1:48
	ds_read2_b32 v[92:93], v77 offset0:64 offset1:80
	;; [unrolled: 1-line block ×3, first 2 shown]
	s_waitcnt lgkmcnt(0)
	v_max3_f32 v87, v88, s41, v89
	v_max3_f32 v87, v87, v90, v91
	v_sub_f32_e32 v88, v88, v87
	v_mul_f32_e32 v88, 0x3fb8aa3b, v88
	v_exp_f32_e32 v86, v88
	v_sub_f32_e32 v88, v89, v87
	v_mul_f32_e32 v88, 0x3fb8aa3b, v88
	v_exp_f32_e32 v89, v88
	v_sub_f32_e32 v88, v90, v87
	v_mul_f32_e32 v88, 0x3fb8aa3b, v88
	v_sub_f32_e32 v77, v91, v87
	v_exp_f32_e32 v90, v88
	v_mul_f32_e32 v77, 0x3fb8aa3b, v77
	v_exp_f32_e32 v77, v77
	v_fma_f32 v88, v86, v92, 0
	v_fmac_f32_e32 v88, v89, v93
	v_fmac_f32_e32 v88, v90, v94
	;; [unrolled: 1-line block ×3, first 2 shown]
	v_add_f32_e32 v91, 0x358637bd, v88
	v_div_scale_f32 v92, s[4:5], v91, v91, 1.0
	v_rcp_f32_e32 v93, v92
	s_barrier
	s_mul_i32 s7, s27, 11
	v_fma_f32 v94, -v92, v93, 1.0
	v_fmac_f32_e32 v93, v94, v93
	v_div_scale_f32 v94, vcc, 1.0, v91, 1.0
	v_mul_f32_e32 v95, v94, v93
	v_fma_f32 v1, -v92, v95, v94
	v_fmac_f32_e32 v95, v1, v93
	v_fma_f32 v1, -v92, v95, v94
	v_div_fmas_f32 v1, v1, v93, v95
	v_div_fixup_f32 v1, v1, v91, 1.0
	v_lshrrev_b32_e32 v91, 6, v0
	v_cmp_eq_u32_e32 vcc, 1, v91
	s_nop 1
	v_cndmask_b32_e32 v86, v86, v89, vcc
	v_cmp_eq_u32_e32 vcc, 2, v91
	s_nop 1
	v_cndmask_b32_e32 v86, v86, v90, vcc
	;; [unrolled: 3-line block ×3, first 2 shown]
	v_mul_f32_e32 v90, v77, v1
	v_pk_mul_f32 v[82:83], v[90:91], v[82:83] op_sel_hi:[0,1]
	v_pk_mul_f32 v[68:69], v[90:91], v[68:69] op_sel_hi:[0,1]
	v_cvt_f16_f32_e32 v1, v68
	v_cvt_f16_f32_e32 v68, v69
	;; [unrolled: 1-line block ×4, first 2 shown]
	v_pk_mul_f32 v[84:85], v[90:91], v[84:85] op_sel_hi:[0,1]
	v_pk_mul_f32 v[70:71], v[90:91], v[70:71] op_sel_hi:[0,1]
	v_bfe_u32 v86, v0, 4, 2
	v_pack_b32_f16 v83, v69, v77
	v_cvt_f16_f32_e32 v69, v70
	v_cvt_f16_f32_e32 v70, v71
	;; [unrolled: 1-line block ×4, first 2 shown]
	v_pack_b32_f16 v82, v1, v68
	v_lshlrev_b32_e32 v1, 3, v86
	v_lshlrev_b32_e32 v68, 5, v76
	;; [unrolled: 1-line block ×3, first 2 shown]
	v_or3_b32 v1, v84, v68, v1
	v_pack_b32_f16 v70, v69, v70
	v_pack_b32_f16 v71, v71, v77
	ds_write2st64_b64 v1, v[82:83], v[70:71] offset1:1
	v_pk_mul_f32 v[70:71], v[90:91], v[78:79] op_sel_hi:[0,1]
	v_pk_mul_f32 v[78:79], v[90:91], v[80:81] op_sel_hi:[0,1]
	v_cvt_f16_f32_e32 v69, v78
	v_cvt_f16_f32_e32 v77, v79
	;; [unrolled: 1-line block ×4, first 2 shown]
	v_pk_mul_f32 v[66:67], v[90:91], v[66:67] op_sel_hi:[0,1]
	v_pk_mul_f32 v[70:71], v[90:91], v[72:73] op_sel_hi:[0,1]
	v_cvt_f16_f32_e32 v70, v70
	v_cvt_f16_f32_e32 v71, v71
	;; [unrolled: 1-line block ×4, first 2 shown]
	v_pack_b32_f16 v66, v69, v77
	v_pack_b32_f16 v67, v78, v79
	;; [unrolled: 1-line block ×4, first 2 shown]
	v_cmp_gt_u32_e32 vcc, 11, v0
	ds_write2st64_b64 v1, v[66:67], v[70:71] offset0:2 offset1:3
	s_and_saveexec_b64 s[4:5], vcc
	s_cbranch_execz .LBB374_17
; %bb.16:
	s_mov_b32 s41, 0
	v_mov_b32_e32 v77, 0
	v_lshl_add_u64 v[66:67], s[40:41], 0, v[76:77]
	v_mov_b32_e32 v69, s7
	v_mad_u64_u32 v[66:67], s[12:13], s2, v69, v[66:67]
	s_mul_i32 s3, s3, s7
	v_mov_b32_e32 v70, s26
	v_mov_b32_e32 v71, v77
	s_load_dwordx4 s[8:11], s[0:1], 0x58
	v_add_u32_e32 v69, s3, v67
	v_mad_u64_u32 v[66:67], s[12:13], v66, s6, v[70:71]
	v_mov_b32_e32 v70, v67
	v_mad_u64_u32 v[70:71], s[12:13], v69, s6, v[70:71]
	v_mov_b32_e32 v67, v70
	v_lshlrev_b64 v[66:67], 2, v[66:67]
	s_waitcnt lgkmcnt(0)
	v_lshl_add_u64 v[70:71], s[10:11], 0, v[66:67]
	v_lshl_add_u64 v[66:67], s[8:9], 0, v[66:67]
	global_store_dword v[70:71], v87, off
	global_store_dword v[66:67], v88, off
.LBB374_17:
	s_or_b64 exec, exec, s[4:5]
	v_lshl_or_b32 v77, v86, 9, v68
	s_waitcnt lgkmcnt(0)
	s_barrier
	ds_read_b128 v[70:73], v77
	ds_read_b128 v[66:69], v77 offset:16
	s_waitcnt vmcnt(15) lgkmcnt(1)
	v_mfma_f32_16x16x16_f16 v[78:81], v[30:31], v[70:71], 0
	s_mov_b32 s3, 0
	v_cmp_gt_u32_e32 vcc, 64, v0
	v_mfma_f32_16x16x16_f16 v[30:33], v[32:33], v[72:73], v[78:81]
	s_waitcnt vmcnt(14) lgkmcnt(0)
	v_mfma_f32_16x16x16_f16 v[30:33], v[26:27], v[66:67], v[30:33]
	v_mfma_f32_16x16x16_f16 v[26:29], v[28:29], v[68:69], v[30:33]
	s_nop 5
	ds_read_b128 v[30:33], v77 offset:2048
	ds_read_b128 v[78:81], v77 offset:2064
	s_waitcnt vmcnt(13) lgkmcnt(1)
	v_mfma_f32_16x16x16_f16 v[26:29], v[22:23], v[30:31], v[26:29]
	v_mfma_f32_16x16x16_f16 v[22:25], v[24:25], v[32:33], v[26:29]
	s_waitcnt vmcnt(12) lgkmcnt(0)
	v_mfma_f32_16x16x16_f16 v[22:25], v[18:19], v[78:79], v[22:25]
	v_mfma_f32_16x16x16_f16 v[18:21], v[20:21], v[80:81], v[22:25]
	s_nop 5
	ds_read_b128 v[22:25], v77 offset:4096
	ds_read_b128 v[26:29], v77 offset:4112
	s_waitcnt vmcnt(11) lgkmcnt(1)
	v_mfma_f32_16x16x16_f16 v[18:21], v[14:15], v[22:23], v[18:21]
	v_mfma_f32_16x16x16_f16 v[14:17], v[16:17], v[24:25], v[18:21]
	s_waitcnt vmcnt(10) lgkmcnt(0)
	v_mfma_f32_16x16x16_f16 v[14:17], v[10:11], v[26:27], v[14:17]
	v_mfma_f32_16x16x16_f16 v[10:13], v[12:13], v[28:29], v[14:17]
	s_nop 5
	ds_read_b128 v[14:17], v77 offset:6144
	ds_read_b128 v[18:21], v77 offset:6160
	s_waitcnt lgkmcnt(0)
	s_barrier
	s_waitcnt vmcnt(9)
	v_mfma_f32_16x16x16_f16 v[10:13], v[6:7], v[14:15], v[10:13]
	v_mfma_f32_16x16x16_f16 v[6:9], v[8:9], v[16:17], v[10:13]
	s_waitcnt vmcnt(8)
	v_mfma_f32_16x16x16_f16 v[6:9], v[2:3], v[18:19], v[6:9]
	v_mfma_f32_16x16x16_f16 v[2:5], v[4:5], v[20:21], v[6:9]
	;; [unrolled: 3-line block ×3, first 2 shown]
	s_nop 3
	v_cvt_f16_f32_e32 v10, v2
	v_cvt_f16_f32_e32 v11, v3
	;; [unrolled: 1-line block ×3, first 2 shown]
	s_waitcnt vmcnt(6)
	v_mfma_f32_16x16x16_f16 v[6:9], v[38:39], v[66:67], v[6:9]
	v_cvt_f16_f32_e32 v13, v5
	v_mfma_f32_16x16x16_f16 v[6:9], v[40:41], v[68:69], v[6:9]
	s_waitcnt vmcnt(5)
	v_mfma_f32_16x16x16_f16 v[6:9], v[42:43], v[30:31], v[6:9]
	v_mfma_f32_16x16x16_f16 v[6:9], v[44:45], v[32:33], v[6:9]
	s_waitcnt vmcnt(4)
	v_mfma_f32_16x16x16_f16 v[6:9], v[34:35], v[78:79], v[6:9]
	;; [unrolled: 3-line block ×6, first 2 shown]
	v_mfma_f32_16x16x16_f16 v[2:5], v[60:61], v[20:21], v[6:9]
	s_nop 6
	v_cvt_f16_f32_e32 v6, v2
	v_cvt_f16_f32_e32 v7, v3
	;; [unrolled: 1-line block ×4, first 2 shown]
	v_pack_b32_f16 v2, v10, v11
	v_pack_b32_f16 v3, v12, v13
	;; [unrolled: 1-line block ×4, first 2 shown]
	ds_write2st64_b64 v1, v[2:3], v[4:5] offset1:1
	s_waitcnt lgkmcnt(0)
	s_barrier
	s_and_saveexec_b64 s[4:5], vcc
	s_cbranch_execz .LBB374_20
; %bb.18:
	s_load_dwordx2 s[4:5], s[0:1], 0x68
	s_lshl_b32 s0, s6, 7
	s_mul_i32 s1, s7, s2
	v_lshlrev_b32_e32 v3, 6, v76
	s_mul_hi_u32 s7, s1, s0
	s_mul_i32 s6, s1, s0
	v_lshlrev_b32_e32 v2, 4, v0
	v_lshl_or_b32 v0, v0, 10, v3
	s_lshl_b64 s[6:7], s[6:7], 1
	v_lshlrev_b32_e32 v1, 5, v86
	v_and_b32_e32 v2, 16, v2
	v_and_b32_e32 v0, 0x1a00, v0
	s_waitcnt lgkmcnt(0)
	s_add_u32 s1, s4, s6
	v_or3_b32 v2, v0, v1, v2
	s_addc_u32 s4, s5, s7
	s_lshl_b32 s2, s26, 7
	s_lshl_b64 s[2:3], s[2:3], 1
	ds_read_b128 v[4:7], v2 offset:128
	ds_read_b128 v[8:11], v2
	s_add_u32 s2, s1, s2
	s_addc_u32 s3, s4, s3
	v_add_u32_e32 v3, s40, v86
	v_lshl_add_u64 v[0:1], v[74:75], 1, s[2:3]
	v_mad_u64_u32 v[12:13], s[2:3], v3, s0, 0
	v_lshl_add_u64 v[12:13], v[12:13], 1, v[0:1]
	v_add_u32_e32 v3, 4, v3
	s_waitcnt lgkmcnt(0)
	global_store_dwordx4 v[12:13], v[8:11], off
	v_cmp_ne_u32_e32 vcc, 3, v86
	s_nop 0
	v_mad_u64_u32 v[8:9], s[2:3], v3, s0, 0
	v_lshl_add_u64 v[8:9], v[8:9], 1, v[0:1]
	global_store_dwordx4 v[8:9], v[4:7], off
	s_and_b64 exec, exec, vcc
	s_cbranch_execz .LBB374_20
; %bb.19:
	ds_read_b128 v[2:5], v2 offset:256
	v_add3_u32 v6, s40, v86, 8
	v_mad_u64_u32 v[6:7], s[0:1], v6, s0, 0
	v_lshl_add_u64 v[0:1], v[6:7], 1, v[0:1]
	s_waitcnt lgkmcnt(0)
	global_store_dwordx4 v[0:1], v[2:5], off
.LBB374_20:
	s_endpgm
	.section	.rodata,"a",@progbits
	.p2align	6, 0x0
	.amdhsa_kernel _Z39paged_attention_ll4mi_QKV_mfma16_kernelIDF16_DF16_LN4vllm18Fp8KVCacheDataTypeE0EDF16_Li32ELi128ELi256ELb0ELi11EEvPKT_PKT0_S7_ifPKiS9_S9_iPKfiiiPfSC_PS2_PT2_iSB_SB_
		.amdhsa_group_segment_fixed_size 8192
		.amdhsa_private_segment_fixed_size 0
		.amdhsa_kernarg_size 400
		.amdhsa_user_sgpr_count 2
		.amdhsa_user_sgpr_dispatch_ptr 0
		.amdhsa_user_sgpr_queue_ptr 0
		.amdhsa_user_sgpr_kernarg_segment_ptr 1
		.amdhsa_user_sgpr_dispatch_id 0
		.amdhsa_user_sgpr_kernarg_preload_length 0
		.amdhsa_user_sgpr_kernarg_preload_offset 0
		.amdhsa_user_sgpr_private_segment_size 0
		.amdhsa_uses_dynamic_stack 0
		.amdhsa_enable_private_segment 0
		.amdhsa_system_sgpr_workgroup_id_x 1
		.amdhsa_system_sgpr_workgroup_id_y 1
		.amdhsa_system_sgpr_workgroup_id_z 1
		.amdhsa_system_sgpr_workgroup_info 0
		.amdhsa_system_vgpr_workitem_id 0
		.amdhsa_next_free_vgpr 96
		.amdhsa_next_free_sgpr 42
		.amdhsa_accum_offset 96
		.amdhsa_reserve_vcc 1
		.amdhsa_float_round_mode_32 0
		.amdhsa_float_round_mode_16_64 0
		.amdhsa_float_denorm_mode_32 3
		.amdhsa_float_denorm_mode_16_64 3
		.amdhsa_dx10_clamp 1
		.amdhsa_ieee_mode 1
		.amdhsa_fp16_overflow 0
		.amdhsa_tg_split 0
		.amdhsa_exception_fp_ieee_invalid_op 0
		.amdhsa_exception_fp_denorm_src 0
		.amdhsa_exception_fp_ieee_div_zero 0
		.amdhsa_exception_fp_ieee_overflow 0
		.amdhsa_exception_fp_ieee_underflow 0
		.amdhsa_exception_fp_ieee_inexact 0
		.amdhsa_exception_int_div_zero 0
	.end_amdhsa_kernel
	.section	.text._Z39paged_attention_ll4mi_QKV_mfma16_kernelIDF16_DF16_LN4vllm18Fp8KVCacheDataTypeE0EDF16_Li32ELi128ELi256ELb0ELi11EEvPKT_PKT0_S7_ifPKiS9_S9_iPKfiiiPfSC_PS2_PT2_iSB_SB_,"axG",@progbits,_Z39paged_attention_ll4mi_QKV_mfma16_kernelIDF16_DF16_LN4vllm18Fp8KVCacheDataTypeE0EDF16_Li32ELi128ELi256ELb0ELi11EEvPKT_PKT0_S7_ifPKiS9_S9_iPKfiiiPfSC_PS2_PT2_iSB_SB_,comdat
.Lfunc_end374:
	.size	_Z39paged_attention_ll4mi_QKV_mfma16_kernelIDF16_DF16_LN4vllm18Fp8KVCacheDataTypeE0EDF16_Li32ELi128ELi256ELb0ELi11EEvPKT_PKT0_S7_ifPKiS9_S9_iPKfiiiPfSC_PS2_PT2_iSB_SB_, .Lfunc_end374-_Z39paged_attention_ll4mi_QKV_mfma16_kernelIDF16_DF16_LN4vllm18Fp8KVCacheDataTypeE0EDF16_Li32ELi128ELi256ELb0ELi11EEvPKT_PKT0_S7_ifPKiS9_S9_iPKfiiiPfSC_PS2_PT2_iSB_SB_
                                        ; -- End function
	.section	.AMDGPU.csdata,"",@progbits
; Kernel info:
; codeLenInByte = 4588
; NumSgprs: 48
; NumVgprs: 96
; NumAgprs: 0
; TotalNumVgprs: 96
; ScratchSize: 0
; MemoryBound: 0
; FloatMode: 240
; IeeeMode: 1
; LDSByteSize: 8192 bytes/workgroup (compile time only)
; SGPRBlocks: 5
; VGPRBlocks: 11
; NumSGPRsForWavesPerEU: 48
; NumVGPRsForWavesPerEU: 96
; AccumOffset: 96
; Occupancy: 5
; WaveLimiterHint : 1
; COMPUTE_PGM_RSRC2:SCRATCH_EN: 0
; COMPUTE_PGM_RSRC2:USER_SGPR: 2
; COMPUTE_PGM_RSRC2:TRAP_HANDLER: 0
; COMPUTE_PGM_RSRC2:TGID_X_EN: 1
; COMPUTE_PGM_RSRC2:TGID_Y_EN: 1
; COMPUTE_PGM_RSRC2:TGID_Z_EN: 1
; COMPUTE_PGM_RSRC2:TIDIG_COMP_CNT: 0
; COMPUTE_PGM_RSRC3_GFX90A:ACCUM_OFFSET: 23
; COMPUTE_PGM_RSRC3_GFX90A:TG_SPLIT: 0
	.section	.text._Z39paged_attention_ll4mi_QKV_mfma16_kernelIDF16_DF16_LN4vllm18Fp8KVCacheDataTypeE0EDF16_Li32ELi128ELi256ELb0ELi12EEvPKT_PKT0_S7_ifPKiS9_S9_iPKfiiiPfSC_PS2_PT2_iSB_SB_,"axG",@progbits,_Z39paged_attention_ll4mi_QKV_mfma16_kernelIDF16_DF16_LN4vllm18Fp8KVCacheDataTypeE0EDF16_Li32ELi128ELi256ELb0ELi12EEvPKT_PKT0_S7_ifPKiS9_S9_iPKfiiiPfSC_PS2_PT2_iSB_SB_,comdat
	.protected	_Z39paged_attention_ll4mi_QKV_mfma16_kernelIDF16_DF16_LN4vllm18Fp8KVCacheDataTypeE0EDF16_Li32ELi128ELi256ELb0ELi12EEvPKT_PKT0_S7_ifPKiS9_S9_iPKfiiiPfSC_PS2_PT2_iSB_SB_ ; -- Begin function _Z39paged_attention_ll4mi_QKV_mfma16_kernelIDF16_DF16_LN4vllm18Fp8KVCacheDataTypeE0EDF16_Li32ELi128ELi256ELb0ELi12EEvPKT_PKT0_S7_ifPKiS9_S9_iPKfiiiPfSC_PS2_PT2_iSB_SB_
	.globl	_Z39paged_attention_ll4mi_QKV_mfma16_kernelIDF16_DF16_LN4vllm18Fp8KVCacheDataTypeE0EDF16_Li32ELi128ELi256ELb0ELi12EEvPKT_PKT0_S7_ifPKiS9_S9_iPKfiiiPfSC_PS2_PT2_iSB_SB_
	.p2align	8
	.type	_Z39paged_attention_ll4mi_QKV_mfma16_kernelIDF16_DF16_LN4vllm18Fp8KVCacheDataTypeE0EDF16_Li32ELi128ELi256ELb0ELi12EEvPKT_PKT0_S7_ifPKiS9_S9_iPKfiiiPfSC_PS2_PT2_iSB_SB_,@function
_Z39paged_attention_ll4mi_QKV_mfma16_kernelIDF16_DF16_LN4vllm18Fp8KVCacheDataTypeE0EDF16_Li32ELi128ELi256ELb0ELi12EEvPKT_PKT0_S7_ifPKiS9_S9_iPKfiiiPfSC_PS2_PT2_iSB_SB_: ; @_Z39paged_attention_ll4mi_QKV_mfma16_kernelIDF16_DF16_LN4vllm18Fp8KVCacheDataTypeE0EDF16_Li32ELi128ELi256ELb0ELi12EEvPKT_PKT0_S7_ifPKiS9_S9_iPKfiiiPfSC_PS2_PT2_iSB_SB_
; %bb.0:
	s_load_dwordx2 s[8:9], s[0:1], 0x30
	s_mov_b32 s26, s3
	s_mov_b64 s[6:7], 0
	s_waitcnt lgkmcnt(0)
	s_cmp_lg_u64 s[8:9], 0
	s_cselect_b64 s[10:11], -1, 0
	s_and_b64 vcc, exec, s[10:11]
	s_cbranch_vccz .LBB375_7
; %bb.1:
	s_add_i32 s12, s2, 1
	s_mov_b32 s13, 0
	s_lshl_b64 s[14:15], s[12:13], 2
	s_add_u32 s14, s8, s14
	s_mov_b32 s3, s13
	s_addc_u32 s15, s9, s15
	s_lshl_b64 s[12:13], s[2:3], 2
	s_add_u32 s12, s8, s12
	s_addc_u32 s13, s9, s13
	s_load_dword s5, s[14:15], 0x0
	s_load_dword s16, s[12:13], 0x0
	s_waitcnt lgkmcnt(0)
	s_sub_i32 s5, s5, s16
	s_cmp_eq_u32 s5, 1
	s_cselect_b64 s[12:13], -1, 0
	s_andn2_b64 vcc, exec, s[6:7]
	s_cbranch_vccnz .LBB375_3
.LBB375_2:
	s_mov_b32 s3, 0
	s_mov_b64 s[12:13], -1
.LBB375_3:
	s_andn2_b64 vcc, exec, s[12:13]
	s_cbranch_vccnz .LBB375_19
; %bb.4:
	s_load_dwordx2 s[6:7], s[0:1], 0x28
	s_lshl_b64 s[12:13], s[2:3], 2
	s_waitcnt lgkmcnt(0)
	s_add_u32 s6, s6, s12
	s_addc_u32 s7, s7, s13
	s_load_dword s33, s[6:7], 0x0
	s_lshl_b32 s18, s26, 8
	s_waitcnt lgkmcnt(0)
	s_cmp_ge_i32 s18, s33
	s_cbranch_scc1 .LBB375_19
; %bb.5:
	s_load_dwordx2 s[6:7], s[0:1], 0x20
	s_load_dword s5, s[0:1], 0x38
	s_add_i32 s14, s33, 31
	s_ashr_i32 s15, s14, 31
	v_and_b32_e32 v1, 0xcf, v0
	s_lshr_b32 s15, s15, 27
	v_add_u32_e32 v1, s18, v1
	s_add_i32 s14, s14, s15
	v_ashrrev_i32_e32 v2, 31, v1
	s_ashr_i32 s19, s14, 5
	v_lshrrev_b32_e32 v4, 27, v2
	s_add_i32 s19, s19, -1
	s_waitcnt lgkmcnt(0)
	s_mul_i32 s14, s2, s5
	s_mov_b32 s15, 0
	v_add_u32_e32 v2, v1, v4
	s_lshl_b64 s[14:15], s[14:15], 2
	v_ashrrev_i32_e32 v2, 5, v2
	v_mov_b32_e32 v5, s19
	v_cmp_gt_i32_e32 vcc, s33, v1
	s_add_u32 s6, s6, s14
	s_addc_u32 s7, s7, s15
	v_cndmask_b32_e32 v2, v5, v2, vcc
	v_ashrrev_i32_e32 v3, 31, v2
	v_lshl_add_u64 v[6:7], v[2:3], 2, s[6:7]
	v_or_b32_e32 v2, 16, v1
	v_add_u32_e32 v3, v2, v4
	v_ashrrev_i32_e32 v3, 5, v3
	v_cmp_gt_i32_e32 vcc, s33, v2
	s_nop 1
	v_cndmask_b32_e32 v2, v5, v3, vcc
	v_ashrrev_i32_e32 v3, 31, v2
	v_lshl_add_u64 v[8:9], v[2:3], 2, s[6:7]
	v_or_b32_e32 v2, 32, v1
	v_add_u32_e32 v3, v2, v4
	v_ashrrev_i32_e32 v3, 5, v3
	v_cmp_gt_i32_e32 vcc, s33, v2
	v_or_b32_e32 v1, 48, v1
	s_nop 0
	v_cndmask_b32_e32 v2, v5, v3, vcc
	v_ashrrev_i32_e32 v3, 31, v2
	v_lshl_add_u64 v[10:11], v[2:3], 2, s[6:7]
	v_add_u32_e32 v2, v1, v4
	v_ashrrev_i32_e32 v2, 5, v2
	v_cmp_gt_i32_e32 vcc, s33, v1
	s_nop 1
	v_cndmask_b32_e32 v2, v5, v2, vcc
	v_ashrrev_i32_e32 v3, 31, v2
	v_lshl_add_u64 v[12:13], v[2:3], 2, s[6:7]
	global_load_dword v2, v[6:7], off
	global_load_dword v5, v[8:9], off
	;; [unrolled: 1-line block ×4, first 2 shown]
	s_andn2_b64 vcc, exec, s[10:11]
	s_cbranch_vccnz .LBB375_8
; %bb.6:
	s_add_u32 s8, s8, s12
	s_addc_u32 s9, s9, s13
	s_load_dword s5, s[8:9], 0x0
	s_branch .LBB375_9
.LBB375_7:
	s_mov_b64 s[12:13], 0
	s_branch .LBB375_2
.LBB375_8:
	s_mov_b32 s5, s2
.LBB375_9:
	s_load_dwordx4 s[12:15], s[0:1], 0x8
	s_load_dwordx4 s[8:11], s[0:1], 0x48
	v_and_b32_e32 v76, 15, v0
	s_waitcnt lgkmcnt(0)
	s_movk_i32 s11, 0xbf
	v_lshlrev_b32_e32 v74, 3, v76
	v_cmp_lt_u32_e32 vcc, s11, v0
	s_and_saveexec_b64 s[16:17], vcc
	s_xor_b64 s[16:17], exec, s[16:17]
; %bb.10:
	v_mov_b32_e32 v75, 0
; %bb.11:
	s_or_saveexec_b64 s[16:17], s[16:17]
	v_lshrrev_b32_e32 v77, 6, v0
	v_and_b32_e32 v86, 63, v0
	v_bfe_u32 v1, v0, 4, 2
	s_mul_i32 s40, s4, 12
	s_xor_b64 exec, exec, s[16:17]
	s_cbranch_execz .LBB375_13
; %bb.12:
	s_load_dwordx2 s[20:21], s[0:1], 0x0
	s_ashr_i32 s11, s8, 31
	s_mul_hi_u32 s22, s5, s8
	s_mul_i32 s11, s5, s11
	s_add_i32 s23, s22, s11
	s_mul_i32 s22, s5, s8
	v_lshl_or_b32 v3, v77, 2, v1
	s_lshl_b64 s[22:23], s[22:23], 1
	s_waitcnt lgkmcnt(0)
	s_add_u32 s20, s20, s22
	v_add_lshl_u32 v6, v3, s40, 7
	s_addc_u32 s21, s21, s23
	v_ashrrev_i32_e32 v7, 31, v6
	v_mov_b32_e32 v75, 0
	v_lshl_add_u64 v[6:7], v[6:7], 1, s[20:21]
	v_lshlrev_b32_e32 v8, 1, v74
	v_mov_b32_e32 v9, v75
	v_lshl_add_u64 v[6:7], v[6:7], 0, v[8:9]
	global_load_dwordx4 v[6:9], v[6:7], off
	v_and_b32_e32 v10, 3, v0
	v_lshlrev_b32_e32 v11, 9, v76
	v_lshlrev_b32_e32 v3, 5, v3
	;; [unrolled: 1-line block ×3, first 2 shown]
	v_and_b32_e32 v11, 0x1800, v11
	v_or3_b32 v3, v11, v10, v3
	s_waitcnt vmcnt(0)
	ds_write_b128 v3, v[6:9]
.LBB375_13:
	s_or_b64 exec, exec, s[16:17]
	s_mul_i32 s4, s4, s10
	s_mov_b32 s5, 0
	s_lshl_b64 s[4:5], s[4:5], 1
	s_add_u32 s10, s12, s4
	s_addc_u32 s11, s13, s5
	s_waitcnt vmcnt(3)
	v_mad_i64_i32 v[2:3], s[12:13], v2, s9, 0
	v_lshl_add_u64 v[6:7], v[2:3], 1, s[10:11]
	v_lshlrev_b64 v[2:3], 1, v[74:75]
	v_lshlrev_b32_e32 v50, 9, v1
	v_lshl_add_u64 v[6:7], v[6:7], 0, v[2:3]
	v_mov_b32_e32 v51, 0
	v_lshl_add_u64 v[8:9], v[6:7], 0, v[50:51]
	s_load_dword s27, s[0:1], 0x98
	s_load_dword s8, s[0:1], 0x1c
	s_waitcnt lgkmcnt(0)
	s_barrier
	global_load_dwordx4 v[38:41], v[8:9], off
	s_waitcnt vmcnt(3)
	v_mad_i64_i32 v[10:11], s[12:13], v5, s9, 0
	v_mov_b32_e32 v5, 0x100
	v_lshl_add_u64 v[10:11], v[10:11], 1, s[10:11]
	v_lshl_or_b32 v54, v76, 4, v5
	v_mov_b32_e32 v55, v51
	v_lshl_add_u64 v[22:23], v[10:11], 0, v[54:55]
	v_lshl_add_u64 v[10:11], v[22:23], 0, v[50:51]
	global_load_dwordx4 v[42:45], v[10:11], off
	global_load_dwordx4 v[18:21], v[8:9], off offset:2048
	global_load_dwordx4 v[26:29], v[10:11], off offset:2048
	v_or_b32_e32 v56, 0x1000, v50
	v_mov_b32_e32 v57, v51
	v_or_b32_e32 v52, 0x1800, v50
	v_mov_b32_e32 v53, v51
	v_lshl_add_u64 v[8:9], v[6:7], 0, v[56:57]
	v_lshl_add_u64 v[6:7], v[6:7], 0, v[52:53]
	global_load_dwordx4 v[14:17], v[8:9], off
	global_load_dwordx4 v[10:13], v[6:7], off
	v_lshl_add_u64 v[8:9], v[22:23], 0, v[56:57]
	global_load_dwordx4 v[30:33], v[8:9], off
	s_waitcnt vmcnt(8)
	v_mad_i64_i32 v[4:5], s[12:13], v4, s9, 0
	v_lshl_add_u64 v[4:5], v[4:5], 1, s[10:11]
	v_lshl_add_u64 v[60:61], v[4:5], 0, v[2:3]
	v_add_u32_e32 v2, -12, v76
	v_cmp_gt_u32_e32 vcc, 12, v76
	v_lshl_add_u64 v[6:7], v[22:23], 0, v[52:53]
	global_load_dwordx4 v[22:25], v[6:7], off
	v_cndmask_b32_e32 v2, v2, v76, vcc
	v_lshl_add_u64 v[58:59], v[60:61], 0, v[50:51]
	v_lshl_add_u32 v62, v2, 5, v50
	global_load_dwordx4 v[34:37], v[58:59], off
	ds_read_b128 v[6:9], v62
	ds_read_b128 v[2:5], v62 offset:2048
	s_waitcnt vmcnt(9)
	v_mad_i64_i32 v[72:73], s[12:13], v46, s9, 0
	s_ashr_i32 s12, s18, 31
	v_and_or_b32 v78, v0, 48, s18
	v_or_b32_e32 v80, 64, v78
	v_mov_b32_e32 v79, s19
	v_cmp_gt_i32_e32 vcc, s33, v78
	v_or_b32_e32 v81, 0x80, v78
	v_or_b32_e32 v82, 0xc0, v78
	v_lshl_or_b32 v87, v77, 4, v76
	s_mov_b32 s41, 0xff7fffff
	s_waitcnt vmcnt(7) lgkmcnt(1)
	v_mfma_f32_16x16x16_f16 v[68:71], v[42:43], v[6:7], 0
	v_mfma_f32_16x16x16_f16 v[64:67], v[38:39], v[6:7], 0
	;; [unrolled: 1-line block ×3, first 2 shown]
	ds_read_b128 v[46:49], v62 offset:4096
	ds_read_b128 v[38:41], v62 offset:6144
	v_lshl_add_u64 v[62:63], v[72:73], 1, s[10:11]
	v_lshl_add_u64 v[72:73], v[62:63], 0, v[54:55]
	v_mfma_f32_16x16x16_f16 v[42:45], v[44:45], v[8:9], v[68:71]
	v_lshl_add_u64 v[54:55], v[60:61], 0, v[56:57]
	s_lshr_b32 s10, s12, 27
	v_add_u32_e32 v83, s10, v81
	s_waitcnt vmcnt(6) lgkmcnt(2)
	v_mfma_f32_16x16x16_f16 v[62:65], v[18:19], v[2:3], v[64:67]
	v_add_u32_e32 v70, s10, v78
	v_add_u32_e32 v71, s10, v80
	v_lshl_add_u64 v[68:69], v[72:73], 0, v[50:51]
	v_lshl_add_u64 v[66:67], v[60:61], 0, v[52:53]
	global_load_dwordx4 v[58:61], v[58:59], off offset:2048
	s_waitcnt vmcnt(6)
	v_mfma_f32_16x16x16_f16 v[42:45], v[26:27], v[2:3], v[42:45]
	v_ashrrev_i32_e32 v50, 5, v70
	v_add_u32_e32 v84, s10, v82
	s_add_u32 s4, s14, s4
	v_mfma_f32_16x16x16_f16 v[18:21], v[20:21], v[4:5], v[62:65]
	s_addc_u32 s5, s15, s5
	v_mfma_f32_16x16x16_f16 v[26:29], v[28:29], v[4:5], v[42:45]
	s_nop 0
	v_lshl_add_u64 v[62:63], v[72:73], 0, v[56:57]
	v_ashrrev_i32_e32 v56, 5, v71
	v_ashrrev_i32_e32 v64, 5, v83
	s_waitcnt vmcnt(5) lgkmcnt(1)
	v_mfma_f32_16x16x16_f16 v[18:21], v[14:15], v[46:47], v[18:21]
	global_load_dwordx4 v[42:45], v[54:55], off
	v_cndmask_b32_e32 v14, v79, v50, vcc
	v_cmp_gt_i32_e32 vcc, s33, v80
	s_waitcnt vmcnt(4)
	v_mfma_f32_16x16x16_f16 v[26:29], v[30:31], v[46:47], v[26:29]
	v_ashrrev_i32_e32 v15, 31, v14
	v_cndmask_b32_e32 v30, v79, v56, vcc
	v_ashrrev_i32_e32 v31, 31, v30
	v_lshl_add_u64 v[14:15], v[14:15], 2, s[6:7]
	v_lshl_add_u64 v[30:31], v[30:31], 2, s[6:7]
	global_load_dword v92, v[14:15], off
	global_load_dword v93, v[30:31], off
	v_mfma_f32_16x16x16_f16 v[14:17], v[16:17], v[48:49], v[18:21]
	v_cmp_gt_i32_e32 vcc, s33, v81
	v_ashrrev_i32_e32 v83, 5, v84
	s_nop 0
	global_load_dwordx4 v[18:21], v[66:67], off
	s_waitcnt lgkmcnt(0)
	v_mfma_f32_16x16x16_f16 v[14:17], v[10:11], v[38:39], v[14:17]
	v_cndmask_b32_e32 v10, v79, v64, vcc
	v_ashrrev_i32_e32 v11, 31, v10
	v_lshl_add_u64 v[10:11], v[10:11], 2, s[6:7]
	v_mfma_f32_16x16x16_f16 v[64:67], v[12:13], v[40:41], v[14:17]
	global_load_dword v94, v[10:11], off
	v_cmp_gt_i32_e32 vcc, s33, v82
	s_nop 0
	v_lshl_add_u64 v[14:15], v[72:73], 0, v[52:53]
	global_load_dwordx4 v[88:91], v[14:15], off
	global_load_dwordx4 v[54:57], v[68:69], off
	v_cndmask_b32_e32 v10, v79, v83, vcc
	global_load_dwordx4 v[68:71], v[68:69], off offset:2048
	v_ashrrev_i32_e32 v11, 31, v10
	global_load_dwordx4 v[82:85], v[62:63], off
	v_lshl_add_u64 v[10:11], v[10:11], 2, s[6:7]
	global_load_dword v95, v[10:11], off
	s_waitcnt vmcnt(11)
	v_mfma_f32_16x16x16_f16 v[10:13], v[34:35], v[6:7], 0
	v_and_b32_e32 v14, 16, v0
	v_lshlrev_b32_e32 v50, 1, v14
	v_mfma_f32_16x16x16_f16 v[10:13], v[36:37], v[8:9], v[10:13]
	v_lshl_add_u64 v[36:37], s[4:5], 0, v[50:51]
	v_lshlrev_b32_e32 v50, 6, v87
	s_waitcnt vmcnt(8)
	v_mad_i64_i32 v[14:15], s[4:5], v92, s9, 0
	v_mfma_f32_16x16x16_f16 v[10:13], v[58:59], v[2:3], v[10:13]
	v_lshlrev_b64 v[72:73], 1, v[14:15]
	v_mfma_f32_16x16x16_f16 v[10:13], v[60:61], v[4:5], v[10:13]
	v_lshl_add_u64 v[60:61], v[36:37], 0, v[50:51]
	v_lshl_add_u64 v[14:15], v[60:61], 0, v[72:73]
	v_or_b32_e32 v50, 0x1000, v50
	v_mfma_f32_16x16x16_f16 v[10:13], v[42:43], v[46:47], v[10:13]
	v_lshl_add_u64 v[62:63], v[36:37], 0, v[50:51]
	v_lshl_add_u64 v[50:51], v[62:63], 0, v[72:73]
	v_mfma_f32_16x16x16_f16 v[26:29], v[32:33], v[48:49], v[26:29]
	v_mfma_f32_16x16x16_f16 v[10:13], v[44:45], v[48:49], v[10:13]
	;; [unrolled: 1-line block ×3, first 2 shown]
	s_waitcnt vmcnt(6)
	v_mfma_f32_16x16x16_f16 v[10:13], v[18:19], v[38:39], v[10:13]
	v_mfma_f32_16x16x16_f16 v[78:81], v[24:25], v[40:41], v[26:29]
	global_load_dwordx4 v[30:33], v[14:15], off
	s_nop 2
	global_load_dwordx4 v[26:29], v[14:15], off offset:16
	v_mad_i64_i32 v[14:15], s[4:5], v93, s9, 0
	v_lshlrev_b64 v[34:35], 1, v[14:15]
	v_mfma_f32_16x16x16_f16 v[42:45], v[20:21], v[40:41], v[10:13]
	s_nop 2
	v_lshl_add_u64 v[10:11], v[60:61], 0, v[34:35]
	global_load_dwordx4 v[22:25], v[10:11], off
	global_load_dwordx4 v[18:21], v[10:11], off offset:16
	s_waitcnt vmcnt(7)
	v_mfma_f32_16x16x16_f16 v[10:13], v[54:55], v[6:7], 0
	v_mad_i64_i32 v[6:7], s[4:5], v94, s9, 0
	v_lshlrev_b64 v[52:53], 1, v[6:7]
	v_mfma_f32_16x16x16_f16 v[6:9], v[56:57], v[8:9], v[10:13]
	v_lshl_add_u64 v[34:35], v[62:63], 0, v[34:35]
	s_waitcnt vmcnt(6)
	v_mfma_f32_16x16x16_f16 v[6:9], v[68:69], v[2:3], v[6:9]
	s_waitcnt vmcnt(4)
	v_mad_i64_i32 v[2:3], s[4:5], v95, s9, 0
	v_lshlrev_b64 v[58:59], 1, v[2:3]
	v_mfma_f32_16x16x16_f16 v[54:57], v[70:71], v[4:5], v[6:9]
	v_lshl_add_u64 v[10:11], v[60:61], 0, v[52:53]
	v_lshl_add_u64 v[2:3], v[60:61], 0, v[58:59]
	v_pk_mul_f32 v[60:61], s[8:9], v[64:65] op_sel_hi:[0,1]
	v_mfma_f32_16x16x16_f16 v[54:57], v[82:83], v[46:47], v[54:57]
	v_pk_mul_f32 v[82:83], s[8:9], v[66:67] op_sel_hi:[0,1]
	v_pk_mul_f32 v[70:71], s[8:9], v[78:79] op_sel_hi:[0,1]
	;; [unrolled: 1-line block ×3, first 2 shown]
	v_mfma_f32_16x16x16_f16 v[46:49], v[84:85], v[48:49], v[54:57]
	v_pk_mul_f32 v[84:85], s[8:9], v[80:81] op_sel_hi:[0,1]
	v_pk_mul_f32 v[80:81], s[8:9], v[42:43] op_sel_hi:[0,1]
	global_load_dwordx4 v[14:17], v[10:11], off
	s_nop 0
	global_load_dwordx4 v[10:13], v[10:11], off offset:16
	v_mfma_f32_16x16x16_f16 v[36:39], v[88:89], v[38:39], v[46:49]
	global_load_dwordx4 v[6:9], v[2:3], off
	s_nop 0
	global_load_dwordx4 v[2:5], v[2:3], off offset:16
	v_lshl_add_u64 v[58:59], v[62:63], 0, v[58:59]
	v_mfma_f32_16x16x16_f16 v[36:39], v[90:91], v[40:41], v[36:39]
	s_nop 6
	v_pk_mul_f32 v[72:73], s[8:9], v[36:37] op_sel_hi:[0,1]
	v_and_b32_e32 v36, 0xc0, v0
	v_add_u32_e32 v36, s18, v36
	v_lshl_or_b32 v36, v1, 2, v36
	v_pk_mul_f32 v[66:67], s[8:9], v[38:39] op_sel_hi:[0,1]
	v_or_b32_e32 v39, 1, v36
	v_mov_b32_e32 v37, 0xff7fffff
	v_cmp_gt_i32_e64 s[28:29], s33, v36
	v_cmp_gt_i32_e64 s[30:31], s33, v39
	v_or_b32_e32 v40, 3, v36
	v_cndmask_b32_e64 v38, v37, v60, s[28:29]
	v_cndmask_b32_e64 v39, v37, v61, s[30:31]
	v_max3_f32 v38, v38, s41, v39
	v_or_b32_e32 v39, 2, v36
	v_cmp_gt_i32_e64 s[34:35], s33, v39
	v_cmp_gt_i32_e64 s[36:37], s33, v40
	s_nop 0
	v_cndmask_b32_e64 v39, v37, v82, s[34:35]
	v_cndmask_b32_e64 v40, v37, v83, s[36:37]
	v_max3_f32 v38, v38, v39, v40
	v_or_b32_e32 v39, 16, v36
	v_or_b32_e32 v40, 17, v36
	v_cmp_gt_i32_e64 s[22:23], s33, v39
	v_cmp_gt_i32_e64 s[24:25], s33, v40
	s_nop 0
	v_cndmask_b32_e64 v39, v37, v70, s[22:23]
	v_cndmask_b32_e64 v40, v37, v71, s[24:25]
	v_max3_f32 v38, v38, v39, v40
	v_or_b32_e32 v39, 18, v36
	;; [unrolled: 8-line block ×6, first 2 shown]
	v_or_b32_e32 v36, 51, v36
	v_cmp_gt_i32_e32 vcc, s33, v39
	v_cmp_gt_i32_e64 s[4:5], s33, v36
	s_nop 0
	v_cndmask_b32_e32 v39, v37, v66, vcc
	v_cndmask_b32_e64 v36, v37, v67, s[4:5]
	v_max3_f32 v54, v38, v39, v36
	v_mbcnt_lo_u32_b32 v36, -1, 0
	v_mbcnt_hi_u32_b32 v55, -1, v36
	v_and_b32_e32 v36, 64, v55
	v_add_u32_e32 v56, 64, v36
	v_xor_b32_e32 v36, 32, v55
	v_cmp_lt_i32_e64 s[38:39], v36, v56
	global_load_dwordx4 v[46:49], v[50:51], off
	global_load_dwordx4 v[38:41], v[50:51], off offset:16
	v_cndmask_b32_e64 v36, v55, v36, s[38:39]
	v_lshlrev_b32_e32 v89, 2, v36
	ds_bpermute_b32 v57, v89, v54
	global_load_dwordx4 v[42:45], v[34:35], off
	s_nop 0
	global_load_dwordx4 v[34:37], v[34:35], off offset:16
	s_waitcnt lgkmcnt(0)
	v_max_f32_e32 v50, v57, v57
	v_max_f32_e32 v64, v54, v50
	v_xor_b32_e32 v50, 16, v55
	v_cmp_lt_i32_e64 s[38:39], v50, v56
	s_nop 1
	v_cndmask_b32_e64 v50, v55, v50, s[38:39]
	v_lshlrev_b32_e32 v90, 2, v50
	ds_bpermute_b32 v65, v90, v64
	v_lshl_add_u64 v[50:51], v[62:63], 0, v[52:53]
	global_load_dwordx4 v[54:57], v[50:51], off
	s_nop 0
	global_load_dwordx4 v[50:53], v[50:51], off offset:16
	s_waitcnt lgkmcnt(0)
	v_max_f32_e32 v62, v65, v65
	v_max_f32_e32 v88, v64, v62
	v_sub_f32_e32 v60, v60, v88
	v_mul_f32_e32 v60, 0x3fb8aa3b, v60
	v_exp_f32_e32 v68, v60
	v_sub_f32_e32 v60, v61, v88
	v_mul_f32_e32 v60, 0x3fb8aa3b, v60
	v_exp_f32_e32 v69, v60
	global_load_dwordx4 v[62:65], v[58:59], off
	s_nop 0
	global_load_dwordx4 v[58:61], v[58:59], off offset:16
	v_sub_f32_e32 v82, v82, v88
	v_mul_f32_e32 v82, 0x3fb8aa3b, v82
	v_sub_f32_e32 v83, v83, v88
	v_exp_f32_e32 v82, v82
	v_mul_f32_e32 v83, 0x3fb8aa3b, v83
	v_sub_f32_e32 v70, v70, v88
	v_exp_f32_e32 v83, v83
	v_mul_f32_e32 v70, 0x3fb8aa3b, v70
	v_sub_f32_e32 v71, v71, v88
	v_cndmask_b32_e64 v68, 0, v68, s[28:29]
	v_exp_f32_e32 v70, v70
	v_mul_f32_e32 v71, 0x3fb8aa3b, v71
	v_sub_f32_e32 v84, v84, v88
	v_add_f32_e32 v91, 0, v68
	v_cndmask_b32_e64 v69, 0, v69, s[30:31]
	v_exp_f32_e32 v71, v71
	v_mul_f32_e32 v84, 0x3fb8aa3b, v84
	v_sub_f32_e32 v85, v85, v88
	v_add_f32_e32 v91, v91, v69
	;; [unrolled: 5-line block ×10, first 2 shown]
	v_cndmask_b32_e64 v78, 0, v78, s[10:11]
	v_exp_f32_e32 v66, v66
	v_mul_f32_e32 v67, 0x3fb8aa3b, v67
	v_add_f32_e32 v91, v91, v78
	v_cndmask_b32_e64 v79, 0, v79, s[12:13]
	v_exp_f32_e32 v67, v67
	v_add_f32_e32 v91, v91, v79
	v_cndmask_b32_e64 v72, 0, v72, s[6:7]
	v_add_f32_e32 v91, v91, v72
	v_cndmask_b32_e64 v73, 0, v73, s[8:9]
	v_add_f32_e32 v91, v91, v73
	v_cndmask_b32_e32 v66, 0, v66, vcc
	v_add_f32_e32 v91, v91, v66
	v_cndmask_b32_e64 v67, 0, v67, s[4:5]
	v_add_f32_e32 v91, v91, v67
	ds_bpermute_b32 v89, v89, v91
	v_cmp_gt_u32_e32 vcc, 16, v86
	s_waitcnt lgkmcnt(0)
	s_barrier
	v_add_f32_e32 v89, v91, v89
	ds_bpermute_b32 v90, v90, v89
	s_and_saveexec_b64 s[4:5], vcc
	s_cbranch_execz .LBB375_15
; %bb.14:
	s_waitcnt lgkmcnt(0)
	v_add_f32_e32 v86, v89, v90
	v_lshlrev_b32_e32 v87, 2, v87
	ds_write2st64_b32 v87, v88, v86 offset1:1
.LBB375_15:
	s_or_b64 exec, exec, s[4:5]
	v_lshlrev_b32_e32 v87, 2, v76
	s_load_dword s6, s[0:1], 0x94
	s_waitcnt lgkmcnt(0)
	s_barrier
	ds_read2_b32 v[88:89], v87 offset1:16
	ds_read2_b32 v[90:91], v87 offset0:32 offset1:48
	ds_read2_b32 v[92:93], v87 offset0:64 offset1:80
	s_mul_i32 s7, s27, 12
	s_waitcnt lgkmcnt(2)
	v_max3_f32 v86, v88, s41, v89
	s_waitcnt lgkmcnt(1)
	v_max3_f32 v86, v86, v90, v91
	v_sub_f32_e32 v88, v88, v86
	v_mul_f32_e32 v88, 0x3fb8aa3b, v88
	v_exp_f32_e32 v94, v88
	v_sub_f32_e32 v88, v89, v86
	v_mul_f32_e32 v88, 0x3fb8aa3b, v88
	v_exp_f32_e32 v95, v88
	;; [unrolled: 3-line block ×3, first 2 shown]
	ds_read2_b32 v[88:89], v87 offset0:96 offset1:112
	v_sub_f32_e32 v87, v91, v86
	v_mul_f32_e32 v87, 0x3fb8aa3b, v87
	v_exp_f32_e32 v91, v87
	s_waitcnt lgkmcnt(1)
	v_fma_f32 v87, v94, v92, 0
	v_fmac_f32_e32 v87, v95, v93
	s_waitcnt lgkmcnt(0)
	v_fmac_f32_e32 v87, v90, v88
	v_fmac_f32_e32 v87, v91, v89
	v_add_f32_e32 v88, 0x358637bd, v87
	v_div_scale_f32 v89, s[4:5], v88, v88, 1.0
	v_rcp_f32_e32 v92, v89
	s_barrier
	v_fma_f32 v93, -v89, v92, 1.0
	v_fmac_f32_e32 v92, v93, v92
	v_div_scale_f32 v93, vcc, 1.0, v88, 1.0
	v_mul_f32_e32 v1, v93, v92
	v_fma_f32 v77, -v89, v1, v93
	v_fmac_f32_e32 v1, v77, v92
	v_fma_f32 v77, -v89, v1, v93
	v_div_fmas_f32 v1, v77, v92, v1
	v_lshrrev_b32_e32 v92, 6, v0
	v_cmp_eq_u32_e32 vcc, 1, v92
	v_div_fixup_f32 v1, v1, v88, 1.0
	s_nop 0
	v_cndmask_b32_e32 v77, v94, v95, vcc
	v_cmp_eq_u32_e32 vcc, 2, v92
	s_nop 1
	v_cndmask_b32_e32 v77, v77, v90, vcc
	v_cmp_eq_u32_e32 vcc, 3, v92
	s_nop 1
	v_cndmask_b32_e32 v77, v77, v91, vcc
	v_mul_f32_e32 v88, v77, v1
	v_pk_mul_f32 v[82:83], v[88:89], v[82:83] op_sel_hi:[0,1]
	v_pk_mul_f32 v[68:69], v[88:89], v[68:69] op_sel_hi:[0,1]
	v_cvt_f16_f32_e32 v1, v68
	v_cvt_f16_f32_e32 v68, v69
	;; [unrolled: 1-line block ×4, first 2 shown]
	v_bfe_u32 v89, v0, 4, 2
	v_pk_mul_f32 v[82:83], v[88:89], v[84:85] op_sel_hi:[0,1]
	v_pk_mul_f32 v[70:71], v[88:89], v[70:71] op_sel_hi:[0,1]
	v_pack_b32_f16 v91, v69, v77
	v_cvt_f16_f32_e32 v69, v70
	v_cvt_f16_f32_e32 v70, v71
	;; [unrolled: 1-line block ×4, first 2 shown]
	v_pack_b32_f16 v90, v1, v68
	v_lshlrev_b32_e32 v1, 3, v89
	v_lshlrev_b32_e32 v68, 5, v76
	;; [unrolled: 1-line block ×3, first 2 shown]
	v_or3_b32 v82, v82, v68, v1
	v_pack_b32_f16 v70, v69, v70
	v_pack_b32_f16 v71, v71, v77
	ds_write2st64_b64 v82, v[90:91], v[70:71] offset1:1
	v_pk_mul_f32 v[70:71], v[88:89], v[78:79] op_sel_hi:[0,1]
	v_pk_mul_f32 v[78:79], v[88:89], v[80:81] op_sel_hi:[0,1]
	v_cvt_f16_f32_e32 v1, v78
	v_cvt_f16_f32_e32 v77, v70
	;; [unrolled: 1-line block ×3, first 2 shown]
	v_pk_mul_f32 v[66:67], v[88:89], v[66:67] op_sel_hi:[0,1]
	v_pk_mul_f32 v[70:71], v[88:89], v[72:73] op_sel_hi:[0,1]
	v_cvt_f16_f32_e32 v69, v79
	v_cvt_f16_f32_e32 v70, v70
	;; [unrolled: 1-line block ×5, first 2 shown]
	v_pack_b32_f16 v66, v1, v69
	v_pack_b32_f16 v67, v77, v78
	;; [unrolled: 1-line block ×4, first 2 shown]
	v_cmp_gt_u32_e32 vcc, 12, v0
	ds_write2st64_b64 v82, v[66:67], v[70:71] offset0:2 offset1:3
	s_and_saveexec_b64 s[4:5], vcc
	s_cbranch_execz .LBB375_17
; %bb.16:
	s_mov_b32 s41, 0
	v_mov_b32_e32 v77, 0
	v_lshl_add_u64 v[66:67], s[40:41], 0, v[76:77]
	v_mov_b32_e32 v1, s7
	v_mad_u64_u32 v[66:67], s[12:13], s2, v1, v[66:67]
	s_mul_i32 s3, s3, s7
	v_mov_b32_e32 v70, s26
	v_mov_b32_e32 v71, v77
	s_load_dwordx4 s[8:11], s[0:1], 0x58
	v_add_u32_e32 v1, s3, v67
	v_mad_u64_u32 v[66:67], s[12:13], v66, s6, v[70:71]
	v_mov_b32_e32 v70, v67
	v_mad_u64_u32 v[70:71], s[12:13], v1, s6, v[70:71]
	v_mov_b32_e32 v67, v70
	v_lshlrev_b64 v[66:67], 2, v[66:67]
	s_waitcnt lgkmcnt(0)
	v_lshl_add_u64 v[70:71], s[10:11], 0, v[66:67]
	v_lshl_add_u64 v[66:67], s[8:9], 0, v[66:67]
	global_store_dword v[70:71], v86, off
	global_store_dword v[66:67], v87, off
.LBB375_17:
	s_or_b64 exec, exec, s[4:5]
	v_lshl_or_b32 v1, v89, 9, v68
	s_waitcnt lgkmcnt(0)
	s_barrier
	ds_read_b128 v[70:73], v1
	ds_read_b128 v[66:69], v1 offset:16
	s_waitcnt vmcnt(15) lgkmcnt(1)
	v_mfma_f32_16x16x16_f16 v[78:81], v[30:31], v[70:71], 0
	s_mov_b32 s3, 0
	v_cmp_gt_u32_e32 vcc, 64, v0
	v_mfma_f32_16x16x16_f16 v[30:33], v[32:33], v[72:73], v[78:81]
	s_waitcnt vmcnt(14) lgkmcnt(0)
	v_mfma_f32_16x16x16_f16 v[30:33], v[26:27], v[66:67], v[30:33]
	v_mfma_f32_16x16x16_f16 v[26:29], v[28:29], v[68:69], v[30:33]
	s_nop 5
	ds_read_b128 v[30:33], v1 offset:2048
	ds_read_b128 v[78:81], v1 offset:2064
	s_waitcnt vmcnt(13) lgkmcnt(1)
	v_mfma_f32_16x16x16_f16 v[26:29], v[22:23], v[30:31], v[26:29]
	v_mfma_f32_16x16x16_f16 v[22:25], v[24:25], v[32:33], v[26:29]
	s_waitcnt vmcnt(12) lgkmcnt(0)
	v_mfma_f32_16x16x16_f16 v[22:25], v[18:19], v[78:79], v[22:25]
	v_mfma_f32_16x16x16_f16 v[18:21], v[20:21], v[80:81], v[22:25]
	s_nop 5
	ds_read_b128 v[22:25], v1 offset:4096
	ds_read_b128 v[26:29], v1 offset:4112
	s_waitcnt vmcnt(11) lgkmcnt(1)
	v_mfma_f32_16x16x16_f16 v[18:21], v[14:15], v[22:23], v[18:21]
	v_mfma_f32_16x16x16_f16 v[14:17], v[16:17], v[24:25], v[18:21]
	s_waitcnt vmcnt(10) lgkmcnt(0)
	v_mfma_f32_16x16x16_f16 v[14:17], v[10:11], v[26:27], v[14:17]
	v_mfma_f32_16x16x16_f16 v[10:13], v[12:13], v[28:29], v[14:17]
	s_nop 5
	ds_read_b128 v[14:17], v1 offset:6144
	ds_read_b128 v[18:21], v1 offset:6160
	s_waitcnt lgkmcnt(0)
	s_barrier
	s_waitcnt vmcnt(9)
	v_mfma_f32_16x16x16_f16 v[10:13], v[6:7], v[14:15], v[10:13]
	v_mfma_f32_16x16x16_f16 v[6:9], v[8:9], v[16:17], v[10:13]
	s_waitcnt vmcnt(8)
	v_mfma_f32_16x16x16_f16 v[6:9], v[2:3], v[18:19], v[6:9]
	v_mfma_f32_16x16x16_f16 v[2:5], v[4:5], v[20:21], v[6:9]
	;; [unrolled: 3-line block ×3, first 2 shown]
	s_nop 3
	v_cvt_f16_f32_e32 v1, v2
	v_cvt_f16_f32_e32 v10, v3
	;; [unrolled: 1-line block ×3, first 2 shown]
	s_waitcnt vmcnt(6)
	v_mfma_f32_16x16x16_f16 v[6:9], v[38:39], v[66:67], v[6:9]
	v_cvt_f16_f32_e32 v12, v5
	v_mfma_f32_16x16x16_f16 v[6:9], v[40:41], v[68:69], v[6:9]
	s_waitcnt vmcnt(5)
	v_mfma_f32_16x16x16_f16 v[6:9], v[42:43], v[30:31], v[6:9]
	v_mfma_f32_16x16x16_f16 v[6:9], v[44:45], v[32:33], v[6:9]
	s_waitcnt vmcnt(4)
	v_mfma_f32_16x16x16_f16 v[6:9], v[34:35], v[78:79], v[6:9]
	;; [unrolled: 3-line block ×6, first 2 shown]
	v_mfma_f32_16x16x16_f16 v[2:5], v[60:61], v[20:21], v[6:9]
	s_nop 6
	v_cvt_f16_f32_e32 v6, v2
	v_cvt_f16_f32_e32 v7, v3
	;; [unrolled: 1-line block ×4, first 2 shown]
	v_pack_b32_f16 v2, v1, v10
	v_pack_b32_f16 v3, v11, v12
	;; [unrolled: 1-line block ×4, first 2 shown]
	ds_write2st64_b64 v82, v[2:3], v[4:5] offset1:1
	s_waitcnt lgkmcnt(0)
	s_barrier
	s_and_saveexec_b64 s[4:5], vcc
	s_cbranch_execz .LBB375_19
; %bb.18:
	s_load_dwordx2 s[0:1], s[0:1], 0x68
	s_lshl_b32 s6, s6, 7
	s_mul_i32 s2, s7, s2
	s_mul_hi_u32 s5, s2, s6
	s_mul_i32 s4, s2, s6
	s_lshl_b64 s[4:5], s[4:5], 1
	v_lshlrev_b32_e32 v3, 6, v76
	s_waitcnt lgkmcnt(0)
	s_add_u32 s4, s0, s4
	v_lshlrev_b32_e32 v2, 4, v0
	v_lshl_or_b32 v0, v0, 10, v3
	s_addc_u32 s5, s1, s5
	s_lshl_b32 s2, s26, 7
	v_lshlrev_b32_e32 v1, 5, v89
	v_and_b32_e32 v2, 16, v2
	v_and_b32_e32 v0, 0x1a00, v0
	s_lshl_b64 s[0:1], s[2:3], 1
	v_or3_b32 v0, v0, v1, v2
	s_add_u32 s0, s4, s0
	ds_read_b128 v[2:5], v0
	ds_read_b128 v[6:9], v0 offset:128
	ds_read_b128 v[10:13], v0 offset:256
	s_addc_u32 s1, s5, s1
	v_or_b32_e32 v16, s40, v89
	v_lshl_add_u64 v[0:1], v[74:75], 1, s[0:1]
	v_mad_u64_u32 v[14:15], s[0:1], v16, s6, 0
	v_lshl_add_u64 v[14:15], v[14:15], 1, v[0:1]
	s_waitcnt lgkmcnt(2)
	global_store_dwordx4 v[14:15], v[2:5], off
	s_nop 1
	v_add_u32_e32 v2, 4, v16
	v_mad_u64_u32 v[2:3], s[0:1], v2, s6, 0
	v_lshl_add_u64 v[2:3], v[2:3], 1, v[0:1]
	s_waitcnt lgkmcnt(1)
	global_store_dwordx4 v[2:3], v[6:9], off
	v_add_u32_e32 v2, 8, v16
	v_mad_u64_u32 v[2:3], s[0:1], v2, s6, 0
	v_lshl_add_u64 v[0:1], v[2:3], 1, v[0:1]
	s_waitcnt lgkmcnt(0)
	global_store_dwordx4 v[0:1], v[10:13], off
.LBB375_19:
	s_endpgm
	.section	.rodata,"a",@progbits
	.p2align	6, 0x0
	.amdhsa_kernel _Z39paged_attention_ll4mi_QKV_mfma16_kernelIDF16_DF16_LN4vllm18Fp8KVCacheDataTypeE0EDF16_Li32ELi128ELi256ELb0ELi12EEvPKT_PKT0_S7_ifPKiS9_S9_iPKfiiiPfSC_PS2_PT2_iSB_SB_
		.amdhsa_group_segment_fixed_size 8192
		.amdhsa_private_segment_fixed_size 0
		.amdhsa_kernarg_size 400
		.amdhsa_user_sgpr_count 2
		.amdhsa_user_sgpr_dispatch_ptr 0
		.amdhsa_user_sgpr_queue_ptr 0
		.amdhsa_user_sgpr_kernarg_segment_ptr 1
		.amdhsa_user_sgpr_dispatch_id 0
		.amdhsa_user_sgpr_kernarg_preload_length 0
		.amdhsa_user_sgpr_kernarg_preload_offset 0
		.amdhsa_user_sgpr_private_segment_size 0
		.amdhsa_uses_dynamic_stack 0
		.amdhsa_enable_private_segment 0
		.amdhsa_system_sgpr_workgroup_id_x 1
		.amdhsa_system_sgpr_workgroup_id_y 1
		.amdhsa_system_sgpr_workgroup_id_z 1
		.amdhsa_system_sgpr_workgroup_info 0
		.amdhsa_system_vgpr_workitem_id 0
		.amdhsa_next_free_vgpr 96
		.amdhsa_next_free_sgpr 42
		.amdhsa_accum_offset 96
		.amdhsa_reserve_vcc 1
		.amdhsa_float_round_mode_32 0
		.amdhsa_float_round_mode_16_64 0
		.amdhsa_float_denorm_mode_32 3
		.amdhsa_float_denorm_mode_16_64 3
		.amdhsa_dx10_clamp 1
		.amdhsa_ieee_mode 1
		.amdhsa_fp16_overflow 0
		.amdhsa_tg_split 0
		.amdhsa_exception_fp_ieee_invalid_op 0
		.amdhsa_exception_fp_denorm_src 0
		.amdhsa_exception_fp_ieee_div_zero 0
		.amdhsa_exception_fp_ieee_overflow 0
		.amdhsa_exception_fp_ieee_underflow 0
		.amdhsa_exception_fp_ieee_inexact 0
		.amdhsa_exception_int_div_zero 0
	.end_amdhsa_kernel
	.section	.text._Z39paged_attention_ll4mi_QKV_mfma16_kernelIDF16_DF16_LN4vllm18Fp8KVCacheDataTypeE0EDF16_Li32ELi128ELi256ELb0ELi12EEvPKT_PKT0_S7_ifPKiS9_S9_iPKfiiiPfSC_PS2_PT2_iSB_SB_,"axG",@progbits,_Z39paged_attention_ll4mi_QKV_mfma16_kernelIDF16_DF16_LN4vllm18Fp8KVCacheDataTypeE0EDF16_Li32ELi128ELi256ELb0ELi12EEvPKT_PKT0_S7_ifPKiS9_S9_iPKfiiiPfSC_PS2_PT2_iSB_SB_,comdat
.Lfunc_end375:
	.size	_Z39paged_attention_ll4mi_QKV_mfma16_kernelIDF16_DF16_LN4vllm18Fp8KVCacheDataTypeE0EDF16_Li32ELi128ELi256ELb0ELi12EEvPKT_PKT0_S7_ifPKiS9_S9_iPKfiiiPfSC_PS2_PT2_iSB_SB_, .Lfunc_end375-_Z39paged_attention_ll4mi_QKV_mfma16_kernelIDF16_DF16_LN4vllm18Fp8KVCacheDataTypeE0EDF16_Li32ELi128ELi256ELb0ELi12EEvPKT_PKT0_S7_ifPKiS9_S9_iPKfiiiPfSC_PS2_PT2_iSB_SB_
                                        ; -- End function
	.section	.AMDGPU.csdata,"",@progbits
; Kernel info:
; codeLenInByte = 4592
; NumSgprs: 48
; NumVgprs: 96
; NumAgprs: 0
; TotalNumVgprs: 96
; ScratchSize: 0
; MemoryBound: 0
; FloatMode: 240
; IeeeMode: 1
; LDSByteSize: 8192 bytes/workgroup (compile time only)
; SGPRBlocks: 5
; VGPRBlocks: 11
; NumSGPRsForWavesPerEU: 48
; NumVGPRsForWavesPerEU: 96
; AccumOffset: 96
; Occupancy: 5
; WaveLimiterHint : 1
; COMPUTE_PGM_RSRC2:SCRATCH_EN: 0
; COMPUTE_PGM_RSRC2:USER_SGPR: 2
; COMPUTE_PGM_RSRC2:TRAP_HANDLER: 0
; COMPUTE_PGM_RSRC2:TGID_X_EN: 1
; COMPUTE_PGM_RSRC2:TGID_Y_EN: 1
; COMPUTE_PGM_RSRC2:TGID_Z_EN: 1
; COMPUTE_PGM_RSRC2:TIDIG_COMP_CNT: 0
; COMPUTE_PGM_RSRC3_GFX90A:ACCUM_OFFSET: 23
; COMPUTE_PGM_RSRC3_GFX90A:TG_SPLIT: 0
	.section	.text._Z39paged_attention_ll4mi_QKV_mfma16_kernelIDF16_DF16_LN4vllm18Fp8KVCacheDataTypeE0EDF16_Li32ELi128ELi256ELb0ELi13EEvPKT_PKT0_S7_ifPKiS9_S9_iPKfiiiPfSC_PS2_PT2_iSB_SB_,"axG",@progbits,_Z39paged_attention_ll4mi_QKV_mfma16_kernelIDF16_DF16_LN4vllm18Fp8KVCacheDataTypeE0EDF16_Li32ELi128ELi256ELb0ELi13EEvPKT_PKT0_S7_ifPKiS9_S9_iPKfiiiPfSC_PS2_PT2_iSB_SB_,comdat
	.protected	_Z39paged_attention_ll4mi_QKV_mfma16_kernelIDF16_DF16_LN4vllm18Fp8KVCacheDataTypeE0EDF16_Li32ELi128ELi256ELb0ELi13EEvPKT_PKT0_S7_ifPKiS9_S9_iPKfiiiPfSC_PS2_PT2_iSB_SB_ ; -- Begin function _Z39paged_attention_ll4mi_QKV_mfma16_kernelIDF16_DF16_LN4vllm18Fp8KVCacheDataTypeE0EDF16_Li32ELi128ELi256ELb0ELi13EEvPKT_PKT0_S7_ifPKiS9_S9_iPKfiiiPfSC_PS2_PT2_iSB_SB_
	.globl	_Z39paged_attention_ll4mi_QKV_mfma16_kernelIDF16_DF16_LN4vllm18Fp8KVCacheDataTypeE0EDF16_Li32ELi128ELi256ELb0ELi13EEvPKT_PKT0_S7_ifPKiS9_S9_iPKfiiiPfSC_PS2_PT2_iSB_SB_
	.p2align	8
	.type	_Z39paged_attention_ll4mi_QKV_mfma16_kernelIDF16_DF16_LN4vllm18Fp8KVCacheDataTypeE0EDF16_Li32ELi128ELi256ELb0ELi13EEvPKT_PKT0_S7_ifPKiS9_S9_iPKfiiiPfSC_PS2_PT2_iSB_SB_,@function
_Z39paged_attention_ll4mi_QKV_mfma16_kernelIDF16_DF16_LN4vllm18Fp8KVCacheDataTypeE0EDF16_Li32ELi128ELi256ELb0ELi13EEvPKT_PKT0_S7_ifPKiS9_S9_iPKfiiiPfSC_PS2_PT2_iSB_SB_: ; @_Z39paged_attention_ll4mi_QKV_mfma16_kernelIDF16_DF16_LN4vllm18Fp8KVCacheDataTypeE0EDF16_Li32ELi128ELi256ELb0ELi13EEvPKT_PKT0_S7_ifPKiS9_S9_iPKfiiiPfSC_PS2_PT2_iSB_SB_
; %bb.0:
	s_load_dwordx2 s[8:9], s[0:1], 0x30
	s_mov_b32 s26, s3
	s_mov_b64 s[6:7], 0
	s_waitcnt lgkmcnt(0)
	s_cmp_lg_u64 s[8:9], 0
	s_cselect_b64 s[10:11], -1, 0
	s_and_b64 vcc, exec, s[10:11]
	s_cbranch_vccz .LBB376_7
; %bb.1:
	s_add_i32 s12, s2, 1
	s_mov_b32 s13, 0
	s_lshl_b64 s[14:15], s[12:13], 2
	s_add_u32 s14, s8, s14
	s_mov_b32 s3, s13
	s_addc_u32 s15, s9, s15
	s_lshl_b64 s[12:13], s[2:3], 2
	s_add_u32 s12, s8, s12
	s_addc_u32 s13, s9, s13
	s_load_dword s5, s[14:15], 0x0
	s_load_dword s16, s[12:13], 0x0
	s_waitcnt lgkmcnt(0)
	s_sub_i32 s5, s5, s16
	s_cmp_eq_u32 s5, 1
	s_cselect_b64 s[12:13], -1, 0
	s_andn2_b64 vcc, exec, s[6:7]
	s_cbranch_vccnz .LBB376_3
.LBB376_2:
	s_mov_b32 s3, 0
	s_mov_b64 s[12:13], -1
.LBB376_3:
	s_andn2_b64 vcc, exec, s[12:13]
	s_cbranch_vccnz .LBB376_20
; %bb.4:
	s_load_dwordx2 s[6:7], s[0:1], 0x28
	s_lshl_b64 s[12:13], s[2:3], 2
	s_waitcnt lgkmcnt(0)
	s_add_u32 s6, s6, s12
	s_addc_u32 s7, s7, s13
	s_load_dword s33, s[6:7], 0x0
	s_lshl_b32 s18, s26, 8
	s_waitcnt lgkmcnt(0)
	s_cmp_ge_i32 s18, s33
	s_cbranch_scc1 .LBB376_20
; %bb.5:
	s_load_dwordx2 s[6:7], s[0:1], 0x20
	s_load_dword s5, s[0:1], 0x38
	s_add_i32 s14, s33, 31
	s_ashr_i32 s15, s14, 31
	v_and_b32_e32 v1, 0xcf, v0
	s_lshr_b32 s15, s15, 27
	v_add_u32_e32 v1, s18, v1
	s_add_i32 s14, s14, s15
	v_ashrrev_i32_e32 v2, 31, v1
	s_ashr_i32 s19, s14, 5
	v_lshrrev_b32_e32 v4, 27, v2
	s_add_i32 s19, s19, -1
	s_waitcnt lgkmcnt(0)
	s_mul_i32 s14, s2, s5
	s_mov_b32 s15, 0
	v_add_u32_e32 v2, v1, v4
	s_lshl_b64 s[14:15], s[14:15], 2
	v_ashrrev_i32_e32 v2, 5, v2
	v_mov_b32_e32 v5, s19
	v_cmp_gt_i32_e32 vcc, s33, v1
	s_add_u32 s6, s6, s14
	s_addc_u32 s7, s7, s15
	v_cndmask_b32_e32 v2, v5, v2, vcc
	v_ashrrev_i32_e32 v3, 31, v2
	v_lshl_add_u64 v[6:7], v[2:3], 2, s[6:7]
	v_or_b32_e32 v2, 16, v1
	v_add_u32_e32 v3, v2, v4
	v_ashrrev_i32_e32 v3, 5, v3
	v_cmp_gt_i32_e32 vcc, s33, v2
	s_nop 1
	v_cndmask_b32_e32 v2, v5, v3, vcc
	v_ashrrev_i32_e32 v3, 31, v2
	v_lshl_add_u64 v[8:9], v[2:3], 2, s[6:7]
	v_or_b32_e32 v2, 32, v1
	v_add_u32_e32 v3, v2, v4
	v_ashrrev_i32_e32 v3, 5, v3
	v_cmp_gt_i32_e32 vcc, s33, v2
	v_or_b32_e32 v1, 48, v1
	s_nop 0
	v_cndmask_b32_e32 v2, v5, v3, vcc
	v_ashrrev_i32_e32 v3, 31, v2
	v_lshl_add_u64 v[10:11], v[2:3], 2, s[6:7]
	v_add_u32_e32 v2, v1, v4
	v_ashrrev_i32_e32 v2, 5, v2
	v_cmp_gt_i32_e32 vcc, s33, v1
	s_nop 1
	v_cndmask_b32_e32 v2, v5, v2, vcc
	v_ashrrev_i32_e32 v3, 31, v2
	v_lshl_add_u64 v[12:13], v[2:3], 2, s[6:7]
	global_load_dword v2, v[6:7], off
	global_load_dword v5, v[8:9], off
	global_load_dword v4, v[10:11], off
	global_load_dword v46, v[12:13], off
	s_andn2_b64 vcc, exec, s[10:11]
	s_cbranch_vccnz .LBB376_8
; %bb.6:
	s_add_u32 s8, s8, s12
	s_addc_u32 s9, s9, s13
	s_load_dword s5, s[8:9], 0x0
	s_branch .LBB376_9
.LBB376_7:
	s_mov_b64 s[12:13], 0
	s_branch .LBB376_2
.LBB376_8:
	s_mov_b32 s5, s2
.LBB376_9:
	s_load_dwordx4 s[12:15], s[0:1], 0x8
	s_load_dwordx4 s[8:11], s[0:1], 0x48
	v_lshrrev_b32_e32 v86, 6, v0
	v_bfe_u32 v1, v0, 4, 2
	v_lshl_or_b32 v3, v86, 2, v1
	v_and_b32_e32 v76, 15, v0
	v_lshlrev_b32_e32 v74, 3, v76
	v_cmp_lt_u32_e32 vcc, 12, v3
	s_and_saveexec_b64 s[16:17], vcc
	s_xor_b64 s[16:17], exec, s[16:17]
; %bb.10:
	v_mov_b32_e32 v75, 0
                                        ; implicit-def: $vgpr3
; %bb.11:
	s_or_saveexec_b64 s[16:17], s[16:17]
	v_and_b32_e32 v77, 63, v0
	s_mul_i32 s40, s4, 13
	s_xor_b64 exec, exec, s[16:17]
	s_cbranch_execz .LBB376_13
; %bb.12:
	s_load_dwordx2 s[20:21], s[0:1], 0x0
	s_waitcnt lgkmcnt(0)
	s_ashr_i32 s11, s8, 31
	s_mul_hi_u32 s22, s5, s8
	s_mul_i32 s11, s5, s11
	s_add_i32 s23, s22, s11
	s_mul_i32 s22, s5, s8
	s_lshl_b64 s[22:23], s[22:23], 1
	s_add_u32 s20, s20, s22
	v_add_lshl_u32 v6, v3, s40, 7
	s_addc_u32 s21, s21, s23
	v_ashrrev_i32_e32 v7, 31, v6
	v_mov_b32_e32 v75, 0
	v_lshl_add_u64 v[6:7], v[6:7], 1, s[20:21]
	v_lshlrev_b32_e32 v8, 1, v74
	v_mov_b32_e32 v9, v75
	v_lshl_add_u64 v[6:7], v[6:7], 0, v[8:9]
	global_load_dwordx4 v[6:9], v[6:7], off
	v_and_b32_e32 v10, 3, v0
	v_lshlrev_b32_e32 v11, 9, v76
	v_lshlrev_b32_e32 v3, 5, v3
	;; [unrolled: 1-line block ×3, first 2 shown]
	v_and_b32_e32 v11, 0x1800, v11
	v_or3_b32 v3, v11, v10, v3
	s_waitcnt vmcnt(0)
	ds_write_b128 v3, v[6:9]
.LBB376_13:
	s_or_b64 exec, exec, s[16:17]
	s_waitcnt lgkmcnt(0)
	s_mul_i32 s4, s4, s10
	s_mov_b32 s5, 0
	s_lshl_b64 s[4:5], s[4:5], 1
	s_add_u32 s10, s12, s4
	s_addc_u32 s11, s13, s5
	s_waitcnt vmcnt(3)
	v_mad_i64_i32 v[2:3], s[12:13], v2, s9, 0
	v_lshl_add_u64 v[6:7], v[2:3], 1, s[10:11]
	v_lshlrev_b64 v[2:3], 1, v[74:75]
	v_lshlrev_b32_e32 v50, 9, v1
	v_lshl_add_u64 v[6:7], v[6:7], 0, v[2:3]
	v_mov_b32_e32 v51, 0
	v_lshl_add_u64 v[8:9], v[6:7], 0, v[50:51]
	s_load_dword s27, s[0:1], 0x98
	s_load_dword s8, s[0:1], 0x1c
	s_waitcnt lgkmcnt(0)
	s_barrier
	global_load_dwordx4 v[38:41], v[8:9], off
	s_waitcnt vmcnt(3)
	v_mad_i64_i32 v[10:11], s[12:13], v5, s9, 0
	v_mov_b32_e32 v5, 0x100
	v_lshl_add_u64 v[10:11], v[10:11], 1, s[10:11]
	v_lshl_or_b32 v54, v76, 4, v5
	v_mov_b32_e32 v55, v51
	v_lshl_add_u64 v[22:23], v[10:11], 0, v[54:55]
	v_lshl_add_u64 v[10:11], v[22:23], 0, v[50:51]
	global_load_dwordx4 v[42:45], v[10:11], off
	global_load_dwordx4 v[18:21], v[8:9], off offset:2048
	global_load_dwordx4 v[26:29], v[10:11], off offset:2048
	v_or_b32_e32 v56, 0x1000, v50
	v_mov_b32_e32 v57, v51
	v_or_b32_e32 v52, 0x1800, v50
	v_mov_b32_e32 v53, v51
	v_lshl_add_u64 v[8:9], v[6:7], 0, v[56:57]
	v_lshl_add_u64 v[6:7], v[6:7], 0, v[52:53]
	global_load_dwordx4 v[14:17], v[8:9], off
	global_load_dwordx4 v[10:13], v[6:7], off
	v_lshl_add_u64 v[8:9], v[22:23], 0, v[56:57]
	global_load_dwordx4 v[30:33], v[8:9], off
	s_waitcnt vmcnt(8)
	v_mad_i64_i32 v[4:5], s[12:13], v4, s9, 0
	v_lshl_add_u64 v[4:5], v[4:5], 1, s[10:11]
	v_lshl_add_u64 v[60:61], v[4:5], 0, v[2:3]
	v_add_u32_e32 v2, -13, v76
	v_cmp_gt_u32_e32 vcc, 13, v76
	v_lshl_add_u64 v[6:7], v[22:23], 0, v[52:53]
	global_load_dwordx4 v[22:25], v[6:7], off
	v_cndmask_b32_e32 v2, v2, v76, vcc
	v_lshl_add_u64 v[58:59], v[60:61], 0, v[50:51]
	v_lshl_add_u32 v62, v2, 5, v50
	global_load_dwordx4 v[34:37], v[58:59], off
	ds_read_b128 v[6:9], v62
	ds_read_b128 v[2:5], v62 offset:2048
	s_waitcnt vmcnt(9)
	v_mad_i64_i32 v[72:73], s[12:13], v46, s9, 0
	s_ashr_i32 s12, s18, 31
	v_and_or_b32 v78, v0, 48, s18
	v_or_b32_e32 v80, 64, v78
	v_mov_b32_e32 v79, s19
	v_cmp_gt_i32_e32 vcc, s33, v78
	v_or_b32_e32 v81, 0x80, v78
	v_or_b32_e32 v82, 0xc0, v78
	v_lshl_or_b32 v87, v86, 4, v76
	s_mov_b32 s41, 0xff7fffff
	s_waitcnt vmcnt(7) lgkmcnt(1)
	v_mfma_f32_16x16x16_f16 v[68:71], v[42:43], v[6:7], 0
	v_mfma_f32_16x16x16_f16 v[64:67], v[38:39], v[6:7], 0
	;; [unrolled: 1-line block ×3, first 2 shown]
	ds_read_b128 v[46:49], v62 offset:4096
	ds_read_b128 v[38:41], v62 offset:6144
	v_lshl_add_u64 v[62:63], v[72:73], 1, s[10:11]
	v_lshl_add_u64 v[72:73], v[62:63], 0, v[54:55]
	v_mfma_f32_16x16x16_f16 v[42:45], v[44:45], v[8:9], v[68:71]
	v_lshl_add_u64 v[54:55], v[60:61], 0, v[56:57]
	s_lshr_b32 s10, s12, 27
	v_add_u32_e32 v83, s10, v81
	s_waitcnt vmcnt(6) lgkmcnt(2)
	v_mfma_f32_16x16x16_f16 v[62:65], v[18:19], v[2:3], v[64:67]
	v_add_u32_e32 v70, s10, v78
	v_add_u32_e32 v71, s10, v80
	v_lshl_add_u64 v[68:69], v[72:73], 0, v[50:51]
	v_lshl_add_u64 v[66:67], v[60:61], 0, v[52:53]
	global_load_dwordx4 v[58:61], v[58:59], off offset:2048
	s_waitcnt vmcnt(6)
	v_mfma_f32_16x16x16_f16 v[42:45], v[26:27], v[2:3], v[42:45]
	v_ashrrev_i32_e32 v50, 5, v70
	v_add_u32_e32 v84, s10, v82
	s_add_u32 s4, s14, s4
	v_mfma_f32_16x16x16_f16 v[18:21], v[20:21], v[4:5], v[62:65]
	s_addc_u32 s5, s15, s5
	v_mfma_f32_16x16x16_f16 v[26:29], v[28:29], v[4:5], v[42:45]
	s_nop 0
	v_lshl_add_u64 v[62:63], v[72:73], 0, v[56:57]
	v_ashrrev_i32_e32 v56, 5, v71
	v_ashrrev_i32_e32 v64, 5, v83
	s_waitcnt vmcnt(5) lgkmcnt(1)
	v_mfma_f32_16x16x16_f16 v[18:21], v[14:15], v[46:47], v[18:21]
	global_load_dwordx4 v[42:45], v[54:55], off
	v_cndmask_b32_e32 v14, v79, v50, vcc
	v_cmp_gt_i32_e32 vcc, s33, v80
	s_waitcnt vmcnt(4)
	v_mfma_f32_16x16x16_f16 v[26:29], v[30:31], v[46:47], v[26:29]
	v_ashrrev_i32_e32 v15, 31, v14
	v_cndmask_b32_e32 v30, v79, v56, vcc
	v_ashrrev_i32_e32 v31, 31, v30
	v_lshl_add_u64 v[14:15], v[14:15], 2, s[6:7]
	v_lshl_add_u64 v[30:31], v[30:31], 2, s[6:7]
	global_load_dword v92, v[14:15], off
	global_load_dword v93, v[30:31], off
	v_mfma_f32_16x16x16_f16 v[14:17], v[16:17], v[48:49], v[18:21]
	v_cmp_gt_i32_e32 vcc, s33, v81
	v_ashrrev_i32_e32 v83, 5, v84
	s_nop 0
	global_load_dwordx4 v[18:21], v[66:67], off
	s_waitcnt lgkmcnt(0)
	v_mfma_f32_16x16x16_f16 v[14:17], v[10:11], v[38:39], v[14:17]
	v_cndmask_b32_e32 v10, v79, v64, vcc
	v_ashrrev_i32_e32 v11, 31, v10
	v_lshl_add_u64 v[10:11], v[10:11], 2, s[6:7]
	v_mfma_f32_16x16x16_f16 v[64:67], v[12:13], v[40:41], v[14:17]
	global_load_dword v94, v[10:11], off
	v_cmp_gt_i32_e32 vcc, s33, v82
	s_nop 0
	v_lshl_add_u64 v[14:15], v[72:73], 0, v[52:53]
	global_load_dwordx4 v[88:91], v[14:15], off
	global_load_dwordx4 v[54:57], v[68:69], off
	v_cndmask_b32_e32 v10, v79, v83, vcc
	global_load_dwordx4 v[68:71], v[68:69], off offset:2048
	v_ashrrev_i32_e32 v11, 31, v10
	global_load_dwordx4 v[82:85], v[62:63], off
	v_lshl_add_u64 v[10:11], v[10:11], 2, s[6:7]
	global_load_dword v95, v[10:11], off
	s_waitcnt vmcnt(11)
	v_mfma_f32_16x16x16_f16 v[10:13], v[34:35], v[6:7], 0
	v_and_b32_e32 v14, 16, v0
	v_lshlrev_b32_e32 v50, 1, v14
	v_mfma_f32_16x16x16_f16 v[10:13], v[36:37], v[8:9], v[10:13]
	v_lshl_add_u64 v[36:37], s[4:5], 0, v[50:51]
	v_lshlrev_b32_e32 v50, 6, v87
	s_waitcnt vmcnt(8)
	v_mad_i64_i32 v[14:15], s[4:5], v92, s9, 0
	v_mfma_f32_16x16x16_f16 v[10:13], v[58:59], v[2:3], v[10:13]
	v_lshlrev_b64 v[72:73], 1, v[14:15]
	v_mfma_f32_16x16x16_f16 v[10:13], v[60:61], v[4:5], v[10:13]
	v_lshl_add_u64 v[60:61], v[36:37], 0, v[50:51]
	v_lshl_add_u64 v[14:15], v[60:61], 0, v[72:73]
	v_or_b32_e32 v50, 0x1000, v50
	v_mfma_f32_16x16x16_f16 v[10:13], v[42:43], v[46:47], v[10:13]
	v_lshl_add_u64 v[62:63], v[36:37], 0, v[50:51]
	v_lshl_add_u64 v[50:51], v[62:63], 0, v[72:73]
	v_mfma_f32_16x16x16_f16 v[26:29], v[32:33], v[48:49], v[26:29]
	v_mfma_f32_16x16x16_f16 v[10:13], v[44:45], v[48:49], v[10:13]
	;; [unrolled: 1-line block ×3, first 2 shown]
	s_waitcnt vmcnt(6)
	v_mfma_f32_16x16x16_f16 v[10:13], v[18:19], v[38:39], v[10:13]
	v_mfma_f32_16x16x16_f16 v[78:81], v[24:25], v[40:41], v[26:29]
	global_load_dwordx4 v[30:33], v[14:15], off
	s_nop 2
	global_load_dwordx4 v[26:29], v[14:15], off offset:16
	v_mad_i64_i32 v[14:15], s[4:5], v93, s9, 0
	v_lshlrev_b64 v[34:35], 1, v[14:15]
	v_mfma_f32_16x16x16_f16 v[42:45], v[20:21], v[40:41], v[10:13]
	s_nop 2
	v_lshl_add_u64 v[10:11], v[60:61], 0, v[34:35]
	global_load_dwordx4 v[22:25], v[10:11], off
	global_load_dwordx4 v[18:21], v[10:11], off offset:16
	s_waitcnt vmcnt(7)
	v_mfma_f32_16x16x16_f16 v[10:13], v[54:55], v[6:7], 0
	v_mad_i64_i32 v[6:7], s[4:5], v94, s9, 0
	v_lshlrev_b64 v[52:53], 1, v[6:7]
	v_mfma_f32_16x16x16_f16 v[6:9], v[56:57], v[8:9], v[10:13]
	v_lshl_add_u64 v[34:35], v[62:63], 0, v[34:35]
	s_waitcnt vmcnt(6)
	v_mfma_f32_16x16x16_f16 v[6:9], v[68:69], v[2:3], v[6:9]
	s_waitcnt vmcnt(4)
	v_mad_i64_i32 v[2:3], s[4:5], v95, s9, 0
	v_lshlrev_b64 v[58:59], 1, v[2:3]
	v_mfma_f32_16x16x16_f16 v[54:57], v[70:71], v[4:5], v[6:9]
	v_lshl_add_u64 v[10:11], v[60:61], 0, v[52:53]
	v_lshl_add_u64 v[2:3], v[60:61], 0, v[58:59]
	v_pk_mul_f32 v[60:61], s[8:9], v[64:65] op_sel_hi:[0,1]
	v_mfma_f32_16x16x16_f16 v[54:57], v[82:83], v[46:47], v[54:57]
	v_pk_mul_f32 v[82:83], s[8:9], v[66:67] op_sel_hi:[0,1]
	v_pk_mul_f32 v[70:71], s[8:9], v[78:79] op_sel_hi:[0,1]
	;; [unrolled: 1-line block ×3, first 2 shown]
	v_mfma_f32_16x16x16_f16 v[46:49], v[84:85], v[48:49], v[54:57]
	v_pk_mul_f32 v[84:85], s[8:9], v[80:81] op_sel_hi:[0,1]
	v_pk_mul_f32 v[80:81], s[8:9], v[42:43] op_sel_hi:[0,1]
	global_load_dwordx4 v[14:17], v[10:11], off
	s_nop 0
	global_load_dwordx4 v[10:13], v[10:11], off offset:16
	v_mfma_f32_16x16x16_f16 v[36:39], v[88:89], v[38:39], v[46:49]
	global_load_dwordx4 v[6:9], v[2:3], off
	s_nop 0
	global_load_dwordx4 v[2:5], v[2:3], off offset:16
	v_lshl_add_u64 v[58:59], v[62:63], 0, v[58:59]
	v_mfma_f32_16x16x16_f16 v[36:39], v[90:91], v[40:41], v[36:39]
	s_nop 6
	v_pk_mul_f32 v[72:73], s[8:9], v[36:37] op_sel_hi:[0,1]
	v_and_b32_e32 v36, 0xc0, v0
	v_add_u32_e32 v36, s18, v36
	v_lshl_or_b32 v36, v1, 2, v36
	v_pk_mul_f32 v[66:67], s[8:9], v[38:39] op_sel_hi:[0,1]
	v_or_b32_e32 v39, 1, v36
	v_mov_b32_e32 v37, 0xff7fffff
	v_cmp_gt_i32_e64 s[28:29], s33, v36
	v_cmp_gt_i32_e64 s[30:31], s33, v39
	v_or_b32_e32 v40, 3, v36
	v_cndmask_b32_e64 v38, v37, v60, s[28:29]
	v_cndmask_b32_e64 v39, v37, v61, s[30:31]
	v_max3_f32 v38, v38, s41, v39
	v_or_b32_e32 v39, 2, v36
	v_cmp_gt_i32_e64 s[34:35], s33, v39
	v_cmp_gt_i32_e64 s[36:37], s33, v40
	s_nop 0
	v_cndmask_b32_e64 v39, v37, v82, s[34:35]
	v_cndmask_b32_e64 v40, v37, v83, s[36:37]
	v_max3_f32 v38, v38, v39, v40
	v_or_b32_e32 v39, 16, v36
	v_or_b32_e32 v40, 17, v36
	v_cmp_gt_i32_e64 s[22:23], s33, v39
	v_cmp_gt_i32_e64 s[24:25], s33, v40
	s_nop 0
	v_cndmask_b32_e64 v39, v37, v70, s[22:23]
	v_cndmask_b32_e64 v40, v37, v71, s[24:25]
	v_max3_f32 v38, v38, v39, v40
	v_or_b32_e32 v39, 18, v36
	;; [unrolled: 8-line block ×6, first 2 shown]
	v_or_b32_e32 v36, 51, v36
	v_cmp_gt_i32_e32 vcc, s33, v39
	v_cmp_gt_i32_e64 s[4:5], s33, v36
	s_nop 0
	v_cndmask_b32_e32 v39, v37, v66, vcc
	v_cndmask_b32_e64 v36, v37, v67, s[4:5]
	v_max3_f32 v54, v38, v39, v36
	v_mbcnt_lo_u32_b32 v36, -1, 0
	v_mbcnt_hi_u32_b32 v55, -1, v36
	v_and_b32_e32 v36, 64, v55
	v_add_u32_e32 v56, 64, v36
	v_xor_b32_e32 v36, 32, v55
	v_cmp_lt_i32_e64 s[38:39], v36, v56
	global_load_dwordx4 v[46:49], v[50:51], off
	global_load_dwordx4 v[38:41], v[50:51], off offset:16
	v_cndmask_b32_e64 v36, v55, v36, s[38:39]
	v_lshlrev_b32_e32 v89, 2, v36
	ds_bpermute_b32 v57, v89, v54
	global_load_dwordx4 v[42:45], v[34:35], off
	s_nop 0
	global_load_dwordx4 v[34:37], v[34:35], off offset:16
	s_waitcnt lgkmcnt(0)
	v_max_f32_e32 v50, v57, v57
	v_max_f32_e32 v64, v54, v50
	v_xor_b32_e32 v50, 16, v55
	v_cmp_lt_i32_e64 s[38:39], v50, v56
	s_nop 1
	v_cndmask_b32_e64 v50, v55, v50, s[38:39]
	v_lshlrev_b32_e32 v90, 2, v50
	ds_bpermute_b32 v65, v90, v64
	v_lshl_add_u64 v[50:51], v[62:63], 0, v[52:53]
	global_load_dwordx4 v[54:57], v[50:51], off
	s_nop 0
	global_load_dwordx4 v[50:53], v[50:51], off offset:16
	s_waitcnt lgkmcnt(0)
	v_max_f32_e32 v62, v65, v65
	v_max_f32_e32 v88, v64, v62
	v_sub_f32_e32 v60, v60, v88
	v_mul_f32_e32 v60, 0x3fb8aa3b, v60
	v_exp_f32_e32 v68, v60
	v_sub_f32_e32 v60, v61, v88
	v_mul_f32_e32 v60, 0x3fb8aa3b, v60
	v_exp_f32_e32 v69, v60
	global_load_dwordx4 v[62:65], v[58:59], off
	s_nop 0
	global_load_dwordx4 v[58:61], v[58:59], off offset:16
	v_sub_f32_e32 v82, v82, v88
	v_mul_f32_e32 v82, 0x3fb8aa3b, v82
	v_sub_f32_e32 v83, v83, v88
	v_exp_f32_e32 v82, v82
	v_mul_f32_e32 v83, 0x3fb8aa3b, v83
	v_sub_f32_e32 v70, v70, v88
	v_exp_f32_e32 v83, v83
	v_mul_f32_e32 v70, 0x3fb8aa3b, v70
	v_sub_f32_e32 v71, v71, v88
	v_cndmask_b32_e64 v68, 0, v68, s[28:29]
	v_exp_f32_e32 v70, v70
	v_mul_f32_e32 v71, 0x3fb8aa3b, v71
	v_sub_f32_e32 v84, v84, v88
	v_add_f32_e32 v91, 0, v68
	v_cndmask_b32_e64 v69, 0, v69, s[30:31]
	v_exp_f32_e32 v71, v71
	v_mul_f32_e32 v84, 0x3fb8aa3b, v84
	v_sub_f32_e32 v85, v85, v88
	v_add_f32_e32 v91, v91, v69
	v_cndmask_b32_e64 v82, 0, v82, s[34:35]
	v_exp_f32_e32 v84, v84
	v_mul_f32_e32 v85, 0x3fb8aa3b, v85
	v_sub_f32_e32 v80, v80, v88
	v_add_f32_e32 v91, v91, v82
	v_cndmask_b32_e64 v83, 0, v83, s[36:37]
	v_exp_f32_e32 v85, v85
	v_mul_f32_e32 v80, 0x3fb8aa3b, v80
	v_sub_f32_e32 v81, v81, v88
	v_add_f32_e32 v91, v91, v83
	v_cndmask_b32_e64 v70, 0, v70, s[22:23]
	v_exp_f32_e32 v80, v80
	v_mul_f32_e32 v81, 0x3fb8aa3b, v81
	v_sub_f32_e32 v78, v78, v88
	v_add_f32_e32 v91, v91, v70
	v_cndmask_b32_e64 v71, 0, v71, s[24:25]
	v_exp_f32_e32 v81, v81
	v_mul_f32_e32 v78, 0x3fb8aa3b, v78
	v_sub_f32_e32 v79, v79, v88
	v_add_f32_e32 v91, v91, v71
	v_cndmask_b32_e64 v84, 0, v84, s[18:19]
	v_exp_f32_e32 v78, v78
	v_mul_f32_e32 v79, 0x3fb8aa3b, v79
	v_sub_f32_e32 v72, v72, v88
	v_add_f32_e32 v91, v91, v84
	v_cndmask_b32_e64 v85, 0, v85, s[20:21]
	v_exp_f32_e32 v79, v79
	v_mul_f32_e32 v72, 0x3fb8aa3b, v72
	v_sub_f32_e32 v73, v73, v88
	v_add_f32_e32 v91, v91, v85
	v_cndmask_b32_e64 v80, 0, v80, s[14:15]
	v_exp_f32_e32 v72, v72
	v_mul_f32_e32 v73, 0x3fb8aa3b, v73
	v_sub_f32_e32 v66, v66, v88
	v_add_f32_e32 v91, v91, v80
	v_cndmask_b32_e64 v81, 0, v81, s[16:17]
	v_exp_f32_e32 v73, v73
	v_mul_f32_e32 v66, 0x3fb8aa3b, v66
	v_sub_f32_e32 v67, v67, v88
	v_add_f32_e32 v91, v91, v81
	v_cndmask_b32_e64 v78, 0, v78, s[10:11]
	v_exp_f32_e32 v66, v66
	v_mul_f32_e32 v67, 0x3fb8aa3b, v67
	v_add_f32_e32 v91, v91, v78
	v_cndmask_b32_e64 v79, 0, v79, s[12:13]
	v_exp_f32_e32 v67, v67
	v_add_f32_e32 v91, v91, v79
	v_cndmask_b32_e64 v72, 0, v72, s[6:7]
	v_add_f32_e32 v91, v91, v72
	v_cndmask_b32_e64 v73, 0, v73, s[8:9]
	v_add_f32_e32 v91, v91, v73
	v_cndmask_b32_e32 v66, 0, v66, vcc
	v_add_f32_e32 v91, v91, v66
	v_cndmask_b32_e64 v67, 0, v67, s[4:5]
	v_add_f32_e32 v91, v91, v67
	ds_bpermute_b32 v89, v89, v91
	v_cmp_gt_u32_e64 s[4:5], 16, v77
	s_waitcnt lgkmcnt(0)
	s_barrier
	v_add_f32_e32 v89, v91, v89
	ds_bpermute_b32 v90, v90, v89
	s_and_saveexec_b64 s[6:7], s[4:5]
	s_cbranch_execz .LBB376_15
; %bb.14:
	s_waitcnt lgkmcnt(0)
	v_add_f32_e32 v77, v89, v90
	v_lshlrev_b32_e32 v87, 2, v87
	ds_write2st64_b32 v87, v88, v77 offset1:1
.LBB376_15:
	s_or_b64 exec, exec, s[6:7]
	v_lshlrev_b32_e32 v77, 2, v76
	s_load_dword s8, s[0:1], 0x94
	s_waitcnt lgkmcnt(0)
	s_barrier
	ds_read2_b32 v[88:89], v77 offset1:16
	ds_read2_b32 v[90:91], v77 offset0:32 offset1:48
	ds_read2_b32 v[92:93], v77 offset0:64 offset1:80
	ds_read2_b32 v[94:95], v77 offset0:96 offset1:112
	s_waitcnt lgkmcnt(0)
	v_max3_f32 v87, v88, s41, v89
	v_max3_f32 v87, v87, v90, v91
	v_sub_f32_e32 v88, v88, v87
	v_mul_f32_e32 v88, 0x3fb8aa3b, v88
	v_exp_f32_e32 v86, v88
	v_sub_f32_e32 v88, v89, v87
	v_mul_f32_e32 v88, 0x3fb8aa3b, v88
	v_exp_f32_e32 v89, v88
	v_sub_f32_e32 v88, v90, v87
	v_mul_f32_e32 v88, 0x3fb8aa3b, v88
	v_sub_f32_e32 v77, v91, v87
	v_exp_f32_e32 v90, v88
	v_mul_f32_e32 v77, 0x3fb8aa3b, v77
	v_exp_f32_e32 v77, v77
	v_fma_f32 v88, v86, v92, 0
	v_fmac_f32_e32 v88, v89, v93
	v_fmac_f32_e32 v88, v90, v94
	;; [unrolled: 1-line block ×3, first 2 shown]
	v_add_f32_e32 v91, 0x358637bd, v88
	v_div_scale_f32 v92, s[6:7], v91, v91, 1.0
	v_rcp_f32_e32 v93, v92
	s_barrier
	s_mul_i32 s9, s27, 13
	v_fma_f32 v94, -v92, v93, 1.0
	v_fmac_f32_e32 v93, v94, v93
	v_div_scale_f32 v94, vcc, 1.0, v91, 1.0
	v_mul_f32_e32 v95, v94, v93
	v_fma_f32 v1, -v92, v95, v94
	v_fmac_f32_e32 v95, v1, v93
	v_fma_f32 v1, -v92, v95, v94
	v_div_fmas_f32 v1, v1, v93, v95
	v_div_fixup_f32 v1, v1, v91, 1.0
	v_lshrrev_b32_e32 v91, 6, v0
	v_cmp_eq_u32_e32 vcc, 1, v91
	s_nop 1
	v_cndmask_b32_e32 v86, v86, v89, vcc
	v_cmp_eq_u32_e32 vcc, 2, v91
	s_nop 1
	v_cndmask_b32_e32 v86, v86, v90, vcc
	;; [unrolled: 3-line block ×3, first 2 shown]
	v_mul_f32_e32 v90, v77, v1
	v_pk_mul_f32 v[82:83], v[90:91], v[82:83] op_sel_hi:[0,1]
	v_pk_mul_f32 v[68:69], v[90:91], v[68:69] op_sel_hi:[0,1]
	v_cvt_f16_f32_e32 v1, v68
	v_cvt_f16_f32_e32 v68, v69
	;; [unrolled: 1-line block ×4, first 2 shown]
	v_pk_mul_f32 v[84:85], v[90:91], v[84:85] op_sel_hi:[0,1]
	v_pk_mul_f32 v[70:71], v[90:91], v[70:71] op_sel_hi:[0,1]
	v_bfe_u32 v86, v0, 4, 2
	v_pack_b32_f16 v83, v69, v77
	v_cvt_f16_f32_e32 v69, v70
	v_cvt_f16_f32_e32 v70, v71
	;; [unrolled: 1-line block ×4, first 2 shown]
	v_pack_b32_f16 v82, v1, v68
	v_lshlrev_b32_e32 v1, 3, v86
	v_lshlrev_b32_e32 v68, 5, v76
	v_lshlrev_b32_e32 v84, 11, v91
	v_or3_b32 v1, v84, v68, v1
	v_pack_b32_f16 v70, v69, v70
	v_pack_b32_f16 v71, v71, v77
	ds_write2st64_b64 v1, v[82:83], v[70:71] offset1:1
	v_pk_mul_f32 v[70:71], v[90:91], v[78:79] op_sel_hi:[0,1]
	v_pk_mul_f32 v[78:79], v[90:91], v[80:81] op_sel_hi:[0,1]
	v_cvt_f16_f32_e32 v69, v78
	v_cvt_f16_f32_e32 v77, v79
	;; [unrolled: 1-line block ×4, first 2 shown]
	v_pk_mul_f32 v[66:67], v[90:91], v[66:67] op_sel_hi:[0,1]
	v_pk_mul_f32 v[70:71], v[90:91], v[72:73] op_sel_hi:[0,1]
	v_cvt_f16_f32_e32 v70, v70
	v_cvt_f16_f32_e32 v71, v71
	;; [unrolled: 1-line block ×4, first 2 shown]
	v_pack_b32_f16 v66, v69, v77
	v_pack_b32_f16 v67, v78, v79
	v_pack_b32_f16 v70, v70, v71
	v_pack_b32_f16 v71, v72, v73
	v_cmp_gt_u32_e32 vcc, 13, v0
	ds_write2st64_b64 v1, v[66:67], v[70:71] offset0:2 offset1:3
	s_and_saveexec_b64 s[6:7], vcc
	s_cbranch_execz .LBB376_17
; %bb.16:
	s_mov_b32 s41, 0
	v_mov_b32_e32 v77, 0
	v_lshl_add_u64 v[66:67], s[40:41], 0, v[76:77]
	v_mov_b32_e32 v69, s9
	v_mad_u64_u32 v[66:67], s[10:11], s2, v69, v[66:67]
	s_mul_i32 s3, s3, s9
	v_mov_b32_e32 v70, s26
	v_mov_b32_e32 v71, v77
	s_load_dwordx4 s[12:15], s[0:1], 0x58
	v_add_u32_e32 v69, s3, v67
	v_mad_u64_u32 v[66:67], s[10:11], v66, s8, v[70:71]
	v_mov_b32_e32 v70, v67
	v_mad_u64_u32 v[70:71], s[10:11], v69, s8, v[70:71]
	v_mov_b32_e32 v67, v70
	v_lshlrev_b64 v[66:67], 2, v[66:67]
	s_waitcnt lgkmcnt(0)
	v_lshl_add_u64 v[70:71], s[14:15], 0, v[66:67]
	v_lshl_add_u64 v[66:67], s[12:13], 0, v[66:67]
	global_store_dword v[70:71], v87, off
	global_store_dword v[66:67], v88, off
.LBB376_17:
	s_or_b64 exec, exec, s[6:7]
	v_lshl_or_b32 v77, v86, 9, v68
	s_waitcnt lgkmcnt(0)
	s_barrier
	ds_read_b128 v[70:73], v77
	ds_read_b128 v[66:69], v77 offset:16
	s_waitcnt vmcnt(15) lgkmcnt(1)
	v_mfma_f32_16x16x16_f16 v[78:81], v[30:31], v[70:71], 0
	s_mov_b32 s3, 0
	v_cmp_gt_u32_e32 vcc, 64, v0
	v_mfma_f32_16x16x16_f16 v[30:33], v[32:33], v[72:73], v[78:81]
	s_waitcnt vmcnt(14) lgkmcnt(0)
	v_mfma_f32_16x16x16_f16 v[30:33], v[26:27], v[66:67], v[30:33]
	v_mfma_f32_16x16x16_f16 v[26:29], v[28:29], v[68:69], v[30:33]
	s_nop 5
	ds_read_b128 v[30:33], v77 offset:2048
	ds_read_b128 v[78:81], v77 offset:2064
	s_waitcnt vmcnt(13) lgkmcnt(1)
	v_mfma_f32_16x16x16_f16 v[26:29], v[22:23], v[30:31], v[26:29]
	v_mfma_f32_16x16x16_f16 v[22:25], v[24:25], v[32:33], v[26:29]
	s_waitcnt vmcnt(12) lgkmcnt(0)
	v_mfma_f32_16x16x16_f16 v[22:25], v[18:19], v[78:79], v[22:25]
	v_mfma_f32_16x16x16_f16 v[18:21], v[20:21], v[80:81], v[22:25]
	s_nop 5
	ds_read_b128 v[22:25], v77 offset:4096
	ds_read_b128 v[26:29], v77 offset:4112
	s_waitcnt vmcnt(11) lgkmcnt(1)
	v_mfma_f32_16x16x16_f16 v[18:21], v[14:15], v[22:23], v[18:21]
	v_mfma_f32_16x16x16_f16 v[14:17], v[16:17], v[24:25], v[18:21]
	s_waitcnt vmcnt(10) lgkmcnt(0)
	v_mfma_f32_16x16x16_f16 v[14:17], v[10:11], v[26:27], v[14:17]
	v_mfma_f32_16x16x16_f16 v[10:13], v[12:13], v[28:29], v[14:17]
	s_nop 5
	ds_read_b128 v[14:17], v77 offset:6144
	ds_read_b128 v[18:21], v77 offset:6160
	s_waitcnt lgkmcnt(0)
	s_barrier
	s_waitcnt vmcnt(9)
	v_mfma_f32_16x16x16_f16 v[10:13], v[6:7], v[14:15], v[10:13]
	v_mfma_f32_16x16x16_f16 v[6:9], v[8:9], v[16:17], v[10:13]
	s_waitcnt vmcnt(8)
	v_mfma_f32_16x16x16_f16 v[6:9], v[2:3], v[18:19], v[6:9]
	v_mfma_f32_16x16x16_f16 v[2:5], v[4:5], v[20:21], v[6:9]
	;; [unrolled: 3-line block ×3, first 2 shown]
	s_nop 3
	v_cvt_f16_f32_e32 v10, v2
	v_cvt_f16_f32_e32 v11, v3
	;; [unrolled: 1-line block ×3, first 2 shown]
	s_waitcnt vmcnt(6)
	v_mfma_f32_16x16x16_f16 v[6:9], v[38:39], v[66:67], v[6:9]
	v_cvt_f16_f32_e32 v13, v5
	v_mfma_f32_16x16x16_f16 v[6:9], v[40:41], v[68:69], v[6:9]
	s_waitcnt vmcnt(5)
	v_mfma_f32_16x16x16_f16 v[6:9], v[42:43], v[30:31], v[6:9]
	v_mfma_f32_16x16x16_f16 v[6:9], v[44:45], v[32:33], v[6:9]
	s_waitcnt vmcnt(4)
	v_mfma_f32_16x16x16_f16 v[6:9], v[34:35], v[78:79], v[6:9]
	;; [unrolled: 3-line block ×6, first 2 shown]
	v_mfma_f32_16x16x16_f16 v[2:5], v[60:61], v[20:21], v[6:9]
	s_nop 6
	v_cvt_f16_f32_e32 v6, v2
	v_cvt_f16_f32_e32 v7, v3
	;; [unrolled: 1-line block ×4, first 2 shown]
	v_pack_b32_f16 v2, v10, v11
	v_pack_b32_f16 v3, v12, v13
	;; [unrolled: 1-line block ×4, first 2 shown]
	ds_write2st64_b64 v1, v[2:3], v[4:5] offset1:1
	s_waitcnt lgkmcnt(0)
	s_barrier
	s_and_saveexec_b64 s[6:7], vcc
	s_cbranch_execz .LBB376_20
; %bb.18:
	s_load_dwordx2 s[6:7], s[0:1], 0x68
	s_lshl_b32 s0, s8, 7
	s_mul_i32 s1, s9, s2
	v_lshlrev_b32_e32 v3, 6, v76
	s_mul_hi_u32 s9, s1, s0
	s_mul_i32 s8, s1, s0
	v_lshlrev_b32_e32 v2, 4, v0
	v_lshl_or_b32 v0, v0, 10, v3
	s_lshl_b64 s[8:9], s[8:9], 1
	v_lshlrev_b32_e32 v1, 5, v86
	v_and_b32_e32 v2, 16, v2
	v_and_b32_e32 v0, 0x1a00, v0
	s_waitcnt lgkmcnt(0)
	s_add_u32 s1, s6, s8
	v_or3_b32 v2, v0, v1, v2
	s_addc_u32 s6, s7, s9
	s_lshl_b32 s2, s26, 7
	ds_read_b128 v[4:7], v2 offset:256
	s_lshl_b64 s[2:3], s[2:3], 1
	ds_read_b128 v[8:11], v2 offset:128
	ds_read_b128 v[12:15], v2
	s_add_u32 s2, s1, s2
	s_addc_u32 s3, s6, s3
	v_add_u32_e32 v3, s40, v86
	v_lshl_add_u64 v[0:1], v[74:75], 1, s[2:3]
	v_mad_u64_u32 v[16:17], s[2:3], v3, s0, 0
	v_lshl_add_u64 v[16:17], v[16:17], 1, v[0:1]
	s_waitcnt lgkmcnt(0)
	global_store_dwordx4 v[16:17], v[12:15], off
	s_nop 1
	v_add_u32_e32 v12, 4, v3
	v_mad_u64_u32 v[12:13], s[2:3], v12, s0, 0
	v_lshl_add_u64 v[12:13], v[12:13], 1, v[0:1]
	v_add_u32_e32 v3, 8, v3
	global_store_dwordx4 v[12:13], v[8:11], off
	s_nop 1
	v_mad_u64_u32 v[8:9], s[2:3], v3, s0, 0
	v_lshl_add_u64 v[8:9], v[8:9], 1, v[0:1]
	global_store_dwordx4 v[8:9], v[4:7], off
	s_and_b64 exec, exec, s[4:5]
	s_cbranch_execz .LBB376_20
; %bb.19:
	ds_read_b128 v[2:5], v2 offset:384
	v_add3_u32 v6, s40, v86, 12
	v_mad_u64_u32 v[6:7], s[0:1], v6, s0, 0
	v_lshl_add_u64 v[0:1], v[6:7], 1, v[0:1]
	s_waitcnt lgkmcnt(0)
	global_store_dwordx4 v[0:1], v[2:5], off
.LBB376_20:
	s_endpgm
	.section	.rodata,"a",@progbits
	.p2align	6, 0x0
	.amdhsa_kernel _Z39paged_attention_ll4mi_QKV_mfma16_kernelIDF16_DF16_LN4vllm18Fp8KVCacheDataTypeE0EDF16_Li32ELi128ELi256ELb0ELi13EEvPKT_PKT0_S7_ifPKiS9_S9_iPKfiiiPfSC_PS2_PT2_iSB_SB_
		.amdhsa_group_segment_fixed_size 8192
		.amdhsa_private_segment_fixed_size 0
		.amdhsa_kernarg_size 400
		.amdhsa_user_sgpr_count 2
		.amdhsa_user_sgpr_dispatch_ptr 0
		.amdhsa_user_sgpr_queue_ptr 0
		.amdhsa_user_sgpr_kernarg_segment_ptr 1
		.amdhsa_user_sgpr_dispatch_id 0
		.amdhsa_user_sgpr_kernarg_preload_length 0
		.amdhsa_user_sgpr_kernarg_preload_offset 0
		.amdhsa_user_sgpr_private_segment_size 0
		.amdhsa_uses_dynamic_stack 0
		.amdhsa_enable_private_segment 0
		.amdhsa_system_sgpr_workgroup_id_x 1
		.amdhsa_system_sgpr_workgroup_id_y 1
		.amdhsa_system_sgpr_workgroup_id_z 1
		.amdhsa_system_sgpr_workgroup_info 0
		.amdhsa_system_vgpr_workitem_id 0
		.amdhsa_next_free_vgpr 96
		.amdhsa_next_free_sgpr 42
		.amdhsa_accum_offset 96
		.amdhsa_reserve_vcc 1
		.amdhsa_float_round_mode_32 0
		.amdhsa_float_round_mode_16_64 0
		.amdhsa_float_denorm_mode_32 3
		.amdhsa_float_denorm_mode_16_64 3
		.amdhsa_dx10_clamp 1
		.amdhsa_ieee_mode 1
		.amdhsa_fp16_overflow 0
		.amdhsa_tg_split 0
		.amdhsa_exception_fp_ieee_invalid_op 0
		.amdhsa_exception_fp_denorm_src 0
		.amdhsa_exception_fp_ieee_div_zero 0
		.amdhsa_exception_fp_ieee_overflow 0
		.amdhsa_exception_fp_ieee_underflow 0
		.amdhsa_exception_fp_ieee_inexact 0
		.amdhsa_exception_int_div_zero 0
	.end_amdhsa_kernel
	.section	.text._Z39paged_attention_ll4mi_QKV_mfma16_kernelIDF16_DF16_LN4vllm18Fp8KVCacheDataTypeE0EDF16_Li32ELi128ELi256ELb0ELi13EEvPKT_PKT0_S7_ifPKiS9_S9_iPKfiiiPfSC_PS2_PT2_iSB_SB_,"axG",@progbits,_Z39paged_attention_ll4mi_QKV_mfma16_kernelIDF16_DF16_LN4vllm18Fp8KVCacheDataTypeE0EDF16_Li32ELi128ELi256ELb0ELi13EEvPKT_PKT0_S7_ifPKiS9_S9_iPKfiiiPfSC_PS2_PT2_iSB_SB_,comdat
.Lfunc_end376:
	.size	_Z39paged_attention_ll4mi_QKV_mfma16_kernelIDF16_DF16_LN4vllm18Fp8KVCacheDataTypeE0EDF16_Li32ELi128ELi256ELb0ELi13EEvPKT_PKT0_S7_ifPKiS9_S9_iPKfiiiPfSC_PS2_PT2_iSB_SB_, .Lfunc_end376-_Z39paged_attention_ll4mi_QKV_mfma16_kernelIDF16_DF16_LN4vllm18Fp8KVCacheDataTypeE0EDF16_Li32ELi128ELi256ELb0ELi13EEvPKT_PKT0_S7_ifPKiS9_S9_iPKfiiiPfSC_PS2_PT2_iSB_SB_
                                        ; -- End function
	.section	.AMDGPU.csdata,"",@progbits
; Kernel info:
; codeLenInByte = 4628
; NumSgprs: 48
; NumVgprs: 96
; NumAgprs: 0
; TotalNumVgprs: 96
; ScratchSize: 0
; MemoryBound: 0
; FloatMode: 240
; IeeeMode: 1
; LDSByteSize: 8192 bytes/workgroup (compile time only)
; SGPRBlocks: 5
; VGPRBlocks: 11
; NumSGPRsForWavesPerEU: 48
; NumVGPRsForWavesPerEU: 96
; AccumOffset: 96
; Occupancy: 5
; WaveLimiterHint : 1
; COMPUTE_PGM_RSRC2:SCRATCH_EN: 0
; COMPUTE_PGM_RSRC2:USER_SGPR: 2
; COMPUTE_PGM_RSRC2:TRAP_HANDLER: 0
; COMPUTE_PGM_RSRC2:TGID_X_EN: 1
; COMPUTE_PGM_RSRC2:TGID_Y_EN: 1
; COMPUTE_PGM_RSRC2:TGID_Z_EN: 1
; COMPUTE_PGM_RSRC2:TIDIG_COMP_CNT: 0
; COMPUTE_PGM_RSRC3_GFX90A:ACCUM_OFFSET: 23
; COMPUTE_PGM_RSRC3_GFX90A:TG_SPLIT: 0
	.section	.text._Z39paged_attention_ll4mi_QKV_mfma16_kernelIDF16_DF16_LN4vllm18Fp8KVCacheDataTypeE0EDF16_Li32ELi128ELi256ELb0ELi14EEvPKT_PKT0_S7_ifPKiS9_S9_iPKfiiiPfSC_PS2_PT2_iSB_SB_,"axG",@progbits,_Z39paged_attention_ll4mi_QKV_mfma16_kernelIDF16_DF16_LN4vllm18Fp8KVCacheDataTypeE0EDF16_Li32ELi128ELi256ELb0ELi14EEvPKT_PKT0_S7_ifPKiS9_S9_iPKfiiiPfSC_PS2_PT2_iSB_SB_,comdat
	.protected	_Z39paged_attention_ll4mi_QKV_mfma16_kernelIDF16_DF16_LN4vllm18Fp8KVCacheDataTypeE0EDF16_Li32ELi128ELi256ELb0ELi14EEvPKT_PKT0_S7_ifPKiS9_S9_iPKfiiiPfSC_PS2_PT2_iSB_SB_ ; -- Begin function _Z39paged_attention_ll4mi_QKV_mfma16_kernelIDF16_DF16_LN4vllm18Fp8KVCacheDataTypeE0EDF16_Li32ELi128ELi256ELb0ELi14EEvPKT_PKT0_S7_ifPKiS9_S9_iPKfiiiPfSC_PS2_PT2_iSB_SB_
	.globl	_Z39paged_attention_ll4mi_QKV_mfma16_kernelIDF16_DF16_LN4vllm18Fp8KVCacheDataTypeE0EDF16_Li32ELi128ELi256ELb0ELi14EEvPKT_PKT0_S7_ifPKiS9_S9_iPKfiiiPfSC_PS2_PT2_iSB_SB_
	.p2align	8
	.type	_Z39paged_attention_ll4mi_QKV_mfma16_kernelIDF16_DF16_LN4vllm18Fp8KVCacheDataTypeE0EDF16_Li32ELi128ELi256ELb0ELi14EEvPKT_PKT0_S7_ifPKiS9_S9_iPKfiiiPfSC_PS2_PT2_iSB_SB_,@function
_Z39paged_attention_ll4mi_QKV_mfma16_kernelIDF16_DF16_LN4vllm18Fp8KVCacheDataTypeE0EDF16_Li32ELi128ELi256ELb0ELi14EEvPKT_PKT0_S7_ifPKiS9_S9_iPKfiiiPfSC_PS2_PT2_iSB_SB_: ; @_Z39paged_attention_ll4mi_QKV_mfma16_kernelIDF16_DF16_LN4vllm18Fp8KVCacheDataTypeE0EDF16_Li32ELi128ELi256ELb0ELi14EEvPKT_PKT0_S7_ifPKiS9_S9_iPKfiiiPfSC_PS2_PT2_iSB_SB_
; %bb.0:
	s_load_dwordx2 s[8:9], s[0:1], 0x30
	s_mov_b32 s26, s3
	s_mov_b64 s[6:7], 0
	s_waitcnt lgkmcnt(0)
	s_cmp_lg_u64 s[8:9], 0
	s_cselect_b64 s[10:11], -1, 0
	s_and_b64 vcc, exec, s[10:11]
	s_cbranch_vccz .LBB377_7
; %bb.1:
	s_add_i32 s12, s2, 1
	s_mov_b32 s13, 0
	s_lshl_b64 s[14:15], s[12:13], 2
	s_add_u32 s14, s8, s14
	s_mov_b32 s3, s13
	s_addc_u32 s15, s9, s15
	s_lshl_b64 s[12:13], s[2:3], 2
	s_add_u32 s12, s8, s12
	s_addc_u32 s13, s9, s13
	s_load_dword s5, s[14:15], 0x0
	s_load_dword s16, s[12:13], 0x0
	s_waitcnt lgkmcnt(0)
	s_sub_i32 s5, s5, s16
	s_cmp_eq_u32 s5, 1
	s_cselect_b64 s[12:13], -1, 0
	s_andn2_b64 vcc, exec, s[6:7]
	s_cbranch_vccnz .LBB377_3
.LBB377_2:
	s_mov_b32 s3, 0
	s_mov_b64 s[12:13], -1
.LBB377_3:
	s_andn2_b64 vcc, exec, s[12:13]
	s_cbranch_vccnz .LBB377_20
; %bb.4:
	s_load_dwordx2 s[6:7], s[0:1], 0x28
	s_lshl_b64 s[12:13], s[2:3], 2
	s_waitcnt lgkmcnt(0)
	s_add_u32 s6, s6, s12
	s_addc_u32 s7, s7, s13
	s_load_dword s33, s[6:7], 0x0
	s_lshl_b32 s18, s26, 8
	s_waitcnt lgkmcnt(0)
	s_cmp_ge_i32 s18, s33
	s_cbranch_scc1 .LBB377_20
; %bb.5:
	s_load_dwordx2 s[6:7], s[0:1], 0x20
	s_load_dword s5, s[0:1], 0x38
	s_add_i32 s14, s33, 31
	s_ashr_i32 s15, s14, 31
	v_and_b32_e32 v1, 0xcf, v0
	s_lshr_b32 s15, s15, 27
	v_add_u32_e32 v1, s18, v1
	s_add_i32 s14, s14, s15
	v_ashrrev_i32_e32 v2, 31, v1
	s_ashr_i32 s19, s14, 5
	v_lshrrev_b32_e32 v4, 27, v2
	s_add_i32 s19, s19, -1
	s_waitcnt lgkmcnt(0)
	s_mul_i32 s14, s2, s5
	s_mov_b32 s15, 0
	v_add_u32_e32 v2, v1, v4
	s_lshl_b64 s[14:15], s[14:15], 2
	v_ashrrev_i32_e32 v2, 5, v2
	v_mov_b32_e32 v5, s19
	v_cmp_gt_i32_e32 vcc, s33, v1
	s_add_u32 s6, s6, s14
	s_addc_u32 s7, s7, s15
	v_cndmask_b32_e32 v2, v5, v2, vcc
	v_ashrrev_i32_e32 v3, 31, v2
	v_lshl_add_u64 v[6:7], v[2:3], 2, s[6:7]
	v_or_b32_e32 v2, 16, v1
	v_add_u32_e32 v3, v2, v4
	v_ashrrev_i32_e32 v3, 5, v3
	v_cmp_gt_i32_e32 vcc, s33, v2
	s_nop 1
	v_cndmask_b32_e32 v2, v5, v3, vcc
	v_ashrrev_i32_e32 v3, 31, v2
	v_lshl_add_u64 v[8:9], v[2:3], 2, s[6:7]
	v_or_b32_e32 v2, 32, v1
	v_add_u32_e32 v3, v2, v4
	v_ashrrev_i32_e32 v3, 5, v3
	v_cmp_gt_i32_e32 vcc, s33, v2
	v_or_b32_e32 v1, 48, v1
	s_nop 0
	v_cndmask_b32_e32 v2, v5, v3, vcc
	v_ashrrev_i32_e32 v3, 31, v2
	v_lshl_add_u64 v[10:11], v[2:3], 2, s[6:7]
	v_add_u32_e32 v2, v1, v4
	v_ashrrev_i32_e32 v2, 5, v2
	v_cmp_gt_i32_e32 vcc, s33, v1
	s_nop 1
	v_cndmask_b32_e32 v2, v5, v2, vcc
	v_ashrrev_i32_e32 v3, 31, v2
	v_lshl_add_u64 v[12:13], v[2:3], 2, s[6:7]
	global_load_dword v2, v[6:7], off
	global_load_dword v5, v[8:9], off
	;; [unrolled: 1-line block ×4, first 2 shown]
	s_andn2_b64 vcc, exec, s[10:11]
	s_cbranch_vccnz .LBB377_8
; %bb.6:
	s_add_u32 s8, s8, s12
	s_addc_u32 s9, s9, s13
	s_load_dword s5, s[8:9], 0x0
	s_branch .LBB377_9
.LBB377_7:
	s_mov_b64 s[12:13], 0
	s_branch .LBB377_2
.LBB377_8:
	s_mov_b32 s5, s2
.LBB377_9:
	s_load_dwordx4 s[12:15], s[0:1], 0x8
	s_load_dwordx4 s[8:11], s[0:1], 0x48
	v_lshrrev_b32_e32 v86, 6, v0
	v_bfe_u32 v1, v0, 4, 2
	v_lshl_or_b32 v3, v86, 2, v1
	v_and_b32_e32 v76, 15, v0
	v_lshlrev_b32_e32 v74, 3, v76
	v_cmp_lt_u32_e32 vcc, 13, v3
	s_and_saveexec_b64 s[16:17], vcc
	s_xor_b64 s[16:17], exec, s[16:17]
; %bb.10:
	v_mov_b32_e32 v75, 0
                                        ; implicit-def: $vgpr3
; %bb.11:
	s_or_saveexec_b64 s[16:17], s[16:17]
	v_and_b32_e32 v77, 63, v0
	s_mul_i32 s40, s4, 14
	s_xor_b64 exec, exec, s[16:17]
	s_cbranch_execz .LBB377_13
; %bb.12:
	s_load_dwordx2 s[20:21], s[0:1], 0x0
	s_waitcnt lgkmcnt(0)
	s_ashr_i32 s11, s8, 31
	s_mul_hi_u32 s22, s5, s8
	s_mul_i32 s11, s5, s11
	s_add_i32 s23, s22, s11
	s_mul_i32 s22, s5, s8
	s_lshl_b64 s[22:23], s[22:23], 1
	s_add_u32 s20, s20, s22
	v_add_lshl_u32 v6, v3, s40, 7
	s_addc_u32 s21, s21, s23
	v_ashrrev_i32_e32 v7, 31, v6
	v_mov_b32_e32 v75, 0
	v_lshl_add_u64 v[6:7], v[6:7], 1, s[20:21]
	v_lshlrev_b32_e32 v8, 1, v74
	v_mov_b32_e32 v9, v75
	v_lshl_add_u64 v[6:7], v[6:7], 0, v[8:9]
	global_load_dwordx4 v[6:9], v[6:7], off
	v_and_b32_e32 v10, 3, v0
	v_lshlrev_b32_e32 v11, 9, v76
	v_lshlrev_b32_e32 v3, 5, v3
	v_lshlrev_b32_e32 v10, 9, v10
	v_and_b32_e32 v11, 0x1800, v11
	v_or3_b32 v3, v11, v10, v3
	s_waitcnt vmcnt(0)
	ds_write_b128 v3, v[6:9]
.LBB377_13:
	s_or_b64 exec, exec, s[16:17]
	s_waitcnt lgkmcnt(0)
	s_mul_i32 s4, s4, s10
	s_mov_b32 s5, 0
	s_lshl_b64 s[4:5], s[4:5], 1
	s_add_u32 s10, s12, s4
	s_addc_u32 s11, s13, s5
	s_waitcnt vmcnt(3)
	v_mad_i64_i32 v[2:3], s[12:13], v2, s9, 0
	v_lshl_add_u64 v[6:7], v[2:3], 1, s[10:11]
	v_lshlrev_b64 v[2:3], 1, v[74:75]
	v_lshlrev_b32_e32 v50, 9, v1
	v_lshl_add_u64 v[6:7], v[6:7], 0, v[2:3]
	v_mov_b32_e32 v51, 0
	v_lshl_add_u64 v[8:9], v[6:7], 0, v[50:51]
	s_load_dword s27, s[0:1], 0x98
	s_load_dword s8, s[0:1], 0x1c
	s_waitcnt lgkmcnt(0)
	s_barrier
	global_load_dwordx4 v[38:41], v[8:9], off
	s_waitcnt vmcnt(3)
	v_mad_i64_i32 v[10:11], s[12:13], v5, s9, 0
	v_mov_b32_e32 v5, 0x100
	v_lshl_add_u64 v[10:11], v[10:11], 1, s[10:11]
	v_lshl_or_b32 v54, v76, 4, v5
	v_mov_b32_e32 v55, v51
	v_lshl_add_u64 v[22:23], v[10:11], 0, v[54:55]
	v_lshl_add_u64 v[10:11], v[22:23], 0, v[50:51]
	global_load_dwordx4 v[42:45], v[10:11], off
	global_load_dwordx4 v[18:21], v[8:9], off offset:2048
	global_load_dwordx4 v[26:29], v[10:11], off offset:2048
	v_or_b32_e32 v56, 0x1000, v50
	v_mov_b32_e32 v57, v51
	v_or_b32_e32 v52, 0x1800, v50
	v_mov_b32_e32 v53, v51
	v_lshl_add_u64 v[8:9], v[6:7], 0, v[56:57]
	v_lshl_add_u64 v[6:7], v[6:7], 0, v[52:53]
	global_load_dwordx4 v[14:17], v[8:9], off
	global_load_dwordx4 v[10:13], v[6:7], off
	v_lshl_add_u64 v[8:9], v[22:23], 0, v[56:57]
	global_load_dwordx4 v[30:33], v[8:9], off
	s_waitcnt vmcnt(8)
	v_mad_i64_i32 v[4:5], s[12:13], v4, s9, 0
	v_lshl_add_u64 v[4:5], v[4:5], 1, s[10:11]
	v_lshl_add_u64 v[60:61], v[4:5], 0, v[2:3]
	v_add_u32_e32 v2, -14, v76
	v_cmp_gt_u32_e32 vcc, 14, v76
	v_lshl_add_u64 v[6:7], v[22:23], 0, v[52:53]
	global_load_dwordx4 v[22:25], v[6:7], off
	v_cndmask_b32_e32 v2, v2, v76, vcc
	v_lshl_add_u64 v[58:59], v[60:61], 0, v[50:51]
	v_lshl_add_u32 v62, v2, 5, v50
	global_load_dwordx4 v[34:37], v[58:59], off
	ds_read_b128 v[6:9], v62
	ds_read_b128 v[2:5], v62 offset:2048
	s_waitcnt vmcnt(9)
	v_mad_i64_i32 v[72:73], s[12:13], v46, s9, 0
	s_ashr_i32 s12, s18, 31
	v_and_or_b32 v78, v0, 48, s18
	v_or_b32_e32 v80, 64, v78
	v_mov_b32_e32 v79, s19
	v_cmp_gt_i32_e32 vcc, s33, v78
	v_or_b32_e32 v81, 0x80, v78
	v_or_b32_e32 v82, 0xc0, v78
	v_lshl_or_b32 v87, v86, 4, v76
	s_mov_b32 s41, 0xff7fffff
	s_waitcnt vmcnt(7) lgkmcnt(1)
	v_mfma_f32_16x16x16_f16 v[68:71], v[42:43], v[6:7], 0
	v_mfma_f32_16x16x16_f16 v[64:67], v[38:39], v[6:7], 0
	;; [unrolled: 1-line block ×3, first 2 shown]
	ds_read_b128 v[46:49], v62 offset:4096
	ds_read_b128 v[38:41], v62 offset:6144
	v_lshl_add_u64 v[62:63], v[72:73], 1, s[10:11]
	v_lshl_add_u64 v[72:73], v[62:63], 0, v[54:55]
	v_mfma_f32_16x16x16_f16 v[42:45], v[44:45], v[8:9], v[68:71]
	v_lshl_add_u64 v[54:55], v[60:61], 0, v[56:57]
	s_lshr_b32 s10, s12, 27
	v_add_u32_e32 v83, s10, v81
	s_waitcnt vmcnt(6) lgkmcnt(2)
	v_mfma_f32_16x16x16_f16 v[62:65], v[18:19], v[2:3], v[64:67]
	v_add_u32_e32 v70, s10, v78
	v_add_u32_e32 v71, s10, v80
	v_lshl_add_u64 v[68:69], v[72:73], 0, v[50:51]
	v_lshl_add_u64 v[66:67], v[60:61], 0, v[52:53]
	global_load_dwordx4 v[58:61], v[58:59], off offset:2048
	s_waitcnt vmcnt(6)
	v_mfma_f32_16x16x16_f16 v[42:45], v[26:27], v[2:3], v[42:45]
	v_ashrrev_i32_e32 v50, 5, v70
	v_add_u32_e32 v84, s10, v82
	s_add_u32 s4, s14, s4
	v_mfma_f32_16x16x16_f16 v[18:21], v[20:21], v[4:5], v[62:65]
	s_addc_u32 s5, s15, s5
	v_mfma_f32_16x16x16_f16 v[26:29], v[28:29], v[4:5], v[42:45]
	s_nop 0
	v_lshl_add_u64 v[62:63], v[72:73], 0, v[56:57]
	v_ashrrev_i32_e32 v56, 5, v71
	v_ashrrev_i32_e32 v64, 5, v83
	s_waitcnt vmcnt(5) lgkmcnt(1)
	v_mfma_f32_16x16x16_f16 v[18:21], v[14:15], v[46:47], v[18:21]
	global_load_dwordx4 v[42:45], v[54:55], off
	v_cndmask_b32_e32 v14, v79, v50, vcc
	v_cmp_gt_i32_e32 vcc, s33, v80
	s_waitcnt vmcnt(4)
	v_mfma_f32_16x16x16_f16 v[26:29], v[30:31], v[46:47], v[26:29]
	v_ashrrev_i32_e32 v15, 31, v14
	v_cndmask_b32_e32 v30, v79, v56, vcc
	v_ashrrev_i32_e32 v31, 31, v30
	v_lshl_add_u64 v[14:15], v[14:15], 2, s[6:7]
	v_lshl_add_u64 v[30:31], v[30:31], 2, s[6:7]
	global_load_dword v92, v[14:15], off
	global_load_dword v93, v[30:31], off
	v_mfma_f32_16x16x16_f16 v[14:17], v[16:17], v[48:49], v[18:21]
	v_cmp_gt_i32_e32 vcc, s33, v81
	v_ashrrev_i32_e32 v83, 5, v84
	s_nop 0
	global_load_dwordx4 v[18:21], v[66:67], off
	s_waitcnt lgkmcnt(0)
	v_mfma_f32_16x16x16_f16 v[14:17], v[10:11], v[38:39], v[14:17]
	v_cndmask_b32_e32 v10, v79, v64, vcc
	v_ashrrev_i32_e32 v11, 31, v10
	v_lshl_add_u64 v[10:11], v[10:11], 2, s[6:7]
	v_mfma_f32_16x16x16_f16 v[64:67], v[12:13], v[40:41], v[14:17]
	global_load_dword v94, v[10:11], off
	v_cmp_gt_i32_e32 vcc, s33, v82
	s_nop 0
	v_lshl_add_u64 v[14:15], v[72:73], 0, v[52:53]
	global_load_dwordx4 v[88:91], v[14:15], off
	global_load_dwordx4 v[54:57], v[68:69], off
	v_cndmask_b32_e32 v10, v79, v83, vcc
	global_load_dwordx4 v[68:71], v[68:69], off offset:2048
	v_ashrrev_i32_e32 v11, 31, v10
	global_load_dwordx4 v[82:85], v[62:63], off
	v_lshl_add_u64 v[10:11], v[10:11], 2, s[6:7]
	global_load_dword v95, v[10:11], off
	s_waitcnt vmcnt(11)
	v_mfma_f32_16x16x16_f16 v[10:13], v[34:35], v[6:7], 0
	v_and_b32_e32 v14, 16, v0
	v_lshlrev_b32_e32 v50, 1, v14
	v_mfma_f32_16x16x16_f16 v[10:13], v[36:37], v[8:9], v[10:13]
	v_lshl_add_u64 v[36:37], s[4:5], 0, v[50:51]
	v_lshlrev_b32_e32 v50, 6, v87
	s_waitcnt vmcnt(8)
	v_mad_i64_i32 v[14:15], s[4:5], v92, s9, 0
	v_mfma_f32_16x16x16_f16 v[10:13], v[58:59], v[2:3], v[10:13]
	v_lshlrev_b64 v[72:73], 1, v[14:15]
	v_mfma_f32_16x16x16_f16 v[10:13], v[60:61], v[4:5], v[10:13]
	v_lshl_add_u64 v[60:61], v[36:37], 0, v[50:51]
	v_lshl_add_u64 v[14:15], v[60:61], 0, v[72:73]
	v_or_b32_e32 v50, 0x1000, v50
	v_mfma_f32_16x16x16_f16 v[10:13], v[42:43], v[46:47], v[10:13]
	v_lshl_add_u64 v[62:63], v[36:37], 0, v[50:51]
	v_lshl_add_u64 v[50:51], v[62:63], 0, v[72:73]
	v_mfma_f32_16x16x16_f16 v[26:29], v[32:33], v[48:49], v[26:29]
	v_mfma_f32_16x16x16_f16 v[10:13], v[44:45], v[48:49], v[10:13]
	;; [unrolled: 1-line block ×3, first 2 shown]
	s_waitcnt vmcnt(6)
	v_mfma_f32_16x16x16_f16 v[10:13], v[18:19], v[38:39], v[10:13]
	v_mfma_f32_16x16x16_f16 v[78:81], v[24:25], v[40:41], v[26:29]
	global_load_dwordx4 v[30:33], v[14:15], off
	s_nop 2
	global_load_dwordx4 v[26:29], v[14:15], off offset:16
	v_mad_i64_i32 v[14:15], s[4:5], v93, s9, 0
	v_lshlrev_b64 v[34:35], 1, v[14:15]
	v_mfma_f32_16x16x16_f16 v[42:45], v[20:21], v[40:41], v[10:13]
	s_nop 2
	v_lshl_add_u64 v[10:11], v[60:61], 0, v[34:35]
	global_load_dwordx4 v[22:25], v[10:11], off
	global_load_dwordx4 v[18:21], v[10:11], off offset:16
	s_waitcnt vmcnt(7)
	v_mfma_f32_16x16x16_f16 v[10:13], v[54:55], v[6:7], 0
	v_mad_i64_i32 v[6:7], s[4:5], v94, s9, 0
	v_lshlrev_b64 v[52:53], 1, v[6:7]
	v_mfma_f32_16x16x16_f16 v[6:9], v[56:57], v[8:9], v[10:13]
	v_lshl_add_u64 v[34:35], v[62:63], 0, v[34:35]
	s_waitcnt vmcnt(6)
	v_mfma_f32_16x16x16_f16 v[6:9], v[68:69], v[2:3], v[6:9]
	s_waitcnt vmcnt(4)
	v_mad_i64_i32 v[2:3], s[4:5], v95, s9, 0
	v_lshlrev_b64 v[58:59], 1, v[2:3]
	v_mfma_f32_16x16x16_f16 v[54:57], v[70:71], v[4:5], v[6:9]
	v_lshl_add_u64 v[10:11], v[60:61], 0, v[52:53]
	v_lshl_add_u64 v[2:3], v[60:61], 0, v[58:59]
	v_pk_mul_f32 v[60:61], s[8:9], v[64:65] op_sel_hi:[0,1]
	v_mfma_f32_16x16x16_f16 v[54:57], v[82:83], v[46:47], v[54:57]
	v_pk_mul_f32 v[82:83], s[8:9], v[66:67] op_sel_hi:[0,1]
	v_pk_mul_f32 v[70:71], s[8:9], v[78:79] op_sel_hi:[0,1]
	;; [unrolled: 1-line block ×3, first 2 shown]
	v_mfma_f32_16x16x16_f16 v[46:49], v[84:85], v[48:49], v[54:57]
	v_pk_mul_f32 v[84:85], s[8:9], v[80:81] op_sel_hi:[0,1]
	v_pk_mul_f32 v[80:81], s[8:9], v[42:43] op_sel_hi:[0,1]
	global_load_dwordx4 v[14:17], v[10:11], off
	s_nop 0
	global_load_dwordx4 v[10:13], v[10:11], off offset:16
	v_mfma_f32_16x16x16_f16 v[36:39], v[88:89], v[38:39], v[46:49]
	global_load_dwordx4 v[6:9], v[2:3], off
	s_nop 0
	global_load_dwordx4 v[2:5], v[2:3], off offset:16
	v_lshl_add_u64 v[58:59], v[62:63], 0, v[58:59]
	v_mfma_f32_16x16x16_f16 v[36:39], v[90:91], v[40:41], v[36:39]
	s_nop 6
	v_pk_mul_f32 v[72:73], s[8:9], v[36:37] op_sel_hi:[0,1]
	v_and_b32_e32 v36, 0xc0, v0
	v_add_u32_e32 v36, s18, v36
	v_lshl_or_b32 v36, v1, 2, v36
	v_pk_mul_f32 v[66:67], s[8:9], v[38:39] op_sel_hi:[0,1]
	v_or_b32_e32 v39, 1, v36
	v_mov_b32_e32 v37, 0xff7fffff
	v_cmp_gt_i32_e64 s[28:29], s33, v36
	v_cmp_gt_i32_e64 s[30:31], s33, v39
	v_or_b32_e32 v40, 3, v36
	v_cndmask_b32_e64 v38, v37, v60, s[28:29]
	v_cndmask_b32_e64 v39, v37, v61, s[30:31]
	v_max3_f32 v38, v38, s41, v39
	v_or_b32_e32 v39, 2, v36
	v_cmp_gt_i32_e64 s[34:35], s33, v39
	v_cmp_gt_i32_e64 s[36:37], s33, v40
	s_nop 0
	v_cndmask_b32_e64 v39, v37, v82, s[34:35]
	v_cndmask_b32_e64 v40, v37, v83, s[36:37]
	v_max3_f32 v38, v38, v39, v40
	v_or_b32_e32 v39, 16, v36
	v_or_b32_e32 v40, 17, v36
	v_cmp_gt_i32_e64 s[22:23], s33, v39
	v_cmp_gt_i32_e64 s[24:25], s33, v40
	s_nop 0
	v_cndmask_b32_e64 v39, v37, v70, s[22:23]
	v_cndmask_b32_e64 v40, v37, v71, s[24:25]
	v_max3_f32 v38, v38, v39, v40
	v_or_b32_e32 v39, 18, v36
	;; [unrolled: 8-line block ×6, first 2 shown]
	v_or_b32_e32 v36, 51, v36
	v_cmp_gt_i32_e32 vcc, s33, v39
	v_cmp_gt_i32_e64 s[4:5], s33, v36
	s_nop 0
	v_cndmask_b32_e32 v39, v37, v66, vcc
	v_cndmask_b32_e64 v36, v37, v67, s[4:5]
	v_max3_f32 v54, v38, v39, v36
	v_mbcnt_lo_u32_b32 v36, -1, 0
	v_mbcnt_hi_u32_b32 v55, -1, v36
	v_and_b32_e32 v36, 64, v55
	v_add_u32_e32 v56, 64, v36
	v_xor_b32_e32 v36, 32, v55
	v_cmp_lt_i32_e64 s[38:39], v36, v56
	global_load_dwordx4 v[46:49], v[50:51], off
	global_load_dwordx4 v[38:41], v[50:51], off offset:16
	v_cndmask_b32_e64 v36, v55, v36, s[38:39]
	v_lshlrev_b32_e32 v89, 2, v36
	ds_bpermute_b32 v57, v89, v54
	global_load_dwordx4 v[42:45], v[34:35], off
	s_nop 0
	global_load_dwordx4 v[34:37], v[34:35], off offset:16
	s_waitcnt lgkmcnt(0)
	v_max_f32_e32 v50, v57, v57
	v_max_f32_e32 v64, v54, v50
	v_xor_b32_e32 v50, 16, v55
	v_cmp_lt_i32_e64 s[38:39], v50, v56
	s_nop 1
	v_cndmask_b32_e64 v50, v55, v50, s[38:39]
	v_lshlrev_b32_e32 v90, 2, v50
	ds_bpermute_b32 v65, v90, v64
	v_lshl_add_u64 v[50:51], v[62:63], 0, v[52:53]
	global_load_dwordx4 v[54:57], v[50:51], off
	s_nop 0
	global_load_dwordx4 v[50:53], v[50:51], off offset:16
	s_waitcnt lgkmcnt(0)
	v_max_f32_e32 v62, v65, v65
	v_max_f32_e32 v88, v64, v62
	v_sub_f32_e32 v60, v60, v88
	v_mul_f32_e32 v60, 0x3fb8aa3b, v60
	v_exp_f32_e32 v68, v60
	v_sub_f32_e32 v60, v61, v88
	v_mul_f32_e32 v60, 0x3fb8aa3b, v60
	v_exp_f32_e32 v69, v60
	global_load_dwordx4 v[62:65], v[58:59], off
	s_nop 0
	global_load_dwordx4 v[58:61], v[58:59], off offset:16
	v_sub_f32_e32 v82, v82, v88
	v_mul_f32_e32 v82, 0x3fb8aa3b, v82
	v_sub_f32_e32 v83, v83, v88
	v_exp_f32_e32 v82, v82
	v_mul_f32_e32 v83, 0x3fb8aa3b, v83
	v_sub_f32_e32 v70, v70, v88
	v_exp_f32_e32 v83, v83
	v_mul_f32_e32 v70, 0x3fb8aa3b, v70
	v_sub_f32_e32 v71, v71, v88
	v_cndmask_b32_e64 v68, 0, v68, s[28:29]
	v_exp_f32_e32 v70, v70
	v_mul_f32_e32 v71, 0x3fb8aa3b, v71
	v_sub_f32_e32 v84, v84, v88
	v_add_f32_e32 v91, 0, v68
	v_cndmask_b32_e64 v69, 0, v69, s[30:31]
	v_exp_f32_e32 v71, v71
	v_mul_f32_e32 v84, 0x3fb8aa3b, v84
	v_sub_f32_e32 v85, v85, v88
	v_add_f32_e32 v91, v91, v69
	;; [unrolled: 5-line block ×10, first 2 shown]
	v_cndmask_b32_e64 v78, 0, v78, s[10:11]
	v_exp_f32_e32 v66, v66
	v_mul_f32_e32 v67, 0x3fb8aa3b, v67
	v_add_f32_e32 v91, v91, v78
	v_cndmask_b32_e64 v79, 0, v79, s[12:13]
	v_exp_f32_e32 v67, v67
	v_add_f32_e32 v91, v91, v79
	v_cndmask_b32_e64 v72, 0, v72, s[6:7]
	v_add_f32_e32 v91, v91, v72
	v_cndmask_b32_e64 v73, 0, v73, s[8:9]
	v_add_f32_e32 v91, v91, v73
	v_cndmask_b32_e32 v66, 0, v66, vcc
	v_add_f32_e32 v91, v91, v66
	v_cndmask_b32_e64 v67, 0, v67, s[4:5]
	v_add_f32_e32 v91, v91, v67
	ds_bpermute_b32 v89, v89, v91
	v_cmp_gt_u32_e32 vcc, 16, v77
	s_waitcnt lgkmcnt(0)
	s_barrier
	v_add_f32_e32 v89, v91, v89
	ds_bpermute_b32 v90, v90, v89
	s_and_saveexec_b64 s[4:5], vcc
	s_cbranch_execz .LBB377_15
; %bb.14:
	s_waitcnt lgkmcnt(0)
	v_add_f32_e32 v77, v89, v90
	v_lshlrev_b32_e32 v87, 2, v87
	ds_write2st64_b32 v87, v88, v77 offset1:1
.LBB377_15:
	s_or_b64 exec, exec, s[4:5]
	v_lshlrev_b32_e32 v77, 2, v76
	s_load_dword s6, s[0:1], 0x94
	s_waitcnt lgkmcnt(0)
	s_barrier
	ds_read2_b32 v[88:89], v77 offset1:16
	ds_read2_b32 v[90:91], v77 offset0:32 offset1:48
	ds_read2_b32 v[92:93], v77 offset0:64 offset1:80
	;; [unrolled: 1-line block ×3, first 2 shown]
	s_waitcnt lgkmcnt(0)
	v_max3_f32 v87, v88, s41, v89
	v_max3_f32 v87, v87, v90, v91
	v_sub_f32_e32 v88, v88, v87
	v_mul_f32_e32 v88, 0x3fb8aa3b, v88
	v_exp_f32_e32 v86, v88
	v_sub_f32_e32 v88, v89, v87
	v_mul_f32_e32 v88, 0x3fb8aa3b, v88
	v_exp_f32_e32 v89, v88
	v_sub_f32_e32 v88, v90, v87
	v_mul_f32_e32 v88, 0x3fb8aa3b, v88
	v_sub_f32_e32 v77, v91, v87
	v_exp_f32_e32 v90, v88
	v_mul_f32_e32 v77, 0x3fb8aa3b, v77
	v_exp_f32_e32 v77, v77
	v_fma_f32 v88, v86, v92, 0
	v_fmac_f32_e32 v88, v89, v93
	v_fmac_f32_e32 v88, v90, v94
	;; [unrolled: 1-line block ×3, first 2 shown]
	v_add_f32_e32 v91, 0x358637bd, v88
	v_div_scale_f32 v92, s[4:5], v91, v91, 1.0
	v_rcp_f32_e32 v93, v92
	s_barrier
	s_mul_i32 s7, s27, 14
	v_fma_f32 v94, -v92, v93, 1.0
	v_fmac_f32_e32 v93, v94, v93
	v_div_scale_f32 v94, vcc, 1.0, v91, 1.0
	v_mul_f32_e32 v95, v94, v93
	v_fma_f32 v1, -v92, v95, v94
	v_fmac_f32_e32 v95, v1, v93
	v_fma_f32 v1, -v92, v95, v94
	v_div_fmas_f32 v1, v1, v93, v95
	v_div_fixup_f32 v1, v1, v91, 1.0
	v_lshrrev_b32_e32 v91, 6, v0
	v_cmp_eq_u32_e32 vcc, 1, v91
	s_nop 1
	v_cndmask_b32_e32 v86, v86, v89, vcc
	v_cmp_eq_u32_e32 vcc, 2, v91
	s_nop 1
	v_cndmask_b32_e32 v86, v86, v90, vcc
	;; [unrolled: 3-line block ×3, first 2 shown]
	v_mul_f32_e32 v90, v77, v1
	v_pk_mul_f32 v[82:83], v[90:91], v[82:83] op_sel_hi:[0,1]
	v_pk_mul_f32 v[68:69], v[90:91], v[68:69] op_sel_hi:[0,1]
	v_cvt_f16_f32_e32 v1, v68
	v_cvt_f16_f32_e32 v68, v69
	;; [unrolled: 1-line block ×4, first 2 shown]
	v_pk_mul_f32 v[84:85], v[90:91], v[84:85] op_sel_hi:[0,1]
	v_pk_mul_f32 v[70:71], v[90:91], v[70:71] op_sel_hi:[0,1]
	v_bfe_u32 v86, v0, 4, 2
	v_pack_b32_f16 v83, v69, v77
	v_cvt_f16_f32_e32 v69, v70
	v_cvt_f16_f32_e32 v70, v71
	;; [unrolled: 1-line block ×4, first 2 shown]
	v_pack_b32_f16 v82, v1, v68
	v_lshlrev_b32_e32 v1, 3, v86
	v_lshlrev_b32_e32 v68, 5, v76
	;; [unrolled: 1-line block ×3, first 2 shown]
	v_or3_b32 v1, v84, v68, v1
	v_pack_b32_f16 v70, v69, v70
	v_pack_b32_f16 v71, v71, v77
	ds_write2st64_b64 v1, v[82:83], v[70:71] offset1:1
	v_pk_mul_f32 v[70:71], v[90:91], v[78:79] op_sel_hi:[0,1]
	v_pk_mul_f32 v[78:79], v[90:91], v[80:81] op_sel_hi:[0,1]
	v_cvt_f16_f32_e32 v69, v78
	v_cvt_f16_f32_e32 v77, v79
	;; [unrolled: 1-line block ×4, first 2 shown]
	v_pk_mul_f32 v[66:67], v[90:91], v[66:67] op_sel_hi:[0,1]
	v_pk_mul_f32 v[70:71], v[90:91], v[72:73] op_sel_hi:[0,1]
	v_cvt_f16_f32_e32 v70, v70
	v_cvt_f16_f32_e32 v71, v71
	;; [unrolled: 1-line block ×4, first 2 shown]
	v_pack_b32_f16 v66, v69, v77
	v_pack_b32_f16 v67, v78, v79
	;; [unrolled: 1-line block ×4, first 2 shown]
	v_cmp_gt_u32_e32 vcc, 14, v0
	ds_write2st64_b64 v1, v[66:67], v[70:71] offset0:2 offset1:3
	s_and_saveexec_b64 s[4:5], vcc
	s_cbranch_execz .LBB377_17
; %bb.16:
	s_mov_b32 s41, 0
	v_mov_b32_e32 v77, 0
	v_lshl_add_u64 v[66:67], s[40:41], 0, v[76:77]
	v_mov_b32_e32 v69, s7
	v_mad_u64_u32 v[66:67], s[12:13], s2, v69, v[66:67]
	s_mul_i32 s3, s3, s7
	v_mov_b32_e32 v70, s26
	v_mov_b32_e32 v71, v77
	s_load_dwordx4 s[8:11], s[0:1], 0x58
	v_add_u32_e32 v69, s3, v67
	v_mad_u64_u32 v[66:67], s[12:13], v66, s6, v[70:71]
	v_mov_b32_e32 v70, v67
	v_mad_u64_u32 v[70:71], s[12:13], v69, s6, v[70:71]
	v_mov_b32_e32 v67, v70
	v_lshlrev_b64 v[66:67], 2, v[66:67]
	s_waitcnt lgkmcnt(0)
	v_lshl_add_u64 v[70:71], s[10:11], 0, v[66:67]
	v_lshl_add_u64 v[66:67], s[8:9], 0, v[66:67]
	global_store_dword v[70:71], v87, off
	global_store_dword v[66:67], v88, off
.LBB377_17:
	s_or_b64 exec, exec, s[4:5]
	v_lshl_or_b32 v77, v86, 9, v68
	s_waitcnt lgkmcnt(0)
	s_barrier
	ds_read_b128 v[70:73], v77
	ds_read_b128 v[66:69], v77 offset:16
	s_waitcnt vmcnt(15) lgkmcnt(1)
	v_mfma_f32_16x16x16_f16 v[78:81], v[30:31], v[70:71], 0
	s_mov_b32 s3, 0
	v_cmp_gt_u32_e32 vcc, 64, v0
	v_mfma_f32_16x16x16_f16 v[30:33], v[32:33], v[72:73], v[78:81]
	s_waitcnt vmcnt(14) lgkmcnt(0)
	v_mfma_f32_16x16x16_f16 v[30:33], v[26:27], v[66:67], v[30:33]
	v_mfma_f32_16x16x16_f16 v[26:29], v[28:29], v[68:69], v[30:33]
	s_nop 5
	ds_read_b128 v[30:33], v77 offset:2048
	ds_read_b128 v[78:81], v77 offset:2064
	s_waitcnt vmcnt(13) lgkmcnt(1)
	v_mfma_f32_16x16x16_f16 v[26:29], v[22:23], v[30:31], v[26:29]
	v_mfma_f32_16x16x16_f16 v[22:25], v[24:25], v[32:33], v[26:29]
	s_waitcnt vmcnt(12) lgkmcnt(0)
	v_mfma_f32_16x16x16_f16 v[22:25], v[18:19], v[78:79], v[22:25]
	v_mfma_f32_16x16x16_f16 v[18:21], v[20:21], v[80:81], v[22:25]
	s_nop 5
	ds_read_b128 v[22:25], v77 offset:4096
	ds_read_b128 v[26:29], v77 offset:4112
	s_waitcnt vmcnt(11) lgkmcnt(1)
	v_mfma_f32_16x16x16_f16 v[18:21], v[14:15], v[22:23], v[18:21]
	v_mfma_f32_16x16x16_f16 v[14:17], v[16:17], v[24:25], v[18:21]
	s_waitcnt vmcnt(10) lgkmcnt(0)
	v_mfma_f32_16x16x16_f16 v[14:17], v[10:11], v[26:27], v[14:17]
	v_mfma_f32_16x16x16_f16 v[10:13], v[12:13], v[28:29], v[14:17]
	s_nop 5
	ds_read_b128 v[14:17], v77 offset:6144
	ds_read_b128 v[18:21], v77 offset:6160
	s_waitcnt lgkmcnt(0)
	s_barrier
	s_waitcnt vmcnt(9)
	v_mfma_f32_16x16x16_f16 v[10:13], v[6:7], v[14:15], v[10:13]
	v_mfma_f32_16x16x16_f16 v[6:9], v[8:9], v[16:17], v[10:13]
	s_waitcnt vmcnt(8)
	v_mfma_f32_16x16x16_f16 v[6:9], v[2:3], v[18:19], v[6:9]
	v_mfma_f32_16x16x16_f16 v[2:5], v[4:5], v[20:21], v[6:9]
	;; [unrolled: 3-line block ×3, first 2 shown]
	s_nop 3
	v_cvt_f16_f32_e32 v10, v2
	v_cvt_f16_f32_e32 v11, v3
	;; [unrolled: 1-line block ×3, first 2 shown]
	s_waitcnt vmcnt(6)
	v_mfma_f32_16x16x16_f16 v[6:9], v[38:39], v[66:67], v[6:9]
	v_cvt_f16_f32_e32 v13, v5
	v_mfma_f32_16x16x16_f16 v[6:9], v[40:41], v[68:69], v[6:9]
	s_waitcnt vmcnt(5)
	v_mfma_f32_16x16x16_f16 v[6:9], v[42:43], v[30:31], v[6:9]
	v_mfma_f32_16x16x16_f16 v[6:9], v[44:45], v[32:33], v[6:9]
	s_waitcnt vmcnt(4)
	v_mfma_f32_16x16x16_f16 v[6:9], v[34:35], v[78:79], v[6:9]
	;; [unrolled: 3-line block ×6, first 2 shown]
	v_mfma_f32_16x16x16_f16 v[2:5], v[60:61], v[20:21], v[6:9]
	s_nop 6
	v_cvt_f16_f32_e32 v6, v2
	v_cvt_f16_f32_e32 v7, v3
	v_cvt_f16_f32_e32 v8, v4
	v_cvt_f16_f32_e32 v5, v5
	v_pack_b32_f16 v2, v10, v11
	v_pack_b32_f16 v3, v12, v13
	;; [unrolled: 1-line block ×4, first 2 shown]
	ds_write2st64_b64 v1, v[2:3], v[4:5] offset1:1
	s_waitcnt lgkmcnt(0)
	s_barrier
	s_and_saveexec_b64 s[4:5], vcc
	s_cbranch_execz .LBB377_20
; %bb.18:
	s_load_dwordx2 s[4:5], s[0:1], 0x68
	s_lshl_b32 s0, s6, 7
	s_mul_i32 s1, s7, s2
	v_lshlrev_b32_e32 v3, 6, v76
	s_mul_hi_u32 s7, s1, s0
	s_mul_i32 s6, s1, s0
	v_lshlrev_b32_e32 v2, 4, v0
	v_lshl_or_b32 v0, v0, 10, v3
	s_lshl_b64 s[6:7], s[6:7], 1
	v_lshlrev_b32_e32 v1, 5, v86
	v_and_b32_e32 v2, 16, v2
	v_and_b32_e32 v0, 0x1a00, v0
	s_waitcnt lgkmcnt(0)
	s_add_u32 s1, s4, s6
	v_or3_b32 v2, v0, v1, v2
	s_addc_u32 s4, s5, s7
	s_lshl_b32 s2, s26, 7
	ds_read_b128 v[4:7], v2 offset:256
	s_lshl_b64 s[2:3], s[2:3], 1
	ds_read_b128 v[8:11], v2 offset:128
	ds_read_b128 v[12:15], v2
	s_add_u32 s2, s1, s2
	s_addc_u32 s3, s4, s3
	v_add_u32_e32 v18, s40, v86
	v_lshl_add_u64 v[0:1], v[74:75], 1, s[2:3]
	v_mad_u64_u32 v[16:17], s[2:3], v18, s0, 0
	v_lshl_add_u64 v[16:17], v[16:17], 1, v[0:1]
	s_waitcnt lgkmcnt(0)
	global_store_dwordx4 v[16:17], v[12:15], off
	v_or_b32_e32 v3, 12, v86
	v_cmp_gt_u32_e32 vcc, 14, v3
	v_add_u32_e32 v12, 4, v18
	v_mad_u64_u32 v[12:13], s[2:3], v12, s0, 0
	v_lshl_add_u64 v[12:13], v[12:13], 1, v[0:1]
	global_store_dwordx4 v[12:13], v[8:11], off
	s_nop 1
	v_add_u32_e32 v8, 8, v18
	v_mad_u64_u32 v[8:9], s[2:3], v8, s0, 0
	v_lshl_add_u64 v[8:9], v[8:9], 1, v[0:1]
	global_store_dwordx4 v[8:9], v[4:7], off
	s_and_b64 exec, exec, vcc
	s_cbranch_execz .LBB377_20
; %bb.19:
	ds_read_b128 v[4:7], v2 offset:384
	v_add_u32_e32 v2, s40, v3
	v_mad_u64_u32 v[2:3], s[0:1], v2, s0, 0
	v_lshl_add_u64 v[0:1], v[2:3], 1, v[0:1]
	s_waitcnt lgkmcnt(0)
	global_store_dwordx4 v[0:1], v[4:7], off
.LBB377_20:
	s_endpgm
	.section	.rodata,"a",@progbits
	.p2align	6, 0x0
	.amdhsa_kernel _Z39paged_attention_ll4mi_QKV_mfma16_kernelIDF16_DF16_LN4vllm18Fp8KVCacheDataTypeE0EDF16_Li32ELi128ELi256ELb0ELi14EEvPKT_PKT0_S7_ifPKiS9_S9_iPKfiiiPfSC_PS2_PT2_iSB_SB_
		.amdhsa_group_segment_fixed_size 8192
		.amdhsa_private_segment_fixed_size 0
		.amdhsa_kernarg_size 400
		.amdhsa_user_sgpr_count 2
		.amdhsa_user_sgpr_dispatch_ptr 0
		.amdhsa_user_sgpr_queue_ptr 0
		.amdhsa_user_sgpr_kernarg_segment_ptr 1
		.amdhsa_user_sgpr_dispatch_id 0
		.amdhsa_user_sgpr_kernarg_preload_length 0
		.amdhsa_user_sgpr_kernarg_preload_offset 0
		.amdhsa_user_sgpr_private_segment_size 0
		.amdhsa_uses_dynamic_stack 0
		.amdhsa_enable_private_segment 0
		.amdhsa_system_sgpr_workgroup_id_x 1
		.amdhsa_system_sgpr_workgroup_id_y 1
		.amdhsa_system_sgpr_workgroup_id_z 1
		.amdhsa_system_sgpr_workgroup_info 0
		.amdhsa_system_vgpr_workitem_id 0
		.amdhsa_next_free_vgpr 96
		.amdhsa_next_free_sgpr 42
		.amdhsa_accum_offset 96
		.amdhsa_reserve_vcc 1
		.amdhsa_float_round_mode_32 0
		.amdhsa_float_round_mode_16_64 0
		.amdhsa_float_denorm_mode_32 3
		.amdhsa_float_denorm_mode_16_64 3
		.amdhsa_dx10_clamp 1
		.amdhsa_ieee_mode 1
		.amdhsa_fp16_overflow 0
		.amdhsa_tg_split 0
		.amdhsa_exception_fp_ieee_invalid_op 0
		.amdhsa_exception_fp_denorm_src 0
		.amdhsa_exception_fp_ieee_div_zero 0
		.amdhsa_exception_fp_ieee_overflow 0
		.amdhsa_exception_fp_ieee_underflow 0
		.amdhsa_exception_fp_ieee_inexact 0
		.amdhsa_exception_int_div_zero 0
	.end_amdhsa_kernel
	.section	.text._Z39paged_attention_ll4mi_QKV_mfma16_kernelIDF16_DF16_LN4vllm18Fp8KVCacheDataTypeE0EDF16_Li32ELi128ELi256ELb0ELi14EEvPKT_PKT0_S7_ifPKiS9_S9_iPKfiiiPfSC_PS2_PT2_iSB_SB_,"axG",@progbits,_Z39paged_attention_ll4mi_QKV_mfma16_kernelIDF16_DF16_LN4vllm18Fp8KVCacheDataTypeE0EDF16_Li32ELi128ELi256ELb0ELi14EEvPKT_PKT0_S7_ifPKiS9_S9_iPKfiiiPfSC_PS2_PT2_iSB_SB_,comdat
.Lfunc_end377:
	.size	_Z39paged_attention_ll4mi_QKV_mfma16_kernelIDF16_DF16_LN4vllm18Fp8KVCacheDataTypeE0EDF16_Li32ELi128ELi256ELb0ELi14EEvPKT_PKT0_S7_ifPKiS9_S9_iPKfiiiPfSC_PS2_PT2_iSB_SB_, .Lfunc_end377-_Z39paged_attention_ll4mi_QKV_mfma16_kernelIDF16_DF16_LN4vllm18Fp8KVCacheDataTypeE0EDF16_Li32ELi128ELi256ELb0ELi14EEvPKT_PKT0_S7_ifPKiS9_S9_iPKfiiiPfSC_PS2_PT2_iSB_SB_
                                        ; -- End function
	.section	.AMDGPU.csdata,"",@progbits
; Kernel info:
; codeLenInByte = 4624
; NumSgprs: 48
; NumVgprs: 96
; NumAgprs: 0
; TotalNumVgprs: 96
; ScratchSize: 0
; MemoryBound: 0
; FloatMode: 240
; IeeeMode: 1
; LDSByteSize: 8192 bytes/workgroup (compile time only)
; SGPRBlocks: 5
; VGPRBlocks: 11
; NumSGPRsForWavesPerEU: 48
; NumVGPRsForWavesPerEU: 96
; AccumOffset: 96
; Occupancy: 5
; WaveLimiterHint : 1
; COMPUTE_PGM_RSRC2:SCRATCH_EN: 0
; COMPUTE_PGM_RSRC2:USER_SGPR: 2
; COMPUTE_PGM_RSRC2:TRAP_HANDLER: 0
; COMPUTE_PGM_RSRC2:TGID_X_EN: 1
; COMPUTE_PGM_RSRC2:TGID_Y_EN: 1
; COMPUTE_PGM_RSRC2:TGID_Z_EN: 1
; COMPUTE_PGM_RSRC2:TIDIG_COMP_CNT: 0
; COMPUTE_PGM_RSRC3_GFX90A:ACCUM_OFFSET: 23
; COMPUTE_PGM_RSRC3_GFX90A:TG_SPLIT: 0
	.section	.text._Z39paged_attention_ll4mi_QKV_mfma16_kernelIDF16_DF16_LN4vllm18Fp8KVCacheDataTypeE0EDF16_Li32ELi128ELi256ELb0ELi15EEvPKT_PKT0_S7_ifPKiS9_S9_iPKfiiiPfSC_PS2_PT2_iSB_SB_,"axG",@progbits,_Z39paged_attention_ll4mi_QKV_mfma16_kernelIDF16_DF16_LN4vllm18Fp8KVCacheDataTypeE0EDF16_Li32ELi128ELi256ELb0ELi15EEvPKT_PKT0_S7_ifPKiS9_S9_iPKfiiiPfSC_PS2_PT2_iSB_SB_,comdat
	.protected	_Z39paged_attention_ll4mi_QKV_mfma16_kernelIDF16_DF16_LN4vllm18Fp8KVCacheDataTypeE0EDF16_Li32ELi128ELi256ELb0ELi15EEvPKT_PKT0_S7_ifPKiS9_S9_iPKfiiiPfSC_PS2_PT2_iSB_SB_ ; -- Begin function _Z39paged_attention_ll4mi_QKV_mfma16_kernelIDF16_DF16_LN4vllm18Fp8KVCacheDataTypeE0EDF16_Li32ELi128ELi256ELb0ELi15EEvPKT_PKT0_S7_ifPKiS9_S9_iPKfiiiPfSC_PS2_PT2_iSB_SB_
	.globl	_Z39paged_attention_ll4mi_QKV_mfma16_kernelIDF16_DF16_LN4vllm18Fp8KVCacheDataTypeE0EDF16_Li32ELi128ELi256ELb0ELi15EEvPKT_PKT0_S7_ifPKiS9_S9_iPKfiiiPfSC_PS2_PT2_iSB_SB_
	.p2align	8
	.type	_Z39paged_attention_ll4mi_QKV_mfma16_kernelIDF16_DF16_LN4vllm18Fp8KVCacheDataTypeE0EDF16_Li32ELi128ELi256ELb0ELi15EEvPKT_PKT0_S7_ifPKiS9_S9_iPKfiiiPfSC_PS2_PT2_iSB_SB_,@function
_Z39paged_attention_ll4mi_QKV_mfma16_kernelIDF16_DF16_LN4vllm18Fp8KVCacheDataTypeE0EDF16_Li32ELi128ELi256ELb0ELi15EEvPKT_PKT0_S7_ifPKiS9_S9_iPKfiiiPfSC_PS2_PT2_iSB_SB_: ; @_Z39paged_attention_ll4mi_QKV_mfma16_kernelIDF16_DF16_LN4vllm18Fp8KVCacheDataTypeE0EDF16_Li32ELi128ELi256ELb0ELi15EEvPKT_PKT0_S7_ifPKiS9_S9_iPKfiiiPfSC_PS2_PT2_iSB_SB_
; %bb.0:
	s_load_dwordx2 s[8:9], s[0:1], 0x30
	s_mov_b32 s26, s3
	s_mov_b64 s[6:7], 0
	s_waitcnt lgkmcnt(0)
	s_cmp_lg_u64 s[8:9], 0
	s_cselect_b64 s[10:11], -1, 0
	s_and_b64 vcc, exec, s[10:11]
	s_cbranch_vccz .LBB378_7
; %bb.1:
	s_add_i32 s12, s2, 1
	s_mov_b32 s13, 0
	s_lshl_b64 s[14:15], s[12:13], 2
	s_add_u32 s14, s8, s14
	s_mov_b32 s3, s13
	s_addc_u32 s15, s9, s15
	s_lshl_b64 s[12:13], s[2:3], 2
	s_add_u32 s12, s8, s12
	s_addc_u32 s13, s9, s13
	s_load_dword s5, s[14:15], 0x0
	s_load_dword s16, s[12:13], 0x0
	s_waitcnt lgkmcnt(0)
	s_sub_i32 s5, s5, s16
	s_cmp_eq_u32 s5, 1
	s_cselect_b64 s[12:13], -1, 0
	s_andn2_b64 vcc, exec, s[6:7]
	s_cbranch_vccnz .LBB378_3
.LBB378_2:
	s_mov_b32 s3, 0
	s_mov_b64 s[12:13], -1
.LBB378_3:
	s_andn2_b64 vcc, exec, s[12:13]
	s_cbranch_vccnz .LBB378_20
; %bb.4:
	s_load_dwordx2 s[6:7], s[0:1], 0x28
	s_lshl_b64 s[12:13], s[2:3], 2
	s_waitcnt lgkmcnt(0)
	s_add_u32 s6, s6, s12
	s_addc_u32 s7, s7, s13
	s_load_dword s33, s[6:7], 0x0
	s_lshl_b32 s18, s26, 8
	s_waitcnt lgkmcnt(0)
	s_cmp_ge_i32 s18, s33
	s_cbranch_scc1 .LBB378_20
; %bb.5:
	s_load_dwordx2 s[6:7], s[0:1], 0x20
	s_load_dword s5, s[0:1], 0x38
	s_add_i32 s14, s33, 31
	s_ashr_i32 s15, s14, 31
	v_and_b32_e32 v1, 0xcf, v0
	s_lshr_b32 s15, s15, 27
	v_add_u32_e32 v1, s18, v1
	s_add_i32 s14, s14, s15
	v_ashrrev_i32_e32 v2, 31, v1
	s_ashr_i32 s19, s14, 5
	v_lshrrev_b32_e32 v8, 27, v2
	s_add_i32 s19, s19, -1
	s_waitcnt lgkmcnt(0)
	s_mul_i32 s14, s2, s5
	s_mov_b32 s15, 0
	v_add_u32_e32 v2, v1, v8
	s_lshl_b64 s[14:15], s[14:15], 2
	v_ashrrev_i32_e32 v2, 5, v2
	v_mov_b32_e32 v9, s19
	v_cmp_gt_i32_e32 vcc, s33, v1
	s_add_u32 s6, s6, s14
	s_addc_u32 s7, s7, s15
	v_cndmask_b32_e32 v2, v9, v2, vcc
	v_ashrrev_i32_e32 v3, 31, v2
	v_lshl_add_u64 v[4:5], v[2:3], 2, s[6:7]
	v_or_b32_e32 v2, 16, v1
	v_add_u32_e32 v3, v2, v8
	v_ashrrev_i32_e32 v3, 5, v3
	v_cmp_gt_i32_e32 vcc, s33, v2
	s_nop 1
	v_cndmask_b32_e32 v2, v9, v3, vcc
	v_ashrrev_i32_e32 v3, 31, v2
	v_lshl_add_u64 v[6:7], v[2:3], 2, s[6:7]
	v_or_b32_e32 v2, 32, v1
	v_add_u32_e32 v3, v2, v8
	v_ashrrev_i32_e32 v3, 5, v3
	v_cmp_gt_i32_e32 vcc, s33, v2
	v_or_b32_e32 v1, 48, v1
	s_nop 0
	v_cndmask_b32_e32 v2, v9, v3, vcc
	v_ashrrev_i32_e32 v3, 31, v2
	v_lshl_add_u64 v[10:11], v[2:3], 2, s[6:7]
	v_add_u32_e32 v2, v1, v8
	v_ashrrev_i32_e32 v2, 5, v2
	v_cmp_gt_i32_e32 vcc, s33, v1
	s_nop 1
	v_cndmask_b32_e32 v2, v9, v2, vcc
	v_ashrrev_i32_e32 v3, 31, v2
	v_lshl_add_u64 v[12:13], v[2:3], 2, s[6:7]
	global_load_dword v2, v[4:5], off
	global_load_dword v9, v[6:7], off
	global_load_dword v8, v[10:11], off
	global_load_dword v34, v[12:13], off
	s_andn2_b64 vcc, exec, s[10:11]
	s_cbranch_vccnz .LBB378_8
; %bb.6:
	s_add_u32 s8, s8, s12
	s_addc_u32 s9, s9, s13
	s_load_dword s5, s[8:9], 0x0
	s_branch .LBB378_9
.LBB378_7:
	s_mov_b64 s[12:13], 0
	s_branch .LBB378_2
.LBB378_8:
	s_mov_b32 s5, s2
.LBB378_9:
	s_load_dwordx4 s[12:15], s[0:1], 0x8
	s_load_dwordx4 s[8:11], s[0:1], 0x48
	v_lshrrev_b32_e32 v1, 6, v0
	v_bfe_u32 v86, v0, 4, 2
	v_lshl_or_b32 v3, v1, 2, v86
	v_and_b32_e32 v76, 15, v0
	v_lshlrev_b32_e32 v6, 3, v76
	v_cmp_lt_u32_e32 vcc, 14, v3
	s_and_saveexec_b64 s[16:17], vcc
	s_xor_b64 s[16:17], exec, s[16:17]
; %bb.10:
	v_mov_b32_e32 v7, 0
                                        ; implicit-def: $vgpr3
; %bb.11:
	s_or_saveexec_b64 s[16:17], s[16:17]
	s_mul_i32 s40, s4, 15
	s_xor_b64 exec, exec, s[16:17]
	s_cbranch_execz .LBB378_13
; %bb.12:
	s_load_dwordx2 s[20:21], s[0:1], 0x0
	s_waitcnt lgkmcnt(0)
	s_ashr_i32 s11, s8, 31
	s_mul_hi_u32 s22, s5, s8
	s_mul_i32 s11, s5, s11
	s_add_i32 s23, s22, s11
	s_mul_i32 s22, s5, s8
	s_lshl_b64 s[22:23], s[22:23], 1
	s_add_u32 s20, s20, s22
	v_add_lshl_u32 v4, v3, s40, 7
	v_mov_b32_e32 v7, 0
	s_addc_u32 s21, s21, s23
	v_ashrrev_i32_e32 v5, 31, v4
	v_mov_b64_e32 v[12:13], v[6:7]
	v_lshl_add_u64 v[4:5], v[4:5], 1, s[20:21]
	v_lshlrev_b32_e32 v6, 1, v12
	v_mov_b32_e32 v7, v13
	v_lshl_add_u64 v[4:5], v[4:5], 0, v[6:7]
	global_load_dwordx4 v[4:7], v[4:5], off
	v_and_b32_e32 v10, 3, v0
	v_lshlrev_b32_e32 v11, 9, v76
	v_lshlrev_b32_e32 v3, 5, v3
	v_lshlrev_b32_e32 v10, 9, v10
	v_and_b32_e32 v11, 0x1800, v11
	v_or3_b32 v3, v11, v10, v3
	s_waitcnt vmcnt(0)
	ds_write_b128 v3, v[4:7]
	v_mov_b64_e32 v[6:7], v[12:13]
.LBB378_13:
	s_or_b64 exec, exec, s[16:17]
	s_waitcnt lgkmcnt(0)
	s_mov_b32 s5, 0
	s_mul_i32 s4, s4, s10
	s_lshl_b64 s[4:5], s[4:5], 1
	s_add_u32 s10, s12, s4
	v_mov_b32_e32 v55, 0
	s_addc_u32 s11, s13, s5
	s_waitcnt vmcnt(3)
	v_mad_i64_i32 v[2:3], s[12:13], v2, s9, 0
	s_waitcnt vmcnt(2)
	v_mad_i64_i32 v[10:11], s[12:13], v9, s9, 0
	v_mov_b32_e32 v9, 0x100
	s_load_dword s27, s[0:1], 0x98
	s_load_dword s8, s[0:1], 0x1c
	s_waitcnt lgkmcnt(0)
	s_barrier
	v_lshl_add_u64 v[2:3], v[2:3], 1, s[10:11]
	scratch_store_dwordx2 off, v[6:7], off  ; 8-byte Folded Spill
	v_lshlrev_b64 v[6:7], 1, v[6:7]
	v_lshl_add_u64 v[10:11], v[10:11], 1, s[10:11]
	v_lshl_or_b32 v56, v76, 4, v9
	v_mov_b32_e32 v57, v55
	v_lshlrev_b32_e32 v54, 9, v86
	v_lshl_add_u64 v[2:3], v[2:3], 0, v[6:7]
	v_lshl_add_u64 v[18:19], v[10:11], 0, v[56:57]
	;; [unrolled: 1-line block ×4, first 2 shown]
	global_load_dwordx4 v[14:17], v[4:5], off
	global_load_dwordx4 v[10:13], v[20:21], off
	s_waitcnt vmcnt(4)
	v_mad_i64_i32 v[8:9], s[12:13], v8, s9, 0
	v_lshl_add_u64 v[8:9], v[8:9], 1, s[10:11]
	v_lshl_add_u64 v[60:61], v[8:9], 0, v[6:7]
	v_lshl_add_u64 v[46:47], v[60:61], 0, v[54:55]
	global_load_dwordx4 v[6:9], v[46:47], off
	global_load_dwordx4 v[42:45], v[4:5], off offset:2048
	global_load_dwordx4 v[38:41], v[20:21], off offset:2048
	v_or_b32_e32 v62, 0x1000, v54
	v_mov_b32_e32 v63, v55
	v_lshl_add_u64 v[4:5], v[2:3], 0, v[62:63]
	global_load_dwordx4 v[30:33], v[4:5], off
	v_or_b32_e32 v58, 0x1800, v54
	v_mov_b32_e32 v59, v55
	v_lshl_add_u64 v[2:3], v[2:3], 0, v[58:59]
	global_load_dwordx4 v[22:25], v[2:3], off
	v_lshl_add_u64 v[4:5], v[18:19], 0, v[62:63]
	global_load_dwordx4 v[26:29], v[4:5], off
	;; [unrolled: 2-line block ×3, first 2 shown]
	v_cmp_ne_u32_e32 vcc, 15, v76
	s_waitcnt vmcnt(10)
	v_mad_i64_i32 v[64:65], s[12:13], v34, s9, 0
	v_cndmask_b32_e32 v2, 0, v76, vcc
	v_lshl_or_b32 v48, v2, 5, v54
	ds_read_b128 v[2:5], v48
	ds_read_b128 v[34:37], v48 offset:2048
	global_load_dwordx4 v[78:81], v[46:47], off offset:2048
	ds_read_b128 v[50:53], v48 offset:4096
	ds_read_b128 v[46:49], v48 offset:6144
	s_ashr_i32 s12, s18, 31
	v_and_or_b32 v74, v0, 48, s18
	v_mov_b32_e32 v75, s19
	v_cmp_gt_i32_e32 vcc, s33, v74
	v_or_b32_e32 v87, 64, v74
	v_or_b32_e32 v88, 0x80, v74
	;; [unrolled: 1-line block ×3, first 2 shown]
	s_mov_b32 s41, 0xff7fffff
	s_waitcnt vmcnt(7) lgkmcnt(3)
	v_mfma_f32_16x16x16_f16 v[82:85], v[6:7], v[2:3], 0
	v_lshl_add_u64 v[6:7], v[64:65], 1, s[10:11]
	s_lshr_b32 s10, s12, 27
	v_lshl_add_u64 v[6:7], v[6:7], 0, v[56:57]
	v_mfma_f32_16x16x16_f16 v[70:73], v[10:11], v[2:3], 0
	v_lshl_add_u64 v[64:65], v[6:7], 0, v[54:55]
	v_lshl_add_u64 v[56:57], v[60:61], 0, v[58:59]
	s_add_u32 s4, s14, s4
	v_mfma_f32_16x16x16_f16 v[66:69], v[14:15], v[2:3], 0
	s_addc_u32 s5, s15, s5
	v_mfma_f32_16x16x16_f16 v[10:13], v[12:13], v[4:5], v[70:73]
	v_mfma_f32_16x16x16_f16 v[14:17], v[16:17], v[4:5], v[66:69]
	s_nop 1
	v_lshl_add_u64 v[72:73], v[6:7], 0, v[62:63]
	global_load_dwordx4 v[92:95], v[72:73], off
	s_waitcnt vmcnt(6) lgkmcnt(2)
	v_mfma_f32_16x16x16_f16 v[10:13], v[38:39], v[34:35], v[10:13]
	v_add_u32_e32 v66, s10, v74
	v_ashrrev_i32_e32 v54, 5, v66
	v_add_u32_e32 v67, s10, v87
	v_mfma_f32_16x16x16_f16 v[14:17], v[42:43], v[34:35], v[14:17]
	v_lshl_add_u64 v[42:43], v[60:61], 0, v[62:63]
	v_ashrrev_i32_e32 v60, 5, v67
	v_add_u32_e32 v68, s10, v88
	v_mfma_f32_16x16x16_f16 v[10:13], v[40:41], v[36:37], v[10:13]
	global_load_dwordx4 v[38:41], v[42:43], off
	v_cndmask_b32_e32 v42, v75, v54, vcc
	v_ashrrev_i32_e32 v43, 31, v42
	v_mfma_f32_16x16x16_f16 v[14:17], v[44:45], v[36:37], v[14:17]
	v_cmp_gt_i32_e32 vcc, s33, v87
	v_ashrrev_i32_e32 v66, 5, v68
	v_add_u32_e32 v69, s10, v89
	s_waitcnt vmcnt(6) lgkmcnt(1)
	v_mfma_f32_16x16x16_f16 v[14:17], v[30:31], v[50:51], v[14:17]
	v_lshl_add_u64 v[30:31], v[42:43], 2, s[6:7]
	global_load_dwordx4 v[42:45], v[56:57], off
	v_ashrrev_i32_e32 v68, 5, v69
	global_load_dword v30, v[30:31], off
	s_waitcnt vmcnt(6)
	v_mfma_f32_16x16x16_f16 v[10:13], v[26:27], v[50:51], v[10:13]
	v_cndmask_b32_e32 v26, v75, v60, vcc
	v_ashrrev_i32_e32 v27, 31, v26
	v_lshl_add_u64 v[26:27], v[26:27], 2, s[6:7]
	global_load_dwordx4 v[60:63], v[64:65], off
	global_load_dword v56, v[26:27], off
	v_mfma_f32_16x16x16_f16 v[14:17], v[32:33], v[52:53], v[14:17]
	v_cmp_gt_i32_e32 vcc, s33, v88
	v_lshl_or_b32 v87, v1, 4, v76
	s_nop 0
	v_cndmask_b32_e32 v26, v75, v66, vcc
	v_ashrrev_i32_e32 v27, 31, v26
	s_waitcnt lgkmcnt(0)
	v_mfma_f32_16x16x16_f16 v[14:17], v[22:23], v[46:47], v[14:17]
	v_lshl_add_u64 v[22:23], v[26:27], 2, s[6:7]
	global_load_dword v57, v[22:23], off
	v_cmp_gt_i32_e32 vcc, s33, v89
	global_load_dwordx4 v[64:67], v[64:65], off offset:2048
	v_mfma_f32_16x16x16_f16 v[10:13], v[28:29], v[52:53], v[10:13]
	s_waitcnt vmcnt(9)
	v_mfma_f32_16x16x16_f16 v[10:13], v[18:19], v[46:47], v[10:13]
	v_cndmask_b32_e32 v18, v75, v68, vcc
	v_ashrrev_i32_e32 v19, 31, v18
	v_mfma_f32_16x16x16_f16 v[88:91], v[20:21], v[48:49], v[10:13]
	s_nop 3
	v_lshl_add_u64 v[10:11], v[6:7], 0, v[58:59]
	global_load_dwordx4 v[72:75], v[10:11], off
	v_mfma_f32_16x16x16_f16 v[68:71], v[24:25], v[48:49], v[14:17]
	v_and_b32_e32 v10, 16, v0
	v_lshlrev_b32_e32 v54, 1, v10
	s_nop 0
	v_lshl_add_u64 v[14:15], v[18:19], 2, s[6:7]
	global_load_dword v77, v[14:15], off
	v_mfma_f32_16x16x16_f16 v[6:9], v[8:9], v[4:5], v[82:85]
	s_waitcnt vmcnt(10)
	v_mfma_f32_16x16x16_f16 v[6:9], v[78:79], v[34:35], v[6:9]
	v_lshl_add_u64 v[78:79], s[4:5], 0, v[54:55]
	v_lshlrev_b32_e32 v54, 6, v87
	v_pk_mul_f32 v[84:85], s[8:9], v[90:91] op_sel_hi:[0,1]
	v_mfma_f32_16x16x16_f16 v[6:9], v[80:81], v[36:37], v[6:9]
	v_lshl_add_u64 v[80:81], v[78:79], 0, v[54:55]
	v_or_b32_e32 v54, 0x1000, v54
	s_waitcnt vmcnt(6)
	v_mad_i64_i32 v[10:11], s[4:5], v30, s9, 0
	v_mfma_f32_16x16x16_f16 v[6:9], v[38:39], v[50:51], v[6:9]
	v_lshlrev_b64 v[82:83], 1, v[10:11]
	v_lshl_add_u64 v[10:11], v[80:81], 0, v[82:83]
	global_load_dwordx4 v[30:33], v[10:11], off
	global_load_dwordx4 v[26:29], v[10:11], off offset:16
	v_mfma_f32_16x16x16_f16 v[6:9], v[40:41], v[52:53], v[6:9]
	s_waitcnt vmcnt(6)
	v_mad_i64_i32 v[10:11], s[4:5], v56, s9, 0
	v_mfma_f32_16x16x16_f16 v[6:9], v[42:43], v[46:47], v[6:9]
	v_lshlrev_b64 v[42:43], 1, v[10:11]
	v_mfma_f32_16x16x16_f16 v[38:41], v[44:45], v[48:49], v[6:9]
	s_nop 4
	v_lshl_add_u64 v[6:7], v[80:81], 0, v[42:43]
	global_load_dwordx4 v[22:25], v[6:7], off
	global_load_dwordx4 v[18:21], v[6:7], off offset:16
	v_mfma_f32_16x16x16_f16 v[6:9], v[60:61], v[2:3], 0
	s_waitcnt vmcnt(7)
	v_mad_i64_i32 v[2:3], s[4:5], v57, s9, 0
	v_lshlrev_b64 v[56:57], 1, v[2:3]
	v_mfma_f32_16x16x16_f16 v[2:5], v[62:63], v[4:5], v[6:9]
	v_pk_mul_f32 v[60:61], s[8:9], v[68:69] op_sel_hi:[0,1]
	v_lshl_add_u64 v[62:63], v[78:79], 0, v[54:55]
	v_lshl_add_u64 v[44:45], v[62:63], 0, v[82:83]
	s_waitcnt vmcnt(6)
	v_mfma_f32_16x16x16_f16 v[2:5], v[64:65], v[34:35], v[2:5]
	v_lshl_add_u64 v[6:7], v[80:81], 0, v[56:57]
	global_load_dwordx4 v[14:17], v[6:7], off
	global_load_dwordx4 v[10:13], v[6:7], off offset:16
	v_pk_mul_f32 v[82:83], s[8:9], v[70:71] op_sel_hi:[0,1]
	v_mfma_f32_16x16x16_f16 v[34:37], v[66:67], v[36:37], v[2:5]
	v_pk_mul_f32 v[70:71], s[8:9], v[88:89] op_sel_hi:[0,1]
	v_pk_mul_f32 v[78:79], s[8:9], v[40:41] op_sel_hi:[0,1]
	s_waitcnt vmcnt(6)
	v_mad_i64_i32 v[6:7], s[4:5], v77, s9, 0
	v_mfma_f32_16x16x16_f16 v[34:37], v[92:93], v[50:51], v[34:37]
	v_lshlrev_b64 v[58:59], 1, v[6:7]
	v_lshl_add_u64 v[2:3], v[80:81], 0, v[58:59]
	v_pk_mul_f32 v[80:81], s[8:9], v[38:39] op_sel_hi:[0,1]
	v_mfma_f32_16x16x16_f16 v[34:37], v[94:95], v[52:53], v[34:37]
	v_lshl_add_u64 v[58:59], v[62:63], 0, v[58:59]
	global_load_dwordx4 v[6:9], v[2:3], off
	s_nop 0
	global_load_dwordx4 v[2:5], v[2:3], off offset:16
	v_mfma_f32_16x16x16_f16 v[34:37], v[72:73], v[46:47], v[34:37]
	v_mfma_f32_16x16x16_f16 v[34:37], v[74:75], v[48:49], v[34:37]
	s_nop 6
	v_pk_mul_f32 v[72:73], s[8:9], v[34:35] op_sel_hi:[0,1]
	v_and_b32_e32 v34, 0xc0, v0
	v_add_u32_e32 v34, s18, v34
	v_lshl_or_b32 v34, v86, 2, v34
	v_pk_mul_f32 v[66:67], s[8:9], v[36:37] op_sel_hi:[0,1]
	v_or_b32_e32 v37, 1, v34
	v_mov_b32_e32 v35, 0xff7fffff
	v_cmp_gt_i32_e64 s[28:29], s33, v34
	v_cmp_gt_i32_e64 s[30:31], s33, v37
	v_or_b32_e32 v38, 3, v34
	v_cndmask_b32_e64 v36, v35, v60, s[28:29]
	v_cndmask_b32_e64 v37, v35, v61, s[30:31]
	v_max3_f32 v36, v36, s41, v37
	v_or_b32_e32 v37, 2, v34
	v_cmp_gt_i32_e64 s[34:35], s33, v37
	v_cmp_gt_i32_e64 s[36:37], s33, v38
	s_nop 0
	v_cndmask_b32_e64 v37, v35, v82, s[34:35]
	v_cndmask_b32_e64 v38, v35, v83, s[36:37]
	v_max3_f32 v36, v36, v37, v38
	v_or_b32_e32 v37, 16, v34
	v_or_b32_e32 v38, 17, v34
	v_cmp_gt_i32_e64 s[22:23], s33, v37
	v_cmp_gt_i32_e64 s[24:25], s33, v38
	s_nop 0
	v_cndmask_b32_e64 v37, v35, v70, s[22:23]
	v_cndmask_b32_e64 v38, v35, v71, s[24:25]
	v_max3_f32 v36, v36, v37, v38
	v_or_b32_e32 v37, 18, v34
	;; [unrolled: 8-line block ×6, first 2 shown]
	v_or_b32_e32 v34, 51, v34
	v_cmp_gt_i32_e32 vcc, s33, v37
	v_cmp_gt_i32_e64 s[4:5], s33, v34
	global_load_dwordx4 v[46:49], v[44:45], off
	global_load_dwordx4 v[38:41], v[44:45], off offset:16
	v_cndmask_b32_e32 v37, v35, v66, vcc
	v_cndmask_b32_e64 v34, v35, v67, s[4:5]
	v_max3_f32 v50, v36, v37, v34
	v_mbcnt_lo_u32_b32 v34, -1, 0
	v_mbcnt_hi_u32_b32 v51, -1, v34
	v_and_b32_e32 v34, 64, v51
	v_add_u32_e32 v52, 64, v34
	v_xor_b32_e32 v34, 32, v51
	v_cmp_lt_i32_e64 s[38:39], v34, v52
	s_nop 1
	v_cndmask_b32_e64 v34, v51, v34, s[38:39]
	v_lshlrev_b32_e32 v74, 2, v34
	ds_bpermute_b32 v53, v74, v50
	v_lshl_add_u64 v[34:35], v[62:63], 0, v[42:43]
	global_load_dwordx4 v[42:45], v[34:35], off
	s_nop 0
	global_load_dwordx4 v[34:37], v[34:35], off offset:16
	s_waitcnt lgkmcnt(0)
	v_max_f32_e32 v53, v53, v53
	v_max_f32_e32 v64, v50, v53
	v_xor_b32_e32 v50, 16, v51
	v_cmp_lt_i32_e64 s[38:39], v50, v52
	s_nop 1
	v_cndmask_b32_e64 v50, v51, v50, s[38:39]
	v_lshlrev_b32_e32 v75, 2, v50
	ds_bpermute_b32 v65, v75, v64
	v_lshl_add_u64 v[50:51], v[62:63], 0, v[56:57]
	global_load_dwordx4 v[54:57], v[50:51], off
	s_nop 0
	global_load_dwordx4 v[50:53], v[50:51], off offset:16
	s_waitcnt lgkmcnt(0)
	v_max_f32_e32 v62, v65, v65
	v_max_f32_e32 v88, v64, v62
	v_sub_f32_e32 v60, v60, v88
	v_mul_f32_e32 v60, 0x3fb8aa3b, v60
	v_exp_f32_e32 v68, v60
	v_sub_f32_e32 v60, v61, v88
	v_mul_f32_e32 v60, 0x3fb8aa3b, v60
	v_exp_f32_e32 v69, v60
	global_load_dwordx4 v[62:65], v[58:59], off
	s_nop 0
	global_load_dwordx4 v[58:61], v[58:59], off offset:16
	v_sub_f32_e32 v82, v82, v88
	v_mul_f32_e32 v82, 0x3fb8aa3b, v82
	v_sub_f32_e32 v83, v83, v88
	v_exp_f32_e32 v82, v82
	v_mul_f32_e32 v83, 0x3fb8aa3b, v83
	v_sub_f32_e32 v70, v70, v88
	v_exp_f32_e32 v83, v83
	v_mul_f32_e32 v70, 0x3fb8aa3b, v70
	v_sub_f32_e32 v71, v71, v88
	v_cndmask_b32_e64 v68, 0, v68, s[28:29]
	v_exp_f32_e32 v70, v70
	v_mul_f32_e32 v71, 0x3fb8aa3b, v71
	v_sub_f32_e32 v84, v84, v88
	v_add_f32_e32 v77, 0, v68
	v_cndmask_b32_e64 v69, 0, v69, s[30:31]
	v_exp_f32_e32 v71, v71
	v_mul_f32_e32 v84, 0x3fb8aa3b, v84
	v_sub_f32_e32 v85, v85, v88
	v_add_f32_e32 v77, v77, v69
	v_cndmask_b32_e64 v82, 0, v82, s[34:35]
	v_exp_f32_e32 v84, v84
	v_mul_f32_e32 v85, 0x3fb8aa3b, v85
	v_sub_f32_e32 v80, v80, v88
	v_add_f32_e32 v77, v77, v82
	v_cndmask_b32_e64 v83, 0, v83, s[36:37]
	v_exp_f32_e32 v85, v85
	v_mul_f32_e32 v80, 0x3fb8aa3b, v80
	v_sub_f32_e32 v81, v81, v88
	v_add_f32_e32 v77, v77, v83
	v_cndmask_b32_e64 v70, 0, v70, s[22:23]
	v_exp_f32_e32 v80, v80
	v_mul_f32_e32 v81, 0x3fb8aa3b, v81
	v_sub_f32_e32 v78, v78, v88
	v_add_f32_e32 v77, v77, v70
	v_cndmask_b32_e64 v71, 0, v71, s[24:25]
	v_exp_f32_e32 v81, v81
	v_mul_f32_e32 v78, 0x3fb8aa3b, v78
	v_sub_f32_e32 v79, v79, v88
	v_add_f32_e32 v77, v77, v71
	v_cndmask_b32_e64 v84, 0, v84, s[18:19]
	v_exp_f32_e32 v78, v78
	v_mul_f32_e32 v79, 0x3fb8aa3b, v79
	v_sub_f32_e32 v72, v72, v88
	v_add_f32_e32 v77, v77, v84
	v_cndmask_b32_e64 v85, 0, v85, s[20:21]
	v_exp_f32_e32 v79, v79
	v_mul_f32_e32 v72, 0x3fb8aa3b, v72
	v_sub_f32_e32 v73, v73, v88
	v_add_f32_e32 v77, v77, v85
	v_cndmask_b32_e64 v80, 0, v80, s[14:15]
	v_exp_f32_e32 v72, v72
	v_mul_f32_e32 v73, 0x3fb8aa3b, v73
	v_sub_f32_e32 v66, v66, v88
	v_add_f32_e32 v77, v77, v80
	v_cndmask_b32_e64 v81, 0, v81, s[16:17]
	v_exp_f32_e32 v73, v73
	v_mul_f32_e32 v66, 0x3fb8aa3b, v66
	v_sub_f32_e32 v67, v67, v88
	v_add_f32_e32 v77, v77, v81
	v_cndmask_b32_e64 v78, 0, v78, s[10:11]
	v_exp_f32_e32 v66, v66
	v_mul_f32_e32 v67, 0x3fb8aa3b, v67
	v_add_f32_e32 v77, v77, v78
	v_cndmask_b32_e64 v79, 0, v79, s[12:13]
	v_exp_f32_e32 v67, v67
	v_add_f32_e32 v77, v77, v79
	v_cndmask_b32_e64 v72, 0, v72, s[6:7]
	v_add_f32_e32 v77, v77, v72
	v_cndmask_b32_e64 v73, 0, v73, s[8:9]
	v_add_f32_e32 v77, v77, v73
	v_cndmask_b32_e32 v66, 0, v66, vcc
	v_add_f32_e32 v77, v77, v66
	v_cndmask_b32_e64 v67, 0, v67, s[4:5]
	v_add_f32_e32 v77, v77, v67
	ds_bpermute_b32 v74, v74, v77
	s_waitcnt lgkmcnt(0)
	s_barrier
	v_add_f32_e32 v89, v77, v74
	ds_bpermute_b32 v90, v75, v89
	v_and_b32_e32 v74, 63, v0
	v_cmp_gt_u32_e32 vcc, 16, v74
	s_and_saveexec_b64 s[4:5], vcc
	s_cbranch_execz .LBB378_15
; %bb.14:
	s_waitcnt lgkmcnt(0)
	v_add_f32_e32 v74, v89, v90
	v_lshlrev_b32_e32 v75, 2, v87
	ds_write2st64_b32 v75, v88, v74 offset1:1
.LBB378_15:
	s_or_b64 exec, exec, s[4:5]
	v_lshlrev_b32_e32 v77, 2, v76
	s_load_dword s6, s[0:1], 0x94
	s_waitcnt lgkmcnt(0)
	s_barrier
	ds_read2_b32 v[74:75], v77 offset1:16
	ds_read2_b32 v[88:89], v77 offset0:32 offset1:48
	ds_read2_b32 v[90:91], v77 offset0:64 offset1:80
	s_mul_i32 s7, s27, 15
	s_waitcnt lgkmcnt(2)
	v_max3_f32 v87, v74, s41, v75
	s_waitcnt lgkmcnt(1)
	v_max3_f32 v87, v87, v88, v89
	v_sub_f32_e32 v74, v74, v87
	v_mul_f32_e32 v74, 0x3fb8aa3b, v74
	v_exp_f32_e32 v92, v74
	v_sub_f32_e32 v74, v75, v87
	v_mul_f32_e32 v74, 0x3fb8aa3b, v74
	v_exp_f32_e32 v93, v74
	;; [unrolled: 3-line block ×3, first 2 shown]
	ds_read2_b32 v[74:75], v77 offset0:96 offset1:112
	v_sub_f32_e32 v77, v89, v87
	v_mul_f32_e32 v77, 0x3fb8aa3b, v77
	v_exp_f32_e32 v77, v77
	s_waitcnt lgkmcnt(1)
	v_fma_f32 v88, v92, v90, 0
	v_fmac_f32_e32 v88, v93, v91
	s_waitcnt lgkmcnt(0)
	v_fmac_f32_e32 v88, v94, v74
	v_fmac_f32_e32 v88, v77, v75
	v_add_f32_e32 v74, 0x358637bd, v88
	v_div_scale_f32 v75, s[4:5], v74, v74, 1.0
	v_rcp_f32_e32 v89, v75
	s_barrier
	v_fma_f32 v90, -v75, v89, 1.0
	v_fmac_f32_e32 v89, v90, v89
	v_div_scale_f32 v90, vcc, 1.0, v74, 1.0
	v_mul_f32_e32 v91, v90, v89
	v_fma_f32 v95, -v75, v91, v90
	v_fmac_f32_e32 v91, v95, v89
	v_fma_f32 v75, -v75, v91, v90
	v_div_fmas_f32 v75, v75, v89, v91
	v_cmp_eq_u32_e32 vcc, 1, v1
	v_div_fixup_f32 v74, v75, v74, 1.0
	s_nop 0
	v_cndmask_b32_e32 v75, v92, v93, vcc
	v_cmp_eq_u32_e32 vcc, 2, v1
	s_nop 1
	v_cndmask_b32_e32 v75, v75, v94, vcc
	v_cmp_eq_u32_e32 vcc, 3, v1
	v_lshlrev_b32_e32 v1, 11, v1
	s_nop 0
	v_cndmask_b32_e32 v75, v75, v77, vcc
	v_mul_f32_e32 v74, v75, v74
	v_pk_mul_f32 v[82:83], v[74:75], v[82:83] op_sel_hi:[0,1]
	v_pk_mul_f32 v[68:69], v[74:75], v[68:69] op_sel_hi:[0,1]
	v_cvt_f16_f32_e32 v75, v82
	v_cvt_f16_f32_e32 v77, v83
	;; [unrolled: 1-line block ×4, first 2 shown]
	v_pk_mul_f32 v[84:85], v[74:75], v[84:85] op_sel_hi:[0,1]
	v_pk_mul_f32 v[70:71], v[74:75], v[70:71] op_sel_hi:[0,1]
	v_pack_b32_f16 v83, v75, v77
	v_cvt_f16_f32_e32 v70, v70
	v_cvt_f16_f32_e32 v71, v71
	;; [unrolled: 1-line block ×4, first 2 shown]
	v_pack_b32_f16 v82, v68, v69
	v_lshlrev_b32_e32 v69, 3, v86
	v_lshlrev_b32_e32 v68, 5, v76
	v_or3_b32 v1, v1, v68, v69
	v_pack_b32_f16 v70, v70, v71
	v_pack_b32_f16 v71, v75, v77
	ds_write2st64_b64 v1, v[82:83], v[70:71] offset1:1
	v_pk_mul_f32 v[70:71], v[74:75], v[78:79] op_sel_hi:[0,1]
	v_pk_mul_f32 v[78:79], v[74:75], v[80:81] op_sel_hi:[0,1]
	v_cvt_f16_f32_e32 v75, v79
	v_cvt_f16_f32_e32 v69, v78
	v_cvt_f16_f32_e32 v77, v70
	v_cvt_f16_f32_e32 v78, v71
	v_pk_mul_f32 v[66:67], v[74:75], v[66:67] op_sel_hi:[0,1]
	v_pk_mul_f32 v[70:71], v[74:75], v[72:73] op_sel_hi:[0,1]
	v_cvt_f16_f32_e32 v70, v70
	v_cvt_f16_f32_e32 v71, v71
	;; [unrolled: 1-line block ×4, first 2 shown]
	v_pack_b32_f16 v66, v69, v75
	v_pack_b32_f16 v67, v77, v78
	;; [unrolled: 1-line block ×4, first 2 shown]
	v_cmp_gt_u32_e32 vcc, 15, v0
	ds_write2st64_b64 v1, v[66:67], v[70:71] offset0:2 offset1:3
	s_and_saveexec_b64 s[4:5], vcc
	s_cbranch_execz .LBB378_17
; %bb.16:
	s_mov_b32 s41, 0
	v_mov_b32_e32 v77, 0
	v_lshl_add_u64 v[66:67], s[40:41], 0, v[76:77]
	v_mov_b32_e32 v69, s7
	v_mad_u64_u32 v[66:67], s[12:13], s2, v69, v[66:67]
	s_mul_i32 s3, s3, s7
	v_mov_b32_e32 v70, s26
	v_mov_b32_e32 v71, v77
	s_load_dwordx4 s[8:11], s[0:1], 0x58
	v_add_u32_e32 v69, s3, v67
	v_mad_u64_u32 v[66:67], s[12:13], v66, s6, v[70:71]
	v_mov_b32_e32 v70, v67
	v_mad_u64_u32 v[70:71], s[12:13], v69, s6, v[70:71]
	v_mov_b32_e32 v67, v70
	v_lshlrev_b64 v[66:67], 2, v[66:67]
	s_waitcnt lgkmcnt(0)
	v_lshl_add_u64 v[70:71], s[10:11], 0, v[66:67]
	v_lshl_add_u64 v[66:67], s[8:9], 0, v[66:67]
	global_store_dword v[70:71], v87, off
	global_store_dword v[66:67], v88, off
.LBB378_17:
	s_or_b64 exec, exec, s[4:5]
	v_lshl_or_b32 v74, v86, 9, v68
	s_waitcnt lgkmcnt(0)
	s_barrier
	ds_read_b128 v[70:73], v74
	ds_read_b128 v[66:69], v74 offset:16
	s_waitcnt vmcnt(15) lgkmcnt(1)
	v_mfma_f32_16x16x16_f16 v[78:81], v[30:31], v[70:71], 0
	s_mov_b32 s3, 0
	v_cmp_gt_u32_e32 vcc, 64, v0
	v_mfma_f32_16x16x16_f16 v[30:33], v[32:33], v[72:73], v[78:81]
	s_waitcnt vmcnt(14) lgkmcnt(0)
	v_mfma_f32_16x16x16_f16 v[30:33], v[26:27], v[66:67], v[30:33]
	v_mfma_f32_16x16x16_f16 v[26:29], v[28:29], v[68:69], v[30:33]
	s_nop 5
	ds_read_b128 v[30:33], v74 offset:2048
	ds_read_b128 v[78:81], v74 offset:2064
	s_waitcnt vmcnt(13) lgkmcnt(1)
	v_mfma_f32_16x16x16_f16 v[26:29], v[22:23], v[30:31], v[26:29]
	v_mfma_f32_16x16x16_f16 v[22:25], v[24:25], v[32:33], v[26:29]
	s_waitcnt vmcnt(12) lgkmcnt(0)
	v_mfma_f32_16x16x16_f16 v[22:25], v[18:19], v[78:79], v[22:25]
	v_mfma_f32_16x16x16_f16 v[18:21], v[20:21], v[80:81], v[22:25]
	s_nop 5
	ds_read_b128 v[22:25], v74 offset:4096
	ds_read_b128 v[26:29], v74 offset:4112
	s_waitcnt vmcnt(11) lgkmcnt(1)
	v_mfma_f32_16x16x16_f16 v[18:21], v[14:15], v[22:23], v[18:21]
	v_mfma_f32_16x16x16_f16 v[14:17], v[16:17], v[24:25], v[18:21]
	s_waitcnt vmcnt(10) lgkmcnt(0)
	v_mfma_f32_16x16x16_f16 v[14:17], v[10:11], v[26:27], v[14:17]
	v_mfma_f32_16x16x16_f16 v[10:13], v[12:13], v[28:29], v[14:17]
	s_nop 5
	ds_read_b128 v[14:17], v74 offset:6144
	ds_read_b128 v[18:21], v74 offset:6160
	s_waitcnt lgkmcnt(0)
	s_barrier
	s_waitcnt vmcnt(9)
	v_mfma_f32_16x16x16_f16 v[10:13], v[6:7], v[14:15], v[10:13]
	v_mfma_f32_16x16x16_f16 v[6:9], v[8:9], v[16:17], v[10:13]
	s_waitcnt vmcnt(8)
	v_mfma_f32_16x16x16_f16 v[6:9], v[2:3], v[18:19], v[6:9]
	v_mfma_f32_16x16x16_f16 v[2:5], v[4:5], v[20:21], v[6:9]
	;; [unrolled: 3-line block ×3, first 2 shown]
	s_nop 3
	v_cvt_f16_f32_e32 v10, v2
	v_cvt_f16_f32_e32 v11, v3
	;; [unrolled: 1-line block ×3, first 2 shown]
	s_waitcnt vmcnt(6)
	v_mfma_f32_16x16x16_f16 v[6:9], v[38:39], v[66:67], v[6:9]
	v_cvt_f16_f32_e32 v13, v5
	v_mfma_f32_16x16x16_f16 v[6:9], v[40:41], v[68:69], v[6:9]
	s_waitcnt vmcnt(5)
	v_mfma_f32_16x16x16_f16 v[6:9], v[42:43], v[30:31], v[6:9]
	v_mfma_f32_16x16x16_f16 v[6:9], v[44:45], v[32:33], v[6:9]
	s_waitcnt vmcnt(4)
	v_mfma_f32_16x16x16_f16 v[6:9], v[34:35], v[78:79], v[6:9]
	;; [unrolled: 3-line block ×6, first 2 shown]
	v_mfma_f32_16x16x16_f16 v[2:5], v[60:61], v[20:21], v[6:9]
	s_nop 6
	v_cvt_f16_f32_e32 v6, v2
	v_cvt_f16_f32_e32 v7, v3
	;; [unrolled: 1-line block ×4, first 2 shown]
	v_pack_b32_f16 v2, v10, v11
	v_pack_b32_f16 v3, v12, v13
	;; [unrolled: 1-line block ×4, first 2 shown]
	ds_write2st64_b64 v1, v[2:3], v[4:5] offset1:1
	s_waitcnt lgkmcnt(0)
	s_barrier
	s_and_saveexec_b64 s[4:5], vcc
	s_cbranch_execz .LBB378_20
; %bb.18:
	v_lshlrev_b32_e32 v3, 6, v76
	v_lshlrev_b32_e32 v2, 4, v0
	v_lshl_or_b32 v0, v0, 10, v3
	v_lshlrev_b32_e32 v1, 5, v86
	v_and_b32_e32 v2, 16, v2
	v_and_b32_e32 v0, 0x1a00, v0
	v_or3_b32 v2, v0, v1, v2
	scratch_load_dwordx2 v[0:1], off, off   ; 8-byte Folded Reload
	s_load_dwordx2 s[4:5], s[0:1], 0x68
	s_lshl_b32 s0, s6, 7
	s_mul_i32 s1, s7, s2
	s_mul_hi_u32 s7, s1, s0
	s_mul_i32 s6, s1, s0
	s_lshl_b64 s[6:7], s[6:7], 1
	s_waitcnt lgkmcnt(0)
	s_add_u32 s1, s4, s6
	s_addc_u32 s4, s5, s7
	s_lshl_b32 s2, s26, 7
	ds_read_b128 v[4:7], v2 offset:256
	s_lshl_b64 s[2:3], s[2:3], 1
	ds_read_b128 v[8:11], v2 offset:128
	ds_read_b128 v[12:15], v2
	s_add_u32 s2, s1, s2
	s_addc_u32 s3, s4, s3
	v_add_u32_e32 v3, s40, v86
	v_cmp_ne_u32_e32 vcc, 3, v86
	s_waitcnt vmcnt(0)
	v_lshl_add_u64 v[0:1], v[0:1], 1, s[2:3]
	v_mad_u64_u32 v[16:17], s[2:3], v3, s0, 0
	v_lshl_add_u64 v[16:17], v[16:17], 1, v[0:1]
	s_waitcnt lgkmcnt(0)
	global_store_dwordx4 v[16:17], v[12:15], off
	s_nop 1
	v_add_u32_e32 v12, 4, v3
	v_mad_u64_u32 v[12:13], s[2:3], v12, s0, 0
	v_lshl_add_u64 v[12:13], v[12:13], 1, v[0:1]
	v_add_u32_e32 v3, 8, v3
	global_store_dwordx4 v[12:13], v[8:11], off
	s_nop 1
	v_mad_u64_u32 v[8:9], s[2:3], v3, s0, 0
	v_lshl_add_u64 v[8:9], v[8:9], 1, v[0:1]
	global_store_dwordx4 v[8:9], v[4:7], off
	s_and_b64 exec, exec, vcc
	s_cbranch_execz .LBB378_20
; %bb.19:
	ds_read_b128 v[2:5], v2 offset:384
	v_add3_u32 v6, s40, v86, 12
	v_mad_u64_u32 v[6:7], s[0:1], v6, s0, 0
	v_lshl_add_u64 v[0:1], v[6:7], 1, v[0:1]
	s_waitcnt lgkmcnt(0)
	global_store_dwordx4 v[0:1], v[2:5], off
.LBB378_20:
	s_endpgm
	.section	.rodata,"a",@progbits
	.p2align	6, 0x0
	.amdhsa_kernel _Z39paged_attention_ll4mi_QKV_mfma16_kernelIDF16_DF16_LN4vllm18Fp8KVCacheDataTypeE0EDF16_Li32ELi128ELi256ELb0ELi15EEvPKT_PKT0_S7_ifPKiS9_S9_iPKfiiiPfSC_PS2_PT2_iSB_SB_
		.amdhsa_group_segment_fixed_size 8192
		.amdhsa_private_segment_fixed_size 12
		.amdhsa_kernarg_size 400
		.amdhsa_user_sgpr_count 2
		.amdhsa_user_sgpr_dispatch_ptr 0
		.amdhsa_user_sgpr_queue_ptr 0
		.amdhsa_user_sgpr_kernarg_segment_ptr 1
		.amdhsa_user_sgpr_dispatch_id 0
		.amdhsa_user_sgpr_kernarg_preload_length 0
		.amdhsa_user_sgpr_kernarg_preload_offset 0
		.amdhsa_user_sgpr_private_segment_size 0
		.amdhsa_uses_dynamic_stack 0
		.amdhsa_enable_private_segment 1
		.amdhsa_system_sgpr_workgroup_id_x 1
		.amdhsa_system_sgpr_workgroup_id_y 1
		.amdhsa_system_sgpr_workgroup_id_z 1
		.amdhsa_system_sgpr_workgroup_info 0
		.amdhsa_system_vgpr_workitem_id 0
		.amdhsa_next_free_vgpr 96
		.amdhsa_next_free_sgpr 42
		.amdhsa_accum_offset 96
		.amdhsa_reserve_vcc 1
		.amdhsa_float_round_mode_32 0
		.amdhsa_float_round_mode_16_64 0
		.amdhsa_float_denorm_mode_32 3
		.amdhsa_float_denorm_mode_16_64 3
		.amdhsa_dx10_clamp 1
		.amdhsa_ieee_mode 1
		.amdhsa_fp16_overflow 0
		.amdhsa_tg_split 0
		.amdhsa_exception_fp_ieee_invalid_op 0
		.amdhsa_exception_fp_denorm_src 0
		.amdhsa_exception_fp_ieee_div_zero 0
		.amdhsa_exception_fp_ieee_overflow 0
		.amdhsa_exception_fp_ieee_underflow 0
		.amdhsa_exception_fp_ieee_inexact 0
		.amdhsa_exception_int_div_zero 0
	.end_amdhsa_kernel
	.section	.text._Z39paged_attention_ll4mi_QKV_mfma16_kernelIDF16_DF16_LN4vllm18Fp8KVCacheDataTypeE0EDF16_Li32ELi128ELi256ELb0ELi15EEvPKT_PKT0_S7_ifPKiS9_S9_iPKfiiiPfSC_PS2_PT2_iSB_SB_,"axG",@progbits,_Z39paged_attention_ll4mi_QKV_mfma16_kernelIDF16_DF16_LN4vllm18Fp8KVCacheDataTypeE0EDF16_Li32ELi128ELi256ELb0ELi15EEvPKT_PKT0_S7_ifPKiS9_S9_iPKfiiiPfSC_PS2_PT2_iSB_SB_,comdat
.Lfunc_end378:
	.size	_Z39paged_attention_ll4mi_QKV_mfma16_kernelIDF16_DF16_LN4vllm18Fp8KVCacheDataTypeE0EDF16_Li32ELi128ELi256ELb0ELi15EEvPKT_PKT0_S7_ifPKiS9_S9_iPKfiiiPfSC_PS2_PT2_iSB_SB_, .Lfunc_end378-_Z39paged_attention_ll4mi_QKV_mfma16_kernelIDF16_DF16_LN4vllm18Fp8KVCacheDataTypeE0EDF16_Li32ELi128ELi256ELb0ELi15EEvPKT_PKT0_S7_ifPKiS9_S9_iPKfiiiPfSC_PS2_PT2_iSB_SB_
                                        ; -- End function
	.section	.AMDGPU.csdata,"",@progbits
; Kernel info:
; codeLenInByte = 4648
; NumSgprs: 48
; NumVgprs: 96
; NumAgprs: 0
; TotalNumVgprs: 96
; ScratchSize: 12
; MemoryBound: 0
; FloatMode: 240
; IeeeMode: 1
; LDSByteSize: 8192 bytes/workgroup (compile time only)
; SGPRBlocks: 5
; VGPRBlocks: 11
; NumSGPRsForWavesPerEU: 48
; NumVGPRsForWavesPerEU: 96
; AccumOffset: 96
; Occupancy: 5
; WaveLimiterHint : 1
; COMPUTE_PGM_RSRC2:SCRATCH_EN: 1
; COMPUTE_PGM_RSRC2:USER_SGPR: 2
; COMPUTE_PGM_RSRC2:TRAP_HANDLER: 0
; COMPUTE_PGM_RSRC2:TGID_X_EN: 1
; COMPUTE_PGM_RSRC2:TGID_Y_EN: 1
; COMPUTE_PGM_RSRC2:TGID_Z_EN: 1
; COMPUTE_PGM_RSRC2:TIDIG_COMP_CNT: 0
; COMPUTE_PGM_RSRC3_GFX90A:ACCUM_OFFSET: 23
; COMPUTE_PGM_RSRC3_GFX90A:TG_SPLIT: 0
	.section	.text._Z39paged_attention_ll4mi_QKV_mfma16_kernelIDF16_DF16_LN4vllm18Fp8KVCacheDataTypeE0EDF16_Li32ELi128ELi256ELb0ELi16EEvPKT_PKT0_S7_ifPKiS9_S9_iPKfiiiPfSC_PS2_PT2_iSB_SB_,"axG",@progbits,_Z39paged_attention_ll4mi_QKV_mfma16_kernelIDF16_DF16_LN4vllm18Fp8KVCacheDataTypeE0EDF16_Li32ELi128ELi256ELb0ELi16EEvPKT_PKT0_S7_ifPKiS9_S9_iPKfiiiPfSC_PS2_PT2_iSB_SB_,comdat
	.protected	_Z39paged_attention_ll4mi_QKV_mfma16_kernelIDF16_DF16_LN4vllm18Fp8KVCacheDataTypeE0EDF16_Li32ELi128ELi256ELb0ELi16EEvPKT_PKT0_S7_ifPKiS9_S9_iPKfiiiPfSC_PS2_PT2_iSB_SB_ ; -- Begin function _Z39paged_attention_ll4mi_QKV_mfma16_kernelIDF16_DF16_LN4vllm18Fp8KVCacheDataTypeE0EDF16_Li32ELi128ELi256ELb0ELi16EEvPKT_PKT0_S7_ifPKiS9_S9_iPKfiiiPfSC_PS2_PT2_iSB_SB_
	.globl	_Z39paged_attention_ll4mi_QKV_mfma16_kernelIDF16_DF16_LN4vllm18Fp8KVCacheDataTypeE0EDF16_Li32ELi128ELi256ELb0ELi16EEvPKT_PKT0_S7_ifPKiS9_S9_iPKfiiiPfSC_PS2_PT2_iSB_SB_
	.p2align	8
	.type	_Z39paged_attention_ll4mi_QKV_mfma16_kernelIDF16_DF16_LN4vllm18Fp8KVCacheDataTypeE0EDF16_Li32ELi128ELi256ELb0ELi16EEvPKT_PKT0_S7_ifPKiS9_S9_iPKfiiiPfSC_PS2_PT2_iSB_SB_,@function
_Z39paged_attention_ll4mi_QKV_mfma16_kernelIDF16_DF16_LN4vllm18Fp8KVCacheDataTypeE0EDF16_Li32ELi128ELi256ELb0ELi16EEvPKT_PKT0_S7_ifPKiS9_S9_iPKfiiiPfSC_PS2_PT2_iSB_SB_: ; @_Z39paged_attention_ll4mi_QKV_mfma16_kernelIDF16_DF16_LN4vllm18Fp8KVCacheDataTypeE0EDF16_Li32ELi128ELi256ELb0ELi16EEvPKT_PKT0_S7_ifPKiS9_S9_iPKfiiiPfSC_PS2_PT2_iSB_SB_
; %bb.0:
	s_load_dwordx2 s[8:9], s[0:1], 0x30
	s_mov_b32 s26, s3
	s_mov_b64 s[6:7], 0
	s_waitcnt lgkmcnt(0)
	s_cmp_lg_u64 s[8:9], 0
	s_cselect_b64 s[10:11], -1, 0
	s_and_b64 vcc, exec, s[10:11]
	s_cbranch_vccz .LBB379_7
; %bb.1:
	s_add_i32 s12, s2, 1
	s_mov_b32 s13, 0
	s_lshl_b64 s[14:15], s[12:13], 2
	s_add_u32 s14, s8, s14
	s_mov_b32 s3, s13
	s_addc_u32 s15, s9, s15
	s_lshl_b64 s[12:13], s[2:3], 2
	s_add_u32 s12, s8, s12
	s_addc_u32 s13, s9, s13
	s_load_dword s5, s[14:15], 0x0
	s_load_dword s16, s[12:13], 0x0
	s_waitcnt lgkmcnt(0)
	s_sub_i32 s5, s5, s16
	s_cmp_eq_u32 s5, 1
	s_cselect_b64 s[12:13], -1, 0
	s_andn2_b64 vcc, exec, s[6:7]
	s_cbranch_vccnz .LBB379_3
.LBB379_2:
	s_mov_b32 s3, 0
	s_mov_b64 s[12:13], -1
.LBB379_3:
	s_andn2_b64 vcc, exec, s[12:13]
	s_cbranch_vccnz .LBB379_19
; %bb.4:
	s_load_dwordx2 s[6:7], s[0:1], 0x28
	s_lshl_b64 s[12:13], s[2:3], 2
	s_waitcnt lgkmcnt(0)
	s_add_u32 s6, s6, s12
	s_addc_u32 s7, s7, s13
	s_load_dword s38, s[6:7], 0x0
	s_lshl_b32 s18, s26, 8
	s_waitcnt lgkmcnt(0)
	s_cmp_ge_i32 s18, s38
	s_cbranch_scc1 .LBB379_19
; %bb.5:
	s_load_dwordx2 s[6:7], s[0:1], 0x20
	s_load_dword s5, s[0:1], 0x38
	s_add_i32 s14, s38, 31
	s_ashr_i32 s15, s14, 31
	v_and_b32_e32 v1, 0xcf, v0
	s_lshr_b32 s15, s15, 27
	v_add_u32_e32 v1, s18, v1
	s_add_i32 s14, s14, s15
	v_ashrrev_i32_e32 v2, 31, v1
	s_ashr_i32 s19, s14, 5
	v_lshrrev_b32_e32 v6, 27, v2
	s_add_i32 s19, s19, -1
	s_waitcnt lgkmcnt(0)
	s_mul_i32 s14, s2, s5
	s_mov_b32 s15, 0
	v_add_u32_e32 v2, v1, v6
	s_lshl_b64 s[14:15], s[14:15], 2
	v_ashrrev_i32_e32 v2, 5, v2
	v_mov_b32_e32 v7, s19
	v_cmp_gt_i32_e32 vcc, s38, v1
	s_add_u32 s6, s6, s14
	s_addc_u32 s7, s7, s15
	v_cndmask_b32_e32 v2, v7, v2, vcc
	v_ashrrev_i32_e32 v3, 31, v2
	v_lshl_add_u64 v[4:5], v[2:3], 2, s[6:7]
	v_or_b32_e32 v2, 16, v1
	v_add_u32_e32 v3, v2, v6
	v_ashrrev_i32_e32 v3, 5, v3
	v_cmp_gt_i32_e32 vcc, s38, v2
	s_nop 1
	v_cndmask_b32_e32 v2, v7, v3, vcc
	v_ashrrev_i32_e32 v3, 31, v2
	v_lshl_add_u64 v[8:9], v[2:3], 2, s[6:7]
	v_or_b32_e32 v2, 32, v1
	v_add_u32_e32 v3, v2, v6
	v_ashrrev_i32_e32 v3, 5, v3
	v_cmp_gt_i32_e32 vcc, s38, v2
	v_or_b32_e32 v1, 48, v1
	s_nop 0
	v_cndmask_b32_e32 v2, v7, v3, vcc
	v_ashrrev_i32_e32 v3, 31, v2
	v_lshl_add_u64 v[10:11], v[2:3], 2, s[6:7]
	v_add_u32_e32 v2, v1, v6
	v_ashrrev_i32_e32 v2, 5, v2
	v_cmp_gt_i32_e32 vcc, s38, v1
	s_nop 1
	v_cndmask_b32_e32 v2, v7, v2, vcc
	v_ashrrev_i32_e32 v3, 31, v2
	v_lshl_add_u64 v[12:13], v[2:3], 2, s[6:7]
	global_load_dword v2, v[4:5], off
	global_load_dword v7, v[8:9], off
	;; [unrolled: 1-line block ×4, first 2 shown]
	s_andn2_b64 vcc, exec, s[10:11]
	s_cbranch_vccnz .LBB379_8
; %bb.6:
	s_add_u32 s8, s8, s12
	s_addc_u32 s9, s9, s13
	s_load_dword s5, s[8:9], 0x0
	s_branch .LBB379_9
.LBB379_7:
	s_mov_b64 s[12:13], 0
	s_branch .LBB379_2
.LBB379_8:
	s_mov_b32 s5, s2
.LBB379_9:
	s_load_dwordx4 s[12:15], s[0:1], 0x8
	s_load_dwordx4 s[8:11], s[0:1], 0x48
	v_and_b32_e32 v1, 15, v0
	s_waitcnt lgkmcnt(0)
	s_movk_i32 s11, 0xff
	v_lshlrev_b32_e32 v12, 3, v1
	v_cmp_lt_u32_e32 vcc, s11, v0
	s_and_saveexec_b64 s[16:17], vcc
	s_xor_b64 s[16:17], exec, s[16:17]
; %bb.10:
	v_mov_b32_e32 v13, 0
; %bb.11:
	s_or_saveexec_b64 s[16:17], s[16:17]
	v_lshrrev_b32_e32 v95, 6, v0
	s_lshl_b32 s27, s4, 4
	v_bfe_u32 v84, v0, 4, 2
	s_xor_b64 exec, exec, s[16:17]
	s_cbranch_execz .LBB379_13
; %bb.12:
	s_load_dwordx2 s[20:21], s[0:1], 0x0
	s_ashr_i32 s11, s8, 31
	s_mul_hi_u32 s22, s5, s8
	s_mul_i32 s11, s5, s11
	s_add_i32 s23, s22, s11
	s_mul_i32 s22, s5, s8
	v_lshl_or_b32 v1, v95, 2, v84
	s_lshl_b64 s[22:23], s[22:23], 1
	s_waitcnt lgkmcnt(0)
	s_add_u32 s20, s20, s22
	v_add_lshl_u32 v4, v1, s27, 7
	s_addc_u32 s21, s21, s23
	v_ashrrev_i32_e32 v5, 31, v4
	v_mov_b32_e32 v13, 0
	v_lshl_add_u64 v[4:5], v[4:5], 1, s[20:21]
	v_lshlrev_b32_e32 v8, 1, v12
	v_mov_b32_e32 v9, v13
	v_lshl_add_u64 v[4:5], v[4:5], 0, v[8:9]
	global_load_dwordx4 v[8:11], v[4:5], off
	v_and_b32_e32 v4, 15, v0
	v_and_b32_e32 v3, 3, v0
	v_lshlrev_b32_e32 v4, 9, v4
	v_lshlrev_b32_e32 v1, 5, v1
	;; [unrolled: 1-line block ×3, first 2 shown]
	v_and_b32_e32 v4, 0x1800, v4
	v_or3_b32 v1, v4, v3, v1
	s_waitcnt vmcnt(0)
	ds_write_b128 v1, v[8:11]
.LBB379_13:
	s_or_b64 exec, exec, s[16:17]
	s_mul_i32 s4, s4, s10
	s_mov_b32 s5, 0
	s_lshl_b64 s[4:5], s[4:5], 1
	s_add_u32 s10, s12, s4
	s_addc_u32 s11, s13, s5
	s_waitcnt vmcnt(3)
	v_mad_i64_i32 v[2:3], s[12:13], v2, s9, 0
	v_mov_b32_e32 v55, 0
	s_waitcnt vmcnt(2)
	v_mad_i64_i32 v[8:9], s[12:13], v7, s9, 0
	v_mov_b32_e32 v1, 0x100
	v_and_b32_e32 v94, 15, v0
	v_lshl_add_u64 v[2:3], v[2:3], 1, s[10:11]
	v_lshlrev_b64 v[4:5], 1, v[12:13]
	v_lshl_add_u64 v[8:9], v[8:9], 1, s[10:11]
	v_lshl_or_b32 v56, v94, 4, v1
	v_mov_b32_e32 v57, v55
	v_lshlrev_b32_e32 v54, 9, v84
	v_lshl_add_u64 v[2:3], v[2:3], 0, v[4:5]
	v_lshl_add_u64 v[20:21], v[8:9], 0, v[56:57]
	;; [unrolled: 1-line block ×4, first 2 shown]
	s_load_dword s33, s[0:1], 0x98
	s_load_dword s8, s[0:1], 0x1c
	s_waitcnt lgkmcnt(0)
	s_barrier
	scratch_store_dwordx2 off, v[12:13], off offset:32 ; 8-byte Folded Spill
	global_load_dwordx4 v[14:17], v[18:19], off
	s_waitcnt vmcnt(3)
	v_mad_i64_i32 v[6:7], s[12:13], v6, s9, 0
	global_load_dwordx4 v[10:13], v[22:23], off
	v_lshl_add_u64 v[6:7], v[6:7], 1, s[10:11]
	v_lshl_add_u64 v[60:61], v[6:7], 0, v[4:5]
	;; [unrolled: 1-line block ×3, first 2 shown]
	global_load_dwordx4 v[6:9], v[46:47], off
	global_load_dwordx4 v[42:45], v[18:19], off offset:2048
	global_load_dwordx4 v[38:41], v[22:23], off offset:2048
	v_or_b32_e32 v62, 0x1000, v54
	v_mov_b32_e32 v63, v55
	v_lshl_add_u64 v[4:5], v[2:3], 0, v[62:63]
	global_load_dwordx4 v[30:33], v[4:5], off
	v_or_b32_e32 v58, 0x1800, v54
	v_mov_b32_e32 v59, v55
	v_lshl_add_u64 v[2:3], v[2:3], 0, v[58:59]
	global_load_dwordx4 v[22:25], v[2:3], off
	v_lshl_add_u64 v[4:5], v[20:21], 0, v[62:63]
	global_load_dwordx4 v[26:29], v[4:5], off
	;; [unrolled: 2-line block ×3, first 2 shown]
	v_lshl_or_b32 v85, v94, 5, v54
	ds_read_b128 v[2:5], v85
	s_waitcnt vmcnt(10)
	v_mad_i64_i32 v[64:65], s[12:13], v34, s9, 0
	ds_read_b128 v[34:37], v85 offset:2048
	global_load_dwordx4 v[76:79], v[46:47], off offset:2048
	ds_read_b128 v[50:53], v85 offset:4096
	ds_read_b128 v[46:49], v85 offset:6144
	s_ashr_i32 s12, s18, 31
	v_and_or_b32 v1, v0, 48, s18
	v_mov_b32_e32 v74, s19
	v_cmp_gt_i32_e32 vcc, s38, v1
	v_or_b32_e32 v75, 64, v1
	v_or_b32_e32 v86, 0x80, v1
	;; [unrolled: 1-line block ×3, first 2 shown]
	s_mov_b32 s40, 0xff7fffff
	s_waitcnt vmcnt(7) lgkmcnt(3)
	v_mfma_f32_16x16x16_f16 v[80:83], v[6:7], v[2:3], 0
	v_lshl_add_u64 v[6:7], v[64:65], 1, s[10:11]
	s_lshr_b32 s10, s12, 27
	v_lshl_add_u64 v[6:7], v[6:7], 0, v[56:57]
	v_mfma_f32_16x16x16_f16 v[70:73], v[10:11], v[2:3], 0
	v_lshl_add_u64 v[64:65], v[6:7], 0, v[54:55]
	v_lshl_add_u64 v[56:57], v[60:61], 0, v[58:59]
	s_add_u32 s4, s14, s4
	v_mfma_f32_16x16x16_f16 v[66:69], v[14:15], v[2:3], 0
	s_addc_u32 s5, s15, s5
	v_mfma_f32_16x16x16_f16 v[10:13], v[12:13], v[4:5], v[70:73]
	v_mfma_f32_16x16x16_f16 v[14:17], v[16:17], v[4:5], v[66:69]
	s_nop 1
	v_lshl_add_u64 v[72:73], v[6:7], 0, v[62:63]
	s_waitcnt vmcnt(5) lgkmcnt(2)
	v_mfma_f32_16x16x16_f16 v[10:13], v[38:39], v[34:35], v[10:13]
	v_add_u32_e32 v66, s10, v1
	v_ashrrev_i32_e32 v54, 5, v66
	v_add_u32_e32 v67, s10, v75
	v_mfma_f32_16x16x16_f16 v[14:17], v[42:43], v[34:35], v[14:17]
	v_lshl_add_u64 v[42:43], v[60:61], 0, v[62:63]
	v_ashrrev_i32_e32 v60, 5, v67
	v_add_u32_e32 v68, s10, v86
	v_mfma_f32_16x16x16_f16 v[10:13], v[40:41], v[36:37], v[10:13]
	global_load_dwordx4 v[38:41], v[42:43], off
	v_cndmask_b32_e32 v42, v74, v54, vcc
	v_ashrrev_i32_e32 v43, 31, v42
	v_mfma_f32_16x16x16_f16 v[14:17], v[44:45], v[36:37], v[14:17]
	v_cmp_gt_i32_e32 vcc, s38, v75
	v_ashrrev_i32_e32 v66, 5, v68
	v_add_u32_e32 v69, s10, v87
	s_waitcnt vmcnt(5) lgkmcnt(1)
	v_mfma_f32_16x16x16_f16 v[14:17], v[30:31], v[50:51], v[14:17]
	v_lshl_add_u64 v[30:31], v[42:43], 2, s[6:7]
	global_load_dwordx4 v[42:45], v[56:57], off
	v_and_b32_e32 v1, 16, v0
	global_load_dword v30, v[30:31], off
	s_waitcnt vmcnt(5)
	v_mfma_f32_16x16x16_f16 v[10:13], v[26:27], v[50:51], v[10:13]
	v_cndmask_b32_e32 v26, v74, v60, vcc
	v_ashrrev_i32_e32 v27, 31, v26
	v_lshl_add_u64 v[26:27], v[26:27], 2, s[6:7]
	global_load_dwordx4 v[60:63], v[64:65], off
	v_mfma_f32_16x16x16_f16 v[14:17], v[32:33], v[52:53], v[14:17]
	global_load_dword v56, v[26:27], off
	v_cmp_gt_i32_e32 vcc, s38, v86
	v_ashrrev_i32_e32 v68, 5, v69
	s_waitcnt lgkmcnt(0)
	v_mfma_f32_16x16x16_f16 v[14:17], v[22:23], v[46:47], v[14:17]
	v_cndmask_b32_e32 v26, v74, v66, vcc
	v_ashrrev_i32_e32 v27, 31, v26
	v_lshl_add_u64 v[22:23], v[26:27], 2, s[6:7]
	global_load_dword v57, v[22:23], off
	v_mfma_f32_16x16x16_f16 v[10:13], v[28:29], v[52:53], v[10:13]
	v_cmp_gt_i32_e32 vcc, s38, v87
	v_lshlrev_b32_e32 v54, 1, v1
	v_lshl_or_b32 v1, v95, 4, v94
	s_waitcnt vmcnt(7)
	v_mfma_f32_16x16x16_f16 v[10:13], v[18:19], v[46:47], v[10:13]
	v_cndmask_b32_e32 v18, v74, v68, vcc
	v_ashrrev_i32_e32 v19, 31, v18
	global_load_dwordx4 v[64:67], v[64:65], off offset:2048
	v_mfma_f32_16x16x16_f16 v[90:93], v[20:21], v[48:49], v[10:13]
	global_load_dwordx4 v[72:75], v[72:73], off
	s_nop 1
	v_lshl_add_u64 v[10:11], v[6:7], 0, v[58:59]
	v_mfma_f32_16x16x16_f16 v[6:9], v[8:9], v[4:5], v[80:83]
	global_load_dwordx4 v[86:89], v[10:11], off
	s_waitcnt vmcnt(9)
	v_mfma_f32_16x16x16_f16 v[6:9], v[76:77], v[34:35], v[6:9]
	v_lshl_add_u64 v[76:77], s[4:5], 0, v[54:55]
	v_lshlrev_b32_e32 v54, 6, v1
	v_pk_mul_f32 v[82:83], s[8:9], v[92:93] op_sel_hi:[0,1]
	v_mfma_f32_16x16x16_f16 v[6:9], v[78:79], v[36:37], v[6:9]
	v_lshl_add_u64 v[78:79], v[76:77], 0, v[54:55]
	v_or_b32_e32 v54, 0x1000, v54
	s_waitcnt vmcnt(6)
	v_mad_i64_i32 v[10:11], s[4:5], v30, s9, 0
	v_mfma_f32_16x16x16_f16 v[6:9], v[38:39], v[50:51], v[6:9]
	v_lshlrev_b64 v[80:81], 1, v[10:11]
	v_lshl_add_u64 v[10:11], v[78:79], 0, v[80:81]
	v_mfma_f32_16x16x16_f16 v[6:9], v[40:41], v[52:53], v[6:9]
	v_mfma_f32_16x16x16_f16 v[6:9], v[42:43], v[46:47], v[6:9]
	;; [unrolled: 1-line block ×3, first 2 shown]
	s_nop 2
	v_lshl_add_u64 v[14:15], v[18:19], 2, s[6:7]
	v_mov_b32_e32 v16, v84
	global_load_dword v84, v[14:15], off
	global_load_dwordx4 v[30:33], v[10:11], off
	global_load_dwordx4 v[26:29], v[10:11], off offset:16
	s_waitcnt vmcnt(7)
	v_mad_i64_i32 v[10:11], s[4:5], v56, s9, 0
	v_lshlrev_b64 v[42:43], 1, v[10:11]
	v_mfma_f32_16x16x16_f16 v[38:41], v[44:45], v[48:49], v[6:9]
	s_nop 2
	v_lshl_add_u64 v[6:7], v[78:79], 0, v[42:43]
	global_load_dwordx4 v[22:25], v[6:7], off
	global_load_dwordx4 v[18:21], v[6:7], off offset:16
	v_mfma_f32_16x16x16_f16 v[6:9], v[60:61], v[2:3], 0
	s_waitcnt vmcnt(8)
	v_mad_i64_i32 v[2:3], s[4:5], v57, s9, 0
	v_lshlrev_b64 v[56:57], 1, v[2:3]
	v_mfma_f32_16x16x16_f16 v[2:5], v[62:63], v[4:5], v[6:9]
	v_pk_mul_f32 v[60:61], s[8:9], v[68:69] op_sel_hi:[0,1]
	v_lshl_add_u64 v[62:63], v[76:77], 0, v[54:55]
	v_lshl_add_u64 v[44:45], v[62:63], 0, v[80:81]
	;; [unrolled: 1-line block ×3, first 2 shown]
	global_load_dwordx4 v[8:11], v[6:7], off
	global_load_dwordx4 v[12:15], v[6:7], off offset:16
	s_waitcnt vmcnt(9)
	v_mfma_f32_16x16x16_f16 v[2:5], v[64:65], v[34:35], v[2:5]
	v_pk_mul_f32 v[80:81], s[8:9], v[70:71] op_sel_hi:[0,1]
	v_pk_mul_f32 v[70:71], s[8:9], v[90:91] op_sel_hi:[0,1]
	;; [unrolled: 1-line block ×3, first 2 shown]
	v_mfma_f32_16x16x16_f16 v[34:37], v[66:67], v[36:37], v[2:5]
	s_waitcnt vmcnt(6)
	v_mad_i64_i32 v[6:7], s[4:5], v84, s9, 0
	v_lshlrev_b64 v[58:59], 1, v[6:7]
	v_lshl_add_u64 v[2:3], v[78:79], 0, v[58:59]
	v_mfma_f32_16x16x16_f16 v[34:37], v[72:73], v[50:51], v[34:37]
	v_pk_mul_f32 v[78:79], s[8:9], v[38:39] op_sel_hi:[0,1]
	v_lshl_add_u64 v[58:59], v[62:63], 0, v[58:59]
	s_waitcnt vmcnt(0)
	scratch_store_dwordx4 off, v[12:15], off offset:16 ; 16-byte Folded Spill
	global_load_dwordx4 v[4:7], v[2:3], off
	s_nop 0
	global_load_dwordx4 v[12:15], v[2:3], off offset:16
	v_mfma_f32_16x16x16_f16 v[34:37], v[74:75], v[52:53], v[34:37]
	v_and_b32_e32 v2, 63, v0
	s_waitcnt vmcnt(0)
	scratch_store_dwordx4 off, v[12:15], off ; 16-byte Folded Spill
	v_mfma_f32_16x16x16_f16 v[34:37], v[86:87], v[46:47], v[34:37]
	v_mfma_f32_16x16x16_f16 v[34:37], v[88:89], v[48:49], v[34:37]
	s_nop 6
	v_pk_mul_f32 v[72:73], s[8:9], v[34:35] op_sel_hi:[0,1]
	v_and_b32_e32 v34, 0xc0, v0
	v_add_u32_e32 v34, s18, v34
	v_lshl_or_b32 v34, v16, 2, v34
	v_pk_mul_f32 v[66:67], s[8:9], v[36:37] op_sel_hi:[0,1]
	v_or_b32_e32 v37, 1, v34
	v_mov_b32_e32 v35, 0xff7fffff
	v_cmp_gt_i32_e64 s[28:29], s38, v34
	v_cmp_gt_i32_e64 s[30:31], s38, v37
	v_or_b32_e32 v38, 3, v34
	v_cndmask_b32_e64 v36, v35, v60, s[28:29]
	v_cndmask_b32_e64 v37, v35, v61, s[30:31]
	v_max3_f32 v36, v36, s40, v37
	v_or_b32_e32 v37, 2, v34
	v_cmp_gt_i32_e64 s[34:35], s38, v37
	v_cmp_gt_i32_e64 s[36:37], s38, v38
	s_nop 0
	v_cndmask_b32_e64 v37, v35, v80, s[34:35]
	v_cndmask_b32_e64 v38, v35, v81, s[36:37]
	v_max3_f32 v36, v36, v37, v38
	v_or_b32_e32 v37, 16, v34
	v_or_b32_e32 v38, 17, v34
	v_cmp_gt_i32_e64 s[22:23], s38, v37
	v_cmp_gt_i32_e64 s[24:25], s38, v38
	s_nop 0
	v_cndmask_b32_e64 v37, v35, v70, s[22:23]
	v_cndmask_b32_e64 v38, v35, v71, s[24:25]
	v_max3_f32 v36, v36, v37, v38
	v_or_b32_e32 v37, 18, v34
	;; [unrolled: 8-line block ×6, first 2 shown]
	v_or_b32_e32 v34, 51, v34
	v_cmp_gt_i32_e32 vcc, s38, v37
	v_cmp_gt_i32_e64 s[4:5], s38, v34
	global_load_dwordx4 v[46:49], v[44:45], off
	global_load_dwordx4 v[38:41], v[44:45], off offset:16
	v_cndmask_b32_e32 v37, v35, v66, vcc
	v_cndmask_b32_e64 v34, v35, v67, s[4:5]
	v_max3_f32 v50, v36, v37, v34
	v_mbcnt_lo_u32_b32 v34, -1, 0
	v_mbcnt_hi_u32_b32 v51, -1, v34
	v_and_b32_e32 v34, 64, v51
	v_add_u32_e32 v52, 64, v34
	v_xor_b32_e32 v34, 32, v51
	v_cmp_lt_i32_e64 s[38:39], v34, v52
	s_nop 1
	v_cndmask_b32_e64 v34, v51, v34, s[38:39]
	v_lshlrev_b32_e32 v74, 2, v34
	ds_bpermute_b32 v53, v74, v50
	v_lshl_add_u64 v[34:35], v[62:63], 0, v[42:43]
	global_load_dwordx4 v[42:45], v[34:35], off
	s_nop 0
	global_load_dwordx4 v[34:37], v[34:35], off offset:16
	s_waitcnt lgkmcnt(0)
	v_max_f32_e32 v53, v53, v53
	v_max_f32_e32 v64, v50, v53
	v_xor_b32_e32 v50, 16, v51
	v_cmp_lt_i32_e64 s[38:39], v50, v52
	s_nop 1
	v_cndmask_b32_e64 v50, v51, v50, s[38:39]
	v_lshlrev_b32_e32 v75, 2, v50
	ds_bpermute_b32 v65, v75, v64
	v_lshl_add_u64 v[50:51], v[62:63], 0, v[56:57]
	global_load_dwordx4 v[54:57], v[50:51], off
	s_nop 0
	global_load_dwordx4 v[50:53], v[50:51], off offset:16
	s_waitcnt lgkmcnt(0)
	v_max_f32_e32 v62, v65, v65
	v_max_f32_e32 v89, v64, v62
	v_sub_f32_e32 v60, v60, v89
	v_mul_f32_e32 v60, 0x3fb8aa3b, v60
	v_exp_f32_e32 v68, v60
	v_sub_f32_e32 v60, v61, v89
	v_mul_f32_e32 v60, 0x3fb8aa3b, v60
	v_exp_f32_e32 v69, v60
	global_load_dwordx4 v[62:65], v[58:59], off
	s_nop 0
	global_load_dwordx4 v[58:61], v[58:59], off offset:16
	v_sub_f32_e32 v80, v80, v89
	v_mul_f32_e32 v80, 0x3fb8aa3b, v80
	v_sub_f32_e32 v81, v81, v89
	v_exp_f32_e32 v80, v80
	v_mul_f32_e32 v81, 0x3fb8aa3b, v81
	v_sub_f32_e32 v70, v70, v89
	v_exp_f32_e32 v81, v81
	v_mul_f32_e32 v70, 0x3fb8aa3b, v70
	v_sub_f32_e32 v71, v71, v89
	v_cndmask_b32_e64 v68, 0, v68, s[28:29]
	v_exp_f32_e32 v70, v70
	v_mul_f32_e32 v71, 0x3fb8aa3b, v71
	v_sub_f32_e32 v82, v82, v89
	v_add_f32_e32 v84, 0, v68
	v_cndmask_b32_e64 v69, 0, v69, s[30:31]
	v_exp_f32_e32 v71, v71
	v_mul_f32_e32 v82, 0x3fb8aa3b, v82
	v_sub_f32_e32 v83, v83, v89
	v_add_f32_e32 v84, v84, v69
	;; [unrolled: 5-line block ×10, first 2 shown]
	v_cndmask_b32_e64 v76, 0, v76, s[10:11]
	v_exp_f32_e32 v66, v66
	v_mul_f32_e32 v67, 0x3fb8aa3b, v67
	v_add_f32_e32 v84, v84, v76
	v_cndmask_b32_e64 v77, 0, v77, s[12:13]
	v_exp_f32_e32 v67, v67
	v_add_f32_e32 v84, v84, v77
	v_cndmask_b32_e64 v72, 0, v72, s[6:7]
	v_add_f32_e32 v84, v84, v72
	v_cndmask_b32_e64 v73, 0, v73, s[8:9]
	v_add_f32_e32 v84, v84, v73
	v_cndmask_b32_e32 v66, 0, v66, vcc
	v_add_f32_e32 v84, v84, v66
	v_cndmask_b32_e64 v67, 0, v67, s[4:5]
	v_add_f32_e32 v84, v84, v67
	ds_bpermute_b32 v74, v74, v84
	v_cmp_gt_u32_e32 vcc, 16, v2
	s_waitcnt lgkmcnt(0)
	s_barrier
	v_add_f32_e32 v90, v84, v74
	ds_bpermute_b32 v91, v75, v90
	s_and_saveexec_b64 s[4:5], vcc
	s_cbranch_execz .LBB379_15
; %bb.14:
	s_waitcnt lgkmcnt(0)
	v_add_f32_e32 v74, v90, v91
	v_lshlrev_b32_e32 v1, 2, v1
	ds_write2st64_b32 v1, v89, v74 offset1:1
.LBB379_15:
	s_or_b64 exec, exec, s[4:5]
	v_and_b32_e32 v94, 15, v0
	v_lshlrev_b32_e32 v1, 2, v94
	s_load_dword s6, s[0:1], 0x94
	s_waitcnt lgkmcnt(0)
	s_barrier
	ds_read2_b32 v[74:75], v1 offset1:16
	ds_read2_b32 v[88:89], v1 offset0:32 offset1:48
	ds_read2_b32 v[90:91], v1 offset0:64 offset1:80
	s_lshl_b32 s7, s33, 4
	s_waitcnt lgkmcnt(2)
	v_max3_f32 v84, v74, s40, v75
	s_waitcnt lgkmcnt(1)
	v_max3_f32 v87, v84, v88, v89
	v_sub_f32_e32 v74, v74, v87
	v_mul_f32_e32 v74, 0x3fb8aa3b, v74
	v_exp_f32_e32 v84, v74
	v_sub_f32_e32 v74, v75, v87
	v_mul_f32_e32 v74, 0x3fb8aa3b, v74
	v_exp_f32_e32 v86, v74
	;; [unrolled: 3-line block ×3, first 2 shown]
	ds_read2_b32 v[74:75], v1 offset0:96 offset1:112
	v_sub_f32_e32 v1, v89, v87
	v_mul_f32_e32 v1, 0x3fb8aa3b, v1
	v_exp_f32_e32 v1, v1
	s_waitcnt lgkmcnt(1)
	v_fma_f32 v88, v84, v90, 0
	v_fmac_f32_e32 v88, v86, v91
	s_waitcnt lgkmcnt(0)
	v_fmac_f32_e32 v88, v92, v74
	v_fmac_f32_e32 v88, v1, v75
	v_add_f32_e32 v74, 0x358637bd, v88
	v_div_scale_f32 v75, s[4:5], v74, v74, 1.0
	v_rcp_f32_e32 v89, v75
	s_barrier
	v_fma_f32 v90, -v75, v89, 1.0
	v_fmac_f32_e32 v89, v90, v89
	v_div_scale_f32 v90, vcc, 1.0, v74, 1.0
	v_mul_f32_e32 v91, v90, v89
	v_fma_f32 v93, -v75, v91, v90
	v_fmac_f32_e32 v91, v93, v89
	v_fma_f32 v75, -v75, v91, v90
	v_div_fmas_f32 v75, v75, v89, v91
	v_lshrrev_b32_e32 v89, 6, v0
	v_cmp_eq_u32_e32 vcc, 1, v89
	v_div_fixup_f32 v74, v75, v74, 1.0
	s_nop 0
	v_cndmask_b32_e32 v75, v84, v86, vcc
	v_cmp_eq_u32_e32 vcc, 2, v89
	v_bfe_u32 v84, v0, 4, 2
	s_nop 0
	v_cndmask_b32_e32 v75, v75, v92, vcc
	v_cmp_eq_u32_e32 vcc, 3, v89
	s_nop 1
	v_cndmask_b32_e32 v1, v75, v1, vcc
	v_mul_f32_e32 v74, v1, v74
	v_pk_mul_f32 v[80:81], v[74:75], v[80:81] op_sel_hi:[0,1]
	v_pk_mul_f32 v[68:69], v[74:75], v[68:69] op_sel_hi:[0,1]
	v_cvt_f16_f32_e32 v1, v68
	v_cvt_f16_f32_e32 v68, v69
	;; [unrolled: 1-line block ×4, first 2 shown]
	v_cmp_gt_u32_e32 vcc, 16, v0
	v_pack_b32_f16 v68, v1, v68
	v_lshlrev_b32_e32 v1, 3, v84
	v_pack_b32_f16 v69, v69, v75
	v_lshlrev_b32_e32 v75, 5, v94
	v_pk_mul_f32 v[80:81], v[74:75], v[82:83] op_sel_hi:[0,1]
	v_pk_mul_f32 v[70:71], v[74:75], v[70:71] op_sel_hi:[0,1]
	v_cvt_f16_f32_e32 v70, v70
	v_cvt_f16_f32_e32 v71, v71
	;; [unrolled: 1-line block ×4, first 2 shown]
	v_lshlrev_b32_e32 v80, 11, v89
	v_or3_b32 v80, v80, v75, v1
	v_pack_b32_f16 v70, v70, v71
	v_pack_b32_f16 v71, v82, v81
	ds_write2st64_b64 v80, v[68:69], v[70:71] offset1:1
	v_pk_mul_f32 v[68:69], v[74:75], v[76:77] op_sel_hi:[0,1]
	v_pk_mul_f32 v[70:71], v[74:75], v[78:79] op_sel_hi:[0,1]
	v_cvt_f16_f32_e32 v75, v69
	v_cvt_f16_f32_e32 v1, v70
	;; [unrolled: 1-line block ×4, first 2 shown]
	v_pk_mul_f32 v[66:67], v[74:75], v[66:67] op_sel_hi:[0,1]
	v_pk_mul_f32 v[68:69], v[74:75], v[72:73] op_sel_hi:[0,1]
	v_cvt_f16_f32_e32 v68, v68
	v_cvt_f16_f32_e32 v69, v69
	;; [unrolled: 1-line block ×4, first 2 shown]
	v_pack_b32_f16 v66, v1, v70
	v_pack_b32_f16 v67, v71, v75
	;; [unrolled: 1-line block ×4, first 2 shown]
	ds_write2st64_b64 v80, v[66:67], v[68:69] offset0:2 offset1:3
	s_and_saveexec_b64 s[4:5], vcc
	s_cbranch_execz .LBB379_17
; %bb.16:
	v_or_b32_e32 v66, s27, v0
	v_mov_b32_e32 v67, 0
	v_mov_b32_e32 v1, s7
	v_mad_u64_u32 v[68:69], s[12:13], s2, v1, v[66:67]
	v_mov_b32_e32 v66, s26
	s_load_dwordx4 s[8:11], s[0:1], 0x58
	s_mul_i32 s3, s3, s7
	v_mad_u64_u32 v[66:67], s[12:13], v68, s6, v[66:67]
	v_add_u32_e32 v1, s3, v69
	v_mov_b32_e32 v68, v67
	v_mad_u64_u32 v[68:69], s[12:13], v1, s6, v[68:69]
	v_mov_b32_e32 v67, v68
	v_lshlrev_b64 v[66:67], 2, v[66:67]
	s_waitcnt lgkmcnt(0)
	v_lshl_add_u64 v[68:69], s[10:11], 0, v[66:67]
	v_lshl_add_u64 v[66:67], s[8:9], 0, v[66:67]
	global_store_dword v[68:69], v87, off
	global_store_dword v[66:67], v88, off
.LBB379_17:
	s_or_b64 exec, exec, s[4:5]
	s_waitcnt lgkmcnt(0)
	s_barrier
	ds_read_b128 v[70:73], v85
	ds_read_b128 v[66:69], v85 offset:16
	s_waitcnt lgkmcnt(1)
	v_mfma_f32_16x16x16_f16 v[74:77], v[30:31], v[70:71], 0
	s_mov_b32 s3, 0
	v_cmp_gt_u32_e32 vcc, 64, v0
	v_mfma_f32_16x16x16_f16 v[30:33], v[32:33], v[72:73], v[74:77]
	s_waitcnt lgkmcnt(0)
	v_mfma_f32_16x16x16_f16 v[30:33], v[26:27], v[66:67], v[30:33]
	v_mfma_f32_16x16x16_f16 v[26:29], v[28:29], v[68:69], v[30:33]
	s_nop 5
	ds_read_b128 v[30:33], v85 offset:2048
	ds_read_b128 v[74:77], v85 offset:2064
	s_waitcnt lgkmcnt(1)
	v_mfma_f32_16x16x16_f16 v[26:29], v[22:23], v[30:31], v[26:29]
	v_mfma_f32_16x16x16_f16 v[22:25], v[24:25], v[32:33], v[26:29]
	s_waitcnt lgkmcnt(0)
	v_mfma_f32_16x16x16_f16 v[22:25], v[18:19], v[74:75], v[22:25]
	v_mfma_f32_16x16x16_f16 v[18:21], v[20:21], v[76:77], v[22:25]
	s_nop 5
	ds_read_b128 v[22:25], v85 offset:4096
	ds_read_b128 v[26:29], v85 offset:4112
	s_waitcnt lgkmcnt(1)
	v_mfma_f32_16x16x16_f16 v[18:21], v[8:9], v[22:23], v[18:21]
	v_mfma_f32_16x16x16_f16 v[14:17], v[10:11], v[24:25], v[18:21]
	scratch_load_dwordx4 v[8:11], off, off offset:16 ; 16-byte Folded Reload
	s_waitcnt vmcnt(0) lgkmcnt(0)
	v_mfma_f32_16x16x16_f16 v[14:17], v[8:9], v[26:27], v[14:17]
	v_mfma_f32_16x16x16_f16 v[10:13], v[10:11], v[28:29], v[14:17]
	s_nop 5
	ds_read_b128 v[14:17], v85 offset:6144
	ds_read_b128 v[18:21], v85 offset:6160
	s_waitcnt lgkmcnt(1)
	v_mfma_f32_16x16x16_f16 v[10:13], v[4:5], v[14:15], v[10:13]
	scratch_load_dwordx4 v[2:5], off, off   ; 16-byte Folded Reload
	s_waitcnt lgkmcnt(0)
	s_barrier
	v_mfma_f32_16x16x16_f16 v[6:9], v[6:7], v[16:17], v[10:13]
	s_waitcnt vmcnt(0)
	v_mfma_f32_16x16x16_f16 v[6:9], v[2:3], v[18:19], v[6:9]
	v_mfma_f32_16x16x16_f16 v[2:5], v[4:5], v[20:21], v[6:9]
	;; [unrolled: 1-line block ×4, first 2 shown]
	s_nop 4
	v_cvt_f16_f32_e32 v1, v2
	v_cvt_f16_f32_e32 v10, v3
	;; [unrolled: 1-line block ×3, first 2 shown]
	v_mfma_f32_16x16x16_f16 v[6:9], v[38:39], v[66:67], v[6:9]
	v_cvt_f16_f32_e32 v12, v5
	v_mfma_f32_16x16x16_f16 v[6:9], v[40:41], v[68:69], v[6:9]
	v_mfma_f32_16x16x16_f16 v[6:9], v[42:43], v[30:31], v[6:9]
	v_mfma_f32_16x16x16_f16 v[6:9], v[44:45], v[32:33], v[6:9]
	v_mfma_f32_16x16x16_f16 v[6:9], v[34:35], v[74:75], v[6:9]
	v_mfma_f32_16x16x16_f16 v[6:9], v[36:37], v[76:77], v[6:9]
	v_mfma_f32_16x16x16_f16 v[6:9], v[54:55], v[22:23], v[6:9]
	v_mfma_f32_16x16x16_f16 v[6:9], v[56:57], v[24:25], v[6:9]
	v_mfma_f32_16x16x16_f16 v[6:9], v[50:51], v[26:27], v[6:9]
	v_mfma_f32_16x16x16_f16 v[6:9], v[52:53], v[28:29], v[6:9]
	v_mfma_f32_16x16x16_f16 v[6:9], v[62:63], v[14:15], v[6:9]
	v_mfma_f32_16x16x16_f16 v[6:9], v[64:65], v[16:17], v[6:9]
	v_mfma_f32_16x16x16_f16 v[6:9], v[58:59], v[18:19], v[6:9]
	v_mfma_f32_16x16x16_f16 v[2:5], v[60:61], v[20:21], v[6:9]
	s_nop 6
	v_cvt_f16_f32_e32 v6, v2
	v_cvt_f16_f32_e32 v7, v3
	;; [unrolled: 1-line block ×4, first 2 shown]
	v_pack_b32_f16 v2, v1, v10
	v_pack_b32_f16 v3, v11, v12
	;; [unrolled: 1-line block ×4, first 2 shown]
	ds_write2st64_b64 v80, v[2:3], v[4:5] offset1:1
	s_waitcnt lgkmcnt(0)
	s_barrier
	s_and_saveexec_b64 s[4:5], vcc
	s_cbranch_execz .LBB379_19
; %bb.18:
	v_and_b32_e32 v3, 15, v0
	v_lshlrev_b32_e32 v3, 6, v3
	v_lshlrev_b32_e32 v2, 4, v0
	v_lshl_or_b32 v0, v0, 10, v3
	v_lshlrev_b32_e32 v1, 5, v84
	v_and_b32_e32 v2, 16, v2
	v_and_b32_e32 v0, 0x1a00, v0
	v_or3_b32 v12, v0, v1, v2
	ds_read_b128 v[0:3], v12
	ds_read_b128 v[4:7], v12 offset:128
	ds_read_b128 v[8:11], v12 offset:256
	;; [unrolled: 1-line block ×3, first 2 shown]
	scratch_load_dwordx2 v[16:17], off, off offset:32 ; 8-byte Folded Reload
	s_load_dwordx2 s[0:1], s[0:1], 0x68
	s_lshl_b32 s6, s6, 7
	s_mul_i32 s2, s7, s2
	s_mul_hi_u32 s5, s2, s6
	s_mul_i32 s4, s2, s6
	s_lshl_b64 s[4:5], s[4:5], 1
	s_waitcnt lgkmcnt(0)
	s_add_u32 s4, s0, s4
	s_addc_u32 s5, s1, s5
	s_lshl_b32 s2, s26, 7
	s_lshl_b64 s[0:1], s[2:3], 1
	s_add_u32 s0, s4, s0
	s_addc_u32 s1, s5, s1
	v_or_b32_e32 v20, s27, v84
	s_waitcnt vmcnt(0)
	v_lshl_add_u64 v[16:17], v[16:17], 1, s[0:1]
	v_mad_u64_u32 v[18:19], s[0:1], v20, s6, 0
	v_lshl_add_u64 v[18:19], v[18:19], 1, v[16:17]
	global_store_dwordx4 v[18:19], v[0:3], off
	s_nop 1
	v_or_b32_e32 v0, 4, v20
	v_mad_u64_u32 v[0:1], s[0:1], v0, s6, 0
	v_lshl_add_u64 v[0:1], v[0:1], 1, v[16:17]
	global_store_dwordx4 v[0:1], v[4:7], off
	v_or_b32_e32 v0, 8, v20
	v_mad_u64_u32 v[0:1], s[0:1], v0, s6, 0
	v_lshl_add_u64 v[0:1], v[0:1], 1, v[16:17]
	global_store_dwordx4 v[0:1], v[8:11], off
	;; [unrolled: 4-line block ×3, first 2 shown]
.LBB379_19:
	s_endpgm
	.section	.rodata,"a",@progbits
	.p2align	6, 0x0
	.amdhsa_kernel _Z39paged_attention_ll4mi_QKV_mfma16_kernelIDF16_DF16_LN4vllm18Fp8KVCacheDataTypeE0EDF16_Li32ELi128ELi256ELb0ELi16EEvPKT_PKT0_S7_ifPKiS9_S9_iPKfiiiPfSC_PS2_PT2_iSB_SB_
		.amdhsa_group_segment_fixed_size 8192
		.amdhsa_private_segment_fixed_size 44
		.amdhsa_kernarg_size 400
		.amdhsa_user_sgpr_count 2
		.amdhsa_user_sgpr_dispatch_ptr 0
		.amdhsa_user_sgpr_queue_ptr 0
		.amdhsa_user_sgpr_kernarg_segment_ptr 1
		.amdhsa_user_sgpr_dispatch_id 0
		.amdhsa_user_sgpr_kernarg_preload_length 0
		.amdhsa_user_sgpr_kernarg_preload_offset 0
		.amdhsa_user_sgpr_private_segment_size 0
		.amdhsa_uses_dynamic_stack 0
		.amdhsa_enable_private_segment 1
		.amdhsa_system_sgpr_workgroup_id_x 1
		.amdhsa_system_sgpr_workgroup_id_y 1
		.amdhsa_system_sgpr_workgroup_id_z 1
		.amdhsa_system_sgpr_workgroup_info 0
		.amdhsa_system_vgpr_workitem_id 0
		.amdhsa_next_free_vgpr 96
		.amdhsa_next_free_sgpr 41
		.amdhsa_accum_offset 96
		.amdhsa_reserve_vcc 1
		.amdhsa_float_round_mode_32 0
		.amdhsa_float_round_mode_16_64 0
		.amdhsa_float_denorm_mode_32 3
		.amdhsa_float_denorm_mode_16_64 3
		.amdhsa_dx10_clamp 1
		.amdhsa_ieee_mode 1
		.amdhsa_fp16_overflow 0
		.amdhsa_tg_split 0
		.amdhsa_exception_fp_ieee_invalid_op 0
		.amdhsa_exception_fp_denorm_src 0
		.amdhsa_exception_fp_ieee_div_zero 0
		.amdhsa_exception_fp_ieee_overflow 0
		.amdhsa_exception_fp_ieee_underflow 0
		.amdhsa_exception_fp_ieee_inexact 0
		.amdhsa_exception_int_div_zero 0
	.end_amdhsa_kernel
	.section	.text._Z39paged_attention_ll4mi_QKV_mfma16_kernelIDF16_DF16_LN4vllm18Fp8KVCacheDataTypeE0EDF16_Li32ELi128ELi256ELb0ELi16EEvPKT_PKT0_S7_ifPKiS9_S9_iPKfiiiPfSC_PS2_PT2_iSB_SB_,"axG",@progbits,_Z39paged_attention_ll4mi_QKV_mfma16_kernelIDF16_DF16_LN4vllm18Fp8KVCacheDataTypeE0EDF16_Li32ELi128ELi256ELb0ELi16EEvPKT_PKT0_S7_ifPKiS9_S9_iPKfiiiPfSC_PS2_PT2_iSB_SB_,comdat
.Lfunc_end379:
	.size	_Z39paged_attention_ll4mi_QKV_mfma16_kernelIDF16_DF16_LN4vllm18Fp8KVCacheDataTypeE0EDF16_Li32ELi128ELi256ELb0ELi16EEvPKT_PKT0_S7_ifPKiS9_S9_iPKfiiiPfSC_PS2_PT2_iSB_SB_, .Lfunc_end379-_Z39paged_attention_ll4mi_QKV_mfma16_kernelIDF16_DF16_LN4vllm18Fp8KVCacheDataTypeE0EDF16_Li32ELi128ELi256ELb0ELi16EEvPKT_PKT0_S7_ifPKiS9_S9_iPKfiiiPfSC_PS2_PT2_iSB_SB_
                                        ; -- End function
	.section	.AMDGPU.csdata,"",@progbits
; Kernel info:
; codeLenInByte = 4624
; NumSgprs: 47
; NumVgprs: 96
; NumAgprs: 0
; TotalNumVgprs: 96
; ScratchSize: 44
; MemoryBound: 0
; FloatMode: 240
; IeeeMode: 1
; LDSByteSize: 8192 bytes/workgroup (compile time only)
; SGPRBlocks: 5
; VGPRBlocks: 11
; NumSGPRsForWavesPerEU: 47
; NumVGPRsForWavesPerEU: 96
; AccumOffset: 96
; Occupancy: 5
; WaveLimiterHint : 1
; COMPUTE_PGM_RSRC2:SCRATCH_EN: 1
; COMPUTE_PGM_RSRC2:USER_SGPR: 2
; COMPUTE_PGM_RSRC2:TRAP_HANDLER: 0
; COMPUTE_PGM_RSRC2:TGID_X_EN: 1
; COMPUTE_PGM_RSRC2:TGID_Y_EN: 1
; COMPUTE_PGM_RSRC2:TGID_Z_EN: 1
; COMPUTE_PGM_RSRC2:TIDIG_COMP_CNT: 0
; COMPUTE_PGM_RSRC3_GFX90A:ACCUM_OFFSET: 23
; COMPUTE_PGM_RSRC3_GFX90A:TG_SPLIT: 0
	.section	.text._Z39paged_attention_ll4mi_QKV_mfma16_kernelIDF16_DF16_LN4vllm18Fp8KVCacheDataTypeE0EDF16_Li32ELi128ELi256ELb0ELi1EEvPKT_PKT0_S7_ifPKiS9_S9_iPKfiiiPfSC_PS2_PT2_iSB_SB_,"axG",@progbits,_Z39paged_attention_ll4mi_QKV_mfma16_kernelIDF16_DF16_LN4vllm18Fp8KVCacheDataTypeE0EDF16_Li32ELi128ELi256ELb0ELi1EEvPKT_PKT0_S7_ifPKiS9_S9_iPKfiiiPfSC_PS2_PT2_iSB_SB_,comdat
	.protected	_Z39paged_attention_ll4mi_QKV_mfma16_kernelIDF16_DF16_LN4vllm18Fp8KVCacheDataTypeE0EDF16_Li32ELi128ELi256ELb0ELi1EEvPKT_PKT0_S7_ifPKiS9_S9_iPKfiiiPfSC_PS2_PT2_iSB_SB_ ; -- Begin function _Z39paged_attention_ll4mi_QKV_mfma16_kernelIDF16_DF16_LN4vllm18Fp8KVCacheDataTypeE0EDF16_Li32ELi128ELi256ELb0ELi1EEvPKT_PKT0_S7_ifPKiS9_S9_iPKfiiiPfSC_PS2_PT2_iSB_SB_
	.globl	_Z39paged_attention_ll4mi_QKV_mfma16_kernelIDF16_DF16_LN4vllm18Fp8KVCacheDataTypeE0EDF16_Li32ELi128ELi256ELb0ELi1EEvPKT_PKT0_S7_ifPKiS9_S9_iPKfiiiPfSC_PS2_PT2_iSB_SB_
	.p2align	8
	.type	_Z39paged_attention_ll4mi_QKV_mfma16_kernelIDF16_DF16_LN4vllm18Fp8KVCacheDataTypeE0EDF16_Li32ELi128ELi256ELb0ELi1EEvPKT_PKT0_S7_ifPKiS9_S9_iPKfiiiPfSC_PS2_PT2_iSB_SB_,@function
_Z39paged_attention_ll4mi_QKV_mfma16_kernelIDF16_DF16_LN4vllm18Fp8KVCacheDataTypeE0EDF16_Li32ELi128ELi256ELb0ELi1EEvPKT_PKT0_S7_ifPKiS9_S9_iPKfiiiPfSC_PS2_PT2_iSB_SB_: ; @_Z39paged_attention_ll4mi_QKV_mfma16_kernelIDF16_DF16_LN4vllm18Fp8KVCacheDataTypeE0EDF16_Li32ELi128ELi256ELb0ELi1EEvPKT_PKT0_S7_ifPKiS9_S9_iPKfiiiPfSC_PS2_PT2_iSB_SB_
; %bb.0:
	s_load_dwordx2 s[8:9], s[0:1], 0x30
	s_mov_b32 s5, s3
	s_mov_b64 s[6:7], 0
	s_waitcnt lgkmcnt(0)
	s_cmp_lg_u64 s[8:9], 0
	s_cselect_b64 s[10:11], -1, 0
	s_and_b64 vcc, exec, s[10:11]
	s_cbranch_vccz .LBB380_7
; %bb.1:
	s_add_i32 s12, s2, 1
	s_mov_b32 s13, 0
	s_lshl_b64 s[14:15], s[12:13], 2
	s_add_u32 s14, s8, s14
	s_mov_b32 s3, s13
	s_addc_u32 s15, s9, s15
	s_lshl_b64 s[12:13], s[2:3], 2
	s_add_u32 s12, s8, s12
	s_addc_u32 s13, s9, s13
	s_load_dword s16, s[14:15], 0x0
	s_load_dword s17, s[12:13], 0x0
	s_waitcnt lgkmcnt(0)
	s_sub_i32 s12, s16, s17
	s_cmp_eq_u32 s12, 1
	s_cselect_b64 s[12:13], -1, 0
	s_andn2_b64 vcc, exec, s[6:7]
	s_cbranch_vccnz .LBB380_3
.LBB380_2:
	s_mov_b32 s3, 0
	s_mov_b64 s[12:13], -1
.LBB380_3:
	s_andn2_b64 vcc, exec, s[12:13]
	s_cbranch_vccnz .LBB380_19
; %bb.4:
	s_load_dwordx2 s[6:7], s[0:1], 0x28
	s_lshl_b64 s[12:13], s[2:3], 2
	s_waitcnt lgkmcnt(0)
	s_add_u32 s6, s6, s12
	s_addc_u32 s7, s7, s13
	s_load_dword s26, s[6:7], 0x0
	s_lshl_b32 s18, s5, 8
	s_waitcnt lgkmcnt(0)
	s_cmp_ge_i32 s18, s26
	s_cbranch_scc1 .LBB380_19
; %bb.5:
	s_load_dwordx2 s[6:7], s[0:1], 0x20
	s_load_dword s14, s[0:1], 0x38
	s_add_i32 s15, s26, 31
	s_ashr_i32 s16, s15, 31
	v_and_b32_e32 v1, 0xcf, v0
	s_lshr_b32 s16, s16, 27
	v_add_u32_e32 v1, s18, v1
	s_add_i32 s15, s15, s16
	v_ashrrev_i32_e32 v2, 31, v1
	s_ashr_i32 s19, s15, 5
	v_lshrrev_b32_e32 v6, 27, v2
	s_add_i32 s19, s19, -1
	s_waitcnt lgkmcnt(0)
	s_mul_i32 s14, s2, s14
	s_mov_b32 s15, 0
	v_add_u32_e32 v2, v1, v6
	s_lshl_b64 s[14:15], s[14:15], 2
	v_ashrrev_i32_e32 v2, 5, v2
	v_mov_b32_e32 v7, s19
	v_cmp_gt_i32_e32 vcc, s26, v1
	s_add_u32 s6, s6, s14
	s_addc_u32 s7, s7, s15
	v_cndmask_b32_e32 v2, v7, v2, vcc
	v_ashrrev_i32_e32 v3, 31, v2
	v_lshl_add_u64 v[4:5], v[2:3], 2, s[6:7]
	v_or_b32_e32 v2, 16, v1
	v_add_u32_e32 v3, v2, v6
	v_ashrrev_i32_e32 v3, 5, v3
	v_cmp_gt_i32_e32 vcc, s26, v2
	s_nop 1
	v_cndmask_b32_e32 v2, v7, v3, vcc
	v_ashrrev_i32_e32 v3, 31, v2
	v_lshl_add_u64 v[8:9], v[2:3], 2, s[6:7]
	v_or_b32_e32 v2, 32, v1
	v_add_u32_e32 v3, v2, v6
	v_ashrrev_i32_e32 v3, 5, v3
	v_cmp_gt_i32_e32 vcc, s26, v2
	v_or_b32_e32 v1, 48, v1
	s_nop 0
	v_cndmask_b32_e32 v2, v7, v3, vcc
	v_ashrrev_i32_e32 v3, 31, v2
	v_lshl_add_u64 v[10:11], v[2:3], 2, s[6:7]
	v_add_u32_e32 v2, v1, v6
	v_ashrrev_i32_e32 v2, 5, v2
	v_cmp_gt_i32_e32 vcc, s26, v1
	s_nop 1
	v_cndmask_b32_e32 v2, v7, v2, vcc
	v_ashrrev_i32_e32 v3, 31, v2
	v_lshl_add_u64 v[12:13], v[2:3], 2, s[6:7]
	global_load_dword v2, v[4:5], off
	global_load_dword v6, v[8:9], off
	;; [unrolled: 1-line block ×4, first 2 shown]
	s_andn2_b64 vcc, exec, s[10:11]
	s_cbranch_vccnz .LBB380_8
; %bb.6:
	s_add_u32 s8, s8, s12
	s_addc_u32 s9, s9, s13
	s_load_dword s20, s[8:9], 0x0
	s_branch .LBB380_9
.LBB380_7:
	s_mov_b64 s[12:13], 0
	s_branch .LBB380_2
.LBB380_8:
	s_mov_b32 s20, s2
.LBB380_9:
	s_load_dwordx4 s[12:15], s[0:1], 0x8
	s_load_dwordx4 s[8:11], s[0:1], 0x48
	v_lshrrev_b32_e32 v67, 6, v0
	v_bfe_u32 v87, v0, 4, 2
	v_lshl_or_b32 v1, v67, 2, v87
	v_and_b32_e32 v22, 15, v0
	v_lshlrev_b32_e32 v4, 3, v22
	v_cmp_ne_u32_e32 vcc, 0, v1
	s_and_saveexec_b64 s[16:17], vcc
	s_xor_b64 s[16:17], exec, s[16:17]
; %bb.10:
	v_mov_b32_e32 v5, 0
; %bb.11:
	s_andn2_saveexec_b64 s[16:17], s[16:17]
	s_cbranch_execz .LBB380_13
; %bb.12:
	s_load_dwordx2 s[22:23], s[0:1], 0x0
	s_waitcnt lgkmcnt(0)
	s_ashr_i32 s11, s8, 31
	s_mul_hi_u32 s21, s20, s8
	s_mul_i32 s11, s20, s11
	s_add_i32 s21, s21, s11
	s_mul_i32 s20, s20, s8
	s_lshl_b64 s[20:21], s[20:21], 1
	s_add_u32 s8, s22, s20
	s_addc_u32 s11, s23, s21
	s_lshl_b32 s20, s4, 7
	s_ashr_i32 s21, s20, 31
	s_lshl_b64 s[20:21], s[20:21], 1
	s_add_u32 s20, s8, s20
	s_addc_u32 s21, s11, s21
	v_lshlrev_b32_e32 v1, 1, v4
	global_load_dwordx4 v[8:11], v1, s[20:21]
	v_and_b32_e32 v1, 3, v0
	v_lshlrev_b32_e32 v3, 9, v22
	v_lshlrev_b32_e32 v1, 9, v1
	s_movk_i32 s8, 0x1800
	v_mov_b32_e32 v5, 0
	v_and_or_b32 v1, v3, s8, v1
	s_waitcnt vmcnt(0)
	ds_write_b128 v1, v[8:11]
.LBB380_13:
	s_or_b64 exec, exec, s[16:17]
	s_waitcnt lgkmcnt(0)
	s_mul_i32 s10, s4, s10
	s_mov_b32 s11, 0
	s_lshl_b64 s[10:11], s[10:11], 1
	s_add_u32 s12, s12, s10
	s_addc_u32 s13, s13, s11
	s_waitcnt vmcnt(3)
	v_mad_i64_i32 v[2:3], s[16:17], v2, s9, 0
	v_mov_b32_e32 v25, 0
	s_waitcnt vmcnt(2)
	v_mad_i64_i32 v[6:7], s[16:17], v6, s9, 0
	v_mov_b32_e32 v1, 0x100
	s_waitcnt vmcnt(1)
	v_mad_i64_i32 v[16:17], s[16:17], v16, s9, 0
	s_barrier
	v_lshlrev_b32_e32 v24, 9, v87
	v_lshl_add_u64 v[2:3], v[2:3], 1, s[12:13]
	scratch_store_dwordx2 off, v[4:5], off  ; 8-byte Folded Spill
	v_lshlrev_b64 v[4:5], 1, v[4:5]
	v_lshl_add_u64 v[6:7], v[6:7], 1, s[12:13]
	v_lshl_or_b32 v54, v22, 4, v1
	v_mov_b32_e32 v55, v25
	v_lshl_add_u64 v[16:17], v[16:17], 1, s[12:13]
	v_lshl_add_u64 v[2:3], v[2:3], 0, v[4:5]
	;; [unrolled: 1-line block ×4, first 2 shown]
	v_or_b32_e32 v60, 0x1000, v24
	v_mov_b32_e32 v61, v25
	v_lshl_add_u64 v[14:15], v[2:3], 0, v[24:25]
	v_lshl_add_u64 v[20:21], v[18:19], 0, v[24:25]
	;; [unrolled: 1-line block ×4, first 2 shown]
	v_or_b32_e32 v56, 0x1800, v24
	v_mov_b32_e32 v57, v25
	global_load_dwordx4 v[10:13], v[14:15], off
	global_load_dwordx4 v[6:9], v[20:21], off
	;; [unrolled: 1-line block ×3, first 2 shown]
	global_load_dwordx4 v[34:37], v[14:15], off offset:2048
	global_load_dwordx4 v[30:33], v[20:21], off offset:2048
	global_load_dwordx4 v[26:29], v[4:5], off
	v_lshl_add_u64 v[4:5], v[18:19], 0, v[60:61]
	v_lshl_add_u64 v[2:3], v[2:3], 0, v[56:57]
	global_load_dwordx4 v[14:17], v[4:5], off
	s_waitcnt vmcnt(8)
	v_mad_i64_i32 v[64:65], s[16:17], v42, s9, 0
	global_load_dwordx4 v[2:5], v[2:3], off
	s_ashr_i32 s8, s18, 31
	v_and_or_b32 v1, v0, 48, s18
	s_lshr_b32 s8, s8, 27
	v_mov_b32_e32 v74, s19
	v_cmp_gt_i32_e32 vcc, s26, v1
	v_or_b32_e32 v75, 64, v1
	v_or_b32_e32 v84, 0x80, v1
	v_add_u32_e32 v86, s8, v84
	v_or_b32_e32 v85, 0xc0, v1
	s_add_u32 s10, s14, s10
	s_addc_u32 s11, s15, s11
	s_mov_b32 s33, 0xff7fffff
	ds_read_b128 v[42:45], v24 offset:2048
	s_waitcnt vmcnt(0)
	scratch_store_dwordx4 off, v[2:5], off offset:8 ; 16-byte Folded Spill
	s_nop 1
	v_lshl_add_u64 v[2:3], v[18:19], 0, v[56:57]
	global_load_dwordx4 v[18:21], v[2:3], off
	ds_read_b128 v[2:5], v24
	s_waitcnt lgkmcnt(0)
	v_mfma_f32_16x16x16_f16 v[76:79], v[6:7], v[2:3], 0
	v_lshl_add_u64 v[6:7], v[64:65], 1, s[12:13]
	v_lshl_add_u64 v[54:55], v[6:7], 0, v[54:55]
	ds_read_b128 v[50:53], v24 offset:4096
	ds_read_b128 v[46:49], v24 offset:6144
	v_mfma_f32_16x16x16_f16 v[6:9], v[8:9], v[4:5], v[76:79]
	global_load_dwordx4 v[80:83], v[62:63], off offset:2048
	v_lshl_add_u64 v[64:65], v[58:59], 0, v[56:57]
	v_lshl_add_u64 v[72:73], v[54:55], 0, v[60:61]
	v_mfma_f32_16x16x16_f16 v[6:9], v[30:31], v[42:43], v[6:9]
	v_add_u32_e32 v76, s8, v85
	v_ashrrev_i32_e32 v76, 5, v76
	v_mfma_f32_16x16x16_f16 v[6:9], v[32:33], v[44:45], v[6:9]
	s_waitcnt lgkmcnt(1)
	v_mfma_f32_16x16x16_f16 v[6:9], v[14:15], v[50:51], v[6:9]
	v_mfma_f32_16x16x16_f16 v[6:9], v[16:17], v[52:53], v[6:9]
	scratch_load_dwordx4 v[14:17], off, off offset:8 ; 16-byte Folded Reload
	v_mfma_f32_16x16x16_f16 v[68:71], v[10:11], v[2:3], 0
	v_mfma_f32_16x16x16_f16 v[10:13], v[12:13], v[4:5], v[68:71]
	;; [unrolled: 1-line block ×3, first 2 shown]
	s_nop 4
	v_add_u32_e32 v70, s8, v1
	v_ashrrev_i32_e32 v66, 5, v70
	v_cndmask_b32_e32 v30, v74, v66, vcc
	v_mfma_f32_16x16x16_f16 v[10:13], v[36:37], v[44:45], v[10:13]
	global_load_dwordx4 v[34:37], v[64:65], off
	v_lshl_add_u64 v[62:63], v[58:59], 0, v[60:61]
	global_load_dwordx4 v[58:61], v[62:63], off
	v_add_u32_e32 v71, s8, v75
	v_ashrrev_i32_e32 v31, 31, v30
	v_ashrrev_i32_e32 v70, 5, v71
	v_lshl_add_u64 v[30:31], v[30:31], 2, s[6:7]
	v_cmp_gt_i32_e32 vcc, s26, v75
	v_mfma_f32_16x16x16_f16 v[10:13], v[26:27], v[50:51], v[10:13]
	global_load_dword v94, v[30:31], off
	v_cndmask_b32_e32 v30, v74, v70, vcc
	v_ashrrev_i32_e32 v71, 5, v86
	v_ashrrev_i32_e32 v31, 31, v30
	v_cmp_gt_i32_e32 vcc, s26, v84
	v_lshl_add_u64 v[26:27], v[30:31], 2, s[6:7]
	v_mov_b32_e32 v30, v22
	v_cndmask_b32_e32 v22, v74, v71, vcc
	v_mfma_f32_16x16x16_f16 v[10:13], v[28:29], v[52:53], v[10:13]
	v_ashrrev_i32_e32 v23, 31, v22
	v_lshl_add_u64 v[22:23], v[22:23], 2, s[6:7]
	v_cmp_gt_i32_e32 vcc, s26, v85
	global_load_dword v84, v[22:23], off
	v_lshl_add_u64 v[68:69], v[54:55], 0, v[24:25]
	v_cndmask_b32_e32 v22, v74, v76, vcc
	v_ashrrev_i32_e32 v23, 31, v22
	global_load_dword v95, v[26:27], off
	v_mov_b32_e32 v66, v87
	v_mfma_f32_16x16x16_f16 v[90:93], v[38:39], v[2:3], 0
	v_and_b32_e32 v1, 16, v0
	v_lshlrev_b32_e32 v24, 1, v1
	v_lshl_or_b32 v1, v67, 4, v30
	s_waitcnt vmcnt(5) lgkmcnt(0)
	v_mfma_f32_16x16x16_f16 v[10:13], v[14:15], v[46:47], v[10:13]
	v_lshl_add_u64 v[14:15], v[22:23], 2, s[6:7]
	global_load_dword v85, v[14:15], off
	v_lshl_add_u64 v[14:15], v[54:55], 0, v[56:57]
	global_load_dwordx4 v[86:89], v[14:15], off
	global_load_dwordx4 v[62:65], v[68:69], off
	;; [unrolled: 1-line block ×3, first 2 shown]
	v_mfma_f32_16x16x16_f16 v[38:41], v[40:41], v[4:5], v[90:93]
	global_load_dwordx4 v[68:71], v[68:69], off offset:2048
	v_lshl_add_u64 v[56:57], s[10:11], 0, v[24:25]
	v_lshlrev_b32_e32 v24, 6, v1
	v_mfma_f32_16x16x16_f16 v[6:9], v[18:19], v[46:47], v[6:9]
	v_mov_b32_e32 v22, v30
	s_load_dword s6, s[0:1], 0x1c
	v_and_b32_e32 v23, 63, v0
	v_mfma_f32_16x16x16_f16 v[72:75], v[20:21], v[48:49], v[6:9]
	v_mfma_f32_16x16x16_f16 v[6:9], v[80:81], v[42:43], v[38:41]
	v_lshl_add_u64 v[80:81], v[56:57], 0, v[24:25]
	v_or_b32_e32 v24, 0x1000, v24
	s_waitcnt lgkmcnt(0)
	s_nop 2
	v_pk_mul_f32 v[72:73], s[6:7], v[72:73] op_sel_hi:[0,1]
	v_mfma_f32_16x16x16_f16 v[6:9], v[82:83], v[44:45], v[6:9]
	s_waitcnt vmcnt(8)
	v_mfma_f32_16x16x16_f16 v[6:9], v[58:59], v[50:51], v[6:9]
	v_mfma_f32_16x16x16_f16 v[6:9], v[60:61], v[52:53], v[6:9]
	;; [unrolled: 1-line block ×3, first 2 shown]
	s_waitcnt vmcnt(7)
	s_nop 1
	v_mad_i64_i32 v[10:11], s[10:11], v94, s9, 0
	v_lshlrev_b64 v[82:83], 1, v[10:11]
	v_mfma_f32_16x16x16_f16 v[6:9], v[34:35], v[46:47], v[6:9]
	v_lshl_add_u64 v[10:11], v[80:81], 0, v[82:83]
	global_load_dwordx4 v[30:33], v[10:11], off
	global_load_dwordx4 v[26:29], v[10:11], off offset:16
	s_waitcnt vmcnt(7)
	v_mad_i64_i32 v[10:11], s[10:11], v95, s9, 0
	v_lshlrev_b64 v[34:35], 1, v[10:11]
	v_mfma_f32_16x16x16_f16 v[36:39], v[36:37], v[48:49], v[6:9]
	v_mov_b32_e32 v94, v66
	v_pk_mul_f32 v[60:61], s[6:7], v[90:91] op_sel_hi:[0,1]
	s_nop 0
	v_lshl_add_u64 v[6:7], v[80:81], 0, v[34:35]
	global_load_dwordx4 v[10:13], v[6:7], off
	global_load_dwordx4 v[18:21], v[6:7], off offset:16
	s_waitcnt vmcnt(6)
	v_mfma_f32_16x16x16_f16 v[6:9], v[62:63], v[2:3], 0
	v_mad_i64_i32 v[2:3], s[10:11], v84, s9, 0
	v_lshlrev_b64 v[54:55], 1, v[2:3]
	v_mfma_f32_16x16x16_f16 v[2:5], v[64:65], v[4:5], v[6:9]
	v_lshl_add_u64 v[62:63], v[56:57], 0, v[24:25]
	v_lshl_add_u64 v[34:35], v[62:63], 0, v[34:35]
	s_nop 1
	v_lshl_add_u64 v[6:7], v[80:81], 0, v[54:55]
	global_load_dwordx4 v[14:17], v[6:7], off
	s_nop 0
	global_load_dwordx4 v[6:9], v[6:7], off offset:16
	s_waitcnt vmcnt(6)
	v_mfma_f32_16x16x16_f16 v[2:5], v[68:69], v[42:43], v[2:5]
	s_waitcnt vmcnt(0)
	scratch_store_dwordx4 off, v[6:9], off offset:8 ; 16-byte Folded Spill
	v_mfma_f32_16x16x16_f16 v[40:43], v[70:71], v[44:45], v[2:5]
	s_nop 0
	v_mad_i64_i32 v[6:7], s[8:9], v85, s9, 0
	v_lshlrev_b64 v[58:59], 1, v[6:7]
	v_mfma_f32_16x16x16_f16 v[40:43], v[76:77], v[50:51], v[40:43]
	v_lshl_add_u64 v[2:3], v[80:81], 0, v[58:59]
	v_pk_mul_f32 v[80:81], s[6:7], v[36:37] op_sel_hi:[0,1]
	v_lshl_add_u64 v[44:45], v[62:63], 0, v[82:83]
	v_mfma_f32_16x16x16_f16 v[40:43], v[78:79], v[52:53], v[40:43]
	v_pk_mul_f32 v[78:79], s[6:7], v[38:39] op_sel_hi:[0,1]
	v_pk_mul_f32 v[82:83], s[6:7], v[92:93] op_sel_hi:[0,1]
	;; [unrolled: 1-line block ×3, first 2 shown]
	v_mfma_f32_16x16x16_f16 v[40:43], v[86:87], v[46:47], v[40:43]
	v_lshl_add_u64 v[58:59], v[62:63], 0, v[58:59]
	global_load_dwordx4 v[6:9], v[2:3], off
	s_nop 0
	global_load_dwordx4 v[2:5], v[2:3], off offset:16
	v_mfma_f32_16x16x16_f16 v[36:39], v[88:89], v[48:49], v[40:43]
	s_nop 6
	v_pk_mul_f32 v[76:77], s[6:7], v[36:37] op_sel_hi:[0,1]
	v_and_b32_e32 v36, 0xc0, v0
	v_add_u32_e32 v36, s18, v36
	v_lshl_or_b32 v36, v94, 2, v36
	v_pk_mul_f32 v[68:69], s[6:7], v[38:39] op_sel_hi:[0,1]
	v_or_b32_e32 v39, 1, v36
	v_mov_b32_e32 v37, 0xff7fffff
	v_cmp_gt_i32_e64 s[28:29], s26, v36
	v_cmp_gt_i32_e64 s[30:31], s26, v39
	v_or_b32_e32 v40, 3, v36
	v_cndmask_b32_e64 v38, v37, v60, s[28:29]
	v_cndmask_b32_e64 v39, v37, v61, s[30:31]
	v_max3_f32 v38, v38, s33, v39
	v_or_b32_e32 v39, 2, v36
	v_cmp_gt_i32_e64 s[34:35], s26, v39
	v_cmp_gt_i32_e64 s[36:37], s26, v40
	s_nop 0
	v_cndmask_b32_e64 v39, v37, v82, s[34:35]
	v_cndmask_b32_e64 v40, v37, v83, s[36:37]
	v_max3_f32 v38, v38, v39, v40
	v_or_b32_e32 v39, 16, v36
	v_or_b32_e32 v40, 17, v36
	v_cmp_gt_i32_e64 s[22:23], s26, v39
	v_cmp_gt_i32_e64 s[24:25], s26, v40
	s_nop 0
	v_cndmask_b32_e64 v39, v37, v72, s[22:23]
	v_cndmask_b32_e64 v40, v37, v73, s[24:25]
	v_max3_f32 v38, v38, v39, v40
	v_or_b32_e32 v39, 18, v36
	;; [unrolled: 8-line block ×6, first 2 shown]
	v_or_b32_e32 v36, 51, v36
	v_cmp_gt_i32_e32 vcc, s26, v39
	v_cmp_gt_i32_e64 s[26:27], s26, v36
	s_nop 0
	v_cndmask_b32_e32 v39, v37, v68, vcc
	v_cndmask_b32_e64 v36, v37, v69, s[26:27]
	v_max3_f32 v50, v38, v39, v36
	v_mbcnt_lo_u32_b32 v36, -1, 0
	v_mbcnt_hi_u32_b32 v51, -1, v36
	v_and_b32_e32 v36, 64, v51
	v_add_u32_e32 v52, 64, v36
	v_xor_b32_e32 v36, 32, v51
	v_cmp_lt_i32_e64 s[38:39], v36, v52
	global_load_dwordx4 v[46:49], v[44:45], off
	global_load_dwordx4 v[38:41], v[44:45], off offset:16
	v_cndmask_b32_e64 v36, v51, v36, s[38:39]
	v_lshlrev_b32_e32 v74, 2, v36
	ds_bpermute_b32 v53, v74, v50
	global_load_dwordx4 v[42:45], v[34:35], off
	s_nop 0
	global_load_dwordx4 v[34:37], v[34:35], off offset:16
	s_waitcnt lgkmcnt(0)
	v_max_f32_e32 v53, v53, v53
	v_max_f32_e32 v64, v50, v53
	v_xor_b32_e32 v50, 16, v51
	v_cmp_lt_i32_e64 s[38:39], v50, v52
	s_nop 1
	v_cndmask_b32_e64 v50, v51, v50, s[38:39]
	v_lshlrev_b32_e32 v75, 2, v50
	ds_bpermute_b32 v65, v75, v64
	v_lshl_add_u64 v[50:51], v[62:63], 0, v[54:55]
	global_load_dwordx4 v[54:57], v[50:51], off
	s_nop 0
	global_load_dwordx4 v[50:53], v[50:51], off offset:16
	s_waitcnt lgkmcnt(0)
	v_max_f32_e32 v62, v65, v65
	v_max_f32_e32 v66, v64, v62
	v_sub_f32_e32 v60, v60, v66
	v_mul_f32_e32 v60, 0x3fb8aa3b, v60
	v_exp_f32_e32 v70, v60
	v_sub_f32_e32 v60, v61, v66
	v_mul_f32_e32 v60, 0x3fb8aa3b, v60
	v_exp_f32_e32 v71, v60
	global_load_dwordx4 v[62:65], v[58:59], off
	s_nop 0
	global_load_dwordx4 v[58:61], v[58:59], off offset:16
	v_sub_f32_e32 v82, v82, v66
	v_mul_f32_e32 v82, 0x3fb8aa3b, v82
	v_sub_f32_e32 v83, v83, v66
	v_exp_f32_e32 v82, v82
	v_mul_f32_e32 v83, 0x3fb8aa3b, v83
	v_sub_f32_e32 v72, v72, v66
	v_exp_f32_e32 v83, v83
	v_mul_f32_e32 v72, 0x3fb8aa3b, v72
	v_sub_f32_e32 v73, v73, v66
	v_cndmask_b32_e64 v70, 0, v70, s[28:29]
	v_exp_f32_e32 v72, v72
	v_mul_f32_e32 v73, 0x3fb8aa3b, v73
	v_sub_f32_e32 v84, v84, v66
	v_add_f32_e32 v86, 0, v70
	v_cndmask_b32_e64 v71, 0, v71, s[30:31]
	v_exp_f32_e32 v73, v73
	v_mul_f32_e32 v84, 0x3fb8aa3b, v84
	v_sub_f32_e32 v85, v85, v66
	v_add_f32_e32 v86, v86, v71
	;; [unrolled: 5-line block ×10, first 2 shown]
	v_cndmask_b32_e64 v78, 0, v78, s[10:11]
	v_exp_f32_e32 v68, v68
	v_mul_f32_e32 v69, 0x3fb8aa3b, v69
	v_add_f32_e32 v86, v86, v78
	v_cndmask_b32_e64 v79, 0, v79, s[12:13]
	v_exp_f32_e32 v69, v69
	v_add_f32_e32 v86, v86, v79
	v_cndmask_b32_e64 v76, 0, v76, s[6:7]
	v_add_f32_e32 v86, v86, v76
	v_cndmask_b32_e64 v77, 0, v77, s[8:9]
	v_add_f32_e32 v86, v86, v77
	v_cndmask_b32_e32 v68, 0, v68, vcc
	v_add_f32_e32 v86, v86, v68
	v_cndmask_b32_e64 v69, 0, v69, s[26:27]
	v_add_f32_e32 v86, v86, v69
	ds_bpermute_b32 v74, v74, v86
	v_cmp_lt_u32_e64 s[6:7], 15, v23
	v_cmp_gt_u32_e32 vcc, 16, v23
	s_waitcnt lgkmcnt(0)
	s_barrier
	v_add_f32_e32 v90, v86, v74
	ds_bpermute_b32 v91, v75, v90
	s_waitcnt lgkmcnt(0)
	s_and_saveexec_b64 s[8:9], vcc
	s_cbranch_execz .LBB380_15
; %bb.14:
	v_add_f32_e32 v74, v90, v91
	v_lshlrev_b32_e32 v1, 2, v1
	ds_write2st64_b32 v1, v66, v74 offset1:1
.LBB380_15:
	s_or_b64 exec, exec, s[8:9]
	v_mov_b32_e32 v95, v22
	v_lshlrev_b32_e32 v1, 2, v95
	s_load_dwordx2 s[8:9], s[0:1], 0x94
	s_waitcnt lgkmcnt(0)
	s_barrier
	ds_read2_b32 v[74:75], v1 offset1:16
	ds_read2_b32 v[86:87], v1 offset0:32 offset1:48
	ds_read2_b32 v[90:91], v1 offset0:64 offset1:80
	s_waitcnt lgkmcnt(2)
	v_max3_f32 v66, v74, s33, v75
	s_waitcnt lgkmcnt(1)
	v_max3_f32 v88, v66, v86, v87
	v_sub_f32_e32 v66, v74, v88
	v_sub_f32_e32 v74, v75, v88
	v_mul_f32_e32 v74, 0x3fb8aa3b, v74
	v_mul_f32_e32 v66, 0x3fb8aa3b, v66
	v_exp_f32_e32 v92, v74
	v_sub_f32_e32 v74, v86, v88
	v_exp_f32_e32 v66, v66
	v_mul_f32_e32 v74, 0x3fb8aa3b, v74
	v_exp_f32_e32 v86, v74
	ds_read2_b32 v[74:75], v1 offset0:96 offset1:112
	v_sub_f32_e32 v1, v87, v88
	v_mul_f32_e32 v1, 0x3fb8aa3b, v1
	v_exp_f32_e32 v1, v1
	s_waitcnt lgkmcnt(1)
	v_fma_f32 v89, v66, v90, 0
	v_fmac_f32_e32 v89, v92, v91
	s_waitcnt lgkmcnt(0)
	v_fmac_f32_e32 v89, v86, v74
	v_fmac_f32_e32 v89, v1, v75
	v_add_f32_e32 v74, 0x358637bd, v89
	v_div_scale_f32 v75, s[10:11], v74, v74, 1.0
	v_rcp_f32_e32 v87, v75
	s_barrier
	v_fma_f32 v90, -v75, v87, 1.0
	v_fmac_f32_e32 v87, v90, v87
	v_div_scale_f32 v90, vcc, 1.0, v74, 1.0
	v_mul_f32_e32 v91, v90, v87
	v_fma_f32 v93, -v75, v91, v90
	v_fmac_f32_e32 v91, v93, v87
	v_fma_f32 v75, -v75, v91, v90
	v_div_fmas_f32 v75, v75, v87, v91
	v_cmp_eq_u32_e32 vcc, 1, v67
	v_div_fixup_f32 v74, v75, v74, 1.0
	s_nop 0
	v_cndmask_b32_e32 v66, v66, v92, vcc
	v_cmp_eq_u32_e32 vcc, 2, v67
	s_nop 1
	v_cndmask_b32_e32 v66, v66, v86, vcc
	v_cmp_eq_u32_e32 vcc, 3, v67
	s_nop 1
	v_cndmask_b32_e32 v1, v66, v1, vcc
	v_mul_f32_e32 v74, v1, v74
	v_pk_mul_f32 v[82:83], v[74:75], v[82:83] op_sel_hi:[0,1]
	v_pk_mul_f32 v[70:71], v[74:75], v[70:71] op_sel_hi:[0,1]
	v_cvt_f16_f32_e32 v75, v83
	v_cvt_f16_f32_e32 v66, v71
	;; [unrolled: 1-line block ×4, first 2 shown]
	v_pk_mul_f32 v[82:83], v[74:75], v[84:85] op_sel_hi:[0,1]
	v_pk_mul_f32 v[72:73], v[74:75], v[72:73] op_sel_hi:[0,1]
	v_pack_b32_f16 v71, v71, v75
	v_cvt_f16_f32_e32 v72, v72
	v_cvt_f16_f32_e32 v73, v73
	;; [unrolled: 1-line block ×4, first 2 shown]
	v_pack_b32_f16 v70, v1, v66
	v_lshlrev_b32_e32 v1, 3, v94
	v_lshlrev_b32_e32 v66, 5, v95
	;; [unrolled: 1-line block ×3, first 2 shown]
	v_or3_b32 v82, v82, v66, v1
	v_pack_b32_f16 v72, v72, v73
	v_pack_b32_f16 v73, v75, v83
	ds_write2st64_b64 v82, v[70:71], v[72:73] offset1:1
	v_pk_mul_f32 v[70:71], v[74:75], v[78:79] op_sel_hi:[0,1]
	v_pk_mul_f32 v[72:73], v[74:75], v[80:81] op_sel_hi:[0,1]
	v_cvt_f16_f32_e32 v75, v71
	v_cvt_f16_f32_e32 v1, v72
	v_cvt_f16_f32_e32 v72, v73
	v_cvt_f16_f32_e32 v73, v70
	v_pk_mul_f32 v[68:69], v[74:75], v[68:69] op_sel_hi:[0,1]
	v_pk_mul_f32 v[70:71], v[74:75], v[76:77] op_sel_hi:[0,1]
	v_cvt_f16_f32_e32 v70, v70
	v_cvt_f16_f32_e32 v71, v71
	;; [unrolled: 1-line block ×4, first 2 shown]
	v_pack_b32_f16 v68, v1, v72
	v_pack_b32_f16 v69, v73, v75
	;; [unrolled: 1-line block ×4, first 2 shown]
	v_cmp_eq_u32_e32 vcc, 0, v0
	ds_write2st64_b64 v82, v[68:69], v[70:71] offset0:2 offset1:3
	s_and_saveexec_b64 s[10:11], vcc
	s_cbranch_execz .LBB380_17
; %bb.16:
	s_mul_i32 s3, s3, s9
	s_mul_hi_u32 s16, s2, s9
	s_add_i32 s16, s16, s3
	s_mul_i32 s3, s2, s9
	s_add_u32 s3, s3, s4
	s_addc_u32 s16, s16, 0
	s_load_dwordx4 s[12:15], s[0:1], 0x58
	s_mul_i32 s16, s16, s8
	s_mul_hi_u32 s17, s3, s8
	s_add_i32 s17, s17, s16
	s_mul_i32 s3, s3, s8
	s_add_u32 s16, s3, s5
	s_addc_u32 s17, s17, 0
	s_lshl_b64 s[16:17], s[16:17], 2
	s_waitcnt lgkmcnt(0)
	s_add_u32 s14, s14, s16
	s_addc_u32 s15, s15, s17
	s_add_u32 s12, s12, s16
	s_addc_u32 s13, s13, s17
	global_store_dword v25, v88, s[14:15]
	global_store_dword v25, v89, s[12:13]
.LBB380_17:
	s_or_b64 exec, exec, s[10:11]
	v_lshl_or_b32 v1, v94, 9, v66
	s_waitcnt lgkmcnt(0)
	s_barrier
	ds_read_b128 v[70:73], v1
	ds_read_b128 v[66:69], v1 offset:16
	s_waitcnt lgkmcnt(1)
	v_mfma_f32_16x16x16_f16 v[74:77], v[30:31], v[70:71], 0
	s_mov_b32 s3, 0
	v_cmp_gt_u32_e32 vcc, 64, v0
	s_xor_b64 s[6:7], s[6:7], -1
	v_mfma_f32_16x16x16_f16 v[30:33], v[32:33], v[72:73], v[74:77]
	s_and_b64 s[6:7], vcc, s[6:7]
	s_waitcnt lgkmcnt(0)
	v_mfma_f32_16x16x16_f16 v[30:33], v[26:27], v[66:67], v[30:33]
	v_mfma_f32_16x16x16_f16 v[26:29], v[28:29], v[68:69], v[30:33]
	s_nop 5
	ds_read_b128 v[30:33], v1 offset:2048
	ds_read_b128 v[74:77], v1 offset:2064
	s_waitcnt lgkmcnt(1)
	v_mfma_f32_16x16x16_f16 v[26:29], v[10:11], v[30:31], v[26:29]
	v_mfma_f32_16x16x16_f16 v[22:25], v[12:13], v[32:33], v[26:29]
	s_waitcnt lgkmcnt(0)
	v_mfma_f32_16x16x16_f16 v[22:25], v[18:19], v[74:75], v[22:25]
	v_mfma_f32_16x16x16_f16 v[18:21], v[20:21], v[76:77], v[22:25]
	s_nop 5
	ds_read_b128 v[22:25], v1 offset:4096
	ds_read_b128 v[26:29], v1 offset:4112
	scratch_load_dwordx4 v[10:13], off, off offset:8 ; 16-byte Folded Reload
	s_waitcnt lgkmcnt(1)
	v_mfma_f32_16x16x16_f16 v[18:21], v[14:15], v[22:23], v[18:21]
	v_mfma_f32_16x16x16_f16 v[14:17], v[16:17], v[24:25], v[18:21]
	s_waitcnt vmcnt(0) lgkmcnt(0)
	v_mfma_f32_16x16x16_f16 v[14:17], v[10:11], v[26:27], v[14:17]
	v_mfma_f32_16x16x16_f16 v[10:13], v[12:13], v[28:29], v[14:17]
	s_nop 5
	ds_read_b128 v[14:17], v1 offset:6144
	ds_read_b128 v[18:21], v1 offset:6160
	s_waitcnt lgkmcnt(0)
	s_barrier
	v_mfma_f32_16x16x16_f16 v[10:13], v[6:7], v[14:15], v[10:13]
	v_mfma_f32_16x16x16_f16 v[6:9], v[8:9], v[16:17], v[10:13]
	;; [unrolled: 1-line block ×6, first 2 shown]
	s_nop 4
	v_cvt_f16_f32_e32 v1, v2
	v_cvt_f16_f32_e32 v10, v3
	;; [unrolled: 1-line block ×3, first 2 shown]
	v_mfma_f32_16x16x16_f16 v[6:9], v[38:39], v[66:67], v[6:9]
	v_cvt_f16_f32_e32 v12, v5
	v_mfma_f32_16x16x16_f16 v[6:9], v[40:41], v[68:69], v[6:9]
	v_mfma_f32_16x16x16_f16 v[6:9], v[42:43], v[30:31], v[6:9]
	;; [unrolled: 1-line block ×13, first 2 shown]
	s_nop 6
	v_cvt_f16_f32_e32 v6, v2
	v_cvt_f16_f32_e32 v7, v3
	v_cvt_f16_f32_e32 v8, v4
	v_cvt_f16_f32_e32 v5, v5
	v_pack_b32_f16 v2, v1, v10
	v_pack_b32_f16 v3, v11, v12
	;; [unrolled: 1-line block ×4, first 2 shown]
	ds_write2st64_b64 v82, v[2:3], v[4:5] offset1:1
	s_waitcnt lgkmcnt(0)
	s_barrier
	s_mov_b64 s[10:11], exec
	scratch_load_dwordx2 v[4:5], off, off   ; 8-byte Folded Reload
	s_and_b64 s[6:7], s[10:11], s[6:7]
	s_mov_b64 exec, s[6:7]
	s_cbranch_execz .LBB380_19
; %bb.18:
	s_load_dwordx2 s[0:1], s[0:1], 0x68
	s_mul_i32 s2, s9, s2
	s_lshl_b32 s8, s8, 7
	s_mul_hi_u32 s7, s2, s8
	s_mul_i32 s6, s2, s8
	s_lshl_b64 s[6:7], s[6:7], 1
	v_lshlrev_b32_e32 v3, 6, v95
	s_waitcnt lgkmcnt(0)
	s_add_u32 s6, s0, s6
	v_lshlrev_b32_e32 v2, 4, v0
	v_lshl_or_b32 v0, v0, 10, v3
	s_addc_u32 s7, s1, s7
	s_lshl_b32 s2, s5, 7
	v_lshlrev_b32_e32 v1, 5, v94
	v_and_b32_e32 v2, 16, v2
	v_and_b32_e32 v0, 0x1a00, v0
	s_lshl_b64 s[0:1], s[2:3], 1
	v_or3_b32 v0, v0, v1, v2
	s_add_u32 s2, s6, s0
	ds_read_b128 v[0:3], v0
	s_addc_u32 s3, s7, s1
	s_mul_hi_u32 s1, s8, s4
	s_mul_i32 s0, s8, s4
	s_lshl_b64 s[0:1], s[0:1], 1
	s_add_u32 s0, s2, s0
	s_addc_u32 s1, s3, s1
	s_waitcnt vmcnt(0)
	v_lshl_add_u64 v[4:5], v[4:5], 1, s[0:1]
	s_waitcnt lgkmcnt(0)
	global_store_dwordx4 v[4:5], v[0:3], off
.LBB380_19:
	s_endpgm
	.section	.rodata,"a",@progbits
	.p2align	6, 0x0
	.amdhsa_kernel _Z39paged_attention_ll4mi_QKV_mfma16_kernelIDF16_DF16_LN4vllm18Fp8KVCacheDataTypeE0EDF16_Li32ELi128ELi256ELb0ELi1EEvPKT_PKT0_S7_ifPKiS9_S9_iPKfiiiPfSC_PS2_PT2_iSB_SB_
		.amdhsa_group_segment_fixed_size 8192
		.amdhsa_private_segment_fixed_size 28
		.amdhsa_kernarg_size 400
		.amdhsa_user_sgpr_count 2
		.amdhsa_user_sgpr_dispatch_ptr 0
		.amdhsa_user_sgpr_queue_ptr 0
		.amdhsa_user_sgpr_kernarg_segment_ptr 1
		.amdhsa_user_sgpr_dispatch_id 0
		.amdhsa_user_sgpr_kernarg_preload_length 0
		.amdhsa_user_sgpr_kernarg_preload_offset 0
		.amdhsa_user_sgpr_private_segment_size 0
		.amdhsa_uses_dynamic_stack 0
		.amdhsa_enable_private_segment 1
		.amdhsa_system_sgpr_workgroup_id_x 1
		.amdhsa_system_sgpr_workgroup_id_y 1
		.amdhsa_system_sgpr_workgroup_id_z 1
		.amdhsa_system_sgpr_workgroup_info 0
		.amdhsa_system_vgpr_workitem_id 0
		.amdhsa_next_free_vgpr 96
		.amdhsa_next_free_sgpr 40
		.amdhsa_accum_offset 96
		.amdhsa_reserve_vcc 1
		.amdhsa_float_round_mode_32 0
		.amdhsa_float_round_mode_16_64 0
		.amdhsa_float_denorm_mode_32 3
		.amdhsa_float_denorm_mode_16_64 3
		.amdhsa_dx10_clamp 1
		.amdhsa_ieee_mode 1
		.amdhsa_fp16_overflow 0
		.amdhsa_tg_split 0
		.amdhsa_exception_fp_ieee_invalid_op 0
		.amdhsa_exception_fp_denorm_src 0
		.amdhsa_exception_fp_ieee_div_zero 0
		.amdhsa_exception_fp_ieee_overflow 0
		.amdhsa_exception_fp_ieee_underflow 0
		.amdhsa_exception_fp_ieee_inexact 0
		.amdhsa_exception_int_div_zero 0
	.end_amdhsa_kernel
	.section	.text._Z39paged_attention_ll4mi_QKV_mfma16_kernelIDF16_DF16_LN4vllm18Fp8KVCacheDataTypeE0EDF16_Li32ELi128ELi256ELb0ELi1EEvPKT_PKT0_S7_ifPKiS9_S9_iPKfiiiPfSC_PS2_PT2_iSB_SB_,"axG",@progbits,_Z39paged_attention_ll4mi_QKV_mfma16_kernelIDF16_DF16_LN4vllm18Fp8KVCacheDataTypeE0EDF16_Li32ELi128ELi256ELb0ELi1EEvPKT_PKT0_S7_ifPKiS9_S9_iPKfiiiPfSC_PS2_PT2_iSB_SB_,comdat
.Lfunc_end380:
	.size	_Z39paged_attention_ll4mi_QKV_mfma16_kernelIDF16_DF16_LN4vllm18Fp8KVCacheDataTypeE0EDF16_Li32ELi128ELi256ELb0ELi1EEvPKT_PKT0_S7_ifPKiS9_S9_iPKfiiiPfSC_PS2_PT2_iSB_SB_, .Lfunc_end380-_Z39paged_attention_ll4mi_QKV_mfma16_kernelIDF16_DF16_LN4vllm18Fp8KVCacheDataTypeE0EDF16_Li32ELi128ELi256ELb0ELi1EEvPKT_PKT0_S7_ifPKiS9_S9_iPKfiiiPfSC_PS2_PT2_iSB_SB_
                                        ; -- End function
	.section	.AMDGPU.csdata,"",@progbits
; Kernel info:
; codeLenInByte = 4464
; NumSgprs: 46
; NumVgprs: 96
; NumAgprs: 0
; TotalNumVgprs: 96
; ScratchSize: 28
; MemoryBound: 0
; FloatMode: 240
; IeeeMode: 1
; LDSByteSize: 8192 bytes/workgroup (compile time only)
; SGPRBlocks: 5
; VGPRBlocks: 11
; NumSGPRsForWavesPerEU: 46
; NumVGPRsForWavesPerEU: 96
; AccumOffset: 96
; Occupancy: 5
; WaveLimiterHint : 1
; COMPUTE_PGM_RSRC2:SCRATCH_EN: 1
; COMPUTE_PGM_RSRC2:USER_SGPR: 2
; COMPUTE_PGM_RSRC2:TRAP_HANDLER: 0
; COMPUTE_PGM_RSRC2:TGID_X_EN: 1
; COMPUTE_PGM_RSRC2:TGID_Y_EN: 1
; COMPUTE_PGM_RSRC2:TGID_Z_EN: 1
; COMPUTE_PGM_RSRC2:TIDIG_COMP_CNT: 0
; COMPUTE_PGM_RSRC3_GFX90A:ACCUM_OFFSET: 23
; COMPUTE_PGM_RSRC3_GFX90A:TG_SPLIT: 0
	.section	.text._Z39paged_attention_ll4mi_QKV_mfma16_kernelIDF16_DF16_LN4vllm18Fp8KVCacheDataTypeE0EDF16_Li32ELi128ELi256ELb0ELi2EEvPKT_PKT0_S7_ifPKiS9_S9_iPKfiiiPfSC_PS2_PT2_iSB_SB_,"axG",@progbits,_Z39paged_attention_ll4mi_QKV_mfma16_kernelIDF16_DF16_LN4vllm18Fp8KVCacheDataTypeE0EDF16_Li32ELi128ELi256ELb0ELi2EEvPKT_PKT0_S7_ifPKiS9_S9_iPKfiiiPfSC_PS2_PT2_iSB_SB_,comdat
	.protected	_Z39paged_attention_ll4mi_QKV_mfma16_kernelIDF16_DF16_LN4vllm18Fp8KVCacheDataTypeE0EDF16_Li32ELi128ELi256ELb0ELi2EEvPKT_PKT0_S7_ifPKiS9_S9_iPKfiiiPfSC_PS2_PT2_iSB_SB_ ; -- Begin function _Z39paged_attention_ll4mi_QKV_mfma16_kernelIDF16_DF16_LN4vllm18Fp8KVCacheDataTypeE0EDF16_Li32ELi128ELi256ELb0ELi2EEvPKT_PKT0_S7_ifPKiS9_S9_iPKfiiiPfSC_PS2_PT2_iSB_SB_
	.globl	_Z39paged_attention_ll4mi_QKV_mfma16_kernelIDF16_DF16_LN4vllm18Fp8KVCacheDataTypeE0EDF16_Li32ELi128ELi256ELb0ELi2EEvPKT_PKT0_S7_ifPKiS9_S9_iPKfiiiPfSC_PS2_PT2_iSB_SB_
	.p2align	8
	.type	_Z39paged_attention_ll4mi_QKV_mfma16_kernelIDF16_DF16_LN4vllm18Fp8KVCacheDataTypeE0EDF16_Li32ELi128ELi256ELb0ELi2EEvPKT_PKT0_S7_ifPKiS9_S9_iPKfiiiPfSC_PS2_PT2_iSB_SB_,@function
_Z39paged_attention_ll4mi_QKV_mfma16_kernelIDF16_DF16_LN4vllm18Fp8KVCacheDataTypeE0EDF16_Li32ELi128ELi256ELb0ELi2EEvPKT_PKT0_S7_ifPKiS9_S9_iPKfiiiPfSC_PS2_PT2_iSB_SB_: ; @_Z39paged_attention_ll4mi_QKV_mfma16_kernelIDF16_DF16_LN4vllm18Fp8KVCacheDataTypeE0EDF16_Li32ELi128ELi256ELb0ELi2EEvPKT_PKT0_S7_ifPKiS9_S9_iPKfiiiPfSC_PS2_PT2_iSB_SB_
; %bb.0:
	s_load_dwordx2 s[8:9], s[0:1], 0x30
	s_mov_b32 s26, s3
	s_mov_b64 s[6:7], 0
	s_waitcnt lgkmcnt(0)
	s_cmp_lg_u64 s[8:9], 0
	s_cselect_b64 s[10:11], -1, 0
	s_and_b64 vcc, exec, s[10:11]
	s_cbranch_vccz .LBB381_7
; %bb.1:
	s_add_i32 s12, s2, 1
	s_mov_b32 s13, 0
	s_lshl_b64 s[14:15], s[12:13], 2
	s_add_u32 s14, s8, s14
	s_mov_b32 s3, s13
	s_addc_u32 s15, s9, s15
	s_lshl_b64 s[12:13], s[2:3], 2
	s_add_u32 s12, s8, s12
	s_addc_u32 s13, s9, s13
	s_load_dword s5, s[14:15], 0x0
	s_load_dword s16, s[12:13], 0x0
	s_waitcnt lgkmcnt(0)
	s_sub_i32 s5, s5, s16
	s_cmp_eq_u32 s5, 1
	s_cselect_b64 s[12:13], -1, 0
	s_andn2_b64 vcc, exec, s[6:7]
	s_cbranch_vccnz .LBB381_3
.LBB381_2:
	s_mov_b32 s3, 0
	s_mov_b64 s[12:13], -1
.LBB381_3:
	s_andn2_b64 vcc, exec, s[12:13]
	s_cbranch_vccnz .LBB381_19
; %bb.4:
	s_load_dwordx2 s[6:7], s[0:1], 0x28
	s_lshl_b64 s[12:13], s[2:3], 2
	s_waitcnt lgkmcnt(0)
	s_add_u32 s6, s6, s12
	s_addc_u32 s7, s7, s13
	s_load_dword s38, s[6:7], 0x0
	s_lshl_b32 s18, s26, 8
	s_waitcnt lgkmcnt(0)
	s_cmp_ge_i32 s18, s38
	s_cbranch_scc1 .LBB381_19
; %bb.5:
	s_load_dwordx2 s[6:7], s[0:1], 0x20
	s_load_dword s5, s[0:1], 0x38
	s_add_i32 s14, s38, 31
	s_ashr_i32 s15, s14, 31
	v_and_b32_e32 v1, 0xcf, v0
	s_lshr_b32 s15, s15, 27
	v_add_u32_e32 v1, s18, v1
	s_add_i32 s14, s14, s15
	v_ashrrev_i32_e32 v2, 31, v1
	s_ashr_i32 s19, s14, 5
	v_lshrrev_b32_e32 v6, 27, v2
	s_add_i32 s19, s19, -1
	s_waitcnt lgkmcnt(0)
	s_mul_i32 s14, s2, s5
	s_mov_b32 s15, 0
	v_add_u32_e32 v2, v1, v6
	s_lshl_b64 s[14:15], s[14:15], 2
	v_ashrrev_i32_e32 v2, 5, v2
	v_mov_b32_e32 v7, s19
	v_cmp_gt_i32_e32 vcc, s38, v1
	s_add_u32 s6, s6, s14
	s_addc_u32 s7, s7, s15
	v_cndmask_b32_e32 v2, v7, v2, vcc
	v_ashrrev_i32_e32 v3, 31, v2
	v_lshl_add_u64 v[4:5], v[2:3], 2, s[6:7]
	v_or_b32_e32 v2, 16, v1
	v_add_u32_e32 v3, v2, v6
	v_ashrrev_i32_e32 v3, 5, v3
	v_cmp_gt_i32_e32 vcc, s38, v2
	s_nop 1
	v_cndmask_b32_e32 v2, v7, v3, vcc
	v_ashrrev_i32_e32 v3, 31, v2
	v_lshl_add_u64 v[8:9], v[2:3], 2, s[6:7]
	v_or_b32_e32 v2, 32, v1
	v_add_u32_e32 v3, v2, v6
	v_ashrrev_i32_e32 v3, 5, v3
	v_cmp_gt_i32_e32 vcc, s38, v2
	v_or_b32_e32 v1, 48, v1
	s_nop 0
	v_cndmask_b32_e32 v2, v7, v3, vcc
	v_ashrrev_i32_e32 v3, 31, v2
	v_lshl_add_u64 v[10:11], v[2:3], 2, s[6:7]
	v_add_u32_e32 v2, v1, v6
	v_ashrrev_i32_e32 v2, 5, v2
	v_cmp_gt_i32_e32 vcc, s38, v1
	s_nop 1
	v_cndmask_b32_e32 v2, v7, v2, vcc
	v_ashrrev_i32_e32 v3, 31, v2
	v_lshl_add_u64 v[12:13], v[2:3], 2, s[6:7]
	global_load_dword v2, v[4:5], off
	global_load_dword v7, v[8:9], off
	;; [unrolled: 1-line block ×4, first 2 shown]
	s_andn2_b64 vcc, exec, s[10:11]
	s_cbranch_vccnz .LBB381_8
; %bb.6:
	s_add_u32 s8, s8, s12
	s_addc_u32 s9, s9, s13
	s_load_dword s5, s[8:9], 0x0
	s_branch .LBB381_9
.LBB381_7:
	s_mov_b64 s[12:13], 0
	s_branch .LBB381_2
.LBB381_8:
	s_mov_b32 s5, s2
.LBB381_9:
	s_load_dwordx4 s[12:15], s[0:1], 0x8
	s_load_dwordx4 s[8:11], s[0:1], 0x48
	v_lshrrev_b32_e32 v85, 6, v0
	v_bfe_u32 v86, v0, 4, 2
	v_lshl_or_b32 v3, v85, 2, v86
	v_and_b32_e32 v84, 15, v0
	v_lshlrev_b32_e32 v12, 3, v84
	v_cmp_lt_u32_e32 vcc, 1, v3
	s_and_saveexec_b64 s[16:17], vcc
	s_xor_b64 s[16:17], exec, s[16:17]
; %bb.10:
	v_mov_b32_e32 v13, 0
                                        ; implicit-def: $vgpr3
; %bb.11:
	s_or_saveexec_b64 s[16:17], s[16:17]
	s_lshl_b32 s27, s4, 1
	s_xor_b64 exec, exec, s[16:17]
	s_cbranch_execz .LBB381_13
; %bb.12:
	s_load_dwordx2 s[20:21], s[0:1], 0x0
	s_waitcnt lgkmcnt(0)
	s_ashr_i32 s11, s8, 31
	s_mul_hi_u32 s22, s5, s8
	s_mul_i32 s11, s5, s11
	s_add_i32 s23, s22, s11
	s_mul_i32 s22, s5, s8
	s_lshl_b64 s[22:23], s[22:23], 1
	s_add_u32 s20, s20, s22
	v_add_lshl_u32 v4, v86, s27, 7
	s_addc_u32 s21, s21, s23
	v_ashrrev_i32_e32 v5, 31, v4
	v_mov_b32_e32 v13, 0
	v_lshl_add_u64 v[4:5], v[4:5], 1, s[20:21]
	v_lshlrev_b32_e32 v8, 1, v12
	v_mov_b32_e32 v9, v13
	v_lshl_add_u64 v[4:5], v[4:5], 0, v[8:9]
	global_load_dwordx4 v[8:11], v[4:5], off
	v_and_b32_e32 v4, 3, v0
	v_lshlrev_b32_e32 v5, 9, v84
	v_lshlrev_b32_e32 v3, 5, v3
	;; [unrolled: 1-line block ×3, first 2 shown]
	v_and_b32_e32 v5, 0x1800, v5
	v_or3_b32 v3, v5, v4, v3
	s_waitcnt vmcnt(0)
	ds_write_b128 v3, v[8:11]
.LBB381_13:
	s_or_b64 exec, exec, s[16:17]
	s_waitcnt lgkmcnt(0)
	s_mul_i32 s4, s4, s10
	s_mov_b32 s5, 0
	s_lshl_b64 s[4:5], s[4:5], 1
	s_add_u32 s10, s12, s4
	s_addc_u32 s11, s13, s5
	s_waitcnt vmcnt(3)
	v_mad_i64_i32 v[2:3], s[12:13], v2, s9, 0
	v_mov_b32_e32 v55, 0
	s_waitcnt vmcnt(2)
	v_mad_i64_i32 v[8:9], s[12:13], v7, s9, 0
	v_mov_b32_e32 v7, 0x100
	v_lshl_add_u64 v[2:3], v[2:3], 1, s[10:11]
	v_lshlrev_b64 v[4:5], 1, v[12:13]
	v_lshl_add_u64 v[8:9], v[8:9], 1, s[10:11]
	v_lshl_or_b32 v56, v84, 4, v7
	v_mov_b32_e32 v57, v55
	v_lshlrev_b32_e32 v54, 9, v86
	v_lshl_add_u64 v[2:3], v[2:3], 0, v[4:5]
	v_lshl_add_u64 v[20:21], v[8:9], 0, v[56:57]
	;; [unrolled: 1-line block ×4, first 2 shown]
	s_load_dword s33, s[0:1], 0x98
	s_load_dword s8, s[0:1], 0x1c
	s_waitcnt lgkmcnt(0)
	s_barrier
	scratch_store_dwordx2 off, v[12:13], off ; 8-byte Folded Spill
	global_load_dwordx4 v[14:17], v[18:19], off
	s_waitcnt vmcnt(3)
	v_mad_i64_i32 v[6:7], s[12:13], v6, s9, 0
	global_load_dwordx4 v[10:13], v[22:23], off
	v_lshl_add_u64 v[6:7], v[6:7], 1, s[10:11]
	v_lshl_add_u64 v[60:61], v[6:7], 0, v[4:5]
	;; [unrolled: 1-line block ×3, first 2 shown]
	global_load_dwordx4 v[6:9], v[46:47], off
	global_load_dwordx4 v[42:45], v[18:19], off offset:2048
	global_load_dwordx4 v[38:41], v[22:23], off offset:2048
	v_or_b32_e32 v62, 0x1000, v54
	v_mov_b32_e32 v63, v55
	v_lshl_add_u64 v[4:5], v[2:3], 0, v[62:63]
	global_load_dwordx4 v[30:33], v[4:5], off
	v_or_b32_e32 v58, 0x1800, v54
	v_mov_b32_e32 v59, v55
	v_lshl_add_u64 v[2:3], v[2:3], 0, v[58:59]
	global_load_dwordx4 v[22:25], v[2:3], off
	v_lshl_add_u64 v[4:5], v[20:21], 0, v[62:63]
	global_load_dwordx4 v[26:29], v[4:5], off
	v_lshl_add_u64 v[2:3], v[20:21], 0, v[58:59]
	global_load_dwordx4 v[18:21], v[2:3], off
	v_and_b32_e32 v2, 1, v0
	v_lshl_or_b32 v48, v2, 5, v54
	ds_read_b128 v[2:5], v48
	s_waitcnt vmcnt(10)
	v_mad_i64_i32 v[64:65], s[12:13], v34, s9, 0
	ds_read_b128 v[34:37], v48 offset:2048
	global_load_dwordx4 v[76:79], v[46:47], off offset:2048
	ds_read_b128 v[50:53], v48 offset:4096
	ds_read_b128 v[46:49], v48 offset:6144
	s_ashr_i32 s12, s18, 31
	v_and_or_b32 v74, v0, 48, s18
	v_mov_b32_e32 v75, s19
	v_cmp_gt_i32_e32 vcc, s38, v74
	v_or_b32_e32 v87, 64, v74
	v_or_b32_e32 v88, 0x80, v74
	;; [unrolled: 1-line block ×3, first 2 shown]
	s_mov_b32 s40, 0xff7fffff
	s_waitcnt vmcnt(7) lgkmcnt(3)
	v_mfma_f32_16x16x16_f16 v[80:83], v[6:7], v[2:3], 0
	v_lshl_add_u64 v[6:7], v[64:65], 1, s[10:11]
	s_lshr_b32 s10, s12, 27
	v_lshl_add_u64 v[6:7], v[6:7], 0, v[56:57]
	v_mfma_f32_16x16x16_f16 v[70:73], v[10:11], v[2:3], 0
	v_lshl_add_u64 v[64:65], v[6:7], 0, v[54:55]
	v_lshl_add_u64 v[56:57], v[60:61], 0, v[58:59]
	s_add_u32 s4, s14, s4
	v_mfma_f32_16x16x16_f16 v[66:69], v[14:15], v[2:3], 0
	s_addc_u32 s5, s15, s5
	v_mfma_f32_16x16x16_f16 v[10:13], v[12:13], v[4:5], v[70:73]
	v_mfma_f32_16x16x16_f16 v[14:17], v[16:17], v[4:5], v[66:69]
	s_nop 1
	v_lshl_add_u64 v[72:73], v[6:7], 0, v[62:63]
	global_load_dwordx4 v[92:95], v[72:73], off
	s_waitcnt vmcnt(6) lgkmcnt(2)
	v_mfma_f32_16x16x16_f16 v[10:13], v[38:39], v[34:35], v[10:13]
	v_add_u32_e32 v66, s10, v74
	v_ashrrev_i32_e32 v54, 5, v66
	v_add_u32_e32 v67, s10, v87
	v_mfma_f32_16x16x16_f16 v[14:17], v[42:43], v[34:35], v[14:17]
	v_lshl_add_u64 v[42:43], v[60:61], 0, v[62:63]
	v_ashrrev_i32_e32 v60, 5, v67
	v_add_u32_e32 v68, s10, v88
	v_mfma_f32_16x16x16_f16 v[10:13], v[40:41], v[36:37], v[10:13]
	global_load_dwordx4 v[38:41], v[42:43], off
	v_cndmask_b32_e32 v42, v75, v54, vcc
	v_ashrrev_i32_e32 v43, 31, v42
	v_mfma_f32_16x16x16_f16 v[14:17], v[44:45], v[36:37], v[14:17]
	v_cmp_gt_i32_e32 vcc, s38, v87
	v_ashrrev_i32_e32 v66, 5, v68
	v_add_u32_e32 v69, s10, v89
	s_waitcnt vmcnt(6) lgkmcnt(1)
	v_mfma_f32_16x16x16_f16 v[14:17], v[30:31], v[50:51], v[14:17]
	v_lshl_add_u64 v[30:31], v[42:43], 2, s[6:7]
	global_load_dwordx4 v[42:45], v[56:57], off
	v_ashrrev_i32_e32 v68, 5, v69
	global_load_dword v30, v[30:31], off
	s_waitcnt vmcnt(6)
	v_mfma_f32_16x16x16_f16 v[10:13], v[26:27], v[50:51], v[10:13]
	v_cndmask_b32_e32 v26, v75, v60, vcc
	v_ashrrev_i32_e32 v27, 31, v26
	v_lshl_add_u64 v[26:27], v[26:27], 2, s[6:7]
	global_load_dwordx4 v[60:63], v[64:65], off
	global_load_dword v56, v[26:27], off
	v_mfma_f32_16x16x16_f16 v[14:17], v[32:33], v[52:53], v[14:17]
	v_cmp_gt_i32_e32 vcc, s38, v88
	v_lshl_or_b32 v87, v85, 4, v84
	v_mov_b32_e32 v84, v85
	v_cndmask_b32_e32 v26, v75, v66, vcc
	v_ashrrev_i32_e32 v27, 31, v26
	s_waitcnt lgkmcnt(0)
	v_mfma_f32_16x16x16_f16 v[14:17], v[22:23], v[46:47], v[14:17]
	v_lshl_add_u64 v[22:23], v[26:27], 2, s[6:7]
	global_load_dword v57, v[22:23], off
	v_cmp_gt_i32_e32 vcc, s38, v89
	global_load_dwordx4 v[64:67], v[64:65], off offset:2048
	v_mfma_f32_16x16x16_f16 v[10:13], v[28:29], v[52:53], v[10:13]
	v_and_b32_e32 v85, 63, v0
	s_waitcnt vmcnt(9)
	v_mfma_f32_16x16x16_f16 v[10:13], v[18:19], v[46:47], v[10:13]
	v_cndmask_b32_e32 v18, v75, v68, vcc
	v_ashrrev_i32_e32 v19, 31, v18
	v_mfma_f32_16x16x16_f16 v[88:91], v[20:21], v[48:49], v[10:13]
	s_nop 3
	v_lshl_add_u64 v[10:11], v[6:7], 0, v[58:59]
	global_load_dwordx4 v[72:75], v[10:11], off
	v_mfma_f32_16x16x16_f16 v[68:71], v[24:25], v[48:49], v[14:17]
	v_and_b32_e32 v10, 16, v0
	v_lshlrev_b32_e32 v54, 1, v10
	s_nop 0
	v_lshl_add_u64 v[14:15], v[18:19], 2, s[6:7]
	global_load_dword v1, v[14:15], off
	v_mfma_f32_16x16x16_f16 v[6:9], v[8:9], v[4:5], v[80:83]
	s_waitcnt vmcnt(10)
	v_mfma_f32_16x16x16_f16 v[6:9], v[76:77], v[34:35], v[6:9]
	v_lshl_add_u64 v[76:77], s[4:5], 0, v[54:55]
	v_lshlrev_b32_e32 v54, 6, v87
	v_pk_mul_f32 v[82:83], s[8:9], v[90:91] op_sel_hi:[0,1]
	v_mfma_f32_16x16x16_f16 v[6:9], v[78:79], v[36:37], v[6:9]
	v_lshl_add_u64 v[78:79], v[76:77], 0, v[54:55]
	v_or_b32_e32 v54, 0x1000, v54
	s_waitcnt vmcnt(6)
	v_mad_i64_i32 v[10:11], s[4:5], v30, s9, 0
	v_mfma_f32_16x16x16_f16 v[6:9], v[38:39], v[50:51], v[6:9]
	v_lshlrev_b64 v[80:81], 1, v[10:11]
	v_lshl_add_u64 v[10:11], v[78:79], 0, v[80:81]
	global_load_dwordx4 v[30:33], v[10:11], off
	global_load_dwordx4 v[26:29], v[10:11], off offset:16
	v_mfma_f32_16x16x16_f16 v[6:9], v[40:41], v[52:53], v[6:9]
	s_waitcnt vmcnt(6)
	v_mad_i64_i32 v[10:11], s[4:5], v56, s9, 0
	v_mfma_f32_16x16x16_f16 v[6:9], v[42:43], v[46:47], v[6:9]
	v_lshlrev_b64 v[42:43], 1, v[10:11]
	v_mfma_f32_16x16x16_f16 v[38:41], v[44:45], v[48:49], v[6:9]
	s_nop 4
	v_lshl_add_u64 v[6:7], v[78:79], 0, v[42:43]
	global_load_dwordx4 v[22:25], v[6:7], off
	global_load_dwordx4 v[18:21], v[6:7], off offset:16
	v_mfma_f32_16x16x16_f16 v[6:9], v[60:61], v[2:3], 0
	s_waitcnt vmcnt(7)
	v_mad_i64_i32 v[2:3], s[4:5], v57, s9, 0
	v_lshlrev_b64 v[56:57], 1, v[2:3]
	v_mfma_f32_16x16x16_f16 v[2:5], v[62:63], v[4:5], v[6:9]
	v_pk_mul_f32 v[60:61], s[8:9], v[68:69] op_sel_hi:[0,1]
	v_lshl_add_u64 v[62:63], v[76:77], 0, v[54:55]
	v_lshl_add_u64 v[44:45], v[62:63], 0, v[80:81]
	s_waitcnt vmcnt(6)
	v_mfma_f32_16x16x16_f16 v[2:5], v[64:65], v[34:35], v[2:5]
	v_lshl_add_u64 v[6:7], v[78:79], 0, v[56:57]
	global_load_dwordx4 v[14:17], v[6:7], off
	global_load_dwordx4 v[10:13], v[6:7], off offset:16
	v_pk_mul_f32 v[80:81], s[8:9], v[70:71] op_sel_hi:[0,1]
	v_mfma_f32_16x16x16_f16 v[34:37], v[66:67], v[36:37], v[2:5]
	v_pk_mul_f32 v[70:71], s[8:9], v[88:89] op_sel_hi:[0,1]
	v_pk_mul_f32 v[76:77], s[8:9], v[40:41] op_sel_hi:[0,1]
	s_waitcnt vmcnt(6)
	v_mad_i64_i32 v[6:7], s[4:5], v1, s9, 0
	v_mfma_f32_16x16x16_f16 v[34:37], v[92:93], v[50:51], v[34:37]
	v_and_b32_e32 v1, 0xc0, v0
	v_add_u32_e32 v1, s18, v1
	v_lshl_or_b32 v1, v86, 2, v1
	v_mfma_f32_16x16x16_f16 v[34:37], v[94:95], v[52:53], v[34:37]
	v_cmp_gt_i32_e64 s[28:29], s38, v1
	v_lshlrev_b64 v[58:59], 1, v[6:7]
	v_lshl_add_u64 v[2:3], v[78:79], 0, v[58:59]
	v_mfma_f32_16x16x16_f16 v[34:37], v[72:73], v[46:47], v[34:37]
	v_pk_mul_f32 v[78:79], s[8:9], v[38:39] op_sel_hi:[0,1]
	v_lshl_add_u64 v[58:59], v[62:63], 0, v[58:59]
	global_load_dwordx4 v[6:9], v[2:3], off
	s_nop 0
	global_load_dwordx4 v[2:5], v[2:3], off offset:16
	v_mfma_f32_16x16x16_f16 v[34:37], v[74:75], v[48:49], v[34:37]
	global_load_dwordx4 v[46:49], v[44:45], off
	global_load_dwordx4 v[38:41], v[44:45], off offset:16
	s_nop 4
	v_pk_mul_f32 v[66:67], s[8:9], v[36:37] op_sel_hi:[0,1]
	v_or_b32_e32 v36, 1, v1
	v_pk_mul_f32 v[72:73], s[8:9], v[34:35] op_sel_hi:[0,1]
	v_mov_b32_e32 v34, 0xff7fffff
	v_cmp_gt_i32_e64 s[30:31], s38, v36
	v_cndmask_b32_e64 v35, v34, v60, s[28:29]
	v_or_b32_e32 v37, 3, v1
	v_cndmask_b32_e64 v36, v34, v61, s[30:31]
	v_max3_f32 v35, v35, s40, v36
	v_or_b32_e32 v36, 2, v1
	v_cmp_gt_i32_e64 s[34:35], s38, v36
	v_cmp_gt_i32_e64 s[36:37], s38, v37
	s_nop 0
	v_cndmask_b32_e64 v36, v34, v80, s[34:35]
	v_cndmask_b32_e64 v37, v34, v81, s[36:37]
	v_max3_f32 v35, v35, v36, v37
	v_or_b32_e32 v36, 16, v1
	v_or_b32_e32 v37, 17, v1
	v_cmp_gt_i32_e64 s[22:23], s38, v36
	v_cmp_gt_i32_e64 s[24:25], s38, v37
	s_nop 0
	v_cndmask_b32_e64 v36, v34, v70, s[22:23]
	v_cndmask_b32_e64 v37, v34, v71, s[24:25]
	v_max3_f32 v35, v35, v36, v37
	v_or_b32_e32 v36, 18, v1
	;; [unrolled: 8-line block ×6, first 2 shown]
	v_or_b32_e32 v1, 51, v1
	v_cmp_gt_i32_e32 vcc, s38, v36
	v_cmp_gt_i32_e64 s[4:5], s38, v1
	s_nop 0
	v_cndmask_b32_e32 v36, v34, v66, vcc
	v_cndmask_b32_e64 v1, v34, v67, s[4:5]
	v_mbcnt_lo_u32_b32 v34, -1, 0
	v_mbcnt_hi_u32_b32 v50, -1, v34
	v_and_b32_e32 v34, 64, v50
	v_add_u32_e32 v51, 64, v34
	v_xor_b32_e32 v34, 32, v50
	v_cmp_lt_i32_e64 s[38:39], v34, v51
	v_max3_f32 v1, v35, v36, v1
	s_nop 0
	v_cndmask_b32_e64 v34, v50, v34, s[38:39]
	v_lshlrev_b32_e32 v74, 2, v34
	ds_bpermute_b32 v52, v74, v1
	v_lshl_add_u64 v[34:35], v[62:63], 0, v[42:43]
	global_load_dwordx4 v[42:45], v[34:35], off
	s_nop 0
	global_load_dwordx4 v[34:37], v[34:35], off offset:16
	s_waitcnt lgkmcnt(0)
	v_max_f32_e32 v52, v52, v52
	v_max_f32_e32 v1, v1, v52
	v_xor_b32_e32 v52, 16, v50
	v_cmp_lt_i32_e64 s[38:39], v52, v51
	s_nop 1
	v_cndmask_b32_e64 v50, v50, v52, s[38:39]
	v_lshlrev_b32_e32 v75, 2, v50
	ds_bpermute_b32 v64, v75, v1
	v_lshl_add_u64 v[50:51], v[62:63], 0, v[56:57]
	global_load_dwordx4 v[54:57], v[50:51], off
	s_nop 0
	global_load_dwordx4 v[50:53], v[50:51], off offset:16
	s_waitcnt lgkmcnt(0)
	v_max_f32_e32 v62, v64, v64
	v_max_f32_e32 v88, v1, v62
	v_sub_f32_e32 v1, v60, v88
	v_sub_f32_e32 v60, v61, v88
	v_mul_f32_e32 v60, 0x3fb8aa3b, v60
	v_exp_f32_e32 v69, v60
	global_load_dwordx4 v[62:65], v[58:59], off
	s_nop 0
	global_load_dwordx4 v[58:61], v[58:59], off offset:16
	v_mul_f32_e32 v1, 0x3fb8aa3b, v1
	v_exp_f32_e32 v1, v1
	v_sub_f32_e32 v80, v80, v88
	v_mul_f32_e32 v80, 0x3fb8aa3b, v80
	v_sub_f32_e32 v81, v81, v88
	v_exp_f32_e32 v80, v80
	v_mul_f32_e32 v81, 0x3fb8aa3b, v81
	v_sub_f32_e32 v70, v70, v88
	v_exp_f32_e32 v81, v81
	v_mul_f32_e32 v70, 0x3fb8aa3b, v70
	v_sub_f32_e32 v71, v71, v88
	v_cndmask_b32_e64 v68, 0, v1, s[28:29]
	v_exp_f32_e32 v70, v70
	v_mul_f32_e32 v71, 0x3fb8aa3b, v71
	v_sub_f32_e32 v82, v82, v88
	v_add_f32_e32 v1, 0, v68
	v_cndmask_b32_e64 v69, 0, v69, s[30:31]
	v_exp_f32_e32 v71, v71
	v_mul_f32_e32 v82, 0x3fb8aa3b, v82
	v_sub_f32_e32 v83, v83, v88
	v_add_f32_e32 v1, v1, v69
	;; [unrolled: 5-line block ×10, first 2 shown]
	v_cndmask_b32_e64 v76, 0, v76, s[10:11]
	v_exp_f32_e32 v66, v66
	v_mul_f32_e32 v67, 0x3fb8aa3b, v67
	v_add_f32_e32 v1, v1, v76
	v_cndmask_b32_e64 v77, 0, v77, s[12:13]
	v_exp_f32_e32 v67, v67
	v_add_f32_e32 v1, v1, v77
	v_cndmask_b32_e64 v72, 0, v72, s[6:7]
	v_add_f32_e32 v1, v1, v72
	v_cndmask_b32_e64 v73, 0, v73, s[8:9]
	v_add_f32_e32 v1, v1, v73
	v_cndmask_b32_e32 v66, 0, v66, vcc
	v_add_f32_e32 v1, v1, v66
	v_cndmask_b32_e64 v67, 0, v67, s[4:5]
	v_add_f32_e32 v1, v1, v67
	ds_bpermute_b32 v74, v74, v1
	v_cmp_gt_u32_e32 vcc, 16, v85
	s_waitcnt lgkmcnt(0)
	s_barrier
	v_add_f32_e32 v89, v1, v74
	ds_bpermute_b32 v90, v75, v89
	s_and_saveexec_b64 s[4:5], vcc
	s_cbranch_execz .LBB381_15
; %bb.14:
	s_waitcnt lgkmcnt(0)
	v_add_f32_e32 v1, v89, v90
	v_lshlrev_b32_e32 v74, 2, v87
	ds_write2st64_b32 v74, v88, v1 offset1:1
.LBB381_15:
	s_or_b64 exec, exec, s[4:5]
	v_and_b32_e32 v86, 15, v0
	v_lshlrev_b32_e32 v1, 2, v86
	s_load_dword s6, s[0:1], 0x94
	s_waitcnt lgkmcnt(0)
	s_barrier
	ds_read2_b32 v[74:75], v1 offset1:16
	ds_read2_b32 v[88:89], v1 offset0:32 offset1:48
	ds_read2_b32 v[90:91], v1 offset0:64 offset1:80
	s_lshl_b32 s7, s33, 1
	s_waitcnt lgkmcnt(2)
	v_max3_f32 v87, v74, s40, v75
	s_waitcnt lgkmcnt(1)
	v_max3_f32 v87, v87, v88, v89
	v_sub_f32_e32 v74, v74, v87
	v_mul_f32_e32 v74, 0x3fb8aa3b, v74
	v_exp_f32_e32 v92, v74
	v_sub_f32_e32 v74, v75, v87
	v_mul_f32_e32 v74, 0x3fb8aa3b, v74
	v_exp_f32_e32 v93, v74
	;; [unrolled: 3-line block ×3, first 2 shown]
	ds_read2_b32 v[74:75], v1 offset0:96 offset1:112
	v_sub_f32_e32 v1, v89, v87
	v_mul_f32_e32 v1, 0x3fb8aa3b, v1
	v_exp_f32_e32 v1, v1
	s_waitcnt lgkmcnt(1)
	v_fma_f32 v88, v92, v90, 0
	v_fmac_f32_e32 v88, v93, v91
	s_waitcnt lgkmcnt(0)
	v_fmac_f32_e32 v88, v94, v74
	v_fmac_f32_e32 v88, v1, v75
	v_add_f32_e32 v74, 0x358637bd, v88
	v_div_scale_f32 v75, s[4:5], v74, v74, 1.0
	v_rcp_f32_e32 v89, v75
	s_barrier
	v_fma_f32 v90, -v75, v89, 1.0
	v_fmac_f32_e32 v89, v90, v89
	v_div_scale_f32 v90, vcc, 1.0, v74, 1.0
	v_mul_f32_e32 v91, v90, v89
	v_fma_f32 v95, -v75, v91, v90
	v_fmac_f32_e32 v91, v95, v89
	v_fma_f32 v75, -v75, v91, v90
	v_div_fmas_f32 v75, v75, v89, v91
	v_cmp_eq_u32_e32 vcc, 1, v84
	v_div_fixup_f32 v74, v75, v74, 1.0
	v_bfe_u32 v89, v0, 4, 2
	v_cndmask_b32_e32 v75, v92, v93, vcc
	v_cmp_eq_u32_e32 vcc, 2, v84
	s_nop 1
	v_cndmask_b32_e32 v75, v75, v94, vcc
	v_cmp_eq_u32_e32 vcc, 3, v84
	s_nop 1
	v_cndmask_b32_e32 v1, v75, v1, vcc
	v_mul_f32_e32 v74, v1, v74
	v_pk_mul_f32 v[80:81], v[74:75], v[80:81] op_sel_hi:[0,1]
	v_pk_mul_f32 v[68:69], v[74:75], v[68:69] op_sel_hi:[0,1]
	v_cvt_f16_f32_e32 v75, v81
	v_cvt_f16_f32_e32 v1, v68
	;; [unrolled: 1-line block ×4, first 2 shown]
	v_pk_mul_f32 v[80:81], v[74:75], v[82:83] op_sel_hi:[0,1]
	v_pk_mul_f32 v[70:71], v[74:75], v[70:71] op_sel_hi:[0,1]
	v_pack_b32_f16 v90, v1, v68
	v_pack_b32_f16 v91, v69, v75
	v_cvt_f16_f32_e32 v69, v70
	v_cvt_f16_f32_e32 v70, v71
	;; [unrolled: 1-line block ×4, first 2 shown]
	v_lshlrev_b32_e32 v1, 3, v89
	v_lshlrev_b32_e32 v68, 5, v86
	;; [unrolled: 1-line block ×3, first 2 shown]
	v_or3_b32 v80, v80, v68, v1
	v_pack_b32_f16 v70, v69, v70
	v_pack_b32_f16 v71, v71, v75
	ds_write2st64_b64 v80, v[90:91], v[70:71] offset1:1
	v_pk_mul_f32 v[70:71], v[74:75], v[76:77] op_sel_hi:[0,1]
	v_pk_mul_f32 v[76:77], v[74:75], v[78:79] op_sel_hi:[0,1]
	v_cvt_f16_f32_e32 v75, v70
	v_cvt_f16_f32_e32 v1, v76
	;; [unrolled: 1-line block ×4, first 2 shown]
	v_pk_mul_f32 v[66:67], v[74:75], v[66:67] op_sel_hi:[0,1]
	v_pk_mul_f32 v[70:71], v[74:75], v[72:73] op_sel_hi:[0,1]
	v_cvt_f16_f32_e32 v70, v70
	v_cvt_f16_f32_e32 v71, v71
	;; [unrolled: 1-line block ×4, first 2 shown]
	v_pack_b32_f16 v66, v1, v69
	v_pack_b32_f16 v67, v75, v76
	;; [unrolled: 1-line block ×4, first 2 shown]
	v_cmp_gt_u32_e32 vcc, 2, v0
	ds_write2st64_b64 v80, v[66:67], v[70:71] offset0:2 offset1:3
	s_and_saveexec_b64 s[4:5], vcc
	s_cbranch_execz .LBB381_17
; %bb.16:
	v_or_b32_e32 v66, s27, v0
	v_mov_b32_e32 v67, 0
	v_mov_b32_e32 v1, s7
	v_mad_u64_u32 v[70:71], s[12:13], s2, v1, v[66:67]
	v_mov_b32_e32 v66, s26
	s_load_dwordx4 s[8:11], s[0:1], 0x58
	s_mul_i32 s3, s3, s7
	v_mad_u64_u32 v[66:67], s[12:13], v70, s6, v[66:67]
	v_add_u32_e32 v1, s3, v71
	v_mov_b32_e32 v70, v67
	v_mad_u64_u32 v[70:71], s[12:13], v1, s6, v[70:71]
	v_mov_b32_e32 v67, v70
	v_lshlrev_b64 v[66:67], 2, v[66:67]
	s_waitcnt lgkmcnt(0)
	v_lshl_add_u64 v[70:71], s[10:11], 0, v[66:67]
	v_lshl_add_u64 v[66:67], s[8:9], 0, v[66:67]
	global_store_dword v[70:71], v87, off
	global_store_dword v[66:67], v88, off
.LBB381_17:
	s_or_b64 exec, exec, s[4:5]
	v_lshl_or_b32 v1, v89, 9, v68
	s_waitcnt lgkmcnt(0)
	s_barrier
	ds_read_b128 v[70:73], v1
	ds_read_b128 v[66:69], v1 offset:16
	s_waitcnt vmcnt(15) lgkmcnt(1)
	v_mfma_f32_16x16x16_f16 v[74:77], v[30:31], v[70:71], 0
	v_cmp_gt_u32_e32 vcc, 64, v0
	v_cmp_gt_u32_e64 s[4:5], 32, v85
	s_mov_b32 s3, 0
	v_mfma_f32_16x16x16_f16 v[30:33], v[32:33], v[72:73], v[74:77]
	s_and_b64 s[4:5], vcc, s[4:5]
	s_waitcnt vmcnt(14) lgkmcnt(0)
	v_mfma_f32_16x16x16_f16 v[30:33], v[26:27], v[66:67], v[30:33]
	v_mfma_f32_16x16x16_f16 v[26:29], v[28:29], v[68:69], v[30:33]
	s_nop 5
	ds_read_b128 v[30:33], v1 offset:2048
	ds_read_b128 v[74:77], v1 offset:2064
	s_waitcnt vmcnt(13) lgkmcnt(1)
	v_mfma_f32_16x16x16_f16 v[26:29], v[22:23], v[30:31], v[26:29]
	v_mfma_f32_16x16x16_f16 v[22:25], v[24:25], v[32:33], v[26:29]
	s_waitcnt vmcnt(12) lgkmcnt(0)
	v_mfma_f32_16x16x16_f16 v[22:25], v[18:19], v[74:75], v[22:25]
	v_mfma_f32_16x16x16_f16 v[18:21], v[20:21], v[76:77], v[22:25]
	s_nop 5
	ds_read_b128 v[22:25], v1 offset:4096
	ds_read_b128 v[26:29], v1 offset:4112
	s_waitcnt vmcnt(11) lgkmcnt(1)
	v_mfma_f32_16x16x16_f16 v[18:21], v[14:15], v[22:23], v[18:21]
	v_mfma_f32_16x16x16_f16 v[14:17], v[16:17], v[24:25], v[18:21]
	s_waitcnt vmcnt(10) lgkmcnt(0)
	v_mfma_f32_16x16x16_f16 v[14:17], v[10:11], v[26:27], v[14:17]
	v_mfma_f32_16x16x16_f16 v[10:13], v[12:13], v[28:29], v[14:17]
	s_nop 5
	ds_read_b128 v[14:17], v1 offset:6144
	ds_read_b128 v[18:21], v1 offset:6160
	s_waitcnt lgkmcnt(0)
	s_barrier
	s_waitcnt vmcnt(9)
	v_mfma_f32_16x16x16_f16 v[10:13], v[6:7], v[14:15], v[10:13]
	v_mfma_f32_16x16x16_f16 v[6:9], v[8:9], v[16:17], v[10:13]
	s_waitcnt vmcnt(8)
	v_mfma_f32_16x16x16_f16 v[6:9], v[2:3], v[18:19], v[6:9]
	v_mfma_f32_16x16x16_f16 v[2:5], v[4:5], v[20:21], v[6:9]
	s_waitcnt vmcnt(7)
	v_mfma_f32_16x16x16_f16 v[6:9], v[46:47], v[70:71], 0
	v_mfma_f32_16x16x16_f16 v[6:9], v[48:49], v[72:73], v[6:9]
	s_nop 3
	v_cvt_f16_f32_e32 v1, v2
	v_cvt_f16_f32_e32 v10, v3
	;; [unrolled: 1-line block ×3, first 2 shown]
	s_waitcnt vmcnt(6)
	v_mfma_f32_16x16x16_f16 v[6:9], v[38:39], v[66:67], v[6:9]
	v_cvt_f16_f32_e32 v12, v5
	v_mfma_f32_16x16x16_f16 v[6:9], v[40:41], v[68:69], v[6:9]
	s_waitcnt vmcnt(5)
	v_mfma_f32_16x16x16_f16 v[6:9], v[42:43], v[30:31], v[6:9]
	v_mfma_f32_16x16x16_f16 v[6:9], v[44:45], v[32:33], v[6:9]
	s_waitcnt vmcnt(4)
	v_mfma_f32_16x16x16_f16 v[6:9], v[34:35], v[74:75], v[6:9]
	;; [unrolled: 3-line block ×6, first 2 shown]
	v_mfma_f32_16x16x16_f16 v[2:5], v[60:61], v[20:21], v[6:9]
	s_nop 6
	v_cvt_f16_f32_e32 v6, v2
	v_cvt_f16_f32_e32 v7, v3
	;; [unrolled: 1-line block ×4, first 2 shown]
	v_pack_b32_f16 v2, v1, v10
	v_pack_b32_f16 v3, v11, v12
	;; [unrolled: 1-line block ×4, first 2 shown]
	ds_write2st64_b64 v80, v[2:3], v[4:5] offset1:1
	s_waitcnt lgkmcnt(0)
	s_barrier
	s_and_saveexec_b64 s[8:9], s[4:5]
	s_cbranch_execz .LBB381_19
; %bb.18:
	scratch_load_dwordx2 v[6:7], off, off   ; 8-byte Folded Reload
	s_load_dwordx2 s[0:1], s[0:1], 0x68
	s_mul_i32 s2, s7, s2
	s_lshl_b32 s6, s6, 7
	v_lshlrev_b32_e32 v3, 6, v86
	s_mul_hi_u32 s5, s2, s6
	s_mul_i32 s4, s2, s6
	v_lshlrev_b32_e32 v2, 4, v0
	v_lshl_or_b32 v0, v0, 10, v3
	s_lshl_b64 s[4:5], s[4:5], 1
	v_lshlrev_b32_e32 v1, 5, v89
	v_and_b32_e32 v2, 16, v2
	v_and_b32_e32 v0, 0x1a00, v0
	s_waitcnt lgkmcnt(0)
	s_add_u32 s4, s0, s4
	v_or3_b32 v0, v0, v1, v2
	s_addc_u32 s5, s1, s5
	s_lshl_b32 s2, s26, 7
	ds_read_b128 v[2:5], v0
	s_lshl_b64 s[0:1], s[2:3], 1
	s_add_u32 s0, s4, s0
	v_or_b32_e32 v0, s27, v89
	s_addc_u32 s1, s5, s1
	v_mad_u64_u32 v[0:1], s[2:3], s6, v0, 0
	v_lshl_add_u64 v[0:1], v[0:1], 1, s[0:1]
	s_waitcnt vmcnt(0)
	v_lshl_add_u64 v[0:1], v[6:7], 1, v[0:1]
	s_waitcnt lgkmcnt(0)
	global_store_dwordx4 v[0:1], v[2:5], off
.LBB381_19:
	s_endpgm
	.section	.rodata,"a",@progbits
	.p2align	6, 0x0
	.amdhsa_kernel _Z39paged_attention_ll4mi_QKV_mfma16_kernelIDF16_DF16_LN4vllm18Fp8KVCacheDataTypeE0EDF16_Li32ELi128ELi256ELb0ELi2EEvPKT_PKT0_S7_ifPKiS9_S9_iPKfiiiPfSC_PS2_PT2_iSB_SB_
		.amdhsa_group_segment_fixed_size 8192
		.amdhsa_private_segment_fixed_size 12
		.amdhsa_kernarg_size 400
		.amdhsa_user_sgpr_count 2
		.amdhsa_user_sgpr_dispatch_ptr 0
		.amdhsa_user_sgpr_queue_ptr 0
		.amdhsa_user_sgpr_kernarg_segment_ptr 1
		.amdhsa_user_sgpr_dispatch_id 0
		.amdhsa_user_sgpr_kernarg_preload_length 0
		.amdhsa_user_sgpr_kernarg_preload_offset 0
		.amdhsa_user_sgpr_private_segment_size 0
		.amdhsa_uses_dynamic_stack 0
		.amdhsa_enable_private_segment 1
		.amdhsa_system_sgpr_workgroup_id_x 1
		.amdhsa_system_sgpr_workgroup_id_y 1
		.amdhsa_system_sgpr_workgroup_id_z 1
		.amdhsa_system_sgpr_workgroup_info 0
		.amdhsa_system_vgpr_workitem_id 0
		.amdhsa_next_free_vgpr 96
		.amdhsa_next_free_sgpr 41
		.amdhsa_accum_offset 96
		.amdhsa_reserve_vcc 1
		.amdhsa_float_round_mode_32 0
		.amdhsa_float_round_mode_16_64 0
		.amdhsa_float_denorm_mode_32 3
		.amdhsa_float_denorm_mode_16_64 3
		.amdhsa_dx10_clamp 1
		.amdhsa_ieee_mode 1
		.amdhsa_fp16_overflow 0
		.amdhsa_tg_split 0
		.amdhsa_exception_fp_ieee_invalid_op 0
		.amdhsa_exception_fp_denorm_src 0
		.amdhsa_exception_fp_ieee_div_zero 0
		.amdhsa_exception_fp_ieee_overflow 0
		.amdhsa_exception_fp_ieee_underflow 0
		.amdhsa_exception_fp_ieee_inexact 0
		.amdhsa_exception_int_div_zero 0
	.end_amdhsa_kernel
	.section	.text._Z39paged_attention_ll4mi_QKV_mfma16_kernelIDF16_DF16_LN4vllm18Fp8KVCacheDataTypeE0EDF16_Li32ELi128ELi256ELb0ELi2EEvPKT_PKT0_S7_ifPKiS9_S9_iPKfiiiPfSC_PS2_PT2_iSB_SB_,"axG",@progbits,_Z39paged_attention_ll4mi_QKV_mfma16_kernelIDF16_DF16_LN4vllm18Fp8KVCacheDataTypeE0EDF16_Li32ELi128ELi256ELb0ELi2EEvPKT_PKT0_S7_ifPKiS9_S9_iPKfiiiPfSC_PS2_PT2_iSB_SB_,comdat
.Lfunc_end381:
	.size	_Z39paged_attention_ll4mi_QKV_mfma16_kernelIDF16_DF16_LN4vllm18Fp8KVCacheDataTypeE0EDF16_Li32ELi128ELi256ELb0ELi2EEvPKT_PKT0_S7_ifPKiS9_S9_iPKfiiiPfSC_PS2_PT2_iSB_SB_, .Lfunc_end381-_Z39paged_attention_ll4mi_QKV_mfma16_kernelIDF16_DF16_LN4vllm18Fp8KVCacheDataTypeE0EDF16_Li32ELi128ELi256ELb0ELi2EEvPKT_PKT0_S7_ifPKiS9_S9_iPKfiiiPfSC_PS2_PT2_iSB_SB_
                                        ; -- End function
	.section	.AMDGPU.csdata,"",@progbits
; Kernel info:
; codeLenInByte = 4512
; NumSgprs: 47
; NumVgprs: 96
; NumAgprs: 0
; TotalNumVgprs: 96
; ScratchSize: 12
; MemoryBound: 0
; FloatMode: 240
; IeeeMode: 1
; LDSByteSize: 8192 bytes/workgroup (compile time only)
; SGPRBlocks: 5
; VGPRBlocks: 11
; NumSGPRsForWavesPerEU: 47
; NumVGPRsForWavesPerEU: 96
; AccumOffset: 96
; Occupancy: 5
; WaveLimiterHint : 1
; COMPUTE_PGM_RSRC2:SCRATCH_EN: 1
; COMPUTE_PGM_RSRC2:USER_SGPR: 2
; COMPUTE_PGM_RSRC2:TRAP_HANDLER: 0
; COMPUTE_PGM_RSRC2:TGID_X_EN: 1
; COMPUTE_PGM_RSRC2:TGID_Y_EN: 1
; COMPUTE_PGM_RSRC2:TGID_Z_EN: 1
; COMPUTE_PGM_RSRC2:TIDIG_COMP_CNT: 0
; COMPUTE_PGM_RSRC3_GFX90A:ACCUM_OFFSET: 23
; COMPUTE_PGM_RSRC3_GFX90A:TG_SPLIT: 0
	.section	.text._Z39paged_attention_ll4mi_QKV_mfma16_kernelIDF16_DF16_LN4vllm18Fp8KVCacheDataTypeE0EDF16_Li32ELi128ELi256ELb0ELi3EEvPKT_PKT0_S7_ifPKiS9_S9_iPKfiiiPfSC_PS2_PT2_iSB_SB_,"axG",@progbits,_Z39paged_attention_ll4mi_QKV_mfma16_kernelIDF16_DF16_LN4vllm18Fp8KVCacheDataTypeE0EDF16_Li32ELi128ELi256ELb0ELi3EEvPKT_PKT0_S7_ifPKiS9_S9_iPKfiiiPfSC_PS2_PT2_iSB_SB_,comdat
	.protected	_Z39paged_attention_ll4mi_QKV_mfma16_kernelIDF16_DF16_LN4vllm18Fp8KVCacheDataTypeE0EDF16_Li32ELi128ELi256ELb0ELi3EEvPKT_PKT0_S7_ifPKiS9_S9_iPKfiiiPfSC_PS2_PT2_iSB_SB_ ; -- Begin function _Z39paged_attention_ll4mi_QKV_mfma16_kernelIDF16_DF16_LN4vllm18Fp8KVCacheDataTypeE0EDF16_Li32ELi128ELi256ELb0ELi3EEvPKT_PKT0_S7_ifPKiS9_S9_iPKfiiiPfSC_PS2_PT2_iSB_SB_
	.globl	_Z39paged_attention_ll4mi_QKV_mfma16_kernelIDF16_DF16_LN4vllm18Fp8KVCacheDataTypeE0EDF16_Li32ELi128ELi256ELb0ELi3EEvPKT_PKT0_S7_ifPKiS9_S9_iPKfiiiPfSC_PS2_PT2_iSB_SB_
	.p2align	8
	.type	_Z39paged_attention_ll4mi_QKV_mfma16_kernelIDF16_DF16_LN4vllm18Fp8KVCacheDataTypeE0EDF16_Li32ELi128ELi256ELb0ELi3EEvPKT_PKT0_S7_ifPKiS9_S9_iPKfiiiPfSC_PS2_PT2_iSB_SB_,@function
_Z39paged_attention_ll4mi_QKV_mfma16_kernelIDF16_DF16_LN4vllm18Fp8KVCacheDataTypeE0EDF16_Li32ELi128ELi256ELb0ELi3EEvPKT_PKT0_S7_ifPKiS9_S9_iPKfiiiPfSC_PS2_PT2_iSB_SB_: ; @_Z39paged_attention_ll4mi_QKV_mfma16_kernelIDF16_DF16_LN4vllm18Fp8KVCacheDataTypeE0EDF16_Li32ELi128ELi256ELb0ELi3EEvPKT_PKT0_S7_ifPKiS9_S9_iPKfiiiPfSC_PS2_PT2_iSB_SB_
; %bb.0:
	s_load_dwordx2 s[8:9], s[0:1], 0x30
	s_mov_b32 s26, s3
	s_mov_b64 s[6:7], 0
	s_waitcnt lgkmcnt(0)
	s_cmp_lg_u64 s[8:9], 0
	s_cselect_b64 s[10:11], -1, 0
	s_and_b64 vcc, exec, s[10:11]
	s_cbranch_vccz .LBB382_7
; %bb.1:
	s_add_i32 s12, s2, 1
	s_mov_b32 s13, 0
	s_lshl_b64 s[14:15], s[12:13], 2
	s_add_u32 s14, s8, s14
	s_mov_b32 s3, s13
	s_addc_u32 s15, s9, s15
	s_lshl_b64 s[12:13], s[2:3], 2
	s_add_u32 s12, s8, s12
	s_addc_u32 s13, s9, s13
	s_load_dword s5, s[14:15], 0x0
	s_load_dword s16, s[12:13], 0x0
	s_waitcnt lgkmcnt(0)
	s_sub_i32 s5, s5, s16
	s_cmp_eq_u32 s5, 1
	s_cselect_b64 s[12:13], -1, 0
	s_andn2_b64 vcc, exec, s[6:7]
	s_cbranch_vccnz .LBB382_3
.LBB382_2:
	s_mov_b32 s3, 0
	s_mov_b64 s[12:13], -1
.LBB382_3:
	s_andn2_b64 vcc, exec, s[12:13]
	s_cbranch_vccnz .LBB382_19
; %bb.4:
	s_load_dwordx2 s[6:7], s[0:1], 0x28
	s_lshl_b64 s[12:13], s[2:3], 2
	s_waitcnt lgkmcnt(0)
	s_add_u32 s6, s6, s12
	s_addc_u32 s7, s7, s13
	s_load_dword s33, s[6:7], 0x0
	s_lshl_b32 s18, s26, 8
	s_waitcnt lgkmcnt(0)
	s_cmp_ge_i32 s18, s33
	s_cbranch_scc1 .LBB382_19
; %bb.5:
	s_load_dwordx2 s[6:7], s[0:1], 0x20
	s_load_dword s5, s[0:1], 0x38
	s_add_i32 s14, s33, 31
	s_ashr_i32 s15, s14, 31
	v_and_b32_e32 v1, 0xcf, v0
	s_lshr_b32 s15, s15, 27
	v_add_u32_e32 v1, s18, v1
	s_add_i32 s14, s14, s15
	v_ashrrev_i32_e32 v2, 31, v1
	s_ashr_i32 s19, s14, 5
	v_lshrrev_b32_e32 v4, 27, v2
	s_add_i32 s19, s19, -1
	s_waitcnt lgkmcnt(0)
	s_mul_i32 s14, s2, s5
	s_mov_b32 s15, 0
	v_add_u32_e32 v2, v1, v4
	s_lshl_b64 s[14:15], s[14:15], 2
	v_ashrrev_i32_e32 v2, 5, v2
	v_mov_b32_e32 v5, s19
	v_cmp_gt_i32_e32 vcc, s33, v1
	s_add_u32 s6, s6, s14
	s_addc_u32 s7, s7, s15
	v_cndmask_b32_e32 v2, v5, v2, vcc
	v_ashrrev_i32_e32 v3, 31, v2
	v_lshl_add_u64 v[6:7], v[2:3], 2, s[6:7]
	v_or_b32_e32 v2, 16, v1
	v_add_u32_e32 v3, v2, v4
	v_ashrrev_i32_e32 v3, 5, v3
	v_cmp_gt_i32_e32 vcc, s33, v2
	s_nop 1
	v_cndmask_b32_e32 v2, v5, v3, vcc
	v_ashrrev_i32_e32 v3, 31, v2
	v_lshl_add_u64 v[8:9], v[2:3], 2, s[6:7]
	v_or_b32_e32 v2, 32, v1
	v_add_u32_e32 v3, v2, v4
	v_ashrrev_i32_e32 v3, 5, v3
	v_cmp_gt_i32_e32 vcc, s33, v2
	v_or_b32_e32 v1, 48, v1
	s_nop 0
	v_cndmask_b32_e32 v2, v5, v3, vcc
	v_ashrrev_i32_e32 v3, 31, v2
	v_lshl_add_u64 v[10:11], v[2:3], 2, s[6:7]
	v_add_u32_e32 v2, v1, v4
	v_ashrrev_i32_e32 v2, 5, v2
	v_cmp_gt_i32_e32 vcc, s33, v1
	s_nop 1
	v_cndmask_b32_e32 v2, v5, v2, vcc
	v_ashrrev_i32_e32 v3, 31, v2
	v_lshl_add_u64 v[12:13], v[2:3], 2, s[6:7]
	global_load_dword v2, v[6:7], off
	global_load_dword v5, v[8:9], off
	;; [unrolled: 1-line block ×4, first 2 shown]
	s_andn2_b64 vcc, exec, s[10:11]
	s_cbranch_vccnz .LBB382_8
; %bb.6:
	s_add_u32 s8, s8, s12
	s_addc_u32 s9, s9, s13
	s_load_dword s5, s[8:9], 0x0
	s_branch .LBB382_9
.LBB382_7:
	s_mov_b64 s[12:13], 0
	s_branch .LBB382_2
.LBB382_8:
	s_mov_b32 s5, s2
.LBB382_9:
	s_load_dwordx4 s[12:15], s[0:1], 0x8
	s_load_dwordx4 s[8:11], s[0:1], 0x48
	v_lshrrev_b32_e32 v77, 6, v0
	v_bfe_u32 v1, v0, 4, 2
	v_lshl_or_b32 v3, v77, 2, v1
	v_and_b32_e32 v76, 15, v0
	s_mul_i32 s40, s4, 3
	v_lshlrev_b32_e32 v74, 3, v76
	v_cmp_lt_u32_e32 vcc, 2, v3
	s_and_saveexec_b64 s[16:17], vcc
	s_xor_b64 s[16:17], exec, s[16:17]
; %bb.10:
	v_mov_b32_e32 v75, 0
                                        ; implicit-def: $vgpr3
; %bb.11:
	s_or_saveexec_b64 s[16:17], s[16:17]
	v_and_b32_e32 v87, 63, v0
	v_add_u32_e32 v6, s40, v1
	scratch_store_dword off, v6, off        ; 4-byte Folded Spill
	s_xor_b64 exec, exec, s[16:17]
	s_cbranch_execz .LBB382_13
; %bb.12:
	scratch_load_dword v6, off, off         ; 4-byte Folded Reload
	s_load_dwordx2 s[20:21], s[0:1], 0x0
	s_waitcnt lgkmcnt(0)
	s_ashr_i32 s11, s8, 31
	s_mul_hi_u32 s22, s5, s8
	s_mul_i32 s11, s5, s11
	s_add_i32 s23, s22, s11
	s_mul_i32 s22, s5, s8
	s_lshl_b64 s[22:23], s[22:23], 1
	s_add_u32 s20, s20, s22
	s_addc_u32 s21, s21, s23
	v_mov_b32_e32 v75, 0
	v_lshlrev_b32_e32 v8, 1, v74
	v_mov_b32_e32 v9, v75
	v_and_b32_e32 v10, 3, v0
	v_lshlrev_b32_e32 v11, 9, v76
	v_lshlrev_b32_e32 v3, 5, v3
	v_lshlrev_b32_e32 v10, 9, v10
	v_and_b32_e32 v11, 0x1800, v11
	v_or3_b32 v3, v11, v10, v3
	s_waitcnt vmcnt(0)
	v_lshlrev_b32_e32 v6, 7, v6
	v_ashrrev_i32_e32 v7, 31, v6
	v_lshl_add_u64 v[6:7], v[6:7], 1, s[20:21]
	v_lshl_add_u64 v[6:7], v[6:7], 0, v[8:9]
	global_load_dwordx4 v[6:9], v[6:7], off
	s_waitcnt vmcnt(0)
	ds_write_b128 v3, v[6:9]
.LBB382_13:
	s_or_b64 exec, exec, s[16:17]
	s_waitcnt lgkmcnt(0)
	s_mul_i32 s4, s4, s10
	s_mov_b32 s5, 0
	s_lshl_b64 s[4:5], s[4:5], 1
	s_add_u32 s10, s12, s4
	s_addc_u32 s11, s13, s5
	s_waitcnt vmcnt(4)
	v_mad_i64_i32 v[2:3], s[12:13], v2, s9, 0
	v_lshl_add_u64 v[6:7], v[2:3], 1, s[10:11]
	v_lshlrev_b64 v[2:3], 1, v[74:75]
	v_lshlrev_b32_e32 v46, 9, v1
	v_lshl_add_u64 v[6:7], v[6:7], 0, v[2:3]
	v_mov_b32_e32 v47, 0
	v_lshl_add_u64 v[8:9], v[6:7], 0, v[46:47]
	s_load_dword s27, s[0:1], 0x98
	s_load_dword s8, s[0:1], 0x1c
	s_waitcnt lgkmcnt(0)
	s_barrier
	global_load_dwordx4 v[38:41], v[8:9], off
	s_waitcnt vmcnt(4)
	v_mad_i64_i32 v[10:11], s[12:13], v5, s9, 0
	v_mov_b32_e32 v5, 0x100
	v_lshl_add_u64 v[10:11], v[10:11], 1, s[10:11]
	v_lshl_or_b32 v50, v76, 4, v5
	v_mov_b32_e32 v51, v47
	v_lshl_add_u64 v[22:23], v[10:11], 0, v[50:51]
	v_lshl_add_u64 v[10:11], v[22:23], 0, v[46:47]
	global_load_dwordx4 v[42:45], v[10:11], off
	global_load_dwordx4 v[18:21], v[8:9], off offset:2048
	global_load_dwordx4 v[26:29], v[10:11], off offset:2048
	v_or_b32_e32 v52, 0x1000, v46
	v_mov_b32_e32 v53, v47
	v_or_b32_e32 v48, 0x1800, v46
	v_mov_b32_e32 v49, v47
	v_lshl_add_u64 v[8:9], v[6:7], 0, v[52:53]
	v_lshl_add_u64 v[6:7], v[6:7], 0, v[48:49]
	global_load_dwordx4 v[14:17], v[8:9], off
	global_load_dwordx4 v[10:13], v[6:7], off
	v_lshl_add_u64 v[8:9], v[22:23], 0, v[52:53]
	global_load_dwordx4 v[30:33], v[8:9], off
	s_waitcnt vmcnt(9)
	v_mad_i64_i32 v[4:5], s[12:13], v4, s9, 0
	v_lshl_add_u64 v[4:5], v[4:5], 1, s[10:11]
	v_lshl_add_u64 v[56:57], v[4:5], 0, v[2:3]
	v_mul_lo_u16_e32 v2, 0x56, v76
	v_mov_b32_e32 v3, 3
	v_mul_lo_u16_sdwa v2, v2, v3 dst_sel:DWORD dst_unused:UNUSED_PAD src0_sel:BYTE_1 src1_sel:DWORD
	v_sub_u16_e32 v2, v76, v2
	v_and_b32_e32 v2, 0xff, v2
	v_lshl_add_u64 v[6:7], v[22:23], 0, v[48:49]
	global_load_dwordx4 v[22:25], v[6:7], off
	v_lshl_add_u64 v[54:55], v[56:57], 0, v[46:47]
	v_lshl_add_u32 v59, v2, 5, v46
	global_load_dwordx4 v[34:37], v[54:55], off
	ds_read_b128 v[6:9], v59
	ds_read_b128 v[2:5], v59 offset:2048
	v_and_or_b32 v70, v0, 48, s18
	v_or_b32_e32 v71, 64, v70
	v_mov_b32_e32 v78, s19
	v_cmp_gt_i32_e32 vcc, s33, v70
	v_or_b32_e32 v79, 0x80, v70
	v_or_b32_e32 v80, 0xc0, v70
	s_mov_b32 s41, 0xff7fffff
	s_waitcnt vmcnt(7) lgkmcnt(1)
	v_mfma_f32_16x16x16_f16 v[64:67], v[42:43], v[6:7], 0
	v_mfma_f32_16x16x16_f16 v[60:63], v[38:39], v[6:7], 0
	v_mad_i64_i32 v[38:39], s[12:13], v58, s9, 0
	v_lshl_add_u64 v[68:69], v[38:39], 1, s[10:11]
	v_mfma_f32_16x16x16_f16 v[60:63], v[40:41], v[8:9], v[60:63]
	v_lshl_add_u64 v[72:73], v[68:69], 0, v[50:51]
	v_lshl_add_u64 v[50:51], v[56:57], 0, v[52:53]
	s_ashr_i32 s12, s18, 31
	v_mfma_f32_16x16x16_f16 v[64:67], v[44:45], v[8:9], v[64:67]
	ds_read_b128 v[42:45], v59 offset:4096
	ds_read_b128 v[38:41], v59 offset:6144
	v_lshl_add_u64 v[82:83], v[72:73], 0, v[52:53]
	global_load_dwordx4 v[50:53], v[50:51], off
	s_waitcnt vmcnt(7) lgkmcnt(2)
	v_mfma_f32_16x16x16_f16 v[58:61], v[18:19], v[2:3], v[60:63]
	s_lshr_b32 s10, s12, 27
	v_add_u32_e32 v81, s10, v70
	v_add_u32_e32 v84, s10, v71
	s_waitcnt vmcnt(6)
	v_mfma_f32_16x16x16_f16 v[62:65], v[26:27], v[2:3], v[64:67]
	v_lshl_add_u64 v[68:69], v[72:73], 0, v[46:47]
	v_ashrrev_i32_e32 v46, 5, v81
	v_add_u32_e32 v85, s10, v79
	v_lshl_add_u64 v[66:67], v[56:57], 0, v[48:49]
	global_load_dwordx4 v[54:57], v[54:55], off offset:2048
	v_mfma_f32_16x16x16_f16 v[18:21], v[20:21], v[4:5], v[58:61]
	v_add_u32_e32 v88, s10, v80
	s_add_u32 s4, s14, s4
	s_addc_u32 s5, s15, s5
	v_mfma_f32_16x16x16_f16 v[26:29], v[28:29], v[4:5], v[62:65]
	v_ashrrev_i32_e32 v58, 5, v84
	s_waitcnt vmcnt(6) lgkmcnt(1)
	v_mfma_f32_16x16x16_f16 v[18:21], v[14:15], v[42:43], v[18:21]
	v_cndmask_b32_e32 v14, v78, v46, vcc
	v_cmp_gt_i32_e32 vcc, s33, v71
	v_ashrrev_i32_e32 v15, 31, v14
	s_waitcnt vmcnt(4)
	v_mfma_f32_16x16x16_f16 v[26:29], v[30:31], v[42:43], v[26:29]
	v_cndmask_b32_e32 v30, v78, v58, vcc
	v_ashrrev_i32_e32 v31, 31, v30
	v_lshl_add_u64 v[14:15], v[14:15], 2, s[6:7]
	v_lshl_add_u64 v[30:31], v[30:31], 2, s[6:7]
	global_load_dword v89, v[14:15], off
	global_load_dword v94, v[30:31], off
	v_mfma_f32_16x16x16_f16 v[14:17], v[16:17], v[44:45], v[18:21]
	global_load_dwordx4 v[58:61], v[68:69], off
	v_ashrrev_i32_e32 v62, 5, v85
	global_load_dwordx4 v[82:85], v[82:83], off
	v_cmp_gt_i32_e32 vcc, s33, v79
	global_load_dwordx4 v[18:21], v[66:67], off
	s_waitcnt lgkmcnt(0)
	v_mfma_f32_16x16x16_f16 v[14:17], v[10:11], v[38:39], v[14:17]
	v_cndmask_b32_e32 v10, v78, v62, vcc
	v_ashrrev_i32_e32 v11, 31, v10
	v_lshl_add_u64 v[10:11], v[10:11], 2, s[6:7]
	global_load_dword v62, v[10:11], off
	v_ashrrev_i32_e32 v63, 5, v88
	global_load_dwordx4 v[68:71], v[68:69], off offset:2048
	v_cmp_gt_i32_e32 vcc, s33, v80
	v_mfma_f32_16x16x16_f16 v[64:67], v[12:13], v[40:41], v[14:17]
	v_lshl_or_b32 v88, v77, 4, v76
	v_cndmask_b32_e32 v10, v78, v63, vcc
	v_ashrrev_i32_e32 v11, 31, v10
	v_lshl_add_u64 v[10:11], v[10:11], 2, s[6:7]
	global_load_dword v63, v[10:11], off
	v_lshl_add_u64 v[14:15], v[72:73], 0, v[48:49]
	global_load_dwordx4 v[90:93], v[14:15], off
	s_waitcnt vmcnt(11)
	v_mfma_f32_16x16x16_f16 v[10:13], v[34:35], v[6:7], 0
	v_and_b32_e32 v14, 16, v0
	v_lshlrev_b32_e32 v46, 1, v14
	v_mfma_f32_16x16x16_f16 v[10:13], v[36:37], v[8:9], v[10:13]
	v_lshl_add_u64 v[36:37], s[4:5], 0, v[46:47]
	v_lshlrev_b32_e32 v46, 6, v88
	v_lshl_add_u64 v[48:49], v[36:37], 0, v[46:47]
	v_mfma_f32_16x16x16_f16 v[26:29], v[32:33], v[44:45], v[26:29]
	v_or_b32_e32 v46, 0x1000, v46
	s_waitcnt vmcnt(8)
	v_mad_i64_i32 v[14:15], s[4:5], v89, s9, 0
	v_mfma_f32_16x16x16_f16 v[10:13], v[54:55], v[2:3], v[10:13]
	v_mfma_f32_16x16x16_f16 v[10:13], v[56:57], v[4:5], v[10:13]
	v_lshlrev_b64 v[56:57], 1, v[14:15]
	v_lshl_add_u64 v[14:15], v[48:49], 0, v[56:57]
	v_mfma_f32_16x16x16_f16 v[10:13], v[50:51], v[42:43], v[10:13]
	v_mfma_f32_16x16x16_f16 v[10:13], v[52:53], v[44:45], v[10:13]
	;; [unrolled: 1-line block ×3, first 2 shown]
	s_waitcnt vmcnt(4)
	v_mfma_f32_16x16x16_f16 v[10:13], v[18:19], v[38:39], v[10:13]
	v_mfma_f32_16x16x16_f16 v[78:81], v[24:25], v[40:41], v[26:29]
	global_load_dwordx4 v[30:33], v[14:15], off
	s_nop 2
	global_load_dwordx4 v[26:29], v[14:15], off offset:16
	v_mad_i64_i32 v[14:15], s[4:5], v94, s9, 0
	v_lshlrev_b64 v[34:35], 1, v[14:15]
	v_mfma_f32_16x16x16_f16 v[52:55], v[20:21], v[40:41], v[10:13]
	s_nop 2
	v_lshl_add_u64 v[10:11], v[48:49], 0, v[34:35]
	global_load_dwordx4 v[22:25], v[10:11], off
	global_load_dwordx4 v[18:21], v[10:11], off offset:16
	v_mfma_f32_16x16x16_f16 v[10:13], v[58:59], v[6:7], 0
	s_waitcnt vmcnt(7)
	v_mad_i64_i32 v[6:7], s[4:5], v62, s9, 0
	v_lshlrev_b64 v[50:51], 1, v[6:7]
	v_mfma_f32_16x16x16_f16 v[6:9], v[60:61], v[8:9], v[10:13]
	s_waitcnt vmcnt(6)
	v_mfma_f32_16x16x16_f16 v[6:9], v[68:69], v[2:3], v[6:9]
	s_waitcnt vmcnt(5)
	v_mad_i64_i32 v[2:3], s[4:5], v63, s9, 0
	v_lshlrev_b64 v[58:59], 1, v[2:3]
	v_mfma_f32_16x16x16_f16 v[60:63], v[70:71], v[4:5], v[6:9]
	v_lshl_add_u64 v[10:11], v[48:49], 0, v[50:51]
	v_lshl_add_u64 v[2:3], v[48:49], 0, v[58:59]
	global_load_dwordx4 v[14:17], v[10:11], off
	s_nop 0
	global_load_dwordx4 v[10:13], v[10:11], off offset:16
	v_mfma_f32_16x16x16_f16 v[68:71], v[82:83], v[42:43], v[60:63]
	v_pk_mul_f32 v[82:83], s[8:9], v[66:67] op_sel_hi:[0,1]
	global_load_dwordx4 v[6:9], v[2:3], off
	s_nop 0
	global_load_dwordx4 v[2:5], v[2:3], off offset:16
	v_lshl_add_u64 v[62:63], v[36:37], 0, v[46:47]
	v_mfma_f32_16x16x16_f16 v[42:45], v[84:85], v[44:45], v[68:71]
	v_pk_mul_f32 v[60:61], s[8:9], v[64:65] op_sel_hi:[0,1]
	v_pk_mul_f32 v[84:85], s[8:9], v[80:81] op_sel_hi:[0,1]
	;; [unrolled: 1-line block ×3, first 2 shown]
	s_waitcnt vmcnt(8)
	v_mfma_f32_16x16x16_f16 v[36:39], v[90:91], v[38:39], v[42:45]
	v_pk_mul_f32 v[70:71], s[8:9], v[78:79] op_sel_hi:[0,1]
	v_pk_mul_f32 v[78:79], s[8:9], v[54:55] op_sel_hi:[0,1]
	v_lshl_add_u64 v[56:57], v[62:63], 0, v[56:57]
	v_mfma_f32_16x16x16_f16 v[36:39], v[92:93], v[40:41], v[36:39]
	v_lshl_add_u64 v[34:35], v[62:63], 0, v[34:35]
	v_lshl_add_u64 v[50:51], v[62:63], 0, v[50:51]
	;; [unrolled: 1-line block ×3, first 2 shown]
	s_nop 3
	v_pk_mul_f32 v[72:73], s[8:9], v[36:37] op_sel_hi:[0,1]
	v_and_b32_e32 v36, 0xc0, v0
	v_add_u32_e32 v36, s18, v36
	v_lshl_or_b32 v36, v1, 2, v36
	v_pk_mul_f32 v[66:67], s[8:9], v[38:39] op_sel_hi:[0,1]
	v_or_b32_e32 v39, 1, v36
	v_mov_b32_e32 v37, 0xff7fffff
	v_cmp_gt_i32_e64 s[28:29], s33, v36
	v_cmp_gt_i32_e64 s[30:31], s33, v39
	v_or_b32_e32 v40, 3, v36
	v_cndmask_b32_e64 v38, v37, v60, s[28:29]
	v_cndmask_b32_e64 v39, v37, v61, s[30:31]
	v_max3_f32 v38, v38, s41, v39
	v_or_b32_e32 v39, 2, v36
	v_cmp_gt_i32_e64 s[34:35], s33, v39
	v_cmp_gt_i32_e64 s[36:37], s33, v40
	s_nop 0
	v_cndmask_b32_e64 v39, v37, v82, s[34:35]
	v_cndmask_b32_e64 v40, v37, v83, s[36:37]
	v_max3_f32 v38, v38, v39, v40
	v_or_b32_e32 v39, 16, v36
	v_or_b32_e32 v40, 17, v36
	v_cmp_gt_i32_e64 s[22:23], s33, v39
	v_cmp_gt_i32_e64 s[24:25], s33, v40
	s_nop 0
	v_cndmask_b32_e64 v39, v37, v70, s[22:23]
	v_cndmask_b32_e64 v40, v37, v71, s[24:25]
	v_max3_f32 v38, v38, v39, v40
	v_or_b32_e32 v39, 18, v36
	;; [unrolled: 8-line block ×6, first 2 shown]
	v_or_b32_e32 v36, 51, v36
	v_cmp_gt_i32_e32 vcc, s33, v39
	v_cmp_gt_i32_e64 s[4:5], s33, v36
	s_nop 0
	v_cndmask_b32_e32 v39, v37, v66, vcc
	v_cndmask_b32_e64 v36, v37, v67, s[4:5]
	v_max3_f32 v52, v38, v39, v36
	v_mbcnt_lo_u32_b32 v36, -1, 0
	v_mbcnt_hi_u32_b32 v53, -1, v36
	v_and_b32_e32 v36, 64, v53
	v_add_u32_e32 v54, 64, v36
	v_xor_b32_e32 v36, 32, v53
	v_cmp_lt_i32_e64 s[38:39], v36, v54
	global_load_dwordx4 v[46:49], v[56:57], off
	global_load_dwordx4 v[38:41], v[56:57], off offset:16
	v_cndmask_b32_e64 v36, v53, v36, s[38:39]
	v_lshlrev_b32_e32 v90, 2, v36
	ds_bpermute_b32 v55, v90, v52
	global_load_dwordx4 v[42:45], v[34:35], off
	s_nop 0
	global_load_dwordx4 v[34:37], v[34:35], off offset:16
	s_waitcnt lgkmcnt(0)
	v_max_f32_e32 v55, v55, v55
	v_max_f32_e32 v64, v52, v55
	v_xor_b32_e32 v52, 16, v53
	v_cmp_lt_i32_e64 s[38:39], v52, v54
	s_nop 1
	v_cndmask_b32_e64 v52, v53, v52, s[38:39]
	v_lshlrev_b32_e32 v91, 2, v52
	ds_bpermute_b32 v65, v91, v64
	global_load_dwordx4 v[54:57], v[50:51], off
	s_nop 0
	global_load_dwordx4 v[50:53], v[50:51], off offset:16
	s_waitcnt lgkmcnt(0)
	v_max_f32_e32 v62, v65, v65
	v_max_f32_e32 v89, v64, v62
	v_sub_f32_e32 v60, v60, v89
	v_mul_f32_e32 v60, 0x3fb8aa3b, v60
	v_exp_f32_e32 v68, v60
	v_sub_f32_e32 v60, v61, v89
	v_mul_f32_e32 v60, 0x3fb8aa3b, v60
	v_exp_f32_e32 v69, v60
	global_load_dwordx4 v[62:65], v[58:59], off
	s_nop 0
	global_load_dwordx4 v[58:61], v[58:59], off offset:16
	v_sub_f32_e32 v82, v82, v89
	v_mul_f32_e32 v82, 0x3fb8aa3b, v82
	v_sub_f32_e32 v83, v83, v89
	v_exp_f32_e32 v82, v82
	v_mul_f32_e32 v83, 0x3fb8aa3b, v83
	v_sub_f32_e32 v70, v70, v89
	v_exp_f32_e32 v83, v83
	v_mul_f32_e32 v70, 0x3fb8aa3b, v70
	v_sub_f32_e32 v71, v71, v89
	v_cndmask_b32_e64 v68, 0, v68, s[28:29]
	v_exp_f32_e32 v70, v70
	v_mul_f32_e32 v71, 0x3fb8aa3b, v71
	v_sub_f32_e32 v84, v84, v89
	v_add_f32_e32 v92, 0, v68
	v_cndmask_b32_e64 v69, 0, v69, s[30:31]
	v_exp_f32_e32 v71, v71
	v_mul_f32_e32 v84, 0x3fb8aa3b, v84
	v_sub_f32_e32 v85, v85, v89
	v_add_f32_e32 v92, v92, v69
	;; [unrolled: 5-line block ×10, first 2 shown]
	v_cndmask_b32_e64 v78, 0, v78, s[10:11]
	v_exp_f32_e32 v66, v66
	v_mul_f32_e32 v67, 0x3fb8aa3b, v67
	v_add_f32_e32 v92, v92, v78
	v_cndmask_b32_e64 v79, 0, v79, s[12:13]
	v_exp_f32_e32 v67, v67
	v_add_f32_e32 v92, v92, v79
	v_cndmask_b32_e64 v72, 0, v72, s[6:7]
	v_add_f32_e32 v92, v92, v72
	v_cndmask_b32_e64 v73, 0, v73, s[8:9]
	v_add_f32_e32 v92, v92, v73
	v_cndmask_b32_e32 v66, 0, v66, vcc
	v_add_f32_e32 v92, v92, v66
	v_cndmask_b32_e64 v67, 0, v67, s[4:5]
	v_add_f32_e32 v92, v92, v67
	ds_bpermute_b32 v90, v90, v92
	v_cmp_gt_u32_e32 vcc, 16, v87
	s_waitcnt lgkmcnt(0)
	s_barrier
	v_add_f32_e32 v90, v92, v90
	ds_bpermute_b32 v91, v91, v90
	s_and_saveexec_b64 s[4:5], vcc
	s_cbranch_execz .LBB382_15
; %bb.14:
	s_waitcnt lgkmcnt(0)
	v_add_f32_e32 v87, v90, v91
	v_lshlrev_b32_e32 v88, 2, v88
	ds_write2st64_b32 v88, v89, v87 offset1:1
.LBB382_15:
	s_or_b64 exec, exec, s[4:5]
	v_lshlrev_b32_e32 v94, 2, v76
	s_load_dword s6, s[0:1], 0x94
	s_waitcnt lgkmcnt(0)
	s_barrier
	ds_read2_b32 v[88:89], v94 offset1:16
	ds_read2_b32 v[90:91], v94 offset0:32 offset1:48
	ds_read2_b32 v[92:93], v94 offset0:64 offset1:80
	;; [unrolled: 1-line block ×3, first 2 shown]
	s_waitcnt lgkmcnt(0)
	v_max3_f32 v87, v88, s41, v89
	v_max3_f32 v87, v87, v90, v91
	v_sub_f32_e32 v88, v88, v87
	v_mul_f32_e32 v88, 0x3fb8aa3b, v88
	v_exp_f32_e32 v86, v88
	v_sub_f32_e32 v88, v89, v87
	v_mul_f32_e32 v88, 0x3fb8aa3b, v88
	v_exp_f32_e32 v89, v88
	;; [unrolled: 3-line block ×4, first 2 shown]
	v_fma_f32 v88, v86, v92, 0
	v_fmac_f32_e32 v88, v89, v93
	v_fmac_f32_e32 v88, v90, v94
	;; [unrolled: 1-line block ×3, first 2 shown]
	v_add_f32_e32 v92, 0x358637bd, v88
	v_div_scale_f32 v93, s[4:5], v92, v92, 1.0
	v_rcp_f32_e32 v94, v93
	s_barrier
	s_mul_i32 s7, s27, 3
	v_fma_f32 v95, -v93, v94, 1.0
	v_fmac_f32_e32 v94, v95, v94
	v_div_scale_f32 v95, vcc, 1.0, v92, 1.0
	v_mul_f32_e32 v1, v95, v94
	v_fma_f32 v77, -v93, v1, v95
	v_fmac_f32_e32 v1, v77, v94
	v_fma_f32 v77, -v93, v1, v95
	v_div_fmas_f32 v1, v77, v94, v1
	v_lshrrev_b32_e32 v94, 6, v0
	v_cmp_eq_u32_e32 vcc, 1, v94
	v_div_fixup_f32 v1, v1, v92, 1.0
	s_nop 0
	v_cndmask_b32_e32 v77, v86, v89, vcc
	v_cmp_eq_u32_e32 vcc, 2, v94
	v_bfe_u32 v86, v0, 4, 2
	s_nop 0
	v_cndmask_b32_e32 v77, v77, v90, vcc
	v_cmp_eq_u32_e32 vcc, 3, v94
	s_nop 1
	v_cndmask_b32_e32 v77, v77, v91, vcc
	v_mul_f32_e32 v90, v77, v1
	v_pk_mul_f32 v[82:83], v[90:91], v[82:83] op_sel_hi:[0,1]
	v_pk_mul_f32 v[68:69], v[90:91], v[68:69] op_sel_hi:[0,1]
	v_cvt_f16_f32_e32 v1, v68
	v_cvt_f16_f32_e32 v68, v69
	;; [unrolled: 1-line block ×4, first 2 shown]
	v_pk_mul_f32 v[82:83], v[90:91], v[84:85] op_sel_hi:[0,1]
	v_pk_mul_f32 v[70:71], v[90:91], v[70:71] op_sel_hi:[0,1]
	v_pack_b32_f16 v92, v1, v68
	v_pack_b32_f16 v93, v69, v77
	v_cvt_f16_f32_e32 v69, v70
	v_cvt_f16_f32_e32 v70, v71
	;; [unrolled: 1-line block ×4, first 2 shown]
	v_lshlrev_b32_e32 v1, 3, v86
	v_lshlrev_b32_e32 v68, 5, v76
	;; [unrolled: 1-line block ×3, first 2 shown]
	v_or3_b32 v82, v82, v68, v1
	v_pack_b32_f16 v70, v69, v70
	v_pack_b32_f16 v71, v71, v77
	ds_write2st64_b64 v82, v[92:93], v[70:71] offset1:1
	v_pk_mul_f32 v[70:71], v[90:91], v[78:79] op_sel_hi:[0,1]
	v_pk_mul_f32 v[78:79], v[90:91], v[80:81] op_sel_hi:[0,1]
	v_cvt_f16_f32_e32 v1, v78
	v_cvt_f16_f32_e32 v77, v70
	;; [unrolled: 1-line block ×3, first 2 shown]
	v_pk_mul_f32 v[66:67], v[90:91], v[66:67] op_sel_hi:[0,1]
	v_pk_mul_f32 v[70:71], v[90:91], v[72:73] op_sel_hi:[0,1]
	v_cvt_f16_f32_e32 v69, v79
	v_cvt_f16_f32_e32 v70, v70
	;; [unrolled: 1-line block ×5, first 2 shown]
	v_pack_b32_f16 v66, v1, v69
	v_pack_b32_f16 v67, v77, v78
	;; [unrolled: 1-line block ×4, first 2 shown]
	v_cmp_gt_u32_e32 vcc, 3, v0
	ds_write2st64_b64 v82, v[66:67], v[70:71] offset0:2 offset1:3
	s_and_saveexec_b64 s[4:5], vcc
	s_cbranch_execz .LBB382_17
; %bb.16:
	s_mov_b32 s41, 0
	v_mov_b32_e32 v77, 0
	v_lshl_add_u64 v[66:67], s[40:41], 0, v[76:77]
	v_mov_b32_e32 v1, s7
	v_mad_u64_u32 v[66:67], s[12:13], s2, v1, v[66:67]
	s_mul_i32 s3, s3, s7
	v_mov_b32_e32 v70, s26
	v_mov_b32_e32 v71, v77
	s_load_dwordx4 s[8:11], s[0:1], 0x58
	v_add_u32_e32 v1, s3, v67
	v_mad_u64_u32 v[66:67], s[12:13], v66, s6, v[70:71]
	v_mov_b32_e32 v70, v67
	v_mad_u64_u32 v[70:71], s[12:13], v1, s6, v[70:71]
	v_mov_b32_e32 v67, v70
	v_lshlrev_b64 v[66:67], 2, v[66:67]
	s_waitcnt lgkmcnt(0)
	v_lshl_add_u64 v[70:71], s[10:11], 0, v[66:67]
	v_lshl_add_u64 v[66:67], s[8:9], 0, v[66:67]
	global_store_dword v[70:71], v87, off
	global_store_dword v[66:67], v88, off
.LBB382_17:
	s_or_b64 exec, exec, s[4:5]
	v_lshl_or_b32 v1, v86, 9, v68
	s_waitcnt lgkmcnt(0)
	s_barrier
	ds_read_b128 v[70:73], v1
	ds_read_b128 v[66:69], v1 offset:16
	s_waitcnt vmcnt(15) lgkmcnt(1)
	v_mfma_f32_16x16x16_f16 v[78:81], v[30:31], v[70:71], 0
	v_cmp_gt_u32_e32 vcc, 64, v0
	v_cmp_ne_u32_e64 s[4:5], 3, v86
	s_mov_b32 s3, 0
	v_mfma_f32_16x16x16_f16 v[30:33], v[32:33], v[72:73], v[78:81]
	s_and_b64 s[4:5], vcc, s[4:5]
	s_waitcnt vmcnt(14) lgkmcnt(0)
	v_mfma_f32_16x16x16_f16 v[30:33], v[26:27], v[66:67], v[30:33]
	v_mfma_f32_16x16x16_f16 v[26:29], v[28:29], v[68:69], v[30:33]
	s_nop 5
	ds_read_b128 v[30:33], v1 offset:2048
	ds_read_b128 v[78:81], v1 offset:2064
	s_waitcnt vmcnt(13) lgkmcnt(1)
	v_mfma_f32_16x16x16_f16 v[26:29], v[22:23], v[30:31], v[26:29]
	v_mfma_f32_16x16x16_f16 v[22:25], v[24:25], v[32:33], v[26:29]
	s_waitcnt vmcnt(12) lgkmcnt(0)
	v_mfma_f32_16x16x16_f16 v[22:25], v[18:19], v[78:79], v[22:25]
	v_mfma_f32_16x16x16_f16 v[18:21], v[20:21], v[80:81], v[22:25]
	s_nop 5
	ds_read_b128 v[22:25], v1 offset:4096
	ds_read_b128 v[26:29], v1 offset:4112
	s_waitcnt vmcnt(11) lgkmcnt(1)
	v_mfma_f32_16x16x16_f16 v[18:21], v[14:15], v[22:23], v[18:21]
	v_mfma_f32_16x16x16_f16 v[14:17], v[16:17], v[24:25], v[18:21]
	s_waitcnt vmcnt(10) lgkmcnt(0)
	v_mfma_f32_16x16x16_f16 v[14:17], v[10:11], v[26:27], v[14:17]
	v_mfma_f32_16x16x16_f16 v[10:13], v[12:13], v[28:29], v[14:17]
	s_nop 5
	ds_read_b128 v[14:17], v1 offset:6144
	ds_read_b128 v[18:21], v1 offset:6160
	s_waitcnt lgkmcnt(0)
	s_barrier
	s_waitcnt vmcnt(9)
	v_mfma_f32_16x16x16_f16 v[10:13], v[6:7], v[14:15], v[10:13]
	v_mfma_f32_16x16x16_f16 v[6:9], v[8:9], v[16:17], v[10:13]
	s_waitcnt vmcnt(8)
	v_mfma_f32_16x16x16_f16 v[6:9], v[2:3], v[18:19], v[6:9]
	v_mfma_f32_16x16x16_f16 v[2:5], v[4:5], v[20:21], v[6:9]
	;; [unrolled: 3-line block ×3, first 2 shown]
	s_nop 3
	v_cvt_f16_f32_e32 v1, v2
	v_cvt_f16_f32_e32 v10, v3
	;; [unrolled: 1-line block ×3, first 2 shown]
	s_waitcnt vmcnt(6)
	v_mfma_f32_16x16x16_f16 v[6:9], v[38:39], v[66:67], v[6:9]
	v_cvt_f16_f32_e32 v12, v5
	v_mfma_f32_16x16x16_f16 v[6:9], v[40:41], v[68:69], v[6:9]
	s_waitcnt vmcnt(5)
	v_mfma_f32_16x16x16_f16 v[6:9], v[42:43], v[30:31], v[6:9]
	v_mfma_f32_16x16x16_f16 v[6:9], v[44:45], v[32:33], v[6:9]
	s_waitcnt vmcnt(4)
	v_mfma_f32_16x16x16_f16 v[6:9], v[34:35], v[78:79], v[6:9]
	;; [unrolled: 3-line block ×6, first 2 shown]
	v_mfma_f32_16x16x16_f16 v[2:5], v[60:61], v[20:21], v[6:9]
	s_nop 6
	v_cvt_f16_f32_e32 v6, v2
	v_cvt_f16_f32_e32 v7, v3
	;; [unrolled: 1-line block ×4, first 2 shown]
	v_pack_b32_f16 v2, v1, v10
	v_pack_b32_f16 v3, v11, v12
	;; [unrolled: 1-line block ×4, first 2 shown]
	ds_write2st64_b64 v82, v[2:3], v[4:5] offset1:1
	s_waitcnt lgkmcnt(0)
	s_barrier
	s_and_saveexec_b64 s[8:9], s[4:5]
	s_cbranch_execz .LBB382_19
; %bb.18:
	scratch_load_dword v4, off, off         ; 4-byte Folded Reload
	s_load_dwordx2 s[0:1], s[0:1], 0x68
	s_mul_i32 s2, s7, s2
	s_lshl_b32 s6, s6, 7
	v_lshlrev_b32_e32 v3, 6, v76
	s_mul_hi_u32 s5, s2, s6
	s_mul_i32 s4, s2, s6
	v_lshlrev_b32_e32 v2, 4, v0
	v_lshl_or_b32 v0, v0, 10, v3
	s_lshl_b64 s[4:5], s[4:5], 1
	v_lshlrev_b32_e32 v1, 5, v86
	v_and_b32_e32 v2, 16, v2
	v_and_b32_e32 v0, 0x1a00, v0
	s_waitcnt lgkmcnt(0)
	s_add_u32 s4, s0, s4
	v_or3_b32 v0, v0, v1, v2
	s_addc_u32 s5, s1, s5
	s_lshl_b32 s2, s26, 7
	ds_read_b128 v[0:3], v0
	s_lshl_b64 s[0:1], s[2:3], 1
	s_add_u32 s0, s4, s0
	s_addc_u32 s1, s5, s1
	s_waitcnt vmcnt(0)
	v_mad_u64_u32 v[4:5], s[2:3], s6, v4, 0
	v_lshl_add_u64 v[4:5], v[4:5], 1, s[0:1]
	v_lshl_add_u64 v[4:5], v[74:75], 1, v[4:5]
	s_waitcnt lgkmcnt(0)
	global_store_dwordx4 v[4:5], v[0:3], off
.LBB382_19:
	s_endpgm
	.section	.rodata,"a",@progbits
	.p2align	6, 0x0
	.amdhsa_kernel _Z39paged_attention_ll4mi_QKV_mfma16_kernelIDF16_DF16_LN4vllm18Fp8KVCacheDataTypeE0EDF16_Li32ELi128ELi256ELb0ELi3EEvPKT_PKT0_S7_ifPKiS9_S9_iPKfiiiPfSC_PS2_PT2_iSB_SB_
		.amdhsa_group_segment_fixed_size 8192
		.amdhsa_private_segment_fixed_size 8
		.amdhsa_kernarg_size 400
		.amdhsa_user_sgpr_count 2
		.amdhsa_user_sgpr_dispatch_ptr 0
		.amdhsa_user_sgpr_queue_ptr 0
		.amdhsa_user_sgpr_kernarg_segment_ptr 1
		.amdhsa_user_sgpr_dispatch_id 0
		.amdhsa_user_sgpr_kernarg_preload_length 0
		.amdhsa_user_sgpr_kernarg_preload_offset 0
		.amdhsa_user_sgpr_private_segment_size 0
		.amdhsa_uses_dynamic_stack 0
		.amdhsa_enable_private_segment 1
		.amdhsa_system_sgpr_workgroup_id_x 1
		.amdhsa_system_sgpr_workgroup_id_y 1
		.amdhsa_system_sgpr_workgroup_id_z 1
		.amdhsa_system_sgpr_workgroup_info 0
		.amdhsa_system_vgpr_workitem_id 0
		.amdhsa_next_free_vgpr 96
		.amdhsa_next_free_sgpr 42
		.amdhsa_accum_offset 96
		.amdhsa_reserve_vcc 1
		.amdhsa_float_round_mode_32 0
		.amdhsa_float_round_mode_16_64 0
		.amdhsa_float_denorm_mode_32 3
		.amdhsa_float_denorm_mode_16_64 3
		.amdhsa_dx10_clamp 1
		.amdhsa_ieee_mode 1
		.amdhsa_fp16_overflow 0
		.amdhsa_tg_split 0
		.amdhsa_exception_fp_ieee_invalid_op 0
		.amdhsa_exception_fp_denorm_src 0
		.amdhsa_exception_fp_ieee_div_zero 0
		.amdhsa_exception_fp_ieee_overflow 0
		.amdhsa_exception_fp_ieee_underflow 0
		.amdhsa_exception_fp_ieee_inexact 0
		.amdhsa_exception_int_div_zero 0
	.end_amdhsa_kernel
	.section	.text._Z39paged_attention_ll4mi_QKV_mfma16_kernelIDF16_DF16_LN4vllm18Fp8KVCacheDataTypeE0EDF16_Li32ELi128ELi256ELb0ELi3EEvPKT_PKT0_S7_ifPKiS9_S9_iPKfiiiPfSC_PS2_PT2_iSB_SB_,"axG",@progbits,_Z39paged_attention_ll4mi_QKV_mfma16_kernelIDF16_DF16_LN4vllm18Fp8KVCacheDataTypeE0EDF16_Li32ELi128ELi256ELb0ELi3EEvPKT_PKT0_S7_ifPKiS9_S9_iPKfiiiPfSC_PS2_PT2_iSB_SB_,comdat
.Lfunc_end382:
	.size	_Z39paged_attention_ll4mi_QKV_mfma16_kernelIDF16_DF16_LN4vllm18Fp8KVCacheDataTypeE0EDF16_Li32ELi128ELi256ELb0ELi3EEvPKT_PKT0_S7_ifPKiS9_S9_iPKfiiiPfSC_PS2_PT2_iSB_SB_, .Lfunc_end382-_Z39paged_attention_ll4mi_QKV_mfma16_kernelIDF16_DF16_LN4vllm18Fp8KVCacheDataTypeE0EDF16_Li32ELi128ELi256ELb0ELi3EEvPKT_PKT0_S7_ifPKiS9_S9_iPKfiiiPfSC_PS2_PT2_iSB_SB_
                                        ; -- End function
	.section	.AMDGPU.csdata,"",@progbits
; Kernel info:
; codeLenInByte = 4540
; NumSgprs: 48
; NumVgprs: 96
; NumAgprs: 0
; TotalNumVgprs: 96
; ScratchSize: 8
; MemoryBound: 0
; FloatMode: 240
; IeeeMode: 1
; LDSByteSize: 8192 bytes/workgroup (compile time only)
; SGPRBlocks: 5
; VGPRBlocks: 11
; NumSGPRsForWavesPerEU: 48
; NumVGPRsForWavesPerEU: 96
; AccumOffset: 96
; Occupancy: 5
; WaveLimiterHint : 1
; COMPUTE_PGM_RSRC2:SCRATCH_EN: 1
; COMPUTE_PGM_RSRC2:USER_SGPR: 2
; COMPUTE_PGM_RSRC2:TRAP_HANDLER: 0
; COMPUTE_PGM_RSRC2:TGID_X_EN: 1
; COMPUTE_PGM_RSRC2:TGID_Y_EN: 1
; COMPUTE_PGM_RSRC2:TGID_Z_EN: 1
; COMPUTE_PGM_RSRC2:TIDIG_COMP_CNT: 0
; COMPUTE_PGM_RSRC3_GFX90A:ACCUM_OFFSET: 23
; COMPUTE_PGM_RSRC3_GFX90A:TG_SPLIT: 0
	.section	.text._Z39paged_attention_ll4mi_QKV_mfma16_kernelIDF16_DF16_LN4vllm18Fp8KVCacheDataTypeE0EDF16_Li32ELi128ELi256ELb0ELi4EEvPKT_PKT0_S7_ifPKiS9_S9_iPKfiiiPfSC_PS2_PT2_iSB_SB_,"axG",@progbits,_Z39paged_attention_ll4mi_QKV_mfma16_kernelIDF16_DF16_LN4vllm18Fp8KVCacheDataTypeE0EDF16_Li32ELi128ELi256ELb0ELi4EEvPKT_PKT0_S7_ifPKiS9_S9_iPKfiiiPfSC_PS2_PT2_iSB_SB_,comdat
	.protected	_Z39paged_attention_ll4mi_QKV_mfma16_kernelIDF16_DF16_LN4vllm18Fp8KVCacheDataTypeE0EDF16_Li32ELi128ELi256ELb0ELi4EEvPKT_PKT0_S7_ifPKiS9_S9_iPKfiiiPfSC_PS2_PT2_iSB_SB_ ; -- Begin function _Z39paged_attention_ll4mi_QKV_mfma16_kernelIDF16_DF16_LN4vllm18Fp8KVCacheDataTypeE0EDF16_Li32ELi128ELi256ELb0ELi4EEvPKT_PKT0_S7_ifPKiS9_S9_iPKfiiiPfSC_PS2_PT2_iSB_SB_
	.globl	_Z39paged_attention_ll4mi_QKV_mfma16_kernelIDF16_DF16_LN4vllm18Fp8KVCacheDataTypeE0EDF16_Li32ELi128ELi256ELb0ELi4EEvPKT_PKT0_S7_ifPKiS9_S9_iPKfiiiPfSC_PS2_PT2_iSB_SB_
	.p2align	8
	.type	_Z39paged_attention_ll4mi_QKV_mfma16_kernelIDF16_DF16_LN4vllm18Fp8KVCacheDataTypeE0EDF16_Li32ELi128ELi256ELb0ELi4EEvPKT_PKT0_S7_ifPKiS9_S9_iPKfiiiPfSC_PS2_PT2_iSB_SB_,@function
_Z39paged_attention_ll4mi_QKV_mfma16_kernelIDF16_DF16_LN4vllm18Fp8KVCacheDataTypeE0EDF16_Li32ELi128ELi256ELb0ELi4EEvPKT_PKT0_S7_ifPKiS9_S9_iPKfiiiPfSC_PS2_PT2_iSB_SB_: ; @_Z39paged_attention_ll4mi_QKV_mfma16_kernelIDF16_DF16_LN4vllm18Fp8KVCacheDataTypeE0EDF16_Li32ELi128ELi256ELb0ELi4EEvPKT_PKT0_S7_ifPKiS9_S9_iPKfiiiPfSC_PS2_PT2_iSB_SB_
; %bb.0:
	s_load_dwordx2 s[8:9], s[0:1], 0x30
	s_mov_b32 s28, s3
	s_mov_b64 s[6:7], 0
	s_waitcnt lgkmcnt(0)
	s_cmp_lg_u64 s[8:9], 0
	s_cselect_b64 s[10:11], -1, 0
	s_and_b64 vcc, exec, s[10:11]
	s_cbranch_vccz .LBB383_7
; %bb.1:
	s_add_i32 s12, s2, 1
	s_mov_b32 s13, 0
	s_lshl_b64 s[14:15], s[12:13], 2
	s_add_u32 s14, s8, s14
	s_mov_b32 s3, s13
	s_addc_u32 s15, s9, s15
	s_lshl_b64 s[12:13], s[2:3], 2
	s_add_u32 s12, s8, s12
	s_addc_u32 s13, s9, s13
	s_load_dword s5, s[14:15], 0x0
	s_load_dword s16, s[12:13], 0x0
	s_waitcnt lgkmcnt(0)
	s_sub_i32 s5, s5, s16
	s_cmp_eq_u32 s5, 1
	s_cselect_b64 s[12:13], -1, 0
	s_andn2_b64 vcc, exec, s[6:7]
	s_cbranch_vccnz .LBB383_3
.LBB383_2:
	s_mov_b32 s3, 0
	s_mov_b64 s[12:13], -1
.LBB383_3:
	s_andn2_b64 vcc, exec, s[12:13]
	s_cbranch_vccnz .LBB383_19
; %bb.4:
	s_load_dwordx2 s[6:7], s[0:1], 0x28
	s_lshl_b64 s[12:13], s[2:3], 2
	s_waitcnt lgkmcnt(0)
	s_add_u32 s6, s6, s12
	s_addc_u32 s7, s7, s13
	s_load_dword s40, s[6:7], 0x0
	s_lshl_b32 s18, s28, 8
	s_waitcnt lgkmcnt(0)
	s_cmp_ge_i32 s18, s40
	s_cbranch_scc1 .LBB383_19
; %bb.5:
	s_load_dwordx2 s[6:7], s[0:1], 0x20
	s_load_dword s5, s[0:1], 0x38
	s_add_i32 s14, s40, 31
	s_ashr_i32 s15, s14, 31
	v_and_b32_e32 v1, 0xcf, v0
	s_lshr_b32 s15, s15, 27
	v_add_u32_e32 v1, s18, v1
	s_add_i32 s14, s14, s15
	v_ashrrev_i32_e32 v2, 31, v1
	s_ashr_i32 s19, s14, 5
	v_lshrrev_b32_e32 v6, 27, v2
	s_add_i32 s19, s19, -1
	s_waitcnt lgkmcnt(0)
	s_mul_i32 s14, s2, s5
	s_mov_b32 s15, 0
	v_add_u32_e32 v2, v1, v6
	s_lshl_b64 s[14:15], s[14:15], 2
	v_ashrrev_i32_e32 v2, 5, v2
	v_mov_b32_e32 v7, s19
	v_cmp_gt_i32_e32 vcc, s40, v1
	s_add_u32 s6, s6, s14
	s_addc_u32 s7, s7, s15
	v_cndmask_b32_e32 v2, v7, v2, vcc
	v_ashrrev_i32_e32 v3, 31, v2
	v_lshl_add_u64 v[4:5], v[2:3], 2, s[6:7]
	v_or_b32_e32 v2, 16, v1
	v_add_u32_e32 v3, v2, v6
	v_ashrrev_i32_e32 v3, 5, v3
	v_cmp_gt_i32_e32 vcc, s40, v2
	s_nop 1
	v_cndmask_b32_e32 v2, v7, v3, vcc
	v_ashrrev_i32_e32 v3, 31, v2
	v_lshl_add_u64 v[8:9], v[2:3], 2, s[6:7]
	v_or_b32_e32 v2, 32, v1
	v_add_u32_e32 v3, v2, v6
	v_ashrrev_i32_e32 v3, 5, v3
	v_cmp_gt_i32_e32 vcc, s40, v2
	v_or_b32_e32 v1, 48, v1
	s_nop 0
	v_cndmask_b32_e32 v2, v7, v3, vcc
	v_ashrrev_i32_e32 v3, 31, v2
	v_lshl_add_u64 v[10:11], v[2:3], 2, s[6:7]
	v_add_u32_e32 v2, v1, v6
	v_ashrrev_i32_e32 v2, 5, v2
	v_cmp_gt_i32_e32 vcc, s40, v1
	s_nop 1
	v_cndmask_b32_e32 v2, v7, v2, vcc
	v_ashrrev_i32_e32 v3, 31, v2
	v_lshl_add_u64 v[12:13], v[2:3], 2, s[6:7]
	global_load_dword v2, v[4:5], off
	global_load_dword v7, v[8:9], off
	;; [unrolled: 1-line block ×4, first 2 shown]
	s_andn2_b64 vcc, exec, s[10:11]
	s_cbranch_vccnz .LBB383_8
; %bb.6:
	s_add_u32 s8, s8, s12
	s_addc_u32 s9, s9, s13
	s_load_dword s5, s[8:9], 0x0
	s_branch .LBB383_9
.LBB383_7:
	s_mov_b64 s[12:13], 0
	s_branch .LBB383_2
.LBB383_8:
	s_mov_b32 s5, s2
.LBB383_9:
	s_load_dwordx4 s[12:15], s[0:1], 0x8
	s_load_dwordx4 s[8:11], s[0:1], 0x48
	v_and_b32_e32 v3, 15, v0
	v_bfe_u32 v87, v0, 4, 2
	s_lshl_b32 s29, s4, 2
	v_lshlrev_b32_e32 v94, 3, v3
	v_cmp_gt_u32_e64 s[30:31], 64, v0
	v_cmp_lt_u32_e32 vcc, 63, v0
	s_and_saveexec_b64 s[16:17], vcc
	s_xor_b64 s[16:17], exec, s[16:17]
; %bb.10:
	v_mov_b32_e32 v95, 0
; %bb.11:
	s_or_saveexec_b64 s[16:17], s[16:17]
	v_or_b32_e32 v1, s29, v87
	v_lshrrev_b32_e32 v12, 6, v0
	scratch_store_dword off, v1, off        ; 4-byte Folded Spill
	v_and_b32_e32 v35, 3, v0
	v_lshlrev_b32_e32 v1, 5, v87
	scratch_store_dword off, v1, off offset:4 ; 4-byte Folded Spill
	s_xor_b64 exec, exec, s[16:17]
	s_cbranch_execz .LBB383_13
; %bb.12:
	scratch_load_dword v1, off, off         ; 4-byte Folded Reload
	s_load_dwordx2 s[20:21], s[0:1], 0x0
	s_waitcnt lgkmcnt(0)
	s_ashr_i32 s11, s8, 31
	s_mul_hi_u32 s22, s5, s8
	s_mul_i32 s11, s5, s11
	s_add_i32 s23, s22, s11
	s_mul_i32 s22, s5, s8
	s_lshl_b64 s[22:23], s[22:23], 1
	s_add_u32 s20, s20, s22
	s_addc_u32 s21, s21, s23
	v_mov_b32_e32 v95, 0
	v_lshlrev_b32_e32 v8, 1, v94
	v_mov_b32_e32 v9, v95
	s_waitcnt vmcnt(0)
	v_lshlrev_b32_e32 v4, 7, v1
	v_ashrrev_i32_e32 v5, 31, v4
	v_lshl_add_u64 v[4:5], v[4:5], 1, s[20:21]
	v_lshl_add_u64 v[4:5], v[4:5], 0, v[8:9]
	global_load_dwordx4 v[8:11], v[4:5], off
	v_and_b32_e32 v5, 15, v0
	v_lshlrev_b32_e32 v1, 5, v87
	v_lshlrev_b32_e32 v5, 9, v5
	v_lshl_or_b32 v3, v12, 7, v1
	v_lshlrev_b32_e32 v4, 9, v35
	v_and_b32_e32 v5, 0x1800, v5
	v_or3_b32 v3, v5, v4, v3
	s_waitcnt vmcnt(0)
	ds_write_b128 v3, v[8:11]
.LBB383_13:
	s_or_b64 exec, exec, s[16:17]
	s_waitcnt lgkmcnt(0)
	s_mul_i32 s4, s4, s10
	s_mov_b32 s5, 0
	s_lshl_b64 s[4:5], s[4:5], 1
	s_add_u32 s10, s12, s4
	s_addc_u32 s11, s13, s5
	s_waitcnt vmcnt(5)
	v_mad_i64_i32 v[2:3], s[12:13], v2, s9, 0
	v_mov_b32_e32 v55, 0
	s_waitcnt vmcnt(4)
	v_mad_i64_i32 v[8:9], s[12:13], v7, s9, 0
	v_mov_b32_e32 v7, 0x100
	v_and_b32_e32 v89, 15, v0
	v_lshl_add_u64 v[2:3], v[2:3], 1, s[10:11]
	v_lshlrev_b64 v[4:5], 1, v[94:95]
	v_lshl_add_u64 v[8:9], v[8:9], 1, s[10:11]
	v_lshl_or_b32 v56, v89, 4, v7
	v_mov_b32_e32 v57, v55
	v_lshlrev_b32_e32 v54, 9, v87
	v_lshl_add_u64 v[2:3], v[2:3], 0, v[4:5]
	v_lshl_add_u64 v[20:21], v[8:9], 0, v[56:57]
	;; [unrolled: 1-line block ×4, first 2 shown]
	s_load_dword s33, s[0:1], 0x98
	s_load_dword s8, s[0:1], 0x1c
	s_waitcnt lgkmcnt(0)
	s_barrier
	global_load_dwordx4 v[14:17], v[18:19], off
	v_mov_b32_e32 v89, v12
	global_load_dwordx4 v[10:13], v[22:23], off
	s_waitcnt vmcnt(5)
	v_mad_i64_i32 v[6:7], s[12:13], v6, s9, 0
	v_lshl_add_u64 v[6:7], v[6:7], 1, s[10:11]
	v_lshl_add_u64 v[60:61], v[6:7], 0, v[4:5]
	;; [unrolled: 1-line block ×3, first 2 shown]
	global_load_dwordx4 v[6:9], v[46:47], off
	global_load_dwordx4 v[42:45], v[18:19], off offset:2048
	global_load_dwordx4 v[38:41], v[22:23], off offset:2048
	v_or_b32_e32 v62, 0x1000, v54
	v_mov_b32_e32 v63, v55
	v_lshl_add_u64 v[4:5], v[2:3], 0, v[62:63]
	global_load_dwordx4 v[30:33], v[4:5], off
	v_or_b32_e32 v58, 0x1800, v54
	v_mov_b32_e32 v59, v55
	v_lshl_add_u64 v[2:3], v[2:3], 0, v[58:59]
	global_load_dwordx4 v[22:25], v[2:3], off
	v_lshl_add_u64 v[4:5], v[20:21], 0, v[62:63]
	global_load_dwordx4 v[26:29], v[4:5], off
	;; [unrolled: 2-line block ×3, first 2 shown]
	v_lshl_or_b32 v48, v35, 5, v54
	ds_read_b128 v[2:5], v48
	s_waitcnt vmcnt(11)
	v_mad_i64_i32 v[64:65], s[12:13], v34, s9, 0
	ds_read_b128 v[34:37], v48 offset:2048
	global_load_dwordx4 v[76:79], v[46:47], off offset:2048
	ds_read_b128 v[50:53], v48 offset:4096
	ds_read_b128 v[46:49], v48 offset:6144
	s_ashr_i32 s12, s18, 31
	v_and_or_b32 v74, v0, 48, s18
	v_mov_b32_e32 v75, s19
	v_cmp_gt_i32_e32 vcc, s40, v74
	v_or_b32_e32 v84, 64, v74
	v_or_b32_e32 v85, 0x80, v74
	;; [unrolled: 1-line block ×3, first 2 shown]
	v_mov_b32_e32 v1, v87
	s_mov_b32 s42, 0xff7fffff
	s_waitcnt vmcnt(7) lgkmcnt(3)
	v_mfma_f32_16x16x16_f16 v[80:83], v[6:7], v[2:3], 0
	v_lshl_add_u64 v[6:7], v[64:65], 1, s[10:11]
	s_lshr_b32 s10, s12, 27
	v_lshl_add_u64 v[6:7], v[6:7], 0, v[56:57]
	v_mfma_f32_16x16x16_f16 v[70:73], v[10:11], v[2:3], 0
	v_lshl_add_u64 v[64:65], v[6:7], 0, v[54:55]
	v_lshl_add_u64 v[56:57], v[60:61], 0, v[58:59]
	s_add_u32 s4, s14, s4
	v_mfma_f32_16x16x16_f16 v[66:69], v[14:15], v[2:3], 0
	s_addc_u32 s5, s15, s5
	v_mfma_f32_16x16x16_f16 v[10:13], v[12:13], v[4:5], v[70:73]
	v_mfma_f32_16x16x16_f16 v[14:17], v[16:17], v[4:5], v[66:69]
	s_nop 1
	v_lshl_add_u64 v[72:73], v[6:7], 0, v[62:63]
	s_waitcnt vmcnt(5) lgkmcnt(2)
	v_mfma_f32_16x16x16_f16 v[10:13], v[38:39], v[34:35], v[10:13]
	v_add_u32_e32 v66, s10, v74
	v_ashrrev_i32_e32 v54, 5, v66
	v_add_u32_e32 v67, s10, v84
	v_mfma_f32_16x16x16_f16 v[14:17], v[42:43], v[34:35], v[14:17]
	v_lshl_add_u64 v[42:43], v[60:61], 0, v[62:63]
	v_ashrrev_i32_e32 v60, 5, v67
	v_add_u32_e32 v68, s10, v85
	v_mfma_f32_16x16x16_f16 v[10:13], v[40:41], v[36:37], v[10:13]
	global_load_dwordx4 v[38:41], v[42:43], off
	v_cndmask_b32_e32 v42, v75, v54, vcc
	v_ashrrev_i32_e32 v43, 31, v42
	v_mfma_f32_16x16x16_f16 v[14:17], v[44:45], v[36:37], v[14:17]
	v_cmp_gt_i32_e32 vcc, s40, v84
	v_ashrrev_i32_e32 v66, 5, v68
	v_add_u32_e32 v69, s10, v86
	s_waitcnt vmcnt(5) lgkmcnt(1)
	v_mfma_f32_16x16x16_f16 v[14:17], v[30:31], v[50:51], v[14:17]
	v_lshl_add_u64 v[30:31], v[42:43], 2, s[6:7]
	global_load_dwordx4 v[42:45], v[56:57], off
	v_ashrrev_i32_e32 v68, 5, v69
	global_load_dword v30, v[30:31], off
	s_waitcnt vmcnt(5)
	v_mfma_f32_16x16x16_f16 v[10:13], v[26:27], v[50:51], v[10:13]
	v_cndmask_b32_e32 v26, v75, v60, vcc
	v_ashrrev_i32_e32 v27, 31, v26
	v_lshl_add_u64 v[26:27], v[26:27], 2, s[6:7]
	global_load_dwordx4 v[60:63], v[64:65], off
	global_load_dword v56, v[26:27], off
	v_mfma_f32_16x16x16_f16 v[14:17], v[32:33], v[52:53], v[14:17]
	v_cmp_gt_i32_e32 vcc, s40, v85
	s_nop 1
	v_cndmask_b32_e32 v26, v75, v66, vcc
	v_ashrrev_i32_e32 v27, 31, v26
	s_waitcnt lgkmcnt(0)
	v_mfma_f32_16x16x16_f16 v[14:17], v[22:23], v[46:47], v[14:17]
	v_lshl_add_u64 v[22:23], v[26:27], 2, s[6:7]
	global_load_dword v57, v[22:23], off
	v_cmp_gt_i32_e32 vcc, s40, v86
	global_load_dwordx4 v[64:67], v[64:65], off offset:2048
	v_mfma_f32_16x16x16_f16 v[10:13], v[28:29], v[52:53], v[10:13]
	global_load_dwordx4 v[84:87], v[72:73], off
	s_waitcnt vmcnt(9)
	v_mfma_f32_16x16x16_f16 v[10:13], v[18:19], v[46:47], v[10:13]
	v_cndmask_b32_e32 v18, v75, v68, vcc
	v_ashrrev_i32_e32 v19, 31, v18
	v_mfma_f32_16x16x16_f16 v[90:93], v[20:21], v[48:49], v[10:13]
	s_nop 3
	v_lshl_add_u64 v[10:11], v[6:7], 0, v[58:59]
	global_load_dwordx4 v[72:75], v[10:11], off
	v_mfma_f32_16x16x16_f16 v[68:71], v[24:25], v[48:49], v[14:17]
	v_and_b32_e32 v10, 16, v0
	v_lshlrev_b32_e32 v54, 1, v10
	v_and_b32_e32 v10, 15, v0
	v_lshl_add_u64 v[14:15], v[18:19], 2, s[6:7]
	global_load_dword v88, v[14:15], off
	v_mfma_f32_16x16x16_f16 v[6:9], v[8:9], v[4:5], v[80:83]
	v_lshl_or_b32 v89, v89, 4, v10
	s_waitcnt vmcnt(10)
	v_mfma_f32_16x16x16_f16 v[6:9], v[76:77], v[34:35], v[6:9]
	v_lshl_add_u64 v[76:77], s[4:5], 0, v[54:55]
	v_lshlrev_b32_e32 v54, 6, v89
	v_pk_mul_f32 v[82:83], s[8:9], v[92:93] op_sel_hi:[0,1]
	v_mfma_f32_16x16x16_f16 v[6:9], v[78:79], v[36:37], v[6:9]
	v_lshl_add_u64 v[78:79], v[76:77], 0, v[54:55]
	v_or_b32_e32 v54, 0x1000, v54
	s_waitcnt vmcnt(7)
	v_mad_i64_i32 v[10:11], s[4:5], v30, s9, 0
	v_mfma_f32_16x16x16_f16 v[6:9], v[38:39], v[50:51], v[6:9]
	v_lshlrev_b64 v[80:81], 1, v[10:11]
	v_lshl_add_u64 v[10:11], v[78:79], 0, v[80:81]
	global_load_dwordx4 v[30:33], v[10:11], off
	global_load_dwordx4 v[26:29], v[10:11], off offset:16
	v_mfma_f32_16x16x16_f16 v[6:9], v[40:41], v[52:53], v[6:9]
	s_waitcnt vmcnt(7)
	v_mad_i64_i32 v[10:11], s[4:5], v56, s9, 0
	v_mfma_f32_16x16x16_f16 v[6:9], v[42:43], v[46:47], v[6:9]
	v_lshlrev_b64 v[42:43], 1, v[10:11]
	v_mfma_f32_16x16x16_f16 v[38:41], v[44:45], v[48:49], v[6:9]
	s_nop 4
	v_lshl_add_u64 v[6:7], v[78:79], 0, v[42:43]
	global_load_dwordx4 v[22:25], v[6:7], off
	global_load_dwordx4 v[18:21], v[6:7], off offset:16
	v_mfma_f32_16x16x16_f16 v[6:9], v[60:61], v[2:3], 0
	s_waitcnt vmcnt(8)
	v_mad_i64_i32 v[2:3], s[4:5], v57, s9, 0
	v_lshlrev_b64 v[56:57], 1, v[2:3]
	v_mfma_f32_16x16x16_f16 v[2:5], v[62:63], v[4:5], v[6:9]
	v_pk_mul_f32 v[60:61], s[8:9], v[68:69] op_sel_hi:[0,1]
	v_lshl_add_u64 v[62:63], v[76:77], 0, v[54:55]
	v_lshl_add_u64 v[44:45], v[62:63], 0, v[80:81]
	s_waitcnt vmcnt(7)
	v_mfma_f32_16x16x16_f16 v[2:5], v[64:65], v[34:35], v[2:5]
	v_lshl_add_u64 v[6:7], v[78:79], 0, v[56:57]
	global_load_dwordx4 v[14:17], v[6:7], off
	global_load_dwordx4 v[10:13], v[6:7], off offset:16
	v_pk_mul_f32 v[80:81], s[8:9], v[70:71] op_sel_hi:[0,1]
	v_mfma_f32_16x16x16_f16 v[34:37], v[66:67], v[36:37], v[2:5]
	v_pk_mul_f32 v[70:71], s[8:9], v[90:91] op_sel_hi:[0,1]
	v_pk_mul_f32 v[76:77], s[8:9], v[40:41] op_sel_hi:[0,1]
	s_waitcnt vmcnt(6)
	v_mad_i64_i32 v[6:7], s[4:5], v88, s9, 0
	v_mfma_f32_16x16x16_f16 v[34:37], v[84:85], v[50:51], v[34:37]
	v_lshlrev_b64 v[58:59], 1, v[6:7]
	v_lshl_add_u64 v[2:3], v[78:79], 0, v[58:59]
	v_pk_mul_f32 v[78:79], s[8:9], v[38:39] op_sel_hi:[0,1]
	v_mfma_f32_16x16x16_f16 v[34:37], v[86:87], v[52:53], v[34:37]
	v_lshl_add_u64 v[58:59], v[62:63], 0, v[58:59]
	global_load_dwordx4 v[6:9], v[2:3], off
	s_nop 0
	global_load_dwordx4 v[2:5], v[2:3], off offset:16
	v_mfma_f32_16x16x16_f16 v[34:37], v[72:73], v[46:47], v[34:37]
	v_mfma_f32_16x16x16_f16 v[34:37], v[74:75], v[48:49], v[34:37]
	s_nop 6
	v_pk_mul_f32 v[72:73], s[8:9], v[34:35] op_sel_hi:[0,1]
	v_and_b32_e32 v34, 0xc0, v0
	v_add_u32_e32 v34, s18, v34
	v_lshl_or_b32 v34, v1, 2, v34
	v_pk_mul_f32 v[66:67], s[8:9], v[36:37] op_sel_hi:[0,1]
	v_or_b32_e32 v37, 1, v34
	v_mov_b32_e32 v35, 0xff7fffff
	v_cmp_gt_i32_e64 s[4:5], s40, v34
	v_cmp_gt_i32_e64 s[34:35], s40, v37
	v_or_b32_e32 v38, 3, v34
	v_cndmask_b32_e64 v36, v35, v60, s[4:5]
	v_cndmask_b32_e64 v37, v35, v61, s[34:35]
	v_max3_f32 v36, v36, s42, v37
	v_or_b32_e32 v37, 2, v34
	v_cmp_gt_i32_e64 s[36:37], s40, v37
	v_cmp_gt_i32_e64 s[38:39], s40, v38
	v_and_b32_e32 v1, 63, v0
	v_cndmask_b32_e64 v37, v35, v80, s[36:37]
	v_cndmask_b32_e64 v38, v35, v81, s[38:39]
	v_max3_f32 v36, v36, v37, v38
	v_or_b32_e32 v37, 16, v34
	v_or_b32_e32 v38, 17, v34
	v_cmp_gt_i32_e64 s[24:25], s40, v37
	v_cmp_gt_i32_e64 s[26:27], s40, v38
	s_nop 0
	v_cndmask_b32_e64 v37, v35, v70, s[24:25]
	v_cndmask_b32_e64 v38, v35, v71, s[26:27]
	v_max3_f32 v36, v36, v37, v38
	v_or_b32_e32 v37, 18, v34
	v_or_b32_e32 v38, 19, v34
	v_cmp_gt_i32_e64 s[20:21], s40, v37
	v_cmp_gt_i32_e64 s[22:23], s40, v38
	s_nop 0
	;; [unrolled: 8-line block ×5, first 2 shown]
	v_cndmask_b32_e64 v37, v35, v72, s[8:9]
	v_cndmask_b32_e64 v38, v35, v73, s[10:11]
	v_max3_f32 v36, v36, v37, v38
	v_or_b32_e32 v37, 50, v34
	v_or_b32_e32 v34, 51, v34
	v_cmp_gt_i32_e32 vcc, s40, v37
	v_cmp_gt_i32_e64 s[6:7], s40, v34
	global_load_dwordx4 v[46:49], v[44:45], off
	global_load_dwordx4 v[38:41], v[44:45], off offset:16
	v_cndmask_b32_e32 v37, v35, v66, vcc
	v_cndmask_b32_e64 v34, v35, v67, s[6:7]
	v_max3_f32 v50, v36, v37, v34
	v_mbcnt_lo_u32_b32 v34, -1, 0
	v_mbcnt_hi_u32_b32 v51, -1, v34
	v_and_b32_e32 v34, 64, v51
	v_add_u32_e32 v52, 64, v34
	v_xor_b32_e32 v34, 32, v51
	v_cmp_lt_i32_e64 s[40:41], v34, v52
	s_nop 1
	v_cndmask_b32_e64 v34, v51, v34, s[40:41]
	v_lshlrev_b32_e32 v74, 2, v34
	ds_bpermute_b32 v53, v74, v50
	v_lshl_add_u64 v[34:35], v[62:63], 0, v[42:43]
	global_load_dwordx4 v[42:45], v[34:35], off
	s_nop 0
	global_load_dwordx4 v[34:37], v[34:35], off offset:16
	s_waitcnt lgkmcnt(0)
	v_max_f32_e32 v53, v53, v53
	v_max_f32_e32 v64, v50, v53
	v_xor_b32_e32 v50, 16, v51
	v_cmp_lt_i32_e64 s[40:41], v50, v52
	s_nop 1
	v_cndmask_b32_e64 v50, v51, v50, s[40:41]
	v_lshlrev_b32_e32 v75, 2, v50
	ds_bpermute_b32 v65, v75, v64
	v_lshl_add_u64 v[50:51], v[62:63], 0, v[56:57]
	global_load_dwordx4 v[54:57], v[50:51], off
	s_nop 0
	global_load_dwordx4 v[50:53], v[50:51], off offset:16
	s_waitcnt lgkmcnt(0)
	v_max_f32_e32 v62, v65, v65
	v_max_f32_e32 v90, v64, v62
	v_sub_f32_e32 v60, v60, v90
	v_mul_f32_e32 v60, 0x3fb8aa3b, v60
	v_exp_f32_e32 v68, v60
	v_sub_f32_e32 v60, v61, v90
	v_mul_f32_e32 v60, 0x3fb8aa3b, v60
	v_exp_f32_e32 v69, v60
	global_load_dwordx4 v[62:65], v[58:59], off
	s_nop 0
	global_load_dwordx4 v[58:61], v[58:59], off offset:16
	v_sub_f32_e32 v80, v80, v90
	v_mul_f32_e32 v80, 0x3fb8aa3b, v80
	v_sub_f32_e32 v81, v81, v90
	v_exp_f32_e32 v80, v80
	v_mul_f32_e32 v81, 0x3fb8aa3b, v81
	v_sub_f32_e32 v70, v70, v90
	v_exp_f32_e32 v81, v81
	v_mul_f32_e32 v70, 0x3fb8aa3b, v70
	v_sub_f32_e32 v71, v71, v90
	v_cndmask_b32_e64 v68, 0, v68, s[4:5]
	v_exp_f32_e32 v70, v70
	v_mul_f32_e32 v71, 0x3fb8aa3b, v71
	v_sub_f32_e32 v82, v82, v90
	v_add_f32_e32 v84, 0, v68
	v_cndmask_b32_e64 v69, 0, v69, s[34:35]
	v_exp_f32_e32 v71, v71
	v_mul_f32_e32 v82, 0x3fb8aa3b, v82
	v_sub_f32_e32 v83, v83, v90
	v_add_f32_e32 v84, v84, v69
	;; [unrolled: 5-line block ×10, first 2 shown]
	v_cndmask_b32_e64 v76, 0, v76, s[12:13]
	v_exp_f32_e32 v66, v66
	v_mul_f32_e32 v67, 0x3fb8aa3b, v67
	v_add_f32_e32 v84, v84, v76
	v_cndmask_b32_e64 v77, 0, v77, s[14:15]
	v_exp_f32_e32 v67, v67
	v_add_f32_e32 v84, v84, v77
	v_cndmask_b32_e64 v72, 0, v72, s[8:9]
	v_add_f32_e32 v84, v84, v72
	v_cndmask_b32_e64 v73, 0, v73, s[10:11]
	v_add_f32_e32 v84, v84, v73
	v_cndmask_b32_e32 v66, 0, v66, vcc
	v_add_f32_e32 v84, v84, v66
	v_cndmask_b32_e64 v67, 0, v67, s[6:7]
	v_add_f32_e32 v84, v84, v67
	ds_bpermute_b32 v74, v74, v84
	v_cmp_gt_u32_e32 vcc, 16, v1
	s_waitcnt lgkmcnt(0)
	s_barrier
	v_add_f32_e32 v91, v84, v74
	ds_bpermute_b32 v92, v75, v91
	s_and_saveexec_b64 s[4:5], vcc
	s_cbranch_execz .LBB383_15
; %bb.14:
	s_waitcnt lgkmcnt(0)
	v_add_f32_e32 v74, v91, v92
	v_lshlrev_b32_e32 v75, 2, v89
	ds_write2st64_b32 v75, v90, v74 offset1:1
.LBB383_15:
	s_or_b64 exec, exec, s[4:5]
	v_and_b32_e32 v1, 15, v0
	v_lshlrev_b32_e32 v89, 2, v1
	s_load_dword s6, s[0:1], 0x94
	s_waitcnt lgkmcnt(0)
	s_barrier
	ds_read2_b32 v[74:75], v89 offset1:16
	ds_read2_b32 v[84:85], v89 offset0:32 offset1:48
	s_lshl_b32 s7, s33, 2
	s_waitcnt lgkmcnt(1)
	v_max3_f32 v86, v74, s42, v75
	s_waitcnt lgkmcnt(0)
	v_max3_f32 v88, v86, v84, v85
	v_sub_f32_e32 v74, v74, v88
	v_mul_f32_e32 v74, 0x3fb8aa3b, v74
	v_exp_f32_e32 v90, v74
	v_sub_f32_e32 v74, v75, v88
	v_mul_f32_e32 v74, 0x3fb8aa3b, v74
	ds_read2_b32 v[86:87], v89 offset0:64 offset1:80
	v_exp_f32_e32 v91, v74
	v_sub_f32_e32 v74, v84, v88
	v_mul_f32_e32 v74, 0x3fb8aa3b, v74
	v_exp_f32_e32 v84, v74
	ds_read2_b32 v[74:75], v89 offset0:96 offset1:112
	v_sub_f32_e32 v85, v85, v88
	v_mul_f32_e32 v85, 0x3fb8aa3b, v85
	v_exp_f32_e32 v85, v85
	s_waitcnt lgkmcnt(1)
	v_fma_f32 v89, v90, v86, 0
	v_fmac_f32_e32 v89, v91, v87
	s_waitcnt lgkmcnt(0)
	v_fmac_f32_e32 v89, v84, v74
	v_fmac_f32_e32 v89, v85, v75
	v_add_f32_e32 v74, 0x358637bd, v89
	v_div_scale_f32 v75, s[4:5], v74, v74, 1.0
	v_rcp_f32_e32 v86, v75
	s_barrier
	v_fma_f32 v87, -v75, v86, 1.0
	v_fmac_f32_e32 v86, v87, v86
	v_div_scale_f32 v87, vcc, 1.0, v74, 1.0
	v_mul_f32_e32 v92, v87, v86
	v_fma_f32 v93, -v75, v92, v87
	v_fmac_f32_e32 v92, v93, v86
	v_fma_f32 v75, -v75, v92, v87
	v_lshrrev_b32_e32 v87, 6, v0
	v_div_fmas_f32 v75, v75, v86, v92
	v_cmp_eq_u32_e32 vcc, 1, v87
	v_div_fixup_f32 v74, v75, v74, 1.0
	v_bfe_u32 v86, v0, 4, 2
	v_cndmask_b32_e32 v75, v90, v91, vcc
	v_cmp_eq_u32_e32 vcc, 2, v87
	s_nop 1
	v_cndmask_b32_e32 v75, v75, v84, vcc
	v_cmp_eq_u32_e32 vcc, 3, v87
	s_nop 1
	v_cndmask_b32_e32 v75, v75, v85, vcc
	v_mul_f32_e32 v74, v75, v74
	v_pk_mul_f32 v[80:81], v[74:75], v[80:81] op_sel_hi:[0,1]
	v_pk_mul_f32 v[68:69], v[74:75], v[68:69] op_sel_hi:[0,1]
	v_cvt_f16_f32_e32 v75, v80
	v_cvt_f16_f32_e32 v80, v81
	;; [unrolled: 1-line block ×4, first 2 shown]
	v_pk_mul_f32 v[70:71], v[74:75], v[70:71] op_sel_hi:[0,1]
	v_pack_b32_f16 v85, v75, v80
	v_pk_mul_f32 v[80:81], v[74:75], v[82:83] op_sel_hi:[0,1]
	v_cvt_f16_f32_e32 v70, v70
	v_cvt_f16_f32_e32 v71, v71
	v_cvt_f16_f32_e32 v75, v80
	v_cvt_f16_f32_e32 v81, v81
	v_pack_b32_f16 v84, v68, v69
	v_lshlrev_b32_e32 v69, 3, v86
	v_lshlrev_b32_e32 v68, 5, v1
	v_lshlrev_b32_e32 v80, 11, v87
	v_or3_b32 v80, v80, v68, v69
	v_pack_b32_f16 v70, v70, v71
	v_pack_b32_f16 v71, v75, v81
	ds_write2st64_b64 v80, v[84:85], v[70:71] offset1:1
	v_pk_mul_f32 v[70:71], v[74:75], v[76:77] op_sel_hi:[0,1]
	v_pk_mul_f32 v[76:77], v[74:75], v[78:79] op_sel_hi:[0,1]
	v_cvt_f16_f32_e32 v75, v77
	v_cvt_f16_f32_e32 v69, v76
	;; [unrolled: 1-line block ×4, first 2 shown]
	v_pk_mul_f32 v[66:67], v[74:75], v[66:67] op_sel_hi:[0,1]
	v_pk_mul_f32 v[70:71], v[74:75], v[72:73] op_sel_hi:[0,1]
	v_cvt_f16_f32_e32 v70, v70
	v_cvt_f16_f32_e32 v71, v71
	;; [unrolled: 1-line block ×4, first 2 shown]
	v_pack_b32_f16 v66, v69, v75
	v_pack_b32_f16 v67, v76, v77
	;; [unrolled: 1-line block ×4, first 2 shown]
	v_cmp_gt_u32_e32 vcc, 4, v0
	ds_write2st64_b64 v80, v[66:67], v[70:71] offset0:2 offset1:3
	s_and_saveexec_b64 s[4:5], vcc
	s_cbranch_execz .LBB383_17
; %bb.16:
	v_or_b32_e32 v66, s29, v0
	v_mov_b32_e32 v67, 0
	v_mov_b32_e32 v69, s7
	v_mad_u64_u32 v[70:71], s[12:13], s2, v69, v[66:67]
	v_mov_b32_e32 v66, s28
	s_load_dwordx4 s[8:11], s[0:1], 0x58
	s_mul_i32 s3, s3, s7
	v_mad_u64_u32 v[66:67], s[12:13], v70, s6, v[66:67]
	v_add_u32_e32 v69, s3, v71
	v_mov_b32_e32 v70, v67
	v_mad_u64_u32 v[70:71], s[12:13], v69, s6, v[70:71]
	v_mov_b32_e32 v67, v70
	v_lshlrev_b64 v[66:67], 2, v[66:67]
	s_waitcnt lgkmcnt(0)
	v_lshl_add_u64 v[70:71], s[10:11], 0, v[66:67]
	v_lshl_add_u64 v[66:67], s[8:9], 0, v[66:67]
	global_store_dword v[70:71], v88, off
	global_store_dword v[66:67], v89, off
.LBB383_17:
	s_or_b64 exec, exec, s[4:5]
	v_lshl_or_b32 v1, v86, 9, v68
	s_waitcnt lgkmcnt(0)
	s_barrier
	ds_read_b128 v[70:73], v1
	ds_read_b128 v[66:69], v1 offset:16
	s_waitcnt vmcnt(15) lgkmcnt(1)
	v_mfma_f32_16x16x16_f16 v[74:77], v[30:31], v[70:71], 0
	s_mov_b32 s3, 0
	v_mfma_f32_16x16x16_f16 v[30:33], v[32:33], v[72:73], v[74:77]
	s_waitcnt vmcnt(14) lgkmcnt(0)
	v_mfma_f32_16x16x16_f16 v[30:33], v[26:27], v[66:67], v[30:33]
	v_mfma_f32_16x16x16_f16 v[26:29], v[28:29], v[68:69], v[30:33]
	s_nop 5
	ds_read_b128 v[30:33], v1 offset:2048
	ds_read_b128 v[74:77], v1 offset:2064
	s_waitcnt vmcnt(13) lgkmcnt(1)
	v_mfma_f32_16x16x16_f16 v[26:29], v[22:23], v[30:31], v[26:29]
	v_mfma_f32_16x16x16_f16 v[22:25], v[24:25], v[32:33], v[26:29]
	s_waitcnt vmcnt(12) lgkmcnt(0)
	v_mfma_f32_16x16x16_f16 v[22:25], v[18:19], v[74:75], v[22:25]
	v_mfma_f32_16x16x16_f16 v[18:21], v[20:21], v[76:77], v[22:25]
	s_nop 5
	ds_read_b128 v[22:25], v1 offset:4096
	ds_read_b128 v[26:29], v1 offset:4112
	s_waitcnt vmcnt(11) lgkmcnt(1)
	v_mfma_f32_16x16x16_f16 v[18:21], v[14:15], v[22:23], v[18:21]
	v_mfma_f32_16x16x16_f16 v[14:17], v[16:17], v[24:25], v[18:21]
	s_waitcnt vmcnt(10) lgkmcnt(0)
	v_mfma_f32_16x16x16_f16 v[14:17], v[10:11], v[26:27], v[14:17]
	v_mfma_f32_16x16x16_f16 v[10:13], v[12:13], v[28:29], v[14:17]
	s_nop 5
	ds_read_b128 v[14:17], v1 offset:6144
	ds_read_b128 v[18:21], v1 offset:6160
	s_waitcnt lgkmcnt(0)
	s_barrier
	s_waitcnt vmcnt(9)
	v_mfma_f32_16x16x16_f16 v[10:13], v[6:7], v[14:15], v[10:13]
	v_mfma_f32_16x16x16_f16 v[6:9], v[8:9], v[16:17], v[10:13]
	s_waitcnt vmcnt(8)
	v_mfma_f32_16x16x16_f16 v[6:9], v[2:3], v[18:19], v[6:9]
	v_mfma_f32_16x16x16_f16 v[2:5], v[4:5], v[20:21], v[6:9]
	;; [unrolled: 3-line block ×3, first 2 shown]
	s_nop 3
	v_cvt_f16_f32_e32 v1, v2
	v_cvt_f16_f32_e32 v10, v3
	;; [unrolled: 1-line block ×3, first 2 shown]
	s_waitcnt vmcnt(6)
	v_mfma_f32_16x16x16_f16 v[6:9], v[38:39], v[66:67], v[6:9]
	v_cvt_f16_f32_e32 v12, v5
	v_mfma_f32_16x16x16_f16 v[6:9], v[40:41], v[68:69], v[6:9]
	s_waitcnt vmcnt(5)
	v_mfma_f32_16x16x16_f16 v[6:9], v[42:43], v[30:31], v[6:9]
	v_mfma_f32_16x16x16_f16 v[6:9], v[44:45], v[32:33], v[6:9]
	s_waitcnt vmcnt(4)
	v_mfma_f32_16x16x16_f16 v[6:9], v[34:35], v[74:75], v[6:9]
	;; [unrolled: 3-line block ×6, first 2 shown]
	v_mfma_f32_16x16x16_f16 v[2:5], v[60:61], v[20:21], v[6:9]
	s_nop 6
	v_cvt_f16_f32_e32 v6, v2
	v_cvt_f16_f32_e32 v7, v3
	;; [unrolled: 1-line block ×4, first 2 shown]
	v_pack_b32_f16 v2, v1, v10
	v_pack_b32_f16 v3, v11, v12
	v_pack_b32_f16 v4, v6, v7
	v_pack_b32_f16 v5, v8, v5
	ds_write2st64_b64 v80, v[2:3], v[4:5] offset1:1
	s_waitcnt lgkmcnt(0)
	s_barrier
	s_and_saveexec_b64 s[4:5], s[30:31]
	s_cbranch_execz .LBB383_19
; %bb.18:
	v_and_b32_e32 v2, 15, v0
	v_lshlrev_b32_e32 v2, 6, v2
	v_lshlrev_b32_e32 v1, 4, v0
	v_lshl_or_b32 v0, v0, 10, v2
	scratch_load_dword v2, off, off offset:4 ; 4-byte Folded Reload
	scratch_load_dword v4, off, off         ; 4-byte Folded Reload
	s_load_dwordx2 s[0:1], s[0:1], 0x68
	s_lshl_b32 s6, s6, 7
	s_mul_i32 s2, s7, s2
	s_mul_hi_u32 s5, s2, s6
	s_mul_i32 s4, s2, s6
	s_lshl_b64 s[4:5], s[4:5], 1
	v_and_b32_e32 v1, 16, v1
	v_and_b32_e32 v0, 0x1a00, v0
	s_waitcnt lgkmcnt(0)
	s_add_u32 s4, s0, s4
	s_addc_u32 s5, s1, s5
	s_lshl_b32 s2, s28, 7
	s_lshl_b64 s[0:1], s[2:3], 1
	s_add_u32 s0, s4, s0
	s_addc_u32 s1, s5, s1
	s_waitcnt vmcnt(1)
	v_or3_b32 v0, v0, v2, v1
	ds_read_b128 v[0:3], v0
	s_waitcnt vmcnt(0)
	v_mad_u64_u32 v[4:5], s[2:3], s6, v4, 0
	v_lshl_add_u64 v[4:5], v[4:5], 1, s[0:1]
	v_lshl_add_u64 v[4:5], v[94:95], 1, v[4:5]
	s_waitcnt lgkmcnt(0)
	global_store_dwordx4 v[4:5], v[0:3], off
.LBB383_19:
	s_endpgm
	.section	.rodata,"a",@progbits
	.p2align	6, 0x0
	.amdhsa_kernel _Z39paged_attention_ll4mi_QKV_mfma16_kernelIDF16_DF16_LN4vllm18Fp8KVCacheDataTypeE0EDF16_Li32ELi128ELi256ELb0ELi4EEvPKT_PKT0_S7_ifPKiS9_S9_iPKfiiiPfSC_PS2_PT2_iSB_SB_
		.amdhsa_group_segment_fixed_size 8192
		.amdhsa_private_segment_fixed_size 12
		.amdhsa_kernarg_size 400
		.amdhsa_user_sgpr_count 2
		.amdhsa_user_sgpr_dispatch_ptr 0
		.amdhsa_user_sgpr_queue_ptr 0
		.amdhsa_user_sgpr_kernarg_segment_ptr 1
		.amdhsa_user_sgpr_dispatch_id 0
		.amdhsa_user_sgpr_kernarg_preload_length 0
		.amdhsa_user_sgpr_kernarg_preload_offset 0
		.amdhsa_user_sgpr_private_segment_size 0
		.amdhsa_uses_dynamic_stack 0
		.amdhsa_enable_private_segment 1
		.amdhsa_system_sgpr_workgroup_id_x 1
		.amdhsa_system_sgpr_workgroup_id_y 1
		.amdhsa_system_sgpr_workgroup_id_z 1
		.amdhsa_system_sgpr_workgroup_info 0
		.amdhsa_system_vgpr_workitem_id 0
		.amdhsa_next_free_vgpr 96
		.amdhsa_next_free_sgpr 43
		.amdhsa_accum_offset 96
		.amdhsa_reserve_vcc 1
		.amdhsa_float_round_mode_32 0
		.amdhsa_float_round_mode_16_64 0
		.amdhsa_float_denorm_mode_32 3
		.amdhsa_float_denorm_mode_16_64 3
		.amdhsa_dx10_clamp 1
		.amdhsa_ieee_mode 1
		.amdhsa_fp16_overflow 0
		.amdhsa_tg_split 0
		.amdhsa_exception_fp_ieee_invalid_op 0
		.amdhsa_exception_fp_denorm_src 0
		.amdhsa_exception_fp_ieee_div_zero 0
		.amdhsa_exception_fp_ieee_overflow 0
		.amdhsa_exception_fp_ieee_underflow 0
		.amdhsa_exception_fp_ieee_inexact 0
		.amdhsa_exception_int_div_zero 0
	.end_amdhsa_kernel
	.section	.text._Z39paged_attention_ll4mi_QKV_mfma16_kernelIDF16_DF16_LN4vllm18Fp8KVCacheDataTypeE0EDF16_Li32ELi128ELi256ELb0ELi4EEvPKT_PKT0_S7_ifPKiS9_S9_iPKfiiiPfSC_PS2_PT2_iSB_SB_,"axG",@progbits,_Z39paged_attention_ll4mi_QKV_mfma16_kernelIDF16_DF16_LN4vllm18Fp8KVCacheDataTypeE0EDF16_Li32ELi128ELi256ELb0ELi4EEvPKT_PKT0_S7_ifPKiS9_S9_iPKfiiiPfSC_PS2_PT2_iSB_SB_,comdat
.Lfunc_end383:
	.size	_Z39paged_attention_ll4mi_QKV_mfma16_kernelIDF16_DF16_LN4vllm18Fp8KVCacheDataTypeE0EDF16_Li32ELi128ELi256ELb0ELi4EEvPKT_PKT0_S7_ifPKiS9_S9_iPKfiiiPfSC_PS2_PT2_iSB_SB_, .Lfunc_end383-_Z39paged_attention_ll4mi_QKV_mfma16_kernelIDF16_DF16_LN4vllm18Fp8KVCacheDataTypeE0EDF16_Li32ELi128ELi256ELb0ELi4EEvPKT_PKT0_S7_ifPKiS9_S9_iPKfiiiPfSC_PS2_PT2_iSB_SB_
                                        ; -- End function
	.section	.AMDGPU.csdata,"",@progbits
; Kernel info:
; codeLenInByte = 4544
; NumSgprs: 49
; NumVgprs: 96
; NumAgprs: 0
; TotalNumVgprs: 96
; ScratchSize: 12
; MemoryBound: 0
; FloatMode: 240
; IeeeMode: 1
; LDSByteSize: 8192 bytes/workgroup (compile time only)
; SGPRBlocks: 6
; VGPRBlocks: 11
; NumSGPRsForWavesPerEU: 49
; NumVGPRsForWavesPerEU: 96
; AccumOffset: 96
; Occupancy: 5
; WaveLimiterHint : 1
; COMPUTE_PGM_RSRC2:SCRATCH_EN: 1
; COMPUTE_PGM_RSRC2:USER_SGPR: 2
; COMPUTE_PGM_RSRC2:TRAP_HANDLER: 0
; COMPUTE_PGM_RSRC2:TGID_X_EN: 1
; COMPUTE_PGM_RSRC2:TGID_Y_EN: 1
; COMPUTE_PGM_RSRC2:TGID_Z_EN: 1
; COMPUTE_PGM_RSRC2:TIDIG_COMP_CNT: 0
; COMPUTE_PGM_RSRC3_GFX90A:ACCUM_OFFSET: 23
; COMPUTE_PGM_RSRC3_GFX90A:TG_SPLIT: 0
	.section	.text._Z38paged_attention_ll4mi_QKV_mfma4_kernelI14__hip_bfloat16S0_LN4vllm18Fp8KVCacheDataTypeE0EhLi16ELi64ELi256ELb1ELi1EEvPKT_PKT0_S8_ifPKiSA_SA_iPKfiiiPfSD_PS3_PT2_iSC_SC_,"axG",@progbits,_Z38paged_attention_ll4mi_QKV_mfma4_kernelI14__hip_bfloat16S0_LN4vllm18Fp8KVCacheDataTypeE0EhLi16ELi64ELi256ELb1ELi1EEvPKT_PKT0_S8_ifPKiSA_SA_iPKfiiiPfSD_PS3_PT2_iSC_SC_,comdat
	.protected	_Z38paged_attention_ll4mi_QKV_mfma4_kernelI14__hip_bfloat16S0_LN4vllm18Fp8KVCacheDataTypeE0EhLi16ELi64ELi256ELb1ELi1EEvPKT_PKT0_S8_ifPKiSA_SA_iPKfiiiPfSD_PS3_PT2_iSC_SC_ ; -- Begin function _Z38paged_attention_ll4mi_QKV_mfma4_kernelI14__hip_bfloat16S0_LN4vllm18Fp8KVCacheDataTypeE0EhLi16ELi64ELi256ELb1ELi1EEvPKT_PKT0_S8_ifPKiSA_SA_iPKfiiiPfSD_PS3_PT2_iSC_SC_
	.globl	_Z38paged_attention_ll4mi_QKV_mfma4_kernelI14__hip_bfloat16S0_LN4vllm18Fp8KVCacheDataTypeE0EhLi16ELi64ELi256ELb1ELi1EEvPKT_PKT0_S8_ifPKiSA_SA_iPKfiiiPfSD_PS3_PT2_iSC_SC_
	.p2align	8
	.type	_Z38paged_attention_ll4mi_QKV_mfma4_kernelI14__hip_bfloat16S0_LN4vllm18Fp8KVCacheDataTypeE0EhLi16ELi64ELi256ELb1ELi1EEvPKT_PKT0_S8_ifPKiSA_SA_iPKfiiiPfSD_PS3_PT2_iSC_SC_,@function
_Z38paged_attention_ll4mi_QKV_mfma4_kernelI14__hip_bfloat16S0_LN4vllm18Fp8KVCacheDataTypeE0EhLi16ELi64ELi256ELb1ELi1EEvPKT_PKT0_S8_ifPKiSA_SA_iPKfiiiPfSD_PS3_PT2_iSC_SC_: ; @_Z38paged_attention_ll4mi_QKV_mfma4_kernelI14__hip_bfloat16S0_LN4vllm18Fp8KVCacheDataTypeE0EhLi16ELi64ELi256ELb1ELi1EEvPKT_PKT0_S8_ifPKiSA_SA_iPKfiiiPfSD_PS3_PT2_iSC_SC_
; %bb.0:
	s_load_dwordx2 s[8:9], s[0:1], 0x30
	s_mov_b32 s16, s3
	s_mov_b64 s[6:7], 0
	s_waitcnt lgkmcnt(0)
	s_cmp_lg_u64 s[8:9], 0
	s_cselect_b64 s[10:11], -1, 0
	s_and_b64 vcc, exec, s[10:11]
	s_cbranch_vccz .LBB384_10
; %bb.1:
	s_add_i32 s12, s2, 1
	s_mov_b32 s13, 0
	s_lshl_b64 s[14:15], s[12:13], 2
	s_add_u32 s14, s8, s14
	s_mov_b32 s3, s13
	s_addc_u32 s15, s9, s15
	s_lshl_b64 s[12:13], s[2:3], 2
	s_add_u32 s12, s8, s12
	s_addc_u32 s13, s9, s13
	s_load_dword s5, s[14:15], 0x0
	s_load_dword s17, s[12:13], 0x0
	s_waitcnt lgkmcnt(0)
	s_sub_i32 s5, s5, s17
	s_cmp_eq_u32 s5, 1
	s_cselect_b64 s[12:13], -1, 0
	s_andn2_b64 vcc, exec, s[6:7]
	s_cbranch_vccnz .LBB384_3
.LBB384_2:
	s_mov_b32 s3, 0
	s_mov_b64 s[12:13], -1
.LBB384_3:
	s_andn2_b64 vcc, exec, s[12:13]
	s_cbranch_vccnz .LBB384_25
; %bb.4:
	s_load_dword s5, s[0:1], 0x9c
	s_load_dwordx2 s[6:7], s[0:1], 0x28
	s_add_u32 s20, s0, 0x90
	s_addc_u32 s21, s1, 0
	s_lshl_b64 s[24:25], s[2:3], 2
	s_waitcnt lgkmcnt(0)
	s_and_b32 s5, s5, 0xffff
	s_add_u32 s6, s6, s24
	s_addc_u32 s7, s7, s25
	s_load_dword s3, s[6:7], 0x0
	s_mul_i32 s5, s16, s5
	s_waitcnt lgkmcnt(0)
	s_cmp_ge_i32 s5, s3
	s_cbranch_scc1 .LBB384_25
; %bb.5:
	v_and_b32_e32 v2, 0xc0, v0
	v_add_u32_e32 v2, s5, v2
	v_lshrrev_b32_e32 v1, 6, v0
	v_cmp_gt_i32_e64 s[6:7], s3, v2
	v_cmp_le_i32_e32 vcc, s3, v2
                                        ; implicit-def: $sgpr26
                                        ; implicit-def: $sgpr17
	s_and_saveexec_b64 s[12:13], vcc
	s_xor_b64 s[12:13], exec, s[12:13]
	s_cbranch_execz .LBB384_7
; %bb.6:
	v_mul_u32_u24_e32 v2, 20, v1
	v_or_b32_e32 v2, 0xa00, v2
	v_mov_b32_e32 v3, 0xa50
	v_mov_b32_e32 v4, 0xff7fffff
	v_mad_u32_u24 v3, v1, 20, v3
	ds_write2_b32 v2, v4, v4 offset1:1
	v_mov_b32_e32 v2, 0
	ds_write2_b32 v3, v2, v2 offset1:1
	v_mov_b32_e32 v3, 0xa08
	s_mov_b32 s17, 0xff7fffff
	s_mov_b32 s26, 0
	v_mad_u32_u24 v3, v1, 20, v3
	v_mov_b32_e32 v5, 0xa58
	v_mad_u32_u24 v5, v1, 20, v5
	ds_write2_b32 v3, v4, v4 offset1:1
	ds_write2_b32 v5, v2, v2 offset1:1
                                        ; implicit-def: $vgpr2
.LBB384_7:
	s_or_saveexec_b64 s[22:23], s[12:13]
	s_load_dwordx2 s[18:19], s[0:1], 0x68
	s_load_dwordx4 s[12:15], s[0:1], 0x58
	s_load_dword s33, s[20:21], 0x4
	v_and_b32_e32 v56, 63, v0
	v_and_b32_e32 v57, 3, v0
	v_mov_b32_e32 v37, s26
	v_mov_b32_e32 v40, s17
	;; [unrolled: 1-line block ×5, first 2 shown]
                                        ; implicit-def: $vgpr3
                                        ; implicit-def: $vgpr7
                                        ; implicit-def: $vgpr11
                                        ; implicit-def: $vgpr15
                                        ; implicit-def: $vgpr19
                                        ; implicit-def: $vgpr23
                                        ; implicit-def: $vgpr27
                                        ; implicit-def: $vgpr31
	s_xor_b64 exec, exec, s[22:23]
	s_cbranch_execz .LBB384_19
; %bb.8:
	s_add_i32 s28, s3, 15
	s_ashr_i32 s29, s28, 31
	s_lshr_b32 s29, s29, 28
	v_add_u32_e32 v58, s5, v0
	s_add_i32 s28, s28, s29
	v_ashrrev_i32_e32 v3, 31, v58
	s_load_dwordx2 s[26:27], s[0:1], 0x20
	s_load_dword s17, s[0:1], 0x38
	s_ashr_i32 s28, s28, 4
	v_lshrrev_b32_e32 v3, 28, v3
	s_add_i32 s30, s28, -1
	v_add_u32_e32 v3, v58, v3
	v_ashrrev_i32_e32 v3, 4, v3
	v_mov_b32_e32 v4, s30
	v_cmp_gt_i32_e32 vcc, s3, v58
	s_waitcnt lgkmcnt(0)
	s_mul_i32 s28, s2, s17
	s_mov_b32 s29, 0
	v_cndmask_b32_e32 v4, v4, v3, vcc
	v_ashrrev_i32_e32 v3, 31, v2
	v_lshrrev_b32_e32 v3, 28, v3
	v_add_u32_e32 v2, v2, v3
	s_lshl_b64 s[28:29], s[28:29], 2
	v_ashrrev_i32_e32 v10, 4, v2
	s_add_u32 s26, s26, s28
	v_min_i32_e32 v2, s30, v10
	s_addc_u32 s27, s27, s29
	v_ashrrev_i32_e32 v3, 31, v2
	v_lshl_add_u64 v[6:7], v[2:3], 2, s[26:27]
	v_add_u32_e32 v2, 1, v10
	v_min_i32_e32 v2, s30, v2
	v_ashrrev_i32_e32 v3, 31, v2
	v_lshl_add_u64 v[8:9], v[2:3], 2, s[26:27]
	v_add_u32_e32 v2, 2, v10
	v_min_i32_e32 v2, s30, v2
	v_ashrrev_i32_e32 v3, 31, v2
	v_lshl_add_u64 v[12:13], v[2:3], 2, s[26:27]
	v_add_u32_e32 v2, 3, v10
	v_ashrrev_i32_e32 v5, 31, v4
	v_min_i32_e32 v2, s30, v2
	v_lshl_add_u64 v[4:5], v[4:5], 2, s[26:27]
	v_ashrrev_i32_e32 v3, 31, v2
	v_lshl_add_u64 v[14:15], v[2:3], 2, s[26:27]
	global_load_dword v3, v[4:5], off
	global_load_dword v2, v[6:7], off
	;; [unrolled: 1-line block ×5, first 2 shown]
	s_load_dwordx2 s[28:29], s[0:1], 0x8
	s_andn2_b64 vcc, exec, s[10:11]
	s_cbranch_vccnz .LBB384_11
; %bb.9:
	s_add_u32 s8, s8, s24
	s_addc_u32 s9, s9, s25
	s_load_dword s5, s[8:9], 0x0
	s_branch .LBB384_12
.LBB384_10:
	s_mov_b64 s[12:13], 0
	s_branch .LBB384_2
.LBB384_11:
	s_mov_b32 s5, s2
.LBB384_12:
	s_load_dwordx2 s[24:25], s[0:1], 0x10
	s_load_dwordx4 s[8:11], s[0:1], 0x48
	v_cmp_eq_u32_e32 vcc, 0, v57
	s_mov_b32 s27, 0
	v_mov_b32_e32 v55, 0
	v_mov_b32_e32 v26, 0
	;; [unrolled: 1-line block ×5, first 2 shown]
	s_and_saveexec_b64 s[30:31], vcc
	s_cbranch_execz .LBB384_14
; %bb.13:
	s_load_dwordx2 s[34:35], s[0:1], 0x0
	s_waitcnt lgkmcnt(0)
	s_ashr_i32 s11, s8, 31
	s_mul_hi_u32 s17, s5, s8
	s_mul_i32 s11, s5, s11
	s_add_i32 s37, s17, s11
	s_mul_i32 s36, s5, s8
	s_lshl_b64 s[36:37], s[36:37], 1
	s_add_u32 s5, s34, s36
	s_addc_u32 s8, s35, s37
	s_lshl_b32 s26, s4, 6
	s_lshl_b64 s[34:35], s[26:27], 1
	s_add_u32 s34, s5, s34
	s_addc_u32 s35, s8, s35
	v_lshlrev_b32_e32 v4, 2, v56
	global_load_dwordx4 v[26:29], v4, s[34:35]
.LBB384_14:
	s_or_b64 exec, exec, s[30:31]
	s_waitcnt lgkmcnt(0)
	s_mul_i32 s26, s4, s10
	s_lshl_b64 s[10:11], s[26:27], 1
	s_add_u32 s28, s10, s28
	s_waitcnt vmcnt(4)
	v_mad_i64_i32 v[4:5], s[30:31], v3, s9, 0
	s_addc_u32 s29, s11, s29
	v_and_b32_e32 v3, 15, v0
	v_lshl_add_u64 v[4:5], v[4:5], 1, s[28:29]
	v_lshlrev_b32_e32 v54, 4, v3
	v_lshl_add_u64 v[4:5], v[4:5], 0, v[54:55]
	global_load_dwordx4 v[50:53], v[4:5], off
	global_load_dwordx4 v[46:49], v[4:5], off offset:256
	global_load_dwordx4 v[22:25], v[4:5], off offset:512
	;; [unrolled: 1-line block ×7, first 2 shown]
	v_mov_b32_e32 v54, 0
	s_and_saveexec_b64 s[28:29], vcc
	s_cbranch_execz .LBB384_16
; %bb.15:
	s_load_dwordx2 s[30:31], s[0:1], 0x40
	s_mov_b32 s5, s27
	s_lshl_b64 s[26:27], s[4:5], 2
	v_mov_b32_e32 v55, 1.0
	s_waitcnt lgkmcnt(0)
	s_add_u32 s26, s30, s26
	s_addc_u32 s27, s31, s27
	s_load_dword s5, s[26:27], 0x0
	s_waitcnt lgkmcnt(0)
	v_mov_b32_e32 v54, s5
.LBB384_16:
	s_or_b64 exec, exec, s[28:29]
	s_waitcnt vmcnt(7)
	v_mfma_f32_4x4x4_16b_bf16 a[0:3], v[26:27], v[50:51], 0 cbsz:4
	s_add_u32 s10, s24, s10
	v_mul_hi_i32 v3, v2, s9
	v_mfma_f32_4x4x4_16b_bf16 a[0:3], v[28:29], v[52:53], a[0:3] cbsz:4
	s_addc_u32 s11, s25, s11
	v_lshlrev_b32_e32 v62, 5, v56
	s_waitcnt vmcnt(6)
	v_mfma_f32_4x4x4_16b_bf16 a[0:3], v[26:27], v[46:47], a[0:3] cbsz:4 abid:1
	v_mov_b32_e32 v63, 0
	v_ashrrev_i32_e32 v3, 31, v3
	v_mfma_f32_4x4x4_16b_bf16 a[0:3], v[28:29], v[48:49], a[0:3] cbsz:4 abid:1
	v_mul_hi_i32 v11, v10, s9
	v_lshl_add_u64 v[64:65], s[10:11], 0, v[62:63]
	s_waitcnt vmcnt(5)
	v_mfma_f32_4x4x4_16b_bf16 a[0:3], v[26:27], v[22:23], a[0:3] cbsz:4 abid:2
	v_lshrrev_b32_e32 v62, 29, v3
	v_ashrrev_i32_e32 v11, 31, v11
	v_mfma_f32_4x4x4_16b_bf16 a[0:3], v[28:29], v[24:25], a[0:3] cbsz:4 abid:2
	v_mul_hi_i32 v50, v60, s9
	v_mad_i64_i32 v[2:3], s[10:11], v2, s9, v[62:63]
	s_waitcnt vmcnt(4)
	v_mfma_f32_4x4x4_16b_bf16 a[0:3], v[26:27], v[18:19], a[0:3] cbsz:4 abid:3
	v_lshrrev_b32_e32 v62, 29, v11
	v_ashrrev_i32_e32 v50, 31, v50
	v_mfma_f32_4x4x4_16b_bf16 a[0:3], v[28:29], v[20:21], a[0:3] cbsz:4 abid:3
	v_mad_i64_i32 v[10:11], s[10:11], v10, s9, v[62:63]
	s_waitcnt vmcnt(3)
	v_mfma_f32_4x4x4_16b_bf16 a[0:3], v[26:27], v[42:43], a[0:3] cbsz:4 abid:4
	v_mul_hi_i32 v42, v59, s9
	v_lshrrev_b32_e32 v62, 29, v50
	v_mfma_f32_4x4x4_16b_bf16 a[0:3], v[28:29], v[44:45], a[0:3] cbsz:4 abid:4
	v_ashrrev_i32_e32 v42, 31, v42
	s_load_dword s0, s[0:1], 0x1c
	s_waitcnt vmcnt(2)
	v_mfma_f32_4x4x4_16b_bf16 a[0:3], v[26:27], v[38:39], a[0:3] cbsz:4 abid:5
	v_mad_i64_i32 v[46:47], s[10:11], v60, s9, v[62:63]
	s_nop 0
	v_mfma_f32_4x4x4_16b_bf16 a[0:3], v[28:29], v[40:41], a[0:3] cbsz:4 abid:5
	v_lshrrev_b32_e32 v62, 29, v42
	v_mad_i64_i32 v[38:39], s[8:9], v59, s9, v[62:63]
	s_waitcnt vmcnt(1)
	v_mfma_f32_4x4x4_16b_bf16 a[0:3], v[26:27], v[34:35], a[0:3] cbsz:4 abid:6
	v_lshlrev_b64 v[2:3], 1, v[2:3]
	v_lshlrev_b64 v[10:11], 1, v[10:11]
	v_mfma_f32_4x4x4_16b_bf16 a[0:3], v[28:29], v[36:37], a[0:3] cbsz:4 abid:6
	v_lshlrev_b64 v[22:23], 1, v[46:47]
	v_lshlrev_b64 v[34:35], 1, v[38:39]
	s_waitcnt vmcnt(0)
	v_mfma_f32_4x4x4_16b_bf16 a[0:3], v[26:27], v[30:31], a[0:3] cbsz:4 abid:7
	v_and_b32_e32 v2, -16, v2
	v_and_b32_e32 v10, -16, v10
	v_mfma_f32_4x4x4_16b_bf16 a[0:3], v[28:29], v[32:33], a[0:3] cbsz:4 abid:7
	v_and_b32_e32 v22, -16, v22
	v_and_b32_e32 v34, -16, v34
	v_lshl_add_u64 v[12:13], v[64:65], 0, v[2:3]
	v_lshl_add_u64 v[66:67], v[64:65], 0, v[10:11]
	;; [unrolled: 1-line block ×3, first 2 shown]
	v_accvgpr_read_b32 v27, a1
	v_lshl_add_u64 v[34:35], v[64:65], 0, v[34:35]
	v_accvgpr_read_b32 v26, a0
	global_load_dwordx4 v[2:5], v[12:13], off
	global_load_dwordx4 v[6:9], v[12:13], off offset:16
	s_nop 0
	global_load_dwordx4 v[10:13], v[66:67], off
	global_load_dwordx4 v[14:17], v[66:67], off offset:16
	global_load_dwordx4 v[18:21], v[46:47], off
	global_load_dwordx4 v[22:25], v[46:47], off offset:16
	s_waitcnt lgkmcnt(0)
	v_pk_mul_f32 v[36:37], s[0:1], v[26:27] op_sel_hi:[0,1]
	global_load_dwordx4 v[26:29], v[34:35], off
	global_load_dwordx4 v[30:33], v[34:35], off offset:16
	v_accvgpr_read_b32 v35, a3
	v_accvgpr_read_b32 v34, a2
	v_pk_mul_f32 v[34:35], s[0:1], v[34:35] op_sel_hi:[0,1]
	v_mfma_f32_4x4x1_16b_f32 a[0:3], v36, v55, 0
	v_cmp_eq_u32_e32 vcc, 1, v57
	v_mov_b32_e32 v41, 0xff7fffff
	s_nop 0
	v_cndmask_b32_e64 v36, 0, 1.0, vcc
	v_cmp_eq_u32_e32 vcc, 2, v57
	s_nop 0
	v_mfma_f32_4x4x1_16b_f32 a[0:3], v37, v36, a[0:3]
	v_cndmask_b32_e64 v36, 0, 1.0, vcc
	v_cmp_eq_u32_e32 vcc, 3, v57
	s_nop 0
	v_mfma_f32_4x4x1_16b_f32 a[0:3], v34, v36, a[0:3]
	v_cndmask_b32_e64 v34, 0, 1.0, vcc
	s_nop 1
	v_mfma_f32_4x4x1_16b_f32 a[0:3], v35, v34, a[0:3]
	v_and_b32_e32 v34, -4, v58
	v_subrev_u32_e32 v35, s3, v34
	v_add_u32_e32 v36, 1, v35
	v_cvt_f32_i32_e32 v36, v36
	v_add_u32_e32 v37, 2, v35
	v_cvt_f32_i32_e32 v37, v37
	v_accvgpr_read_b32 v38, a0
	v_fma_f32 v36, v54, v36, v38
	v_accvgpr_read_b32 v38, a1
	v_fma_f32 v37, v54, v37, v38
	v_add_u32_e32 v38, 3, v35
	v_cvt_f32_i32_e32 v38, v38
	v_add_u32_e32 v35, 4, v35
	v_max_f32_e32 v40, 0xff7fffff, v36
	v_cmp_gt_i32_e32 vcc, s3, v34
	v_cvt_f32_i32_e32 v35, v35
	v_accvgpr_read_b32 v39, a2
	v_cndmask_b32_e32 v40, v41, v40, vcc
	v_or_b32_e32 v41, 1, v34
	v_max_f32_e32 v42, v40, v37
	v_cmp_gt_i32_e64 s[0:1], s3, v41
	v_fma_f32 v38, v54, v38, v39
	v_or_b32_e32 v34, 2, v34
	v_cndmask_b32_e64 v40, v40, v42, s[0:1]
	v_accvgpr_read_b32 v39, a3
	v_max_f32_e32 v41, v40, v38
	v_cmp_gt_i32_e64 s[8:9], s3, v34
	v_fmac_f32_e32 v39, v54, v35
	v_lshlrev_b32_e32 v35, 2, v0
	v_cndmask_b32_e64 v34, v40, v41, s[8:9]
	v_or_b32_e32 v40, 3, v58
	v_max_f32_e32 v41, v34, v39
	v_cmp_gt_i32_e64 s[10:11], s3, v40
	v_and_or_b32 v35, v35, 48, v57
	s_nop 0
	v_cndmask_b32_e64 v34, v34, v41, s[10:11]
	;;#ASMSTART
	v_nop
 v_nop
 v_max_f32_dpp v34, v34, v34 row_ror:4
	;;#ASMEND
	v_lshlrev_b32_e32 v41, 2, v35
	;;#ASMSTART
	v_nop
 v_nop
 v_max_f32_dpp v34, v34, v34 row_ror:8
	;;#ASMEND
	ds_bpermute_b32 v34, v41, v34
	s_waitcnt lgkmcnt(0)
	;;#ASMSTART
	v_nop
 v_nop
 v_max_f32_dpp v34, v34, v34 row_ror:4
	;;#ASMEND
	s_nop 0
	;;#ASMSTART
	v_nop
 v_nop
 v_max_f32_dpp v40, v34, v34 row_ror:8
	;;#ASMEND
	s_nop 0
	v_sub_f32_e32 v34, v36, v40
	v_mul_f32_e32 v34, 0x3fb8aa3b, v34
	v_sub_f32_e32 v35, v37, v40
	v_exp_f32_e32 v34, v34
	v_mul_f32_e32 v35, 0x3fb8aa3b, v35
	v_sub_f32_e32 v37, v38, v40
	v_exp_f32_e32 v35, v35
	;; [unrolled: 3-line block ×3, first 2 shown]
	v_mul_f32_e32 v38, 0x3fb8aa3b, v38
	v_exp_f32_e32 v38, v38
	v_cndmask_b32_e32 v34, 0, v34, vcc
	v_add_f32_e32 v36, 0, v34
	v_cndmask_b32_e64 v35, 0, v35, s[0:1]
	v_add_f32_e32 v39, v36, v35
	v_cndmask_b32_e64 v36, 0, v37, s[8:9]
	v_add_f32_e32 v39, v39, v36
	v_cndmask_b32_e64 v37, 0, v38, s[10:11]
	v_add_f32_e32 v38, v39, v37
	;;#ASMSTART
	v_nop
 v_nop
 v_add_f32_dpp v38, v38, v38 row_ror:4
	;;#ASMEND
	v_cmp_gt_u32_e32 vcc, 4, v56
	;;#ASMSTART
	v_nop
 v_nop
 v_add_f32_dpp v38, v38, v38 row_ror:8
	;;#ASMEND
	ds_bpermute_b32 v38, v41, v38
	s_waitcnt lgkmcnt(0)
	;;#ASMSTART
	v_nop
 v_nop
 v_add_f32_dpp v38, v38, v38 row_ror:4
	;;#ASMEND
	s_nop 0
	;;#ASMSTART
	v_nop
 v_nop
 v_add_f32_dpp v38, v38, v38 row_ror:8
	;;#ASMEND
	s_and_saveexec_b64 s[0:1], vcc
	s_cbranch_execz .LBB384_18
; %bb.17:
	v_mul_u32_u24_e32 v39, 20, v1
	v_lshl_add_u32 v39, v57, 2, v39
	v_add_u32_e32 v39, 0x800, v39
	ds_write2_b32 v39, v40, v38 offset0:128 offset1:148
.LBB384_18:
	s_or_b64 exec, exec, s[0:1]
.LBB384_19:
	s_or_b64 exec, exec, s[22:23]
	s_waitcnt lgkmcnt(0)
	s_barrier
	s_load_dword s0, s[20:21], 0x8
	v_lshlrev_b32_e32 v38, 2, v57
	v_add_u32_e32 v46, 0x800, v38
	ds_read2_b32 v[38:39], v46 offset0:128 offset1:133
	ds_read2_b32 v[42:43], v46 offset0:138 offset1:143
	s_mul_i32 s1, s33, s2
	s_waitcnt lgkmcnt(0)
	s_mul_i32 s0, s1, s0
	s_mov_b32 s1, 0xff7fffff
	v_max3_f32 v41, v38, s1, v39
	v_max3_f32 v41, v41, v42, v43
	v_sub_f32_e32 v38, v38, v41
	ds_read2_b32 v[44:45], v46 offset0:148 offset1:153
	v_mul_f32_e32 v38, 0x3fb8aa3b, v38
	v_sub_f32_e32 v39, v39, v41
	v_sub_f32_e32 v42, v42, v41
	v_exp_f32_e32 v48, v38
	v_mul_f32_e32 v39, 0x3fb8aa3b, v39
	v_mul_f32_e32 v42, 0x3fb8aa3b, v42
	v_exp_f32_e32 v39, v39
	ds_read2_b32 v[46:47], v46 offset0:158 offset1:163
	v_exp_f32_e32 v49, v42
	v_sub_f32_e32 v42, v43, v41
	v_mul_f32_e32 v42, 0x3fb8aa3b, v42
	v_exp_f32_e32 v43, v42
	s_waitcnt lgkmcnt(1)
	v_fma_f32 v42, v48, v44, 0
	v_fmac_f32_e32 v42, v39, v45
	s_waitcnt lgkmcnt(0)
	v_fmac_f32_e32 v42, v49, v46
	v_mov_b32_e32 v38, 0
	v_fmac_f32_e32 v42, v43, v47
	s_mov_b32 s1, 0
	v_cmp_eq_u32_e32 vcc, 0, v57
	s_and_saveexec_b64 s[2:3], vcc
	s_cbranch_execz .LBB384_21
; %bb.20:
	s_lshl_b64 s[8:9], s[0:1], 2
	s_add_u32 s5, s12, s8
	s_mov_b32 s17, s1
	s_addc_u32 s12, s13, s9
	s_lshl_b64 s[10:11], s[16:17], 2
	s_add_u32 s5, s5, s10
	s_addc_u32 s12, s12, s11
	s_add_u32 s8, s14, s8
	s_addc_u32 s9, s15, s9
	;; [unrolled: 2-line block ×3, first 2 shown]
	s_mul_i32 s8, s33, s4
	s_mov_b32 s9, s1
	s_lshl_b64 s[8:9], s[8:9], 2
	s_add_u32 s10, s5, s8
	s_addc_u32 s11, s12, s9
	s_add_u32 s8, s13, s8
	s_addc_u32 s9, s14, s9
	global_store_dword v38, v41, s[8:9]
	global_store_dword v38, v42, s[10:11]
.LBB384_21:
	s_or_b64 exec, exec, s[2:3]
	v_mov_b32_e32 v39, 0
	s_and_saveexec_b64 s[2:3], s[6:7]
	s_cbranch_execz .LBB384_23
; %bb.22:
	v_add_f32_e32 v38, 0x358637bd, v42
	v_div_scale_f32 v39, s[6:7], v38, v38, 1.0
	v_rcp_f32_e32 v42, v39
	v_div_scale_f32 v43, vcc, 1.0, v38, 1.0
	v_sub_f32_e32 v40, v40, v41
	v_fma_f32 v44, -v39, v42, 1.0
	v_fmac_f32_e32 v42, v44, v42
	v_mul_f32_e32 v44, v43, v42
	v_fma_f32 v45, -v39, v44, v43
	v_mul_f32_e32 v40, 0x3fb8aa3b, v40
	v_fmac_f32_e32 v44, v45, v42
	v_exp_f32_e32 v40, v40
	v_fma_f32 v39, -v39, v44, v43
	v_div_fmas_f32 v39, v39, v42, v44
	v_div_fixup_f32 v38, v39, v38, 1.0
	v_mul_f32_e32 v38, v40, v38
	v_pk_mul_f32 v[34:35], v[34:35], v[38:39] op_sel_hi:[1,0]
	v_pk_mul_f32 v[36:37], v[36:37], v[38:39] op_sel_hi:[1,0]
	v_bfe_u32 v38, v35, 16, 1
	v_bfe_u32 v39, v34, 16, 1
	s_movk_i32 s1, 0x7fff
	v_add3_u32 v34, v34, v39, s1
	v_add3_u32 v35, v35, v38, s1
	s_mov_b32 s5, 0x7060302
	v_perm_b32 v34, v35, v34, s5
	v_bfe_u32 v35, v37, 16, 1
	v_bfe_u32 v38, v36, 16, 1
	v_add3_u32 v36, v36, v38, s1
	v_add3_u32 v35, v37, v35, s1
	v_perm_b32 v35, v35, v36, s5
	s_waitcnt vmcnt(7)
	s_nop 0
	v_mfma_f32_4x4x4_16b_bf16 a[0:3], v[34:35], v[2:3], 0 cbsz:4
	s_nop 1
	v_mfma_f32_4x4x4_16b_bf16 a[0:3], v[34:35], v[4:5], a[0:3] cbsz:4 abid:1
	s_waitcnt vmcnt(6)
	s_nop 0
	v_mfma_f32_4x4x4_16b_bf16 a[0:3], v[34:35], v[6:7], a[0:3] cbsz:4 abid:2
	s_nop 1
	v_mfma_f32_4x4x4_16b_bf16 a[0:3], v[34:35], v[8:9], a[0:3] cbsz:4 abid:3
	s_waitcnt vmcnt(5)
	s_nop 0
	v_mfma_f32_4x4x4_16b_bf16 a[0:3], v[34:35], v[10:11], a[0:3] cbsz:4 abid:4
	;; [unrolled: 5-line block ×7, first 2 shown]
	s_nop 1
	v_mfma_f32_4x4x4_16b_bf16 a[0:3], v[34:35], v[32:33], a[0:3] cbsz:4 abid:15
	s_nop 4
	v_accvgpr_read_b32 v5, a1
	v_accvgpr_read_b32 v2, a2
	;; [unrolled: 1-line block ×4, first 2 shown]
	v_bfe_u32 v6, v5, 16, 1
	v_bfe_u32 v7, v4, 16, 1
	;; [unrolled: 1-line block ×3, first 2 shown]
	v_add3_u32 v5, v5, v6, s1
	v_bfe_u32 v6, v2, 16, 1
	v_add3_u32 v4, v4, v7, s1
	v_add3_u32 v2, v2, v6, s1
	;; [unrolled: 1-line block ×3, first 2 shown]
	v_perm_b32 v39, v3, v2, s5
	v_perm_b32 v38, v5, v4, s5
.LBB384_23:
	s_or_b64 exec, exec, s[2:3]
	v_lshlrev_b32_e32 v1, 3, v1
	v_mad_u32_u24 v1, v56, 40, v1
	v_cmp_gt_u32_e32 vcc, 64, v0
	ds_write_b64 v1, v[38:39]
	s_waitcnt lgkmcnt(0)
	s_barrier
	s_and_saveexec_b64 s[2:3], vcc
	s_cbranch_execz .LBB384_25
; %bb.24:
	s_waitcnt vmcnt(6)
	v_mul_u32_u24_e32 v6, 40, v56
	ds_read2_b64 v[2:5], v6 offset1:1
	ds_read2_b64 v[6:9], v6 offset0:2 offset1:3
	s_lshl_b32 s0, s0, 6
	s_mov_b32 s1, 0
	s_lshl_b64 s[2:3], s[0:1], 1
	s_waitcnt lgkmcnt(1)
	v_lshlrev_b32_e32 v2, 16, v2
	v_add_f32_e32 v2, 0, v2
	s_add_u32 s2, s18, s2
	v_and_b32_e32 v2, 0xffff0000, v2
	v_lshlrev_b32_e32 v3, 16, v4
	s_addc_u32 s3, s19, s3
	s_lshl_b32 s0, s16, 6
	v_add_f32_e32 v2, v2, v3
	s_lshl_b64 s[0:1], s[0:1], 1
	v_and_b32_e32 v2, 0xffff0000, v2
	s_waitcnt lgkmcnt(0)
	v_lshlrev_b32_e32 v3, 16, v6
	s_add_u32 s0, s2, s0
	s_mul_i32 s2, s4, s33
	v_add_f32_e32 v2, v2, v3
	s_addc_u32 s1, s3, s1
	v_lshl_or_b32 v0, s2, 6, v0
	v_mov_b32_e32 v1, 0
	v_and_b32_e32 v2, 0xffff0000, v2
	v_lshlrev_b32_e32 v3, 16, v8
	v_lshl_add_u64 v[0:1], v[0:1], 1, s[0:1]
	v_add_f32_e32 v2, v2, v3
	global_store_short_d16_hi v[0:1], v2, off
.LBB384_25:
	s_endpgm
	.section	.rodata,"a",@progbits
	.p2align	6, 0x0
	.amdhsa_kernel _Z38paged_attention_ll4mi_QKV_mfma4_kernelI14__hip_bfloat16S0_LN4vllm18Fp8KVCacheDataTypeE0EhLi16ELi64ELi256ELb1ELi1EEvPKT_PKT0_S8_ifPKiSA_SA_iPKfiiiPfSD_PS3_PT2_iSC_SC_
		.amdhsa_group_segment_fixed_size 2720
		.amdhsa_private_segment_fixed_size 0
		.amdhsa_kernarg_size 400
		.amdhsa_user_sgpr_count 2
		.amdhsa_user_sgpr_dispatch_ptr 0
		.amdhsa_user_sgpr_queue_ptr 0
		.amdhsa_user_sgpr_kernarg_segment_ptr 1
		.amdhsa_user_sgpr_dispatch_id 0
		.amdhsa_user_sgpr_kernarg_preload_length 0
		.amdhsa_user_sgpr_kernarg_preload_offset 0
		.amdhsa_user_sgpr_private_segment_size 0
		.amdhsa_uses_dynamic_stack 0
		.amdhsa_enable_private_segment 0
		.amdhsa_system_sgpr_workgroup_id_x 1
		.amdhsa_system_sgpr_workgroup_id_y 1
		.amdhsa_system_sgpr_workgroup_id_z 1
		.amdhsa_system_sgpr_workgroup_info 0
		.amdhsa_system_vgpr_workitem_id 0
		.amdhsa_next_free_vgpr 72
		.amdhsa_next_free_sgpr 38
		.amdhsa_accum_offset 68
		.amdhsa_reserve_vcc 1
		.amdhsa_float_round_mode_32 0
		.amdhsa_float_round_mode_16_64 0
		.amdhsa_float_denorm_mode_32 3
		.amdhsa_float_denorm_mode_16_64 3
		.amdhsa_dx10_clamp 1
		.amdhsa_ieee_mode 1
		.amdhsa_fp16_overflow 0
		.amdhsa_tg_split 0
		.amdhsa_exception_fp_ieee_invalid_op 0
		.amdhsa_exception_fp_denorm_src 0
		.amdhsa_exception_fp_ieee_div_zero 0
		.amdhsa_exception_fp_ieee_overflow 0
		.amdhsa_exception_fp_ieee_underflow 0
		.amdhsa_exception_fp_ieee_inexact 0
		.amdhsa_exception_int_div_zero 0
	.end_amdhsa_kernel
	.section	.text._Z38paged_attention_ll4mi_QKV_mfma4_kernelI14__hip_bfloat16S0_LN4vllm18Fp8KVCacheDataTypeE0EhLi16ELi64ELi256ELb1ELi1EEvPKT_PKT0_S8_ifPKiSA_SA_iPKfiiiPfSD_PS3_PT2_iSC_SC_,"axG",@progbits,_Z38paged_attention_ll4mi_QKV_mfma4_kernelI14__hip_bfloat16S0_LN4vllm18Fp8KVCacheDataTypeE0EhLi16ELi64ELi256ELb1ELi1EEvPKT_PKT0_S8_ifPKiSA_SA_iPKfiiiPfSD_PS3_PT2_iSC_SC_,comdat
.Lfunc_end384:
	.size	_Z38paged_attention_ll4mi_QKV_mfma4_kernelI14__hip_bfloat16S0_LN4vllm18Fp8KVCacheDataTypeE0EhLi16ELi64ELi256ELb1ELi1EEvPKT_PKT0_S8_ifPKiSA_SA_iPKfiiiPfSD_PS3_PT2_iSC_SC_, .Lfunc_end384-_Z38paged_attention_ll4mi_QKV_mfma4_kernelI14__hip_bfloat16S0_LN4vllm18Fp8KVCacheDataTypeE0EhLi16ELi64ELi256ELb1ELi1EEvPKT_PKT0_S8_ifPKiSA_SA_iPKfiiiPfSD_PS3_PT2_iSC_SC_
                                        ; -- End function
	.section	.AMDGPU.csdata,"",@progbits
; Kernel info:
; codeLenInByte = 3264
; NumSgprs: 44
; NumVgprs: 68
; NumAgprs: 4
; TotalNumVgprs: 72
; ScratchSize: 0
; MemoryBound: 0
; FloatMode: 240
; IeeeMode: 1
; LDSByteSize: 2720 bytes/workgroup (compile time only)
; SGPRBlocks: 5
; VGPRBlocks: 8
; NumSGPRsForWavesPerEU: 44
; NumVGPRsForWavesPerEU: 72
; AccumOffset: 68
; Occupancy: 7
; WaveLimiterHint : 1
; COMPUTE_PGM_RSRC2:SCRATCH_EN: 0
; COMPUTE_PGM_RSRC2:USER_SGPR: 2
; COMPUTE_PGM_RSRC2:TRAP_HANDLER: 0
; COMPUTE_PGM_RSRC2:TGID_X_EN: 1
; COMPUTE_PGM_RSRC2:TGID_Y_EN: 1
; COMPUTE_PGM_RSRC2:TGID_Z_EN: 1
; COMPUTE_PGM_RSRC2:TIDIG_COMP_CNT: 0
; COMPUTE_PGM_RSRC3_GFX90A:ACCUM_OFFSET: 16
; COMPUTE_PGM_RSRC3_GFX90A:TG_SPLIT: 0
	.section	.text._Z38paged_attention_ll4mi_QKV_mfma4_kernelI14__hip_bfloat16S0_LN4vllm18Fp8KVCacheDataTypeE0EhLi16ELi64ELi256ELb1ELi2EEvPKT_PKT0_S8_ifPKiSA_SA_iPKfiiiPfSD_PS3_PT2_iSC_SC_,"axG",@progbits,_Z38paged_attention_ll4mi_QKV_mfma4_kernelI14__hip_bfloat16S0_LN4vllm18Fp8KVCacheDataTypeE0EhLi16ELi64ELi256ELb1ELi2EEvPKT_PKT0_S8_ifPKiSA_SA_iPKfiiiPfSD_PS3_PT2_iSC_SC_,comdat
	.protected	_Z38paged_attention_ll4mi_QKV_mfma4_kernelI14__hip_bfloat16S0_LN4vllm18Fp8KVCacheDataTypeE0EhLi16ELi64ELi256ELb1ELi2EEvPKT_PKT0_S8_ifPKiSA_SA_iPKfiiiPfSD_PS3_PT2_iSC_SC_ ; -- Begin function _Z38paged_attention_ll4mi_QKV_mfma4_kernelI14__hip_bfloat16S0_LN4vllm18Fp8KVCacheDataTypeE0EhLi16ELi64ELi256ELb1ELi2EEvPKT_PKT0_S8_ifPKiSA_SA_iPKfiiiPfSD_PS3_PT2_iSC_SC_
	.globl	_Z38paged_attention_ll4mi_QKV_mfma4_kernelI14__hip_bfloat16S0_LN4vllm18Fp8KVCacheDataTypeE0EhLi16ELi64ELi256ELb1ELi2EEvPKT_PKT0_S8_ifPKiSA_SA_iPKfiiiPfSD_PS3_PT2_iSC_SC_
	.p2align	8
	.type	_Z38paged_attention_ll4mi_QKV_mfma4_kernelI14__hip_bfloat16S0_LN4vllm18Fp8KVCacheDataTypeE0EhLi16ELi64ELi256ELb1ELi2EEvPKT_PKT0_S8_ifPKiSA_SA_iPKfiiiPfSD_PS3_PT2_iSC_SC_,@function
_Z38paged_attention_ll4mi_QKV_mfma4_kernelI14__hip_bfloat16S0_LN4vllm18Fp8KVCacheDataTypeE0EhLi16ELi64ELi256ELb1ELi2EEvPKT_PKT0_S8_ifPKiSA_SA_iPKfiiiPfSD_PS3_PT2_iSC_SC_: ; @_Z38paged_attention_ll4mi_QKV_mfma4_kernelI14__hip_bfloat16S0_LN4vllm18Fp8KVCacheDataTypeE0EhLi16ELi64ELi256ELb1ELi2EEvPKT_PKT0_S8_ifPKiSA_SA_iPKfiiiPfSD_PS3_PT2_iSC_SC_
; %bb.0:
	s_load_dwordx2 s[8:9], s[0:1], 0x30
	s_mov_b32 s16, s3
	s_mov_b64 s[6:7], 0
	s_waitcnt lgkmcnt(0)
	s_cmp_lg_u64 s[8:9], 0
	s_cselect_b64 s[10:11], -1, 0
	s_and_b64 vcc, exec, s[10:11]
	s_cbranch_vccz .LBB385_10
; %bb.1:
	s_add_i32 s12, s2, 1
	s_mov_b32 s13, 0
	s_lshl_b64 s[14:15], s[12:13], 2
	s_add_u32 s14, s8, s14
	s_mov_b32 s3, s13
	s_addc_u32 s15, s9, s15
	s_lshl_b64 s[12:13], s[2:3], 2
	s_add_u32 s12, s8, s12
	s_addc_u32 s13, s9, s13
	s_load_dword s5, s[14:15], 0x0
	s_load_dword s17, s[12:13], 0x0
	s_waitcnt lgkmcnt(0)
	s_sub_i32 s5, s5, s17
	s_cmp_eq_u32 s5, 1
	s_cselect_b64 s[12:13], -1, 0
	s_andn2_b64 vcc, exec, s[6:7]
	s_cbranch_vccnz .LBB385_3
.LBB385_2:
	s_mov_b32 s3, 0
	s_mov_b64 s[12:13], -1
.LBB385_3:
	s_andn2_b64 vcc, exec, s[12:13]
	s_cbranch_vccnz .LBB385_25
; %bb.4:
	s_load_dword s5, s[0:1], 0x9c
	s_load_dwordx2 s[6:7], s[0:1], 0x28
	s_add_u32 s20, s0, 0x90
	s_addc_u32 s21, s1, 0
	s_lshl_b64 s[24:25], s[2:3], 2
	s_waitcnt lgkmcnt(0)
	s_and_b32 s5, s5, 0xffff
	s_add_u32 s6, s6, s24
	s_addc_u32 s7, s7, s25
	s_load_dword s3, s[6:7], 0x0
	s_mul_i32 s5, s16, s5
	s_waitcnt lgkmcnt(0)
	s_cmp_ge_i32 s5, s3
	s_cbranch_scc1 .LBB385_25
; %bb.5:
	v_and_b32_e32 v2, 0xc0, v0
	v_add_u32_e32 v2, s5, v2
	v_lshrrev_b32_e32 v1, 6, v0
	v_cmp_gt_i32_e64 s[6:7], s3, v2
	v_cmp_le_i32_e32 vcc, s3, v2
                                        ; implicit-def: $sgpr26
                                        ; implicit-def: $sgpr17
	s_and_saveexec_b64 s[12:13], vcc
	s_xor_b64 s[12:13], exec, s[12:13]
	s_cbranch_execz .LBB385_7
; %bb.6:
	v_mul_u32_u24_e32 v2, 20, v1
	v_or_b32_e32 v2, 0xa00, v2
	v_mov_b32_e32 v3, 0xa50
	v_mov_b32_e32 v4, 0xff7fffff
	v_mad_u32_u24 v3, v1, 20, v3
	ds_write2_b32 v2, v4, v4 offset1:1
	v_mov_b32_e32 v2, 0
	ds_write2_b32 v3, v2, v2 offset1:1
	v_mov_b32_e32 v3, 0xa08
	s_mov_b32 s17, 0xff7fffff
	s_mov_b32 s26, 0
	v_mad_u32_u24 v3, v1, 20, v3
	v_mov_b32_e32 v5, 0xa58
	v_mad_u32_u24 v5, v1, 20, v5
	ds_write2_b32 v3, v4, v4 offset1:1
	ds_write2_b32 v5, v2, v2 offset1:1
                                        ; implicit-def: $vgpr2
.LBB385_7:
	s_or_saveexec_b64 s[22:23], s[12:13]
	s_load_dwordx2 s[18:19], s[0:1], 0x68
	s_load_dwordx4 s[12:15], s[0:1], 0x58
	s_load_dword s34, s[20:21], 0x4
	v_and_b32_e32 v56, 63, v0
	v_and_b32_e32 v57, 3, v0
	s_lshl_b32 s33, s4, 1
	v_mov_b32_e32 v37, s26
	v_mov_b32_e32 v40, s17
	;; [unrolled: 1-line block ×5, first 2 shown]
                                        ; implicit-def: $vgpr3
                                        ; implicit-def: $vgpr7
                                        ; implicit-def: $vgpr11
                                        ; implicit-def: $vgpr15
                                        ; implicit-def: $vgpr19
                                        ; implicit-def: $vgpr23
                                        ; implicit-def: $vgpr27
                                        ; implicit-def: $vgpr31
	s_xor_b64 exec, exec, s[22:23]
	s_cbranch_execz .LBB385_19
; %bb.8:
	s_add_i32 s28, s3, 15
	s_load_dwordx2 s[26:27], s[0:1], 0x20
	s_load_dword s17, s[0:1], 0x38
	s_ashr_i32 s29, s28, 31
	s_lshr_b32 s29, s29, 28
	v_add_u32_e32 v58, s5, v0
	s_add_i32 s28, s28, s29
	v_ashrrev_i32_e32 v3, 31, v58
	s_ashr_i32 s28, s28, 4
	v_lshrrev_b32_e32 v3, 28, v3
	s_add_i32 s30, s28, -1
	v_add_u32_e32 v3, v58, v3
	s_waitcnt lgkmcnt(0)
	s_mul_i32 s28, s2, s17
	s_mov_b32 s29, 0
	v_ashrrev_i32_e32 v3, 4, v3
	v_mov_b32_e32 v4, s30
	v_cmp_gt_i32_e32 vcc, s3, v58
	s_lshl_b64 s[28:29], s[28:29], 2
	s_add_u32 s26, s26, s28
	v_cndmask_b32_e32 v4, v4, v3, vcc
	v_ashrrev_i32_e32 v3, 31, v2
	v_lshrrev_b32_e32 v3, 28, v3
	s_addc_u32 s27, s27, s29
	v_ashrrev_i32_e32 v5, 31, v4
	v_add_u32_e32 v2, v2, v3
	v_lshl_add_u64 v[6:7], v[4:5], 2, s[26:27]
	v_ashrrev_i32_e32 v4, 4, v2
	v_min_i32_e32 v2, s30, v4
	v_ashrrev_i32_e32 v3, 31, v2
	v_lshl_add_u64 v[8:9], v[2:3], 2, s[26:27]
	v_add_u32_e32 v2, 1, v4
	v_min_i32_e32 v2, s30, v2
	v_ashrrev_i32_e32 v3, 31, v2
	v_lshl_add_u64 v[12:13], v[2:3], 2, s[26:27]
	v_add_u32_e32 v2, 2, v4
	;; [unrolled: 4-line block ×3, first 2 shown]
	v_min_i32_e32 v2, s30, v2
	v_ashrrev_i32_e32 v3, 31, v2
	v_lshl_add_u64 v[16:17], v[2:3], 2, s[26:27]
	global_load_dword v2, v[6:7], off
	global_load_dword v4, v[8:9], off
	;; [unrolled: 1-line block ×5, first 2 shown]
	s_load_dwordx2 s[26:27], s[0:1], 0x8
	s_andn2_b64 vcc, exec, s[10:11]
	s_cbranch_vccnz .LBB385_11
; %bb.9:
	s_add_u32 s8, s8, s24
	s_addc_u32 s9, s9, s25
	s_load_dword s5, s[8:9], 0x0
	s_branch .LBB385_12
.LBB385_10:
	s_mov_b64 s[12:13], 0
	s_branch .LBB385_2
.LBB385_11:
	s_mov_b32 s5, s2
.LBB385_12:
	s_load_dwordx2 s[24:25], s[0:1], 0x10
	s_load_dwordx4 s[8:11], s[0:1], 0x48
	v_cmp_gt_u32_e32 vcc, 2, v57
	s_mov_b32 s29, 0
	v_mov_b32_e32 v3, 0
	v_mov_b32_e32 v32, 0
	;; [unrolled: 1-line block ×5, first 2 shown]
	s_and_saveexec_b64 s[30:31], vcc
	s_cbranch_execz .LBB385_14
; %bb.13:
	s_load_dwordx2 s[36:37], s[0:1], 0x0
	s_waitcnt lgkmcnt(0)
	s_ashr_i32 s11, s8, 31
	s_mul_hi_u32 s17, s5, s8
	s_mul_i32 s11, s5, s11
	s_add_i32 s39, s17, s11
	s_mul_i32 s38, s5, s8
	s_lshl_b64 s[38:39], s[38:39], 1
	s_add_u32 s5, s36, s38
	s_addc_u32 s8, s37, s39
	s_lshl_b32 s28, s4, 7
	s_lshl_b64 s[36:37], s[28:29], 1
	s_add_u32 s36, s5, s36
	v_lshlrev_b32_e32 v5, 3, v57
	v_lshrrev_b32_e32 v6, 2, v56
	s_addc_u32 s37, s8, s37
	v_add_lshl_u32 v5, v5, v6, 4
	global_load_dwordx4 v[32:35], v5, s[36:37]
.LBB385_14:
	s_or_b64 exec, exec, s[30:31]
	s_waitcnt lgkmcnt(0)
	s_mul_i32 s28, s4, s10
	s_lshl_b64 s[4:5], s[28:29], 1
	s_add_u32 s10, s4, s26
	s_waitcnt vmcnt(4)
	v_mad_i64_i32 v[6:7], s[30:31], v2, s9, 0
	s_addc_u32 s11, s5, s27
	v_and_b32_e32 v2, 15, v0
	v_lshl_add_u64 v[6:7], v[6:7], 1, s[10:11]
	v_lshlrev_b32_e32 v2, 4, v2
	v_lshl_add_u64 v[6:7], v[6:7], 0, v[2:3]
	global_load_dwordx4 v[52:55], v[6:7], off
	global_load_dwordx4 v[22:25], v[6:7], off offset:256
	global_load_dwordx4 v[18:21], v[6:7], off offset:512
	;; [unrolled: 1-line block ×7, first 2 shown]
	v_mov_b32_e32 v59, 0
	s_and_saveexec_b64 s[10:11], vcc
	s_cbranch_execz .LBB385_16
; %bb.15:
	s_load_dwordx2 s[26:27], s[0:1], 0x40
	v_or_b32_e32 v6, s33, v57
	v_mov_b32_e32 v7, 0
	s_waitcnt lgkmcnt(0)
	v_lshl_add_u64 v[6:7], v[6:7], 2, s[26:27]
	global_load_dword v59, v[6:7], off
.LBB385_16:
	s_or_b64 exec, exec, s[10:11]
	s_waitcnt vmcnt(7)
	v_mfma_f32_4x4x4_16b_bf16 a[0:3], v[32:33], v[52:53], 0 cbsz:4
	s_add_u32 s4, s24, s4
	s_addc_u32 s5, s25, s5
	v_mfma_f32_4x4x4_16b_bf16 a[0:3], v[34:35], v[54:55], a[0:3] cbsz:4
	v_lshlrev_b32_e32 v2, 5, v56
	v_lshl_add_u64 v[60:61], s[4:5], 0, v[2:3]
	s_waitcnt vmcnt(6)
	v_mfma_f32_4x4x4_16b_bf16 a[0:3], v[32:33], v[22:23], a[0:3] cbsz:4 abid:1
	v_mul_hi_i32 v2, v4, s9
	v_ashrrev_i32_e32 v2, 31, v2
	v_mfma_f32_4x4x4_16b_bf16 a[0:3], v[34:35], v[24:25], a[0:3] cbsz:4 abid:1
	v_mul_hi_i32 v11, v10, s9
	v_lshrrev_b32_e32 v62, 29, v2
	s_waitcnt vmcnt(5)
	v_mfma_f32_4x4x4_16b_bf16 a[0:3], v[32:33], v[18:19], a[0:3] cbsz:4 abid:2
	v_mov_b32_e32 v63, 0
	v_ashrrev_i32_e32 v11, 31, v11
	v_mfma_f32_4x4x4_16b_bf16 a[0:3], v[34:35], v[20:21], a[0:3] cbsz:4 abid:2
	v_mad_i64_i32 v[2:3], s[4:5], v4, s9, v[62:63]
	s_waitcnt vmcnt(4)
	v_mfma_f32_4x4x4_16b_bf16 a[0:3], v[32:33], v[48:49], a[0:3] cbsz:4 abid:3
	v_lshrrev_b32_e32 v62, 29, v11
	v_mad_i64_i32 v[10:11], s[4:5], v10, s9, v[62:63]
	v_mfma_f32_4x4x4_16b_bf16 a[0:3], v[34:35], v[50:51], a[0:3] cbsz:4 abid:3
	v_mul_hi_i32 v62, v31, s9
	v_ashrrev_i32_e32 v52, 31, v62
	s_waitcnt vmcnt(3)
	v_mfma_f32_4x4x4_16b_bf16 a[0:3], v[32:33], v[44:45], a[0:3] cbsz:4 abid:4
	v_lshrrev_b32_e32 v62, 29, v52
	v_mad_i64_i32 v[22:23], s[4:5], v31, s9, v[62:63]
	v_mfma_f32_4x4x4_16b_bf16 a[0:3], v[34:35], v[46:47], a[0:3] cbsz:4 abid:4
	v_mul_hi_i32 v31, v30, s9
	v_ashrrev_i32_e32 v31, 31, v31
	s_waitcnt vmcnt(2)
	v_mfma_f32_4x4x4_16b_bf16 a[0:3], v[32:33], v[40:41], a[0:3] cbsz:4 abid:5
	v_lshrrev_b32_e32 v62, 29, v31
	v_mad_i64_i32 v[30:31], s[4:5], v30, s9, v[62:63]
	v_mfma_f32_4x4x4_16b_bf16 a[0:3], v[34:35], v[42:43], a[0:3] cbsz:4 abid:5
	v_lshlrev_b64 v[2:3], 1, v[2:3]
	v_lshlrev_b64 v[10:11], 1, v[10:11]
	s_waitcnt vmcnt(1)
	v_mfma_f32_4x4x4_16b_bf16 a[0:3], v[32:33], v[26:27], a[0:3] cbsz:4 abid:6
	v_lshlrev_b64 v[22:23], 1, v[22:23]
	v_lshlrev_b64 v[30:31], 1, v[30:31]
	v_and_b32_e32 v2, -16, v2
	v_and_b32_e32 v10, -16, v10
	;; [unrolled: 1-line block ×4, first 2 shown]
	v_mfma_f32_4x4x4_16b_bf16 a[0:3], v[34:35], v[28:29], a[0:3] cbsz:4 abid:6
	v_lshl_add_u64 v[12:13], v[60:61], 0, v[2:3]
	v_lshl_add_u64 v[64:65], v[60:61], 0, v[10:11]
	;; [unrolled: 1-line block ×4, first 2 shown]
	global_load_dwordx4 v[2:5], v[12:13], off
	global_load_dwordx4 v[6:9], v[12:13], off offset:16
	s_nop 0
	global_load_dwordx4 v[10:13], v[64:65], off
	global_load_dwordx4 v[14:17], v[64:65], off offset:16
	global_load_dwordx4 v[18:21], v[52:53], off
	global_load_dwordx4 v[22:25], v[52:53], off offset:16
	s_waitcnt vmcnt(6)
	v_mfma_f32_4x4x4_16b_bf16 a[0:3], v[32:33], v[36:37], a[0:3] cbsz:4 abid:7
	global_load_dwordx4 v[26:29], v[40:41], off
	global_load_dwordx4 v[30:33], v[40:41], off offset:16
	s_load_dword s0, s[0:1], 0x1c
	v_mfma_f32_4x4x4_16b_bf16 a[0:3], v[34:35], v[38:39], a[0:3] cbsz:4 abid:7
	v_cmp_eq_u32_e32 vcc, 0, v57
	v_mov_b32_e32 v41, 0xff7fffff
	s_nop 0
	v_cndmask_b32_e64 v38, 0, 1.0, vcc
	v_cmp_eq_u32_e32 vcc, 1, v57
	v_accvgpr_read_b32 v37, a1
	v_accvgpr_read_b32 v36, a0
	s_waitcnt lgkmcnt(0)
	v_pk_mul_f32 v[36:37], s[0:1], v[36:37] op_sel_hi:[0,1]
	v_accvgpr_read_b32 v35, a3
	v_accvgpr_read_b32 v34, a2
	v_pk_mul_f32 v[34:35], s[0:1], v[34:35] op_sel_hi:[0,1]
	v_mfma_f32_4x4x1_16b_f32 a[0:3], v36, v38, 0
	v_cndmask_b32_e64 v36, 0, 1.0, vcc
	v_cmp_eq_u32_e32 vcc, 2, v57
	s_nop 0
	v_mfma_f32_4x4x1_16b_f32 a[0:3], v37, v36, a[0:3]
	v_cndmask_b32_e64 v36, 0, 1.0, vcc
	v_cmp_eq_u32_e32 vcc, 3, v57
	s_nop 0
	v_mfma_f32_4x4x1_16b_f32 a[0:3], v34, v36, a[0:3]
	v_cndmask_b32_e64 v34, 0, 1.0, vcc
	s_nop 1
	v_mfma_f32_4x4x1_16b_f32 a[0:3], v35, v34, a[0:3]
	v_and_b32_e32 v34, -4, v58
	v_subrev_u32_e32 v35, s3, v34
	v_add_u32_e32 v36, 1, v35
	v_cvt_f32_i32_e32 v36, v36
	v_add_u32_e32 v37, 2, v35
	v_cvt_f32_i32_e32 v37, v37
	v_accvgpr_read_b32 v38, a0
	v_fma_f32 v36, v59, v36, v38
	v_accvgpr_read_b32 v38, a1
	v_fma_f32 v37, v59, v37, v38
	v_add_u32_e32 v38, 3, v35
	v_cvt_f32_i32_e32 v38, v38
	v_add_u32_e32 v35, 4, v35
	v_max_f32_e32 v40, 0xff7fffff, v36
	v_cmp_gt_i32_e32 vcc, s3, v34
	v_cvt_f32_i32_e32 v35, v35
	v_accvgpr_read_b32 v39, a2
	v_cndmask_b32_e32 v40, v41, v40, vcc
	v_or_b32_e32 v41, 1, v34
	v_max_f32_e32 v42, v40, v37
	v_cmp_gt_i32_e64 s[0:1], s3, v41
	v_fma_f32 v38, v59, v38, v39
	v_or_b32_e32 v34, 2, v34
	v_cndmask_b32_e64 v40, v40, v42, s[0:1]
	v_accvgpr_read_b32 v39, a3
	v_max_f32_e32 v41, v40, v38
	v_cmp_gt_i32_e64 s[4:5], s3, v34
	v_fmac_f32_e32 v39, v59, v35
	v_lshlrev_b32_e32 v35, 2, v0
	v_cndmask_b32_e64 v34, v40, v41, s[4:5]
	v_or_b32_e32 v40, 3, v58
	v_max_f32_e32 v41, v34, v39
	v_cmp_gt_i32_e64 s[8:9], s3, v40
	v_and_or_b32 v35, v35, 48, v57
	s_nop 0
	v_cndmask_b32_e64 v34, v34, v41, s[8:9]
	;;#ASMSTART
	v_nop
 v_nop
 v_max_f32_dpp v34, v34, v34 row_ror:4
	;;#ASMEND
	v_lshlrev_b32_e32 v41, 2, v35
	;;#ASMSTART
	v_nop
 v_nop
 v_max_f32_dpp v34, v34, v34 row_ror:8
	;;#ASMEND
	ds_bpermute_b32 v34, v41, v34
	s_waitcnt lgkmcnt(0)
	;;#ASMSTART
	v_nop
 v_nop
 v_max_f32_dpp v34, v34, v34 row_ror:4
	;;#ASMEND
	s_nop 0
	;;#ASMSTART
	v_nop
 v_nop
 v_max_f32_dpp v40, v34, v34 row_ror:8
	;;#ASMEND
	s_nop 0
	v_sub_f32_e32 v34, v36, v40
	v_mul_f32_e32 v34, 0x3fb8aa3b, v34
	v_sub_f32_e32 v35, v37, v40
	v_exp_f32_e32 v34, v34
	v_mul_f32_e32 v35, 0x3fb8aa3b, v35
	v_sub_f32_e32 v37, v38, v40
	v_exp_f32_e32 v35, v35
	;; [unrolled: 3-line block ×3, first 2 shown]
	v_mul_f32_e32 v38, 0x3fb8aa3b, v38
	v_exp_f32_e32 v38, v38
	v_cndmask_b32_e32 v34, 0, v34, vcc
	v_add_f32_e32 v36, 0, v34
	v_cndmask_b32_e64 v35, 0, v35, s[0:1]
	v_add_f32_e32 v39, v36, v35
	v_cndmask_b32_e64 v36, 0, v37, s[4:5]
	;; [unrolled: 2-line block ×3, first 2 shown]
	v_add_f32_e32 v38, v39, v37
	;;#ASMSTART
	v_nop
 v_nop
 v_add_f32_dpp v38, v38, v38 row_ror:4
	;;#ASMEND
	v_cmp_gt_u32_e32 vcc, 4, v56
	;;#ASMSTART
	v_nop
 v_nop
 v_add_f32_dpp v38, v38, v38 row_ror:8
	;;#ASMEND
	ds_bpermute_b32 v38, v41, v38
	s_waitcnt lgkmcnt(0)
	;;#ASMSTART
	v_nop
 v_nop
 v_add_f32_dpp v38, v38, v38 row_ror:4
	;;#ASMEND
	s_nop 0
	;;#ASMSTART
	v_nop
 v_nop
 v_add_f32_dpp v38, v38, v38 row_ror:8
	;;#ASMEND
	s_and_saveexec_b64 s[0:1], vcc
	s_cbranch_execz .LBB385_18
; %bb.17:
	v_mul_u32_u24_e32 v39, 20, v1
	v_lshl_add_u32 v39, v57, 2, v39
	v_add_u32_e32 v39, 0x800, v39
	ds_write2_b32 v39, v40, v38 offset0:128 offset1:148
.LBB385_18:
	s_or_b64 exec, exec, s[0:1]
.LBB385_19:
	s_or_b64 exec, exec, s[22:23]
	s_waitcnt lgkmcnt(0)
	s_barrier
	s_load_dword s0, s[20:21], 0x8
	v_lshlrev_b32_e32 v38, 2, v57
	v_add_u32_e32 v46, 0x800, v38
	ds_read2_b32 v[38:39], v46 offset0:128 offset1:133
	ds_read2_b32 v[42:43], v46 offset0:138 offset1:143
	s_mul_i32 s1, s2, s34
	s_waitcnt lgkmcnt(0)
	s_mul_i32 s1, s1, s0
	s_lshl_b32 s0, s1, 1
	s_mov_b32 s1, 0xff7fffff
	v_max3_f32 v41, v38, s1, v39
	v_max3_f32 v41, v41, v42, v43
	v_sub_f32_e32 v38, v38, v41
	v_mul_f32_e32 v38, 0x3fb8aa3b, v38
	ds_read2_b32 v[44:45], v46 offset0:148 offset1:153
	v_exp_f32_e32 v47, v38
	v_sub_f32_e32 v38, v39, v41
	v_sub_f32_e32 v42, v42, v41
	v_mul_f32_e32 v38, 0x3fb8aa3b, v38
	v_mul_f32_e32 v42, 0x3fb8aa3b, v42
	v_exp_f32_e32 v48, v38
	ds_read2_b32 v[38:39], v46 offset0:158 offset1:163
	v_exp_f32_e32 v46, v42
	v_sub_f32_e32 v42, v43, v41
	v_mul_f32_e32 v42, 0x3fb8aa3b, v42
	v_exp_f32_e32 v43, v42
	s_waitcnt lgkmcnt(1)
	v_fma_f32 v42, v47, v44, 0
	v_fmac_f32_e32 v42, v48, v45
	s_waitcnt lgkmcnt(0)
	v_fmac_f32_e32 v42, v46, v38
	v_fmac_f32_e32 v42, v43, v39
	v_cmp_gt_u32_e32 vcc, 2, v57
	s_and_saveexec_b64 s[2:3], vcc
	s_cbranch_execz .LBB385_21
; %bb.20:
	s_mov_b32 s1, 0
	s_lshl_b64 s[4:5], s[0:1], 2
	s_add_u32 s10, s12, s4
	s_mov_b32 s17, s1
	s_addc_u32 s11, s13, s5
	s_lshl_b64 s[8:9], s[16:17], 2
	s_add_u32 s10, s10, s8
	s_addc_u32 s11, s11, s9
	s_add_u32 s1, s14, s4
	s_addc_u32 s5, s15, s5
	v_or_b32_e32 v38, s33, v57
	s_add_u32 s4, s1, s8
	v_mul_lo_u32 v38, s34, v38
	v_mov_b32_e32 v39, 0
	s_addc_u32 s5, s5, s9
	v_lshlrev_b64 v[38:39], 2, v[38:39]
	v_lshl_add_u64 v[44:45], s[10:11], 0, v[38:39]
	v_lshl_add_u64 v[38:39], s[4:5], 0, v[38:39]
	global_store_dword v[38:39], v41, off
	global_store_dword v[44:45], v42, off
.LBB385_21:
	s_or_b64 exec, exec, s[2:3]
	v_mov_b32_e32 v38, 0
	v_mov_b32_e32 v39, 0
	s_and_saveexec_b64 s[2:3], s[6:7]
	s_cbranch_execz .LBB385_23
; %bb.22:
	v_add_f32_e32 v38, 0x358637bd, v42
	v_div_scale_f32 v39, s[4:5], v38, v38, 1.0
	v_rcp_f32_e32 v42, v39
	v_div_scale_f32 v43, vcc, 1.0, v38, 1.0
	v_sub_f32_e32 v40, v40, v41
	v_fma_f32 v44, -v39, v42, 1.0
	v_fmac_f32_e32 v42, v44, v42
	v_mul_f32_e32 v44, v43, v42
	v_fma_f32 v45, -v39, v44, v43
	v_mul_f32_e32 v40, 0x3fb8aa3b, v40
	v_fmac_f32_e32 v44, v45, v42
	v_exp_f32_e32 v40, v40
	v_fma_f32 v39, -v39, v44, v43
	v_div_fmas_f32 v39, v39, v42, v44
	v_div_fixup_f32 v38, v39, v38, 1.0
	v_mul_f32_e32 v38, v40, v38
	v_pk_mul_f32 v[34:35], v[34:35], v[38:39] op_sel_hi:[1,0]
	v_pk_mul_f32 v[36:37], v[36:37], v[38:39] op_sel_hi:[1,0]
	v_bfe_u32 v38, v35, 16, 1
	v_bfe_u32 v39, v34, 16, 1
	s_movk_i32 s1, 0x7fff
	v_add3_u32 v34, v34, v39, s1
	v_add3_u32 v35, v35, v38, s1
	s_mov_b32 s4, 0x7060302
	v_perm_b32 v34, v35, v34, s4
	v_bfe_u32 v35, v37, 16, 1
	v_bfe_u32 v38, v36, 16, 1
	v_add3_u32 v36, v36, v38, s1
	v_add3_u32 v35, v37, v35, s1
	v_perm_b32 v35, v35, v36, s4
	s_waitcnt vmcnt(7)
	s_nop 0
	v_mfma_f32_4x4x4_16b_bf16 a[0:3], v[34:35], v[2:3], 0 cbsz:4
	s_nop 1
	v_mfma_f32_4x4x4_16b_bf16 a[0:3], v[34:35], v[4:5], a[0:3] cbsz:4 abid:1
	s_waitcnt vmcnt(6)
	s_nop 0
	v_mfma_f32_4x4x4_16b_bf16 a[0:3], v[34:35], v[6:7], a[0:3] cbsz:4 abid:2
	s_nop 1
	v_mfma_f32_4x4x4_16b_bf16 a[0:3], v[34:35], v[8:9], a[0:3] cbsz:4 abid:3
	s_waitcnt vmcnt(5)
	s_nop 0
	v_mfma_f32_4x4x4_16b_bf16 a[0:3], v[34:35], v[10:11], a[0:3] cbsz:4 abid:4
	;; [unrolled: 5-line block ×7, first 2 shown]
	s_nop 1
	v_mfma_f32_4x4x4_16b_bf16 a[0:3], v[34:35], v[32:33], a[0:3] cbsz:4 abid:15
	s_nop 4
	v_accvgpr_read_b32 v5, a1
	v_accvgpr_read_b32 v2, a2
	v_accvgpr_read_b32 v3, a3
	v_accvgpr_read_b32 v4, a0
	v_bfe_u32 v6, v5, 16, 1
	v_bfe_u32 v7, v4, 16, 1
	;; [unrolled: 1-line block ×3, first 2 shown]
	v_add3_u32 v5, v5, v6, s1
	v_bfe_u32 v6, v2, 16, 1
	v_add3_u32 v4, v4, v7, s1
	v_add3_u32 v2, v2, v6, s1
	;; [unrolled: 1-line block ×3, first 2 shown]
	v_perm_b32 v39, v3, v2, s4
	v_perm_b32 v38, v5, v4, s4
.LBB385_23:
	s_or_b64 exec, exec, s[2:3]
	v_lshlrev_b32_e32 v1, 3, v1
	v_mad_u32_u24 v1, v56, 40, v1
	v_cmp_gt_u32_e32 vcc, 64, v0
	ds_write_b64 v1, v[38:39]
	s_waitcnt lgkmcnt(0)
	s_barrier
	s_and_saveexec_b64 s[2:3], vcc
	s_cbranch_execz .LBB385_25
; %bb.24:
	v_mul_u32_u24_e32 v1, 40, v56
	s_waitcnt vmcnt(7)
	ds_read2_b64 v[2:5], v1 offset1:1
	s_waitcnt vmcnt(6)
	ds_read2_b64 v[6:9], v1 offset0:2 offset1:3
	s_mov_b32 s1, 0
	s_lshl_b32 s0, s0, 6
	s_lshl_b64 s[2:3], s[0:1], 1
	s_waitcnt lgkmcnt(1)
	v_and_b32_e32 v1, 0xffff0000, v2
	v_add_f32_e32 v1, 0, v1
	v_and_b32_e32 v3, 0xffff0000, v4
	v_and_b32_e32 v1, 0xffff0000, v1
	v_add_f32_e32 v1, v1, v3
	s_waitcnt lgkmcnt(0)
	v_and_b32_e32 v5, 0xffff0000, v6
	v_and_b32_e32 v1, 0xffff0000, v1
	v_add_f32_e32 v1, v1, v5
	v_and_b32_e32 v1, 0xffff0000, v1
	v_and_b32_e32 v3, 0xffff0000, v8
	v_add_f32_e32 v7, v1, v3
	v_lshlrev_b32_e32 v1, 16, v2
	s_add_u32 s2, s18, s2
	v_add_f32_e32 v1, 0, v1
	s_addc_u32 s3, s19, s3
	s_lshl_b32 s0, s16, 6
	v_and_b32_e32 v1, 0xffff0000, v1
	v_lshlrev_b32_e32 v2, 16, v4
	s_lshl_b64 s[0:1], s[0:1], 1
	v_add_f32_e32 v1, v1, v2
	s_add_u32 s0, s2, s0
	v_and_b32_e32 v1, 0xffff0000, v1
	v_lshlrev_b32_e32 v2, 16, v6
	s_addc_u32 s1, s3, s1
	s_lshl_b32 s2, s34, 6
	v_add_f32_e32 v1, v1, v2
	v_and_b32_e32 v1, 0xffff0000, v1
	v_lshlrev_b32_e32 v2, 16, v8
	s_mul_i32 s3, s2, s33
	v_add_f32_e32 v1, v1, v2
	v_or_b32_e32 v2, s3, v0
	v_mov_b32_e32 v3, 0
	s_add_i32 s3, s3, s2
	v_lshl_add_u64 v[4:5], v[2:3], 1, s[0:1]
	v_or_b32_e32 v2, s3, v0
	global_store_short_d16_hi v[4:5], v1, off
	v_lshl_add_u64 v[0:1], v[2:3], 1, s[0:1]
	global_store_short_d16_hi v[0:1], v7, off
.LBB385_25:
	s_endpgm
	.section	.rodata,"a",@progbits
	.p2align	6, 0x0
	.amdhsa_kernel _Z38paged_attention_ll4mi_QKV_mfma4_kernelI14__hip_bfloat16S0_LN4vllm18Fp8KVCacheDataTypeE0EhLi16ELi64ELi256ELb1ELi2EEvPKT_PKT0_S8_ifPKiSA_SA_iPKfiiiPfSD_PS3_PT2_iSC_SC_
		.amdhsa_group_segment_fixed_size 2720
		.amdhsa_private_segment_fixed_size 0
		.amdhsa_kernarg_size 400
		.amdhsa_user_sgpr_count 2
		.amdhsa_user_sgpr_dispatch_ptr 0
		.amdhsa_user_sgpr_queue_ptr 0
		.amdhsa_user_sgpr_kernarg_segment_ptr 1
		.amdhsa_user_sgpr_dispatch_id 0
		.amdhsa_user_sgpr_kernarg_preload_length 0
		.amdhsa_user_sgpr_kernarg_preload_offset 0
		.amdhsa_user_sgpr_private_segment_size 0
		.amdhsa_uses_dynamic_stack 0
		.amdhsa_enable_private_segment 0
		.amdhsa_system_sgpr_workgroup_id_x 1
		.amdhsa_system_sgpr_workgroup_id_y 1
		.amdhsa_system_sgpr_workgroup_id_z 1
		.amdhsa_system_sgpr_workgroup_info 0
		.amdhsa_system_vgpr_workitem_id 0
		.amdhsa_next_free_vgpr 72
		.amdhsa_next_free_sgpr 40
		.amdhsa_accum_offset 68
		.amdhsa_reserve_vcc 1
		.amdhsa_float_round_mode_32 0
		.amdhsa_float_round_mode_16_64 0
		.amdhsa_float_denorm_mode_32 3
		.amdhsa_float_denorm_mode_16_64 3
		.amdhsa_dx10_clamp 1
		.amdhsa_ieee_mode 1
		.amdhsa_fp16_overflow 0
		.amdhsa_tg_split 0
		.amdhsa_exception_fp_ieee_invalid_op 0
		.amdhsa_exception_fp_denorm_src 0
		.amdhsa_exception_fp_ieee_div_zero 0
		.amdhsa_exception_fp_ieee_overflow 0
		.amdhsa_exception_fp_ieee_underflow 0
		.amdhsa_exception_fp_ieee_inexact 0
		.amdhsa_exception_int_div_zero 0
	.end_amdhsa_kernel
	.section	.text._Z38paged_attention_ll4mi_QKV_mfma4_kernelI14__hip_bfloat16S0_LN4vllm18Fp8KVCacheDataTypeE0EhLi16ELi64ELi256ELb1ELi2EEvPKT_PKT0_S8_ifPKiSA_SA_iPKfiiiPfSD_PS3_PT2_iSC_SC_,"axG",@progbits,_Z38paged_attention_ll4mi_QKV_mfma4_kernelI14__hip_bfloat16S0_LN4vllm18Fp8KVCacheDataTypeE0EhLi16ELi64ELi256ELb1ELi2EEvPKT_PKT0_S8_ifPKiSA_SA_iPKfiiiPfSD_PS3_PT2_iSC_SC_,comdat
.Lfunc_end385:
	.size	_Z38paged_attention_ll4mi_QKV_mfma4_kernelI14__hip_bfloat16S0_LN4vllm18Fp8KVCacheDataTypeE0EhLi16ELi64ELi256ELb1ELi2EEvPKT_PKT0_S8_ifPKiSA_SA_iPKfiiiPfSD_PS3_PT2_iSC_SC_, .Lfunc_end385-_Z38paged_attention_ll4mi_QKV_mfma4_kernelI14__hip_bfloat16S0_LN4vllm18Fp8KVCacheDataTypeE0EhLi16ELi64ELi256ELb1ELi2EEvPKT_PKT0_S8_ifPKiSA_SA_iPKfiiiPfSD_PS3_PT2_iSC_SC_
                                        ; -- End function
	.section	.AMDGPU.csdata,"",@progbits
; Kernel info:
; codeLenInByte = 3392
; NumSgprs: 46
; NumVgprs: 66
; NumAgprs: 4
; TotalNumVgprs: 72
; ScratchSize: 0
; MemoryBound: 0
; FloatMode: 240
; IeeeMode: 1
; LDSByteSize: 2720 bytes/workgroup (compile time only)
; SGPRBlocks: 5
; VGPRBlocks: 8
; NumSGPRsForWavesPerEU: 46
; NumVGPRsForWavesPerEU: 72
; AccumOffset: 68
; Occupancy: 7
; WaveLimiterHint : 1
; COMPUTE_PGM_RSRC2:SCRATCH_EN: 0
; COMPUTE_PGM_RSRC2:USER_SGPR: 2
; COMPUTE_PGM_RSRC2:TRAP_HANDLER: 0
; COMPUTE_PGM_RSRC2:TGID_X_EN: 1
; COMPUTE_PGM_RSRC2:TGID_Y_EN: 1
; COMPUTE_PGM_RSRC2:TGID_Z_EN: 1
; COMPUTE_PGM_RSRC2:TIDIG_COMP_CNT: 0
; COMPUTE_PGM_RSRC3_GFX90A:ACCUM_OFFSET: 16
; COMPUTE_PGM_RSRC3_GFX90A:TG_SPLIT: 0
	.section	.text._Z38paged_attention_ll4mi_QKV_mfma4_kernelI14__hip_bfloat16S0_LN4vllm18Fp8KVCacheDataTypeE0EhLi16ELi64ELi256ELb1ELi3EEvPKT_PKT0_S8_ifPKiSA_SA_iPKfiiiPfSD_PS3_PT2_iSC_SC_,"axG",@progbits,_Z38paged_attention_ll4mi_QKV_mfma4_kernelI14__hip_bfloat16S0_LN4vllm18Fp8KVCacheDataTypeE0EhLi16ELi64ELi256ELb1ELi3EEvPKT_PKT0_S8_ifPKiSA_SA_iPKfiiiPfSD_PS3_PT2_iSC_SC_,comdat
	.protected	_Z38paged_attention_ll4mi_QKV_mfma4_kernelI14__hip_bfloat16S0_LN4vllm18Fp8KVCacheDataTypeE0EhLi16ELi64ELi256ELb1ELi3EEvPKT_PKT0_S8_ifPKiSA_SA_iPKfiiiPfSD_PS3_PT2_iSC_SC_ ; -- Begin function _Z38paged_attention_ll4mi_QKV_mfma4_kernelI14__hip_bfloat16S0_LN4vllm18Fp8KVCacheDataTypeE0EhLi16ELi64ELi256ELb1ELi3EEvPKT_PKT0_S8_ifPKiSA_SA_iPKfiiiPfSD_PS3_PT2_iSC_SC_
	.globl	_Z38paged_attention_ll4mi_QKV_mfma4_kernelI14__hip_bfloat16S0_LN4vllm18Fp8KVCacheDataTypeE0EhLi16ELi64ELi256ELb1ELi3EEvPKT_PKT0_S8_ifPKiSA_SA_iPKfiiiPfSD_PS3_PT2_iSC_SC_
	.p2align	8
	.type	_Z38paged_attention_ll4mi_QKV_mfma4_kernelI14__hip_bfloat16S0_LN4vllm18Fp8KVCacheDataTypeE0EhLi16ELi64ELi256ELb1ELi3EEvPKT_PKT0_S8_ifPKiSA_SA_iPKfiiiPfSD_PS3_PT2_iSC_SC_,@function
_Z38paged_attention_ll4mi_QKV_mfma4_kernelI14__hip_bfloat16S0_LN4vllm18Fp8KVCacheDataTypeE0EhLi16ELi64ELi256ELb1ELi3EEvPKT_PKT0_S8_ifPKiSA_SA_iPKfiiiPfSD_PS3_PT2_iSC_SC_: ; @_Z38paged_attention_ll4mi_QKV_mfma4_kernelI14__hip_bfloat16S0_LN4vllm18Fp8KVCacheDataTypeE0EhLi16ELi64ELi256ELb1ELi3EEvPKT_PKT0_S8_ifPKiSA_SA_iPKfiiiPfSD_PS3_PT2_iSC_SC_
; %bb.0:
	s_load_dwordx2 s[8:9], s[0:1], 0x30
	s_mov_b32 s16, s3
	s_mov_b64 s[6:7], 0
	s_waitcnt lgkmcnt(0)
	s_cmp_lg_u64 s[8:9], 0
	s_cselect_b64 s[10:11], -1, 0
	s_and_b64 vcc, exec, s[10:11]
	s_cbranch_vccz .LBB386_10
; %bb.1:
	s_add_i32 s12, s2, 1
	s_mov_b32 s13, 0
	s_lshl_b64 s[14:15], s[12:13], 2
	s_add_u32 s14, s8, s14
	s_mov_b32 s3, s13
	s_addc_u32 s15, s9, s15
	s_lshl_b64 s[12:13], s[2:3], 2
	s_add_u32 s12, s8, s12
	s_addc_u32 s13, s9, s13
	s_load_dword s5, s[14:15], 0x0
	s_load_dword s17, s[12:13], 0x0
	s_waitcnt lgkmcnt(0)
	s_sub_i32 s5, s5, s17
	s_cmp_eq_u32 s5, 1
	s_cselect_b64 s[12:13], -1, 0
	s_andn2_b64 vcc, exec, s[6:7]
	s_cbranch_vccnz .LBB386_3
.LBB386_2:
	s_mov_b32 s3, 0
	s_mov_b64 s[12:13], -1
.LBB386_3:
	s_andn2_b64 vcc, exec, s[12:13]
	s_cbranch_vccnz .LBB386_25
; %bb.4:
	s_load_dword s5, s[0:1], 0x9c
	s_load_dwordx2 s[6:7], s[0:1], 0x28
	s_add_u32 s20, s0, 0x90
	s_addc_u32 s21, s1, 0
	s_lshl_b64 s[24:25], s[2:3], 2
	s_waitcnt lgkmcnt(0)
	s_and_b32 s5, s5, 0xffff
	s_add_u32 s6, s6, s24
	s_addc_u32 s7, s7, s25
	s_load_dword s3, s[6:7], 0x0
	s_mul_i32 s5, s16, s5
	s_waitcnt lgkmcnt(0)
	s_cmp_ge_i32 s5, s3
	s_cbranch_scc1 .LBB386_25
; %bb.5:
	v_and_b32_e32 v2, 0xc0, v0
	v_add_u32_e32 v2, s5, v2
	v_lshrrev_b32_e32 v1, 6, v0
	v_cmp_gt_i32_e64 s[6:7], s3, v2
	v_cmp_le_i32_e32 vcc, s3, v2
                                        ; implicit-def: $sgpr26
                                        ; implicit-def: $sgpr17
	s_and_saveexec_b64 s[12:13], vcc
	s_xor_b64 s[12:13], exec, s[12:13]
	s_cbranch_execz .LBB386_7
; %bb.6:
	v_mul_u32_u24_e32 v2, 20, v1
	v_or_b32_e32 v2, 0xa00, v2
	v_mov_b32_e32 v3, 0xa50
	v_mov_b32_e32 v4, 0xff7fffff
	v_mad_u32_u24 v3, v1, 20, v3
	ds_write2_b32 v2, v4, v4 offset1:1
	v_mov_b32_e32 v2, 0
	ds_write2_b32 v3, v2, v2 offset1:1
	v_mov_b32_e32 v3, 0xa08
	s_mov_b32 s17, 0xff7fffff
	s_mov_b32 s26, 0
	v_mad_u32_u24 v3, v1, 20, v3
	v_mov_b32_e32 v5, 0xa58
	v_mad_u32_u24 v5, v1, 20, v5
	ds_write2_b32 v3, v4, v4 offset1:1
	ds_write2_b32 v5, v2, v2 offset1:1
                                        ; implicit-def: $vgpr2
.LBB386_7:
	s_or_saveexec_b64 s[22:23], s[12:13]
	s_load_dwordx2 s[18:19], s[0:1], 0x68
	s_load_dwordx4 s[12:15], s[0:1], 0x58
	s_load_dword s34, s[20:21], 0x4
	v_and_b32_e32 v56, 63, v0
	v_and_b32_e32 v57, 3, v0
	s_mul_i32 s33, s4, 3
	v_mov_b32_e32 v37, s26
	v_mov_b32_e32 v40, s17
	;; [unrolled: 1-line block ×5, first 2 shown]
                                        ; implicit-def: $vgpr3
                                        ; implicit-def: $vgpr7
                                        ; implicit-def: $vgpr11
                                        ; implicit-def: $vgpr15
                                        ; implicit-def: $vgpr19
                                        ; implicit-def: $vgpr23
                                        ; implicit-def: $vgpr27
                                        ; implicit-def: $vgpr31
	s_xor_b64 exec, exec, s[22:23]
	s_cbranch_execz .LBB386_19
; %bb.8:
	s_add_i32 s28, s3, 15
	s_load_dwordx2 s[26:27], s[0:1], 0x20
	s_load_dword s17, s[0:1], 0x38
	s_ashr_i32 s29, s28, 31
	s_lshr_b32 s29, s29, 28
	v_add_u32_e32 v58, s5, v0
	s_add_i32 s28, s28, s29
	v_ashrrev_i32_e32 v3, 31, v58
	s_ashr_i32 s28, s28, 4
	v_lshrrev_b32_e32 v3, 28, v3
	s_add_i32 s30, s28, -1
	v_add_u32_e32 v3, v58, v3
	s_waitcnt lgkmcnt(0)
	s_mul_i32 s28, s2, s17
	s_mov_b32 s29, 0
	v_ashrrev_i32_e32 v3, 4, v3
	v_mov_b32_e32 v4, s30
	v_cmp_gt_i32_e32 vcc, s3, v58
	s_lshl_b64 s[28:29], s[28:29], 2
	s_add_u32 s26, s26, s28
	v_cndmask_b32_e32 v4, v4, v3, vcc
	v_ashrrev_i32_e32 v3, 31, v2
	v_lshrrev_b32_e32 v3, 28, v3
	s_addc_u32 s27, s27, s29
	v_ashrrev_i32_e32 v5, 31, v4
	v_add_u32_e32 v2, v2, v3
	v_lshl_add_u64 v[6:7], v[4:5], 2, s[26:27]
	v_ashrrev_i32_e32 v4, 4, v2
	v_min_i32_e32 v2, s30, v4
	v_ashrrev_i32_e32 v3, 31, v2
	v_lshl_add_u64 v[8:9], v[2:3], 2, s[26:27]
	v_add_u32_e32 v2, 1, v4
	v_min_i32_e32 v2, s30, v2
	v_ashrrev_i32_e32 v3, 31, v2
	v_lshl_add_u64 v[12:13], v[2:3], 2, s[26:27]
	v_add_u32_e32 v2, 2, v4
	;; [unrolled: 4-line block ×3, first 2 shown]
	v_min_i32_e32 v2, s30, v2
	v_ashrrev_i32_e32 v3, 31, v2
	v_lshl_add_u64 v[16:17], v[2:3], 2, s[26:27]
	global_load_dword v2, v[6:7], off
	global_load_dword v4, v[8:9], off
	;; [unrolled: 1-line block ×5, first 2 shown]
	s_load_dwordx2 s[26:27], s[0:1], 0x8
	s_andn2_b64 vcc, exec, s[10:11]
	s_cbranch_vccnz .LBB386_11
; %bb.9:
	s_add_u32 s8, s8, s24
	s_addc_u32 s9, s9, s25
	s_load_dword s5, s[8:9], 0x0
	s_branch .LBB386_12
.LBB386_10:
	s_mov_b64 s[12:13], 0
	s_branch .LBB386_2
.LBB386_11:
	s_mov_b32 s5, s2
.LBB386_12:
	s_load_dwordx2 s[24:25], s[0:1], 0x10
	s_load_dwordx4 s[8:11], s[0:1], 0x48
	v_cmp_ne_u32_e32 vcc, 3, v57
	s_mov_b32 s29, 0
	v_mov_b32_e32 v3, 0
	v_mov_b32_e32 v26, 0
	;; [unrolled: 1-line block ×5, first 2 shown]
	s_and_saveexec_b64 s[30:31], vcc
	s_cbranch_execz .LBB386_14
; %bb.13:
	s_load_dwordx2 s[36:37], s[0:1], 0x0
	s_waitcnt lgkmcnt(0)
	s_ashr_i32 s11, s8, 31
	s_mul_hi_u32 s17, s5, s8
	s_mul_i32 s11, s5, s11
	s_add_i32 s39, s17, s11
	s_mul_i32 s38, s5, s8
	s_lshl_b64 s[38:39], s[38:39], 1
	s_add_u32 s5, s36, s38
	s_mul_i32 s28, s4, 0xc0
	s_addc_u32 s8, s37, s39
	s_lshl_b64 s[36:37], s[28:29], 1
	s_add_u32 s36, s5, s36
	v_lshlrev_b32_e32 v5, 3, v57
	v_lshrrev_b32_e32 v6, 2, v56
	s_addc_u32 s37, s8, s37
	v_add_lshl_u32 v5, v5, v6, 4
	global_load_dwordx4 v[26:29], v5, s[36:37]
.LBB386_14:
	s_or_b64 exec, exec, s[30:31]
	s_waitcnt lgkmcnt(0)
	s_mul_i32 s28, s4, s10
	s_lshl_b64 s[4:5], s[28:29], 1
	s_add_u32 s10, s4, s26
	s_waitcnt vmcnt(4)
	v_mad_i64_i32 v[6:7], s[30:31], v2, s9, 0
	s_addc_u32 s11, s5, s27
	v_and_b32_e32 v2, 15, v0
	v_lshl_add_u64 v[6:7], v[6:7], 1, s[10:11]
	v_lshlrev_b32_e32 v2, 4, v2
	v_lshl_add_u64 v[6:7], v[6:7], 0, v[2:3]
	global_load_dwordx4 v[50:53], v[6:7], off
	global_load_dwordx4 v[46:49], v[6:7], off offset:256
	global_load_dwordx4 v[22:25], v[6:7], off offset:512
	;; [unrolled: 1-line block ×7, first 2 shown]
	v_mov_b32_e32 v55, 1.0
	v_mov_b32_e32 v54, 0
	s_and_saveexec_b64 s[10:11], vcc
	s_cbranch_execz .LBB386_16
; %bb.15:
	s_load_dwordx2 s[26:27], s[0:1], 0x40
	v_add_u32_e32 v54, s33, v57
	v_mov_b32_e32 v55, 0
	s_waitcnt lgkmcnt(0)
	v_lshl_add_u64 v[6:7], v[54:55], 2, s[26:27]
	global_load_dword v54, v[6:7], off
.LBB386_16:
	s_or_b64 exec, exec, s[10:11]
	s_waitcnt vmcnt(7)
	v_mfma_f32_4x4x4_16b_bf16 a[0:3], v[26:27], v[50:51], 0 cbsz:4
	s_load_dword s0, s[0:1], 0x1c
	s_add_u32 s4, s24, s4
	v_mfma_f32_4x4x4_16b_bf16 a[0:3], v[28:29], v[52:53], a[0:3] cbsz:4
	s_addc_u32 s5, s25, s5
	v_lshlrev_b32_e32 v2, 5, v56
	s_waitcnt vmcnt(6)
	v_mfma_f32_4x4x4_16b_bf16 a[0:3], v[26:27], v[46:47], a[0:3] cbsz:4 abid:1
	v_lshl_add_u64 v[62:63], s[4:5], 0, v[2:3]
	v_mul_hi_i32 v2, v4, s9
	v_mfma_f32_4x4x4_16b_bf16 a[0:3], v[28:29], v[48:49], a[0:3] cbsz:4 abid:1
	v_ashrrev_i32_e32 v2, 31, v2
	v_mul_hi_i32 v11, v10, s9
	s_waitcnt vmcnt(5)
	v_mfma_f32_4x4x4_16b_bf16 a[0:3], v[26:27], v[22:23], a[0:3] cbsz:4 abid:2
	v_lshrrev_b32_e32 v64, 29, v2
	v_mov_b32_e32 v65, 0
	v_mfma_f32_4x4x4_16b_bf16 a[0:3], v[28:29], v[24:25], a[0:3] cbsz:4 abid:2
	v_ashrrev_i32_e32 v11, 31, v11
	v_mul_hi_i32 v50, v60, s9
	s_waitcnt vmcnt(4)
	v_mfma_f32_4x4x4_16b_bf16 a[0:3], v[26:27], v[18:19], a[0:3] cbsz:4 abid:3
	v_mad_i64_i32 v[2:3], s[4:5], v4, s9, v[64:65]
	s_nop 0
	v_mfma_f32_4x4x4_16b_bf16 a[0:3], v[28:29], v[20:21], a[0:3] cbsz:4 abid:3
	v_lshrrev_b32_e32 v64, 29, v11
	v_ashrrev_i32_e32 v50, 31, v50
	s_waitcnt vmcnt(3)
	v_mfma_f32_4x4x4_16b_bf16 a[0:3], v[26:27], v[42:43], a[0:3] cbsz:4 abid:4
	v_mul_hi_i32 v42, v59, s9
	v_mad_i64_i32 v[10:11], s[4:5], v10, s9, v[64:65]
	v_mfma_f32_4x4x4_16b_bf16 a[0:3], v[28:29], v[44:45], a[0:3] cbsz:4 abid:4
	v_lshrrev_b32_e32 v64, 29, v50
	v_ashrrev_i32_e32 v42, 31, v42
	s_waitcnt vmcnt(2)
	v_mfma_f32_4x4x4_16b_bf16 a[0:3], v[26:27], v[38:39], a[0:3] cbsz:4 abid:5
	v_cmp_eq_u32_e32 vcc, 0, v57
	v_mad_i64_i32 v[46:47], s[4:5], v60, s9, v[64:65]
	v_mfma_f32_4x4x4_16b_bf16 a[0:3], v[28:29], v[40:41], a[0:3] cbsz:4 abid:5
	v_lshrrev_b32_e32 v64, 29, v42
	v_mad_i64_i32 v[38:39], s[4:5], v59, s9, v[64:65]
	s_waitcnt vmcnt(1)
	v_mfma_f32_4x4x4_16b_bf16 a[0:3], v[26:27], v[34:35], a[0:3] cbsz:4 abid:6
	v_lshlrev_b64 v[2:3], 1, v[2:3]
	v_lshlrev_b64 v[10:11], 1, v[10:11]
	v_mfma_f32_4x4x4_16b_bf16 a[0:3], v[28:29], v[36:37], a[0:3] cbsz:4 abid:6
	v_lshlrev_b64 v[22:23], 1, v[46:47]
	v_lshlrev_b64 v[34:35], 1, v[38:39]
	s_waitcnt vmcnt(0)
	v_mfma_f32_4x4x4_16b_bf16 a[0:3], v[26:27], v[30:31], a[0:3] cbsz:4 abid:7
	v_and_b32_e32 v2, -16, v2
	v_and_b32_e32 v10, -16, v10
	v_mfma_f32_4x4x4_16b_bf16 a[0:3], v[28:29], v[32:33], a[0:3] cbsz:4 abid:7
	v_and_b32_e32 v22, -16, v22
	v_and_b32_e32 v34, -16, v34
	v_lshl_add_u64 v[12:13], v[62:63], 0, v[2:3]
	v_lshl_add_u64 v[66:67], v[62:63], 0, v[10:11]
	;; [unrolled: 1-line block ×3, first 2 shown]
	v_accvgpr_read_b32 v29, a1
	v_accvgpr_read_b32 v28, a0
	s_waitcnt lgkmcnt(0)
	v_pk_mul_f32 v[28:29], s[0:1], v[28:29] op_sel_hi:[0,1]
	v_accvgpr_read_b32 v27, a3
	v_accvgpr_read_b32 v26, a2
	v_pk_mul_f32 v[36:37], s[0:1], v[26:27] op_sel_hi:[0,1]
	v_cndmask_b32_e64 v26, 0, 1.0, vcc
	v_cmp_eq_u32_e32 vcc, 1, v57
	v_lshl_add_u64 v[34:35], v[62:63], 0, v[34:35]
	v_mfma_f32_4x4x1_16b_f32 a[0:3], v28, v26, 0
	v_cndmask_b32_e64 v26, 0, 1.0, vcc
	v_cmp_eq_u32_e32 vcc, 2, v57
	global_load_dwordx4 v[2:5], v[12:13], off
	global_load_dwordx4 v[6:9], v[12:13], off offset:16
	v_mfma_f32_4x4x1_16b_f32 a[0:3], v29, v26, a[0:3]
	v_cndmask_b32_e64 v26, 0, 1.0, vcc
	global_load_dwordx4 v[10:13], v[66:67], off
	global_load_dwordx4 v[14:17], v[66:67], off offset:16
	global_load_dwordx4 v[18:21], v[46:47], off
	global_load_dwordx4 v[22:25], v[46:47], off offset:16
	v_mfma_f32_4x4x1_16b_f32 a[0:3], v36, v26, a[0:3]
	global_load_dwordx4 v[26:29], v[34:35], off
	global_load_dwordx4 v[30:33], v[34:35], off offset:16
	v_and_b32_e32 v34, -4, v58
	v_subrev_u32_e32 v35, s3, v34
	v_add_u32_e32 v36, 1, v35
	v_mfma_f32_4x4x1_16b_f32 a[0:3], v37, v55, a[0:3]
	v_cvt_f32_i32_e32 v36, v36
	v_add_u32_e32 v37, 2, v35
	v_cvt_f32_i32_e32 v37, v37
	v_mov_b32_e32 v41, 0xff7fffff
	v_accvgpr_read_b32 v38, a0
	v_fma_f32 v36, v54, v36, v38
	v_accvgpr_read_b32 v38, a1
	v_fma_f32 v37, v54, v37, v38
	v_add_u32_e32 v38, 3, v35
	v_cvt_f32_i32_e32 v38, v38
	v_add_u32_e32 v35, 4, v35
	v_max_f32_e32 v40, 0xff7fffff, v36
	v_cmp_gt_i32_e32 vcc, s3, v34
	v_cvt_f32_i32_e32 v35, v35
	v_accvgpr_read_b32 v39, a2
	v_cndmask_b32_e32 v40, v41, v40, vcc
	v_or_b32_e32 v41, 1, v34
	v_max_f32_e32 v42, v40, v37
	v_cmp_gt_i32_e64 s[0:1], s3, v41
	v_fma_f32 v38, v54, v38, v39
	v_or_b32_e32 v34, 2, v34
	v_cndmask_b32_e64 v40, v40, v42, s[0:1]
	v_accvgpr_read_b32 v39, a3
	v_max_f32_e32 v41, v40, v38
	v_cmp_gt_i32_e64 s[4:5], s3, v34
	v_fmac_f32_e32 v39, v54, v35
	v_lshlrev_b32_e32 v35, 2, v0
	v_cndmask_b32_e64 v34, v40, v41, s[4:5]
	v_or_b32_e32 v40, 3, v58
	v_max_f32_e32 v41, v34, v39
	v_cmp_gt_i32_e64 s[8:9], s3, v40
	v_and_or_b32 v35, v35, 48, v57
	s_nop 0
	v_cndmask_b32_e64 v34, v34, v41, s[8:9]
	;;#ASMSTART
	v_nop
 v_nop
 v_max_f32_dpp v34, v34, v34 row_ror:4
	;;#ASMEND
	v_lshlrev_b32_e32 v41, 2, v35
	;;#ASMSTART
	v_nop
 v_nop
 v_max_f32_dpp v34, v34, v34 row_ror:8
	;;#ASMEND
	ds_bpermute_b32 v34, v41, v34
	s_waitcnt lgkmcnt(0)
	;;#ASMSTART
	v_nop
 v_nop
 v_max_f32_dpp v34, v34, v34 row_ror:4
	;;#ASMEND
	s_nop 0
	;;#ASMSTART
	v_nop
 v_nop
 v_max_f32_dpp v40, v34, v34 row_ror:8
	;;#ASMEND
	s_nop 0
	v_sub_f32_e32 v34, v36, v40
	v_mul_f32_e32 v34, 0x3fb8aa3b, v34
	v_sub_f32_e32 v35, v37, v40
	v_exp_f32_e32 v34, v34
	v_mul_f32_e32 v35, 0x3fb8aa3b, v35
	v_sub_f32_e32 v37, v38, v40
	v_exp_f32_e32 v35, v35
	;; [unrolled: 3-line block ×3, first 2 shown]
	v_mul_f32_e32 v38, 0x3fb8aa3b, v38
	v_exp_f32_e32 v38, v38
	v_cndmask_b32_e32 v34, 0, v34, vcc
	v_add_f32_e32 v36, 0, v34
	v_cndmask_b32_e64 v35, 0, v35, s[0:1]
	v_add_f32_e32 v39, v36, v35
	v_cndmask_b32_e64 v36, 0, v37, s[4:5]
	;; [unrolled: 2-line block ×3, first 2 shown]
	v_add_f32_e32 v38, v39, v37
	;;#ASMSTART
	v_nop
 v_nop
 v_add_f32_dpp v38, v38, v38 row_ror:4
	;;#ASMEND
	v_cmp_gt_u32_e32 vcc, 4, v56
	;;#ASMSTART
	v_nop
 v_nop
 v_add_f32_dpp v38, v38, v38 row_ror:8
	;;#ASMEND
	ds_bpermute_b32 v38, v41, v38
	s_waitcnt lgkmcnt(0)
	;;#ASMSTART
	v_nop
 v_nop
 v_add_f32_dpp v38, v38, v38 row_ror:4
	;;#ASMEND
	s_nop 0
	;;#ASMSTART
	v_nop
 v_nop
 v_add_f32_dpp v38, v38, v38 row_ror:8
	;;#ASMEND
	s_and_saveexec_b64 s[0:1], vcc
	s_cbranch_execz .LBB386_18
; %bb.17:
	v_mul_u32_u24_e32 v39, 20, v1
	v_lshl_add_u32 v39, v57, 2, v39
	v_add_u32_e32 v39, 0x800, v39
	ds_write2_b32 v39, v40, v38 offset0:128 offset1:148
.LBB386_18:
	s_or_b64 exec, exec, s[0:1]
.LBB386_19:
	s_or_b64 exec, exec, s[22:23]
	s_waitcnt lgkmcnt(0)
	s_barrier
	s_load_dword s0, s[20:21], 0x8
	v_lshlrev_b32_e32 v38, 2, v57
	v_add_u32_e32 v46, 0x800, v38
	ds_read2_b32 v[38:39], v46 offset0:128 offset1:133
	ds_read2_b32 v[42:43], v46 offset0:138 offset1:143
	s_mul_i32 s1, s2, s34
	s_waitcnt lgkmcnt(0)
	s_mul_i32 s0, s1, s0
	s_mov_b32 s1, 0xff7fffff
	v_max3_f32 v41, v38, s1, v39
	v_max3_f32 v41, v41, v42, v43
	v_sub_f32_e32 v38, v38, v41
	v_mul_f32_e32 v38, 0x3fb8aa3b, v38
	ds_read2_b32 v[44:45], v46 offset0:148 offset1:153
	v_exp_f32_e32 v47, v38
	v_sub_f32_e32 v38, v39, v41
	v_sub_f32_e32 v42, v42, v41
	v_mul_f32_e32 v38, 0x3fb8aa3b, v38
	v_mul_f32_e32 v42, 0x3fb8aa3b, v42
	v_exp_f32_e32 v48, v38
	ds_read2_b32 v[38:39], v46 offset0:158 offset1:163
	v_exp_f32_e32 v46, v42
	v_sub_f32_e32 v42, v43, v41
	v_mul_f32_e32 v42, 0x3fb8aa3b, v42
	v_exp_f32_e32 v43, v42
	s_waitcnt lgkmcnt(1)
	v_fma_f32 v42, v47, v44, 0
	v_fmac_f32_e32 v42, v48, v45
	s_waitcnt lgkmcnt(0)
	v_fmac_f32_e32 v42, v46, v38
	s_mul_i32 s0, s0, 3
	v_fmac_f32_e32 v42, v43, v39
	v_cmp_ne_u32_e32 vcc, 3, v57
	s_and_saveexec_b64 s[2:3], vcc
	s_cbranch_execz .LBB386_21
; %bb.20:
	s_mov_b32 s1, 0
	s_lshl_b64 s[4:5], s[0:1], 2
	s_add_u32 s10, s12, s4
	s_mov_b32 s17, s1
	s_addc_u32 s11, s13, s5
	s_lshl_b64 s[8:9], s[16:17], 2
	s_add_u32 s10, s10, s8
	s_addc_u32 s11, s11, s9
	s_add_u32 s1, s14, s4
	s_addc_u32 s5, s15, s5
	v_add_u32_e32 v38, s33, v57
	s_add_u32 s4, s1, s8
	v_mul_lo_u32 v38, s34, v38
	v_mov_b32_e32 v39, 0
	s_addc_u32 s5, s5, s9
	v_lshlrev_b64 v[38:39], 2, v[38:39]
	v_lshl_add_u64 v[44:45], s[10:11], 0, v[38:39]
	v_lshl_add_u64 v[38:39], s[4:5], 0, v[38:39]
	global_store_dword v[38:39], v41, off
	global_store_dword v[44:45], v42, off
.LBB386_21:
	s_or_b64 exec, exec, s[2:3]
	v_mov_b32_e32 v38, 0
	v_mov_b32_e32 v39, 0
	s_and_saveexec_b64 s[2:3], s[6:7]
	s_cbranch_execz .LBB386_23
; %bb.22:
	v_add_f32_e32 v38, 0x358637bd, v42
	v_div_scale_f32 v39, s[4:5], v38, v38, 1.0
	v_rcp_f32_e32 v42, v39
	v_div_scale_f32 v43, vcc, 1.0, v38, 1.0
	v_sub_f32_e32 v40, v40, v41
	v_fma_f32 v44, -v39, v42, 1.0
	v_fmac_f32_e32 v42, v44, v42
	v_mul_f32_e32 v44, v43, v42
	v_fma_f32 v45, -v39, v44, v43
	v_mul_f32_e32 v40, 0x3fb8aa3b, v40
	v_fmac_f32_e32 v44, v45, v42
	v_exp_f32_e32 v40, v40
	v_fma_f32 v39, -v39, v44, v43
	v_div_fmas_f32 v39, v39, v42, v44
	v_div_fixup_f32 v38, v39, v38, 1.0
	v_mul_f32_e32 v38, v40, v38
	v_pk_mul_f32 v[34:35], v[34:35], v[38:39] op_sel_hi:[1,0]
	v_pk_mul_f32 v[36:37], v[36:37], v[38:39] op_sel_hi:[1,0]
	v_bfe_u32 v38, v35, 16, 1
	v_bfe_u32 v39, v34, 16, 1
	s_movk_i32 s1, 0x7fff
	v_add3_u32 v34, v34, v39, s1
	v_add3_u32 v35, v35, v38, s1
	s_mov_b32 s4, 0x7060302
	v_perm_b32 v34, v35, v34, s4
	v_bfe_u32 v35, v37, 16, 1
	v_bfe_u32 v38, v36, 16, 1
	v_add3_u32 v36, v36, v38, s1
	v_add3_u32 v35, v37, v35, s1
	v_perm_b32 v35, v35, v36, s4
	s_waitcnt vmcnt(7)
	s_nop 0
	v_mfma_f32_4x4x4_16b_bf16 a[0:3], v[34:35], v[2:3], 0 cbsz:4
	s_nop 1
	v_mfma_f32_4x4x4_16b_bf16 a[0:3], v[34:35], v[4:5], a[0:3] cbsz:4 abid:1
	s_waitcnt vmcnt(6)
	s_nop 0
	v_mfma_f32_4x4x4_16b_bf16 a[0:3], v[34:35], v[6:7], a[0:3] cbsz:4 abid:2
	s_nop 1
	v_mfma_f32_4x4x4_16b_bf16 a[0:3], v[34:35], v[8:9], a[0:3] cbsz:4 abid:3
	s_waitcnt vmcnt(5)
	s_nop 0
	v_mfma_f32_4x4x4_16b_bf16 a[0:3], v[34:35], v[10:11], a[0:3] cbsz:4 abid:4
	;; [unrolled: 5-line block ×7, first 2 shown]
	s_nop 1
	v_mfma_f32_4x4x4_16b_bf16 a[0:3], v[34:35], v[32:33], a[0:3] cbsz:4 abid:15
	s_nop 4
	v_accvgpr_read_b32 v5, a1
	v_accvgpr_read_b32 v2, a2
	;; [unrolled: 1-line block ×4, first 2 shown]
	v_bfe_u32 v6, v5, 16, 1
	v_bfe_u32 v7, v4, 16, 1
	;; [unrolled: 1-line block ×3, first 2 shown]
	v_add3_u32 v5, v5, v6, s1
	v_bfe_u32 v6, v2, 16, 1
	v_add3_u32 v4, v4, v7, s1
	v_add3_u32 v2, v2, v6, s1
	;; [unrolled: 1-line block ×3, first 2 shown]
	v_perm_b32 v39, v3, v2, s4
	v_perm_b32 v38, v5, v4, s4
.LBB386_23:
	s_or_b64 exec, exec, s[2:3]
	v_lshlrev_b32_e32 v1, 3, v1
	v_mad_u32_u24 v1, v56, 40, v1
	v_cmp_gt_u32_e32 vcc, 64, v0
	ds_write_b64 v1, v[38:39]
	s_waitcnt lgkmcnt(0)
	s_barrier
	s_and_saveexec_b64 s[2:3], vcc
	s_cbranch_execz .LBB386_25
; %bb.24:
	v_mul_u32_u24_e32 v1, 40, v56
	s_waitcnt vmcnt(7)
	ds_read2_b64 v[2:5], v1 offset1:1
	s_waitcnt vmcnt(6)
	ds_read2_b64 v[6:9], v1 offset0:2 offset1:3
	s_mov_b32 s1, 0
	s_lshl_b32 s0, s0, 6
	s_lshl_b64 s[2:3], s[0:1], 1
	s_waitcnt lgkmcnt(1)
	v_and_b32_e32 v1, 0xffff0000, v2
	v_lshlrev_b32_e32 v3, 16, v3
	v_add_f32_e32 v1, 0, v1
	v_add_f32_e32 v3, 0, v3
	v_and_b32_e32 v1, 0xffff0000, v1
	s_waitcnt vmcnt(5)
	v_and_b32_e32 v10, 0xffff0000, v4
	v_and_b32_e32 v3, 0xffff0000, v3
	v_add_f32_e32 v1, v1, v10
	v_lshlrev_b32_e32 v5, 16, v5
	v_and_b32_e32 v1, 0xffff0000, v1
	v_add_f32_e32 v3, v3, v5
	s_waitcnt lgkmcnt(0)
	v_and_b32_e32 v5, 0xffff0000, v6
	v_and_b32_e32 v3, 0xffff0000, v3
	v_add_f32_e32 v1, v1, v5
	v_lshlrev_b32_e32 v5, 16, v7
	v_and_b32_e32 v1, 0xffff0000, v1
	v_add_f32_e32 v3, v3, v5
	v_and_b32_e32 v5, 0xffff0000, v8
	v_lshlrev_b32_e32 v2, 16, v2
	v_and_b32_e32 v3, 0xffff0000, v3
	v_add_f32_e32 v1, v1, v5
	v_lshlrev_b32_e32 v5, 16, v9
	s_add_u32 s2, s18, s2
	v_add_f32_e32 v2, 0, v2
	v_add_f32_e32 v7, v3, v5
	s_addc_u32 s3, s19, s3
	s_lshl_b32 s0, s16, 6
	v_and_b32_e32 v2, 0xffff0000, v2
	v_lshlrev_b32_e32 v3, 16, v4
	s_lshl_b64 s[0:1], s[0:1], 1
	v_add_f32_e32 v2, v2, v3
	s_add_u32 s0, s2, s0
	v_and_b32_e32 v2, 0xffff0000, v2
	v_lshlrev_b32_e32 v3, 16, v6
	s_addc_u32 s1, s3, s1
	s_lshl_b32 s2, s34, 6
	v_add_f32_e32 v2, v2, v3
	v_and_b32_e32 v2, 0xffff0000, v2
	v_lshlrev_b32_e32 v3, 16, v8
	s_mul_i32 s3, s2, s33
	v_add_f32_e32 v6, v2, v3
	v_or_b32_e32 v2, s3, v0
	v_mov_b32_e32 v3, 0
	s_add_i32 s3, s3, s2
	v_lshl_add_u64 v[4:5], v[2:3], 1, s[0:1]
	v_or_b32_e32 v2, s3, v0
	s_add_i32 s3, s3, s2
	global_store_short_d16_hi v[4:5], v6, off
	v_lshl_add_u64 v[4:5], v[2:3], 1, s[0:1]
	v_or_b32_e32 v2, s3, v0
	global_store_short_d16_hi v[4:5], v1, off
	v_lshl_add_u64 v[0:1], v[2:3], 1, s[0:1]
	global_store_short_d16_hi v[0:1], v7, off
.LBB386_25:
	s_endpgm
	.section	.rodata,"a",@progbits
	.p2align	6, 0x0
	.amdhsa_kernel _Z38paged_attention_ll4mi_QKV_mfma4_kernelI14__hip_bfloat16S0_LN4vllm18Fp8KVCacheDataTypeE0EhLi16ELi64ELi256ELb1ELi3EEvPKT_PKT0_S8_ifPKiSA_SA_iPKfiiiPfSD_PS3_PT2_iSC_SC_
		.amdhsa_group_segment_fixed_size 2720
		.amdhsa_private_segment_fixed_size 0
		.amdhsa_kernarg_size 400
		.amdhsa_user_sgpr_count 2
		.amdhsa_user_sgpr_dispatch_ptr 0
		.amdhsa_user_sgpr_queue_ptr 0
		.amdhsa_user_sgpr_kernarg_segment_ptr 1
		.amdhsa_user_sgpr_dispatch_id 0
		.amdhsa_user_sgpr_kernarg_preload_length 0
		.amdhsa_user_sgpr_kernarg_preload_offset 0
		.amdhsa_user_sgpr_private_segment_size 0
		.amdhsa_uses_dynamic_stack 0
		.amdhsa_enable_private_segment 0
		.amdhsa_system_sgpr_workgroup_id_x 1
		.amdhsa_system_sgpr_workgroup_id_y 1
		.amdhsa_system_sgpr_workgroup_id_z 1
		.amdhsa_system_sgpr_workgroup_info 0
		.amdhsa_system_vgpr_workitem_id 0
		.amdhsa_next_free_vgpr 72
		.amdhsa_next_free_sgpr 40
		.amdhsa_accum_offset 68
		.amdhsa_reserve_vcc 1
		.amdhsa_float_round_mode_32 0
		.amdhsa_float_round_mode_16_64 0
		.amdhsa_float_denorm_mode_32 3
		.amdhsa_float_denorm_mode_16_64 3
		.amdhsa_dx10_clamp 1
		.amdhsa_ieee_mode 1
		.amdhsa_fp16_overflow 0
		.amdhsa_tg_split 0
		.amdhsa_exception_fp_ieee_invalid_op 0
		.amdhsa_exception_fp_denorm_src 0
		.amdhsa_exception_fp_ieee_div_zero 0
		.amdhsa_exception_fp_ieee_overflow 0
		.amdhsa_exception_fp_ieee_underflow 0
		.amdhsa_exception_fp_ieee_inexact 0
		.amdhsa_exception_int_div_zero 0
	.end_amdhsa_kernel
	.section	.text._Z38paged_attention_ll4mi_QKV_mfma4_kernelI14__hip_bfloat16S0_LN4vllm18Fp8KVCacheDataTypeE0EhLi16ELi64ELi256ELb1ELi3EEvPKT_PKT0_S8_ifPKiSA_SA_iPKfiiiPfSD_PS3_PT2_iSC_SC_,"axG",@progbits,_Z38paged_attention_ll4mi_QKV_mfma4_kernelI14__hip_bfloat16S0_LN4vllm18Fp8KVCacheDataTypeE0EhLi16ELi64ELi256ELb1ELi3EEvPKT_PKT0_S8_ifPKiSA_SA_iPKfiiiPfSD_PS3_PT2_iSC_SC_,comdat
.Lfunc_end386:
	.size	_Z38paged_attention_ll4mi_QKV_mfma4_kernelI14__hip_bfloat16S0_LN4vllm18Fp8KVCacheDataTypeE0EhLi16ELi64ELi256ELb1ELi3EEvPKT_PKT0_S8_ifPKiSA_SA_iPKfiiiPfSD_PS3_PT2_iSC_SC_, .Lfunc_end386-_Z38paged_attention_ll4mi_QKV_mfma4_kernelI14__hip_bfloat16S0_LN4vllm18Fp8KVCacheDataTypeE0EhLi16ELi64ELi256ELb1ELi3EEvPKT_PKT0_S8_ifPKiSA_SA_iPKfiiiPfSD_PS3_PT2_iSC_SC_
                                        ; -- End function
	.section	.AMDGPU.csdata,"",@progbits
; Kernel info:
; codeLenInByte = 3456
; NumSgprs: 46
; NumVgprs: 68
; NumAgprs: 4
; TotalNumVgprs: 72
; ScratchSize: 0
; MemoryBound: 0
; FloatMode: 240
; IeeeMode: 1
; LDSByteSize: 2720 bytes/workgroup (compile time only)
; SGPRBlocks: 5
; VGPRBlocks: 8
; NumSGPRsForWavesPerEU: 46
; NumVGPRsForWavesPerEU: 72
; AccumOffset: 68
; Occupancy: 7
; WaveLimiterHint : 1
; COMPUTE_PGM_RSRC2:SCRATCH_EN: 0
; COMPUTE_PGM_RSRC2:USER_SGPR: 2
; COMPUTE_PGM_RSRC2:TRAP_HANDLER: 0
; COMPUTE_PGM_RSRC2:TGID_X_EN: 1
; COMPUTE_PGM_RSRC2:TGID_Y_EN: 1
; COMPUTE_PGM_RSRC2:TGID_Z_EN: 1
; COMPUTE_PGM_RSRC2:TIDIG_COMP_CNT: 0
; COMPUTE_PGM_RSRC3_GFX90A:ACCUM_OFFSET: 16
; COMPUTE_PGM_RSRC3_GFX90A:TG_SPLIT: 0
	.section	.text._Z38paged_attention_ll4mi_QKV_mfma4_kernelI14__hip_bfloat16S0_LN4vllm18Fp8KVCacheDataTypeE0EhLi16ELi64ELi256ELb1ELi4EEvPKT_PKT0_S8_ifPKiSA_SA_iPKfiiiPfSD_PS3_PT2_iSC_SC_,"axG",@progbits,_Z38paged_attention_ll4mi_QKV_mfma4_kernelI14__hip_bfloat16S0_LN4vllm18Fp8KVCacheDataTypeE0EhLi16ELi64ELi256ELb1ELi4EEvPKT_PKT0_S8_ifPKiSA_SA_iPKfiiiPfSD_PS3_PT2_iSC_SC_,comdat
	.protected	_Z38paged_attention_ll4mi_QKV_mfma4_kernelI14__hip_bfloat16S0_LN4vllm18Fp8KVCacheDataTypeE0EhLi16ELi64ELi256ELb1ELi4EEvPKT_PKT0_S8_ifPKiSA_SA_iPKfiiiPfSD_PS3_PT2_iSC_SC_ ; -- Begin function _Z38paged_attention_ll4mi_QKV_mfma4_kernelI14__hip_bfloat16S0_LN4vllm18Fp8KVCacheDataTypeE0EhLi16ELi64ELi256ELb1ELi4EEvPKT_PKT0_S8_ifPKiSA_SA_iPKfiiiPfSD_PS3_PT2_iSC_SC_
	.globl	_Z38paged_attention_ll4mi_QKV_mfma4_kernelI14__hip_bfloat16S0_LN4vllm18Fp8KVCacheDataTypeE0EhLi16ELi64ELi256ELb1ELi4EEvPKT_PKT0_S8_ifPKiSA_SA_iPKfiiiPfSD_PS3_PT2_iSC_SC_
	.p2align	8
	.type	_Z38paged_attention_ll4mi_QKV_mfma4_kernelI14__hip_bfloat16S0_LN4vllm18Fp8KVCacheDataTypeE0EhLi16ELi64ELi256ELb1ELi4EEvPKT_PKT0_S8_ifPKiSA_SA_iPKfiiiPfSD_PS3_PT2_iSC_SC_,@function
_Z38paged_attention_ll4mi_QKV_mfma4_kernelI14__hip_bfloat16S0_LN4vllm18Fp8KVCacheDataTypeE0EhLi16ELi64ELi256ELb1ELi4EEvPKT_PKT0_S8_ifPKiSA_SA_iPKfiiiPfSD_PS3_PT2_iSC_SC_: ; @_Z38paged_attention_ll4mi_QKV_mfma4_kernelI14__hip_bfloat16S0_LN4vllm18Fp8KVCacheDataTypeE0EhLi16ELi64ELi256ELb1ELi4EEvPKT_PKT0_S8_ifPKiSA_SA_iPKfiiiPfSD_PS3_PT2_iSC_SC_
; %bb.0:
	s_load_dwordx2 s[8:9], s[0:1], 0x30
	s_mov_b32 s20, s3
	s_mov_b64 s[6:7], 0
	s_waitcnt lgkmcnt(0)
	s_cmp_lg_u64 s[8:9], 0
	s_cselect_b64 s[10:11], -1, 0
	s_and_b64 vcc, exec, s[10:11]
	s_cbranch_vccz .LBB387_18
; %bb.1:
	s_add_i32 s12, s2, 1
	s_mov_b32 s13, 0
	s_lshl_b64 s[14:15], s[12:13], 2
	s_add_u32 s14, s8, s14
	s_mov_b32 s3, s13
	s_addc_u32 s15, s9, s15
	s_lshl_b64 s[12:13], s[2:3], 2
	s_add_u32 s12, s8, s12
	s_addc_u32 s13, s9, s13
	s_load_dword s5, s[14:15], 0x0
	s_load_dword s16, s[12:13], 0x0
	s_mov_b64 s[34:35], s[2:3]
	s_waitcnt lgkmcnt(0)
	s_sub_i32 s5, s5, s16
	s_cmp_eq_u32 s5, 1
	s_cselect_b64 s[12:13], -1, 0
	s_andn2_b64 vcc, exec, s[6:7]
	s_cbranch_vccnz .LBB387_3
.LBB387_2:
	s_mov_b32 s3, 0
	s_mov_b64 s[12:13], -1
	s_mov_b64 s[34:35], s[2:3]
.LBB387_3:
	s_andn2_b64 vcc, exec, s[12:13]
	s_cbranch_vccnz .LBB387_17
; %bb.4:
	s_load_dword s3, s[0:1], 0x9c
	s_load_dwordx2 s[6:7], s[0:1], 0x28
	s_add_u32 s24, s0, 0x90
	s_addc_u32 s25, s1, 0
	s_lshl_b64 s[36:37], s[34:35], 2
	s_waitcnt lgkmcnt(0)
	s_and_b32 s5, s3, 0xffff
	s_add_u32 s6, s6, s36
	s_addc_u32 s7, s7, s37
	s_load_dword s3, s[6:7], 0x0
	s_mul_i32 s5, s20, s5
	s_waitcnt lgkmcnt(0)
	s_cmp_ge_i32 s5, s3
	s_cbranch_scc1 .LBB387_17
; %bb.5:
	v_and_b32_e32 v2, 0xc0, v0
	v_and_b32_e32 v41, 3, v0
	s_lshl_b32 s33, s4, 2
	v_add_u32_e32 v4, s5, v2
	v_lshrrev_b32_e32 v1, 6, v0
	v_cmp_gt_i32_e64 s[6:7], s3, v4
	v_cmp_le_i32_e32 vcc, s3, v4
	v_or_b32_e32 v34, s33, v41
                                        ; implicit-def: $sgpr17
                                        ; implicit-def: $sgpr16
	s_and_saveexec_b64 s[12:13], vcc
	s_xor_b64 s[12:13], exec, s[12:13]
	s_cbranch_execz .LBB387_7
; %bb.6:
	v_mul_u32_u24_e32 v2, 20, v1
	v_or_b32_e32 v2, 0xa00, v2
	v_mov_b32_e32 v3, 0xa50
	v_mov_b32_e32 v4, 0xff7fffff
	v_mad_u32_u24 v3, v1, 20, v3
	ds_write2_b32 v2, v4, v4 offset1:1
	v_mov_b32_e32 v2, 0
	ds_write2_b32 v3, v2, v2 offset1:1
	v_mov_b32_e32 v3, 0xa08
	s_mov_b32 s16, 0xff7fffff
	s_mov_b32 s17, 0
	v_mad_u32_u24 v3, v1, 20, v3
	v_mov_b32_e32 v5, 0xa58
	v_or_b32_e32 v34, s33, v41
	v_mad_u32_u24 v5, v1, 20, v5
	ds_write2_b32 v3, v4, v4 offset1:1
	ds_write2_b32 v5, v2, v2 offset1:1
                                        ; implicit-def: $vgpr4
.LBB387_7:
	s_or_saveexec_b64 s[26:27], s[12:13]
	s_load_dwordx2 s[22:23], s[0:1], 0x68
	s_load_dwordx4 s[12:15], s[0:1], 0x58
	s_load_dword s40, s[24:25], 0x4
	v_and_b32_e32 v40, 63, v0
	v_mov_b32_e32 v39, s17
	v_mov_b32_e32 v42, s16
	;; [unrolled: 1-line block ×5, first 2 shown]
                                        ; implicit-def: $vgpr3
                                        ; implicit-def: $vgpr7
                                        ; implicit-def: $vgpr11
                                        ; implicit-def: $vgpr15
                                        ; implicit-def: $vgpr19
                                        ; implicit-def: $vgpr23
                                        ; implicit-def: $vgpr27
                                        ; implicit-def: $vgpr31
	s_xor_b64 exec, exec, s[26:27]
	s_cbranch_execz .LBB387_13
; %bb.8:
	s_add_i32 s19, s3, 15
	s_ashr_i32 s21, s19, 31
	s_lshr_b32 s21, s21, 28
	v_add_u32_e32 v2, s5, v0
	s_add_i32 s19, s19, s21
	v_ashrrev_i32_e32 v3, 31, v2
	s_load_dwordx2 s[16:17], s[0:1], 0x20
	s_load_dword s18, s[0:1], 0x38
	s_ashr_i32 s19, s19, 4
	v_lshrrev_b32_e32 v3, 28, v3
	s_add_i32 s21, s19, -1
	v_add_u32_e32 v3, v2, v3
	v_ashrrev_i32_e32 v3, 4, v3
	v_mov_b32_e32 v5, s21
	v_cmp_gt_i32_e32 vcc, s3, v2
	s_waitcnt lgkmcnt(0)
	s_mul_i32 s38, s2, s18
	s_mov_b32 s39, 0
	v_cndmask_b32_e32 v6, v5, v3, vcc
	v_ashrrev_i32_e32 v3, 31, v4
	v_lshrrev_b32_e32 v3, 28, v3
	v_add_u32_e32 v3, v4, v3
	s_lshl_b64 s[18:19], s[38:39], 2
	v_ashrrev_i32_e32 v3, 4, v3
	s_add_u32 s16, s16, s18
	v_min_i32_e32 v4, s21, v3
	s_addc_u32 s17, s17, s19
	v_ashrrev_i32_e32 v5, 31, v4
	v_lshl_add_u64 v[10:11], v[4:5], 2, s[16:17]
	v_add_u32_e32 v4, 1, v3
	v_min_i32_e32 v4, s21, v4
	v_ashrrev_i32_e32 v5, 31, v4
	v_lshl_add_u64 v[12:13], v[4:5], 2, s[16:17]
	v_add_u32_e32 v4, 2, v3
	v_min_i32_e32 v4, s21, v4
	v_ashrrev_i32_e32 v5, 31, v4
	v_add_u32_e32 v3, 3, v3
	v_ashrrev_i32_e32 v7, 31, v6
	v_lshl_add_u64 v[14:15], v[4:5], 2, s[16:17]
	v_min_i32_e32 v4, s21, v3
	v_lshl_add_u64 v[8:9], v[6:7], 2, s[16:17]
	v_ashrrev_i32_e32 v5, 31, v4
	v_lshl_add_u64 v[16:17], v[4:5], 2, s[16:17]
	global_load_dword v7, v[8:9], off
	global_load_dword v6, v[10:11], off
	;; [unrolled: 1-line block ×5, first 2 shown]
	s_load_dwordx2 s[30:31], s[0:1], 0x40
	s_load_dwordx4 s[16:19], s[0:1], 0x0
	s_load_dwordx2 s[28:29], s[0:1], 0x10
	s_andn2_b64 vcc, exec, s[10:11]
	s_cbranch_vccnz .LBB387_10
; %bb.9:
	s_add_u32 s8, s8, s36
	s_addc_u32 s9, s9, s37
	s_load_dword s38, s[8:9], 0x0
	s_waitcnt lgkmcnt(0)
	s_mov_b64 s[34:35], s[38:39]
.LBB387_10:
	s_load_dwordx4 s[8:11], s[0:1], 0x48
	v_lshrrev_b32_e32 v8, 2, v40
	v_lshlrev_b32_e32 v9, 3, v41
	v_add_lshl_u32 v8, v9, v8, 4
	v_mov_b32_e32 v33, 0
	s_waitcnt lgkmcnt(0)
	s_ashr_i32 s5, s8, 31
	s_mul_hi_u32 s11, s34, s8
	s_mul_i32 s5, s34, s5
	s_mul_i32 s21, s35, s8
	s_add_i32 s5, s11, s5
	s_mul_i32 s36, s34, s8
	s_add_i32 s37, s5, s21
	s_lshl_b64 s[34:35], s[36:37], 1
	s_add_u32 s5, s16, s34
	s_addc_u32 s8, s17, s35
	s_lshl_b32 s38, s4, 8
	s_lshl_b64 s[16:17], s[38:39], 1
	s_add_u32 s16, s5, s16
	s_addc_u32 s17, s8, s17
	global_load_dwordx4 v[36:39], v8, s[16:17]
	s_mul_i32 s38, s4, s10
	s_lshl_b64 s[4:5], s[38:39], 1
	s_add_u32 s10, s4, s18
	s_waitcnt vmcnt(5)
	v_mad_i64_i32 v[8:9], s[16:17], v7, s9, 0
	s_addc_u32 s11, s5, s19
	v_and_b32_e32 v7, 15, v0
	v_lshl_add_u64 v[8:9], v[8:9], 1, s[10:11]
	v_lshlrev_b32_e32 v32, 4, v7
	v_lshl_add_u64 v[46:47], v[8:9], 0, v[32:33]
	global_load_dwordx4 v[8:11], v[46:47], off
	global_load_dwordx4 v[12:15], v[46:47], off offset:256
	global_load_dwordx4 v[16:19], v[46:47], off offset:512
	;; [unrolled: 1-line block ×6, first 2 shown]
	v_mov_b32_e32 v35, v33
	global_load_dwordx4 v[46:49], v[46:47], off offset:1792
	v_lshl_add_u64 v[50:51], v[34:35], 2, s[30:31]
	global_load_dword v70, v[50:51], off
	v_and_b32_e32 v62, -4, v2
	v_lshlrev_b32_e32 v7, 2, v0
	v_or_b32_e32 v64, 3, v2
	s_waitcnt vmcnt(13)
	v_mul_hi_i32 v2, v6, s9
	s_waitcnt vmcnt(11)
	v_mul_hi_i32 v32, v4, s9
	s_add_u32 s4, s28, s4
	v_and_or_b32 v66, v7, 48, v41
	v_mul_hi_i32 v7, v5, s9
	s_waitcnt vmcnt(10)
	v_mul_hi_i32 v50, v3, s9
	v_ashrrev_i32_e32 v2, 31, v2
	v_ashrrev_i32_e32 v54, 31, v32
	s_addc_u32 s5, s29, s5
	v_lshlrev_b32_e32 v32, 5, v40
	v_ashrrev_i32_e32 v52, 31, v7
	v_ashrrev_i32_e32 v55, 31, v50
	v_lshl_add_u64 v[50:51], s[4:5], 0, v[32:33]
	v_lshrrev_b32_e32 v32, 29, v2
	v_mad_i64_i32 v[6:7], s[4:5], v6, s9, v[32:33]
	v_lshrrev_b32_e32 v32, 29, v52
	v_mad_i64_i32 v[52:53], s[4:5], v5, s9, v[32:33]
	v_lshrrev_b32_e32 v32, 29, v54
	v_lshlrev_b64 v[52:53], 1, v[52:53]
	v_mad_i64_i32 v[4:5], s[4:5], v4, s9, v[32:33]
	v_lshrrev_b32_e32 v32, 29, v55
	v_lshlrev_b64 v[6:7], 1, v[6:7]
	v_and_b32_e32 v52, -16, v52
	v_and_b32_e32 v6, -16, v6
	v_lshlrev_b64 v[56:57], 1, v[4:5]
	v_lshl_add_u64 v[54:55], v[50:51], 0, v[6:7]
	v_and_b32_e32 v56, -16, v56
	s_load_dword s0, s[0:1], 0x1c
	v_cmp_eq_u32_e32 vcc, 0, v41
	v_subrev_u32_e32 v65, s3, v62
	v_add_u32_e32 v35, 1, v65
	v_cndmask_b32_e64 v58, 0, 1.0, vcc
	v_cmp_eq_u32_e32 vcc, 1, v41
	v_cvt_f32_i32_e32 v35, v35
	v_add_u32_e32 v69, 2, v65
	v_cndmask_b32_e64 v59, 0, 1.0, vcc
	v_cmp_eq_u32_e32 vcc, 2, v41
	v_mov_b32_e32 v63, 0xff7fffff
	v_or_b32_e32 v67, 1, v62
	v_cndmask_b32_e64 v60, 0, 1.0, vcc
	v_cmp_eq_u32_e32 vcc, 3, v41
	v_or_b32_e32 v68, 2, v62
	s_waitcnt vmcnt(8)
	v_mfma_f32_4x4x4_16b_bf16 a[0:3], v[36:37], v[8:9], 0 cbsz:4
	v_cndmask_b32_e64 v61, 0, 1.0, vcc
	s_nop 0
	v_mfma_f32_4x4x4_16b_bf16 a[0:3], v[38:39], v[10:11], a[0:3] cbsz:4
	v_mad_i64_i32 v[10:11], s[4:5], v3, s9, v[32:33]
	s_waitcnt vmcnt(7)
	v_mfma_f32_4x4x4_16b_bf16 a[0:3], v[36:37], v[12:13], a[0:3] cbsz:4 abid:1
	v_lshl_add_u64 v[32:33], v[50:51], 0, v[52:53]
	v_lshlrev_b64 v[52:53], 1, v[10:11]
	v_mfma_f32_4x4x4_16b_bf16 a[0:3], v[38:39], v[14:15], a[0:3] cbsz:4 abid:1
	v_and_b32_e32 v52, -16, v52
	global_load_dwordx4 v[2:5], v[54:55], off
	global_load_dwordx4 v[6:9], v[54:55], off offset:16
	s_waitcnt vmcnt(8)
	v_mfma_f32_4x4x4_16b_bf16 a[0:3], v[36:37], v[16:17], a[0:3] cbsz:4 abid:2
	global_load_dwordx4 v[10:13], v[32:33], off
	global_load_dwordx4 v[14:17], v[32:33], off offset:16
	v_mfma_f32_4x4x4_16b_bf16 a[0:3], v[38:39], v[18:19], a[0:3] cbsz:4 abid:2
	v_lshl_add_u64 v[32:33], v[50:51], 0, v[56:57]
	v_lshl_add_u64 v[50:51], v[50:51], 0, v[52:53]
	s_waitcnt vmcnt(9)
	v_mfma_f32_4x4x4_16b_bf16 a[0:3], v[36:37], v[20:21], a[0:3] cbsz:4 abid:3
	v_cmp_gt_i32_e32 vcc, s3, v62
	v_cmp_gt_i32_e64 s[4:5], s3, v68
	v_mfma_f32_4x4x4_16b_bf16 a[0:3], v[38:39], v[22:23], a[0:3] cbsz:4 abid:3
	v_cmp_gt_i32_e64 s[8:9], s3, v64
	s_waitcnt vmcnt(8)
	v_mfma_f32_4x4x4_16b_bf16 a[0:3], v[36:37], v[24:25], a[0:3] cbsz:4 abid:4
	global_load_dwordx4 v[18:21], v[32:33], off
	global_load_dwordx4 v[22:25], v[32:33], off offset:16
	v_mfma_f32_4x4x4_16b_bf16 a[0:3], v[38:39], v[26:27], a[0:3] cbsz:4 abid:4
	s_waitcnt vmcnt(9)
	s_nop 0
	v_mfma_f32_4x4x4_16b_bf16 a[0:3], v[36:37], v[28:29], a[0:3] cbsz:4 abid:5
	s_nop 1
	v_mfma_f32_4x4x4_16b_bf16 a[0:3], v[38:39], v[30:31], a[0:3] cbsz:4 abid:5
	global_load_dwordx4 v[26:29], v[50:51], off
	global_load_dwordx4 v[30:33], v[50:51], off offset:16
	s_waitcnt vmcnt(10)
	v_mfma_f32_4x4x4_16b_bf16 a[0:3], v[36:37], v[42:43], a[0:3] cbsz:4 abid:6
	v_add_u32_e32 v43, 4, v65
	v_add_u32_e32 v42, 3, v65
	v_mfma_f32_4x4x4_16b_bf16 a[0:3], v[38:39], v[44:45], a[0:3] cbsz:4 abid:6
	s_waitcnt vmcnt(9)
	s_nop 0
	v_mfma_f32_4x4x4_16b_bf16 a[0:3], v[36:37], v[46:47], a[0:3] cbsz:4 abid:7
	s_nop 1
	v_mfma_f32_4x4x4_16b_bf16 a[0:3], v[38:39], v[48:49], a[0:3] cbsz:4 abid:7
	s_nop 4
	v_accvgpr_read_b32 v37, a1
	v_accvgpr_read_b32 v36, a0
	s_waitcnt lgkmcnt(0)
	v_pk_mul_f32 v[36:37], s[0:1], v[36:37] op_sel_hi:[0,1]
	v_accvgpr_read_b32 v39, a3
	v_accvgpr_read_b32 v38, a2
	v_pk_mul_f32 v[38:39], s[0:1], v[38:39] op_sel_hi:[0,1]
	v_mfma_f32_4x4x1_16b_f32 a[0:3], v36, v58, 0
	v_cvt_f32_i32_e32 v36, v69
	s_nop 0
	v_mfma_f32_4x4x1_16b_f32 a[0:3], v37, v59, a[0:3]
	v_cvt_f32_i32_e32 v37, v42
	v_cmp_gt_i32_e64 s[0:1], s3, v67
	v_mfma_f32_4x4x1_16b_f32 a[0:3], v38, v60, a[0:3]
	v_cvt_f32_i32_e32 v38, v43
	s_nop 0
	v_mfma_f32_4x4x1_16b_f32 a[0:3], v39, v61, a[0:3]
	s_nop 3
	v_accvgpr_read_b32 v39, a0
	v_accvgpr_read_b32 v44, a3
	s_waitcnt vmcnt(8)
	v_fma_f32 v35, v70, v35, v39
	v_accvgpr_read_b32 v42, a1
	v_fmac_f32_e32 v44, v70, v38
	v_max_f32_e32 v38, 0xff7fffff, v35
	v_fma_f32 v36, v70, v36, v42
	v_cndmask_b32_e32 v38, v63, v38, vcc
	v_accvgpr_read_b32 v43, a2
	v_max_f32_e32 v39, v38, v36
	v_fma_f32 v37, v70, v37, v43
	v_cndmask_b32_e64 v38, v38, v39, s[0:1]
	v_max_f32_e32 v39, v38, v37
	v_cndmask_b32_e64 v38, v38, v39, s[4:5]
	v_max_f32_e32 v39, v38, v44
	v_cndmask_b32_e64 v38, v38, v39, s[8:9]
	;;#ASMSTART
	v_nop
 v_nop
 v_max_f32_dpp v38, v38, v38 row_ror:4
	;;#ASMEND
	v_lshlrev_b32_e32 v43, 2, v66
	;;#ASMSTART
	v_nop
 v_nop
 v_max_f32_dpp v38, v38, v38 row_ror:8
	;;#ASMEND
	ds_bpermute_b32 v38, v43, v38
	s_waitcnt lgkmcnt(0)
	;;#ASMSTART
	v_nop
 v_nop
 v_max_f32_dpp v38, v38, v38 row_ror:4
	;;#ASMEND
	s_nop 0
	;;#ASMSTART
	v_nop
 v_nop
 v_max_f32_dpp v42, v38, v38 row_ror:8
	;;#ASMEND
	s_nop 0
	v_sub_f32_e32 v36, v36, v42
	v_mul_f32_e32 v36, 0x3fb8aa3b, v36
	v_exp_f32_e32 v38, v36
	v_sub_f32_e32 v35, v35, v42
	v_mul_f32_e32 v35, 0x3fb8aa3b, v35
	v_sub_f32_e32 v36, v37, v42
	v_exp_f32_e32 v35, v35
	v_mul_f32_e32 v39, 0x3fb8aa3b, v36
	v_cndmask_b32_e64 v37, 0, v38, s[0:1]
	v_exp_f32_e32 v38, v39
	v_sub_f32_e32 v39, v44, v42
	v_mul_f32_e32 v39, 0x3fb8aa3b, v39
	v_exp_f32_e32 v39, v39
	v_cndmask_b32_e32 v36, 0, v35, vcc
	v_add_f32_e32 v35, 0, v36
	v_add_f32_e32 v35, v35, v37
	v_cndmask_b32_e64 v38, 0, v38, s[4:5]
	v_add_f32_e32 v35, v35, v38
	v_cndmask_b32_e64 v39, 0, v39, s[8:9]
	v_add_f32_e32 v35, v35, v39
	;;#ASMSTART
	v_nop
 v_nop
 v_add_f32_dpp v35, v35, v35 row_ror:4
	;;#ASMEND
	v_cmp_gt_u32_e32 vcc, 4, v40
	;;#ASMSTART
	v_nop
 v_nop
 v_add_f32_dpp v35, v35, v35 row_ror:8
	;;#ASMEND
	ds_bpermute_b32 v35, v43, v35
	s_waitcnt lgkmcnt(0)
	;;#ASMSTART
	v_nop
 v_nop
 v_add_f32_dpp v35, v35, v35 row_ror:4
	;;#ASMEND
	s_nop 0
	;;#ASMSTART
	v_nop
 v_nop
 v_add_f32_dpp v35, v35, v35 row_ror:8
	;;#ASMEND
	s_and_saveexec_b64 s[0:1], vcc
	s_cbranch_execz .LBB387_12
; %bb.11:
	v_mul_u32_u24_e32 v43, 20, v1
	v_lshl_add_u32 v43, v41, 2, v43
	v_add_u32_e32 v43, 0x800, v43
	ds_write2_b32 v43, v42, v35 offset0:128 offset1:148
.LBB387_12:
	s_or_b64 exec, exec, s[0:1]
.LBB387_13:
	s_or_b64 exec, exec, s[26:27]
	v_lshlrev_b32_e32 v35, 2, v41
	v_add_u32_e32 v35, 0x800, v35
	s_waitcnt lgkmcnt(0)
	s_barrier
	s_load_dword s0, s[24:25], 0x8
	ds_read2_b32 v[44:45], v35 offset0:128 offset1:133
	ds_read2_b32 v[46:47], v35 offset0:138 offset1:143
	s_mov_b32 s4, 0xff7fffff
	s_mul_i32 s1, s2, s40
	ds_read2_b32 v[48:49], v35 offset0:148 offset1:153
	s_waitcnt lgkmcnt(0)
	v_max3_f32 v41, v44, s4, v45
	s_mul_i32 s1, s1, s0
	v_max3_f32 v41, v41, v46, v47
	s_lshl_b32 s0, s1, 2
	s_mov_b32 s1, 0
	v_sub_f32_e32 v43, v44, v41
	v_sub_f32_e32 v44, v45, v41
	s_lshl_b64 s[2:3], s[0:1], 2
	v_mul_f32_e32 v43, 0x3fb8aa3b, v43
	v_mul_f32_e32 v44, 0x3fb8aa3b, v44
	s_mov_b32 s21, s1
	s_add_u32 s1, s12, s2
	v_exp_f32_e32 v43, v43
	v_exp_f32_e32 v50, v44
	ds_read2_b32 v[44:45], v35 offset0:158 offset1:163
	v_sub_f32_e32 v35, v46, v41
	s_addc_u32 s8, s13, s3
	v_mul_f32_e32 v35, 0x3fb8aa3b, v35
	v_sub_f32_e32 v46, v47, v41
	s_add_u32 s4, s14, s2
	v_exp_f32_e32 v35, v35
	v_mul_f32_e32 v46, 0x3fb8aa3b, v46
	s_addc_u32 s5, s15, s3
	s_lshl_b64 s[2:3], s[20:21], 2
	v_exp_f32_e32 v46, v46
	s_add_u32 s4, s4, s2
	v_fma_f32 v43, v43, v48, 0
	s_addc_u32 s5, s5, s3
	v_fmac_f32_e32 v43, v50, v49
	s_waitcnt lgkmcnt(0)
	v_fmac_f32_e32 v43, v35, v44
	s_add_u32 s2, s1, s2
	v_mul_lo_u32 v34, s40, v34
	v_mov_b32_e32 v35, 0
	v_fmac_f32_e32 v43, v46, v45
	s_addc_u32 s3, s8, s3
	v_lshlrev_b64 v[44:45], 2, v[34:35]
	v_lshl_add_u64 v[46:47], s[4:5], 0, v[44:45]
	v_lshl_add_u64 v[44:45], s[2:3], 0, v[44:45]
	v_mov_b32_e32 v34, v35
	global_store_dword v[46:47], v41, off
	global_store_dword v[44:45], v43, off
	s_and_saveexec_b64 s[2:3], s[6:7]
	s_cbranch_execz .LBB387_15
; %bb.14:
	v_add_f32_e32 v34, 0x358637bd, v43
	v_div_scale_f32 v35, s[4:5], v34, v34, 1.0
	v_rcp_f32_e32 v43, v35
	v_div_scale_f32 v44, vcc, 1.0, v34, 1.0
	v_sub_f32_e32 v41, v42, v41
	v_fma_f32 v45, -v35, v43, 1.0
	v_fmac_f32_e32 v43, v45, v43
	v_mul_f32_e32 v45, v44, v43
	v_fma_f32 v46, -v35, v45, v44
	v_mul_f32_e32 v41, 0x3fb8aa3b, v41
	v_fmac_f32_e32 v45, v46, v43
	v_exp_f32_e32 v41, v41
	v_fma_f32 v35, -v35, v45, v44
	v_div_fmas_f32 v35, v35, v43, v45
	v_div_fixup_f32 v34, v35, v34, 1.0
	v_mul_f32_e32 v34, v41, v34
	v_pk_mul_f32 v[38:39], v[38:39], v[34:35] op_sel_hi:[1,0]
	v_pk_mul_f32 v[34:35], v[36:37], v[34:35] op_sel_hi:[1,0]
	s_movk_i32 s1, 0x7fff
	v_bfe_u32 v36, v35, 16, 1
	v_bfe_u32 v37, v34, 16, 1
	v_add3_u32 v34, v34, v37, s1
	v_add3_u32 v35, v35, v36, s1
	s_mov_b32 s4, 0x7060302
	v_perm_b32 v34, v35, v34, s4
	v_bfe_u32 v35, v39, 16, 1
	v_bfe_u32 v36, v38, 16, 1
	v_add3_u32 v36, v38, v36, s1
	v_add3_u32 v35, v39, v35, s1
	v_perm_b32 v35, v35, v36, s4
	s_waitcnt vmcnt(9)
	s_nop 0
	v_mfma_f32_4x4x4_16b_bf16 a[0:3], v[34:35], v[2:3], 0 cbsz:4
	s_nop 1
	v_mfma_f32_4x4x4_16b_bf16 a[0:3], v[34:35], v[4:5], a[0:3] cbsz:4 abid:1
	s_waitcnt vmcnt(8)
	s_nop 0
	v_mfma_f32_4x4x4_16b_bf16 a[0:3], v[34:35], v[6:7], a[0:3] cbsz:4 abid:2
	s_nop 1
	v_mfma_f32_4x4x4_16b_bf16 a[0:3], v[34:35], v[8:9], a[0:3] cbsz:4 abid:3
	s_waitcnt vmcnt(7)
	s_nop 0
	v_mfma_f32_4x4x4_16b_bf16 a[0:3], v[34:35], v[10:11], a[0:3] cbsz:4 abid:4
	;; [unrolled: 5-line block ×7, first 2 shown]
	s_nop 1
	v_mfma_f32_4x4x4_16b_bf16 a[0:3], v[34:35], v[32:33], a[0:3] cbsz:4 abid:15
	s_nop 4
	v_accvgpr_read_b32 v5, a1
	v_accvgpr_read_b32 v2, a2
	v_accvgpr_read_b32 v3, a3
	v_accvgpr_read_b32 v4, a0
	v_bfe_u32 v6, v5, 16, 1
	v_bfe_u32 v7, v4, 16, 1
	;; [unrolled: 1-line block ×3, first 2 shown]
	v_add3_u32 v5, v5, v6, s1
	v_bfe_u32 v6, v2, 16, 1
	v_add3_u32 v4, v4, v7, s1
	v_add3_u32 v2, v2, v6, s1
	v_add3_u32 v3, v3, v8, s1
	v_perm_b32 v35, v3, v2, s4
	v_perm_b32 v34, v5, v4, s4
.LBB387_15:
	s_or_b64 exec, exec, s[2:3]
	v_lshlrev_b32_e32 v1, 3, v1
	v_mad_u32_u24 v1, v40, 40, v1
	v_cmp_gt_u32_e32 vcc, 64, v0
	ds_write_b64 v1, v[34:35]
	s_waitcnt lgkmcnt(0)
	s_barrier
	s_and_saveexec_b64 s[2:3], vcc
	s_cbranch_execz .LBB387_17
; %bb.16:
	v_mul_u32_u24_e32 v1, 40, v40
	s_waitcnt vmcnt(9)
	ds_read2_b64 v[2:5], v1 offset1:1
	s_waitcnt vmcnt(8)
	ds_read2_b64 v[6:9], v1 offset0:2 offset1:3
	s_mov_b32 s1, 0
	s_lshl_b32 s0, s0, 6
	s_lshl_b64 s[2:3], s[0:1], 1
	s_waitcnt lgkmcnt(1)
	v_lshlrev_b32_e32 v1, 16, v2
	v_and_b32_e32 v2, 0xffff0000, v2
	v_add_f32_e32 v1, 0, v1
	v_add_f32_e32 v2, 0, v2
	s_waitcnt vmcnt(7)
	v_lshlrev_b32_e32 v10, 16, v3
	v_and_b32_e32 v3, 0xffff0000, v3
	v_and_b32_e32 v1, 0xffff0000, v1
	;; [unrolled: 1-line block ×3, first 2 shown]
	v_add_f32_e32 v3, 0, v3
	v_lshlrev_b32_e32 v11, 16, v4
	v_and_b32_e32 v4, 0xffff0000, v4
	v_add_f32_e32 v10, 0, v10
	v_and_b32_e32 v3, 0xffff0000, v3
	v_add_f32_e32 v1, v1, v11
	v_add_f32_e32 v2, v2, v4
	v_lshlrev_b32_e32 v4, 16, v5
	v_and_b32_e32 v5, 0xffff0000, v5
	v_and_b32_e32 v10, 0xffff0000, v10
	;; [unrolled: 1-line block ×3, first 2 shown]
	v_add_f32_e32 v3, v3, v5
	s_waitcnt lgkmcnt(0)
	v_lshlrev_b32_e32 v5, 16, v6
	v_and_b32_e32 v2, 0xffff0000, v2
	v_add_f32_e32 v4, v10, v4
	v_add_f32_e32 v1, v1, v5
	v_and_b32_e32 v5, 0xffff0000, v6
	v_and_b32_e32 v4, 0xffff0000, v4
	v_add_f32_e32 v2, v2, v5
	v_lshlrev_b32_e32 v5, 16, v7
	s_add_u32 s2, s22, s2
	v_and_b32_e32 v3, 0xffff0000, v3
	v_add_f32_e32 v4, v4, v5
	v_and_b32_e32 v5, 0xffff0000, v7
	s_addc_u32 s3, s23, s3
	s_lshl_b32 s0, s20, 6
	v_and_b32_e32 v1, 0xffff0000, v1
	v_add_f32_e32 v3, v3, v5
	v_lshlrev_b32_e32 v5, 16, v8
	s_lshl_b64 s[0:1], s[0:1], 1
	v_and_b32_e32 v2, 0xffff0000, v2
	v_add_f32_e32 v1, v1, v5
	v_and_b32_e32 v5, 0xffff0000, v8
	s_add_u32 s0, s2, s0
	v_and_b32_e32 v4, 0xffff0000, v4
	v_add_f32_e32 v6, v2, v5
	v_lshlrev_b32_e32 v2, 16, v9
	s_addc_u32 s1, s3, s1
	s_lshl_b32 s2, s40, 6
	v_and_b32_e32 v3, 0xffff0000, v3
	v_add_f32_e32 v7, v4, v2
	v_and_b32_e32 v2, 0xffff0000, v9
	s_mul_i32 s3, s2, s33
	v_add_f32_e32 v8, v3, v2
	v_or_b32_e32 v2, s3, v0
	v_mov_b32_e32 v3, 0
	s_add_i32 s3, s3, s2
	v_lshl_add_u64 v[4:5], v[2:3], 1, s[0:1]
	v_or_b32_e32 v2, s3, v0
	s_add_i32 s3, s3, s2
	global_store_short_d16_hi v[4:5], v1, off
	v_lshl_add_u64 v[4:5], v[2:3], 1, s[0:1]
	v_or_b32_e32 v2, s3, v0
	s_add_i32 s3, s3, s2
	global_store_short_d16_hi v[4:5], v6, off
	v_lshl_add_u64 v[4:5], v[2:3], 1, s[0:1]
	v_or_b32_e32 v2, s3, v0
	v_lshl_add_u64 v[0:1], v[2:3], 1, s[0:1]
	global_store_short_d16_hi v[4:5], v7, off
	global_store_short_d16_hi v[0:1], v8, off
.LBB387_17:
	s_endpgm
.LBB387_18:
	s_mov_b64 s[12:13], 0
                                        ; implicit-def: $sgpr34_sgpr35
	s_branch .LBB387_2
	.section	.rodata,"a",@progbits
	.p2align	6, 0x0
	.amdhsa_kernel _Z38paged_attention_ll4mi_QKV_mfma4_kernelI14__hip_bfloat16S0_LN4vllm18Fp8KVCacheDataTypeE0EhLi16ELi64ELi256ELb1ELi4EEvPKT_PKT0_S8_ifPKiSA_SA_iPKfiiiPfSD_PS3_PT2_iSC_SC_
		.amdhsa_group_segment_fixed_size 2720
		.amdhsa_private_segment_fixed_size 0
		.amdhsa_kernarg_size 400
		.amdhsa_user_sgpr_count 2
		.amdhsa_user_sgpr_dispatch_ptr 0
		.amdhsa_user_sgpr_queue_ptr 0
		.amdhsa_user_sgpr_kernarg_segment_ptr 1
		.amdhsa_user_sgpr_dispatch_id 0
		.amdhsa_user_sgpr_kernarg_preload_length 0
		.amdhsa_user_sgpr_kernarg_preload_offset 0
		.amdhsa_user_sgpr_private_segment_size 0
		.amdhsa_uses_dynamic_stack 0
		.amdhsa_enable_private_segment 0
		.amdhsa_system_sgpr_workgroup_id_x 1
		.amdhsa_system_sgpr_workgroup_id_y 1
		.amdhsa_system_sgpr_workgroup_id_z 1
		.amdhsa_system_sgpr_workgroup_info 0
		.amdhsa_system_vgpr_workitem_id 0
		.amdhsa_next_free_vgpr 76
		.amdhsa_next_free_sgpr 41
		.amdhsa_accum_offset 72
		.amdhsa_reserve_vcc 1
		.amdhsa_float_round_mode_32 0
		.amdhsa_float_round_mode_16_64 0
		.amdhsa_float_denorm_mode_32 3
		.amdhsa_float_denorm_mode_16_64 3
		.amdhsa_dx10_clamp 1
		.amdhsa_ieee_mode 1
		.amdhsa_fp16_overflow 0
		.amdhsa_tg_split 0
		.amdhsa_exception_fp_ieee_invalid_op 0
		.amdhsa_exception_fp_denorm_src 0
		.amdhsa_exception_fp_ieee_div_zero 0
		.amdhsa_exception_fp_ieee_overflow 0
		.amdhsa_exception_fp_ieee_underflow 0
		.amdhsa_exception_fp_ieee_inexact 0
		.amdhsa_exception_int_div_zero 0
	.end_amdhsa_kernel
	.section	.text._Z38paged_attention_ll4mi_QKV_mfma4_kernelI14__hip_bfloat16S0_LN4vllm18Fp8KVCacheDataTypeE0EhLi16ELi64ELi256ELb1ELi4EEvPKT_PKT0_S8_ifPKiSA_SA_iPKfiiiPfSD_PS3_PT2_iSC_SC_,"axG",@progbits,_Z38paged_attention_ll4mi_QKV_mfma4_kernelI14__hip_bfloat16S0_LN4vllm18Fp8KVCacheDataTypeE0EhLi16ELi64ELi256ELb1ELi4EEvPKT_PKT0_S8_ifPKiSA_SA_iPKfiiiPfSD_PS3_PT2_iSC_SC_,comdat
.Lfunc_end387:
	.size	_Z38paged_attention_ll4mi_QKV_mfma4_kernelI14__hip_bfloat16S0_LN4vllm18Fp8KVCacheDataTypeE0EhLi16ELi64ELi256ELb1ELi4EEvPKT_PKT0_S8_ifPKiSA_SA_iPKfiiiPfSD_PS3_PT2_iSC_SC_, .Lfunc_end387-_Z38paged_attention_ll4mi_QKV_mfma4_kernelI14__hip_bfloat16S0_LN4vllm18Fp8KVCacheDataTypeE0EhLi16ELi64ELi256ELb1ELi4EEvPKT_PKT0_S8_ifPKiSA_SA_iPKfiiiPfSD_PS3_PT2_iSC_SC_
                                        ; -- End function
	.section	.AMDGPU.csdata,"",@progbits
; Kernel info:
; codeLenInByte = 3520
; NumSgprs: 47
; NumVgprs: 71
; NumAgprs: 4
; TotalNumVgprs: 76
; ScratchSize: 0
; MemoryBound: 0
; FloatMode: 240
; IeeeMode: 1
; LDSByteSize: 2720 bytes/workgroup (compile time only)
; SGPRBlocks: 5
; VGPRBlocks: 9
; NumSGPRsForWavesPerEU: 47
; NumVGPRsForWavesPerEU: 76
; AccumOffset: 72
; Occupancy: 6
; WaveLimiterHint : 1
; COMPUTE_PGM_RSRC2:SCRATCH_EN: 0
; COMPUTE_PGM_RSRC2:USER_SGPR: 2
; COMPUTE_PGM_RSRC2:TRAP_HANDLER: 0
; COMPUTE_PGM_RSRC2:TGID_X_EN: 1
; COMPUTE_PGM_RSRC2:TGID_Y_EN: 1
; COMPUTE_PGM_RSRC2:TGID_Z_EN: 1
; COMPUTE_PGM_RSRC2:TIDIG_COMP_CNT: 0
; COMPUTE_PGM_RSRC3_GFX90A:ACCUM_OFFSET: 17
; COMPUTE_PGM_RSRC3_GFX90A:TG_SPLIT: 0
	.section	.text._Z39paged_attention_ll4mi_QKV_mfma16_kernelI14__hip_bfloat16S0_LN4vllm18Fp8KVCacheDataTypeE0EhLi16ELi64ELi256ELb1ELi5EEvPKT_PKT0_S8_ifPKiSA_SA_iPKfiiiPfSD_PS3_PT2_iSC_SC_,"axG",@progbits,_Z39paged_attention_ll4mi_QKV_mfma16_kernelI14__hip_bfloat16S0_LN4vllm18Fp8KVCacheDataTypeE0EhLi16ELi64ELi256ELb1ELi5EEvPKT_PKT0_S8_ifPKiSA_SA_iPKfiiiPfSD_PS3_PT2_iSC_SC_,comdat
	.protected	_Z39paged_attention_ll4mi_QKV_mfma16_kernelI14__hip_bfloat16S0_LN4vllm18Fp8KVCacheDataTypeE0EhLi16ELi64ELi256ELb1ELi5EEvPKT_PKT0_S8_ifPKiSA_SA_iPKfiiiPfSD_PS3_PT2_iSC_SC_ ; -- Begin function _Z39paged_attention_ll4mi_QKV_mfma16_kernelI14__hip_bfloat16S0_LN4vllm18Fp8KVCacheDataTypeE0EhLi16ELi64ELi256ELb1ELi5EEvPKT_PKT0_S8_ifPKiSA_SA_iPKfiiiPfSD_PS3_PT2_iSC_SC_
	.globl	_Z39paged_attention_ll4mi_QKV_mfma16_kernelI14__hip_bfloat16S0_LN4vllm18Fp8KVCacheDataTypeE0EhLi16ELi64ELi256ELb1ELi5EEvPKT_PKT0_S8_ifPKiSA_SA_iPKfiiiPfSD_PS3_PT2_iSC_SC_
	.p2align	8
	.type	_Z39paged_attention_ll4mi_QKV_mfma16_kernelI14__hip_bfloat16S0_LN4vllm18Fp8KVCacheDataTypeE0EhLi16ELi64ELi256ELb1ELi5EEvPKT_PKT0_S8_ifPKiSA_SA_iPKfiiiPfSD_PS3_PT2_iSC_SC_,@function
_Z39paged_attention_ll4mi_QKV_mfma16_kernelI14__hip_bfloat16S0_LN4vllm18Fp8KVCacheDataTypeE0EhLi16ELi64ELi256ELb1ELi5EEvPKT_PKT0_S8_ifPKiSA_SA_iPKfiiiPfSD_PS3_PT2_iSC_SC_: ; @_Z39paged_attention_ll4mi_QKV_mfma16_kernelI14__hip_bfloat16S0_LN4vllm18Fp8KVCacheDataTypeE0EhLi16ELi64ELi256ELb1ELi5EEvPKT_PKT0_S8_ifPKiSA_SA_iPKfiiiPfSD_PS3_PT2_iSC_SC_
; %bb.0:
	s_load_dwordx2 s[8:9], s[0:1], 0x30
	s_mov_b32 s28, s3
	s_mov_b64 s[6:7], 0
	s_waitcnt lgkmcnt(0)
	s_cmp_lg_u64 s[8:9], 0
	s_cselect_b64 s[10:11], -1, 0
	s_and_b64 vcc, exec, s[10:11]
	s_cbranch_vccz .LBB388_7
; %bb.1:
	s_add_i32 s12, s2, 1
	s_mov_b32 s13, 0
	s_lshl_b64 s[14:15], s[12:13], 2
	s_add_u32 s14, s8, s14
	s_mov_b32 s3, s13
	s_addc_u32 s15, s9, s15
	s_lshl_b64 s[12:13], s[2:3], 2
	s_add_u32 s12, s8, s12
	s_addc_u32 s13, s9, s13
	s_load_dword s5, s[14:15], 0x0
	s_load_dword s16, s[12:13], 0x0
	s_waitcnt lgkmcnt(0)
	s_sub_i32 s5, s5, s16
	s_cmp_eq_u32 s5, 1
	s_cselect_b64 s[12:13], -1, 0
	s_andn2_b64 vcc, exec, s[6:7]
	s_cbranch_vccnz .LBB388_3
.LBB388_2:
	s_mov_b32 s3, 0
	s_mov_b64 s[12:13], -1
.LBB388_3:
	s_andn2_b64 vcc, exec, s[12:13]
	s_cbranch_vccnz .LBB388_20
; %bb.4:
	s_load_dwordx2 s[6:7], s[0:1], 0x28
	s_lshl_b64 s[14:15], s[2:3], 2
	s_waitcnt lgkmcnt(0)
	s_add_u32 s6, s6, s14
	s_addc_u32 s7, s7, s15
	s_load_dword s29, s[6:7], 0x0
	s_lshl_b32 s16, s28, 8
	s_waitcnt lgkmcnt(0)
	s_cmp_ge_i32 s16, s29
	s_cbranch_scc1 .LBB388_20
; %bb.5:
	s_load_dwordx2 s[6:7], s[0:1], 0x20
	s_load_dword s5, s[0:1], 0x38
	s_add_i32 s12, s29, 15
	s_ashr_i32 s13, s12, 31
	v_and_b32_e32 v1, 0xcf, v0
	s_lshr_b32 s13, s13, 28
	v_add_u32_e32 v1, s16, v1
	s_add_i32 s12, s12, s13
	v_ashrrev_i32_e32 v2, 31, v1
	s_ashr_i32 s17, s12, 4
	v_lshrrev_b32_e32 v6, 28, v2
	s_add_i32 s17, s17, -1
	s_waitcnt lgkmcnt(0)
	s_mul_i32 s12, s2, s5
	s_mov_b32 s13, 0
	v_add_u32_e32 v2, v1, v6
	s_lshl_b64 s[12:13], s[12:13], 2
	v_ashrrev_i32_e32 v2, 4, v2
	v_mov_b32_e32 v7, s17
	v_cmp_gt_i32_e32 vcc, s29, v1
	s_add_u32 s6, s6, s12
	s_addc_u32 s7, s7, s13
	v_cndmask_b32_e32 v2, v7, v2, vcc
	v_ashrrev_i32_e32 v3, 31, v2
	v_lshl_add_u64 v[4:5], v[2:3], 2, s[6:7]
	v_or_b32_e32 v2, 16, v1
	v_add_u32_e32 v3, v2, v6
	v_ashrrev_i32_e32 v3, 4, v3
	v_cmp_gt_i32_e32 vcc, s29, v2
	s_load_dwordx2 s[12:13], s[0:1], 0x8
	s_nop 0
	v_cndmask_b32_e32 v2, v7, v3, vcc
	v_ashrrev_i32_e32 v3, 31, v2
	v_lshl_add_u64 v[8:9], v[2:3], 2, s[6:7]
	v_or_b32_e32 v2, 32, v1
	v_add_u32_e32 v3, v2, v6
	v_ashrrev_i32_e32 v3, 4, v3
	v_cmp_gt_i32_e32 vcc, s29, v2
	v_or_b32_e32 v1, 48, v1
	s_nop 0
	v_cndmask_b32_e32 v2, v7, v3, vcc
	v_ashrrev_i32_e32 v3, 31, v2
	v_lshl_add_u64 v[10:11], v[2:3], 2, s[6:7]
	v_add_u32_e32 v2, v1, v6
	v_ashrrev_i32_e32 v2, 4, v2
	v_cmp_gt_i32_e32 vcc, s29, v1
	s_nop 1
	v_cndmask_b32_e32 v2, v7, v2, vcc
	v_ashrrev_i32_e32 v3, 31, v2
	v_lshl_add_u64 v[12:13], v[2:3], 2, s[6:7]
	global_load_dword v3, v[4:5], off
	global_load_dword v2, v[8:9], off
	;; [unrolled: 1-line block ×4, first 2 shown]
	s_andn2_b64 vcc, exec, s[10:11]
	s_cbranch_vccnz .LBB388_8
; %bb.6:
	s_add_u32 s8, s8, s14
	s_addc_u32 s9, s9, s15
	s_load_dword s5, s[8:9], 0x0
	s_branch .LBB388_9
.LBB388_7:
	s_mov_b64 s[12:13], 0
	s_branch .LBB388_2
.LBB388_8:
	s_mov_b32 s5, s2
.LBB388_9:
	s_load_dwordx2 s[8:9], s[0:1], 0x10
	s_load_dwordx4 s[44:47], s[0:1], 0x48
	v_lshrrev_b32_e32 v45, 6, v0
	v_bfe_u32 v54, v0, 4, 2
	v_lshl_or_b32 v1, v45, 2, v54
	v_and_b32_e32 v44, 15, v0
	v_lshlrev_b32_e32 v4, 3, v44
	v_cmp_gt_u32_e32 vcc, 5, v1
	v_cmp_gt_u32_e64 s[30:31], 8, v44
	s_mul_i32 s42, s4, 5
	s_and_b64 s[14:15], s[30:31], vcc
	v_lshlrev_b32_e32 v42, 1, v4
	s_and_saveexec_b64 s[10:11], s[14:15]
	s_cbranch_execz .LBB388_11
; %bb.10:
	s_load_dwordx2 s[14:15], s[0:1], 0x0
	s_waitcnt lgkmcnt(0)
	s_ashr_i32 s18, s44, 31
	s_mul_hi_u32 s19, s5, s44
	s_mul_i32 s18, s5, s18
	s_add_i32 s19, s19, s18
	s_mul_i32 s18, s5, s44
	s_lshl_b64 s[18:19], s[18:19], 1
	s_add_u32 s14, s14, s18
	v_add_lshl_u32 v4, v1, s42, 6
	s_addc_u32 s15, s15, s19
	v_ashrrev_i32_e32 v5, 31, v4
	v_lshl_add_u64 v[4:5], v[4:5], 1, s[14:15]
	v_mov_b32_e32 v43, 0
	v_lshl_add_u64 v[4:5], v[4:5], 0, v[42:43]
	global_load_dwordx4 v[8:11], v[4:5], off
	v_and_b32_e32 v4, 3, v0
	v_lshlrev_b32_e32 v5, 9, v44
	v_lshlrev_b32_e32 v1, 5, v1
	;; [unrolled: 1-line block ×3, first 2 shown]
	v_and_b32_e32 v5, 0x1800, v5
	v_or3_b32 v1, v5, v4, v1
	s_waitcnt vmcnt(0)
	ds_write_b128 v1, v[8:11]
.LBB388_11:
	s_or_b64 exec, exec, s[10:11]
	s_waitcnt lgkmcnt(0)
	s_mul_i32 s4, s4, s46
	s_mov_b32 s5, 0
	s_lshl_b64 s[4:5], s[4:5], 1
	s_add_u32 s10, s12, s4
	v_lshlrev_b32_e32 v1, 4, v0
	s_addc_u32 s11, s13, s5
	v_and_b32_e32 v46, 0xf0, v1
	v_mov_b32_e32 v47, 0
	v_lshl_add_u64 v[16:17], s[10:11], 0, v[46:47]
	s_waitcnt vmcnt(3)
	v_mad_i64_i32 v[4:5], s[10:11], v3, s45, 0
	s_waitcnt vmcnt(2)
	v_mad_i64_i32 v[2:3], s[10:11], v2, s45, 0
	;; [unrolled: 2-line block ×3, first 2 shown]
	v_lshl_add_u64 v[4:5], v[4:5], 1, v[16:17]
	v_and_b32_e32 v46, 0x300, v1
	v_lshl_add_u64 v[2:3], v[2:3], 1, v[16:17]
	v_lshl_add_u64 v[6:7], v[6:7], 1, v[16:17]
	s_waitcnt vmcnt(0)
	v_mad_i64_i32 v[14:15], s[10:11], v14, s45, 0
	v_lshl_add_u64 v[4:5], v[4:5], 0, v[46:47]
	v_lshl_add_u64 v[8:9], v[2:3], 0, v[46:47]
	;; [unrolled: 1-line block ×4, first 2 shown]
	s_barrier
	global_load_dwordx4 v[30:33], v[4:5], off
	global_load_dwordx4 v[10:13], v[4:5], off offset:1024
	global_load_dwordx4 v[22:25], v[8:9], off
	s_nop 0
	global_load_dwordx4 v[2:5], v[8:9], off offset:1024
	global_load_dwordx4 v[26:29], v[18:19], off
	s_nop 0
	global_load_dwordx4 v[6:9], v[18:19], off offset:1024
	v_lshl_add_u64 v[18:19], v[14:15], 0, v[46:47]
	global_load_dwordx4 v[34:37], v[18:19], off
	global_load_dwordx4 v[14:17], v[18:19], off offset:1024
	v_mul_lo_u16_e32 v18, 52, v44
	v_mov_b32_e32 v19, 5
	v_mul_lo_u16_sdwa v18, v18, v19 dst_sel:DWORD dst_unused:UNUSED_PAD src0_sel:BYTE_1 src1_sel:DWORD
	v_sub_u16_e32 v18, v44, v18
	v_lshlrev_b32_sdwa v18, v19, v18 dst_sel:DWORD dst_unused:UNUSED_PAD src0_sel:DWORD src1_sel:BYTE_0
	v_lshl_add_u32 v18, v54, 9, v18
	ds_read_b128 v[38:41], v18
	ds_read_b128 v[18:21], v18 offset:2048
	v_and_b32_e32 v55, 63, v0
	v_cmp_gt_u32_e32 vcc, 5, v44
	v_mov_b32_e32 v56, 0
	s_and_saveexec_b64 s[10:11], vcc
	s_cbranch_execz .LBB388_13
; %bb.12:
	s_load_dwordx2 s[12:13], s[0:1], 0x40
	v_add_u32_e32 v48, s42, v44
	v_ashrrev_i32_e32 v49, 31, v48
	s_waitcnt lgkmcnt(0)
	v_lshl_add_u64 v[48:49], v[48:49], 2, s[12:13]
	global_load_dword v56, v[48:49], off
.LBB388_13:
	s_or_b64 exec, exec, s[10:11]
	v_and_or_b32 v46, v0, 48, s16
	v_ashrrev_i32_e32 v43, 4, v46
	v_mov_b32_e32 v57, s17
	v_cmp_gt_i32_e32 vcc, s29, v46
	s_waitcnt vmcnt(5) lgkmcnt(1)
	v_mfma_f32_16x16x16_bf16 v[58:61], v[22:23], v[38:39], 0
	s_load_dword s10, s[0:1], 0x1c
	v_cndmask_b32_e32 v48, v57, v43, vcc
	v_ashrrev_i32_e32 v49, 31, v48
	v_or_b32_e32 v43, 64, v46
	v_lshl_add_u64 v[52:53], v[48:49], 2, s[6:7]
	v_mfma_f32_16x16x16_bf16 v[48:51], v[30:31], v[38:39], 0
	v_ashrrev_i32_e32 v30, 4, v43
	v_cmp_gt_i32_e32 vcc, s29, v43
	global_load_dword v70, v[52:53], off
	s_waitcnt vmcnt(4)
	v_mfma_f32_16x16x16_bf16 v[62:65], v[26:27], v[38:39], 0
	v_cndmask_b32_e32 v30, v57, v30, vcc
	v_ashrrev_i32_e32 v31, 31, v30
	v_lshl_add_u64 v[22:23], v[30:31], 2, s[6:7]
	global_load_dword v71, v[22:23], off
	v_mfma_f32_16x16x16_bf16 v[22:25], v[24:25], v[40:41], v[58:61]
	v_and_b32_e32 v26, 0xc0, v0
	s_add_u32 s4, s8, s4
	v_lshlrev_b32_e32 v43, 5, v44
	v_mfma_f32_16x16x16_bf16 v[30:33], v[32:33], v[40:41], v[48:51]
	s_addc_u32 s5, s9, s5
	s_mov_b32 s33, 0xff7fffff
	s_waitcnt vmcnt(3)
	v_mfma_f32_16x16x16_bf16 v[66:69], v[34:35], v[38:39], 0
	v_or_b32_e32 v38, 0x80, v46
	v_add_u32_e32 v48, s16, v26
	v_or_b32_e32 v39, 0xc0, v46
	v_mfma_f32_16x16x16_bf16 v[26:29], v[28:29], v[40:41], v[62:65]
	v_ashrrev_i32_e32 v49, 4, v38
	v_cmp_gt_i32_e32 vcc, s29, v38
	v_ashrrev_i32_e32 v50, 4, v39
	s_waitcnt lgkmcnt(0)
	v_mfma_f32_16x16x16_bf16 v[22:25], v[2:3], v[18:19], v[22:25]
	v_cndmask_b32_e32 v38, v57, v49, vcc
	v_cmp_gt_i32_e32 vcc, s29, v39
	v_ashrrev_i32_e32 v39, 31, v38
	v_mfma_f32_16x16x16_bf16 v[30:33], v[10:11], v[18:19], v[30:33]
	v_cndmask_b32_e32 v10, v57, v50, vcc
	v_ashrrev_i32_e32 v11, 31, v10
	v_lshl_or_b32 v58, v54, 2, v48
	v_mfma_f32_16x16x16_bf16 v[26:29], v[6:7], v[18:19], v[26:29]
	v_lshl_add_u64 v[6:7], v[38:39], 2, s[6:7]
	v_lshl_add_u64 v[38:39], v[10:11], 2, s[6:7]
	v_or_b32_e32 v57, 1, v58
	v_mfma_f32_16x16x16_bf16 v[2:5], v[4:5], v[20:21], v[22:25]
	s_nop 2
	global_load_dword v22, v[6:7], off
	global_load_dword v61, v[38:39], off
	v_subrev_u32_e32 v59, s29, v57
	v_cvt_f32_i32_e32 v60, v59
	v_mfma_f32_16x16x16_bf16 v[34:37], v[36:37], v[40:41], v[66:69]
	v_pk_mul_f32 v[48:49], s[10:11], v[4:5] op_sel_hi:[0,1]
	v_lshl_or_b32 v46, v45, 9, v43
	v_lshl_add_u64 v[46:47], s[4:5], 0, v[46:47]
	s_waitcnt vmcnt(4)
	v_mfma_f32_16x16x16_bf16 v[34:37], v[14:15], v[18:19], v[34:37]
	v_add_u32_e32 v14, 1, v59
	v_add_u32_e32 v15, 2, v59
	v_cvt_f32_i32_e32 v23, v14
	v_cvt_f32_i32_e32 v24, v15
	v_mfma_f32_16x16x16_bf16 v[14:17], v[16:17], v[20:21], v[34:37]
	v_add_u32_e32 v18, 3, v59
	v_cvt_f32_i32_e32 v18, v18
	v_pk_mul_f32 v[50:51], s[10:11], v[2:3] op_sel_hi:[0,1]
	v_mfma_f32_16x16x16_bf16 v[10:13], v[12:13], v[20:21], v[30:33]
	v_cmp_gt_i32_e64 s[34:35], s29, v57
	s_nop 1
	v_pk_mul_f32 v[36:37], s[10:11], v[14:15] op_sel_hi:[0,1]
	v_add_u32_e32 v15, 19, v59
	v_add_u32_e32 v31, 18, v59
	v_cvt_f32_i32_e32 v14, v31
	v_cvt_f32_i32_e32 v15, v15
	v_mfma_f32_16x16x16_bf16 v[6:9], v[8:9], v[20:21], v[26:29]
	v_pk_mul_f32 v[34:35], s[10:11], v[16:17] op_sel_hi:[0,1]
	v_fma_f32 v48, v56, v14, v48
	v_add_u32_e32 v14, 32, v59
	v_fmac_f32_e32 v49, v56, v15
	v_cvt_f32_i32_e32 v14, v14
	v_add_u32_e32 v15, 33, v59
	v_add_u32_e32 v16, 34, v59
	v_cvt_f32_i32_e32 v15, v15
	v_cvt_f32_i32_e32 v16, v16
	v_add_u32_e32 v17, 35, v59
	v_cvt_f32_i32_e32 v17, v17
	v_pk_mul_f32 v[40:41], s[10:11], v[6:7] op_sel_hi:[0,1]
	v_pk_mul_f32 v[38:39], s[10:11], v[8:9] op_sel_hi:[0,1]
	v_fma_f32 v40, v56, v14, v40
	v_add_u32_e32 v14, 48, v59
	v_fmac_f32_e32 v41, v56, v15
	v_fma_f32 v38, v56, v16, v38
	v_cvt_f32_i32_e32 v14, v14
	v_add_u32_e32 v15, 49, v59
	v_add_u32_e32 v16, 50, v59
	v_fmac_f32_e32 v39, v56, v17
	v_cvt_f32_i32_e32 v15, v15
	v_cvt_f32_i32_e32 v16, v16
	v_add_u32_e32 v17, 51, v59
	v_cvt_f32_i32_e32 v17, v17
	v_pk_mul_f32 v[52:53], s[10:11], v[12:13] op_sel_hi:[0,1]
	v_pk_mul_f32 v[10:11], s[10:11], v[10:11] op_sel_hi:[0,1]
	s_waitcnt vmcnt(3)
	v_mad_i64_i32 v[2:3], s[4:5], v70, s45, 0
	s_waitcnt vmcnt(2)
	v_mad_i64_i32 v[12:13], s[4:5], v71, s45, 0
	v_fma_f32 v10, v56, v60, v10
	v_fmac_f32_e32 v11, v56, v23
	v_fma_f32 v36, v56, v14, v36
	v_mov_b32_e32 v14, 0xff7fffff
	v_cmp_gt_i32_e64 s[4:5], s29, v58
	v_add_u32_e32 v19, 16, v59
	v_add_u32_e32 v30, 17, v59
	v_fmac_f32_e32 v37, v56, v15
	v_fma_f32 v34, v56, v16, v34
	v_cndmask_b32_e64 v15, v14, v10, s[4:5]
	v_cndmask_b32_e64 v16, v14, v11, s[34:35]
	v_cvt_f32_i32_e32 v19, v19
	v_cvt_f32_i32_e32 v25, v30
	v_fmac_f32_e32 v35, v56, v17
	v_max3_f32 v15, v15, s33, v16
	v_or_b32_e32 v16, 2, v58
	v_or_b32_e32 v17, 3, v58
	v_fma_f32 v52, v56, v24, v52
	v_fmac_f32_e32 v53, v56, v18
	v_cmp_gt_i32_e64 s[36:37], s29, v16
	v_cmp_gt_i32_e64 s[38:39], s29, v17
	v_fma_f32 v50, v56, v19, v50
	v_cndmask_b32_e64 v16, v14, v52, s[36:37]
	v_cndmask_b32_e64 v17, v14, v53, s[38:39]
	v_max3_f32 v15, v15, v16, v17
	v_or_b32_e32 v16, 16, v58
	v_or_b32_e32 v17, 17, v58
	v_fmac_f32_e32 v51, v56, v25
	v_cmp_gt_i32_e64 s[24:25], s29, v16
	v_cmp_gt_i32_e64 s[26:27], s29, v17
	v_lshl_add_u64 v[2:3], v[2:3], 1, v[46:47]
	v_cndmask_b32_e64 v16, v14, v50, s[24:25]
	v_cndmask_b32_e64 v17, v14, v51, s[26:27]
	v_max3_f32 v15, v15, v16, v17
	v_or_b32_e32 v16, 18, v58
	v_or_b32_e32 v17, 19, v58
	v_cmp_gt_i32_e64 s[20:21], s29, v16
	v_cmp_gt_i32_e64 s[22:23], s29, v17
	v_lshl_add_u64 v[12:13], v[12:13], 1, v[46:47]
	v_cndmask_b32_e64 v16, v14, v48, s[20:21]
	v_cndmask_b32_e64 v17, v14, v49, s[22:23]
	v_max3_f32 v15, v15, v16, v17
	v_or_b32_e32 v16, 32, v58
	v_or_b32_e32 v17, 33, v58
	v_cmp_gt_i32_e64 s[16:17], s29, v16
	v_cmp_gt_i32_e64 s[18:19], s29, v17
	global_load_dwordx4 v[6:9], v[2:3], off
	s_nop 0
	global_load_dwordx4 v[2:5], v[2:3], off offset:16
	v_cndmask_b32_e64 v16, v14, v40, s[16:17]
	v_cndmask_b32_e64 v17, v14, v41, s[18:19]
	v_max3_f32 v15, v15, v16, v17
	v_or_b32_e32 v16, 34, v58
	v_or_b32_e32 v17, 35, v58
	v_cmp_gt_i32_e64 s[12:13], s29, v16
	v_cmp_gt_i32_e64 s[14:15], s29, v17
	global_load_dwordx4 v[30:33], v[12:13], off
	global_load_dwordx4 v[26:29], v[12:13], off offset:16
	v_cndmask_b32_e64 v16, v14, v38, s[12:13]
	v_cndmask_b32_e64 v17, v14, v39, s[14:15]
	v_max3_f32 v15, v15, v16, v17
	v_or_b32_e32 v16, 48, v58
	v_or_b32_e32 v17, 49, v58
	v_cmp_gt_i32_e64 s[8:9], s29, v16
	v_cmp_gt_i32_e64 s[10:11], s29, v17
	s_nop 0
	v_cndmask_b32_e64 v16, v14, v36, s[8:9]
	v_cndmask_b32_e64 v17, v14, v37, s[10:11]
	v_max3_f32 v15, v15, v16, v17
	v_or_b32_e32 v16, 50, v58
	v_or_b32_e32 v17, 51, v58
	v_cmp_gt_i32_e32 vcc, s29, v16
	v_cmp_gt_i32_e64 s[6:7], s29, v17
	s_nop 0
	v_cndmask_b32_e32 v16, v14, v34, vcc
	v_cndmask_b32_e64 v14, v14, v35, s[6:7]
	v_max3_f32 v14, v15, v16, v14
	v_mbcnt_lo_u32_b32 v15, -1, 0
	v_mbcnt_hi_u32_b32 v15, -1, v15
	v_and_b32_e32 v16, 64, v15
	v_add_u32_e32 v16, 64, v16
	v_xor_b32_e32 v17, 32, v15
	v_cmp_lt_i32_e64 s[40:41], v17, v16
	s_nop 1
	v_cndmask_b32_e64 v17, v15, v17, s[40:41]
	v_lshlrev_b32_e32 v57, 2, v17
	ds_bpermute_b32 v17, v57, v14
	s_waitcnt vmcnt(5)
	v_mad_i64_i32 v[12:13], s[40:41], v22, s45, 0
	v_lshl_add_u64 v[12:13], v[12:13], 1, v[46:47]
	global_load_dwordx4 v[22:25], v[12:13], off
	global_load_dwordx4 v[18:21], v[12:13], off offset:16
	s_waitcnt lgkmcnt(0)
	v_max_f32_e32 v17, v17, v17
	v_max_f32_e32 v14, v14, v17
	v_xor_b32_e32 v17, 16, v15
	v_cmp_lt_i32_e64 s[40:41], v17, v16
	s_nop 1
	v_cndmask_b32_e64 v15, v15, v17, s[40:41]
	v_lshlrev_b32_e32 v59, 2, v15
	ds_bpermute_b32 v15, v59, v14
	s_waitcnt vmcnt(6)
	v_mad_i64_i32 v[12:13], s[40:41], v61, s45, 0
	v_lshl_add_u64 v[12:13], v[12:13], 1, v[46:47]
	s_waitcnt lgkmcnt(0)
	v_max_f32_e32 v15, v15, v15
	v_max_f32_e32 v56, v14, v15
	v_sub_f32_e32 v10, v10, v56
	v_mul_f32_e32 v10, 0x3fb8aa3b, v10
	v_exp_f32_e32 v46, v10
	v_sub_f32_e32 v10, v11, v56
	v_mul_f32_e32 v10, 0x3fb8aa3b, v10
	v_exp_f32_e32 v47, v10
	global_load_dwordx4 v[14:17], v[12:13], off
	s_nop 0
	global_load_dwordx4 v[10:13], v[12:13], off offset:16
	v_sub_f32_e32 v52, v52, v56
	v_mul_f32_e32 v52, 0x3fb8aa3b, v52
	v_sub_f32_e32 v53, v53, v56
	v_exp_f32_e32 v52, v52
	v_mul_f32_e32 v53, 0x3fb8aa3b, v53
	v_sub_f32_e32 v50, v50, v56
	v_exp_f32_e32 v53, v53
	v_mul_f32_e32 v50, 0x3fb8aa3b, v50
	v_sub_f32_e32 v51, v51, v56
	v_cndmask_b32_e64 v46, 0, v46, s[4:5]
	v_exp_f32_e32 v50, v50
	v_mul_f32_e32 v51, 0x3fb8aa3b, v51
	v_sub_f32_e32 v48, v48, v56
	v_add_f32_e32 v58, 0, v46
	v_cndmask_b32_e64 v47, 0, v47, s[34:35]
	v_exp_f32_e32 v51, v51
	v_mul_f32_e32 v48, 0x3fb8aa3b, v48
	v_sub_f32_e32 v49, v49, v56
	v_add_f32_e32 v58, v58, v47
	;; [unrolled: 5-line block ×10, first 2 shown]
	v_cndmask_b32_e64 v38, 0, v38, s[12:13]
	v_exp_f32_e32 v34, v34
	v_mul_f32_e32 v35, 0x3fb8aa3b, v35
	v_add_f32_e32 v58, v58, v38
	v_cndmask_b32_e64 v39, 0, v39, s[14:15]
	v_exp_f32_e32 v35, v35
	v_add_f32_e32 v58, v58, v39
	v_cndmask_b32_e64 v36, 0, v36, s[8:9]
	v_add_f32_e32 v58, v58, v36
	v_cndmask_b32_e64 v37, 0, v37, s[10:11]
	v_add_f32_e32 v58, v58, v37
	v_cndmask_b32_e32 v34, 0, v34, vcc
	v_add_f32_e32 v58, v58, v34
	v_cndmask_b32_e64 v35, 0, v35, s[6:7]
	v_add_f32_e32 v58, v58, v35
	ds_bpermute_b32 v57, v57, v58
	s_load_dword s9, s[0:1], 0x98
	v_cmp_gt_u32_e64 s[6:7], 16, v55
	s_waitcnt lgkmcnt(0)
	s_barrier
	v_add_f32_e32 v58, v58, v57
	ds_bpermute_b32 v59, v59, v58
	v_lshlrev_b32_e32 v57, 2, v44
	s_waitcnt lgkmcnt(0)
	s_and_saveexec_b64 s[4:5], s[6:7]
	s_cbranch_execz .LBB388_15
; %bb.14:
	v_add_f32_e32 v55, v58, v59
	v_lshl_or_b32 v58, v45, 6, v57
	ds_write2st64_b32 v58, v56, v55 offset1:1
.LBB388_15:
	s_or_b64 exec, exec, s[4:5]
	s_load_dword s8, s[0:1], 0x94
	s_waitcnt lgkmcnt(0)
	s_barrier
	ds_read2_b32 v[58:59], v57 offset1:16
	ds_read2_b32 v[60:61], v57 offset0:32 offset1:48
	ds_read2_b32 v[62:63], v57 offset0:64 offset1:80
	s_movk_i32 s10, 0x7fff
	s_mov_b32 s11, 0x7060302
	s_waitcnt lgkmcnt(2)
	v_max3_f32 v55, v58, s33, v59
	s_waitcnt lgkmcnt(1)
	v_max3_f32 v55, v55, v60, v61
	v_sub_f32_e32 v56, v58, v55
	v_mul_f32_e32 v56, 0x3fb8aa3b, v56
	v_exp_f32_e32 v64, v56
	v_sub_f32_e32 v56, v59, v55
	v_mul_f32_e32 v56, 0x3fb8aa3b, v56
	v_exp_f32_e32 v65, v56
	v_sub_f32_e32 v56, v60, v55
	v_mul_f32_e32 v56, 0x3fb8aa3b, v56
	v_exp_f32_e32 v60, v56
	ds_read2_b32 v[58:59], v57 offset0:96 offset1:112
	v_sub_f32_e32 v56, v61, v55
	v_mul_f32_e32 v56, 0x3fb8aa3b, v56
	v_exp_f32_e32 v57, v56
	s_waitcnt lgkmcnt(1)
	v_fma_f32 v56, v64, v62, 0
	v_fmac_f32_e32 v56, v65, v63
	s_waitcnt lgkmcnt(0)
	v_fmac_f32_e32 v56, v60, v58
	v_fmac_f32_e32 v56, v57, v59
	v_add_f32_e32 v58, 0x358637bd, v56
	v_div_scale_f32 v59, s[4:5], v58, v58, 1.0
	v_rcp_f32_e32 v61, v59
	s_mul_i32 s9, s9, 5
	s_barrier
	v_fma_f32 v62, -v59, v61, 1.0
	v_fmac_f32_e32 v61, v62, v61
	v_div_scale_f32 v62, vcc, 1.0, v58, 1.0
	v_mul_f32_e32 v63, v62, v61
	v_fma_f32 v66, -v59, v63, v62
	v_fmac_f32_e32 v63, v66, v61
	v_fma_f32 v59, -v59, v63, v62
	v_div_fmas_f32 v59, v59, v61, v63
	v_cmp_eq_u32_e32 vcc, 1, v45
	v_div_fixup_f32 v58, v59, v58, 1.0
	s_nop 0
	v_cndmask_b32_e32 v59, v64, v65, vcc
	v_cmp_eq_u32_e32 vcc, 2, v45
	s_nop 1
	v_cndmask_b32_e32 v59, v59, v60, vcc
	v_cmp_eq_u32_e32 vcc, 3, v45
	v_lshlrev_b32_e32 v45, 11, v45
	s_nop 0
	v_cndmask_b32_e32 v57, v59, v57, vcc
	v_mul_f32_e32 v58, v57, v58
	v_pk_mul_f32 v[46:47], v[58:59], v[46:47] op_sel_hi:[0,1]
	v_pk_mul_f32 v[52:53], v[58:59], v[52:53] op_sel_hi:[0,1]
	v_bfe_u32 v57, v47, 16, 1
	v_bfe_u32 v59, v46, 16, 1
	v_add3_u32 v46, v46, v59, s10
	v_add3_u32 v47, v47, v57, s10
	v_perm_b32 v60, v47, v46, s11
	v_bfe_u32 v46, v53, 16, 1
	v_bfe_u32 v47, v52, 16, 1
	v_add3_u32 v47, v52, v47, s10
	v_add3_u32 v46, v53, v46, s10
	v_perm_b32 v61, v46, v47, s11
	v_lshlrev_b32_e32 v46, 3, v54
	v_pk_mul_f32 v[50:51], v[58:59], v[50:51] op_sel_hi:[0,1]
	v_or3_b32 v46, v45, v43, v46
	v_bfe_u32 v45, v51, 16, 1
	v_bfe_u32 v47, v50, 16, 1
	v_pk_mul_f32 v[48:49], v[58:59], v[48:49] op_sel_hi:[0,1]
	v_add3_u32 v47, v50, v47, s10
	v_add3_u32 v45, v51, v45, s10
	v_perm_b32 v50, v45, v47, s11
	v_bfe_u32 v45, v49, 16, 1
	v_bfe_u32 v47, v48, 16, 1
	v_add3_u32 v47, v48, v47, s10
	v_add3_u32 v45, v49, v45, s10
	v_pk_mul_f32 v[40:41], v[58:59], v[40:41] op_sel_hi:[0,1]
	v_perm_b32 v51, v45, v47, s11
	v_bfe_u32 v45, v41, 16, 1
	v_bfe_u32 v47, v40, 16, 1
	v_pk_mul_f32 v[38:39], v[58:59], v[38:39] op_sel_hi:[0,1]
	v_add3_u32 v40, v40, v47, s10
	v_add3_u32 v41, v41, v45, s10
	v_perm_b32 v40, v41, v40, s11
	v_bfe_u32 v41, v39, 16, 1
	v_bfe_u32 v45, v38, 16, 1
	v_add3_u32 v38, v38, v45, s10
	v_add3_u32 v39, v39, v41, s10
	v_pk_mul_f32 v[36:37], v[58:59], v[36:37] op_sel_hi:[0,1]
	v_perm_b32 v41, v39, v38, s11
	v_bfe_u32 v38, v37, 16, 1
	v_bfe_u32 v39, v36, 16, 1
	v_pk_mul_f32 v[34:35], v[58:59], v[34:35] op_sel_hi:[0,1]
	v_add3_u32 v36, v36, v39, s10
	v_add3_u32 v37, v37, v38, s10
	v_perm_b32 v36, v37, v36, s11
	v_bfe_u32 v37, v35, 16, 1
	v_bfe_u32 v38, v34, 16, 1
	v_add3_u32 v34, v34, v38, s10
	v_add3_u32 v35, v35, v37, s10
	v_perm_b32 v37, v35, v34, s11
	v_cmp_gt_u32_e32 vcc, 5, v0
	ds_write2st64_b64 v46, v[60:61], v[50:51] offset1:1
	ds_write2st64_b64 v46, v[40:41], v[36:37] offset0:2 offset1:3
	s_and_saveexec_b64 s[4:5], vcc
	s_cbranch_execz .LBB388_17
; %bb.16:
	s_mov_b32 s43, 0
	v_mov_b32_e32 v45, 0
	v_lshl_add_u64 v[34:35], s[42:43], 0, v[44:45]
	v_mov_b32_e32 v36, s9
	v_mad_u64_u32 v[34:35], s[16:17], s2, v36, v[34:35]
	s_mul_i32 s3, s3, s9
	v_mov_b32_e32 v44, s28
	s_load_dwordx4 s[12:15], s[0:1], 0x58
	v_add_u32_e32 v37, s3, v35
	v_mad_u64_u32 v[34:35], s[16:17], v34, s8, v[44:45]
	v_mov_b32_e32 v36, v35
	v_mad_u64_u32 v[36:37], s[16:17], v37, s8, v[36:37]
	v_mov_b32_e32 v35, v36
	v_lshlrev_b64 v[34:35], 2, v[34:35]
	s_waitcnt lgkmcnt(0)
	v_lshl_add_u64 v[36:37], s[14:15], 0, v[34:35]
	v_lshl_add_u64 v[34:35], s[12:13], 0, v[34:35]
	global_store_dword v[36:37], v55, off
	global_store_dword v[34:35], v56, off
.LBB388_17:
	s_or_b64 exec, exec, s[4:5]
	v_lshl_or_b32 v43, v54, 9, v43
	s_waitcnt lgkmcnt(0)
	s_barrier
	ds_read_b128 v[34:37], v43
	ds_read_b128 v[38:41], v43 offset:16
	s_waitcnt vmcnt(7) lgkmcnt(1)
	v_mfma_f32_16x16x16_bf16 v[48:51], v[6:7], v[34:35], 0
	v_cmp_gt_u32_e32 vcc, 64, v0
	s_mov_b32 s3, 0
	s_and_b64 s[4:5], vcc, s[30:31]
	v_mfma_f32_16x16x16_bf16 v[6:9], v[8:9], v[36:37], v[48:51]
	s_waitcnt vmcnt(6) lgkmcnt(0)
	v_mfma_f32_16x16x16_bf16 v[6:9], v[2:3], v[38:39], v[6:9]
	v_mfma_f32_16x16x16_bf16 v[2:5], v[4:5], v[40:41], v[6:9]
	s_nop 5
	ds_read_b128 v[6:9], v43 offset:2048
	ds_read_b128 v[34:37], v43 offset:2064
	s_waitcnt vmcnt(5) lgkmcnt(1)
	v_mfma_f32_16x16x16_bf16 v[2:5], v[30:31], v[6:7], v[2:5]
	v_mfma_f32_16x16x16_bf16 v[2:5], v[32:33], v[8:9], v[2:5]
	s_waitcnt vmcnt(4) lgkmcnt(0)
	v_mfma_f32_16x16x16_bf16 v[2:5], v[26:27], v[34:35], v[2:5]
	v_mfma_f32_16x16x16_bf16 v[2:5], v[28:29], v[36:37], v[2:5]
	ds_read_b128 v[6:9], v43 offset:4096
	ds_read_b128 v[26:29], v43 offset:4112
	s_waitcnt vmcnt(3) lgkmcnt(1)
	v_mfma_f32_16x16x16_bf16 v[2:5], v[22:23], v[6:7], v[2:5]
	v_mfma_f32_16x16x16_bf16 v[2:5], v[24:25], v[8:9], v[2:5]
	s_waitcnt vmcnt(2) lgkmcnt(0)
	v_mfma_f32_16x16x16_bf16 v[2:5], v[18:19], v[26:27], v[2:5]
	v_mfma_f32_16x16x16_bf16 v[2:5], v[20:21], v[28:29], v[2:5]
	ds_read_b128 v[6:9], v43 offset:6144
	ds_read_b128 v[18:21], v43 offset:6160
	v_mov_b32_e32 v43, 0
	s_waitcnt vmcnt(1) lgkmcnt(0)
	v_mfma_f32_16x16x16_bf16 v[2:5], v[14:15], v[6:7], v[2:5]
	s_barrier
	v_mfma_f32_16x16x16_bf16 v[2:5], v[16:17], v[8:9], v[2:5]
	s_waitcnt vmcnt(0)
	v_mfma_f32_16x16x16_bf16 v[2:5], v[10:11], v[18:19], v[2:5]
	v_mfma_f32_16x16x16_bf16 v[2:5], v[12:13], v[20:21], v[2:5]
	s_nop 6
	v_bfe_u32 v6, v3, 16, 1
	v_bfe_u32 v7, v2, 16, 1
	;; [unrolled: 1-line block ×4, first 2 shown]
	v_add3_u32 v2, v2, v7, s10
	v_add3_u32 v3, v3, v6, s10
	;; [unrolled: 1-line block ×4, first 2 shown]
	v_perm_b32 v2, v3, v2, s11
	v_perm_b32 v3, v5, v4, s11
	ds_write_b64 v46, v[2:3]
	s_waitcnt lgkmcnt(0)
	s_barrier
	s_and_saveexec_b64 s[10:11], s[4:5]
	s_cbranch_execz .LBB388_20
; %bb.18:
	s_load_dwordx2 s[4:5], s[0:1], 0x68
	s_lshl_b32 s0, s8, 6
	s_mul_i32 s1, s9, s2
	s_mul_hi_u32 s9, s1, s0
	s_mul_i32 s8, s1, s0
	v_lshlrev_b32_e32 v0, 10, v0
	s_lshl_b64 s[8:9], s[8:9], 1
	v_and_b32_e32 v0, 0x1800, v0
	v_lshlrev_b32_e32 v2, 5, v54
	v_and_b32_e32 v1, 16, v1
	s_waitcnt lgkmcnt(0)
	s_add_u32 s1, s4, s8
	v_or3_b32 v2, v0, v2, v1
	s_addc_u32 s4, s5, s9
	s_lshl_b32 s2, s28, 6
	s_lshl_b64 s[2:3], s[2:3], 1
	ds_read_b128 v[4:7], v2
	s_add_u32 s2, s1, s2
	s_addc_u32 s3, s4, s3
	v_add_u32_e32 v3, s42, v54
	v_lshl_add_u64 v[0:1], s[2:3], 0, v[42:43]
	v_mad_u64_u32 v[8:9], s[2:3], v3, s0, 0
	v_lshl_add_u64 v[8:9], v[8:9], 1, v[0:1]
	s_waitcnt lgkmcnt(0)
	global_store_dwordx4 v[8:9], v[4:7], off
	s_and_b64 exec, exec, s[6:7]
	s_cbranch_execz .LBB388_20
; %bb.19:
	ds_read_b128 v[2:5], v2 offset:128
	v_add3_u32 v6, s42, v54, 4
	v_mad_u64_u32 v[6:7], s[0:1], v6, s0, 0
	v_lshl_add_u64 v[0:1], v[6:7], 1, v[0:1]
	s_waitcnt lgkmcnt(0)
	global_store_dwordx4 v[0:1], v[2:5], off
.LBB388_20:
	s_endpgm
	.section	.rodata,"a",@progbits
	.p2align	6, 0x0
	.amdhsa_kernel _Z39paged_attention_ll4mi_QKV_mfma16_kernelI14__hip_bfloat16S0_LN4vllm18Fp8KVCacheDataTypeE0EhLi16ELi64ELi256ELb1ELi5EEvPKT_PKT0_S8_ifPKiSA_SA_iPKfiiiPfSD_PS3_PT2_iSC_SC_
		.amdhsa_group_segment_fixed_size 8192
		.amdhsa_private_segment_fixed_size 0
		.amdhsa_kernarg_size 400
		.amdhsa_user_sgpr_count 2
		.amdhsa_user_sgpr_dispatch_ptr 0
		.amdhsa_user_sgpr_queue_ptr 0
		.amdhsa_user_sgpr_kernarg_segment_ptr 1
		.amdhsa_user_sgpr_dispatch_id 0
		.amdhsa_user_sgpr_kernarg_preload_length 0
		.amdhsa_user_sgpr_kernarg_preload_offset 0
		.amdhsa_user_sgpr_private_segment_size 0
		.amdhsa_uses_dynamic_stack 0
		.amdhsa_enable_private_segment 0
		.amdhsa_system_sgpr_workgroup_id_x 1
		.amdhsa_system_sgpr_workgroup_id_y 1
		.amdhsa_system_sgpr_workgroup_id_z 1
		.amdhsa_system_sgpr_workgroup_info 0
		.amdhsa_system_vgpr_workitem_id 0
		.amdhsa_next_free_vgpr 72
		.amdhsa_next_free_sgpr 48
		.amdhsa_accum_offset 72
		.amdhsa_reserve_vcc 1
		.amdhsa_float_round_mode_32 0
		.amdhsa_float_round_mode_16_64 0
		.amdhsa_float_denorm_mode_32 3
		.amdhsa_float_denorm_mode_16_64 3
		.amdhsa_dx10_clamp 1
		.amdhsa_ieee_mode 1
		.amdhsa_fp16_overflow 0
		.amdhsa_tg_split 0
		.amdhsa_exception_fp_ieee_invalid_op 0
		.amdhsa_exception_fp_denorm_src 0
		.amdhsa_exception_fp_ieee_div_zero 0
		.amdhsa_exception_fp_ieee_overflow 0
		.amdhsa_exception_fp_ieee_underflow 0
		.amdhsa_exception_fp_ieee_inexact 0
		.amdhsa_exception_int_div_zero 0
	.end_amdhsa_kernel
	.section	.text._Z39paged_attention_ll4mi_QKV_mfma16_kernelI14__hip_bfloat16S0_LN4vllm18Fp8KVCacheDataTypeE0EhLi16ELi64ELi256ELb1ELi5EEvPKT_PKT0_S8_ifPKiSA_SA_iPKfiiiPfSD_PS3_PT2_iSC_SC_,"axG",@progbits,_Z39paged_attention_ll4mi_QKV_mfma16_kernelI14__hip_bfloat16S0_LN4vllm18Fp8KVCacheDataTypeE0EhLi16ELi64ELi256ELb1ELi5EEvPKT_PKT0_S8_ifPKiSA_SA_iPKfiiiPfSD_PS3_PT2_iSC_SC_,comdat
.Lfunc_end388:
	.size	_Z39paged_attention_ll4mi_QKV_mfma16_kernelI14__hip_bfloat16S0_LN4vllm18Fp8KVCacheDataTypeE0EhLi16ELi64ELi256ELb1ELi5EEvPKT_PKT0_S8_ifPKiSA_SA_iPKfiiiPfSD_PS3_PT2_iSC_SC_, .Lfunc_end388-_Z39paged_attention_ll4mi_QKV_mfma16_kernelI14__hip_bfloat16S0_LN4vllm18Fp8KVCacheDataTypeE0EhLi16ELi64ELi256ELb1ELi5EEvPKT_PKT0_S8_ifPKiSA_SA_iPKfiiiPfSD_PS3_PT2_iSC_SC_
                                        ; -- End function
	.section	.AMDGPU.csdata,"",@progbits
; Kernel info:
; codeLenInByte = 4312
; NumSgprs: 54
; NumVgprs: 72
; NumAgprs: 0
; TotalNumVgprs: 72
; ScratchSize: 0
; MemoryBound: 0
; FloatMode: 240
; IeeeMode: 1
; LDSByteSize: 8192 bytes/workgroup (compile time only)
; SGPRBlocks: 6
; VGPRBlocks: 8
; NumSGPRsForWavesPerEU: 54
; NumVGPRsForWavesPerEU: 72
; AccumOffset: 72
; Occupancy: 7
; WaveLimiterHint : 1
; COMPUTE_PGM_RSRC2:SCRATCH_EN: 0
; COMPUTE_PGM_RSRC2:USER_SGPR: 2
; COMPUTE_PGM_RSRC2:TRAP_HANDLER: 0
; COMPUTE_PGM_RSRC2:TGID_X_EN: 1
; COMPUTE_PGM_RSRC2:TGID_Y_EN: 1
; COMPUTE_PGM_RSRC2:TGID_Z_EN: 1
; COMPUTE_PGM_RSRC2:TIDIG_COMP_CNT: 0
; COMPUTE_PGM_RSRC3_GFX90A:ACCUM_OFFSET: 17
; COMPUTE_PGM_RSRC3_GFX90A:TG_SPLIT: 0
	.section	.text._Z39paged_attention_ll4mi_QKV_mfma16_kernelI14__hip_bfloat16S0_LN4vllm18Fp8KVCacheDataTypeE0EhLi16ELi64ELi256ELb1ELi6EEvPKT_PKT0_S8_ifPKiSA_SA_iPKfiiiPfSD_PS3_PT2_iSC_SC_,"axG",@progbits,_Z39paged_attention_ll4mi_QKV_mfma16_kernelI14__hip_bfloat16S0_LN4vllm18Fp8KVCacheDataTypeE0EhLi16ELi64ELi256ELb1ELi6EEvPKT_PKT0_S8_ifPKiSA_SA_iPKfiiiPfSD_PS3_PT2_iSC_SC_,comdat
	.protected	_Z39paged_attention_ll4mi_QKV_mfma16_kernelI14__hip_bfloat16S0_LN4vllm18Fp8KVCacheDataTypeE0EhLi16ELi64ELi256ELb1ELi6EEvPKT_PKT0_S8_ifPKiSA_SA_iPKfiiiPfSD_PS3_PT2_iSC_SC_ ; -- Begin function _Z39paged_attention_ll4mi_QKV_mfma16_kernelI14__hip_bfloat16S0_LN4vllm18Fp8KVCacheDataTypeE0EhLi16ELi64ELi256ELb1ELi6EEvPKT_PKT0_S8_ifPKiSA_SA_iPKfiiiPfSD_PS3_PT2_iSC_SC_
	.globl	_Z39paged_attention_ll4mi_QKV_mfma16_kernelI14__hip_bfloat16S0_LN4vllm18Fp8KVCacheDataTypeE0EhLi16ELi64ELi256ELb1ELi6EEvPKT_PKT0_S8_ifPKiSA_SA_iPKfiiiPfSD_PS3_PT2_iSC_SC_
	.p2align	8
	.type	_Z39paged_attention_ll4mi_QKV_mfma16_kernelI14__hip_bfloat16S0_LN4vllm18Fp8KVCacheDataTypeE0EhLi16ELi64ELi256ELb1ELi6EEvPKT_PKT0_S8_ifPKiSA_SA_iPKfiiiPfSD_PS3_PT2_iSC_SC_,@function
_Z39paged_attention_ll4mi_QKV_mfma16_kernelI14__hip_bfloat16S0_LN4vllm18Fp8KVCacheDataTypeE0EhLi16ELi64ELi256ELb1ELi6EEvPKT_PKT0_S8_ifPKiSA_SA_iPKfiiiPfSD_PS3_PT2_iSC_SC_: ; @_Z39paged_attention_ll4mi_QKV_mfma16_kernelI14__hip_bfloat16S0_LN4vllm18Fp8KVCacheDataTypeE0EhLi16ELi64ELi256ELb1ELi6EEvPKT_PKT0_S8_ifPKiSA_SA_iPKfiiiPfSD_PS3_PT2_iSC_SC_
; %bb.0:
	s_load_dwordx2 s[8:9], s[0:1], 0x30
	s_mov_b32 s28, s3
	s_mov_b64 s[6:7], 0
	s_waitcnt lgkmcnt(0)
	s_cmp_lg_u64 s[8:9], 0
	s_cselect_b64 s[10:11], -1, 0
	s_and_b64 vcc, exec, s[10:11]
	s_cbranch_vccz .LBB389_7
; %bb.1:
	s_add_i32 s12, s2, 1
	s_mov_b32 s13, 0
	s_lshl_b64 s[14:15], s[12:13], 2
	s_add_u32 s14, s8, s14
	s_mov_b32 s3, s13
	s_addc_u32 s15, s9, s15
	s_lshl_b64 s[12:13], s[2:3], 2
	s_add_u32 s12, s8, s12
	s_addc_u32 s13, s9, s13
	s_load_dword s5, s[14:15], 0x0
	s_load_dword s16, s[12:13], 0x0
	s_waitcnt lgkmcnt(0)
	s_sub_i32 s5, s5, s16
	s_cmp_eq_u32 s5, 1
	s_cselect_b64 s[12:13], -1, 0
	s_andn2_b64 vcc, exec, s[6:7]
	s_cbranch_vccnz .LBB389_3
.LBB389_2:
	s_mov_b32 s3, 0
	s_mov_b64 s[12:13], -1
.LBB389_3:
	s_andn2_b64 vcc, exec, s[12:13]
	s_cbranch_vccnz .LBB389_20
; %bb.4:
	s_load_dwordx2 s[6:7], s[0:1], 0x28
	s_lshl_b64 s[14:15], s[2:3], 2
	s_waitcnt lgkmcnt(0)
	s_add_u32 s6, s6, s14
	s_addc_u32 s7, s7, s15
	s_load_dword s29, s[6:7], 0x0
	s_lshl_b32 s16, s28, 8
	s_waitcnt lgkmcnt(0)
	s_cmp_ge_i32 s16, s29
	s_cbranch_scc1 .LBB389_20
; %bb.5:
	s_load_dwordx2 s[6:7], s[0:1], 0x20
	s_load_dword s5, s[0:1], 0x38
	s_add_i32 s12, s29, 15
	s_ashr_i32 s13, s12, 31
	v_and_b32_e32 v1, 0xcf, v0
	s_lshr_b32 s13, s13, 28
	v_add_u32_e32 v1, s16, v1
	s_add_i32 s12, s12, s13
	v_ashrrev_i32_e32 v2, 31, v1
	s_ashr_i32 s17, s12, 4
	v_lshrrev_b32_e32 v6, 28, v2
	s_add_i32 s17, s17, -1
	s_waitcnt lgkmcnt(0)
	s_mul_i32 s12, s2, s5
	s_mov_b32 s13, 0
	v_add_u32_e32 v2, v1, v6
	s_lshl_b64 s[12:13], s[12:13], 2
	v_ashrrev_i32_e32 v2, 4, v2
	v_mov_b32_e32 v7, s17
	v_cmp_gt_i32_e32 vcc, s29, v1
	s_add_u32 s6, s6, s12
	s_addc_u32 s7, s7, s13
	v_cndmask_b32_e32 v2, v7, v2, vcc
	v_ashrrev_i32_e32 v3, 31, v2
	v_lshl_add_u64 v[4:5], v[2:3], 2, s[6:7]
	v_or_b32_e32 v2, 16, v1
	v_add_u32_e32 v3, v2, v6
	v_ashrrev_i32_e32 v3, 4, v3
	v_cmp_gt_i32_e32 vcc, s29, v2
	s_load_dwordx2 s[12:13], s[0:1], 0x8
	s_nop 0
	v_cndmask_b32_e32 v2, v7, v3, vcc
	v_ashrrev_i32_e32 v3, 31, v2
	v_lshl_add_u64 v[8:9], v[2:3], 2, s[6:7]
	v_or_b32_e32 v2, 32, v1
	v_add_u32_e32 v3, v2, v6
	v_ashrrev_i32_e32 v3, 4, v3
	v_cmp_gt_i32_e32 vcc, s29, v2
	v_or_b32_e32 v1, 48, v1
	s_nop 0
	v_cndmask_b32_e32 v2, v7, v3, vcc
	v_ashrrev_i32_e32 v3, 31, v2
	v_lshl_add_u64 v[10:11], v[2:3], 2, s[6:7]
	v_add_u32_e32 v2, v1, v6
	v_ashrrev_i32_e32 v2, 4, v2
	v_cmp_gt_i32_e32 vcc, s29, v1
	s_nop 1
	v_cndmask_b32_e32 v2, v7, v2, vcc
	v_ashrrev_i32_e32 v3, 31, v2
	v_lshl_add_u64 v[12:13], v[2:3], 2, s[6:7]
	global_load_dword v3, v[4:5], off
	global_load_dword v2, v[8:9], off
	global_load_dword v6, v[10:11], off
	global_load_dword v14, v[12:13], off
	s_andn2_b64 vcc, exec, s[10:11]
	s_cbranch_vccnz .LBB389_8
; %bb.6:
	s_add_u32 s8, s8, s14
	s_addc_u32 s9, s9, s15
	s_load_dword s5, s[8:9], 0x0
	s_branch .LBB389_9
.LBB389_7:
	s_mov_b64 s[12:13], 0
	s_branch .LBB389_2
.LBB389_8:
	s_mov_b32 s5, s2
.LBB389_9:
	s_load_dwordx2 s[8:9], s[0:1], 0x10
	s_load_dwordx4 s[44:47], s[0:1], 0x48
	v_lshrrev_b32_e32 v45, 6, v0
	v_bfe_u32 v54, v0, 4, 2
	v_lshl_or_b32 v1, v45, 2, v54
	v_and_b32_e32 v44, 15, v0
	v_lshlrev_b32_e32 v4, 3, v44
	v_cmp_gt_u32_e32 vcc, 6, v1
	v_cmp_gt_u32_e64 s[30:31], 8, v44
	s_mul_i32 s42, s4, 6
	s_and_b64 s[14:15], s[30:31], vcc
	v_lshlrev_b32_e32 v42, 1, v4
	s_and_saveexec_b64 s[10:11], s[14:15]
	s_cbranch_execz .LBB389_11
; %bb.10:
	s_load_dwordx2 s[14:15], s[0:1], 0x0
	s_waitcnt lgkmcnt(0)
	s_ashr_i32 s18, s44, 31
	s_mul_hi_u32 s19, s5, s44
	s_mul_i32 s18, s5, s18
	s_add_i32 s19, s19, s18
	s_mul_i32 s18, s5, s44
	s_lshl_b64 s[18:19], s[18:19], 1
	s_add_u32 s14, s14, s18
	v_add_lshl_u32 v4, v1, s42, 6
	s_addc_u32 s15, s15, s19
	v_ashrrev_i32_e32 v5, 31, v4
	v_lshl_add_u64 v[4:5], v[4:5], 1, s[14:15]
	v_mov_b32_e32 v43, 0
	v_lshl_add_u64 v[4:5], v[4:5], 0, v[42:43]
	global_load_dwordx4 v[8:11], v[4:5], off
	v_and_b32_e32 v4, 3, v0
	v_lshlrev_b32_e32 v5, 9, v44
	v_lshlrev_b32_e32 v1, 5, v1
	;; [unrolled: 1-line block ×3, first 2 shown]
	v_and_b32_e32 v5, 0x1800, v5
	v_or3_b32 v1, v5, v4, v1
	s_waitcnt vmcnt(0)
	ds_write_b128 v1, v[8:11]
.LBB389_11:
	s_or_b64 exec, exec, s[10:11]
	s_waitcnt lgkmcnt(0)
	s_mul_i32 s4, s4, s46
	s_mov_b32 s5, 0
	s_lshl_b64 s[4:5], s[4:5], 1
	s_add_u32 s10, s12, s4
	v_lshlrev_b32_e32 v1, 4, v0
	s_addc_u32 s11, s13, s5
	v_and_b32_e32 v46, 0xf0, v1
	v_mov_b32_e32 v47, 0
	v_lshl_add_u64 v[16:17], s[10:11], 0, v[46:47]
	s_waitcnt vmcnt(3)
	v_mad_i64_i32 v[4:5], s[10:11], v3, s45, 0
	s_waitcnt vmcnt(2)
	v_mad_i64_i32 v[2:3], s[10:11], v2, s45, 0
	;; [unrolled: 2-line block ×3, first 2 shown]
	v_lshl_add_u64 v[4:5], v[4:5], 1, v[16:17]
	v_and_b32_e32 v46, 0x300, v1
	v_lshl_add_u64 v[2:3], v[2:3], 1, v[16:17]
	v_lshl_add_u64 v[6:7], v[6:7], 1, v[16:17]
	s_waitcnt vmcnt(0)
	v_mad_i64_i32 v[14:15], s[10:11], v14, s45, 0
	v_lshl_add_u64 v[4:5], v[4:5], 0, v[46:47]
	v_lshl_add_u64 v[8:9], v[2:3], 0, v[46:47]
	;; [unrolled: 1-line block ×4, first 2 shown]
	s_barrier
	global_load_dwordx4 v[30:33], v[4:5], off
	global_load_dwordx4 v[10:13], v[4:5], off offset:1024
	global_load_dwordx4 v[22:25], v[8:9], off
	s_nop 0
	global_load_dwordx4 v[2:5], v[8:9], off offset:1024
	global_load_dwordx4 v[26:29], v[18:19], off
	s_nop 0
	global_load_dwordx4 v[6:9], v[18:19], off offset:1024
	v_lshl_add_u64 v[18:19], v[14:15], 0, v[46:47]
	global_load_dwordx4 v[34:37], v[18:19], off
	global_load_dwordx4 v[14:17], v[18:19], off offset:1024
	v_mul_lo_u16_e32 v18, 43, v44
	v_mov_b32_e32 v19, 6
	v_mul_lo_u16_sdwa v18, v18, v19 dst_sel:DWORD dst_unused:UNUSED_PAD src0_sel:BYTE_1 src1_sel:DWORD
	v_sub_u16_e32 v18, v44, v18
	v_mov_b32_e32 v19, 5
	v_lshlrev_b32_sdwa v18, v19, v18 dst_sel:DWORD dst_unused:UNUSED_PAD src0_sel:DWORD src1_sel:BYTE_0
	v_lshl_add_u32 v18, v54, 9, v18
	ds_read_b128 v[38:41], v18
	ds_read_b128 v[18:21], v18 offset:2048
	v_and_b32_e32 v55, 63, v0
	v_cmp_gt_u32_e32 vcc, 6, v44
	v_mov_b32_e32 v56, 0
	s_and_saveexec_b64 s[10:11], vcc
	s_cbranch_execz .LBB389_13
; %bb.12:
	s_load_dwordx2 s[12:13], s[0:1], 0x40
	v_add_u32_e32 v48, s42, v44
	v_ashrrev_i32_e32 v49, 31, v48
	s_waitcnt lgkmcnt(0)
	v_lshl_add_u64 v[48:49], v[48:49], 2, s[12:13]
	global_load_dword v56, v[48:49], off
.LBB389_13:
	s_or_b64 exec, exec, s[10:11]
	v_and_or_b32 v46, v0, 48, s16
	v_ashrrev_i32_e32 v43, 4, v46
	v_mov_b32_e32 v57, s17
	v_cmp_gt_i32_e32 vcc, s29, v46
	s_waitcnt vmcnt(5) lgkmcnt(1)
	v_mfma_f32_16x16x16_bf16 v[58:61], v[22:23], v[38:39], 0
	s_load_dword s10, s[0:1], 0x1c
	v_cndmask_b32_e32 v48, v57, v43, vcc
	v_ashrrev_i32_e32 v49, 31, v48
	v_or_b32_e32 v43, 64, v46
	v_lshl_add_u64 v[52:53], v[48:49], 2, s[6:7]
	v_mfma_f32_16x16x16_bf16 v[48:51], v[30:31], v[38:39], 0
	v_ashrrev_i32_e32 v30, 4, v43
	v_cmp_gt_i32_e32 vcc, s29, v43
	global_load_dword v70, v[52:53], off
	s_waitcnt vmcnt(4)
	v_mfma_f32_16x16x16_bf16 v[62:65], v[26:27], v[38:39], 0
	v_cndmask_b32_e32 v30, v57, v30, vcc
	v_ashrrev_i32_e32 v31, 31, v30
	v_lshl_add_u64 v[22:23], v[30:31], 2, s[6:7]
	global_load_dword v71, v[22:23], off
	v_mfma_f32_16x16x16_bf16 v[22:25], v[24:25], v[40:41], v[58:61]
	v_and_b32_e32 v26, 0xc0, v0
	s_add_u32 s4, s8, s4
	v_lshlrev_b32_e32 v43, 5, v44
	v_mfma_f32_16x16x16_bf16 v[30:33], v[32:33], v[40:41], v[48:51]
	s_addc_u32 s5, s9, s5
	s_mov_b32 s33, 0xff7fffff
	s_waitcnt vmcnt(3)
	v_mfma_f32_16x16x16_bf16 v[66:69], v[34:35], v[38:39], 0
	v_or_b32_e32 v38, 0x80, v46
	v_add_u32_e32 v48, s16, v26
	v_or_b32_e32 v39, 0xc0, v46
	v_mfma_f32_16x16x16_bf16 v[26:29], v[28:29], v[40:41], v[62:65]
	v_ashrrev_i32_e32 v49, 4, v38
	v_cmp_gt_i32_e32 vcc, s29, v38
	v_ashrrev_i32_e32 v50, 4, v39
	s_waitcnt lgkmcnt(0)
	v_mfma_f32_16x16x16_bf16 v[22:25], v[2:3], v[18:19], v[22:25]
	v_cndmask_b32_e32 v38, v57, v49, vcc
	v_cmp_gt_i32_e32 vcc, s29, v39
	v_ashrrev_i32_e32 v39, 31, v38
	v_mfma_f32_16x16x16_bf16 v[30:33], v[10:11], v[18:19], v[30:33]
	v_cndmask_b32_e32 v10, v57, v50, vcc
	v_ashrrev_i32_e32 v11, 31, v10
	v_lshl_or_b32 v58, v54, 2, v48
	v_mfma_f32_16x16x16_bf16 v[26:29], v[6:7], v[18:19], v[26:29]
	v_lshl_add_u64 v[6:7], v[38:39], 2, s[6:7]
	v_lshl_add_u64 v[38:39], v[10:11], 2, s[6:7]
	v_or_b32_e32 v57, 1, v58
	v_mfma_f32_16x16x16_bf16 v[2:5], v[4:5], v[20:21], v[22:25]
	s_nop 2
	global_load_dword v22, v[6:7], off
	global_load_dword v61, v[38:39], off
	v_subrev_u32_e32 v59, s29, v57
	v_cvt_f32_i32_e32 v60, v59
	v_mfma_f32_16x16x16_bf16 v[34:37], v[36:37], v[40:41], v[66:69]
	v_pk_mul_f32 v[48:49], s[10:11], v[4:5] op_sel_hi:[0,1]
	v_lshl_or_b32 v46, v45, 9, v43
	v_lshl_add_u64 v[46:47], s[4:5], 0, v[46:47]
	s_waitcnt vmcnt(4)
	v_mfma_f32_16x16x16_bf16 v[34:37], v[14:15], v[18:19], v[34:37]
	v_add_u32_e32 v14, 1, v59
	v_add_u32_e32 v15, 2, v59
	v_cvt_f32_i32_e32 v23, v14
	v_cvt_f32_i32_e32 v24, v15
	v_mfma_f32_16x16x16_bf16 v[14:17], v[16:17], v[20:21], v[34:37]
	v_add_u32_e32 v18, 3, v59
	v_cvt_f32_i32_e32 v18, v18
	v_pk_mul_f32 v[50:51], s[10:11], v[2:3] op_sel_hi:[0,1]
	v_mfma_f32_16x16x16_bf16 v[10:13], v[12:13], v[20:21], v[30:33]
	v_cmp_gt_i32_e64 s[34:35], s29, v57
	s_nop 1
	v_pk_mul_f32 v[36:37], s[10:11], v[14:15] op_sel_hi:[0,1]
	v_add_u32_e32 v15, 19, v59
	v_add_u32_e32 v31, 18, v59
	v_cvt_f32_i32_e32 v14, v31
	v_cvt_f32_i32_e32 v15, v15
	v_mfma_f32_16x16x16_bf16 v[6:9], v[8:9], v[20:21], v[26:29]
	v_pk_mul_f32 v[34:35], s[10:11], v[16:17] op_sel_hi:[0,1]
	v_fma_f32 v48, v56, v14, v48
	v_add_u32_e32 v14, 32, v59
	v_fmac_f32_e32 v49, v56, v15
	v_cvt_f32_i32_e32 v14, v14
	v_add_u32_e32 v15, 33, v59
	v_add_u32_e32 v16, 34, v59
	v_cvt_f32_i32_e32 v15, v15
	v_cvt_f32_i32_e32 v16, v16
	v_add_u32_e32 v17, 35, v59
	v_cvt_f32_i32_e32 v17, v17
	v_pk_mul_f32 v[40:41], s[10:11], v[6:7] op_sel_hi:[0,1]
	v_pk_mul_f32 v[38:39], s[10:11], v[8:9] op_sel_hi:[0,1]
	v_fma_f32 v40, v56, v14, v40
	v_add_u32_e32 v14, 48, v59
	v_fmac_f32_e32 v41, v56, v15
	v_fma_f32 v38, v56, v16, v38
	v_cvt_f32_i32_e32 v14, v14
	v_add_u32_e32 v15, 49, v59
	v_add_u32_e32 v16, 50, v59
	v_fmac_f32_e32 v39, v56, v17
	v_cvt_f32_i32_e32 v15, v15
	v_cvt_f32_i32_e32 v16, v16
	v_add_u32_e32 v17, 51, v59
	v_cvt_f32_i32_e32 v17, v17
	v_pk_mul_f32 v[52:53], s[10:11], v[12:13] op_sel_hi:[0,1]
	v_pk_mul_f32 v[10:11], s[10:11], v[10:11] op_sel_hi:[0,1]
	s_waitcnt vmcnt(3)
	v_mad_i64_i32 v[2:3], s[4:5], v70, s45, 0
	s_waitcnt vmcnt(2)
	v_mad_i64_i32 v[12:13], s[4:5], v71, s45, 0
	v_fma_f32 v10, v56, v60, v10
	v_fmac_f32_e32 v11, v56, v23
	v_fma_f32 v36, v56, v14, v36
	v_mov_b32_e32 v14, 0xff7fffff
	v_cmp_gt_i32_e64 s[4:5], s29, v58
	v_add_u32_e32 v19, 16, v59
	v_add_u32_e32 v30, 17, v59
	v_fmac_f32_e32 v37, v56, v15
	v_fma_f32 v34, v56, v16, v34
	v_cndmask_b32_e64 v15, v14, v10, s[4:5]
	v_cndmask_b32_e64 v16, v14, v11, s[34:35]
	v_cvt_f32_i32_e32 v19, v19
	v_cvt_f32_i32_e32 v25, v30
	v_fmac_f32_e32 v35, v56, v17
	v_max3_f32 v15, v15, s33, v16
	v_or_b32_e32 v16, 2, v58
	v_or_b32_e32 v17, 3, v58
	v_fma_f32 v52, v56, v24, v52
	v_fmac_f32_e32 v53, v56, v18
	v_cmp_gt_i32_e64 s[36:37], s29, v16
	v_cmp_gt_i32_e64 s[38:39], s29, v17
	v_fma_f32 v50, v56, v19, v50
	v_cndmask_b32_e64 v16, v14, v52, s[36:37]
	v_cndmask_b32_e64 v17, v14, v53, s[38:39]
	v_max3_f32 v15, v15, v16, v17
	v_or_b32_e32 v16, 16, v58
	v_or_b32_e32 v17, 17, v58
	v_fmac_f32_e32 v51, v56, v25
	v_cmp_gt_i32_e64 s[24:25], s29, v16
	v_cmp_gt_i32_e64 s[26:27], s29, v17
	v_lshl_add_u64 v[2:3], v[2:3], 1, v[46:47]
	v_cndmask_b32_e64 v16, v14, v50, s[24:25]
	v_cndmask_b32_e64 v17, v14, v51, s[26:27]
	v_max3_f32 v15, v15, v16, v17
	v_or_b32_e32 v16, 18, v58
	v_or_b32_e32 v17, 19, v58
	v_cmp_gt_i32_e64 s[20:21], s29, v16
	v_cmp_gt_i32_e64 s[22:23], s29, v17
	v_lshl_add_u64 v[12:13], v[12:13], 1, v[46:47]
	v_cndmask_b32_e64 v16, v14, v48, s[20:21]
	v_cndmask_b32_e64 v17, v14, v49, s[22:23]
	v_max3_f32 v15, v15, v16, v17
	v_or_b32_e32 v16, 32, v58
	v_or_b32_e32 v17, 33, v58
	v_cmp_gt_i32_e64 s[16:17], s29, v16
	v_cmp_gt_i32_e64 s[18:19], s29, v17
	global_load_dwordx4 v[6:9], v[2:3], off
	s_nop 0
	global_load_dwordx4 v[2:5], v[2:3], off offset:16
	v_cndmask_b32_e64 v16, v14, v40, s[16:17]
	v_cndmask_b32_e64 v17, v14, v41, s[18:19]
	v_max3_f32 v15, v15, v16, v17
	v_or_b32_e32 v16, 34, v58
	v_or_b32_e32 v17, 35, v58
	v_cmp_gt_i32_e64 s[12:13], s29, v16
	v_cmp_gt_i32_e64 s[14:15], s29, v17
	global_load_dwordx4 v[30:33], v[12:13], off
	global_load_dwordx4 v[26:29], v[12:13], off offset:16
	v_cndmask_b32_e64 v16, v14, v38, s[12:13]
	v_cndmask_b32_e64 v17, v14, v39, s[14:15]
	v_max3_f32 v15, v15, v16, v17
	v_or_b32_e32 v16, 48, v58
	v_or_b32_e32 v17, 49, v58
	v_cmp_gt_i32_e64 s[8:9], s29, v16
	v_cmp_gt_i32_e64 s[10:11], s29, v17
	s_nop 0
	v_cndmask_b32_e64 v16, v14, v36, s[8:9]
	v_cndmask_b32_e64 v17, v14, v37, s[10:11]
	v_max3_f32 v15, v15, v16, v17
	v_or_b32_e32 v16, 50, v58
	v_or_b32_e32 v17, 51, v58
	v_cmp_gt_i32_e32 vcc, s29, v16
	v_cmp_gt_i32_e64 s[6:7], s29, v17
	s_nop 0
	v_cndmask_b32_e32 v16, v14, v34, vcc
	v_cndmask_b32_e64 v14, v14, v35, s[6:7]
	v_max3_f32 v14, v15, v16, v14
	v_mbcnt_lo_u32_b32 v15, -1, 0
	v_mbcnt_hi_u32_b32 v15, -1, v15
	v_and_b32_e32 v16, 64, v15
	v_add_u32_e32 v16, 64, v16
	v_xor_b32_e32 v17, 32, v15
	v_cmp_lt_i32_e64 s[40:41], v17, v16
	s_nop 1
	v_cndmask_b32_e64 v17, v15, v17, s[40:41]
	v_lshlrev_b32_e32 v57, 2, v17
	ds_bpermute_b32 v17, v57, v14
	s_waitcnt vmcnt(5)
	v_mad_i64_i32 v[12:13], s[40:41], v22, s45, 0
	v_lshl_add_u64 v[12:13], v[12:13], 1, v[46:47]
	global_load_dwordx4 v[22:25], v[12:13], off
	global_load_dwordx4 v[18:21], v[12:13], off offset:16
	s_waitcnt lgkmcnt(0)
	v_max_f32_e32 v17, v17, v17
	v_max_f32_e32 v14, v14, v17
	v_xor_b32_e32 v17, 16, v15
	v_cmp_lt_i32_e64 s[40:41], v17, v16
	s_nop 1
	v_cndmask_b32_e64 v15, v15, v17, s[40:41]
	v_lshlrev_b32_e32 v59, 2, v15
	ds_bpermute_b32 v15, v59, v14
	s_waitcnt vmcnt(6)
	v_mad_i64_i32 v[12:13], s[40:41], v61, s45, 0
	v_lshl_add_u64 v[12:13], v[12:13], 1, v[46:47]
	s_waitcnt lgkmcnt(0)
	v_max_f32_e32 v15, v15, v15
	v_max_f32_e32 v56, v14, v15
	v_sub_f32_e32 v10, v10, v56
	v_mul_f32_e32 v10, 0x3fb8aa3b, v10
	v_exp_f32_e32 v46, v10
	v_sub_f32_e32 v10, v11, v56
	v_mul_f32_e32 v10, 0x3fb8aa3b, v10
	v_exp_f32_e32 v47, v10
	global_load_dwordx4 v[14:17], v[12:13], off
	s_nop 0
	global_load_dwordx4 v[10:13], v[12:13], off offset:16
	v_sub_f32_e32 v52, v52, v56
	v_mul_f32_e32 v52, 0x3fb8aa3b, v52
	v_sub_f32_e32 v53, v53, v56
	v_exp_f32_e32 v52, v52
	v_mul_f32_e32 v53, 0x3fb8aa3b, v53
	v_sub_f32_e32 v50, v50, v56
	v_exp_f32_e32 v53, v53
	v_mul_f32_e32 v50, 0x3fb8aa3b, v50
	v_sub_f32_e32 v51, v51, v56
	v_cndmask_b32_e64 v46, 0, v46, s[4:5]
	v_exp_f32_e32 v50, v50
	v_mul_f32_e32 v51, 0x3fb8aa3b, v51
	v_sub_f32_e32 v48, v48, v56
	v_add_f32_e32 v58, 0, v46
	v_cndmask_b32_e64 v47, 0, v47, s[34:35]
	v_exp_f32_e32 v51, v51
	v_mul_f32_e32 v48, 0x3fb8aa3b, v48
	v_sub_f32_e32 v49, v49, v56
	v_add_f32_e32 v58, v58, v47
	;; [unrolled: 5-line block ×10, first 2 shown]
	v_cndmask_b32_e64 v38, 0, v38, s[12:13]
	v_exp_f32_e32 v34, v34
	v_mul_f32_e32 v35, 0x3fb8aa3b, v35
	v_add_f32_e32 v58, v58, v38
	v_cndmask_b32_e64 v39, 0, v39, s[14:15]
	v_exp_f32_e32 v35, v35
	v_add_f32_e32 v58, v58, v39
	v_cndmask_b32_e64 v36, 0, v36, s[8:9]
	v_add_f32_e32 v58, v58, v36
	v_cndmask_b32_e64 v37, 0, v37, s[10:11]
	v_add_f32_e32 v58, v58, v37
	v_cndmask_b32_e32 v34, 0, v34, vcc
	v_add_f32_e32 v58, v58, v34
	v_cndmask_b32_e64 v35, 0, v35, s[6:7]
	v_add_f32_e32 v58, v58, v35
	ds_bpermute_b32 v57, v57, v58
	s_load_dword s7, s[0:1], 0x98
	v_cmp_gt_u32_e32 vcc, 16, v55
	s_waitcnt lgkmcnt(0)
	s_barrier
	v_add_f32_e32 v58, v58, v57
	ds_bpermute_b32 v59, v59, v58
	v_lshlrev_b32_e32 v57, 2, v44
	s_waitcnt lgkmcnt(0)
	s_and_saveexec_b64 s[4:5], vcc
	s_cbranch_execz .LBB389_15
; %bb.14:
	v_add_f32_e32 v55, v58, v59
	v_lshl_or_b32 v58, v45, 6, v57
	ds_write2st64_b32 v58, v56, v55 offset1:1
.LBB389_15:
	s_or_b64 exec, exec, s[4:5]
	s_load_dword s6, s[0:1], 0x94
	s_waitcnt lgkmcnt(0)
	s_barrier
	ds_read2_b32 v[58:59], v57 offset1:16
	ds_read2_b32 v[60:61], v57 offset0:32 offset1:48
	ds_read2_b32 v[62:63], v57 offset0:64 offset1:80
	s_movk_i32 s8, 0x7fff
	s_mov_b32 s9, 0x7060302
	s_waitcnt lgkmcnt(2)
	v_max3_f32 v55, v58, s33, v59
	s_waitcnt lgkmcnt(1)
	v_max3_f32 v55, v55, v60, v61
	v_sub_f32_e32 v56, v58, v55
	v_mul_f32_e32 v56, 0x3fb8aa3b, v56
	v_exp_f32_e32 v64, v56
	v_sub_f32_e32 v56, v59, v55
	v_mul_f32_e32 v56, 0x3fb8aa3b, v56
	v_exp_f32_e32 v65, v56
	;; [unrolled: 3-line block ×3, first 2 shown]
	ds_read2_b32 v[58:59], v57 offset0:96 offset1:112
	v_sub_f32_e32 v56, v61, v55
	v_mul_f32_e32 v56, 0x3fb8aa3b, v56
	v_exp_f32_e32 v57, v56
	s_waitcnt lgkmcnt(1)
	v_fma_f32 v56, v64, v62, 0
	v_fmac_f32_e32 v56, v65, v63
	s_waitcnt lgkmcnt(0)
	v_fmac_f32_e32 v56, v60, v58
	v_fmac_f32_e32 v56, v57, v59
	v_add_f32_e32 v58, 0x358637bd, v56
	v_div_scale_f32 v59, s[4:5], v58, v58, 1.0
	v_rcp_f32_e32 v61, v59
	s_mul_i32 s7, s7, 6
	s_barrier
	v_fma_f32 v62, -v59, v61, 1.0
	v_fmac_f32_e32 v61, v62, v61
	v_div_scale_f32 v62, vcc, 1.0, v58, 1.0
	v_mul_f32_e32 v63, v62, v61
	v_fma_f32 v66, -v59, v63, v62
	v_fmac_f32_e32 v63, v66, v61
	v_fma_f32 v59, -v59, v63, v62
	v_div_fmas_f32 v59, v59, v61, v63
	v_cmp_eq_u32_e32 vcc, 1, v45
	v_div_fixup_f32 v58, v59, v58, 1.0
	s_nop 0
	v_cndmask_b32_e32 v59, v64, v65, vcc
	v_cmp_eq_u32_e32 vcc, 2, v45
	s_nop 1
	v_cndmask_b32_e32 v59, v59, v60, vcc
	v_cmp_eq_u32_e32 vcc, 3, v45
	v_lshlrev_b32_e32 v45, 11, v45
	s_nop 0
	v_cndmask_b32_e32 v57, v59, v57, vcc
	v_mul_f32_e32 v58, v57, v58
	v_pk_mul_f32 v[46:47], v[58:59], v[46:47] op_sel_hi:[0,1]
	v_pk_mul_f32 v[52:53], v[58:59], v[52:53] op_sel_hi:[0,1]
	v_bfe_u32 v57, v47, 16, 1
	v_bfe_u32 v59, v46, 16, 1
	v_add3_u32 v46, v46, v59, s8
	v_add3_u32 v47, v47, v57, s8
	v_perm_b32 v60, v47, v46, s9
	v_bfe_u32 v46, v53, 16, 1
	v_bfe_u32 v47, v52, 16, 1
	v_add3_u32 v47, v52, v47, s8
	v_add3_u32 v46, v53, v46, s8
	v_perm_b32 v61, v46, v47, s9
	v_lshlrev_b32_e32 v46, 3, v54
	v_pk_mul_f32 v[50:51], v[58:59], v[50:51] op_sel_hi:[0,1]
	v_or3_b32 v46, v45, v43, v46
	v_bfe_u32 v45, v51, 16, 1
	v_bfe_u32 v47, v50, 16, 1
	v_pk_mul_f32 v[48:49], v[58:59], v[48:49] op_sel_hi:[0,1]
	v_add3_u32 v47, v50, v47, s8
	v_add3_u32 v45, v51, v45, s8
	v_perm_b32 v50, v45, v47, s9
	v_bfe_u32 v45, v49, 16, 1
	v_bfe_u32 v47, v48, 16, 1
	v_add3_u32 v47, v48, v47, s8
	v_add3_u32 v45, v49, v45, s8
	v_pk_mul_f32 v[40:41], v[58:59], v[40:41] op_sel_hi:[0,1]
	v_perm_b32 v51, v45, v47, s9
	v_bfe_u32 v45, v41, 16, 1
	v_bfe_u32 v47, v40, 16, 1
	v_pk_mul_f32 v[38:39], v[58:59], v[38:39] op_sel_hi:[0,1]
	v_add3_u32 v40, v40, v47, s8
	v_add3_u32 v41, v41, v45, s8
	v_perm_b32 v40, v41, v40, s9
	v_bfe_u32 v41, v39, 16, 1
	v_bfe_u32 v45, v38, 16, 1
	v_add3_u32 v38, v38, v45, s8
	v_add3_u32 v39, v39, v41, s8
	v_pk_mul_f32 v[36:37], v[58:59], v[36:37] op_sel_hi:[0,1]
	v_perm_b32 v41, v39, v38, s9
	v_bfe_u32 v38, v37, 16, 1
	v_bfe_u32 v39, v36, 16, 1
	v_pk_mul_f32 v[34:35], v[58:59], v[34:35] op_sel_hi:[0,1]
	v_add3_u32 v36, v36, v39, s8
	v_add3_u32 v37, v37, v38, s8
	v_perm_b32 v36, v37, v36, s9
	v_bfe_u32 v37, v35, 16, 1
	v_bfe_u32 v38, v34, 16, 1
	v_add3_u32 v34, v34, v38, s8
	v_add3_u32 v35, v35, v37, s8
	v_perm_b32 v37, v35, v34, s9
	v_cmp_gt_u32_e32 vcc, 6, v0
	ds_write2st64_b64 v46, v[60:61], v[50:51] offset1:1
	ds_write2st64_b64 v46, v[40:41], v[36:37] offset0:2 offset1:3
	s_and_saveexec_b64 s[4:5], vcc
	s_cbranch_execz .LBB389_17
; %bb.16:
	s_mov_b32 s43, 0
	v_mov_b32_e32 v45, 0
	v_lshl_add_u64 v[34:35], s[42:43], 0, v[44:45]
	v_mov_b32_e32 v36, s7
	v_mad_u64_u32 v[34:35], s[10:11], s2, v36, v[34:35]
	s_mul_i32 s3, s3, s7
	v_mov_b32_e32 v44, s28
	s_load_dwordx4 s[12:15], s[0:1], 0x58
	v_add_u32_e32 v37, s3, v35
	v_mad_u64_u32 v[34:35], s[10:11], v34, s6, v[44:45]
	v_mov_b32_e32 v36, v35
	v_mad_u64_u32 v[36:37], s[10:11], v37, s6, v[36:37]
	v_mov_b32_e32 v35, v36
	v_lshlrev_b64 v[34:35], 2, v[34:35]
	s_waitcnt lgkmcnt(0)
	v_lshl_add_u64 v[36:37], s[14:15], 0, v[34:35]
	v_lshl_add_u64 v[34:35], s[12:13], 0, v[34:35]
	global_store_dword v[36:37], v55, off
	global_store_dword v[34:35], v56, off
.LBB389_17:
	s_or_b64 exec, exec, s[4:5]
	v_lshl_or_b32 v43, v54, 9, v43
	s_waitcnt lgkmcnt(0)
	s_barrier
	ds_read_b128 v[34:37], v43
	ds_read_b128 v[38:41], v43 offset:16
	s_waitcnt vmcnt(7) lgkmcnt(1)
	v_mfma_f32_16x16x16_bf16 v[48:51], v[6:7], v[34:35], 0
	v_cmp_gt_u32_e32 vcc, 64, v0
	s_mov_b32 s3, 0
	s_and_b64 s[4:5], vcc, s[30:31]
	v_mfma_f32_16x16x16_bf16 v[6:9], v[8:9], v[36:37], v[48:51]
	s_waitcnt vmcnt(6) lgkmcnt(0)
	v_mfma_f32_16x16x16_bf16 v[6:9], v[2:3], v[38:39], v[6:9]
	v_mfma_f32_16x16x16_bf16 v[2:5], v[4:5], v[40:41], v[6:9]
	s_nop 5
	ds_read_b128 v[6:9], v43 offset:2048
	ds_read_b128 v[34:37], v43 offset:2064
	s_waitcnt vmcnt(5) lgkmcnt(1)
	v_mfma_f32_16x16x16_bf16 v[2:5], v[30:31], v[6:7], v[2:5]
	v_mfma_f32_16x16x16_bf16 v[2:5], v[32:33], v[8:9], v[2:5]
	s_waitcnt vmcnt(4) lgkmcnt(0)
	v_mfma_f32_16x16x16_bf16 v[2:5], v[26:27], v[34:35], v[2:5]
	v_mfma_f32_16x16x16_bf16 v[2:5], v[28:29], v[36:37], v[2:5]
	ds_read_b128 v[6:9], v43 offset:4096
	ds_read_b128 v[26:29], v43 offset:4112
	s_waitcnt vmcnt(3) lgkmcnt(1)
	v_mfma_f32_16x16x16_bf16 v[2:5], v[22:23], v[6:7], v[2:5]
	v_mfma_f32_16x16x16_bf16 v[2:5], v[24:25], v[8:9], v[2:5]
	s_waitcnt vmcnt(2) lgkmcnt(0)
	v_mfma_f32_16x16x16_bf16 v[2:5], v[18:19], v[26:27], v[2:5]
	v_mfma_f32_16x16x16_bf16 v[2:5], v[20:21], v[28:29], v[2:5]
	ds_read_b128 v[6:9], v43 offset:6144
	ds_read_b128 v[18:21], v43 offset:6160
	v_mov_b32_e32 v43, 0
	s_waitcnt vmcnt(1) lgkmcnt(0)
	v_mfma_f32_16x16x16_bf16 v[2:5], v[14:15], v[6:7], v[2:5]
	s_barrier
	v_mfma_f32_16x16x16_bf16 v[2:5], v[16:17], v[8:9], v[2:5]
	s_waitcnt vmcnt(0)
	v_mfma_f32_16x16x16_bf16 v[2:5], v[10:11], v[18:19], v[2:5]
	v_mfma_f32_16x16x16_bf16 v[2:5], v[12:13], v[20:21], v[2:5]
	s_nop 6
	v_bfe_u32 v6, v3, 16, 1
	v_bfe_u32 v7, v2, 16, 1
	;; [unrolled: 1-line block ×4, first 2 shown]
	v_add3_u32 v2, v2, v7, s8
	v_add3_u32 v3, v3, v6, s8
	;; [unrolled: 1-line block ×4, first 2 shown]
	v_perm_b32 v2, v3, v2, s9
	v_perm_b32 v3, v5, v4, s9
	ds_write_b64 v46, v[2:3]
	s_waitcnt lgkmcnt(0)
	s_barrier
	s_and_saveexec_b64 s[8:9], s[4:5]
	s_cbranch_execz .LBB389_20
; %bb.18:
	s_load_dwordx2 s[4:5], s[0:1], 0x68
	s_lshl_b32 s0, s6, 6
	s_mul_i32 s1, s7, s2
	s_mul_hi_u32 s7, s1, s0
	s_mul_i32 s6, s1, s0
	v_lshlrev_b32_e32 v0, 10, v0
	s_lshl_b64 s[6:7], s[6:7], 1
	v_and_b32_e32 v0, 0x1800, v0
	v_lshlrev_b32_e32 v3, 5, v54
	v_and_b32_e32 v1, 16, v1
	s_waitcnt lgkmcnt(0)
	s_add_u32 s1, s4, s6
	v_or3_b32 v3, v0, v3, v1
	s_addc_u32 s4, s5, s7
	s_lshl_b32 s2, s28, 6
	s_lshl_b64 s[2:3], s[2:3], 1
	ds_read_b128 v[4:7], v3
	s_add_u32 s2, s1, s2
	s_addc_u32 s3, s4, s3
	v_add_u32_e32 v8, s42, v54
	v_or_b32_e32 v2, 4, v54
	v_lshl_add_u64 v[0:1], s[2:3], 0, v[42:43]
	v_mad_u64_u32 v[8:9], s[2:3], v8, s0, 0
	v_lshl_add_u64 v[8:9], v[8:9], 1, v[0:1]
	v_cmp_gt_u32_e32 vcc, 6, v2
	s_waitcnt lgkmcnt(0)
	global_store_dwordx4 v[8:9], v[4:7], off
	s_and_b64 exec, exec, vcc
	s_cbranch_execz .LBB389_20
; %bb.19:
	ds_read_b128 v[4:7], v3 offset:128
	v_add_u32_e32 v2, s42, v2
	v_mad_u64_u32 v[2:3], s[0:1], v2, s0, 0
	v_lshl_add_u64 v[0:1], v[2:3], 1, v[0:1]
	s_waitcnt lgkmcnt(0)
	global_store_dwordx4 v[0:1], v[4:7], off
.LBB389_20:
	s_endpgm
	.section	.rodata,"a",@progbits
	.p2align	6, 0x0
	.amdhsa_kernel _Z39paged_attention_ll4mi_QKV_mfma16_kernelI14__hip_bfloat16S0_LN4vllm18Fp8KVCacheDataTypeE0EhLi16ELi64ELi256ELb1ELi6EEvPKT_PKT0_S8_ifPKiSA_SA_iPKfiiiPfSD_PS3_PT2_iSC_SC_
		.amdhsa_group_segment_fixed_size 8192
		.amdhsa_private_segment_fixed_size 0
		.amdhsa_kernarg_size 400
		.amdhsa_user_sgpr_count 2
		.amdhsa_user_sgpr_dispatch_ptr 0
		.amdhsa_user_sgpr_queue_ptr 0
		.amdhsa_user_sgpr_kernarg_segment_ptr 1
		.amdhsa_user_sgpr_dispatch_id 0
		.amdhsa_user_sgpr_kernarg_preload_length 0
		.amdhsa_user_sgpr_kernarg_preload_offset 0
		.amdhsa_user_sgpr_private_segment_size 0
		.amdhsa_uses_dynamic_stack 0
		.amdhsa_enable_private_segment 0
		.amdhsa_system_sgpr_workgroup_id_x 1
		.amdhsa_system_sgpr_workgroup_id_y 1
		.amdhsa_system_sgpr_workgroup_id_z 1
		.amdhsa_system_sgpr_workgroup_info 0
		.amdhsa_system_vgpr_workitem_id 0
		.amdhsa_next_free_vgpr 72
		.amdhsa_next_free_sgpr 48
		.amdhsa_accum_offset 72
		.amdhsa_reserve_vcc 1
		.amdhsa_float_round_mode_32 0
		.amdhsa_float_round_mode_16_64 0
		.amdhsa_float_denorm_mode_32 3
		.amdhsa_float_denorm_mode_16_64 3
		.amdhsa_dx10_clamp 1
		.amdhsa_ieee_mode 1
		.amdhsa_fp16_overflow 0
		.amdhsa_tg_split 0
		.amdhsa_exception_fp_ieee_invalid_op 0
		.amdhsa_exception_fp_denorm_src 0
		.amdhsa_exception_fp_ieee_div_zero 0
		.amdhsa_exception_fp_ieee_overflow 0
		.amdhsa_exception_fp_ieee_underflow 0
		.amdhsa_exception_fp_ieee_inexact 0
		.amdhsa_exception_int_div_zero 0
	.end_amdhsa_kernel
	.section	.text._Z39paged_attention_ll4mi_QKV_mfma16_kernelI14__hip_bfloat16S0_LN4vllm18Fp8KVCacheDataTypeE0EhLi16ELi64ELi256ELb1ELi6EEvPKT_PKT0_S8_ifPKiSA_SA_iPKfiiiPfSD_PS3_PT2_iSC_SC_,"axG",@progbits,_Z39paged_attention_ll4mi_QKV_mfma16_kernelI14__hip_bfloat16S0_LN4vllm18Fp8KVCacheDataTypeE0EhLi16ELi64ELi256ELb1ELi6EEvPKT_PKT0_S8_ifPKiSA_SA_iPKfiiiPfSD_PS3_PT2_iSC_SC_,comdat
.Lfunc_end389:
	.size	_Z39paged_attention_ll4mi_QKV_mfma16_kernelI14__hip_bfloat16S0_LN4vllm18Fp8KVCacheDataTypeE0EhLi16ELi64ELi256ELb1ELi6EEvPKT_PKT0_S8_ifPKiSA_SA_iPKfiiiPfSD_PS3_PT2_iSC_SC_, .Lfunc_end389-_Z39paged_attention_ll4mi_QKV_mfma16_kernelI14__hip_bfloat16S0_LN4vllm18Fp8KVCacheDataTypeE0EhLi16ELi64ELi256ELb1ELi6EEvPKT_PKT0_S8_ifPKiSA_SA_iPKfiiiPfSD_PS3_PT2_iSC_SC_
                                        ; -- End function
	.section	.AMDGPU.csdata,"",@progbits
; Kernel info:
; codeLenInByte = 4316
; NumSgprs: 54
; NumVgprs: 72
; NumAgprs: 0
; TotalNumVgprs: 72
; ScratchSize: 0
; MemoryBound: 0
; FloatMode: 240
; IeeeMode: 1
; LDSByteSize: 8192 bytes/workgroup (compile time only)
; SGPRBlocks: 6
; VGPRBlocks: 8
; NumSGPRsForWavesPerEU: 54
; NumVGPRsForWavesPerEU: 72
; AccumOffset: 72
; Occupancy: 7
; WaveLimiterHint : 1
; COMPUTE_PGM_RSRC2:SCRATCH_EN: 0
; COMPUTE_PGM_RSRC2:USER_SGPR: 2
; COMPUTE_PGM_RSRC2:TRAP_HANDLER: 0
; COMPUTE_PGM_RSRC2:TGID_X_EN: 1
; COMPUTE_PGM_RSRC2:TGID_Y_EN: 1
; COMPUTE_PGM_RSRC2:TGID_Z_EN: 1
; COMPUTE_PGM_RSRC2:TIDIG_COMP_CNT: 0
; COMPUTE_PGM_RSRC3_GFX90A:ACCUM_OFFSET: 17
; COMPUTE_PGM_RSRC3_GFX90A:TG_SPLIT: 0
	.section	.text._Z39paged_attention_ll4mi_QKV_mfma16_kernelI14__hip_bfloat16S0_LN4vllm18Fp8KVCacheDataTypeE0EhLi16ELi64ELi256ELb1ELi7EEvPKT_PKT0_S8_ifPKiSA_SA_iPKfiiiPfSD_PS3_PT2_iSC_SC_,"axG",@progbits,_Z39paged_attention_ll4mi_QKV_mfma16_kernelI14__hip_bfloat16S0_LN4vllm18Fp8KVCacheDataTypeE0EhLi16ELi64ELi256ELb1ELi7EEvPKT_PKT0_S8_ifPKiSA_SA_iPKfiiiPfSD_PS3_PT2_iSC_SC_,comdat
	.protected	_Z39paged_attention_ll4mi_QKV_mfma16_kernelI14__hip_bfloat16S0_LN4vllm18Fp8KVCacheDataTypeE0EhLi16ELi64ELi256ELb1ELi7EEvPKT_PKT0_S8_ifPKiSA_SA_iPKfiiiPfSD_PS3_PT2_iSC_SC_ ; -- Begin function _Z39paged_attention_ll4mi_QKV_mfma16_kernelI14__hip_bfloat16S0_LN4vllm18Fp8KVCacheDataTypeE0EhLi16ELi64ELi256ELb1ELi7EEvPKT_PKT0_S8_ifPKiSA_SA_iPKfiiiPfSD_PS3_PT2_iSC_SC_
	.globl	_Z39paged_attention_ll4mi_QKV_mfma16_kernelI14__hip_bfloat16S0_LN4vllm18Fp8KVCacheDataTypeE0EhLi16ELi64ELi256ELb1ELi7EEvPKT_PKT0_S8_ifPKiSA_SA_iPKfiiiPfSD_PS3_PT2_iSC_SC_
	.p2align	8
	.type	_Z39paged_attention_ll4mi_QKV_mfma16_kernelI14__hip_bfloat16S0_LN4vllm18Fp8KVCacheDataTypeE0EhLi16ELi64ELi256ELb1ELi7EEvPKT_PKT0_S8_ifPKiSA_SA_iPKfiiiPfSD_PS3_PT2_iSC_SC_,@function
_Z39paged_attention_ll4mi_QKV_mfma16_kernelI14__hip_bfloat16S0_LN4vllm18Fp8KVCacheDataTypeE0EhLi16ELi64ELi256ELb1ELi7EEvPKT_PKT0_S8_ifPKiSA_SA_iPKfiiiPfSD_PS3_PT2_iSC_SC_: ; @_Z39paged_attention_ll4mi_QKV_mfma16_kernelI14__hip_bfloat16S0_LN4vllm18Fp8KVCacheDataTypeE0EhLi16ELi64ELi256ELb1ELi7EEvPKT_PKT0_S8_ifPKiSA_SA_iPKfiiiPfSD_PS3_PT2_iSC_SC_
; %bb.0:
	s_load_dwordx2 s[8:9], s[0:1], 0x30
	s_mov_b32 s28, s3
	s_mov_b64 s[6:7], 0
	s_waitcnt lgkmcnt(0)
	s_cmp_lg_u64 s[8:9], 0
	s_cselect_b64 s[10:11], -1, 0
	s_and_b64 vcc, exec, s[10:11]
	s_cbranch_vccz .LBB390_7
; %bb.1:
	s_add_i32 s12, s2, 1
	s_mov_b32 s13, 0
	s_lshl_b64 s[14:15], s[12:13], 2
	s_add_u32 s14, s8, s14
	s_mov_b32 s3, s13
	s_addc_u32 s15, s9, s15
	s_lshl_b64 s[12:13], s[2:3], 2
	s_add_u32 s12, s8, s12
	s_addc_u32 s13, s9, s13
	s_load_dword s5, s[14:15], 0x0
	s_load_dword s16, s[12:13], 0x0
	s_waitcnt lgkmcnt(0)
	s_sub_i32 s5, s5, s16
	s_cmp_eq_u32 s5, 1
	s_cselect_b64 s[12:13], -1, 0
	s_andn2_b64 vcc, exec, s[6:7]
	s_cbranch_vccnz .LBB390_3
.LBB390_2:
	s_mov_b32 s3, 0
	s_mov_b64 s[12:13], -1
.LBB390_3:
	s_andn2_b64 vcc, exec, s[12:13]
	s_cbranch_vccnz .LBB390_20
; %bb.4:
	s_load_dwordx2 s[6:7], s[0:1], 0x28
	s_lshl_b64 s[14:15], s[2:3], 2
	s_waitcnt lgkmcnt(0)
	s_add_u32 s6, s6, s14
	s_addc_u32 s7, s7, s15
	s_load_dword s29, s[6:7], 0x0
	s_lshl_b32 s16, s28, 8
	s_waitcnt lgkmcnt(0)
	s_cmp_ge_i32 s16, s29
	s_cbranch_scc1 .LBB390_20
; %bb.5:
	s_load_dwordx2 s[6:7], s[0:1], 0x20
	s_load_dword s5, s[0:1], 0x38
	s_add_i32 s12, s29, 15
	s_ashr_i32 s13, s12, 31
	v_and_b32_e32 v1, 0xcf, v0
	s_lshr_b32 s13, s13, 28
	v_add_u32_e32 v1, s16, v1
	s_add_i32 s12, s12, s13
	v_ashrrev_i32_e32 v2, 31, v1
	s_ashr_i32 s17, s12, 4
	v_lshrrev_b32_e32 v6, 28, v2
	s_add_i32 s17, s17, -1
	s_waitcnt lgkmcnt(0)
	s_mul_i32 s12, s2, s5
	s_mov_b32 s13, 0
	v_add_u32_e32 v2, v1, v6
	s_lshl_b64 s[12:13], s[12:13], 2
	v_ashrrev_i32_e32 v2, 4, v2
	v_mov_b32_e32 v7, s17
	v_cmp_gt_i32_e32 vcc, s29, v1
	s_add_u32 s6, s6, s12
	s_addc_u32 s7, s7, s13
	v_cndmask_b32_e32 v2, v7, v2, vcc
	v_ashrrev_i32_e32 v3, 31, v2
	v_lshl_add_u64 v[4:5], v[2:3], 2, s[6:7]
	v_or_b32_e32 v2, 16, v1
	v_add_u32_e32 v3, v2, v6
	v_ashrrev_i32_e32 v3, 4, v3
	v_cmp_gt_i32_e32 vcc, s29, v2
	s_load_dwordx2 s[12:13], s[0:1], 0x8
	s_nop 0
	v_cndmask_b32_e32 v2, v7, v3, vcc
	v_ashrrev_i32_e32 v3, 31, v2
	v_lshl_add_u64 v[8:9], v[2:3], 2, s[6:7]
	v_or_b32_e32 v2, 32, v1
	v_add_u32_e32 v3, v2, v6
	v_ashrrev_i32_e32 v3, 4, v3
	v_cmp_gt_i32_e32 vcc, s29, v2
	v_or_b32_e32 v1, 48, v1
	s_nop 0
	v_cndmask_b32_e32 v2, v7, v3, vcc
	v_ashrrev_i32_e32 v3, 31, v2
	v_lshl_add_u64 v[10:11], v[2:3], 2, s[6:7]
	v_add_u32_e32 v2, v1, v6
	v_ashrrev_i32_e32 v2, 4, v2
	v_cmp_gt_i32_e32 vcc, s29, v1
	s_nop 1
	v_cndmask_b32_e32 v2, v7, v2, vcc
	v_ashrrev_i32_e32 v3, 31, v2
	v_lshl_add_u64 v[12:13], v[2:3], 2, s[6:7]
	global_load_dword v3, v[4:5], off
	global_load_dword v2, v[8:9], off
	;; [unrolled: 1-line block ×4, first 2 shown]
	s_andn2_b64 vcc, exec, s[10:11]
	s_cbranch_vccnz .LBB390_8
; %bb.6:
	s_add_u32 s8, s8, s14
	s_addc_u32 s9, s9, s15
	s_load_dword s5, s[8:9], 0x0
	s_branch .LBB390_9
.LBB390_7:
	s_mov_b64 s[12:13], 0
	s_branch .LBB390_2
.LBB390_8:
	s_mov_b32 s5, s2
.LBB390_9:
	s_load_dwordx2 s[8:9], s[0:1], 0x10
	s_load_dwordx4 s[44:47], s[0:1], 0x48
	v_lshrrev_b32_e32 v45, 6, v0
	v_bfe_u32 v54, v0, 4, 2
	v_lshl_or_b32 v1, v45, 2, v54
	v_and_b32_e32 v44, 15, v0
	v_lshlrev_b32_e32 v4, 3, v44
	v_cmp_gt_u32_e32 vcc, 7, v1
	v_cmp_gt_u32_e64 s[30:31], 8, v44
	s_mul_i32 s42, s4, 7
	s_and_b64 s[14:15], s[30:31], vcc
	v_lshlrev_b32_e32 v42, 1, v4
	s_and_saveexec_b64 s[10:11], s[14:15]
	s_cbranch_execz .LBB390_11
; %bb.10:
	s_load_dwordx2 s[14:15], s[0:1], 0x0
	s_waitcnt lgkmcnt(0)
	s_ashr_i32 s18, s44, 31
	s_mul_hi_u32 s19, s5, s44
	s_mul_i32 s18, s5, s18
	s_add_i32 s19, s19, s18
	s_mul_i32 s18, s5, s44
	s_lshl_b64 s[18:19], s[18:19], 1
	s_add_u32 s14, s14, s18
	v_add_lshl_u32 v4, v1, s42, 6
	s_addc_u32 s15, s15, s19
	v_ashrrev_i32_e32 v5, 31, v4
	v_lshl_add_u64 v[4:5], v[4:5], 1, s[14:15]
	v_mov_b32_e32 v43, 0
	v_lshl_add_u64 v[4:5], v[4:5], 0, v[42:43]
	global_load_dwordx4 v[8:11], v[4:5], off
	v_and_b32_e32 v4, 3, v0
	v_lshlrev_b32_e32 v5, 9, v44
	v_lshlrev_b32_e32 v1, 5, v1
	;; [unrolled: 1-line block ×3, first 2 shown]
	v_and_b32_e32 v5, 0x1800, v5
	v_or3_b32 v1, v5, v4, v1
	s_waitcnt vmcnt(0)
	ds_write_b128 v1, v[8:11]
.LBB390_11:
	s_or_b64 exec, exec, s[10:11]
	s_waitcnt lgkmcnt(0)
	s_mul_i32 s4, s4, s46
	s_mov_b32 s5, 0
	s_lshl_b64 s[4:5], s[4:5], 1
	s_add_u32 s10, s12, s4
	v_lshlrev_b32_e32 v1, 4, v0
	s_addc_u32 s11, s13, s5
	v_and_b32_e32 v46, 0xf0, v1
	v_mov_b32_e32 v47, 0
	v_lshl_add_u64 v[16:17], s[10:11], 0, v[46:47]
	s_waitcnt vmcnt(3)
	v_mad_i64_i32 v[4:5], s[10:11], v3, s45, 0
	s_waitcnt vmcnt(2)
	v_mad_i64_i32 v[2:3], s[10:11], v2, s45, 0
	;; [unrolled: 2-line block ×3, first 2 shown]
	v_lshl_add_u64 v[4:5], v[4:5], 1, v[16:17]
	v_and_b32_e32 v46, 0x300, v1
	v_lshl_add_u64 v[2:3], v[2:3], 1, v[16:17]
	v_lshl_add_u64 v[6:7], v[6:7], 1, v[16:17]
	s_waitcnt vmcnt(0)
	v_mad_i64_i32 v[14:15], s[10:11], v14, s45, 0
	v_lshl_add_u64 v[4:5], v[4:5], 0, v[46:47]
	v_lshl_add_u64 v[8:9], v[2:3], 0, v[46:47]
	v_lshl_add_u64 v[18:19], v[6:7], 0, v[46:47]
	v_lshl_add_u64 v[14:15], v[14:15], 1, v[16:17]
	s_barrier
	global_load_dwordx4 v[30:33], v[4:5], off
	global_load_dwordx4 v[10:13], v[4:5], off offset:1024
	global_load_dwordx4 v[22:25], v[8:9], off
	s_nop 0
	global_load_dwordx4 v[2:5], v[8:9], off offset:1024
	global_load_dwordx4 v[26:29], v[18:19], off
	s_nop 0
	global_load_dwordx4 v[6:9], v[18:19], off offset:1024
	v_lshl_add_u64 v[18:19], v[14:15], 0, v[46:47]
	global_load_dwordx4 v[34:37], v[18:19], off
	global_load_dwordx4 v[14:17], v[18:19], off offset:1024
	v_mul_lo_u16_e32 v18, 37, v44
	v_mov_b32_e32 v19, 7
	v_mul_lo_u16_sdwa v18, v18, v19 dst_sel:DWORD dst_unused:UNUSED_PAD src0_sel:BYTE_1 src1_sel:DWORD
	v_sub_u16_e32 v18, v44, v18
	v_mov_b32_e32 v19, 5
	v_lshlrev_b32_sdwa v18, v19, v18 dst_sel:DWORD dst_unused:UNUSED_PAD src0_sel:DWORD src1_sel:BYTE_0
	v_lshl_add_u32 v18, v54, 9, v18
	ds_read_b128 v[38:41], v18
	ds_read_b128 v[18:21], v18 offset:2048
	v_and_b32_e32 v55, 63, v0
	v_cmp_gt_u32_e32 vcc, 7, v44
	v_mov_b32_e32 v56, 0
	s_and_saveexec_b64 s[10:11], vcc
	s_cbranch_execz .LBB390_13
; %bb.12:
	s_load_dwordx2 s[12:13], s[0:1], 0x40
	v_add_u32_e32 v48, s42, v44
	v_ashrrev_i32_e32 v49, 31, v48
	s_waitcnt lgkmcnt(0)
	v_lshl_add_u64 v[48:49], v[48:49], 2, s[12:13]
	global_load_dword v56, v[48:49], off
.LBB390_13:
	s_or_b64 exec, exec, s[10:11]
	v_and_or_b32 v46, v0, 48, s16
	v_ashrrev_i32_e32 v43, 4, v46
	v_mov_b32_e32 v57, s17
	v_cmp_gt_i32_e32 vcc, s29, v46
	s_waitcnt vmcnt(5) lgkmcnt(1)
	v_mfma_f32_16x16x16_bf16 v[58:61], v[22:23], v[38:39], 0
	s_load_dword s10, s[0:1], 0x1c
	v_cndmask_b32_e32 v48, v57, v43, vcc
	v_ashrrev_i32_e32 v49, 31, v48
	v_or_b32_e32 v43, 64, v46
	v_lshl_add_u64 v[52:53], v[48:49], 2, s[6:7]
	v_mfma_f32_16x16x16_bf16 v[48:51], v[30:31], v[38:39], 0
	v_ashrrev_i32_e32 v30, 4, v43
	v_cmp_gt_i32_e32 vcc, s29, v43
	global_load_dword v70, v[52:53], off
	s_waitcnt vmcnt(4)
	v_mfma_f32_16x16x16_bf16 v[62:65], v[26:27], v[38:39], 0
	v_cndmask_b32_e32 v30, v57, v30, vcc
	v_ashrrev_i32_e32 v31, 31, v30
	v_lshl_add_u64 v[22:23], v[30:31], 2, s[6:7]
	global_load_dword v71, v[22:23], off
	v_mfma_f32_16x16x16_bf16 v[22:25], v[24:25], v[40:41], v[58:61]
	v_and_b32_e32 v26, 0xc0, v0
	s_add_u32 s4, s8, s4
	v_lshlrev_b32_e32 v43, 5, v44
	v_mfma_f32_16x16x16_bf16 v[30:33], v[32:33], v[40:41], v[48:51]
	s_addc_u32 s5, s9, s5
	s_mov_b32 s33, 0xff7fffff
	s_waitcnt vmcnt(3)
	v_mfma_f32_16x16x16_bf16 v[66:69], v[34:35], v[38:39], 0
	v_or_b32_e32 v38, 0x80, v46
	v_add_u32_e32 v48, s16, v26
	v_or_b32_e32 v39, 0xc0, v46
	v_mfma_f32_16x16x16_bf16 v[26:29], v[28:29], v[40:41], v[62:65]
	v_ashrrev_i32_e32 v49, 4, v38
	v_cmp_gt_i32_e32 vcc, s29, v38
	v_ashrrev_i32_e32 v50, 4, v39
	s_waitcnt lgkmcnt(0)
	v_mfma_f32_16x16x16_bf16 v[22:25], v[2:3], v[18:19], v[22:25]
	v_cndmask_b32_e32 v38, v57, v49, vcc
	v_cmp_gt_i32_e32 vcc, s29, v39
	v_ashrrev_i32_e32 v39, 31, v38
	v_mfma_f32_16x16x16_bf16 v[30:33], v[10:11], v[18:19], v[30:33]
	v_cndmask_b32_e32 v10, v57, v50, vcc
	v_ashrrev_i32_e32 v11, 31, v10
	v_lshl_or_b32 v58, v54, 2, v48
	v_mfma_f32_16x16x16_bf16 v[26:29], v[6:7], v[18:19], v[26:29]
	v_lshl_add_u64 v[6:7], v[38:39], 2, s[6:7]
	v_lshl_add_u64 v[38:39], v[10:11], 2, s[6:7]
	v_or_b32_e32 v57, 1, v58
	v_mfma_f32_16x16x16_bf16 v[2:5], v[4:5], v[20:21], v[22:25]
	s_nop 2
	global_load_dword v22, v[6:7], off
	global_load_dword v61, v[38:39], off
	v_subrev_u32_e32 v59, s29, v57
	v_cvt_f32_i32_e32 v60, v59
	v_mfma_f32_16x16x16_bf16 v[34:37], v[36:37], v[40:41], v[66:69]
	v_pk_mul_f32 v[48:49], s[10:11], v[4:5] op_sel_hi:[0,1]
	v_lshl_or_b32 v46, v45, 9, v43
	v_lshl_add_u64 v[46:47], s[4:5], 0, v[46:47]
	s_waitcnt vmcnt(4)
	v_mfma_f32_16x16x16_bf16 v[34:37], v[14:15], v[18:19], v[34:37]
	v_add_u32_e32 v14, 1, v59
	v_add_u32_e32 v15, 2, v59
	v_cvt_f32_i32_e32 v23, v14
	v_cvt_f32_i32_e32 v24, v15
	v_mfma_f32_16x16x16_bf16 v[14:17], v[16:17], v[20:21], v[34:37]
	v_add_u32_e32 v18, 3, v59
	v_cvt_f32_i32_e32 v18, v18
	v_pk_mul_f32 v[50:51], s[10:11], v[2:3] op_sel_hi:[0,1]
	v_mfma_f32_16x16x16_bf16 v[10:13], v[12:13], v[20:21], v[30:33]
	v_cmp_gt_i32_e64 s[34:35], s29, v57
	s_nop 1
	v_pk_mul_f32 v[36:37], s[10:11], v[14:15] op_sel_hi:[0,1]
	v_add_u32_e32 v15, 19, v59
	v_add_u32_e32 v31, 18, v59
	v_cvt_f32_i32_e32 v14, v31
	v_cvt_f32_i32_e32 v15, v15
	v_mfma_f32_16x16x16_bf16 v[6:9], v[8:9], v[20:21], v[26:29]
	v_pk_mul_f32 v[34:35], s[10:11], v[16:17] op_sel_hi:[0,1]
	v_fma_f32 v48, v56, v14, v48
	v_add_u32_e32 v14, 32, v59
	v_fmac_f32_e32 v49, v56, v15
	v_cvt_f32_i32_e32 v14, v14
	v_add_u32_e32 v15, 33, v59
	v_add_u32_e32 v16, 34, v59
	v_cvt_f32_i32_e32 v15, v15
	v_cvt_f32_i32_e32 v16, v16
	v_add_u32_e32 v17, 35, v59
	v_cvt_f32_i32_e32 v17, v17
	v_pk_mul_f32 v[40:41], s[10:11], v[6:7] op_sel_hi:[0,1]
	v_pk_mul_f32 v[38:39], s[10:11], v[8:9] op_sel_hi:[0,1]
	v_fma_f32 v40, v56, v14, v40
	v_add_u32_e32 v14, 48, v59
	v_fmac_f32_e32 v41, v56, v15
	v_fma_f32 v38, v56, v16, v38
	v_cvt_f32_i32_e32 v14, v14
	v_add_u32_e32 v15, 49, v59
	v_add_u32_e32 v16, 50, v59
	v_fmac_f32_e32 v39, v56, v17
	v_cvt_f32_i32_e32 v15, v15
	v_cvt_f32_i32_e32 v16, v16
	v_add_u32_e32 v17, 51, v59
	v_cvt_f32_i32_e32 v17, v17
	v_pk_mul_f32 v[52:53], s[10:11], v[12:13] op_sel_hi:[0,1]
	v_pk_mul_f32 v[10:11], s[10:11], v[10:11] op_sel_hi:[0,1]
	s_waitcnt vmcnt(3)
	v_mad_i64_i32 v[2:3], s[4:5], v70, s45, 0
	s_waitcnt vmcnt(2)
	v_mad_i64_i32 v[12:13], s[4:5], v71, s45, 0
	v_fma_f32 v10, v56, v60, v10
	v_fmac_f32_e32 v11, v56, v23
	v_fma_f32 v36, v56, v14, v36
	v_mov_b32_e32 v14, 0xff7fffff
	v_cmp_gt_i32_e64 s[4:5], s29, v58
	v_add_u32_e32 v19, 16, v59
	v_add_u32_e32 v30, 17, v59
	v_fmac_f32_e32 v37, v56, v15
	v_fma_f32 v34, v56, v16, v34
	v_cndmask_b32_e64 v15, v14, v10, s[4:5]
	v_cndmask_b32_e64 v16, v14, v11, s[34:35]
	v_cvt_f32_i32_e32 v19, v19
	v_cvt_f32_i32_e32 v25, v30
	v_fmac_f32_e32 v35, v56, v17
	v_max3_f32 v15, v15, s33, v16
	v_or_b32_e32 v16, 2, v58
	v_or_b32_e32 v17, 3, v58
	v_fma_f32 v52, v56, v24, v52
	v_fmac_f32_e32 v53, v56, v18
	v_cmp_gt_i32_e64 s[36:37], s29, v16
	v_cmp_gt_i32_e64 s[38:39], s29, v17
	v_fma_f32 v50, v56, v19, v50
	v_cndmask_b32_e64 v16, v14, v52, s[36:37]
	v_cndmask_b32_e64 v17, v14, v53, s[38:39]
	v_max3_f32 v15, v15, v16, v17
	v_or_b32_e32 v16, 16, v58
	v_or_b32_e32 v17, 17, v58
	v_fmac_f32_e32 v51, v56, v25
	v_cmp_gt_i32_e64 s[24:25], s29, v16
	v_cmp_gt_i32_e64 s[26:27], s29, v17
	v_lshl_add_u64 v[2:3], v[2:3], 1, v[46:47]
	v_cndmask_b32_e64 v16, v14, v50, s[24:25]
	v_cndmask_b32_e64 v17, v14, v51, s[26:27]
	v_max3_f32 v15, v15, v16, v17
	v_or_b32_e32 v16, 18, v58
	v_or_b32_e32 v17, 19, v58
	v_cmp_gt_i32_e64 s[20:21], s29, v16
	v_cmp_gt_i32_e64 s[22:23], s29, v17
	v_lshl_add_u64 v[12:13], v[12:13], 1, v[46:47]
	v_cndmask_b32_e64 v16, v14, v48, s[20:21]
	v_cndmask_b32_e64 v17, v14, v49, s[22:23]
	v_max3_f32 v15, v15, v16, v17
	v_or_b32_e32 v16, 32, v58
	v_or_b32_e32 v17, 33, v58
	v_cmp_gt_i32_e64 s[16:17], s29, v16
	v_cmp_gt_i32_e64 s[18:19], s29, v17
	global_load_dwordx4 v[6:9], v[2:3], off
	s_nop 0
	global_load_dwordx4 v[2:5], v[2:3], off offset:16
	v_cndmask_b32_e64 v16, v14, v40, s[16:17]
	v_cndmask_b32_e64 v17, v14, v41, s[18:19]
	v_max3_f32 v15, v15, v16, v17
	v_or_b32_e32 v16, 34, v58
	v_or_b32_e32 v17, 35, v58
	v_cmp_gt_i32_e64 s[12:13], s29, v16
	v_cmp_gt_i32_e64 s[14:15], s29, v17
	global_load_dwordx4 v[30:33], v[12:13], off
	global_load_dwordx4 v[26:29], v[12:13], off offset:16
	v_cndmask_b32_e64 v16, v14, v38, s[12:13]
	v_cndmask_b32_e64 v17, v14, v39, s[14:15]
	v_max3_f32 v15, v15, v16, v17
	v_or_b32_e32 v16, 48, v58
	v_or_b32_e32 v17, 49, v58
	v_cmp_gt_i32_e64 s[8:9], s29, v16
	v_cmp_gt_i32_e64 s[10:11], s29, v17
	s_nop 0
	v_cndmask_b32_e64 v16, v14, v36, s[8:9]
	v_cndmask_b32_e64 v17, v14, v37, s[10:11]
	v_max3_f32 v15, v15, v16, v17
	v_or_b32_e32 v16, 50, v58
	v_or_b32_e32 v17, 51, v58
	v_cmp_gt_i32_e32 vcc, s29, v16
	v_cmp_gt_i32_e64 s[6:7], s29, v17
	s_nop 0
	v_cndmask_b32_e32 v16, v14, v34, vcc
	v_cndmask_b32_e64 v14, v14, v35, s[6:7]
	v_max3_f32 v14, v15, v16, v14
	v_mbcnt_lo_u32_b32 v15, -1, 0
	v_mbcnt_hi_u32_b32 v15, -1, v15
	v_and_b32_e32 v16, 64, v15
	v_add_u32_e32 v16, 64, v16
	v_xor_b32_e32 v17, 32, v15
	v_cmp_lt_i32_e64 s[40:41], v17, v16
	s_nop 1
	v_cndmask_b32_e64 v17, v15, v17, s[40:41]
	v_lshlrev_b32_e32 v57, 2, v17
	ds_bpermute_b32 v17, v57, v14
	s_waitcnt vmcnt(5)
	v_mad_i64_i32 v[12:13], s[40:41], v22, s45, 0
	v_lshl_add_u64 v[12:13], v[12:13], 1, v[46:47]
	global_load_dwordx4 v[22:25], v[12:13], off
	global_load_dwordx4 v[18:21], v[12:13], off offset:16
	s_waitcnt lgkmcnt(0)
	v_max_f32_e32 v17, v17, v17
	v_max_f32_e32 v14, v14, v17
	v_xor_b32_e32 v17, 16, v15
	v_cmp_lt_i32_e64 s[40:41], v17, v16
	s_nop 1
	v_cndmask_b32_e64 v15, v15, v17, s[40:41]
	v_lshlrev_b32_e32 v59, 2, v15
	ds_bpermute_b32 v15, v59, v14
	s_waitcnt vmcnt(6)
	v_mad_i64_i32 v[12:13], s[40:41], v61, s45, 0
	v_lshl_add_u64 v[12:13], v[12:13], 1, v[46:47]
	s_waitcnt lgkmcnt(0)
	v_max_f32_e32 v15, v15, v15
	v_max_f32_e32 v56, v14, v15
	v_sub_f32_e32 v10, v10, v56
	v_mul_f32_e32 v10, 0x3fb8aa3b, v10
	v_exp_f32_e32 v46, v10
	v_sub_f32_e32 v10, v11, v56
	v_mul_f32_e32 v10, 0x3fb8aa3b, v10
	v_exp_f32_e32 v47, v10
	global_load_dwordx4 v[14:17], v[12:13], off
	s_nop 0
	global_load_dwordx4 v[10:13], v[12:13], off offset:16
	v_sub_f32_e32 v52, v52, v56
	v_mul_f32_e32 v52, 0x3fb8aa3b, v52
	v_sub_f32_e32 v53, v53, v56
	v_exp_f32_e32 v52, v52
	v_mul_f32_e32 v53, 0x3fb8aa3b, v53
	v_sub_f32_e32 v50, v50, v56
	v_exp_f32_e32 v53, v53
	v_mul_f32_e32 v50, 0x3fb8aa3b, v50
	v_sub_f32_e32 v51, v51, v56
	v_cndmask_b32_e64 v46, 0, v46, s[4:5]
	v_exp_f32_e32 v50, v50
	v_mul_f32_e32 v51, 0x3fb8aa3b, v51
	v_sub_f32_e32 v48, v48, v56
	v_add_f32_e32 v58, 0, v46
	v_cndmask_b32_e64 v47, 0, v47, s[34:35]
	v_exp_f32_e32 v51, v51
	v_mul_f32_e32 v48, 0x3fb8aa3b, v48
	v_sub_f32_e32 v49, v49, v56
	v_add_f32_e32 v58, v58, v47
	;; [unrolled: 5-line block ×10, first 2 shown]
	v_cndmask_b32_e64 v38, 0, v38, s[12:13]
	v_exp_f32_e32 v34, v34
	v_mul_f32_e32 v35, 0x3fb8aa3b, v35
	v_add_f32_e32 v58, v58, v38
	v_cndmask_b32_e64 v39, 0, v39, s[14:15]
	v_exp_f32_e32 v35, v35
	v_add_f32_e32 v58, v58, v39
	v_cndmask_b32_e64 v36, 0, v36, s[8:9]
	v_add_f32_e32 v58, v58, v36
	v_cndmask_b32_e64 v37, 0, v37, s[10:11]
	v_add_f32_e32 v58, v58, v37
	v_cndmask_b32_e32 v34, 0, v34, vcc
	v_add_f32_e32 v58, v58, v34
	v_cndmask_b32_e64 v35, 0, v35, s[6:7]
	v_add_f32_e32 v58, v58, v35
	ds_bpermute_b32 v57, v57, v58
	s_load_dword s7, s[0:1], 0x98
	v_cmp_gt_u32_e32 vcc, 16, v55
	s_waitcnt lgkmcnt(0)
	s_barrier
	v_add_f32_e32 v58, v58, v57
	ds_bpermute_b32 v59, v59, v58
	v_lshlrev_b32_e32 v57, 2, v44
	s_waitcnt lgkmcnt(0)
	s_and_saveexec_b64 s[4:5], vcc
	s_cbranch_execz .LBB390_15
; %bb.14:
	v_add_f32_e32 v55, v58, v59
	v_lshl_or_b32 v58, v45, 6, v57
	ds_write2st64_b32 v58, v56, v55 offset1:1
.LBB390_15:
	s_or_b64 exec, exec, s[4:5]
	s_load_dword s6, s[0:1], 0x94
	s_waitcnt lgkmcnt(0)
	s_barrier
	ds_read2_b32 v[58:59], v57 offset1:16
	ds_read2_b32 v[60:61], v57 offset0:32 offset1:48
	ds_read2_b32 v[62:63], v57 offset0:64 offset1:80
	s_movk_i32 s8, 0x7fff
	s_mov_b32 s9, 0x7060302
	s_waitcnt lgkmcnt(2)
	v_max3_f32 v55, v58, s33, v59
	s_waitcnt lgkmcnt(1)
	v_max3_f32 v55, v55, v60, v61
	v_sub_f32_e32 v56, v58, v55
	v_mul_f32_e32 v56, 0x3fb8aa3b, v56
	v_exp_f32_e32 v64, v56
	v_sub_f32_e32 v56, v59, v55
	v_mul_f32_e32 v56, 0x3fb8aa3b, v56
	v_exp_f32_e32 v65, v56
	;; [unrolled: 3-line block ×3, first 2 shown]
	ds_read2_b32 v[58:59], v57 offset0:96 offset1:112
	v_sub_f32_e32 v56, v61, v55
	v_mul_f32_e32 v56, 0x3fb8aa3b, v56
	v_exp_f32_e32 v57, v56
	s_waitcnt lgkmcnt(1)
	v_fma_f32 v56, v64, v62, 0
	v_fmac_f32_e32 v56, v65, v63
	s_waitcnt lgkmcnt(0)
	v_fmac_f32_e32 v56, v60, v58
	v_fmac_f32_e32 v56, v57, v59
	v_add_f32_e32 v58, 0x358637bd, v56
	v_div_scale_f32 v59, s[4:5], v58, v58, 1.0
	v_rcp_f32_e32 v61, v59
	s_mul_i32 s7, s7, 7
	s_barrier
	v_fma_f32 v62, -v59, v61, 1.0
	v_fmac_f32_e32 v61, v62, v61
	v_div_scale_f32 v62, vcc, 1.0, v58, 1.0
	v_mul_f32_e32 v63, v62, v61
	v_fma_f32 v66, -v59, v63, v62
	v_fmac_f32_e32 v63, v66, v61
	v_fma_f32 v59, -v59, v63, v62
	v_div_fmas_f32 v59, v59, v61, v63
	v_cmp_eq_u32_e32 vcc, 1, v45
	v_div_fixup_f32 v58, v59, v58, 1.0
	s_nop 0
	v_cndmask_b32_e32 v59, v64, v65, vcc
	v_cmp_eq_u32_e32 vcc, 2, v45
	s_nop 1
	v_cndmask_b32_e32 v59, v59, v60, vcc
	v_cmp_eq_u32_e32 vcc, 3, v45
	v_lshlrev_b32_e32 v45, 11, v45
	s_nop 0
	v_cndmask_b32_e32 v57, v59, v57, vcc
	v_mul_f32_e32 v58, v57, v58
	v_pk_mul_f32 v[46:47], v[58:59], v[46:47] op_sel_hi:[0,1]
	v_pk_mul_f32 v[52:53], v[58:59], v[52:53] op_sel_hi:[0,1]
	v_bfe_u32 v57, v47, 16, 1
	v_bfe_u32 v59, v46, 16, 1
	v_add3_u32 v46, v46, v59, s8
	v_add3_u32 v47, v47, v57, s8
	v_perm_b32 v60, v47, v46, s9
	v_bfe_u32 v46, v53, 16, 1
	v_bfe_u32 v47, v52, 16, 1
	v_add3_u32 v47, v52, v47, s8
	v_add3_u32 v46, v53, v46, s8
	v_perm_b32 v61, v46, v47, s9
	v_lshlrev_b32_e32 v46, 3, v54
	v_pk_mul_f32 v[50:51], v[58:59], v[50:51] op_sel_hi:[0,1]
	v_or3_b32 v46, v45, v43, v46
	v_bfe_u32 v45, v51, 16, 1
	v_bfe_u32 v47, v50, 16, 1
	v_pk_mul_f32 v[48:49], v[58:59], v[48:49] op_sel_hi:[0,1]
	v_add3_u32 v47, v50, v47, s8
	v_add3_u32 v45, v51, v45, s8
	v_perm_b32 v50, v45, v47, s9
	v_bfe_u32 v45, v49, 16, 1
	v_bfe_u32 v47, v48, 16, 1
	v_add3_u32 v47, v48, v47, s8
	v_add3_u32 v45, v49, v45, s8
	v_pk_mul_f32 v[40:41], v[58:59], v[40:41] op_sel_hi:[0,1]
	v_perm_b32 v51, v45, v47, s9
	v_bfe_u32 v45, v41, 16, 1
	v_bfe_u32 v47, v40, 16, 1
	v_pk_mul_f32 v[38:39], v[58:59], v[38:39] op_sel_hi:[0,1]
	v_add3_u32 v40, v40, v47, s8
	v_add3_u32 v41, v41, v45, s8
	v_perm_b32 v40, v41, v40, s9
	v_bfe_u32 v41, v39, 16, 1
	v_bfe_u32 v45, v38, 16, 1
	v_add3_u32 v38, v38, v45, s8
	v_add3_u32 v39, v39, v41, s8
	v_pk_mul_f32 v[36:37], v[58:59], v[36:37] op_sel_hi:[0,1]
	v_perm_b32 v41, v39, v38, s9
	v_bfe_u32 v38, v37, 16, 1
	v_bfe_u32 v39, v36, 16, 1
	v_pk_mul_f32 v[34:35], v[58:59], v[34:35] op_sel_hi:[0,1]
	v_add3_u32 v36, v36, v39, s8
	v_add3_u32 v37, v37, v38, s8
	v_perm_b32 v36, v37, v36, s9
	v_bfe_u32 v37, v35, 16, 1
	v_bfe_u32 v38, v34, 16, 1
	v_add3_u32 v34, v34, v38, s8
	v_add3_u32 v35, v35, v37, s8
	v_perm_b32 v37, v35, v34, s9
	v_cmp_gt_u32_e32 vcc, 7, v0
	ds_write2st64_b64 v46, v[60:61], v[50:51] offset1:1
	ds_write2st64_b64 v46, v[40:41], v[36:37] offset0:2 offset1:3
	s_and_saveexec_b64 s[4:5], vcc
	s_cbranch_execz .LBB390_17
; %bb.16:
	s_mov_b32 s43, 0
	v_mov_b32_e32 v45, 0
	v_lshl_add_u64 v[34:35], s[42:43], 0, v[44:45]
	v_mov_b32_e32 v36, s7
	v_mad_u64_u32 v[34:35], s[10:11], s2, v36, v[34:35]
	s_mul_i32 s3, s3, s7
	v_mov_b32_e32 v44, s28
	s_load_dwordx4 s[12:15], s[0:1], 0x58
	v_add_u32_e32 v37, s3, v35
	v_mad_u64_u32 v[34:35], s[10:11], v34, s6, v[44:45]
	v_mov_b32_e32 v36, v35
	v_mad_u64_u32 v[36:37], s[10:11], v37, s6, v[36:37]
	v_mov_b32_e32 v35, v36
	v_lshlrev_b64 v[34:35], 2, v[34:35]
	s_waitcnt lgkmcnt(0)
	v_lshl_add_u64 v[36:37], s[14:15], 0, v[34:35]
	v_lshl_add_u64 v[34:35], s[12:13], 0, v[34:35]
	global_store_dword v[36:37], v55, off
	global_store_dword v[34:35], v56, off
.LBB390_17:
	s_or_b64 exec, exec, s[4:5]
	v_lshl_or_b32 v43, v54, 9, v43
	s_waitcnt lgkmcnt(0)
	s_barrier
	ds_read_b128 v[34:37], v43
	ds_read_b128 v[38:41], v43 offset:16
	s_waitcnt vmcnt(7) lgkmcnt(1)
	v_mfma_f32_16x16x16_bf16 v[48:51], v[6:7], v[34:35], 0
	v_cmp_gt_u32_e32 vcc, 64, v0
	s_mov_b32 s3, 0
	s_and_b64 s[4:5], vcc, s[30:31]
	v_mfma_f32_16x16x16_bf16 v[6:9], v[8:9], v[36:37], v[48:51]
	s_waitcnt vmcnt(6) lgkmcnt(0)
	v_mfma_f32_16x16x16_bf16 v[6:9], v[2:3], v[38:39], v[6:9]
	v_mfma_f32_16x16x16_bf16 v[2:5], v[4:5], v[40:41], v[6:9]
	s_nop 5
	ds_read_b128 v[6:9], v43 offset:2048
	ds_read_b128 v[34:37], v43 offset:2064
	s_waitcnt vmcnt(5) lgkmcnt(1)
	v_mfma_f32_16x16x16_bf16 v[2:5], v[30:31], v[6:7], v[2:5]
	v_mfma_f32_16x16x16_bf16 v[2:5], v[32:33], v[8:9], v[2:5]
	s_waitcnt vmcnt(4) lgkmcnt(0)
	v_mfma_f32_16x16x16_bf16 v[2:5], v[26:27], v[34:35], v[2:5]
	v_mfma_f32_16x16x16_bf16 v[2:5], v[28:29], v[36:37], v[2:5]
	ds_read_b128 v[6:9], v43 offset:4096
	ds_read_b128 v[26:29], v43 offset:4112
	s_waitcnt vmcnt(3) lgkmcnt(1)
	v_mfma_f32_16x16x16_bf16 v[2:5], v[22:23], v[6:7], v[2:5]
	v_mfma_f32_16x16x16_bf16 v[2:5], v[24:25], v[8:9], v[2:5]
	s_waitcnt vmcnt(2) lgkmcnt(0)
	v_mfma_f32_16x16x16_bf16 v[2:5], v[18:19], v[26:27], v[2:5]
	v_mfma_f32_16x16x16_bf16 v[2:5], v[20:21], v[28:29], v[2:5]
	ds_read_b128 v[6:9], v43 offset:6144
	ds_read_b128 v[18:21], v43 offset:6160
	v_mov_b32_e32 v43, 0
	s_waitcnt vmcnt(1) lgkmcnt(0)
	v_mfma_f32_16x16x16_bf16 v[2:5], v[14:15], v[6:7], v[2:5]
	s_barrier
	v_mfma_f32_16x16x16_bf16 v[2:5], v[16:17], v[8:9], v[2:5]
	s_waitcnt vmcnt(0)
	v_mfma_f32_16x16x16_bf16 v[2:5], v[10:11], v[18:19], v[2:5]
	v_mfma_f32_16x16x16_bf16 v[2:5], v[12:13], v[20:21], v[2:5]
	s_nop 6
	v_bfe_u32 v6, v3, 16, 1
	v_bfe_u32 v7, v2, 16, 1
	;; [unrolled: 1-line block ×4, first 2 shown]
	v_add3_u32 v2, v2, v7, s8
	v_add3_u32 v3, v3, v6, s8
	;; [unrolled: 1-line block ×4, first 2 shown]
	v_perm_b32 v2, v3, v2, s9
	v_perm_b32 v3, v5, v4, s9
	ds_write_b64 v46, v[2:3]
	s_waitcnt lgkmcnt(0)
	s_barrier
	s_and_saveexec_b64 s[8:9], s[4:5]
	s_cbranch_execz .LBB390_20
; %bb.18:
	s_load_dwordx2 s[4:5], s[0:1], 0x68
	s_lshl_b32 s0, s6, 6
	s_mul_i32 s1, s7, s2
	s_mul_hi_u32 s7, s1, s0
	s_mul_i32 s6, s1, s0
	v_lshlrev_b32_e32 v0, 10, v0
	s_lshl_b64 s[6:7], s[6:7], 1
	v_and_b32_e32 v0, 0x1800, v0
	v_lshlrev_b32_e32 v2, 5, v54
	v_and_b32_e32 v1, 16, v1
	s_waitcnt lgkmcnt(0)
	s_add_u32 s1, s4, s6
	v_or3_b32 v2, v0, v2, v1
	s_addc_u32 s4, s5, s7
	s_lshl_b32 s2, s28, 6
	s_lshl_b64 s[2:3], s[2:3], 1
	ds_read_b128 v[4:7], v2
	s_add_u32 s2, s1, s2
	s_addc_u32 s3, s4, s3
	v_add_u32_e32 v3, s42, v54
	v_lshl_add_u64 v[0:1], s[2:3], 0, v[42:43]
	v_mad_u64_u32 v[8:9], s[2:3], v3, s0, 0
	v_lshl_add_u64 v[8:9], v[8:9], 1, v[0:1]
	v_cmp_ne_u32_e32 vcc, 3, v54
	s_waitcnt lgkmcnt(0)
	global_store_dwordx4 v[8:9], v[4:7], off
	s_and_b64 exec, exec, vcc
	s_cbranch_execz .LBB390_20
; %bb.19:
	ds_read_b128 v[2:5], v2 offset:128
	v_add3_u32 v6, s42, v54, 4
	v_mad_u64_u32 v[6:7], s[0:1], v6, s0, 0
	v_lshl_add_u64 v[0:1], v[6:7], 1, v[0:1]
	s_waitcnt lgkmcnt(0)
	global_store_dwordx4 v[0:1], v[2:5], off
.LBB390_20:
	s_endpgm
	.section	.rodata,"a",@progbits
	.p2align	6, 0x0
	.amdhsa_kernel _Z39paged_attention_ll4mi_QKV_mfma16_kernelI14__hip_bfloat16S0_LN4vllm18Fp8KVCacheDataTypeE0EhLi16ELi64ELi256ELb1ELi7EEvPKT_PKT0_S8_ifPKiSA_SA_iPKfiiiPfSD_PS3_PT2_iSC_SC_
		.amdhsa_group_segment_fixed_size 8192
		.amdhsa_private_segment_fixed_size 0
		.amdhsa_kernarg_size 400
		.amdhsa_user_sgpr_count 2
		.amdhsa_user_sgpr_dispatch_ptr 0
		.amdhsa_user_sgpr_queue_ptr 0
		.amdhsa_user_sgpr_kernarg_segment_ptr 1
		.amdhsa_user_sgpr_dispatch_id 0
		.amdhsa_user_sgpr_kernarg_preload_length 0
		.amdhsa_user_sgpr_kernarg_preload_offset 0
		.amdhsa_user_sgpr_private_segment_size 0
		.amdhsa_uses_dynamic_stack 0
		.amdhsa_enable_private_segment 0
		.amdhsa_system_sgpr_workgroup_id_x 1
		.amdhsa_system_sgpr_workgroup_id_y 1
		.amdhsa_system_sgpr_workgroup_id_z 1
		.amdhsa_system_sgpr_workgroup_info 0
		.amdhsa_system_vgpr_workitem_id 0
		.amdhsa_next_free_vgpr 72
		.amdhsa_next_free_sgpr 48
		.amdhsa_accum_offset 72
		.amdhsa_reserve_vcc 1
		.amdhsa_float_round_mode_32 0
		.amdhsa_float_round_mode_16_64 0
		.amdhsa_float_denorm_mode_32 3
		.amdhsa_float_denorm_mode_16_64 3
		.amdhsa_dx10_clamp 1
		.amdhsa_ieee_mode 1
		.amdhsa_fp16_overflow 0
		.amdhsa_tg_split 0
		.amdhsa_exception_fp_ieee_invalid_op 0
		.amdhsa_exception_fp_denorm_src 0
		.amdhsa_exception_fp_ieee_div_zero 0
		.amdhsa_exception_fp_ieee_overflow 0
		.amdhsa_exception_fp_ieee_underflow 0
		.amdhsa_exception_fp_ieee_inexact 0
		.amdhsa_exception_int_div_zero 0
	.end_amdhsa_kernel
	.section	.text._Z39paged_attention_ll4mi_QKV_mfma16_kernelI14__hip_bfloat16S0_LN4vllm18Fp8KVCacheDataTypeE0EhLi16ELi64ELi256ELb1ELi7EEvPKT_PKT0_S8_ifPKiSA_SA_iPKfiiiPfSD_PS3_PT2_iSC_SC_,"axG",@progbits,_Z39paged_attention_ll4mi_QKV_mfma16_kernelI14__hip_bfloat16S0_LN4vllm18Fp8KVCacheDataTypeE0EhLi16ELi64ELi256ELb1ELi7EEvPKT_PKT0_S8_ifPKiSA_SA_iPKfiiiPfSD_PS3_PT2_iSC_SC_,comdat
.Lfunc_end390:
	.size	_Z39paged_attention_ll4mi_QKV_mfma16_kernelI14__hip_bfloat16S0_LN4vllm18Fp8KVCacheDataTypeE0EhLi16ELi64ELi256ELb1ELi7EEvPKT_PKT0_S8_ifPKiSA_SA_iPKfiiiPfSD_PS3_PT2_iSC_SC_, .Lfunc_end390-_Z39paged_attention_ll4mi_QKV_mfma16_kernelI14__hip_bfloat16S0_LN4vllm18Fp8KVCacheDataTypeE0EhLi16ELi64ELi256ELb1ELi7EEvPKT_PKT0_S8_ifPKiSA_SA_iPKfiiiPfSD_PS3_PT2_iSC_SC_
                                        ; -- End function
	.section	.AMDGPU.csdata,"",@progbits
; Kernel info:
; codeLenInByte = 4316
; NumSgprs: 54
; NumVgprs: 72
; NumAgprs: 0
; TotalNumVgprs: 72
; ScratchSize: 0
; MemoryBound: 0
; FloatMode: 240
; IeeeMode: 1
; LDSByteSize: 8192 bytes/workgroup (compile time only)
; SGPRBlocks: 6
; VGPRBlocks: 8
; NumSGPRsForWavesPerEU: 54
; NumVGPRsForWavesPerEU: 72
; AccumOffset: 72
; Occupancy: 7
; WaveLimiterHint : 1
; COMPUTE_PGM_RSRC2:SCRATCH_EN: 0
; COMPUTE_PGM_RSRC2:USER_SGPR: 2
; COMPUTE_PGM_RSRC2:TRAP_HANDLER: 0
; COMPUTE_PGM_RSRC2:TGID_X_EN: 1
; COMPUTE_PGM_RSRC2:TGID_Y_EN: 1
; COMPUTE_PGM_RSRC2:TGID_Z_EN: 1
; COMPUTE_PGM_RSRC2:TIDIG_COMP_CNT: 0
; COMPUTE_PGM_RSRC3_GFX90A:ACCUM_OFFSET: 17
; COMPUTE_PGM_RSRC3_GFX90A:TG_SPLIT: 0
	.section	.text._Z39paged_attention_ll4mi_QKV_mfma16_kernelI14__hip_bfloat16S0_LN4vllm18Fp8KVCacheDataTypeE0EhLi16ELi64ELi256ELb1ELi8EEvPKT_PKT0_S8_ifPKiSA_SA_iPKfiiiPfSD_PS3_PT2_iSC_SC_,"axG",@progbits,_Z39paged_attention_ll4mi_QKV_mfma16_kernelI14__hip_bfloat16S0_LN4vllm18Fp8KVCacheDataTypeE0EhLi16ELi64ELi256ELb1ELi8EEvPKT_PKT0_S8_ifPKiSA_SA_iPKfiiiPfSD_PS3_PT2_iSC_SC_,comdat
	.protected	_Z39paged_attention_ll4mi_QKV_mfma16_kernelI14__hip_bfloat16S0_LN4vllm18Fp8KVCacheDataTypeE0EhLi16ELi64ELi256ELb1ELi8EEvPKT_PKT0_S8_ifPKiSA_SA_iPKfiiiPfSD_PS3_PT2_iSC_SC_ ; -- Begin function _Z39paged_attention_ll4mi_QKV_mfma16_kernelI14__hip_bfloat16S0_LN4vllm18Fp8KVCacheDataTypeE0EhLi16ELi64ELi256ELb1ELi8EEvPKT_PKT0_S8_ifPKiSA_SA_iPKfiiiPfSD_PS3_PT2_iSC_SC_
	.globl	_Z39paged_attention_ll4mi_QKV_mfma16_kernelI14__hip_bfloat16S0_LN4vllm18Fp8KVCacheDataTypeE0EhLi16ELi64ELi256ELb1ELi8EEvPKT_PKT0_S8_ifPKiSA_SA_iPKfiiiPfSD_PS3_PT2_iSC_SC_
	.p2align	8
	.type	_Z39paged_attention_ll4mi_QKV_mfma16_kernelI14__hip_bfloat16S0_LN4vllm18Fp8KVCacheDataTypeE0EhLi16ELi64ELi256ELb1ELi8EEvPKT_PKT0_S8_ifPKiSA_SA_iPKfiiiPfSD_PS3_PT2_iSC_SC_,@function
_Z39paged_attention_ll4mi_QKV_mfma16_kernelI14__hip_bfloat16S0_LN4vllm18Fp8KVCacheDataTypeE0EhLi16ELi64ELi256ELb1ELi8EEvPKT_PKT0_S8_ifPKiSA_SA_iPKfiiiPfSD_PS3_PT2_iSC_SC_: ; @_Z39paged_attention_ll4mi_QKV_mfma16_kernelI14__hip_bfloat16S0_LN4vllm18Fp8KVCacheDataTypeE0EhLi16ELi64ELi256ELb1ELi8EEvPKT_PKT0_S8_ifPKiSA_SA_iPKfiiiPfSD_PS3_PT2_iSC_SC_
; %bb.0:
	s_load_dwordx2 s[8:9], s[0:1], 0x30
	s_mov_b32 s28, s3
	s_mov_b64 s[6:7], 0
	s_waitcnt lgkmcnt(0)
	s_cmp_lg_u64 s[8:9], 0
	s_cselect_b64 s[10:11], -1, 0
	s_and_b64 vcc, exec, s[10:11]
	s_cbranch_vccz .LBB391_7
; %bb.1:
	s_add_i32 s12, s2, 1
	s_mov_b32 s13, 0
	s_lshl_b64 s[14:15], s[12:13], 2
	s_add_u32 s14, s8, s14
	s_mov_b32 s3, s13
	s_addc_u32 s15, s9, s15
	s_lshl_b64 s[12:13], s[2:3], 2
	s_add_u32 s12, s8, s12
	s_addc_u32 s13, s9, s13
	s_load_dword s5, s[14:15], 0x0
	s_load_dword s16, s[12:13], 0x0
	s_waitcnt lgkmcnt(0)
	s_sub_i32 s5, s5, s16
	s_cmp_eq_u32 s5, 1
	s_cselect_b64 s[12:13], -1, 0
	s_andn2_b64 vcc, exec, s[6:7]
	s_cbranch_vccnz .LBB391_3
.LBB391_2:
	s_mov_b32 s3, 0
	s_mov_b64 s[12:13], -1
.LBB391_3:
	s_andn2_b64 vcc, exec, s[12:13]
	s_cbranch_vccnz .LBB391_19
; %bb.4:
	s_load_dwordx2 s[6:7], s[0:1], 0x28
	s_lshl_b64 s[12:13], s[2:3], 2
	s_waitcnt lgkmcnt(0)
	s_add_u32 s6, s6, s12
	s_addc_u32 s7, s7, s13
	s_load_dword s33, s[6:7], 0x0
	s_lshl_b32 s16, s28, 8
	s_waitcnt lgkmcnt(0)
	s_cmp_ge_i32 s16, s33
	s_cbranch_scc1 .LBB391_19
; %bb.5:
	s_load_dwordx2 s[6:7], s[0:1], 0x20
	s_load_dword s5, s[0:1], 0x38
	s_add_i32 s14, s33, 15
	s_ashr_i32 s15, s14, 31
	v_and_b32_e32 v1, 0xcf, v0
	s_lshr_b32 s15, s15, 28
	v_add_u32_e32 v1, s16, v1
	s_add_i32 s14, s14, s15
	v_ashrrev_i32_e32 v2, 31, v1
	s_ashr_i32 s17, s14, 4
	v_lshrrev_b32_e32 v6, 28, v2
	s_add_i32 s17, s17, -1
	s_waitcnt lgkmcnt(0)
	s_mul_i32 s14, s2, s5
	s_mov_b32 s15, 0
	v_add_u32_e32 v2, v1, v6
	s_lshl_b64 s[14:15], s[14:15], 2
	v_ashrrev_i32_e32 v2, 4, v2
	v_mov_b32_e32 v7, s17
	v_cmp_gt_i32_e32 vcc, s33, v1
	s_add_u32 s6, s6, s14
	s_addc_u32 s7, s7, s15
	v_cndmask_b32_e32 v2, v7, v2, vcc
	v_ashrrev_i32_e32 v3, 31, v2
	v_lshl_add_u64 v[4:5], v[2:3], 2, s[6:7]
	v_or_b32_e32 v2, 16, v1
	v_add_u32_e32 v3, v2, v6
	v_ashrrev_i32_e32 v3, 4, v3
	v_cmp_gt_i32_e32 vcc, s33, v2
	s_load_dwordx2 s[14:15], s[0:1], 0x8
	s_nop 0
	v_cndmask_b32_e32 v2, v7, v3, vcc
	v_ashrrev_i32_e32 v3, 31, v2
	v_lshl_add_u64 v[8:9], v[2:3], 2, s[6:7]
	v_or_b32_e32 v2, 32, v1
	v_add_u32_e32 v3, v2, v6
	v_ashrrev_i32_e32 v3, 4, v3
	v_cmp_gt_i32_e32 vcc, s33, v2
	v_or_b32_e32 v1, 48, v1
	s_nop 0
	v_cndmask_b32_e32 v2, v7, v3, vcc
	v_ashrrev_i32_e32 v3, 31, v2
	v_lshl_add_u64 v[10:11], v[2:3], 2, s[6:7]
	v_add_u32_e32 v2, v1, v6
	v_ashrrev_i32_e32 v2, 4, v2
	v_cmp_gt_i32_e32 vcc, s33, v1
	s_nop 1
	v_cndmask_b32_e32 v2, v7, v2, vcc
	v_ashrrev_i32_e32 v3, 31, v2
	v_lshl_add_u64 v[12:13], v[2:3], 2, s[6:7]
	global_load_dword v3, v[4:5], off
	global_load_dword v2, v[8:9], off
	;; [unrolled: 1-line block ×4, first 2 shown]
	s_andn2_b64 vcc, exec, s[10:11]
	s_cbranch_vccnz .LBB391_8
; %bb.6:
	s_add_u32 s8, s8, s12
	s_addc_u32 s9, s9, s13
	s_load_dword s5, s[8:9], 0x0
	s_branch .LBB391_9
.LBB391_7:
	s_mov_b64 s[12:13], 0
	s_branch .LBB391_2
.LBB391_8:
	s_mov_b32 s5, s2
.LBB391_9:
	s_load_dwordx2 s[8:9], s[0:1], 0x10
	s_load_dwordx4 s[44:47], s[0:1], 0x48
	v_and_b32_e32 v54, 15, v0
	s_movk_i32 s10, 0x80
	v_lshlrev_b32_e32 v4, 3, v54
	v_cmp_gt_u32_e32 vcc, s10, v0
	v_cmp_gt_u32_e64 s[30:31], 8, v54
	v_lshrrev_b32_e32 v53, 6, v0
	v_bfe_u32 v1, v0, 4, 2
	s_lshl_b32 s29, s4, 3
	s_and_b64 s[12:13], vcc, s[30:31]
	v_lshlrev_b32_e32 v42, 1, v4
	s_and_saveexec_b64 s[10:11], s[12:13]
	s_cbranch_execz .LBB391_11
; %bb.10:
	s_load_dwordx2 s[12:13], s[0:1], 0x0
	s_waitcnt lgkmcnt(0)
	s_ashr_i32 s18, s44, 31
	s_mul_hi_u32 s19, s5, s44
	s_mul_i32 s18, s5, s18
	s_add_i32 s19, s19, s18
	s_mul_i32 s18, s5, s44
	v_lshl_or_b32 v7, v53, 2, v1
	s_lshl_b64 s[18:19], s[18:19], 1
	s_add_u32 s12, s12, s18
	v_add_lshl_u32 v4, v7, s29, 6
	s_addc_u32 s13, s13, s19
	v_ashrrev_i32_e32 v5, 31, v4
	v_lshl_add_u64 v[4:5], v[4:5], 1, s[12:13]
	v_mov_b32_e32 v43, 0
	v_lshl_add_u64 v[4:5], v[4:5], 0, v[42:43]
	global_load_dwordx4 v[8:11], v[4:5], off
	v_and_b32_e32 v4, 3, v0
	v_lshlrev_b32_e32 v5, 5, v7
	v_lshlrev_b32_e32 v7, 9, v54
	;; [unrolled: 1-line block ×3, first 2 shown]
	v_and_b32_e32 v7, 0x1800, v7
	v_or3_b32 v4, v7, v4, v5
	s_waitcnt vmcnt(0)
	ds_write_b128 v4, v[8:11]
.LBB391_11:
	s_or_b64 exec, exec, s[10:11]
	s_waitcnt lgkmcnt(0)
	s_mul_i32 s4, s4, s46
	s_mov_b32 s5, 0
	s_lshl_b64 s[4:5], s[4:5], 1
	s_add_u32 s10, s14, s4
	v_lshlrev_b32_e32 v52, 4, v0
	s_addc_u32 s11, s15, s5
	v_and_b32_e32 v44, 0xf0, v52
	v_mov_b32_e32 v45, 0
	v_lshl_add_u64 v[16:17], s[10:11], 0, v[44:45]
	s_waitcnt vmcnt(3)
	v_mad_i64_i32 v[4:5], s[10:11], v3, s45, 0
	s_waitcnt vmcnt(2)
	v_mad_i64_i32 v[2:3], s[10:11], v2, s45, 0
	;; [unrolled: 2-line block ×3, first 2 shown]
	v_lshl_add_u64 v[4:5], v[4:5], 1, v[16:17]
	v_and_b32_e32 v44, 0x300, v52
	v_lshl_add_u64 v[2:3], v[2:3], 1, v[16:17]
	v_lshl_add_u64 v[6:7], v[6:7], 1, v[16:17]
	s_waitcnt vmcnt(0)
	v_mad_i64_i32 v[14:15], s[10:11], v14, s45, 0
	v_lshl_add_u64 v[4:5], v[4:5], 0, v[44:45]
	v_lshl_add_u64 v[8:9], v[2:3], 0, v[44:45]
	;; [unrolled: 1-line block ×4, first 2 shown]
	s_barrier
	global_load_dwordx4 v[30:33], v[4:5], off
	global_load_dwordx4 v[10:13], v[4:5], off offset:1024
	global_load_dwordx4 v[22:25], v[8:9], off
	s_nop 0
	global_load_dwordx4 v[2:5], v[8:9], off offset:1024
	global_load_dwordx4 v[26:29], v[18:19], off
	s_nop 0
	global_load_dwordx4 v[6:9], v[18:19], off offset:1024
	v_lshl_add_u64 v[18:19], v[14:15], 0, v[44:45]
	global_load_dwordx4 v[34:37], v[18:19], off
	global_load_dwordx4 v[14:17], v[18:19], off offset:1024
	v_and_b32_e32 v18, 7, v0
	v_lshlrev_b32_e32 v18, 5, v18
	v_lshl_or_b32 v18, v1, 9, v18
	ds_read_b128 v[38:41], v18
	ds_read_b128 v[18:21], v18 offset:2048
	v_and_b32_e32 v55, 63, v0
	v_mov_b32_e32 v56, 0
	s_and_saveexec_b64 s[10:11], s[30:31]
	s_cbranch_execz .LBB391_13
; %bb.12:
	s_load_dwordx2 s[12:13], s[0:1], 0x40
	v_or_b32_e32 v46, s29, v54
	v_ashrrev_i32_e32 v47, 31, v46
	s_waitcnt lgkmcnt(0)
	v_lshl_add_u64 v[46:47], v[46:47], 2, s[12:13]
	global_load_dword v56, v[46:47], off
.LBB391_13:
	s_or_b64 exec, exec, s[10:11]
	v_and_or_b32 v44, v0, 48, s16
	v_ashrrev_i32_e32 v43, 4, v44
	v_mov_b32_e32 v57, s17
	v_cmp_gt_i32_e32 vcc, s33, v44
	s_waitcnt vmcnt(5) lgkmcnt(1)
	v_mfma_f32_16x16x16_bf16 v[58:61], v[22:23], v[38:39], 0
	s_load_dword s10, s[0:1], 0x1c
	v_cndmask_b32_e32 v46, v57, v43, vcc
	v_ashrrev_i32_e32 v47, 31, v46
	v_or_b32_e32 v43, 64, v44
	v_lshl_add_u64 v[50:51], v[46:47], 2, s[6:7]
	v_mfma_f32_16x16x16_bf16 v[46:49], v[30:31], v[38:39], 0
	v_ashrrev_i32_e32 v30, 4, v43
	v_cmp_gt_i32_e32 vcc, s33, v43
	global_load_dword v70, v[50:51], off
	s_waitcnt vmcnt(4)
	v_mfma_f32_16x16x16_bf16 v[62:65], v[26:27], v[38:39], 0
	v_cndmask_b32_e32 v30, v57, v30, vcc
	v_ashrrev_i32_e32 v31, 31, v30
	v_lshl_add_u64 v[22:23], v[30:31], 2, s[6:7]
	global_load_dword v71, v[22:23], off
	v_mfma_f32_16x16x16_bf16 v[22:25], v[24:25], v[40:41], v[58:61]
	v_and_b32_e32 v26, 0xc0, v0
	s_add_u32 s4, s8, s4
	v_lshlrev_b32_e32 v43, 5, v54
	v_mfma_f32_16x16x16_bf16 v[30:33], v[32:33], v[40:41], v[46:49]
	s_addc_u32 s5, s9, s5
	s_mov_b32 s42, 0xff7fffff
	s_waitcnt vmcnt(3)
	v_mfma_f32_16x16x16_bf16 v[66:69], v[34:35], v[38:39], 0
	v_or_b32_e32 v38, 0x80, v44
	v_add_u32_e32 v46, s16, v26
	v_or_b32_e32 v39, 0xc0, v44
	v_mfma_f32_16x16x16_bf16 v[26:29], v[28:29], v[40:41], v[62:65]
	v_ashrrev_i32_e32 v47, 4, v38
	v_cmp_gt_i32_e32 vcc, s33, v38
	v_ashrrev_i32_e32 v48, 4, v39
	s_waitcnt lgkmcnt(0)
	v_mfma_f32_16x16x16_bf16 v[22:25], v[2:3], v[18:19], v[22:25]
	v_cndmask_b32_e32 v38, v57, v47, vcc
	v_cmp_gt_i32_e32 vcc, s33, v39
	v_ashrrev_i32_e32 v39, 31, v38
	v_mfma_f32_16x16x16_bf16 v[30:33], v[10:11], v[18:19], v[30:33]
	v_cndmask_b32_e32 v10, v57, v48, vcc
	v_ashrrev_i32_e32 v11, 31, v10
	v_lshl_or_b32 v58, v1, 2, v46
	v_mfma_f32_16x16x16_bf16 v[26:29], v[6:7], v[18:19], v[26:29]
	v_lshl_add_u64 v[6:7], v[38:39], 2, s[6:7]
	v_lshl_add_u64 v[38:39], v[10:11], 2, s[6:7]
	v_or_b32_e32 v57, 1, v58
	v_mfma_f32_16x16x16_bf16 v[2:5], v[4:5], v[20:21], v[22:25]
	s_nop 2
	global_load_dword v22, v[6:7], off
	global_load_dword v61, v[38:39], off
	v_subrev_u32_e32 v59, s33, v57
	v_cvt_f32_i32_e32 v60, v59
	v_mfma_f32_16x16x16_bf16 v[34:37], v[36:37], v[40:41], v[66:69]
	v_pk_mul_f32 v[46:47], s[10:11], v[4:5] op_sel_hi:[0,1]
	v_lshl_or_b32 v44, v53, 9, v43
	v_lshl_add_u64 v[44:45], s[4:5], 0, v[44:45]
	s_waitcnt vmcnt(4)
	v_mfma_f32_16x16x16_bf16 v[34:37], v[14:15], v[18:19], v[34:37]
	v_add_u32_e32 v14, 1, v59
	v_add_u32_e32 v15, 2, v59
	v_cvt_f32_i32_e32 v23, v14
	v_cvt_f32_i32_e32 v24, v15
	v_mfma_f32_16x16x16_bf16 v[14:17], v[16:17], v[20:21], v[34:37]
	v_add_u32_e32 v18, 3, v59
	v_cvt_f32_i32_e32 v18, v18
	v_pk_mul_f32 v[48:49], s[10:11], v[2:3] op_sel_hi:[0,1]
	v_mfma_f32_16x16x16_bf16 v[10:13], v[12:13], v[20:21], v[30:33]
	v_cmp_gt_i32_e64 s[34:35], s33, v57
	s_nop 1
	v_pk_mul_f32 v[36:37], s[10:11], v[14:15] op_sel_hi:[0,1]
	v_add_u32_e32 v15, 19, v59
	v_add_u32_e32 v31, 18, v59
	v_cvt_f32_i32_e32 v14, v31
	v_cvt_f32_i32_e32 v15, v15
	v_mfma_f32_16x16x16_bf16 v[6:9], v[8:9], v[20:21], v[26:29]
	v_pk_mul_f32 v[34:35], s[10:11], v[16:17] op_sel_hi:[0,1]
	v_fma_f32 v46, v56, v14, v46
	v_add_u32_e32 v14, 32, v59
	v_fmac_f32_e32 v47, v56, v15
	v_cvt_f32_i32_e32 v14, v14
	v_add_u32_e32 v15, 33, v59
	v_add_u32_e32 v16, 34, v59
	v_cvt_f32_i32_e32 v15, v15
	v_cvt_f32_i32_e32 v16, v16
	v_add_u32_e32 v17, 35, v59
	v_cvt_f32_i32_e32 v17, v17
	v_pk_mul_f32 v[40:41], s[10:11], v[6:7] op_sel_hi:[0,1]
	v_pk_mul_f32 v[38:39], s[10:11], v[8:9] op_sel_hi:[0,1]
	v_fma_f32 v40, v56, v14, v40
	v_add_u32_e32 v14, 48, v59
	v_fmac_f32_e32 v41, v56, v15
	v_fma_f32 v38, v56, v16, v38
	v_cvt_f32_i32_e32 v14, v14
	v_add_u32_e32 v15, 49, v59
	v_add_u32_e32 v16, 50, v59
	v_fmac_f32_e32 v39, v56, v17
	v_cvt_f32_i32_e32 v15, v15
	v_cvt_f32_i32_e32 v16, v16
	v_add_u32_e32 v17, 51, v59
	v_cvt_f32_i32_e32 v17, v17
	v_pk_mul_f32 v[50:51], s[10:11], v[12:13] op_sel_hi:[0,1]
	v_pk_mul_f32 v[10:11], s[10:11], v[10:11] op_sel_hi:[0,1]
	s_waitcnt vmcnt(3)
	v_mad_i64_i32 v[2:3], s[4:5], v70, s45, 0
	s_waitcnt vmcnt(2)
	v_mad_i64_i32 v[12:13], s[4:5], v71, s45, 0
	v_fma_f32 v10, v56, v60, v10
	v_fmac_f32_e32 v11, v56, v23
	v_fma_f32 v36, v56, v14, v36
	v_mov_b32_e32 v14, 0xff7fffff
	v_cmp_gt_i32_e64 s[4:5], s33, v58
	v_add_u32_e32 v19, 16, v59
	v_add_u32_e32 v30, 17, v59
	v_fmac_f32_e32 v37, v56, v15
	v_fma_f32 v34, v56, v16, v34
	v_cndmask_b32_e64 v15, v14, v10, s[4:5]
	v_cndmask_b32_e64 v16, v14, v11, s[34:35]
	v_cvt_f32_i32_e32 v19, v19
	v_cvt_f32_i32_e32 v25, v30
	v_fmac_f32_e32 v35, v56, v17
	v_max3_f32 v15, v15, s42, v16
	v_or_b32_e32 v16, 2, v58
	v_or_b32_e32 v17, 3, v58
	v_fma_f32 v50, v56, v24, v50
	v_fmac_f32_e32 v51, v56, v18
	v_cmp_gt_i32_e64 s[36:37], s33, v16
	v_cmp_gt_i32_e64 s[38:39], s33, v17
	v_fma_f32 v48, v56, v19, v48
	v_cndmask_b32_e64 v16, v14, v50, s[36:37]
	v_cndmask_b32_e64 v17, v14, v51, s[38:39]
	v_max3_f32 v15, v15, v16, v17
	v_or_b32_e32 v16, 16, v58
	v_or_b32_e32 v17, 17, v58
	v_fmac_f32_e32 v49, v56, v25
	v_cmp_gt_i32_e64 s[24:25], s33, v16
	v_cmp_gt_i32_e64 s[26:27], s33, v17
	v_lshl_add_u64 v[2:3], v[2:3], 1, v[44:45]
	v_cndmask_b32_e64 v16, v14, v48, s[24:25]
	v_cndmask_b32_e64 v17, v14, v49, s[26:27]
	v_max3_f32 v15, v15, v16, v17
	v_or_b32_e32 v16, 18, v58
	v_or_b32_e32 v17, 19, v58
	v_cmp_gt_i32_e64 s[20:21], s33, v16
	v_cmp_gt_i32_e64 s[22:23], s33, v17
	v_lshl_add_u64 v[12:13], v[12:13], 1, v[44:45]
	v_cndmask_b32_e64 v16, v14, v46, s[20:21]
	v_cndmask_b32_e64 v17, v14, v47, s[22:23]
	v_max3_f32 v15, v15, v16, v17
	v_or_b32_e32 v16, 32, v58
	v_or_b32_e32 v17, 33, v58
	v_cmp_gt_i32_e64 s[16:17], s33, v16
	v_cmp_gt_i32_e64 s[18:19], s33, v17
	global_load_dwordx4 v[6:9], v[2:3], off
	s_nop 0
	global_load_dwordx4 v[2:5], v[2:3], off offset:16
	v_cndmask_b32_e64 v16, v14, v40, s[16:17]
	v_cndmask_b32_e64 v17, v14, v41, s[18:19]
	v_max3_f32 v15, v15, v16, v17
	v_or_b32_e32 v16, 34, v58
	v_or_b32_e32 v17, 35, v58
	v_cmp_gt_i32_e64 s[12:13], s33, v16
	v_cmp_gt_i32_e64 s[14:15], s33, v17
	global_load_dwordx4 v[30:33], v[12:13], off
	global_load_dwordx4 v[26:29], v[12:13], off offset:16
	v_cndmask_b32_e64 v16, v14, v38, s[12:13]
	v_cndmask_b32_e64 v17, v14, v39, s[14:15]
	v_max3_f32 v15, v15, v16, v17
	v_or_b32_e32 v16, 48, v58
	v_or_b32_e32 v17, 49, v58
	v_cmp_gt_i32_e64 s[8:9], s33, v16
	v_cmp_gt_i32_e64 s[10:11], s33, v17
	s_nop 0
	v_cndmask_b32_e64 v16, v14, v36, s[8:9]
	v_cndmask_b32_e64 v17, v14, v37, s[10:11]
	v_max3_f32 v15, v15, v16, v17
	v_or_b32_e32 v16, 50, v58
	v_or_b32_e32 v17, 51, v58
	v_cmp_gt_i32_e32 vcc, s33, v16
	v_cmp_gt_i32_e64 s[6:7], s33, v17
	s_nop 0
	v_cndmask_b32_e32 v16, v14, v34, vcc
	v_cndmask_b32_e64 v14, v14, v35, s[6:7]
	v_max3_f32 v14, v15, v16, v14
	v_mbcnt_lo_u32_b32 v15, -1, 0
	v_mbcnt_hi_u32_b32 v15, -1, v15
	v_and_b32_e32 v16, 64, v15
	v_add_u32_e32 v16, 64, v16
	v_xor_b32_e32 v17, 32, v15
	v_cmp_lt_i32_e64 s[40:41], v17, v16
	s_nop 1
	v_cndmask_b32_e64 v17, v15, v17, s[40:41]
	v_lshlrev_b32_e32 v57, 2, v17
	ds_bpermute_b32 v17, v57, v14
	s_waitcnt vmcnt(5)
	v_mad_i64_i32 v[12:13], s[40:41], v22, s45, 0
	v_lshl_add_u64 v[12:13], v[12:13], 1, v[44:45]
	global_load_dwordx4 v[22:25], v[12:13], off
	global_load_dwordx4 v[18:21], v[12:13], off offset:16
	s_waitcnt lgkmcnt(0)
	v_max_f32_e32 v17, v17, v17
	v_max_f32_e32 v14, v14, v17
	v_xor_b32_e32 v17, 16, v15
	v_cmp_lt_i32_e64 s[40:41], v17, v16
	s_nop 1
	v_cndmask_b32_e64 v15, v15, v17, s[40:41]
	v_lshlrev_b32_e32 v58, 2, v15
	ds_bpermute_b32 v15, v58, v14
	s_waitcnt vmcnt(6)
	v_mad_i64_i32 v[12:13], s[40:41], v61, s45, 0
	v_lshl_add_u64 v[12:13], v[12:13], 1, v[44:45]
	s_waitcnt lgkmcnt(0)
	v_max_f32_e32 v15, v15, v15
	v_max_f32_e32 v56, v14, v15
	v_sub_f32_e32 v10, v10, v56
	v_mul_f32_e32 v10, 0x3fb8aa3b, v10
	v_exp_f32_e32 v44, v10
	v_sub_f32_e32 v10, v11, v56
	v_mul_f32_e32 v10, 0x3fb8aa3b, v10
	v_exp_f32_e32 v45, v10
	global_load_dwordx4 v[14:17], v[12:13], off
	s_nop 0
	global_load_dwordx4 v[10:13], v[12:13], off offset:16
	v_sub_f32_e32 v50, v50, v56
	v_mul_f32_e32 v50, 0x3fb8aa3b, v50
	v_sub_f32_e32 v51, v51, v56
	v_exp_f32_e32 v50, v50
	v_mul_f32_e32 v51, 0x3fb8aa3b, v51
	v_sub_f32_e32 v48, v48, v56
	v_exp_f32_e32 v51, v51
	v_mul_f32_e32 v48, 0x3fb8aa3b, v48
	v_sub_f32_e32 v49, v49, v56
	v_cndmask_b32_e64 v44, 0, v44, s[4:5]
	v_exp_f32_e32 v48, v48
	v_mul_f32_e32 v49, 0x3fb8aa3b, v49
	v_sub_f32_e32 v46, v46, v56
	v_add_f32_e32 v59, 0, v44
	v_cndmask_b32_e64 v45, 0, v45, s[34:35]
	v_exp_f32_e32 v49, v49
	v_mul_f32_e32 v46, 0x3fb8aa3b, v46
	v_sub_f32_e32 v47, v47, v56
	v_add_f32_e32 v59, v59, v45
	;; [unrolled: 5-line block ×10, first 2 shown]
	v_cndmask_b32_e64 v38, 0, v38, s[12:13]
	v_exp_f32_e32 v34, v34
	v_mul_f32_e32 v35, 0x3fb8aa3b, v35
	v_add_f32_e32 v59, v59, v38
	v_cndmask_b32_e64 v39, 0, v39, s[14:15]
	v_exp_f32_e32 v35, v35
	v_add_f32_e32 v59, v59, v39
	v_cndmask_b32_e64 v36, 0, v36, s[8:9]
	v_add_f32_e32 v59, v59, v36
	v_cndmask_b32_e64 v37, 0, v37, s[10:11]
	v_add_f32_e32 v59, v59, v37
	v_cndmask_b32_e32 v34, 0, v34, vcc
	v_add_f32_e32 v59, v59, v34
	v_cndmask_b32_e64 v35, 0, v35, s[6:7]
	v_add_f32_e32 v59, v59, v35
	ds_bpermute_b32 v57, v57, v59
	s_load_dword s7, s[0:1], 0x98
	v_cmp_gt_u32_e32 vcc, 16, v55
	v_lshlrev_b32_e32 v55, 2, v54
	s_waitcnt lgkmcnt(0)
	v_add_f32_e32 v57, v59, v57
	ds_bpermute_b32 v58, v58, v57
	s_barrier
	s_waitcnt lgkmcnt(0)
	s_and_saveexec_b64 s[4:5], vcc
	s_cbranch_execz .LBB391_15
; %bb.14:
	v_add_f32_e32 v54, v57, v58
	v_lshl_or_b32 v57, v53, 6, v55
	ds_write2st64_b32 v57, v56, v54 offset1:1
.LBB391_15:
	s_or_b64 exec, exec, s[4:5]
	s_load_dword s6, s[0:1], 0x94
	s_waitcnt lgkmcnt(0)
	s_barrier
	ds_read2_b32 v[56:57], v55 offset1:16
	ds_read2_b32 v[58:59], v55 offset0:32 offset1:48
	ds_read2_b32 v[60:61], v55 offset0:64 offset1:80
	s_movk_i32 s8, 0x7fff
	s_mov_b32 s9, 0x7060302
	s_waitcnt lgkmcnt(2)
	v_max3_f32 v54, v56, s42, v57
	s_waitcnt lgkmcnt(1)
	v_max3_f32 v54, v54, v58, v59
	v_sub_f32_e32 v56, v56, v54
	v_mul_f32_e32 v56, 0x3fb8aa3b, v56
	v_exp_f32_e32 v62, v56
	v_sub_f32_e32 v56, v57, v54
	v_mul_f32_e32 v56, 0x3fb8aa3b, v56
	v_exp_f32_e32 v63, v56
	;; [unrolled: 3-line block ×3, first 2 shown]
	ds_read2_b32 v[56:57], v55 offset0:96 offset1:112
	v_sub_f32_e32 v55, v59, v54
	v_mul_f32_e32 v55, 0x3fb8aa3b, v55
	v_exp_f32_e32 v59, v55
	s_waitcnt lgkmcnt(1)
	v_fma_f32 v55, v62, v60, 0
	v_fmac_f32_e32 v55, v63, v61
	s_waitcnt lgkmcnt(0)
	v_fmac_f32_e32 v55, v58, v56
	v_fmac_f32_e32 v55, v59, v57
	v_add_f32_e32 v56, 0x358637bd, v55
	v_div_scale_f32 v57, s[4:5], v56, v56, 1.0
	v_rcp_f32_e32 v60, v57
	s_lshl_b32 s7, s7, 3
	s_barrier
	v_fma_f32 v61, -v57, v60, 1.0
	v_fmac_f32_e32 v60, v61, v60
	v_div_scale_f32 v61, vcc, 1.0, v56, 1.0
	v_mul_f32_e32 v64, v61, v60
	v_fma_f32 v65, -v57, v64, v61
	v_fmac_f32_e32 v64, v65, v60
	v_fma_f32 v57, -v57, v64, v61
	v_div_fmas_f32 v57, v57, v60, v64
	v_cmp_eq_u32_e32 vcc, 1, v53
	v_div_fixup_f32 v56, v57, v56, 1.0
	s_nop 0
	v_cndmask_b32_e32 v57, v62, v63, vcc
	v_cmp_eq_u32_e32 vcc, 2, v53
	s_nop 1
	v_cndmask_b32_e32 v57, v57, v58, vcc
	v_cmp_eq_u32_e32 vcc, 3, v53
	s_nop 1
	v_cndmask_b32_e32 v57, v57, v59, vcc
	v_mul_f32_e32 v56, v57, v56
	v_pk_mul_f32 v[44:45], v[56:57], v[44:45] op_sel_hi:[0,1]
	v_pk_mul_f32 v[50:51], v[56:57], v[50:51] op_sel_hi:[0,1]
	v_bfe_u32 v57, v45, 16, 1
	v_bfe_u32 v58, v44, 16, 1
	v_add3_u32 v44, v44, v58, s8
	v_add3_u32 v45, v45, v57, s8
	v_perm_b32 v58, v45, v44, s9
	v_bfe_u32 v44, v51, 16, 1
	v_bfe_u32 v45, v50, 16, 1
	v_add3_u32 v45, v50, v45, s8
	v_add3_u32 v44, v51, v44, s8
	v_perm_b32 v59, v44, v45, s9
	v_lshlrev_b32_e32 v44, 3, v1
	v_lshlrev_b32_e32 v45, 11, v53
	v_pk_mul_f32 v[48:49], v[56:57], v[48:49] op_sel_hi:[0,1]
	v_or3_b32 v44, v45, v43, v44
	v_bfe_u32 v45, v49, 16, 1
	v_bfe_u32 v50, v48, 16, 1
	v_pk_mul_f32 v[46:47], v[56:57], v[46:47] op_sel_hi:[0,1]
	v_add3_u32 v48, v48, v50, s8
	v_add3_u32 v45, v49, v45, s8
	v_perm_b32 v48, v45, v48, s9
	v_bfe_u32 v45, v47, 16, 1
	v_bfe_u32 v49, v46, 16, 1
	v_add3_u32 v46, v46, v49, s8
	v_add3_u32 v45, v47, v45, s8
	v_pk_mul_f32 v[40:41], v[56:57], v[40:41] op_sel_hi:[0,1]
	v_perm_b32 v49, v45, v46, s9
	v_bfe_u32 v45, v41, 16, 1
	v_bfe_u32 v46, v40, 16, 1
	v_pk_mul_f32 v[38:39], v[56:57], v[38:39] op_sel_hi:[0,1]
	v_add3_u32 v40, v40, v46, s8
	v_add3_u32 v41, v41, v45, s8
	v_perm_b32 v40, v41, v40, s9
	v_bfe_u32 v41, v39, 16, 1
	v_bfe_u32 v45, v38, 16, 1
	v_add3_u32 v38, v38, v45, s8
	v_add3_u32 v39, v39, v41, s8
	v_pk_mul_f32 v[36:37], v[56:57], v[36:37] op_sel_hi:[0,1]
	v_perm_b32 v41, v39, v38, s9
	v_bfe_u32 v38, v37, 16, 1
	v_bfe_u32 v39, v36, 16, 1
	v_pk_mul_f32 v[34:35], v[56:57], v[34:35] op_sel_hi:[0,1]
	v_add3_u32 v36, v36, v39, s8
	v_add3_u32 v37, v37, v38, s8
	v_perm_b32 v36, v37, v36, s9
	v_bfe_u32 v37, v35, 16, 1
	v_bfe_u32 v38, v34, 16, 1
	v_add3_u32 v34, v34, v38, s8
	v_add3_u32 v35, v35, v37, s8
	v_perm_b32 v37, v35, v34, s9
	v_cmp_gt_u32_e32 vcc, 8, v0
	ds_write2st64_b64 v44, v[58:59], v[48:49] offset1:1
	ds_write2st64_b64 v44, v[40:41], v[36:37] offset0:2 offset1:3
	s_and_saveexec_b64 s[4:5], vcc
	s_cbranch_execz .LBB391_17
; %bb.16:
	v_or_b32_e32 v34, s29, v0
	v_mov_b32_e32 v35, 0
	v_mov_b32_e32 v36, s7
	v_mad_u64_u32 v[36:37], s[10:11], s2, v36, v[34:35]
	v_mov_b32_e32 v34, s28
	s_load_dwordx4 s[12:15], s[0:1], 0x58
	s_mul_i32 s3, s3, s7
	v_mad_u64_u32 v[34:35], s[10:11], v36, s6, v[34:35]
	v_add_u32_e32 v37, s3, v37
	v_mov_b32_e32 v36, v35
	v_mad_u64_u32 v[36:37], s[10:11], v37, s6, v[36:37]
	v_mov_b32_e32 v35, v36
	v_lshlrev_b64 v[34:35], 2, v[34:35]
	s_waitcnt lgkmcnt(0)
	v_lshl_add_u64 v[36:37], s[14:15], 0, v[34:35]
	v_lshl_add_u64 v[34:35], s[12:13], 0, v[34:35]
	global_store_dword v[36:37], v54, off
	global_store_dword v[34:35], v55, off
.LBB391_17:
	s_or_b64 exec, exec, s[4:5]
	v_lshl_or_b32 v43, v1, 9, v43
	s_waitcnt lgkmcnt(0)
	s_barrier
	ds_read_b128 v[34:37], v43
	ds_read_b128 v[38:41], v43 offset:16
	s_waitcnt vmcnt(7) lgkmcnt(1)
	v_mfma_f32_16x16x16_bf16 v[46:49], v[6:7], v[34:35], 0
	v_cmp_gt_u32_e32 vcc, 64, v0
	s_mov_b32 s3, 0
	s_and_b64 s[4:5], vcc, s[30:31]
	v_mfma_f32_16x16x16_bf16 v[6:9], v[8:9], v[36:37], v[46:49]
	s_waitcnt vmcnt(6) lgkmcnt(0)
	v_mfma_f32_16x16x16_bf16 v[6:9], v[2:3], v[38:39], v[6:9]
	v_mfma_f32_16x16x16_bf16 v[2:5], v[4:5], v[40:41], v[6:9]
	s_nop 5
	ds_read_b128 v[6:9], v43 offset:2048
	ds_read_b128 v[34:37], v43 offset:2064
	s_waitcnt vmcnt(5) lgkmcnt(1)
	v_mfma_f32_16x16x16_bf16 v[2:5], v[30:31], v[6:7], v[2:5]
	v_mfma_f32_16x16x16_bf16 v[2:5], v[32:33], v[8:9], v[2:5]
	s_waitcnt vmcnt(4) lgkmcnt(0)
	v_mfma_f32_16x16x16_bf16 v[2:5], v[26:27], v[34:35], v[2:5]
	v_mfma_f32_16x16x16_bf16 v[2:5], v[28:29], v[36:37], v[2:5]
	ds_read_b128 v[6:9], v43 offset:4096
	ds_read_b128 v[26:29], v43 offset:4112
	s_waitcnt vmcnt(3) lgkmcnt(1)
	v_mfma_f32_16x16x16_bf16 v[2:5], v[22:23], v[6:7], v[2:5]
	v_mfma_f32_16x16x16_bf16 v[2:5], v[24:25], v[8:9], v[2:5]
	s_waitcnt vmcnt(2) lgkmcnt(0)
	v_mfma_f32_16x16x16_bf16 v[2:5], v[18:19], v[26:27], v[2:5]
	v_mfma_f32_16x16x16_bf16 v[2:5], v[20:21], v[28:29], v[2:5]
	ds_read_b128 v[6:9], v43 offset:6144
	ds_read_b128 v[18:21], v43 offset:6160
	v_mov_b32_e32 v43, 0
	s_waitcnt vmcnt(1) lgkmcnt(0)
	v_mfma_f32_16x16x16_bf16 v[2:5], v[14:15], v[6:7], v[2:5]
	s_barrier
	v_mfma_f32_16x16x16_bf16 v[2:5], v[16:17], v[8:9], v[2:5]
	s_waitcnt vmcnt(0)
	v_mfma_f32_16x16x16_bf16 v[2:5], v[10:11], v[18:19], v[2:5]
	v_mfma_f32_16x16x16_bf16 v[2:5], v[12:13], v[20:21], v[2:5]
	s_nop 6
	v_bfe_u32 v6, v3, 16, 1
	v_bfe_u32 v7, v2, 16, 1
	;; [unrolled: 1-line block ×4, first 2 shown]
	v_add3_u32 v2, v2, v7, s8
	v_add3_u32 v3, v3, v6, s8
	;; [unrolled: 1-line block ×4, first 2 shown]
	v_perm_b32 v2, v3, v2, s9
	v_perm_b32 v3, v5, v4, s9
	ds_write_b64 v44, v[2:3]
	s_waitcnt lgkmcnt(0)
	s_barrier
	s_and_saveexec_b64 s[8:9], s[4:5]
	s_cbranch_execz .LBB391_19
; %bb.18:
	s_load_dwordx2 s[0:1], s[0:1], 0x68
	s_lshl_b32 s6, s6, 6
	s_mul_i32 s2, s7, s2
	s_mul_hi_u32 s5, s2, s6
	s_mul_i32 s4, s2, s6
	s_lshl_b64 s[4:5], s[4:5], 1
	v_lshlrev_b32_e32 v0, 10, v0
	s_waitcnt lgkmcnt(0)
	s_add_u32 s4, s0, s4
	v_and_b32_e32 v0, 0x1800, v0
	v_lshlrev_b32_e32 v2, 5, v1
	v_and_b32_e32 v3, 16, v52
	s_addc_u32 s5, s1, s5
	s_lshl_b32 s2, s28, 6
	v_or3_b32 v0, v0, v2, v3
	s_lshl_b64 s[0:1], s[2:3], 1
	ds_read_b128 v[2:5], v0
	ds_read_b128 v[6:9], v0 offset:128
	s_add_u32 s0, s4, s0
	s_addc_u32 s1, s5, s1
	v_or_b32_e32 v12, s29, v1
	v_lshl_add_u64 v[10:11], s[0:1], 0, v[42:43]
	v_mad_u64_u32 v[0:1], s[0:1], v12, s6, 0
	v_lshl_add_u64 v[0:1], v[0:1], 1, v[10:11]
	s_waitcnt lgkmcnt(1)
	global_store_dwordx4 v[0:1], v[2:5], off
	v_or_b32_e32 v0, 4, v12
	v_mad_u64_u32 v[0:1], s[0:1], v0, s6, 0
	v_lshl_add_u64 v[0:1], v[0:1], 1, v[10:11]
	s_waitcnt lgkmcnt(0)
	global_store_dwordx4 v[0:1], v[6:9], off
.LBB391_19:
	s_endpgm
	.section	.rodata,"a",@progbits
	.p2align	6, 0x0
	.amdhsa_kernel _Z39paged_attention_ll4mi_QKV_mfma16_kernelI14__hip_bfloat16S0_LN4vllm18Fp8KVCacheDataTypeE0EhLi16ELi64ELi256ELb1ELi8EEvPKT_PKT0_S8_ifPKiSA_SA_iPKfiiiPfSD_PS3_PT2_iSC_SC_
		.amdhsa_group_segment_fixed_size 8192
		.amdhsa_private_segment_fixed_size 0
		.amdhsa_kernarg_size 400
		.amdhsa_user_sgpr_count 2
		.amdhsa_user_sgpr_dispatch_ptr 0
		.amdhsa_user_sgpr_queue_ptr 0
		.amdhsa_user_sgpr_kernarg_segment_ptr 1
		.amdhsa_user_sgpr_dispatch_id 0
		.amdhsa_user_sgpr_kernarg_preload_length 0
		.amdhsa_user_sgpr_kernarg_preload_offset 0
		.amdhsa_user_sgpr_private_segment_size 0
		.amdhsa_uses_dynamic_stack 0
		.amdhsa_enable_private_segment 0
		.amdhsa_system_sgpr_workgroup_id_x 1
		.amdhsa_system_sgpr_workgroup_id_y 1
		.amdhsa_system_sgpr_workgroup_id_z 1
		.amdhsa_system_sgpr_workgroup_info 0
		.amdhsa_system_vgpr_workitem_id 0
		.amdhsa_next_free_vgpr 72
		.amdhsa_next_free_sgpr 48
		.amdhsa_accum_offset 72
		.amdhsa_reserve_vcc 1
		.amdhsa_float_round_mode_32 0
		.amdhsa_float_round_mode_16_64 0
		.amdhsa_float_denorm_mode_32 3
		.amdhsa_float_denorm_mode_16_64 3
		.amdhsa_dx10_clamp 1
		.amdhsa_ieee_mode 1
		.amdhsa_fp16_overflow 0
		.amdhsa_tg_split 0
		.amdhsa_exception_fp_ieee_invalid_op 0
		.amdhsa_exception_fp_denorm_src 0
		.amdhsa_exception_fp_ieee_div_zero 0
		.amdhsa_exception_fp_ieee_overflow 0
		.amdhsa_exception_fp_ieee_underflow 0
		.amdhsa_exception_fp_ieee_inexact 0
		.amdhsa_exception_int_div_zero 0
	.end_amdhsa_kernel
	.section	.text._Z39paged_attention_ll4mi_QKV_mfma16_kernelI14__hip_bfloat16S0_LN4vllm18Fp8KVCacheDataTypeE0EhLi16ELi64ELi256ELb1ELi8EEvPKT_PKT0_S8_ifPKiSA_SA_iPKfiiiPfSD_PS3_PT2_iSC_SC_,"axG",@progbits,_Z39paged_attention_ll4mi_QKV_mfma16_kernelI14__hip_bfloat16S0_LN4vllm18Fp8KVCacheDataTypeE0EhLi16ELi64ELi256ELb1ELi8EEvPKT_PKT0_S8_ifPKiSA_SA_iPKfiiiPfSD_PS3_PT2_iSC_SC_,comdat
.Lfunc_end391:
	.size	_Z39paged_attention_ll4mi_QKV_mfma16_kernelI14__hip_bfloat16S0_LN4vllm18Fp8KVCacheDataTypeE0EhLi16ELi64ELi256ELb1ELi8EEvPKT_PKT0_S8_ifPKiSA_SA_iPKfiiiPfSD_PS3_PT2_iSC_SC_, .Lfunc_end391-_Z39paged_attention_ll4mi_QKV_mfma16_kernelI14__hip_bfloat16S0_LN4vllm18Fp8KVCacheDataTypeE0EhLi16ELi64ELi256ELb1ELi8EEvPKT_PKT0_S8_ifPKiSA_SA_iPKfiiiPfSD_PS3_PT2_iSC_SC_
                                        ; -- End function
	.section	.AMDGPU.csdata,"",@progbits
; Kernel info:
; codeLenInByte = 4268
; NumSgprs: 54
; NumVgprs: 72
; NumAgprs: 0
; TotalNumVgprs: 72
; ScratchSize: 0
; MemoryBound: 0
; FloatMode: 240
; IeeeMode: 1
; LDSByteSize: 8192 bytes/workgroup (compile time only)
; SGPRBlocks: 6
; VGPRBlocks: 8
; NumSGPRsForWavesPerEU: 54
; NumVGPRsForWavesPerEU: 72
; AccumOffset: 72
; Occupancy: 7
; WaveLimiterHint : 1
; COMPUTE_PGM_RSRC2:SCRATCH_EN: 0
; COMPUTE_PGM_RSRC2:USER_SGPR: 2
; COMPUTE_PGM_RSRC2:TRAP_HANDLER: 0
; COMPUTE_PGM_RSRC2:TGID_X_EN: 1
; COMPUTE_PGM_RSRC2:TGID_Y_EN: 1
; COMPUTE_PGM_RSRC2:TGID_Z_EN: 1
; COMPUTE_PGM_RSRC2:TIDIG_COMP_CNT: 0
; COMPUTE_PGM_RSRC3_GFX90A:ACCUM_OFFSET: 17
; COMPUTE_PGM_RSRC3_GFX90A:TG_SPLIT: 0
	.section	.text._Z39paged_attention_ll4mi_QKV_mfma16_kernelI14__hip_bfloat16S0_LN4vllm18Fp8KVCacheDataTypeE0EhLi16ELi64ELi256ELb1ELi9EEvPKT_PKT0_S8_ifPKiSA_SA_iPKfiiiPfSD_PS3_PT2_iSC_SC_,"axG",@progbits,_Z39paged_attention_ll4mi_QKV_mfma16_kernelI14__hip_bfloat16S0_LN4vllm18Fp8KVCacheDataTypeE0EhLi16ELi64ELi256ELb1ELi9EEvPKT_PKT0_S8_ifPKiSA_SA_iPKfiiiPfSD_PS3_PT2_iSC_SC_,comdat
	.protected	_Z39paged_attention_ll4mi_QKV_mfma16_kernelI14__hip_bfloat16S0_LN4vllm18Fp8KVCacheDataTypeE0EhLi16ELi64ELi256ELb1ELi9EEvPKT_PKT0_S8_ifPKiSA_SA_iPKfiiiPfSD_PS3_PT2_iSC_SC_ ; -- Begin function _Z39paged_attention_ll4mi_QKV_mfma16_kernelI14__hip_bfloat16S0_LN4vllm18Fp8KVCacheDataTypeE0EhLi16ELi64ELi256ELb1ELi9EEvPKT_PKT0_S8_ifPKiSA_SA_iPKfiiiPfSD_PS3_PT2_iSC_SC_
	.globl	_Z39paged_attention_ll4mi_QKV_mfma16_kernelI14__hip_bfloat16S0_LN4vllm18Fp8KVCacheDataTypeE0EhLi16ELi64ELi256ELb1ELi9EEvPKT_PKT0_S8_ifPKiSA_SA_iPKfiiiPfSD_PS3_PT2_iSC_SC_
	.p2align	8
	.type	_Z39paged_attention_ll4mi_QKV_mfma16_kernelI14__hip_bfloat16S0_LN4vllm18Fp8KVCacheDataTypeE0EhLi16ELi64ELi256ELb1ELi9EEvPKT_PKT0_S8_ifPKiSA_SA_iPKfiiiPfSD_PS3_PT2_iSC_SC_,@function
_Z39paged_attention_ll4mi_QKV_mfma16_kernelI14__hip_bfloat16S0_LN4vllm18Fp8KVCacheDataTypeE0EhLi16ELi64ELi256ELb1ELi9EEvPKT_PKT0_S8_ifPKiSA_SA_iPKfiiiPfSD_PS3_PT2_iSC_SC_: ; @_Z39paged_attention_ll4mi_QKV_mfma16_kernelI14__hip_bfloat16S0_LN4vllm18Fp8KVCacheDataTypeE0EhLi16ELi64ELi256ELb1ELi9EEvPKT_PKT0_S8_ifPKiSA_SA_iPKfiiiPfSD_PS3_PT2_iSC_SC_
; %bb.0:
	s_load_dwordx2 s[8:9], s[0:1], 0x30
	s_mov_b32 s28, s3
	s_mov_b64 s[6:7], 0
	s_waitcnt lgkmcnt(0)
	s_cmp_lg_u64 s[8:9], 0
	s_cselect_b64 s[10:11], -1, 0
	s_and_b64 vcc, exec, s[10:11]
	s_cbranch_vccz .LBB392_7
; %bb.1:
	s_add_i32 s12, s2, 1
	s_mov_b32 s13, 0
	s_lshl_b64 s[14:15], s[12:13], 2
	s_add_u32 s14, s8, s14
	s_mov_b32 s3, s13
	s_addc_u32 s15, s9, s15
	s_lshl_b64 s[12:13], s[2:3], 2
	s_add_u32 s12, s8, s12
	s_addc_u32 s13, s9, s13
	s_load_dword s5, s[14:15], 0x0
	s_load_dword s16, s[12:13], 0x0
	s_waitcnt lgkmcnt(0)
	s_sub_i32 s5, s5, s16
	s_cmp_eq_u32 s5, 1
	s_cselect_b64 s[12:13], -1, 0
	s_andn2_b64 vcc, exec, s[6:7]
	s_cbranch_vccnz .LBB392_3
.LBB392_2:
	s_mov_b32 s3, 0
	s_mov_b64 s[12:13], -1
.LBB392_3:
	s_andn2_b64 vcc, exec, s[12:13]
	s_cbranch_vccnz .LBB392_20
; %bb.4:
	s_load_dwordx2 s[6:7], s[0:1], 0x28
	s_lshl_b64 s[12:13], s[2:3], 2
	s_waitcnt lgkmcnt(0)
	s_add_u32 s6, s6, s12
	s_addc_u32 s7, s7, s13
	s_load_dword s29, s[6:7], 0x0
	s_lshl_b32 s16, s28, 8
	s_waitcnt lgkmcnt(0)
	s_cmp_ge_i32 s16, s29
	s_cbranch_scc1 .LBB392_20
; %bb.5:
	s_load_dwordx2 s[6:7], s[0:1], 0x20
	s_load_dword s5, s[0:1], 0x38
	s_add_i32 s14, s29, 15
	s_ashr_i32 s15, s14, 31
	v_and_b32_e32 v1, 0xcf, v0
	s_lshr_b32 s15, s15, 28
	v_add_u32_e32 v1, s16, v1
	s_add_i32 s14, s14, s15
	v_ashrrev_i32_e32 v2, 31, v1
	s_ashr_i32 s17, s14, 4
	v_lshrrev_b32_e32 v6, 28, v2
	s_add_i32 s17, s17, -1
	s_waitcnt lgkmcnt(0)
	s_mul_i32 s14, s2, s5
	s_mov_b32 s15, 0
	v_add_u32_e32 v2, v1, v6
	s_lshl_b64 s[14:15], s[14:15], 2
	v_ashrrev_i32_e32 v2, 4, v2
	v_mov_b32_e32 v7, s17
	v_cmp_gt_i32_e32 vcc, s29, v1
	s_add_u32 s6, s6, s14
	s_addc_u32 s7, s7, s15
	v_cndmask_b32_e32 v2, v7, v2, vcc
	v_ashrrev_i32_e32 v3, 31, v2
	v_lshl_add_u64 v[4:5], v[2:3], 2, s[6:7]
	v_or_b32_e32 v2, 16, v1
	v_add_u32_e32 v3, v2, v6
	v_ashrrev_i32_e32 v3, 4, v3
	v_cmp_gt_i32_e32 vcc, s29, v2
	s_load_dwordx2 s[14:15], s[0:1], 0x8
	s_nop 0
	v_cndmask_b32_e32 v2, v7, v3, vcc
	v_ashrrev_i32_e32 v3, 31, v2
	v_lshl_add_u64 v[8:9], v[2:3], 2, s[6:7]
	v_or_b32_e32 v2, 32, v1
	v_add_u32_e32 v3, v2, v6
	v_ashrrev_i32_e32 v3, 4, v3
	v_cmp_gt_i32_e32 vcc, s29, v2
	v_or_b32_e32 v1, 48, v1
	s_nop 0
	v_cndmask_b32_e32 v2, v7, v3, vcc
	v_ashrrev_i32_e32 v3, 31, v2
	v_lshl_add_u64 v[10:11], v[2:3], 2, s[6:7]
	v_add_u32_e32 v2, v1, v6
	v_ashrrev_i32_e32 v2, 4, v2
	v_cmp_gt_i32_e32 vcc, s29, v1
	s_nop 1
	v_cndmask_b32_e32 v2, v7, v2, vcc
	v_ashrrev_i32_e32 v3, 31, v2
	v_lshl_add_u64 v[12:13], v[2:3], 2, s[6:7]
	global_load_dword v3, v[4:5], off
	global_load_dword v2, v[8:9], off
	;; [unrolled: 1-line block ×4, first 2 shown]
	s_andn2_b64 vcc, exec, s[10:11]
	s_cbranch_vccnz .LBB392_8
; %bb.6:
	s_add_u32 s8, s8, s12
	s_addc_u32 s9, s9, s13
	s_load_dword s5, s[8:9], 0x0
	s_branch .LBB392_9
.LBB392_7:
	s_mov_b64 s[12:13], 0
	s_branch .LBB392_2
.LBB392_8:
	s_mov_b32 s5, s2
.LBB392_9:
	s_load_dwordx2 s[8:9], s[0:1], 0x10
	s_load_dwordx4 s[44:47], s[0:1], 0x48
	v_lshrrev_b32_e32 v45, 6, v0
	v_bfe_u32 v54, v0, 4, 2
	v_lshl_or_b32 v1, v45, 2, v54
	v_and_b32_e32 v44, 15, v0
	v_lshlrev_b32_e32 v4, 3, v44
	v_cmp_gt_u32_e32 vcc, 9, v1
	v_cmp_gt_u32_e64 s[30:31], 8, v44
	s_mul_i32 s42, s4, 9
	s_and_b64 s[12:13], s[30:31], vcc
	v_lshlrev_b32_e32 v42, 1, v4
	s_and_saveexec_b64 s[10:11], s[12:13]
	s_cbranch_execz .LBB392_11
; %bb.10:
	s_load_dwordx2 s[12:13], s[0:1], 0x0
	s_waitcnt lgkmcnt(0)
	s_ashr_i32 s18, s44, 31
	s_mul_hi_u32 s19, s5, s44
	s_mul_i32 s18, s5, s18
	s_add_i32 s19, s19, s18
	s_mul_i32 s18, s5, s44
	s_lshl_b64 s[18:19], s[18:19], 1
	s_add_u32 s12, s12, s18
	v_add_lshl_u32 v4, v1, s42, 6
	s_addc_u32 s13, s13, s19
	v_ashrrev_i32_e32 v5, 31, v4
	v_lshl_add_u64 v[4:5], v[4:5], 1, s[12:13]
	v_mov_b32_e32 v43, 0
	v_lshl_add_u64 v[4:5], v[4:5], 0, v[42:43]
	global_load_dwordx4 v[8:11], v[4:5], off
	v_and_b32_e32 v4, 3, v0
	v_lshlrev_b32_e32 v5, 9, v44
	v_lshlrev_b32_e32 v1, 5, v1
	v_lshlrev_b32_e32 v4, 9, v4
	v_and_b32_e32 v5, 0x1800, v5
	v_or3_b32 v1, v5, v4, v1
	s_waitcnt vmcnt(0)
	ds_write_b128 v1, v[8:11]
.LBB392_11:
	s_or_b64 exec, exec, s[10:11]
	s_waitcnt lgkmcnt(0)
	s_mul_i32 s4, s4, s46
	s_mov_b32 s5, 0
	s_lshl_b64 s[4:5], s[4:5], 1
	s_add_u32 s10, s14, s4
	v_lshlrev_b32_e32 v1, 4, v0
	s_addc_u32 s11, s15, s5
	v_and_b32_e32 v46, 0xf0, v1
	v_mov_b32_e32 v47, 0
	v_lshl_add_u64 v[16:17], s[10:11], 0, v[46:47]
	s_waitcnt vmcnt(3)
	v_mad_i64_i32 v[4:5], s[10:11], v3, s45, 0
	s_waitcnt vmcnt(2)
	v_mad_i64_i32 v[2:3], s[10:11], v2, s45, 0
	;; [unrolled: 2-line block ×3, first 2 shown]
	v_lshl_add_u64 v[4:5], v[4:5], 1, v[16:17]
	v_and_b32_e32 v46, 0x300, v1
	v_lshl_add_u64 v[2:3], v[2:3], 1, v[16:17]
	v_lshl_add_u64 v[6:7], v[6:7], 1, v[16:17]
	s_waitcnt vmcnt(0)
	v_mad_i64_i32 v[14:15], s[10:11], v14, s45, 0
	v_lshl_add_u64 v[4:5], v[4:5], 0, v[46:47]
	v_lshl_add_u64 v[8:9], v[2:3], 0, v[46:47]
	;; [unrolled: 1-line block ×4, first 2 shown]
	s_barrier
	global_load_dwordx4 v[30:33], v[4:5], off
	global_load_dwordx4 v[10:13], v[4:5], off offset:1024
	global_load_dwordx4 v[22:25], v[8:9], off
	s_nop 0
	global_load_dwordx4 v[2:5], v[8:9], off offset:1024
	global_load_dwordx4 v[26:29], v[18:19], off
	s_nop 0
	global_load_dwordx4 v[6:9], v[18:19], off offset:1024
	v_lshl_add_u64 v[18:19], v[14:15], 0, v[46:47]
	global_load_dwordx4 v[34:37], v[18:19], off
	global_load_dwordx4 v[14:17], v[18:19], off offset:1024
	v_add_u32_e32 v18, -9, v44
	v_cmp_gt_u32_e32 vcc, 9, v44
	v_and_b32_e32 v55, 63, v0
	v_mov_b32_e32 v56, 0
	v_cndmask_b32_e32 v18, v18, v44, vcc
	v_lshlrev_b32_e32 v18, 5, v18
	v_lshl_add_u32 v18, v54, 9, v18
	ds_read_b128 v[38:41], v18
	ds_read_b128 v[18:21], v18 offset:2048
	s_and_saveexec_b64 s[10:11], vcc
	s_cbranch_execz .LBB392_13
; %bb.12:
	s_load_dwordx2 s[12:13], s[0:1], 0x40
	v_add_u32_e32 v48, s42, v44
	v_ashrrev_i32_e32 v49, 31, v48
	s_waitcnt lgkmcnt(0)
	v_lshl_add_u64 v[48:49], v[48:49], 2, s[12:13]
	global_load_dword v56, v[48:49], off
.LBB392_13:
	s_or_b64 exec, exec, s[10:11]
	v_and_or_b32 v46, v0, 48, s16
	v_ashrrev_i32_e32 v43, 4, v46
	v_mov_b32_e32 v57, s17
	v_cmp_gt_i32_e32 vcc, s29, v46
	s_waitcnt vmcnt(5) lgkmcnt(1)
	v_mfma_f32_16x16x16_bf16 v[58:61], v[22:23], v[38:39], 0
	s_load_dword s10, s[0:1], 0x1c
	v_cndmask_b32_e32 v48, v57, v43, vcc
	v_ashrrev_i32_e32 v49, 31, v48
	v_or_b32_e32 v43, 64, v46
	v_lshl_add_u64 v[52:53], v[48:49], 2, s[6:7]
	v_mfma_f32_16x16x16_bf16 v[48:51], v[30:31], v[38:39], 0
	v_ashrrev_i32_e32 v30, 4, v43
	v_cmp_gt_i32_e32 vcc, s29, v43
	global_load_dword v70, v[52:53], off
	s_waitcnt vmcnt(4)
	v_mfma_f32_16x16x16_bf16 v[62:65], v[26:27], v[38:39], 0
	v_cndmask_b32_e32 v30, v57, v30, vcc
	v_ashrrev_i32_e32 v31, 31, v30
	v_lshl_add_u64 v[22:23], v[30:31], 2, s[6:7]
	global_load_dword v71, v[22:23], off
	v_mfma_f32_16x16x16_bf16 v[22:25], v[24:25], v[40:41], v[58:61]
	v_and_b32_e32 v26, 0xc0, v0
	s_add_u32 s4, s8, s4
	v_lshlrev_b32_e32 v43, 5, v44
	v_mfma_f32_16x16x16_bf16 v[30:33], v[32:33], v[40:41], v[48:51]
	s_addc_u32 s5, s9, s5
	s_mov_b32 s33, 0xff7fffff
	s_waitcnt vmcnt(3)
	v_mfma_f32_16x16x16_bf16 v[66:69], v[34:35], v[38:39], 0
	v_or_b32_e32 v38, 0x80, v46
	v_add_u32_e32 v48, s16, v26
	v_or_b32_e32 v39, 0xc0, v46
	v_mfma_f32_16x16x16_bf16 v[26:29], v[28:29], v[40:41], v[62:65]
	v_ashrrev_i32_e32 v49, 4, v38
	v_cmp_gt_i32_e32 vcc, s29, v38
	v_ashrrev_i32_e32 v50, 4, v39
	s_waitcnt lgkmcnt(0)
	v_mfma_f32_16x16x16_bf16 v[22:25], v[2:3], v[18:19], v[22:25]
	v_cndmask_b32_e32 v38, v57, v49, vcc
	v_cmp_gt_i32_e32 vcc, s29, v39
	v_ashrrev_i32_e32 v39, 31, v38
	v_mfma_f32_16x16x16_bf16 v[30:33], v[10:11], v[18:19], v[30:33]
	v_cndmask_b32_e32 v10, v57, v50, vcc
	v_ashrrev_i32_e32 v11, 31, v10
	v_lshl_or_b32 v58, v54, 2, v48
	v_mfma_f32_16x16x16_bf16 v[26:29], v[6:7], v[18:19], v[26:29]
	v_lshl_add_u64 v[6:7], v[38:39], 2, s[6:7]
	v_lshl_add_u64 v[38:39], v[10:11], 2, s[6:7]
	v_or_b32_e32 v57, 1, v58
	v_mfma_f32_16x16x16_bf16 v[2:5], v[4:5], v[20:21], v[22:25]
	s_nop 2
	global_load_dword v22, v[6:7], off
	global_load_dword v61, v[38:39], off
	v_subrev_u32_e32 v59, s29, v57
	v_cvt_f32_i32_e32 v60, v59
	v_mfma_f32_16x16x16_bf16 v[34:37], v[36:37], v[40:41], v[66:69]
	v_pk_mul_f32 v[48:49], s[10:11], v[4:5] op_sel_hi:[0,1]
	v_lshl_or_b32 v46, v45, 9, v43
	v_lshl_add_u64 v[46:47], s[4:5], 0, v[46:47]
	s_waitcnt vmcnt(4)
	v_mfma_f32_16x16x16_bf16 v[34:37], v[14:15], v[18:19], v[34:37]
	v_add_u32_e32 v14, 1, v59
	v_add_u32_e32 v15, 2, v59
	v_cvt_f32_i32_e32 v23, v14
	v_cvt_f32_i32_e32 v24, v15
	v_mfma_f32_16x16x16_bf16 v[14:17], v[16:17], v[20:21], v[34:37]
	v_add_u32_e32 v18, 3, v59
	v_cvt_f32_i32_e32 v18, v18
	v_pk_mul_f32 v[50:51], s[10:11], v[2:3] op_sel_hi:[0,1]
	v_mfma_f32_16x16x16_bf16 v[10:13], v[12:13], v[20:21], v[30:33]
	v_cmp_gt_i32_e64 s[34:35], s29, v57
	s_nop 1
	v_pk_mul_f32 v[36:37], s[10:11], v[14:15] op_sel_hi:[0,1]
	v_add_u32_e32 v15, 19, v59
	v_add_u32_e32 v31, 18, v59
	v_cvt_f32_i32_e32 v14, v31
	v_cvt_f32_i32_e32 v15, v15
	v_mfma_f32_16x16x16_bf16 v[6:9], v[8:9], v[20:21], v[26:29]
	v_pk_mul_f32 v[34:35], s[10:11], v[16:17] op_sel_hi:[0,1]
	v_fma_f32 v48, v56, v14, v48
	v_add_u32_e32 v14, 32, v59
	v_fmac_f32_e32 v49, v56, v15
	v_cvt_f32_i32_e32 v14, v14
	v_add_u32_e32 v15, 33, v59
	v_add_u32_e32 v16, 34, v59
	v_cvt_f32_i32_e32 v15, v15
	v_cvt_f32_i32_e32 v16, v16
	v_add_u32_e32 v17, 35, v59
	v_cvt_f32_i32_e32 v17, v17
	v_pk_mul_f32 v[40:41], s[10:11], v[6:7] op_sel_hi:[0,1]
	v_pk_mul_f32 v[38:39], s[10:11], v[8:9] op_sel_hi:[0,1]
	v_fma_f32 v40, v56, v14, v40
	v_add_u32_e32 v14, 48, v59
	v_fmac_f32_e32 v41, v56, v15
	v_fma_f32 v38, v56, v16, v38
	v_cvt_f32_i32_e32 v14, v14
	v_add_u32_e32 v15, 49, v59
	v_add_u32_e32 v16, 50, v59
	v_fmac_f32_e32 v39, v56, v17
	v_cvt_f32_i32_e32 v15, v15
	v_cvt_f32_i32_e32 v16, v16
	v_add_u32_e32 v17, 51, v59
	v_cvt_f32_i32_e32 v17, v17
	v_pk_mul_f32 v[52:53], s[10:11], v[12:13] op_sel_hi:[0,1]
	v_pk_mul_f32 v[10:11], s[10:11], v[10:11] op_sel_hi:[0,1]
	s_waitcnt vmcnt(3)
	v_mad_i64_i32 v[2:3], s[4:5], v70, s45, 0
	s_waitcnt vmcnt(2)
	v_mad_i64_i32 v[12:13], s[4:5], v71, s45, 0
	v_fma_f32 v10, v56, v60, v10
	v_fmac_f32_e32 v11, v56, v23
	v_fma_f32 v36, v56, v14, v36
	v_mov_b32_e32 v14, 0xff7fffff
	v_cmp_gt_i32_e64 s[4:5], s29, v58
	v_add_u32_e32 v19, 16, v59
	v_add_u32_e32 v30, 17, v59
	v_fmac_f32_e32 v37, v56, v15
	v_fma_f32 v34, v56, v16, v34
	v_cndmask_b32_e64 v15, v14, v10, s[4:5]
	v_cndmask_b32_e64 v16, v14, v11, s[34:35]
	v_cvt_f32_i32_e32 v19, v19
	v_cvt_f32_i32_e32 v25, v30
	v_fmac_f32_e32 v35, v56, v17
	v_max3_f32 v15, v15, s33, v16
	v_or_b32_e32 v16, 2, v58
	v_or_b32_e32 v17, 3, v58
	v_fma_f32 v52, v56, v24, v52
	v_fmac_f32_e32 v53, v56, v18
	v_cmp_gt_i32_e64 s[36:37], s29, v16
	v_cmp_gt_i32_e64 s[38:39], s29, v17
	v_fma_f32 v50, v56, v19, v50
	v_cndmask_b32_e64 v16, v14, v52, s[36:37]
	v_cndmask_b32_e64 v17, v14, v53, s[38:39]
	v_max3_f32 v15, v15, v16, v17
	v_or_b32_e32 v16, 16, v58
	v_or_b32_e32 v17, 17, v58
	v_fmac_f32_e32 v51, v56, v25
	v_cmp_gt_i32_e64 s[24:25], s29, v16
	v_cmp_gt_i32_e64 s[26:27], s29, v17
	v_lshl_add_u64 v[2:3], v[2:3], 1, v[46:47]
	v_cndmask_b32_e64 v16, v14, v50, s[24:25]
	v_cndmask_b32_e64 v17, v14, v51, s[26:27]
	v_max3_f32 v15, v15, v16, v17
	v_or_b32_e32 v16, 18, v58
	v_or_b32_e32 v17, 19, v58
	v_cmp_gt_i32_e64 s[20:21], s29, v16
	v_cmp_gt_i32_e64 s[22:23], s29, v17
	v_lshl_add_u64 v[12:13], v[12:13], 1, v[46:47]
	v_cndmask_b32_e64 v16, v14, v48, s[20:21]
	v_cndmask_b32_e64 v17, v14, v49, s[22:23]
	v_max3_f32 v15, v15, v16, v17
	v_or_b32_e32 v16, 32, v58
	v_or_b32_e32 v17, 33, v58
	v_cmp_gt_i32_e64 s[16:17], s29, v16
	v_cmp_gt_i32_e64 s[18:19], s29, v17
	global_load_dwordx4 v[6:9], v[2:3], off
	s_nop 0
	global_load_dwordx4 v[2:5], v[2:3], off offset:16
	v_cndmask_b32_e64 v16, v14, v40, s[16:17]
	v_cndmask_b32_e64 v17, v14, v41, s[18:19]
	v_max3_f32 v15, v15, v16, v17
	v_or_b32_e32 v16, 34, v58
	v_or_b32_e32 v17, 35, v58
	v_cmp_gt_i32_e64 s[12:13], s29, v16
	v_cmp_gt_i32_e64 s[14:15], s29, v17
	global_load_dwordx4 v[30:33], v[12:13], off
	global_load_dwordx4 v[26:29], v[12:13], off offset:16
	v_cndmask_b32_e64 v16, v14, v38, s[12:13]
	v_cndmask_b32_e64 v17, v14, v39, s[14:15]
	v_max3_f32 v15, v15, v16, v17
	v_or_b32_e32 v16, 48, v58
	v_or_b32_e32 v17, 49, v58
	v_cmp_gt_i32_e64 s[8:9], s29, v16
	v_cmp_gt_i32_e64 s[10:11], s29, v17
	s_nop 0
	v_cndmask_b32_e64 v16, v14, v36, s[8:9]
	v_cndmask_b32_e64 v17, v14, v37, s[10:11]
	v_max3_f32 v15, v15, v16, v17
	v_or_b32_e32 v16, 50, v58
	v_or_b32_e32 v17, 51, v58
	v_cmp_gt_i32_e32 vcc, s29, v16
	v_cmp_gt_i32_e64 s[6:7], s29, v17
	s_nop 0
	v_cndmask_b32_e32 v16, v14, v34, vcc
	v_cndmask_b32_e64 v14, v14, v35, s[6:7]
	v_max3_f32 v14, v15, v16, v14
	v_mbcnt_lo_u32_b32 v15, -1, 0
	v_mbcnt_hi_u32_b32 v15, -1, v15
	v_and_b32_e32 v16, 64, v15
	v_add_u32_e32 v16, 64, v16
	v_xor_b32_e32 v17, 32, v15
	v_cmp_lt_i32_e64 s[40:41], v17, v16
	s_nop 1
	v_cndmask_b32_e64 v17, v15, v17, s[40:41]
	v_lshlrev_b32_e32 v57, 2, v17
	ds_bpermute_b32 v17, v57, v14
	s_waitcnt vmcnt(5)
	v_mad_i64_i32 v[12:13], s[40:41], v22, s45, 0
	v_lshl_add_u64 v[12:13], v[12:13], 1, v[46:47]
	global_load_dwordx4 v[22:25], v[12:13], off
	global_load_dwordx4 v[18:21], v[12:13], off offset:16
	s_waitcnt lgkmcnt(0)
	v_max_f32_e32 v17, v17, v17
	v_max_f32_e32 v14, v14, v17
	v_xor_b32_e32 v17, 16, v15
	v_cmp_lt_i32_e64 s[40:41], v17, v16
	s_nop 1
	v_cndmask_b32_e64 v15, v15, v17, s[40:41]
	v_lshlrev_b32_e32 v59, 2, v15
	ds_bpermute_b32 v15, v59, v14
	s_waitcnt vmcnt(6)
	v_mad_i64_i32 v[12:13], s[40:41], v61, s45, 0
	v_lshl_add_u64 v[12:13], v[12:13], 1, v[46:47]
	s_waitcnt lgkmcnt(0)
	v_max_f32_e32 v15, v15, v15
	v_max_f32_e32 v56, v14, v15
	v_sub_f32_e32 v10, v10, v56
	v_mul_f32_e32 v10, 0x3fb8aa3b, v10
	v_exp_f32_e32 v46, v10
	v_sub_f32_e32 v10, v11, v56
	v_mul_f32_e32 v10, 0x3fb8aa3b, v10
	v_exp_f32_e32 v47, v10
	global_load_dwordx4 v[14:17], v[12:13], off
	s_nop 0
	global_load_dwordx4 v[10:13], v[12:13], off offset:16
	v_sub_f32_e32 v52, v52, v56
	v_mul_f32_e32 v52, 0x3fb8aa3b, v52
	v_sub_f32_e32 v53, v53, v56
	v_exp_f32_e32 v52, v52
	v_mul_f32_e32 v53, 0x3fb8aa3b, v53
	v_sub_f32_e32 v50, v50, v56
	v_exp_f32_e32 v53, v53
	v_mul_f32_e32 v50, 0x3fb8aa3b, v50
	v_sub_f32_e32 v51, v51, v56
	v_cndmask_b32_e64 v46, 0, v46, s[4:5]
	v_exp_f32_e32 v50, v50
	v_mul_f32_e32 v51, 0x3fb8aa3b, v51
	v_sub_f32_e32 v48, v48, v56
	v_add_f32_e32 v58, 0, v46
	v_cndmask_b32_e64 v47, 0, v47, s[34:35]
	v_exp_f32_e32 v51, v51
	v_mul_f32_e32 v48, 0x3fb8aa3b, v48
	v_sub_f32_e32 v49, v49, v56
	v_add_f32_e32 v58, v58, v47
	;; [unrolled: 5-line block ×10, first 2 shown]
	v_cndmask_b32_e64 v38, 0, v38, s[12:13]
	v_exp_f32_e32 v34, v34
	v_mul_f32_e32 v35, 0x3fb8aa3b, v35
	v_add_f32_e32 v58, v58, v38
	v_cndmask_b32_e64 v39, 0, v39, s[14:15]
	v_exp_f32_e32 v35, v35
	v_add_f32_e32 v58, v58, v39
	v_cndmask_b32_e64 v36, 0, v36, s[8:9]
	v_add_f32_e32 v58, v58, v36
	v_cndmask_b32_e64 v37, 0, v37, s[10:11]
	v_add_f32_e32 v58, v58, v37
	v_cndmask_b32_e32 v34, 0, v34, vcc
	v_add_f32_e32 v58, v58, v34
	v_cndmask_b32_e64 v35, 0, v35, s[6:7]
	v_add_f32_e32 v58, v58, v35
	ds_bpermute_b32 v57, v57, v58
	s_load_dword s9, s[0:1], 0x98
	v_cmp_gt_u32_e64 s[6:7], 16, v55
	s_waitcnt lgkmcnt(0)
	s_barrier
	v_add_f32_e32 v58, v58, v57
	ds_bpermute_b32 v59, v59, v58
	v_lshlrev_b32_e32 v57, 2, v44
	s_waitcnt lgkmcnt(0)
	s_and_saveexec_b64 s[4:5], s[6:7]
	s_cbranch_execz .LBB392_15
; %bb.14:
	v_add_f32_e32 v55, v58, v59
	v_lshl_or_b32 v58, v45, 6, v57
	ds_write2st64_b32 v58, v56, v55 offset1:1
.LBB392_15:
	s_or_b64 exec, exec, s[4:5]
	s_load_dword s8, s[0:1], 0x94
	s_waitcnt lgkmcnt(0)
	s_barrier
	ds_read2_b32 v[58:59], v57 offset1:16
	ds_read2_b32 v[60:61], v57 offset0:32 offset1:48
	ds_read2_b32 v[62:63], v57 offset0:64 offset1:80
	s_movk_i32 s10, 0x7fff
	s_mov_b32 s11, 0x7060302
	s_waitcnt lgkmcnt(2)
	v_max3_f32 v55, v58, s33, v59
	s_waitcnt lgkmcnt(1)
	v_max3_f32 v55, v55, v60, v61
	v_sub_f32_e32 v56, v58, v55
	v_mul_f32_e32 v56, 0x3fb8aa3b, v56
	v_exp_f32_e32 v64, v56
	v_sub_f32_e32 v56, v59, v55
	v_mul_f32_e32 v56, 0x3fb8aa3b, v56
	v_exp_f32_e32 v65, v56
	;; [unrolled: 3-line block ×3, first 2 shown]
	ds_read2_b32 v[58:59], v57 offset0:96 offset1:112
	v_sub_f32_e32 v56, v61, v55
	v_mul_f32_e32 v56, 0x3fb8aa3b, v56
	v_exp_f32_e32 v57, v56
	s_waitcnt lgkmcnt(1)
	v_fma_f32 v56, v64, v62, 0
	v_fmac_f32_e32 v56, v65, v63
	s_waitcnt lgkmcnt(0)
	v_fmac_f32_e32 v56, v60, v58
	v_fmac_f32_e32 v56, v57, v59
	v_add_f32_e32 v58, 0x358637bd, v56
	v_div_scale_f32 v59, s[4:5], v58, v58, 1.0
	v_rcp_f32_e32 v61, v59
	s_mul_i32 s9, s9, 9
	s_barrier
	v_fma_f32 v62, -v59, v61, 1.0
	v_fmac_f32_e32 v61, v62, v61
	v_div_scale_f32 v62, vcc, 1.0, v58, 1.0
	v_mul_f32_e32 v63, v62, v61
	v_fma_f32 v66, -v59, v63, v62
	v_fmac_f32_e32 v63, v66, v61
	v_fma_f32 v59, -v59, v63, v62
	v_div_fmas_f32 v59, v59, v61, v63
	v_cmp_eq_u32_e32 vcc, 1, v45
	v_div_fixup_f32 v58, v59, v58, 1.0
	s_nop 0
	v_cndmask_b32_e32 v59, v64, v65, vcc
	v_cmp_eq_u32_e32 vcc, 2, v45
	s_nop 1
	v_cndmask_b32_e32 v59, v59, v60, vcc
	v_cmp_eq_u32_e32 vcc, 3, v45
	v_lshlrev_b32_e32 v45, 11, v45
	s_nop 0
	v_cndmask_b32_e32 v57, v59, v57, vcc
	v_mul_f32_e32 v58, v57, v58
	v_pk_mul_f32 v[46:47], v[58:59], v[46:47] op_sel_hi:[0,1]
	v_pk_mul_f32 v[52:53], v[58:59], v[52:53] op_sel_hi:[0,1]
	v_bfe_u32 v57, v47, 16, 1
	v_bfe_u32 v59, v46, 16, 1
	v_add3_u32 v46, v46, v59, s10
	v_add3_u32 v47, v47, v57, s10
	v_perm_b32 v60, v47, v46, s11
	v_bfe_u32 v46, v53, 16, 1
	v_bfe_u32 v47, v52, 16, 1
	v_add3_u32 v47, v52, v47, s10
	v_add3_u32 v46, v53, v46, s10
	v_perm_b32 v61, v46, v47, s11
	v_lshlrev_b32_e32 v46, 3, v54
	v_pk_mul_f32 v[50:51], v[58:59], v[50:51] op_sel_hi:[0,1]
	v_or3_b32 v46, v45, v43, v46
	v_bfe_u32 v45, v51, 16, 1
	v_bfe_u32 v47, v50, 16, 1
	v_pk_mul_f32 v[48:49], v[58:59], v[48:49] op_sel_hi:[0,1]
	v_add3_u32 v47, v50, v47, s10
	v_add3_u32 v45, v51, v45, s10
	v_perm_b32 v50, v45, v47, s11
	v_bfe_u32 v45, v49, 16, 1
	v_bfe_u32 v47, v48, 16, 1
	v_add3_u32 v47, v48, v47, s10
	v_add3_u32 v45, v49, v45, s10
	v_pk_mul_f32 v[40:41], v[58:59], v[40:41] op_sel_hi:[0,1]
	v_perm_b32 v51, v45, v47, s11
	v_bfe_u32 v45, v41, 16, 1
	v_bfe_u32 v47, v40, 16, 1
	v_pk_mul_f32 v[38:39], v[58:59], v[38:39] op_sel_hi:[0,1]
	v_add3_u32 v40, v40, v47, s10
	v_add3_u32 v41, v41, v45, s10
	v_perm_b32 v40, v41, v40, s11
	v_bfe_u32 v41, v39, 16, 1
	v_bfe_u32 v45, v38, 16, 1
	v_add3_u32 v38, v38, v45, s10
	v_add3_u32 v39, v39, v41, s10
	v_pk_mul_f32 v[36:37], v[58:59], v[36:37] op_sel_hi:[0,1]
	v_perm_b32 v41, v39, v38, s11
	v_bfe_u32 v38, v37, 16, 1
	v_bfe_u32 v39, v36, 16, 1
	v_pk_mul_f32 v[34:35], v[58:59], v[34:35] op_sel_hi:[0,1]
	v_add3_u32 v36, v36, v39, s10
	v_add3_u32 v37, v37, v38, s10
	v_perm_b32 v36, v37, v36, s11
	v_bfe_u32 v37, v35, 16, 1
	v_bfe_u32 v38, v34, 16, 1
	v_add3_u32 v34, v34, v38, s10
	v_add3_u32 v35, v35, v37, s10
	v_perm_b32 v37, v35, v34, s11
	v_cmp_gt_u32_e32 vcc, 9, v0
	ds_write2st64_b64 v46, v[60:61], v[50:51] offset1:1
	ds_write2st64_b64 v46, v[40:41], v[36:37] offset0:2 offset1:3
	s_and_saveexec_b64 s[4:5], vcc
	s_cbranch_execz .LBB392_17
; %bb.16:
	s_mov_b32 s43, 0
	v_mov_b32_e32 v45, 0
	v_lshl_add_u64 v[34:35], s[42:43], 0, v[44:45]
	v_mov_b32_e32 v36, s9
	v_mad_u64_u32 v[34:35], s[16:17], s2, v36, v[34:35]
	s_mul_i32 s3, s3, s9
	v_mov_b32_e32 v44, s28
	s_load_dwordx4 s[12:15], s[0:1], 0x58
	v_add_u32_e32 v37, s3, v35
	v_mad_u64_u32 v[34:35], s[16:17], v34, s8, v[44:45]
	v_mov_b32_e32 v36, v35
	v_mad_u64_u32 v[36:37], s[16:17], v37, s8, v[36:37]
	v_mov_b32_e32 v35, v36
	v_lshlrev_b64 v[34:35], 2, v[34:35]
	s_waitcnt lgkmcnt(0)
	v_lshl_add_u64 v[36:37], s[14:15], 0, v[34:35]
	v_lshl_add_u64 v[34:35], s[12:13], 0, v[34:35]
	global_store_dword v[36:37], v55, off
	global_store_dword v[34:35], v56, off
.LBB392_17:
	s_or_b64 exec, exec, s[4:5]
	v_lshl_or_b32 v43, v54, 9, v43
	s_waitcnt lgkmcnt(0)
	s_barrier
	ds_read_b128 v[34:37], v43
	ds_read_b128 v[38:41], v43 offset:16
	s_waitcnt vmcnt(7) lgkmcnt(1)
	v_mfma_f32_16x16x16_bf16 v[48:51], v[6:7], v[34:35], 0
	v_cmp_gt_u32_e32 vcc, 64, v0
	s_mov_b32 s3, 0
	s_and_b64 s[4:5], vcc, s[30:31]
	v_mfma_f32_16x16x16_bf16 v[6:9], v[8:9], v[36:37], v[48:51]
	s_waitcnt vmcnt(6) lgkmcnt(0)
	v_mfma_f32_16x16x16_bf16 v[6:9], v[2:3], v[38:39], v[6:9]
	v_mfma_f32_16x16x16_bf16 v[2:5], v[4:5], v[40:41], v[6:9]
	s_nop 5
	ds_read_b128 v[6:9], v43 offset:2048
	ds_read_b128 v[34:37], v43 offset:2064
	s_waitcnt vmcnt(5) lgkmcnt(1)
	v_mfma_f32_16x16x16_bf16 v[2:5], v[30:31], v[6:7], v[2:5]
	v_mfma_f32_16x16x16_bf16 v[2:5], v[32:33], v[8:9], v[2:5]
	s_waitcnt vmcnt(4) lgkmcnt(0)
	v_mfma_f32_16x16x16_bf16 v[2:5], v[26:27], v[34:35], v[2:5]
	v_mfma_f32_16x16x16_bf16 v[2:5], v[28:29], v[36:37], v[2:5]
	ds_read_b128 v[6:9], v43 offset:4096
	ds_read_b128 v[26:29], v43 offset:4112
	s_waitcnt vmcnt(3) lgkmcnt(1)
	v_mfma_f32_16x16x16_bf16 v[2:5], v[22:23], v[6:7], v[2:5]
	v_mfma_f32_16x16x16_bf16 v[2:5], v[24:25], v[8:9], v[2:5]
	s_waitcnt vmcnt(2) lgkmcnt(0)
	v_mfma_f32_16x16x16_bf16 v[2:5], v[18:19], v[26:27], v[2:5]
	v_mfma_f32_16x16x16_bf16 v[2:5], v[20:21], v[28:29], v[2:5]
	ds_read_b128 v[6:9], v43 offset:6144
	ds_read_b128 v[18:21], v43 offset:6160
	v_mov_b32_e32 v43, 0
	s_waitcnt vmcnt(1) lgkmcnt(0)
	v_mfma_f32_16x16x16_bf16 v[2:5], v[14:15], v[6:7], v[2:5]
	s_barrier
	v_mfma_f32_16x16x16_bf16 v[2:5], v[16:17], v[8:9], v[2:5]
	s_waitcnt vmcnt(0)
	v_mfma_f32_16x16x16_bf16 v[2:5], v[10:11], v[18:19], v[2:5]
	v_mfma_f32_16x16x16_bf16 v[2:5], v[12:13], v[20:21], v[2:5]
	s_nop 6
	v_bfe_u32 v6, v3, 16, 1
	v_bfe_u32 v7, v2, 16, 1
	;; [unrolled: 1-line block ×4, first 2 shown]
	v_add3_u32 v2, v2, v7, s10
	v_add3_u32 v3, v3, v6, s10
	;; [unrolled: 1-line block ×4, first 2 shown]
	v_perm_b32 v2, v3, v2, s11
	v_perm_b32 v3, v5, v4, s11
	ds_write_b64 v46, v[2:3]
	s_waitcnt lgkmcnt(0)
	s_barrier
	s_and_saveexec_b64 s[10:11], s[4:5]
	s_cbranch_execz .LBB392_20
; %bb.18:
	s_load_dwordx2 s[4:5], s[0:1], 0x68
	s_lshl_b32 s0, s8, 6
	s_mul_i32 s1, s9, s2
	s_mul_hi_u32 s9, s1, s0
	s_mul_i32 s8, s1, s0
	v_lshlrev_b32_e32 v0, 10, v0
	s_lshl_b64 s[8:9], s[8:9], 1
	v_and_b32_e32 v0, 0x1800, v0
	v_lshlrev_b32_e32 v2, 5, v54
	v_and_b32_e32 v1, 16, v1
	s_waitcnt lgkmcnt(0)
	s_add_u32 s1, s4, s8
	v_or3_b32 v2, v0, v2, v1
	s_addc_u32 s4, s5, s9
	s_lshl_b32 s2, s28, 6
	s_lshl_b64 s[2:3], s[2:3], 1
	ds_read_b128 v[4:7], v2 offset:128
	ds_read_b128 v[8:11], v2
	s_add_u32 s2, s1, s2
	s_addc_u32 s3, s4, s3
	v_add_u32_e32 v3, s42, v54
	v_lshl_add_u64 v[0:1], s[2:3], 0, v[42:43]
	v_mad_u64_u32 v[12:13], s[2:3], v3, s0, 0
	v_lshl_add_u64 v[12:13], v[12:13], 1, v[0:1]
	v_add_u32_e32 v3, 4, v3
	s_waitcnt lgkmcnt(0)
	global_store_dwordx4 v[12:13], v[8:11], off
	s_nop 1
	v_mad_u64_u32 v[8:9], s[2:3], v3, s0, 0
	v_lshl_add_u64 v[8:9], v[8:9], 1, v[0:1]
	global_store_dwordx4 v[8:9], v[4:7], off
	s_and_b64 exec, exec, s[6:7]
	s_cbranch_execz .LBB392_20
; %bb.19:
	ds_read_b128 v[2:5], v2 offset:256
	v_add3_u32 v6, s42, v54, 8
	v_mad_u64_u32 v[6:7], s[0:1], v6, s0, 0
	v_lshl_add_u64 v[0:1], v[6:7], 1, v[0:1]
	s_waitcnt lgkmcnt(0)
	global_store_dwordx4 v[0:1], v[2:5], off
.LBB392_20:
	s_endpgm
	.section	.rodata,"a",@progbits
	.p2align	6, 0x0
	.amdhsa_kernel _Z39paged_attention_ll4mi_QKV_mfma16_kernelI14__hip_bfloat16S0_LN4vllm18Fp8KVCacheDataTypeE0EhLi16ELi64ELi256ELb1ELi9EEvPKT_PKT0_S8_ifPKiSA_SA_iPKfiiiPfSD_PS3_PT2_iSC_SC_
		.amdhsa_group_segment_fixed_size 8192
		.amdhsa_private_segment_fixed_size 0
		.amdhsa_kernarg_size 400
		.amdhsa_user_sgpr_count 2
		.amdhsa_user_sgpr_dispatch_ptr 0
		.amdhsa_user_sgpr_queue_ptr 0
		.amdhsa_user_sgpr_kernarg_segment_ptr 1
		.amdhsa_user_sgpr_dispatch_id 0
		.amdhsa_user_sgpr_kernarg_preload_length 0
		.amdhsa_user_sgpr_kernarg_preload_offset 0
		.amdhsa_user_sgpr_private_segment_size 0
		.amdhsa_uses_dynamic_stack 0
		.amdhsa_enable_private_segment 0
		.amdhsa_system_sgpr_workgroup_id_x 1
		.amdhsa_system_sgpr_workgroup_id_y 1
		.amdhsa_system_sgpr_workgroup_id_z 1
		.amdhsa_system_sgpr_workgroup_info 0
		.amdhsa_system_vgpr_workitem_id 0
		.amdhsa_next_free_vgpr 72
		.amdhsa_next_free_sgpr 48
		.amdhsa_accum_offset 72
		.amdhsa_reserve_vcc 1
		.amdhsa_float_round_mode_32 0
		.amdhsa_float_round_mode_16_64 0
		.amdhsa_float_denorm_mode_32 3
		.amdhsa_float_denorm_mode_16_64 3
		.amdhsa_dx10_clamp 1
		.amdhsa_ieee_mode 1
		.amdhsa_fp16_overflow 0
		.amdhsa_tg_split 0
		.amdhsa_exception_fp_ieee_invalid_op 0
		.amdhsa_exception_fp_denorm_src 0
		.amdhsa_exception_fp_ieee_div_zero 0
		.amdhsa_exception_fp_ieee_overflow 0
		.amdhsa_exception_fp_ieee_underflow 0
		.amdhsa_exception_fp_ieee_inexact 0
		.amdhsa_exception_int_div_zero 0
	.end_amdhsa_kernel
	.section	.text._Z39paged_attention_ll4mi_QKV_mfma16_kernelI14__hip_bfloat16S0_LN4vllm18Fp8KVCacheDataTypeE0EhLi16ELi64ELi256ELb1ELi9EEvPKT_PKT0_S8_ifPKiSA_SA_iPKfiiiPfSD_PS3_PT2_iSC_SC_,"axG",@progbits,_Z39paged_attention_ll4mi_QKV_mfma16_kernelI14__hip_bfloat16S0_LN4vllm18Fp8KVCacheDataTypeE0EhLi16ELi64ELi256ELb1ELi9EEvPKT_PKT0_S8_ifPKiSA_SA_iPKfiiiPfSD_PS3_PT2_iSC_SC_,comdat
.Lfunc_end392:
	.size	_Z39paged_attention_ll4mi_QKV_mfma16_kernelI14__hip_bfloat16S0_LN4vllm18Fp8KVCacheDataTypeE0EhLi16ELi64ELi256ELb1ELi9EEvPKT_PKT0_S8_ifPKiSA_SA_iPKfiiiPfSD_PS3_PT2_iSC_SC_, .Lfunc_end392-_Z39paged_attention_ll4mi_QKV_mfma16_kernelI14__hip_bfloat16S0_LN4vllm18Fp8KVCacheDataTypeE0EhLi16ELi64ELi256ELb1ELi9EEvPKT_PKT0_S8_ifPKiSA_SA_iPKfiiiPfSD_PS3_PT2_iSC_SC_
                                        ; -- End function
	.section	.AMDGPU.csdata,"",@progbits
; Kernel info:
; codeLenInByte = 4336
; NumSgprs: 54
; NumVgprs: 72
; NumAgprs: 0
; TotalNumVgprs: 72
; ScratchSize: 0
; MemoryBound: 0
; FloatMode: 240
; IeeeMode: 1
; LDSByteSize: 8192 bytes/workgroup (compile time only)
; SGPRBlocks: 6
; VGPRBlocks: 8
; NumSGPRsForWavesPerEU: 54
; NumVGPRsForWavesPerEU: 72
; AccumOffset: 72
; Occupancy: 7
; WaveLimiterHint : 1
; COMPUTE_PGM_RSRC2:SCRATCH_EN: 0
; COMPUTE_PGM_RSRC2:USER_SGPR: 2
; COMPUTE_PGM_RSRC2:TRAP_HANDLER: 0
; COMPUTE_PGM_RSRC2:TGID_X_EN: 1
; COMPUTE_PGM_RSRC2:TGID_Y_EN: 1
; COMPUTE_PGM_RSRC2:TGID_Z_EN: 1
; COMPUTE_PGM_RSRC2:TIDIG_COMP_CNT: 0
; COMPUTE_PGM_RSRC3_GFX90A:ACCUM_OFFSET: 17
; COMPUTE_PGM_RSRC3_GFX90A:TG_SPLIT: 0
	.section	.text._Z39paged_attention_ll4mi_QKV_mfma16_kernelI14__hip_bfloat16S0_LN4vllm18Fp8KVCacheDataTypeE0EhLi16ELi64ELi256ELb1ELi10EEvPKT_PKT0_S8_ifPKiSA_SA_iPKfiiiPfSD_PS3_PT2_iSC_SC_,"axG",@progbits,_Z39paged_attention_ll4mi_QKV_mfma16_kernelI14__hip_bfloat16S0_LN4vllm18Fp8KVCacheDataTypeE0EhLi16ELi64ELi256ELb1ELi10EEvPKT_PKT0_S8_ifPKiSA_SA_iPKfiiiPfSD_PS3_PT2_iSC_SC_,comdat
	.protected	_Z39paged_attention_ll4mi_QKV_mfma16_kernelI14__hip_bfloat16S0_LN4vllm18Fp8KVCacheDataTypeE0EhLi16ELi64ELi256ELb1ELi10EEvPKT_PKT0_S8_ifPKiSA_SA_iPKfiiiPfSD_PS3_PT2_iSC_SC_ ; -- Begin function _Z39paged_attention_ll4mi_QKV_mfma16_kernelI14__hip_bfloat16S0_LN4vllm18Fp8KVCacheDataTypeE0EhLi16ELi64ELi256ELb1ELi10EEvPKT_PKT0_S8_ifPKiSA_SA_iPKfiiiPfSD_PS3_PT2_iSC_SC_
	.globl	_Z39paged_attention_ll4mi_QKV_mfma16_kernelI14__hip_bfloat16S0_LN4vllm18Fp8KVCacheDataTypeE0EhLi16ELi64ELi256ELb1ELi10EEvPKT_PKT0_S8_ifPKiSA_SA_iPKfiiiPfSD_PS3_PT2_iSC_SC_
	.p2align	8
	.type	_Z39paged_attention_ll4mi_QKV_mfma16_kernelI14__hip_bfloat16S0_LN4vllm18Fp8KVCacheDataTypeE0EhLi16ELi64ELi256ELb1ELi10EEvPKT_PKT0_S8_ifPKiSA_SA_iPKfiiiPfSD_PS3_PT2_iSC_SC_,@function
_Z39paged_attention_ll4mi_QKV_mfma16_kernelI14__hip_bfloat16S0_LN4vllm18Fp8KVCacheDataTypeE0EhLi16ELi64ELi256ELb1ELi10EEvPKT_PKT0_S8_ifPKiSA_SA_iPKfiiiPfSD_PS3_PT2_iSC_SC_: ; @_Z39paged_attention_ll4mi_QKV_mfma16_kernelI14__hip_bfloat16S0_LN4vllm18Fp8KVCacheDataTypeE0EhLi16ELi64ELi256ELb1ELi10EEvPKT_PKT0_S8_ifPKiSA_SA_iPKfiiiPfSD_PS3_PT2_iSC_SC_
; %bb.0:
	s_load_dwordx2 s[8:9], s[0:1], 0x30
	s_mov_b32 s28, s3
	s_mov_b64 s[6:7], 0
	s_waitcnt lgkmcnt(0)
	s_cmp_lg_u64 s[8:9], 0
	s_cselect_b64 s[10:11], -1, 0
	s_and_b64 vcc, exec, s[10:11]
	s_cbranch_vccz .LBB393_7
; %bb.1:
	s_add_i32 s12, s2, 1
	s_mov_b32 s13, 0
	s_lshl_b64 s[14:15], s[12:13], 2
	s_add_u32 s14, s8, s14
	s_mov_b32 s3, s13
	s_addc_u32 s15, s9, s15
	s_lshl_b64 s[12:13], s[2:3], 2
	s_add_u32 s12, s8, s12
	s_addc_u32 s13, s9, s13
	s_load_dword s5, s[14:15], 0x0
	s_load_dword s16, s[12:13], 0x0
	s_waitcnt lgkmcnt(0)
	s_sub_i32 s5, s5, s16
	s_cmp_eq_u32 s5, 1
	s_cselect_b64 s[12:13], -1, 0
	s_andn2_b64 vcc, exec, s[6:7]
	s_cbranch_vccnz .LBB393_3
.LBB393_2:
	s_mov_b32 s3, 0
	s_mov_b64 s[12:13], -1
.LBB393_3:
	s_andn2_b64 vcc, exec, s[12:13]
	s_cbranch_vccnz .LBB393_20
; %bb.4:
	s_load_dwordx2 s[6:7], s[0:1], 0x28
	s_lshl_b64 s[12:13], s[2:3], 2
	s_waitcnt lgkmcnt(0)
	s_add_u32 s6, s6, s12
	s_addc_u32 s7, s7, s13
	s_load_dword s29, s[6:7], 0x0
	s_lshl_b32 s16, s28, 8
	s_waitcnt lgkmcnt(0)
	s_cmp_ge_i32 s16, s29
	s_cbranch_scc1 .LBB393_20
; %bb.5:
	s_load_dwordx2 s[6:7], s[0:1], 0x20
	s_load_dword s5, s[0:1], 0x38
	s_add_i32 s14, s29, 15
	s_ashr_i32 s15, s14, 31
	v_and_b32_e32 v1, 0xcf, v0
	s_lshr_b32 s15, s15, 28
	v_add_u32_e32 v1, s16, v1
	s_add_i32 s14, s14, s15
	v_ashrrev_i32_e32 v2, 31, v1
	s_ashr_i32 s17, s14, 4
	v_lshrrev_b32_e32 v6, 28, v2
	s_add_i32 s17, s17, -1
	s_waitcnt lgkmcnt(0)
	s_mul_i32 s14, s2, s5
	s_mov_b32 s15, 0
	v_add_u32_e32 v2, v1, v6
	s_lshl_b64 s[14:15], s[14:15], 2
	v_ashrrev_i32_e32 v2, 4, v2
	v_mov_b32_e32 v7, s17
	v_cmp_gt_i32_e32 vcc, s29, v1
	s_add_u32 s6, s6, s14
	s_addc_u32 s7, s7, s15
	v_cndmask_b32_e32 v2, v7, v2, vcc
	v_ashrrev_i32_e32 v3, 31, v2
	v_lshl_add_u64 v[4:5], v[2:3], 2, s[6:7]
	v_or_b32_e32 v2, 16, v1
	v_add_u32_e32 v3, v2, v6
	v_ashrrev_i32_e32 v3, 4, v3
	v_cmp_gt_i32_e32 vcc, s29, v2
	s_load_dwordx2 s[14:15], s[0:1], 0x8
	s_nop 0
	v_cndmask_b32_e32 v2, v7, v3, vcc
	v_ashrrev_i32_e32 v3, 31, v2
	v_lshl_add_u64 v[8:9], v[2:3], 2, s[6:7]
	v_or_b32_e32 v2, 32, v1
	v_add_u32_e32 v3, v2, v6
	v_ashrrev_i32_e32 v3, 4, v3
	v_cmp_gt_i32_e32 vcc, s29, v2
	v_or_b32_e32 v1, 48, v1
	s_nop 0
	v_cndmask_b32_e32 v2, v7, v3, vcc
	v_ashrrev_i32_e32 v3, 31, v2
	v_lshl_add_u64 v[10:11], v[2:3], 2, s[6:7]
	v_add_u32_e32 v2, v1, v6
	v_ashrrev_i32_e32 v2, 4, v2
	v_cmp_gt_i32_e32 vcc, s29, v1
	s_nop 1
	v_cndmask_b32_e32 v2, v7, v2, vcc
	v_ashrrev_i32_e32 v3, 31, v2
	v_lshl_add_u64 v[12:13], v[2:3], 2, s[6:7]
	global_load_dword v3, v[4:5], off
	global_load_dword v2, v[8:9], off
	;; [unrolled: 1-line block ×4, first 2 shown]
	s_andn2_b64 vcc, exec, s[10:11]
	s_cbranch_vccnz .LBB393_8
; %bb.6:
	s_add_u32 s8, s8, s12
	s_addc_u32 s9, s9, s13
	s_load_dword s5, s[8:9], 0x0
	s_branch .LBB393_9
.LBB393_7:
	s_mov_b64 s[12:13], 0
	s_branch .LBB393_2
.LBB393_8:
	s_mov_b32 s5, s2
.LBB393_9:
	s_load_dwordx2 s[8:9], s[0:1], 0x10
	s_load_dwordx4 s[44:47], s[0:1], 0x48
	v_lshrrev_b32_e32 v45, 6, v0
	v_bfe_u32 v54, v0, 4, 2
	v_lshl_or_b32 v1, v45, 2, v54
	v_and_b32_e32 v44, 15, v0
	v_lshlrev_b32_e32 v4, 3, v44
	v_cmp_gt_u32_e32 vcc, 10, v1
	v_cmp_gt_u32_e64 s[30:31], 8, v44
	s_mul_i32 s42, s4, 10
	s_and_b64 s[12:13], s[30:31], vcc
	v_lshlrev_b32_e32 v42, 1, v4
	s_and_saveexec_b64 s[10:11], s[12:13]
	s_cbranch_execz .LBB393_11
; %bb.10:
	s_load_dwordx2 s[12:13], s[0:1], 0x0
	s_waitcnt lgkmcnt(0)
	s_ashr_i32 s18, s44, 31
	s_mul_hi_u32 s19, s5, s44
	s_mul_i32 s18, s5, s18
	s_add_i32 s19, s19, s18
	s_mul_i32 s18, s5, s44
	s_lshl_b64 s[18:19], s[18:19], 1
	s_add_u32 s12, s12, s18
	v_add_lshl_u32 v4, v1, s42, 6
	s_addc_u32 s13, s13, s19
	v_ashrrev_i32_e32 v5, 31, v4
	v_lshl_add_u64 v[4:5], v[4:5], 1, s[12:13]
	v_mov_b32_e32 v43, 0
	v_lshl_add_u64 v[4:5], v[4:5], 0, v[42:43]
	global_load_dwordx4 v[8:11], v[4:5], off
	v_and_b32_e32 v4, 3, v0
	v_lshlrev_b32_e32 v5, 9, v44
	v_lshlrev_b32_e32 v1, 5, v1
	;; [unrolled: 1-line block ×3, first 2 shown]
	v_and_b32_e32 v5, 0x1800, v5
	v_or3_b32 v1, v5, v4, v1
	s_waitcnt vmcnt(0)
	ds_write_b128 v1, v[8:11]
.LBB393_11:
	s_or_b64 exec, exec, s[10:11]
	s_waitcnt lgkmcnt(0)
	s_mul_i32 s4, s4, s46
	s_mov_b32 s5, 0
	s_lshl_b64 s[4:5], s[4:5], 1
	s_add_u32 s10, s14, s4
	v_lshlrev_b32_e32 v1, 4, v0
	s_addc_u32 s11, s15, s5
	v_and_b32_e32 v46, 0xf0, v1
	v_mov_b32_e32 v47, 0
	v_lshl_add_u64 v[16:17], s[10:11], 0, v[46:47]
	s_waitcnt vmcnt(3)
	v_mad_i64_i32 v[4:5], s[10:11], v3, s45, 0
	s_waitcnt vmcnt(2)
	v_mad_i64_i32 v[2:3], s[10:11], v2, s45, 0
	;; [unrolled: 2-line block ×3, first 2 shown]
	v_lshl_add_u64 v[4:5], v[4:5], 1, v[16:17]
	v_and_b32_e32 v46, 0x300, v1
	v_lshl_add_u64 v[2:3], v[2:3], 1, v[16:17]
	v_lshl_add_u64 v[6:7], v[6:7], 1, v[16:17]
	s_waitcnt vmcnt(0)
	v_mad_i64_i32 v[14:15], s[10:11], v14, s45, 0
	v_lshl_add_u64 v[4:5], v[4:5], 0, v[46:47]
	v_lshl_add_u64 v[8:9], v[2:3], 0, v[46:47]
	;; [unrolled: 1-line block ×4, first 2 shown]
	s_barrier
	global_load_dwordx4 v[30:33], v[4:5], off
	global_load_dwordx4 v[10:13], v[4:5], off offset:1024
	global_load_dwordx4 v[22:25], v[8:9], off
	s_nop 0
	global_load_dwordx4 v[2:5], v[8:9], off offset:1024
	global_load_dwordx4 v[26:29], v[18:19], off
	s_nop 0
	global_load_dwordx4 v[6:9], v[18:19], off offset:1024
	v_lshl_add_u64 v[18:19], v[14:15], 0, v[46:47]
	global_load_dwordx4 v[34:37], v[18:19], off
	global_load_dwordx4 v[14:17], v[18:19], off offset:1024
	v_add_u32_e32 v18, -10, v44
	v_cmp_gt_u32_e32 vcc, 10, v44
	v_and_b32_e32 v55, 63, v0
	v_mov_b32_e32 v56, 0
	v_cndmask_b32_e32 v18, v18, v44, vcc
	v_lshlrev_b32_e32 v18, 5, v18
	v_lshl_add_u32 v18, v54, 9, v18
	ds_read_b128 v[38:41], v18
	ds_read_b128 v[18:21], v18 offset:2048
	s_and_saveexec_b64 s[10:11], vcc
	s_cbranch_execz .LBB393_13
; %bb.12:
	s_load_dwordx2 s[12:13], s[0:1], 0x40
	v_add_u32_e32 v48, s42, v44
	v_ashrrev_i32_e32 v49, 31, v48
	s_waitcnt lgkmcnt(0)
	v_lshl_add_u64 v[48:49], v[48:49], 2, s[12:13]
	global_load_dword v56, v[48:49], off
.LBB393_13:
	s_or_b64 exec, exec, s[10:11]
	v_and_or_b32 v46, v0, 48, s16
	v_ashrrev_i32_e32 v43, 4, v46
	v_mov_b32_e32 v57, s17
	v_cmp_gt_i32_e32 vcc, s29, v46
	s_waitcnt vmcnt(5) lgkmcnt(1)
	v_mfma_f32_16x16x16_bf16 v[58:61], v[22:23], v[38:39], 0
	s_load_dword s10, s[0:1], 0x1c
	v_cndmask_b32_e32 v48, v57, v43, vcc
	v_ashrrev_i32_e32 v49, 31, v48
	v_or_b32_e32 v43, 64, v46
	v_lshl_add_u64 v[52:53], v[48:49], 2, s[6:7]
	v_mfma_f32_16x16x16_bf16 v[48:51], v[30:31], v[38:39], 0
	v_ashrrev_i32_e32 v30, 4, v43
	v_cmp_gt_i32_e32 vcc, s29, v43
	global_load_dword v70, v[52:53], off
	s_waitcnt vmcnt(4)
	v_mfma_f32_16x16x16_bf16 v[62:65], v[26:27], v[38:39], 0
	v_cndmask_b32_e32 v30, v57, v30, vcc
	v_ashrrev_i32_e32 v31, 31, v30
	v_lshl_add_u64 v[22:23], v[30:31], 2, s[6:7]
	global_load_dword v71, v[22:23], off
	v_mfma_f32_16x16x16_bf16 v[22:25], v[24:25], v[40:41], v[58:61]
	v_and_b32_e32 v26, 0xc0, v0
	s_add_u32 s4, s8, s4
	v_lshlrev_b32_e32 v43, 5, v44
	v_mfma_f32_16x16x16_bf16 v[30:33], v[32:33], v[40:41], v[48:51]
	s_addc_u32 s5, s9, s5
	s_mov_b32 s33, 0xff7fffff
	s_waitcnt vmcnt(3)
	v_mfma_f32_16x16x16_bf16 v[66:69], v[34:35], v[38:39], 0
	v_or_b32_e32 v38, 0x80, v46
	v_add_u32_e32 v48, s16, v26
	v_or_b32_e32 v39, 0xc0, v46
	v_mfma_f32_16x16x16_bf16 v[26:29], v[28:29], v[40:41], v[62:65]
	v_ashrrev_i32_e32 v49, 4, v38
	v_cmp_gt_i32_e32 vcc, s29, v38
	v_ashrrev_i32_e32 v50, 4, v39
	s_waitcnt lgkmcnt(0)
	v_mfma_f32_16x16x16_bf16 v[22:25], v[2:3], v[18:19], v[22:25]
	v_cndmask_b32_e32 v38, v57, v49, vcc
	v_cmp_gt_i32_e32 vcc, s29, v39
	v_ashrrev_i32_e32 v39, 31, v38
	v_mfma_f32_16x16x16_bf16 v[30:33], v[10:11], v[18:19], v[30:33]
	v_cndmask_b32_e32 v10, v57, v50, vcc
	v_ashrrev_i32_e32 v11, 31, v10
	v_lshl_or_b32 v58, v54, 2, v48
	v_mfma_f32_16x16x16_bf16 v[26:29], v[6:7], v[18:19], v[26:29]
	v_lshl_add_u64 v[6:7], v[38:39], 2, s[6:7]
	v_lshl_add_u64 v[38:39], v[10:11], 2, s[6:7]
	v_or_b32_e32 v57, 1, v58
	v_mfma_f32_16x16x16_bf16 v[2:5], v[4:5], v[20:21], v[22:25]
	s_nop 2
	global_load_dword v22, v[6:7], off
	global_load_dword v61, v[38:39], off
	v_subrev_u32_e32 v59, s29, v57
	v_cvt_f32_i32_e32 v60, v59
	v_mfma_f32_16x16x16_bf16 v[34:37], v[36:37], v[40:41], v[66:69]
	v_pk_mul_f32 v[48:49], s[10:11], v[4:5] op_sel_hi:[0,1]
	v_lshl_or_b32 v46, v45, 9, v43
	v_lshl_add_u64 v[46:47], s[4:5], 0, v[46:47]
	s_waitcnt vmcnt(4)
	v_mfma_f32_16x16x16_bf16 v[34:37], v[14:15], v[18:19], v[34:37]
	v_add_u32_e32 v14, 1, v59
	v_add_u32_e32 v15, 2, v59
	v_cvt_f32_i32_e32 v23, v14
	v_cvt_f32_i32_e32 v24, v15
	v_mfma_f32_16x16x16_bf16 v[14:17], v[16:17], v[20:21], v[34:37]
	v_add_u32_e32 v18, 3, v59
	v_cvt_f32_i32_e32 v18, v18
	v_pk_mul_f32 v[50:51], s[10:11], v[2:3] op_sel_hi:[0,1]
	v_mfma_f32_16x16x16_bf16 v[10:13], v[12:13], v[20:21], v[30:33]
	v_cmp_gt_i32_e64 s[34:35], s29, v57
	s_nop 1
	v_pk_mul_f32 v[36:37], s[10:11], v[14:15] op_sel_hi:[0,1]
	v_add_u32_e32 v15, 19, v59
	v_add_u32_e32 v31, 18, v59
	v_cvt_f32_i32_e32 v14, v31
	v_cvt_f32_i32_e32 v15, v15
	v_mfma_f32_16x16x16_bf16 v[6:9], v[8:9], v[20:21], v[26:29]
	v_pk_mul_f32 v[34:35], s[10:11], v[16:17] op_sel_hi:[0,1]
	v_fma_f32 v48, v56, v14, v48
	v_add_u32_e32 v14, 32, v59
	v_fmac_f32_e32 v49, v56, v15
	v_cvt_f32_i32_e32 v14, v14
	v_add_u32_e32 v15, 33, v59
	v_add_u32_e32 v16, 34, v59
	v_cvt_f32_i32_e32 v15, v15
	v_cvt_f32_i32_e32 v16, v16
	v_add_u32_e32 v17, 35, v59
	v_cvt_f32_i32_e32 v17, v17
	v_pk_mul_f32 v[40:41], s[10:11], v[6:7] op_sel_hi:[0,1]
	v_pk_mul_f32 v[38:39], s[10:11], v[8:9] op_sel_hi:[0,1]
	v_fma_f32 v40, v56, v14, v40
	v_add_u32_e32 v14, 48, v59
	v_fmac_f32_e32 v41, v56, v15
	v_fma_f32 v38, v56, v16, v38
	v_cvt_f32_i32_e32 v14, v14
	v_add_u32_e32 v15, 49, v59
	v_add_u32_e32 v16, 50, v59
	v_fmac_f32_e32 v39, v56, v17
	v_cvt_f32_i32_e32 v15, v15
	v_cvt_f32_i32_e32 v16, v16
	v_add_u32_e32 v17, 51, v59
	v_cvt_f32_i32_e32 v17, v17
	v_pk_mul_f32 v[52:53], s[10:11], v[12:13] op_sel_hi:[0,1]
	v_pk_mul_f32 v[10:11], s[10:11], v[10:11] op_sel_hi:[0,1]
	s_waitcnt vmcnt(3)
	v_mad_i64_i32 v[2:3], s[4:5], v70, s45, 0
	s_waitcnt vmcnt(2)
	v_mad_i64_i32 v[12:13], s[4:5], v71, s45, 0
	v_fma_f32 v10, v56, v60, v10
	v_fmac_f32_e32 v11, v56, v23
	v_fma_f32 v36, v56, v14, v36
	v_mov_b32_e32 v14, 0xff7fffff
	v_cmp_gt_i32_e64 s[4:5], s29, v58
	v_add_u32_e32 v19, 16, v59
	v_add_u32_e32 v30, 17, v59
	v_fmac_f32_e32 v37, v56, v15
	v_fma_f32 v34, v56, v16, v34
	v_cndmask_b32_e64 v15, v14, v10, s[4:5]
	v_cndmask_b32_e64 v16, v14, v11, s[34:35]
	v_cvt_f32_i32_e32 v19, v19
	v_cvt_f32_i32_e32 v25, v30
	v_fmac_f32_e32 v35, v56, v17
	v_max3_f32 v15, v15, s33, v16
	v_or_b32_e32 v16, 2, v58
	v_or_b32_e32 v17, 3, v58
	v_fma_f32 v52, v56, v24, v52
	v_fmac_f32_e32 v53, v56, v18
	v_cmp_gt_i32_e64 s[36:37], s29, v16
	v_cmp_gt_i32_e64 s[38:39], s29, v17
	v_fma_f32 v50, v56, v19, v50
	v_cndmask_b32_e64 v16, v14, v52, s[36:37]
	v_cndmask_b32_e64 v17, v14, v53, s[38:39]
	v_max3_f32 v15, v15, v16, v17
	v_or_b32_e32 v16, 16, v58
	v_or_b32_e32 v17, 17, v58
	v_fmac_f32_e32 v51, v56, v25
	v_cmp_gt_i32_e64 s[24:25], s29, v16
	v_cmp_gt_i32_e64 s[26:27], s29, v17
	v_lshl_add_u64 v[2:3], v[2:3], 1, v[46:47]
	v_cndmask_b32_e64 v16, v14, v50, s[24:25]
	v_cndmask_b32_e64 v17, v14, v51, s[26:27]
	v_max3_f32 v15, v15, v16, v17
	v_or_b32_e32 v16, 18, v58
	v_or_b32_e32 v17, 19, v58
	v_cmp_gt_i32_e64 s[20:21], s29, v16
	v_cmp_gt_i32_e64 s[22:23], s29, v17
	v_lshl_add_u64 v[12:13], v[12:13], 1, v[46:47]
	v_cndmask_b32_e64 v16, v14, v48, s[20:21]
	v_cndmask_b32_e64 v17, v14, v49, s[22:23]
	v_max3_f32 v15, v15, v16, v17
	v_or_b32_e32 v16, 32, v58
	v_or_b32_e32 v17, 33, v58
	v_cmp_gt_i32_e64 s[16:17], s29, v16
	v_cmp_gt_i32_e64 s[18:19], s29, v17
	global_load_dwordx4 v[6:9], v[2:3], off
	s_nop 0
	global_load_dwordx4 v[2:5], v[2:3], off offset:16
	v_cndmask_b32_e64 v16, v14, v40, s[16:17]
	v_cndmask_b32_e64 v17, v14, v41, s[18:19]
	v_max3_f32 v15, v15, v16, v17
	v_or_b32_e32 v16, 34, v58
	v_or_b32_e32 v17, 35, v58
	v_cmp_gt_i32_e64 s[12:13], s29, v16
	v_cmp_gt_i32_e64 s[14:15], s29, v17
	global_load_dwordx4 v[30:33], v[12:13], off
	global_load_dwordx4 v[26:29], v[12:13], off offset:16
	v_cndmask_b32_e64 v16, v14, v38, s[12:13]
	v_cndmask_b32_e64 v17, v14, v39, s[14:15]
	v_max3_f32 v15, v15, v16, v17
	v_or_b32_e32 v16, 48, v58
	v_or_b32_e32 v17, 49, v58
	v_cmp_gt_i32_e64 s[8:9], s29, v16
	v_cmp_gt_i32_e64 s[10:11], s29, v17
	s_nop 0
	v_cndmask_b32_e64 v16, v14, v36, s[8:9]
	v_cndmask_b32_e64 v17, v14, v37, s[10:11]
	v_max3_f32 v15, v15, v16, v17
	v_or_b32_e32 v16, 50, v58
	v_or_b32_e32 v17, 51, v58
	v_cmp_gt_i32_e32 vcc, s29, v16
	v_cmp_gt_i32_e64 s[6:7], s29, v17
	s_nop 0
	v_cndmask_b32_e32 v16, v14, v34, vcc
	v_cndmask_b32_e64 v14, v14, v35, s[6:7]
	v_max3_f32 v14, v15, v16, v14
	v_mbcnt_lo_u32_b32 v15, -1, 0
	v_mbcnt_hi_u32_b32 v15, -1, v15
	v_and_b32_e32 v16, 64, v15
	v_add_u32_e32 v16, 64, v16
	v_xor_b32_e32 v17, 32, v15
	v_cmp_lt_i32_e64 s[40:41], v17, v16
	s_nop 1
	v_cndmask_b32_e64 v17, v15, v17, s[40:41]
	v_lshlrev_b32_e32 v57, 2, v17
	ds_bpermute_b32 v17, v57, v14
	s_waitcnt vmcnt(5)
	v_mad_i64_i32 v[12:13], s[40:41], v22, s45, 0
	v_lshl_add_u64 v[12:13], v[12:13], 1, v[46:47]
	global_load_dwordx4 v[22:25], v[12:13], off
	global_load_dwordx4 v[18:21], v[12:13], off offset:16
	s_waitcnt lgkmcnt(0)
	v_max_f32_e32 v17, v17, v17
	v_max_f32_e32 v14, v14, v17
	v_xor_b32_e32 v17, 16, v15
	v_cmp_lt_i32_e64 s[40:41], v17, v16
	s_nop 1
	v_cndmask_b32_e64 v15, v15, v17, s[40:41]
	v_lshlrev_b32_e32 v59, 2, v15
	ds_bpermute_b32 v15, v59, v14
	s_waitcnt vmcnt(6)
	v_mad_i64_i32 v[12:13], s[40:41], v61, s45, 0
	v_lshl_add_u64 v[12:13], v[12:13], 1, v[46:47]
	s_waitcnt lgkmcnt(0)
	v_max_f32_e32 v15, v15, v15
	v_max_f32_e32 v56, v14, v15
	v_sub_f32_e32 v10, v10, v56
	v_mul_f32_e32 v10, 0x3fb8aa3b, v10
	v_exp_f32_e32 v46, v10
	v_sub_f32_e32 v10, v11, v56
	v_mul_f32_e32 v10, 0x3fb8aa3b, v10
	v_exp_f32_e32 v47, v10
	global_load_dwordx4 v[14:17], v[12:13], off
	s_nop 0
	global_load_dwordx4 v[10:13], v[12:13], off offset:16
	v_sub_f32_e32 v52, v52, v56
	v_mul_f32_e32 v52, 0x3fb8aa3b, v52
	v_sub_f32_e32 v53, v53, v56
	v_exp_f32_e32 v52, v52
	v_mul_f32_e32 v53, 0x3fb8aa3b, v53
	v_sub_f32_e32 v50, v50, v56
	v_exp_f32_e32 v53, v53
	v_mul_f32_e32 v50, 0x3fb8aa3b, v50
	v_sub_f32_e32 v51, v51, v56
	v_cndmask_b32_e64 v46, 0, v46, s[4:5]
	v_exp_f32_e32 v50, v50
	v_mul_f32_e32 v51, 0x3fb8aa3b, v51
	v_sub_f32_e32 v48, v48, v56
	v_add_f32_e32 v58, 0, v46
	v_cndmask_b32_e64 v47, 0, v47, s[34:35]
	v_exp_f32_e32 v51, v51
	v_mul_f32_e32 v48, 0x3fb8aa3b, v48
	v_sub_f32_e32 v49, v49, v56
	v_add_f32_e32 v58, v58, v47
	;; [unrolled: 5-line block ×10, first 2 shown]
	v_cndmask_b32_e64 v38, 0, v38, s[12:13]
	v_exp_f32_e32 v34, v34
	v_mul_f32_e32 v35, 0x3fb8aa3b, v35
	v_add_f32_e32 v58, v58, v38
	v_cndmask_b32_e64 v39, 0, v39, s[14:15]
	v_exp_f32_e32 v35, v35
	v_add_f32_e32 v58, v58, v39
	v_cndmask_b32_e64 v36, 0, v36, s[8:9]
	v_add_f32_e32 v58, v58, v36
	v_cndmask_b32_e64 v37, 0, v37, s[10:11]
	v_add_f32_e32 v58, v58, v37
	v_cndmask_b32_e32 v34, 0, v34, vcc
	v_add_f32_e32 v58, v58, v34
	v_cndmask_b32_e64 v35, 0, v35, s[6:7]
	v_add_f32_e32 v58, v58, v35
	ds_bpermute_b32 v57, v57, v58
	s_load_dword s7, s[0:1], 0x98
	v_cmp_gt_u32_e32 vcc, 16, v55
	s_waitcnt lgkmcnt(0)
	s_barrier
	v_add_f32_e32 v58, v58, v57
	ds_bpermute_b32 v59, v59, v58
	v_lshlrev_b32_e32 v57, 2, v44
	s_waitcnt lgkmcnt(0)
	s_and_saveexec_b64 s[4:5], vcc
	s_cbranch_execz .LBB393_15
; %bb.14:
	v_add_f32_e32 v55, v58, v59
	v_lshl_or_b32 v58, v45, 6, v57
	ds_write2st64_b32 v58, v56, v55 offset1:1
.LBB393_15:
	s_or_b64 exec, exec, s[4:5]
	s_load_dword s6, s[0:1], 0x94
	s_waitcnt lgkmcnt(0)
	s_barrier
	ds_read2_b32 v[58:59], v57 offset1:16
	ds_read2_b32 v[60:61], v57 offset0:32 offset1:48
	ds_read2_b32 v[62:63], v57 offset0:64 offset1:80
	s_movk_i32 s8, 0x7fff
	s_mov_b32 s9, 0x7060302
	s_waitcnt lgkmcnt(2)
	v_max3_f32 v55, v58, s33, v59
	s_waitcnt lgkmcnt(1)
	v_max3_f32 v55, v55, v60, v61
	v_sub_f32_e32 v56, v58, v55
	v_mul_f32_e32 v56, 0x3fb8aa3b, v56
	v_exp_f32_e32 v64, v56
	v_sub_f32_e32 v56, v59, v55
	v_mul_f32_e32 v56, 0x3fb8aa3b, v56
	v_exp_f32_e32 v65, v56
	;; [unrolled: 3-line block ×3, first 2 shown]
	ds_read2_b32 v[58:59], v57 offset0:96 offset1:112
	v_sub_f32_e32 v56, v61, v55
	v_mul_f32_e32 v56, 0x3fb8aa3b, v56
	v_exp_f32_e32 v57, v56
	s_waitcnt lgkmcnt(1)
	v_fma_f32 v56, v64, v62, 0
	v_fmac_f32_e32 v56, v65, v63
	s_waitcnt lgkmcnt(0)
	v_fmac_f32_e32 v56, v60, v58
	v_fmac_f32_e32 v56, v57, v59
	v_add_f32_e32 v58, 0x358637bd, v56
	v_div_scale_f32 v59, s[4:5], v58, v58, 1.0
	v_rcp_f32_e32 v61, v59
	s_mul_i32 s7, s7, 10
	s_barrier
	v_fma_f32 v62, -v59, v61, 1.0
	v_fmac_f32_e32 v61, v62, v61
	v_div_scale_f32 v62, vcc, 1.0, v58, 1.0
	v_mul_f32_e32 v63, v62, v61
	v_fma_f32 v66, -v59, v63, v62
	v_fmac_f32_e32 v63, v66, v61
	v_fma_f32 v59, -v59, v63, v62
	v_div_fmas_f32 v59, v59, v61, v63
	v_cmp_eq_u32_e32 vcc, 1, v45
	v_div_fixup_f32 v58, v59, v58, 1.0
	s_nop 0
	v_cndmask_b32_e32 v59, v64, v65, vcc
	v_cmp_eq_u32_e32 vcc, 2, v45
	s_nop 1
	v_cndmask_b32_e32 v59, v59, v60, vcc
	v_cmp_eq_u32_e32 vcc, 3, v45
	v_lshlrev_b32_e32 v45, 11, v45
	s_nop 0
	v_cndmask_b32_e32 v57, v59, v57, vcc
	v_mul_f32_e32 v58, v57, v58
	v_pk_mul_f32 v[46:47], v[58:59], v[46:47] op_sel_hi:[0,1]
	v_pk_mul_f32 v[52:53], v[58:59], v[52:53] op_sel_hi:[0,1]
	v_bfe_u32 v57, v47, 16, 1
	v_bfe_u32 v59, v46, 16, 1
	v_add3_u32 v46, v46, v59, s8
	v_add3_u32 v47, v47, v57, s8
	v_perm_b32 v60, v47, v46, s9
	v_bfe_u32 v46, v53, 16, 1
	v_bfe_u32 v47, v52, 16, 1
	v_add3_u32 v47, v52, v47, s8
	v_add3_u32 v46, v53, v46, s8
	v_perm_b32 v61, v46, v47, s9
	v_lshlrev_b32_e32 v46, 3, v54
	v_pk_mul_f32 v[50:51], v[58:59], v[50:51] op_sel_hi:[0,1]
	v_or3_b32 v46, v45, v43, v46
	v_bfe_u32 v45, v51, 16, 1
	v_bfe_u32 v47, v50, 16, 1
	v_pk_mul_f32 v[48:49], v[58:59], v[48:49] op_sel_hi:[0,1]
	v_add3_u32 v47, v50, v47, s8
	v_add3_u32 v45, v51, v45, s8
	v_perm_b32 v50, v45, v47, s9
	v_bfe_u32 v45, v49, 16, 1
	v_bfe_u32 v47, v48, 16, 1
	v_add3_u32 v47, v48, v47, s8
	v_add3_u32 v45, v49, v45, s8
	v_pk_mul_f32 v[40:41], v[58:59], v[40:41] op_sel_hi:[0,1]
	v_perm_b32 v51, v45, v47, s9
	v_bfe_u32 v45, v41, 16, 1
	v_bfe_u32 v47, v40, 16, 1
	v_pk_mul_f32 v[38:39], v[58:59], v[38:39] op_sel_hi:[0,1]
	v_add3_u32 v40, v40, v47, s8
	v_add3_u32 v41, v41, v45, s8
	v_perm_b32 v40, v41, v40, s9
	v_bfe_u32 v41, v39, 16, 1
	v_bfe_u32 v45, v38, 16, 1
	v_add3_u32 v38, v38, v45, s8
	v_add3_u32 v39, v39, v41, s8
	v_pk_mul_f32 v[36:37], v[58:59], v[36:37] op_sel_hi:[0,1]
	v_perm_b32 v41, v39, v38, s9
	v_bfe_u32 v38, v37, 16, 1
	v_bfe_u32 v39, v36, 16, 1
	v_pk_mul_f32 v[34:35], v[58:59], v[34:35] op_sel_hi:[0,1]
	v_add3_u32 v36, v36, v39, s8
	v_add3_u32 v37, v37, v38, s8
	v_perm_b32 v36, v37, v36, s9
	v_bfe_u32 v37, v35, 16, 1
	v_bfe_u32 v38, v34, 16, 1
	v_add3_u32 v34, v34, v38, s8
	v_add3_u32 v35, v35, v37, s8
	v_perm_b32 v37, v35, v34, s9
	v_cmp_gt_u32_e32 vcc, 10, v0
	ds_write2st64_b64 v46, v[60:61], v[50:51] offset1:1
	ds_write2st64_b64 v46, v[40:41], v[36:37] offset0:2 offset1:3
	s_and_saveexec_b64 s[4:5], vcc
	s_cbranch_execz .LBB393_17
; %bb.16:
	s_mov_b32 s43, 0
	v_mov_b32_e32 v45, 0
	v_lshl_add_u64 v[34:35], s[42:43], 0, v[44:45]
	v_mov_b32_e32 v36, s7
	v_mad_u64_u32 v[34:35], s[10:11], s2, v36, v[34:35]
	s_mul_i32 s3, s3, s7
	v_mov_b32_e32 v44, s28
	s_load_dwordx4 s[12:15], s[0:1], 0x58
	v_add_u32_e32 v37, s3, v35
	v_mad_u64_u32 v[34:35], s[10:11], v34, s6, v[44:45]
	v_mov_b32_e32 v36, v35
	v_mad_u64_u32 v[36:37], s[10:11], v37, s6, v[36:37]
	v_mov_b32_e32 v35, v36
	v_lshlrev_b64 v[34:35], 2, v[34:35]
	s_waitcnt lgkmcnt(0)
	v_lshl_add_u64 v[36:37], s[14:15], 0, v[34:35]
	v_lshl_add_u64 v[34:35], s[12:13], 0, v[34:35]
	global_store_dword v[36:37], v55, off
	global_store_dword v[34:35], v56, off
.LBB393_17:
	s_or_b64 exec, exec, s[4:5]
	v_lshl_or_b32 v43, v54, 9, v43
	s_waitcnt lgkmcnt(0)
	s_barrier
	ds_read_b128 v[34:37], v43
	ds_read_b128 v[38:41], v43 offset:16
	s_waitcnt vmcnt(7) lgkmcnt(1)
	v_mfma_f32_16x16x16_bf16 v[48:51], v[6:7], v[34:35], 0
	v_cmp_gt_u32_e32 vcc, 64, v0
	s_mov_b32 s3, 0
	s_and_b64 s[4:5], vcc, s[30:31]
	v_mfma_f32_16x16x16_bf16 v[6:9], v[8:9], v[36:37], v[48:51]
	s_waitcnt vmcnt(6) lgkmcnt(0)
	v_mfma_f32_16x16x16_bf16 v[6:9], v[2:3], v[38:39], v[6:9]
	v_mfma_f32_16x16x16_bf16 v[2:5], v[4:5], v[40:41], v[6:9]
	s_nop 5
	ds_read_b128 v[6:9], v43 offset:2048
	ds_read_b128 v[34:37], v43 offset:2064
	s_waitcnt vmcnt(5) lgkmcnt(1)
	v_mfma_f32_16x16x16_bf16 v[2:5], v[30:31], v[6:7], v[2:5]
	v_mfma_f32_16x16x16_bf16 v[2:5], v[32:33], v[8:9], v[2:5]
	s_waitcnt vmcnt(4) lgkmcnt(0)
	v_mfma_f32_16x16x16_bf16 v[2:5], v[26:27], v[34:35], v[2:5]
	v_mfma_f32_16x16x16_bf16 v[2:5], v[28:29], v[36:37], v[2:5]
	ds_read_b128 v[6:9], v43 offset:4096
	ds_read_b128 v[26:29], v43 offset:4112
	s_waitcnt vmcnt(3) lgkmcnt(1)
	v_mfma_f32_16x16x16_bf16 v[2:5], v[22:23], v[6:7], v[2:5]
	v_mfma_f32_16x16x16_bf16 v[2:5], v[24:25], v[8:9], v[2:5]
	s_waitcnt vmcnt(2) lgkmcnt(0)
	v_mfma_f32_16x16x16_bf16 v[2:5], v[18:19], v[26:27], v[2:5]
	v_mfma_f32_16x16x16_bf16 v[2:5], v[20:21], v[28:29], v[2:5]
	ds_read_b128 v[6:9], v43 offset:6144
	ds_read_b128 v[18:21], v43 offset:6160
	v_mov_b32_e32 v43, 0
	s_waitcnt vmcnt(1) lgkmcnt(0)
	v_mfma_f32_16x16x16_bf16 v[2:5], v[14:15], v[6:7], v[2:5]
	s_barrier
	v_mfma_f32_16x16x16_bf16 v[2:5], v[16:17], v[8:9], v[2:5]
	s_waitcnt vmcnt(0)
	v_mfma_f32_16x16x16_bf16 v[2:5], v[10:11], v[18:19], v[2:5]
	v_mfma_f32_16x16x16_bf16 v[2:5], v[12:13], v[20:21], v[2:5]
	s_nop 6
	v_bfe_u32 v6, v3, 16, 1
	v_bfe_u32 v7, v2, 16, 1
	;; [unrolled: 1-line block ×4, first 2 shown]
	v_add3_u32 v2, v2, v7, s8
	v_add3_u32 v3, v3, v6, s8
	;; [unrolled: 1-line block ×4, first 2 shown]
	v_perm_b32 v2, v3, v2, s9
	v_perm_b32 v3, v5, v4, s9
	ds_write_b64 v46, v[2:3]
	s_waitcnt lgkmcnt(0)
	s_barrier
	s_and_saveexec_b64 s[8:9], s[4:5]
	s_cbranch_execz .LBB393_20
; %bb.18:
	s_load_dwordx2 s[4:5], s[0:1], 0x68
	s_lshl_b32 s0, s6, 6
	s_mul_i32 s1, s7, s2
	s_mul_hi_u32 s7, s1, s0
	s_mul_i32 s6, s1, s0
	v_lshlrev_b32_e32 v0, 10, v0
	s_lshl_b64 s[6:7], s[6:7], 1
	v_and_b32_e32 v0, 0x1800, v0
	v_lshlrev_b32_e32 v2, 5, v54
	v_and_b32_e32 v1, 16, v1
	s_waitcnt lgkmcnt(0)
	s_add_u32 s1, s4, s6
	v_or3_b32 v2, v0, v2, v1
	s_addc_u32 s4, s5, s7
	s_lshl_b32 s2, s28, 6
	s_lshl_b64 s[2:3], s[2:3], 1
	ds_read_b128 v[4:7], v2 offset:128
	ds_read_b128 v[8:11], v2
	s_add_u32 s2, s1, s2
	s_addc_u32 s3, s4, s3
	v_add_u32_e32 v14, s42, v54
	v_lshl_add_u64 v[0:1], s[2:3], 0, v[42:43]
	v_mad_u64_u32 v[12:13], s[2:3], v14, s0, 0
	v_lshl_add_u64 v[12:13], v[12:13], 1, v[0:1]
	s_waitcnt lgkmcnt(0)
	global_store_dwordx4 v[12:13], v[8:11], off
	v_or_b32_e32 v3, 8, v54
	v_cmp_gt_u32_e32 vcc, 10, v3
	v_add_u32_e32 v8, 4, v14
	v_mad_u64_u32 v[8:9], s[2:3], v8, s0, 0
	v_lshl_add_u64 v[8:9], v[8:9], 1, v[0:1]
	global_store_dwordx4 v[8:9], v[4:7], off
	s_and_b64 exec, exec, vcc
	s_cbranch_execz .LBB393_20
; %bb.19:
	ds_read_b128 v[4:7], v2 offset:256
	v_add_u32_e32 v2, s42, v3
	v_mad_u64_u32 v[2:3], s[0:1], v2, s0, 0
	v_lshl_add_u64 v[0:1], v[2:3], 1, v[0:1]
	s_waitcnt lgkmcnt(0)
	global_store_dwordx4 v[0:1], v[4:7], off
.LBB393_20:
	s_endpgm
	.section	.rodata,"a",@progbits
	.p2align	6, 0x0
	.amdhsa_kernel _Z39paged_attention_ll4mi_QKV_mfma16_kernelI14__hip_bfloat16S0_LN4vllm18Fp8KVCacheDataTypeE0EhLi16ELi64ELi256ELb1ELi10EEvPKT_PKT0_S8_ifPKiSA_SA_iPKfiiiPfSD_PS3_PT2_iSC_SC_
		.amdhsa_group_segment_fixed_size 8192
		.amdhsa_private_segment_fixed_size 0
		.amdhsa_kernarg_size 400
		.amdhsa_user_sgpr_count 2
		.amdhsa_user_sgpr_dispatch_ptr 0
		.amdhsa_user_sgpr_queue_ptr 0
		.amdhsa_user_sgpr_kernarg_segment_ptr 1
		.amdhsa_user_sgpr_dispatch_id 0
		.amdhsa_user_sgpr_kernarg_preload_length 0
		.amdhsa_user_sgpr_kernarg_preload_offset 0
		.amdhsa_user_sgpr_private_segment_size 0
		.amdhsa_uses_dynamic_stack 0
		.amdhsa_enable_private_segment 0
		.amdhsa_system_sgpr_workgroup_id_x 1
		.amdhsa_system_sgpr_workgroup_id_y 1
		.amdhsa_system_sgpr_workgroup_id_z 1
		.amdhsa_system_sgpr_workgroup_info 0
		.amdhsa_system_vgpr_workitem_id 0
		.amdhsa_next_free_vgpr 72
		.amdhsa_next_free_sgpr 48
		.amdhsa_accum_offset 72
		.amdhsa_reserve_vcc 1
		.amdhsa_float_round_mode_32 0
		.amdhsa_float_round_mode_16_64 0
		.amdhsa_float_denorm_mode_32 3
		.amdhsa_float_denorm_mode_16_64 3
		.amdhsa_dx10_clamp 1
		.amdhsa_ieee_mode 1
		.amdhsa_fp16_overflow 0
		.amdhsa_tg_split 0
		.amdhsa_exception_fp_ieee_invalid_op 0
		.amdhsa_exception_fp_denorm_src 0
		.amdhsa_exception_fp_ieee_div_zero 0
		.amdhsa_exception_fp_ieee_overflow 0
		.amdhsa_exception_fp_ieee_underflow 0
		.amdhsa_exception_fp_ieee_inexact 0
		.amdhsa_exception_int_div_zero 0
	.end_amdhsa_kernel
	.section	.text._Z39paged_attention_ll4mi_QKV_mfma16_kernelI14__hip_bfloat16S0_LN4vllm18Fp8KVCacheDataTypeE0EhLi16ELi64ELi256ELb1ELi10EEvPKT_PKT0_S8_ifPKiSA_SA_iPKfiiiPfSD_PS3_PT2_iSC_SC_,"axG",@progbits,_Z39paged_attention_ll4mi_QKV_mfma16_kernelI14__hip_bfloat16S0_LN4vllm18Fp8KVCacheDataTypeE0EhLi16ELi64ELi256ELb1ELi10EEvPKT_PKT0_S8_ifPKiSA_SA_iPKfiiiPfSD_PS3_PT2_iSC_SC_,comdat
.Lfunc_end393:
	.size	_Z39paged_attention_ll4mi_QKV_mfma16_kernelI14__hip_bfloat16S0_LN4vllm18Fp8KVCacheDataTypeE0EhLi16ELi64ELi256ELb1ELi10EEvPKT_PKT0_S8_ifPKiSA_SA_iPKfiiiPfSD_PS3_PT2_iSC_SC_, .Lfunc_end393-_Z39paged_attention_ll4mi_QKV_mfma16_kernelI14__hip_bfloat16S0_LN4vllm18Fp8KVCacheDataTypeE0EhLi16ELi64ELi256ELb1ELi10EEvPKT_PKT0_S8_ifPKiSA_SA_iPKfiiiPfSD_PS3_PT2_iSC_SC_
                                        ; -- End function
	.section	.AMDGPU.csdata,"",@progbits
; Kernel info:
; codeLenInByte = 4332
; NumSgprs: 54
; NumVgprs: 72
; NumAgprs: 0
; TotalNumVgprs: 72
; ScratchSize: 0
; MemoryBound: 0
; FloatMode: 240
; IeeeMode: 1
; LDSByteSize: 8192 bytes/workgroup (compile time only)
; SGPRBlocks: 6
; VGPRBlocks: 8
; NumSGPRsForWavesPerEU: 54
; NumVGPRsForWavesPerEU: 72
; AccumOffset: 72
; Occupancy: 7
; WaveLimiterHint : 1
; COMPUTE_PGM_RSRC2:SCRATCH_EN: 0
; COMPUTE_PGM_RSRC2:USER_SGPR: 2
; COMPUTE_PGM_RSRC2:TRAP_HANDLER: 0
; COMPUTE_PGM_RSRC2:TGID_X_EN: 1
; COMPUTE_PGM_RSRC2:TGID_Y_EN: 1
; COMPUTE_PGM_RSRC2:TGID_Z_EN: 1
; COMPUTE_PGM_RSRC2:TIDIG_COMP_CNT: 0
; COMPUTE_PGM_RSRC3_GFX90A:ACCUM_OFFSET: 17
; COMPUTE_PGM_RSRC3_GFX90A:TG_SPLIT: 0
	.section	.text._Z39paged_attention_ll4mi_QKV_mfma16_kernelI14__hip_bfloat16S0_LN4vllm18Fp8KVCacheDataTypeE0EhLi16ELi64ELi256ELb1ELi11EEvPKT_PKT0_S8_ifPKiSA_SA_iPKfiiiPfSD_PS3_PT2_iSC_SC_,"axG",@progbits,_Z39paged_attention_ll4mi_QKV_mfma16_kernelI14__hip_bfloat16S0_LN4vllm18Fp8KVCacheDataTypeE0EhLi16ELi64ELi256ELb1ELi11EEvPKT_PKT0_S8_ifPKiSA_SA_iPKfiiiPfSD_PS3_PT2_iSC_SC_,comdat
	.protected	_Z39paged_attention_ll4mi_QKV_mfma16_kernelI14__hip_bfloat16S0_LN4vllm18Fp8KVCacheDataTypeE0EhLi16ELi64ELi256ELb1ELi11EEvPKT_PKT0_S8_ifPKiSA_SA_iPKfiiiPfSD_PS3_PT2_iSC_SC_ ; -- Begin function _Z39paged_attention_ll4mi_QKV_mfma16_kernelI14__hip_bfloat16S0_LN4vllm18Fp8KVCacheDataTypeE0EhLi16ELi64ELi256ELb1ELi11EEvPKT_PKT0_S8_ifPKiSA_SA_iPKfiiiPfSD_PS3_PT2_iSC_SC_
	.globl	_Z39paged_attention_ll4mi_QKV_mfma16_kernelI14__hip_bfloat16S0_LN4vllm18Fp8KVCacheDataTypeE0EhLi16ELi64ELi256ELb1ELi11EEvPKT_PKT0_S8_ifPKiSA_SA_iPKfiiiPfSD_PS3_PT2_iSC_SC_
	.p2align	8
	.type	_Z39paged_attention_ll4mi_QKV_mfma16_kernelI14__hip_bfloat16S0_LN4vllm18Fp8KVCacheDataTypeE0EhLi16ELi64ELi256ELb1ELi11EEvPKT_PKT0_S8_ifPKiSA_SA_iPKfiiiPfSD_PS3_PT2_iSC_SC_,@function
_Z39paged_attention_ll4mi_QKV_mfma16_kernelI14__hip_bfloat16S0_LN4vllm18Fp8KVCacheDataTypeE0EhLi16ELi64ELi256ELb1ELi11EEvPKT_PKT0_S8_ifPKiSA_SA_iPKfiiiPfSD_PS3_PT2_iSC_SC_: ; @_Z39paged_attention_ll4mi_QKV_mfma16_kernelI14__hip_bfloat16S0_LN4vllm18Fp8KVCacheDataTypeE0EhLi16ELi64ELi256ELb1ELi11EEvPKT_PKT0_S8_ifPKiSA_SA_iPKfiiiPfSD_PS3_PT2_iSC_SC_
; %bb.0:
	s_load_dwordx2 s[8:9], s[0:1], 0x30
	s_mov_b32 s28, s3
	s_mov_b64 s[6:7], 0
	s_waitcnt lgkmcnt(0)
	s_cmp_lg_u64 s[8:9], 0
	s_cselect_b64 s[10:11], -1, 0
	s_and_b64 vcc, exec, s[10:11]
	s_cbranch_vccz .LBB394_7
; %bb.1:
	s_add_i32 s12, s2, 1
	s_mov_b32 s13, 0
	s_lshl_b64 s[14:15], s[12:13], 2
	s_add_u32 s14, s8, s14
	s_mov_b32 s3, s13
	s_addc_u32 s15, s9, s15
	s_lshl_b64 s[12:13], s[2:3], 2
	s_add_u32 s12, s8, s12
	s_addc_u32 s13, s9, s13
	s_load_dword s5, s[14:15], 0x0
	s_load_dword s16, s[12:13], 0x0
	s_waitcnt lgkmcnt(0)
	s_sub_i32 s5, s5, s16
	s_cmp_eq_u32 s5, 1
	s_cselect_b64 s[12:13], -1, 0
	s_andn2_b64 vcc, exec, s[6:7]
	s_cbranch_vccnz .LBB394_3
.LBB394_2:
	s_mov_b32 s3, 0
	s_mov_b64 s[12:13], -1
.LBB394_3:
	s_andn2_b64 vcc, exec, s[12:13]
	s_cbranch_vccnz .LBB394_20
; %bb.4:
	s_load_dwordx2 s[6:7], s[0:1], 0x28
	s_lshl_b64 s[12:13], s[2:3], 2
	s_waitcnt lgkmcnt(0)
	s_add_u32 s6, s6, s12
	s_addc_u32 s7, s7, s13
	s_load_dword s29, s[6:7], 0x0
	s_lshl_b32 s16, s28, 8
	s_waitcnt lgkmcnt(0)
	s_cmp_ge_i32 s16, s29
	s_cbranch_scc1 .LBB394_20
; %bb.5:
	s_load_dwordx2 s[6:7], s[0:1], 0x20
	s_load_dword s5, s[0:1], 0x38
	s_add_i32 s14, s29, 15
	s_ashr_i32 s15, s14, 31
	v_and_b32_e32 v1, 0xcf, v0
	s_lshr_b32 s15, s15, 28
	v_add_u32_e32 v1, s16, v1
	s_add_i32 s14, s14, s15
	v_ashrrev_i32_e32 v2, 31, v1
	s_ashr_i32 s17, s14, 4
	v_lshrrev_b32_e32 v6, 28, v2
	s_add_i32 s17, s17, -1
	s_waitcnt lgkmcnt(0)
	s_mul_i32 s14, s2, s5
	s_mov_b32 s15, 0
	v_add_u32_e32 v2, v1, v6
	s_lshl_b64 s[14:15], s[14:15], 2
	v_ashrrev_i32_e32 v2, 4, v2
	v_mov_b32_e32 v7, s17
	v_cmp_gt_i32_e32 vcc, s29, v1
	s_add_u32 s6, s6, s14
	s_addc_u32 s7, s7, s15
	v_cndmask_b32_e32 v2, v7, v2, vcc
	v_ashrrev_i32_e32 v3, 31, v2
	v_lshl_add_u64 v[4:5], v[2:3], 2, s[6:7]
	v_or_b32_e32 v2, 16, v1
	v_add_u32_e32 v3, v2, v6
	v_ashrrev_i32_e32 v3, 4, v3
	v_cmp_gt_i32_e32 vcc, s29, v2
	s_load_dwordx2 s[14:15], s[0:1], 0x8
	s_nop 0
	v_cndmask_b32_e32 v2, v7, v3, vcc
	v_ashrrev_i32_e32 v3, 31, v2
	v_lshl_add_u64 v[8:9], v[2:3], 2, s[6:7]
	v_or_b32_e32 v2, 32, v1
	v_add_u32_e32 v3, v2, v6
	v_ashrrev_i32_e32 v3, 4, v3
	v_cmp_gt_i32_e32 vcc, s29, v2
	v_or_b32_e32 v1, 48, v1
	s_nop 0
	v_cndmask_b32_e32 v2, v7, v3, vcc
	v_ashrrev_i32_e32 v3, 31, v2
	v_lshl_add_u64 v[10:11], v[2:3], 2, s[6:7]
	v_add_u32_e32 v2, v1, v6
	v_ashrrev_i32_e32 v2, 4, v2
	v_cmp_gt_i32_e32 vcc, s29, v1
	s_nop 1
	v_cndmask_b32_e32 v2, v7, v2, vcc
	v_ashrrev_i32_e32 v3, 31, v2
	v_lshl_add_u64 v[12:13], v[2:3], 2, s[6:7]
	global_load_dword v3, v[4:5], off
	global_load_dword v2, v[8:9], off
	;; [unrolled: 1-line block ×4, first 2 shown]
	s_andn2_b64 vcc, exec, s[10:11]
	s_cbranch_vccnz .LBB394_8
; %bb.6:
	s_add_u32 s8, s8, s12
	s_addc_u32 s9, s9, s13
	s_load_dword s5, s[8:9], 0x0
	s_branch .LBB394_9
.LBB394_7:
	s_mov_b64 s[12:13], 0
	s_branch .LBB394_2
.LBB394_8:
	s_mov_b32 s5, s2
.LBB394_9:
	s_load_dwordx2 s[8:9], s[0:1], 0x10
	s_load_dwordx4 s[44:47], s[0:1], 0x48
	v_lshrrev_b32_e32 v45, 6, v0
	v_bfe_u32 v54, v0, 4, 2
	v_lshl_or_b32 v1, v45, 2, v54
	v_and_b32_e32 v44, 15, v0
	v_lshlrev_b32_e32 v4, 3, v44
	v_cmp_gt_u32_e32 vcc, 11, v1
	v_cmp_gt_u32_e64 s[30:31], 8, v44
	s_mul_i32 s42, s4, 11
	s_and_b64 s[12:13], s[30:31], vcc
	v_lshlrev_b32_e32 v42, 1, v4
	s_and_saveexec_b64 s[10:11], s[12:13]
	s_cbranch_execz .LBB394_11
; %bb.10:
	s_load_dwordx2 s[12:13], s[0:1], 0x0
	s_waitcnt lgkmcnt(0)
	s_ashr_i32 s18, s44, 31
	s_mul_hi_u32 s19, s5, s44
	s_mul_i32 s18, s5, s18
	s_add_i32 s19, s19, s18
	s_mul_i32 s18, s5, s44
	s_lshl_b64 s[18:19], s[18:19], 1
	s_add_u32 s12, s12, s18
	v_add_lshl_u32 v4, v1, s42, 6
	s_addc_u32 s13, s13, s19
	v_ashrrev_i32_e32 v5, 31, v4
	v_lshl_add_u64 v[4:5], v[4:5], 1, s[12:13]
	v_mov_b32_e32 v43, 0
	v_lshl_add_u64 v[4:5], v[4:5], 0, v[42:43]
	global_load_dwordx4 v[8:11], v[4:5], off
	v_and_b32_e32 v4, 3, v0
	v_lshlrev_b32_e32 v5, 9, v44
	v_lshlrev_b32_e32 v1, 5, v1
	;; [unrolled: 1-line block ×3, first 2 shown]
	v_and_b32_e32 v5, 0x1800, v5
	v_or3_b32 v1, v5, v4, v1
	s_waitcnt vmcnt(0)
	ds_write_b128 v1, v[8:11]
.LBB394_11:
	s_or_b64 exec, exec, s[10:11]
	s_waitcnt lgkmcnt(0)
	s_mul_i32 s4, s4, s46
	s_mov_b32 s5, 0
	s_lshl_b64 s[4:5], s[4:5], 1
	s_add_u32 s10, s14, s4
	v_lshlrev_b32_e32 v1, 4, v0
	s_addc_u32 s11, s15, s5
	v_and_b32_e32 v46, 0xf0, v1
	v_mov_b32_e32 v47, 0
	v_lshl_add_u64 v[16:17], s[10:11], 0, v[46:47]
	s_waitcnt vmcnt(3)
	v_mad_i64_i32 v[4:5], s[10:11], v3, s45, 0
	s_waitcnt vmcnt(2)
	v_mad_i64_i32 v[2:3], s[10:11], v2, s45, 0
	;; [unrolled: 2-line block ×3, first 2 shown]
	v_lshl_add_u64 v[4:5], v[4:5], 1, v[16:17]
	v_and_b32_e32 v46, 0x300, v1
	v_lshl_add_u64 v[2:3], v[2:3], 1, v[16:17]
	v_lshl_add_u64 v[6:7], v[6:7], 1, v[16:17]
	s_waitcnt vmcnt(0)
	v_mad_i64_i32 v[14:15], s[10:11], v14, s45, 0
	v_lshl_add_u64 v[4:5], v[4:5], 0, v[46:47]
	v_lshl_add_u64 v[8:9], v[2:3], 0, v[46:47]
	;; [unrolled: 1-line block ×4, first 2 shown]
	s_barrier
	global_load_dwordx4 v[30:33], v[4:5], off
	global_load_dwordx4 v[10:13], v[4:5], off offset:1024
	global_load_dwordx4 v[22:25], v[8:9], off
	s_nop 0
	global_load_dwordx4 v[2:5], v[8:9], off offset:1024
	global_load_dwordx4 v[26:29], v[18:19], off
	s_nop 0
	global_load_dwordx4 v[6:9], v[18:19], off offset:1024
	v_lshl_add_u64 v[18:19], v[14:15], 0, v[46:47]
	global_load_dwordx4 v[34:37], v[18:19], off
	global_load_dwordx4 v[14:17], v[18:19], off offset:1024
	v_add_u32_e32 v18, -11, v44
	v_cmp_gt_u32_e32 vcc, 11, v44
	v_and_b32_e32 v55, 63, v0
	v_mov_b32_e32 v56, 0
	v_cndmask_b32_e32 v18, v18, v44, vcc
	v_lshlrev_b32_e32 v18, 5, v18
	v_lshl_add_u32 v18, v54, 9, v18
	ds_read_b128 v[38:41], v18
	ds_read_b128 v[18:21], v18 offset:2048
	s_and_saveexec_b64 s[10:11], vcc
	s_cbranch_execz .LBB394_13
; %bb.12:
	s_load_dwordx2 s[12:13], s[0:1], 0x40
	v_add_u32_e32 v48, s42, v44
	v_ashrrev_i32_e32 v49, 31, v48
	s_waitcnt lgkmcnt(0)
	v_lshl_add_u64 v[48:49], v[48:49], 2, s[12:13]
	global_load_dword v56, v[48:49], off
.LBB394_13:
	s_or_b64 exec, exec, s[10:11]
	v_and_or_b32 v46, v0, 48, s16
	v_ashrrev_i32_e32 v43, 4, v46
	v_mov_b32_e32 v57, s17
	v_cmp_gt_i32_e32 vcc, s29, v46
	s_waitcnt vmcnt(5) lgkmcnt(1)
	v_mfma_f32_16x16x16_bf16 v[58:61], v[22:23], v[38:39], 0
	s_load_dword s10, s[0:1], 0x1c
	v_cndmask_b32_e32 v48, v57, v43, vcc
	v_ashrrev_i32_e32 v49, 31, v48
	v_or_b32_e32 v43, 64, v46
	v_lshl_add_u64 v[52:53], v[48:49], 2, s[6:7]
	v_mfma_f32_16x16x16_bf16 v[48:51], v[30:31], v[38:39], 0
	v_ashrrev_i32_e32 v30, 4, v43
	v_cmp_gt_i32_e32 vcc, s29, v43
	global_load_dword v70, v[52:53], off
	s_waitcnt vmcnt(4)
	v_mfma_f32_16x16x16_bf16 v[62:65], v[26:27], v[38:39], 0
	v_cndmask_b32_e32 v30, v57, v30, vcc
	v_ashrrev_i32_e32 v31, 31, v30
	v_lshl_add_u64 v[22:23], v[30:31], 2, s[6:7]
	global_load_dword v71, v[22:23], off
	v_mfma_f32_16x16x16_bf16 v[22:25], v[24:25], v[40:41], v[58:61]
	v_and_b32_e32 v26, 0xc0, v0
	s_add_u32 s4, s8, s4
	v_lshlrev_b32_e32 v43, 5, v44
	v_mfma_f32_16x16x16_bf16 v[30:33], v[32:33], v[40:41], v[48:51]
	s_addc_u32 s5, s9, s5
	s_mov_b32 s33, 0xff7fffff
	s_waitcnt vmcnt(3)
	v_mfma_f32_16x16x16_bf16 v[66:69], v[34:35], v[38:39], 0
	v_or_b32_e32 v38, 0x80, v46
	v_add_u32_e32 v48, s16, v26
	v_or_b32_e32 v39, 0xc0, v46
	v_mfma_f32_16x16x16_bf16 v[26:29], v[28:29], v[40:41], v[62:65]
	v_ashrrev_i32_e32 v49, 4, v38
	v_cmp_gt_i32_e32 vcc, s29, v38
	v_ashrrev_i32_e32 v50, 4, v39
	s_waitcnt lgkmcnt(0)
	v_mfma_f32_16x16x16_bf16 v[22:25], v[2:3], v[18:19], v[22:25]
	v_cndmask_b32_e32 v38, v57, v49, vcc
	v_cmp_gt_i32_e32 vcc, s29, v39
	v_ashrrev_i32_e32 v39, 31, v38
	v_mfma_f32_16x16x16_bf16 v[30:33], v[10:11], v[18:19], v[30:33]
	v_cndmask_b32_e32 v10, v57, v50, vcc
	v_ashrrev_i32_e32 v11, 31, v10
	v_lshl_or_b32 v58, v54, 2, v48
	v_mfma_f32_16x16x16_bf16 v[26:29], v[6:7], v[18:19], v[26:29]
	v_lshl_add_u64 v[6:7], v[38:39], 2, s[6:7]
	v_lshl_add_u64 v[38:39], v[10:11], 2, s[6:7]
	v_or_b32_e32 v57, 1, v58
	v_mfma_f32_16x16x16_bf16 v[2:5], v[4:5], v[20:21], v[22:25]
	s_nop 2
	global_load_dword v22, v[6:7], off
	global_load_dword v61, v[38:39], off
	v_subrev_u32_e32 v59, s29, v57
	v_cvt_f32_i32_e32 v60, v59
	v_mfma_f32_16x16x16_bf16 v[34:37], v[36:37], v[40:41], v[66:69]
	v_pk_mul_f32 v[48:49], s[10:11], v[4:5] op_sel_hi:[0,1]
	v_lshl_or_b32 v46, v45, 9, v43
	v_lshl_add_u64 v[46:47], s[4:5], 0, v[46:47]
	s_waitcnt vmcnt(4)
	v_mfma_f32_16x16x16_bf16 v[34:37], v[14:15], v[18:19], v[34:37]
	v_add_u32_e32 v14, 1, v59
	v_add_u32_e32 v15, 2, v59
	v_cvt_f32_i32_e32 v23, v14
	v_cvt_f32_i32_e32 v24, v15
	v_mfma_f32_16x16x16_bf16 v[14:17], v[16:17], v[20:21], v[34:37]
	v_add_u32_e32 v18, 3, v59
	v_cvt_f32_i32_e32 v18, v18
	v_pk_mul_f32 v[50:51], s[10:11], v[2:3] op_sel_hi:[0,1]
	v_mfma_f32_16x16x16_bf16 v[10:13], v[12:13], v[20:21], v[30:33]
	v_cmp_gt_i32_e64 s[34:35], s29, v57
	s_nop 1
	v_pk_mul_f32 v[36:37], s[10:11], v[14:15] op_sel_hi:[0,1]
	v_add_u32_e32 v15, 19, v59
	v_add_u32_e32 v31, 18, v59
	v_cvt_f32_i32_e32 v14, v31
	v_cvt_f32_i32_e32 v15, v15
	v_mfma_f32_16x16x16_bf16 v[6:9], v[8:9], v[20:21], v[26:29]
	v_pk_mul_f32 v[34:35], s[10:11], v[16:17] op_sel_hi:[0,1]
	v_fma_f32 v48, v56, v14, v48
	v_add_u32_e32 v14, 32, v59
	v_fmac_f32_e32 v49, v56, v15
	v_cvt_f32_i32_e32 v14, v14
	v_add_u32_e32 v15, 33, v59
	v_add_u32_e32 v16, 34, v59
	v_cvt_f32_i32_e32 v15, v15
	v_cvt_f32_i32_e32 v16, v16
	v_add_u32_e32 v17, 35, v59
	v_cvt_f32_i32_e32 v17, v17
	v_pk_mul_f32 v[40:41], s[10:11], v[6:7] op_sel_hi:[0,1]
	v_pk_mul_f32 v[38:39], s[10:11], v[8:9] op_sel_hi:[0,1]
	v_fma_f32 v40, v56, v14, v40
	v_add_u32_e32 v14, 48, v59
	v_fmac_f32_e32 v41, v56, v15
	v_fma_f32 v38, v56, v16, v38
	v_cvt_f32_i32_e32 v14, v14
	v_add_u32_e32 v15, 49, v59
	v_add_u32_e32 v16, 50, v59
	v_fmac_f32_e32 v39, v56, v17
	v_cvt_f32_i32_e32 v15, v15
	v_cvt_f32_i32_e32 v16, v16
	v_add_u32_e32 v17, 51, v59
	v_cvt_f32_i32_e32 v17, v17
	v_pk_mul_f32 v[52:53], s[10:11], v[12:13] op_sel_hi:[0,1]
	v_pk_mul_f32 v[10:11], s[10:11], v[10:11] op_sel_hi:[0,1]
	s_waitcnt vmcnt(3)
	v_mad_i64_i32 v[2:3], s[4:5], v70, s45, 0
	s_waitcnt vmcnt(2)
	v_mad_i64_i32 v[12:13], s[4:5], v71, s45, 0
	v_fma_f32 v10, v56, v60, v10
	v_fmac_f32_e32 v11, v56, v23
	v_fma_f32 v36, v56, v14, v36
	v_mov_b32_e32 v14, 0xff7fffff
	v_cmp_gt_i32_e64 s[4:5], s29, v58
	v_add_u32_e32 v19, 16, v59
	v_add_u32_e32 v30, 17, v59
	v_fmac_f32_e32 v37, v56, v15
	v_fma_f32 v34, v56, v16, v34
	v_cndmask_b32_e64 v15, v14, v10, s[4:5]
	v_cndmask_b32_e64 v16, v14, v11, s[34:35]
	v_cvt_f32_i32_e32 v19, v19
	v_cvt_f32_i32_e32 v25, v30
	v_fmac_f32_e32 v35, v56, v17
	v_max3_f32 v15, v15, s33, v16
	v_or_b32_e32 v16, 2, v58
	v_or_b32_e32 v17, 3, v58
	v_fma_f32 v52, v56, v24, v52
	v_fmac_f32_e32 v53, v56, v18
	v_cmp_gt_i32_e64 s[36:37], s29, v16
	v_cmp_gt_i32_e64 s[38:39], s29, v17
	v_fma_f32 v50, v56, v19, v50
	v_cndmask_b32_e64 v16, v14, v52, s[36:37]
	v_cndmask_b32_e64 v17, v14, v53, s[38:39]
	v_max3_f32 v15, v15, v16, v17
	v_or_b32_e32 v16, 16, v58
	v_or_b32_e32 v17, 17, v58
	v_fmac_f32_e32 v51, v56, v25
	v_cmp_gt_i32_e64 s[24:25], s29, v16
	v_cmp_gt_i32_e64 s[26:27], s29, v17
	v_lshl_add_u64 v[2:3], v[2:3], 1, v[46:47]
	v_cndmask_b32_e64 v16, v14, v50, s[24:25]
	v_cndmask_b32_e64 v17, v14, v51, s[26:27]
	v_max3_f32 v15, v15, v16, v17
	v_or_b32_e32 v16, 18, v58
	v_or_b32_e32 v17, 19, v58
	v_cmp_gt_i32_e64 s[20:21], s29, v16
	v_cmp_gt_i32_e64 s[22:23], s29, v17
	v_lshl_add_u64 v[12:13], v[12:13], 1, v[46:47]
	v_cndmask_b32_e64 v16, v14, v48, s[20:21]
	v_cndmask_b32_e64 v17, v14, v49, s[22:23]
	v_max3_f32 v15, v15, v16, v17
	v_or_b32_e32 v16, 32, v58
	v_or_b32_e32 v17, 33, v58
	v_cmp_gt_i32_e64 s[16:17], s29, v16
	v_cmp_gt_i32_e64 s[18:19], s29, v17
	global_load_dwordx4 v[6:9], v[2:3], off
	s_nop 0
	global_load_dwordx4 v[2:5], v[2:3], off offset:16
	v_cndmask_b32_e64 v16, v14, v40, s[16:17]
	v_cndmask_b32_e64 v17, v14, v41, s[18:19]
	v_max3_f32 v15, v15, v16, v17
	v_or_b32_e32 v16, 34, v58
	v_or_b32_e32 v17, 35, v58
	v_cmp_gt_i32_e64 s[12:13], s29, v16
	v_cmp_gt_i32_e64 s[14:15], s29, v17
	global_load_dwordx4 v[30:33], v[12:13], off
	global_load_dwordx4 v[26:29], v[12:13], off offset:16
	v_cndmask_b32_e64 v16, v14, v38, s[12:13]
	v_cndmask_b32_e64 v17, v14, v39, s[14:15]
	v_max3_f32 v15, v15, v16, v17
	v_or_b32_e32 v16, 48, v58
	v_or_b32_e32 v17, 49, v58
	v_cmp_gt_i32_e64 s[8:9], s29, v16
	v_cmp_gt_i32_e64 s[10:11], s29, v17
	s_nop 0
	v_cndmask_b32_e64 v16, v14, v36, s[8:9]
	v_cndmask_b32_e64 v17, v14, v37, s[10:11]
	v_max3_f32 v15, v15, v16, v17
	v_or_b32_e32 v16, 50, v58
	v_or_b32_e32 v17, 51, v58
	v_cmp_gt_i32_e32 vcc, s29, v16
	v_cmp_gt_i32_e64 s[6:7], s29, v17
	s_nop 0
	v_cndmask_b32_e32 v16, v14, v34, vcc
	v_cndmask_b32_e64 v14, v14, v35, s[6:7]
	v_max3_f32 v14, v15, v16, v14
	v_mbcnt_lo_u32_b32 v15, -1, 0
	v_mbcnt_hi_u32_b32 v15, -1, v15
	v_and_b32_e32 v16, 64, v15
	v_add_u32_e32 v16, 64, v16
	v_xor_b32_e32 v17, 32, v15
	v_cmp_lt_i32_e64 s[40:41], v17, v16
	s_nop 1
	v_cndmask_b32_e64 v17, v15, v17, s[40:41]
	v_lshlrev_b32_e32 v57, 2, v17
	ds_bpermute_b32 v17, v57, v14
	s_waitcnt vmcnt(5)
	v_mad_i64_i32 v[12:13], s[40:41], v22, s45, 0
	v_lshl_add_u64 v[12:13], v[12:13], 1, v[46:47]
	global_load_dwordx4 v[22:25], v[12:13], off
	global_load_dwordx4 v[18:21], v[12:13], off offset:16
	s_waitcnt lgkmcnt(0)
	v_max_f32_e32 v17, v17, v17
	v_max_f32_e32 v14, v14, v17
	v_xor_b32_e32 v17, 16, v15
	v_cmp_lt_i32_e64 s[40:41], v17, v16
	s_nop 1
	v_cndmask_b32_e64 v15, v15, v17, s[40:41]
	v_lshlrev_b32_e32 v59, 2, v15
	ds_bpermute_b32 v15, v59, v14
	s_waitcnt vmcnt(6)
	v_mad_i64_i32 v[12:13], s[40:41], v61, s45, 0
	v_lshl_add_u64 v[12:13], v[12:13], 1, v[46:47]
	s_waitcnt lgkmcnt(0)
	v_max_f32_e32 v15, v15, v15
	v_max_f32_e32 v56, v14, v15
	v_sub_f32_e32 v10, v10, v56
	v_mul_f32_e32 v10, 0x3fb8aa3b, v10
	v_exp_f32_e32 v46, v10
	v_sub_f32_e32 v10, v11, v56
	v_mul_f32_e32 v10, 0x3fb8aa3b, v10
	v_exp_f32_e32 v47, v10
	global_load_dwordx4 v[14:17], v[12:13], off
	s_nop 0
	global_load_dwordx4 v[10:13], v[12:13], off offset:16
	v_sub_f32_e32 v52, v52, v56
	v_mul_f32_e32 v52, 0x3fb8aa3b, v52
	v_sub_f32_e32 v53, v53, v56
	v_exp_f32_e32 v52, v52
	v_mul_f32_e32 v53, 0x3fb8aa3b, v53
	v_sub_f32_e32 v50, v50, v56
	v_exp_f32_e32 v53, v53
	v_mul_f32_e32 v50, 0x3fb8aa3b, v50
	v_sub_f32_e32 v51, v51, v56
	v_cndmask_b32_e64 v46, 0, v46, s[4:5]
	v_exp_f32_e32 v50, v50
	v_mul_f32_e32 v51, 0x3fb8aa3b, v51
	v_sub_f32_e32 v48, v48, v56
	v_add_f32_e32 v58, 0, v46
	v_cndmask_b32_e64 v47, 0, v47, s[34:35]
	v_exp_f32_e32 v51, v51
	v_mul_f32_e32 v48, 0x3fb8aa3b, v48
	v_sub_f32_e32 v49, v49, v56
	v_add_f32_e32 v58, v58, v47
	;; [unrolled: 5-line block ×10, first 2 shown]
	v_cndmask_b32_e64 v38, 0, v38, s[12:13]
	v_exp_f32_e32 v34, v34
	v_mul_f32_e32 v35, 0x3fb8aa3b, v35
	v_add_f32_e32 v58, v58, v38
	v_cndmask_b32_e64 v39, 0, v39, s[14:15]
	v_exp_f32_e32 v35, v35
	v_add_f32_e32 v58, v58, v39
	v_cndmask_b32_e64 v36, 0, v36, s[8:9]
	v_add_f32_e32 v58, v58, v36
	v_cndmask_b32_e64 v37, 0, v37, s[10:11]
	v_add_f32_e32 v58, v58, v37
	v_cndmask_b32_e32 v34, 0, v34, vcc
	v_add_f32_e32 v58, v58, v34
	v_cndmask_b32_e64 v35, 0, v35, s[6:7]
	v_add_f32_e32 v58, v58, v35
	ds_bpermute_b32 v57, v57, v58
	s_load_dword s7, s[0:1], 0x98
	v_cmp_gt_u32_e32 vcc, 16, v55
	s_waitcnt lgkmcnt(0)
	s_barrier
	v_add_f32_e32 v58, v58, v57
	ds_bpermute_b32 v59, v59, v58
	v_lshlrev_b32_e32 v57, 2, v44
	s_waitcnt lgkmcnt(0)
	s_and_saveexec_b64 s[4:5], vcc
	s_cbranch_execz .LBB394_15
; %bb.14:
	v_add_f32_e32 v55, v58, v59
	v_lshl_or_b32 v58, v45, 6, v57
	ds_write2st64_b32 v58, v56, v55 offset1:1
.LBB394_15:
	s_or_b64 exec, exec, s[4:5]
	s_load_dword s6, s[0:1], 0x94
	s_waitcnt lgkmcnt(0)
	s_barrier
	ds_read2_b32 v[58:59], v57 offset1:16
	ds_read2_b32 v[60:61], v57 offset0:32 offset1:48
	ds_read2_b32 v[62:63], v57 offset0:64 offset1:80
	s_movk_i32 s8, 0x7fff
	s_mov_b32 s9, 0x7060302
	s_waitcnt lgkmcnt(2)
	v_max3_f32 v55, v58, s33, v59
	s_waitcnt lgkmcnt(1)
	v_max3_f32 v55, v55, v60, v61
	v_sub_f32_e32 v56, v58, v55
	v_mul_f32_e32 v56, 0x3fb8aa3b, v56
	v_exp_f32_e32 v64, v56
	v_sub_f32_e32 v56, v59, v55
	v_mul_f32_e32 v56, 0x3fb8aa3b, v56
	v_exp_f32_e32 v65, v56
	;; [unrolled: 3-line block ×3, first 2 shown]
	ds_read2_b32 v[58:59], v57 offset0:96 offset1:112
	v_sub_f32_e32 v56, v61, v55
	v_mul_f32_e32 v56, 0x3fb8aa3b, v56
	v_exp_f32_e32 v57, v56
	s_waitcnt lgkmcnt(1)
	v_fma_f32 v56, v64, v62, 0
	v_fmac_f32_e32 v56, v65, v63
	s_waitcnt lgkmcnt(0)
	v_fmac_f32_e32 v56, v60, v58
	v_fmac_f32_e32 v56, v57, v59
	v_add_f32_e32 v58, 0x358637bd, v56
	v_div_scale_f32 v59, s[4:5], v58, v58, 1.0
	v_rcp_f32_e32 v61, v59
	s_mul_i32 s7, s7, 11
	s_barrier
	v_fma_f32 v62, -v59, v61, 1.0
	v_fmac_f32_e32 v61, v62, v61
	v_div_scale_f32 v62, vcc, 1.0, v58, 1.0
	v_mul_f32_e32 v63, v62, v61
	v_fma_f32 v66, -v59, v63, v62
	v_fmac_f32_e32 v63, v66, v61
	v_fma_f32 v59, -v59, v63, v62
	v_div_fmas_f32 v59, v59, v61, v63
	v_cmp_eq_u32_e32 vcc, 1, v45
	v_div_fixup_f32 v58, v59, v58, 1.0
	s_nop 0
	v_cndmask_b32_e32 v59, v64, v65, vcc
	v_cmp_eq_u32_e32 vcc, 2, v45
	s_nop 1
	v_cndmask_b32_e32 v59, v59, v60, vcc
	v_cmp_eq_u32_e32 vcc, 3, v45
	v_lshlrev_b32_e32 v45, 11, v45
	s_nop 0
	v_cndmask_b32_e32 v57, v59, v57, vcc
	v_mul_f32_e32 v58, v57, v58
	v_pk_mul_f32 v[46:47], v[58:59], v[46:47] op_sel_hi:[0,1]
	v_pk_mul_f32 v[52:53], v[58:59], v[52:53] op_sel_hi:[0,1]
	v_bfe_u32 v57, v47, 16, 1
	v_bfe_u32 v59, v46, 16, 1
	v_add3_u32 v46, v46, v59, s8
	v_add3_u32 v47, v47, v57, s8
	v_perm_b32 v60, v47, v46, s9
	v_bfe_u32 v46, v53, 16, 1
	v_bfe_u32 v47, v52, 16, 1
	v_add3_u32 v47, v52, v47, s8
	v_add3_u32 v46, v53, v46, s8
	v_perm_b32 v61, v46, v47, s9
	v_lshlrev_b32_e32 v46, 3, v54
	v_pk_mul_f32 v[50:51], v[58:59], v[50:51] op_sel_hi:[0,1]
	v_or3_b32 v46, v45, v43, v46
	v_bfe_u32 v45, v51, 16, 1
	v_bfe_u32 v47, v50, 16, 1
	v_pk_mul_f32 v[48:49], v[58:59], v[48:49] op_sel_hi:[0,1]
	v_add3_u32 v47, v50, v47, s8
	v_add3_u32 v45, v51, v45, s8
	v_perm_b32 v50, v45, v47, s9
	v_bfe_u32 v45, v49, 16, 1
	v_bfe_u32 v47, v48, 16, 1
	v_add3_u32 v47, v48, v47, s8
	v_add3_u32 v45, v49, v45, s8
	v_pk_mul_f32 v[40:41], v[58:59], v[40:41] op_sel_hi:[0,1]
	v_perm_b32 v51, v45, v47, s9
	v_bfe_u32 v45, v41, 16, 1
	v_bfe_u32 v47, v40, 16, 1
	v_pk_mul_f32 v[38:39], v[58:59], v[38:39] op_sel_hi:[0,1]
	v_add3_u32 v40, v40, v47, s8
	v_add3_u32 v41, v41, v45, s8
	v_perm_b32 v40, v41, v40, s9
	v_bfe_u32 v41, v39, 16, 1
	v_bfe_u32 v45, v38, 16, 1
	v_add3_u32 v38, v38, v45, s8
	v_add3_u32 v39, v39, v41, s8
	v_pk_mul_f32 v[36:37], v[58:59], v[36:37] op_sel_hi:[0,1]
	v_perm_b32 v41, v39, v38, s9
	v_bfe_u32 v38, v37, 16, 1
	v_bfe_u32 v39, v36, 16, 1
	v_pk_mul_f32 v[34:35], v[58:59], v[34:35] op_sel_hi:[0,1]
	v_add3_u32 v36, v36, v39, s8
	v_add3_u32 v37, v37, v38, s8
	v_perm_b32 v36, v37, v36, s9
	v_bfe_u32 v37, v35, 16, 1
	v_bfe_u32 v38, v34, 16, 1
	v_add3_u32 v34, v34, v38, s8
	v_add3_u32 v35, v35, v37, s8
	v_perm_b32 v37, v35, v34, s9
	v_cmp_gt_u32_e32 vcc, 11, v0
	ds_write2st64_b64 v46, v[60:61], v[50:51] offset1:1
	ds_write2st64_b64 v46, v[40:41], v[36:37] offset0:2 offset1:3
	s_and_saveexec_b64 s[4:5], vcc
	s_cbranch_execz .LBB394_17
; %bb.16:
	s_mov_b32 s43, 0
	v_mov_b32_e32 v45, 0
	v_lshl_add_u64 v[34:35], s[42:43], 0, v[44:45]
	v_mov_b32_e32 v36, s7
	v_mad_u64_u32 v[34:35], s[10:11], s2, v36, v[34:35]
	s_mul_i32 s3, s3, s7
	v_mov_b32_e32 v44, s28
	s_load_dwordx4 s[12:15], s[0:1], 0x58
	v_add_u32_e32 v37, s3, v35
	v_mad_u64_u32 v[34:35], s[10:11], v34, s6, v[44:45]
	v_mov_b32_e32 v36, v35
	v_mad_u64_u32 v[36:37], s[10:11], v37, s6, v[36:37]
	v_mov_b32_e32 v35, v36
	v_lshlrev_b64 v[34:35], 2, v[34:35]
	s_waitcnt lgkmcnt(0)
	v_lshl_add_u64 v[36:37], s[14:15], 0, v[34:35]
	v_lshl_add_u64 v[34:35], s[12:13], 0, v[34:35]
	global_store_dword v[36:37], v55, off
	global_store_dword v[34:35], v56, off
.LBB394_17:
	s_or_b64 exec, exec, s[4:5]
	v_lshl_or_b32 v43, v54, 9, v43
	s_waitcnt lgkmcnt(0)
	s_barrier
	ds_read_b128 v[34:37], v43
	ds_read_b128 v[38:41], v43 offset:16
	s_waitcnt vmcnt(7) lgkmcnt(1)
	v_mfma_f32_16x16x16_bf16 v[48:51], v[6:7], v[34:35], 0
	v_cmp_gt_u32_e32 vcc, 64, v0
	s_mov_b32 s3, 0
	s_and_b64 s[4:5], vcc, s[30:31]
	v_mfma_f32_16x16x16_bf16 v[6:9], v[8:9], v[36:37], v[48:51]
	s_waitcnt vmcnt(6) lgkmcnt(0)
	v_mfma_f32_16x16x16_bf16 v[6:9], v[2:3], v[38:39], v[6:9]
	v_mfma_f32_16x16x16_bf16 v[2:5], v[4:5], v[40:41], v[6:9]
	s_nop 5
	ds_read_b128 v[6:9], v43 offset:2048
	ds_read_b128 v[34:37], v43 offset:2064
	s_waitcnt vmcnt(5) lgkmcnt(1)
	v_mfma_f32_16x16x16_bf16 v[2:5], v[30:31], v[6:7], v[2:5]
	v_mfma_f32_16x16x16_bf16 v[2:5], v[32:33], v[8:9], v[2:5]
	s_waitcnt vmcnt(4) lgkmcnt(0)
	v_mfma_f32_16x16x16_bf16 v[2:5], v[26:27], v[34:35], v[2:5]
	v_mfma_f32_16x16x16_bf16 v[2:5], v[28:29], v[36:37], v[2:5]
	ds_read_b128 v[6:9], v43 offset:4096
	ds_read_b128 v[26:29], v43 offset:4112
	s_waitcnt vmcnt(3) lgkmcnt(1)
	v_mfma_f32_16x16x16_bf16 v[2:5], v[22:23], v[6:7], v[2:5]
	v_mfma_f32_16x16x16_bf16 v[2:5], v[24:25], v[8:9], v[2:5]
	s_waitcnt vmcnt(2) lgkmcnt(0)
	v_mfma_f32_16x16x16_bf16 v[2:5], v[18:19], v[26:27], v[2:5]
	v_mfma_f32_16x16x16_bf16 v[2:5], v[20:21], v[28:29], v[2:5]
	ds_read_b128 v[6:9], v43 offset:6144
	ds_read_b128 v[18:21], v43 offset:6160
	v_mov_b32_e32 v43, 0
	s_waitcnt vmcnt(1) lgkmcnt(0)
	v_mfma_f32_16x16x16_bf16 v[2:5], v[14:15], v[6:7], v[2:5]
	s_barrier
	v_mfma_f32_16x16x16_bf16 v[2:5], v[16:17], v[8:9], v[2:5]
	s_waitcnt vmcnt(0)
	v_mfma_f32_16x16x16_bf16 v[2:5], v[10:11], v[18:19], v[2:5]
	v_mfma_f32_16x16x16_bf16 v[2:5], v[12:13], v[20:21], v[2:5]
	s_nop 6
	v_bfe_u32 v6, v3, 16, 1
	v_bfe_u32 v7, v2, 16, 1
	;; [unrolled: 1-line block ×4, first 2 shown]
	v_add3_u32 v2, v2, v7, s8
	v_add3_u32 v3, v3, v6, s8
	;; [unrolled: 1-line block ×4, first 2 shown]
	v_perm_b32 v2, v3, v2, s9
	v_perm_b32 v3, v5, v4, s9
	ds_write_b64 v46, v[2:3]
	s_waitcnt lgkmcnt(0)
	s_barrier
	s_and_saveexec_b64 s[8:9], s[4:5]
	s_cbranch_execz .LBB394_20
; %bb.18:
	s_load_dwordx2 s[4:5], s[0:1], 0x68
	s_lshl_b32 s0, s6, 6
	s_mul_i32 s1, s7, s2
	s_mul_hi_u32 s7, s1, s0
	s_mul_i32 s6, s1, s0
	v_lshlrev_b32_e32 v0, 10, v0
	s_lshl_b64 s[6:7], s[6:7], 1
	v_and_b32_e32 v0, 0x1800, v0
	v_lshlrev_b32_e32 v2, 5, v54
	v_and_b32_e32 v1, 16, v1
	s_waitcnt lgkmcnt(0)
	s_add_u32 s1, s4, s6
	v_or3_b32 v2, v0, v2, v1
	s_addc_u32 s4, s5, s7
	s_lshl_b32 s2, s28, 6
	s_lshl_b64 s[2:3], s[2:3], 1
	ds_read_b128 v[4:7], v2 offset:128
	ds_read_b128 v[8:11], v2
	s_add_u32 s2, s1, s2
	s_addc_u32 s3, s4, s3
	v_add_u32_e32 v3, s42, v54
	v_lshl_add_u64 v[0:1], s[2:3], 0, v[42:43]
	v_mad_u64_u32 v[12:13], s[2:3], v3, s0, 0
	v_lshl_add_u64 v[12:13], v[12:13], 1, v[0:1]
	v_add_u32_e32 v3, 4, v3
	s_waitcnt lgkmcnt(0)
	global_store_dwordx4 v[12:13], v[8:11], off
	v_cmp_ne_u32_e32 vcc, 3, v54
	s_nop 0
	v_mad_u64_u32 v[8:9], s[2:3], v3, s0, 0
	v_lshl_add_u64 v[8:9], v[8:9], 1, v[0:1]
	global_store_dwordx4 v[8:9], v[4:7], off
	s_and_b64 exec, exec, vcc
	s_cbranch_execz .LBB394_20
; %bb.19:
	ds_read_b128 v[2:5], v2 offset:256
	v_add3_u32 v6, s42, v54, 8
	v_mad_u64_u32 v[6:7], s[0:1], v6, s0, 0
	v_lshl_add_u64 v[0:1], v[6:7], 1, v[0:1]
	s_waitcnt lgkmcnt(0)
	global_store_dwordx4 v[0:1], v[2:5], off
.LBB394_20:
	s_endpgm
	.section	.rodata,"a",@progbits
	.p2align	6, 0x0
	.amdhsa_kernel _Z39paged_attention_ll4mi_QKV_mfma16_kernelI14__hip_bfloat16S0_LN4vllm18Fp8KVCacheDataTypeE0EhLi16ELi64ELi256ELb1ELi11EEvPKT_PKT0_S8_ifPKiSA_SA_iPKfiiiPfSD_PS3_PT2_iSC_SC_
		.amdhsa_group_segment_fixed_size 8192
		.amdhsa_private_segment_fixed_size 0
		.amdhsa_kernarg_size 400
		.amdhsa_user_sgpr_count 2
		.amdhsa_user_sgpr_dispatch_ptr 0
		.amdhsa_user_sgpr_queue_ptr 0
		.amdhsa_user_sgpr_kernarg_segment_ptr 1
		.amdhsa_user_sgpr_dispatch_id 0
		.amdhsa_user_sgpr_kernarg_preload_length 0
		.amdhsa_user_sgpr_kernarg_preload_offset 0
		.amdhsa_user_sgpr_private_segment_size 0
		.amdhsa_uses_dynamic_stack 0
		.amdhsa_enable_private_segment 0
		.amdhsa_system_sgpr_workgroup_id_x 1
		.amdhsa_system_sgpr_workgroup_id_y 1
		.amdhsa_system_sgpr_workgroup_id_z 1
		.amdhsa_system_sgpr_workgroup_info 0
		.amdhsa_system_vgpr_workitem_id 0
		.amdhsa_next_free_vgpr 72
		.amdhsa_next_free_sgpr 48
		.amdhsa_accum_offset 72
		.amdhsa_reserve_vcc 1
		.amdhsa_float_round_mode_32 0
		.amdhsa_float_round_mode_16_64 0
		.amdhsa_float_denorm_mode_32 3
		.amdhsa_float_denorm_mode_16_64 3
		.amdhsa_dx10_clamp 1
		.amdhsa_ieee_mode 1
		.amdhsa_fp16_overflow 0
		.amdhsa_tg_split 0
		.amdhsa_exception_fp_ieee_invalid_op 0
		.amdhsa_exception_fp_denorm_src 0
		.amdhsa_exception_fp_ieee_div_zero 0
		.amdhsa_exception_fp_ieee_overflow 0
		.amdhsa_exception_fp_ieee_underflow 0
		.amdhsa_exception_fp_ieee_inexact 0
		.amdhsa_exception_int_div_zero 0
	.end_amdhsa_kernel
	.section	.text._Z39paged_attention_ll4mi_QKV_mfma16_kernelI14__hip_bfloat16S0_LN4vllm18Fp8KVCacheDataTypeE0EhLi16ELi64ELi256ELb1ELi11EEvPKT_PKT0_S8_ifPKiSA_SA_iPKfiiiPfSD_PS3_PT2_iSC_SC_,"axG",@progbits,_Z39paged_attention_ll4mi_QKV_mfma16_kernelI14__hip_bfloat16S0_LN4vllm18Fp8KVCacheDataTypeE0EhLi16ELi64ELi256ELb1ELi11EEvPKT_PKT0_S8_ifPKiSA_SA_iPKfiiiPfSD_PS3_PT2_iSC_SC_,comdat
.Lfunc_end394:
	.size	_Z39paged_attention_ll4mi_QKV_mfma16_kernelI14__hip_bfloat16S0_LN4vllm18Fp8KVCacheDataTypeE0EhLi16ELi64ELi256ELb1ELi11EEvPKT_PKT0_S8_ifPKiSA_SA_iPKfiiiPfSD_PS3_PT2_iSC_SC_, .Lfunc_end394-_Z39paged_attention_ll4mi_QKV_mfma16_kernelI14__hip_bfloat16S0_LN4vllm18Fp8KVCacheDataTypeE0EhLi16ELi64ELi256ELb1ELi11EEvPKT_PKT0_S8_ifPKiSA_SA_iPKfiiiPfSD_PS3_PT2_iSC_SC_
                                        ; -- End function
	.section	.AMDGPU.csdata,"",@progbits
; Kernel info:
; codeLenInByte = 4336
; NumSgprs: 54
; NumVgprs: 72
; NumAgprs: 0
; TotalNumVgprs: 72
; ScratchSize: 0
; MemoryBound: 0
; FloatMode: 240
; IeeeMode: 1
; LDSByteSize: 8192 bytes/workgroup (compile time only)
; SGPRBlocks: 6
; VGPRBlocks: 8
; NumSGPRsForWavesPerEU: 54
; NumVGPRsForWavesPerEU: 72
; AccumOffset: 72
; Occupancy: 7
; WaveLimiterHint : 1
; COMPUTE_PGM_RSRC2:SCRATCH_EN: 0
; COMPUTE_PGM_RSRC2:USER_SGPR: 2
; COMPUTE_PGM_RSRC2:TRAP_HANDLER: 0
; COMPUTE_PGM_RSRC2:TGID_X_EN: 1
; COMPUTE_PGM_RSRC2:TGID_Y_EN: 1
; COMPUTE_PGM_RSRC2:TGID_Z_EN: 1
; COMPUTE_PGM_RSRC2:TIDIG_COMP_CNT: 0
; COMPUTE_PGM_RSRC3_GFX90A:ACCUM_OFFSET: 17
; COMPUTE_PGM_RSRC3_GFX90A:TG_SPLIT: 0
	.section	.text._Z39paged_attention_ll4mi_QKV_mfma16_kernelI14__hip_bfloat16S0_LN4vllm18Fp8KVCacheDataTypeE0EhLi16ELi64ELi256ELb1ELi12EEvPKT_PKT0_S8_ifPKiSA_SA_iPKfiiiPfSD_PS3_PT2_iSC_SC_,"axG",@progbits,_Z39paged_attention_ll4mi_QKV_mfma16_kernelI14__hip_bfloat16S0_LN4vllm18Fp8KVCacheDataTypeE0EhLi16ELi64ELi256ELb1ELi12EEvPKT_PKT0_S8_ifPKiSA_SA_iPKfiiiPfSD_PS3_PT2_iSC_SC_,comdat
	.protected	_Z39paged_attention_ll4mi_QKV_mfma16_kernelI14__hip_bfloat16S0_LN4vllm18Fp8KVCacheDataTypeE0EhLi16ELi64ELi256ELb1ELi12EEvPKT_PKT0_S8_ifPKiSA_SA_iPKfiiiPfSD_PS3_PT2_iSC_SC_ ; -- Begin function _Z39paged_attention_ll4mi_QKV_mfma16_kernelI14__hip_bfloat16S0_LN4vllm18Fp8KVCacheDataTypeE0EhLi16ELi64ELi256ELb1ELi12EEvPKT_PKT0_S8_ifPKiSA_SA_iPKfiiiPfSD_PS3_PT2_iSC_SC_
	.globl	_Z39paged_attention_ll4mi_QKV_mfma16_kernelI14__hip_bfloat16S0_LN4vllm18Fp8KVCacheDataTypeE0EhLi16ELi64ELi256ELb1ELi12EEvPKT_PKT0_S8_ifPKiSA_SA_iPKfiiiPfSD_PS3_PT2_iSC_SC_
	.p2align	8
	.type	_Z39paged_attention_ll4mi_QKV_mfma16_kernelI14__hip_bfloat16S0_LN4vllm18Fp8KVCacheDataTypeE0EhLi16ELi64ELi256ELb1ELi12EEvPKT_PKT0_S8_ifPKiSA_SA_iPKfiiiPfSD_PS3_PT2_iSC_SC_,@function
_Z39paged_attention_ll4mi_QKV_mfma16_kernelI14__hip_bfloat16S0_LN4vllm18Fp8KVCacheDataTypeE0EhLi16ELi64ELi256ELb1ELi12EEvPKT_PKT0_S8_ifPKiSA_SA_iPKfiiiPfSD_PS3_PT2_iSC_SC_: ; @_Z39paged_attention_ll4mi_QKV_mfma16_kernelI14__hip_bfloat16S0_LN4vllm18Fp8KVCacheDataTypeE0EhLi16ELi64ELi256ELb1ELi12EEvPKT_PKT0_S8_ifPKiSA_SA_iPKfiiiPfSD_PS3_PT2_iSC_SC_
; %bb.0:
	s_load_dwordx2 s[8:9], s[0:1], 0x30
	s_mov_b32 s28, s3
	s_mov_b64 s[6:7], 0
	s_waitcnt lgkmcnt(0)
	s_cmp_lg_u64 s[8:9], 0
	s_cselect_b64 s[10:11], -1, 0
	s_and_b64 vcc, exec, s[10:11]
	s_cbranch_vccz .LBB395_7
; %bb.1:
	s_add_i32 s12, s2, 1
	s_mov_b32 s13, 0
	s_lshl_b64 s[14:15], s[12:13], 2
	s_add_u32 s14, s8, s14
	s_mov_b32 s3, s13
	s_addc_u32 s15, s9, s15
	s_lshl_b64 s[12:13], s[2:3], 2
	s_add_u32 s12, s8, s12
	s_addc_u32 s13, s9, s13
	s_load_dword s5, s[14:15], 0x0
	s_load_dword s16, s[12:13], 0x0
	s_waitcnt lgkmcnt(0)
	s_sub_i32 s5, s5, s16
	s_cmp_eq_u32 s5, 1
	s_cselect_b64 s[12:13], -1, 0
	s_andn2_b64 vcc, exec, s[6:7]
	s_cbranch_vccnz .LBB395_3
.LBB395_2:
	s_mov_b32 s3, 0
	s_mov_b64 s[12:13], -1
.LBB395_3:
	s_andn2_b64 vcc, exec, s[12:13]
	s_cbranch_vccnz .LBB395_19
; %bb.4:
	s_load_dwordx2 s[6:7], s[0:1], 0x28
	s_lshl_b64 s[14:15], s[2:3], 2
	s_waitcnt lgkmcnt(0)
	s_add_u32 s6, s6, s14
	s_addc_u32 s7, s7, s15
	s_load_dword s29, s[6:7], 0x0
	s_lshl_b32 s16, s28, 8
	s_waitcnt lgkmcnt(0)
	s_cmp_ge_i32 s16, s29
	s_cbranch_scc1 .LBB395_19
; %bb.5:
	s_load_dwordx2 s[6:7], s[0:1], 0x20
	s_load_dword s5, s[0:1], 0x38
	s_add_i32 s12, s29, 15
	s_ashr_i32 s13, s12, 31
	v_and_b32_e32 v1, 0xcf, v0
	s_lshr_b32 s13, s13, 28
	v_add_u32_e32 v1, s16, v1
	s_add_i32 s12, s12, s13
	v_ashrrev_i32_e32 v2, 31, v1
	s_ashr_i32 s17, s12, 4
	v_lshrrev_b32_e32 v6, 28, v2
	s_add_i32 s17, s17, -1
	s_waitcnt lgkmcnt(0)
	s_mul_i32 s12, s2, s5
	s_mov_b32 s13, 0
	v_add_u32_e32 v2, v1, v6
	s_lshl_b64 s[12:13], s[12:13], 2
	v_ashrrev_i32_e32 v2, 4, v2
	v_mov_b32_e32 v7, s17
	v_cmp_gt_i32_e32 vcc, s29, v1
	s_add_u32 s6, s6, s12
	s_addc_u32 s7, s7, s13
	v_cndmask_b32_e32 v2, v7, v2, vcc
	v_ashrrev_i32_e32 v3, 31, v2
	v_lshl_add_u64 v[4:5], v[2:3], 2, s[6:7]
	v_or_b32_e32 v2, 16, v1
	v_add_u32_e32 v3, v2, v6
	v_ashrrev_i32_e32 v3, 4, v3
	v_cmp_gt_i32_e32 vcc, s29, v2
	s_load_dwordx2 s[12:13], s[0:1], 0x8
	s_nop 0
	v_cndmask_b32_e32 v2, v7, v3, vcc
	v_ashrrev_i32_e32 v3, 31, v2
	v_lshl_add_u64 v[8:9], v[2:3], 2, s[6:7]
	v_or_b32_e32 v2, 32, v1
	v_add_u32_e32 v3, v2, v6
	v_ashrrev_i32_e32 v3, 4, v3
	v_cmp_gt_i32_e32 vcc, s29, v2
	v_or_b32_e32 v1, 48, v1
	s_nop 0
	v_cndmask_b32_e32 v2, v7, v3, vcc
	v_ashrrev_i32_e32 v3, 31, v2
	v_lshl_add_u64 v[10:11], v[2:3], 2, s[6:7]
	v_add_u32_e32 v2, v1, v6
	v_ashrrev_i32_e32 v2, 4, v2
	v_cmp_gt_i32_e32 vcc, s29, v1
	s_nop 1
	v_cndmask_b32_e32 v2, v7, v2, vcc
	v_ashrrev_i32_e32 v3, 31, v2
	v_lshl_add_u64 v[12:13], v[2:3], 2, s[6:7]
	global_load_dword v3, v[4:5], off
	global_load_dword v2, v[8:9], off
	;; [unrolled: 1-line block ×4, first 2 shown]
	s_andn2_b64 vcc, exec, s[10:11]
	s_cbranch_vccnz .LBB395_8
; %bb.6:
	s_add_u32 s8, s8, s14
	s_addc_u32 s9, s9, s15
	s_load_dword s5, s[8:9], 0x0
	s_branch .LBB395_9
.LBB395_7:
	s_mov_b64 s[12:13], 0
	s_branch .LBB395_2
.LBB395_8:
	s_mov_b32 s5, s2
.LBB395_9:
	s_load_dwordx2 s[8:9], s[0:1], 0x10
	s_load_dwordx4 s[44:47], s[0:1], 0x48
	v_and_b32_e32 v44, 15, v0
	s_movk_i32 s10, 0xc0
	v_lshlrev_b32_e32 v4, 3, v44
	v_cmp_gt_u32_e32 vcc, s10, v0
	v_cmp_gt_u32_e64 s[30:31], 8, v44
	v_lshrrev_b32_e32 v45, 6, v0
	v_bfe_u32 v1, v0, 4, 2
	s_mul_i32 s42, s4, 12
	s_and_b64 s[14:15], vcc, s[30:31]
	v_lshlrev_b32_e32 v42, 1, v4
	s_and_saveexec_b64 s[10:11], s[14:15]
	s_cbranch_execz .LBB395_11
; %bb.10:
	s_load_dwordx2 s[14:15], s[0:1], 0x0
	s_waitcnt lgkmcnt(0)
	s_ashr_i32 s18, s44, 31
	s_mul_hi_u32 s19, s5, s44
	s_mul_i32 s18, s5, s18
	s_add_i32 s19, s19, s18
	s_mul_i32 s18, s5, s44
	v_lshl_or_b32 v7, v45, 2, v1
	s_lshl_b64 s[18:19], s[18:19], 1
	s_add_u32 s14, s14, s18
	v_add_lshl_u32 v4, v7, s42, 6
	s_addc_u32 s15, s15, s19
	v_ashrrev_i32_e32 v5, 31, v4
	v_lshl_add_u64 v[4:5], v[4:5], 1, s[14:15]
	v_mov_b32_e32 v43, 0
	v_lshl_add_u64 v[4:5], v[4:5], 0, v[42:43]
	global_load_dwordx4 v[8:11], v[4:5], off
	v_and_b32_e32 v4, 3, v0
	v_lshlrev_b32_e32 v5, 5, v7
	v_lshlrev_b32_e32 v7, 9, v44
	;; [unrolled: 1-line block ×3, first 2 shown]
	v_and_b32_e32 v7, 0x1800, v7
	v_or3_b32 v4, v7, v4, v5
	s_waitcnt vmcnt(0)
	ds_write_b128 v4, v[8:11]
.LBB395_11:
	s_or_b64 exec, exec, s[10:11]
	s_waitcnt lgkmcnt(0)
	s_mul_i32 s4, s4, s46
	s_mov_b32 s5, 0
	s_lshl_b64 s[4:5], s[4:5], 1
	s_add_u32 s10, s12, s4
	v_lshlrev_b32_e32 v54, 4, v0
	s_addc_u32 s11, s13, s5
	v_and_b32_e32 v46, 0xf0, v54
	v_mov_b32_e32 v47, 0
	v_lshl_add_u64 v[16:17], s[10:11], 0, v[46:47]
	s_waitcnt vmcnt(3)
	v_mad_i64_i32 v[4:5], s[10:11], v3, s45, 0
	s_waitcnt vmcnt(2)
	v_mad_i64_i32 v[2:3], s[10:11], v2, s45, 0
	;; [unrolled: 2-line block ×3, first 2 shown]
	v_lshl_add_u64 v[4:5], v[4:5], 1, v[16:17]
	v_and_b32_e32 v46, 0x300, v54
	v_lshl_add_u64 v[2:3], v[2:3], 1, v[16:17]
	v_lshl_add_u64 v[6:7], v[6:7], 1, v[16:17]
	s_waitcnt vmcnt(0)
	v_mad_i64_i32 v[14:15], s[10:11], v14, s45, 0
	v_lshl_add_u64 v[4:5], v[4:5], 0, v[46:47]
	v_lshl_add_u64 v[8:9], v[2:3], 0, v[46:47]
	;; [unrolled: 1-line block ×4, first 2 shown]
	s_barrier
	global_load_dwordx4 v[30:33], v[4:5], off
	global_load_dwordx4 v[10:13], v[4:5], off offset:1024
	global_load_dwordx4 v[22:25], v[8:9], off
	s_nop 0
	global_load_dwordx4 v[2:5], v[8:9], off offset:1024
	global_load_dwordx4 v[26:29], v[18:19], off
	s_nop 0
	global_load_dwordx4 v[6:9], v[18:19], off offset:1024
	v_lshl_add_u64 v[18:19], v[14:15], 0, v[46:47]
	global_load_dwordx4 v[34:37], v[18:19], off
	global_load_dwordx4 v[14:17], v[18:19], off offset:1024
	v_add_u32_e32 v18, -12, v44
	v_cmp_gt_u32_e32 vcc, 12, v44
	v_and_b32_e32 v55, 63, v0
	v_mov_b32_e32 v56, 0
	v_cndmask_b32_e32 v18, v18, v44, vcc
	v_lshlrev_b32_e32 v18, 5, v18
	v_lshl_add_u32 v18, v1, 9, v18
	ds_read_b128 v[38:41], v18
	ds_read_b128 v[18:21], v18 offset:2048
	s_and_saveexec_b64 s[10:11], vcc
	s_cbranch_execz .LBB395_13
; %bb.12:
	s_load_dwordx2 s[12:13], s[0:1], 0x40
	v_add_u32_e32 v48, s42, v44
	v_ashrrev_i32_e32 v49, 31, v48
	s_waitcnt lgkmcnt(0)
	v_lshl_add_u64 v[48:49], v[48:49], 2, s[12:13]
	global_load_dword v56, v[48:49], off
.LBB395_13:
	s_or_b64 exec, exec, s[10:11]
	v_and_or_b32 v46, v0, 48, s16
	v_ashrrev_i32_e32 v43, 4, v46
	v_mov_b32_e32 v57, s17
	v_cmp_gt_i32_e32 vcc, s29, v46
	s_waitcnt vmcnt(5) lgkmcnt(1)
	v_mfma_f32_16x16x16_bf16 v[58:61], v[22:23], v[38:39], 0
	s_load_dword s10, s[0:1], 0x1c
	v_cndmask_b32_e32 v48, v57, v43, vcc
	v_ashrrev_i32_e32 v49, 31, v48
	v_or_b32_e32 v43, 64, v46
	v_lshl_add_u64 v[52:53], v[48:49], 2, s[6:7]
	v_mfma_f32_16x16x16_bf16 v[48:51], v[30:31], v[38:39], 0
	v_ashrrev_i32_e32 v30, 4, v43
	v_cmp_gt_i32_e32 vcc, s29, v43
	global_load_dword v70, v[52:53], off
	s_waitcnt vmcnt(4)
	v_mfma_f32_16x16x16_bf16 v[62:65], v[26:27], v[38:39], 0
	v_cndmask_b32_e32 v30, v57, v30, vcc
	v_ashrrev_i32_e32 v31, 31, v30
	v_lshl_add_u64 v[22:23], v[30:31], 2, s[6:7]
	global_load_dword v71, v[22:23], off
	v_mfma_f32_16x16x16_bf16 v[22:25], v[24:25], v[40:41], v[58:61]
	v_and_b32_e32 v26, 0xc0, v0
	s_add_u32 s4, s8, s4
	v_lshlrev_b32_e32 v43, 5, v44
	v_mfma_f32_16x16x16_bf16 v[30:33], v[32:33], v[40:41], v[48:51]
	s_addc_u32 s5, s9, s5
	s_mov_b32 s33, 0xff7fffff
	s_waitcnt vmcnt(3)
	v_mfma_f32_16x16x16_bf16 v[66:69], v[34:35], v[38:39], 0
	v_or_b32_e32 v38, 0x80, v46
	v_add_u32_e32 v48, s16, v26
	v_or_b32_e32 v39, 0xc0, v46
	v_mfma_f32_16x16x16_bf16 v[26:29], v[28:29], v[40:41], v[62:65]
	v_ashrrev_i32_e32 v49, 4, v38
	v_cmp_gt_i32_e32 vcc, s29, v38
	v_ashrrev_i32_e32 v50, 4, v39
	s_waitcnt lgkmcnt(0)
	v_mfma_f32_16x16x16_bf16 v[22:25], v[2:3], v[18:19], v[22:25]
	v_cndmask_b32_e32 v38, v57, v49, vcc
	v_cmp_gt_i32_e32 vcc, s29, v39
	v_ashrrev_i32_e32 v39, 31, v38
	v_mfma_f32_16x16x16_bf16 v[30:33], v[10:11], v[18:19], v[30:33]
	v_cndmask_b32_e32 v10, v57, v50, vcc
	v_ashrrev_i32_e32 v11, 31, v10
	v_lshl_or_b32 v58, v1, 2, v48
	v_mfma_f32_16x16x16_bf16 v[26:29], v[6:7], v[18:19], v[26:29]
	v_lshl_add_u64 v[6:7], v[38:39], 2, s[6:7]
	v_lshl_add_u64 v[38:39], v[10:11], 2, s[6:7]
	v_or_b32_e32 v57, 1, v58
	v_mfma_f32_16x16x16_bf16 v[2:5], v[4:5], v[20:21], v[22:25]
	s_nop 2
	global_load_dword v22, v[6:7], off
	global_load_dword v61, v[38:39], off
	v_subrev_u32_e32 v59, s29, v57
	v_cvt_f32_i32_e32 v60, v59
	v_mfma_f32_16x16x16_bf16 v[34:37], v[36:37], v[40:41], v[66:69]
	v_pk_mul_f32 v[48:49], s[10:11], v[4:5] op_sel_hi:[0,1]
	v_lshl_or_b32 v46, v45, 9, v43
	v_lshl_add_u64 v[46:47], s[4:5], 0, v[46:47]
	s_waitcnt vmcnt(4)
	v_mfma_f32_16x16x16_bf16 v[34:37], v[14:15], v[18:19], v[34:37]
	v_add_u32_e32 v14, 1, v59
	v_add_u32_e32 v15, 2, v59
	v_cvt_f32_i32_e32 v23, v14
	v_cvt_f32_i32_e32 v24, v15
	v_mfma_f32_16x16x16_bf16 v[14:17], v[16:17], v[20:21], v[34:37]
	v_add_u32_e32 v18, 3, v59
	v_cvt_f32_i32_e32 v18, v18
	v_pk_mul_f32 v[50:51], s[10:11], v[2:3] op_sel_hi:[0,1]
	v_mfma_f32_16x16x16_bf16 v[10:13], v[12:13], v[20:21], v[30:33]
	v_cmp_gt_i32_e64 s[34:35], s29, v57
	s_nop 1
	v_pk_mul_f32 v[36:37], s[10:11], v[14:15] op_sel_hi:[0,1]
	v_add_u32_e32 v15, 19, v59
	v_add_u32_e32 v31, 18, v59
	v_cvt_f32_i32_e32 v14, v31
	v_cvt_f32_i32_e32 v15, v15
	v_mfma_f32_16x16x16_bf16 v[6:9], v[8:9], v[20:21], v[26:29]
	v_pk_mul_f32 v[34:35], s[10:11], v[16:17] op_sel_hi:[0,1]
	v_fma_f32 v48, v56, v14, v48
	v_add_u32_e32 v14, 32, v59
	v_fmac_f32_e32 v49, v56, v15
	v_cvt_f32_i32_e32 v14, v14
	v_add_u32_e32 v15, 33, v59
	v_add_u32_e32 v16, 34, v59
	v_cvt_f32_i32_e32 v15, v15
	v_cvt_f32_i32_e32 v16, v16
	v_add_u32_e32 v17, 35, v59
	v_cvt_f32_i32_e32 v17, v17
	v_pk_mul_f32 v[40:41], s[10:11], v[6:7] op_sel_hi:[0,1]
	v_pk_mul_f32 v[38:39], s[10:11], v[8:9] op_sel_hi:[0,1]
	v_fma_f32 v40, v56, v14, v40
	v_add_u32_e32 v14, 48, v59
	v_fmac_f32_e32 v41, v56, v15
	v_fma_f32 v38, v56, v16, v38
	v_cvt_f32_i32_e32 v14, v14
	v_add_u32_e32 v15, 49, v59
	v_add_u32_e32 v16, 50, v59
	v_fmac_f32_e32 v39, v56, v17
	v_cvt_f32_i32_e32 v15, v15
	v_cvt_f32_i32_e32 v16, v16
	v_add_u32_e32 v17, 51, v59
	v_cvt_f32_i32_e32 v17, v17
	v_pk_mul_f32 v[52:53], s[10:11], v[12:13] op_sel_hi:[0,1]
	v_pk_mul_f32 v[10:11], s[10:11], v[10:11] op_sel_hi:[0,1]
	s_waitcnt vmcnt(3)
	v_mad_i64_i32 v[2:3], s[4:5], v70, s45, 0
	s_waitcnt vmcnt(2)
	v_mad_i64_i32 v[12:13], s[4:5], v71, s45, 0
	v_fma_f32 v10, v56, v60, v10
	v_fmac_f32_e32 v11, v56, v23
	v_fma_f32 v36, v56, v14, v36
	v_mov_b32_e32 v14, 0xff7fffff
	v_cmp_gt_i32_e64 s[4:5], s29, v58
	v_add_u32_e32 v19, 16, v59
	v_add_u32_e32 v30, 17, v59
	v_fmac_f32_e32 v37, v56, v15
	v_fma_f32 v34, v56, v16, v34
	v_cndmask_b32_e64 v15, v14, v10, s[4:5]
	v_cndmask_b32_e64 v16, v14, v11, s[34:35]
	v_cvt_f32_i32_e32 v19, v19
	v_cvt_f32_i32_e32 v25, v30
	v_fmac_f32_e32 v35, v56, v17
	v_max3_f32 v15, v15, s33, v16
	v_or_b32_e32 v16, 2, v58
	v_or_b32_e32 v17, 3, v58
	v_fma_f32 v52, v56, v24, v52
	v_fmac_f32_e32 v53, v56, v18
	v_cmp_gt_i32_e64 s[36:37], s29, v16
	v_cmp_gt_i32_e64 s[38:39], s29, v17
	v_fma_f32 v50, v56, v19, v50
	v_cndmask_b32_e64 v16, v14, v52, s[36:37]
	v_cndmask_b32_e64 v17, v14, v53, s[38:39]
	v_max3_f32 v15, v15, v16, v17
	v_or_b32_e32 v16, 16, v58
	v_or_b32_e32 v17, 17, v58
	v_fmac_f32_e32 v51, v56, v25
	v_cmp_gt_i32_e64 s[24:25], s29, v16
	v_cmp_gt_i32_e64 s[26:27], s29, v17
	v_lshl_add_u64 v[2:3], v[2:3], 1, v[46:47]
	v_cndmask_b32_e64 v16, v14, v50, s[24:25]
	v_cndmask_b32_e64 v17, v14, v51, s[26:27]
	v_max3_f32 v15, v15, v16, v17
	v_or_b32_e32 v16, 18, v58
	v_or_b32_e32 v17, 19, v58
	v_cmp_gt_i32_e64 s[20:21], s29, v16
	v_cmp_gt_i32_e64 s[22:23], s29, v17
	v_lshl_add_u64 v[12:13], v[12:13], 1, v[46:47]
	v_cndmask_b32_e64 v16, v14, v48, s[20:21]
	v_cndmask_b32_e64 v17, v14, v49, s[22:23]
	v_max3_f32 v15, v15, v16, v17
	v_or_b32_e32 v16, 32, v58
	v_or_b32_e32 v17, 33, v58
	v_cmp_gt_i32_e64 s[16:17], s29, v16
	v_cmp_gt_i32_e64 s[18:19], s29, v17
	global_load_dwordx4 v[6:9], v[2:3], off
	s_nop 0
	global_load_dwordx4 v[2:5], v[2:3], off offset:16
	v_cndmask_b32_e64 v16, v14, v40, s[16:17]
	v_cndmask_b32_e64 v17, v14, v41, s[18:19]
	v_max3_f32 v15, v15, v16, v17
	v_or_b32_e32 v16, 34, v58
	v_or_b32_e32 v17, 35, v58
	v_cmp_gt_i32_e64 s[12:13], s29, v16
	v_cmp_gt_i32_e64 s[14:15], s29, v17
	global_load_dwordx4 v[30:33], v[12:13], off
	global_load_dwordx4 v[26:29], v[12:13], off offset:16
	v_cndmask_b32_e64 v16, v14, v38, s[12:13]
	v_cndmask_b32_e64 v17, v14, v39, s[14:15]
	v_max3_f32 v15, v15, v16, v17
	v_or_b32_e32 v16, 48, v58
	v_or_b32_e32 v17, 49, v58
	v_cmp_gt_i32_e64 s[8:9], s29, v16
	v_cmp_gt_i32_e64 s[10:11], s29, v17
	s_nop 0
	v_cndmask_b32_e64 v16, v14, v36, s[8:9]
	v_cndmask_b32_e64 v17, v14, v37, s[10:11]
	v_max3_f32 v15, v15, v16, v17
	v_or_b32_e32 v16, 50, v58
	v_or_b32_e32 v17, 51, v58
	v_cmp_gt_i32_e32 vcc, s29, v16
	v_cmp_gt_i32_e64 s[6:7], s29, v17
	s_nop 0
	v_cndmask_b32_e32 v16, v14, v34, vcc
	v_cndmask_b32_e64 v14, v14, v35, s[6:7]
	v_max3_f32 v14, v15, v16, v14
	v_mbcnt_lo_u32_b32 v15, -1, 0
	v_mbcnt_hi_u32_b32 v15, -1, v15
	v_and_b32_e32 v16, 64, v15
	v_add_u32_e32 v16, 64, v16
	v_xor_b32_e32 v17, 32, v15
	v_cmp_lt_i32_e64 s[40:41], v17, v16
	s_nop 1
	v_cndmask_b32_e64 v17, v15, v17, s[40:41]
	v_lshlrev_b32_e32 v57, 2, v17
	ds_bpermute_b32 v17, v57, v14
	s_waitcnt vmcnt(5)
	v_mad_i64_i32 v[12:13], s[40:41], v22, s45, 0
	v_lshl_add_u64 v[12:13], v[12:13], 1, v[46:47]
	global_load_dwordx4 v[22:25], v[12:13], off
	global_load_dwordx4 v[18:21], v[12:13], off offset:16
	s_waitcnt lgkmcnt(0)
	v_max_f32_e32 v17, v17, v17
	v_max_f32_e32 v14, v14, v17
	v_xor_b32_e32 v17, 16, v15
	v_cmp_lt_i32_e64 s[40:41], v17, v16
	s_nop 1
	v_cndmask_b32_e64 v15, v15, v17, s[40:41]
	v_lshlrev_b32_e32 v59, 2, v15
	ds_bpermute_b32 v15, v59, v14
	s_waitcnt vmcnt(6)
	v_mad_i64_i32 v[12:13], s[40:41], v61, s45, 0
	v_lshl_add_u64 v[12:13], v[12:13], 1, v[46:47]
	s_waitcnt lgkmcnt(0)
	v_max_f32_e32 v15, v15, v15
	v_max_f32_e32 v56, v14, v15
	v_sub_f32_e32 v10, v10, v56
	v_mul_f32_e32 v10, 0x3fb8aa3b, v10
	v_exp_f32_e32 v46, v10
	v_sub_f32_e32 v10, v11, v56
	v_mul_f32_e32 v10, 0x3fb8aa3b, v10
	v_exp_f32_e32 v47, v10
	global_load_dwordx4 v[14:17], v[12:13], off
	s_nop 0
	global_load_dwordx4 v[10:13], v[12:13], off offset:16
	v_sub_f32_e32 v52, v52, v56
	v_mul_f32_e32 v52, 0x3fb8aa3b, v52
	v_sub_f32_e32 v53, v53, v56
	v_exp_f32_e32 v52, v52
	v_mul_f32_e32 v53, 0x3fb8aa3b, v53
	v_sub_f32_e32 v50, v50, v56
	v_exp_f32_e32 v53, v53
	v_mul_f32_e32 v50, 0x3fb8aa3b, v50
	v_sub_f32_e32 v51, v51, v56
	v_cndmask_b32_e64 v46, 0, v46, s[4:5]
	v_exp_f32_e32 v50, v50
	v_mul_f32_e32 v51, 0x3fb8aa3b, v51
	v_sub_f32_e32 v48, v48, v56
	v_add_f32_e32 v58, 0, v46
	v_cndmask_b32_e64 v47, 0, v47, s[34:35]
	v_exp_f32_e32 v51, v51
	v_mul_f32_e32 v48, 0x3fb8aa3b, v48
	v_sub_f32_e32 v49, v49, v56
	v_add_f32_e32 v58, v58, v47
	;; [unrolled: 5-line block ×10, first 2 shown]
	v_cndmask_b32_e64 v38, 0, v38, s[12:13]
	v_exp_f32_e32 v34, v34
	v_mul_f32_e32 v35, 0x3fb8aa3b, v35
	v_add_f32_e32 v58, v58, v38
	v_cndmask_b32_e64 v39, 0, v39, s[14:15]
	v_exp_f32_e32 v35, v35
	v_add_f32_e32 v58, v58, v39
	v_cndmask_b32_e64 v36, 0, v36, s[8:9]
	v_add_f32_e32 v58, v58, v36
	v_cndmask_b32_e64 v37, 0, v37, s[10:11]
	v_add_f32_e32 v58, v58, v37
	v_cndmask_b32_e32 v34, 0, v34, vcc
	v_add_f32_e32 v58, v58, v34
	v_cndmask_b32_e64 v35, 0, v35, s[6:7]
	v_add_f32_e32 v58, v58, v35
	ds_bpermute_b32 v57, v57, v58
	s_load_dword s7, s[0:1], 0x98
	v_cmp_gt_u32_e32 vcc, 16, v55
	s_waitcnt lgkmcnt(0)
	s_barrier
	v_add_f32_e32 v58, v58, v57
	ds_bpermute_b32 v59, v59, v58
	v_lshlrev_b32_e32 v57, 2, v44
	s_waitcnt lgkmcnt(0)
	s_and_saveexec_b64 s[4:5], vcc
	s_cbranch_execz .LBB395_15
; %bb.14:
	v_add_f32_e32 v55, v58, v59
	v_lshl_or_b32 v58, v45, 6, v57
	ds_write2st64_b32 v58, v56, v55 offset1:1
.LBB395_15:
	s_or_b64 exec, exec, s[4:5]
	s_load_dword s6, s[0:1], 0x94
	s_waitcnt lgkmcnt(0)
	s_barrier
	ds_read2_b32 v[58:59], v57 offset1:16
	ds_read2_b32 v[60:61], v57 offset0:32 offset1:48
	ds_read2_b32 v[62:63], v57 offset0:64 offset1:80
	s_movk_i32 s8, 0x7fff
	s_mov_b32 s9, 0x7060302
	s_waitcnt lgkmcnt(2)
	v_max3_f32 v55, v58, s33, v59
	s_waitcnt lgkmcnt(1)
	v_max3_f32 v55, v55, v60, v61
	v_sub_f32_e32 v56, v58, v55
	v_mul_f32_e32 v56, 0x3fb8aa3b, v56
	v_exp_f32_e32 v64, v56
	v_sub_f32_e32 v56, v59, v55
	v_mul_f32_e32 v56, 0x3fb8aa3b, v56
	v_exp_f32_e32 v65, v56
	;; [unrolled: 3-line block ×3, first 2 shown]
	ds_read2_b32 v[58:59], v57 offset0:96 offset1:112
	v_sub_f32_e32 v56, v61, v55
	v_mul_f32_e32 v56, 0x3fb8aa3b, v56
	v_exp_f32_e32 v57, v56
	s_waitcnt lgkmcnt(1)
	v_fma_f32 v56, v64, v62, 0
	v_fmac_f32_e32 v56, v65, v63
	s_waitcnt lgkmcnt(0)
	v_fmac_f32_e32 v56, v60, v58
	v_fmac_f32_e32 v56, v57, v59
	v_add_f32_e32 v58, 0x358637bd, v56
	v_div_scale_f32 v59, s[4:5], v58, v58, 1.0
	v_rcp_f32_e32 v61, v59
	s_mul_i32 s7, s7, 12
	s_barrier
	v_fma_f32 v62, -v59, v61, 1.0
	v_fmac_f32_e32 v61, v62, v61
	v_div_scale_f32 v62, vcc, 1.0, v58, 1.0
	v_mul_f32_e32 v63, v62, v61
	v_fma_f32 v66, -v59, v63, v62
	v_fmac_f32_e32 v63, v66, v61
	v_fma_f32 v59, -v59, v63, v62
	v_div_fmas_f32 v59, v59, v61, v63
	v_cmp_eq_u32_e32 vcc, 1, v45
	v_div_fixup_f32 v58, v59, v58, 1.0
	s_nop 0
	v_cndmask_b32_e32 v59, v64, v65, vcc
	v_cmp_eq_u32_e32 vcc, 2, v45
	s_nop 1
	v_cndmask_b32_e32 v59, v59, v60, vcc
	v_cmp_eq_u32_e32 vcc, 3, v45
	v_lshlrev_b32_e32 v45, 11, v45
	s_nop 0
	v_cndmask_b32_e32 v57, v59, v57, vcc
	v_mul_f32_e32 v58, v57, v58
	v_pk_mul_f32 v[46:47], v[58:59], v[46:47] op_sel_hi:[0,1]
	v_pk_mul_f32 v[52:53], v[58:59], v[52:53] op_sel_hi:[0,1]
	v_bfe_u32 v57, v47, 16, 1
	v_bfe_u32 v59, v46, 16, 1
	v_add3_u32 v46, v46, v59, s8
	v_add3_u32 v47, v47, v57, s8
	v_perm_b32 v60, v47, v46, s9
	v_bfe_u32 v46, v53, 16, 1
	v_bfe_u32 v47, v52, 16, 1
	v_add3_u32 v47, v52, v47, s8
	v_add3_u32 v46, v53, v46, s8
	v_perm_b32 v61, v46, v47, s9
	v_lshlrev_b32_e32 v46, 3, v1
	v_pk_mul_f32 v[50:51], v[58:59], v[50:51] op_sel_hi:[0,1]
	v_or3_b32 v46, v45, v43, v46
	v_bfe_u32 v45, v51, 16, 1
	v_bfe_u32 v47, v50, 16, 1
	v_pk_mul_f32 v[48:49], v[58:59], v[48:49] op_sel_hi:[0,1]
	v_add3_u32 v47, v50, v47, s8
	v_add3_u32 v45, v51, v45, s8
	v_perm_b32 v50, v45, v47, s9
	v_bfe_u32 v45, v49, 16, 1
	v_bfe_u32 v47, v48, 16, 1
	v_add3_u32 v47, v48, v47, s8
	v_add3_u32 v45, v49, v45, s8
	v_pk_mul_f32 v[40:41], v[58:59], v[40:41] op_sel_hi:[0,1]
	v_perm_b32 v51, v45, v47, s9
	v_bfe_u32 v45, v41, 16, 1
	v_bfe_u32 v47, v40, 16, 1
	v_pk_mul_f32 v[38:39], v[58:59], v[38:39] op_sel_hi:[0,1]
	v_add3_u32 v40, v40, v47, s8
	v_add3_u32 v41, v41, v45, s8
	v_perm_b32 v40, v41, v40, s9
	v_bfe_u32 v41, v39, 16, 1
	v_bfe_u32 v45, v38, 16, 1
	v_add3_u32 v38, v38, v45, s8
	v_add3_u32 v39, v39, v41, s8
	v_pk_mul_f32 v[36:37], v[58:59], v[36:37] op_sel_hi:[0,1]
	v_perm_b32 v41, v39, v38, s9
	v_bfe_u32 v38, v37, 16, 1
	v_bfe_u32 v39, v36, 16, 1
	v_pk_mul_f32 v[34:35], v[58:59], v[34:35] op_sel_hi:[0,1]
	v_add3_u32 v36, v36, v39, s8
	v_add3_u32 v37, v37, v38, s8
	v_perm_b32 v36, v37, v36, s9
	v_bfe_u32 v37, v35, 16, 1
	v_bfe_u32 v38, v34, 16, 1
	v_add3_u32 v34, v34, v38, s8
	v_add3_u32 v35, v35, v37, s8
	v_perm_b32 v37, v35, v34, s9
	v_cmp_gt_u32_e32 vcc, 12, v0
	ds_write2st64_b64 v46, v[60:61], v[50:51] offset1:1
	ds_write2st64_b64 v46, v[40:41], v[36:37] offset0:2 offset1:3
	s_and_saveexec_b64 s[4:5], vcc
	s_cbranch_execz .LBB395_17
; %bb.16:
	s_mov_b32 s43, 0
	v_mov_b32_e32 v45, 0
	v_lshl_add_u64 v[34:35], s[42:43], 0, v[44:45]
	v_mov_b32_e32 v36, s7
	v_mad_u64_u32 v[34:35], s[10:11], s2, v36, v[34:35]
	s_mul_i32 s3, s3, s7
	v_mov_b32_e32 v44, s28
	s_load_dwordx4 s[12:15], s[0:1], 0x58
	v_add_u32_e32 v37, s3, v35
	v_mad_u64_u32 v[34:35], s[10:11], v34, s6, v[44:45]
	v_mov_b32_e32 v36, v35
	v_mad_u64_u32 v[36:37], s[10:11], v37, s6, v[36:37]
	v_mov_b32_e32 v35, v36
	v_lshlrev_b64 v[34:35], 2, v[34:35]
	s_waitcnt lgkmcnt(0)
	v_lshl_add_u64 v[36:37], s[14:15], 0, v[34:35]
	v_lshl_add_u64 v[34:35], s[12:13], 0, v[34:35]
	global_store_dword v[36:37], v55, off
	global_store_dword v[34:35], v56, off
.LBB395_17:
	s_or_b64 exec, exec, s[4:5]
	v_lshl_or_b32 v43, v1, 9, v43
	s_waitcnt lgkmcnt(0)
	s_barrier
	ds_read_b128 v[34:37], v43
	ds_read_b128 v[38:41], v43 offset:16
	s_waitcnt vmcnt(7) lgkmcnt(1)
	v_mfma_f32_16x16x16_bf16 v[48:51], v[6:7], v[34:35], 0
	v_cmp_gt_u32_e32 vcc, 64, v0
	s_mov_b32 s3, 0
	s_and_b64 s[4:5], vcc, s[30:31]
	v_mfma_f32_16x16x16_bf16 v[6:9], v[8:9], v[36:37], v[48:51]
	s_waitcnt vmcnt(6) lgkmcnt(0)
	v_mfma_f32_16x16x16_bf16 v[6:9], v[2:3], v[38:39], v[6:9]
	v_mfma_f32_16x16x16_bf16 v[2:5], v[4:5], v[40:41], v[6:9]
	s_nop 5
	ds_read_b128 v[6:9], v43 offset:2048
	ds_read_b128 v[34:37], v43 offset:2064
	s_waitcnt vmcnt(5) lgkmcnt(1)
	v_mfma_f32_16x16x16_bf16 v[2:5], v[30:31], v[6:7], v[2:5]
	v_mfma_f32_16x16x16_bf16 v[2:5], v[32:33], v[8:9], v[2:5]
	s_waitcnt vmcnt(4) lgkmcnt(0)
	v_mfma_f32_16x16x16_bf16 v[2:5], v[26:27], v[34:35], v[2:5]
	v_mfma_f32_16x16x16_bf16 v[2:5], v[28:29], v[36:37], v[2:5]
	ds_read_b128 v[6:9], v43 offset:4096
	ds_read_b128 v[26:29], v43 offset:4112
	s_waitcnt vmcnt(3) lgkmcnt(1)
	v_mfma_f32_16x16x16_bf16 v[2:5], v[22:23], v[6:7], v[2:5]
	v_mfma_f32_16x16x16_bf16 v[2:5], v[24:25], v[8:9], v[2:5]
	s_waitcnt vmcnt(2) lgkmcnt(0)
	v_mfma_f32_16x16x16_bf16 v[2:5], v[18:19], v[26:27], v[2:5]
	v_mfma_f32_16x16x16_bf16 v[2:5], v[20:21], v[28:29], v[2:5]
	ds_read_b128 v[6:9], v43 offset:6144
	ds_read_b128 v[18:21], v43 offset:6160
	v_mov_b32_e32 v43, 0
	s_waitcnt vmcnt(1) lgkmcnt(0)
	v_mfma_f32_16x16x16_bf16 v[2:5], v[14:15], v[6:7], v[2:5]
	s_barrier
	v_mfma_f32_16x16x16_bf16 v[2:5], v[16:17], v[8:9], v[2:5]
	s_waitcnt vmcnt(0)
	v_mfma_f32_16x16x16_bf16 v[2:5], v[10:11], v[18:19], v[2:5]
	v_mfma_f32_16x16x16_bf16 v[2:5], v[12:13], v[20:21], v[2:5]
	s_nop 6
	v_bfe_u32 v6, v3, 16, 1
	v_bfe_u32 v7, v2, 16, 1
	;; [unrolled: 1-line block ×4, first 2 shown]
	v_add3_u32 v2, v2, v7, s8
	v_add3_u32 v3, v3, v6, s8
	;; [unrolled: 1-line block ×4, first 2 shown]
	v_perm_b32 v2, v3, v2, s9
	v_perm_b32 v3, v5, v4, s9
	ds_write_b64 v46, v[2:3]
	s_waitcnt lgkmcnt(0)
	s_barrier
	s_and_saveexec_b64 s[8:9], s[4:5]
	s_cbranch_execz .LBB395_19
; %bb.18:
	s_load_dwordx2 s[0:1], s[0:1], 0x68
	s_lshl_b32 s6, s6, 6
	s_mul_i32 s2, s7, s2
	s_mul_hi_u32 s5, s2, s6
	s_mul_i32 s4, s2, s6
	s_lshl_b64 s[4:5], s[4:5], 1
	s_waitcnt lgkmcnt(0)
	s_add_u32 s4, s0, s4
	v_lshlrev_b32_e32 v0, 10, v0
	s_addc_u32 s5, s1, s5
	s_lshl_b32 s2, s28, 6
	v_and_b32_e32 v0, 0x1800, v0
	v_lshlrev_b32_e32 v2, 5, v1
	v_and_b32_e32 v3, 16, v54
	s_lshl_b64 s[0:1], s[2:3], 1
	v_or3_b32 v0, v0, v2, v3
	s_add_u32 s0, s4, s0
	ds_read_b128 v[2:5], v0
	ds_read_b128 v[6:9], v0 offset:128
	ds_read_b128 v[10:13], v0 offset:256
	s_addc_u32 s1, s5, s1
	v_or_b32_e32 v16, s42, v1
	v_lshl_add_u64 v[0:1], s[0:1], 0, v[42:43]
	v_mad_u64_u32 v[14:15], s[0:1], v16, s6, 0
	v_lshl_add_u64 v[14:15], v[14:15], 1, v[0:1]
	s_waitcnt lgkmcnt(2)
	global_store_dwordx4 v[14:15], v[2:5], off
	s_nop 1
	v_add_u32_e32 v2, 4, v16
	v_mad_u64_u32 v[2:3], s[0:1], v2, s6, 0
	v_lshl_add_u64 v[2:3], v[2:3], 1, v[0:1]
	s_waitcnt lgkmcnt(1)
	global_store_dwordx4 v[2:3], v[6:9], off
	v_add_u32_e32 v2, 8, v16
	v_mad_u64_u32 v[2:3], s[0:1], v2, s6, 0
	v_lshl_add_u64 v[0:1], v[2:3], 1, v[0:1]
	s_waitcnt lgkmcnt(0)
	global_store_dwordx4 v[0:1], v[10:13], off
.LBB395_19:
	s_endpgm
	.section	.rodata,"a",@progbits
	.p2align	6, 0x0
	.amdhsa_kernel _Z39paged_attention_ll4mi_QKV_mfma16_kernelI14__hip_bfloat16S0_LN4vllm18Fp8KVCacheDataTypeE0EhLi16ELi64ELi256ELb1ELi12EEvPKT_PKT0_S8_ifPKiSA_SA_iPKfiiiPfSD_PS3_PT2_iSC_SC_
		.amdhsa_group_segment_fixed_size 8192
		.amdhsa_private_segment_fixed_size 0
		.amdhsa_kernarg_size 400
		.amdhsa_user_sgpr_count 2
		.amdhsa_user_sgpr_dispatch_ptr 0
		.amdhsa_user_sgpr_queue_ptr 0
		.amdhsa_user_sgpr_kernarg_segment_ptr 1
		.amdhsa_user_sgpr_dispatch_id 0
		.amdhsa_user_sgpr_kernarg_preload_length 0
		.amdhsa_user_sgpr_kernarg_preload_offset 0
		.amdhsa_user_sgpr_private_segment_size 0
		.amdhsa_uses_dynamic_stack 0
		.amdhsa_enable_private_segment 0
		.amdhsa_system_sgpr_workgroup_id_x 1
		.amdhsa_system_sgpr_workgroup_id_y 1
		.amdhsa_system_sgpr_workgroup_id_z 1
		.amdhsa_system_sgpr_workgroup_info 0
		.amdhsa_system_vgpr_workitem_id 0
		.amdhsa_next_free_vgpr 72
		.amdhsa_next_free_sgpr 48
		.amdhsa_accum_offset 72
		.amdhsa_reserve_vcc 1
		.amdhsa_float_round_mode_32 0
		.amdhsa_float_round_mode_16_64 0
		.amdhsa_float_denorm_mode_32 3
		.amdhsa_float_denorm_mode_16_64 3
		.amdhsa_dx10_clamp 1
		.amdhsa_ieee_mode 1
		.amdhsa_fp16_overflow 0
		.amdhsa_tg_split 0
		.amdhsa_exception_fp_ieee_invalid_op 0
		.amdhsa_exception_fp_denorm_src 0
		.amdhsa_exception_fp_ieee_div_zero 0
		.amdhsa_exception_fp_ieee_overflow 0
		.amdhsa_exception_fp_ieee_underflow 0
		.amdhsa_exception_fp_ieee_inexact 0
		.amdhsa_exception_int_div_zero 0
	.end_amdhsa_kernel
	.section	.text._Z39paged_attention_ll4mi_QKV_mfma16_kernelI14__hip_bfloat16S0_LN4vllm18Fp8KVCacheDataTypeE0EhLi16ELi64ELi256ELb1ELi12EEvPKT_PKT0_S8_ifPKiSA_SA_iPKfiiiPfSD_PS3_PT2_iSC_SC_,"axG",@progbits,_Z39paged_attention_ll4mi_QKV_mfma16_kernelI14__hip_bfloat16S0_LN4vllm18Fp8KVCacheDataTypeE0EhLi16ELi64ELi256ELb1ELi12EEvPKT_PKT0_S8_ifPKiSA_SA_iPKfiiiPfSD_PS3_PT2_iSC_SC_,comdat
.Lfunc_end395:
	.size	_Z39paged_attention_ll4mi_QKV_mfma16_kernelI14__hip_bfloat16S0_LN4vllm18Fp8KVCacheDataTypeE0EhLi16ELi64ELi256ELb1ELi12EEvPKT_PKT0_S8_ifPKiSA_SA_iPKfiiiPfSD_PS3_PT2_iSC_SC_, .Lfunc_end395-_Z39paged_attention_ll4mi_QKV_mfma16_kernelI14__hip_bfloat16S0_LN4vllm18Fp8KVCacheDataTypeE0EhLi16ELi64ELi256ELb1ELi12EEvPKT_PKT0_S8_ifPKiSA_SA_iPKfiiiPfSD_PS3_PT2_iSC_SC_
                                        ; -- End function
	.section	.AMDGPU.csdata,"",@progbits
; Kernel info:
; codeLenInByte = 4328
; NumSgprs: 54
; NumVgprs: 72
; NumAgprs: 0
; TotalNumVgprs: 72
; ScratchSize: 0
; MemoryBound: 0
; FloatMode: 240
; IeeeMode: 1
; LDSByteSize: 8192 bytes/workgroup (compile time only)
; SGPRBlocks: 6
; VGPRBlocks: 8
; NumSGPRsForWavesPerEU: 54
; NumVGPRsForWavesPerEU: 72
; AccumOffset: 72
; Occupancy: 7
; WaveLimiterHint : 1
; COMPUTE_PGM_RSRC2:SCRATCH_EN: 0
; COMPUTE_PGM_RSRC2:USER_SGPR: 2
; COMPUTE_PGM_RSRC2:TRAP_HANDLER: 0
; COMPUTE_PGM_RSRC2:TGID_X_EN: 1
; COMPUTE_PGM_RSRC2:TGID_Y_EN: 1
; COMPUTE_PGM_RSRC2:TGID_Z_EN: 1
; COMPUTE_PGM_RSRC2:TIDIG_COMP_CNT: 0
; COMPUTE_PGM_RSRC3_GFX90A:ACCUM_OFFSET: 17
; COMPUTE_PGM_RSRC3_GFX90A:TG_SPLIT: 0
	.section	.text._Z39paged_attention_ll4mi_QKV_mfma16_kernelI14__hip_bfloat16S0_LN4vllm18Fp8KVCacheDataTypeE0EhLi16ELi64ELi256ELb1ELi13EEvPKT_PKT0_S8_ifPKiSA_SA_iPKfiiiPfSD_PS3_PT2_iSC_SC_,"axG",@progbits,_Z39paged_attention_ll4mi_QKV_mfma16_kernelI14__hip_bfloat16S0_LN4vllm18Fp8KVCacheDataTypeE0EhLi16ELi64ELi256ELb1ELi13EEvPKT_PKT0_S8_ifPKiSA_SA_iPKfiiiPfSD_PS3_PT2_iSC_SC_,comdat
	.protected	_Z39paged_attention_ll4mi_QKV_mfma16_kernelI14__hip_bfloat16S0_LN4vllm18Fp8KVCacheDataTypeE0EhLi16ELi64ELi256ELb1ELi13EEvPKT_PKT0_S8_ifPKiSA_SA_iPKfiiiPfSD_PS3_PT2_iSC_SC_ ; -- Begin function _Z39paged_attention_ll4mi_QKV_mfma16_kernelI14__hip_bfloat16S0_LN4vllm18Fp8KVCacheDataTypeE0EhLi16ELi64ELi256ELb1ELi13EEvPKT_PKT0_S8_ifPKiSA_SA_iPKfiiiPfSD_PS3_PT2_iSC_SC_
	.globl	_Z39paged_attention_ll4mi_QKV_mfma16_kernelI14__hip_bfloat16S0_LN4vllm18Fp8KVCacheDataTypeE0EhLi16ELi64ELi256ELb1ELi13EEvPKT_PKT0_S8_ifPKiSA_SA_iPKfiiiPfSD_PS3_PT2_iSC_SC_
	.p2align	8
	.type	_Z39paged_attention_ll4mi_QKV_mfma16_kernelI14__hip_bfloat16S0_LN4vllm18Fp8KVCacheDataTypeE0EhLi16ELi64ELi256ELb1ELi13EEvPKT_PKT0_S8_ifPKiSA_SA_iPKfiiiPfSD_PS3_PT2_iSC_SC_,@function
_Z39paged_attention_ll4mi_QKV_mfma16_kernelI14__hip_bfloat16S0_LN4vllm18Fp8KVCacheDataTypeE0EhLi16ELi64ELi256ELb1ELi13EEvPKT_PKT0_S8_ifPKiSA_SA_iPKfiiiPfSD_PS3_PT2_iSC_SC_: ; @_Z39paged_attention_ll4mi_QKV_mfma16_kernelI14__hip_bfloat16S0_LN4vllm18Fp8KVCacheDataTypeE0EhLi16ELi64ELi256ELb1ELi13EEvPKT_PKT0_S8_ifPKiSA_SA_iPKfiiiPfSD_PS3_PT2_iSC_SC_
; %bb.0:
	s_load_dwordx2 s[8:9], s[0:1], 0x30
	s_mov_b32 s28, s3
	s_mov_b64 s[6:7], 0
	s_waitcnt lgkmcnt(0)
	s_cmp_lg_u64 s[8:9], 0
	s_cselect_b64 s[10:11], -1, 0
	s_and_b64 vcc, exec, s[10:11]
	s_cbranch_vccz .LBB396_7
; %bb.1:
	s_add_i32 s12, s2, 1
	s_mov_b32 s13, 0
	s_lshl_b64 s[14:15], s[12:13], 2
	s_add_u32 s14, s8, s14
	s_mov_b32 s3, s13
	s_addc_u32 s15, s9, s15
	s_lshl_b64 s[12:13], s[2:3], 2
	s_add_u32 s12, s8, s12
	s_addc_u32 s13, s9, s13
	s_load_dword s5, s[14:15], 0x0
	s_load_dword s16, s[12:13], 0x0
	s_waitcnt lgkmcnt(0)
	s_sub_i32 s5, s5, s16
	s_cmp_eq_u32 s5, 1
	s_cselect_b64 s[12:13], -1, 0
	s_andn2_b64 vcc, exec, s[6:7]
	s_cbranch_vccnz .LBB396_3
.LBB396_2:
	s_mov_b32 s3, 0
	s_mov_b64 s[12:13], -1
.LBB396_3:
	s_andn2_b64 vcc, exec, s[12:13]
	s_cbranch_vccnz .LBB396_20
; %bb.4:
	s_load_dwordx2 s[6:7], s[0:1], 0x28
	s_lshl_b64 s[12:13], s[2:3], 2
	s_waitcnt lgkmcnt(0)
	s_add_u32 s6, s6, s12
	s_addc_u32 s7, s7, s13
	s_load_dword s29, s[6:7], 0x0
	s_lshl_b32 s16, s28, 8
	s_waitcnt lgkmcnt(0)
	s_cmp_ge_i32 s16, s29
	s_cbranch_scc1 .LBB396_20
; %bb.5:
	s_load_dwordx2 s[6:7], s[0:1], 0x20
	s_load_dword s5, s[0:1], 0x38
	s_add_i32 s14, s29, 15
	s_ashr_i32 s15, s14, 31
	v_and_b32_e32 v1, 0xcf, v0
	s_lshr_b32 s15, s15, 28
	v_add_u32_e32 v1, s16, v1
	s_add_i32 s14, s14, s15
	v_ashrrev_i32_e32 v2, 31, v1
	s_ashr_i32 s17, s14, 4
	v_lshrrev_b32_e32 v6, 28, v2
	s_add_i32 s17, s17, -1
	s_waitcnt lgkmcnt(0)
	s_mul_i32 s14, s2, s5
	s_mov_b32 s15, 0
	v_add_u32_e32 v2, v1, v6
	s_lshl_b64 s[14:15], s[14:15], 2
	v_ashrrev_i32_e32 v2, 4, v2
	v_mov_b32_e32 v7, s17
	v_cmp_gt_i32_e32 vcc, s29, v1
	s_add_u32 s6, s6, s14
	s_addc_u32 s7, s7, s15
	v_cndmask_b32_e32 v2, v7, v2, vcc
	v_ashrrev_i32_e32 v3, 31, v2
	v_lshl_add_u64 v[4:5], v[2:3], 2, s[6:7]
	v_or_b32_e32 v2, 16, v1
	v_add_u32_e32 v3, v2, v6
	v_ashrrev_i32_e32 v3, 4, v3
	v_cmp_gt_i32_e32 vcc, s29, v2
	s_load_dwordx2 s[14:15], s[0:1], 0x8
	s_nop 0
	v_cndmask_b32_e32 v2, v7, v3, vcc
	v_ashrrev_i32_e32 v3, 31, v2
	v_lshl_add_u64 v[8:9], v[2:3], 2, s[6:7]
	v_or_b32_e32 v2, 32, v1
	v_add_u32_e32 v3, v2, v6
	v_ashrrev_i32_e32 v3, 4, v3
	v_cmp_gt_i32_e32 vcc, s29, v2
	v_or_b32_e32 v1, 48, v1
	s_nop 0
	v_cndmask_b32_e32 v2, v7, v3, vcc
	v_ashrrev_i32_e32 v3, 31, v2
	v_lshl_add_u64 v[10:11], v[2:3], 2, s[6:7]
	v_add_u32_e32 v2, v1, v6
	v_ashrrev_i32_e32 v2, 4, v2
	v_cmp_gt_i32_e32 vcc, s29, v1
	s_nop 1
	v_cndmask_b32_e32 v2, v7, v2, vcc
	v_ashrrev_i32_e32 v3, 31, v2
	v_lshl_add_u64 v[12:13], v[2:3], 2, s[6:7]
	global_load_dword v3, v[4:5], off
	global_load_dword v2, v[8:9], off
	;; [unrolled: 1-line block ×4, first 2 shown]
	s_andn2_b64 vcc, exec, s[10:11]
	s_cbranch_vccnz .LBB396_8
; %bb.6:
	s_add_u32 s8, s8, s12
	s_addc_u32 s9, s9, s13
	s_load_dword s5, s[8:9], 0x0
	s_branch .LBB396_9
.LBB396_7:
	s_mov_b64 s[12:13], 0
	s_branch .LBB396_2
.LBB396_8:
	s_mov_b32 s5, s2
.LBB396_9:
	s_load_dwordx2 s[8:9], s[0:1], 0x10
	s_load_dwordx4 s[44:47], s[0:1], 0x48
	v_lshrrev_b32_e32 v45, 6, v0
	v_bfe_u32 v54, v0, 4, 2
	v_lshl_or_b32 v1, v45, 2, v54
	v_and_b32_e32 v44, 15, v0
	v_lshlrev_b32_e32 v4, 3, v44
	v_cmp_gt_u32_e32 vcc, 13, v1
	v_cmp_gt_u32_e64 s[30:31], 8, v44
	s_mul_i32 s42, s4, 13
	s_and_b64 s[12:13], s[30:31], vcc
	v_lshlrev_b32_e32 v42, 1, v4
	s_and_saveexec_b64 s[10:11], s[12:13]
	s_cbranch_execz .LBB396_11
; %bb.10:
	s_load_dwordx2 s[12:13], s[0:1], 0x0
	s_waitcnt lgkmcnt(0)
	s_ashr_i32 s18, s44, 31
	s_mul_hi_u32 s19, s5, s44
	s_mul_i32 s18, s5, s18
	s_add_i32 s19, s19, s18
	s_mul_i32 s18, s5, s44
	s_lshl_b64 s[18:19], s[18:19], 1
	s_add_u32 s12, s12, s18
	v_add_lshl_u32 v4, v1, s42, 6
	s_addc_u32 s13, s13, s19
	v_ashrrev_i32_e32 v5, 31, v4
	v_lshl_add_u64 v[4:5], v[4:5], 1, s[12:13]
	v_mov_b32_e32 v43, 0
	v_lshl_add_u64 v[4:5], v[4:5], 0, v[42:43]
	global_load_dwordx4 v[8:11], v[4:5], off
	v_and_b32_e32 v4, 3, v0
	v_lshlrev_b32_e32 v5, 9, v44
	v_lshlrev_b32_e32 v1, 5, v1
	v_lshlrev_b32_e32 v4, 9, v4
	v_and_b32_e32 v5, 0x1800, v5
	v_or3_b32 v1, v5, v4, v1
	s_waitcnt vmcnt(0)
	ds_write_b128 v1, v[8:11]
.LBB396_11:
	s_or_b64 exec, exec, s[10:11]
	s_waitcnt lgkmcnt(0)
	s_mul_i32 s4, s4, s46
	s_mov_b32 s5, 0
	s_lshl_b64 s[4:5], s[4:5], 1
	s_add_u32 s10, s14, s4
	v_lshlrev_b32_e32 v1, 4, v0
	s_addc_u32 s11, s15, s5
	v_and_b32_e32 v46, 0xf0, v1
	v_mov_b32_e32 v47, 0
	v_lshl_add_u64 v[16:17], s[10:11], 0, v[46:47]
	s_waitcnt vmcnt(3)
	v_mad_i64_i32 v[4:5], s[10:11], v3, s45, 0
	s_waitcnt vmcnt(2)
	v_mad_i64_i32 v[2:3], s[10:11], v2, s45, 0
	;; [unrolled: 2-line block ×3, first 2 shown]
	v_lshl_add_u64 v[4:5], v[4:5], 1, v[16:17]
	v_and_b32_e32 v46, 0x300, v1
	v_lshl_add_u64 v[2:3], v[2:3], 1, v[16:17]
	v_lshl_add_u64 v[6:7], v[6:7], 1, v[16:17]
	s_waitcnt vmcnt(0)
	v_mad_i64_i32 v[14:15], s[10:11], v14, s45, 0
	v_lshl_add_u64 v[4:5], v[4:5], 0, v[46:47]
	v_lshl_add_u64 v[8:9], v[2:3], 0, v[46:47]
	;; [unrolled: 1-line block ×4, first 2 shown]
	s_barrier
	global_load_dwordx4 v[30:33], v[4:5], off
	global_load_dwordx4 v[10:13], v[4:5], off offset:1024
	global_load_dwordx4 v[22:25], v[8:9], off
	s_nop 0
	global_load_dwordx4 v[2:5], v[8:9], off offset:1024
	global_load_dwordx4 v[26:29], v[18:19], off
	s_nop 0
	global_load_dwordx4 v[6:9], v[18:19], off offset:1024
	v_lshl_add_u64 v[18:19], v[14:15], 0, v[46:47]
	global_load_dwordx4 v[34:37], v[18:19], off
	global_load_dwordx4 v[14:17], v[18:19], off offset:1024
	v_add_u32_e32 v18, -13, v44
	v_cmp_gt_u32_e32 vcc, 13, v44
	v_and_b32_e32 v55, 63, v0
	v_mov_b32_e32 v56, 0
	v_cndmask_b32_e32 v18, v18, v44, vcc
	v_lshlrev_b32_e32 v18, 5, v18
	v_lshl_add_u32 v18, v54, 9, v18
	ds_read_b128 v[38:41], v18
	ds_read_b128 v[18:21], v18 offset:2048
	s_and_saveexec_b64 s[10:11], vcc
	s_cbranch_execz .LBB396_13
; %bb.12:
	s_load_dwordx2 s[12:13], s[0:1], 0x40
	v_add_u32_e32 v48, s42, v44
	v_ashrrev_i32_e32 v49, 31, v48
	s_waitcnt lgkmcnt(0)
	v_lshl_add_u64 v[48:49], v[48:49], 2, s[12:13]
	global_load_dword v56, v[48:49], off
.LBB396_13:
	s_or_b64 exec, exec, s[10:11]
	v_and_or_b32 v46, v0, 48, s16
	v_ashrrev_i32_e32 v43, 4, v46
	v_mov_b32_e32 v57, s17
	v_cmp_gt_i32_e32 vcc, s29, v46
	s_waitcnt vmcnt(5) lgkmcnt(1)
	v_mfma_f32_16x16x16_bf16 v[58:61], v[22:23], v[38:39], 0
	s_load_dword s10, s[0:1], 0x1c
	v_cndmask_b32_e32 v48, v57, v43, vcc
	v_ashrrev_i32_e32 v49, 31, v48
	v_or_b32_e32 v43, 64, v46
	v_lshl_add_u64 v[52:53], v[48:49], 2, s[6:7]
	v_mfma_f32_16x16x16_bf16 v[48:51], v[30:31], v[38:39], 0
	v_ashrrev_i32_e32 v30, 4, v43
	v_cmp_gt_i32_e32 vcc, s29, v43
	global_load_dword v70, v[52:53], off
	s_waitcnt vmcnt(4)
	v_mfma_f32_16x16x16_bf16 v[62:65], v[26:27], v[38:39], 0
	v_cndmask_b32_e32 v30, v57, v30, vcc
	v_ashrrev_i32_e32 v31, 31, v30
	v_lshl_add_u64 v[22:23], v[30:31], 2, s[6:7]
	global_load_dword v71, v[22:23], off
	v_mfma_f32_16x16x16_bf16 v[22:25], v[24:25], v[40:41], v[58:61]
	v_and_b32_e32 v26, 0xc0, v0
	s_add_u32 s4, s8, s4
	v_lshlrev_b32_e32 v43, 5, v44
	v_mfma_f32_16x16x16_bf16 v[30:33], v[32:33], v[40:41], v[48:51]
	s_addc_u32 s5, s9, s5
	s_mov_b32 s33, 0xff7fffff
	s_waitcnt vmcnt(3)
	v_mfma_f32_16x16x16_bf16 v[66:69], v[34:35], v[38:39], 0
	v_or_b32_e32 v38, 0x80, v46
	v_add_u32_e32 v48, s16, v26
	v_or_b32_e32 v39, 0xc0, v46
	v_mfma_f32_16x16x16_bf16 v[26:29], v[28:29], v[40:41], v[62:65]
	v_ashrrev_i32_e32 v49, 4, v38
	v_cmp_gt_i32_e32 vcc, s29, v38
	v_ashrrev_i32_e32 v50, 4, v39
	s_waitcnt lgkmcnt(0)
	v_mfma_f32_16x16x16_bf16 v[22:25], v[2:3], v[18:19], v[22:25]
	v_cndmask_b32_e32 v38, v57, v49, vcc
	v_cmp_gt_i32_e32 vcc, s29, v39
	v_ashrrev_i32_e32 v39, 31, v38
	v_mfma_f32_16x16x16_bf16 v[30:33], v[10:11], v[18:19], v[30:33]
	v_cndmask_b32_e32 v10, v57, v50, vcc
	v_ashrrev_i32_e32 v11, 31, v10
	v_lshl_or_b32 v58, v54, 2, v48
	v_mfma_f32_16x16x16_bf16 v[26:29], v[6:7], v[18:19], v[26:29]
	v_lshl_add_u64 v[6:7], v[38:39], 2, s[6:7]
	v_lshl_add_u64 v[38:39], v[10:11], 2, s[6:7]
	v_or_b32_e32 v57, 1, v58
	v_mfma_f32_16x16x16_bf16 v[2:5], v[4:5], v[20:21], v[22:25]
	s_nop 2
	global_load_dword v22, v[6:7], off
	global_load_dword v61, v[38:39], off
	v_subrev_u32_e32 v59, s29, v57
	v_cvt_f32_i32_e32 v60, v59
	v_mfma_f32_16x16x16_bf16 v[34:37], v[36:37], v[40:41], v[66:69]
	v_pk_mul_f32 v[48:49], s[10:11], v[4:5] op_sel_hi:[0,1]
	v_lshl_or_b32 v46, v45, 9, v43
	v_lshl_add_u64 v[46:47], s[4:5], 0, v[46:47]
	s_waitcnt vmcnt(4)
	v_mfma_f32_16x16x16_bf16 v[34:37], v[14:15], v[18:19], v[34:37]
	v_add_u32_e32 v14, 1, v59
	v_add_u32_e32 v15, 2, v59
	v_cvt_f32_i32_e32 v23, v14
	v_cvt_f32_i32_e32 v24, v15
	v_mfma_f32_16x16x16_bf16 v[14:17], v[16:17], v[20:21], v[34:37]
	v_add_u32_e32 v18, 3, v59
	v_cvt_f32_i32_e32 v18, v18
	v_pk_mul_f32 v[50:51], s[10:11], v[2:3] op_sel_hi:[0,1]
	v_mfma_f32_16x16x16_bf16 v[10:13], v[12:13], v[20:21], v[30:33]
	v_cmp_gt_i32_e64 s[34:35], s29, v57
	s_nop 1
	v_pk_mul_f32 v[36:37], s[10:11], v[14:15] op_sel_hi:[0,1]
	v_add_u32_e32 v15, 19, v59
	v_add_u32_e32 v31, 18, v59
	v_cvt_f32_i32_e32 v14, v31
	v_cvt_f32_i32_e32 v15, v15
	v_mfma_f32_16x16x16_bf16 v[6:9], v[8:9], v[20:21], v[26:29]
	v_pk_mul_f32 v[34:35], s[10:11], v[16:17] op_sel_hi:[0,1]
	v_fma_f32 v48, v56, v14, v48
	v_add_u32_e32 v14, 32, v59
	v_fmac_f32_e32 v49, v56, v15
	v_cvt_f32_i32_e32 v14, v14
	v_add_u32_e32 v15, 33, v59
	v_add_u32_e32 v16, 34, v59
	v_cvt_f32_i32_e32 v15, v15
	v_cvt_f32_i32_e32 v16, v16
	v_add_u32_e32 v17, 35, v59
	v_cvt_f32_i32_e32 v17, v17
	v_pk_mul_f32 v[40:41], s[10:11], v[6:7] op_sel_hi:[0,1]
	v_pk_mul_f32 v[38:39], s[10:11], v[8:9] op_sel_hi:[0,1]
	v_fma_f32 v40, v56, v14, v40
	v_add_u32_e32 v14, 48, v59
	v_fmac_f32_e32 v41, v56, v15
	v_fma_f32 v38, v56, v16, v38
	v_cvt_f32_i32_e32 v14, v14
	v_add_u32_e32 v15, 49, v59
	v_add_u32_e32 v16, 50, v59
	v_fmac_f32_e32 v39, v56, v17
	v_cvt_f32_i32_e32 v15, v15
	v_cvt_f32_i32_e32 v16, v16
	v_add_u32_e32 v17, 51, v59
	v_cvt_f32_i32_e32 v17, v17
	v_pk_mul_f32 v[52:53], s[10:11], v[12:13] op_sel_hi:[0,1]
	v_pk_mul_f32 v[10:11], s[10:11], v[10:11] op_sel_hi:[0,1]
	s_waitcnt vmcnt(3)
	v_mad_i64_i32 v[2:3], s[4:5], v70, s45, 0
	s_waitcnt vmcnt(2)
	v_mad_i64_i32 v[12:13], s[4:5], v71, s45, 0
	v_fma_f32 v10, v56, v60, v10
	v_fmac_f32_e32 v11, v56, v23
	v_fma_f32 v36, v56, v14, v36
	v_mov_b32_e32 v14, 0xff7fffff
	v_cmp_gt_i32_e64 s[4:5], s29, v58
	v_add_u32_e32 v19, 16, v59
	v_add_u32_e32 v30, 17, v59
	v_fmac_f32_e32 v37, v56, v15
	v_fma_f32 v34, v56, v16, v34
	v_cndmask_b32_e64 v15, v14, v10, s[4:5]
	v_cndmask_b32_e64 v16, v14, v11, s[34:35]
	v_cvt_f32_i32_e32 v19, v19
	v_cvt_f32_i32_e32 v25, v30
	v_fmac_f32_e32 v35, v56, v17
	v_max3_f32 v15, v15, s33, v16
	v_or_b32_e32 v16, 2, v58
	v_or_b32_e32 v17, 3, v58
	v_fma_f32 v52, v56, v24, v52
	v_fmac_f32_e32 v53, v56, v18
	v_cmp_gt_i32_e64 s[36:37], s29, v16
	v_cmp_gt_i32_e64 s[38:39], s29, v17
	v_fma_f32 v50, v56, v19, v50
	v_cndmask_b32_e64 v16, v14, v52, s[36:37]
	v_cndmask_b32_e64 v17, v14, v53, s[38:39]
	v_max3_f32 v15, v15, v16, v17
	v_or_b32_e32 v16, 16, v58
	v_or_b32_e32 v17, 17, v58
	v_fmac_f32_e32 v51, v56, v25
	v_cmp_gt_i32_e64 s[24:25], s29, v16
	v_cmp_gt_i32_e64 s[26:27], s29, v17
	v_lshl_add_u64 v[2:3], v[2:3], 1, v[46:47]
	v_cndmask_b32_e64 v16, v14, v50, s[24:25]
	v_cndmask_b32_e64 v17, v14, v51, s[26:27]
	v_max3_f32 v15, v15, v16, v17
	v_or_b32_e32 v16, 18, v58
	v_or_b32_e32 v17, 19, v58
	v_cmp_gt_i32_e64 s[20:21], s29, v16
	v_cmp_gt_i32_e64 s[22:23], s29, v17
	v_lshl_add_u64 v[12:13], v[12:13], 1, v[46:47]
	v_cndmask_b32_e64 v16, v14, v48, s[20:21]
	v_cndmask_b32_e64 v17, v14, v49, s[22:23]
	v_max3_f32 v15, v15, v16, v17
	v_or_b32_e32 v16, 32, v58
	v_or_b32_e32 v17, 33, v58
	v_cmp_gt_i32_e64 s[16:17], s29, v16
	v_cmp_gt_i32_e64 s[18:19], s29, v17
	global_load_dwordx4 v[6:9], v[2:3], off
	s_nop 0
	global_load_dwordx4 v[2:5], v[2:3], off offset:16
	v_cndmask_b32_e64 v16, v14, v40, s[16:17]
	v_cndmask_b32_e64 v17, v14, v41, s[18:19]
	v_max3_f32 v15, v15, v16, v17
	v_or_b32_e32 v16, 34, v58
	v_or_b32_e32 v17, 35, v58
	v_cmp_gt_i32_e64 s[12:13], s29, v16
	v_cmp_gt_i32_e64 s[14:15], s29, v17
	global_load_dwordx4 v[30:33], v[12:13], off
	global_load_dwordx4 v[26:29], v[12:13], off offset:16
	v_cndmask_b32_e64 v16, v14, v38, s[12:13]
	v_cndmask_b32_e64 v17, v14, v39, s[14:15]
	v_max3_f32 v15, v15, v16, v17
	v_or_b32_e32 v16, 48, v58
	v_or_b32_e32 v17, 49, v58
	v_cmp_gt_i32_e64 s[8:9], s29, v16
	v_cmp_gt_i32_e64 s[10:11], s29, v17
	s_nop 0
	v_cndmask_b32_e64 v16, v14, v36, s[8:9]
	v_cndmask_b32_e64 v17, v14, v37, s[10:11]
	v_max3_f32 v15, v15, v16, v17
	v_or_b32_e32 v16, 50, v58
	v_or_b32_e32 v17, 51, v58
	v_cmp_gt_i32_e32 vcc, s29, v16
	v_cmp_gt_i32_e64 s[6:7], s29, v17
	s_nop 0
	v_cndmask_b32_e32 v16, v14, v34, vcc
	v_cndmask_b32_e64 v14, v14, v35, s[6:7]
	v_max3_f32 v14, v15, v16, v14
	v_mbcnt_lo_u32_b32 v15, -1, 0
	v_mbcnt_hi_u32_b32 v15, -1, v15
	v_and_b32_e32 v16, 64, v15
	v_add_u32_e32 v16, 64, v16
	v_xor_b32_e32 v17, 32, v15
	v_cmp_lt_i32_e64 s[40:41], v17, v16
	s_nop 1
	v_cndmask_b32_e64 v17, v15, v17, s[40:41]
	v_lshlrev_b32_e32 v57, 2, v17
	ds_bpermute_b32 v17, v57, v14
	s_waitcnt vmcnt(5)
	v_mad_i64_i32 v[12:13], s[40:41], v22, s45, 0
	v_lshl_add_u64 v[12:13], v[12:13], 1, v[46:47]
	global_load_dwordx4 v[22:25], v[12:13], off
	global_load_dwordx4 v[18:21], v[12:13], off offset:16
	s_waitcnt lgkmcnt(0)
	v_max_f32_e32 v17, v17, v17
	v_max_f32_e32 v14, v14, v17
	v_xor_b32_e32 v17, 16, v15
	v_cmp_lt_i32_e64 s[40:41], v17, v16
	s_nop 1
	v_cndmask_b32_e64 v15, v15, v17, s[40:41]
	v_lshlrev_b32_e32 v59, 2, v15
	ds_bpermute_b32 v15, v59, v14
	s_waitcnt vmcnt(6)
	v_mad_i64_i32 v[12:13], s[40:41], v61, s45, 0
	v_lshl_add_u64 v[12:13], v[12:13], 1, v[46:47]
	s_waitcnt lgkmcnt(0)
	v_max_f32_e32 v15, v15, v15
	v_max_f32_e32 v56, v14, v15
	v_sub_f32_e32 v10, v10, v56
	v_mul_f32_e32 v10, 0x3fb8aa3b, v10
	v_exp_f32_e32 v46, v10
	v_sub_f32_e32 v10, v11, v56
	v_mul_f32_e32 v10, 0x3fb8aa3b, v10
	v_exp_f32_e32 v47, v10
	global_load_dwordx4 v[14:17], v[12:13], off
	s_nop 0
	global_load_dwordx4 v[10:13], v[12:13], off offset:16
	v_sub_f32_e32 v52, v52, v56
	v_mul_f32_e32 v52, 0x3fb8aa3b, v52
	v_sub_f32_e32 v53, v53, v56
	v_exp_f32_e32 v52, v52
	v_mul_f32_e32 v53, 0x3fb8aa3b, v53
	v_sub_f32_e32 v50, v50, v56
	v_exp_f32_e32 v53, v53
	v_mul_f32_e32 v50, 0x3fb8aa3b, v50
	v_sub_f32_e32 v51, v51, v56
	v_cndmask_b32_e64 v46, 0, v46, s[4:5]
	v_exp_f32_e32 v50, v50
	v_mul_f32_e32 v51, 0x3fb8aa3b, v51
	v_sub_f32_e32 v48, v48, v56
	v_add_f32_e32 v58, 0, v46
	v_cndmask_b32_e64 v47, 0, v47, s[34:35]
	v_exp_f32_e32 v51, v51
	v_mul_f32_e32 v48, 0x3fb8aa3b, v48
	v_sub_f32_e32 v49, v49, v56
	v_add_f32_e32 v58, v58, v47
	;; [unrolled: 5-line block ×10, first 2 shown]
	v_cndmask_b32_e64 v38, 0, v38, s[12:13]
	v_exp_f32_e32 v34, v34
	v_mul_f32_e32 v35, 0x3fb8aa3b, v35
	v_add_f32_e32 v58, v58, v38
	v_cndmask_b32_e64 v39, 0, v39, s[14:15]
	v_exp_f32_e32 v35, v35
	v_add_f32_e32 v58, v58, v39
	v_cndmask_b32_e64 v36, 0, v36, s[8:9]
	v_add_f32_e32 v58, v58, v36
	v_cndmask_b32_e64 v37, 0, v37, s[10:11]
	v_add_f32_e32 v58, v58, v37
	v_cndmask_b32_e32 v34, 0, v34, vcc
	v_add_f32_e32 v58, v58, v34
	v_cndmask_b32_e64 v35, 0, v35, s[6:7]
	v_add_f32_e32 v58, v58, v35
	ds_bpermute_b32 v57, v57, v58
	s_load_dword s9, s[0:1], 0x98
	v_cmp_gt_u32_e64 s[6:7], 16, v55
	s_waitcnt lgkmcnt(0)
	s_barrier
	v_add_f32_e32 v58, v58, v57
	ds_bpermute_b32 v59, v59, v58
	v_lshlrev_b32_e32 v57, 2, v44
	s_waitcnt lgkmcnt(0)
	s_and_saveexec_b64 s[4:5], s[6:7]
	s_cbranch_execz .LBB396_15
; %bb.14:
	v_add_f32_e32 v55, v58, v59
	v_lshl_or_b32 v58, v45, 6, v57
	ds_write2st64_b32 v58, v56, v55 offset1:1
.LBB396_15:
	s_or_b64 exec, exec, s[4:5]
	s_load_dword s8, s[0:1], 0x94
	s_waitcnt lgkmcnt(0)
	s_barrier
	ds_read2_b32 v[58:59], v57 offset1:16
	ds_read2_b32 v[60:61], v57 offset0:32 offset1:48
	ds_read2_b32 v[62:63], v57 offset0:64 offset1:80
	s_movk_i32 s10, 0x7fff
	s_mov_b32 s11, 0x7060302
	s_waitcnt lgkmcnt(2)
	v_max3_f32 v55, v58, s33, v59
	s_waitcnt lgkmcnt(1)
	v_max3_f32 v55, v55, v60, v61
	v_sub_f32_e32 v56, v58, v55
	v_mul_f32_e32 v56, 0x3fb8aa3b, v56
	v_exp_f32_e32 v64, v56
	v_sub_f32_e32 v56, v59, v55
	v_mul_f32_e32 v56, 0x3fb8aa3b, v56
	v_exp_f32_e32 v65, v56
	;; [unrolled: 3-line block ×3, first 2 shown]
	ds_read2_b32 v[58:59], v57 offset0:96 offset1:112
	v_sub_f32_e32 v56, v61, v55
	v_mul_f32_e32 v56, 0x3fb8aa3b, v56
	v_exp_f32_e32 v57, v56
	s_waitcnt lgkmcnt(1)
	v_fma_f32 v56, v64, v62, 0
	v_fmac_f32_e32 v56, v65, v63
	s_waitcnt lgkmcnt(0)
	v_fmac_f32_e32 v56, v60, v58
	v_fmac_f32_e32 v56, v57, v59
	v_add_f32_e32 v58, 0x358637bd, v56
	v_div_scale_f32 v59, s[4:5], v58, v58, 1.0
	v_rcp_f32_e32 v61, v59
	s_mul_i32 s9, s9, 13
	s_barrier
	v_fma_f32 v62, -v59, v61, 1.0
	v_fmac_f32_e32 v61, v62, v61
	v_div_scale_f32 v62, vcc, 1.0, v58, 1.0
	v_mul_f32_e32 v63, v62, v61
	v_fma_f32 v66, -v59, v63, v62
	v_fmac_f32_e32 v63, v66, v61
	v_fma_f32 v59, -v59, v63, v62
	v_div_fmas_f32 v59, v59, v61, v63
	v_cmp_eq_u32_e32 vcc, 1, v45
	v_div_fixup_f32 v58, v59, v58, 1.0
	s_nop 0
	v_cndmask_b32_e32 v59, v64, v65, vcc
	v_cmp_eq_u32_e32 vcc, 2, v45
	s_nop 1
	v_cndmask_b32_e32 v59, v59, v60, vcc
	v_cmp_eq_u32_e32 vcc, 3, v45
	v_lshlrev_b32_e32 v45, 11, v45
	s_nop 0
	v_cndmask_b32_e32 v57, v59, v57, vcc
	v_mul_f32_e32 v58, v57, v58
	v_pk_mul_f32 v[46:47], v[58:59], v[46:47] op_sel_hi:[0,1]
	v_pk_mul_f32 v[52:53], v[58:59], v[52:53] op_sel_hi:[0,1]
	v_bfe_u32 v57, v47, 16, 1
	v_bfe_u32 v59, v46, 16, 1
	v_add3_u32 v46, v46, v59, s10
	v_add3_u32 v47, v47, v57, s10
	v_perm_b32 v60, v47, v46, s11
	v_bfe_u32 v46, v53, 16, 1
	v_bfe_u32 v47, v52, 16, 1
	v_add3_u32 v47, v52, v47, s10
	v_add3_u32 v46, v53, v46, s10
	v_perm_b32 v61, v46, v47, s11
	v_lshlrev_b32_e32 v46, 3, v54
	v_pk_mul_f32 v[50:51], v[58:59], v[50:51] op_sel_hi:[0,1]
	v_or3_b32 v46, v45, v43, v46
	v_bfe_u32 v45, v51, 16, 1
	v_bfe_u32 v47, v50, 16, 1
	v_pk_mul_f32 v[48:49], v[58:59], v[48:49] op_sel_hi:[0,1]
	v_add3_u32 v47, v50, v47, s10
	v_add3_u32 v45, v51, v45, s10
	v_perm_b32 v50, v45, v47, s11
	v_bfe_u32 v45, v49, 16, 1
	v_bfe_u32 v47, v48, 16, 1
	v_add3_u32 v47, v48, v47, s10
	v_add3_u32 v45, v49, v45, s10
	v_pk_mul_f32 v[40:41], v[58:59], v[40:41] op_sel_hi:[0,1]
	v_perm_b32 v51, v45, v47, s11
	v_bfe_u32 v45, v41, 16, 1
	v_bfe_u32 v47, v40, 16, 1
	v_pk_mul_f32 v[38:39], v[58:59], v[38:39] op_sel_hi:[0,1]
	v_add3_u32 v40, v40, v47, s10
	v_add3_u32 v41, v41, v45, s10
	v_perm_b32 v40, v41, v40, s11
	v_bfe_u32 v41, v39, 16, 1
	v_bfe_u32 v45, v38, 16, 1
	v_add3_u32 v38, v38, v45, s10
	v_add3_u32 v39, v39, v41, s10
	v_pk_mul_f32 v[36:37], v[58:59], v[36:37] op_sel_hi:[0,1]
	v_perm_b32 v41, v39, v38, s11
	v_bfe_u32 v38, v37, 16, 1
	v_bfe_u32 v39, v36, 16, 1
	v_pk_mul_f32 v[34:35], v[58:59], v[34:35] op_sel_hi:[0,1]
	v_add3_u32 v36, v36, v39, s10
	v_add3_u32 v37, v37, v38, s10
	v_perm_b32 v36, v37, v36, s11
	v_bfe_u32 v37, v35, 16, 1
	v_bfe_u32 v38, v34, 16, 1
	v_add3_u32 v34, v34, v38, s10
	v_add3_u32 v35, v35, v37, s10
	v_perm_b32 v37, v35, v34, s11
	v_cmp_gt_u32_e32 vcc, 13, v0
	ds_write2st64_b64 v46, v[60:61], v[50:51] offset1:1
	ds_write2st64_b64 v46, v[40:41], v[36:37] offset0:2 offset1:3
	s_and_saveexec_b64 s[4:5], vcc
	s_cbranch_execz .LBB396_17
; %bb.16:
	s_mov_b32 s43, 0
	v_mov_b32_e32 v45, 0
	v_lshl_add_u64 v[34:35], s[42:43], 0, v[44:45]
	v_mov_b32_e32 v36, s9
	v_mad_u64_u32 v[34:35], s[16:17], s2, v36, v[34:35]
	s_mul_i32 s3, s3, s9
	v_mov_b32_e32 v44, s28
	s_load_dwordx4 s[12:15], s[0:1], 0x58
	v_add_u32_e32 v37, s3, v35
	v_mad_u64_u32 v[34:35], s[16:17], v34, s8, v[44:45]
	v_mov_b32_e32 v36, v35
	v_mad_u64_u32 v[36:37], s[16:17], v37, s8, v[36:37]
	v_mov_b32_e32 v35, v36
	v_lshlrev_b64 v[34:35], 2, v[34:35]
	s_waitcnt lgkmcnt(0)
	v_lshl_add_u64 v[36:37], s[14:15], 0, v[34:35]
	v_lshl_add_u64 v[34:35], s[12:13], 0, v[34:35]
	global_store_dword v[36:37], v55, off
	global_store_dword v[34:35], v56, off
.LBB396_17:
	s_or_b64 exec, exec, s[4:5]
	v_lshl_or_b32 v43, v54, 9, v43
	s_waitcnt lgkmcnt(0)
	s_barrier
	ds_read_b128 v[34:37], v43
	ds_read_b128 v[38:41], v43 offset:16
	s_waitcnt vmcnt(7) lgkmcnt(1)
	v_mfma_f32_16x16x16_bf16 v[48:51], v[6:7], v[34:35], 0
	v_cmp_gt_u32_e32 vcc, 64, v0
	s_mov_b32 s3, 0
	s_and_b64 s[4:5], vcc, s[30:31]
	v_mfma_f32_16x16x16_bf16 v[6:9], v[8:9], v[36:37], v[48:51]
	s_waitcnt vmcnt(6) lgkmcnt(0)
	v_mfma_f32_16x16x16_bf16 v[6:9], v[2:3], v[38:39], v[6:9]
	v_mfma_f32_16x16x16_bf16 v[2:5], v[4:5], v[40:41], v[6:9]
	s_nop 5
	ds_read_b128 v[6:9], v43 offset:2048
	ds_read_b128 v[34:37], v43 offset:2064
	s_waitcnt vmcnt(5) lgkmcnt(1)
	v_mfma_f32_16x16x16_bf16 v[2:5], v[30:31], v[6:7], v[2:5]
	v_mfma_f32_16x16x16_bf16 v[2:5], v[32:33], v[8:9], v[2:5]
	s_waitcnt vmcnt(4) lgkmcnt(0)
	v_mfma_f32_16x16x16_bf16 v[2:5], v[26:27], v[34:35], v[2:5]
	v_mfma_f32_16x16x16_bf16 v[2:5], v[28:29], v[36:37], v[2:5]
	ds_read_b128 v[6:9], v43 offset:4096
	ds_read_b128 v[26:29], v43 offset:4112
	s_waitcnt vmcnt(3) lgkmcnt(1)
	v_mfma_f32_16x16x16_bf16 v[2:5], v[22:23], v[6:7], v[2:5]
	v_mfma_f32_16x16x16_bf16 v[2:5], v[24:25], v[8:9], v[2:5]
	s_waitcnt vmcnt(2) lgkmcnt(0)
	v_mfma_f32_16x16x16_bf16 v[2:5], v[18:19], v[26:27], v[2:5]
	v_mfma_f32_16x16x16_bf16 v[2:5], v[20:21], v[28:29], v[2:5]
	ds_read_b128 v[6:9], v43 offset:6144
	ds_read_b128 v[18:21], v43 offset:6160
	v_mov_b32_e32 v43, 0
	s_waitcnt vmcnt(1) lgkmcnt(0)
	v_mfma_f32_16x16x16_bf16 v[2:5], v[14:15], v[6:7], v[2:5]
	s_barrier
	v_mfma_f32_16x16x16_bf16 v[2:5], v[16:17], v[8:9], v[2:5]
	s_waitcnt vmcnt(0)
	v_mfma_f32_16x16x16_bf16 v[2:5], v[10:11], v[18:19], v[2:5]
	v_mfma_f32_16x16x16_bf16 v[2:5], v[12:13], v[20:21], v[2:5]
	s_nop 6
	v_bfe_u32 v6, v3, 16, 1
	v_bfe_u32 v7, v2, 16, 1
	;; [unrolled: 1-line block ×4, first 2 shown]
	v_add3_u32 v2, v2, v7, s10
	v_add3_u32 v3, v3, v6, s10
	;; [unrolled: 1-line block ×4, first 2 shown]
	v_perm_b32 v2, v3, v2, s11
	v_perm_b32 v3, v5, v4, s11
	ds_write_b64 v46, v[2:3]
	s_waitcnt lgkmcnt(0)
	s_barrier
	s_and_saveexec_b64 s[10:11], s[4:5]
	s_cbranch_execz .LBB396_20
; %bb.18:
	s_load_dwordx2 s[4:5], s[0:1], 0x68
	s_lshl_b32 s0, s8, 6
	s_mul_i32 s1, s9, s2
	s_mul_hi_u32 s9, s1, s0
	s_mul_i32 s8, s1, s0
	v_lshlrev_b32_e32 v0, 10, v0
	s_lshl_b64 s[8:9], s[8:9], 1
	v_and_b32_e32 v0, 0x1800, v0
	v_lshlrev_b32_e32 v2, 5, v54
	v_and_b32_e32 v1, 16, v1
	s_waitcnt lgkmcnt(0)
	s_add_u32 s1, s4, s8
	v_or3_b32 v2, v0, v2, v1
	s_addc_u32 s4, s5, s9
	s_lshl_b32 s2, s28, 6
	ds_read_b128 v[4:7], v2 offset:256
	s_lshl_b64 s[2:3], s[2:3], 1
	ds_read_b128 v[8:11], v2 offset:128
	ds_read_b128 v[12:15], v2
	s_add_u32 s2, s1, s2
	s_addc_u32 s3, s4, s3
	v_add_u32_e32 v3, s42, v54
	v_lshl_add_u64 v[0:1], s[2:3], 0, v[42:43]
	v_mad_u64_u32 v[16:17], s[2:3], v3, s0, 0
	v_lshl_add_u64 v[16:17], v[16:17], 1, v[0:1]
	s_waitcnt lgkmcnt(0)
	global_store_dwordx4 v[16:17], v[12:15], off
	s_nop 1
	v_add_u32_e32 v12, 4, v3
	v_mad_u64_u32 v[12:13], s[2:3], v12, s0, 0
	v_lshl_add_u64 v[12:13], v[12:13], 1, v[0:1]
	v_add_u32_e32 v3, 8, v3
	global_store_dwordx4 v[12:13], v[8:11], off
	s_nop 1
	v_mad_u64_u32 v[8:9], s[2:3], v3, s0, 0
	v_lshl_add_u64 v[8:9], v[8:9], 1, v[0:1]
	global_store_dwordx4 v[8:9], v[4:7], off
	s_and_b64 exec, exec, s[6:7]
	s_cbranch_execz .LBB396_20
; %bb.19:
	ds_read_b128 v[2:5], v2 offset:384
	v_add3_u32 v6, s42, v54, 12
	v_mad_u64_u32 v[6:7], s[0:1], v6, s0, 0
	v_lshl_add_u64 v[0:1], v[6:7], 1, v[0:1]
	s_waitcnt lgkmcnt(0)
	global_store_dwordx4 v[0:1], v[2:5], off
.LBB396_20:
	s_endpgm
	.section	.rodata,"a",@progbits
	.p2align	6, 0x0
	.amdhsa_kernel _Z39paged_attention_ll4mi_QKV_mfma16_kernelI14__hip_bfloat16S0_LN4vllm18Fp8KVCacheDataTypeE0EhLi16ELi64ELi256ELb1ELi13EEvPKT_PKT0_S8_ifPKiSA_SA_iPKfiiiPfSD_PS3_PT2_iSC_SC_
		.amdhsa_group_segment_fixed_size 8192
		.amdhsa_private_segment_fixed_size 0
		.amdhsa_kernarg_size 400
		.amdhsa_user_sgpr_count 2
		.amdhsa_user_sgpr_dispatch_ptr 0
		.amdhsa_user_sgpr_queue_ptr 0
		.amdhsa_user_sgpr_kernarg_segment_ptr 1
		.amdhsa_user_sgpr_dispatch_id 0
		.amdhsa_user_sgpr_kernarg_preload_length 0
		.amdhsa_user_sgpr_kernarg_preload_offset 0
		.amdhsa_user_sgpr_private_segment_size 0
		.amdhsa_uses_dynamic_stack 0
		.amdhsa_enable_private_segment 0
		.amdhsa_system_sgpr_workgroup_id_x 1
		.amdhsa_system_sgpr_workgroup_id_y 1
		.amdhsa_system_sgpr_workgroup_id_z 1
		.amdhsa_system_sgpr_workgroup_info 0
		.amdhsa_system_vgpr_workitem_id 0
		.amdhsa_next_free_vgpr 72
		.amdhsa_next_free_sgpr 48
		.amdhsa_accum_offset 72
		.amdhsa_reserve_vcc 1
		.amdhsa_float_round_mode_32 0
		.amdhsa_float_round_mode_16_64 0
		.amdhsa_float_denorm_mode_32 3
		.amdhsa_float_denorm_mode_16_64 3
		.amdhsa_dx10_clamp 1
		.amdhsa_ieee_mode 1
		.amdhsa_fp16_overflow 0
		.amdhsa_tg_split 0
		.amdhsa_exception_fp_ieee_invalid_op 0
		.amdhsa_exception_fp_denorm_src 0
		.amdhsa_exception_fp_ieee_div_zero 0
		.amdhsa_exception_fp_ieee_overflow 0
		.amdhsa_exception_fp_ieee_underflow 0
		.amdhsa_exception_fp_ieee_inexact 0
		.amdhsa_exception_int_div_zero 0
	.end_amdhsa_kernel
	.section	.text._Z39paged_attention_ll4mi_QKV_mfma16_kernelI14__hip_bfloat16S0_LN4vllm18Fp8KVCacheDataTypeE0EhLi16ELi64ELi256ELb1ELi13EEvPKT_PKT0_S8_ifPKiSA_SA_iPKfiiiPfSD_PS3_PT2_iSC_SC_,"axG",@progbits,_Z39paged_attention_ll4mi_QKV_mfma16_kernelI14__hip_bfloat16S0_LN4vllm18Fp8KVCacheDataTypeE0EhLi16ELi64ELi256ELb1ELi13EEvPKT_PKT0_S8_ifPKiSA_SA_iPKfiiiPfSD_PS3_PT2_iSC_SC_,comdat
.Lfunc_end396:
	.size	_Z39paged_attention_ll4mi_QKV_mfma16_kernelI14__hip_bfloat16S0_LN4vllm18Fp8KVCacheDataTypeE0EhLi16ELi64ELi256ELb1ELi13EEvPKT_PKT0_S8_ifPKiSA_SA_iPKfiiiPfSD_PS3_PT2_iSC_SC_, .Lfunc_end396-_Z39paged_attention_ll4mi_QKV_mfma16_kernelI14__hip_bfloat16S0_LN4vllm18Fp8KVCacheDataTypeE0EhLi16ELi64ELi256ELb1ELi13EEvPKT_PKT0_S8_ifPKiSA_SA_iPKfiiiPfSD_PS3_PT2_iSC_SC_
                                        ; -- End function
	.section	.AMDGPU.csdata,"",@progbits
; Kernel info:
; codeLenInByte = 4376
; NumSgprs: 54
; NumVgprs: 72
; NumAgprs: 0
; TotalNumVgprs: 72
; ScratchSize: 0
; MemoryBound: 0
; FloatMode: 240
; IeeeMode: 1
; LDSByteSize: 8192 bytes/workgroup (compile time only)
; SGPRBlocks: 6
; VGPRBlocks: 8
; NumSGPRsForWavesPerEU: 54
; NumVGPRsForWavesPerEU: 72
; AccumOffset: 72
; Occupancy: 7
; WaveLimiterHint : 1
; COMPUTE_PGM_RSRC2:SCRATCH_EN: 0
; COMPUTE_PGM_RSRC2:USER_SGPR: 2
; COMPUTE_PGM_RSRC2:TRAP_HANDLER: 0
; COMPUTE_PGM_RSRC2:TGID_X_EN: 1
; COMPUTE_PGM_RSRC2:TGID_Y_EN: 1
; COMPUTE_PGM_RSRC2:TGID_Z_EN: 1
; COMPUTE_PGM_RSRC2:TIDIG_COMP_CNT: 0
; COMPUTE_PGM_RSRC3_GFX90A:ACCUM_OFFSET: 17
; COMPUTE_PGM_RSRC3_GFX90A:TG_SPLIT: 0
	.section	.text._Z39paged_attention_ll4mi_QKV_mfma16_kernelI14__hip_bfloat16S0_LN4vllm18Fp8KVCacheDataTypeE0EhLi16ELi64ELi256ELb1ELi14EEvPKT_PKT0_S8_ifPKiSA_SA_iPKfiiiPfSD_PS3_PT2_iSC_SC_,"axG",@progbits,_Z39paged_attention_ll4mi_QKV_mfma16_kernelI14__hip_bfloat16S0_LN4vllm18Fp8KVCacheDataTypeE0EhLi16ELi64ELi256ELb1ELi14EEvPKT_PKT0_S8_ifPKiSA_SA_iPKfiiiPfSD_PS3_PT2_iSC_SC_,comdat
	.protected	_Z39paged_attention_ll4mi_QKV_mfma16_kernelI14__hip_bfloat16S0_LN4vllm18Fp8KVCacheDataTypeE0EhLi16ELi64ELi256ELb1ELi14EEvPKT_PKT0_S8_ifPKiSA_SA_iPKfiiiPfSD_PS3_PT2_iSC_SC_ ; -- Begin function _Z39paged_attention_ll4mi_QKV_mfma16_kernelI14__hip_bfloat16S0_LN4vllm18Fp8KVCacheDataTypeE0EhLi16ELi64ELi256ELb1ELi14EEvPKT_PKT0_S8_ifPKiSA_SA_iPKfiiiPfSD_PS3_PT2_iSC_SC_
	.globl	_Z39paged_attention_ll4mi_QKV_mfma16_kernelI14__hip_bfloat16S0_LN4vllm18Fp8KVCacheDataTypeE0EhLi16ELi64ELi256ELb1ELi14EEvPKT_PKT0_S8_ifPKiSA_SA_iPKfiiiPfSD_PS3_PT2_iSC_SC_
	.p2align	8
	.type	_Z39paged_attention_ll4mi_QKV_mfma16_kernelI14__hip_bfloat16S0_LN4vllm18Fp8KVCacheDataTypeE0EhLi16ELi64ELi256ELb1ELi14EEvPKT_PKT0_S8_ifPKiSA_SA_iPKfiiiPfSD_PS3_PT2_iSC_SC_,@function
_Z39paged_attention_ll4mi_QKV_mfma16_kernelI14__hip_bfloat16S0_LN4vllm18Fp8KVCacheDataTypeE0EhLi16ELi64ELi256ELb1ELi14EEvPKT_PKT0_S8_ifPKiSA_SA_iPKfiiiPfSD_PS3_PT2_iSC_SC_: ; @_Z39paged_attention_ll4mi_QKV_mfma16_kernelI14__hip_bfloat16S0_LN4vllm18Fp8KVCacheDataTypeE0EhLi16ELi64ELi256ELb1ELi14EEvPKT_PKT0_S8_ifPKiSA_SA_iPKfiiiPfSD_PS3_PT2_iSC_SC_
; %bb.0:
	s_load_dwordx2 s[8:9], s[0:1], 0x30
	s_mov_b32 s28, s3
	s_mov_b64 s[6:7], 0
	s_waitcnt lgkmcnt(0)
	s_cmp_lg_u64 s[8:9], 0
	s_cselect_b64 s[10:11], -1, 0
	s_and_b64 vcc, exec, s[10:11]
	s_cbranch_vccz .LBB397_7
; %bb.1:
	s_add_i32 s12, s2, 1
	s_mov_b32 s13, 0
	s_lshl_b64 s[14:15], s[12:13], 2
	s_add_u32 s14, s8, s14
	s_mov_b32 s3, s13
	s_addc_u32 s15, s9, s15
	s_lshl_b64 s[12:13], s[2:3], 2
	s_add_u32 s12, s8, s12
	s_addc_u32 s13, s9, s13
	s_load_dword s5, s[14:15], 0x0
	s_load_dword s16, s[12:13], 0x0
	s_waitcnt lgkmcnt(0)
	s_sub_i32 s5, s5, s16
	s_cmp_eq_u32 s5, 1
	s_cselect_b64 s[12:13], -1, 0
	s_andn2_b64 vcc, exec, s[6:7]
	s_cbranch_vccnz .LBB397_3
.LBB397_2:
	s_mov_b32 s3, 0
	s_mov_b64 s[12:13], -1
.LBB397_3:
	s_andn2_b64 vcc, exec, s[12:13]
	s_cbranch_vccnz .LBB397_20
; %bb.4:
	s_load_dwordx2 s[6:7], s[0:1], 0x28
	s_lshl_b64 s[12:13], s[2:3], 2
	s_waitcnt lgkmcnt(0)
	s_add_u32 s6, s6, s12
	s_addc_u32 s7, s7, s13
	s_load_dword s29, s[6:7], 0x0
	s_lshl_b32 s16, s28, 8
	s_waitcnt lgkmcnt(0)
	s_cmp_ge_i32 s16, s29
	s_cbranch_scc1 .LBB397_20
; %bb.5:
	s_load_dwordx2 s[6:7], s[0:1], 0x20
	s_load_dword s5, s[0:1], 0x38
	s_add_i32 s14, s29, 15
	s_ashr_i32 s15, s14, 31
	v_and_b32_e32 v1, 0xcf, v0
	s_lshr_b32 s15, s15, 28
	v_add_u32_e32 v1, s16, v1
	s_add_i32 s14, s14, s15
	v_ashrrev_i32_e32 v2, 31, v1
	s_ashr_i32 s17, s14, 4
	v_lshrrev_b32_e32 v6, 28, v2
	s_add_i32 s17, s17, -1
	s_waitcnt lgkmcnt(0)
	s_mul_i32 s14, s2, s5
	s_mov_b32 s15, 0
	v_add_u32_e32 v2, v1, v6
	s_lshl_b64 s[14:15], s[14:15], 2
	v_ashrrev_i32_e32 v2, 4, v2
	v_mov_b32_e32 v7, s17
	v_cmp_gt_i32_e32 vcc, s29, v1
	s_add_u32 s6, s6, s14
	s_addc_u32 s7, s7, s15
	v_cndmask_b32_e32 v2, v7, v2, vcc
	v_ashrrev_i32_e32 v3, 31, v2
	v_lshl_add_u64 v[4:5], v[2:3], 2, s[6:7]
	v_or_b32_e32 v2, 16, v1
	v_add_u32_e32 v3, v2, v6
	v_ashrrev_i32_e32 v3, 4, v3
	v_cmp_gt_i32_e32 vcc, s29, v2
	s_load_dwordx2 s[14:15], s[0:1], 0x8
	s_nop 0
	v_cndmask_b32_e32 v2, v7, v3, vcc
	v_ashrrev_i32_e32 v3, 31, v2
	v_lshl_add_u64 v[8:9], v[2:3], 2, s[6:7]
	v_or_b32_e32 v2, 32, v1
	v_add_u32_e32 v3, v2, v6
	v_ashrrev_i32_e32 v3, 4, v3
	v_cmp_gt_i32_e32 vcc, s29, v2
	v_or_b32_e32 v1, 48, v1
	s_nop 0
	v_cndmask_b32_e32 v2, v7, v3, vcc
	v_ashrrev_i32_e32 v3, 31, v2
	v_lshl_add_u64 v[10:11], v[2:3], 2, s[6:7]
	v_add_u32_e32 v2, v1, v6
	v_ashrrev_i32_e32 v2, 4, v2
	v_cmp_gt_i32_e32 vcc, s29, v1
	s_nop 1
	v_cndmask_b32_e32 v2, v7, v2, vcc
	v_ashrrev_i32_e32 v3, 31, v2
	v_lshl_add_u64 v[12:13], v[2:3], 2, s[6:7]
	global_load_dword v3, v[4:5], off
	global_load_dword v2, v[8:9], off
	;; [unrolled: 1-line block ×4, first 2 shown]
	s_andn2_b64 vcc, exec, s[10:11]
	s_cbranch_vccnz .LBB397_8
; %bb.6:
	s_add_u32 s8, s8, s12
	s_addc_u32 s9, s9, s13
	s_load_dword s5, s[8:9], 0x0
	s_branch .LBB397_9
.LBB397_7:
	s_mov_b64 s[12:13], 0
	s_branch .LBB397_2
.LBB397_8:
	s_mov_b32 s5, s2
.LBB397_9:
	s_load_dwordx2 s[8:9], s[0:1], 0x10
	s_load_dwordx4 s[44:47], s[0:1], 0x48
	v_lshrrev_b32_e32 v45, 6, v0
	v_bfe_u32 v54, v0, 4, 2
	v_lshl_or_b32 v1, v45, 2, v54
	v_and_b32_e32 v44, 15, v0
	v_lshlrev_b32_e32 v4, 3, v44
	v_cmp_gt_u32_e32 vcc, 14, v1
	v_cmp_gt_u32_e64 s[30:31], 8, v44
	s_mul_i32 s42, s4, 14
	s_and_b64 s[12:13], s[30:31], vcc
	v_lshlrev_b32_e32 v42, 1, v4
	s_and_saveexec_b64 s[10:11], s[12:13]
	s_cbranch_execz .LBB397_11
; %bb.10:
	s_load_dwordx2 s[12:13], s[0:1], 0x0
	s_waitcnt lgkmcnt(0)
	s_ashr_i32 s18, s44, 31
	s_mul_hi_u32 s19, s5, s44
	s_mul_i32 s18, s5, s18
	s_add_i32 s19, s19, s18
	s_mul_i32 s18, s5, s44
	s_lshl_b64 s[18:19], s[18:19], 1
	s_add_u32 s12, s12, s18
	v_add_lshl_u32 v4, v1, s42, 6
	s_addc_u32 s13, s13, s19
	v_ashrrev_i32_e32 v5, 31, v4
	v_lshl_add_u64 v[4:5], v[4:5], 1, s[12:13]
	v_mov_b32_e32 v43, 0
	v_lshl_add_u64 v[4:5], v[4:5], 0, v[42:43]
	global_load_dwordx4 v[8:11], v[4:5], off
	v_and_b32_e32 v4, 3, v0
	v_lshlrev_b32_e32 v5, 9, v44
	v_lshlrev_b32_e32 v1, 5, v1
	v_lshlrev_b32_e32 v4, 9, v4
	v_and_b32_e32 v5, 0x1800, v5
	v_or3_b32 v1, v5, v4, v1
	s_waitcnt vmcnt(0)
	ds_write_b128 v1, v[8:11]
.LBB397_11:
	s_or_b64 exec, exec, s[10:11]
	s_waitcnt lgkmcnt(0)
	s_mul_i32 s4, s4, s46
	s_mov_b32 s5, 0
	s_lshl_b64 s[4:5], s[4:5], 1
	s_add_u32 s10, s14, s4
	v_lshlrev_b32_e32 v1, 4, v0
	s_addc_u32 s11, s15, s5
	v_and_b32_e32 v46, 0xf0, v1
	v_mov_b32_e32 v47, 0
	v_lshl_add_u64 v[16:17], s[10:11], 0, v[46:47]
	s_waitcnt vmcnt(3)
	v_mad_i64_i32 v[4:5], s[10:11], v3, s45, 0
	s_waitcnt vmcnt(2)
	v_mad_i64_i32 v[2:3], s[10:11], v2, s45, 0
	;; [unrolled: 2-line block ×3, first 2 shown]
	v_lshl_add_u64 v[4:5], v[4:5], 1, v[16:17]
	v_and_b32_e32 v46, 0x300, v1
	v_lshl_add_u64 v[2:3], v[2:3], 1, v[16:17]
	v_lshl_add_u64 v[6:7], v[6:7], 1, v[16:17]
	s_waitcnt vmcnt(0)
	v_mad_i64_i32 v[14:15], s[10:11], v14, s45, 0
	v_lshl_add_u64 v[4:5], v[4:5], 0, v[46:47]
	v_lshl_add_u64 v[8:9], v[2:3], 0, v[46:47]
	;; [unrolled: 1-line block ×4, first 2 shown]
	s_barrier
	global_load_dwordx4 v[30:33], v[4:5], off
	global_load_dwordx4 v[10:13], v[4:5], off offset:1024
	global_load_dwordx4 v[22:25], v[8:9], off
	s_nop 0
	global_load_dwordx4 v[2:5], v[8:9], off offset:1024
	global_load_dwordx4 v[26:29], v[18:19], off
	s_nop 0
	global_load_dwordx4 v[6:9], v[18:19], off offset:1024
	v_lshl_add_u64 v[18:19], v[14:15], 0, v[46:47]
	global_load_dwordx4 v[34:37], v[18:19], off
	global_load_dwordx4 v[14:17], v[18:19], off offset:1024
	v_add_u32_e32 v18, -14, v44
	v_cmp_gt_u32_e32 vcc, 14, v44
	v_and_b32_e32 v55, 63, v0
	v_mov_b32_e32 v56, 0
	v_cndmask_b32_e32 v18, v18, v44, vcc
	v_lshlrev_b32_e32 v18, 5, v18
	v_lshl_add_u32 v18, v54, 9, v18
	ds_read_b128 v[38:41], v18
	ds_read_b128 v[18:21], v18 offset:2048
	s_and_saveexec_b64 s[10:11], vcc
	s_cbranch_execz .LBB397_13
; %bb.12:
	s_load_dwordx2 s[12:13], s[0:1], 0x40
	v_add_u32_e32 v48, s42, v44
	v_ashrrev_i32_e32 v49, 31, v48
	s_waitcnt lgkmcnt(0)
	v_lshl_add_u64 v[48:49], v[48:49], 2, s[12:13]
	global_load_dword v56, v[48:49], off
.LBB397_13:
	s_or_b64 exec, exec, s[10:11]
	v_and_or_b32 v46, v0, 48, s16
	v_ashrrev_i32_e32 v43, 4, v46
	v_mov_b32_e32 v57, s17
	v_cmp_gt_i32_e32 vcc, s29, v46
	s_waitcnt vmcnt(5) lgkmcnt(1)
	v_mfma_f32_16x16x16_bf16 v[58:61], v[22:23], v[38:39], 0
	s_load_dword s10, s[0:1], 0x1c
	v_cndmask_b32_e32 v48, v57, v43, vcc
	v_ashrrev_i32_e32 v49, 31, v48
	v_or_b32_e32 v43, 64, v46
	v_lshl_add_u64 v[52:53], v[48:49], 2, s[6:7]
	v_mfma_f32_16x16x16_bf16 v[48:51], v[30:31], v[38:39], 0
	v_ashrrev_i32_e32 v30, 4, v43
	v_cmp_gt_i32_e32 vcc, s29, v43
	global_load_dword v70, v[52:53], off
	s_waitcnt vmcnt(4)
	v_mfma_f32_16x16x16_bf16 v[62:65], v[26:27], v[38:39], 0
	v_cndmask_b32_e32 v30, v57, v30, vcc
	v_ashrrev_i32_e32 v31, 31, v30
	v_lshl_add_u64 v[22:23], v[30:31], 2, s[6:7]
	global_load_dword v71, v[22:23], off
	v_mfma_f32_16x16x16_bf16 v[22:25], v[24:25], v[40:41], v[58:61]
	v_and_b32_e32 v26, 0xc0, v0
	s_add_u32 s4, s8, s4
	v_lshlrev_b32_e32 v43, 5, v44
	v_mfma_f32_16x16x16_bf16 v[30:33], v[32:33], v[40:41], v[48:51]
	s_addc_u32 s5, s9, s5
	s_mov_b32 s33, 0xff7fffff
	s_waitcnt vmcnt(3)
	v_mfma_f32_16x16x16_bf16 v[66:69], v[34:35], v[38:39], 0
	v_or_b32_e32 v38, 0x80, v46
	v_add_u32_e32 v48, s16, v26
	v_or_b32_e32 v39, 0xc0, v46
	v_mfma_f32_16x16x16_bf16 v[26:29], v[28:29], v[40:41], v[62:65]
	v_ashrrev_i32_e32 v49, 4, v38
	v_cmp_gt_i32_e32 vcc, s29, v38
	v_ashrrev_i32_e32 v50, 4, v39
	s_waitcnt lgkmcnt(0)
	v_mfma_f32_16x16x16_bf16 v[22:25], v[2:3], v[18:19], v[22:25]
	v_cndmask_b32_e32 v38, v57, v49, vcc
	v_cmp_gt_i32_e32 vcc, s29, v39
	v_ashrrev_i32_e32 v39, 31, v38
	v_mfma_f32_16x16x16_bf16 v[30:33], v[10:11], v[18:19], v[30:33]
	v_cndmask_b32_e32 v10, v57, v50, vcc
	v_ashrrev_i32_e32 v11, 31, v10
	v_lshl_or_b32 v58, v54, 2, v48
	v_mfma_f32_16x16x16_bf16 v[26:29], v[6:7], v[18:19], v[26:29]
	v_lshl_add_u64 v[6:7], v[38:39], 2, s[6:7]
	v_lshl_add_u64 v[38:39], v[10:11], 2, s[6:7]
	v_or_b32_e32 v57, 1, v58
	v_mfma_f32_16x16x16_bf16 v[2:5], v[4:5], v[20:21], v[22:25]
	s_nop 2
	global_load_dword v22, v[6:7], off
	global_load_dword v61, v[38:39], off
	v_subrev_u32_e32 v59, s29, v57
	v_cvt_f32_i32_e32 v60, v59
	v_mfma_f32_16x16x16_bf16 v[34:37], v[36:37], v[40:41], v[66:69]
	v_pk_mul_f32 v[48:49], s[10:11], v[4:5] op_sel_hi:[0,1]
	v_lshl_or_b32 v46, v45, 9, v43
	v_lshl_add_u64 v[46:47], s[4:5], 0, v[46:47]
	s_waitcnt vmcnt(4)
	v_mfma_f32_16x16x16_bf16 v[34:37], v[14:15], v[18:19], v[34:37]
	v_add_u32_e32 v14, 1, v59
	v_add_u32_e32 v15, 2, v59
	v_cvt_f32_i32_e32 v23, v14
	v_cvt_f32_i32_e32 v24, v15
	v_mfma_f32_16x16x16_bf16 v[14:17], v[16:17], v[20:21], v[34:37]
	v_add_u32_e32 v18, 3, v59
	v_cvt_f32_i32_e32 v18, v18
	v_pk_mul_f32 v[50:51], s[10:11], v[2:3] op_sel_hi:[0,1]
	v_mfma_f32_16x16x16_bf16 v[10:13], v[12:13], v[20:21], v[30:33]
	v_cmp_gt_i32_e64 s[34:35], s29, v57
	s_nop 1
	v_pk_mul_f32 v[36:37], s[10:11], v[14:15] op_sel_hi:[0,1]
	v_add_u32_e32 v15, 19, v59
	v_add_u32_e32 v31, 18, v59
	v_cvt_f32_i32_e32 v14, v31
	v_cvt_f32_i32_e32 v15, v15
	v_mfma_f32_16x16x16_bf16 v[6:9], v[8:9], v[20:21], v[26:29]
	v_pk_mul_f32 v[34:35], s[10:11], v[16:17] op_sel_hi:[0,1]
	v_fma_f32 v48, v56, v14, v48
	v_add_u32_e32 v14, 32, v59
	v_fmac_f32_e32 v49, v56, v15
	v_cvt_f32_i32_e32 v14, v14
	v_add_u32_e32 v15, 33, v59
	v_add_u32_e32 v16, 34, v59
	v_cvt_f32_i32_e32 v15, v15
	v_cvt_f32_i32_e32 v16, v16
	v_add_u32_e32 v17, 35, v59
	v_cvt_f32_i32_e32 v17, v17
	v_pk_mul_f32 v[40:41], s[10:11], v[6:7] op_sel_hi:[0,1]
	v_pk_mul_f32 v[38:39], s[10:11], v[8:9] op_sel_hi:[0,1]
	v_fma_f32 v40, v56, v14, v40
	v_add_u32_e32 v14, 48, v59
	v_fmac_f32_e32 v41, v56, v15
	v_fma_f32 v38, v56, v16, v38
	v_cvt_f32_i32_e32 v14, v14
	v_add_u32_e32 v15, 49, v59
	v_add_u32_e32 v16, 50, v59
	v_fmac_f32_e32 v39, v56, v17
	v_cvt_f32_i32_e32 v15, v15
	v_cvt_f32_i32_e32 v16, v16
	v_add_u32_e32 v17, 51, v59
	v_cvt_f32_i32_e32 v17, v17
	v_pk_mul_f32 v[52:53], s[10:11], v[12:13] op_sel_hi:[0,1]
	v_pk_mul_f32 v[10:11], s[10:11], v[10:11] op_sel_hi:[0,1]
	s_waitcnt vmcnt(3)
	v_mad_i64_i32 v[2:3], s[4:5], v70, s45, 0
	s_waitcnt vmcnt(2)
	v_mad_i64_i32 v[12:13], s[4:5], v71, s45, 0
	v_fma_f32 v10, v56, v60, v10
	v_fmac_f32_e32 v11, v56, v23
	v_fma_f32 v36, v56, v14, v36
	v_mov_b32_e32 v14, 0xff7fffff
	v_cmp_gt_i32_e64 s[4:5], s29, v58
	v_add_u32_e32 v19, 16, v59
	v_add_u32_e32 v30, 17, v59
	v_fmac_f32_e32 v37, v56, v15
	v_fma_f32 v34, v56, v16, v34
	v_cndmask_b32_e64 v15, v14, v10, s[4:5]
	v_cndmask_b32_e64 v16, v14, v11, s[34:35]
	v_cvt_f32_i32_e32 v19, v19
	v_cvt_f32_i32_e32 v25, v30
	v_fmac_f32_e32 v35, v56, v17
	v_max3_f32 v15, v15, s33, v16
	v_or_b32_e32 v16, 2, v58
	v_or_b32_e32 v17, 3, v58
	v_fma_f32 v52, v56, v24, v52
	v_fmac_f32_e32 v53, v56, v18
	v_cmp_gt_i32_e64 s[36:37], s29, v16
	v_cmp_gt_i32_e64 s[38:39], s29, v17
	v_fma_f32 v50, v56, v19, v50
	v_cndmask_b32_e64 v16, v14, v52, s[36:37]
	v_cndmask_b32_e64 v17, v14, v53, s[38:39]
	v_max3_f32 v15, v15, v16, v17
	v_or_b32_e32 v16, 16, v58
	v_or_b32_e32 v17, 17, v58
	v_fmac_f32_e32 v51, v56, v25
	v_cmp_gt_i32_e64 s[24:25], s29, v16
	v_cmp_gt_i32_e64 s[26:27], s29, v17
	v_lshl_add_u64 v[2:3], v[2:3], 1, v[46:47]
	v_cndmask_b32_e64 v16, v14, v50, s[24:25]
	v_cndmask_b32_e64 v17, v14, v51, s[26:27]
	v_max3_f32 v15, v15, v16, v17
	v_or_b32_e32 v16, 18, v58
	v_or_b32_e32 v17, 19, v58
	v_cmp_gt_i32_e64 s[20:21], s29, v16
	v_cmp_gt_i32_e64 s[22:23], s29, v17
	v_lshl_add_u64 v[12:13], v[12:13], 1, v[46:47]
	v_cndmask_b32_e64 v16, v14, v48, s[20:21]
	v_cndmask_b32_e64 v17, v14, v49, s[22:23]
	v_max3_f32 v15, v15, v16, v17
	v_or_b32_e32 v16, 32, v58
	v_or_b32_e32 v17, 33, v58
	v_cmp_gt_i32_e64 s[16:17], s29, v16
	v_cmp_gt_i32_e64 s[18:19], s29, v17
	global_load_dwordx4 v[6:9], v[2:3], off
	s_nop 0
	global_load_dwordx4 v[2:5], v[2:3], off offset:16
	v_cndmask_b32_e64 v16, v14, v40, s[16:17]
	v_cndmask_b32_e64 v17, v14, v41, s[18:19]
	v_max3_f32 v15, v15, v16, v17
	v_or_b32_e32 v16, 34, v58
	v_or_b32_e32 v17, 35, v58
	v_cmp_gt_i32_e64 s[12:13], s29, v16
	v_cmp_gt_i32_e64 s[14:15], s29, v17
	global_load_dwordx4 v[30:33], v[12:13], off
	global_load_dwordx4 v[26:29], v[12:13], off offset:16
	v_cndmask_b32_e64 v16, v14, v38, s[12:13]
	v_cndmask_b32_e64 v17, v14, v39, s[14:15]
	v_max3_f32 v15, v15, v16, v17
	v_or_b32_e32 v16, 48, v58
	v_or_b32_e32 v17, 49, v58
	v_cmp_gt_i32_e64 s[8:9], s29, v16
	v_cmp_gt_i32_e64 s[10:11], s29, v17
	s_nop 0
	v_cndmask_b32_e64 v16, v14, v36, s[8:9]
	v_cndmask_b32_e64 v17, v14, v37, s[10:11]
	v_max3_f32 v15, v15, v16, v17
	v_or_b32_e32 v16, 50, v58
	v_or_b32_e32 v17, 51, v58
	v_cmp_gt_i32_e32 vcc, s29, v16
	v_cmp_gt_i32_e64 s[6:7], s29, v17
	s_nop 0
	v_cndmask_b32_e32 v16, v14, v34, vcc
	v_cndmask_b32_e64 v14, v14, v35, s[6:7]
	v_max3_f32 v14, v15, v16, v14
	v_mbcnt_lo_u32_b32 v15, -1, 0
	v_mbcnt_hi_u32_b32 v15, -1, v15
	v_and_b32_e32 v16, 64, v15
	v_add_u32_e32 v16, 64, v16
	v_xor_b32_e32 v17, 32, v15
	v_cmp_lt_i32_e64 s[40:41], v17, v16
	s_nop 1
	v_cndmask_b32_e64 v17, v15, v17, s[40:41]
	v_lshlrev_b32_e32 v57, 2, v17
	ds_bpermute_b32 v17, v57, v14
	s_waitcnt vmcnt(5)
	v_mad_i64_i32 v[12:13], s[40:41], v22, s45, 0
	v_lshl_add_u64 v[12:13], v[12:13], 1, v[46:47]
	global_load_dwordx4 v[22:25], v[12:13], off
	global_load_dwordx4 v[18:21], v[12:13], off offset:16
	s_waitcnt lgkmcnt(0)
	v_max_f32_e32 v17, v17, v17
	v_max_f32_e32 v14, v14, v17
	v_xor_b32_e32 v17, 16, v15
	v_cmp_lt_i32_e64 s[40:41], v17, v16
	s_nop 1
	v_cndmask_b32_e64 v15, v15, v17, s[40:41]
	v_lshlrev_b32_e32 v59, 2, v15
	ds_bpermute_b32 v15, v59, v14
	s_waitcnt vmcnt(6)
	v_mad_i64_i32 v[12:13], s[40:41], v61, s45, 0
	v_lshl_add_u64 v[12:13], v[12:13], 1, v[46:47]
	s_waitcnt lgkmcnt(0)
	v_max_f32_e32 v15, v15, v15
	v_max_f32_e32 v56, v14, v15
	v_sub_f32_e32 v10, v10, v56
	v_mul_f32_e32 v10, 0x3fb8aa3b, v10
	v_exp_f32_e32 v46, v10
	v_sub_f32_e32 v10, v11, v56
	v_mul_f32_e32 v10, 0x3fb8aa3b, v10
	v_exp_f32_e32 v47, v10
	global_load_dwordx4 v[14:17], v[12:13], off
	s_nop 0
	global_load_dwordx4 v[10:13], v[12:13], off offset:16
	v_sub_f32_e32 v52, v52, v56
	v_mul_f32_e32 v52, 0x3fb8aa3b, v52
	v_sub_f32_e32 v53, v53, v56
	v_exp_f32_e32 v52, v52
	v_mul_f32_e32 v53, 0x3fb8aa3b, v53
	v_sub_f32_e32 v50, v50, v56
	v_exp_f32_e32 v53, v53
	v_mul_f32_e32 v50, 0x3fb8aa3b, v50
	v_sub_f32_e32 v51, v51, v56
	v_cndmask_b32_e64 v46, 0, v46, s[4:5]
	v_exp_f32_e32 v50, v50
	v_mul_f32_e32 v51, 0x3fb8aa3b, v51
	v_sub_f32_e32 v48, v48, v56
	v_add_f32_e32 v58, 0, v46
	v_cndmask_b32_e64 v47, 0, v47, s[34:35]
	v_exp_f32_e32 v51, v51
	v_mul_f32_e32 v48, 0x3fb8aa3b, v48
	v_sub_f32_e32 v49, v49, v56
	v_add_f32_e32 v58, v58, v47
	;; [unrolled: 5-line block ×10, first 2 shown]
	v_cndmask_b32_e64 v38, 0, v38, s[12:13]
	v_exp_f32_e32 v34, v34
	v_mul_f32_e32 v35, 0x3fb8aa3b, v35
	v_add_f32_e32 v58, v58, v38
	v_cndmask_b32_e64 v39, 0, v39, s[14:15]
	v_exp_f32_e32 v35, v35
	v_add_f32_e32 v58, v58, v39
	v_cndmask_b32_e64 v36, 0, v36, s[8:9]
	v_add_f32_e32 v58, v58, v36
	v_cndmask_b32_e64 v37, 0, v37, s[10:11]
	v_add_f32_e32 v58, v58, v37
	v_cndmask_b32_e32 v34, 0, v34, vcc
	v_add_f32_e32 v58, v58, v34
	v_cndmask_b32_e64 v35, 0, v35, s[6:7]
	v_add_f32_e32 v58, v58, v35
	ds_bpermute_b32 v57, v57, v58
	s_load_dword s7, s[0:1], 0x98
	v_cmp_gt_u32_e32 vcc, 16, v55
	s_waitcnt lgkmcnt(0)
	s_barrier
	v_add_f32_e32 v58, v58, v57
	ds_bpermute_b32 v59, v59, v58
	v_lshlrev_b32_e32 v57, 2, v44
	s_waitcnt lgkmcnt(0)
	s_and_saveexec_b64 s[4:5], vcc
	s_cbranch_execz .LBB397_15
; %bb.14:
	v_add_f32_e32 v55, v58, v59
	v_lshl_or_b32 v58, v45, 6, v57
	ds_write2st64_b32 v58, v56, v55 offset1:1
.LBB397_15:
	s_or_b64 exec, exec, s[4:5]
	s_load_dword s6, s[0:1], 0x94
	s_waitcnt lgkmcnt(0)
	s_barrier
	ds_read2_b32 v[58:59], v57 offset1:16
	ds_read2_b32 v[60:61], v57 offset0:32 offset1:48
	ds_read2_b32 v[62:63], v57 offset0:64 offset1:80
	s_movk_i32 s8, 0x7fff
	s_mov_b32 s9, 0x7060302
	s_waitcnt lgkmcnt(2)
	v_max3_f32 v55, v58, s33, v59
	s_waitcnt lgkmcnt(1)
	v_max3_f32 v55, v55, v60, v61
	v_sub_f32_e32 v56, v58, v55
	v_mul_f32_e32 v56, 0x3fb8aa3b, v56
	v_exp_f32_e32 v64, v56
	v_sub_f32_e32 v56, v59, v55
	v_mul_f32_e32 v56, 0x3fb8aa3b, v56
	v_exp_f32_e32 v65, v56
	;; [unrolled: 3-line block ×3, first 2 shown]
	ds_read2_b32 v[58:59], v57 offset0:96 offset1:112
	v_sub_f32_e32 v56, v61, v55
	v_mul_f32_e32 v56, 0x3fb8aa3b, v56
	v_exp_f32_e32 v57, v56
	s_waitcnt lgkmcnt(1)
	v_fma_f32 v56, v64, v62, 0
	v_fmac_f32_e32 v56, v65, v63
	s_waitcnt lgkmcnt(0)
	v_fmac_f32_e32 v56, v60, v58
	v_fmac_f32_e32 v56, v57, v59
	v_add_f32_e32 v58, 0x358637bd, v56
	v_div_scale_f32 v59, s[4:5], v58, v58, 1.0
	v_rcp_f32_e32 v61, v59
	s_mul_i32 s7, s7, 14
	s_barrier
	v_fma_f32 v62, -v59, v61, 1.0
	v_fmac_f32_e32 v61, v62, v61
	v_div_scale_f32 v62, vcc, 1.0, v58, 1.0
	v_mul_f32_e32 v63, v62, v61
	v_fma_f32 v66, -v59, v63, v62
	v_fmac_f32_e32 v63, v66, v61
	v_fma_f32 v59, -v59, v63, v62
	v_div_fmas_f32 v59, v59, v61, v63
	v_cmp_eq_u32_e32 vcc, 1, v45
	v_div_fixup_f32 v58, v59, v58, 1.0
	s_nop 0
	v_cndmask_b32_e32 v59, v64, v65, vcc
	v_cmp_eq_u32_e32 vcc, 2, v45
	s_nop 1
	v_cndmask_b32_e32 v59, v59, v60, vcc
	v_cmp_eq_u32_e32 vcc, 3, v45
	v_lshlrev_b32_e32 v45, 11, v45
	s_nop 0
	v_cndmask_b32_e32 v57, v59, v57, vcc
	v_mul_f32_e32 v58, v57, v58
	v_pk_mul_f32 v[46:47], v[58:59], v[46:47] op_sel_hi:[0,1]
	v_pk_mul_f32 v[52:53], v[58:59], v[52:53] op_sel_hi:[0,1]
	v_bfe_u32 v57, v47, 16, 1
	v_bfe_u32 v59, v46, 16, 1
	v_add3_u32 v46, v46, v59, s8
	v_add3_u32 v47, v47, v57, s8
	v_perm_b32 v60, v47, v46, s9
	v_bfe_u32 v46, v53, 16, 1
	v_bfe_u32 v47, v52, 16, 1
	v_add3_u32 v47, v52, v47, s8
	v_add3_u32 v46, v53, v46, s8
	v_perm_b32 v61, v46, v47, s9
	v_lshlrev_b32_e32 v46, 3, v54
	v_pk_mul_f32 v[50:51], v[58:59], v[50:51] op_sel_hi:[0,1]
	v_or3_b32 v46, v45, v43, v46
	v_bfe_u32 v45, v51, 16, 1
	v_bfe_u32 v47, v50, 16, 1
	v_pk_mul_f32 v[48:49], v[58:59], v[48:49] op_sel_hi:[0,1]
	v_add3_u32 v47, v50, v47, s8
	v_add3_u32 v45, v51, v45, s8
	v_perm_b32 v50, v45, v47, s9
	v_bfe_u32 v45, v49, 16, 1
	v_bfe_u32 v47, v48, 16, 1
	v_add3_u32 v47, v48, v47, s8
	v_add3_u32 v45, v49, v45, s8
	v_pk_mul_f32 v[40:41], v[58:59], v[40:41] op_sel_hi:[0,1]
	v_perm_b32 v51, v45, v47, s9
	v_bfe_u32 v45, v41, 16, 1
	v_bfe_u32 v47, v40, 16, 1
	v_pk_mul_f32 v[38:39], v[58:59], v[38:39] op_sel_hi:[0,1]
	v_add3_u32 v40, v40, v47, s8
	v_add3_u32 v41, v41, v45, s8
	v_perm_b32 v40, v41, v40, s9
	v_bfe_u32 v41, v39, 16, 1
	v_bfe_u32 v45, v38, 16, 1
	v_add3_u32 v38, v38, v45, s8
	v_add3_u32 v39, v39, v41, s8
	v_pk_mul_f32 v[36:37], v[58:59], v[36:37] op_sel_hi:[0,1]
	v_perm_b32 v41, v39, v38, s9
	v_bfe_u32 v38, v37, 16, 1
	v_bfe_u32 v39, v36, 16, 1
	v_pk_mul_f32 v[34:35], v[58:59], v[34:35] op_sel_hi:[0,1]
	v_add3_u32 v36, v36, v39, s8
	v_add3_u32 v37, v37, v38, s8
	v_perm_b32 v36, v37, v36, s9
	v_bfe_u32 v37, v35, 16, 1
	v_bfe_u32 v38, v34, 16, 1
	v_add3_u32 v34, v34, v38, s8
	v_add3_u32 v35, v35, v37, s8
	v_perm_b32 v37, v35, v34, s9
	v_cmp_gt_u32_e32 vcc, 14, v0
	ds_write2st64_b64 v46, v[60:61], v[50:51] offset1:1
	ds_write2st64_b64 v46, v[40:41], v[36:37] offset0:2 offset1:3
	s_and_saveexec_b64 s[4:5], vcc
	s_cbranch_execz .LBB397_17
; %bb.16:
	s_mov_b32 s43, 0
	v_mov_b32_e32 v45, 0
	v_lshl_add_u64 v[34:35], s[42:43], 0, v[44:45]
	v_mov_b32_e32 v36, s7
	v_mad_u64_u32 v[34:35], s[10:11], s2, v36, v[34:35]
	s_mul_i32 s3, s3, s7
	v_mov_b32_e32 v44, s28
	s_load_dwordx4 s[12:15], s[0:1], 0x58
	v_add_u32_e32 v37, s3, v35
	v_mad_u64_u32 v[34:35], s[10:11], v34, s6, v[44:45]
	v_mov_b32_e32 v36, v35
	v_mad_u64_u32 v[36:37], s[10:11], v37, s6, v[36:37]
	v_mov_b32_e32 v35, v36
	v_lshlrev_b64 v[34:35], 2, v[34:35]
	s_waitcnt lgkmcnt(0)
	v_lshl_add_u64 v[36:37], s[14:15], 0, v[34:35]
	v_lshl_add_u64 v[34:35], s[12:13], 0, v[34:35]
	global_store_dword v[36:37], v55, off
	global_store_dword v[34:35], v56, off
.LBB397_17:
	s_or_b64 exec, exec, s[4:5]
	v_lshl_or_b32 v43, v54, 9, v43
	s_waitcnt lgkmcnt(0)
	s_barrier
	ds_read_b128 v[34:37], v43
	ds_read_b128 v[38:41], v43 offset:16
	s_waitcnt vmcnt(7) lgkmcnt(1)
	v_mfma_f32_16x16x16_bf16 v[48:51], v[6:7], v[34:35], 0
	v_cmp_gt_u32_e32 vcc, 64, v0
	s_mov_b32 s3, 0
	s_and_b64 s[4:5], vcc, s[30:31]
	v_mfma_f32_16x16x16_bf16 v[6:9], v[8:9], v[36:37], v[48:51]
	s_waitcnt vmcnt(6) lgkmcnt(0)
	v_mfma_f32_16x16x16_bf16 v[6:9], v[2:3], v[38:39], v[6:9]
	v_mfma_f32_16x16x16_bf16 v[2:5], v[4:5], v[40:41], v[6:9]
	s_nop 5
	ds_read_b128 v[6:9], v43 offset:2048
	ds_read_b128 v[34:37], v43 offset:2064
	s_waitcnt vmcnt(5) lgkmcnt(1)
	v_mfma_f32_16x16x16_bf16 v[2:5], v[30:31], v[6:7], v[2:5]
	v_mfma_f32_16x16x16_bf16 v[2:5], v[32:33], v[8:9], v[2:5]
	s_waitcnt vmcnt(4) lgkmcnt(0)
	v_mfma_f32_16x16x16_bf16 v[2:5], v[26:27], v[34:35], v[2:5]
	v_mfma_f32_16x16x16_bf16 v[2:5], v[28:29], v[36:37], v[2:5]
	ds_read_b128 v[6:9], v43 offset:4096
	ds_read_b128 v[26:29], v43 offset:4112
	s_waitcnt vmcnt(3) lgkmcnt(1)
	v_mfma_f32_16x16x16_bf16 v[2:5], v[22:23], v[6:7], v[2:5]
	v_mfma_f32_16x16x16_bf16 v[2:5], v[24:25], v[8:9], v[2:5]
	s_waitcnt vmcnt(2) lgkmcnt(0)
	v_mfma_f32_16x16x16_bf16 v[2:5], v[18:19], v[26:27], v[2:5]
	v_mfma_f32_16x16x16_bf16 v[2:5], v[20:21], v[28:29], v[2:5]
	ds_read_b128 v[6:9], v43 offset:6144
	ds_read_b128 v[18:21], v43 offset:6160
	v_mov_b32_e32 v43, 0
	s_waitcnt vmcnt(1) lgkmcnt(0)
	v_mfma_f32_16x16x16_bf16 v[2:5], v[14:15], v[6:7], v[2:5]
	s_barrier
	v_mfma_f32_16x16x16_bf16 v[2:5], v[16:17], v[8:9], v[2:5]
	s_waitcnt vmcnt(0)
	v_mfma_f32_16x16x16_bf16 v[2:5], v[10:11], v[18:19], v[2:5]
	v_mfma_f32_16x16x16_bf16 v[2:5], v[12:13], v[20:21], v[2:5]
	s_nop 6
	v_bfe_u32 v6, v3, 16, 1
	v_bfe_u32 v7, v2, 16, 1
	;; [unrolled: 1-line block ×4, first 2 shown]
	v_add3_u32 v2, v2, v7, s8
	v_add3_u32 v3, v3, v6, s8
	;; [unrolled: 1-line block ×4, first 2 shown]
	v_perm_b32 v2, v3, v2, s9
	v_perm_b32 v3, v5, v4, s9
	ds_write_b64 v46, v[2:3]
	s_waitcnt lgkmcnt(0)
	s_barrier
	s_and_saveexec_b64 s[8:9], s[4:5]
	s_cbranch_execz .LBB397_20
; %bb.18:
	s_load_dwordx2 s[4:5], s[0:1], 0x68
	s_lshl_b32 s0, s6, 6
	s_mul_i32 s1, s7, s2
	s_mul_hi_u32 s7, s1, s0
	s_mul_i32 s6, s1, s0
	v_lshlrev_b32_e32 v0, 10, v0
	s_lshl_b64 s[6:7], s[6:7], 1
	v_and_b32_e32 v0, 0x1800, v0
	v_lshlrev_b32_e32 v2, 5, v54
	v_and_b32_e32 v1, 16, v1
	s_waitcnt lgkmcnt(0)
	s_add_u32 s1, s4, s6
	v_or3_b32 v2, v0, v2, v1
	s_addc_u32 s4, s5, s7
	s_lshl_b32 s2, s28, 6
	ds_read_b128 v[4:7], v2 offset:256
	s_lshl_b64 s[2:3], s[2:3], 1
	ds_read_b128 v[8:11], v2 offset:128
	ds_read_b128 v[12:15], v2
	s_add_u32 s2, s1, s2
	s_addc_u32 s3, s4, s3
	v_add_u32_e32 v18, s42, v54
	v_lshl_add_u64 v[0:1], s[2:3], 0, v[42:43]
	v_mad_u64_u32 v[16:17], s[2:3], v18, s0, 0
	v_lshl_add_u64 v[16:17], v[16:17], 1, v[0:1]
	s_waitcnt lgkmcnt(0)
	global_store_dwordx4 v[16:17], v[12:15], off
	v_or_b32_e32 v3, 12, v54
	v_cmp_gt_u32_e32 vcc, 14, v3
	v_add_u32_e32 v12, 4, v18
	v_mad_u64_u32 v[12:13], s[2:3], v12, s0, 0
	v_lshl_add_u64 v[12:13], v[12:13], 1, v[0:1]
	global_store_dwordx4 v[12:13], v[8:11], off
	s_nop 1
	v_add_u32_e32 v8, 8, v18
	v_mad_u64_u32 v[8:9], s[2:3], v8, s0, 0
	v_lshl_add_u64 v[8:9], v[8:9], 1, v[0:1]
	global_store_dwordx4 v[8:9], v[4:7], off
	s_and_b64 exec, exec, vcc
	s_cbranch_execz .LBB397_20
; %bb.19:
	ds_read_b128 v[4:7], v2 offset:384
	v_add_u32_e32 v2, s42, v3
	v_mad_u64_u32 v[2:3], s[0:1], v2, s0, 0
	v_lshl_add_u64 v[0:1], v[2:3], 1, v[0:1]
	s_waitcnt lgkmcnt(0)
	global_store_dwordx4 v[0:1], v[4:7], off
.LBB397_20:
	s_endpgm
	.section	.rodata,"a",@progbits
	.p2align	6, 0x0
	.amdhsa_kernel _Z39paged_attention_ll4mi_QKV_mfma16_kernelI14__hip_bfloat16S0_LN4vllm18Fp8KVCacheDataTypeE0EhLi16ELi64ELi256ELb1ELi14EEvPKT_PKT0_S8_ifPKiSA_SA_iPKfiiiPfSD_PS3_PT2_iSC_SC_
		.amdhsa_group_segment_fixed_size 8192
		.amdhsa_private_segment_fixed_size 0
		.amdhsa_kernarg_size 400
		.amdhsa_user_sgpr_count 2
		.amdhsa_user_sgpr_dispatch_ptr 0
		.amdhsa_user_sgpr_queue_ptr 0
		.amdhsa_user_sgpr_kernarg_segment_ptr 1
		.amdhsa_user_sgpr_dispatch_id 0
		.amdhsa_user_sgpr_kernarg_preload_length 0
		.amdhsa_user_sgpr_kernarg_preload_offset 0
		.amdhsa_user_sgpr_private_segment_size 0
		.amdhsa_uses_dynamic_stack 0
		.amdhsa_enable_private_segment 0
		.amdhsa_system_sgpr_workgroup_id_x 1
		.amdhsa_system_sgpr_workgroup_id_y 1
		.amdhsa_system_sgpr_workgroup_id_z 1
		.amdhsa_system_sgpr_workgroup_info 0
		.amdhsa_system_vgpr_workitem_id 0
		.amdhsa_next_free_vgpr 72
		.amdhsa_next_free_sgpr 48
		.amdhsa_accum_offset 72
		.amdhsa_reserve_vcc 1
		.amdhsa_float_round_mode_32 0
		.amdhsa_float_round_mode_16_64 0
		.amdhsa_float_denorm_mode_32 3
		.amdhsa_float_denorm_mode_16_64 3
		.amdhsa_dx10_clamp 1
		.amdhsa_ieee_mode 1
		.amdhsa_fp16_overflow 0
		.amdhsa_tg_split 0
		.amdhsa_exception_fp_ieee_invalid_op 0
		.amdhsa_exception_fp_denorm_src 0
		.amdhsa_exception_fp_ieee_div_zero 0
		.amdhsa_exception_fp_ieee_overflow 0
		.amdhsa_exception_fp_ieee_underflow 0
		.amdhsa_exception_fp_ieee_inexact 0
		.amdhsa_exception_int_div_zero 0
	.end_amdhsa_kernel
	.section	.text._Z39paged_attention_ll4mi_QKV_mfma16_kernelI14__hip_bfloat16S0_LN4vllm18Fp8KVCacheDataTypeE0EhLi16ELi64ELi256ELb1ELi14EEvPKT_PKT0_S8_ifPKiSA_SA_iPKfiiiPfSD_PS3_PT2_iSC_SC_,"axG",@progbits,_Z39paged_attention_ll4mi_QKV_mfma16_kernelI14__hip_bfloat16S0_LN4vllm18Fp8KVCacheDataTypeE0EhLi16ELi64ELi256ELb1ELi14EEvPKT_PKT0_S8_ifPKiSA_SA_iPKfiiiPfSD_PS3_PT2_iSC_SC_,comdat
.Lfunc_end397:
	.size	_Z39paged_attention_ll4mi_QKV_mfma16_kernelI14__hip_bfloat16S0_LN4vllm18Fp8KVCacheDataTypeE0EhLi16ELi64ELi256ELb1ELi14EEvPKT_PKT0_S8_ifPKiSA_SA_iPKfiiiPfSD_PS3_PT2_iSC_SC_, .Lfunc_end397-_Z39paged_attention_ll4mi_QKV_mfma16_kernelI14__hip_bfloat16S0_LN4vllm18Fp8KVCacheDataTypeE0EhLi16ELi64ELi256ELb1ELi14EEvPKT_PKT0_S8_ifPKiSA_SA_iPKfiiiPfSD_PS3_PT2_iSC_SC_
                                        ; -- End function
	.section	.AMDGPU.csdata,"",@progbits
; Kernel info:
; codeLenInByte = 4372
; NumSgprs: 54
; NumVgprs: 72
; NumAgprs: 0
; TotalNumVgprs: 72
; ScratchSize: 0
; MemoryBound: 0
; FloatMode: 240
; IeeeMode: 1
; LDSByteSize: 8192 bytes/workgroup (compile time only)
; SGPRBlocks: 6
; VGPRBlocks: 8
; NumSGPRsForWavesPerEU: 54
; NumVGPRsForWavesPerEU: 72
; AccumOffset: 72
; Occupancy: 7
; WaveLimiterHint : 1
; COMPUTE_PGM_RSRC2:SCRATCH_EN: 0
; COMPUTE_PGM_RSRC2:USER_SGPR: 2
; COMPUTE_PGM_RSRC2:TRAP_HANDLER: 0
; COMPUTE_PGM_RSRC2:TGID_X_EN: 1
; COMPUTE_PGM_RSRC2:TGID_Y_EN: 1
; COMPUTE_PGM_RSRC2:TGID_Z_EN: 1
; COMPUTE_PGM_RSRC2:TIDIG_COMP_CNT: 0
; COMPUTE_PGM_RSRC3_GFX90A:ACCUM_OFFSET: 17
; COMPUTE_PGM_RSRC3_GFX90A:TG_SPLIT: 0
	.section	.text._Z39paged_attention_ll4mi_QKV_mfma16_kernelI14__hip_bfloat16S0_LN4vllm18Fp8KVCacheDataTypeE0EhLi16ELi64ELi256ELb1ELi15EEvPKT_PKT0_S8_ifPKiSA_SA_iPKfiiiPfSD_PS3_PT2_iSC_SC_,"axG",@progbits,_Z39paged_attention_ll4mi_QKV_mfma16_kernelI14__hip_bfloat16S0_LN4vllm18Fp8KVCacheDataTypeE0EhLi16ELi64ELi256ELb1ELi15EEvPKT_PKT0_S8_ifPKiSA_SA_iPKfiiiPfSD_PS3_PT2_iSC_SC_,comdat
	.protected	_Z39paged_attention_ll4mi_QKV_mfma16_kernelI14__hip_bfloat16S0_LN4vllm18Fp8KVCacheDataTypeE0EhLi16ELi64ELi256ELb1ELi15EEvPKT_PKT0_S8_ifPKiSA_SA_iPKfiiiPfSD_PS3_PT2_iSC_SC_ ; -- Begin function _Z39paged_attention_ll4mi_QKV_mfma16_kernelI14__hip_bfloat16S0_LN4vllm18Fp8KVCacheDataTypeE0EhLi16ELi64ELi256ELb1ELi15EEvPKT_PKT0_S8_ifPKiSA_SA_iPKfiiiPfSD_PS3_PT2_iSC_SC_
	.globl	_Z39paged_attention_ll4mi_QKV_mfma16_kernelI14__hip_bfloat16S0_LN4vllm18Fp8KVCacheDataTypeE0EhLi16ELi64ELi256ELb1ELi15EEvPKT_PKT0_S8_ifPKiSA_SA_iPKfiiiPfSD_PS3_PT2_iSC_SC_
	.p2align	8
	.type	_Z39paged_attention_ll4mi_QKV_mfma16_kernelI14__hip_bfloat16S0_LN4vllm18Fp8KVCacheDataTypeE0EhLi16ELi64ELi256ELb1ELi15EEvPKT_PKT0_S8_ifPKiSA_SA_iPKfiiiPfSD_PS3_PT2_iSC_SC_,@function
_Z39paged_attention_ll4mi_QKV_mfma16_kernelI14__hip_bfloat16S0_LN4vllm18Fp8KVCacheDataTypeE0EhLi16ELi64ELi256ELb1ELi15EEvPKT_PKT0_S8_ifPKiSA_SA_iPKfiiiPfSD_PS3_PT2_iSC_SC_: ; @_Z39paged_attention_ll4mi_QKV_mfma16_kernelI14__hip_bfloat16S0_LN4vllm18Fp8KVCacheDataTypeE0EhLi16ELi64ELi256ELb1ELi15EEvPKT_PKT0_S8_ifPKiSA_SA_iPKfiiiPfSD_PS3_PT2_iSC_SC_
; %bb.0:
	s_load_dwordx2 s[8:9], s[0:1], 0x30
	s_mov_b32 s28, s3
	s_mov_b64 s[6:7], 0
	s_waitcnt lgkmcnt(0)
	s_cmp_lg_u64 s[8:9], 0
	s_cselect_b64 s[10:11], -1, 0
	s_and_b64 vcc, exec, s[10:11]
	s_cbranch_vccz .LBB398_7
; %bb.1:
	s_add_i32 s12, s2, 1
	s_mov_b32 s13, 0
	s_lshl_b64 s[14:15], s[12:13], 2
	s_add_u32 s14, s8, s14
	s_mov_b32 s3, s13
	s_addc_u32 s15, s9, s15
	s_lshl_b64 s[12:13], s[2:3], 2
	s_add_u32 s12, s8, s12
	s_addc_u32 s13, s9, s13
	s_load_dword s5, s[14:15], 0x0
	s_load_dword s16, s[12:13], 0x0
	s_waitcnt lgkmcnt(0)
	s_sub_i32 s5, s5, s16
	s_cmp_eq_u32 s5, 1
	s_cselect_b64 s[12:13], -1, 0
	s_andn2_b64 vcc, exec, s[6:7]
	s_cbranch_vccnz .LBB398_3
.LBB398_2:
	s_mov_b32 s3, 0
	s_mov_b64 s[12:13], -1
.LBB398_3:
	s_andn2_b64 vcc, exec, s[12:13]
	s_cbranch_vccnz .LBB398_20
; %bb.4:
	s_load_dwordx2 s[6:7], s[0:1], 0x28
	s_lshl_b64 s[12:13], s[2:3], 2
	s_waitcnt lgkmcnt(0)
	s_add_u32 s6, s6, s12
	s_addc_u32 s7, s7, s13
	s_load_dword s29, s[6:7], 0x0
	s_lshl_b32 s16, s28, 8
	s_waitcnt lgkmcnt(0)
	s_cmp_ge_i32 s16, s29
	s_cbranch_scc1 .LBB398_20
; %bb.5:
	s_load_dwordx2 s[6:7], s[0:1], 0x20
	s_load_dword s5, s[0:1], 0x38
	s_add_i32 s14, s29, 15
	s_ashr_i32 s15, s14, 31
	v_and_b32_e32 v1, 0xcf, v0
	s_lshr_b32 s15, s15, 28
	v_add_u32_e32 v1, s16, v1
	s_add_i32 s14, s14, s15
	v_ashrrev_i32_e32 v2, 31, v1
	s_ashr_i32 s17, s14, 4
	v_lshrrev_b32_e32 v6, 28, v2
	s_add_i32 s17, s17, -1
	s_waitcnt lgkmcnt(0)
	s_mul_i32 s14, s2, s5
	s_mov_b32 s15, 0
	v_add_u32_e32 v2, v1, v6
	s_lshl_b64 s[14:15], s[14:15], 2
	v_ashrrev_i32_e32 v2, 4, v2
	v_mov_b32_e32 v7, s17
	v_cmp_gt_i32_e32 vcc, s29, v1
	s_add_u32 s6, s6, s14
	s_addc_u32 s7, s7, s15
	v_cndmask_b32_e32 v2, v7, v2, vcc
	v_ashrrev_i32_e32 v3, 31, v2
	v_lshl_add_u64 v[4:5], v[2:3], 2, s[6:7]
	v_or_b32_e32 v2, 16, v1
	v_add_u32_e32 v3, v2, v6
	v_ashrrev_i32_e32 v3, 4, v3
	v_cmp_gt_i32_e32 vcc, s29, v2
	s_load_dwordx2 s[14:15], s[0:1], 0x8
	s_nop 0
	v_cndmask_b32_e32 v2, v7, v3, vcc
	v_ashrrev_i32_e32 v3, 31, v2
	v_lshl_add_u64 v[8:9], v[2:3], 2, s[6:7]
	v_or_b32_e32 v2, 32, v1
	v_add_u32_e32 v3, v2, v6
	v_ashrrev_i32_e32 v3, 4, v3
	v_cmp_gt_i32_e32 vcc, s29, v2
	v_or_b32_e32 v1, 48, v1
	s_nop 0
	v_cndmask_b32_e32 v2, v7, v3, vcc
	v_ashrrev_i32_e32 v3, 31, v2
	v_lshl_add_u64 v[10:11], v[2:3], 2, s[6:7]
	v_add_u32_e32 v2, v1, v6
	v_ashrrev_i32_e32 v2, 4, v2
	v_cmp_gt_i32_e32 vcc, s29, v1
	s_nop 1
	v_cndmask_b32_e32 v2, v7, v2, vcc
	v_ashrrev_i32_e32 v3, 31, v2
	v_lshl_add_u64 v[12:13], v[2:3], 2, s[6:7]
	global_load_dword v3, v[4:5], off
	global_load_dword v2, v[8:9], off
	;; [unrolled: 1-line block ×4, first 2 shown]
	s_andn2_b64 vcc, exec, s[10:11]
	s_cbranch_vccnz .LBB398_8
; %bb.6:
	s_add_u32 s8, s8, s12
	s_addc_u32 s9, s9, s13
	s_load_dword s5, s[8:9], 0x0
	s_branch .LBB398_9
.LBB398_7:
	s_mov_b64 s[12:13], 0
	s_branch .LBB398_2
.LBB398_8:
	s_mov_b32 s5, s2
.LBB398_9:
	s_load_dwordx2 s[8:9], s[0:1], 0x10
	s_load_dwordx4 s[44:47], s[0:1], 0x48
	v_lshrrev_b32_e32 v45, 6, v0
	v_bfe_u32 v54, v0, 4, 2
	v_lshl_or_b32 v1, v45, 2, v54
	v_and_b32_e32 v44, 15, v0
	v_lshlrev_b32_e32 v4, 3, v44
	v_cmp_gt_u32_e32 vcc, 15, v1
	v_cmp_gt_u32_e64 s[30:31], 8, v44
	s_mul_i32 s42, s4, 15
	s_and_b64 s[12:13], s[30:31], vcc
	v_lshlrev_b32_e32 v42, 1, v4
	s_and_saveexec_b64 s[10:11], s[12:13]
	s_cbranch_execz .LBB398_11
; %bb.10:
	s_load_dwordx2 s[12:13], s[0:1], 0x0
	s_waitcnt lgkmcnt(0)
	s_ashr_i32 s18, s44, 31
	s_mul_hi_u32 s19, s5, s44
	s_mul_i32 s18, s5, s18
	s_add_i32 s19, s19, s18
	s_mul_i32 s18, s5, s44
	s_lshl_b64 s[18:19], s[18:19], 1
	s_add_u32 s12, s12, s18
	v_add_lshl_u32 v4, v1, s42, 6
	s_addc_u32 s13, s13, s19
	v_ashrrev_i32_e32 v5, 31, v4
	v_lshl_add_u64 v[4:5], v[4:5], 1, s[12:13]
	v_mov_b32_e32 v43, 0
	v_lshl_add_u64 v[4:5], v[4:5], 0, v[42:43]
	global_load_dwordx4 v[8:11], v[4:5], off
	v_and_b32_e32 v4, 3, v0
	v_lshlrev_b32_e32 v5, 9, v44
	v_lshlrev_b32_e32 v1, 5, v1
	;; [unrolled: 1-line block ×3, first 2 shown]
	v_and_b32_e32 v5, 0x1800, v5
	v_or3_b32 v1, v5, v4, v1
	s_waitcnt vmcnt(0)
	ds_write_b128 v1, v[8:11]
.LBB398_11:
	s_or_b64 exec, exec, s[10:11]
	s_waitcnt lgkmcnt(0)
	s_mov_b32 s5, 0
	s_mul_i32 s4, s4, s46
	s_lshl_b64 s[4:5], s[4:5], 1
	s_add_u32 s10, s14, s4
	v_lshlrev_b32_e32 v1, 4, v0
	v_mov_b32_e32 v47, 0
	s_addc_u32 s11, s15, s5
	v_and_b32_e32 v46, 0xf0, v1
	v_lshl_add_u64 v[16:17], s[10:11], 0, v[46:47]
	s_waitcnt vmcnt(3)
	v_mad_i64_i32 v[4:5], s[10:11], v3, s45, 0
	s_waitcnt vmcnt(2)
	v_mad_i64_i32 v[2:3], s[10:11], v2, s45, 0
	s_waitcnt vmcnt(1)
	v_mad_i64_i32 v[6:7], s[10:11], v6, s45, 0
	v_lshl_add_u64 v[4:5], v[4:5], 1, v[16:17]
	v_and_b32_e32 v46, 0x300, v1
	v_lshl_add_u64 v[2:3], v[2:3], 1, v[16:17]
	v_lshl_add_u64 v[6:7], v[6:7], 1, v[16:17]
	s_waitcnt vmcnt(0)
	v_mad_i64_i32 v[14:15], s[10:11], v14, s45, 0
	v_lshl_add_u64 v[4:5], v[4:5], 0, v[46:47]
	v_lshl_add_u64 v[8:9], v[2:3], 0, v[46:47]
	;; [unrolled: 1-line block ×4, first 2 shown]
	s_barrier
	global_load_dwordx4 v[30:33], v[4:5], off
	global_load_dwordx4 v[10:13], v[4:5], off offset:1024
	global_load_dwordx4 v[22:25], v[8:9], off
	s_nop 0
	global_load_dwordx4 v[2:5], v[8:9], off offset:1024
	global_load_dwordx4 v[26:29], v[18:19], off
	s_nop 0
	global_load_dwordx4 v[6:9], v[18:19], off offset:1024
	v_lshl_add_u64 v[18:19], v[14:15], 0, v[46:47]
	global_load_dwordx4 v[34:37], v[18:19], off
	global_load_dwordx4 v[14:17], v[18:19], off offset:1024
	v_cmp_ne_u32_e32 vcc, 15, v44
	v_and_b32_e32 v55, 63, v0
	v_mov_b32_e32 v56, 0
	v_cndmask_b32_e32 v18, 0, v44, vcc
	v_lshlrev_b32_e32 v18, 5, v18
	v_lshl_or_b32 v18, v54, 9, v18
	ds_read_b128 v[38:41], v18
	ds_read_b128 v[18:21], v18 offset:2048
	s_and_saveexec_b64 s[10:11], vcc
	s_cbranch_execz .LBB398_13
; %bb.12:
	s_load_dwordx2 s[12:13], s[0:1], 0x40
	v_add_u32_e32 v48, s42, v44
	v_ashrrev_i32_e32 v49, 31, v48
	s_waitcnt lgkmcnt(0)
	v_lshl_add_u64 v[48:49], v[48:49], 2, s[12:13]
	global_load_dword v56, v[48:49], off
.LBB398_13:
	s_or_b64 exec, exec, s[10:11]
	v_and_or_b32 v46, v0, 48, s16
	v_ashrrev_i32_e32 v43, 4, v46
	v_mov_b32_e32 v57, s17
	v_cmp_gt_i32_e32 vcc, s29, v46
	s_waitcnt vmcnt(5) lgkmcnt(1)
	v_mfma_f32_16x16x16_bf16 v[58:61], v[22:23], v[38:39], 0
	s_load_dword s10, s[0:1], 0x1c
	v_cndmask_b32_e32 v48, v57, v43, vcc
	v_ashrrev_i32_e32 v49, 31, v48
	v_or_b32_e32 v43, 64, v46
	v_lshl_add_u64 v[52:53], v[48:49], 2, s[6:7]
	v_mfma_f32_16x16x16_bf16 v[48:51], v[30:31], v[38:39], 0
	v_ashrrev_i32_e32 v30, 4, v43
	v_cmp_gt_i32_e32 vcc, s29, v43
	global_load_dword v70, v[52:53], off
	s_waitcnt vmcnt(4)
	v_mfma_f32_16x16x16_bf16 v[62:65], v[26:27], v[38:39], 0
	v_cndmask_b32_e32 v30, v57, v30, vcc
	v_ashrrev_i32_e32 v31, 31, v30
	v_lshl_add_u64 v[22:23], v[30:31], 2, s[6:7]
	global_load_dword v71, v[22:23], off
	v_mfma_f32_16x16x16_bf16 v[22:25], v[24:25], v[40:41], v[58:61]
	v_and_b32_e32 v26, 0xc0, v0
	s_add_u32 s4, s8, s4
	v_lshlrev_b32_e32 v43, 5, v44
	v_mfma_f32_16x16x16_bf16 v[30:33], v[32:33], v[40:41], v[48:51]
	s_addc_u32 s5, s9, s5
	s_mov_b32 s33, 0xff7fffff
	s_waitcnt vmcnt(3)
	v_mfma_f32_16x16x16_bf16 v[66:69], v[34:35], v[38:39], 0
	v_or_b32_e32 v38, 0x80, v46
	v_add_u32_e32 v48, s16, v26
	v_or_b32_e32 v39, 0xc0, v46
	v_mfma_f32_16x16x16_bf16 v[26:29], v[28:29], v[40:41], v[62:65]
	v_ashrrev_i32_e32 v49, 4, v38
	v_cmp_gt_i32_e32 vcc, s29, v38
	v_ashrrev_i32_e32 v50, 4, v39
	s_waitcnt lgkmcnt(0)
	v_mfma_f32_16x16x16_bf16 v[22:25], v[2:3], v[18:19], v[22:25]
	v_cndmask_b32_e32 v38, v57, v49, vcc
	v_cmp_gt_i32_e32 vcc, s29, v39
	v_ashrrev_i32_e32 v39, 31, v38
	v_mfma_f32_16x16x16_bf16 v[30:33], v[10:11], v[18:19], v[30:33]
	v_cndmask_b32_e32 v10, v57, v50, vcc
	v_ashrrev_i32_e32 v11, 31, v10
	v_lshl_or_b32 v58, v54, 2, v48
	v_mfma_f32_16x16x16_bf16 v[26:29], v[6:7], v[18:19], v[26:29]
	v_lshl_add_u64 v[6:7], v[38:39], 2, s[6:7]
	v_lshl_add_u64 v[38:39], v[10:11], 2, s[6:7]
	v_or_b32_e32 v57, 1, v58
	v_mfma_f32_16x16x16_bf16 v[2:5], v[4:5], v[20:21], v[22:25]
	s_nop 2
	global_load_dword v22, v[6:7], off
	global_load_dword v61, v[38:39], off
	v_subrev_u32_e32 v59, s29, v57
	v_cvt_f32_i32_e32 v60, v59
	v_mfma_f32_16x16x16_bf16 v[34:37], v[36:37], v[40:41], v[66:69]
	v_pk_mul_f32 v[48:49], s[10:11], v[4:5] op_sel_hi:[0,1]
	v_lshl_or_b32 v46, v45, 9, v43
	v_lshl_add_u64 v[46:47], s[4:5], 0, v[46:47]
	s_waitcnt vmcnt(4)
	v_mfma_f32_16x16x16_bf16 v[34:37], v[14:15], v[18:19], v[34:37]
	v_add_u32_e32 v14, 1, v59
	v_add_u32_e32 v15, 2, v59
	v_cvt_f32_i32_e32 v23, v14
	v_cvt_f32_i32_e32 v24, v15
	v_mfma_f32_16x16x16_bf16 v[14:17], v[16:17], v[20:21], v[34:37]
	v_add_u32_e32 v18, 3, v59
	v_cvt_f32_i32_e32 v18, v18
	v_pk_mul_f32 v[50:51], s[10:11], v[2:3] op_sel_hi:[0,1]
	v_mfma_f32_16x16x16_bf16 v[10:13], v[12:13], v[20:21], v[30:33]
	v_cmp_gt_i32_e64 s[34:35], s29, v57
	s_nop 1
	v_pk_mul_f32 v[36:37], s[10:11], v[14:15] op_sel_hi:[0,1]
	v_add_u32_e32 v15, 19, v59
	v_add_u32_e32 v31, 18, v59
	v_cvt_f32_i32_e32 v14, v31
	v_cvt_f32_i32_e32 v15, v15
	v_mfma_f32_16x16x16_bf16 v[6:9], v[8:9], v[20:21], v[26:29]
	v_pk_mul_f32 v[34:35], s[10:11], v[16:17] op_sel_hi:[0,1]
	v_fma_f32 v48, v56, v14, v48
	v_add_u32_e32 v14, 32, v59
	v_fmac_f32_e32 v49, v56, v15
	v_cvt_f32_i32_e32 v14, v14
	v_add_u32_e32 v15, 33, v59
	v_add_u32_e32 v16, 34, v59
	v_cvt_f32_i32_e32 v15, v15
	v_cvt_f32_i32_e32 v16, v16
	v_add_u32_e32 v17, 35, v59
	v_cvt_f32_i32_e32 v17, v17
	v_pk_mul_f32 v[40:41], s[10:11], v[6:7] op_sel_hi:[0,1]
	v_pk_mul_f32 v[38:39], s[10:11], v[8:9] op_sel_hi:[0,1]
	v_fma_f32 v40, v56, v14, v40
	v_add_u32_e32 v14, 48, v59
	v_fmac_f32_e32 v41, v56, v15
	v_fma_f32 v38, v56, v16, v38
	v_cvt_f32_i32_e32 v14, v14
	v_add_u32_e32 v15, 49, v59
	v_add_u32_e32 v16, 50, v59
	v_fmac_f32_e32 v39, v56, v17
	v_cvt_f32_i32_e32 v15, v15
	v_cvt_f32_i32_e32 v16, v16
	v_add_u32_e32 v17, 51, v59
	v_cvt_f32_i32_e32 v17, v17
	v_pk_mul_f32 v[52:53], s[10:11], v[12:13] op_sel_hi:[0,1]
	v_pk_mul_f32 v[10:11], s[10:11], v[10:11] op_sel_hi:[0,1]
	s_waitcnt vmcnt(3)
	v_mad_i64_i32 v[2:3], s[4:5], v70, s45, 0
	s_waitcnt vmcnt(2)
	v_mad_i64_i32 v[12:13], s[4:5], v71, s45, 0
	v_fma_f32 v10, v56, v60, v10
	v_fmac_f32_e32 v11, v56, v23
	v_fma_f32 v36, v56, v14, v36
	v_mov_b32_e32 v14, 0xff7fffff
	v_cmp_gt_i32_e64 s[4:5], s29, v58
	v_add_u32_e32 v19, 16, v59
	v_add_u32_e32 v30, 17, v59
	v_fmac_f32_e32 v37, v56, v15
	v_fma_f32 v34, v56, v16, v34
	v_cndmask_b32_e64 v15, v14, v10, s[4:5]
	v_cndmask_b32_e64 v16, v14, v11, s[34:35]
	v_cvt_f32_i32_e32 v19, v19
	v_cvt_f32_i32_e32 v25, v30
	v_fmac_f32_e32 v35, v56, v17
	v_max3_f32 v15, v15, s33, v16
	v_or_b32_e32 v16, 2, v58
	v_or_b32_e32 v17, 3, v58
	v_fma_f32 v52, v56, v24, v52
	v_fmac_f32_e32 v53, v56, v18
	v_cmp_gt_i32_e64 s[36:37], s29, v16
	v_cmp_gt_i32_e64 s[38:39], s29, v17
	v_fma_f32 v50, v56, v19, v50
	v_cndmask_b32_e64 v16, v14, v52, s[36:37]
	v_cndmask_b32_e64 v17, v14, v53, s[38:39]
	v_max3_f32 v15, v15, v16, v17
	v_or_b32_e32 v16, 16, v58
	v_or_b32_e32 v17, 17, v58
	v_fmac_f32_e32 v51, v56, v25
	v_cmp_gt_i32_e64 s[24:25], s29, v16
	v_cmp_gt_i32_e64 s[26:27], s29, v17
	v_lshl_add_u64 v[2:3], v[2:3], 1, v[46:47]
	v_cndmask_b32_e64 v16, v14, v50, s[24:25]
	v_cndmask_b32_e64 v17, v14, v51, s[26:27]
	v_max3_f32 v15, v15, v16, v17
	v_or_b32_e32 v16, 18, v58
	v_or_b32_e32 v17, 19, v58
	v_cmp_gt_i32_e64 s[20:21], s29, v16
	v_cmp_gt_i32_e64 s[22:23], s29, v17
	v_lshl_add_u64 v[12:13], v[12:13], 1, v[46:47]
	v_cndmask_b32_e64 v16, v14, v48, s[20:21]
	v_cndmask_b32_e64 v17, v14, v49, s[22:23]
	v_max3_f32 v15, v15, v16, v17
	v_or_b32_e32 v16, 32, v58
	v_or_b32_e32 v17, 33, v58
	v_cmp_gt_i32_e64 s[16:17], s29, v16
	v_cmp_gt_i32_e64 s[18:19], s29, v17
	global_load_dwordx4 v[6:9], v[2:3], off
	s_nop 0
	global_load_dwordx4 v[2:5], v[2:3], off offset:16
	v_cndmask_b32_e64 v16, v14, v40, s[16:17]
	v_cndmask_b32_e64 v17, v14, v41, s[18:19]
	v_max3_f32 v15, v15, v16, v17
	v_or_b32_e32 v16, 34, v58
	v_or_b32_e32 v17, 35, v58
	v_cmp_gt_i32_e64 s[12:13], s29, v16
	v_cmp_gt_i32_e64 s[14:15], s29, v17
	global_load_dwordx4 v[30:33], v[12:13], off
	global_load_dwordx4 v[26:29], v[12:13], off offset:16
	v_cndmask_b32_e64 v16, v14, v38, s[12:13]
	v_cndmask_b32_e64 v17, v14, v39, s[14:15]
	v_max3_f32 v15, v15, v16, v17
	v_or_b32_e32 v16, 48, v58
	v_or_b32_e32 v17, 49, v58
	v_cmp_gt_i32_e64 s[8:9], s29, v16
	v_cmp_gt_i32_e64 s[10:11], s29, v17
	s_nop 0
	v_cndmask_b32_e64 v16, v14, v36, s[8:9]
	v_cndmask_b32_e64 v17, v14, v37, s[10:11]
	v_max3_f32 v15, v15, v16, v17
	v_or_b32_e32 v16, 50, v58
	v_or_b32_e32 v17, 51, v58
	v_cmp_gt_i32_e32 vcc, s29, v16
	v_cmp_gt_i32_e64 s[6:7], s29, v17
	s_nop 0
	v_cndmask_b32_e32 v16, v14, v34, vcc
	v_cndmask_b32_e64 v14, v14, v35, s[6:7]
	v_max3_f32 v14, v15, v16, v14
	v_mbcnt_lo_u32_b32 v15, -1, 0
	v_mbcnt_hi_u32_b32 v15, -1, v15
	v_and_b32_e32 v16, 64, v15
	v_add_u32_e32 v16, 64, v16
	v_xor_b32_e32 v17, 32, v15
	v_cmp_lt_i32_e64 s[40:41], v17, v16
	s_nop 1
	v_cndmask_b32_e64 v17, v15, v17, s[40:41]
	v_lshlrev_b32_e32 v57, 2, v17
	ds_bpermute_b32 v17, v57, v14
	s_waitcnt vmcnt(5)
	v_mad_i64_i32 v[12:13], s[40:41], v22, s45, 0
	v_lshl_add_u64 v[12:13], v[12:13], 1, v[46:47]
	global_load_dwordx4 v[22:25], v[12:13], off
	global_load_dwordx4 v[18:21], v[12:13], off offset:16
	s_waitcnt lgkmcnt(0)
	v_max_f32_e32 v17, v17, v17
	v_max_f32_e32 v14, v14, v17
	v_xor_b32_e32 v17, 16, v15
	v_cmp_lt_i32_e64 s[40:41], v17, v16
	s_nop 1
	v_cndmask_b32_e64 v15, v15, v17, s[40:41]
	v_lshlrev_b32_e32 v59, 2, v15
	ds_bpermute_b32 v15, v59, v14
	s_waitcnt vmcnt(6)
	v_mad_i64_i32 v[12:13], s[40:41], v61, s45, 0
	v_lshl_add_u64 v[12:13], v[12:13], 1, v[46:47]
	s_waitcnt lgkmcnt(0)
	v_max_f32_e32 v15, v15, v15
	v_max_f32_e32 v56, v14, v15
	v_sub_f32_e32 v10, v10, v56
	v_mul_f32_e32 v10, 0x3fb8aa3b, v10
	v_exp_f32_e32 v46, v10
	v_sub_f32_e32 v10, v11, v56
	v_mul_f32_e32 v10, 0x3fb8aa3b, v10
	v_exp_f32_e32 v47, v10
	global_load_dwordx4 v[14:17], v[12:13], off
	s_nop 0
	global_load_dwordx4 v[10:13], v[12:13], off offset:16
	v_sub_f32_e32 v52, v52, v56
	v_mul_f32_e32 v52, 0x3fb8aa3b, v52
	v_sub_f32_e32 v53, v53, v56
	v_exp_f32_e32 v52, v52
	v_mul_f32_e32 v53, 0x3fb8aa3b, v53
	v_sub_f32_e32 v50, v50, v56
	v_exp_f32_e32 v53, v53
	v_mul_f32_e32 v50, 0x3fb8aa3b, v50
	v_sub_f32_e32 v51, v51, v56
	v_cndmask_b32_e64 v46, 0, v46, s[4:5]
	v_exp_f32_e32 v50, v50
	v_mul_f32_e32 v51, 0x3fb8aa3b, v51
	v_sub_f32_e32 v48, v48, v56
	v_add_f32_e32 v58, 0, v46
	v_cndmask_b32_e64 v47, 0, v47, s[34:35]
	v_exp_f32_e32 v51, v51
	v_mul_f32_e32 v48, 0x3fb8aa3b, v48
	v_sub_f32_e32 v49, v49, v56
	v_add_f32_e32 v58, v58, v47
	;; [unrolled: 5-line block ×10, first 2 shown]
	v_cndmask_b32_e64 v38, 0, v38, s[12:13]
	v_exp_f32_e32 v34, v34
	v_mul_f32_e32 v35, 0x3fb8aa3b, v35
	v_add_f32_e32 v58, v58, v38
	v_cndmask_b32_e64 v39, 0, v39, s[14:15]
	v_exp_f32_e32 v35, v35
	v_add_f32_e32 v58, v58, v39
	v_cndmask_b32_e64 v36, 0, v36, s[8:9]
	v_add_f32_e32 v58, v58, v36
	v_cndmask_b32_e64 v37, 0, v37, s[10:11]
	v_add_f32_e32 v58, v58, v37
	v_cndmask_b32_e32 v34, 0, v34, vcc
	v_add_f32_e32 v58, v58, v34
	v_cndmask_b32_e64 v35, 0, v35, s[6:7]
	v_add_f32_e32 v58, v58, v35
	ds_bpermute_b32 v57, v57, v58
	s_load_dword s7, s[0:1], 0x98
	v_cmp_gt_u32_e32 vcc, 16, v55
	s_waitcnt lgkmcnt(0)
	s_barrier
	v_add_f32_e32 v58, v58, v57
	ds_bpermute_b32 v59, v59, v58
	v_lshlrev_b32_e32 v57, 2, v44
	s_waitcnt lgkmcnt(0)
	s_and_saveexec_b64 s[4:5], vcc
	s_cbranch_execz .LBB398_15
; %bb.14:
	v_add_f32_e32 v55, v58, v59
	v_lshl_or_b32 v58, v45, 6, v57
	ds_write2st64_b32 v58, v56, v55 offset1:1
.LBB398_15:
	s_or_b64 exec, exec, s[4:5]
	s_load_dword s6, s[0:1], 0x94
	s_waitcnt lgkmcnt(0)
	s_barrier
	ds_read2_b32 v[58:59], v57 offset1:16
	ds_read2_b32 v[60:61], v57 offset0:32 offset1:48
	ds_read2_b32 v[62:63], v57 offset0:64 offset1:80
	s_movk_i32 s8, 0x7fff
	s_mov_b32 s9, 0x7060302
	s_waitcnt lgkmcnt(2)
	v_max3_f32 v55, v58, s33, v59
	s_waitcnt lgkmcnt(1)
	v_max3_f32 v55, v55, v60, v61
	v_sub_f32_e32 v56, v58, v55
	v_mul_f32_e32 v56, 0x3fb8aa3b, v56
	v_exp_f32_e32 v64, v56
	v_sub_f32_e32 v56, v59, v55
	v_mul_f32_e32 v56, 0x3fb8aa3b, v56
	v_exp_f32_e32 v65, v56
	;; [unrolled: 3-line block ×3, first 2 shown]
	ds_read2_b32 v[58:59], v57 offset0:96 offset1:112
	v_sub_f32_e32 v56, v61, v55
	v_mul_f32_e32 v56, 0x3fb8aa3b, v56
	v_exp_f32_e32 v57, v56
	s_waitcnt lgkmcnt(1)
	v_fma_f32 v56, v64, v62, 0
	v_fmac_f32_e32 v56, v65, v63
	s_waitcnt lgkmcnt(0)
	v_fmac_f32_e32 v56, v60, v58
	v_fmac_f32_e32 v56, v57, v59
	v_add_f32_e32 v58, 0x358637bd, v56
	v_div_scale_f32 v59, s[4:5], v58, v58, 1.0
	v_rcp_f32_e32 v61, v59
	s_mul_i32 s7, s7, 15
	s_barrier
	v_fma_f32 v62, -v59, v61, 1.0
	v_fmac_f32_e32 v61, v62, v61
	v_div_scale_f32 v62, vcc, 1.0, v58, 1.0
	v_mul_f32_e32 v63, v62, v61
	v_fma_f32 v66, -v59, v63, v62
	v_fmac_f32_e32 v63, v66, v61
	v_fma_f32 v59, -v59, v63, v62
	v_div_fmas_f32 v59, v59, v61, v63
	v_cmp_eq_u32_e32 vcc, 1, v45
	v_div_fixup_f32 v58, v59, v58, 1.0
	s_nop 0
	v_cndmask_b32_e32 v59, v64, v65, vcc
	v_cmp_eq_u32_e32 vcc, 2, v45
	s_nop 1
	v_cndmask_b32_e32 v59, v59, v60, vcc
	v_cmp_eq_u32_e32 vcc, 3, v45
	v_lshlrev_b32_e32 v45, 11, v45
	s_nop 0
	v_cndmask_b32_e32 v57, v59, v57, vcc
	v_mul_f32_e32 v58, v57, v58
	v_pk_mul_f32 v[46:47], v[58:59], v[46:47] op_sel_hi:[0,1]
	v_pk_mul_f32 v[52:53], v[58:59], v[52:53] op_sel_hi:[0,1]
	v_bfe_u32 v57, v47, 16, 1
	v_bfe_u32 v59, v46, 16, 1
	v_add3_u32 v46, v46, v59, s8
	v_add3_u32 v47, v47, v57, s8
	v_perm_b32 v60, v47, v46, s9
	v_bfe_u32 v46, v53, 16, 1
	v_bfe_u32 v47, v52, 16, 1
	v_add3_u32 v47, v52, v47, s8
	v_add3_u32 v46, v53, v46, s8
	v_perm_b32 v61, v46, v47, s9
	v_lshlrev_b32_e32 v46, 3, v54
	v_pk_mul_f32 v[50:51], v[58:59], v[50:51] op_sel_hi:[0,1]
	v_or3_b32 v46, v45, v43, v46
	v_bfe_u32 v45, v51, 16, 1
	v_bfe_u32 v47, v50, 16, 1
	v_pk_mul_f32 v[48:49], v[58:59], v[48:49] op_sel_hi:[0,1]
	v_add3_u32 v47, v50, v47, s8
	v_add3_u32 v45, v51, v45, s8
	v_perm_b32 v50, v45, v47, s9
	v_bfe_u32 v45, v49, 16, 1
	v_bfe_u32 v47, v48, 16, 1
	v_add3_u32 v47, v48, v47, s8
	v_add3_u32 v45, v49, v45, s8
	v_pk_mul_f32 v[40:41], v[58:59], v[40:41] op_sel_hi:[0,1]
	v_perm_b32 v51, v45, v47, s9
	v_bfe_u32 v45, v41, 16, 1
	v_bfe_u32 v47, v40, 16, 1
	v_pk_mul_f32 v[38:39], v[58:59], v[38:39] op_sel_hi:[0,1]
	v_add3_u32 v40, v40, v47, s8
	v_add3_u32 v41, v41, v45, s8
	v_perm_b32 v40, v41, v40, s9
	v_bfe_u32 v41, v39, 16, 1
	v_bfe_u32 v45, v38, 16, 1
	v_add3_u32 v38, v38, v45, s8
	v_add3_u32 v39, v39, v41, s8
	v_pk_mul_f32 v[36:37], v[58:59], v[36:37] op_sel_hi:[0,1]
	v_perm_b32 v41, v39, v38, s9
	v_bfe_u32 v38, v37, 16, 1
	v_bfe_u32 v39, v36, 16, 1
	v_pk_mul_f32 v[34:35], v[58:59], v[34:35] op_sel_hi:[0,1]
	v_add3_u32 v36, v36, v39, s8
	v_add3_u32 v37, v37, v38, s8
	v_perm_b32 v36, v37, v36, s9
	v_bfe_u32 v37, v35, 16, 1
	v_bfe_u32 v38, v34, 16, 1
	v_add3_u32 v34, v34, v38, s8
	v_add3_u32 v35, v35, v37, s8
	v_perm_b32 v37, v35, v34, s9
	v_cmp_gt_u32_e32 vcc, 15, v0
	ds_write2st64_b64 v46, v[60:61], v[50:51] offset1:1
	ds_write2st64_b64 v46, v[40:41], v[36:37] offset0:2 offset1:3
	s_and_saveexec_b64 s[4:5], vcc
	s_cbranch_execz .LBB398_17
; %bb.16:
	s_mov_b32 s43, 0
	v_mov_b32_e32 v45, 0
	v_lshl_add_u64 v[34:35], s[42:43], 0, v[44:45]
	v_mov_b32_e32 v36, s7
	v_mad_u64_u32 v[34:35], s[10:11], s2, v36, v[34:35]
	s_mul_i32 s3, s3, s7
	v_mov_b32_e32 v44, s28
	s_load_dwordx4 s[12:15], s[0:1], 0x58
	v_add_u32_e32 v37, s3, v35
	v_mad_u64_u32 v[34:35], s[10:11], v34, s6, v[44:45]
	v_mov_b32_e32 v36, v35
	v_mad_u64_u32 v[36:37], s[10:11], v37, s6, v[36:37]
	v_mov_b32_e32 v35, v36
	v_lshlrev_b64 v[34:35], 2, v[34:35]
	s_waitcnt lgkmcnt(0)
	v_lshl_add_u64 v[36:37], s[14:15], 0, v[34:35]
	v_lshl_add_u64 v[34:35], s[12:13], 0, v[34:35]
	global_store_dword v[36:37], v55, off
	global_store_dword v[34:35], v56, off
.LBB398_17:
	s_or_b64 exec, exec, s[4:5]
	v_lshl_or_b32 v43, v54, 9, v43
	s_waitcnt lgkmcnt(0)
	s_barrier
	ds_read_b128 v[34:37], v43
	ds_read_b128 v[38:41], v43 offset:16
	s_waitcnt vmcnt(7) lgkmcnt(1)
	v_mfma_f32_16x16x16_bf16 v[48:51], v[6:7], v[34:35], 0
	v_cmp_gt_u32_e32 vcc, 64, v0
	s_mov_b32 s3, 0
	s_and_b64 s[4:5], vcc, s[30:31]
	v_mfma_f32_16x16x16_bf16 v[6:9], v[8:9], v[36:37], v[48:51]
	s_waitcnt vmcnt(6) lgkmcnt(0)
	v_mfma_f32_16x16x16_bf16 v[6:9], v[2:3], v[38:39], v[6:9]
	v_mfma_f32_16x16x16_bf16 v[2:5], v[4:5], v[40:41], v[6:9]
	s_nop 5
	ds_read_b128 v[6:9], v43 offset:2048
	ds_read_b128 v[34:37], v43 offset:2064
	s_waitcnt vmcnt(5) lgkmcnt(1)
	v_mfma_f32_16x16x16_bf16 v[2:5], v[30:31], v[6:7], v[2:5]
	v_mfma_f32_16x16x16_bf16 v[2:5], v[32:33], v[8:9], v[2:5]
	s_waitcnt vmcnt(4) lgkmcnt(0)
	v_mfma_f32_16x16x16_bf16 v[2:5], v[26:27], v[34:35], v[2:5]
	v_mfma_f32_16x16x16_bf16 v[2:5], v[28:29], v[36:37], v[2:5]
	ds_read_b128 v[6:9], v43 offset:4096
	ds_read_b128 v[26:29], v43 offset:4112
	s_waitcnt vmcnt(3) lgkmcnt(1)
	v_mfma_f32_16x16x16_bf16 v[2:5], v[22:23], v[6:7], v[2:5]
	v_mfma_f32_16x16x16_bf16 v[2:5], v[24:25], v[8:9], v[2:5]
	s_waitcnt vmcnt(2) lgkmcnt(0)
	v_mfma_f32_16x16x16_bf16 v[2:5], v[18:19], v[26:27], v[2:5]
	v_mfma_f32_16x16x16_bf16 v[2:5], v[20:21], v[28:29], v[2:5]
	ds_read_b128 v[6:9], v43 offset:6144
	ds_read_b128 v[18:21], v43 offset:6160
	v_mov_b32_e32 v43, 0
	s_waitcnt vmcnt(1) lgkmcnt(0)
	v_mfma_f32_16x16x16_bf16 v[2:5], v[14:15], v[6:7], v[2:5]
	s_barrier
	v_mfma_f32_16x16x16_bf16 v[2:5], v[16:17], v[8:9], v[2:5]
	s_waitcnt vmcnt(0)
	v_mfma_f32_16x16x16_bf16 v[2:5], v[10:11], v[18:19], v[2:5]
	v_mfma_f32_16x16x16_bf16 v[2:5], v[12:13], v[20:21], v[2:5]
	s_nop 6
	v_bfe_u32 v6, v3, 16, 1
	v_bfe_u32 v7, v2, 16, 1
	;; [unrolled: 1-line block ×4, first 2 shown]
	v_add3_u32 v2, v2, v7, s8
	v_add3_u32 v3, v3, v6, s8
	;; [unrolled: 1-line block ×4, first 2 shown]
	v_perm_b32 v2, v3, v2, s9
	v_perm_b32 v3, v5, v4, s9
	ds_write_b64 v46, v[2:3]
	s_waitcnt lgkmcnt(0)
	s_barrier
	s_and_saveexec_b64 s[8:9], s[4:5]
	s_cbranch_execz .LBB398_20
; %bb.18:
	s_load_dwordx2 s[4:5], s[0:1], 0x68
	s_lshl_b32 s0, s6, 6
	s_mul_i32 s1, s7, s2
	s_mul_hi_u32 s7, s1, s0
	s_mul_i32 s6, s1, s0
	v_lshlrev_b32_e32 v0, 10, v0
	s_lshl_b64 s[6:7], s[6:7], 1
	v_and_b32_e32 v0, 0x1800, v0
	v_lshlrev_b32_e32 v2, 5, v54
	v_and_b32_e32 v1, 16, v1
	s_waitcnt lgkmcnt(0)
	s_add_u32 s1, s4, s6
	v_or3_b32 v2, v0, v2, v1
	s_addc_u32 s4, s5, s7
	s_lshl_b32 s2, s28, 6
	ds_read_b128 v[4:7], v2 offset:256
	s_lshl_b64 s[2:3], s[2:3], 1
	ds_read_b128 v[8:11], v2 offset:128
	ds_read_b128 v[12:15], v2
	s_add_u32 s2, s1, s2
	s_addc_u32 s3, s4, s3
	v_add_u32_e32 v3, s42, v54
	v_lshl_add_u64 v[0:1], s[2:3], 0, v[42:43]
	v_mad_u64_u32 v[16:17], s[2:3], v3, s0, 0
	v_lshl_add_u64 v[16:17], v[16:17], 1, v[0:1]
	s_waitcnt lgkmcnt(0)
	global_store_dwordx4 v[16:17], v[12:15], off
	v_cmp_ne_u32_e32 vcc, 3, v54
	s_nop 0
	v_add_u32_e32 v12, 4, v3
	v_mad_u64_u32 v[12:13], s[2:3], v12, s0, 0
	v_lshl_add_u64 v[12:13], v[12:13], 1, v[0:1]
	v_add_u32_e32 v3, 8, v3
	global_store_dwordx4 v[12:13], v[8:11], off
	s_nop 1
	v_mad_u64_u32 v[8:9], s[2:3], v3, s0, 0
	v_lshl_add_u64 v[8:9], v[8:9], 1, v[0:1]
	global_store_dwordx4 v[8:9], v[4:7], off
	s_and_b64 exec, exec, vcc
	s_cbranch_execz .LBB398_20
; %bb.19:
	ds_read_b128 v[2:5], v2 offset:384
	v_add3_u32 v6, s42, v54, 12
	v_mad_u64_u32 v[6:7], s[0:1], v6, s0, 0
	v_lshl_add_u64 v[0:1], v[6:7], 1, v[0:1]
	s_waitcnt lgkmcnt(0)
	global_store_dwordx4 v[0:1], v[2:5], off
.LBB398_20:
	s_endpgm
	.section	.rodata,"a",@progbits
	.p2align	6, 0x0
	.amdhsa_kernel _Z39paged_attention_ll4mi_QKV_mfma16_kernelI14__hip_bfloat16S0_LN4vllm18Fp8KVCacheDataTypeE0EhLi16ELi64ELi256ELb1ELi15EEvPKT_PKT0_S8_ifPKiSA_SA_iPKfiiiPfSD_PS3_PT2_iSC_SC_
		.amdhsa_group_segment_fixed_size 8192
		.amdhsa_private_segment_fixed_size 0
		.amdhsa_kernarg_size 400
		.amdhsa_user_sgpr_count 2
		.amdhsa_user_sgpr_dispatch_ptr 0
		.amdhsa_user_sgpr_queue_ptr 0
		.amdhsa_user_sgpr_kernarg_segment_ptr 1
		.amdhsa_user_sgpr_dispatch_id 0
		.amdhsa_user_sgpr_kernarg_preload_length 0
		.amdhsa_user_sgpr_kernarg_preload_offset 0
		.amdhsa_user_sgpr_private_segment_size 0
		.amdhsa_uses_dynamic_stack 0
		.amdhsa_enable_private_segment 0
		.amdhsa_system_sgpr_workgroup_id_x 1
		.amdhsa_system_sgpr_workgroup_id_y 1
		.amdhsa_system_sgpr_workgroup_id_z 1
		.amdhsa_system_sgpr_workgroup_info 0
		.amdhsa_system_vgpr_workitem_id 0
		.amdhsa_next_free_vgpr 72
		.amdhsa_next_free_sgpr 48
		.amdhsa_accum_offset 72
		.amdhsa_reserve_vcc 1
		.amdhsa_float_round_mode_32 0
		.amdhsa_float_round_mode_16_64 0
		.amdhsa_float_denorm_mode_32 3
		.amdhsa_float_denorm_mode_16_64 3
		.amdhsa_dx10_clamp 1
		.amdhsa_ieee_mode 1
		.amdhsa_fp16_overflow 0
		.amdhsa_tg_split 0
		.amdhsa_exception_fp_ieee_invalid_op 0
		.amdhsa_exception_fp_denorm_src 0
		.amdhsa_exception_fp_ieee_div_zero 0
		.amdhsa_exception_fp_ieee_overflow 0
		.amdhsa_exception_fp_ieee_underflow 0
		.amdhsa_exception_fp_ieee_inexact 0
		.amdhsa_exception_int_div_zero 0
	.end_amdhsa_kernel
	.section	.text._Z39paged_attention_ll4mi_QKV_mfma16_kernelI14__hip_bfloat16S0_LN4vllm18Fp8KVCacheDataTypeE0EhLi16ELi64ELi256ELb1ELi15EEvPKT_PKT0_S8_ifPKiSA_SA_iPKfiiiPfSD_PS3_PT2_iSC_SC_,"axG",@progbits,_Z39paged_attention_ll4mi_QKV_mfma16_kernelI14__hip_bfloat16S0_LN4vllm18Fp8KVCacheDataTypeE0EhLi16ELi64ELi256ELb1ELi15EEvPKT_PKT0_S8_ifPKiSA_SA_iPKfiiiPfSD_PS3_PT2_iSC_SC_,comdat
.Lfunc_end398:
	.size	_Z39paged_attention_ll4mi_QKV_mfma16_kernelI14__hip_bfloat16S0_LN4vllm18Fp8KVCacheDataTypeE0EhLi16ELi64ELi256ELb1ELi15EEvPKT_PKT0_S8_ifPKiSA_SA_iPKfiiiPfSD_PS3_PT2_iSC_SC_, .Lfunc_end398-_Z39paged_attention_ll4mi_QKV_mfma16_kernelI14__hip_bfloat16S0_LN4vllm18Fp8KVCacheDataTypeE0EhLi16ELi64ELi256ELb1ELi15EEvPKT_PKT0_S8_ifPKiSA_SA_iPKfiiiPfSD_PS3_PT2_iSC_SC_
                                        ; -- End function
	.section	.AMDGPU.csdata,"",@progbits
; Kernel info:
; codeLenInByte = 4372
; NumSgprs: 54
; NumVgprs: 72
; NumAgprs: 0
; TotalNumVgprs: 72
; ScratchSize: 0
; MemoryBound: 0
; FloatMode: 240
; IeeeMode: 1
; LDSByteSize: 8192 bytes/workgroup (compile time only)
; SGPRBlocks: 6
; VGPRBlocks: 8
; NumSGPRsForWavesPerEU: 54
; NumVGPRsForWavesPerEU: 72
; AccumOffset: 72
; Occupancy: 7
; WaveLimiterHint : 1
; COMPUTE_PGM_RSRC2:SCRATCH_EN: 0
; COMPUTE_PGM_RSRC2:USER_SGPR: 2
; COMPUTE_PGM_RSRC2:TRAP_HANDLER: 0
; COMPUTE_PGM_RSRC2:TGID_X_EN: 1
; COMPUTE_PGM_RSRC2:TGID_Y_EN: 1
; COMPUTE_PGM_RSRC2:TGID_Z_EN: 1
; COMPUTE_PGM_RSRC2:TIDIG_COMP_CNT: 0
; COMPUTE_PGM_RSRC3_GFX90A:ACCUM_OFFSET: 17
; COMPUTE_PGM_RSRC3_GFX90A:TG_SPLIT: 0
	.section	.text._Z39paged_attention_ll4mi_QKV_mfma16_kernelI14__hip_bfloat16S0_LN4vllm18Fp8KVCacheDataTypeE0EhLi16ELi64ELi256ELb1ELi16EEvPKT_PKT0_S8_ifPKiSA_SA_iPKfiiiPfSD_PS3_PT2_iSC_SC_,"axG",@progbits,_Z39paged_attention_ll4mi_QKV_mfma16_kernelI14__hip_bfloat16S0_LN4vllm18Fp8KVCacheDataTypeE0EhLi16ELi64ELi256ELb1ELi16EEvPKT_PKT0_S8_ifPKiSA_SA_iPKfiiiPfSD_PS3_PT2_iSC_SC_,comdat
	.protected	_Z39paged_attention_ll4mi_QKV_mfma16_kernelI14__hip_bfloat16S0_LN4vllm18Fp8KVCacheDataTypeE0EhLi16ELi64ELi256ELb1ELi16EEvPKT_PKT0_S8_ifPKiSA_SA_iPKfiiiPfSD_PS3_PT2_iSC_SC_ ; -- Begin function _Z39paged_attention_ll4mi_QKV_mfma16_kernelI14__hip_bfloat16S0_LN4vllm18Fp8KVCacheDataTypeE0EhLi16ELi64ELi256ELb1ELi16EEvPKT_PKT0_S8_ifPKiSA_SA_iPKfiiiPfSD_PS3_PT2_iSC_SC_
	.globl	_Z39paged_attention_ll4mi_QKV_mfma16_kernelI14__hip_bfloat16S0_LN4vllm18Fp8KVCacheDataTypeE0EhLi16ELi64ELi256ELb1ELi16EEvPKT_PKT0_S8_ifPKiSA_SA_iPKfiiiPfSD_PS3_PT2_iSC_SC_
	.p2align	8
	.type	_Z39paged_attention_ll4mi_QKV_mfma16_kernelI14__hip_bfloat16S0_LN4vllm18Fp8KVCacheDataTypeE0EhLi16ELi64ELi256ELb1ELi16EEvPKT_PKT0_S8_ifPKiSA_SA_iPKfiiiPfSD_PS3_PT2_iSC_SC_,@function
_Z39paged_attention_ll4mi_QKV_mfma16_kernelI14__hip_bfloat16S0_LN4vllm18Fp8KVCacheDataTypeE0EhLi16ELi64ELi256ELb1ELi16EEvPKT_PKT0_S8_ifPKiSA_SA_iPKfiiiPfSD_PS3_PT2_iSC_SC_: ; @_Z39paged_attention_ll4mi_QKV_mfma16_kernelI14__hip_bfloat16S0_LN4vllm18Fp8KVCacheDataTypeE0EhLi16ELi64ELi256ELb1ELi16EEvPKT_PKT0_S8_ifPKiSA_SA_iPKfiiiPfSD_PS3_PT2_iSC_SC_
; %bb.0:
	s_load_dwordx2 s[14:15], s[0:1], 0x30
	s_mov_b32 s28, s3
	s_mov_b64 s[6:7], 0
	s_waitcnt lgkmcnt(0)
	s_cmp_lg_u64 s[14:15], 0
	s_cselect_b64 s[16:17], -1, 0
	s_and_b64 vcc, exec, s[16:17]
	s_cbranch_vccz .LBB399_7
; %bb.1:
	s_add_i32 s8, s2, 1
	s_mov_b32 s9, 0
	s_lshl_b64 s[10:11], s[8:9], 2
	s_add_u32 s10, s14, s10
	s_mov_b32 s3, s9
	s_addc_u32 s11, s15, s11
	s_lshl_b64 s[8:9], s[2:3], 2
	s_add_u32 s8, s14, s8
	s_addc_u32 s9, s15, s9
	s_load_dword s5, s[10:11], 0x0
	s_load_dword s12, s[8:9], 0x0
	s_waitcnt lgkmcnt(0)
	s_sub_i32 s5, s5, s12
	s_cmp_eq_u32 s5, 1
	s_cselect_b64 s[8:9], -1, 0
	s_andn2_b64 vcc, exec, s[6:7]
	s_cbranch_vccnz .LBB399_3
.LBB399_2:
	s_mov_b32 s3, 0
	s_mov_b64 s[8:9], -1
.LBB399_3:
	s_andn2_b64 vcc, exec, s[8:9]
	s_cbranch_vccnz .LBB399_17
; %bb.4:
	s_load_dwordx2 s[6:7], s[0:1], 0x28
	s_lshl_b64 s[18:19], s[2:3], 2
	s_waitcnt lgkmcnt(0)
	s_add_u32 s6, s6, s18
	s_addc_u32 s7, s7, s19
	s_load_dword s40, s[6:7], 0x0
	s_lshl_b32 s20, s28, 8
	s_waitcnt lgkmcnt(0)
	s_cmp_ge_i32 s20, s40
	s_cbranch_scc1 .LBB399_17
; %bb.5:
	s_load_dwordx2 s[6:7], s[0:1], 0x20
	s_load_dword s5, s[0:1], 0x38
	s_add_i32 s8, s40, 15
	s_ashr_i32 s9, s8, 31
	v_and_b32_e32 v1, 0xcf, v0
	s_lshr_b32 s9, s9, 28
	v_add_u32_e32 v1, s20, v1
	s_add_i32 s8, s8, s9
	v_ashrrev_i32_e32 v2, 31, v1
	s_ashr_i32 s21, s8, 4
	v_lshrrev_b32_e32 v10, 28, v2
	s_add_i32 s21, s21, -1
	s_waitcnt lgkmcnt(0)
	s_mul_i32 s8, s2, s5
	s_mov_b32 s9, 0
	v_add_u32_e32 v2, v1, v10
	s_lshl_b64 s[8:9], s[8:9], 2
	v_ashrrev_i32_e32 v2, 4, v2
	v_mov_b32_e32 v11, s21
	v_cmp_gt_i32_e32 vcc, s40, v1
	s_add_u32 s6, s6, s8
	s_addc_u32 s7, s7, s9
	v_cndmask_b32_e32 v2, v11, v2, vcc
	v_ashrrev_i32_e32 v3, 31, v2
	v_lshl_add_u64 v[4:5], v[2:3], 2, s[6:7]
	v_or_b32_e32 v2, 16, v1
	v_add_u32_e32 v3, v2, v10
	v_ashrrev_i32_e32 v3, 4, v3
	v_cmp_gt_i32_e32 vcc, s40, v2
	s_nop 1
	v_cndmask_b32_e32 v2, v11, v3, vcc
	v_ashrrev_i32_e32 v3, 31, v2
	v_lshl_add_u64 v[6:7], v[2:3], 2, s[6:7]
	v_or_b32_e32 v2, 32, v1
	v_add_u32_e32 v3, v2, v10
	v_ashrrev_i32_e32 v3, 4, v3
	v_cmp_gt_i32_e32 vcc, s40, v2
	v_or_b32_e32 v1, 48, v1
	s_nop 0
	v_cndmask_b32_e32 v2, v11, v3, vcc
	v_ashrrev_i32_e32 v3, 31, v2
	v_lshl_add_u64 v[8:9], v[2:3], 2, s[6:7]
	v_add_u32_e32 v2, v1, v10
	v_ashrrev_i32_e32 v2, 4, v2
	v_cmp_gt_i32_e32 vcc, s40, v1
	s_nop 1
	v_cndmask_b32_e32 v2, v11, v2, vcc
	v_ashrrev_i32_e32 v3, 31, v2
	v_lshl_add_u64 v[12:13], v[2:3], 2, s[6:7]
	global_load_dword v3, v[4:5], off
	global_load_dword v2, v[6:7], off
	;; [unrolled: 1-line block ×4, first 2 shown]
	s_load_dwordx2 s[12:13], s[0:1], 0x40
	s_load_dwordx4 s[8:11], s[0:1], 0x8
	s_andn2_b64 vcc, exec, s[16:17]
	s_cbranch_vccnz .LBB399_8
; %bb.6:
	s_add_u32 s14, s14, s18
	s_addc_u32 s15, s15, s19
	s_load_dword s5, s[14:15], 0x0
	s_branch .LBB399_9
.LBB399_7:
	s_mov_b64 s[8:9], 0
	s_branch .LBB399_2
.LBB399_8:
	s_mov_b32 s5, s2
.LBB399_9:
	s_load_dwordx4 s[44:47], s[0:1], 0x48
	v_and_b32_e32 v57, 15, v0
	s_movk_i32 s14, 0x100
	v_lshlrev_b32_e32 v4, 3, v57
	v_cmp_gt_u32_e32 vcc, s14, v0
	v_cmp_gt_u32_e64 s[30:31], 8, v57
	v_lshrrev_b32_e32 v55, 6, v0
	v_and_b32_e32 v56, 63, v0
	v_bfe_u32 v1, v0, 4, 2
	s_lshl_b32 s29, s4, 4
	s_and_b64 s[16:17], vcc, s[30:31]
	v_lshlrev_b32_e32 v38, 1, v4
	s_and_saveexec_b64 s[14:15], s[16:17]
	s_cbranch_execz .LBB399_11
; %bb.10:
	s_load_dwordx2 s[16:17], s[0:1], 0x0
	s_waitcnt lgkmcnt(0)
	s_ashr_i32 s18, s44, 31
	s_mul_hi_u32 s19, s5, s44
	s_mul_i32 s18, s5, s18
	s_add_i32 s19, s19, s18
	s_mul_i32 s18, s5, s44
	v_lshl_or_b32 v8, v55, 2, v1
	s_lshl_b64 s[18:19], s[18:19], 1
	s_add_u32 s16, s16, s18
	v_add_lshl_u32 v4, v8, s29, 6
	s_addc_u32 s17, s17, s19
	v_ashrrev_i32_e32 v5, 31, v4
	v_lshl_add_u64 v[4:5], v[4:5], 1, s[16:17]
	v_mov_b32_e32 v39, 0
	v_lshl_add_u64 v[4:5], v[4:5], 0, v[38:39]
	global_load_dwordx4 v[4:7], v[4:5], off
	v_and_b32_e32 v9, 3, v0
	v_lshlrev_b32_e32 v11, 9, v57
	v_lshlrev_b32_e32 v8, 5, v8
	;; [unrolled: 1-line block ×3, first 2 shown]
	v_and_b32_e32 v11, 0x1800, v11
	v_or3_b32 v8, v11, v9, v8
	s_waitcnt vmcnt(0)
	ds_write_b128 v8, v[4:7]
.LBB399_11:
	s_or_b64 exec, exec, s[14:15]
	s_waitcnt lgkmcnt(0)
	s_mul_i32 s4, s4, s46
	s_mov_b32 s5, 0
	s_lshl_b64 s[4:5], s[4:5], 1
	s_add_u32 s8, s8, s4
	v_lshlrev_b32_e32 v54, 4, v0
	s_addc_u32 s9, s9, s5
	v_and_b32_e32 v40, 0xf0, v54
	v_mov_b32_e32 v41, 0
	v_lshl_add_u64 v[16:17], s[8:9], 0, v[40:41]
	s_waitcnt vmcnt(3)
	v_mad_i64_i32 v[4:5], s[8:9], v3, s45, 0
	v_lshl_add_u64 v[4:5], v[4:5], 1, v[16:17]
	v_and_b32_e32 v40, 0x300, v54
	s_waitcnt vmcnt(2)
	v_mad_i64_i32 v[2:3], s[8:9], v2, s45, 0
	v_lshl_add_u64 v[18:19], v[4:5], 0, v[40:41]
	v_lshl_add_u64 v[2:3], v[2:3], 1, v[16:17]
	s_waitcnt vmcnt(1)
	v_mad_i64_i32 v[10:11], s[8:9], v10, s45, 0
	s_waitcnt vmcnt(0)
	v_mad_i64_i32 v[14:15], s[8:9], v14, s45, 0
	s_load_dword s33, s[0:1], 0x98
	s_load_dword s14, s[0:1], 0x1c
	s_waitcnt lgkmcnt(0)
	s_barrier
	global_load_dwordx4 v[6:9], v[18:19], off
	global_load_dwordx4 v[22:25], v[18:19], off offset:1024
	v_lshl_add_u64 v[20:21], v[2:3], 0, v[40:41]
	v_lshl_add_u64 v[10:11], v[10:11], 1, v[16:17]
	;; [unrolled: 1-line block ×3, first 2 shown]
	global_load_dwordx4 v[2:5], v[20:21], off
	global_load_dwordx4 v[30:33], v[20:21], off offset:1024
	v_lshl_add_u64 v[26:27], v[10:11], 0, v[40:41]
	v_lshl_add_u64 v[42:43], v[14:15], 0, v[40:41]
	global_load_dwordx4 v[10:13], v[26:27], off
	global_load_dwordx4 v[14:17], v[42:43], off
	v_lshlrev_b32_e32 v58, 5, v57
	v_lshl_or_b32 v39, v1, 9, v58
	ds_read_b128 v[34:37], v39
	ds_read_b128 v[18:21], v39 offset:2048
	global_load_dwordx4 v[26:29], v[26:27], off offset:1024
	v_and_or_b32 v40, v0, 48, s20
	global_load_dwordx4 v[50:53], v[42:43], off offset:1024
	v_mov_b32_e32 v59, s21
	v_ashrrev_i32_e32 v44, 4, v40
	v_cmp_gt_i32_e32 vcc, s40, v40
	v_or_b32_e32 v64, 64, v40
	v_or_b32_e32 v42, 0x80, v40
	v_cndmask_b32_e32 v48, v59, v44, vcc
	v_ashrrev_i32_e32 v49, 31, v48
	v_cmp_gt_i32_e32 vcc, s40, v64
	v_or_b32_e32 v40, 0xc0, v40
	v_ashrrev_i32_e32 v43, 4, v42
	s_add_u32 s4, s10, s4
	s_addc_u32 s5, s11, s5
	s_mov_b32 s42, 0xff7fffff
	s_waitcnt vmcnt(7) lgkmcnt(1)
	v_mfma_f32_16x16x16_bf16 v[44:47], v[6:7], v[34:35], 0
	v_ashrrev_i32_e32 v6, 4, v64
	s_waitcnt vmcnt(5)
	v_mfma_f32_16x16x16_bf16 v[60:63], v[2:3], v[34:35], 0
	v_cndmask_b32_e32 v2, v59, v6, vcc
	v_lshl_add_u64 v[6:7], v[48:49], 2, s[6:7]
	global_load_dword v48, v[6:7], off
	s_waitcnt vmcnt(4)
	v_mfma_f32_16x16x16_bf16 v[64:67], v[10:11], v[34:35], 0
	v_ashrrev_i32_e32 v3, 31, v2
	v_lshl_add_u64 v[2:3], v[2:3], 2, s[6:7]
	global_load_dword v49, v[2:3], off
	s_waitcnt vmcnt(4)
	v_mfma_f32_16x16x16_bf16 v[68:71], v[14:15], v[34:35], 0
	v_or_b32_e32 v34, s29, v57
	v_ashrrev_i32_e32 v35, 31, v34
	v_lshl_add_u64 v[10:11], v[34:35], 2, s[12:13]
	global_load_dword v35, v[10:11], off
	v_mfma_f32_16x16x16_bf16 v[6:9], v[8:9], v[36:37], v[44:47]
	v_cmp_gt_i32_e32 vcc, s40, v42
	v_lshlrev_b32_e32 v57, 2, v57
	v_mfma_f32_16x16x16_bf16 v[2:5], v[4:5], v[36:37], v[60:63]
	v_ashrrev_i32_e32 v44, 4, v40
	v_mfma_f32_16x16x16_bf16 v[10:13], v[12:13], v[36:37], v[64:67]
	v_mfma_f32_16x16x16_bf16 v[14:17], v[16:17], v[36:37], v[68:71]
	v_cndmask_b32_e32 v36, v59, v43, vcc
	v_cmp_gt_i32_e32 vcc, s40, v40
	v_ashrrev_i32_e32 v37, 31, v36
	s_waitcnt lgkmcnt(0)
	v_mfma_f32_16x16x16_bf16 v[6:9], v[22:23], v[18:19], v[6:9]
	v_cndmask_b32_e32 v42, v59, v44, vcc
	v_ashrrev_i32_e32 v43, 31, v42
	v_lshl_add_u64 v[22:23], v[36:37], 2, s[6:7]
	v_mfma_f32_16x16x16_bf16 v[2:5], v[30:31], v[18:19], v[2:5]
	v_lshl_add_u64 v[30:31], v[42:43], 2, s[6:7]
	global_load_dword v59, v[22:23], off
	global_load_dword v60, v[30:31], off
	v_lshl_or_b32 v40, v55, 9, v58
	s_waitcnt vmcnt(6)
	v_mfma_f32_16x16x16_bf16 v[42:45], v[26:27], v[18:19], v[10:13]
	s_waitcnt vmcnt(5)
	v_mfma_f32_16x16x16_bf16 v[16:19], v[50:51], v[18:19], v[14:17]
	s_nop 0
	v_lshl_add_u64 v[10:11], s[4:5], 0, v[40:41]
	s_waitcnt vmcnt(4)
	v_mad_i64_i32 v[12:13], s[4:5], v48, s45, 0
	v_mfma_f32_16x16x16_bf16 v[16:19], v[52:53], v[20:21], v[16:19]
	v_lshl_add_u64 v[12:13], v[12:13], 1, v[10:11]
	s_waitcnt vmcnt(3)
	v_mad_i64_i32 v[14:15], s[4:5], v49, s45, 0
	v_mfma_f32_16x16x16_bf16 v[22:25], v[24:25], v[20:21], v[6:9]
	v_lshl_add_u64 v[14:15], v[14:15], 1, v[10:11]
	s_nop 1
	v_pk_mul_f32 v[40:41], s[14:15], v[16:17] op_sel_hi:[0,1]
	v_and_b32_e32 v16, 0xc0, v0
	v_add_u32_e32 v16, s20, v16
	v_lshl_or_b32 v16, v1, 2, v16
	v_or_b32_e32 v17, 1, v16
	v_pk_mul_f32 v[36:37], s[14:15], v[18:19] op_sel_hi:[0,1]
	v_subrev_u32_e32 v18, s40, v17
	v_mfma_f32_16x16x16_bf16 v[30:33], v[32:33], v[20:21], v[2:5]
	v_cvt_f32_i32_e32 v19, v18
	global_load_dwordx4 v[6:9], v[12:13], off
	s_nop 0
	global_load_dwordx4 v[2:5], v[12:13], off offset:16
	v_pk_mul_f32 v[50:51], s[14:15], v[24:25] op_sel_hi:[0,1]
	v_mfma_f32_16x16x16_bf16 v[26:29], v[28:29], v[20:21], v[42:45]
	v_add_u32_e32 v20, 1, v18
	v_add_u32_e32 v21, 2, v18
	v_cvt_f32_i32_e32 v20, v20
	v_cvt_f32_i32_e32 v21, v21
	v_pk_mul_f32 v[12:13], s[14:15], v[22:23] op_sel_hi:[0,1]
	v_add_u32_e32 v22, 3, v18
	s_waitcnt vmcnt(4)
	v_fma_f32 v12, v35, v19, v12
	v_fmac_f32_e32 v13, v35, v20
	v_fma_f32 v50, v35, v21, v50
	v_add_u32_e32 v19, 16, v18
	v_add_u32_e32 v20, 17, v18
	;; [unrolled: 1-line block ×3, first 2 shown]
	v_cvt_f32_i32_e32 v22, v22
	v_cvt_f32_i32_e32 v19, v19
	;; [unrolled: 1-line block ×4, first 2 shown]
	v_pk_mul_f32 v[46:47], s[14:15], v[32:33] op_sel_hi:[0,1]
	v_pk_mul_f32 v[48:49], s[14:15], v[30:31] op_sel_hi:[0,1]
	v_fmac_f32_e32 v51, v35, v22
	v_add_u32_e32 v22, 19, v18
	v_fma_f32 v48, v35, v19, v48
	v_fmac_f32_e32 v49, v35, v20
	v_fma_f32 v46, v35, v21, v46
	v_add_u32_e32 v19, 32, v18
	v_add_u32_e32 v20, 33, v18
	;; [unrolled: 1-line block ×3, first 2 shown]
	v_cvt_f32_i32_e32 v22, v22
	v_cvt_f32_i32_e32 v19, v19
	;; [unrolled: 1-line block ×4, first 2 shown]
	v_pk_mul_f32 v[42:43], s[14:15], v[28:29] op_sel_hi:[0,1]
	v_pk_mul_f32 v[44:45], s[14:15], v[26:27] op_sel_hi:[0,1]
	v_fmac_f32_e32 v47, v35, v22
	v_add_u32_e32 v22, 35, v18
	v_fma_f32 v44, v35, v19, v44
	v_fmac_f32_e32 v45, v35, v20
	v_fma_f32 v42, v35, v21, v42
	v_add_u32_e32 v19, 48, v18
	v_add_u32_e32 v20, 49, v18
	;; [unrolled: 1-line block ×4, first 2 shown]
	v_cvt_f32_i32_e32 v18, v18
	v_cvt_f32_i32_e32 v19, v19
	;; [unrolled: 1-line block ×3, first 2 shown]
	v_cmp_gt_i32_e64 s[4:5], s40, v16
	v_fmac_f32_e32 v37, v35, v18
	v_mov_b32_e32 v18, 0xff7fffff
	v_cmp_gt_i32_e64 s[34:35], s40, v17
	v_fma_f32 v40, v35, v19, v40
	v_cndmask_b32_e64 v19, v18, v12, s[4:5]
	v_cndmask_b32_e64 v17, v18, v13, s[34:35]
	v_fmac_f32_e32 v41, v35, v20
	v_max3_f32 v17, v19, s42, v17
	v_or_b32_e32 v19, 2, v16
	v_or_b32_e32 v20, 3, v16
	v_cmp_gt_i32_e64 s[36:37], s40, v19
	v_cmp_gt_i32_e64 s[38:39], s40, v20
	v_cvt_f32_i32_e32 v22, v22
	v_cndmask_b32_e64 v19, v18, v50, s[36:37]
	v_cndmask_b32_e64 v20, v18, v51, s[38:39]
	v_max3_f32 v17, v17, v19, v20
	v_or_b32_e32 v19, 16, v16
	v_or_b32_e32 v20, 17, v16
	v_cmp_gt_i32_e64 s[24:25], s40, v19
	v_cmp_gt_i32_e64 s[26:27], s40, v20
	v_fmac_f32_e32 v43, v35, v22
	v_cndmask_b32_e64 v19, v18, v48, s[24:25]
	v_cndmask_b32_e64 v20, v18, v49, s[26:27]
	v_max3_f32 v17, v17, v19, v20
	v_or_b32_e32 v19, 18, v16
	v_or_b32_e32 v20, 19, v16
	v_cmp_gt_i32_e64 s[20:21], s40, v19
	v_cmp_gt_i32_e64 s[22:23], s40, v20
	v_cvt_f32_i32_e32 v21, v21
	v_cndmask_b32_e64 v19, v18, v46, s[20:21]
	v_cndmask_b32_e64 v20, v18, v47, s[22:23]
	v_max3_f32 v17, v17, v19, v20
	v_or_b32_e32 v19, 32, v16
	v_or_b32_e32 v20, 33, v16
	v_cmp_gt_i32_e64 s[16:17], s40, v19
	v_cmp_gt_i32_e64 s[18:19], s40, v20
	v_fma_f32 v36, v35, v21, v36
	v_cndmask_b32_e64 v19, v18, v44, s[16:17]
	v_cndmask_b32_e64 v20, v18, v45, s[18:19]
	v_max3_f32 v17, v17, v19, v20
	v_or_b32_e32 v19, 34, v16
	v_or_b32_e32 v20, 35, v16
	v_cmp_gt_i32_e64 s[12:13], s40, v19
	v_cmp_gt_i32_e64 s[14:15], s40, v20
	global_load_dwordx4 v[30:33], v[14:15], off
	global_load_dwordx4 v[26:29], v[14:15], off offset:16
	v_cndmask_b32_e64 v19, v18, v42, s[12:13]
	v_cndmask_b32_e64 v20, v18, v43, s[14:15]
	v_max3_f32 v17, v17, v19, v20
	v_or_b32_e32 v19, 48, v16
	v_or_b32_e32 v20, 49, v16
	v_cmp_gt_i32_e64 s[8:9], s40, v19
	v_cmp_gt_i32_e64 s[10:11], s40, v20
	s_nop 0
	v_cndmask_b32_e64 v19, v18, v40, s[8:9]
	v_cndmask_b32_e64 v20, v18, v41, s[10:11]
	v_max3_f32 v17, v17, v19, v20
	v_or_b32_e32 v19, 50, v16
	v_or_b32_e32 v16, 51, v16
	v_cmp_gt_i32_e32 vcc, s40, v19
	v_cmp_gt_i32_e64 s[6:7], s40, v16
	s_nop 0
	v_cndmask_b32_e32 v19, v18, v36, vcc
	v_cndmask_b32_e64 v16, v18, v37, s[6:7]
	v_max3_f32 v16, v17, v19, v16
	v_mbcnt_lo_u32_b32 v17, -1, 0
	v_mbcnt_hi_u32_b32 v17, -1, v17
	v_and_b32_e32 v18, 64, v17
	v_add_u32_e32 v18, 64, v18
	v_xor_b32_e32 v19, 32, v17
	v_cmp_lt_i32_e64 s[40:41], v19, v18
	s_nop 1
	v_cndmask_b32_e64 v19, v17, v19, s[40:41]
	v_lshlrev_b32_e32 v61, 2, v19
	ds_bpermute_b32 v19, v61, v16
	s_waitcnt vmcnt(5)
	v_mad_i64_i32 v[14:15], s[40:41], v59, s45, 0
	v_lshl_add_u64 v[14:15], v[14:15], 1, v[10:11]
	s_waitcnt lgkmcnt(0)
	v_max_f32_e32 v19, v19, v19
	v_max_f32_e32 v16, v16, v19
	v_xor_b32_e32 v19, 16, v17
	v_cmp_lt_i32_e64 s[40:41], v19, v18
	s_nop 1
	v_cndmask_b32_e64 v17, v17, v19, s[40:41]
	v_lshlrev_b32_e32 v62, 2, v17
	ds_bpermute_b32 v17, v62, v16
	global_load_dwordx4 v[22:25], v[14:15], off
	global_load_dwordx4 v[18:21], v[14:15], off offset:16
	s_waitcnt vmcnt(6)
	v_mad_i64_i32 v[14:15], s[40:41], v60, s45, 0
	v_lshl_add_u64 v[10:11], v[14:15], 1, v[10:11]
	s_waitcnt lgkmcnt(0)
	v_max_f32_e32 v14, v17, v17
	v_max_f32_e32 v35, v16, v14
	v_sub_f32_e32 v12, v12, v35
	v_mul_f32_e32 v12, 0x3fb8aa3b, v12
	v_exp_f32_e32 v52, v12
	v_sub_f32_e32 v12, v13, v35
	v_mul_f32_e32 v12, 0x3fb8aa3b, v12
	v_exp_f32_e32 v53, v12
	global_load_dwordx4 v[14:17], v[10:11], off
	s_nop 0
	global_load_dwordx4 v[10:13], v[10:11], off offset:16
	v_sub_f32_e32 v50, v50, v35
	v_mul_f32_e32 v50, 0x3fb8aa3b, v50
	v_sub_f32_e32 v51, v51, v35
	v_exp_f32_e32 v50, v50
	v_mul_f32_e32 v51, 0x3fb8aa3b, v51
	v_sub_f32_e32 v48, v48, v35
	v_exp_f32_e32 v51, v51
	v_mul_f32_e32 v48, 0x3fb8aa3b, v48
	v_sub_f32_e32 v49, v49, v35
	v_cndmask_b32_e64 v52, 0, v52, s[4:5]
	v_exp_f32_e32 v48, v48
	v_mul_f32_e32 v49, 0x3fb8aa3b, v49
	v_sub_f32_e32 v46, v46, v35
	v_add_f32_e32 v59, 0, v52
	v_cndmask_b32_e64 v53, 0, v53, s[34:35]
	v_exp_f32_e32 v49, v49
	v_mul_f32_e32 v46, 0x3fb8aa3b, v46
	v_sub_f32_e32 v47, v47, v35
	v_add_f32_e32 v59, v59, v53
	;; [unrolled: 5-line block ×10, first 2 shown]
	v_cndmask_b32_e64 v42, 0, v42, s[12:13]
	v_exp_f32_e32 v36, v36
	v_mul_f32_e32 v37, 0x3fb8aa3b, v37
	v_add_f32_e32 v59, v59, v42
	v_cndmask_b32_e64 v43, 0, v43, s[14:15]
	v_exp_f32_e32 v37, v37
	v_add_f32_e32 v59, v59, v43
	v_cndmask_b32_e64 v40, 0, v40, s[8:9]
	v_add_f32_e32 v59, v59, v40
	v_cndmask_b32_e64 v41, 0, v41, s[10:11]
	v_add_f32_e32 v59, v59, v41
	v_cndmask_b32_e32 v36, 0, v36, vcc
	v_add_f32_e32 v59, v59, v36
	v_cndmask_b32_e64 v37, 0, v37, s[6:7]
	v_add_f32_e32 v59, v59, v37
	ds_bpermute_b32 v60, v61, v59
	v_cmp_gt_u32_e32 vcc, 16, v56
	s_waitcnt lgkmcnt(0)
	s_barrier
	v_add_f32_e32 v59, v59, v60
	ds_bpermute_b32 v60, v62, v59
	s_and_saveexec_b64 s[4:5], vcc
	s_cbranch_execz .LBB399_13
; %bb.12:
	s_waitcnt lgkmcnt(0)
	v_add_f32_e32 v56, v59, v60
	v_lshl_or_b32 v59, v55, 6, v57
	ds_write2st64_b32 v59, v35, v56 offset1:1
.LBB399_13:
	s_or_b64 exec, exec, s[4:5]
	s_load_dword s6, s[0:1], 0x94
	s_waitcnt lgkmcnt(0)
	s_barrier
	ds_read2_b32 v[60:61], v57 offset1:16
	ds_read2_b32 v[62:63], v57 offset0:32 offset1:48
	ds_read2_b32 v[64:65], v57 offset0:64 offset1:80
	s_movk_i32 s8, 0x7fff
	s_mov_b32 s9, 0x7060302
	s_waitcnt lgkmcnt(2)
	v_max3_f32 v35, v60, s42, v61
	s_waitcnt lgkmcnt(1)
	v_max3_f32 v56, v35, v62, v63
	v_sub_f32_e32 v35, v60, v56
	v_mul_f32_e32 v35, 0x3fb8aa3b, v35
	v_sub_f32_e32 v59, v61, v56
	v_sub_f32_e32 v60, v62, v56
	v_exp_f32_e32 v35, v35
	v_mul_f32_e32 v59, 0x3fb8aa3b, v59
	v_mul_f32_e32 v60, 0x3fb8aa3b, v60
	v_exp_f32_e32 v59, v59
	v_exp_f32_e32 v62, v60
	ds_read2_b32 v[60:61], v57 offset0:96 offset1:112
	v_sub_f32_e32 v57, v63, v56
	v_mul_f32_e32 v57, 0x3fb8aa3b, v57
	v_exp_f32_e32 v63, v57
	s_waitcnt lgkmcnt(1)
	v_fma_f32 v57, v35, v64, 0
	v_fmac_f32_e32 v57, v59, v65
	s_waitcnt lgkmcnt(0)
	v_fmac_f32_e32 v57, v62, v60
	v_fmac_f32_e32 v57, v63, v61
	v_add_f32_e32 v60, 0x358637bd, v57
	v_div_scale_f32 v61, s[4:5], v60, v60, 1.0
	v_rcp_f32_e32 v64, v61
	s_lshl_b32 s7, s33, 4
	s_barrier
	v_fma_f32 v65, -v61, v64, 1.0
	v_fmac_f32_e32 v64, v65, v64
	v_div_scale_f32 v65, vcc, 1.0, v60, 1.0
	v_mul_f32_e32 v66, v65, v64
	v_fma_f32 v67, -v61, v66, v65
	v_fmac_f32_e32 v66, v67, v64
	v_fma_f32 v61, -v61, v66, v65
	v_div_fmas_f32 v61, v61, v64, v66
	v_cmp_eq_u32_e32 vcc, 1, v55
	v_div_fixup_f32 v60, v61, v60, 1.0
	s_nop 0
	v_cndmask_b32_e32 v35, v35, v59, vcc
	v_cmp_eq_u32_e32 vcc, 2, v55
	s_nop 1
	v_cndmask_b32_e32 v35, v35, v62, vcc
	v_cmp_eq_u32_e32 vcc, 3, v55
	s_nop 1
	v_cndmask_b32_e32 v35, v35, v63, vcc
	v_mul_f32_e32 v60, v35, v60
	v_pk_mul_f32 v[52:53], v[60:61], v[52:53] op_sel_hi:[0,1]
	v_bfe_u32 v35, v53, 16, 1
	v_bfe_u32 v59, v52, 16, 1
	v_pk_mul_f32 v[50:51], v[60:61], v[50:51] op_sel_hi:[0,1]
	v_add3_u32 v52, v52, v59, s8
	v_add3_u32 v35, v53, v35, s8
	v_perm_b32 v52, v35, v52, s9
	v_bfe_u32 v35, v51, 16, 1
	v_bfe_u32 v53, v50, 16, 1
	v_add3_u32 v50, v50, v53, s8
	v_add3_u32 v35, v51, v35, s8
	v_perm_b32 v53, v35, v50, s9
	v_lshlrev_b32_e32 v35, 3, v1
	v_lshlrev_b32_e32 v50, 11, v55
	v_pk_mul_f32 v[48:49], v[60:61], v[48:49] op_sel_hi:[0,1]
	v_or3_b32 v50, v50, v58, v35
	v_bfe_u32 v35, v49, 16, 1
	v_bfe_u32 v51, v48, 16, 1
	v_pk_mul_f32 v[46:47], v[60:61], v[46:47] op_sel_hi:[0,1]
	v_add3_u32 v48, v48, v51, s8
	v_add3_u32 v35, v49, v35, s8
	v_perm_b32 v48, v35, v48, s9
	v_bfe_u32 v35, v47, 16, 1
	v_bfe_u32 v49, v46, 16, 1
	v_add3_u32 v46, v46, v49, s8
	v_add3_u32 v35, v47, v35, s8
	v_pk_mul_f32 v[44:45], v[60:61], v[44:45] op_sel_hi:[0,1]
	v_perm_b32 v49, v35, v46, s9
	v_bfe_u32 v35, v45, 16, 1
	v_bfe_u32 v46, v44, 16, 1
	v_pk_mul_f32 v[42:43], v[60:61], v[42:43] op_sel_hi:[0,1]
	v_add3_u32 v44, v44, v46, s8
	v_add3_u32 v35, v45, v35, s8
	v_perm_b32 v44, v35, v44, s9
	v_bfe_u32 v35, v43, 16, 1
	v_bfe_u32 v45, v42, 16, 1
	v_add3_u32 v42, v42, v45, s8
	v_add3_u32 v35, v43, v35, s8
	v_pk_mul_f32 v[40:41], v[60:61], v[40:41] op_sel_hi:[0,1]
	v_perm_b32 v45, v35, v42, s9
	v_bfe_u32 v35, v41, 16, 1
	v_bfe_u32 v42, v40, 16, 1
	v_pk_mul_f32 v[36:37], v[60:61], v[36:37] op_sel_hi:[0,1]
	v_add3_u32 v40, v40, v42, s8
	v_add3_u32 v35, v41, v35, s8
	v_perm_b32 v40, v35, v40, s9
	v_bfe_u32 v35, v37, 16, 1
	v_bfe_u32 v41, v36, 16, 1
	v_add3_u32 v36, v36, v41, s8
	v_add3_u32 v35, v37, v35, s8
	v_perm_b32 v41, v35, v36, s9
	v_cmp_gt_u32_e32 vcc, 16, v0
	ds_write2st64_b64 v50, v[52:53], v[48:49] offset1:1
	ds_write2st64_b64 v50, v[44:45], v[40:41] offset0:2 offset1:3
	s_and_saveexec_b64 s[4:5], vcc
	s_cbranch_execz .LBB399_15
; %bb.14:
	v_mov_b32_e32 v35, 0
	v_mov_b32_e32 v36, s7
	v_mad_u64_u32 v[36:37], s[10:11], s2, v36, v[34:35]
	v_mov_b32_e32 v34, s28
	s_load_dwordx4 s[12:15], s[0:1], 0x58
	s_mul_i32 s3, s3, s7
	v_mad_u64_u32 v[34:35], s[10:11], v36, s6, v[34:35]
	v_add_u32_e32 v37, s3, v37
	v_mov_b32_e32 v36, v35
	v_mad_u64_u32 v[36:37], s[10:11], v37, s6, v[36:37]
	v_mov_b32_e32 v35, v36
	v_lshlrev_b64 v[34:35], 2, v[34:35]
	s_waitcnt lgkmcnt(0)
	v_lshl_add_u64 v[36:37], s[14:15], 0, v[34:35]
	v_lshl_add_u64 v[34:35], s[12:13], 0, v[34:35]
	global_store_dword v[36:37], v56, off
	global_store_dword v[34:35], v57, off
.LBB399_15:
	s_or_b64 exec, exec, s[4:5]
	s_waitcnt lgkmcnt(0)
	s_barrier
	ds_read_b128 v[34:37], v39
	ds_read_b128 v[40:43], v39 offset:16
	s_waitcnt vmcnt(7) lgkmcnt(1)
	v_mfma_f32_16x16x16_bf16 v[44:47], v[6:7], v[34:35], 0
	v_cmp_gt_u32_e32 vcc, 64, v0
	s_mov_b32 s3, 0
	s_and_b64 s[4:5], vcc, s[30:31]
	v_mfma_f32_16x16x16_bf16 v[6:9], v[8:9], v[36:37], v[44:47]
	s_waitcnt vmcnt(6) lgkmcnt(0)
	v_mfma_f32_16x16x16_bf16 v[6:9], v[2:3], v[40:41], v[6:9]
	v_mfma_f32_16x16x16_bf16 v[2:5], v[4:5], v[42:43], v[6:9]
	s_nop 5
	ds_read_b128 v[6:9], v39 offset:2048
	ds_read_b128 v[34:37], v39 offset:2064
	s_waitcnt vmcnt(5) lgkmcnt(1)
	v_mfma_f32_16x16x16_bf16 v[2:5], v[30:31], v[6:7], v[2:5]
	v_mfma_f32_16x16x16_bf16 v[2:5], v[32:33], v[8:9], v[2:5]
	s_waitcnt vmcnt(4) lgkmcnt(0)
	v_mfma_f32_16x16x16_bf16 v[2:5], v[26:27], v[34:35], v[2:5]
	v_mfma_f32_16x16x16_bf16 v[2:5], v[28:29], v[36:37], v[2:5]
	ds_read_b128 v[6:9], v39 offset:4096
	ds_read_b128 v[26:29], v39 offset:4112
	s_waitcnt vmcnt(3) lgkmcnt(1)
	v_mfma_f32_16x16x16_bf16 v[2:5], v[22:23], v[6:7], v[2:5]
	v_mfma_f32_16x16x16_bf16 v[2:5], v[24:25], v[8:9], v[2:5]
	s_waitcnt vmcnt(2) lgkmcnt(0)
	v_mfma_f32_16x16x16_bf16 v[2:5], v[18:19], v[26:27], v[2:5]
	v_mfma_f32_16x16x16_bf16 v[2:5], v[20:21], v[28:29], v[2:5]
	ds_read_b128 v[6:9], v39 offset:6144
	ds_read_b128 v[18:21], v39 offset:6160
	v_mov_b32_e32 v39, 0
	s_waitcnt vmcnt(1) lgkmcnt(0)
	v_mfma_f32_16x16x16_bf16 v[2:5], v[14:15], v[6:7], v[2:5]
	s_barrier
	v_mfma_f32_16x16x16_bf16 v[2:5], v[16:17], v[8:9], v[2:5]
	s_waitcnt vmcnt(0)
	v_mfma_f32_16x16x16_bf16 v[2:5], v[10:11], v[18:19], v[2:5]
	v_mfma_f32_16x16x16_bf16 v[2:5], v[12:13], v[20:21], v[2:5]
	s_nop 6
	v_bfe_u32 v6, v3, 16, 1
	v_bfe_u32 v7, v2, 16, 1
	;; [unrolled: 1-line block ×4, first 2 shown]
	v_add3_u32 v2, v2, v7, s8
	v_add3_u32 v3, v3, v6, s8
	;; [unrolled: 1-line block ×4, first 2 shown]
	v_perm_b32 v2, v3, v2, s9
	v_perm_b32 v3, v5, v4, s9
	ds_write_b64 v50, v[2:3]
	s_waitcnt lgkmcnt(0)
	s_barrier
	s_and_saveexec_b64 s[8:9], s[4:5]
	s_cbranch_execz .LBB399_17
; %bb.16:
	s_load_dwordx2 s[0:1], s[0:1], 0x68
	s_lshl_b32 s6, s6, 6
	s_mul_i32 s2, s7, s2
	s_mul_hi_u32 s5, s2, s6
	s_mul_i32 s4, s2, s6
	s_lshl_b64 s[4:5], s[4:5], 1
	s_waitcnt lgkmcnt(0)
	s_add_u32 s4, s0, s4
	s_addc_u32 s5, s1, s5
	s_lshl_b32 s2, s28, 6
	v_lshlrev_b32_e32 v0, 10, v0
	s_lshl_b64 s[0:1], s[2:3], 1
	v_and_b32_e32 v0, 0x1800, v0
	v_lshlrev_b32_e32 v2, 5, v1
	v_and_b32_e32 v3, 16, v54
	s_add_u32 s0, s4, s0
	v_or3_b32 v0, v0, v2, v3
	s_addc_u32 s1, s5, s1
	v_or_b32_e32 v20, s29, v1
	ds_read_b128 v[2:5], v0
	ds_read_b128 v[6:9], v0 offset:128
	ds_read_b128 v[10:13], v0 offset:256
	;; [unrolled: 1-line block ×3, first 2 shown]
	v_lshl_add_u64 v[18:19], s[0:1], 0, v[38:39]
	v_mad_u64_u32 v[0:1], s[0:1], v20, s6, 0
	v_lshl_add_u64 v[0:1], v[0:1], 1, v[18:19]
	s_waitcnt lgkmcnt(3)
	global_store_dwordx4 v[0:1], v[2:5], off
	v_or_b32_e32 v0, 4, v20
	v_mad_u64_u32 v[0:1], s[0:1], v0, s6, 0
	v_lshl_add_u64 v[0:1], v[0:1], 1, v[18:19]
	s_waitcnt lgkmcnt(2)
	global_store_dwordx4 v[0:1], v[6:9], off
	v_or_b32_e32 v0, 8, v20
	;; [unrolled: 5-line block ×3, first 2 shown]
	v_mad_u64_u32 v[0:1], s[0:1], v0, s6, 0
	v_lshl_add_u64 v[0:1], v[0:1], 1, v[18:19]
	s_waitcnt lgkmcnt(0)
	global_store_dwordx4 v[0:1], v[14:17], off
.LBB399_17:
	s_endpgm
	.section	.rodata,"a",@progbits
	.p2align	6, 0x0
	.amdhsa_kernel _Z39paged_attention_ll4mi_QKV_mfma16_kernelI14__hip_bfloat16S0_LN4vllm18Fp8KVCacheDataTypeE0EhLi16ELi64ELi256ELb1ELi16EEvPKT_PKT0_S8_ifPKiSA_SA_iPKfiiiPfSD_PS3_PT2_iSC_SC_
		.amdhsa_group_segment_fixed_size 8192
		.amdhsa_private_segment_fixed_size 0
		.amdhsa_kernarg_size 400
		.amdhsa_user_sgpr_count 2
		.amdhsa_user_sgpr_dispatch_ptr 0
		.amdhsa_user_sgpr_queue_ptr 0
		.amdhsa_user_sgpr_kernarg_segment_ptr 1
		.amdhsa_user_sgpr_dispatch_id 0
		.amdhsa_user_sgpr_kernarg_preload_length 0
		.amdhsa_user_sgpr_kernarg_preload_offset 0
		.amdhsa_user_sgpr_private_segment_size 0
		.amdhsa_uses_dynamic_stack 0
		.amdhsa_enable_private_segment 0
		.amdhsa_system_sgpr_workgroup_id_x 1
		.amdhsa_system_sgpr_workgroup_id_y 1
		.amdhsa_system_sgpr_workgroup_id_z 1
		.amdhsa_system_sgpr_workgroup_info 0
		.amdhsa_system_vgpr_workitem_id 0
		.amdhsa_next_free_vgpr 72
		.amdhsa_next_free_sgpr 48
		.amdhsa_accum_offset 72
		.amdhsa_reserve_vcc 1
		.amdhsa_float_round_mode_32 0
		.amdhsa_float_round_mode_16_64 0
		.amdhsa_float_denorm_mode_32 3
		.amdhsa_float_denorm_mode_16_64 3
		.amdhsa_dx10_clamp 1
		.amdhsa_ieee_mode 1
		.amdhsa_fp16_overflow 0
		.amdhsa_tg_split 0
		.amdhsa_exception_fp_ieee_invalid_op 0
		.amdhsa_exception_fp_denorm_src 0
		.amdhsa_exception_fp_ieee_div_zero 0
		.amdhsa_exception_fp_ieee_overflow 0
		.amdhsa_exception_fp_ieee_underflow 0
		.amdhsa_exception_fp_ieee_inexact 0
		.amdhsa_exception_int_div_zero 0
	.end_amdhsa_kernel
	.section	.text._Z39paged_attention_ll4mi_QKV_mfma16_kernelI14__hip_bfloat16S0_LN4vllm18Fp8KVCacheDataTypeE0EhLi16ELi64ELi256ELb1ELi16EEvPKT_PKT0_S8_ifPKiSA_SA_iPKfiiiPfSD_PS3_PT2_iSC_SC_,"axG",@progbits,_Z39paged_attention_ll4mi_QKV_mfma16_kernelI14__hip_bfloat16S0_LN4vllm18Fp8KVCacheDataTypeE0EhLi16ELi64ELi256ELb1ELi16EEvPKT_PKT0_S8_ifPKiSA_SA_iPKfiiiPfSD_PS3_PT2_iSC_SC_,comdat
.Lfunc_end399:
	.size	_Z39paged_attention_ll4mi_QKV_mfma16_kernelI14__hip_bfloat16S0_LN4vllm18Fp8KVCacheDataTypeE0EhLi16ELi64ELi256ELb1ELi16EEvPKT_PKT0_S8_ifPKiSA_SA_iPKfiiiPfSD_PS3_PT2_iSC_SC_, .Lfunc_end399-_Z39paged_attention_ll4mi_QKV_mfma16_kernelI14__hip_bfloat16S0_LN4vllm18Fp8KVCacheDataTypeE0EhLi16ELi64ELi256ELb1ELi16EEvPKT_PKT0_S8_ifPKiSA_SA_iPKfiiiPfSD_PS3_PT2_iSC_SC_
                                        ; -- End function
	.section	.AMDGPU.csdata,"",@progbits
; Kernel info:
; codeLenInByte = 4308
; NumSgprs: 54
; NumVgprs: 72
; NumAgprs: 0
; TotalNumVgprs: 72
; ScratchSize: 0
; MemoryBound: 0
; FloatMode: 240
; IeeeMode: 1
; LDSByteSize: 8192 bytes/workgroup (compile time only)
; SGPRBlocks: 6
; VGPRBlocks: 8
; NumSGPRsForWavesPerEU: 54
; NumVGPRsForWavesPerEU: 72
; AccumOffset: 72
; Occupancy: 7
; WaveLimiterHint : 1
; COMPUTE_PGM_RSRC2:SCRATCH_EN: 0
; COMPUTE_PGM_RSRC2:USER_SGPR: 2
; COMPUTE_PGM_RSRC2:TRAP_HANDLER: 0
; COMPUTE_PGM_RSRC2:TGID_X_EN: 1
; COMPUTE_PGM_RSRC2:TGID_Y_EN: 1
; COMPUTE_PGM_RSRC2:TGID_Z_EN: 1
; COMPUTE_PGM_RSRC2:TIDIG_COMP_CNT: 0
; COMPUTE_PGM_RSRC3_GFX90A:ACCUM_OFFSET: 17
; COMPUTE_PGM_RSRC3_GFX90A:TG_SPLIT: 0
	.section	.text._Z35paged_attention_ll4mi_reduce_kernelI14__hip_bfloat16hLi64ELi64ELi256ELi1EEvPT0_PKfS4_PKT_PKiS9_iS4_,"axG",@progbits,_Z35paged_attention_ll4mi_reduce_kernelI14__hip_bfloat16hLi64ELi64ELi256ELi1EEvPT0_PKfS4_PKT_PKiS9_iS4_,comdat
	.protected	_Z35paged_attention_ll4mi_reduce_kernelI14__hip_bfloat16hLi64ELi64ELi256ELi1EEvPT0_PKfS4_PKT_PKiS9_iS4_ ; -- Begin function _Z35paged_attention_ll4mi_reduce_kernelI14__hip_bfloat16hLi64ELi64ELi256ELi1EEvPT0_PKfS4_PKT_PKiS9_iS4_
	.globl	_Z35paged_attention_ll4mi_reduce_kernelI14__hip_bfloat16hLi64ELi64ELi256ELi1EEvPT0_PKfS4_PKT_PKiS9_iS4_
	.p2align	8
	.type	_Z35paged_attention_ll4mi_reduce_kernelI14__hip_bfloat16hLi64ELi64ELi256ELi1EEvPT0_PKfS4_PKT_PKiS9_iS4_,@function
_Z35paged_attention_ll4mi_reduce_kernelI14__hip_bfloat16hLi64ELi64ELi256ELi1EEvPT0_PKfS4_PKT_PKiS9_iS4_: ; @_Z35paged_attention_ll4mi_reduce_kernelI14__hip_bfloat16hLi64ELi64ELi256ELi1EEvPT0_PKfS4_PKT_PKiS9_iS4_
; %bb.0:
	s_load_dwordx2 s[14:15], s[0:1], 0x28
	s_mov_b32 s12, s3
	s_mov_b64 s[4:5], 0
	s_waitcnt lgkmcnt(0)
	s_cmp_lg_u64 s[14:15], 0
	s_cselect_b64 s[16:17], -1, 0
	s_and_b64 vcc, exec, s[16:17]
	s_cbranch_vccz .LBB400_19
; %bb.1:
	s_add_i32 s6, s12, 1
	s_mov_b32 s7, 0
	s_lshl_b64 s[8:9], s[6:7], 2
	s_add_u32 s8, s14, s8
	s_mov_b32 s13, s7
	s_addc_u32 s9, s15, s9
	s_lshl_b64 s[6:7], s[12:13], 2
	s_add_u32 s6, s14, s6
	s_addc_u32 s7, s15, s7
	s_load_dword s3, s[8:9], 0x0
	s_load_dword s10, s[6:7], 0x0
	s_waitcnt lgkmcnt(0)
	s_sub_i32 s3, s3, s10
	s_cmp_eq_u32 s3, 1
	s_cselect_b64 s[6:7], -1, 0
	s_andn2_b64 vcc, exec, s[4:5]
	s_cbranch_vccnz .LBB400_3
.LBB400_2:
	s_mov_b32 s13, 0
	s_mov_b64 s[6:7], -1
.LBB400_3:
	s_andn2_b64 vcc, exec, s[6:7]
	s_cbranch_vccz .LBB400_5
; %bb.4:
	s_endpgm
.LBB400_5:
	s_load_dwordx4 s[8:11], s[0:1], 0x18
	s_load_dword s20, s[0:1], 0x30
	s_lshl_b64 s[18:19], s[12:13], 2
	v_cmp_lt_u32_e32 vcc, 63, v0
	s_waitcnt lgkmcnt(0)
	s_add_u32 s4, s10, s18
	s_addc_u32 s5, s11, s19
	s_load_dword s24, s[4:5], 0x0
	s_load_dword s3, s[0:1], 0x40
	s_mul_i32 s10, s2, s20
	s_mul_i32 s6, s12, s20
	s_waitcnt lgkmcnt(0)
	s_add_i32 s7, s24, 0xff
	s_ashr_i32 s4, s7, 31
	s_lshr_b32 s4, s4, 24
	s_add_i32 s7, s7, s4
	s_and_saveexec_b64 s[4:5], vcc
	s_xor_b64 s[4:5], exec, s[4:5]
	s_or_saveexec_b64 s[20:21], s[4:5]
	s_ashr_i32 s25, s7, 8
	v_mov_b32_e32 v1, s10
	s_mul_i32 s22, s6, s3
	s_xor_b64 exec, exec, s[20:21]
	s_cbranch_execz .LBB400_9
; %bb.6:
	s_load_dwordx4 s[4:7], s[0:1], 0x8
	s_mov_b32 s23, 0
	s_lshl_b64 s[26:27], s[22:23], 2
	s_mov_b32 s11, s23
	v_cmp_gt_u32_e32 vcc, s25, v0
	s_waitcnt lgkmcnt(0)
	s_add_u32 s23, s6, s26
	s_addc_u32 s29, s7, s27
	s_lshl_b64 s[6:7], s[10:11], 2
	s_add_u32 s28, s23, s6
	s_addc_u32 s29, s29, s7
	s_add_i32 s11, s25, -1
	v_mov_b32_e32 v1, s11
	v_cndmask_b32_e32 v2, v1, v0, vcc
	v_ashrrev_i32_e32 v3, 31, v2
	v_lshlrev_b64 v[2:3], 2, v[2:3]
	v_lshl_add_u64 v[4:5], s[28:29], 0, v[2:3]
	global_load_dword v1, v[4:5], off
	s_add_u32 s4, s4, s26
	s_addc_u32 s5, s5, s27
	s_add_u32 s4, s4, s6
	s_addc_u32 s5, s5, s7
	v_lshl_add_u64 v[2:3], s[4:5], 0, v[2:3]
	global_load_dword v2, v[2:3], off
	v_mbcnt_lo_u32_b32 v3, -1, 0
	v_mbcnt_hi_u32_b32 v3, -1, v3
	v_and_b32_e32 v4, 64, v3
	v_xor_b32_e32 v5, 32, v3
	v_add_u32_e32 v4, 64, v4
	v_cmp_lt_i32_e64 s[4:5], v5, v4
	v_xor_b32_e32 v6, 16, v3
	v_xor_b32_e32 v9, 8, v3
	v_cndmask_b32_e64 v5, v3, v5, s[4:5]
	v_lshlrev_b32_e32 v5, 2, v5
	v_cmp_lt_i32_e64 s[4:5], v6, v4
	v_xor_b32_e32 v10, 4, v3
	v_xor_b32_e32 v11, 2, v3
	v_cndmask_b32_e64 v6, v3, v6, s[4:5]
	v_lshlrev_b32_e32 v6, 2, v6
	v_cmp_lt_i32_e64 s[4:5], v9, v4
	v_xor_b32_e32 v12, 1, v3
	s_mov_b32 s6, 0x42b17218
	v_cndmask_b32_e64 v9, v3, v9, s[4:5]
	v_lshlrev_b32_e32 v9, 2, v9
	v_cmp_lt_i32_e64 s[4:5], v10, v4
	s_waitcnt vmcnt(1)
	ds_bpermute_b32 v7, v5, v1
	v_max_f32_e32 v8, v1, v1
	v_cndmask_b32_e64 v10, v3, v10, s[4:5]
	v_lshlrev_b32_e32 v10, 2, v10
	v_cmp_lt_i32_e64 s[4:5], v11, v4
	s_waitcnt lgkmcnt(0)
	v_max_f32_e32 v7, v7, v7
	v_max_f32_e32 v7, v8, v7
	ds_bpermute_b32 v8, v6, v7
	v_cndmask_b32_e64 v11, v3, v11, s[4:5]
	v_lshlrev_b32_e32 v11, 2, v11
	v_cmp_lt_i32_e64 s[4:5], v12, v4
	s_waitcnt lgkmcnt(0)
	v_max_f32_e32 v8, v8, v8
	v_max_f32_e32 v7, v7, v8
	ds_bpermute_b32 v8, v9, v7
	v_cndmask_b32_e64 v3, v3, v12, s[4:5]
	v_lshlrev_b32_e32 v3, 2, v3
	s_mov_b32 s4, 0x3fb8aa3b
	s_waitcnt lgkmcnt(0)
	v_max_f32_e32 v8, v8, v8
	v_max_f32_e32 v7, v7, v8
	ds_bpermute_b32 v8, v10, v7
	s_waitcnt lgkmcnt(0)
	v_max_f32_e32 v8, v8, v8
	v_max_f32_e32 v7, v7, v8
	ds_bpermute_b32 v8, v11, v7
	s_waitcnt lgkmcnt(0)
	v_max_f32_e32 v4, v8, v8
	v_max_f32_e32 v4, v7, v4
	ds_bpermute_b32 v7, v3, v4
	s_waitcnt lgkmcnt(0)
	v_max_f32_e32 v7, v7, v7
	v_max_f32_e32 v4, v4, v7
	v_sub_f32_e32 v1, v1, v4
	v_mul_f32_e32 v4, 0x3fb8aa3b, v1
	v_fma_f32 v7, v1, s4, -v4
	v_rndne_f32_e32 v8, v4
	v_fmamk_f32 v7, v1, 0x32a5705f, v7
	v_sub_f32_e32 v4, v4, v8
	v_add_f32_e32 v4, v4, v7
	v_cvt_i32_f32_e32 v8, v8
	v_exp_f32_e32 v4, v4
	s_mov_b32 s4, 0xc2ce8ed0
	v_cmp_ngt_f32_e64 s[4:5], s4, v1
	v_mov_b32_e32 v7, 0x7f800000
	v_ldexp_f32 v4, v4, v8
	v_cndmask_b32_e64 v4, 0, v4, s[4:5]
	v_cmp_nlt_f32_e64 s[4:5], s6, v1
	s_nop 1
	v_cndmask_b32_e64 v1, v7, v4, s[4:5]
	v_cndmask_b32_e32 v1, 0, v1, vcc
	s_waitcnt vmcnt(0)
	v_mul_f32_e32 v4, v1, v2
	ds_bpermute_b32 v1, v5, v4
	v_cmp_eq_u32_e32 vcc, 0, v0
	s_waitcnt lgkmcnt(0)
	v_add_f32_e32 v1, v4, v1
	ds_bpermute_b32 v2, v6, v1
	s_waitcnt lgkmcnt(0)
	v_add_f32_e32 v1, v1, v2
	ds_bpermute_b32 v2, v9, v1
	;; [unrolled: 3-line block ×5, first 2 shown]
	v_lshlrev_b32_e32 v3, 2, v0
	ds_write_b32 v3, v4
	s_and_saveexec_b64 s[4:5], vcc
	s_cbranch_execz .LBB400_8
; %bb.7:
	s_waitcnt lgkmcnt(1)
	v_add_f32_e32 v1, v1, v2
	v_mov_b32_e32 v2, 0
	ds_write_b32 v2, v1 offset:256
.LBB400_8:
	s_or_b64 exec, exec, s[4:5]
	v_mov_b32_e32 v1, s10
.LBB400_9:
	s_or_b64 exec, exec, s[20:21]
	s_lshl_b32 s4, s22, 6
	s_mov_b32 s5, 0
	s_lshl_b64 s[4:5], s[4:5], 1
	s_waitcnt lgkmcnt(1)
	v_lshlrev_b32_e32 v2, 6, v1
	v_mov_b32_e32 v1, 0
	s_add_u32 s4, s8, s4
	v_mov_b32_e32 v3, v1
	s_addc_u32 s5, s9, s5
	v_lshl_add_u64 v[2:3], v[2:3], 1, s[4:5]
	s_lshl_b32 s4, s25, 6
	s_sub_i32 s6, s4, 64
	s_cmp_lt_i32 s24, 1
	s_cselect_b32 s4, s6, 0
	v_lshlrev_b32_e32 v4, 1, v0
	v_mov_b32_e32 v5, v1
	s_ashr_i32 s5, s4, 31
	v_lshl_add_u64 v[2:3], v[2:3], 0, v[4:5]
	s_cmpk_lt_i32 s24, 0x101
	v_lshl_add_u64 v[4:5], s[4:5], 1, v[2:3]
	s_cselect_b32 s4, s6, 64
	s_ashr_i32 s5, s4, 31
	s_cmpk_lt_i32 s24, 0x201
	v_lshl_add_u64 v[6:7], s[4:5], 1, v[2:3]
	s_cselect_b32 s4, s6, 0x80
	s_ashr_i32 s5, s4, 31
	;; [unrolled: 4-line block ×8, first 2 shown]
	s_cmpk_lt_i32 s24, 0x901
	global_load_ushort v23, v[4:5], off
	global_load_ushort v22, v[6:7], off
	;; [unrolled: 1-line block ×8, first 2 shown]
	v_lshl_add_u64 v[4:5], s[4:5], 1, v[2:3]
	s_cselect_b32 s4, s6, 0x240
	s_ashr_i32 s5, s4, 31
	s_cmpk_lt_i32 s24, 0xa01
	v_lshl_add_u64 v[6:7], s[4:5], 1, v[2:3]
	s_cselect_b32 s4, s6, 0x280
	s_ashr_i32 s5, s4, 31
	s_cmpk_lt_i32 s24, 0xb01
	;; [unrolled: 4-line block ×6, first 2 shown]
	v_lshl_add_u64 v[32:33], s[4:5], 1, v[2:3]
	s_cselect_b32 s4, s6, 0x3c0
	s_ashr_i32 s5, s4, 31
	v_lshl_add_u64 v[34:35], s[4:5], 1, v[2:3]
	global_load_ushort v30, v[4:5], off
	global_load_ushort v31, v[6:7], off
	;; [unrolled: 1-line block ×8, first 2 shown]
	s_cmpk_gt_i32 s24, 0x1000
	s_cselect_b64 s[4:5], -1, 0
	s_cmpk_lt_i32 s24, 0x1001
	v_mov_b32_e32 v40, 0
	v_mov_b32_e32 v41, 0
	;; [unrolled: 1-line block ×48, first 2 shown]
	s_waitcnt lgkmcnt(0)
	; wave barrier
	s_waitcnt lgkmcnt(0)
	s_cbranch_scc1 .LBB400_12
; %bb.10:
	s_cmpk_lt_u32 s24, 0x1101
	s_cselect_b32 s8, s6, 0x440
	s_ashr_i32 s9, s8, 31
	s_cmpk_lt_u32 s24, 0x1201
	v_lshl_add_u64 v[4:5], s[8:9], 1, v[2:3]
	s_cselect_b32 s8, s6, 0x480
	s_ashr_i32 s9, s8, 31
	s_cmpk_lt_u32 s24, 0x1301
	v_lshl_add_u64 v[6:7], s[8:9], 1, v[2:3]
	;; [unrolled: 4-line block ×7, first 2 shown]
	s_cselect_b32 s8, s6, 0x600
	s_ashr_i32 s9, s8, 31
	s_cmpk_lt_u32 s24, 0x1901
	global_load_ushort v39, v[2:3], off offset:2048
	global_load_ushort v38, v[4:5], off
	global_load_ushort v37, v[6:7], off
	;; [unrolled: 1-line block ×7, first 2 shown]
	v_lshl_add_u64 v[4:5], s[8:9], 1, v[2:3]
	s_cselect_b32 s8, s6, 0x640
	s_ashr_i32 s9, s8, 31
	s_cmpk_lt_u32 s24, 0x1a01
	v_lshl_add_u64 v[6:7], s[8:9], 1, v[2:3]
	s_cselect_b32 s8, s6, 0x680
	s_ashr_i32 s9, s8, 31
	s_cmpk_lt_u32 s24, 0x1b01
	;; [unrolled: 4-line block ×6, first 2 shown]
	v_lshl_add_u64 v[48:49], s[8:9], 1, v[2:3]
	s_cselect_b32 s8, s6, 0x7c0
	s_ashr_i32 s9, s8, 31
	v_lshl_add_u64 v[50:51], s[8:9], 1, v[2:3]
	global_load_ushort v47, v[4:5], off
	global_load_ushort v46, v[6:7], off
	;; [unrolled: 1-line block ×8, first 2 shown]
	s_cmpk_lt_u32 s24, 0x2001
	v_mov_b32_e32 v67, 0
	v_mov_b32_e32 v65, 0
	;; [unrolled: 1-line block ×32, first 2 shown]
	s_cbranch_scc1 .LBB400_12
; %bb.11:
	s_cmpk_lt_u32 s24, 0x2101
	s_cselect_b32 s8, s6, 0x840
	s_ashr_i32 s9, s8, 31
	s_cmpk_lt_u32 s24, 0x2201
	v_lshl_add_u64 v[4:5], s[8:9], 1, v[2:3]
	s_cselect_b32 s8, s6, 0x880
	s_ashr_i32 s9, s8, 31
	s_cmpk_lt_u32 s24, 0x2301
	v_lshl_add_u64 v[6:7], s[8:9], 1, v[2:3]
	;; [unrolled: 4-line block ×29, first 2 shown]
	s_cselect_b32 s8, s6, 0xf80
	s_ashr_i32 s9, s8, 31
	s_cmpk_lt_u32 s24, 0x3f01
	s_movk_i32 s7, 0x1000
	s_cselect_b32 s6, s6, 0xfc0
	v_add_co_u32_e32 v96, vcc, s7, v2
	s_ashr_i32 s7, s6, 31
	v_lshl_add_u64 v[94:95], s[8:9], 1, v[2:3]
	v_addc_co_u32_e32 v97, vcc, 0, v3, vcc
	v_lshl_add_u64 v[2:3], s[6:7], 1, v[2:3]
	global_load_ushort v98, v[96:97], off
	global_load_ushort v99, v[4:5], off
	;; [unrolled: 1-line block ×15, first 2 shown]
                                        ; kill: killed $vgpr52_vgpr53
                                        ; kill: killed $vgpr4_vgpr5
                                        ; kill: killed $vgpr58_vgpr59
                                        ; kill: killed $vgpr10_vgpr11
                                        ; kill: killed $vgpr48_vgpr49
                                        ; kill: killed $vgpr54_vgpr55
                                        ; kill: killed $vgpr6_vgpr7
                                        ; kill: killed $vgpr60_vgpr61
                                        ; kill: killed $vgpr12_vgpr13
                                        ; kill: killed $vgpr50_vgpr51
                                        ; kill: killed $vgpr56_vgpr57
                                        ; kill: killed $vgpr8_vgpr9
                                        ; kill: killed $vgpr62_vgpr63
                                        ; kill: killed $vgpr14_vgpr15
                                        ; kill: killed $vgpr96 killed $vgpr97
	global_load_ushort v4, v[64:65], off
	global_load_ushort v5, v[66:67], off
	;; [unrolled: 1-line block ×15, first 2 shown]
                                        ; kill: killed $vgpr84_vgpr85
                                        ; kill: killed $vgpr68_vgpr69
                                        ; kill: killed $vgpr90_vgpr91
                                        ; kill: killed $vgpr74_vgpr75
                                        ; kill: killed $vgpr80_vgpr81
                                        ; kill: killed $vgpr64_vgpr65
                                        ; kill: killed $vgpr70_vgpr71
                                        ; kill: killed $vgpr92_vgpr93
                                        ; kill: killed $vgpr76_vgpr77
                                        ; kill: killed $vgpr82_vgpr83
                                        ; kill: killed $vgpr66_vgpr67
                                        ; kill: killed $vgpr88_vgpr89
                                        ; kill: killed $vgpr72_vgpr73
                                        ; kill: killed $vgpr94_vgpr95
                                        ; kill: killed $vgpr78_vgpr79
	global_load_ushort v68, v[86:87], off
	s_waitcnt vmcnt(30)
	v_lshlrev_b32_e32 v67, 16, v98
	global_load_ushort v2, v[2:3], off
	s_waitcnt vmcnt(30)
	v_lshlrev_b32_e32 v65, 16, v99
	s_waitcnt vmcnt(28)
	v_lshlrev_b32_e32 v63, 16, v101
	v_lshlrev_b32_e32 v66, 16, v100
	s_waitcnt vmcnt(26)
	v_lshlrev_b32_e32 v61, 16, v103
	;; [unrolled: 3-line block ×7, first 2 shown]
	s_waitcnt vmcnt(16)
	v_lshlrev_b32_e32 v52, 16, v4
	s_waitcnt vmcnt(15)
	v_lshlrev_b32_e32 v51, 16, v5
	s_waitcnt vmcnt(14)
	v_lshlrev_b32_e32 v49, 16, v6
	s_waitcnt vmcnt(13)
	v_lshlrev_b32_e32 v50, 16, v7
	s_waitcnt vmcnt(12)
	v_lshlrev_b32_e32 v48, 16, v8
	s_waitcnt vmcnt(8)
	v_lshlrev_b32_e32 v15, 16, v12
	s_waitcnt vmcnt(7)
	v_lshlrev_b32_e32 v14, 16, v13
	v_lshlrev_b32_e32 v12, 16, v11
	v_lshlrev_b32_e32 v13, 16, v10
	;; [unrolled: 1-line block ×3, first 2 shown]
	s_waitcnt vmcnt(6)
	v_lshlrev_b32_e32 v11, 16, v96
	s_waitcnt vmcnt(2)
	v_lshlrev_b32_e32 v9, 16, v115
	v_lshlrev_b32_e32 v6, 16, v114
	;; [unrolled: 1-line block ×4, first 2 shown]
	s_waitcnt vmcnt(1)
	v_lshlrev_b32_e32 v8, 16, v68
	s_waitcnt vmcnt(0)
	v_lshlrev_b32_e32 v5, 16, v2
.LBB400_12:
	ds_read_b128 v[68:71], v1
	s_waitcnt vmcnt(15)
	v_lshlrev_b32_e32 v2, 16, v23
	ds_read_b128 v[72:75], v1 offset:16
	ds_read_b128 v[76:79], v1 offset:32
	;; [unrolled: 1-line block ×3, first 2 shown]
	s_waitcnt vmcnt(10)
	v_lshlrev_b32_e32 v3, 16, v19
	s_load_dwordx2 s[6:7], s[0:1], 0x38
	s_waitcnt lgkmcnt(0)
	v_fma_f32 v23, v68, v2, 0
	v_lshlrev_b32_e32 v2, 16, v22
	v_fmac_f32_e32 v23, v69, v2
	v_lshlrev_b32_e32 v2, 16, v21
	v_fmac_f32_e32 v23, v70, v2
	;; [unrolled: 2-line block ×3, first 2 shown]
	v_lshlrev_b32_e32 v2, 16, v18
	v_pk_mul_f32 v[2:3], v[72:73], v[2:3]
	s_andn2_b64 vcc, exec, s[4:5]
	v_add_f32_e32 v2, v23, v2
	v_add_f32_e32 v18, v2, v3
	s_waitcnt vmcnt(8)
	v_lshlrev_b32_e32 v3, 16, v17
	v_lshlrev_b32_e32 v2, 16, v16
	v_pk_mul_f32 v[2:3], v[74:75], v[2:3]
	s_nop 0
	v_add_f32_e32 v2, v18, v2
	v_add_f32_e32 v16, v2, v3
	s_waitcnt vmcnt(6)
	v_lshlrev_b32_e32 v3, 16, v31
	v_lshlrev_b32_e32 v2, 16, v30
	v_pk_mul_f32 v[2:3], v[76:77], v[2:3]
	s_nop 0
	;; [unrolled: 7-line block ×5, first 2 shown]
	v_add_f32_e32 v2, v16, v2
	v_add_f32_e32 v2, v2, v3
	s_cbranch_vccnz .LBB400_15
; %bb.13:
	ds_read_b128 v[16:19], v1 offset:64
	v_lshlrev_b32_e32 v3, 16, v39
	ds_read_b128 v[20:23], v1 offset:80
	ds_read_b128 v[24:27], v1 offset:96
	;; [unrolled: 1-line block ×3, first 2 shown]
	s_cmpk_lt_u32 s24, 0x2001
	s_waitcnt lgkmcnt(3)
	v_fmac_f32_e32 v2, v16, v3
	v_lshlrev_b32_e32 v3, 16, v38
	v_fmac_f32_e32 v2, v17, v3
	v_lshlrev_b32_e32 v3, 16, v37
	v_fmac_f32_e32 v2, v18, v3
	v_lshlrev_b32_e32 v3, 16, v36
	v_fmac_f32_e32 v2, v19, v3
	v_lshlrev_b32_e32 v3, 16, v35
	s_waitcnt lgkmcnt(2)
	v_fmac_f32_e32 v2, v20, v3
	v_lshlrev_b32_e32 v3, 16, v34
	v_fmac_f32_e32 v2, v21, v3
	v_lshlrev_b32_e32 v3, 16, v33
	v_fmac_f32_e32 v2, v22, v3
	v_lshlrev_b32_e32 v3, 16, v32
	v_fmac_f32_e32 v2, v23, v3
	v_lshlrev_b32_e32 v3, 16, v47
	;; [unrolled: 9-line block ×3, first 2 shown]
	s_waitcnt lgkmcnt(0)
	v_fmac_f32_e32 v2, v28, v3
	v_lshlrev_b32_e32 v3, 16, v42
	v_fmac_f32_e32 v2, v29, v3
	v_lshlrev_b32_e32 v3, 16, v41
	;; [unrolled: 2-line block ×3, first 2 shown]
	v_fmac_f32_e32 v2, v31, v3
	s_cbranch_scc1 .LBB400_15
; %bb.14:
	v_mov_b32_e32 v32, 0
	ds_read_b128 v[16:19], v32 offset:128
	ds_read_b128 v[20:23], v32 offset:144
	;; [unrolled: 1-line block ×4, first 2 shown]
	s_waitcnt lgkmcnt(3)
	v_fmac_f32_e32 v2, v16, v67
	v_fmac_f32_e32 v2, v17, v65
	v_fmac_f32_e32 v2, v18, v66
	v_fmac_f32_e32 v2, v19, v63
	s_waitcnt lgkmcnt(2)
	v_fmac_f32_e32 v2, v20, v64
	v_fmac_f32_e32 v2, v21, v61
	v_fmac_f32_e32 v2, v22, v62
	v_fmac_f32_e32 v2, v23, v59
	;; [unrolled: 5-line block ×3, first 2 shown]
	ds_read_b128 v[16:19], v32 offset:192
	ds_read_b128 v[20:23], v32 offset:208
	s_waitcnt lgkmcnt(2)
	v_fmac_f32_e32 v2, v28, v56
	v_fmac_f32_e32 v2, v29, v53
	;; [unrolled: 1-line block ×4, first 2 shown]
	s_waitcnt lgkmcnt(1)
	v_fmac_f32_e32 v2, v16, v51
	v_fmac_f32_e32 v2, v17, v49
	;; [unrolled: 1-line block ×4, first 2 shown]
	s_waitcnt lgkmcnt(0)
	v_pk_mul_f32 v[14:15], v[20:21], v[14:15]
	s_nop 0
	v_add_f32_e32 v2, v2, v14
	v_add_f32_e32 v18, v2, v15
	ds_read_b128 v[14:17], v32 offset:224
	v_pk_mul_f32 v[2:3], v[22:23], v[12:13]
	s_nop 0
	v_add_f32_e32 v2, v18, v2
	ds_read_b128 v[18:21], v32 offset:240
	v_add_f32_e32 v12, v2, v3
	s_waitcnt lgkmcnt(1)
	v_pk_mul_f32 v[2:3], v[14:15], v[10:11]
	s_nop 0
	v_add_f32_e32 v2, v12, v2
	v_add_f32_e32 v10, v2, v3
	v_pk_mul_f32 v[2:3], v[16:17], v[8:9]
	s_nop 0
	v_add_f32_e32 v2, v10, v2
	v_add_f32_e32 v8, v2, v3
	s_waitcnt lgkmcnt(0)
	v_pk_mul_f32 v[2:3], v[18:19], v[6:7]
	s_nop 0
	v_add_f32_e32 v2, v8, v2
	v_add_f32_e32 v6, v2, v3
	v_pk_mul_f32 v[2:3], v[20:21], v[4:5]
	s_nop 0
	v_add_f32_e32 v2, v6, v2
	v_add_f32_e32 v2, v2, v3
.LBB400_15:
	s_load_dwordx2 s[0:1], s[0:1], 0x0
	ds_read_b32 v3, v1 offset:256
	s_cmp_eq_u64 s[6:7], 0
	s_cbranch_scc1 .LBB400_20
; %bb.16:
	s_load_dword s6, s[6:7], 0x0
	s_waitcnt lgkmcnt(0)
	v_div_scale_f32 v4, s[4:5], s6, s6, 1.0
	v_rcp_f32_e32 v5, v4
	v_div_scale_f32 v6, vcc, 1.0, s6, 1.0
	v_fma_f32 v7, -v4, v5, 1.0
	v_fmac_f32_e32 v5, v7, v5
	v_mul_f32_e32 v7, v6, v5
	v_fma_f32 v8, -v4, v7, v6
	v_fmac_f32_e32 v7, v8, v5
	v_fma_f32 v4, -v4, v7, v6
	v_div_fmas_f32 v4, v4, v5, v7
	v_div_fixup_f32 v4, v4, s6, 1.0
	s_andn2_b64 vcc, exec, s[16:17]
	s_cbranch_vccnz .LBB400_18
.LBB400_17:
	s_add_u32 s4, s14, s18
	s_addc_u32 s5, s15, s19
	s_load_dword s12, s[4:5], 0x0
	s_mov_b32 s13, 0
.LBB400_18:
	s_waitcnt lgkmcnt(0)
	v_add_f32_e32 v3, 0x358637bd, v3
	v_div_scale_f32 v5, s[4:5], v3, v3, 1.0
	v_rcp_f32_e32 v6, v5
	v_div_scale_f32 v7, vcc, 1.0, v3, 1.0
	s_mul_i32 s4, s3, s13
	v_fma_f32 v8, -v5, v6, 1.0
	v_fmac_f32_e32 v6, v8, v6
	v_mul_f32_e32 v8, v7, v6
	v_fma_f32 v9, -v5, v8, v7
	v_fmac_f32_e32 v8, v9, v6
	v_fma_f32 v5, -v5, v8, v7
	s_mul_hi_u32 s5, s3, s12
	v_div_fmas_f32 v5, v5, v6, v8
	s_add_i32 s5, s5, s4
	s_mul_i32 s4, s3, s12
	v_div_fixup_f32 v3, v5, v3, 1.0
	s_lshl_b64 s[4:5], s[4:5], 6
	v_mul_f32_e32 v2, v2, v3
	s_add_u32 s4, s0, s4
	s_mov_b32 s3, 0
	v_mul_f32_e32 v2, v2, v4
	s_addc_u32 s5, s1, s5
	s_lshl_b64 s[0:1], s[2:3], 6
	s_mov_b32 s2, 0x7f800000
	s_mov_b32 s3, 0x43700000
	v_mov_b32_e32 v3, 0xc3700000
	v_med3_f32 v3, v2, s3, v3
	v_cmp_nlg_f32_e64 vcc, |v2|, s2
	s_add_u32 s0, s4, s0
	s_addc_u32 s1, s5, s1
	v_cndmask_b32_e32 v2, v3, v2, vcc
	v_mov_b32_e32 v3, 0
	v_cvt_pk_fp8_f32 v3, v2, v2
	v_lshl_add_u64 v[0:1], s[0:1], 0, v[0:1]
	global_store_byte v[0:1], v3, off
	s_endpgm
.LBB400_19:
	s_mov_b64 s[6:7], 0
	s_branch .LBB400_2
.LBB400_20:
	v_mov_b32_e32 v4, 1.0
	s_andn2_b64 vcc, exec, s[16:17]
	s_cbranch_vccz .LBB400_17
	s_branch .LBB400_18
	.section	.rodata,"a",@progbits
	.p2align	6, 0x0
	.amdhsa_kernel _Z35paged_attention_ll4mi_reduce_kernelI14__hip_bfloat16hLi64ELi64ELi256ELi1EEvPT0_PKfS4_PKT_PKiS9_iS4_
		.amdhsa_group_segment_fixed_size 260
		.amdhsa_private_segment_fixed_size 0
		.amdhsa_kernarg_size 320
		.amdhsa_user_sgpr_count 2
		.amdhsa_user_sgpr_dispatch_ptr 0
		.amdhsa_user_sgpr_queue_ptr 0
		.amdhsa_user_sgpr_kernarg_segment_ptr 1
		.amdhsa_user_sgpr_dispatch_id 0
		.amdhsa_user_sgpr_kernarg_preload_length 0
		.amdhsa_user_sgpr_kernarg_preload_offset 0
		.amdhsa_user_sgpr_private_segment_size 0
		.amdhsa_uses_dynamic_stack 0
		.amdhsa_enable_private_segment 0
		.amdhsa_system_sgpr_workgroup_id_x 1
		.amdhsa_system_sgpr_workgroup_id_y 1
		.amdhsa_system_sgpr_workgroup_id_z 0
		.amdhsa_system_sgpr_workgroup_info 0
		.amdhsa_system_vgpr_workitem_id 0
		.amdhsa_next_free_vgpr 116
		.amdhsa_next_free_sgpr 30
		.amdhsa_accum_offset 116
		.amdhsa_reserve_vcc 1
		.amdhsa_float_round_mode_32 0
		.amdhsa_float_round_mode_16_64 0
		.amdhsa_float_denorm_mode_32 3
		.amdhsa_float_denorm_mode_16_64 3
		.amdhsa_dx10_clamp 1
		.amdhsa_ieee_mode 1
		.amdhsa_fp16_overflow 0
		.amdhsa_tg_split 0
		.amdhsa_exception_fp_ieee_invalid_op 0
		.amdhsa_exception_fp_denorm_src 0
		.amdhsa_exception_fp_ieee_div_zero 0
		.amdhsa_exception_fp_ieee_overflow 0
		.amdhsa_exception_fp_ieee_underflow 0
		.amdhsa_exception_fp_ieee_inexact 0
		.amdhsa_exception_int_div_zero 0
	.end_amdhsa_kernel
	.section	.text._Z35paged_attention_ll4mi_reduce_kernelI14__hip_bfloat16hLi64ELi64ELi256ELi1EEvPT0_PKfS4_PKT_PKiS9_iS4_,"axG",@progbits,_Z35paged_attention_ll4mi_reduce_kernelI14__hip_bfloat16hLi64ELi64ELi256ELi1EEvPT0_PKfS4_PKT_PKiS9_iS4_,comdat
.Lfunc_end400:
	.size	_Z35paged_attention_ll4mi_reduce_kernelI14__hip_bfloat16hLi64ELi64ELi256ELi1EEvPT0_PKfS4_PKT_PKiS9_iS4_, .Lfunc_end400-_Z35paged_attention_ll4mi_reduce_kernelI14__hip_bfloat16hLi64ELi64ELi256ELi1EEvPT0_PKfS4_PKT_PKiS9_iS4_
                                        ; -- End function
	.section	.AMDGPU.csdata,"",@progbits
; Kernel info:
; codeLenInByte = 4712
; NumSgprs: 36
; NumVgprs: 116
; NumAgprs: 0
; TotalNumVgprs: 116
; ScratchSize: 0
; MemoryBound: 0
; FloatMode: 240
; IeeeMode: 1
; LDSByteSize: 260 bytes/workgroup (compile time only)
; SGPRBlocks: 4
; VGPRBlocks: 14
; NumSGPRsForWavesPerEU: 36
; NumVGPRsForWavesPerEU: 116
; AccumOffset: 116
; Occupancy: 4
; WaveLimiterHint : 1
; COMPUTE_PGM_RSRC2:SCRATCH_EN: 0
; COMPUTE_PGM_RSRC2:USER_SGPR: 2
; COMPUTE_PGM_RSRC2:TRAP_HANDLER: 0
; COMPUTE_PGM_RSRC2:TGID_X_EN: 1
; COMPUTE_PGM_RSRC2:TGID_Y_EN: 1
; COMPUTE_PGM_RSRC2:TGID_Z_EN: 0
; COMPUTE_PGM_RSRC2:TIDIG_COMP_CNT: 0
; COMPUTE_PGM_RSRC3_GFX90A:ACCUM_OFFSET: 28
; COMPUTE_PGM_RSRC3_GFX90A:TG_SPLIT: 0
	.section	.text._Z35paged_attention_ll4mi_reduce_kernelI14__hip_bfloat16hLi64ELi64ELi256ELi2EEvPT0_PKfS4_PKT_PKiS9_iS4_,"axG",@progbits,_Z35paged_attention_ll4mi_reduce_kernelI14__hip_bfloat16hLi64ELi64ELi256ELi2EEvPT0_PKfS4_PKT_PKiS9_iS4_,comdat
	.protected	_Z35paged_attention_ll4mi_reduce_kernelI14__hip_bfloat16hLi64ELi64ELi256ELi2EEvPT0_PKfS4_PKT_PKiS9_iS4_ ; -- Begin function _Z35paged_attention_ll4mi_reduce_kernelI14__hip_bfloat16hLi64ELi64ELi256ELi2EEvPT0_PKfS4_PKT_PKiS9_iS4_
	.globl	_Z35paged_attention_ll4mi_reduce_kernelI14__hip_bfloat16hLi64ELi64ELi256ELi2EEvPT0_PKfS4_PKT_PKiS9_iS4_
	.p2align	8
	.type	_Z35paged_attention_ll4mi_reduce_kernelI14__hip_bfloat16hLi64ELi64ELi256ELi2EEvPT0_PKfS4_PKT_PKiS9_iS4_,@function
_Z35paged_attention_ll4mi_reduce_kernelI14__hip_bfloat16hLi64ELi64ELi256ELi2EEvPT0_PKfS4_PKT_PKiS9_iS4_: ; @_Z35paged_attention_ll4mi_reduce_kernelI14__hip_bfloat16hLi64ELi64ELi256ELi2EEvPT0_PKfS4_PKT_PKiS9_iS4_
; %bb.0:
	s_load_dwordx2 s[18:19], s[0:1], 0x28
	s_mov_b32 s16, s3
	s_mov_b64 s[4:5], 0
	s_waitcnt lgkmcnt(0)
	s_cmp_lg_u64 s[18:19], 0
	s_cselect_b64 s[20:21], -1, 0
	s_and_b64 vcc, exec, s[20:21]
	s_cbranch_vccz .LBB401_21
; %bb.1:
	s_add_i32 s6, s16, 1
	s_mov_b32 s7, 0
	s_lshl_b64 s[8:9], s[6:7], 2
	s_add_u32 s8, s18, s8
	s_mov_b32 s17, s7
	s_addc_u32 s9, s19, s9
	s_lshl_b64 s[6:7], s[16:17], 2
	s_add_u32 s6, s18, s6
	s_addc_u32 s7, s19, s7
	s_load_dword s3, s[8:9], 0x0
	s_load_dword s10, s[6:7], 0x0
	s_waitcnt lgkmcnt(0)
	s_sub_i32 s3, s3, s10
	s_cmp_eq_u32 s3, 1
	s_cselect_b64 s[6:7], -1, 0
	s_andn2_b64 vcc, exec, s[4:5]
	s_cbranch_vccnz .LBB401_3
.LBB401_2:
	s_mov_b32 s17, 0
	s_mov_b64 s[6:7], -1
.LBB401_3:
	s_andn2_b64 vcc, exec, s[6:7]
	s_cbranch_vccz .LBB401_5
; %bb.4:
	s_endpgm
.LBB401_5:
	s_load_dwordx4 s[8:11], s[0:1], 0x18
	s_load_dword s12, s[0:1], 0x30
	s_lshl_b64 s[22:23], s[16:17], 2
	v_cmp_lt_u32_e32 vcc, 63, v0
	s_waitcnt lgkmcnt(0)
	s_add_u32 s4, s10, s22
	s_addc_u32 s5, s11, s23
	s_load_dword s28, s[4:5], 0x0
	s_load_dword s3, s[0:1], 0x40
	s_mul_i32 s10, s2, s12
	s_mul_i32 s6, s16, s12
	s_waitcnt lgkmcnt(0)
	s_add_i32 s7, s28, 0xff
	s_ashr_i32 s4, s7, 31
	s_lshr_b32 s4, s4, 24
	s_add_i32 s7, s7, s4
	s_and_saveexec_b64 s[4:5], vcc
	s_xor_b64 s[4:5], exec, s[4:5]
	s_or_saveexec_b64 s[24:25], s[4:5]
	s_ashr_i32 s29, s7, 8
	v_mov_b32_e32 v1, s10
	s_mul_i32 s26, s6, s3
	s_xor_b64 exec, exec, s[24:25]
	s_cbranch_execz .LBB401_9
; %bb.6:
	s_load_dwordx4 s[12:15], s[0:1], 0x8
	s_mov_b32 s27, 0
	s_add_i32 s4, s29, -1
	v_or_b32_e32 v3, 64, v0
	s_lshl_b64 s[30:31], s[26:27], 2
	s_mov_b32 s11, s27
	v_mov_b32_e32 v1, s4
	v_cmp_gt_u32_e64 s[4:5], s29, v3
	s_waitcnt lgkmcnt(0)
	s_add_u32 s6, s14, s30
	v_cmp_gt_u32_e32 vcc, s29, v0
	v_cndmask_b32_e64 v4, v1, v3, s[4:5]
	s_addc_u32 s7, s15, s31
	s_lshl_b64 s[14:15], s[10:11], 2
	v_cndmask_b32_e32 v2, v1, v0, vcc
	s_add_u32 s6, s6, s14
	v_ashrrev_i32_e32 v5, 31, v4
	s_addc_u32 s7, s7, s15
	v_ashrrev_i32_e32 v3, 31, v2
	v_lshlrev_b64 v[4:5], 2, v[4:5]
	v_lshlrev_b64 v[2:3], 2, v[2:3]
	v_lshl_add_u64 v[8:9], s[6:7], 0, v[4:5]
	v_lshl_add_u64 v[6:7], s[6:7], 0, v[2:3]
	global_load_dword v1, v[8:9], off
	global_load_dword v10, v[6:7], off
	v_mbcnt_lo_u32_b32 v6, -1, 0
	v_mbcnt_hi_u32_b32 v6, -1, v6
	v_and_b32_e32 v7, 64, v6
	v_xor_b32_e32 v8, 32, v6
	v_add_u32_e32 v7, 64, v7
	v_cmp_lt_i32_e64 s[6:7], v8, v7
	v_xor_b32_e32 v12, 4, v6
	v_xor_b32_e32 v13, 2, v6
	v_cndmask_b32_e64 v8, v6, v8, s[6:7]
	s_add_u32 s6, s12, s30
	s_addc_u32 s7, s13, s31
	s_add_u32 s6, s6, s14
	s_addc_u32 s7, s7, s15
	v_lshl_add_u64 v[2:3], s[6:7], 0, v[2:3]
	v_lshl_add_u64 v[4:5], s[6:7], 0, v[4:5]
	global_load_dword v9, v[2:3], off
	global_load_dword v11, v[4:5], off
	v_lshlrev_b32_e32 v2, 2, v8
	v_xor_b32_e32 v5, 16, v6
	v_cmp_lt_i32_e64 s[6:7], v5, v7
	v_xor_b32_e32 v8, 8, v6
	v_xor_b32_e32 v14, 1, v6
	v_cndmask_b32_e64 v5, v6, v5, s[6:7]
	v_lshlrev_b32_e32 v5, 2, v5
	v_cmp_lt_i32_e64 s[6:7], v8, v7
	s_mov_b32 s11, 0xc2ce8ed0
	s_mov_b32 s12, 0x42b17218
	v_cndmask_b32_e64 v8, v6, v8, s[6:7]
	v_lshlrev_b32_e32 v8, 2, v8
	v_cmp_lt_i32_e64 s[6:7], v12, v7
	s_waitcnt vmcnt(3)
	v_max_f32_e32 v3, v1, v1
	s_waitcnt vmcnt(2)
	v_max_f32_e32 v4, v10, v10
	v_max_f32_e32 v3, v4, v3
	ds_bpermute_b32 v4, v2, v3
	v_cndmask_b32_e64 v12, v6, v12, s[6:7]
	v_lshlrev_b32_e32 v12, 2, v12
	v_cmp_lt_i32_e64 s[6:7], v13, v7
	s_waitcnt lgkmcnt(0)
	v_max_f32_e32 v4, v4, v4
	v_max_f32_e32 v3, v3, v4
	ds_bpermute_b32 v4, v5, v3
	v_cndmask_b32_e64 v13, v6, v13, s[6:7]
	v_lshlrev_b32_e32 v13, 2, v13
	v_cmp_lt_i32_e64 s[6:7], v14, v7
	s_waitcnt lgkmcnt(0)
	v_max_f32_e32 v4, v4, v4
	v_max_f32_e32 v3, v3, v4
	ds_bpermute_b32 v4, v8, v3
	v_cndmask_b32_e64 v6, v6, v14, s[6:7]
	v_lshlrev_b32_e32 v6, 2, v6
	s_mov_b32 s6, 0x3fb8aa3b
	s_waitcnt lgkmcnt(0)
	v_max_f32_e32 v4, v4, v4
	v_max_f32_e32 v3, v3, v4
	ds_bpermute_b32 v4, v12, v3
	s_waitcnt lgkmcnt(0)
	v_max_f32_e32 v4, v4, v4
	v_max_f32_e32 v3, v3, v4
	ds_bpermute_b32 v4, v13, v3
	;; [unrolled: 4-line block ×3, first 2 shown]
	s_waitcnt lgkmcnt(0)
	v_max_f32_e32 v4, v4, v4
	v_max_f32_e32 v3, v3, v4
	v_sub_f32_e32 v4, v10, v3
	v_sub_f32_e32 v1, v1, v3
	v_mul_f32_e32 v3, 0x3fb8aa3b, v4
	v_mul_f32_e32 v7, 0x3fb8aa3b, v1
	v_fma_f32 v10, v4, s6, -v3
	v_rndne_f32_e32 v14, v3
	v_fma_f32 v15, v1, s6, -v7
	v_rndne_f32_e32 v16, v7
	v_fmac_f32_e32 v10, 0x32a5705f, v4
	v_sub_f32_e32 v3, v3, v14
	v_fmac_f32_e32 v15, 0x32a5705f, v1
	v_sub_f32_e32 v7, v7, v16
	v_add_f32_e32 v3, v3, v10
	v_cvt_i32_f32_e32 v14, v14
	v_add_f32_e32 v7, v7, v15
	v_exp_f32_e32 v3, v3
	v_cvt_i32_f32_e32 v16, v16
	v_exp_f32_e32 v7, v7
	v_cmp_ngt_f32_e64 s[6:7], s11, v4
	v_ldexp_f32 v3, v3, v14
	v_mov_b32_e32 v10, 0x7f800000
	v_ldexp_f32 v7, v7, v16
	v_cndmask_b32_e64 v3, 0, v3, s[6:7]
	v_cmp_ngt_f32_e64 s[6:7], s11, v1
	v_lshlrev_b32_e32 v15, 2, v0
	s_nop 0
	v_cndmask_b32_e64 v7, 0, v7, s[6:7]
	v_cmp_nlt_f32_e64 s[6:7], s12, v4
	s_nop 1
	v_cndmask_b32_e64 v3, v10, v3, s[6:7]
	v_cmp_nlt_f32_e64 s[6:7], s12, v1
	v_cndmask_b32_e32 v3, 0, v3, vcc
	s_waitcnt vmcnt(1)
	v_mul_f32_e32 v3, v9, v3
	v_cndmask_b32_e64 v1, v10, v7, s[6:7]
	v_cndmask_b32_e64 v1, 0, v1, s[4:5]
	s_waitcnt vmcnt(0)
	v_mul_f32_e32 v4, v11, v1
	ds_write2st64_b32 v15, v3, v4 offset1:1
	v_fmac_f32_e32 v3, v11, v1
	ds_bpermute_b32 v1, v2, v3
	v_cmp_eq_u32_e32 vcc, 0, v0
	s_waitcnt lgkmcnt(0)
	v_add_f32_e32 v1, v3, v1
	ds_bpermute_b32 v2, v5, v1
	s_waitcnt lgkmcnt(0)
	v_add_f32_e32 v1, v1, v2
	ds_bpermute_b32 v2, v8, v1
	;; [unrolled: 3-line block ×5, first 2 shown]
	s_and_saveexec_b64 s[4:5], vcc
	s_cbranch_execz .LBB401_8
; %bb.7:
	s_waitcnt lgkmcnt(0)
	v_add_f32_e32 v1, v1, v2
	v_mov_b32_e32 v2, 0
	ds_write_b32 v2, v1 offset:512
.LBB401_8:
	s_or_b64 exec, exec, s[4:5]
	v_mov_b32_e32 v1, s10
.LBB401_9:
	s_or_b64 exec, exec, s[24:25]
	s_lshl_b32 s4, s26, 6
	s_mov_b32 s5, 0
	s_lshl_b64 s[4:5], s[4:5], 1
	s_waitcnt lgkmcnt(0)
	v_lshlrev_b32_e32 v2, 6, v1
	v_mov_b32_e32 v1, 0
	s_add_u32 s4, s8, s4
	v_mov_b32_e32 v3, v1
	s_addc_u32 s5, s9, s5
	v_lshl_add_u64 v[2:3], v[2:3], 1, s[4:5]
	s_lshl_b32 s4, s29, 6
	s_sub_i32 s6, s4, 64
	s_cmp_lt_i32 s28, 1
	s_cselect_b32 s4, s6, 0
	v_lshlrev_b32_e32 v4, 1, v0
	v_mov_b32_e32 v5, v1
	s_ashr_i32 s5, s4, 31
	v_lshl_add_u64 v[2:3], v[2:3], 0, v[4:5]
	s_cmpk_lt_i32 s28, 0x101
	v_lshl_add_u64 v[4:5], s[4:5], 1, v[2:3]
	s_cselect_b32 s4, s6, 64
	s_ashr_i32 s5, s4, 31
	s_cmpk_lt_i32 s28, 0x201
	v_lshl_add_u64 v[6:7], s[4:5], 1, v[2:3]
	s_cselect_b32 s4, s6, 0x80
	s_ashr_i32 s5, s4, 31
	;; [unrolled: 4-line block ×8, first 2 shown]
	s_cmpk_lt_i32 s28, 0x901
	global_load_ushort v23, v[4:5], off
	global_load_ushort v22, v[6:7], off
	;; [unrolled: 1-line block ×8, first 2 shown]
	v_lshl_add_u64 v[4:5], s[4:5], 1, v[2:3]
	s_cselect_b32 s4, s6, 0x240
	s_ashr_i32 s5, s4, 31
	s_cmpk_lt_i32 s28, 0xa01
	v_lshl_add_u64 v[6:7], s[4:5], 1, v[2:3]
	s_cselect_b32 s4, s6, 0x280
	s_ashr_i32 s5, s4, 31
	s_cmpk_lt_i32 s28, 0xb01
	;; [unrolled: 4-line block ×6, first 2 shown]
	v_lshl_add_u64 v[32:33], s[4:5], 1, v[2:3]
	s_cselect_b32 s4, s6, 0x3c0
	s_ashr_i32 s5, s4, 31
	v_lshl_add_u64 v[34:35], s[4:5], 1, v[2:3]
	global_load_ushort v30, v[4:5], off
	global_load_ushort v31, v[6:7], off
	;; [unrolled: 1-line block ×8, first 2 shown]
	s_cmpk_gt_i32 s28, 0x1000
	s_cselect_b64 s[4:5], -1, 0
	s_cmpk_lt_i32 s28, 0x1001
	v_mov_b32_e32 v40, 0
	v_mov_b32_e32 v41, 0
	;; [unrolled: 1-line block ×48, first 2 shown]
	s_waitcnt lgkmcnt(0)
	; wave barrier
	s_cbranch_scc1 .LBB401_12
; %bb.10:
	s_cmpk_lt_u32 s28, 0x1101
	s_cselect_b32 s8, s6, 0x440
	s_ashr_i32 s9, s8, 31
	s_cmpk_lt_u32 s28, 0x1201
	v_lshl_add_u64 v[4:5], s[8:9], 1, v[2:3]
	s_cselect_b32 s8, s6, 0x480
	s_ashr_i32 s9, s8, 31
	s_cmpk_lt_u32 s28, 0x1301
	v_lshl_add_u64 v[6:7], s[8:9], 1, v[2:3]
	;; [unrolled: 4-line block ×7, first 2 shown]
	s_cselect_b32 s8, s6, 0x600
	s_ashr_i32 s9, s8, 31
	s_cmpk_lt_u32 s28, 0x1901
	global_load_ushort v39, v[2:3], off offset:2048
	global_load_ushort v38, v[4:5], off
	global_load_ushort v37, v[6:7], off
	;; [unrolled: 1-line block ×7, first 2 shown]
	v_lshl_add_u64 v[4:5], s[8:9], 1, v[2:3]
	s_cselect_b32 s8, s6, 0x640
	s_ashr_i32 s9, s8, 31
	s_cmpk_lt_u32 s28, 0x1a01
	v_lshl_add_u64 v[6:7], s[8:9], 1, v[2:3]
	s_cselect_b32 s8, s6, 0x680
	s_ashr_i32 s9, s8, 31
	s_cmpk_lt_u32 s28, 0x1b01
	;; [unrolled: 4-line block ×6, first 2 shown]
	v_lshl_add_u64 v[48:49], s[8:9], 1, v[2:3]
	s_cselect_b32 s8, s6, 0x7c0
	s_ashr_i32 s9, s8, 31
	v_lshl_add_u64 v[50:51], s[8:9], 1, v[2:3]
	global_load_ushort v47, v[4:5], off
	global_load_ushort v46, v[6:7], off
	;; [unrolled: 1-line block ×8, first 2 shown]
	s_cmpk_lt_u32 s28, 0x2001
	v_mov_b32_e32 v67, 0
	v_mov_b32_e32 v65, 0
	;; [unrolled: 1-line block ×32, first 2 shown]
	s_cbranch_scc1 .LBB401_12
; %bb.11:
	s_cmpk_lt_u32 s28, 0x2101
	s_cselect_b32 s8, s6, 0x840
	s_ashr_i32 s9, s8, 31
	s_cmpk_lt_u32 s28, 0x2201
	v_lshl_add_u64 v[4:5], s[8:9], 1, v[2:3]
	s_cselect_b32 s8, s6, 0x880
	s_ashr_i32 s9, s8, 31
	s_cmpk_lt_u32 s28, 0x2301
	v_lshl_add_u64 v[6:7], s[8:9], 1, v[2:3]
	;; [unrolled: 4-line block ×29, first 2 shown]
	s_cselect_b32 s8, s6, 0xf80
	s_ashr_i32 s9, s8, 31
	s_movk_i32 s7, 0x1000
	s_cmpk_lt_u32 s28, 0x3f01
	v_lshl_add_u64 v[94:95], s[8:9], 1, v[2:3]
	v_add_co_u32_e32 v96, vcc, s7, v2
	s_cselect_b32 s8, s6, 0xfc0
	s_nop 0
	v_addc_co_u32_e32 v97, vcc, 0, v3, vcc
	s_ashr_i32 s9, s8, 31
	global_load_ushort v98, v[96:97], off
	global_load_ushort v99, v[4:5], off
	global_load_ushort v100, v[6:7], off
	global_load_ushort v101, v[8:9], off
	global_load_ushort v102, v[10:11], off
	global_load_ushort v103, v[12:13], off
	global_load_ushort v104, v[14:15], off
	global_load_ushort v105, v[48:49], off
	global_load_ushort v106, v[50:51], off
	global_load_ushort v107, v[52:53], off
	global_load_ushort v108, v[54:55], off
	global_load_ushort v109, v[56:57], off
	global_load_ushort v110, v[58:59], off
	global_load_ushort v111, v[60:61], off
	global_load_ushort v112, v[62:63], off
                                        ; kill: killed $vgpr56_vgpr57
                                        ; kill: killed $vgpr8_vgpr9
                                        ; kill: killed $vgpr62_vgpr63
                                        ; kill: killed $vgpr14_vgpr15
                                        ; kill: killed $vgpr96 killed $vgpr97
                                        ; kill: killed $vgpr52_vgpr53
                                        ; kill: killed $vgpr4_vgpr5
                                        ; kill: killed $vgpr58_vgpr59
                                        ; kill: killed $vgpr10_vgpr11
                                        ; kill: killed $vgpr48_vgpr49
                                        ; kill: killed $vgpr54_vgpr55
                                        ; kill: killed $vgpr6_vgpr7
                                        ; kill: killed $vgpr60_vgpr61
                                        ; kill: killed $vgpr12_vgpr13
                                        ; kill: killed $vgpr50_vgpr51
	global_load_ushort v6, v[64:65], off
	global_load_ushort v7, v[66:67], off
	;; [unrolled: 1-line block ×15, first 2 shown]
                                        ; kill: killed $vgpr88_vgpr89
                                        ; kill: killed $vgpr72_vgpr73
                                        ; kill: killed $vgpr94_vgpr95
                                        ; kill: killed $vgpr78_vgpr79
                                        ; kill: killed $vgpr84_vgpr85
                                        ; kill: killed $vgpr68_vgpr69
                                        ; kill: killed $vgpr90_vgpr91
                                        ; kill: killed $vgpr74_vgpr75
                                        ; kill: killed $vgpr80_vgpr81
                                        ; kill: killed $vgpr64_vgpr65
                                        ; kill: killed $vgpr70_vgpr71
                                        ; kill: killed $vgpr92_vgpr93
                                        ; kill: killed $vgpr76_vgpr77
                                        ; kill: killed $vgpr82_vgpr83
                                        ; kill: killed $vgpr66_vgpr67
	global_load_ushort v68, v[86:87], off
	v_lshl_add_u64 v[4:5], s[8:9], 1, v[2:3]
	global_load_ushort v5, v[4:5], off
	s_waitcnt vmcnt(31)
	v_lshlrev_b32_e32 v67, 16, v98
	s_waitcnt vmcnt(30)
	v_lshlrev_b32_e32 v65, 16, v99
	;; [unrolled: 2-line block ×32, first 2 shown]
.LBB401_12:
	ds_read_b128 v[68:71], v1
	s_waitcnt vmcnt(15)
	v_lshlrev_b32_e32 v23, 16, v23
	ds_read_b128 v[72:75], v1 offset:16
	ds_read_b128 v[76:79], v1 offset:32
	;; [unrolled: 1-line block ×3, first 2 shown]
	s_waitcnt vmcnt(14)
	v_lshlrev_b32_e32 v22, 16, v22
	s_waitcnt vmcnt(13)
	v_lshlrev_b32_e32 v21, 16, v21
	s_waitcnt lgkmcnt(3)
	v_fma_f32 v23, v68, v23, 0
	v_fmac_f32_e32 v23, v69, v22
	v_fmac_f32_e32 v23, v70, v21
	s_waitcnt vmcnt(12)
	v_lshlrev_b32_e32 v20, 16, v20
	s_waitcnt vmcnt(10)
	v_lshlrev_b32_e32 v19, 16, v19
	v_lshlrev_b32_e32 v18, 16, v18
	v_fmac_f32_e32 v23, v71, v20
	s_waitcnt lgkmcnt(2)
	v_pk_mul_f32 v[18:19], v[72:73], v[18:19]
	s_waitcnt vmcnt(8)
	v_lshlrev_b32_e32 v17, 16, v17
	v_add_f32_e32 v18, v23, v18
	v_lshlrev_b32_e32 v16, 16, v16
	v_add_f32_e32 v18, v18, v19
	v_pk_mul_f32 v[16:17], v[74:75], v[16:17]
	s_andn2_b64 vcc, exec, s[4:5]
	v_add_f32_e32 v16, v18, v16
	v_add_f32_e32 v18, v16, v17
	s_waitcnt vmcnt(6)
	v_lshlrev_b32_e32 v17, 16, v31
	v_lshlrev_b32_e32 v16, 16, v30
	s_waitcnt lgkmcnt(1)
	v_pk_mul_f32 v[16:17], v[76:77], v[16:17]
	s_nop 0
	v_add_f32_e32 v16, v18, v16
	v_add_f32_e32 v18, v16, v17
	s_waitcnt vmcnt(4)
	v_lshlrev_b32_e32 v17, 16, v29
	v_lshlrev_b32_e32 v16, 16, v28
	v_pk_mul_f32 v[16:17], v[78:79], v[16:17]
	s_nop 0
	v_add_f32_e32 v16, v18, v16
	v_add_f32_e32 v18, v16, v17
	s_waitcnt vmcnt(2)
	v_lshlrev_b32_e32 v17, 16, v27
	v_lshlrev_b32_e32 v16, 16, v26
	s_waitcnt lgkmcnt(0)
	v_pk_mul_f32 v[16:17], v[80:81], v[16:17]
	s_nop 0
	v_add_f32_e32 v16, v18, v16
	v_add_f32_e32 v18, v16, v17
	s_waitcnt vmcnt(0)
	v_lshlrev_b32_e32 v17, 16, v25
	v_lshlrev_b32_e32 v16, 16, v24
	v_pk_mul_f32 v[16:17], v[82:83], v[16:17]
	s_nop 0
	v_add_f32_e32 v16, v18, v16
	v_add_f32_e32 v108, v16, v17
	s_cbranch_vccnz .LBB401_15
; %bb.13:
	ds_read_b128 v[16:19], v1 offset:64
	v_lshlrev_b32_e32 v39, 16, v39
	ds_read_b128 v[20:23], v1 offset:80
	ds_read_b128 v[24:27], v1 offset:96
	;; [unrolled: 1-line block ×3, first 2 shown]
	s_cmpk_lt_u32 s28, 0x2001
	s_waitcnt lgkmcnt(3)
	v_fmac_f32_e32 v108, v16, v39
	v_lshlrev_b32_e32 v16, 16, v38
	v_fmac_f32_e32 v108, v17, v16
	v_lshlrev_b32_e32 v16, 16, v37
	v_fmac_f32_e32 v108, v18, v16
	v_lshlrev_b32_e32 v16, 16, v36
	v_fmac_f32_e32 v108, v19, v16
	v_lshlrev_b32_e32 v16, 16, v35
	s_waitcnt lgkmcnt(2)
	v_fmac_f32_e32 v108, v20, v16
	v_lshlrev_b32_e32 v16, 16, v34
	v_fmac_f32_e32 v108, v21, v16
	v_lshlrev_b32_e32 v16, 16, v33
	v_fmac_f32_e32 v108, v22, v16
	v_lshlrev_b32_e32 v16, 16, v32
	v_fmac_f32_e32 v108, v23, v16
	v_lshlrev_b32_e32 v16, 16, v47
	;; [unrolled: 9-line block ×3, first 2 shown]
	s_waitcnt lgkmcnt(0)
	v_fmac_f32_e32 v108, v28, v16
	v_lshlrev_b32_e32 v16, 16, v42
	v_fmac_f32_e32 v108, v29, v16
	v_lshlrev_b32_e32 v16, 16, v41
	v_fmac_f32_e32 v108, v30, v16
	v_lshlrev_b32_e32 v16, 16, v40
	v_fmac_f32_e32 v108, v31, v16
	s_cbranch_scc1 .LBB401_15
; %bb.14:
	v_mov_b32_e32 v32, 0
	ds_read_b128 v[16:19], v32 offset:128
	ds_read_b128 v[20:23], v32 offset:144
	ds_read_b128 v[24:27], v32 offset:160
	ds_read_b128 v[28:31], v32 offset:176
	s_waitcnt lgkmcnt(3)
	v_fmac_f32_e32 v108, v16, v67
	v_fmac_f32_e32 v108, v17, v65
	v_fmac_f32_e32 v108, v18, v66
	v_fmac_f32_e32 v108, v19, v63
	s_waitcnt lgkmcnt(2)
	v_fmac_f32_e32 v108, v20, v64
	v_fmac_f32_e32 v108, v21, v61
	v_fmac_f32_e32 v108, v22, v62
	v_fmac_f32_e32 v108, v23, v59
	;; [unrolled: 5-line block ×3, first 2 shown]
	ds_read_b128 v[16:19], v32 offset:192
	ds_read_b128 v[20:23], v32 offset:208
	s_waitcnt lgkmcnt(2)
	v_fmac_f32_e32 v108, v28, v56
	v_fmac_f32_e32 v108, v29, v53
	v_fmac_f32_e32 v108, v30, v54
	v_fmac_f32_e32 v108, v31, v52
	s_waitcnt lgkmcnt(1)
	v_fmac_f32_e32 v108, v16, v51
	v_fmac_f32_e32 v108, v17, v49
	;; [unrolled: 1-line block ×4, first 2 shown]
	s_waitcnt lgkmcnt(0)
	v_pk_mul_f32 v[14:15], v[20:21], v[14:15]
	v_pk_mul_f32 v[12:13], v[22:23], v[12:13]
	v_add_f32_e32 v14, v108, v14
	v_add_f32_e32 v18, v14, v15
	ds_read_b128 v[14:17], v32 offset:224
	v_add_f32_e32 v12, v18, v12
	ds_read_b128 v[18:21], v32 offset:240
	v_add_f32_e32 v12, v12, v13
	s_waitcnt lgkmcnt(1)
	v_pk_mul_f32 v[10:11], v[14:15], v[10:11]
	s_nop 0
	v_add_f32_e32 v10, v12, v10
	v_add_f32_e32 v10, v10, v11
	v_pk_mul_f32 v[8:9], v[16:17], v[8:9]
	s_waitcnt lgkmcnt(0)
	v_pk_mul_f32 v[6:7], v[18:19], v[6:7]
	v_add_f32_e32 v8, v10, v8
	v_add_f32_e32 v8, v8, v9
	;; [unrolled: 1-line block ×4, first 2 shown]
	v_pk_mul_f32 v[4:5], v[20:21], v[4:5]
	s_nop 0
	v_add_f32_e32 v4, v6, v4
	v_add_f32_e32 v108, v4, v5
.LBB401_15:
	s_load_dwordx2 s[4:5], s[0:1], 0x38
	s_cmpk_lt_i32 s28, 0x4001
	s_cbranch_scc1 .LBB401_17
; %bb.16:
	s_cmpk_lt_u32 s28, 0x4101
	s_cselect_b32 s8, s6, 0x1040
	s_ashr_i32 s9, s8, 31
	s_cmpk_lt_u32 s28, 0x4201
	v_lshl_add_u64 v[106:107], s[8:9], 1, v[2:3]
	s_cselect_b32 s8, s6, 0x1080
	s_ashr_i32 s9, s8, 31
	s_cmpk_lt_u32 s28, 0x4301
	v_lshl_add_u64 v[92:93], s[8:9], 1, v[2:3]
	;; [unrolled: 4-line block ×36, first 2 shown]
	s_cselect_b32 s8, s6, 0x1940
	s_ashr_i32 s9, s8, 31
	s_movk_i32 s7, 0x2000
	s_cmpk_lt_u32 s28, 0x6601
	v_add_co_u32_e32 v70, vcc, s7, v2
	v_lshl_add_u64 v[44:45], s[8:9], 1, v[2:3]
	s_cselect_b32 s8, s6, 0x1980
	v_addc_co_u32_e32 v71, vcc, 0, v3, vcc
	s_ashr_i32 s9, s8, 31
	global_load_ushort v109, v[70:71], off
	global_load_ushort v115, v[76:77], off
	s_cmpk_lt_u32 s28, 0x6701
	global_load_ushort v106, v[106:107], off
	v_lshl_add_u64 v[46:47], s[8:9], 1, v[2:3]
	global_load_ushort v111, v[102:103], off
	s_cselect_b32 s8, s6, 0x19c0
	global_load_ushort v107, v[92:93], off
	global_load_ushort v110, v[94:95], off
	;; [unrolled: 1-line block ×3, first 2 shown]
	s_ashr_i32 s9, s8, 31
	global_load_ushort v98, v[98:99], off
	s_cmpk_lt_u32 s28, 0x6801
	global_load_ushort v104, v[104:105], off
	v_lshl_add_u64 v[48:49], s[8:9], 1, v[2:3]
	global_load_ushort v105, v[100:101], off
	s_cselect_b32 s8, s6, 0x1a00
	s_ashr_i32 s9, s8, 31
	s_cmpk_lt_u32 s28, 0x6901
	v_lshl_add_u64 v[50:51], s[8:9], 1, v[2:3]
	s_cselect_b32 s8, s6, 0x1a40
	s_ashr_i32 s9, s8, 31
	global_load_ushort v99, v[90:91], off
	s_cmpk_lt_u32 s28, 0x6a01
	global_load_ushort v113, v[86:87], off
	v_lshl_add_u64 v[52:53], s[8:9], 1, v[2:3]
	global_load_ushort v88, v[88:89], off
	s_cselect_b32 s8, s6, 0x1a80
	s_ashr_i32 s9, s8, 31
	s_cmpk_lt_u32 s28, 0x6b01
	v_lshl_add_u64 v[54:55], s[8:9], 1, v[2:3]
	s_cselect_b32 s8, s6, 0x1ac0
	s_ashr_i32 s9, s8, 31
	s_cmpk_lt_u32 s28, 0x6c01
	v_lshl_add_u64 v[56:57], s[8:9], 1, v[2:3]
	;; [unrolled: 4-line block ×8, first 2 shown]
	s_cselect_b32 s8, s6, 0x1c80
	global_load_ushort v89, v[82:83], off
	s_ashr_i32 s9, s8, 31
	global_load_ushort v84, v[84:85], off
	s_cmpk_lt_u32 s28, 0x7301
	global_load_ushort v85, v[80:81], off
	global_load_ushort v114, v[78:79], off
	v_lshl_add_u64 v[72:73], s[8:9], 1, v[2:3]
	s_cselect_b32 s8, s6, 0x1cc0
	s_ashr_i32 s9, s8, 31
	s_cmpk_lt_u32 s28, 0x7401
	v_lshl_add_u64 v[70:71], s[8:9], 1, v[2:3]
	s_cselect_b32 s8, s6, 0x1d00
	s_ashr_i32 s9, s8, 31
	s_cmpk_lt_u32 s28, 0x7501
	;; [unrolled: 4-line block ×12, first 2 shown]
	s_cselect_b32 s6, s6, 0x1fc0
	s_ashr_i32 s7, s6, 31
	v_lshl_add_u64 v[78:79], s[8:9], 1, v[2:3]
	v_lshl_add_u64 v[2:3], s[6:7], 1, v[2:3]
	global_load_ushort v116, v[4:5], off
	global_load_ushort v117, v[6:7], off
	;; [unrolled: 1-line block ×10, first 2 shown]
	v_mov_b32_e32 v81, 0
	global_load_ushort v82, v[8:9], off
	ds_read_b128 v[2:5], v81 offset:256
	ds_read_b128 v[6:9], v81 offset:272
	s_waitcnt vmcnt(27)
	v_lshlrev_b32_e32 v80, 16, v109
	global_load_ushort v83, v[10:11], off
	global_load_ushort v86, v[14:15], off
	ds_read_b128 v[10:13], v81 offset:288
	ds_read_b128 v[76:79], v81 offset:304
	s_waitcnt lgkmcnt(0)
	v_fmac_f32_e32 v108, v2, v80
	s_waitcnt vmcnt(27)
	v_lshlrev_b32_e32 v2, 16, v106
	v_fmac_f32_e32 v108, v3, v2
	s_waitcnt vmcnt(25)
	v_lshlrev_b32_e32 v2, 16, v107
	;; [unrolled: 3-line block ×5, first 2 shown]
	v_fmac_f32_e32 v108, v7, v2
	v_lshlrev_b32_e32 v2, 16, v111
	v_fmac_f32_e32 v108, v8, v2
	v_lshlrev_b32_e32 v2, 16, v112
	v_fmac_f32_e32 v108, v9, v2
	v_lshlrev_b32_e32 v2, 16, v98
	global_load_ushort v14, v[16:17], off
	global_load_ushort v15, v[18:19], off
	v_fmac_f32_e32 v108, v10, v2
	global_load_ushort v10, v[40:41], off
	s_waitcnt vmcnt(22)
	v_lshlrev_b32_e32 v2, 16, v99
	v_fmac_f32_e32 v108, v11, v2
	s_waitcnt vmcnt(21)
	v_lshlrev_b32_e32 v2, 16, v113
	v_fmac_f32_e32 v108, v12, v2
	global_load_ushort v12, v[48:49], off
	global_load_ushort v16, v[20:21], off
	;; [unrolled: 1-line block ×6, first 2 shown]
	s_waitcnt vmcnt(26)
	v_lshlrev_b32_e32 v2, 16, v88
	v_fmac_f32_e32 v108, v13, v2
	global_load_ushort v13, v[50:51], off
	global_load_ushort v20, v[28:29], off
	;; [unrolled: 1-line block ×17, first 2 shown]
	s_waitcnt vmcnt(42)
	v_lshlrev_b32_e32 v2, 16, v89
	v_fmac_f32_e32 v108, v76, v2
	s_waitcnt vmcnt(41)
	v_lshlrev_b32_e32 v2, 16, v84
	v_fmac_f32_e32 v108, v77, v2
	;; [unrolled: 3-line block ×4, first 2 shown]
	ds_read_b128 v[2:5], v81 offset:320
	ds_read_b128 v[6:9], v81 offset:336
	v_lshlrev_b32_e32 v35, 16, v115
	global_load_ushort v37, v[72:73], off
	s_waitcnt lgkmcnt(1)
	v_fmac_f32_e32 v108, v2, v35
	global_load_ushort v35, v[68:69], off
	global_load_ushort v38, v[70:71], off
	;; [unrolled: 1-line block ×7, first 2 shown]
	s_waitcnt vmcnt(46)
	v_lshlrev_b32_e32 v2, 16, v116
	v_fmac_f32_e32 v108, v3, v2
	s_waitcnt vmcnt(45)
	v_lshlrev_b32_e32 v2, 16, v117
	v_fmac_f32_e32 v108, v4, v2
	;; [unrolled: 3-line block ×3, first 2 shown]
	s_waitcnt vmcnt(36)
	v_lshlrev_b32_e32 v2, 16, v82
	s_waitcnt lgkmcnt(0)
	v_fmac_f32_e32 v108, v6, v2
	s_waitcnt vmcnt(35)
	v_lshlrev_b32_e32 v2, 16, v83
	v_fmac_f32_e32 v108, v7, v2
	s_waitcnt vmcnt(34)
	v_lshlrev_b32_e32 v2, 16, v86
	v_fmac_f32_e32 v108, v8, v2
	ds_read_b128 v[2:5], v81 offset:352
	s_waitcnt vmcnt(33)
	v_lshlrev_b32_e32 v6, 16, v14
	v_fmac_f32_e32 v108, v9, v6
	ds_read_b128 v[6:9], v81 offset:368
	s_waitcnt vmcnt(32)
	v_lshlrev_b32_e32 v14, 16, v15
	s_waitcnt lgkmcnt(1)
	v_fmac_f32_e32 v108, v2, v14
	s_waitcnt vmcnt(29)
	v_lshlrev_b32_e32 v2, 16, v16
	v_fmac_f32_e32 v108, v3, v2
	s_waitcnt vmcnt(28)
	v_lshlrev_b32_e32 v2, 16, v17
	;; [unrolled: 3-line block ×4, first 2 shown]
	s_waitcnt lgkmcnt(0)
	v_fmac_f32_e32 v108, v6, v2
	s_waitcnt vmcnt(23)
	v_lshlrev_b32_e32 v2, 16, v20
	v_fmac_f32_e32 v108, v7, v2
	s_waitcnt vmcnt(22)
	v_lshlrev_b32_e32 v2, 16, v21
	v_fmac_f32_e32 v108, v8, v2
	ds_read_b128 v[2:5], v81 offset:384
	s_waitcnt vmcnt(21)
	v_lshlrev_b32_e32 v6, 16, v22
	v_fmac_f32_e32 v108, v9, v6
	ds_read_b128 v[6:9], v81 offset:400
	s_waitcnt vmcnt(20)
	v_lshlrev_b32_e32 v14, 16, v23
	s_waitcnt lgkmcnt(1)
	v_fmac_f32_e32 v108, v2, v14
	s_waitcnt vmcnt(19)
	v_lshlrev_b32_e32 v2, 16, v24
	v_fmac_f32_e32 v108, v3, v2
	s_waitcnt vmcnt(18)
	v_lshlrev_b32_e32 v2, 16, v25
	v_fmac_f32_e32 v108, v4, v2
	v_lshlrev_b32_e32 v2, 16, v10
	v_fmac_f32_e32 v108, v5, v2
	s_waitcnt vmcnt(17)
	v_lshlrev_b32_e32 v2, 16, v26
	s_waitcnt lgkmcnt(0)
	v_fmac_f32_e32 v108, v6, v2
	v_lshlrev_b32_e32 v2, 16, v11
	v_fmac_f32_e32 v108, v7, v2
	s_waitcnt vmcnt(16)
	v_lshlrev_b32_e32 v2, 16, v27
	v_fmac_f32_e32 v108, v8, v2
	ds_read_b128 v[2:5], v81 offset:416
	v_lshlrev_b32_e32 v6, 16, v12
	v_fmac_f32_e32 v108, v9, v6
	ds_read_b128 v[6:9], v81 offset:432
	v_lshlrev_b32_e32 v10, 16, v13
	s_waitcnt lgkmcnt(1)
	v_fmac_f32_e32 v108, v2, v10
	s_waitcnt vmcnt(15)
	v_lshlrev_b32_e32 v2, 16, v28
	v_fmac_f32_e32 v108, v3, v2
	s_waitcnt vmcnt(14)
	v_lshlrev_b32_e32 v2, 16, v29
	;; [unrolled: 3-line block ×4, first 2 shown]
	s_waitcnt lgkmcnt(0)
	v_fmac_f32_e32 v108, v6, v2
	s_waitcnt vmcnt(11)
	v_lshlrev_b32_e32 v2, 16, v32
	v_fmac_f32_e32 v108, v7, v2
	s_waitcnt vmcnt(10)
	v_lshlrev_b32_e32 v2, 16, v33
	v_fmac_f32_e32 v108, v8, v2
	ds_read_b128 v[2:5], v81 offset:448
	s_waitcnt vmcnt(9)
	v_lshlrev_b32_e32 v6, 16, v34
	v_fmac_f32_e32 v108, v9, v6
	ds_read_b128 v[6:9], v81 offset:464
	s_waitcnt vmcnt(8)
	v_lshlrev_b32_e32 v10, 16, v36
	s_waitcnt lgkmcnt(1)
	v_fmac_f32_e32 v108, v2, v10
	s_waitcnt vmcnt(6)
	v_lshlrev_b32_e32 v2, 16, v35
	v_fmac_f32_e32 v108, v3, v2
	v_lshlrev_b32_e32 v2, 16, v37
	v_fmac_f32_e32 v108, v4, v2
	s_waitcnt vmcnt(5)
	v_lshlrev_b32_e32 v2, 16, v38
	v_fmac_f32_e32 v108, v5, v2
	s_waitcnt vmcnt(3)
	v_lshlrev_b32_e32 v3, 16, v40
	v_lshlrev_b32_e32 v2, 16, v39
	s_waitcnt lgkmcnt(0)
	v_pk_mul_f32 v[2:3], v[6:7], v[2:3]
	v_lshlrev_b32_e32 v11, 16, v118
	v_add_f32_e32 v2, v108, v2
	v_add_f32_e32 v4, v2, v3
	s_waitcnt vmcnt(1)
	v_lshlrev_b32_e32 v3, 16, v42
	v_lshlrev_b32_e32 v2, 16, v41
	v_pk_mul_f32 v[6:7], v[8:9], v[2:3]
	s_waitcnt vmcnt(0)
	v_lshlrev_b32_e32 v10, 16, v43
	v_add_f32_e32 v6, v4, v6
	ds_read_b128 v[2:5], v81 offset:480
	v_add_f32_e32 v12, v6, v7
	ds_read_b128 v[6:9], v81 offset:496
	s_waitcnt lgkmcnt(1)
	v_pk_mul_f32 v[2:3], v[2:3], v[10:11]
	s_nop 0
	v_add_f32_e32 v2, v12, v2
	v_add_f32_e32 v10, v2, v3
	v_lshlrev_b32_e32 v3, 16, v120
	v_lshlrev_b32_e32 v2, 16, v119
	v_pk_mul_f32 v[2:3], v[4:5], v[2:3]
	s_nop 0
	v_add_f32_e32 v2, v10, v2
	v_add_f32_e32 v4, v2, v3
	v_lshlrev_b32_e32 v3, 16, v122
	v_lshlrev_b32_e32 v2, 16, v121
	s_waitcnt lgkmcnt(0)
	v_pk_mul_f32 v[2:3], v[6:7], v[2:3]
	s_nop 0
	v_add_f32_e32 v2, v4, v2
	v_add_f32_e32 v4, v2, v3
	v_lshlrev_b32_e32 v3, 16, v124
	v_lshlrev_b32_e32 v2, 16, v123
	v_pk_mul_f32 v[2:3], v[8:9], v[2:3]
	s_nop 0
	v_add_f32_e32 v2, v4, v2
	v_add_f32_e32 v108, v2, v3
.LBB401_17:
	v_mov_b32_e32 v2, 0
	s_load_dwordx2 s[0:1], s[0:1], 0x0
	ds_read_b32 v2, v2 offset:512
	s_waitcnt lgkmcnt(0)
	s_cmp_eq_u64 s[4:5], 0
	s_cbranch_scc1 .LBB401_22
; %bb.18:
	s_load_dword s6, s[4:5], 0x0
	s_waitcnt lgkmcnt(0)
	v_div_scale_f32 v3, s[4:5], s6, s6, 1.0
	v_rcp_f32_e32 v4, v3
	v_div_scale_f32 v5, vcc, 1.0, s6, 1.0
	v_fma_f32 v6, -v3, v4, 1.0
	v_fmac_f32_e32 v4, v6, v4
	v_mul_f32_e32 v6, v5, v4
	v_fma_f32 v7, -v3, v6, v5
	v_fmac_f32_e32 v6, v7, v4
	v_fma_f32 v3, -v3, v6, v5
	v_div_fmas_f32 v3, v3, v4, v6
	v_div_fixup_f32 v3, v3, s6, 1.0
	s_andn2_b64 vcc, exec, s[20:21]
	s_cbranch_vccnz .LBB401_20
.LBB401_19:
	s_add_u32 s4, s18, s22
	s_addc_u32 s5, s19, s23
	s_load_dword s16, s[4:5], 0x0
	s_mov_b32 s17, 0
.LBB401_20:
	v_add_f32_e32 v2, 0x358637bd, v2
	v_div_scale_f32 v4, s[4:5], v2, v2, 1.0
	v_rcp_f32_e32 v5, v4
	v_div_scale_f32 v6, vcc, 1.0, v2, 1.0
	s_mul_i32 s4, s3, s17
	v_fma_f32 v7, -v4, v5, 1.0
	v_fmac_f32_e32 v5, v7, v5
	v_mul_f32_e32 v7, v6, v5
	v_fma_f32 v8, -v4, v7, v6
	v_fmac_f32_e32 v7, v8, v5
	v_fma_f32 v4, -v4, v7, v6
	s_waitcnt lgkmcnt(0)
	s_mul_hi_u32 s5, s3, s16
	v_div_fmas_f32 v4, v4, v5, v7
	s_add_i32 s5, s5, s4
	s_mul_i32 s4, s3, s16
	v_div_fixup_f32 v2, v4, v2, 1.0
	s_lshl_b64 s[4:5], s[4:5], 6
	v_mul_f32_e32 v2, v108, v2
	s_add_u32 s4, s0, s4
	s_mov_b32 s3, 0
	v_mul_f32_e32 v2, v2, v3
	s_addc_u32 s5, s1, s5
	s_lshl_b64 s[0:1], s[2:3], 6
	s_mov_b32 s2, 0x7f800000
	s_mov_b32 s3, 0x43700000
	v_mov_b32_e32 v3, 0xc3700000
	v_med3_f32 v3, v2, s3, v3
	v_cmp_nlg_f32_e64 vcc, |v2|, s2
	s_add_u32 s0, s4, s0
	s_addc_u32 s1, s5, s1
	v_cndmask_b32_e32 v2, v3, v2, vcc
	v_mov_b32_e32 v3, 0
	v_cvt_pk_fp8_f32 v3, v2, v2
	v_lshl_add_u64 v[0:1], s[0:1], 0, v[0:1]
	global_store_byte v[0:1], v3, off
	s_endpgm
.LBB401_21:
	s_mov_b64 s[6:7], 0
	s_branch .LBB401_2
.LBB401_22:
	v_mov_b32_e32 v3, 1.0
	s_andn2_b64 vcc, exec, s[20:21]
	s_cbranch_vccz .LBB401_19
	s_branch .LBB401_20
	.section	.rodata,"a",@progbits
	.p2align	6, 0x0
	.amdhsa_kernel _Z35paged_attention_ll4mi_reduce_kernelI14__hip_bfloat16hLi64ELi64ELi256ELi2EEvPT0_PKfS4_PKT_PKiS9_iS4_
		.amdhsa_group_segment_fixed_size 516
		.amdhsa_private_segment_fixed_size 0
		.amdhsa_kernarg_size 320
		.amdhsa_user_sgpr_count 2
		.amdhsa_user_sgpr_dispatch_ptr 0
		.amdhsa_user_sgpr_queue_ptr 0
		.amdhsa_user_sgpr_kernarg_segment_ptr 1
		.amdhsa_user_sgpr_dispatch_id 0
		.amdhsa_user_sgpr_kernarg_preload_length 0
		.amdhsa_user_sgpr_kernarg_preload_offset 0
		.amdhsa_user_sgpr_private_segment_size 0
		.amdhsa_uses_dynamic_stack 0
		.amdhsa_enable_private_segment 0
		.amdhsa_system_sgpr_workgroup_id_x 1
		.amdhsa_system_sgpr_workgroup_id_y 1
		.amdhsa_system_sgpr_workgroup_id_z 0
		.amdhsa_system_sgpr_workgroup_info 0
		.amdhsa_system_vgpr_workitem_id 0
		.amdhsa_next_free_vgpr 126
		.amdhsa_next_free_sgpr 32
		.amdhsa_accum_offset 128
		.amdhsa_reserve_vcc 1
		.amdhsa_float_round_mode_32 0
		.amdhsa_float_round_mode_16_64 0
		.amdhsa_float_denorm_mode_32 3
		.amdhsa_float_denorm_mode_16_64 3
		.amdhsa_dx10_clamp 1
		.amdhsa_ieee_mode 1
		.amdhsa_fp16_overflow 0
		.amdhsa_tg_split 0
		.amdhsa_exception_fp_ieee_invalid_op 0
		.amdhsa_exception_fp_denorm_src 0
		.amdhsa_exception_fp_ieee_div_zero 0
		.amdhsa_exception_fp_ieee_overflow 0
		.amdhsa_exception_fp_ieee_underflow 0
		.amdhsa_exception_fp_ieee_inexact 0
		.amdhsa_exception_int_div_zero 0
	.end_amdhsa_kernel
	.section	.text._Z35paged_attention_ll4mi_reduce_kernelI14__hip_bfloat16hLi64ELi64ELi256ELi2EEvPT0_PKfS4_PKT_PKiS9_iS4_,"axG",@progbits,_Z35paged_attention_ll4mi_reduce_kernelI14__hip_bfloat16hLi64ELi64ELi256ELi2EEvPT0_PKfS4_PKT_PKiS9_iS4_,comdat
.Lfunc_end401:
	.size	_Z35paged_attention_ll4mi_reduce_kernelI14__hip_bfloat16hLi64ELi64ELi256ELi2EEvPT0_PKfS4_PKT_PKiS9_iS4_, .Lfunc_end401-_Z35paged_attention_ll4mi_reduce_kernelI14__hip_bfloat16hLi64ELi64ELi256ELi2EEvPT0_PKfS4_PKT_PKiS9_iS4_
                                        ; -- End function
	.section	.AMDGPU.csdata,"",@progbits
; Kernel info:
; codeLenInByte = 7948
; NumSgprs: 38
; NumVgprs: 126
; NumAgprs: 0
; TotalNumVgprs: 126
; ScratchSize: 0
; MemoryBound: 0
; FloatMode: 240
; IeeeMode: 1
; LDSByteSize: 516 bytes/workgroup (compile time only)
; SGPRBlocks: 4
; VGPRBlocks: 15
; NumSGPRsForWavesPerEU: 38
; NumVGPRsForWavesPerEU: 126
; AccumOffset: 128
; Occupancy: 4
; WaveLimiterHint : 1
; COMPUTE_PGM_RSRC2:SCRATCH_EN: 0
; COMPUTE_PGM_RSRC2:USER_SGPR: 2
; COMPUTE_PGM_RSRC2:TRAP_HANDLER: 0
; COMPUTE_PGM_RSRC2:TGID_X_EN: 1
; COMPUTE_PGM_RSRC2:TGID_Y_EN: 1
; COMPUTE_PGM_RSRC2:TGID_Z_EN: 0
; COMPUTE_PGM_RSRC2:TIDIG_COMP_CNT: 0
; COMPUTE_PGM_RSRC3_GFX90A:ACCUM_OFFSET: 31
; COMPUTE_PGM_RSRC3_GFX90A:TG_SPLIT: 0
	.section	.text._Z35paged_attention_ll4mi_reduce_kernelI14__hip_bfloat16hLi64ELi64ELi256ELi3EEvPT0_PKfS4_PKT_PKiS9_iS4_,"axG",@progbits,_Z35paged_attention_ll4mi_reduce_kernelI14__hip_bfloat16hLi64ELi64ELi256ELi3EEvPT0_PKfS4_PKT_PKiS9_iS4_,comdat
	.protected	_Z35paged_attention_ll4mi_reduce_kernelI14__hip_bfloat16hLi64ELi64ELi256ELi3EEvPT0_PKfS4_PKT_PKiS9_iS4_ ; -- Begin function _Z35paged_attention_ll4mi_reduce_kernelI14__hip_bfloat16hLi64ELi64ELi256ELi3EEvPT0_PKfS4_PKT_PKiS9_iS4_
	.globl	_Z35paged_attention_ll4mi_reduce_kernelI14__hip_bfloat16hLi64ELi64ELi256ELi3EEvPT0_PKfS4_PKT_PKiS9_iS4_
	.p2align	8
	.type	_Z35paged_attention_ll4mi_reduce_kernelI14__hip_bfloat16hLi64ELi64ELi256ELi3EEvPT0_PKfS4_PKT_PKiS9_iS4_,@function
_Z35paged_attention_ll4mi_reduce_kernelI14__hip_bfloat16hLi64ELi64ELi256ELi3EEvPT0_PKfS4_PKT_PKiS9_iS4_: ; @_Z35paged_attention_ll4mi_reduce_kernelI14__hip_bfloat16hLi64ELi64ELi256ELi3EEvPT0_PKfS4_PKT_PKiS9_iS4_
; %bb.0:
	s_load_dwordx2 s[20:21], s[0:1], 0x28
	s_mov_b32 s10, s3
	s_mov_b64 s[4:5], 0
	s_waitcnt lgkmcnt(0)
	s_cmp_lg_u64 s[20:21], 0
	s_cselect_b64 s[22:23], -1, 0
	s_and_b64 vcc, exec, s[22:23]
	s_cbranch_vccz .LBB402_23
; %bb.1:
	s_add_i32 s6, s10, 1
	s_mov_b32 s7, 0
	s_lshl_b64 s[8:9], s[6:7], 2
	s_add_u32 s8, s20, s8
	s_mov_b32 s11, s7
	s_addc_u32 s9, s21, s9
	s_lshl_b64 s[6:7], s[10:11], 2
	s_add_u32 s6, s20, s6
	s_addc_u32 s7, s21, s7
	s_load_dword s3, s[8:9], 0x0
	s_load_dword s12, s[6:7], 0x0
	s_waitcnt lgkmcnt(0)
	s_sub_i32 s3, s3, s12
	s_cmp_eq_u32 s3, 1
	s_cselect_b64 s[6:7], -1, 0
	s_andn2_b64 vcc, exec, s[4:5]
	s_cbranch_vccnz .LBB402_3
.LBB402_2:
	s_mov_b32 s11, 0
	s_mov_b64 s[6:7], -1
.LBB402_3:
	s_andn2_b64 vcc, exec, s[6:7]
	s_cbranch_vccz .LBB402_5
; %bb.4:
	s_endpgm
.LBB402_5:
	s_load_dwordx4 s[12:15], s[0:1], 0x18
	s_load_dword s8, s[0:1], 0x30
	s_lshl_b64 s[24:25], s[10:11], 2
	v_cmp_lt_u32_e32 vcc, 63, v0
	s_waitcnt lgkmcnt(0)
	s_add_u32 s4, s14, s24
	s_addc_u32 s5, s15, s25
	s_load_dword s30, s[4:5], 0x0
	s_load_dword s3, s[0:1], 0x40
	s_mul_i32 s14, s2, s8
	s_mul_i32 s6, s10, s8
	s_waitcnt lgkmcnt(0)
	s_add_i32 s7, s30, 0xff
	s_ashr_i32 s4, s7, 31
	s_lshr_b32 s4, s4, 24
	s_add_i32 s7, s7, s4
	s_and_saveexec_b64 s[4:5], vcc
	s_xor_b64 s[4:5], exec, s[4:5]
	s_or_saveexec_b64 s[26:27], s[4:5]
	s_ashr_i32 s31, s7, 8
	v_mov_b32_e32 v1, s14
	s_mul_i32 s28, s6, s3
	s_xor_b64 exec, exec, s[26:27]
	s_cbranch_execz .LBB402_9
; %bb.6:
	s_load_dwordx4 s[16:19], s[0:1], 0x8
	s_mov_b32 s29, 0
	s_add_i32 s4, s31, -1
	v_or_b32_e32 v3, 64, v0
	v_mov_b32_e32 v1, s4
	v_cmp_gt_u32_e64 s[4:5], s31, v3
	s_lshl_b64 s[34:35], s[28:29], 2
	s_mov_b32 s15, s29
	v_cmp_gt_u32_e32 vcc, s31, v0
	v_cndmask_b32_e64 v4, v1, v3, s[4:5]
	v_or_b32_e32 v3, 0x80, v0
	s_waitcnt lgkmcnt(0)
	s_add_u32 s8, s18, s34
	v_cndmask_b32_e32 v2, v1, v0, vcc
	v_cmp_gt_u32_e64 s[6:7], s31, v3
	s_addc_u32 s9, s19, s35
	s_lshl_b64 s[18:19], s[14:15], 2
	v_cndmask_b32_e64 v6, v1, v3, s[6:7]
	s_add_u32 s8, s8, s18
	v_ashrrev_i32_e32 v3, 31, v2
	s_addc_u32 s9, s9, s19
	v_lshlrev_b64 v[2:3], 2, v[2:3]
	v_ashrrev_i32_e32 v5, 31, v4
	v_ashrrev_i32_e32 v7, 31, v6
	v_lshl_add_u64 v[8:9], s[8:9], 0, v[2:3]
	v_lshlrev_b64 v[4:5], 2, v[4:5]
	v_lshlrev_b64 v[6:7], 2, v[6:7]
	v_lshl_add_u64 v[10:11], s[8:9], 0, v[4:5]
	v_lshl_add_u64 v[12:13], s[8:9], 0, v[6:7]
	global_load_dword v1, v[8:9], off
	global_load_dword v14, v[10:11], off
	;; [unrolled: 1-line block ×3, first 2 shown]
	v_mbcnt_lo_u32_b32 v8, -1, 0
	v_mbcnt_hi_u32_b32 v8, -1, v8
	v_and_b32_e32 v9, 64, v8
	v_xor_b32_e32 v10, 32, v8
	v_add_u32_e32 v9, 64, v9
	v_xor_b32_e32 v11, 16, v8
	v_cmp_lt_i32_e64 s[8:9], v10, v9
	v_xor_b32_e32 v12, 8, v8
	s_mov_b32 s15, 0xc2ce8ed0
	v_cndmask_b32_e64 v10, v8, v10, s[8:9]
	v_cmp_lt_i32_e64 s[8:9], v11, v9
	v_lshlrev_b32_e32 v10, 2, v10
	s_waitcnt vmcnt(0)
	v_max3_f32 v13, v1, v14, v15
	v_cndmask_b32_e64 v11, v8, v11, s[8:9]
	v_cmp_lt_i32_e64 s[8:9], v12, v9
	ds_bpermute_b32 v16, v10, v13
	v_lshlrev_b32_e32 v11, 2, v11
	v_cndmask_b32_e64 v12, v8, v12, s[8:9]
	s_add_u32 s8, s16, s34
	s_addc_u32 s9, s17, s35
	s_add_u32 s8, s8, s18
	s_addc_u32 s9, s9, s19
	v_lshl_add_u64 v[2:3], s[8:9], 0, v[2:3]
	v_lshl_add_u64 v[4:5], s[8:9], 0, v[4:5]
	global_load_dword v17, v[2:3], off
	global_load_dword v18, v[4:5], off
	v_lshl_add_u64 v[2:3], s[8:9], 0, v[6:7]
	global_load_dword v3, v[2:3], off
	s_waitcnt lgkmcnt(0)
	v_max_f32_e32 v16, v16, v16
	v_max_f32_e32 v13, v13, v16
	ds_bpermute_b32 v16, v11, v13
	v_lshlrev_b32_e32 v12, 2, v12
	v_xor_b32_e32 v5, 4, v8
	v_cmp_lt_i32_e64 s[8:9], v5, v9
	v_xor_b32_e32 v6, 2, v8
	s_waitcnt lgkmcnt(0)
	v_max_f32_e32 v2, v16, v16
	v_max_f32_e32 v2, v13, v2
	ds_bpermute_b32 v4, v12, v2
	v_cndmask_b32_e64 v5, v8, v5, s[8:9]
	v_lshlrev_b32_e32 v5, 2, v5
	v_cmp_lt_i32_e64 s[8:9], v6, v9
	v_xor_b32_e32 v7, 1, v8
	s_waitcnt lgkmcnt(0)
	v_max_f32_e32 v4, v4, v4
	v_max_f32_e32 v2, v2, v4
	ds_bpermute_b32 v4, v5, v2
	v_cndmask_b32_e64 v6, v8, v6, s[8:9]
	v_lshlrev_b32_e32 v6, 2, v6
	v_cmp_lt_i32_e64 s[8:9], v7, v9
	s_mov_b32 s16, 0x42b17218
	s_waitcnt lgkmcnt(0)
	v_max_f32_e32 v4, v4, v4
	v_max_f32_e32 v2, v2, v4
	ds_bpermute_b32 v4, v6, v2
	v_cndmask_b32_e64 v7, v8, v7, s[8:9]
	v_lshlrev_b32_e32 v7, 2, v7
	s_mov_b32 s8, 0x3fb8aa3b
	v_mov_b32_e32 v8, 0x7f800000
	s_waitcnt lgkmcnt(0)
	v_max_f32_e32 v4, v4, v4
	v_max_f32_e32 v2, v2, v4
	ds_bpermute_b32 v4, v7, v2
	s_waitcnt lgkmcnt(0)
	v_max_f32_e32 v4, v4, v4
	v_max_f32_e32 v2, v2, v4
	v_sub_f32_e32 v1, v1, v2
	v_sub_f32_e32 v4, v14, v2
	v_mul_f32_e32 v9, 0x3fb8aa3b, v1
	v_sub_f32_e32 v2, v15, v2
	v_mul_f32_e32 v13, 0x3fb8aa3b, v4
	v_fma_f32 v15, v1, s8, -v9
	v_rndne_f32_e32 v16, v9
	v_mul_f32_e32 v14, 0x3fb8aa3b, v2
	v_fma_f32 v19, v4, s8, -v13
	v_rndne_f32_e32 v20, v13
	v_fmac_f32_e32 v15, 0x32a5705f, v1
	v_sub_f32_e32 v9, v9, v16
	v_fma_f32 v21, v2, s8, -v14
	v_rndne_f32_e32 v22, v14
	v_fmac_f32_e32 v19, 0x32a5705f, v4
	v_sub_f32_e32 v13, v13, v20
	v_add_f32_e32 v9, v9, v15
	v_cvt_i32_f32_e32 v16, v16
	v_fmac_f32_e32 v21, 0x32a5705f, v2
	v_sub_f32_e32 v14, v14, v22
	v_add_f32_e32 v13, v13, v19
	v_exp_f32_e32 v9, v9
	v_cvt_i32_f32_e32 v20, v20
	v_add_f32_e32 v14, v14, v21
	v_exp_f32_e32 v13, v13
	v_cvt_i32_f32_e32 v22, v22
	v_exp_f32_e32 v14, v14
	v_ldexp_f32 v9, v9, v16
	v_cmp_ngt_f32_e64 s[8:9], s15, v1
	v_ldexp_f32 v13, v13, v20
	v_ldexp_f32 v14, v14, v22
	v_cndmask_b32_e64 v9, 0, v9, s[8:9]
	v_cmp_ngt_f32_e64 s[8:9], s15, v4
	v_lshlrev_b32_e32 v15, 2, v0
	s_nop 0
	v_cndmask_b32_e64 v13, 0, v13, s[8:9]
	v_cmp_ngt_f32_e64 s[8:9], s15, v2
	s_nop 1
	v_cndmask_b32_e64 v14, 0, v14, s[8:9]
	v_cmp_nlt_f32_e64 s[8:9], s16, v1
	s_nop 1
	v_cndmask_b32_e64 v1, v8, v9, s[8:9]
	v_cmp_nlt_f32_e64 s[8:9], s16, v4
	v_cndmask_b32_e32 v1, 0, v1, vcc
	s_waitcnt vmcnt(2)
	v_mul_f32_e32 v1, v17, v1
	v_cndmask_b32_e64 v4, v8, v13, s[8:9]
	v_cmp_nlt_f32_e64 s[8:9], s16, v2
	v_cndmask_b32_e64 v4, 0, v4, s[4:5]
	v_cmp_eq_u32_e32 vcc, 0, v0
	v_cndmask_b32_e64 v2, v8, v14, s[8:9]
	v_cndmask_b32_e64 v8, 0, v2, s[6:7]
	s_waitcnt vmcnt(1)
	v_mul_f32_e32 v2, v18, v4
	ds_write2st64_b32 v15, v1, v2 offset1:1
	v_fmac_f32_e32 v1, v18, v4
	s_waitcnt vmcnt(0)
	v_fmac_f32_e32 v1, v3, v8
	ds_bpermute_b32 v2, v10, v1
	v_mul_f32_e32 v3, v3, v8
	ds_write_b32 v15, v3 offset:512
	s_waitcnt lgkmcnt(1)
	v_add_f32_e32 v1, v1, v2
	ds_bpermute_b32 v2, v11, v1
	s_waitcnt lgkmcnt(0)
	v_add_f32_e32 v1, v1, v2
	ds_bpermute_b32 v2, v12, v1
	s_waitcnt lgkmcnt(0)
	v_add_f32_e32 v1, v1, v2
	ds_bpermute_b32 v2, v5, v1
	s_waitcnt lgkmcnt(0)
	v_add_f32_e32 v1, v1, v2
	ds_bpermute_b32 v2, v6, v1
	s_waitcnt lgkmcnt(0)
	v_add_f32_e32 v1, v1, v2
	ds_bpermute_b32 v2, v7, v1
	s_and_saveexec_b64 s[4:5], vcc
	s_cbranch_execz .LBB402_8
; %bb.7:
	s_waitcnt lgkmcnt(0)
	v_add_f32_e32 v1, v1, v2
	v_mov_b32_e32 v2, 0
	ds_write_b32 v2, v1 offset:768
.LBB402_8:
	s_or_b64 exec, exec, s[4:5]
	v_mov_b32_e32 v1, s14
.LBB402_9:
	s_or_b64 exec, exec, s[26:27]
	s_lshl_b32 s4, s28, 6
	s_mov_b32 s5, 0
	s_lshl_b64 s[4:5], s[4:5], 1
	s_waitcnt lgkmcnt(0)
	v_lshlrev_b32_e32 v2, 6, v1
	v_mov_b32_e32 v1, 0
	s_add_u32 s4, s12, s4
	v_mov_b32_e32 v3, v1
	s_addc_u32 s5, s13, s5
	v_lshl_add_u64 v[2:3], v[2:3], 1, s[4:5]
	s_lshl_b32 s4, s31, 6
	s_sub_i32 s6, s4, 64
	s_cmp_lt_i32 s30, 1
	s_cselect_b32 s4, s6, 0
	v_lshlrev_b32_e32 v4, 1, v0
	v_mov_b32_e32 v5, v1
	s_ashr_i32 s5, s4, 31
	v_lshl_add_u64 v[2:3], v[2:3], 0, v[4:5]
	s_cmpk_lt_i32 s30, 0x101
	v_lshl_add_u64 v[4:5], s[4:5], 1, v[2:3]
	s_cselect_b32 s4, s6, 64
	s_ashr_i32 s5, s4, 31
	s_cmpk_lt_i32 s30, 0x201
	v_lshl_add_u64 v[6:7], s[4:5], 1, v[2:3]
	s_cselect_b32 s4, s6, 0x80
	s_ashr_i32 s5, s4, 31
	;; [unrolled: 4-line block ×8, first 2 shown]
	s_cmpk_lt_i32 s30, 0x901
	global_load_ushort v23, v[4:5], off
	global_load_ushort v22, v[6:7], off
	;; [unrolled: 1-line block ×8, first 2 shown]
	v_lshl_add_u64 v[4:5], s[4:5], 1, v[2:3]
	s_cselect_b32 s4, s6, 0x240
	s_ashr_i32 s5, s4, 31
	s_cmpk_lt_i32 s30, 0xa01
	v_lshl_add_u64 v[6:7], s[4:5], 1, v[2:3]
	s_cselect_b32 s4, s6, 0x280
	s_ashr_i32 s5, s4, 31
	s_cmpk_lt_i32 s30, 0xb01
	;; [unrolled: 4-line block ×6, first 2 shown]
	v_lshl_add_u64 v[32:33], s[4:5], 1, v[2:3]
	s_cselect_b32 s4, s6, 0x3c0
	s_ashr_i32 s5, s4, 31
	v_lshl_add_u64 v[34:35], s[4:5], 1, v[2:3]
	global_load_ushort v30, v[4:5], off
	global_load_ushort v31, v[6:7], off
	global_load_ushort v28, v[8:9], off
	global_load_ushort v29, v[10:11], off
	global_load_ushort v26, v[12:13], off
	global_load_ushort v27, v[14:15], off
	global_load_ushort v24, v[32:33], off
	global_load_ushort v25, v[34:35], off
	s_cmpk_gt_i32 s30, 0x1000
	s_cselect_b64 s[4:5], -1, 0
	s_cmpk_lt_i32 s30, 0x1001
	v_mov_b32_e32 v40, 0
	v_mov_b32_e32 v41, 0
	;; [unrolled: 1-line block ×48, first 2 shown]
	s_waitcnt lgkmcnt(0)
	; wave barrier
	s_cbranch_scc1 .LBB402_12
; %bb.10:
	s_cmpk_lt_u32 s30, 0x1101
	s_cselect_b32 s8, s6, 0x440
	s_ashr_i32 s9, s8, 31
	s_cmpk_lt_u32 s30, 0x1201
	v_lshl_add_u64 v[4:5], s[8:9], 1, v[2:3]
	s_cselect_b32 s8, s6, 0x480
	s_ashr_i32 s9, s8, 31
	s_cmpk_lt_u32 s30, 0x1301
	v_lshl_add_u64 v[6:7], s[8:9], 1, v[2:3]
	s_cselect_b32 s8, s6, 0x4c0
	s_ashr_i32 s9, s8, 31
	s_cmpk_lt_u32 s30, 0x1401
	v_lshl_add_u64 v[8:9], s[8:9], 1, v[2:3]
	s_cselect_b32 s8, s6, 0x500
	s_ashr_i32 s9, s8, 31
	s_cmpk_lt_u32 s30, 0x1501
	v_lshl_add_u64 v[10:11], s[8:9], 1, v[2:3]
	s_cselect_b32 s8, s6, 0x540
	s_ashr_i32 s9, s8, 31
	s_cmpk_lt_u32 s30, 0x1601
	v_lshl_add_u64 v[12:13], s[8:9], 1, v[2:3]
	s_cselect_b32 s8, s6, 0x580
	s_ashr_i32 s9, s8, 31
	s_cmpk_lt_u32 s30, 0x1701
	v_lshl_add_u64 v[14:15], s[8:9], 1, v[2:3]
	s_cselect_b32 s8, s6, 0x5c0
	s_ashr_i32 s9, s8, 31
	s_cmpk_lt_u32 s30, 0x1801
	v_lshl_add_u64 v[40:41], s[8:9], 1, v[2:3]
	s_cselect_b32 s8, s6, 0x600
	s_ashr_i32 s9, s8, 31
	s_cmpk_lt_u32 s30, 0x1901
	global_load_ushort v39, v[2:3], off offset:2048
	global_load_ushort v38, v[4:5], off
	global_load_ushort v37, v[6:7], off
	;; [unrolled: 1-line block ×7, first 2 shown]
	v_lshl_add_u64 v[4:5], s[8:9], 1, v[2:3]
	s_cselect_b32 s8, s6, 0x640
	s_ashr_i32 s9, s8, 31
	s_cmpk_lt_u32 s30, 0x1a01
	v_lshl_add_u64 v[6:7], s[8:9], 1, v[2:3]
	s_cselect_b32 s8, s6, 0x680
	s_ashr_i32 s9, s8, 31
	s_cmpk_lt_u32 s30, 0x1b01
	;; [unrolled: 4-line block ×6, first 2 shown]
	v_lshl_add_u64 v[48:49], s[8:9], 1, v[2:3]
	s_cselect_b32 s8, s6, 0x7c0
	s_ashr_i32 s9, s8, 31
	v_lshl_add_u64 v[50:51], s[8:9], 1, v[2:3]
	global_load_ushort v47, v[4:5], off
	global_load_ushort v46, v[6:7], off
	;; [unrolled: 1-line block ×8, first 2 shown]
	s_cmpk_lt_u32 s30, 0x2001
	v_mov_b32_e32 v67, 0
	v_mov_b32_e32 v65, 0
	v_mov_b32_e32 v66, 0
	v_mov_b32_e32 v63, 0
	v_mov_b32_e32 v64, 0
	v_mov_b32_e32 v61, 0
	v_mov_b32_e32 v62, 0
	v_mov_b32_e32 v59, 0
	v_mov_b32_e32 v60, 0
	v_mov_b32_e32 v57, 0
	v_mov_b32_e32 v58, 0
	v_mov_b32_e32 v55, 0
	v_mov_b32_e32 v56, 0
	v_mov_b32_e32 v53, 0
	v_mov_b32_e32 v54, 0
	v_mov_b32_e32 v52, 0
	v_mov_b32_e32 v51, 0
	v_mov_b32_e32 v49, 0
	v_mov_b32_e32 v50, 0
	v_mov_b32_e32 v48, 0
	v_mov_b32_e32 v15, 0
	v_mov_b32_e32 v14, 0
	v_mov_b32_e32 v13, 0
	v_mov_b32_e32 v12, 0
	v_mov_b32_e32 v11, 0
	v_mov_b32_e32 v10, 0
	v_mov_b32_e32 v9, 0
	v_mov_b32_e32 v8, 0
	v_mov_b32_e32 v7, 0
	v_mov_b32_e32 v6, 0
	v_mov_b32_e32 v5, 0
	v_mov_b32_e32 v4, 0
	s_cbranch_scc1 .LBB402_12
; %bb.11:
	s_cmpk_lt_u32 s30, 0x2101
	s_cselect_b32 s8, s6, 0x840
	s_ashr_i32 s9, s8, 31
	s_cmpk_lt_u32 s30, 0x2201
	v_lshl_add_u64 v[4:5], s[8:9], 1, v[2:3]
	s_cselect_b32 s8, s6, 0x880
	s_ashr_i32 s9, s8, 31
	s_cmpk_lt_u32 s30, 0x2301
	v_lshl_add_u64 v[6:7], s[8:9], 1, v[2:3]
	;; [unrolled: 4-line block ×29, first 2 shown]
	s_cselect_b32 s8, s6, 0xf80
	s_ashr_i32 s9, s8, 31
	s_movk_i32 s7, 0x1000
	s_cmpk_lt_u32 s30, 0x3f01
	v_lshl_add_u64 v[94:95], s[8:9], 1, v[2:3]
	v_add_co_u32_e32 v96, vcc, s7, v2
	s_cselect_b32 s8, s6, 0xfc0
	s_nop 0
	v_addc_co_u32_e32 v97, vcc, 0, v3, vcc
	s_ashr_i32 s9, s8, 31
	global_load_ushort v98, v[96:97], off
	global_load_ushort v99, v[4:5], off
	global_load_ushort v100, v[6:7], off
	global_load_ushort v101, v[8:9], off
	global_load_ushort v102, v[10:11], off
	global_load_ushort v103, v[12:13], off
	global_load_ushort v104, v[14:15], off
	global_load_ushort v105, v[48:49], off
	global_load_ushort v106, v[50:51], off
	global_load_ushort v107, v[52:53], off
	global_load_ushort v108, v[54:55], off
	global_load_ushort v109, v[56:57], off
	global_load_ushort v110, v[58:59], off
	global_load_ushort v111, v[60:61], off
	global_load_ushort v112, v[62:63], off
                                        ; kill: killed $vgpr60_vgpr61
                                        ; kill: killed $vgpr12_vgpr13
                                        ; kill: killed $vgpr50_vgpr51
                                        ; kill: killed $vgpr56_vgpr57
                                        ; kill: killed $vgpr8_vgpr9
                                        ; kill: killed $vgpr62_vgpr63
                                        ; kill: killed $vgpr14_vgpr15
                                        ; kill: killed $vgpr96 killed $vgpr97
                                        ; kill: killed $vgpr52_vgpr53
                                        ; kill: killed $vgpr4_vgpr5
                                        ; kill: killed $vgpr58_vgpr59
                                        ; kill: killed $vgpr10_vgpr11
                                        ; kill: killed $vgpr48_vgpr49
                                        ; kill: killed $vgpr54_vgpr55
                                        ; kill: killed $vgpr6_vgpr7
	global_load_ushort v6, v[64:65], off
	global_load_ushort v7, v[66:67], off
	;; [unrolled: 1-line block ×15, first 2 shown]
                                        ; kill: killed $vgpr92_vgpr93
                                        ; kill: killed $vgpr76_vgpr77
                                        ; kill: killed $vgpr82_vgpr83
                                        ; kill: killed $vgpr66_vgpr67
                                        ; kill: killed $vgpr88_vgpr89
                                        ; kill: killed $vgpr72_vgpr73
                                        ; kill: killed $vgpr94_vgpr95
                                        ; kill: killed $vgpr78_vgpr79
                                        ; kill: killed $vgpr84_vgpr85
                                        ; kill: killed $vgpr68_vgpr69
                                        ; kill: killed $vgpr90_vgpr91
                                        ; kill: killed $vgpr74_vgpr75
                                        ; kill: killed $vgpr80_vgpr81
                                        ; kill: killed $vgpr64_vgpr65
                                        ; kill: killed $vgpr70_vgpr71
	global_load_ushort v68, v[86:87], off
	v_lshl_add_u64 v[4:5], s[8:9], 1, v[2:3]
	global_load_ushort v5, v[4:5], off
	s_waitcnt vmcnt(31)
	v_lshlrev_b32_e32 v67, 16, v98
	s_waitcnt vmcnt(30)
	v_lshlrev_b32_e32 v65, 16, v99
	s_waitcnt vmcnt(29)
	v_lshlrev_b32_e32 v66, 16, v100
	s_waitcnt vmcnt(28)
	v_lshlrev_b32_e32 v63, 16, v101
	s_waitcnt vmcnt(27)
	v_lshlrev_b32_e32 v64, 16, v102
	s_waitcnt vmcnt(26)
	v_lshlrev_b32_e32 v61, 16, v103
	s_waitcnt vmcnt(25)
	v_lshlrev_b32_e32 v62, 16, v104
	s_waitcnt vmcnt(24)
	v_lshlrev_b32_e32 v59, 16, v105
	s_waitcnt vmcnt(23)
	v_lshlrev_b32_e32 v60, 16, v106
	s_waitcnt vmcnt(22)
	v_lshlrev_b32_e32 v57, 16, v107
	s_waitcnt vmcnt(21)
	v_lshlrev_b32_e32 v58, 16, v108
	s_waitcnt vmcnt(20)
	v_lshlrev_b32_e32 v55, 16, v109
	s_waitcnt vmcnt(19)
	v_lshlrev_b32_e32 v56, 16, v110
	s_waitcnt vmcnt(18)
	v_lshlrev_b32_e32 v53, 16, v111
	s_waitcnt vmcnt(17)
	v_lshlrev_b32_e32 v54, 16, v112
	s_waitcnt vmcnt(16)
	v_lshlrev_b32_e32 v52, 16, v6
	s_waitcnt vmcnt(15)
	v_lshlrev_b32_e32 v51, 16, v7
	s_waitcnt vmcnt(14)
	v_lshlrev_b32_e32 v49, 16, v8
	s_waitcnt vmcnt(13)
	v_lshlrev_b32_e32 v50, 16, v9
	s_waitcnt vmcnt(12)
	v_lshlrev_b32_e32 v48, 16, v10
	s_waitcnt vmcnt(11)
	v_lshlrev_b32_e32 v10, 16, v11
	s_waitcnt vmcnt(10)
	v_lshlrev_b32_e32 v13, 16, v13
	s_waitcnt vmcnt(9)
	v_lshlrev_b32_e32 v12, 16, v12
	s_waitcnt vmcnt(8)
	v_lshlrev_b32_e32 v15, 16, v15
	s_waitcnt vmcnt(7)
	v_lshlrev_b32_e32 v14, 16, v14
	s_waitcnt vmcnt(6)
	v_lshlrev_b32_e32 v11, 16, v96
	s_waitcnt vmcnt(5)
	v_lshlrev_b32_e32 v4, 16, v97
	s_waitcnt vmcnt(4)
	v_lshlrev_b32_e32 v7, 16, v113
	s_waitcnt vmcnt(3)
	v_lshlrev_b32_e32 v6, 16, v114
	s_waitcnt vmcnt(2)
	v_lshlrev_b32_e32 v9, 16, v115
	s_waitcnt vmcnt(1)
	v_lshlrev_b32_e32 v8, 16, v68
	s_waitcnt vmcnt(0)
	v_lshlrev_b32_e32 v5, 16, v5
.LBB402_12:
	ds_read_b128 v[68:71], v1
	s_waitcnt vmcnt(15)
	v_lshlrev_b32_e32 v23, 16, v23
	ds_read_b128 v[72:75], v1 offset:16
	ds_read_b128 v[76:79], v1 offset:32
	;; [unrolled: 1-line block ×3, first 2 shown]
	s_waitcnt vmcnt(14)
	v_lshlrev_b32_e32 v22, 16, v22
	s_waitcnt vmcnt(13)
	v_lshlrev_b32_e32 v21, 16, v21
	s_waitcnt lgkmcnt(3)
	v_fma_f32 v23, v68, v23, 0
	v_fmac_f32_e32 v23, v69, v22
	v_fmac_f32_e32 v23, v70, v21
	s_waitcnt vmcnt(12)
	v_lshlrev_b32_e32 v20, 16, v20
	s_waitcnt vmcnt(10)
	v_lshlrev_b32_e32 v19, 16, v19
	v_lshlrev_b32_e32 v18, 16, v18
	v_fmac_f32_e32 v23, v71, v20
	s_waitcnt lgkmcnt(2)
	v_pk_mul_f32 v[18:19], v[72:73], v[18:19]
	s_waitcnt vmcnt(8)
	v_lshlrev_b32_e32 v17, 16, v17
	v_add_f32_e32 v18, v23, v18
	v_lshlrev_b32_e32 v16, 16, v16
	v_add_f32_e32 v18, v18, v19
	v_pk_mul_f32 v[16:17], v[74:75], v[16:17]
	s_andn2_b64 vcc, exec, s[4:5]
	v_add_f32_e32 v16, v18, v16
	v_add_f32_e32 v18, v16, v17
	s_waitcnt vmcnt(6)
	v_lshlrev_b32_e32 v17, 16, v31
	v_lshlrev_b32_e32 v16, 16, v30
	s_waitcnt lgkmcnt(1)
	v_pk_mul_f32 v[16:17], v[76:77], v[16:17]
	s_nop 0
	v_add_f32_e32 v16, v18, v16
	v_add_f32_e32 v18, v16, v17
	s_waitcnt vmcnt(4)
	v_lshlrev_b32_e32 v17, 16, v29
	v_lshlrev_b32_e32 v16, 16, v28
	v_pk_mul_f32 v[16:17], v[78:79], v[16:17]
	s_nop 0
	v_add_f32_e32 v16, v18, v16
	v_add_f32_e32 v18, v16, v17
	s_waitcnt vmcnt(2)
	v_lshlrev_b32_e32 v17, 16, v27
	v_lshlrev_b32_e32 v16, 16, v26
	s_waitcnt lgkmcnt(0)
	v_pk_mul_f32 v[16:17], v[80:81], v[16:17]
	s_nop 0
	v_add_f32_e32 v16, v18, v16
	v_add_f32_e32 v18, v16, v17
	s_waitcnt vmcnt(0)
	v_lshlrev_b32_e32 v17, 16, v25
	v_lshlrev_b32_e32 v16, 16, v24
	v_pk_mul_f32 v[16:17], v[82:83], v[16:17]
	s_nop 0
	v_add_f32_e32 v16, v18, v16
	v_add_f32_e32 v108, v16, v17
	s_cbranch_vccnz .LBB402_15
; %bb.13:
	ds_read_b128 v[16:19], v1 offset:64
	v_lshlrev_b32_e32 v39, 16, v39
	ds_read_b128 v[20:23], v1 offset:80
	ds_read_b128 v[24:27], v1 offset:96
	;; [unrolled: 1-line block ×3, first 2 shown]
	s_cmpk_lt_u32 s30, 0x2001
	s_waitcnt lgkmcnt(3)
	v_fmac_f32_e32 v108, v16, v39
	v_lshlrev_b32_e32 v16, 16, v38
	v_fmac_f32_e32 v108, v17, v16
	v_lshlrev_b32_e32 v16, 16, v37
	v_fmac_f32_e32 v108, v18, v16
	v_lshlrev_b32_e32 v16, 16, v36
	v_fmac_f32_e32 v108, v19, v16
	v_lshlrev_b32_e32 v16, 16, v35
	s_waitcnt lgkmcnt(2)
	v_fmac_f32_e32 v108, v20, v16
	v_lshlrev_b32_e32 v16, 16, v34
	v_fmac_f32_e32 v108, v21, v16
	v_lshlrev_b32_e32 v16, 16, v33
	v_fmac_f32_e32 v108, v22, v16
	v_lshlrev_b32_e32 v16, 16, v32
	v_fmac_f32_e32 v108, v23, v16
	v_lshlrev_b32_e32 v16, 16, v47
	;; [unrolled: 9-line block ×3, first 2 shown]
	s_waitcnt lgkmcnt(0)
	v_fmac_f32_e32 v108, v28, v16
	v_lshlrev_b32_e32 v16, 16, v42
	v_fmac_f32_e32 v108, v29, v16
	v_lshlrev_b32_e32 v16, 16, v41
	;; [unrolled: 2-line block ×3, first 2 shown]
	v_fmac_f32_e32 v108, v31, v16
	s_cbranch_scc1 .LBB402_15
; %bb.14:
	v_mov_b32_e32 v32, 0
	ds_read_b128 v[16:19], v32 offset:128
	ds_read_b128 v[20:23], v32 offset:144
	;; [unrolled: 1-line block ×4, first 2 shown]
	s_waitcnt lgkmcnt(3)
	v_fmac_f32_e32 v108, v16, v67
	v_fmac_f32_e32 v108, v17, v65
	v_fmac_f32_e32 v108, v18, v66
	v_fmac_f32_e32 v108, v19, v63
	s_waitcnt lgkmcnt(2)
	v_fmac_f32_e32 v108, v20, v64
	v_fmac_f32_e32 v108, v21, v61
	v_fmac_f32_e32 v108, v22, v62
	v_fmac_f32_e32 v108, v23, v59
	;; [unrolled: 5-line block ×3, first 2 shown]
	ds_read_b128 v[16:19], v32 offset:192
	ds_read_b128 v[20:23], v32 offset:208
	s_waitcnt lgkmcnt(2)
	v_fmac_f32_e32 v108, v28, v56
	v_fmac_f32_e32 v108, v29, v53
	;; [unrolled: 1-line block ×4, first 2 shown]
	s_waitcnt lgkmcnt(1)
	v_fmac_f32_e32 v108, v16, v51
	v_fmac_f32_e32 v108, v17, v49
	;; [unrolled: 1-line block ×4, first 2 shown]
	s_waitcnt lgkmcnt(0)
	v_pk_mul_f32 v[14:15], v[20:21], v[14:15]
	v_pk_mul_f32 v[12:13], v[22:23], v[12:13]
	v_add_f32_e32 v14, v108, v14
	v_add_f32_e32 v18, v14, v15
	ds_read_b128 v[14:17], v32 offset:224
	v_add_f32_e32 v12, v18, v12
	ds_read_b128 v[18:21], v32 offset:240
	v_add_f32_e32 v12, v12, v13
	s_waitcnt lgkmcnt(1)
	v_pk_mul_f32 v[10:11], v[14:15], v[10:11]
	s_nop 0
	v_add_f32_e32 v10, v12, v10
	v_add_f32_e32 v10, v10, v11
	v_pk_mul_f32 v[8:9], v[16:17], v[8:9]
	s_waitcnt lgkmcnt(0)
	v_pk_mul_f32 v[6:7], v[18:19], v[6:7]
	v_add_f32_e32 v8, v10, v8
	v_add_f32_e32 v8, v8, v9
	;; [unrolled: 1-line block ×4, first 2 shown]
	v_pk_mul_f32 v[4:5], v[20:21], v[4:5]
	s_nop 0
	v_add_f32_e32 v4, v6, v4
	v_add_f32_e32 v108, v4, v5
.LBB402_15:
	s_cmpk_lt_i32 s30, 0x4001
	s_cbranch_scc1 .LBB402_17
; %bb.16:
	s_cmpk_lt_i32 s30, 0x4101
	s_cselect_b32 s4, s6, 0x1040
	s_ashr_i32 s5, s4, 31
	s_cmpk_lt_i32 s30, 0x4201
	v_lshl_add_u64 v[94:95], s[4:5], 1, v[2:3]
	s_cselect_b32 s4, s6, 0x1080
	s_ashr_i32 s5, s4, 31
	s_cmpk_lt_i32 s30, 0x4301
	v_lshl_add_u64 v[90:91], s[4:5], 1, v[2:3]
	s_cselect_b32 s4, s6, 0x10c0
	s_ashr_i32 s5, s4, 31
	s_cmpk_lt_i32 s30, 0x4401
	v_lshl_add_u64 v[106:107], s[4:5], 1, v[2:3]
	s_cselect_b32 s4, s6, 0x1100
	s_ashr_i32 s5, s4, 31
	s_cmpk_lt_i32 s30, 0x4501
	v_lshl_add_u64 v[104:105], s[4:5], 1, v[2:3]
	s_cselect_b32 s4, s6, 0x1140
	s_ashr_i32 s5, s4, 31
	s_cmpk_lt_i32 s30, 0x4601
	v_lshl_add_u64 v[100:101], s[4:5], 1, v[2:3]
	s_cselect_b32 s4, s6, 0x1180
	s_ashr_i32 s5, s4, 31
	s_cmpk_lt_i32 s30, 0x4701
	v_lshl_add_u64 v[102:103], s[4:5], 1, v[2:3]
	s_cselect_b32 s4, s6, 0x11c0
	s_ashr_i32 s5, s4, 31
	s_cmpk_lt_i32 s30, 0x4801
	v_lshl_add_u64 v[96:97], s[4:5], 1, v[2:3]
	s_cselect_b32 s4, s6, 0x1200
	s_ashr_i32 s5, s4, 31
	s_cmpk_lt_i32 s30, 0x4901
	v_lshl_add_u64 v[98:99], s[4:5], 1, v[2:3]
	s_cselect_b32 s4, s6, 0x1240
	s_ashr_i32 s5, s4, 31
	s_cmpk_lt_i32 s30, 0x4a01
	v_lshl_add_u64 v[92:93], s[4:5], 1, v[2:3]
	s_cselect_b32 s4, s6, 0x1280
	s_ashr_i32 s5, s4, 31
	s_cmpk_lt_i32 s30, 0x4b01
	v_lshl_add_u64 v[86:87], s[4:5], 1, v[2:3]
	s_cselect_b32 s4, s6, 0x12c0
	s_ashr_i32 s5, s4, 31
	s_cmpk_lt_i32 s30, 0x4c01
	v_lshl_add_u64 v[88:89], s[4:5], 1, v[2:3]
	s_cselect_b32 s4, s6, 0x1300
	s_ashr_i32 s5, s4, 31
	s_cmpk_lt_i32 s30, 0x4d01
	v_lshl_add_u64 v[82:83], s[4:5], 1, v[2:3]
	s_cselect_b32 s4, s6, 0x1340
	s_ashr_i32 s5, s4, 31
	s_cmpk_lt_i32 s30, 0x4e01
	v_lshl_add_u64 v[84:85], s[4:5], 1, v[2:3]
	s_cselect_b32 s4, s6, 0x1380
	s_ashr_i32 s5, s4, 31
	s_cmpk_lt_i32 s30, 0x4f01
	v_lshl_add_u64 v[80:81], s[4:5], 1, v[2:3]
	s_cselect_b32 s4, s6, 0x13c0
	s_ashr_i32 s5, s4, 31
	s_cmpk_lt_i32 s30, 0x5001
	v_lshl_add_u64 v[78:79], s[4:5], 1, v[2:3]
	s_cselect_b32 s4, s6, 0x1400
	s_ashr_i32 s5, s4, 31
	s_cmpk_lt_i32 s30, 0x5101
	v_lshl_add_u64 v[76:77], s[4:5], 1, v[2:3]
	s_cselect_b32 s4, s6, 0x1440
	s_ashr_i32 s5, s4, 31
	s_cmpk_lt_i32 s30, 0x5201
	v_lshl_add_u64 v[4:5], s[4:5], 1, v[2:3]
	s_cselect_b32 s4, s6, 0x1480
	s_ashr_i32 s5, s4, 31
	s_cmpk_lt_i32 s30, 0x5301
	v_lshl_add_u64 v[6:7], s[4:5], 1, v[2:3]
	s_cselect_b32 s4, s6, 0x14c0
	s_ashr_i32 s5, s4, 31
	s_cmpk_lt_i32 s30, 0x5401
	v_lshl_add_u64 v[12:13], s[4:5], 1, v[2:3]
	s_cselect_b32 s4, s6, 0x1500
	s_ashr_i32 s5, s4, 31
	s_cmpk_lt_i32 s30, 0x5501
	v_lshl_add_u64 v[8:9], s[4:5], 1, v[2:3]
	s_cselect_b32 s4, s6, 0x1540
	s_ashr_i32 s5, s4, 31
	s_cmpk_lt_i32 s30, 0x5601
	v_lshl_add_u64 v[10:11], s[4:5], 1, v[2:3]
	s_cselect_b32 s4, s6, 0x1580
	s_ashr_i32 s5, s4, 31
	s_cmpk_lt_i32 s30, 0x5701
	v_lshl_add_u64 v[14:15], s[4:5], 1, v[2:3]
	s_cselect_b32 s4, s6, 0x15c0
	s_ashr_i32 s5, s4, 31
	s_cmpk_lt_i32 s30, 0x5801
	v_lshl_add_u64 v[16:17], s[4:5], 1, v[2:3]
	s_cselect_b32 s4, s6, 0x1600
	s_ashr_i32 s5, s4, 31
	s_cmpk_lt_i32 s30, 0x5901
	v_lshl_add_u64 v[18:19], s[4:5], 1, v[2:3]
	s_cselect_b32 s4, s6, 0x1640
	s_ashr_i32 s5, s4, 31
	s_cmpk_lt_i32 s30, 0x5a01
	v_lshl_add_u64 v[20:21], s[4:5], 1, v[2:3]
	s_cselect_b32 s4, s6, 0x1680
	s_ashr_i32 s5, s4, 31
	s_cmpk_lt_i32 s30, 0x5b01
	v_lshl_add_u64 v[22:23], s[4:5], 1, v[2:3]
	s_cselect_b32 s4, s6, 0x16c0
	s_ashr_i32 s5, s4, 31
	s_cmpk_lt_i32 s30, 0x5c01
	v_lshl_add_u64 v[24:25], s[4:5], 1, v[2:3]
	s_cselect_b32 s4, s6, 0x1700
	s_ashr_i32 s5, s4, 31
	s_cmpk_lt_i32 s30, 0x5d01
	v_lshl_add_u64 v[26:27], s[4:5], 1, v[2:3]
	s_cselect_b32 s4, s6, 0x1740
	s_ashr_i32 s5, s4, 31
	s_cmpk_lt_i32 s30, 0x5e01
	v_lshl_add_u64 v[28:29], s[4:5], 1, v[2:3]
	s_cselect_b32 s4, s6, 0x1780
	s_ashr_i32 s5, s4, 31
	s_cmpk_lt_i32 s30, 0x5f01
	v_lshl_add_u64 v[30:31], s[4:5], 1, v[2:3]
	s_cselect_b32 s4, s6, 0x17c0
	s_ashr_i32 s5, s4, 31
	s_cmpk_lt_i32 s30, 0x6001
	v_lshl_add_u64 v[32:33], s[4:5], 1, v[2:3]
	s_cselect_b32 s4, s6, 0x1800
	s_ashr_i32 s5, s4, 31
	s_cmpk_lt_i32 s30, 0x6101
	v_lshl_add_u64 v[34:35], s[4:5], 1, v[2:3]
	s_cselect_b32 s4, s6, 0x1840
	s_ashr_i32 s5, s4, 31
	s_cmpk_lt_i32 s30, 0x6201
	v_lshl_add_u64 v[36:37], s[4:5], 1, v[2:3]
	s_cselect_b32 s4, s6, 0x1880
	s_ashr_i32 s5, s4, 31
	s_cmpk_lt_i32 s30, 0x6301
	v_lshl_add_u64 v[38:39], s[4:5], 1, v[2:3]
	s_cselect_b32 s4, s6, 0x18c0
	s_ashr_i32 s5, s4, 31
	s_cmpk_lt_i32 s30, 0x6401
	v_lshl_add_u64 v[40:41], s[4:5], 1, v[2:3]
	s_cselect_b32 s4, s6, 0x1900
	s_ashr_i32 s5, s4, 31
	s_cmpk_lt_i32 s30, 0x6501
	v_lshl_add_u64 v[42:43], s[4:5], 1, v[2:3]
	s_cselect_b32 s4, s6, 0x1940
	s_ashr_i32 s5, s4, 31
	s_movk_i32 s7, 0x2000
	s_cmpk_lt_i32 s30, 0x6601
	v_add_co_u32_e32 v70, vcc, s7, v2
	v_lshl_add_u64 v[44:45], s[4:5], 1, v[2:3]
	s_cselect_b32 s4, s6, 0x1980
	v_addc_co_u32_e32 v71, vcc, 0, v3, vcc
	s_ashr_i32 s5, s4, 31
	global_load_ushort v109, v[70:71], off
	global_load_ushort v115, v[76:77], off
	s_cmpk_lt_i32 s30, 0x6701
	global_load_ushort v110, v[94:95], off
	global_load_ushort v112, v[96:97], off
	v_lshl_add_u64 v[46:47], s[4:5], 1, v[2:3]
	s_cselect_b32 s4, s6, 0x19c0
	global_load_ushort v111, v[90:91], off
	s_ashr_i32 s5, s4, 31
	global_load_ushort v106, v[106:107], off
	s_cmpk_lt_i32 s30, 0x6801
	global_load_ushort v104, v[104:105], off
	v_lshl_add_u64 v[48:49], s[4:5], 1, v[2:3]
	s_cselect_b32 s4, s6, 0x1a00
	global_load_ushort v105, v[100:101], off
	global_load_ushort v107, v[102:103], off
	s_ashr_i32 s5, s4, 31
	s_cmpk_lt_i32 s30, 0x6901
	v_lshl_add_u64 v[50:51], s[4:5], 1, v[2:3]
	s_cselect_b32 s4, s6, 0x1a40
	global_load_ushort v98, v[98:99], off
	s_ashr_i32 s5, s4, 31
	global_load_ushort v99, v[92:93], off
	s_cmpk_lt_i32 s30, 0x6a01
	global_load_ushort v113, v[86:87], off
	v_lshl_add_u64 v[52:53], s[4:5], 1, v[2:3]
	global_load_ushort v88, v[88:89], off
	s_cselect_b32 s4, s6, 0x1a80
	s_ashr_i32 s5, s4, 31
	global_load_ushort v89, v[82:83], off
	s_cmpk_lt_i32 s30, 0x6b01
	global_load_ushort v84, v[84:85], off
	v_lshl_add_u64 v[54:55], s[4:5], 1, v[2:3]
	s_cselect_b32 s4, s6, 0x1ac0
	s_ashr_i32 s5, s4, 31
	global_load_ushort v85, v[80:81], off
	global_load_ushort v114, v[78:79], off
	s_cmpk_lt_i32 s30, 0x6c01
	v_lshl_add_u64 v[56:57], s[4:5], 1, v[2:3]
	s_cselect_b32 s4, s6, 0x1b00
	s_ashr_i32 s5, s4, 31
	s_cmpk_lt_i32 s30, 0x6d01
	v_lshl_add_u64 v[58:59], s[4:5], 1, v[2:3]
	s_cselect_b32 s4, s6, 0x1b40
	s_ashr_i32 s5, s4, 31
	;; [unrolled: 4-line block ×20, first 2 shown]
	v_lshl_add_u64 v[76:77], s[4:5], 1, v[2:3]
	global_load_ushort v116, v[4:5], off
	global_load_ushort v117, v[6:7], off
	;; [unrolled: 1-line block ×10, first 2 shown]
	v_mov_b32_e32 v81, 0
	global_load_ushort v82, v[8:9], off
	ds_read_b128 v[4:7], v81 offset:256
	ds_read_b128 v[76:79], v81 offset:272
	s_waitcnt vmcnt(27)
	v_lshlrev_b32_e32 v80, 16, v109
	global_load_ushort v83, v[10:11], off
	global_load_ushort v86, v[14:15], off
	ds_read_b128 v[8:11], v81 offset:288
	ds_read_b128 v[12:15], v81 offset:304
	s_waitcnt lgkmcnt(3)
	v_fmac_f32_e32 v108, v4, v80
	s_waitcnt vmcnt(27)
	v_lshlrev_b32_e32 v4, 16, v110
	v_fmac_f32_e32 v108, v5, v4
	s_waitcnt vmcnt(25)
	v_lshlrev_b32_e32 v4, 16, v111
	v_fmac_f32_e32 v108, v6, v4
	s_waitcnt vmcnt(24)
	v_lshlrev_b32_e32 v4, 16, v106
	v_fmac_f32_e32 v108, v7, v4
	s_waitcnt vmcnt(23)
	v_lshlrev_b32_e32 v4, 16, v104
	s_waitcnt lgkmcnt(2)
	v_fmac_f32_e32 v108, v76, v4
	s_waitcnt vmcnt(22)
	v_lshlrev_b32_e32 v4, 16, v105
	v_fmac_f32_e32 v108, v77, v4
	s_waitcnt vmcnt(21)
	v_lshlrev_b32_e32 v4, 16, v107
	v_fmac_f32_e32 v108, v78, v4
	v_lshlrev_b32_e32 v4, 16, v112
	v_fmac_f32_e32 v108, v79, v4
	s_waitcnt vmcnt(20)
	v_lshlrev_b32_e32 v4, 16, v98
	s_waitcnt lgkmcnt(1)
	v_fmac_f32_e32 v108, v8, v4
	s_waitcnt vmcnt(19)
	v_lshlrev_b32_e32 v4, 16, v99
	v_fmac_f32_e32 v108, v9, v4
	s_waitcnt vmcnt(18)
	v_lshlrev_b32_e32 v4, 16, v113
	;; [unrolled: 3-line block ×3, first 2 shown]
	global_load_ushort v16, v[16:17], off
	v_fmac_f32_e32 v108, v11, v4
	s_waitcnt vmcnt(17)
	v_lshlrev_b32_e32 v4, 16, v89
	s_waitcnt lgkmcnt(0)
	v_fmac_f32_e32 v108, v12, v4
	global_load_ushort v12, v[52:53], off
	global_load_ushort v17, v[18:19], off
	s_waitcnt vmcnt(18)
	v_lshlrev_b32_e32 v4, 16, v84
	v_fmac_f32_e32 v108, v13, v4
	global_load_ushort v13, v[56:57], off
	global_load_ushort v18, v[20:21], off
	;; [unrolled: 1-line block ×3, first 2 shown]
	s_waitcnt vmcnt(20)
	v_lshlrev_b32_e32 v4, 16, v85
	v_fmac_f32_e32 v108, v14, v4
	global_load_ushort v14, v[60:61], off
	global_load_ushort v20, v[24:25], off
	;; [unrolled: 1-line block ×5, first 2 shown]
	s_waitcnt vmcnt(24)
	v_lshlrev_b32_e32 v4, 16, v114
	v_fmac_f32_e32 v108, v15, v4
	global_load_ushort v15, v[64:65], off
	global_load_ushort v24, v[32:33], off
	;; [unrolled: 1-line block ×15, first 2 shown]
	ds_read_b128 v[4:7], v81 offset:320
	ds_read_b128 v[8:11], v81 offset:336
	v_lshlrev_b32_e32 v37, 16, v115
	global_load_ushort v39, v[72:73], off
	s_waitcnt lgkmcnt(1)
	v_fmac_f32_e32 v108, v4, v37
	global_load_ushort v37, v[68:69], off
	global_load_ushort v40, v[70:71], off
	;; [unrolled: 1-line block ×7, first 2 shown]
	s_waitcnt vmcnt(46)
	v_lshlrev_b32_e32 v4, 16, v116
	v_fmac_f32_e32 v108, v5, v4
	s_waitcnt vmcnt(45)
	v_lshlrev_b32_e32 v4, 16, v117
	v_fmac_f32_e32 v108, v6, v4
	s_waitcnt vmcnt(37)
	v_lshlrev_b32_e32 v4, 16, v125
	v_fmac_f32_e32 v108, v7, v4
	s_waitcnt vmcnt(36)
	v_lshlrev_b32_e32 v4, 16, v82
	s_waitcnt lgkmcnt(0)
	v_fmac_f32_e32 v108, v8, v4
	s_waitcnt vmcnt(35)
	v_lshlrev_b32_e32 v4, 16, v83
	v_fmac_f32_e32 v108, v9, v4
	s_waitcnt vmcnt(34)
	v_lshlrev_b32_e32 v4, 16, v86
	v_fmac_f32_e32 v108, v10, v4
	ds_read_b128 v[4:7], v81 offset:352
	s_waitcnt vmcnt(33)
	v_lshlrev_b32_e32 v8, 16, v16
	v_fmac_f32_e32 v108, v11, v8
	ds_read_b128 v[8:11], v81 offset:368
	s_waitcnt vmcnt(31)
	v_lshlrev_b32_e32 v16, 16, v17
	s_waitcnt lgkmcnt(1)
	v_fmac_f32_e32 v108, v4, v16
	s_waitcnt vmcnt(29)
	v_lshlrev_b32_e32 v4, 16, v18
	v_fmac_f32_e32 v108, v5, v4
	s_waitcnt vmcnt(28)
	v_lshlrev_b32_e32 v4, 16, v19
	v_fmac_f32_e32 v108, v6, v4
	s_waitcnt vmcnt(26)
	v_lshlrev_b32_e32 v4, 16, v20
	v_fmac_f32_e32 v108, v7, v4
	s_waitcnt vmcnt(25)
	v_lshlrev_b32_e32 v4, 16, v21
	s_waitcnt lgkmcnt(0)
	v_fmac_f32_e32 v108, v8, v4
	s_waitcnt vmcnt(24)
	v_lshlrev_b32_e32 v4, 16, v22
	v_fmac_f32_e32 v108, v9, v4
	s_waitcnt vmcnt(23)
	v_lshlrev_b32_e32 v4, 16, v23
	v_fmac_f32_e32 v108, v10, v4
	ds_read_b128 v[4:7], v81 offset:384
	s_waitcnt vmcnt(21)
	v_lshlrev_b32_e32 v8, 16, v24
	v_fmac_f32_e32 v108, v11, v8
	ds_read_b128 v[8:11], v81 offset:400
	s_waitcnt vmcnt(20)
	v_lshlrev_b32_e32 v16, 16, v25
	s_waitcnt lgkmcnt(1)
	v_fmac_f32_e32 v108, v4, v16
	;; [unrolled: 28-line block ×3, first 2 shown]
	v_lshlrev_b32_e32 v4, 16, v12
	v_fmac_f32_e32 v108, v5, v4
	s_waitcnt vmcnt(11)
	v_lshlrev_b32_e32 v4, 16, v34
	v_fmac_f32_e32 v108, v6, v4
	v_lshlrev_b32_e32 v4, 16, v13
	v_fmac_f32_e32 v108, v7, v4
	s_waitcnt vmcnt(10)
	v_lshlrev_b32_e32 v4, 16, v35
	s_waitcnt lgkmcnt(0)
	v_fmac_f32_e32 v108, v8, v4
	v_lshlrev_b32_e32 v4, 16, v14
	v_fmac_f32_e32 v108, v9, v4
	s_waitcnt vmcnt(9)
	v_lshlrev_b32_e32 v4, 16, v36
	v_fmac_f32_e32 v108, v10, v4
	ds_read_b128 v[4:7], v81 offset:448
	v_lshlrev_b32_e32 v8, 16, v15
	v_fmac_f32_e32 v108, v11, v8
	ds_read_b128 v[8:11], v81 offset:464
	s_waitcnt vmcnt(8)
	v_lshlrev_b32_e32 v12, 16, v38
	s_waitcnt lgkmcnt(1)
	v_fmac_f32_e32 v108, v4, v12
	s_waitcnt vmcnt(6)
	v_lshlrev_b32_e32 v4, 16, v37
	v_fmac_f32_e32 v108, v5, v4
	v_lshlrev_b32_e32 v4, 16, v39
	v_fmac_f32_e32 v108, v6, v4
	s_waitcnt vmcnt(5)
	v_lshlrev_b32_e32 v4, 16, v40
	v_fmac_f32_e32 v108, v7, v4
	s_waitcnt vmcnt(3)
	v_lshlrev_b32_e32 v5, 16, v42
	v_lshlrev_b32_e32 v4, 16, v41
	s_waitcnt lgkmcnt(0)
	v_pk_mul_f32 v[4:5], v[8:9], v[4:5]
	v_lshlrev_b32_e32 v13, 16, v118
	v_add_f32_e32 v4, v108, v4
	v_add_f32_e32 v6, v4, v5
	s_waitcnt vmcnt(1)
	v_lshlrev_b32_e32 v5, 16, v44
	v_lshlrev_b32_e32 v4, 16, v43
	v_pk_mul_f32 v[8:9], v[10:11], v[4:5]
	s_waitcnt vmcnt(0)
	v_lshlrev_b32_e32 v12, 16, v45
	v_add_f32_e32 v8, v6, v8
	ds_read_b128 v[4:7], v81 offset:480
	v_add_f32_e32 v14, v8, v9
	ds_read_b128 v[8:11], v81 offset:496
	s_waitcnt lgkmcnt(1)
	v_pk_mul_f32 v[4:5], v[4:5], v[12:13]
	s_nop 0
	v_add_f32_e32 v4, v14, v4
	v_add_f32_e32 v12, v4, v5
	v_lshlrev_b32_e32 v5, 16, v120
	v_lshlrev_b32_e32 v4, 16, v119
	v_pk_mul_f32 v[4:5], v[6:7], v[4:5]
	s_nop 0
	v_add_f32_e32 v4, v12, v4
	v_add_f32_e32 v6, v4, v5
	v_lshlrev_b32_e32 v5, 16, v122
	v_lshlrev_b32_e32 v4, 16, v121
	s_waitcnt lgkmcnt(0)
	v_pk_mul_f32 v[4:5], v[8:9], v[4:5]
	s_nop 0
	v_add_f32_e32 v4, v6, v4
	v_add_f32_e32 v6, v4, v5
	v_lshlrev_b32_e32 v5, 16, v124
	v_lshlrev_b32_e32 v4, 16, v123
	v_pk_mul_f32 v[4:5], v[10:11], v[4:5]
	s_nop 0
	v_add_f32_e32 v4, v6, v4
	v_add_f32_e32 v108, v4, v5
.LBB402_17:
	s_load_dwordx2 s[4:5], s[0:1], 0x38
	s_cmp_lt_i32 s30, 0x8001
	s_cbranch_scc1 .LBB402_19
; %bb.18:
	s_cmp_lt_i32 s30, 0x8101
	s_cselect_b32 s8, s6, 0x2040
	s_ashr_i32 s9, s8, 31
	s_cmp_lt_i32 s30, 0x8201
	v_lshl_add_u64 v[106:107], s[8:9], 1, v[2:3]
	s_cselect_b32 s8, s6, 0x2080
	s_ashr_i32 s9, s8, 31
	s_cmp_lt_i32 s30, 0x8301
	v_lshl_add_u64 v[86:87], s[8:9], 1, v[2:3]
	;; [unrolled: 4-line block ×36, first 2 shown]
	s_cselect_b32 s8, s6, 0x2940
	s_ashr_i32 s9, s8, 31
	s_movk_i32 s7, 0x4000
	s_cmp_lt_i32 s30, 0xa601
	v_add_co_u32_e32 v70, vcc, s7, v2
	v_lshl_add_u64 v[44:45], s[8:9], 1, v[2:3]
	s_cselect_b32 s8, s6, 0x2980
	v_addc_co_u32_e32 v71, vcc, 0, v3, vcc
	s_ashr_i32 s9, s8, 31
	global_load_ushort v109, v[70:71], off
	global_load_ushort v115, v[76:77], off
	s_cmp_lt_i32 s30, 0xa701
	global_load_ushort v106, v[106:107], off
	v_lshl_add_u64 v[46:47], s[8:9], 1, v[2:3]
	global_load_ushort v111, v[102:103], off
	s_cselect_b32 s8, s6, 0x29c0
	global_load_ushort v107, v[86:87], off
	global_load_ushort v113, v[88:89], off
	s_ashr_i32 s9, s8, 31
	global_load_ushort v104, v[104:105], off
	s_cmp_lt_i32 s30, 0xa801
	global_load_ushort v105, v[100:101], off
	global_load_ushort v110, v[94:95], off
	;; [unrolled: 1-line block ×3, first 2 shown]
	v_lshl_add_u64 v[48:49], s[8:9], 1, v[2:3]
	global_load_ushort v98, v[98:99], off
	s_cselect_b32 s8, s6, 0x2a00
	s_ashr_i32 s9, s8, 31
	s_cmp_lt_i32 s30, 0xa901
	v_lshl_add_u64 v[50:51], s[8:9], 1, v[2:3]
	s_cselect_b32 s8, s6, 0x2a40
	s_ashr_i32 s9, s8, 31
	global_load_ushort v99, v[92:93], off
	s_cmp_lt_i32 s30, 0xaa01
	global_load_ushort v90, v[90:91], off
	v_lshl_add_u64 v[52:53], s[8:9], 1, v[2:3]
	s_cselect_b32 s8, s6, 0x2a80
	s_ashr_i32 s9, s8, 31
	s_cmp_lt_i32 s30, 0xab01
	v_lshl_add_u64 v[54:55], s[8:9], 1, v[2:3]
	s_cselect_b32 s8, s6, 0x2ac0
	s_ashr_i32 s9, s8, 31
	s_cmp_lt_i32 s30, 0xac01
	;; [unrolled: 4-line block ×8, first 2 shown]
	v_lshl_add_u64 v[68:69], s[8:9], 1, v[2:3]
	s_cselect_b32 s8, s6, 0x2c80
	global_load_ushort v91, v[82:83], off
	s_ashr_i32 s9, s8, 31
	global_load_ushort v84, v[84:85], off
	s_cmp_lt_i32 s30, 0xb301
	global_load_ushort v85, v[80:81], off
	global_load_ushort v114, v[78:79], off
	v_lshl_add_u64 v[72:73], s[8:9], 1, v[2:3]
	s_cselect_b32 s8, s6, 0x2cc0
	s_ashr_i32 s9, s8, 31
	s_cmp_lt_i32 s30, 0xb401
	v_lshl_add_u64 v[70:71], s[8:9], 1, v[2:3]
	s_cselect_b32 s8, s6, 0x2d00
	s_ashr_i32 s9, s8, 31
	s_cmp_lt_i32 s30, 0xb501
	;; [unrolled: 4-line block ×12, first 2 shown]
	s_cselect_b32 s6, s6, 0x2fc0
	s_ashr_i32 s7, s6, 31
	v_lshl_add_u64 v[78:79], s[8:9], 1, v[2:3]
	v_lshl_add_u64 v[2:3], s[6:7], 1, v[2:3]
	global_load_ushort v116, v[4:5], off
	global_load_ushort v117, v[6:7], off
	;; [unrolled: 1-line block ×10, first 2 shown]
	v_mov_b32_e32 v81, 0
	global_load_ushort v82, v[8:9], off
	ds_read_b128 v[2:5], v81 offset:512
	ds_read_b128 v[6:9], v81 offset:528
	s_waitcnt vmcnt(27)
	v_lshlrev_b32_e32 v80, 16, v109
	global_load_ushort v83, v[10:11], off
	global_load_ushort v88, v[14:15], off
	ds_read_b128 v[10:13], v81 offset:544
	ds_read_b128 v[76:79], v81 offset:560
	s_waitcnt lgkmcnt(0)
	v_fmac_f32_e32 v108, v2, v80
	s_waitcnt vmcnt(27)
	v_lshlrev_b32_e32 v2, 16, v106
	v_fmac_f32_e32 v108, v3, v2
	s_waitcnt vmcnt(25)
	v_lshlrev_b32_e32 v2, 16, v107
	;; [unrolled: 3-line block ×3, first 2 shown]
	v_fmac_f32_e32 v108, v5, v2
	v_lshlrev_b32_e32 v2, 16, v104
	v_fmac_f32_e32 v108, v6, v2
	v_lshlrev_b32_e32 v2, 16, v105
	;; [unrolled: 2-line block ×3, first 2 shown]
	v_fmac_f32_e32 v108, v8, v2
	s_waitcnt vmcnt(20)
	v_lshlrev_b32_e32 v2, 16, v112
	v_fmac_f32_e32 v108, v9, v2
	s_waitcnt vmcnt(19)
	v_lshlrev_b32_e32 v2, 16, v98
	global_load_ushort v14, v[16:17], off
	global_load_ushort v15, v[18:19], off
	v_fmac_f32_e32 v108, v10, v2
	global_load_ushort v10, v[40:41], off
	s_waitcnt vmcnt(21)
	v_lshlrev_b32_e32 v2, 16, v99
	v_fmac_f32_e32 v108, v11, v2
	v_lshlrev_b32_e32 v2, 16, v113
	v_fmac_f32_e32 v108, v12, v2
	global_load_ushort v12, v[48:49], off
	global_load_ushort v16, v[20:21], off
	;; [unrolled: 1-line block ×6, first 2 shown]
	s_waitcnt vmcnt(26)
	v_lshlrev_b32_e32 v2, 16, v90
	v_fmac_f32_e32 v108, v13, v2
	global_load_ushort v13, v[50:51], off
	global_load_ushort v20, v[28:29], off
	;; [unrolled: 1-line block ×17, first 2 shown]
	s_waitcnt vmcnt(42)
	v_lshlrev_b32_e32 v2, 16, v91
	v_fmac_f32_e32 v108, v76, v2
	s_waitcnt vmcnt(41)
	v_lshlrev_b32_e32 v2, 16, v84
	v_fmac_f32_e32 v108, v77, v2
	;; [unrolled: 3-line block ×4, first 2 shown]
	ds_read_b128 v[2:5], v81 offset:576
	ds_read_b128 v[6:9], v81 offset:592
	v_lshlrev_b32_e32 v35, 16, v115
	global_load_ushort v37, v[72:73], off
	s_waitcnt lgkmcnt(1)
	v_fmac_f32_e32 v108, v2, v35
	global_load_ushort v35, v[68:69], off
	global_load_ushort v38, v[70:71], off
	;; [unrolled: 1-line block ×7, first 2 shown]
	s_waitcnt vmcnt(46)
	v_lshlrev_b32_e32 v2, 16, v116
	v_fmac_f32_e32 v108, v3, v2
	s_waitcnt vmcnt(45)
	v_lshlrev_b32_e32 v2, 16, v117
	v_fmac_f32_e32 v108, v4, v2
	;; [unrolled: 3-line block ×3, first 2 shown]
	s_waitcnt vmcnt(36)
	v_lshlrev_b32_e32 v2, 16, v82
	s_waitcnt lgkmcnt(0)
	v_fmac_f32_e32 v108, v6, v2
	s_waitcnt vmcnt(35)
	v_lshlrev_b32_e32 v2, 16, v83
	v_fmac_f32_e32 v108, v7, v2
	s_waitcnt vmcnt(34)
	v_lshlrev_b32_e32 v2, 16, v88
	v_fmac_f32_e32 v108, v8, v2
	ds_read_b128 v[2:5], v81 offset:608
	s_waitcnt vmcnt(33)
	v_lshlrev_b32_e32 v6, 16, v14
	v_fmac_f32_e32 v108, v9, v6
	ds_read_b128 v[6:9], v81 offset:624
	s_waitcnt vmcnt(32)
	v_lshlrev_b32_e32 v14, 16, v15
	s_waitcnt lgkmcnt(1)
	v_fmac_f32_e32 v108, v2, v14
	s_waitcnt vmcnt(29)
	v_lshlrev_b32_e32 v2, 16, v16
	v_fmac_f32_e32 v108, v3, v2
	s_waitcnt vmcnt(28)
	v_lshlrev_b32_e32 v2, 16, v17
	;; [unrolled: 3-line block ×4, first 2 shown]
	s_waitcnt lgkmcnt(0)
	v_fmac_f32_e32 v108, v6, v2
	s_waitcnt vmcnt(23)
	v_lshlrev_b32_e32 v2, 16, v20
	v_fmac_f32_e32 v108, v7, v2
	s_waitcnt vmcnt(22)
	v_lshlrev_b32_e32 v2, 16, v21
	v_fmac_f32_e32 v108, v8, v2
	ds_read_b128 v[2:5], v81 offset:640
	s_waitcnt vmcnt(21)
	v_lshlrev_b32_e32 v6, 16, v22
	v_fmac_f32_e32 v108, v9, v6
	ds_read_b128 v[6:9], v81 offset:656
	s_waitcnt vmcnt(20)
	v_lshlrev_b32_e32 v14, 16, v23
	s_waitcnt lgkmcnt(1)
	v_fmac_f32_e32 v108, v2, v14
	s_waitcnt vmcnt(19)
	v_lshlrev_b32_e32 v2, 16, v24
	v_fmac_f32_e32 v108, v3, v2
	s_waitcnt vmcnt(18)
	v_lshlrev_b32_e32 v2, 16, v25
	v_fmac_f32_e32 v108, v4, v2
	v_lshlrev_b32_e32 v2, 16, v10
	v_fmac_f32_e32 v108, v5, v2
	s_waitcnt vmcnt(17)
	v_lshlrev_b32_e32 v2, 16, v26
	s_waitcnt lgkmcnt(0)
	v_fmac_f32_e32 v108, v6, v2
	v_lshlrev_b32_e32 v2, 16, v11
	v_fmac_f32_e32 v108, v7, v2
	s_waitcnt vmcnt(16)
	v_lshlrev_b32_e32 v2, 16, v27
	v_fmac_f32_e32 v108, v8, v2
	ds_read_b128 v[2:5], v81 offset:672
	v_lshlrev_b32_e32 v6, 16, v12
	v_fmac_f32_e32 v108, v9, v6
	ds_read_b128 v[6:9], v81 offset:688
	v_lshlrev_b32_e32 v10, 16, v13
	s_waitcnt lgkmcnt(1)
	v_fmac_f32_e32 v108, v2, v10
	s_waitcnt vmcnt(15)
	v_lshlrev_b32_e32 v2, 16, v28
	v_fmac_f32_e32 v108, v3, v2
	s_waitcnt vmcnt(14)
	v_lshlrev_b32_e32 v2, 16, v29
	;; [unrolled: 3-line block ×4, first 2 shown]
	s_waitcnt lgkmcnt(0)
	v_fmac_f32_e32 v108, v6, v2
	s_waitcnt vmcnt(11)
	v_lshlrev_b32_e32 v2, 16, v32
	v_fmac_f32_e32 v108, v7, v2
	s_waitcnt vmcnt(10)
	v_lshlrev_b32_e32 v2, 16, v33
	v_fmac_f32_e32 v108, v8, v2
	ds_read_b128 v[2:5], v81 offset:704
	s_waitcnt vmcnt(9)
	v_lshlrev_b32_e32 v6, 16, v34
	v_fmac_f32_e32 v108, v9, v6
	ds_read_b128 v[6:9], v81 offset:720
	s_waitcnt vmcnt(8)
	v_lshlrev_b32_e32 v10, 16, v36
	s_waitcnt lgkmcnt(1)
	v_fmac_f32_e32 v108, v2, v10
	s_waitcnt vmcnt(6)
	v_lshlrev_b32_e32 v2, 16, v35
	v_fmac_f32_e32 v108, v3, v2
	v_lshlrev_b32_e32 v2, 16, v37
	v_fmac_f32_e32 v108, v4, v2
	s_waitcnt vmcnt(5)
	v_lshlrev_b32_e32 v2, 16, v38
	v_fmac_f32_e32 v108, v5, v2
	s_waitcnt vmcnt(3)
	v_lshlrev_b32_e32 v3, 16, v40
	v_lshlrev_b32_e32 v2, 16, v39
	s_waitcnt lgkmcnt(0)
	v_pk_mul_f32 v[2:3], v[6:7], v[2:3]
	v_lshlrev_b32_e32 v11, 16, v118
	v_add_f32_e32 v2, v108, v2
	v_add_f32_e32 v4, v2, v3
	s_waitcnt vmcnt(1)
	v_lshlrev_b32_e32 v3, 16, v42
	v_lshlrev_b32_e32 v2, 16, v41
	v_pk_mul_f32 v[6:7], v[8:9], v[2:3]
	s_waitcnt vmcnt(0)
	v_lshlrev_b32_e32 v10, 16, v43
	v_add_f32_e32 v6, v4, v6
	ds_read_b128 v[2:5], v81 offset:736
	v_add_f32_e32 v12, v6, v7
	ds_read_b128 v[6:9], v81 offset:752
	s_waitcnt lgkmcnt(1)
	v_pk_mul_f32 v[2:3], v[2:3], v[10:11]
	s_nop 0
	v_add_f32_e32 v2, v12, v2
	v_add_f32_e32 v10, v2, v3
	v_lshlrev_b32_e32 v3, 16, v120
	v_lshlrev_b32_e32 v2, 16, v119
	v_pk_mul_f32 v[2:3], v[4:5], v[2:3]
	s_nop 0
	v_add_f32_e32 v2, v10, v2
	v_add_f32_e32 v4, v2, v3
	v_lshlrev_b32_e32 v3, 16, v122
	v_lshlrev_b32_e32 v2, 16, v121
	s_waitcnt lgkmcnt(0)
	v_pk_mul_f32 v[2:3], v[6:7], v[2:3]
	s_nop 0
	v_add_f32_e32 v2, v4, v2
	v_add_f32_e32 v4, v2, v3
	v_lshlrev_b32_e32 v3, 16, v124
	v_lshlrev_b32_e32 v2, 16, v123
	v_pk_mul_f32 v[2:3], v[8:9], v[2:3]
	s_nop 0
	v_add_f32_e32 v2, v4, v2
	v_add_f32_e32 v108, v2, v3
.LBB402_19:
	v_mov_b32_e32 v2, 0
	s_load_dwordx2 s[0:1], s[0:1], 0x0
	ds_read_b32 v2, v2 offset:768
	s_waitcnt lgkmcnt(0)
	s_cmp_eq_u64 s[4:5], 0
	s_cbranch_scc1 .LBB402_24
; %bb.20:
	s_load_dword s6, s[4:5], 0x0
	s_waitcnt lgkmcnt(0)
	v_div_scale_f32 v3, s[4:5], s6, s6, 1.0
	v_rcp_f32_e32 v4, v3
	v_div_scale_f32 v5, vcc, 1.0, s6, 1.0
	v_fma_f32 v6, -v3, v4, 1.0
	v_fmac_f32_e32 v4, v6, v4
	v_mul_f32_e32 v6, v5, v4
	v_fma_f32 v7, -v3, v6, v5
	v_fmac_f32_e32 v6, v7, v4
	v_fma_f32 v3, -v3, v6, v5
	v_div_fmas_f32 v3, v3, v4, v6
	v_div_fixup_f32 v3, v3, s6, 1.0
	s_andn2_b64 vcc, exec, s[22:23]
	s_cbranch_vccnz .LBB402_22
.LBB402_21:
	s_add_u32 s4, s20, s24
	s_addc_u32 s5, s21, s25
	s_load_dword s10, s[4:5], 0x0
	s_mov_b32 s11, 0
.LBB402_22:
	v_add_f32_e32 v2, 0x358637bd, v2
	v_div_scale_f32 v4, s[4:5], v2, v2, 1.0
	v_rcp_f32_e32 v5, v4
	v_div_scale_f32 v6, vcc, 1.0, v2, 1.0
	s_mul_i32 s4, s3, s11
	v_fma_f32 v7, -v4, v5, 1.0
	v_fmac_f32_e32 v5, v7, v5
	v_mul_f32_e32 v7, v6, v5
	v_fma_f32 v8, -v4, v7, v6
	v_fmac_f32_e32 v7, v8, v5
	v_fma_f32 v4, -v4, v7, v6
	s_waitcnt lgkmcnt(0)
	s_mul_hi_u32 s5, s3, s10
	v_div_fmas_f32 v4, v4, v5, v7
	s_add_i32 s5, s5, s4
	s_mul_i32 s4, s3, s10
	v_div_fixup_f32 v2, v4, v2, 1.0
	s_lshl_b64 s[4:5], s[4:5], 6
	v_mul_f32_e32 v2, v108, v2
	s_add_u32 s4, s0, s4
	s_mov_b32 s3, 0
	v_mul_f32_e32 v2, v2, v3
	s_addc_u32 s5, s1, s5
	s_lshl_b64 s[0:1], s[2:3], 6
	s_mov_b32 s2, 0x7f800000
	s_mov_b32 s3, 0x43700000
	v_mov_b32_e32 v3, 0xc3700000
	v_med3_f32 v3, v2, s3, v3
	v_cmp_nlg_f32_e64 vcc, |v2|, s2
	s_add_u32 s0, s4, s0
	s_addc_u32 s1, s5, s1
	v_cndmask_b32_e32 v2, v3, v2, vcc
	v_mov_b32_e32 v3, 0
	v_cvt_pk_fp8_f32 v3, v2, v2
	v_lshl_add_u64 v[0:1], s[0:1], 0, v[0:1]
	global_store_byte v[0:1], v3, off
	s_endpgm
.LBB402_23:
	s_mov_b64 s[6:7], 0
	s_branch .LBB402_2
.LBB402_24:
	v_mov_b32_e32 v3, 1.0
	s_andn2_b64 vcc, exec, s[22:23]
	s_cbranch_vccz .LBB402_21
	s_branch .LBB402_22
	.section	.rodata,"a",@progbits
	.p2align	6, 0x0
	.amdhsa_kernel _Z35paged_attention_ll4mi_reduce_kernelI14__hip_bfloat16hLi64ELi64ELi256ELi3EEvPT0_PKfS4_PKT_PKiS9_iS4_
		.amdhsa_group_segment_fixed_size 772
		.amdhsa_private_segment_fixed_size 0
		.amdhsa_kernarg_size 320
		.amdhsa_user_sgpr_count 2
		.amdhsa_user_sgpr_dispatch_ptr 0
		.amdhsa_user_sgpr_queue_ptr 0
		.amdhsa_user_sgpr_kernarg_segment_ptr 1
		.amdhsa_user_sgpr_dispatch_id 0
		.amdhsa_user_sgpr_kernarg_preload_length 0
		.amdhsa_user_sgpr_kernarg_preload_offset 0
		.amdhsa_user_sgpr_private_segment_size 0
		.amdhsa_uses_dynamic_stack 0
		.amdhsa_enable_private_segment 0
		.amdhsa_system_sgpr_workgroup_id_x 1
		.amdhsa_system_sgpr_workgroup_id_y 1
		.amdhsa_system_sgpr_workgroup_id_z 0
		.amdhsa_system_sgpr_workgroup_info 0
		.amdhsa_system_vgpr_workitem_id 0
		.amdhsa_next_free_vgpr 126
		.amdhsa_next_free_sgpr 36
		.amdhsa_accum_offset 128
		.amdhsa_reserve_vcc 1
		.amdhsa_float_round_mode_32 0
		.amdhsa_float_round_mode_16_64 0
		.amdhsa_float_denorm_mode_32 3
		.amdhsa_float_denorm_mode_16_64 3
		.amdhsa_dx10_clamp 1
		.amdhsa_ieee_mode 1
		.amdhsa_fp16_overflow 0
		.amdhsa_tg_split 0
		.amdhsa_exception_fp_ieee_invalid_op 0
		.amdhsa_exception_fp_denorm_src 0
		.amdhsa_exception_fp_ieee_div_zero 0
		.amdhsa_exception_fp_ieee_overflow 0
		.amdhsa_exception_fp_ieee_underflow 0
		.amdhsa_exception_fp_ieee_inexact 0
		.amdhsa_exception_int_div_zero 0
	.end_amdhsa_kernel
	.section	.text._Z35paged_attention_ll4mi_reduce_kernelI14__hip_bfloat16hLi64ELi64ELi256ELi3EEvPT0_PKfS4_PKT_PKiS9_iS4_,"axG",@progbits,_Z35paged_attention_ll4mi_reduce_kernelI14__hip_bfloat16hLi64ELi64ELi256ELi3EEvPT0_PKfS4_PKT_PKiS9_iS4_,comdat
.Lfunc_end402:
	.size	_Z35paged_attention_ll4mi_reduce_kernelI14__hip_bfloat16hLi64ELi64ELi256ELi3EEvPT0_PKfS4_PKT_PKiS9_iS4_, .Lfunc_end402-_Z35paged_attention_ll4mi_reduce_kernelI14__hip_bfloat16hLi64ELi64ELi256ELi3EEvPT0_PKfS4_PKT_PKiS9_iS4_
                                        ; -- End function
	.section	.AMDGPU.csdata,"",@progbits
; Kernel info:
; codeLenInByte = 11388
; NumSgprs: 42
; NumVgprs: 126
; NumAgprs: 0
; TotalNumVgprs: 126
; ScratchSize: 0
; MemoryBound: 0
; FloatMode: 240
; IeeeMode: 1
; LDSByteSize: 772 bytes/workgroup (compile time only)
; SGPRBlocks: 5
; VGPRBlocks: 15
; NumSGPRsForWavesPerEU: 42
; NumVGPRsForWavesPerEU: 126
; AccumOffset: 128
; Occupancy: 4
; WaveLimiterHint : 1
; COMPUTE_PGM_RSRC2:SCRATCH_EN: 0
; COMPUTE_PGM_RSRC2:USER_SGPR: 2
; COMPUTE_PGM_RSRC2:TRAP_HANDLER: 0
; COMPUTE_PGM_RSRC2:TGID_X_EN: 1
; COMPUTE_PGM_RSRC2:TGID_Y_EN: 1
; COMPUTE_PGM_RSRC2:TGID_Z_EN: 0
; COMPUTE_PGM_RSRC2:TIDIG_COMP_CNT: 0
; COMPUTE_PGM_RSRC3_GFX90A:ACCUM_OFFSET: 31
; COMPUTE_PGM_RSRC3_GFX90A:TG_SPLIT: 0
	.section	.text._Z35paged_attention_ll4mi_reduce_kernelI14__hip_bfloat16hLi64ELi64ELi256ELi4EEvPT0_PKfS4_PKT_PKiS9_iS4_,"axG",@progbits,_Z35paged_attention_ll4mi_reduce_kernelI14__hip_bfloat16hLi64ELi64ELi256ELi4EEvPT0_PKfS4_PKT_PKiS9_iS4_,comdat
	.protected	_Z35paged_attention_ll4mi_reduce_kernelI14__hip_bfloat16hLi64ELi64ELi256ELi4EEvPT0_PKfS4_PKT_PKiS9_iS4_ ; -- Begin function _Z35paged_attention_ll4mi_reduce_kernelI14__hip_bfloat16hLi64ELi64ELi256ELi4EEvPT0_PKfS4_PKT_PKiS9_iS4_
	.globl	_Z35paged_attention_ll4mi_reduce_kernelI14__hip_bfloat16hLi64ELi64ELi256ELi4EEvPT0_PKfS4_PKT_PKiS9_iS4_
	.p2align	8
	.type	_Z35paged_attention_ll4mi_reduce_kernelI14__hip_bfloat16hLi64ELi64ELi256ELi4EEvPT0_PKfS4_PKT_PKiS9_iS4_,@function
_Z35paged_attention_ll4mi_reduce_kernelI14__hip_bfloat16hLi64ELi64ELi256ELi4EEvPT0_PKfS4_PKT_PKiS9_iS4_: ; @_Z35paged_attention_ll4mi_reduce_kernelI14__hip_bfloat16hLi64ELi64ELi256ELi4EEvPT0_PKfS4_PKT_PKiS9_iS4_
; %bb.0:
	s_load_dwordx2 s[22:23], s[0:1], 0x28
	s_mov_b32 s20, s3
	s_mov_b64 s[4:5], 0
	s_waitcnt lgkmcnt(0)
	s_cmp_lg_u64 s[22:23], 0
	s_cselect_b64 s[24:25], -1, 0
	s_and_b64 vcc, exec, s[24:25]
	s_cbranch_vccz .LBB403_23
; %bb.1:
	s_add_i32 s6, s20, 1
	s_mov_b32 s7, 0
	s_lshl_b64 s[8:9], s[6:7], 2
	s_add_u32 s8, s22, s8
	s_mov_b32 s21, s7
	s_addc_u32 s9, s23, s9
	s_lshl_b64 s[6:7], s[20:21], 2
	s_add_u32 s6, s22, s6
	s_addc_u32 s7, s23, s7
	s_load_dword s3, s[8:9], 0x0
	s_load_dword s10, s[6:7], 0x0
	s_waitcnt lgkmcnt(0)
	s_sub_i32 s3, s3, s10
	s_cmp_eq_u32 s3, 1
	s_cselect_b64 s[6:7], -1, 0
	s_andn2_b64 vcc, exec, s[4:5]
	s_cbranch_vccnz .LBB403_3
.LBB403_2:
	s_mov_b32 s21, 0
	s_mov_b64 s[6:7], -1
.LBB403_3:
	s_andn2_b64 vcc, exec, s[6:7]
	s_cbranch_vccz .LBB403_5
; %bb.4:
	s_endpgm
.LBB403_5:
	s_load_dwordx4 s[12:15], s[0:1], 0x18
	s_load_dword s8, s[0:1], 0x30
	s_lshl_b64 s[26:27], s[20:21], 2
	v_cmp_lt_u32_e32 vcc, 63, v0
	s_waitcnt lgkmcnt(0)
	s_add_u32 s4, s14, s26
	s_addc_u32 s5, s15, s27
	s_load_dword s34, s[4:5], 0x0
	s_load_dword s3, s[0:1], 0x40
	s_mul_i32 s14, s2, s8
	s_mul_i32 s6, s20, s8
	s_waitcnt lgkmcnt(0)
	s_add_i32 s7, s34, 0xff
	s_ashr_i32 s4, s7, 31
	s_lshr_b32 s4, s4, 24
	s_add_i32 s7, s7, s4
	s_and_saveexec_b64 s[4:5], vcc
	s_xor_b64 s[4:5], exec, s[4:5]
	s_or_saveexec_b64 s[28:29], s[4:5]
	s_ashr_i32 s33, s7, 8
	v_mov_b32_e32 v1, s14
	s_mul_i32 s30, s6, s3
	s_xor_b64 exec, exec, s[28:29]
	s_cbranch_execz .LBB403_9
; %bb.6:
	s_load_dwordx4 s[16:19], s[0:1], 0x8
	s_add_i32 s4, s33, -1
	v_or_b32_e32 v3, 64, v0
	v_mov_b32_e32 v1, s4
	v_cmp_gt_u32_e64 s[8:9], s33, v3
	s_mov_b32 s31, 0
	s_lshl_b64 s[36:37], s[30:31], 2
	v_cndmask_b32_e64 v4, v1, v3, s[8:9]
	v_or_b32_e32 v3, 0x80, v0
	v_cmp_gt_u32_e64 s[4:5], s33, v3
	s_mov_b32 s15, s31
	v_cmp_gt_u32_e64 s[6:7], s33, v0
	v_cndmask_b32_e64 v6, v1, v3, s[4:5]
	v_or_b32_e32 v3, 0xc0, v0
	s_waitcnt lgkmcnt(0)
	s_add_u32 s10, s18, s36
	v_cndmask_b32_e64 v2, v1, v0, s[6:7]
	v_cmp_gt_u32_e32 vcc, s33, v3
	s_addc_u32 s11, s19, s37
	s_lshl_b64 s[18:19], s[14:15], 2
	v_cndmask_b32_e32 v8, v1, v3, vcc
	s_add_u32 s10, s10, s18
	v_ashrrev_i32_e32 v3, 31, v2
	s_addc_u32 s11, s11, s19
	v_lshlrev_b64 v[2:3], 2, v[2:3]
	v_ashrrev_i32_e32 v5, 31, v4
	v_lshl_add_u64 v[10:11], s[10:11], 0, v[2:3]
	v_lshlrev_b64 v[4:5], 2, v[4:5]
	v_ashrrev_i32_e32 v7, 31, v6
	v_lshl_add_u64 v[12:13], s[10:11], 0, v[4:5]
	v_lshlrev_b64 v[6:7], 2, v[6:7]
	v_ashrrev_i32_e32 v9, 31, v8
	global_load_dword v1, v[10:11], off
	global_load_dword v16, v[12:13], off
	v_lshl_add_u64 v[14:15], s[10:11], 0, v[6:7]
	v_lshlrev_b64 v[8:9], 2, v[8:9]
	v_lshl_add_u64 v[10:11], s[10:11], 0, v[8:9]
	global_load_dword v12, v[14:15], off
	global_load_dword v13, v[10:11], off
	v_mbcnt_lo_u32_b32 v10, -1, 0
	v_mbcnt_hi_u32_b32 v10, -1, v10
	v_and_b32_e32 v11, 64, v10
	v_xor_b32_e32 v14, 32, v10
	v_add_u32_e32 v11, 64, v11
	v_cmp_lt_i32_e64 s[10:11], v14, v11
	v_xor_b32_e32 v15, 16, v10
	v_xor_b32_e32 v17, 8, v10
	v_cndmask_b32_e64 v14, v10, v14, s[10:11]
	v_cmp_lt_i32_e64 s[10:11], v15, v11
	v_lshlrev_b32_e32 v14, 2, v14
	v_xor_b32_e32 v18, 4, v10
	v_cndmask_b32_e64 v15, v10, v15, s[10:11]
	s_add_u32 s10, s16, s36
	s_addc_u32 s11, s17, s37
	s_add_u32 s16, s10, s18
	s_addc_u32 s17, s11, s19
	v_lshl_add_u64 v[2:3], s[16:17], 0, v[2:3]
	v_lshl_add_u64 v[4:5], s[16:17], 0, v[4:5]
	global_load_dword v22, v[2:3], off
	global_load_dword v23, v[4:5], off
	v_lshlrev_b32_e32 v15, 2, v15
	v_cmp_lt_i32_e64 s[10:11], v17, v11
	v_xor_b32_e32 v19, 2, v10
	s_mov_b32 s15, 0x3fb8aa3b
	v_cndmask_b32_e64 v4, v10, v17, s[10:11]
	v_lshlrev_b32_e32 v17, 2, v4
	v_cmp_lt_i32_e64 s[10:11], v18, v11
	s_waitcnt vmcnt(5)
	v_max_f32_e32 v21, v1, v1
	s_waitcnt vmcnt(4)
	v_max_f32_e32 v20, v16, v16
	v_max_f32_e32 v20, v21, v20
	v_cndmask_b32_e64 v5, v10, v18, s[10:11]
	v_cmp_lt_i32_e64 s[10:11], v19, v11
	s_waitcnt vmcnt(2)
	v_max3_f32 v20, v20, v12, v13
	ds_bpermute_b32 v21, v14, v20
	v_cndmask_b32_e64 v4, v10, v19, s[10:11]
	v_lshlrev_b32_e32 v18, 2, v5
	v_lshlrev_b32_e32 v19, 2, v4
	v_lshl_add_u64 v[4:5], s[16:17], 0, v[8:9]
	s_waitcnt lgkmcnt(0)
	v_max_f32_e32 v2, v21, v21
	v_max_f32_e32 v2, v20, v2
	ds_bpermute_b32 v3, v15, v2
	s_waitcnt lgkmcnt(0)
	v_max_f32_e32 v3, v3, v3
	v_max_f32_e32 v2, v2, v3
	ds_bpermute_b32 v3, v17, v2
	s_waitcnt lgkmcnt(0)
	v_max_f32_e32 v3, v3, v3
	v_max_f32_e32 v20, v2, v3
	v_lshl_add_u64 v[2:3], s[16:17], 0, v[6:7]
	global_load_dword v6, v[2:3], off
	global_load_dword v7, v[4:5], off
	ds_bpermute_b32 v21, v18, v20
	v_xor_b32_e32 v4, 1, v10
	v_cmp_lt_i32_e64 s[10:11], v4, v11
	s_mov_b32 s16, 0xc2ce8ed0
	s_mov_b32 s17, 0x42b17218
	s_waitcnt lgkmcnt(0)
	v_max_f32_e32 v2, v21, v21
	v_max_f32_e32 v2, v20, v2
	ds_bpermute_b32 v3, v19, v2
	v_cndmask_b32_e64 v4, v10, v4, s[10:11]
	v_lshlrev_b32_e32 v4, 2, v4
	v_mov_b32_e32 v5, 0x7f800000
	s_waitcnt lgkmcnt(0)
	v_max_f32_e32 v3, v3, v3
	v_max_f32_e32 v2, v2, v3
	ds_bpermute_b32 v3, v4, v2
	s_waitcnt lgkmcnt(0)
	v_max_f32_e32 v3, v3, v3
	v_max_f32_e32 v2, v2, v3
	v_sub_f32_e32 v1, v1, v2
	v_sub_f32_e32 v3, v16, v2
	v_mul_f32_e32 v9, 0x3fb8aa3b, v1
	v_sub_f32_e32 v8, v12, v2
	v_mul_f32_e32 v10, 0x3fb8aa3b, v3
	v_fma_f32 v12, v1, s15, -v9
	v_rndne_f32_e32 v16, v9
	v_mul_f32_e32 v11, 0x3fb8aa3b, v8
	v_fma_f32 v20, v3, s15, -v10
	v_rndne_f32_e32 v21, v10
	v_fmac_f32_e32 v12, 0x32a5705f, v1
	v_sub_f32_e32 v9, v9, v16
	v_fma_f32 v24, v8, s15, -v11
	v_rndne_f32_e32 v25, v11
	v_fmac_f32_e32 v20, 0x32a5705f, v3
	v_sub_f32_e32 v10, v10, v21
	v_add_f32_e32 v9, v9, v12
	v_cvt_i32_f32_e32 v16, v16
	v_fmac_f32_e32 v24, 0x32a5705f, v8
	v_sub_f32_e32 v11, v11, v25
	v_add_f32_e32 v10, v10, v20
	v_exp_f32_e32 v9, v9
	v_cvt_i32_f32_e32 v21, v21
	v_add_f32_e32 v11, v11, v24
	v_exp_f32_e32 v10, v10
	v_cvt_i32_f32_e32 v25, v25
	v_exp_f32_e32 v11, v11
	v_ldexp_f32 v9, v9, v16
	v_cmp_ngt_f32_e64 s[10:11], s16, v1
	v_ldexp_f32 v10, v10, v21
	v_ldexp_f32 v11, v11, v25
	v_cndmask_b32_e64 v9, 0, v9, s[10:11]
	v_cmp_ngt_f32_e64 s[10:11], s16, v3
	v_sub_f32_e32 v2, v13, v2
	s_nop 0
	v_cndmask_b32_e64 v10, 0, v10, s[10:11]
	v_cmp_ngt_f32_e64 s[10:11], s16, v8
	s_nop 1
	v_cndmask_b32_e64 v11, 0, v11, s[10:11]
	v_cmp_nlt_f32_e64 s[10:11], s17, v1
	s_nop 1
	v_cndmask_b32_e64 v1, v5, v9, s[10:11]
	v_cmp_nlt_f32_e64 s[10:11], s17, v3
	v_cndmask_b32_e64 v1, 0, v1, s[6:7]
	v_cmp_nlt_f32_e64 s[6:7], s17, v8
	v_cndmask_b32_e64 v3, v5, v10, s[10:11]
	v_mul_f32_e32 v10, 0x3fb8aa3b, v2
	v_fma_f32 v12, v2, s15, -v10
	v_rndne_f32_e32 v13, v10
	v_fmac_f32_e32 v12, 0x32a5705f, v2
	v_sub_f32_e32 v10, v10, v13
	v_add_f32_e32 v10, v10, v12
	v_exp_f32_e32 v10, v10
	v_cvt_i32_f32_e32 v12, v13
	v_cndmask_b32_e64 v8, v5, v11, s[6:7]
	v_cndmask_b32_e64 v8, 0, v8, s[4:5]
	v_cmp_ngt_f32_e64 s[4:5], s16, v2
	v_ldexp_f32 v10, v10, v12
	v_cndmask_b32_e64 v3, 0, v3, s[8:9]
	v_cndmask_b32_e64 v10, 0, v10, s[4:5]
	v_cmp_nlt_f32_e64 s[4:5], s17, v2
	s_waitcnt vmcnt(3)
	v_mul_f32_e32 v1, v22, v1
	s_waitcnt vmcnt(2)
	v_mul_f32_e32 v9, v23, v3
	v_cndmask_b32_e64 v2, v5, v10, s[4:5]
	v_lshlrev_b32_e32 v10, 2, v0
	ds_write2st64_b32 v10, v1, v9 offset1:1
	v_fmac_f32_e32 v1, v23, v3
	v_cndmask_b32_e32 v5, 0, v2, vcc
	s_waitcnt vmcnt(1)
	v_fmac_f32_e32 v1, v6, v8
	s_waitcnt vmcnt(0)
	v_fmac_f32_e32 v1, v7, v5
	ds_bpermute_b32 v2, v14, v1
	v_mul_f32_e32 v3, v6, v8
	v_cmp_eq_u32_e32 vcc, 0, v0
	s_waitcnt lgkmcnt(0)
	v_add_f32_e32 v1, v1, v2
	ds_bpermute_b32 v2, v15, v1
	s_waitcnt lgkmcnt(0)
	v_add_f32_e32 v1, v1, v2
	ds_bpermute_b32 v2, v17, v1
	s_waitcnt lgkmcnt(0)
	v_add_f32_e32 v1, v1, v2
	ds_bpermute_b32 v2, v18, v1
	s_waitcnt lgkmcnt(0)
	v_add_f32_e32 v1, v1, v2
	ds_bpermute_b32 v2, v19, v1
	s_waitcnt lgkmcnt(0)
	v_add_f32_e32 v1, v1, v2
	ds_bpermute_b32 v2, v4, v1
	v_mul_f32_e32 v4, v7, v5
	ds_write2st64_b32 v10, v3, v4 offset0:2 offset1:3
	s_and_saveexec_b64 s[4:5], vcc
	s_cbranch_execz .LBB403_8
; %bb.7:
	s_waitcnt lgkmcnt(1)
	v_add_f32_e32 v1, v1, v2
	v_mov_b32_e32 v2, 0
	ds_write_b32 v2, v1 offset:1024
.LBB403_8:
	s_or_b64 exec, exec, s[4:5]
	v_mov_b32_e32 v1, s14
.LBB403_9:
	s_or_b64 exec, exec, s[28:29]
	s_lshl_b32 s4, s30, 6
	s_mov_b32 s5, 0
	s_lshl_b64 s[4:5], s[4:5], 1
	s_add_u32 s4, s12, s4
	s_addc_u32 s5, s13, s5
	s_lshl_b32 s10, s33, 6
	s_waitcnt lgkmcnt(1)
	v_lshlrev_b32_e32 v2, 6, v1
	v_mov_b32_e32 v1, 0
	s_sub_i32 s11, s10, 64
	v_mov_b32_e32 v3, v1
	s_cmp_lt_i32 s34, 1
	v_lshl_add_u64 v[2:3], v[2:3], 1, s[4:5]
	s_cselect_b32 s4, s11, 0
	v_lshlrev_b32_e32 v4, 1, v0
	v_mov_b32_e32 v5, v1
	s_ashr_i32 s5, s4, 31
	v_lshl_add_u64 v[2:3], v[2:3], 0, v[4:5]
	s_cmpk_lt_i32 s34, 0x101
	v_lshl_add_u64 v[4:5], s[4:5], 1, v[2:3]
	s_cselect_b32 s4, s11, 64
	s_ashr_i32 s5, s4, 31
	s_cmpk_lt_i32 s34, 0x201
	v_lshl_add_u64 v[6:7], s[4:5], 1, v[2:3]
	s_cselect_b32 s4, s11, 0x80
	s_ashr_i32 s5, s4, 31
	;; [unrolled: 4-line block ×8, first 2 shown]
	s_cmpk_lt_i32 s34, 0x901
	global_load_ushort v23, v[4:5], off
	global_load_ushort v22, v[6:7], off
	;; [unrolled: 1-line block ×8, first 2 shown]
	v_lshl_add_u64 v[4:5], s[4:5], 1, v[2:3]
	s_cselect_b32 s4, s11, 0x240
	s_ashr_i32 s5, s4, 31
	s_cmpk_lt_i32 s34, 0xa01
	v_lshl_add_u64 v[6:7], s[4:5], 1, v[2:3]
	s_cselect_b32 s4, s11, 0x280
	s_ashr_i32 s5, s4, 31
	s_cmpk_lt_i32 s34, 0xb01
	;; [unrolled: 4-line block ×6, first 2 shown]
	v_lshl_add_u64 v[32:33], s[4:5], 1, v[2:3]
	s_cselect_b32 s4, s11, 0x3c0
	s_ashr_i32 s5, s4, 31
	v_lshl_add_u64 v[34:35], s[4:5], 1, v[2:3]
	global_load_ushort v30, v[4:5], off
	global_load_ushort v31, v[6:7], off
	;; [unrolled: 1-line block ×8, first 2 shown]
	s_cmpk_gt_i32 s34, 0x1000
	s_cselect_b64 s[8:9], -1, 0
	s_cmpk_lt_i32 s34, 0x1001
	v_mov_b32_e32 v40, 0
	v_mov_b32_e32 v41, 0
	;; [unrolled: 1-line block ×48, first 2 shown]
	s_waitcnt lgkmcnt(0)
	; wave barrier
	s_waitcnt lgkmcnt(0)
	s_cbranch_scc1 .LBB403_12
; %bb.10:
	s_cmpk_lt_u32 s34, 0x1101
	s_cselect_b32 s4, s11, 0x440
	s_ashr_i32 s5, s4, 31
	s_cmpk_lt_u32 s34, 0x1201
	v_lshl_add_u64 v[4:5], s[4:5], 1, v[2:3]
	s_cselect_b32 s4, s11, 0x480
	s_ashr_i32 s5, s4, 31
	s_cmpk_lt_u32 s34, 0x1301
	v_lshl_add_u64 v[6:7], s[4:5], 1, v[2:3]
	;; [unrolled: 4-line block ×7, first 2 shown]
	s_cselect_b32 s4, s11, 0x600
	s_ashr_i32 s5, s4, 31
	s_cmpk_lt_u32 s34, 0x1901
	global_load_ushort v39, v[2:3], off offset:2048
	global_load_ushort v38, v[4:5], off
	global_load_ushort v37, v[6:7], off
	;; [unrolled: 1-line block ×7, first 2 shown]
	v_lshl_add_u64 v[4:5], s[4:5], 1, v[2:3]
	s_cselect_b32 s4, s11, 0x640
	s_ashr_i32 s5, s4, 31
	s_cmpk_lt_u32 s34, 0x1a01
	v_lshl_add_u64 v[6:7], s[4:5], 1, v[2:3]
	s_cselect_b32 s4, s11, 0x680
	s_ashr_i32 s5, s4, 31
	s_cmpk_lt_u32 s34, 0x1b01
	;; [unrolled: 4-line block ×6, first 2 shown]
	v_lshl_add_u64 v[48:49], s[4:5], 1, v[2:3]
	s_cselect_b32 s4, s11, 0x7c0
	s_ashr_i32 s5, s4, 31
	v_lshl_add_u64 v[50:51], s[4:5], 1, v[2:3]
	global_load_ushort v47, v[4:5], off
	global_load_ushort v46, v[6:7], off
	;; [unrolled: 1-line block ×8, first 2 shown]
	s_cmpk_lt_u32 s34, 0x2001
	v_mov_b32_e32 v67, 0
	v_mov_b32_e32 v65, 0
	;; [unrolled: 1-line block ×32, first 2 shown]
	s_cbranch_scc1 .LBB403_12
; %bb.11:
	s_cmpk_lt_u32 s34, 0x2101
	s_cselect_b32 s4, s11, 0x840
	s_ashr_i32 s5, s4, 31
	s_cmpk_lt_u32 s34, 0x2201
	v_lshl_add_u64 v[4:5], s[4:5], 1, v[2:3]
	s_cselect_b32 s4, s11, 0x880
	s_ashr_i32 s5, s4, 31
	s_cmpk_lt_u32 s34, 0x2301
	v_lshl_add_u64 v[6:7], s[4:5], 1, v[2:3]
	;; [unrolled: 4-line block ×29, first 2 shown]
	s_cselect_b32 s4, s11, 0xf80
	s_ashr_i32 s5, s4, 31
	v_lshl_add_u64 v[94:95], s[4:5], 1, v[2:3]
	s_movk_i32 s4, 0x1000
	s_cmpk_lt_u32 s34, 0x3f01
	v_add_co_u32_e32 v96, vcc, s4, v2
	s_cselect_b32 s4, s11, 0xfc0
	s_nop 0
	v_addc_co_u32_e32 v97, vcc, 0, v3, vcc
	s_ashr_i32 s5, s4, 31
	global_load_ushort v98, v[96:97], off
	global_load_ushort v99, v[4:5], off
	;; [unrolled: 1-line block ×15, first 2 shown]
                                        ; kill: killed $vgpr62_vgpr63
                                        ; kill: killed $vgpr14_vgpr15
                                        ; kill: killed $vgpr96 killed $vgpr97
                                        ; kill: killed $vgpr52_vgpr53
                                        ; kill: killed $vgpr4_vgpr5
                                        ; kill: killed $vgpr58_vgpr59
                                        ; kill: killed $vgpr10_vgpr11
                                        ; kill: killed $vgpr48_vgpr49
                                        ; kill: killed $vgpr54_vgpr55
                                        ; kill: killed $vgpr6_vgpr7
                                        ; kill: killed $vgpr60_vgpr61
                                        ; kill: killed $vgpr12_vgpr13
                                        ; kill: killed $vgpr50_vgpr51
                                        ; kill: killed $vgpr56_vgpr57
                                        ; kill: killed $vgpr8_vgpr9
	global_load_ushort v6, v[64:65], off
	global_load_ushort v7, v[66:67], off
	;; [unrolled: 1-line block ×15, first 2 shown]
                                        ; kill: killed $vgpr94_vgpr95
                                        ; kill: killed $vgpr78_vgpr79
                                        ; kill: killed $vgpr84_vgpr85
                                        ; kill: killed $vgpr68_vgpr69
                                        ; kill: killed $vgpr90_vgpr91
                                        ; kill: killed $vgpr74_vgpr75
                                        ; kill: killed $vgpr80_vgpr81
                                        ; kill: killed $vgpr64_vgpr65
                                        ; kill: killed $vgpr70_vgpr71
                                        ; kill: killed $vgpr92_vgpr93
                                        ; kill: killed $vgpr76_vgpr77
                                        ; kill: killed $vgpr82_vgpr83
                                        ; kill: killed $vgpr66_vgpr67
                                        ; kill: killed $vgpr88_vgpr89
                                        ; kill: killed $vgpr72_vgpr73
	global_load_ushort v68, v[86:87], off
	v_lshl_add_u64 v[4:5], s[4:5], 1, v[2:3]
	global_load_ushort v5, v[4:5], off
	s_waitcnt vmcnt(31)
	v_lshlrev_b32_e32 v67, 16, v98
	s_waitcnt vmcnt(30)
	v_lshlrev_b32_e32 v65, 16, v99
	;; [unrolled: 2-line block ×32, first 2 shown]
.LBB403_12:
	s_load_dwordx2 s[4:5], s[0:1], 0x0
	s_load_dwordx2 s[6:7], s[0:1], 0x38
	ds_read_b128 v[68:71], v1
	s_waitcnt vmcnt(15)
	v_lshlrev_b32_e32 v23, 16, v23
	ds_read_b128 v[72:75], v1 offset:16
	ds_read_b128 v[76:79], v1 offset:32
	;; [unrolled: 1-line block ×3, first 2 shown]
	s_waitcnt vmcnt(14)
	v_lshlrev_b32_e32 v22, 16, v22
	s_waitcnt vmcnt(13)
	v_lshlrev_b32_e32 v21, 16, v21
	s_waitcnt lgkmcnt(0)
	v_fma_f32 v23, v68, v23, 0
	v_fmac_f32_e32 v23, v69, v22
	v_fmac_f32_e32 v23, v70, v21
	s_waitcnt vmcnt(12)
	v_lshlrev_b32_e32 v20, 16, v20
	s_waitcnt vmcnt(10)
	v_lshlrev_b32_e32 v19, 16, v19
	v_lshlrev_b32_e32 v18, 16, v18
	v_fmac_f32_e32 v23, v71, v20
	v_pk_mul_f32 v[18:19], v[72:73], v[18:19]
	s_waitcnt vmcnt(8)
	v_lshlrev_b32_e32 v17, 16, v17
	v_add_f32_e32 v18, v23, v18
	v_lshlrev_b32_e32 v16, 16, v16
	v_add_f32_e32 v18, v18, v19
	v_pk_mul_f32 v[16:17], v[74:75], v[16:17]
	s_and_b64 vcc, exec, s[8:9]
	v_add_f32_e32 v16, v18, v16
	v_add_f32_e32 v18, v16, v17
	s_waitcnt vmcnt(6)
	v_lshlrev_b32_e32 v17, 16, v31
	v_lshlrev_b32_e32 v16, 16, v30
	v_pk_mul_f32 v[16:17], v[76:77], v[16:17]
	s_nop 0
	v_add_f32_e32 v16, v18, v16
	v_add_f32_e32 v18, v16, v17
	s_waitcnt vmcnt(4)
	v_lshlrev_b32_e32 v17, 16, v29
	v_lshlrev_b32_e32 v16, 16, v28
	v_pk_mul_f32 v[16:17], v[78:79], v[16:17]
	s_nop 0
	;; [unrolled: 7-line block ×4, first 2 shown]
	v_add_f32_e32 v16, v18, v16
	v_add_f32_e32 v110, v16, v17
	s_cbranch_vccz .LBB403_15
; %bb.13:
	ds_read_b128 v[16:19], v1 offset:64
	v_lshlrev_b32_e32 v39, 16, v39
	ds_read_b128 v[20:23], v1 offset:80
	ds_read_b128 v[24:27], v1 offset:96
	ds_read_b128 v[28:31], v1 offset:112
	s_cmpk_lt_u32 s34, 0x2001
	s_waitcnt lgkmcnt(3)
	v_fmac_f32_e32 v110, v16, v39
	v_lshlrev_b32_e32 v16, 16, v38
	v_fmac_f32_e32 v110, v17, v16
	v_lshlrev_b32_e32 v16, 16, v37
	v_fmac_f32_e32 v110, v18, v16
	v_lshlrev_b32_e32 v16, 16, v36
	v_fmac_f32_e32 v110, v19, v16
	v_lshlrev_b32_e32 v16, 16, v35
	s_waitcnt lgkmcnt(2)
	v_fmac_f32_e32 v110, v20, v16
	v_lshlrev_b32_e32 v16, 16, v34
	v_fmac_f32_e32 v110, v21, v16
	v_lshlrev_b32_e32 v16, 16, v33
	v_fmac_f32_e32 v110, v22, v16
	v_lshlrev_b32_e32 v16, 16, v32
	v_fmac_f32_e32 v110, v23, v16
	v_lshlrev_b32_e32 v16, 16, v47
	;; [unrolled: 9-line block ×3, first 2 shown]
	s_waitcnt lgkmcnt(0)
	v_fmac_f32_e32 v110, v28, v16
	v_lshlrev_b32_e32 v16, 16, v42
	v_fmac_f32_e32 v110, v29, v16
	v_lshlrev_b32_e32 v16, 16, v41
	;; [unrolled: 2-line block ×3, first 2 shown]
	v_fmac_f32_e32 v110, v31, v16
	s_cbranch_scc1 .LBB403_15
; %bb.14:
	v_mov_b32_e32 v32, 0
	ds_read_b128 v[16:19], v32 offset:128
	ds_read_b128 v[20:23], v32 offset:144
	;; [unrolled: 1-line block ×4, first 2 shown]
	s_waitcnt lgkmcnt(3)
	v_fmac_f32_e32 v110, v16, v67
	v_fmac_f32_e32 v110, v17, v65
	v_fmac_f32_e32 v110, v18, v66
	v_fmac_f32_e32 v110, v19, v63
	s_waitcnt lgkmcnt(2)
	v_fmac_f32_e32 v110, v20, v64
	v_fmac_f32_e32 v110, v21, v61
	v_fmac_f32_e32 v110, v22, v62
	v_fmac_f32_e32 v110, v23, v59
	;; [unrolled: 5-line block ×3, first 2 shown]
	ds_read_b128 v[16:19], v32 offset:192
	ds_read_b128 v[20:23], v32 offset:208
	s_waitcnt lgkmcnt(2)
	v_fmac_f32_e32 v110, v28, v56
	v_fmac_f32_e32 v110, v29, v53
	;; [unrolled: 1-line block ×4, first 2 shown]
	s_waitcnt lgkmcnt(1)
	v_fmac_f32_e32 v110, v16, v51
	v_fmac_f32_e32 v110, v17, v49
	;; [unrolled: 1-line block ×4, first 2 shown]
	s_waitcnt lgkmcnt(0)
	v_pk_mul_f32 v[14:15], v[20:21], v[14:15]
	v_pk_mul_f32 v[12:13], v[22:23], v[12:13]
	v_add_f32_e32 v14, v110, v14
	v_add_f32_e32 v18, v14, v15
	ds_read_b128 v[14:17], v32 offset:224
	v_add_f32_e32 v12, v18, v12
	ds_read_b128 v[18:21], v32 offset:240
	v_add_f32_e32 v12, v12, v13
	s_waitcnt lgkmcnt(1)
	v_pk_mul_f32 v[10:11], v[14:15], v[10:11]
	s_nop 0
	v_add_f32_e32 v10, v12, v10
	v_add_f32_e32 v10, v10, v11
	v_pk_mul_f32 v[8:9], v[16:17], v[8:9]
	s_waitcnt lgkmcnt(0)
	v_pk_mul_f32 v[6:7], v[18:19], v[6:7]
	v_add_f32_e32 v8, v10, v8
	v_add_f32_e32 v8, v8, v9
	;; [unrolled: 1-line block ×4, first 2 shown]
	v_pk_mul_f32 v[4:5], v[20:21], v[4:5]
	s_nop 0
	v_add_f32_e32 v4, v6, v4
	v_add_f32_e32 v110, v4, v5
.LBB403_15:
	s_movk_i32 s0, 0x1fc0
	s_movk_i32 s1, 0x100
	s_mov_b32 s8, 64
	s_branch .LBB403_17
.LBB403_16:                             ;   in Loop: Header=BB403_17 Depth=1
	s_addk_i32 s0, 0x1000
	s_addk_i32 s1, 0x100
	s_add_i32 s8, s8, 64
	s_cmpk_eq_i32 s0, 0x4fc0
	s_cbranch_scc1 .LBB403_19
.LBB403_17:                             ; =>This Inner Loop Header: Depth=1
	s_cmp_le_i32 s33, s8
	s_cbranch_scc1 .LBB403_16
; %bb.18:                               ;   in Loop: Header=BB403_17 Depth=1
	s_add_i32 s9, s0, 0xfffff040
	s_cmp_lt_i32 s9, s10
	s_cselect_b32 s12, s9, s11
	s_ashr_i32 s13, s12, 31
	s_add_i32 s9, s0, 0xfffff080
	s_cmp_lt_i32 s9, s10
	v_lshl_add_u64 v[44:45], s[12:13], 1, v[2:3]
	s_cselect_b32 s12, s9, s11
	s_ashr_i32 s13, s12, 31
	s_add_i32 s9, s0, 0xfffff0c0
	s_cmp_lt_i32 s9, s10
	v_lshl_add_u64 v[4:5], s[12:13], 1, v[2:3]
	;; [unrolled: 5-line block ×17, first 2 shown]
	s_cselect_b32 s12, s9, s11
	s_ashr_i32 s13, s12, 31
	s_add_i32 s9, s0, 0xfffff4c0
	s_cmp_lt_i32 s9, s10
	global_load_ushort v111, v[44:45], off
	global_load_ushort v121, v[46:47], off
	v_lshl_add_u64 v[22:23], s[12:13], 1, v[2:3]
	s_cselect_b32 s12, s9, s11
	global_load_ushort v112, v[4:5], off
	global_load_ushort v113, v[6:7], off
	;; [unrolled: 1-line block ×7, first 2 shown]
	s_ashr_i32 s13, s12, 31
	s_add_i32 s9, s0, 0xfffff500
	s_cmp_lt_i32 s9, s10
	v_lshl_add_u64 v[24:25], s[12:13], 1, v[2:3]
	s_cselect_b32 s12, s9, s11
	s_ashr_i32 s13, s12, 31
	s_add_i32 s9, s0, 0xfffff540
	s_cmp_lt_i32 s9, s10
	v_lshl_add_u64 v[32:33], s[12:13], 1, v[2:3]
	s_cselect_b32 s12, s9, s11
	;; [unrolled: 5-line block ×3, first 2 shown]
	s_ashr_i32 s13, s12, 31
	s_add_i32 s9, s0, 0xfffff5c0
	s_cmp_lt_i32 s9, s10
	global_load_ushort v119, v[28:29], off
	global_load_ushort v120, v[30:31], off
	v_lshl_add_u64 v[34:35], s[12:13], 1, v[2:3]
	s_cselect_b32 s12, s9, s11
	s_ashr_i32 s13, s12, 31
	s_add_i32 s9, s0, 0xfffff600
	s_cmp_lt_i32 s9, s10
	v_lshl_add_u64 v[36:37], s[12:13], 1, v[2:3]
	s_cselect_b32 s12, s9, s11
	s_ashr_i32 s13, s12, 31
	s_add_i32 s9, s0, 0xfffff640
	s_cmp_lt_i32 s9, s10
	v_lshl_add_u64 v[50:51], s[12:13], 1, v[2:3]
	s_cselect_b32 s12, s9, s11
	global_load_ushort v122, v[54:55], off
	global_load_ushort v123, v[56:57], off
	s_ashr_i32 s13, s12, 31
	global_load_ushort v58, v[58:59], off
	s_add_i32 s9, s0, 0xfffff680
	s_cmp_lt_i32 s9, s10
	v_lshl_add_u64 v[38:39], s[12:13], 1, v[2:3]
	s_cselect_b32 s12, s9, s11
	global_load_ushort v59, v[60:61], off
	s_ashr_i32 s13, s12, 31
	s_add_i32 s9, s0, 0xfffff6c0
	global_load_ushort v60, v[66:67], off
	global_load_ushort v61, v[62:63], off
	s_cmp_lt_i32 s9, s10
	v_lshl_add_u64 v[18:19], s[12:13], 1, v[2:3]
	s_cselect_b32 s12, s9, s11
	s_ashr_i32 s13, s12, 31
	s_add_i32 s9, s0, 0xfffff700
	s_cmp_lt_i32 s9, s10
	v_lshl_add_u64 v[20:21], s[12:13], 1, v[2:3]
	s_cselect_b32 s12, s9, s11
	s_ashr_i32 s13, s12, 31
	s_add_i32 s9, s0, 0xfffff740
	;; [unrolled: 5-line block ×3, first 2 shown]
	s_cmp_lt_i32 s9, s10
	v_lshl_add_u64 v[42:43], s[12:13], 1, v[2:3]
	s_cselect_b32 s12, s9, s11
	global_load_ushort v62, v[22:23], off
	s_ashr_i32 s13, s12, 31
	s_add_i32 s9, s0, 0xfffff7c0
	global_load_ushort v66, v[32:33], off
	global_load_ushort v124, v[34:35], off
	;; [unrolled: 1-line block ×4, first 2 shown]
	s_cmp_lt_i32 s9, s10
	v_lshl_add_u64 v[26:27], s[12:13], 1, v[2:3]
	s_cselect_b32 s12, s9, s11
	global_load_ushort v67, v[48:49], off
	s_ashr_i32 s13, s12, 31
	s_add_i32 s9, s0, 0xfffff800
	s_cmp_lt_i32 s9, s10
	v_lshl_add_u64 v[52:53], s[12:13], 1, v[2:3]
	s_cselect_b32 s12, s9, s11
	s_ashr_i32 s13, s12, 31
	s_add_i32 s9, s0, 0xfffff840
	s_cmp_lt_i32 s9, s10
	v_lshl_add_u64 v[64:65], s[12:13], 1, v[2:3]
	s_cselect_b32 s12, s9, s11
	s_ashr_i32 s13, s12, 31
	s_add_i32 s9, s0, 0xfffff880
	s_cmp_lt_i32 s9, s10
	v_mov_b32_e32 v125, s1
	v_lshl_add_u64 v[68:69], s[12:13], 1, v[2:3]
	s_cselect_b32 s12, s9, s11
	ds_read_b128 v[30:33], v125
	ds_read_b128 v[34:37], v125 offset:16
	global_load_ushort v50, v[50:51], off
	s_ashr_i32 s13, s12, 31
	s_add_i32 s9, s0, 0xfffff8c0
	s_cmp_lt_i32 s9, s10
	v_lshl_add_u64 v[70:71], s[12:13], 1, v[2:3]
	s_cselect_b32 s12, s9, s11
	ds_read_b128 v[46:49], v125 offset:32
	ds_read_b128 v[54:57], v125 offset:48
	global_load_ushort v38, v[38:39], off
	s_ashr_i32 s13, s12, 31
	s_add_i32 s9, s0, 0xfffff900
	s_cmp_lt_i32 s9, s10
	v_lshl_add_u64 v[72:73], s[12:13], 1, v[2:3]
	s_cselect_b32 s12, s9, s11
	global_load_ushort v39, v[18:19], off
	s_ashr_i32 s13, s12, 31
	global_load_ushort v26, v[26:27], off
	s_add_i32 s9, s0, 0xfffff940
	s_cmp_lt_i32 s9, s10
	v_lshl_add_u64 v[74:75], s[12:13], 1, v[2:3]
	s_cselect_b32 s12, s9, s11
	s_ashr_i32 s13, s12, 31
	s_add_i32 s9, s0, 0xfffff980
	s_cmp_lt_i32 s9, s10
	v_lshl_add_u64 v[76:77], s[12:13], 1, v[2:3]
	s_cselect_b32 s12, s9, s11
	s_ashr_i32 s13, s12, 31
	;; [unrolled: 5-line block ×5, first 2 shown]
	s_add_i32 s9, s0, 0xfffffa80
	s_cmp_lt_i32 s9, s10
	v_lshl_add_u64 v[84:85], s[12:13], 1, v[2:3]
	global_load_ushort v51, v[84:85], off
	s_cselect_b32 s12, s9, s11
	s_ashr_i32 s13, s12, 31
	s_add_i32 s9, s0, 0xfffffac0
	s_cmp_lt_i32 s9, s10
	v_lshl_add_u64 v[86:87], s[12:13], 1, v[2:3]
	s_cselect_b32 s12, s9, s11
	s_ashr_i32 s13, s12, 31
	s_add_i32 s9, s0, 0xfffffb00
	s_cmp_lt_i32 s9, s10
	v_lshl_add_u64 v[88:89], s[12:13], 1, v[2:3]
	;; [unrolled: 5-line block ×3, first 2 shown]
	s_cselect_b32 s12, s9, s11
	s_ashr_i32 s13, s12, 31
	s_add_i32 s9, s0, 0xfffffb80
	s_waitcnt vmcnt(27)
	v_lshlrev_b32_e32 v111, 16, v111
	s_cmp_lt_i32 s9, s10
	s_waitcnt lgkmcnt(3)
	v_fmac_f32_e32 v110, v30, v111
	s_waitcnt vmcnt(25)
	v_lshlrev_b32_e32 v30, 16, v112
	v_lshl_add_u64 v[92:93], s[12:13], 1, v[2:3]
	s_cselect_b32 s12, s9, s11
	v_fmac_f32_e32 v110, v31, v30
	s_waitcnt vmcnt(24)
	v_lshlrev_b32_e32 v30, 16, v113
	s_ashr_i32 s13, s12, 31
	s_add_i32 s9, s0, 0xfffffbc0
	v_fmac_f32_e32 v110, v32, v30
	s_waitcnt vmcnt(23)
	v_lshlrev_b32_e32 v30, 16, v114
	s_cmp_lt_i32 s9, s10
	v_fmac_f32_e32 v110, v33, v30
	s_waitcnt vmcnt(22)
	v_lshlrev_b32_e32 v18, 16, v115
	v_lshl_add_u64 v[94:95], s[12:13], 1, v[2:3]
	s_cselect_b32 s12, s9, s11
	s_waitcnt lgkmcnt(2)
	v_fmac_f32_e32 v110, v34, v18
	global_load_ushort v34, v[20:21], off
	s_ashr_i32 s13, s12, 31
	global_load_ushort v40, v[40:41], off
	s_add_i32 s9, s0, 0xfffffc00
	s_waitcnt vmcnt(23)
	v_lshlrev_b32_e32 v18, 16, v116
	s_cmp_lt_i32 s9, s10
	v_fmac_f32_e32 v110, v35, v18
	global_load_ushort v35, v[42:43], off
	global_load_ushort v27, v[52:53], off
	v_lshl_add_u64 v[96:97], s[12:13], 1, v[2:3]
	s_cselect_b32 s12, s9, s11
	s_ashr_i32 s13, s12, 31
	s_add_i32 s9, s0, 0xfffffc40
	s_cmp_lt_i32 s9, s10
	s_waitcnt vmcnt(24)
	v_lshlrev_b32_e32 v18, 16, v117
	v_lshl_add_u64 v[100:101], s[12:13], 1, v[2:3]
	s_cselect_b32 s12, s9, s11
	v_fmac_f32_e32 v110, v36, v18
	global_load_ushort v36, v[64:65], off
	s_waitcnt vmcnt(24)
	v_lshlrev_b32_e32 v18, 16, v118
	s_ashr_i32 s13, s12, 31
	s_add_i32 s9, s0, 0xfffffc80
	v_fmac_f32_e32 v110, v37, v18
	global_load_ushort v37, v[68:69], off
	s_waitcnt vmcnt(24)
	v_lshlrev_b32_e32 v18, 16, v119
	s_cmp_lt_i32 s9, s10
	s_waitcnt lgkmcnt(1)
	v_fmac_f32_e32 v110, v46, v18
	global_load_ushort v46, v[76:77], off
	s_waitcnt vmcnt(24)
	v_lshlrev_b32_e32 v18, 16, v120
	v_lshl_add_u64 v[102:103], s[12:13], 1, v[2:3]
	s_cselect_b32 s12, s9, s11
	v_fmac_f32_e32 v110, v47, v18
	v_lshlrev_b32_e32 v18, 16, v121
	s_ashr_i32 s13, s12, 31
	s_add_i32 s9, s0, 0xfffffcc0
	v_fmac_f32_e32 v110, v48, v18
	global_load_ushort v48, v[80:81], off
	global_load_ushort v41, v[70:71], off
	;; [unrolled: 1-line block ×5, first 2 shown]
	s_cmp_lt_i32 s9, s10
	v_lshl_add_u64 v[104:105], s[12:13], 1, v[2:3]
	s_cselect_b32 s12, s9, s11
	s_ashr_i32 s13, s12, 31
	s_add_i32 s9, s0, 0xfffffd00
	s_cmp_lt_i32 s9, s10
	s_waitcnt vmcnt(28)
	v_lshlrev_b32_e32 v18, 16, v122
	v_lshl_add_u64 v[106:107], s[12:13], 1, v[2:3]
	s_cselect_b32 s12, s9, s11
	v_fmac_f32_e32 v110, v49, v18
	global_load_ushort v49, v[82:83], off
	global_load_ushort v52, v[86:87], off
	s_waitcnt vmcnt(29)
	v_lshlrev_b32_e32 v18, 16, v123
	s_ashr_i32 s13, s12, 31
	s_add_i32 s9, s0, 0xfffffd40
	s_waitcnt lgkmcnt(0)
	v_fmac_f32_e32 v110, v54, v18
	global_load_ushort v54, v[88:89], off
	s_waitcnt vmcnt(29)
	v_lshlrev_b32_e32 v18, 16, v58
	s_cmp_lt_i32 s9, s10
	v_fmac_f32_e32 v110, v55, v18
	global_load_ushort v55, v[90:91], off
	s_waitcnt vmcnt(29)
	v_lshlrev_b32_e32 v18, 16, v59
	v_lshl_add_u64 v[98:99], s[12:13], 1, v[2:3]
	s_cselect_b32 s12, s9, s11
	v_fmac_f32_e32 v110, v56, v18
	s_waitcnt vmcnt(28)
	v_lshlrev_b32_e32 v18, 16, v60
	s_ashr_i32 s13, s12, 31
	s_add_i32 s9, s0, 0xfffffd80
	v_fmac_f32_e32 v110, v57, v18
	ds_read_b128 v[18:21], v125 offset:64
	ds_read_b128 v[30:33], v125 offset:80
	s_cmp_lt_i32 s9, s10
	v_lshl_add_u64 v[44:45], s[12:13], 1, v[2:3]
	s_cselect_b32 s12, s9, s11
	s_ashr_i32 s13, s12, 31
	s_add_i32 s9, s0, 0xfffffdc0
	s_cmp_lt_i32 s9, s10
	s_waitcnt vmcnt(27)
	v_lshlrev_b32_e32 v53, 16, v61
	v_lshl_add_u64 v[108:109], s[12:13], 1, v[2:3]
	s_cselect_b32 s12, s9, s11
	s_waitcnt lgkmcnt(1)
	v_fmac_f32_e32 v110, v18, v53
	global_load_ushort v53, v[92:93], off
	global_load_ushort v56, v[94:95], off
	;; [unrolled: 1-line block ×6, first 2 shown]
	s_ashr_i32 s13, s12, 31
	s_add_i32 s9, s0, 0xfffffe00
	s_cmp_lt_i32 s9, s10
	v_lshl_add_u64 v[4:5], s[12:13], 1, v[2:3]
	s_cselect_b32 s12, s9, s11
	s_ashr_i32 s13, s12, 31
	s_add_i32 s9, s0, 0xfffffe40
	s_cmp_lt_i32 s9, s10
	s_waitcnt vmcnt(32)
	v_lshlrev_b32_e32 v18, 16, v62
	v_lshl_add_u64 v[6:7], s[12:13], 1, v[2:3]
	s_cselect_b32 s12, s9, s11
	v_fmac_f32_e32 v110, v19, v18
	s_waitcnt vmcnt(28)
	v_lshlrev_b32_e32 v18, 16, v63
	s_ashr_i32 s13, s12, 31
	s_add_i32 s9, s0, 0xfffffe80
	v_fmac_f32_e32 v110, v20, v18
	v_lshlrev_b32_e32 v18, 16, v66
	s_cmp_lt_i32 s9, s10
	v_fmac_f32_e32 v110, v21, v18
	s_waitcnt vmcnt(27)
	v_lshlrev_b32_e32 v18, 16, v67
	v_lshl_add_u64 v[8:9], s[12:13], 1, v[2:3]
	s_cselect_b32 s12, s9, s11
	s_waitcnt lgkmcnt(0)
	v_fmac_f32_e32 v110, v30, v18
	global_load_ushort v30, v[106:107], off
	s_ashr_i32 s13, s12, 31
	s_add_i32 s9, s0, 0xfffffec0
	s_cmp_lt_i32 s9, s10
	global_load_ushort v61, v[98:99], off
	global_load_ushort v62, v[44:45], off
	;; [unrolled: 1-line block ×3, first 2 shown]
	v_lshl_add_u64 v[12:13], s[12:13], 1, v[2:3]
	s_cselect_b32 s12, s9, s11
	v_lshlrev_b32_e32 v18, 16, v124
	s_ashr_i32 s13, s12, 31
	s_add_i32 s9, s0, 0xffffff00
	v_fmac_f32_e32 v110, v31, v18
	v_lshlrev_b32_e32 v18, 16, v126
	s_cmp_lt_i32 s9, s10
	v_fmac_f32_e32 v110, v32, v18
	global_load_ushort v31, v[4:5], off
	global_load_ushort v32, v[6:7], off
	v_lshl_add_u64 v[10:11], s[12:13], 1, v[2:3]
	s_cselect_b32 s12, s9, s11
	s_ashr_i32 s13, s12, 31
	s_add_i32 s9, s0, 0xffffff40
	s_cmp_lt_i32 s9, s10
	s_waitcnt vmcnt(32)
	v_lshlrev_b32_e32 v4, 16, v50
	v_lshl_add_u64 v[16:17], s[12:13], 1, v[2:3]
	s_cselect_b32 s12, s9, s11
	v_fmac_f32_e32 v110, v33, v4
	ds_read_b128 v[4:7], v125 offset:96
	s_ashr_i32 s13, s12, 31
	s_add_i32 s9, s0, 0xffffff80
	s_cmp_lt_i32 s9, s10
	s_waitcnt vmcnt(31)
	v_lshlrev_b32_e32 v33, 16, v38
	global_load_ushort v38, v[8:9], off
	global_load_ushort v44, v[12:13], off
	v_lshl_add_u64 v[14:15], s[12:13], 1, v[2:3]
	s_cselect_b32 s12, s9, s11
	s_ashr_i32 s13, s12, 31
	s_sub_i32 s9, s0, 64
	s_cmp_lt_i32 s9, s10
	ds_read_b128 v[18:21], v125 offset:112
	s_waitcnt lgkmcnt(1)
	v_fmac_f32_e32 v110, v4, v33
	s_waitcnt vmcnt(32)
	v_lshlrev_b32_e32 v4, 16, v39
	global_load_ushort v33, v[10:11], off
	global_load_ushort v39, v[16:17], off
	v_lshl_add_u64 v[28:29], s[12:13], 1, v[2:3]
	s_cselect_b32 s12, s9, s11
	s_ashr_i32 s13, s12, 31
	s_cmp_lt_i32 s0, s10
	global_load_ushort v16, v[14:15], off
	global_load_ushort v17, v[28:29], off
	v_lshl_add_u64 v[22:23], s[12:13], 1, v[2:3]
	s_cselect_b32 s12, s0, s11
	s_ashr_i32 s13, s12, 31
	v_lshl_add_u64 v[24:25], s[12:13], 1, v[2:3]
	global_load_ushort v14, v[22:23], off
	global_load_ushort v15, v[24:25], off
	v_fmac_f32_e32 v110, v5, v4
	s_waitcnt vmcnt(35)
	v_lshlrev_b32_e32 v4, 16, v34
	v_fmac_f32_e32 v110, v6, v4
	s_waitcnt vmcnt(34)
	v_lshlrev_b32_e32 v4, 16, v40
	v_fmac_f32_e32 v110, v7, v4
	s_waitcnt vmcnt(33)
	v_lshlrev_b32_e32 v4, 16, v35
	s_waitcnt lgkmcnt(0)
	v_fmac_f32_e32 v110, v18, v4
	v_lshlrev_b32_e32 v4, 16, v26
	v_fmac_f32_e32 v110, v19, v4
	s_waitcnt vmcnt(32)
	v_lshlrev_b32_e32 v4, 16, v27
	v_fmac_f32_e32 v110, v20, v4
	ds_read_b128 v[4:7], v125 offset:128
	s_waitcnt vmcnt(31)
	v_lshlrev_b32_e32 v8, 16, v36
	v_fmac_f32_e32 v110, v21, v8
	ds_read_b128 v[8:11], v125 offset:144
	s_waitcnt vmcnt(30)
	v_lshlrev_b32_e32 v12, 16, v37
	s_waitcnt lgkmcnt(1)
	v_fmac_f32_e32 v110, v4, v12
	s_waitcnt vmcnt(27)
	v_lshlrev_b32_e32 v4, 16, v41
	v_fmac_f32_e32 v110, v5, v4
	s_waitcnt vmcnt(26)
	v_lshlrev_b32_e32 v4, 16, v42
	;; [unrolled: 3-line block ×3, first 2 shown]
	v_fmac_f32_e32 v110, v7, v4
	v_lshlrev_b32_e32 v4, 16, v46
	s_waitcnt lgkmcnt(0)
	v_fmac_f32_e32 v110, v8, v4
	s_waitcnt vmcnt(24)
	v_lshlrev_b32_e32 v4, 16, v47
	v_fmac_f32_e32 v110, v9, v4
	v_lshlrev_b32_e32 v4, 16, v48
	v_fmac_f32_e32 v110, v10, v4
	ds_read_b128 v[4:7], v125 offset:160
	s_waitcnt vmcnt(23)
	v_lshlrev_b32_e32 v8, 16, v49
	v_fmac_f32_e32 v110, v11, v8
	ds_read_b128 v[8:11], v125 offset:176
	v_lshlrev_b32_e32 v12, 16, v51
	s_waitcnt lgkmcnt(1)
	v_fmac_f32_e32 v110, v4, v12
	s_waitcnt vmcnt(22)
	v_lshlrev_b32_e32 v4, 16, v52
	v_fmac_f32_e32 v110, v5, v4
	s_waitcnt vmcnt(21)
	v_lshlrev_b32_e32 v4, 16, v54
	;; [unrolled: 3-line block ×4, first 2 shown]
	s_waitcnt lgkmcnt(0)
	v_fmac_f32_e32 v110, v8, v4
	s_waitcnt vmcnt(18)
	v_lshlrev_b32_e32 v4, 16, v56
	v_fmac_f32_e32 v110, v9, v4
	s_waitcnt vmcnt(17)
	v_lshlrev_b32_e32 v4, 16, v57
	v_fmac_f32_e32 v110, v10, v4
	ds_read_b128 v[4:7], v125 offset:192
	s_waitcnt vmcnt(16)
	v_lshlrev_b32_e32 v8, 16, v58
	v_fmac_f32_e32 v110, v11, v8
	ds_read_b128 v[8:11], v125 offset:208
	s_waitcnt vmcnt(15)
	v_lshlrev_b32_e32 v12, 16, v59
	s_waitcnt lgkmcnt(1)
	v_fmac_f32_e32 v110, v4, v12
	s_waitcnt vmcnt(14)
	v_lshlrev_b32_e32 v4, 16, v60
	v_fmac_f32_e32 v110, v5, v4
	s_waitcnt vmcnt(13)
	v_lshlrev_b32_e32 v4, 16, v30
	;; [unrolled: 3-line block ×4, first 2 shown]
	v_lshlrev_b32_e32 v4, 16, v62
	s_waitcnt lgkmcnt(0)
	v_pk_mul_f32 v[4:5], v[8:9], v[4:5]
	s_waitcnt vmcnt(6)
	v_lshlrev_b32_e32 v13, 16, v44
	v_add_f32_e32 v4, v110, v4
	v_add_f32_e32 v6, v4, v5
	v_lshlrev_b32_e32 v5, 16, v32
	v_lshlrev_b32_e32 v4, 16, v31
	v_pk_mul_f32 v[8:9], v[10:11], v[4:5]
	v_lshlrev_b32_e32 v12, 16, v38
	v_add_f32_e32 v8, v6, v8
	ds_read_b128 v[4:7], v125 offset:224
	v_add_f32_e32 v18, v8, v9
	ds_read_b128 v[8:11], v125 offset:240
	s_waitcnt lgkmcnt(1)
	v_pk_mul_f32 v[4:5], v[4:5], v[12:13]
	s_nop 0
	v_add_f32_e32 v4, v18, v4
	v_add_f32_e32 v12, v4, v5
	s_waitcnt vmcnt(4)
	v_lshlrev_b32_e32 v5, 16, v39
	v_lshlrev_b32_e32 v4, 16, v33
	v_pk_mul_f32 v[4:5], v[6:7], v[4:5]
	s_nop 0
	v_add_f32_e32 v4, v12, v4
	v_add_f32_e32 v6, v4, v5
	s_waitcnt vmcnt(2)
	v_lshlrev_b32_e32 v5, 16, v17
	v_lshlrev_b32_e32 v4, 16, v16
	s_waitcnt lgkmcnt(0)
	v_pk_mul_f32 v[4:5], v[8:9], v[4:5]
	s_nop 0
	v_add_f32_e32 v4, v6, v4
	v_add_f32_e32 v6, v4, v5
	s_waitcnt vmcnt(0)
	v_lshlrev_b32_e32 v5, 16, v15
	v_lshlrev_b32_e32 v4, 16, v14
	v_pk_mul_f32 v[4:5], v[10:11], v[4:5]
	s_nop 0
	v_add_f32_e32 v4, v6, v4
	v_add_f32_e32 v110, v4, v5
	s_branch .LBB403_16
.LBB403_19:
	v_mov_b32_e32 v2, 0
	ds_read_b32 v2, v2 offset:1024
	s_cmp_lg_u64 s[6:7], 0
	s_cbranch_scc0 .LBB403_24
; %bb.20:
	s_load_dword s6, s[6:7], 0x0
	s_waitcnt lgkmcnt(0)
	v_div_scale_f32 v3, s[0:1], s6, s6, 1.0
	v_rcp_f32_e32 v4, v3
	v_div_scale_f32 v5, vcc, 1.0, s6, 1.0
	v_fma_f32 v6, -v3, v4, 1.0
	v_fmac_f32_e32 v4, v6, v4
	v_mul_f32_e32 v6, v5, v4
	v_fma_f32 v7, -v3, v6, v5
	v_fmac_f32_e32 v6, v7, v4
	v_fma_f32 v3, -v3, v6, v5
	v_div_fmas_f32 v3, v3, v4, v6
	v_div_fixup_f32 v3, v3, s6, 1.0
	s_andn2_b64 vcc, exec, s[24:25]
	s_cbranch_vccnz .LBB403_22
.LBB403_21:
	s_add_u32 s0, s22, s26
	s_addc_u32 s1, s23, s27
	s_load_dword s20, s[0:1], 0x0
	s_mov_b32 s21, 0
.LBB403_22:
	s_waitcnt lgkmcnt(0)
	v_add_f32_e32 v2, 0x358637bd, v2
	v_div_scale_f32 v4, s[0:1], v2, v2, 1.0
	v_rcp_f32_e32 v5, v4
	v_div_scale_f32 v6, vcc, 1.0, v2, 1.0
	s_mul_i32 s0, s3, s21
	v_fma_f32 v7, -v4, v5, 1.0
	v_fmac_f32_e32 v5, v7, v5
	v_mul_f32_e32 v7, v6, v5
	v_fma_f32 v8, -v4, v7, v6
	v_fmac_f32_e32 v7, v8, v5
	v_fma_f32 v4, -v4, v7, v6
	s_mul_hi_u32 s1, s3, s20
	v_div_fmas_f32 v4, v4, v5, v7
	s_add_i32 s1, s1, s0
	s_mul_i32 s0, s3, s20
	v_div_fixup_f32 v2, v4, v2, 1.0
	s_lshl_b64 s[0:1], s[0:1], 6
	v_mul_f32_e32 v2, v110, v2
	s_add_u32 s4, s4, s0
	s_mov_b32 s3, 0
	v_mul_f32_e32 v2, v2, v3
	s_addc_u32 s5, s5, s1
	s_lshl_b64 s[0:1], s[2:3], 6
	s_mov_b32 s2, 0x7f800000
	s_mov_b32 s3, 0x43700000
	v_mov_b32_e32 v3, 0xc3700000
	v_med3_f32 v3, v2, s3, v3
	v_cmp_nlg_f32_e64 vcc, |v2|, s2
	s_add_u32 s0, s4, s0
	s_addc_u32 s1, s5, s1
	v_cndmask_b32_e32 v2, v3, v2, vcc
	v_mov_b32_e32 v3, 0
	v_cvt_pk_fp8_f32 v3, v2, v2
	v_lshl_add_u64 v[0:1], s[0:1], 0, v[0:1]
	global_store_byte v[0:1], v3, off
	s_endpgm
.LBB403_23:
	s_mov_b64 s[6:7], 0
	s_branch .LBB403_2
.LBB403_24:
	v_mov_b32_e32 v3, 1.0
	s_andn2_b64 vcc, exec, s[24:25]
	s_cbranch_vccz .LBB403_21
	s_branch .LBB403_22
	.section	.rodata,"a",@progbits
	.p2align	6, 0x0
	.amdhsa_kernel _Z35paged_attention_ll4mi_reduce_kernelI14__hip_bfloat16hLi64ELi64ELi256ELi4EEvPT0_PKfS4_PKT_PKiS9_iS4_
		.amdhsa_group_segment_fixed_size 1028
		.amdhsa_private_segment_fixed_size 0
		.amdhsa_kernarg_size 320
		.amdhsa_user_sgpr_count 2
		.amdhsa_user_sgpr_dispatch_ptr 0
		.amdhsa_user_sgpr_queue_ptr 0
		.amdhsa_user_sgpr_kernarg_segment_ptr 1
		.amdhsa_user_sgpr_dispatch_id 0
		.amdhsa_user_sgpr_kernarg_preload_length 0
		.amdhsa_user_sgpr_kernarg_preload_offset 0
		.amdhsa_user_sgpr_private_segment_size 0
		.amdhsa_uses_dynamic_stack 0
		.amdhsa_enable_private_segment 0
		.amdhsa_system_sgpr_workgroup_id_x 1
		.amdhsa_system_sgpr_workgroup_id_y 1
		.amdhsa_system_sgpr_workgroup_id_z 0
		.amdhsa_system_sgpr_workgroup_info 0
		.amdhsa_system_vgpr_workitem_id 0
		.amdhsa_next_free_vgpr 127
		.amdhsa_next_free_sgpr 38
		.amdhsa_accum_offset 128
		.amdhsa_reserve_vcc 1
		.amdhsa_float_round_mode_32 0
		.amdhsa_float_round_mode_16_64 0
		.amdhsa_float_denorm_mode_32 3
		.amdhsa_float_denorm_mode_16_64 3
		.amdhsa_dx10_clamp 1
		.amdhsa_ieee_mode 1
		.amdhsa_fp16_overflow 0
		.amdhsa_tg_split 0
		.amdhsa_exception_fp_ieee_invalid_op 0
		.amdhsa_exception_fp_denorm_src 0
		.amdhsa_exception_fp_ieee_div_zero 0
		.amdhsa_exception_fp_ieee_overflow 0
		.amdhsa_exception_fp_ieee_underflow 0
		.amdhsa_exception_fp_ieee_inexact 0
		.amdhsa_exception_int_div_zero 0
	.end_amdhsa_kernel
	.section	.text._Z35paged_attention_ll4mi_reduce_kernelI14__hip_bfloat16hLi64ELi64ELi256ELi4EEvPT0_PKfS4_PKT_PKiS9_iS4_,"axG",@progbits,_Z35paged_attention_ll4mi_reduce_kernelI14__hip_bfloat16hLi64ELi64ELi256ELi4EEvPT0_PKfS4_PKT_PKiS9_iS4_,comdat
.Lfunc_end403:
	.size	_Z35paged_attention_ll4mi_reduce_kernelI14__hip_bfloat16hLi64ELi64ELi256ELi4EEvPT0_PKfS4_PKT_PKiS9_iS4_, .Lfunc_end403-_Z35paged_attention_ll4mi_reduce_kernelI14__hip_bfloat16hLi64ELi64ELi256ELi4EEvPT0_PKfS4_PKT_PKiS9_iS4_
                                        ; -- End function
	.section	.AMDGPU.csdata,"",@progbits
; Kernel info:
; codeLenInByte = 8632
; NumSgprs: 44
; NumVgprs: 127
; NumAgprs: 0
; TotalNumVgprs: 127
; ScratchSize: 0
; MemoryBound: 0
; FloatMode: 240
; IeeeMode: 1
; LDSByteSize: 1028 bytes/workgroup (compile time only)
; SGPRBlocks: 5
; VGPRBlocks: 15
; NumSGPRsForWavesPerEU: 44
; NumVGPRsForWavesPerEU: 127
; AccumOffset: 128
; Occupancy: 4
; WaveLimiterHint : 1
; COMPUTE_PGM_RSRC2:SCRATCH_EN: 0
; COMPUTE_PGM_RSRC2:USER_SGPR: 2
; COMPUTE_PGM_RSRC2:TRAP_HANDLER: 0
; COMPUTE_PGM_RSRC2:TGID_X_EN: 1
; COMPUTE_PGM_RSRC2:TGID_Y_EN: 1
; COMPUTE_PGM_RSRC2:TGID_Z_EN: 0
; COMPUTE_PGM_RSRC2:TIDIG_COMP_CNT: 0
; COMPUTE_PGM_RSRC3_GFX90A:ACCUM_OFFSET: 31
; COMPUTE_PGM_RSRC3_GFX90A:TG_SPLIT: 0
	.section	.text._Z35paged_attention_ll4mi_reduce_kernelI14__hip_bfloat16hLi64ELi64ELi256ELi5EEvPT0_PKfS4_PKT_PKiS9_iS4_,"axG",@progbits,_Z35paged_attention_ll4mi_reduce_kernelI14__hip_bfloat16hLi64ELi64ELi256ELi5EEvPT0_PKfS4_PKT_PKiS9_iS4_,comdat
	.protected	_Z35paged_attention_ll4mi_reduce_kernelI14__hip_bfloat16hLi64ELi64ELi256ELi5EEvPT0_PKfS4_PKT_PKiS9_iS4_ ; -- Begin function _Z35paged_attention_ll4mi_reduce_kernelI14__hip_bfloat16hLi64ELi64ELi256ELi5EEvPT0_PKfS4_PKT_PKiS9_iS4_
	.globl	_Z35paged_attention_ll4mi_reduce_kernelI14__hip_bfloat16hLi64ELi64ELi256ELi5EEvPT0_PKfS4_PKT_PKiS9_iS4_
	.p2align	8
	.type	_Z35paged_attention_ll4mi_reduce_kernelI14__hip_bfloat16hLi64ELi64ELi256ELi5EEvPT0_PKfS4_PKT_PKiS9_iS4_,@function
_Z35paged_attention_ll4mi_reduce_kernelI14__hip_bfloat16hLi64ELi64ELi256ELi5EEvPT0_PKfS4_PKT_PKiS9_iS4_: ; @_Z35paged_attention_ll4mi_reduce_kernelI14__hip_bfloat16hLi64ELi64ELi256ELi5EEvPT0_PKfS4_PKT_PKiS9_iS4_
; %bb.0:
	s_load_dwordx2 s[24:25], s[0:1], 0x28
	s_mov_b32 s14, s3
	s_mov_b64 s[4:5], 0
	s_waitcnt lgkmcnt(0)
	s_cmp_lg_u64 s[24:25], 0
	s_cselect_b64 s[26:27], -1, 0
	s_and_b64 vcc, exec, s[26:27]
	s_cbranch_vccz .LBB404_23
; %bb.1:
	s_add_i32 s6, s14, 1
	s_mov_b32 s7, 0
	s_lshl_b64 s[8:9], s[6:7], 2
	s_add_u32 s8, s24, s8
	s_mov_b32 s15, s7
	s_addc_u32 s9, s25, s9
	s_lshl_b64 s[6:7], s[14:15], 2
	s_add_u32 s6, s24, s6
	s_addc_u32 s7, s25, s7
	s_load_dword s3, s[8:9], 0x0
	s_load_dword s10, s[6:7], 0x0
	s_waitcnt lgkmcnt(0)
	s_sub_i32 s3, s3, s10
	s_cmp_eq_u32 s3, 1
	s_cselect_b64 s[6:7], -1, 0
	s_andn2_b64 vcc, exec, s[4:5]
	s_cbranch_vccnz .LBB404_3
.LBB404_2:
	s_mov_b32 s15, 0
	s_mov_b64 s[6:7], -1
.LBB404_3:
	s_andn2_b64 vcc, exec, s[6:7]
	s_cbranch_vccz .LBB404_5
; %bb.4:
	s_endpgm
.LBB404_5:
	s_load_dwordx4 s[16:19], s[0:1], 0x18
	s_load_dword s8, s[0:1], 0x30
	s_lshl_b64 s[28:29], s[14:15], 2
	v_cmp_lt_u32_e32 vcc, 63, v0
	s_waitcnt lgkmcnt(0)
	s_add_u32 s4, s18, s28
	s_addc_u32 s5, s19, s29
	s_load_dword s38, s[4:5], 0x0
	s_load_dword s3, s[0:1], 0x40
	s_mul_i32 s18, s2, s8
	s_mul_i32 s6, s14, s8
	s_waitcnt lgkmcnt(0)
	s_add_i32 s7, s38, 0xff
	s_ashr_i32 s4, s7, 31
	s_lshr_b32 s4, s4, 24
	s_add_i32 s7, s7, s4
	s_and_saveexec_b64 s[4:5], vcc
	s_xor_b64 s[4:5], exec, s[4:5]
	s_or_saveexec_b64 s[30:31], s[4:5]
	s_ashr_i32 s33, s7, 8
	v_mov_b32_e32 v1, s18
	s_mul_i32 s34, s6, s3
	s_xor_b64 exec, exec, s[30:31]
	s_cbranch_execz .LBB404_9
; %bb.6:
	s_add_i32 s4, s33, -1
	v_or_b32_e32 v3, 64, v0
	s_load_dwordx4 s[20:23], s[0:1], 0x8
	v_mov_b32_e32 v1, s4
	v_cmp_gt_u32_e64 s[8:9], s33, v3
	s_mov_b32 s35, 0
	s_lshl_b64 s[36:37], s[34:35], 2
	v_cndmask_b32_e64 v4, v1, v3, s[8:9]
	v_or_b32_e32 v3, 0x80, v0
	v_cmp_gt_u32_e64 s[6:7], s33, v3
	s_mov_b32 s19, s35
	v_cmp_gt_u32_e64 s[10:11], s33, v0
	v_cndmask_b32_e64 v6, v1, v3, s[6:7]
	v_or_b32_e32 v3, 0xc0, v0
	v_cmp_gt_u32_e64 s[4:5], s33, v3
	s_waitcnt lgkmcnt(0)
	s_add_u32 s12, s22, s36
	v_cndmask_b32_e64 v2, v1, v0, s[10:11]
	v_cndmask_b32_e64 v8, v1, v3, s[4:5]
	v_or_b32_e32 v3, 0x100, v0
	v_cmp_gt_u32_e32 vcc, s33, v3
	s_addc_u32 s13, s23, s37
	s_lshl_b64 s[22:23], s[18:19], 2
	v_cndmask_b32_e32 v10, v1, v3, vcc
	s_add_u32 s12, s12, s22
	v_ashrrev_i32_e32 v3, 31, v2
	s_addc_u32 s13, s13, s23
	v_lshlrev_b64 v[2:3], 2, v[2:3]
	v_ashrrev_i32_e32 v5, 31, v4
	v_ashrrev_i32_e32 v7, 31, v6
	;; [unrolled: 1-line block ×4, first 2 shown]
	v_lshl_add_u64 v[12:13], s[12:13], 0, v[2:3]
	v_lshlrev_b64 v[4:5], 2, v[4:5]
	v_lshlrev_b64 v[6:7], 2, v[6:7]
	;; [unrolled: 1-line block ×4, first 2 shown]
	v_lshl_add_u64 v[14:15], s[12:13], 0, v[4:5]
	v_lshl_add_u64 v[16:17], s[12:13], 0, v[6:7]
	;; [unrolled: 1-line block ×4, first 2 shown]
	global_load_dword v1, v[12:13], off
	global_load_dword v22, v[14:15], off
	;; [unrolled: 1-line block ×5, first 2 shown]
	v_mbcnt_lo_u32_b32 v12, -1, 0
	v_mbcnt_hi_u32_b32 v12, -1, v12
	v_and_b32_e32 v14, 64, v12
	v_xor_b32_e32 v15, 32, v12
	v_add_u32_e32 v14, 64, v14
	v_cmp_lt_i32_e64 s[12:13], v15, v14
	v_xor_b32_e32 v16, 16, v12
	v_xor_b32_e32 v17, 8, v12
	v_cndmask_b32_e64 v15, v12, v15, s[12:13]
	s_add_u32 s12, s20, s36
	s_addc_u32 s13, s21, s37
	s_add_u32 s20, s12, s22
	s_addc_u32 s21, s13, s23
	v_lshl_add_u64 v[2:3], s[20:21], 0, v[2:3]
	global_load_dword v18, v[2:3], off
	v_lshlrev_b32_e32 v15, 2, v15
	v_cmp_lt_i32_e64 s[12:13], v16, v14
	s_mov_b32 s19, 0x3fb8aa3b
	s_mov_b32 s35, 0xc2ce8ed0
	v_cndmask_b32_e64 v16, v12, v16, s[12:13]
	v_lshlrev_b32_e32 v16, 2, v16
	v_cmp_lt_i32_e64 s[12:13], v17, v14
	s_mov_b32 s39, 0x42b17218
	v_mov_b32_e32 v13, 0x7f800000
	s_waitcnt vmcnt(3)
	v_max3_f32 v2, v1, v22, v23
	s_waitcnt vmcnt(1)
	v_max3_f32 v19, v2, v24, v25
	ds_bpermute_b32 v20, v15, v19
	v_lshl_add_u64 v[2:3], s[20:21], 0, v[4:5]
	global_load_dword v21, v[2:3], off
	v_cndmask_b32_e64 v5, v12, v17, s[12:13]
	v_lshlrev_b32_e32 v17, 2, v5
	s_waitcnt lgkmcnt(0)
	v_max_f32_e32 v2, v20, v20
	v_max_f32_e32 v2, v19, v2
	ds_bpermute_b32 v3, v16, v2
	v_xor_b32_e32 v4, 4, v12
	v_cmp_lt_i32_e64 s[12:13], v4, v14
	v_xor_b32_e32 v5, 2, v12
	s_waitcnt lgkmcnt(0)
	v_max_f32_e32 v3, v3, v3
	v_max_f32_e32 v2, v2, v3
	ds_bpermute_b32 v3, v17, v2
	v_cndmask_b32_e64 v4, v12, v4, s[12:13]
	v_lshlrev_b32_e32 v19, 2, v4
	v_cmp_lt_i32_e64 s[12:13], v5, v14
	v_xor_b32_e32 v4, 1, v12
	s_waitcnt lgkmcnt(0)
	v_max_f32_e32 v3, v3, v3
	v_max_f32_e32 v2, v2, v3
	ds_bpermute_b32 v3, v19, v2
	v_cndmask_b32_e64 v5, v12, v5, s[12:13]
	v_lshlrev_b32_e32 v20, 2, v5
	v_cmp_lt_i32_e64 s[12:13], v4, v14
	s_waitcnt lgkmcnt(0)
	v_max_f32_e32 v3, v3, v3
	v_max_f32_e32 v26, v2, v3
	ds_bpermute_b32 v27, v20, v26
	v_cndmask_b32_e64 v2, v12, v4, s[12:13]
	v_lshlrev_b32_e32 v12, 2, v2
	v_lshl_add_u64 v[2:3], s[20:21], 0, v[6:7]
	v_lshl_add_u64 v[4:5], s[20:21], 0, v[8:9]
	s_waitcnt lgkmcnt(0)
	v_max_f32_e32 v6, v27, v27
	v_max_f32_e32 v8, v26, v6
	v_lshl_add_u64 v[6:7], s[20:21], 0, v[10:11]
	global_load_dword v10, v[2:3], off
	global_load_dword v11, v[4:5], off
	;; [unrolled: 1-line block ×3, first 2 shown]
	ds_bpermute_b32 v9, v12, v8
	s_waitcnt lgkmcnt(0)
	v_max_f32_e32 v2, v9, v9
	v_max_f32_e32 v2, v8, v2
	v_sub_f32_e32 v1, v1, v2
	v_sub_f32_e32 v3, v22, v2
	v_mul_f32_e32 v5, 0x3fb8aa3b, v1
	v_mul_f32_e32 v6, 0x3fb8aa3b, v3
	v_fma_f32 v8, v1, s19, -v5
	v_rndne_f32_e32 v9, v5
	v_sub_f32_e32 v4, v23, v2
	v_fma_f32 v22, v3, s19, -v6
	v_rndne_f32_e32 v23, v6
	v_fmac_f32_e32 v8, 0x32a5705f, v1
	v_sub_f32_e32 v5, v5, v9
	v_fmac_f32_e32 v22, 0x32a5705f, v3
	v_sub_f32_e32 v6, v6, v23
	v_add_f32_e32 v5, v5, v8
	v_cvt_i32_f32_e32 v9, v9
	v_add_f32_e32 v6, v6, v22
	v_exp_f32_e32 v5, v5
	v_mul_f32_e32 v7, 0x3fb8aa3b, v4
	v_cvt_i32_f32_e32 v23, v23
	v_exp_f32_e32 v6, v6
	v_fma_f32 v26, v4, s19, -v7
	v_rndne_f32_e32 v27, v7
	v_fmac_f32_e32 v26, 0x32a5705f, v4
	v_sub_f32_e32 v7, v7, v27
	v_add_f32_e32 v7, v7, v26
	v_ldexp_f32 v5, v5, v9
	v_cmp_ngt_f32_e64 s[12:13], s35, v1
	v_cvt_i32_f32_e32 v27, v27
	v_exp_f32_e32 v7, v7
	v_ldexp_f32 v6, v6, v23
	v_cndmask_b32_e64 v5, 0, v5, s[12:13]
	v_cmp_ngt_f32_e64 s[12:13], s35, v3
	s_nop 1
	v_cndmask_b32_e64 v6, 0, v6, s[12:13]
	v_cmp_nlt_f32_e64 s[12:13], s39, v1
	s_nop 1
	v_cndmask_b32_e64 v1, v13, v5, s[12:13]
	v_cndmask_b32_e64 v1, 0, v1, s[10:11]
	v_cmp_nlt_f32_e64 s[10:11], s39, v3
	s_waitcnt vmcnt(4)
	v_mul_f32_e32 v1, v18, v1
	v_cndmask_b32_e64 v3, v13, v6, s[10:11]
	v_ldexp_f32 v6, v7, v27
	v_sub_f32_e32 v7, v24, v2
	v_mul_f32_e32 v8, 0x3fb8aa3b, v7
	v_fma_f32 v9, v7, s19, -v8
	v_rndne_f32_e32 v18, v8
	v_fmac_f32_e32 v9, 0x32a5705f, v7
	v_sub_f32_e32 v8, v8, v18
	v_add_f32_e32 v8, v8, v9
	v_exp_f32_e32 v8, v8
	v_cvt_i32_f32_e32 v9, v18
	v_cndmask_b32_e64 v3, 0, v3, s[8:9]
	v_cmp_ngt_f32_e64 s[8:9], s35, v4
	v_sub_f32_e32 v2, v25, v2
	s_waitcnt vmcnt(3)
	v_mul_f32_e32 v5, v21, v3
	v_cndmask_b32_e64 v6, 0, v6, s[8:9]
	v_cmp_nlt_f32_e64 s[8:9], s39, v4
	s_nop 1
	v_cndmask_b32_e64 v4, v13, v6, s[8:9]
	v_ldexp_f32 v6, v8, v9
	v_mul_f32_e32 v8, 0x3fb8aa3b, v2
	v_fma_f32 v9, v2, s19, -v8
	v_rndne_f32_e32 v18, v8
	v_fmac_f32_e32 v9, 0x32a5705f, v2
	v_sub_f32_e32 v8, v8, v18
	v_add_f32_e32 v8, v8, v9
	v_exp_f32_e32 v8, v8
	v_cvt_i32_f32_e32 v9, v18
	v_cndmask_b32_e64 v4, 0, v4, s[6:7]
	v_cmp_ngt_f32_e64 s[6:7], s35, v7
	s_nop 1
	v_cndmask_b32_e64 v6, 0, v6, s[6:7]
	v_cmp_nlt_f32_e64 s[6:7], s39, v7
	v_ldexp_f32 v7, v8, v9
	v_lshlrev_b32_e32 v8, 2, v0
	v_cndmask_b32_e64 v6, v13, v6, s[6:7]
	v_cndmask_b32_e64 v6, 0, v6, s[4:5]
	v_cmp_ngt_f32_e64 s[4:5], s35, v2
	ds_write2st64_b32 v8, v1, v5 offset1:1
	v_fmac_f32_e32 v1, v21, v3
	v_cndmask_b32_e64 v7, 0, v7, s[4:5]
	v_cmp_nlt_f32_e64 s[4:5], s39, v2
	s_waitcnt vmcnt(2)
	v_fmac_f32_e32 v1, v10, v4
	s_waitcnt vmcnt(1)
	v_fmac_f32_e32 v1, v11, v6
	v_cndmask_b32_e64 v2, v13, v7, s[4:5]
	v_cndmask_b32_e32 v7, 0, v2, vcc
	s_waitcnt vmcnt(0)
	v_fmac_f32_e32 v1, v14, v7
	ds_bpermute_b32 v2, v15, v1
	v_mul_f32_e32 v3, v10, v4
	v_mul_f32_e32 v4, v11, v6
	v_cmp_eq_u32_e32 vcc, 0, v0
	v_mul_f32_e32 v5, v14, v7
	s_waitcnt lgkmcnt(0)
	v_add_f32_e32 v1, v1, v2
	ds_bpermute_b32 v2, v16, v1
	ds_write2st64_b32 v8, v3, v4 offset0:2 offset1:3
	ds_write_b32 v8, v5 offset:1024
	s_waitcnt lgkmcnt(2)
	v_add_f32_e32 v1, v1, v2
	ds_bpermute_b32 v2, v17, v1
	s_waitcnt lgkmcnt(0)
	v_add_f32_e32 v1, v1, v2
	ds_bpermute_b32 v2, v19, v1
	;; [unrolled: 3-line block ×4, first 2 shown]
	s_and_saveexec_b64 s[4:5], vcc
	s_cbranch_execz .LBB404_8
; %bb.7:
	s_waitcnt lgkmcnt(0)
	v_add_f32_e32 v1, v1, v2
	v_mov_b32_e32 v2, 0
	ds_write_b32 v2, v1 offset:1280
.LBB404_8:
	s_or_b64 exec, exec, s[4:5]
	v_mov_b32_e32 v1, s18
.LBB404_9:
	s_or_b64 exec, exec, s[30:31]
	s_lshl_b32 s4, s34, 6
	s_mov_b32 s5, 0
	s_lshl_b64 s[4:5], s[4:5], 1
	s_add_u32 s4, s16, s4
	s_addc_u32 s5, s17, s5
	s_lshl_b32 s10, s33, 6
	s_waitcnt lgkmcnt(0)
	v_lshlrev_b32_e32 v2, 6, v1
	v_mov_b32_e32 v1, 0
	s_sub_i32 s11, s10, 64
	v_mov_b32_e32 v3, v1
	s_cmp_lt_i32 s38, 1
	v_lshl_add_u64 v[2:3], v[2:3], 1, s[4:5]
	s_cselect_b32 s4, s11, 0
	v_lshlrev_b32_e32 v4, 1, v0
	v_mov_b32_e32 v5, v1
	s_ashr_i32 s5, s4, 31
	v_lshl_add_u64 v[2:3], v[2:3], 0, v[4:5]
	s_cmpk_lt_i32 s38, 0x101
	v_lshl_add_u64 v[4:5], s[4:5], 1, v[2:3]
	s_cselect_b32 s4, s11, 64
	s_ashr_i32 s5, s4, 31
	s_cmpk_lt_i32 s38, 0x201
	v_lshl_add_u64 v[6:7], s[4:5], 1, v[2:3]
	s_cselect_b32 s4, s11, 0x80
	s_ashr_i32 s5, s4, 31
	s_cmpk_lt_i32 s38, 0x301
	v_lshl_add_u64 v[8:9], s[4:5], 1, v[2:3]
	s_cselect_b32 s4, s11, 0xc0
	s_ashr_i32 s5, s4, 31
	s_cmpk_lt_i32 s38, 0x401
	v_lshl_add_u64 v[10:11], s[4:5], 1, v[2:3]
	s_cselect_b32 s4, s11, 0x100
	s_ashr_i32 s5, s4, 31
	s_cmpk_lt_i32 s38, 0x501
	v_lshl_add_u64 v[12:13], s[4:5], 1, v[2:3]
	s_cselect_b32 s4, s11, 0x140
	s_ashr_i32 s5, s4, 31
	s_cmpk_lt_i32 s38, 0x601
	v_lshl_add_u64 v[14:15], s[4:5], 1, v[2:3]
	s_cselect_b32 s4, s11, 0x180
	s_ashr_i32 s5, s4, 31
	s_cmpk_lt_i32 s38, 0x701
	v_lshl_add_u64 v[24:25], s[4:5], 1, v[2:3]
	s_cselect_b32 s4, s11, 0x1c0
	s_ashr_i32 s5, s4, 31
	s_cmpk_lt_i32 s38, 0x801
	v_lshl_add_u64 v[26:27], s[4:5], 1, v[2:3]
	s_cselect_b32 s4, s11, 0x200
	s_ashr_i32 s5, s4, 31
	s_cmpk_lt_i32 s38, 0x901
	global_load_ushort v23, v[4:5], off
	global_load_ushort v22, v[6:7], off
	global_load_ushort v21, v[8:9], off
	global_load_ushort v20, v[10:11], off
	global_load_ushort v18, v[12:13], off
	global_load_ushort v19, v[14:15], off
	global_load_ushort v16, v[24:25], off
	global_load_ushort v17, v[26:27], off
	v_lshl_add_u64 v[4:5], s[4:5], 1, v[2:3]
	s_cselect_b32 s4, s11, 0x240
	s_ashr_i32 s5, s4, 31
	s_cmpk_lt_i32 s38, 0xa01
	v_lshl_add_u64 v[6:7], s[4:5], 1, v[2:3]
	s_cselect_b32 s4, s11, 0x280
	s_ashr_i32 s5, s4, 31
	s_cmpk_lt_i32 s38, 0xb01
	;; [unrolled: 4-line block ×6, first 2 shown]
	v_lshl_add_u64 v[32:33], s[4:5], 1, v[2:3]
	s_cselect_b32 s4, s11, 0x3c0
	s_ashr_i32 s5, s4, 31
	v_lshl_add_u64 v[34:35], s[4:5], 1, v[2:3]
	global_load_ushort v30, v[4:5], off
	global_load_ushort v31, v[6:7], off
	;; [unrolled: 1-line block ×8, first 2 shown]
	s_cmpk_gt_i32 s38, 0x1000
	s_cselect_b64 s[8:9], -1, 0
	s_cmpk_lt_i32 s38, 0x1001
	v_mov_b32_e32 v40, 0
	v_mov_b32_e32 v41, 0
	;; [unrolled: 1-line block ×48, first 2 shown]
	s_waitcnt lgkmcnt(0)
	; wave barrier
	s_cbranch_scc1 .LBB404_12
; %bb.10:
	s_cmpk_lt_u32 s38, 0x1101
	s_cselect_b32 s4, s11, 0x440
	s_ashr_i32 s5, s4, 31
	s_cmpk_lt_u32 s38, 0x1201
	v_lshl_add_u64 v[4:5], s[4:5], 1, v[2:3]
	s_cselect_b32 s4, s11, 0x480
	s_ashr_i32 s5, s4, 31
	s_cmpk_lt_u32 s38, 0x1301
	v_lshl_add_u64 v[6:7], s[4:5], 1, v[2:3]
	;; [unrolled: 4-line block ×7, first 2 shown]
	s_cselect_b32 s4, s11, 0x600
	s_ashr_i32 s5, s4, 31
	s_cmpk_lt_u32 s38, 0x1901
	global_load_ushort v39, v[2:3], off offset:2048
	global_load_ushort v38, v[4:5], off
	global_load_ushort v37, v[6:7], off
	;; [unrolled: 1-line block ×7, first 2 shown]
	v_lshl_add_u64 v[4:5], s[4:5], 1, v[2:3]
	s_cselect_b32 s4, s11, 0x640
	s_ashr_i32 s5, s4, 31
	s_cmpk_lt_u32 s38, 0x1a01
	v_lshl_add_u64 v[6:7], s[4:5], 1, v[2:3]
	s_cselect_b32 s4, s11, 0x680
	s_ashr_i32 s5, s4, 31
	s_cmpk_lt_u32 s38, 0x1b01
	;; [unrolled: 4-line block ×6, first 2 shown]
	v_lshl_add_u64 v[48:49], s[4:5], 1, v[2:3]
	s_cselect_b32 s4, s11, 0x7c0
	s_ashr_i32 s5, s4, 31
	v_lshl_add_u64 v[50:51], s[4:5], 1, v[2:3]
	global_load_ushort v47, v[4:5], off
	global_load_ushort v46, v[6:7], off
	;; [unrolled: 1-line block ×8, first 2 shown]
	s_cmpk_lt_u32 s38, 0x2001
	v_mov_b32_e32 v67, 0
	v_mov_b32_e32 v65, 0
	;; [unrolled: 1-line block ×32, first 2 shown]
	s_cbranch_scc1 .LBB404_12
; %bb.11:
	s_cmpk_lt_u32 s38, 0x2101
	s_cselect_b32 s4, s11, 0x840
	s_ashr_i32 s5, s4, 31
	s_cmpk_lt_u32 s38, 0x2201
	v_lshl_add_u64 v[4:5], s[4:5], 1, v[2:3]
	s_cselect_b32 s4, s11, 0x880
	s_ashr_i32 s5, s4, 31
	s_cmpk_lt_u32 s38, 0x2301
	v_lshl_add_u64 v[6:7], s[4:5], 1, v[2:3]
	;; [unrolled: 4-line block ×29, first 2 shown]
	s_cselect_b32 s4, s11, 0xf80
	s_ashr_i32 s5, s4, 31
	v_lshl_add_u64 v[94:95], s[4:5], 1, v[2:3]
	s_movk_i32 s4, 0x1000
	s_cmpk_lt_u32 s38, 0x3f01
	v_add_co_u32_e32 v96, vcc, s4, v2
	s_cselect_b32 s4, s11, 0xfc0
	s_nop 0
	v_addc_co_u32_e32 v97, vcc, 0, v3, vcc
	s_ashr_i32 s5, s4, 31
	global_load_ushort v98, v[96:97], off
	global_load_ushort v99, v[4:5], off
	;; [unrolled: 1-line block ×15, first 2 shown]
                                        ; kill: killed $vgpr52_vgpr53
                                        ; kill: killed $vgpr4_vgpr5
                                        ; kill: killed $vgpr58_vgpr59
                                        ; kill: killed $vgpr10_vgpr11
                                        ; kill: killed $vgpr48_vgpr49
                                        ; kill: killed $vgpr54_vgpr55
                                        ; kill: killed $vgpr6_vgpr7
                                        ; kill: killed $vgpr60_vgpr61
                                        ; kill: killed $vgpr12_vgpr13
                                        ; kill: killed $vgpr50_vgpr51
                                        ; kill: killed $vgpr56_vgpr57
                                        ; kill: killed $vgpr8_vgpr9
                                        ; kill: killed $vgpr62_vgpr63
                                        ; kill: killed $vgpr14_vgpr15
                                        ; kill: killed $vgpr96 killed $vgpr97
	global_load_ushort v6, v[64:65], off
	global_load_ushort v7, v[66:67], off
	;; [unrolled: 1-line block ×15, first 2 shown]
                                        ; kill: killed $vgpr84_vgpr85
                                        ; kill: killed $vgpr68_vgpr69
                                        ; kill: killed $vgpr90_vgpr91
                                        ; kill: killed $vgpr74_vgpr75
                                        ; kill: killed $vgpr80_vgpr81
                                        ; kill: killed $vgpr64_vgpr65
                                        ; kill: killed $vgpr70_vgpr71
                                        ; kill: killed $vgpr92_vgpr93
                                        ; kill: killed $vgpr76_vgpr77
                                        ; kill: killed $vgpr82_vgpr83
                                        ; kill: killed $vgpr66_vgpr67
                                        ; kill: killed $vgpr88_vgpr89
                                        ; kill: killed $vgpr72_vgpr73
                                        ; kill: killed $vgpr94_vgpr95
                                        ; kill: killed $vgpr78_vgpr79
	global_load_ushort v68, v[86:87], off
	v_lshl_add_u64 v[4:5], s[4:5], 1, v[2:3]
	global_load_ushort v5, v[4:5], off
	s_waitcnt vmcnt(31)
	v_lshlrev_b32_e32 v67, 16, v98
	s_waitcnt vmcnt(30)
	v_lshlrev_b32_e32 v65, 16, v99
	;; [unrolled: 2-line block ×32, first 2 shown]
.LBB404_12:
	s_load_dwordx2 s[4:5], s[0:1], 0x0
	s_load_dwordx2 s[6:7], s[0:1], 0x38
	ds_read_b128 v[68:71], v1
	s_waitcnt vmcnt(15)
	v_lshlrev_b32_e32 v23, 16, v23
	ds_read_b128 v[72:75], v1 offset:16
	ds_read_b128 v[76:79], v1 offset:32
	;; [unrolled: 1-line block ×3, first 2 shown]
	s_waitcnt vmcnt(14)
	v_lshlrev_b32_e32 v22, 16, v22
	s_waitcnt vmcnt(13)
	v_lshlrev_b32_e32 v21, 16, v21
	s_waitcnt lgkmcnt(0)
	v_fma_f32 v23, v68, v23, 0
	v_fmac_f32_e32 v23, v69, v22
	v_fmac_f32_e32 v23, v70, v21
	s_waitcnt vmcnt(12)
	v_lshlrev_b32_e32 v20, 16, v20
	s_waitcnt vmcnt(10)
	v_lshlrev_b32_e32 v19, 16, v19
	v_lshlrev_b32_e32 v18, 16, v18
	v_fmac_f32_e32 v23, v71, v20
	v_pk_mul_f32 v[18:19], v[72:73], v[18:19]
	s_waitcnt vmcnt(8)
	v_lshlrev_b32_e32 v17, 16, v17
	v_add_f32_e32 v18, v23, v18
	v_lshlrev_b32_e32 v16, 16, v16
	v_add_f32_e32 v18, v18, v19
	v_pk_mul_f32 v[16:17], v[74:75], v[16:17]
	s_and_b64 vcc, exec, s[8:9]
	v_add_f32_e32 v16, v18, v16
	v_add_f32_e32 v18, v16, v17
	s_waitcnt vmcnt(6)
	v_lshlrev_b32_e32 v17, 16, v31
	v_lshlrev_b32_e32 v16, 16, v30
	v_pk_mul_f32 v[16:17], v[76:77], v[16:17]
	s_nop 0
	v_add_f32_e32 v16, v18, v16
	v_add_f32_e32 v18, v16, v17
	s_waitcnt vmcnt(4)
	v_lshlrev_b32_e32 v17, 16, v29
	v_lshlrev_b32_e32 v16, 16, v28
	v_pk_mul_f32 v[16:17], v[78:79], v[16:17]
	s_nop 0
	;; [unrolled: 7-line block ×4, first 2 shown]
	v_add_f32_e32 v16, v18, v16
	v_add_f32_e32 v110, v16, v17
	s_cbranch_vccz .LBB404_15
; %bb.13:
	ds_read_b128 v[16:19], v1 offset:64
	v_lshlrev_b32_e32 v39, 16, v39
	ds_read_b128 v[20:23], v1 offset:80
	ds_read_b128 v[24:27], v1 offset:96
	;; [unrolled: 1-line block ×3, first 2 shown]
	s_cmpk_lt_u32 s38, 0x2001
	s_waitcnt lgkmcnt(3)
	v_fmac_f32_e32 v110, v16, v39
	v_lshlrev_b32_e32 v16, 16, v38
	v_fmac_f32_e32 v110, v17, v16
	v_lshlrev_b32_e32 v16, 16, v37
	v_fmac_f32_e32 v110, v18, v16
	v_lshlrev_b32_e32 v16, 16, v36
	v_fmac_f32_e32 v110, v19, v16
	v_lshlrev_b32_e32 v16, 16, v35
	s_waitcnt lgkmcnt(2)
	v_fmac_f32_e32 v110, v20, v16
	v_lshlrev_b32_e32 v16, 16, v34
	v_fmac_f32_e32 v110, v21, v16
	v_lshlrev_b32_e32 v16, 16, v33
	v_fmac_f32_e32 v110, v22, v16
	v_lshlrev_b32_e32 v16, 16, v32
	v_fmac_f32_e32 v110, v23, v16
	v_lshlrev_b32_e32 v16, 16, v47
	;; [unrolled: 9-line block ×3, first 2 shown]
	s_waitcnt lgkmcnt(0)
	v_fmac_f32_e32 v110, v28, v16
	v_lshlrev_b32_e32 v16, 16, v42
	v_fmac_f32_e32 v110, v29, v16
	v_lshlrev_b32_e32 v16, 16, v41
	;; [unrolled: 2-line block ×3, first 2 shown]
	v_fmac_f32_e32 v110, v31, v16
	s_cbranch_scc1 .LBB404_15
; %bb.14:
	v_mov_b32_e32 v32, 0
	ds_read_b128 v[16:19], v32 offset:128
	ds_read_b128 v[20:23], v32 offset:144
	;; [unrolled: 1-line block ×4, first 2 shown]
	s_waitcnt lgkmcnt(3)
	v_fmac_f32_e32 v110, v16, v67
	v_fmac_f32_e32 v110, v17, v65
	v_fmac_f32_e32 v110, v18, v66
	v_fmac_f32_e32 v110, v19, v63
	s_waitcnt lgkmcnt(2)
	v_fmac_f32_e32 v110, v20, v64
	v_fmac_f32_e32 v110, v21, v61
	v_fmac_f32_e32 v110, v22, v62
	v_fmac_f32_e32 v110, v23, v59
	;; [unrolled: 5-line block ×3, first 2 shown]
	ds_read_b128 v[16:19], v32 offset:192
	ds_read_b128 v[20:23], v32 offset:208
	s_waitcnt lgkmcnt(2)
	v_fmac_f32_e32 v110, v28, v56
	v_fmac_f32_e32 v110, v29, v53
	;; [unrolled: 1-line block ×4, first 2 shown]
	s_waitcnt lgkmcnt(1)
	v_fmac_f32_e32 v110, v16, v51
	v_fmac_f32_e32 v110, v17, v49
	;; [unrolled: 1-line block ×4, first 2 shown]
	s_waitcnt lgkmcnt(0)
	v_pk_mul_f32 v[14:15], v[20:21], v[14:15]
	v_pk_mul_f32 v[12:13], v[22:23], v[12:13]
	v_add_f32_e32 v14, v110, v14
	v_add_f32_e32 v18, v14, v15
	ds_read_b128 v[14:17], v32 offset:224
	v_add_f32_e32 v12, v18, v12
	ds_read_b128 v[18:21], v32 offset:240
	v_add_f32_e32 v12, v12, v13
	s_waitcnt lgkmcnt(1)
	v_pk_mul_f32 v[10:11], v[14:15], v[10:11]
	s_nop 0
	v_add_f32_e32 v10, v12, v10
	v_add_f32_e32 v10, v10, v11
	v_pk_mul_f32 v[8:9], v[16:17], v[8:9]
	s_waitcnt lgkmcnt(0)
	v_pk_mul_f32 v[6:7], v[18:19], v[6:7]
	v_add_f32_e32 v8, v10, v8
	v_add_f32_e32 v8, v8, v9
	v_add_f32_e32 v6, v8, v6
	v_add_f32_e32 v6, v6, v7
	v_pk_mul_f32 v[4:5], v[20:21], v[4:5]
	s_nop 0
	v_add_f32_e32 v4, v6, v4
	v_add_f32_e32 v110, v4, v5
.LBB404_15:
	s_movk_i32 s0, 0x1fc0
	s_movk_i32 s1, 0x100
	s_mov_b32 s8, 64
	s_branch .LBB404_17
.LBB404_16:                             ;   in Loop: Header=BB404_17 Depth=1
	s_addk_i32 s0, 0x1000
	s_addk_i32 s1, 0x100
	s_add_i32 s8, s8, 64
	s_cmpk_eq_i32 s0, 0x5fc0
	s_cbranch_scc1 .LBB404_19
.LBB404_17:                             ; =>This Inner Loop Header: Depth=1
	s_cmp_le_i32 s33, s8
	s_cbranch_scc1 .LBB404_16
; %bb.18:                               ;   in Loop: Header=BB404_17 Depth=1
	s_add_i32 s9, s0, 0xfffff040
	s_cmp_lt_i32 s9, s10
	s_cselect_b32 s12, s9, s11
	s_ashr_i32 s13, s12, 31
	s_add_i32 s9, s0, 0xfffff080
	s_cmp_lt_i32 s9, s10
	v_lshl_add_u64 v[44:45], s[12:13], 1, v[2:3]
	s_cselect_b32 s12, s9, s11
	s_ashr_i32 s13, s12, 31
	s_add_i32 s9, s0, 0xfffff0c0
	s_cmp_lt_i32 s9, s10
	v_lshl_add_u64 v[4:5], s[12:13], 1, v[2:3]
	;; [unrolled: 5-line block ×17, first 2 shown]
	s_cselect_b32 s12, s9, s11
	s_ashr_i32 s13, s12, 31
	s_add_i32 s9, s0, 0xfffff4c0
	s_cmp_lt_i32 s9, s10
	global_load_ushort v111, v[44:45], off
	global_load_ushort v121, v[46:47], off
	v_lshl_add_u64 v[22:23], s[12:13], 1, v[2:3]
	s_cselect_b32 s12, s9, s11
	global_load_ushort v112, v[4:5], off
	global_load_ushort v113, v[6:7], off
	;; [unrolled: 1-line block ×7, first 2 shown]
	s_ashr_i32 s13, s12, 31
	s_add_i32 s9, s0, 0xfffff500
	s_cmp_lt_i32 s9, s10
	v_lshl_add_u64 v[24:25], s[12:13], 1, v[2:3]
	s_cselect_b32 s12, s9, s11
	s_ashr_i32 s13, s12, 31
	s_add_i32 s9, s0, 0xfffff540
	s_cmp_lt_i32 s9, s10
	v_lshl_add_u64 v[32:33], s[12:13], 1, v[2:3]
	s_cselect_b32 s12, s9, s11
	;; [unrolled: 5-line block ×3, first 2 shown]
	s_ashr_i32 s13, s12, 31
	s_add_i32 s9, s0, 0xfffff5c0
	s_cmp_lt_i32 s9, s10
	global_load_ushort v119, v[28:29], off
	global_load_ushort v120, v[30:31], off
	v_lshl_add_u64 v[34:35], s[12:13], 1, v[2:3]
	s_cselect_b32 s12, s9, s11
	s_ashr_i32 s13, s12, 31
	s_add_i32 s9, s0, 0xfffff600
	s_cmp_lt_i32 s9, s10
	v_lshl_add_u64 v[36:37], s[12:13], 1, v[2:3]
	s_cselect_b32 s12, s9, s11
	s_ashr_i32 s13, s12, 31
	s_add_i32 s9, s0, 0xfffff640
	s_cmp_lt_i32 s9, s10
	v_lshl_add_u64 v[50:51], s[12:13], 1, v[2:3]
	s_cselect_b32 s12, s9, s11
	global_load_ushort v122, v[54:55], off
	global_load_ushort v123, v[56:57], off
	s_ashr_i32 s13, s12, 31
	global_load_ushort v58, v[58:59], off
	s_add_i32 s9, s0, 0xfffff680
	s_cmp_lt_i32 s9, s10
	v_lshl_add_u64 v[38:39], s[12:13], 1, v[2:3]
	s_cselect_b32 s12, s9, s11
	global_load_ushort v59, v[60:61], off
	s_ashr_i32 s13, s12, 31
	s_add_i32 s9, s0, 0xfffff6c0
	global_load_ushort v60, v[66:67], off
	global_load_ushort v61, v[62:63], off
	s_cmp_lt_i32 s9, s10
	v_lshl_add_u64 v[18:19], s[12:13], 1, v[2:3]
	s_cselect_b32 s12, s9, s11
	s_ashr_i32 s13, s12, 31
	s_add_i32 s9, s0, 0xfffff700
	s_cmp_lt_i32 s9, s10
	v_lshl_add_u64 v[20:21], s[12:13], 1, v[2:3]
	s_cselect_b32 s12, s9, s11
	s_ashr_i32 s13, s12, 31
	s_add_i32 s9, s0, 0xfffff740
	;; [unrolled: 5-line block ×3, first 2 shown]
	s_cmp_lt_i32 s9, s10
	v_lshl_add_u64 v[42:43], s[12:13], 1, v[2:3]
	s_cselect_b32 s12, s9, s11
	global_load_ushort v62, v[22:23], off
	s_ashr_i32 s13, s12, 31
	s_add_i32 s9, s0, 0xfffff7c0
	global_load_ushort v66, v[32:33], off
	global_load_ushort v124, v[34:35], off
	;; [unrolled: 1-line block ×4, first 2 shown]
	s_cmp_lt_i32 s9, s10
	v_lshl_add_u64 v[26:27], s[12:13], 1, v[2:3]
	s_cselect_b32 s12, s9, s11
	global_load_ushort v67, v[48:49], off
	s_ashr_i32 s13, s12, 31
	s_add_i32 s9, s0, 0xfffff800
	s_cmp_lt_i32 s9, s10
	v_lshl_add_u64 v[52:53], s[12:13], 1, v[2:3]
	s_cselect_b32 s12, s9, s11
	s_ashr_i32 s13, s12, 31
	s_add_i32 s9, s0, 0xfffff840
	s_cmp_lt_i32 s9, s10
	v_lshl_add_u64 v[64:65], s[12:13], 1, v[2:3]
	s_cselect_b32 s12, s9, s11
	s_ashr_i32 s13, s12, 31
	s_add_i32 s9, s0, 0xfffff880
	s_cmp_lt_i32 s9, s10
	v_mov_b32_e32 v125, s1
	v_lshl_add_u64 v[68:69], s[12:13], 1, v[2:3]
	s_cselect_b32 s12, s9, s11
	ds_read_b128 v[30:33], v125
	ds_read_b128 v[34:37], v125 offset:16
	global_load_ushort v50, v[50:51], off
	s_ashr_i32 s13, s12, 31
	s_add_i32 s9, s0, 0xfffff8c0
	s_cmp_lt_i32 s9, s10
	v_lshl_add_u64 v[70:71], s[12:13], 1, v[2:3]
	s_cselect_b32 s12, s9, s11
	ds_read_b128 v[46:49], v125 offset:32
	ds_read_b128 v[54:57], v125 offset:48
	global_load_ushort v38, v[38:39], off
	s_ashr_i32 s13, s12, 31
	s_add_i32 s9, s0, 0xfffff900
	s_cmp_lt_i32 s9, s10
	v_lshl_add_u64 v[72:73], s[12:13], 1, v[2:3]
	s_cselect_b32 s12, s9, s11
	global_load_ushort v39, v[18:19], off
	s_ashr_i32 s13, s12, 31
	global_load_ushort v26, v[26:27], off
	s_add_i32 s9, s0, 0xfffff940
	s_cmp_lt_i32 s9, s10
	v_lshl_add_u64 v[74:75], s[12:13], 1, v[2:3]
	s_cselect_b32 s12, s9, s11
	s_ashr_i32 s13, s12, 31
	s_add_i32 s9, s0, 0xfffff980
	s_cmp_lt_i32 s9, s10
	v_lshl_add_u64 v[76:77], s[12:13], 1, v[2:3]
	s_cselect_b32 s12, s9, s11
	s_ashr_i32 s13, s12, 31
	;; [unrolled: 5-line block ×5, first 2 shown]
	s_add_i32 s9, s0, 0xfffffa80
	s_cmp_lt_i32 s9, s10
	v_lshl_add_u64 v[84:85], s[12:13], 1, v[2:3]
	global_load_ushort v51, v[84:85], off
	s_cselect_b32 s12, s9, s11
	s_ashr_i32 s13, s12, 31
	s_add_i32 s9, s0, 0xfffffac0
	s_cmp_lt_i32 s9, s10
	v_lshl_add_u64 v[86:87], s[12:13], 1, v[2:3]
	s_cselect_b32 s12, s9, s11
	s_ashr_i32 s13, s12, 31
	s_add_i32 s9, s0, 0xfffffb00
	s_cmp_lt_i32 s9, s10
	v_lshl_add_u64 v[88:89], s[12:13], 1, v[2:3]
	;; [unrolled: 5-line block ×3, first 2 shown]
	s_cselect_b32 s12, s9, s11
	s_ashr_i32 s13, s12, 31
	s_add_i32 s9, s0, 0xfffffb80
	s_waitcnt vmcnt(27)
	v_lshlrev_b32_e32 v111, 16, v111
	s_cmp_lt_i32 s9, s10
	s_waitcnt lgkmcnt(3)
	v_fmac_f32_e32 v110, v30, v111
	s_waitcnt vmcnt(25)
	v_lshlrev_b32_e32 v30, 16, v112
	v_lshl_add_u64 v[92:93], s[12:13], 1, v[2:3]
	s_cselect_b32 s12, s9, s11
	v_fmac_f32_e32 v110, v31, v30
	s_waitcnt vmcnt(24)
	v_lshlrev_b32_e32 v30, 16, v113
	s_ashr_i32 s13, s12, 31
	s_add_i32 s9, s0, 0xfffffbc0
	v_fmac_f32_e32 v110, v32, v30
	s_waitcnt vmcnt(23)
	v_lshlrev_b32_e32 v30, 16, v114
	s_cmp_lt_i32 s9, s10
	v_fmac_f32_e32 v110, v33, v30
	s_waitcnt vmcnt(22)
	v_lshlrev_b32_e32 v18, 16, v115
	v_lshl_add_u64 v[94:95], s[12:13], 1, v[2:3]
	s_cselect_b32 s12, s9, s11
	s_waitcnt lgkmcnt(2)
	v_fmac_f32_e32 v110, v34, v18
	global_load_ushort v34, v[20:21], off
	s_ashr_i32 s13, s12, 31
	global_load_ushort v40, v[40:41], off
	s_add_i32 s9, s0, 0xfffffc00
	s_waitcnt vmcnt(23)
	v_lshlrev_b32_e32 v18, 16, v116
	s_cmp_lt_i32 s9, s10
	v_fmac_f32_e32 v110, v35, v18
	global_load_ushort v35, v[42:43], off
	global_load_ushort v27, v[52:53], off
	v_lshl_add_u64 v[96:97], s[12:13], 1, v[2:3]
	s_cselect_b32 s12, s9, s11
	s_ashr_i32 s13, s12, 31
	s_add_i32 s9, s0, 0xfffffc40
	s_cmp_lt_i32 s9, s10
	s_waitcnt vmcnt(24)
	v_lshlrev_b32_e32 v18, 16, v117
	v_lshl_add_u64 v[100:101], s[12:13], 1, v[2:3]
	s_cselect_b32 s12, s9, s11
	v_fmac_f32_e32 v110, v36, v18
	global_load_ushort v36, v[64:65], off
	s_waitcnt vmcnt(24)
	v_lshlrev_b32_e32 v18, 16, v118
	s_ashr_i32 s13, s12, 31
	s_add_i32 s9, s0, 0xfffffc80
	v_fmac_f32_e32 v110, v37, v18
	global_load_ushort v37, v[68:69], off
	s_waitcnt vmcnt(24)
	v_lshlrev_b32_e32 v18, 16, v119
	s_cmp_lt_i32 s9, s10
	s_waitcnt lgkmcnt(1)
	v_fmac_f32_e32 v110, v46, v18
	global_load_ushort v46, v[76:77], off
	s_waitcnt vmcnt(24)
	v_lshlrev_b32_e32 v18, 16, v120
	v_lshl_add_u64 v[102:103], s[12:13], 1, v[2:3]
	s_cselect_b32 s12, s9, s11
	v_fmac_f32_e32 v110, v47, v18
	v_lshlrev_b32_e32 v18, 16, v121
	s_ashr_i32 s13, s12, 31
	s_add_i32 s9, s0, 0xfffffcc0
	v_fmac_f32_e32 v110, v48, v18
	global_load_ushort v48, v[80:81], off
	global_load_ushort v41, v[70:71], off
	;; [unrolled: 1-line block ×5, first 2 shown]
	s_cmp_lt_i32 s9, s10
	v_lshl_add_u64 v[104:105], s[12:13], 1, v[2:3]
	s_cselect_b32 s12, s9, s11
	s_ashr_i32 s13, s12, 31
	s_add_i32 s9, s0, 0xfffffd00
	s_cmp_lt_i32 s9, s10
	s_waitcnt vmcnt(28)
	v_lshlrev_b32_e32 v18, 16, v122
	v_lshl_add_u64 v[106:107], s[12:13], 1, v[2:3]
	s_cselect_b32 s12, s9, s11
	v_fmac_f32_e32 v110, v49, v18
	global_load_ushort v49, v[82:83], off
	global_load_ushort v52, v[86:87], off
	s_waitcnt vmcnt(29)
	v_lshlrev_b32_e32 v18, 16, v123
	s_ashr_i32 s13, s12, 31
	s_add_i32 s9, s0, 0xfffffd40
	s_waitcnt lgkmcnt(0)
	v_fmac_f32_e32 v110, v54, v18
	global_load_ushort v54, v[88:89], off
	s_waitcnt vmcnt(29)
	v_lshlrev_b32_e32 v18, 16, v58
	s_cmp_lt_i32 s9, s10
	v_fmac_f32_e32 v110, v55, v18
	global_load_ushort v55, v[90:91], off
	s_waitcnt vmcnt(29)
	v_lshlrev_b32_e32 v18, 16, v59
	v_lshl_add_u64 v[98:99], s[12:13], 1, v[2:3]
	s_cselect_b32 s12, s9, s11
	v_fmac_f32_e32 v110, v56, v18
	s_waitcnt vmcnt(28)
	v_lshlrev_b32_e32 v18, 16, v60
	s_ashr_i32 s13, s12, 31
	s_add_i32 s9, s0, 0xfffffd80
	v_fmac_f32_e32 v110, v57, v18
	ds_read_b128 v[18:21], v125 offset:64
	ds_read_b128 v[30:33], v125 offset:80
	s_cmp_lt_i32 s9, s10
	v_lshl_add_u64 v[44:45], s[12:13], 1, v[2:3]
	s_cselect_b32 s12, s9, s11
	s_ashr_i32 s13, s12, 31
	s_add_i32 s9, s0, 0xfffffdc0
	s_cmp_lt_i32 s9, s10
	s_waitcnt vmcnt(27)
	v_lshlrev_b32_e32 v53, 16, v61
	v_lshl_add_u64 v[108:109], s[12:13], 1, v[2:3]
	s_cselect_b32 s12, s9, s11
	s_waitcnt lgkmcnt(1)
	v_fmac_f32_e32 v110, v18, v53
	global_load_ushort v53, v[92:93], off
	global_load_ushort v56, v[94:95], off
	;; [unrolled: 1-line block ×6, first 2 shown]
	s_ashr_i32 s13, s12, 31
	s_add_i32 s9, s0, 0xfffffe00
	s_cmp_lt_i32 s9, s10
	v_lshl_add_u64 v[4:5], s[12:13], 1, v[2:3]
	s_cselect_b32 s12, s9, s11
	s_ashr_i32 s13, s12, 31
	s_add_i32 s9, s0, 0xfffffe40
	s_cmp_lt_i32 s9, s10
	s_waitcnt vmcnt(32)
	v_lshlrev_b32_e32 v18, 16, v62
	v_lshl_add_u64 v[6:7], s[12:13], 1, v[2:3]
	s_cselect_b32 s12, s9, s11
	v_fmac_f32_e32 v110, v19, v18
	s_waitcnt vmcnt(28)
	v_lshlrev_b32_e32 v18, 16, v63
	s_ashr_i32 s13, s12, 31
	s_add_i32 s9, s0, 0xfffffe80
	v_fmac_f32_e32 v110, v20, v18
	v_lshlrev_b32_e32 v18, 16, v66
	s_cmp_lt_i32 s9, s10
	v_fmac_f32_e32 v110, v21, v18
	s_waitcnt vmcnt(27)
	v_lshlrev_b32_e32 v18, 16, v67
	v_lshl_add_u64 v[8:9], s[12:13], 1, v[2:3]
	s_cselect_b32 s12, s9, s11
	s_waitcnt lgkmcnt(0)
	v_fmac_f32_e32 v110, v30, v18
	global_load_ushort v30, v[106:107], off
	s_ashr_i32 s13, s12, 31
	s_add_i32 s9, s0, 0xfffffec0
	s_cmp_lt_i32 s9, s10
	global_load_ushort v61, v[98:99], off
	global_load_ushort v62, v[44:45], off
	;; [unrolled: 1-line block ×3, first 2 shown]
	v_lshl_add_u64 v[12:13], s[12:13], 1, v[2:3]
	s_cselect_b32 s12, s9, s11
	v_lshlrev_b32_e32 v18, 16, v124
	s_ashr_i32 s13, s12, 31
	s_add_i32 s9, s0, 0xffffff00
	v_fmac_f32_e32 v110, v31, v18
	v_lshlrev_b32_e32 v18, 16, v126
	s_cmp_lt_i32 s9, s10
	v_fmac_f32_e32 v110, v32, v18
	global_load_ushort v31, v[4:5], off
	global_load_ushort v32, v[6:7], off
	v_lshl_add_u64 v[10:11], s[12:13], 1, v[2:3]
	s_cselect_b32 s12, s9, s11
	s_ashr_i32 s13, s12, 31
	s_add_i32 s9, s0, 0xffffff40
	s_cmp_lt_i32 s9, s10
	s_waitcnt vmcnt(32)
	v_lshlrev_b32_e32 v4, 16, v50
	v_lshl_add_u64 v[16:17], s[12:13], 1, v[2:3]
	s_cselect_b32 s12, s9, s11
	v_fmac_f32_e32 v110, v33, v4
	ds_read_b128 v[4:7], v125 offset:96
	s_ashr_i32 s13, s12, 31
	s_add_i32 s9, s0, 0xffffff80
	s_cmp_lt_i32 s9, s10
	s_waitcnt vmcnt(31)
	v_lshlrev_b32_e32 v33, 16, v38
	global_load_ushort v38, v[8:9], off
	global_load_ushort v44, v[12:13], off
	v_lshl_add_u64 v[14:15], s[12:13], 1, v[2:3]
	s_cselect_b32 s12, s9, s11
	s_ashr_i32 s13, s12, 31
	s_sub_i32 s9, s0, 64
	s_cmp_lt_i32 s9, s10
	ds_read_b128 v[18:21], v125 offset:112
	s_waitcnt lgkmcnt(1)
	v_fmac_f32_e32 v110, v4, v33
	s_waitcnt vmcnt(32)
	v_lshlrev_b32_e32 v4, 16, v39
	global_load_ushort v33, v[10:11], off
	global_load_ushort v39, v[16:17], off
	v_lshl_add_u64 v[28:29], s[12:13], 1, v[2:3]
	s_cselect_b32 s12, s9, s11
	s_ashr_i32 s13, s12, 31
	s_cmp_lt_i32 s0, s10
	global_load_ushort v16, v[14:15], off
	global_load_ushort v17, v[28:29], off
	v_lshl_add_u64 v[22:23], s[12:13], 1, v[2:3]
	s_cselect_b32 s12, s0, s11
	s_ashr_i32 s13, s12, 31
	v_lshl_add_u64 v[24:25], s[12:13], 1, v[2:3]
	global_load_ushort v14, v[22:23], off
	global_load_ushort v15, v[24:25], off
	v_fmac_f32_e32 v110, v5, v4
	s_waitcnt vmcnt(35)
	v_lshlrev_b32_e32 v4, 16, v34
	v_fmac_f32_e32 v110, v6, v4
	s_waitcnt vmcnt(34)
	v_lshlrev_b32_e32 v4, 16, v40
	v_fmac_f32_e32 v110, v7, v4
	s_waitcnt vmcnt(33)
	v_lshlrev_b32_e32 v4, 16, v35
	s_waitcnt lgkmcnt(0)
	v_fmac_f32_e32 v110, v18, v4
	v_lshlrev_b32_e32 v4, 16, v26
	v_fmac_f32_e32 v110, v19, v4
	s_waitcnt vmcnt(32)
	v_lshlrev_b32_e32 v4, 16, v27
	v_fmac_f32_e32 v110, v20, v4
	ds_read_b128 v[4:7], v125 offset:128
	s_waitcnt vmcnt(31)
	v_lshlrev_b32_e32 v8, 16, v36
	v_fmac_f32_e32 v110, v21, v8
	ds_read_b128 v[8:11], v125 offset:144
	s_waitcnt vmcnt(30)
	v_lshlrev_b32_e32 v12, 16, v37
	s_waitcnt lgkmcnt(1)
	v_fmac_f32_e32 v110, v4, v12
	s_waitcnt vmcnt(27)
	v_lshlrev_b32_e32 v4, 16, v41
	v_fmac_f32_e32 v110, v5, v4
	s_waitcnt vmcnt(26)
	v_lshlrev_b32_e32 v4, 16, v42
	;; [unrolled: 3-line block ×3, first 2 shown]
	v_fmac_f32_e32 v110, v7, v4
	v_lshlrev_b32_e32 v4, 16, v46
	s_waitcnt lgkmcnt(0)
	v_fmac_f32_e32 v110, v8, v4
	s_waitcnt vmcnt(24)
	v_lshlrev_b32_e32 v4, 16, v47
	v_fmac_f32_e32 v110, v9, v4
	v_lshlrev_b32_e32 v4, 16, v48
	v_fmac_f32_e32 v110, v10, v4
	ds_read_b128 v[4:7], v125 offset:160
	s_waitcnt vmcnt(23)
	v_lshlrev_b32_e32 v8, 16, v49
	v_fmac_f32_e32 v110, v11, v8
	ds_read_b128 v[8:11], v125 offset:176
	v_lshlrev_b32_e32 v12, 16, v51
	s_waitcnt lgkmcnt(1)
	v_fmac_f32_e32 v110, v4, v12
	s_waitcnt vmcnt(22)
	v_lshlrev_b32_e32 v4, 16, v52
	v_fmac_f32_e32 v110, v5, v4
	s_waitcnt vmcnt(21)
	v_lshlrev_b32_e32 v4, 16, v54
	;; [unrolled: 3-line block ×4, first 2 shown]
	s_waitcnt lgkmcnt(0)
	v_fmac_f32_e32 v110, v8, v4
	s_waitcnt vmcnt(18)
	v_lshlrev_b32_e32 v4, 16, v56
	v_fmac_f32_e32 v110, v9, v4
	s_waitcnt vmcnt(17)
	v_lshlrev_b32_e32 v4, 16, v57
	v_fmac_f32_e32 v110, v10, v4
	ds_read_b128 v[4:7], v125 offset:192
	s_waitcnt vmcnt(16)
	v_lshlrev_b32_e32 v8, 16, v58
	v_fmac_f32_e32 v110, v11, v8
	ds_read_b128 v[8:11], v125 offset:208
	s_waitcnt vmcnt(15)
	v_lshlrev_b32_e32 v12, 16, v59
	s_waitcnt lgkmcnt(1)
	v_fmac_f32_e32 v110, v4, v12
	s_waitcnt vmcnt(14)
	v_lshlrev_b32_e32 v4, 16, v60
	v_fmac_f32_e32 v110, v5, v4
	s_waitcnt vmcnt(13)
	v_lshlrev_b32_e32 v4, 16, v30
	;; [unrolled: 3-line block ×4, first 2 shown]
	v_lshlrev_b32_e32 v4, 16, v62
	s_waitcnt lgkmcnt(0)
	v_pk_mul_f32 v[4:5], v[8:9], v[4:5]
	s_waitcnt vmcnt(6)
	v_lshlrev_b32_e32 v13, 16, v44
	v_add_f32_e32 v4, v110, v4
	v_add_f32_e32 v6, v4, v5
	v_lshlrev_b32_e32 v5, 16, v32
	v_lshlrev_b32_e32 v4, 16, v31
	v_pk_mul_f32 v[8:9], v[10:11], v[4:5]
	v_lshlrev_b32_e32 v12, 16, v38
	v_add_f32_e32 v8, v6, v8
	ds_read_b128 v[4:7], v125 offset:224
	v_add_f32_e32 v18, v8, v9
	ds_read_b128 v[8:11], v125 offset:240
	s_waitcnt lgkmcnt(1)
	v_pk_mul_f32 v[4:5], v[4:5], v[12:13]
	s_nop 0
	v_add_f32_e32 v4, v18, v4
	v_add_f32_e32 v12, v4, v5
	s_waitcnt vmcnt(4)
	v_lshlrev_b32_e32 v5, 16, v39
	v_lshlrev_b32_e32 v4, 16, v33
	v_pk_mul_f32 v[4:5], v[6:7], v[4:5]
	s_nop 0
	v_add_f32_e32 v4, v12, v4
	v_add_f32_e32 v6, v4, v5
	s_waitcnt vmcnt(2)
	v_lshlrev_b32_e32 v5, 16, v17
	v_lshlrev_b32_e32 v4, 16, v16
	s_waitcnt lgkmcnt(0)
	v_pk_mul_f32 v[4:5], v[8:9], v[4:5]
	s_nop 0
	v_add_f32_e32 v4, v6, v4
	v_add_f32_e32 v6, v4, v5
	s_waitcnt vmcnt(0)
	v_lshlrev_b32_e32 v5, 16, v15
	v_lshlrev_b32_e32 v4, 16, v14
	v_pk_mul_f32 v[4:5], v[10:11], v[4:5]
	s_nop 0
	v_add_f32_e32 v4, v6, v4
	v_add_f32_e32 v110, v4, v5
	s_branch .LBB404_16
.LBB404_19:
	v_mov_b32_e32 v2, 0
	ds_read_b32 v2, v2 offset:1280
	s_cmp_lg_u64 s[6:7], 0
	s_cbranch_scc0 .LBB404_24
; %bb.20:
	s_load_dword s6, s[6:7], 0x0
	s_waitcnt lgkmcnt(0)
	v_div_scale_f32 v3, s[0:1], s6, s6, 1.0
	v_rcp_f32_e32 v4, v3
	v_div_scale_f32 v5, vcc, 1.0, s6, 1.0
	v_fma_f32 v6, -v3, v4, 1.0
	v_fmac_f32_e32 v4, v6, v4
	v_mul_f32_e32 v6, v5, v4
	v_fma_f32 v7, -v3, v6, v5
	v_fmac_f32_e32 v6, v7, v4
	v_fma_f32 v3, -v3, v6, v5
	v_div_fmas_f32 v3, v3, v4, v6
	v_div_fixup_f32 v3, v3, s6, 1.0
	s_andn2_b64 vcc, exec, s[26:27]
	s_cbranch_vccnz .LBB404_22
.LBB404_21:
	s_add_u32 s0, s24, s28
	s_addc_u32 s1, s25, s29
	s_load_dword s14, s[0:1], 0x0
	s_mov_b32 s15, 0
.LBB404_22:
	s_waitcnt lgkmcnt(0)
	v_add_f32_e32 v2, 0x358637bd, v2
	v_div_scale_f32 v4, s[0:1], v2, v2, 1.0
	v_rcp_f32_e32 v5, v4
	v_div_scale_f32 v6, vcc, 1.0, v2, 1.0
	s_mul_i32 s0, s3, s15
	v_fma_f32 v7, -v4, v5, 1.0
	v_fmac_f32_e32 v5, v7, v5
	v_mul_f32_e32 v7, v6, v5
	v_fma_f32 v8, -v4, v7, v6
	v_fmac_f32_e32 v7, v8, v5
	v_fma_f32 v4, -v4, v7, v6
	s_mul_hi_u32 s1, s3, s14
	v_div_fmas_f32 v4, v4, v5, v7
	s_add_i32 s1, s1, s0
	s_mul_i32 s0, s3, s14
	v_div_fixup_f32 v2, v4, v2, 1.0
	s_lshl_b64 s[0:1], s[0:1], 6
	v_mul_f32_e32 v2, v110, v2
	s_add_u32 s4, s4, s0
	s_mov_b32 s3, 0
	v_mul_f32_e32 v2, v2, v3
	s_addc_u32 s5, s5, s1
	s_lshl_b64 s[0:1], s[2:3], 6
	s_mov_b32 s2, 0x7f800000
	s_mov_b32 s3, 0x43700000
	v_mov_b32_e32 v3, 0xc3700000
	v_med3_f32 v3, v2, s3, v3
	v_cmp_nlg_f32_e64 vcc, |v2|, s2
	s_add_u32 s0, s4, s0
	s_addc_u32 s1, s5, s1
	v_cndmask_b32_e32 v2, v3, v2, vcc
	v_mov_b32_e32 v3, 0
	v_cvt_pk_fp8_f32 v3, v2, v2
	v_lshl_add_u64 v[0:1], s[0:1], 0, v[0:1]
	global_store_byte v[0:1], v3, off
	s_endpgm
.LBB404_23:
	s_mov_b64 s[6:7], 0
	s_branch .LBB404_2
.LBB404_24:
	v_mov_b32_e32 v3, 1.0
	s_andn2_b64 vcc, exec, s[26:27]
	s_cbranch_vccz .LBB404_21
	s_branch .LBB404_22
	.section	.rodata,"a",@progbits
	.p2align	6, 0x0
	.amdhsa_kernel _Z35paged_attention_ll4mi_reduce_kernelI14__hip_bfloat16hLi64ELi64ELi256ELi5EEvPT0_PKfS4_PKT_PKiS9_iS4_
		.amdhsa_group_segment_fixed_size 1284
		.amdhsa_private_segment_fixed_size 0
		.amdhsa_kernarg_size 320
		.amdhsa_user_sgpr_count 2
		.amdhsa_user_sgpr_dispatch_ptr 0
		.amdhsa_user_sgpr_queue_ptr 0
		.amdhsa_user_sgpr_kernarg_segment_ptr 1
		.amdhsa_user_sgpr_dispatch_id 0
		.amdhsa_user_sgpr_kernarg_preload_length 0
		.amdhsa_user_sgpr_kernarg_preload_offset 0
		.amdhsa_user_sgpr_private_segment_size 0
		.amdhsa_uses_dynamic_stack 0
		.amdhsa_enable_private_segment 0
		.amdhsa_system_sgpr_workgroup_id_x 1
		.amdhsa_system_sgpr_workgroup_id_y 1
		.amdhsa_system_sgpr_workgroup_id_z 0
		.amdhsa_system_sgpr_workgroup_info 0
		.amdhsa_system_vgpr_workitem_id 0
		.amdhsa_next_free_vgpr 127
		.amdhsa_next_free_sgpr 40
		.amdhsa_accum_offset 128
		.amdhsa_reserve_vcc 1
		.amdhsa_float_round_mode_32 0
		.amdhsa_float_round_mode_16_64 0
		.amdhsa_float_denorm_mode_32 3
		.amdhsa_float_denorm_mode_16_64 3
		.amdhsa_dx10_clamp 1
		.amdhsa_ieee_mode 1
		.amdhsa_fp16_overflow 0
		.amdhsa_tg_split 0
		.amdhsa_exception_fp_ieee_invalid_op 0
		.amdhsa_exception_fp_denorm_src 0
		.amdhsa_exception_fp_ieee_div_zero 0
		.amdhsa_exception_fp_ieee_overflow 0
		.amdhsa_exception_fp_ieee_underflow 0
		.amdhsa_exception_fp_ieee_inexact 0
		.amdhsa_exception_int_div_zero 0
	.end_amdhsa_kernel
	.section	.text._Z35paged_attention_ll4mi_reduce_kernelI14__hip_bfloat16hLi64ELi64ELi256ELi5EEvPT0_PKfS4_PKT_PKiS9_iS4_,"axG",@progbits,_Z35paged_attention_ll4mi_reduce_kernelI14__hip_bfloat16hLi64ELi64ELi256ELi5EEvPT0_PKfS4_PKT_PKiS9_iS4_,comdat
.Lfunc_end404:
	.size	_Z35paged_attention_ll4mi_reduce_kernelI14__hip_bfloat16hLi64ELi64ELi256ELi5EEvPT0_PKfS4_PKT_PKiS9_iS4_, .Lfunc_end404-_Z35paged_attention_ll4mi_reduce_kernelI14__hip_bfloat16hLi64ELi64ELi256ELi5EEvPT0_PKfS4_PKT_PKiS9_iS4_
                                        ; -- End function
	.section	.AMDGPU.csdata,"",@progbits
; Kernel info:
; codeLenInByte = 8808
; NumSgprs: 46
; NumVgprs: 127
; NumAgprs: 0
; TotalNumVgprs: 127
; ScratchSize: 0
; MemoryBound: 0
; FloatMode: 240
; IeeeMode: 1
; LDSByteSize: 1284 bytes/workgroup (compile time only)
; SGPRBlocks: 5
; VGPRBlocks: 15
; NumSGPRsForWavesPerEU: 46
; NumVGPRsForWavesPerEU: 127
; AccumOffset: 128
; Occupancy: 4
; WaveLimiterHint : 1
; COMPUTE_PGM_RSRC2:SCRATCH_EN: 0
; COMPUTE_PGM_RSRC2:USER_SGPR: 2
; COMPUTE_PGM_RSRC2:TRAP_HANDLER: 0
; COMPUTE_PGM_RSRC2:TGID_X_EN: 1
; COMPUTE_PGM_RSRC2:TGID_Y_EN: 1
; COMPUTE_PGM_RSRC2:TGID_Z_EN: 0
; COMPUTE_PGM_RSRC2:TIDIG_COMP_CNT: 0
; COMPUTE_PGM_RSRC3_GFX90A:ACCUM_OFFSET: 31
; COMPUTE_PGM_RSRC3_GFX90A:TG_SPLIT: 0
	.section	.text._Z35paged_attention_ll4mi_reduce_kernelI14__hip_bfloat16hLi64ELi64ELi256ELi6EEvPT0_PKfS4_PKT_PKiS9_iS4_,"axG",@progbits,_Z35paged_attention_ll4mi_reduce_kernelI14__hip_bfloat16hLi64ELi64ELi256ELi6EEvPT0_PKfS4_PKT_PKiS9_iS4_,comdat
	.protected	_Z35paged_attention_ll4mi_reduce_kernelI14__hip_bfloat16hLi64ELi64ELi256ELi6EEvPT0_PKfS4_PKT_PKiS9_iS4_ ; -- Begin function _Z35paged_attention_ll4mi_reduce_kernelI14__hip_bfloat16hLi64ELi64ELi256ELi6EEvPT0_PKfS4_PKT_PKiS9_iS4_
	.globl	_Z35paged_attention_ll4mi_reduce_kernelI14__hip_bfloat16hLi64ELi64ELi256ELi6EEvPT0_PKfS4_PKT_PKiS9_iS4_
	.p2align	8
	.type	_Z35paged_attention_ll4mi_reduce_kernelI14__hip_bfloat16hLi64ELi64ELi256ELi6EEvPT0_PKfS4_PKT_PKiS9_iS4_,@function
_Z35paged_attention_ll4mi_reduce_kernelI14__hip_bfloat16hLi64ELi64ELi256ELi6EEvPT0_PKfS4_PKT_PKiS9_iS4_: ; @_Z35paged_attention_ll4mi_reduce_kernelI14__hip_bfloat16hLi64ELi64ELi256ELi6EEvPT0_PKfS4_PKT_PKiS9_iS4_
; %bb.0:
	s_load_dwordx2 s[26:27], s[0:1], 0x28
	s_mov_b32 s24, s3
	s_mov_b64 s[4:5], 0
	s_waitcnt lgkmcnt(0)
	s_cmp_lg_u64 s[26:27], 0
	s_cselect_b64 s[28:29], -1, 0
	s_and_b64 vcc, exec, s[28:29]
	s_cbranch_vccz .LBB405_23
; %bb.1:
	s_add_i32 s6, s24, 1
	s_mov_b32 s7, 0
	s_lshl_b64 s[8:9], s[6:7], 2
	s_add_u32 s8, s26, s8
	s_mov_b32 s25, s7
	s_addc_u32 s9, s27, s9
	s_lshl_b64 s[6:7], s[24:25], 2
	s_add_u32 s6, s26, s6
	s_addc_u32 s7, s27, s7
	s_load_dword s3, s[8:9], 0x0
	s_load_dword s10, s[6:7], 0x0
	s_waitcnt lgkmcnt(0)
	s_sub_i32 s3, s3, s10
	s_cmp_eq_u32 s3, 1
	s_cselect_b64 s[6:7], -1, 0
	s_andn2_b64 vcc, exec, s[4:5]
	s_cbranch_vccnz .LBB405_3
.LBB405_2:
	s_mov_b32 s25, 0
	s_mov_b64 s[6:7], -1
.LBB405_3:
	s_andn2_b64 vcc, exec, s[6:7]
	s_cbranch_vccz .LBB405_5
; %bb.4:
	s_endpgm
.LBB405_5:
	s_load_dwordx4 s[16:19], s[0:1], 0x18
	s_load_dword s8, s[0:1], 0x30
	s_lshl_b64 s[30:31], s[24:25], 2
	v_cmp_lt_u32_e32 vcc, 63, v0
	s_waitcnt lgkmcnt(0)
	s_add_u32 s4, s18, s30
	s_addc_u32 s5, s19, s31
	s_load_dword s38, s[4:5], 0x0
	s_load_dword s3, s[0:1], 0x40
	s_mul_i32 s18, s2, s8
	s_mul_i32 s6, s24, s8
	s_waitcnt lgkmcnt(0)
	s_add_i32 s7, s38, 0xff
	s_ashr_i32 s4, s7, 31
	s_lshr_b32 s4, s4, 24
	s_add_i32 s7, s7, s4
	s_and_saveexec_b64 s[4:5], vcc
	s_xor_b64 s[4:5], exec, s[4:5]
	s_or_saveexec_b64 s[34:35], s[4:5]
	s_ashr_i32 s33, s7, 8
	v_mov_b32_e32 v1, s18
	s_mul_i32 s36, s6, s3
	s_xor_b64 exec, exec, s[34:35]
	s_cbranch_execz .LBB405_9
; %bb.6:
	s_add_i32 s4, s33, -1
	v_or_b32_e32 v3, 64, v0
	v_mov_b32_e32 v1, s4
	v_cmp_gt_u32_e64 s[10:11], s33, v3
	s_load_dwordx4 s[20:23], s[0:1], 0x8
	s_mov_b32 s37, 0
	v_cndmask_b32_e64 v4, v1, v3, s[10:11]
	v_or_b32_e32 v3, 0x80, v0
	v_cmp_gt_u32_e64 s[8:9], s33, v3
	s_lshl_b64 s[14:15], s[36:37], 2
	s_mov_b32 s19, s37
	v_cndmask_b32_e64 v6, v1, v3, s[8:9]
	v_or_b32_e32 v3, 0xc0, v0
	v_cmp_gt_u32_e64 s[6:7], s33, v3
	v_cmp_gt_u32_e64 s[12:13], s33, v0
	s_waitcnt lgkmcnt(0)
	s_add_u32 s37, s22, s14
	v_cndmask_b32_e64 v8, v1, v3, s[6:7]
	v_or_b32_e32 v3, 0x100, v0
	v_cmp_gt_u32_e64 s[4:5], s33, v3
	v_cndmask_b32_e64 v2, v1, v0, s[12:13]
	s_addc_u32 s39, s23, s15
	v_cndmask_b32_e64 v10, v1, v3, s[4:5]
	v_or_b32_e32 v3, 0x140, v0
	v_cmp_gt_u32_e32 vcc, s33, v3
	s_lshl_b64 s[22:23], s[18:19], 2
	s_add_u32 s40, s37, s22
	v_cndmask_b32_e32 v12, v1, v3, vcc
	v_ashrrev_i32_e32 v3, 31, v2
	s_addc_u32 s41, s39, s23
	v_lshlrev_b64 v[2:3], 2, v[2:3]
	v_ashrrev_i32_e32 v5, 31, v4
	v_ashrrev_i32_e32 v7, 31, v6
	;; [unrolled: 1-line block ×5, first 2 shown]
	v_lshl_add_u64 v[14:15], s[40:41], 0, v[2:3]
	v_lshlrev_b64 v[4:5], 2, v[4:5]
	v_lshlrev_b64 v[6:7], 2, v[6:7]
	;; [unrolled: 1-line block ×5, first 2 shown]
	v_lshl_add_u64 v[16:17], s[40:41], 0, v[4:5]
	v_lshl_add_u64 v[18:19], s[40:41], 0, v[6:7]
	;; [unrolled: 1-line block ×5, first 2 shown]
	global_load_dword v1, v[14:15], off
	global_load_dword v26, v[16:17], off
	;; [unrolled: 1-line block ×6, first 2 shown]
	v_mbcnt_lo_u32_b32 v14, -1, 0
	s_add_u32 s14, s20, s14
	v_mbcnt_hi_u32_b32 v14, -1, v14
	s_addc_u32 s15, s21, s15
	v_and_b32_e32 v15, 64, v14
	s_add_u32 s20, s14, s22
	v_xor_b32_e32 v16, 32, v14
	v_add_u32_e32 v15, 64, v15
	s_addc_u32 s21, s15, s23
	v_lshl_add_u64 v[2:3], s[20:21], 0, v[2:3]
	v_cmp_lt_i32_e64 s[14:15], v16, v15
	global_load_dword v20, v[2:3], off
	v_xor_b32_e32 v17, 16, v14
	v_cndmask_b32_e64 v2, v14, v16, s[14:15]
	v_lshlrev_b32_e32 v16, 2, v2
	v_cmp_lt_i32_e64 s[14:15], v17, v15
	v_xor_b32_e32 v18, 8, v14
	v_xor_b32_e32 v19, 4, v14
	s_mov_b32 s19, 0x3fb8aa3b
	s_mov_b32 s37, 0xc2ce8ed0
	s_waitcnt vmcnt(6)
	v_max_f32_e32 v3, v1, v1
	s_waitcnt vmcnt(5)
	v_max_f32_e32 v2, v26, v26
	v_max_f32_e32 v2, v3, v2
	s_waitcnt vmcnt(3)
	v_max3_f32 v2, v2, v27, v28
	s_waitcnt vmcnt(1)
	v_max3_f32 v21, v2, v29, v30
	ds_bpermute_b32 v22, v16, v21
	v_cndmask_b32_e64 v2, v14, v17, s[14:15]
	v_lshlrev_b32_e32 v17, 2, v2
	v_lshl_add_u64 v[2:3], s[20:21], 0, v[4:5]
	global_load_dword v23, v[2:3], off
	s_waitcnt lgkmcnt(0)
	v_max_f32_e32 v2, v22, v22
	v_max_f32_e32 v2, v21, v2
	ds_bpermute_b32 v3, v17, v2
	v_cmp_lt_i32_e64 s[14:15], v18, v15
	v_xor_b32_e32 v4, 2, v14
	s_waitcnt lgkmcnt(0)
	v_max_f32_e32 v3, v3, v3
	v_cndmask_b32_e64 v5, v14, v18, s[14:15]
	v_lshlrev_b32_e32 v18, 2, v5
	v_max_f32_e32 v5, v2, v3
	ds_bpermute_b32 v21, v18, v5
	v_cmp_lt_i32_e64 s[14:15], v19, v15
	s_nop 1
	v_cndmask_b32_e64 v2, v14, v19, s[14:15]
	v_lshlrev_b32_e32 v19, 2, v2
	v_lshl_add_u64 v[2:3], s[20:21], 0, v[6:7]
	global_load_dword v6, v[2:3], off
	s_waitcnt lgkmcnt(0)
	v_max_f32_e32 v2, v21, v21
	v_max_f32_e32 v2, v5, v2
	ds_bpermute_b32 v3, v19, v2
	v_xor_b32_e32 v5, 1, v14
	v_cmp_lt_i32_e64 s[14:15], v4, v15
	s_waitcnt lgkmcnt(0)
	v_max_f32_e32 v3, v3, v3
	v_cndmask_b32_e64 v4, v14, v4, s[14:15]
	v_cmp_lt_i32_e64 s[14:15], v5, v15
	v_max_f32_e32 v21, v2, v3
	v_lshlrev_b32_e32 v7, 2, v4
	v_cndmask_b32_e64 v2, v14, v5, s[14:15]
	v_lshlrev_b32_e32 v14, 2, v2
	v_lshl_add_u64 v[2:3], s[20:21], 0, v[8:9]
	v_lshl_add_u64 v[4:5], s[20:21], 0, v[10:11]
	global_load_dword v10, v[2:3], off
	v_lshl_add_u64 v[2:3], s[20:21], 0, v[12:13]
	global_load_dword v11, v[4:5], off
	global_load_dword v12, v[2:3], off
	ds_bpermute_b32 v22, v7, v21
	s_mov_b32 s20, 0x42b17218
	s_waitcnt lgkmcnt(0)
	v_max_f32_e32 v8, v22, v22
	v_max_f32_e32 v8, v21, v8
	ds_bpermute_b32 v9, v14, v8
	s_waitcnt lgkmcnt(0)
	v_max_f32_e32 v2, v9, v9
	v_max_f32_e32 v2, v8, v2
	v_sub_f32_e32 v1, v1, v2
	v_mul_f32_e32 v4, 0x3fb8aa3b, v1
	v_fma_f32 v8, v1, s19, -v4
	v_rndne_f32_e32 v9, v4
	v_sub_f32_e32 v3, v26, v2
	v_fmac_f32_e32 v8, 0x32a5705f, v1
	v_sub_f32_e32 v4, v4, v9
	v_mul_f32_e32 v5, 0x3fb8aa3b, v3
	v_add_f32_e32 v4, v4, v8
	v_fma_f32 v13, v3, s19, -v5
	v_rndne_f32_e32 v15, v5
	v_cvt_i32_f32_e32 v9, v9
	v_exp_f32_e32 v4, v4
	v_fmac_f32_e32 v13, 0x32a5705f, v3
	v_sub_f32_e32 v5, v5, v15
	v_add_f32_e32 v5, v5, v13
	v_cvt_i32_f32_e32 v15, v15
	v_exp_f32_e32 v5, v5
	v_ldexp_f32 v4, v4, v9
	v_cmp_ngt_f32_e64 s[14:15], s37, v1
	v_mov_b32_e32 v8, 0x7f800000
	v_ldexp_f32 v5, v5, v15
	v_cndmask_b32_e64 v4, 0, v4, s[14:15]
	v_cmp_nlt_f32_e64 s[14:15], s20, v1
	s_nop 1
	v_cndmask_b32_e64 v1, v8, v4, s[14:15]
	v_cndmask_b32_e64 v1, 0, v1, s[12:13]
	v_cmp_ngt_f32_e64 s[12:13], s37, v3
	s_waitcnt vmcnt(5)
	v_mul_f32_e32 v4, v20, v1
	v_cndmask_b32_e64 v1, 0, v5, s[12:13]
	v_sub_f32_e32 v5, v27, v2
	v_mul_f32_e32 v9, 0x3fb8aa3b, v5
	v_fma_f32 v13, v5, s19, -v9
	v_rndne_f32_e32 v15, v9
	v_fmac_f32_e32 v13, 0x32a5705f, v5
	v_sub_f32_e32 v9, v9, v15
	v_add_f32_e32 v9, v9, v13
	v_exp_f32_e32 v9, v9
	v_cvt_i32_f32_e32 v13, v15
	v_cmp_nlt_f32_e64 s[12:13], s20, v3
	s_nop 1
	v_cndmask_b32_e64 v1, v8, v1, s[12:13]
	v_cndmask_b32_e64 v1, 0, v1, s[10:11]
	s_waitcnt vmcnt(4)
	v_mul_f32_e32 v3, v23, v1
	v_ldexp_f32 v1, v9, v13
	v_sub_f32_e32 v9, v28, v2
	v_mul_f32_e32 v13, 0x3fb8aa3b, v9
	v_fma_f32 v15, v9, s19, -v13
	v_rndne_f32_e32 v20, v13
	v_fmac_f32_e32 v15, 0x32a5705f, v9
	v_sub_f32_e32 v13, v13, v20
	v_cmp_ngt_f32_e64 s[10:11], s37, v5
	v_add_f32_e32 v13, v13, v15
	v_exp_f32_e32 v13, v13
	v_cndmask_b32_e64 v1, 0, v1, s[10:11]
	v_cvt_i32_f32_e32 v15, v20
	v_cmp_nlt_f32_e64 s[10:11], s20, v5
	s_nop 1
	v_cndmask_b32_e64 v1, v8, v1, s[10:11]
	v_cndmask_b32_e64 v1, 0, v1, s[8:9]
	s_waitcnt vmcnt(3)
	v_mul_f32_e32 v5, v6, v1
	v_sub_f32_e32 v6, v29, v2
	v_ldexp_f32 v1, v13, v15
	v_mul_f32_e32 v13, 0x3fb8aa3b, v6
	v_fma_f32 v15, v6, s19, -v13
	v_rndne_f32_e32 v20, v13
	v_fmac_f32_e32 v15, 0x32a5705f, v6
	v_sub_f32_e32 v13, v13, v20
	v_cmp_ngt_f32_e64 s[8:9], s37, v9
	v_add_f32_e32 v13, v13, v15
	v_exp_f32_e32 v13, v13
	v_cndmask_b32_e64 v1, 0, v1, s[8:9]
	v_cvt_i32_f32_e32 v15, v20
	v_cmp_nlt_f32_e64 s[8:9], s20, v9
	v_sub_f32_e32 v2, v30, v2
	s_nop 0
	v_cndmask_b32_e64 v1, v8, v1, s[8:9]
	v_cndmask_b32_e64 v1, 0, v1, s[6:7]
	s_waitcnt vmcnt(2)
	v_mul_f32_e32 v9, v10, v1
	v_mul_f32_e32 v10, 0x3fb8aa3b, v2
	v_ldexp_f32 v1, v13, v15
	v_fma_f32 v13, v2, s19, -v10
	v_rndne_f32_e32 v15, v10
	v_fmac_f32_e32 v13, 0x32a5705f, v2
	v_sub_f32_e32 v10, v10, v15
	v_add_f32_e32 v10, v10, v13
	v_cmp_ngt_f32_e64 s[6:7], s37, v6
	v_exp_f32_e32 v10, v10
	v_cvt_i32_f32_e32 v13, v15
	v_cndmask_b32_e64 v1, 0, v1, s[6:7]
	v_cmp_nlt_f32_e64 s[6:7], s20, v6
	s_nop 1
	v_cndmask_b32_e64 v1, v8, v1, s[6:7]
	v_cndmask_b32_e64 v1, 0, v1, s[4:5]
	s_waitcnt vmcnt(1)
	v_mul_f32_e32 v6, v11, v1
	v_ldexp_f32 v1, v10, v13
	v_cmp_ngt_f32_e64 s[4:5], s37, v2
	s_nop 1
	v_cndmask_b32_e64 v1, 0, v1, s[4:5]
	v_cmp_nlt_f32_e64 s[4:5], s20, v2
	s_nop 1
	v_cndmask_b32_e64 v1, v8, v1, s[4:5]
	v_cndmask_b32_e32 v1, 0, v1, vcc
	s_waitcnt vmcnt(0)
	v_mul_f32_e32 v8, v12, v1
	v_add_f32_e32 v1, v4, v3
	v_add_f32_e32 v1, v1, v5
	;; [unrolled: 1-line block ×5, first 2 shown]
	ds_bpermute_b32 v2, v16, v1
	v_cmp_eq_u32_e32 vcc, 0, v0
	s_waitcnt lgkmcnt(0)
	v_add_f32_e32 v1, v1, v2
	ds_bpermute_b32 v2, v17, v1
	s_waitcnt lgkmcnt(0)
	v_add_f32_e32 v1, v1, v2
	ds_bpermute_b32 v2, v18, v1
	;; [unrolled: 3-line block ×4, first 2 shown]
	v_lshlrev_b32_e32 v7, 2, v0
	ds_write2st64_b32 v7, v4, v3 offset1:1
	ds_write2st64_b32 v7, v5, v9 offset0:2 offset1:3
	ds_write2st64_b32 v7, v6, v8 offset0:4 offset1:5
	s_waitcnt lgkmcnt(3)
	v_add_f32_e32 v1, v1, v2
	ds_bpermute_b32 v2, v14, v1
	s_and_saveexec_b64 s[4:5], vcc
	s_cbranch_execz .LBB405_8
; %bb.7:
	s_waitcnt lgkmcnt(0)
	v_add_f32_e32 v1, v1, v2
	v_mov_b32_e32 v2, 0
	ds_write_b32 v2, v1 offset:1536
.LBB405_8:
	s_or_b64 exec, exec, s[4:5]
	v_mov_b32_e32 v1, s18
.LBB405_9:
	s_or_b64 exec, exec, s[34:35]
	s_lshl_b32 s4, s36, 6
	s_mov_b32 s5, 0
	s_lshl_b64 s[4:5], s[4:5], 1
	s_add_u32 s4, s16, s4
	s_addc_u32 s5, s17, s5
	s_lshl_b32 s10, s33, 6
	s_waitcnt lgkmcnt(0)
	v_lshlrev_b32_e32 v2, 6, v1
	v_mov_b32_e32 v1, 0
	s_sub_i32 s11, s10, 64
	v_mov_b32_e32 v3, v1
	s_cmp_lt_i32 s38, 1
	v_lshl_add_u64 v[2:3], v[2:3], 1, s[4:5]
	s_cselect_b32 s4, s11, 0
	v_lshlrev_b32_e32 v4, 1, v0
	v_mov_b32_e32 v5, v1
	s_ashr_i32 s5, s4, 31
	v_lshl_add_u64 v[2:3], v[2:3], 0, v[4:5]
	s_cmpk_lt_i32 s38, 0x101
	v_lshl_add_u64 v[4:5], s[4:5], 1, v[2:3]
	s_cselect_b32 s4, s11, 64
	s_ashr_i32 s5, s4, 31
	s_cmpk_lt_i32 s38, 0x201
	v_lshl_add_u64 v[6:7], s[4:5], 1, v[2:3]
	s_cselect_b32 s4, s11, 0x80
	s_ashr_i32 s5, s4, 31
	;; [unrolled: 4-line block ×8, first 2 shown]
	s_cmpk_lt_i32 s38, 0x901
	global_load_ushort v23, v[4:5], off
	global_load_ushort v22, v[6:7], off
	global_load_ushort v21, v[8:9], off
	global_load_ushort v20, v[10:11], off
	global_load_ushort v18, v[12:13], off
	global_load_ushort v19, v[14:15], off
	global_load_ushort v16, v[24:25], off
	global_load_ushort v17, v[26:27], off
	v_lshl_add_u64 v[4:5], s[4:5], 1, v[2:3]
	s_cselect_b32 s4, s11, 0x240
	s_ashr_i32 s5, s4, 31
	s_cmpk_lt_i32 s38, 0xa01
	v_lshl_add_u64 v[6:7], s[4:5], 1, v[2:3]
	s_cselect_b32 s4, s11, 0x280
	s_ashr_i32 s5, s4, 31
	s_cmpk_lt_i32 s38, 0xb01
	;; [unrolled: 4-line block ×6, first 2 shown]
	v_lshl_add_u64 v[32:33], s[4:5], 1, v[2:3]
	s_cselect_b32 s4, s11, 0x3c0
	s_ashr_i32 s5, s4, 31
	v_lshl_add_u64 v[34:35], s[4:5], 1, v[2:3]
	global_load_ushort v30, v[4:5], off
	global_load_ushort v31, v[6:7], off
	;; [unrolled: 1-line block ×8, first 2 shown]
	s_cmpk_gt_i32 s38, 0x1000
	s_cselect_b64 s[8:9], -1, 0
	s_cmpk_lt_i32 s38, 0x1001
	v_mov_b32_e32 v40, 0
	v_mov_b32_e32 v41, 0
	;; [unrolled: 1-line block ×48, first 2 shown]
	s_waitcnt lgkmcnt(0)
	; wave barrier
	s_cbranch_scc1 .LBB405_12
; %bb.10:
	s_cmpk_lt_u32 s38, 0x1101
	s_cselect_b32 s4, s11, 0x440
	s_ashr_i32 s5, s4, 31
	s_cmpk_lt_u32 s38, 0x1201
	v_lshl_add_u64 v[4:5], s[4:5], 1, v[2:3]
	s_cselect_b32 s4, s11, 0x480
	s_ashr_i32 s5, s4, 31
	s_cmpk_lt_u32 s38, 0x1301
	v_lshl_add_u64 v[6:7], s[4:5], 1, v[2:3]
	;; [unrolled: 4-line block ×7, first 2 shown]
	s_cselect_b32 s4, s11, 0x600
	s_ashr_i32 s5, s4, 31
	s_cmpk_lt_u32 s38, 0x1901
	global_load_ushort v39, v[2:3], off offset:2048
	global_load_ushort v38, v[4:5], off
	global_load_ushort v37, v[6:7], off
	;; [unrolled: 1-line block ×7, first 2 shown]
	v_lshl_add_u64 v[4:5], s[4:5], 1, v[2:3]
	s_cselect_b32 s4, s11, 0x640
	s_ashr_i32 s5, s4, 31
	s_cmpk_lt_u32 s38, 0x1a01
	v_lshl_add_u64 v[6:7], s[4:5], 1, v[2:3]
	s_cselect_b32 s4, s11, 0x680
	s_ashr_i32 s5, s4, 31
	s_cmpk_lt_u32 s38, 0x1b01
	;; [unrolled: 4-line block ×6, first 2 shown]
	v_lshl_add_u64 v[48:49], s[4:5], 1, v[2:3]
	s_cselect_b32 s4, s11, 0x7c0
	s_ashr_i32 s5, s4, 31
	v_lshl_add_u64 v[50:51], s[4:5], 1, v[2:3]
	global_load_ushort v47, v[4:5], off
	global_load_ushort v46, v[6:7], off
	;; [unrolled: 1-line block ×8, first 2 shown]
	s_cmpk_lt_u32 s38, 0x2001
	v_mov_b32_e32 v67, 0
	v_mov_b32_e32 v65, 0
	;; [unrolled: 1-line block ×32, first 2 shown]
	s_cbranch_scc1 .LBB405_12
; %bb.11:
	s_cmpk_lt_u32 s38, 0x2101
	s_cselect_b32 s4, s11, 0x840
	s_ashr_i32 s5, s4, 31
	s_cmpk_lt_u32 s38, 0x2201
	v_lshl_add_u64 v[4:5], s[4:5], 1, v[2:3]
	s_cselect_b32 s4, s11, 0x880
	s_ashr_i32 s5, s4, 31
	s_cmpk_lt_u32 s38, 0x2301
	v_lshl_add_u64 v[6:7], s[4:5], 1, v[2:3]
	s_cselect_b32 s4, s11, 0x8c0
	s_ashr_i32 s5, s4, 31
	s_cmpk_lt_u32 s38, 0x2401
	v_lshl_add_u64 v[8:9], s[4:5], 1, v[2:3]
	s_cselect_b32 s4, s11, 0x900
	s_ashr_i32 s5, s4, 31
	s_cmpk_lt_u32 s38, 0x2501
	v_lshl_add_u64 v[10:11], s[4:5], 1, v[2:3]
	s_cselect_b32 s4, s11, 0x940
	s_ashr_i32 s5, s4, 31
	s_cmpk_lt_u32 s38, 0x2601
	v_lshl_add_u64 v[12:13], s[4:5], 1, v[2:3]
	s_cselect_b32 s4, s11, 0x980
	s_ashr_i32 s5, s4, 31
	s_cmpk_lt_u32 s38, 0x2701
	v_lshl_add_u64 v[14:15], s[4:5], 1, v[2:3]
	s_cselect_b32 s4, s11, 0x9c0
	s_ashr_i32 s5, s4, 31
	s_cmpk_lt_u32 s38, 0x2801
	v_lshl_add_u64 v[48:49], s[4:5], 1, v[2:3]
	s_cselect_b32 s4, s11, 0xa00
	s_ashr_i32 s5, s4, 31
	s_cmpk_lt_u32 s38, 0x2901
	v_lshl_add_u64 v[50:51], s[4:5], 1, v[2:3]
	s_cselect_b32 s4, s11, 0xa40
	s_ashr_i32 s5, s4, 31
	s_cmpk_lt_u32 s38, 0x2a01
	v_lshl_add_u64 v[52:53], s[4:5], 1, v[2:3]
	s_cselect_b32 s4, s11, 0xa80
	s_ashr_i32 s5, s4, 31
	s_cmpk_lt_u32 s38, 0x2b01
	v_lshl_add_u64 v[54:55], s[4:5], 1, v[2:3]
	s_cselect_b32 s4, s11, 0xac0
	s_ashr_i32 s5, s4, 31
	s_cmpk_lt_u32 s38, 0x2c01
	v_lshl_add_u64 v[56:57], s[4:5], 1, v[2:3]
	s_cselect_b32 s4, s11, 0xb00
	s_ashr_i32 s5, s4, 31
	s_cmpk_lt_u32 s38, 0x2d01
	v_lshl_add_u64 v[58:59], s[4:5], 1, v[2:3]
	s_cselect_b32 s4, s11, 0xb40
	s_ashr_i32 s5, s4, 31
	s_cmpk_lt_u32 s38, 0x2e01
	v_lshl_add_u64 v[60:61], s[4:5], 1, v[2:3]
	s_cselect_b32 s4, s11, 0xb80
	s_ashr_i32 s5, s4, 31
	s_cmpk_lt_u32 s38, 0x2f01
	v_lshl_add_u64 v[62:63], s[4:5], 1, v[2:3]
	s_cselect_b32 s4, s11, 0xbc0
	s_ashr_i32 s5, s4, 31
	s_cmpk_lt_u32 s38, 0x3001
	v_lshl_add_u64 v[64:65], s[4:5], 1, v[2:3]
	s_cselect_b32 s4, s11, 0xc00
	s_ashr_i32 s5, s4, 31
	s_cmpk_lt_u32 s38, 0x3101
	v_lshl_add_u64 v[66:67], s[4:5], 1, v[2:3]
	s_cselect_b32 s4, s11, 0xc40
	s_ashr_i32 s5, s4, 31
	s_cmpk_lt_u32 s38, 0x3201
	v_lshl_add_u64 v[68:69], s[4:5], 1, v[2:3]
	s_cselect_b32 s4, s11, 0xc80
	s_ashr_i32 s5, s4, 31
	s_cmpk_lt_u32 s38, 0x3301
	v_lshl_add_u64 v[70:71], s[4:5], 1, v[2:3]
	s_cselect_b32 s4, s11, 0xcc0
	s_ashr_i32 s5, s4, 31
	s_cmpk_lt_u32 s38, 0x3401
	v_lshl_add_u64 v[72:73], s[4:5], 1, v[2:3]
	s_cselect_b32 s4, s11, 0xd00
	s_ashr_i32 s5, s4, 31
	s_cmpk_lt_u32 s38, 0x3501
	v_lshl_add_u64 v[74:75], s[4:5], 1, v[2:3]
	s_cselect_b32 s4, s11, 0xd40
	s_ashr_i32 s5, s4, 31
	s_cmpk_lt_u32 s38, 0x3601
	v_lshl_add_u64 v[76:77], s[4:5], 1, v[2:3]
	s_cselect_b32 s4, s11, 0xd80
	s_ashr_i32 s5, s4, 31
	s_cmpk_lt_u32 s38, 0x3701
	v_lshl_add_u64 v[78:79], s[4:5], 1, v[2:3]
	s_cselect_b32 s4, s11, 0xdc0
	s_ashr_i32 s5, s4, 31
	s_cmpk_lt_u32 s38, 0x3801
	v_lshl_add_u64 v[80:81], s[4:5], 1, v[2:3]
	s_cselect_b32 s4, s11, 0xe00
	s_ashr_i32 s5, s4, 31
	s_cmpk_lt_u32 s38, 0x3901
	v_lshl_add_u64 v[82:83], s[4:5], 1, v[2:3]
	s_cselect_b32 s4, s11, 0xe40
	s_ashr_i32 s5, s4, 31
	s_cmpk_lt_u32 s38, 0x3a01
	v_lshl_add_u64 v[84:85], s[4:5], 1, v[2:3]
	s_cselect_b32 s4, s11, 0xe80
	s_ashr_i32 s5, s4, 31
	s_cmpk_lt_u32 s38, 0x3b01
	v_lshl_add_u64 v[86:87], s[4:5], 1, v[2:3]
	s_cselect_b32 s4, s11, 0xec0
	s_ashr_i32 s5, s4, 31
	s_cmpk_lt_u32 s38, 0x3c01
	v_lshl_add_u64 v[88:89], s[4:5], 1, v[2:3]
	s_cselect_b32 s4, s11, 0xf00
	s_ashr_i32 s5, s4, 31
	s_cmpk_lt_u32 s38, 0x3d01
	v_lshl_add_u64 v[90:91], s[4:5], 1, v[2:3]
	s_cselect_b32 s4, s11, 0xf40
	s_ashr_i32 s5, s4, 31
	s_cmpk_lt_u32 s38, 0x3e01
	v_lshl_add_u64 v[92:93], s[4:5], 1, v[2:3]
	s_cselect_b32 s4, s11, 0xf80
	s_ashr_i32 s5, s4, 31
	v_lshl_add_u64 v[94:95], s[4:5], 1, v[2:3]
	s_movk_i32 s4, 0x1000
	s_cmpk_lt_u32 s38, 0x3f01
	v_add_co_u32_e32 v96, vcc, s4, v2
	s_cselect_b32 s4, s11, 0xfc0
	s_nop 0
	v_addc_co_u32_e32 v97, vcc, 0, v3, vcc
	s_ashr_i32 s5, s4, 31
	global_load_ushort v98, v[96:97], off
	global_load_ushort v99, v[4:5], off
	;; [unrolled: 1-line block ×15, first 2 shown]
                                        ; kill: killed $vgpr62_vgpr63
                                        ; kill: killed $vgpr14_vgpr15
                                        ; kill: killed $vgpr96 killed $vgpr97
                                        ; kill: killed $vgpr52_vgpr53
                                        ; kill: killed $vgpr4_vgpr5
                                        ; kill: killed $vgpr58_vgpr59
                                        ; kill: killed $vgpr10_vgpr11
                                        ; kill: killed $vgpr48_vgpr49
                                        ; kill: killed $vgpr54_vgpr55
                                        ; kill: killed $vgpr6_vgpr7
                                        ; kill: killed $vgpr60_vgpr61
                                        ; kill: killed $vgpr12_vgpr13
                                        ; kill: killed $vgpr50_vgpr51
                                        ; kill: killed $vgpr56_vgpr57
                                        ; kill: killed $vgpr8_vgpr9
	global_load_ushort v6, v[64:65], off
	global_load_ushort v7, v[66:67], off
	;; [unrolled: 1-line block ×15, first 2 shown]
                                        ; kill: killed $vgpr94_vgpr95
                                        ; kill: killed $vgpr78_vgpr79
                                        ; kill: killed $vgpr84_vgpr85
                                        ; kill: killed $vgpr68_vgpr69
                                        ; kill: killed $vgpr90_vgpr91
                                        ; kill: killed $vgpr74_vgpr75
                                        ; kill: killed $vgpr80_vgpr81
                                        ; kill: killed $vgpr64_vgpr65
                                        ; kill: killed $vgpr70_vgpr71
                                        ; kill: killed $vgpr92_vgpr93
                                        ; kill: killed $vgpr76_vgpr77
                                        ; kill: killed $vgpr82_vgpr83
                                        ; kill: killed $vgpr66_vgpr67
                                        ; kill: killed $vgpr88_vgpr89
                                        ; kill: killed $vgpr72_vgpr73
	global_load_ushort v68, v[86:87], off
	v_lshl_add_u64 v[4:5], s[4:5], 1, v[2:3]
	global_load_ushort v5, v[4:5], off
	s_waitcnt vmcnt(31)
	v_lshlrev_b32_e32 v67, 16, v98
	s_waitcnt vmcnt(30)
	v_lshlrev_b32_e32 v65, 16, v99
	;; [unrolled: 2-line block ×32, first 2 shown]
.LBB405_12:
	s_load_dwordx2 s[4:5], s[0:1], 0x0
	s_load_dwordx2 s[6:7], s[0:1], 0x38
	ds_read_b128 v[68:71], v1
	s_waitcnt vmcnt(15)
	v_lshlrev_b32_e32 v23, 16, v23
	ds_read_b128 v[72:75], v1 offset:16
	ds_read_b128 v[76:79], v1 offset:32
	;; [unrolled: 1-line block ×3, first 2 shown]
	s_waitcnt vmcnt(14)
	v_lshlrev_b32_e32 v22, 16, v22
	s_waitcnt vmcnt(13)
	v_lshlrev_b32_e32 v21, 16, v21
	s_waitcnt lgkmcnt(0)
	v_fma_f32 v23, v68, v23, 0
	v_fmac_f32_e32 v23, v69, v22
	v_fmac_f32_e32 v23, v70, v21
	s_waitcnt vmcnt(12)
	v_lshlrev_b32_e32 v20, 16, v20
	s_waitcnt vmcnt(10)
	v_lshlrev_b32_e32 v19, 16, v19
	v_lshlrev_b32_e32 v18, 16, v18
	v_fmac_f32_e32 v23, v71, v20
	v_pk_mul_f32 v[18:19], v[72:73], v[18:19]
	s_waitcnt vmcnt(8)
	v_lshlrev_b32_e32 v17, 16, v17
	v_add_f32_e32 v18, v23, v18
	v_lshlrev_b32_e32 v16, 16, v16
	v_add_f32_e32 v18, v18, v19
	v_pk_mul_f32 v[16:17], v[74:75], v[16:17]
	s_and_b64 vcc, exec, s[8:9]
	v_add_f32_e32 v16, v18, v16
	v_add_f32_e32 v18, v16, v17
	s_waitcnt vmcnt(6)
	v_lshlrev_b32_e32 v17, 16, v31
	v_lshlrev_b32_e32 v16, 16, v30
	v_pk_mul_f32 v[16:17], v[76:77], v[16:17]
	s_nop 0
	v_add_f32_e32 v16, v18, v16
	v_add_f32_e32 v18, v16, v17
	s_waitcnt vmcnt(4)
	v_lshlrev_b32_e32 v17, 16, v29
	v_lshlrev_b32_e32 v16, 16, v28
	v_pk_mul_f32 v[16:17], v[78:79], v[16:17]
	s_nop 0
	;; [unrolled: 7-line block ×4, first 2 shown]
	v_add_f32_e32 v16, v18, v16
	v_add_f32_e32 v110, v16, v17
	s_cbranch_vccz .LBB405_15
; %bb.13:
	ds_read_b128 v[16:19], v1 offset:64
	v_lshlrev_b32_e32 v39, 16, v39
	ds_read_b128 v[20:23], v1 offset:80
	ds_read_b128 v[24:27], v1 offset:96
	;; [unrolled: 1-line block ×3, first 2 shown]
	s_cmpk_lt_u32 s38, 0x2001
	s_waitcnt lgkmcnt(3)
	v_fmac_f32_e32 v110, v16, v39
	v_lshlrev_b32_e32 v16, 16, v38
	v_fmac_f32_e32 v110, v17, v16
	v_lshlrev_b32_e32 v16, 16, v37
	v_fmac_f32_e32 v110, v18, v16
	v_lshlrev_b32_e32 v16, 16, v36
	v_fmac_f32_e32 v110, v19, v16
	v_lshlrev_b32_e32 v16, 16, v35
	s_waitcnt lgkmcnt(2)
	v_fmac_f32_e32 v110, v20, v16
	v_lshlrev_b32_e32 v16, 16, v34
	v_fmac_f32_e32 v110, v21, v16
	v_lshlrev_b32_e32 v16, 16, v33
	v_fmac_f32_e32 v110, v22, v16
	v_lshlrev_b32_e32 v16, 16, v32
	v_fmac_f32_e32 v110, v23, v16
	v_lshlrev_b32_e32 v16, 16, v47
	;; [unrolled: 9-line block ×3, first 2 shown]
	s_waitcnt lgkmcnt(0)
	v_fmac_f32_e32 v110, v28, v16
	v_lshlrev_b32_e32 v16, 16, v42
	v_fmac_f32_e32 v110, v29, v16
	v_lshlrev_b32_e32 v16, 16, v41
	v_fmac_f32_e32 v110, v30, v16
	v_lshlrev_b32_e32 v16, 16, v40
	v_fmac_f32_e32 v110, v31, v16
	s_cbranch_scc1 .LBB405_15
; %bb.14:
	v_mov_b32_e32 v32, 0
	ds_read_b128 v[16:19], v32 offset:128
	ds_read_b128 v[20:23], v32 offset:144
	;; [unrolled: 1-line block ×4, first 2 shown]
	s_waitcnt lgkmcnt(3)
	v_fmac_f32_e32 v110, v16, v67
	v_fmac_f32_e32 v110, v17, v65
	v_fmac_f32_e32 v110, v18, v66
	v_fmac_f32_e32 v110, v19, v63
	s_waitcnt lgkmcnt(2)
	v_fmac_f32_e32 v110, v20, v64
	v_fmac_f32_e32 v110, v21, v61
	v_fmac_f32_e32 v110, v22, v62
	v_fmac_f32_e32 v110, v23, v59
	;; [unrolled: 5-line block ×3, first 2 shown]
	ds_read_b128 v[16:19], v32 offset:192
	ds_read_b128 v[20:23], v32 offset:208
	s_waitcnt lgkmcnt(2)
	v_fmac_f32_e32 v110, v28, v56
	v_fmac_f32_e32 v110, v29, v53
	;; [unrolled: 1-line block ×4, first 2 shown]
	s_waitcnt lgkmcnt(1)
	v_fmac_f32_e32 v110, v16, v51
	v_fmac_f32_e32 v110, v17, v49
	;; [unrolled: 1-line block ×4, first 2 shown]
	s_waitcnt lgkmcnt(0)
	v_pk_mul_f32 v[14:15], v[20:21], v[14:15]
	v_pk_mul_f32 v[12:13], v[22:23], v[12:13]
	v_add_f32_e32 v14, v110, v14
	v_add_f32_e32 v18, v14, v15
	ds_read_b128 v[14:17], v32 offset:224
	v_add_f32_e32 v12, v18, v12
	ds_read_b128 v[18:21], v32 offset:240
	v_add_f32_e32 v12, v12, v13
	s_waitcnt lgkmcnt(1)
	v_pk_mul_f32 v[10:11], v[14:15], v[10:11]
	s_nop 0
	v_add_f32_e32 v10, v12, v10
	v_add_f32_e32 v10, v10, v11
	v_pk_mul_f32 v[8:9], v[16:17], v[8:9]
	s_waitcnt lgkmcnt(0)
	v_pk_mul_f32 v[6:7], v[18:19], v[6:7]
	v_add_f32_e32 v8, v10, v8
	v_add_f32_e32 v8, v8, v9
	;; [unrolled: 1-line block ×4, first 2 shown]
	v_pk_mul_f32 v[4:5], v[20:21], v[4:5]
	s_nop 0
	v_add_f32_e32 v4, v6, v4
	v_add_f32_e32 v110, v4, v5
.LBB405_15:
	s_movk_i32 s0, 0x1fc0
	s_movk_i32 s1, 0x100
	s_mov_b32 s8, 64
	s_branch .LBB405_17
.LBB405_16:                             ;   in Loop: Header=BB405_17 Depth=1
	s_addk_i32 s0, 0x1000
	s_addk_i32 s1, 0x100
	s_add_i32 s8, s8, 64
	s_cmpk_eq_i32 s0, 0x6fc0
	s_cbranch_scc1 .LBB405_19
.LBB405_17:                             ; =>This Inner Loop Header: Depth=1
	s_cmp_le_i32 s33, s8
	s_cbranch_scc1 .LBB405_16
; %bb.18:                               ;   in Loop: Header=BB405_17 Depth=1
	s_add_i32 s9, s0, 0xfffff040
	s_cmp_lt_i32 s9, s10
	s_cselect_b32 s12, s9, s11
	s_ashr_i32 s13, s12, 31
	s_add_i32 s9, s0, 0xfffff080
	s_cmp_lt_i32 s9, s10
	v_lshl_add_u64 v[44:45], s[12:13], 1, v[2:3]
	s_cselect_b32 s12, s9, s11
	s_ashr_i32 s13, s12, 31
	s_add_i32 s9, s0, 0xfffff0c0
	s_cmp_lt_i32 s9, s10
	v_lshl_add_u64 v[4:5], s[12:13], 1, v[2:3]
	;; [unrolled: 5-line block ×17, first 2 shown]
	s_cselect_b32 s12, s9, s11
	s_ashr_i32 s13, s12, 31
	s_add_i32 s9, s0, 0xfffff4c0
	s_cmp_lt_i32 s9, s10
	global_load_ushort v111, v[44:45], off
	global_load_ushort v121, v[46:47], off
	v_lshl_add_u64 v[22:23], s[12:13], 1, v[2:3]
	s_cselect_b32 s12, s9, s11
	global_load_ushort v112, v[4:5], off
	global_load_ushort v113, v[6:7], off
	;; [unrolled: 1-line block ×7, first 2 shown]
	s_ashr_i32 s13, s12, 31
	s_add_i32 s9, s0, 0xfffff500
	s_cmp_lt_i32 s9, s10
	v_lshl_add_u64 v[24:25], s[12:13], 1, v[2:3]
	s_cselect_b32 s12, s9, s11
	s_ashr_i32 s13, s12, 31
	s_add_i32 s9, s0, 0xfffff540
	s_cmp_lt_i32 s9, s10
	v_lshl_add_u64 v[32:33], s[12:13], 1, v[2:3]
	s_cselect_b32 s12, s9, s11
	;; [unrolled: 5-line block ×3, first 2 shown]
	s_ashr_i32 s13, s12, 31
	s_add_i32 s9, s0, 0xfffff5c0
	s_cmp_lt_i32 s9, s10
	global_load_ushort v119, v[28:29], off
	global_load_ushort v120, v[30:31], off
	v_lshl_add_u64 v[34:35], s[12:13], 1, v[2:3]
	s_cselect_b32 s12, s9, s11
	s_ashr_i32 s13, s12, 31
	s_add_i32 s9, s0, 0xfffff600
	s_cmp_lt_i32 s9, s10
	v_lshl_add_u64 v[36:37], s[12:13], 1, v[2:3]
	s_cselect_b32 s12, s9, s11
	s_ashr_i32 s13, s12, 31
	s_add_i32 s9, s0, 0xfffff640
	s_cmp_lt_i32 s9, s10
	v_lshl_add_u64 v[50:51], s[12:13], 1, v[2:3]
	s_cselect_b32 s12, s9, s11
	global_load_ushort v122, v[54:55], off
	global_load_ushort v123, v[56:57], off
	s_ashr_i32 s13, s12, 31
	global_load_ushort v58, v[58:59], off
	s_add_i32 s9, s0, 0xfffff680
	s_cmp_lt_i32 s9, s10
	v_lshl_add_u64 v[38:39], s[12:13], 1, v[2:3]
	s_cselect_b32 s12, s9, s11
	global_load_ushort v59, v[60:61], off
	s_ashr_i32 s13, s12, 31
	s_add_i32 s9, s0, 0xfffff6c0
	global_load_ushort v60, v[66:67], off
	global_load_ushort v61, v[62:63], off
	s_cmp_lt_i32 s9, s10
	v_lshl_add_u64 v[18:19], s[12:13], 1, v[2:3]
	s_cselect_b32 s12, s9, s11
	s_ashr_i32 s13, s12, 31
	s_add_i32 s9, s0, 0xfffff700
	s_cmp_lt_i32 s9, s10
	v_lshl_add_u64 v[20:21], s[12:13], 1, v[2:3]
	s_cselect_b32 s12, s9, s11
	s_ashr_i32 s13, s12, 31
	s_add_i32 s9, s0, 0xfffff740
	;; [unrolled: 5-line block ×3, first 2 shown]
	s_cmp_lt_i32 s9, s10
	v_lshl_add_u64 v[42:43], s[12:13], 1, v[2:3]
	s_cselect_b32 s12, s9, s11
	global_load_ushort v62, v[22:23], off
	s_ashr_i32 s13, s12, 31
	s_add_i32 s9, s0, 0xfffff7c0
	global_load_ushort v66, v[32:33], off
	global_load_ushort v124, v[34:35], off
	global_load_ushort v126, v[36:37], off
	global_load_ushort v63, v[24:25], off
	s_cmp_lt_i32 s9, s10
	v_lshl_add_u64 v[26:27], s[12:13], 1, v[2:3]
	s_cselect_b32 s12, s9, s11
	global_load_ushort v67, v[48:49], off
	s_ashr_i32 s13, s12, 31
	s_add_i32 s9, s0, 0xfffff800
	s_cmp_lt_i32 s9, s10
	v_lshl_add_u64 v[52:53], s[12:13], 1, v[2:3]
	s_cselect_b32 s12, s9, s11
	s_ashr_i32 s13, s12, 31
	s_add_i32 s9, s0, 0xfffff840
	s_cmp_lt_i32 s9, s10
	v_lshl_add_u64 v[64:65], s[12:13], 1, v[2:3]
	s_cselect_b32 s12, s9, s11
	s_ashr_i32 s13, s12, 31
	s_add_i32 s9, s0, 0xfffff880
	s_cmp_lt_i32 s9, s10
	v_mov_b32_e32 v125, s1
	v_lshl_add_u64 v[68:69], s[12:13], 1, v[2:3]
	s_cselect_b32 s12, s9, s11
	ds_read_b128 v[30:33], v125
	ds_read_b128 v[34:37], v125 offset:16
	global_load_ushort v50, v[50:51], off
	s_ashr_i32 s13, s12, 31
	s_add_i32 s9, s0, 0xfffff8c0
	s_cmp_lt_i32 s9, s10
	v_lshl_add_u64 v[70:71], s[12:13], 1, v[2:3]
	s_cselect_b32 s12, s9, s11
	ds_read_b128 v[46:49], v125 offset:32
	ds_read_b128 v[54:57], v125 offset:48
	global_load_ushort v38, v[38:39], off
	s_ashr_i32 s13, s12, 31
	s_add_i32 s9, s0, 0xfffff900
	s_cmp_lt_i32 s9, s10
	v_lshl_add_u64 v[72:73], s[12:13], 1, v[2:3]
	s_cselect_b32 s12, s9, s11
	global_load_ushort v39, v[18:19], off
	s_ashr_i32 s13, s12, 31
	global_load_ushort v26, v[26:27], off
	s_add_i32 s9, s0, 0xfffff940
	s_cmp_lt_i32 s9, s10
	v_lshl_add_u64 v[74:75], s[12:13], 1, v[2:3]
	s_cselect_b32 s12, s9, s11
	s_ashr_i32 s13, s12, 31
	s_add_i32 s9, s0, 0xfffff980
	s_cmp_lt_i32 s9, s10
	v_lshl_add_u64 v[76:77], s[12:13], 1, v[2:3]
	s_cselect_b32 s12, s9, s11
	s_ashr_i32 s13, s12, 31
	s_add_i32 s9, s0, 0xfffff9c0
	s_cmp_lt_i32 s9, s10
	v_lshl_add_u64 v[78:79], s[12:13], 1, v[2:3]
	s_cselect_b32 s12, s9, s11
	s_ashr_i32 s13, s12, 31
	s_add_i32 s9, s0, 0xfffffa00
	s_cmp_lt_i32 s9, s10
	v_lshl_add_u64 v[80:81], s[12:13], 1, v[2:3]
	s_cselect_b32 s12, s9, s11
	s_ashr_i32 s13, s12, 31
	s_add_i32 s9, s0, 0xfffffa40
	s_cmp_lt_i32 s9, s10
	v_lshl_add_u64 v[82:83], s[12:13], 1, v[2:3]
	s_cselect_b32 s12, s9, s11
	s_ashr_i32 s13, s12, 31
	s_add_i32 s9, s0, 0xfffffa80
	s_cmp_lt_i32 s9, s10
	v_lshl_add_u64 v[84:85], s[12:13], 1, v[2:3]
	global_load_ushort v51, v[84:85], off
	s_cselect_b32 s12, s9, s11
	s_ashr_i32 s13, s12, 31
	s_add_i32 s9, s0, 0xfffffac0
	s_cmp_lt_i32 s9, s10
	v_lshl_add_u64 v[86:87], s[12:13], 1, v[2:3]
	s_cselect_b32 s12, s9, s11
	s_ashr_i32 s13, s12, 31
	s_add_i32 s9, s0, 0xfffffb00
	s_cmp_lt_i32 s9, s10
	v_lshl_add_u64 v[88:89], s[12:13], 1, v[2:3]
	;; [unrolled: 5-line block ×3, first 2 shown]
	s_cselect_b32 s12, s9, s11
	s_ashr_i32 s13, s12, 31
	s_add_i32 s9, s0, 0xfffffb80
	s_waitcnt vmcnt(27)
	v_lshlrev_b32_e32 v111, 16, v111
	s_cmp_lt_i32 s9, s10
	s_waitcnt lgkmcnt(3)
	v_fmac_f32_e32 v110, v30, v111
	s_waitcnt vmcnt(25)
	v_lshlrev_b32_e32 v30, 16, v112
	v_lshl_add_u64 v[92:93], s[12:13], 1, v[2:3]
	s_cselect_b32 s12, s9, s11
	v_fmac_f32_e32 v110, v31, v30
	s_waitcnt vmcnt(24)
	v_lshlrev_b32_e32 v30, 16, v113
	s_ashr_i32 s13, s12, 31
	s_add_i32 s9, s0, 0xfffffbc0
	v_fmac_f32_e32 v110, v32, v30
	s_waitcnt vmcnt(23)
	v_lshlrev_b32_e32 v30, 16, v114
	s_cmp_lt_i32 s9, s10
	v_fmac_f32_e32 v110, v33, v30
	s_waitcnt vmcnt(22)
	v_lshlrev_b32_e32 v18, 16, v115
	v_lshl_add_u64 v[94:95], s[12:13], 1, v[2:3]
	s_cselect_b32 s12, s9, s11
	s_waitcnt lgkmcnt(2)
	v_fmac_f32_e32 v110, v34, v18
	global_load_ushort v34, v[20:21], off
	s_ashr_i32 s13, s12, 31
	global_load_ushort v40, v[40:41], off
	s_add_i32 s9, s0, 0xfffffc00
	s_waitcnt vmcnt(23)
	v_lshlrev_b32_e32 v18, 16, v116
	s_cmp_lt_i32 s9, s10
	v_fmac_f32_e32 v110, v35, v18
	global_load_ushort v35, v[42:43], off
	global_load_ushort v27, v[52:53], off
	v_lshl_add_u64 v[96:97], s[12:13], 1, v[2:3]
	s_cselect_b32 s12, s9, s11
	s_ashr_i32 s13, s12, 31
	s_add_i32 s9, s0, 0xfffffc40
	s_cmp_lt_i32 s9, s10
	s_waitcnt vmcnt(24)
	v_lshlrev_b32_e32 v18, 16, v117
	v_lshl_add_u64 v[100:101], s[12:13], 1, v[2:3]
	s_cselect_b32 s12, s9, s11
	v_fmac_f32_e32 v110, v36, v18
	global_load_ushort v36, v[64:65], off
	s_waitcnt vmcnt(24)
	v_lshlrev_b32_e32 v18, 16, v118
	s_ashr_i32 s13, s12, 31
	s_add_i32 s9, s0, 0xfffffc80
	v_fmac_f32_e32 v110, v37, v18
	global_load_ushort v37, v[68:69], off
	s_waitcnt vmcnt(24)
	v_lshlrev_b32_e32 v18, 16, v119
	s_cmp_lt_i32 s9, s10
	s_waitcnt lgkmcnt(1)
	v_fmac_f32_e32 v110, v46, v18
	global_load_ushort v46, v[76:77], off
	s_waitcnt vmcnt(24)
	v_lshlrev_b32_e32 v18, 16, v120
	v_lshl_add_u64 v[102:103], s[12:13], 1, v[2:3]
	s_cselect_b32 s12, s9, s11
	v_fmac_f32_e32 v110, v47, v18
	v_lshlrev_b32_e32 v18, 16, v121
	s_ashr_i32 s13, s12, 31
	s_add_i32 s9, s0, 0xfffffcc0
	v_fmac_f32_e32 v110, v48, v18
	global_load_ushort v48, v[80:81], off
	global_load_ushort v41, v[70:71], off
	;; [unrolled: 1-line block ×5, first 2 shown]
	s_cmp_lt_i32 s9, s10
	v_lshl_add_u64 v[104:105], s[12:13], 1, v[2:3]
	s_cselect_b32 s12, s9, s11
	s_ashr_i32 s13, s12, 31
	s_add_i32 s9, s0, 0xfffffd00
	s_cmp_lt_i32 s9, s10
	s_waitcnt vmcnt(28)
	v_lshlrev_b32_e32 v18, 16, v122
	v_lshl_add_u64 v[106:107], s[12:13], 1, v[2:3]
	s_cselect_b32 s12, s9, s11
	v_fmac_f32_e32 v110, v49, v18
	global_load_ushort v49, v[82:83], off
	global_load_ushort v52, v[86:87], off
	s_waitcnt vmcnt(29)
	v_lshlrev_b32_e32 v18, 16, v123
	s_ashr_i32 s13, s12, 31
	s_add_i32 s9, s0, 0xfffffd40
	s_waitcnt lgkmcnt(0)
	v_fmac_f32_e32 v110, v54, v18
	global_load_ushort v54, v[88:89], off
	s_waitcnt vmcnt(29)
	v_lshlrev_b32_e32 v18, 16, v58
	s_cmp_lt_i32 s9, s10
	v_fmac_f32_e32 v110, v55, v18
	global_load_ushort v55, v[90:91], off
	s_waitcnt vmcnt(29)
	v_lshlrev_b32_e32 v18, 16, v59
	v_lshl_add_u64 v[98:99], s[12:13], 1, v[2:3]
	s_cselect_b32 s12, s9, s11
	v_fmac_f32_e32 v110, v56, v18
	s_waitcnt vmcnt(28)
	v_lshlrev_b32_e32 v18, 16, v60
	s_ashr_i32 s13, s12, 31
	s_add_i32 s9, s0, 0xfffffd80
	v_fmac_f32_e32 v110, v57, v18
	ds_read_b128 v[18:21], v125 offset:64
	ds_read_b128 v[30:33], v125 offset:80
	s_cmp_lt_i32 s9, s10
	v_lshl_add_u64 v[44:45], s[12:13], 1, v[2:3]
	s_cselect_b32 s12, s9, s11
	s_ashr_i32 s13, s12, 31
	s_add_i32 s9, s0, 0xfffffdc0
	s_cmp_lt_i32 s9, s10
	s_waitcnt vmcnt(27)
	v_lshlrev_b32_e32 v53, 16, v61
	v_lshl_add_u64 v[108:109], s[12:13], 1, v[2:3]
	s_cselect_b32 s12, s9, s11
	s_waitcnt lgkmcnt(1)
	v_fmac_f32_e32 v110, v18, v53
	global_load_ushort v53, v[92:93], off
	global_load_ushort v56, v[94:95], off
	;; [unrolled: 1-line block ×6, first 2 shown]
	s_ashr_i32 s13, s12, 31
	s_add_i32 s9, s0, 0xfffffe00
	s_cmp_lt_i32 s9, s10
	v_lshl_add_u64 v[4:5], s[12:13], 1, v[2:3]
	s_cselect_b32 s12, s9, s11
	s_ashr_i32 s13, s12, 31
	s_add_i32 s9, s0, 0xfffffe40
	s_cmp_lt_i32 s9, s10
	s_waitcnt vmcnt(32)
	v_lshlrev_b32_e32 v18, 16, v62
	v_lshl_add_u64 v[6:7], s[12:13], 1, v[2:3]
	s_cselect_b32 s12, s9, s11
	v_fmac_f32_e32 v110, v19, v18
	s_waitcnt vmcnt(28)
	v_lshlrev_b32_e32 v18, 16, v63
	s_ashr_i32 s13, s12, 31
	s_add_i32 s9, s0, 0xfffffe80
	v_fmac_f32_e32 v110, v20, v18
	v_lshlrev_b32_e32 v18, 16, v66
	s_cmp_lt_i32 s9, s10
	v_fmac_f32_e32 v110, v21, v18
	s_waitcnt vmcnt(27)
	v_lshlrev_b32_e32 v18, 16, v67
	v_lshl_add_u64 v[8:9], s[12:13], 1, v[2:3]
	s_cselect_b32 s12, s9, s11
	s_waitcnt lgkmcnt(0)
	v_fmac_f32_e32 v110, v30, v18
	global_load_ushort v30, v[106:107], off
	s_ashr_i32 s13, s12, 31
	s_add_i32 s9, s0, 0xfffffec0
	s_cmp_lt_i32 s9, s10
	global_load_ushort v61, v[98:99], off
	global_load_ushort v62, v[44:45], off
	;; [unrolled: 1-line block ×3, first 2 shown]
	v_lshl_add_u64 v[12:13], s[12:13], 1, v[2:3]
	s_cselect_b32 s12, s9, s11
	v_lshlrev_b32_e32 v18, 16, v124
	s_ashr_i32 s13, s12, 31
	s_add_i32 s9, s0, 0xffffff00
	v_fmac_f32_e32 v110, v31, v18
	v_lshlrev_b32_e32 v18, 16, v126
	s_cmp_lt_i32 s9, s10
	v_fmac_f32_e32 v110, v32, v18
	global_load_ushort v31, v[4:5], off
	global_load_ushort v32, v[6:7], off
	v_lshl_add_u64 v[10:11], s[12:13], 1, v[2:3]
	s_cselect_b32 s12, s9, s11
	s_ashr_i32 s13, s12, 31
	s_add_i32 s9, s0, 0xffffff40
	s_cmp_lt_i32 s9, s10
	s_waitcnt vmcnt(32)
	v_lshlrev_b32_e32 v4, 16, v50
	v_lshl_add_u64 v[16:17], s[12:13], 1, v[2:3]
	s_cselect_b32 s12, s9, s11
	v_fmac_f32_e32 v110, v33, v4
	ds_read_b128 v[4:7], v125 offset:96
	s_ashr_i32 s13, s12, 31
	s_add_i32 s9, s0, 0xffffff80
	s_cmp_lt_i32 s9, s10
	s_waitcnt vmcnt(31)
	v_lshlrev_b32_e32 v33, 16, v38
	global_load_ushort v38, v[8:9], off
	global_load_ushort v44, v[12:13], off
	v_lshl_add_u64 v[14:15], s[12:13], 1, v[2:3]
	s_cselect_b32 s12, s9, s11
	s_ashr_i32 s13, s12, 31
	s_sub_i32 s9, s0, 64
	s_cmp_lt_i32 s9, s10
	ds_read_b128 v[18:21], v125 offset:112
	s_waitcnt lgkmcnt(1)
	v_fmac_f32_e32 v110, v4, v33
	s_waitcnt vmcnt(32)
	v_lshlrev_b32_e32 v4, 16, v39
	global_load_ushort v33, v[10:11], off
	global_load_ushort v39, v[16:17], off
	v_lshl_add_u64 v[28:29], s[12:13], 1, v[2:3]
	s_cselect_b32 s12, s9, s11
	s_ashr_i32 s13, s12, 31
	s_cmp_lt_i32 s0, s10
	global_load_ushort v16, v[14:15], off
	global_load_ushort v17, v[28:29], off
	v_lshl_add_u64 v[22:23], s[12:13], 1, v[2:3]
	s_cselect_b32 s12, s0, s11
	s_ashr_i32 s13, s12, 31
	v_lshl_add_u64 v[24:25], s[12:13], 1, v[2:3]
	global_load_ushort v14, v[22:23], off
	global_load_ushort v15, v[24:25], off
	v_fmac_f32_e32 v110, v5, v4
	s_waitcnt vmcnt(35)
	v_lshlrev_b32_e32 v4, 16, v34
	v_fmac_f32_e32 v110, v6, v4
	s_waitcnt vmcnt(34)
	v_lshlrev_b32_e32 v4, 16, v40
	;; [unrolled: 3-line block ×3, first 2 shown]
	s_waitcnt lgkmcnt(0)
	v_fmac_f32_e32 v110, v18, v4
	v_lshlrev_b32_e32 v4, 16, v26
	v_fmac_f32_e32 v110, v19, v4
	s_waitcnt vmcnt(32)
	v_lshlrev_b32_e32 v4, 16, v27
	v_fmac_f32_e32 v110, v20, v4
	ds_read_b128 v[4:7], v125 offset:128
	s_waitcnt vmcnt(31)
	v_lshlrev_b32_e32 v8, 16, v36
	v_fmac_f32_e32 v110, v21, v8
	ds_read_b128 v[8:11], v125 offset:144
	s_waitcnt vmcnt(30)
	v_lshlrev_b32_e32 v12, 16, v37
	s_waitcnt lgkmcnt(1)
	v_fmac_f32_e32 v110, v4, v12
	s_waitcnt vmcnt(27)
	v_lshlrev_b32_e32 v4, 16, v41
	v_fmac_f32_e32 v110, v5, v4
	s_waitcnt vmcnt(26)
	v_lshlrev_b32_e32 v4, 16, v42
	;; [unrolled: 3-line block ×3, first 2 shown]
	v_fmac_f32_e32 v110, v7, v4
	v_lshlrev_b32_e32 v4, 16, v46
	s_waitcnt lgkmcnt(0)
	v_fmac_f32_e32 v110, v8, v4
	s_waitcnt vmcnt(24)
	v_lshlrev_b32_e32 v4, 16, v47
	v_fmac_f32_e32 v110, v9, v4
	v_lshlrev_b32_e32 v4, 16, v48
	v_fmac_f32_e32 v110, v10, v4
	ds_read_b128 v[4:7], v125 offset:160
	s_waitcnt vmcnt(23)
	v_lshlrev_b32_e32 v8, 16, v49
	v_fmac_f32_e32 v110, v11, v8
	ds_read_b128 v[8:11], v125 offset:176
	v_lshlrev_b32_e32 v12, 16, v51
	s_waitcnt lgkmcnt(1)
	v_fmac_f32_e32 v110, v4, v12
	s_waitcnt vmcnt(22)
	v_lshlrev_b32_e32 v4, 16, v52
	v_fmac_f32_e32 v110, v5, v4
	s_waitcnt vmcnt(21)
	v_lshlrev_b32_e32 v4, 16, v54
	v_fmac_f32_e32 v110, v6, v4
	s_waitcnt vmcnt(20)
	v_lshlrev_b32_e32 v4, 16, v55
	v_fmac_f32_e32 v110, v7, v4
	s_waitcnt vmcnt(19)
	v_lshlrev_b32_e32 v4, 16, v53
	s_waitcnt lgkmcnt(0)
	v_fmac_f32_e32 v110, v8, v4
	s_waitcnt vmcnt(18)
	v_lshlrev_b32_e32 v4, 16, v56
	v_fmac_f32_e32 v110, v9, v4
	s_waitcnt vmcnt(17)
	v_lshlrev_b32_e32 v4, 16, v57
	v_fmac_f32_e32 v110, v10, v4
	ds_read_b128 v[4:7], v125 offset:192
	s_waitcnt vmcnt(16)
	v_lshlrev_b32_e32 v8, 16, v58
	v_fmac_f32_e32 v110, v11, v8
	ds_read_b128 v[8:11], v125 offset:208
	s_waitcnt vmcnt(15)
	v_lshlrev_b32_e32 v12, 16, v59
	s_waitcnt lgkmcnt(1)
	v_fmac_f32_e32 v110, v4, v12
	s_waitcnt vmcnt(14)
	v_lshlrev_b32_e32 v4, 16, v60
	v_fmac_f32_e32 v110, v5, v4
	s_waitcnt vmcnt(13)
	v_lshlrev_b32_e32 v4, 16, v30
	;; [unrolled: 3-line block ×4, first 2 shown]
	v_lshlrev_b32_e32 v4, 16, v62
	s_waitcnt lgkmcnt(0)
	v_pk_mul_f32 v[4:5], v[8:9], v[4:5]
	s_waitcnt vmcnt(6)
	v_lshlrev_b32_e32 v13, 16, v44
	v_add_f32_e32 v4, v110, v4
	v_add_f32_e32 v6, v4, v5
	v_lshlrev_b32_e32 v5, 16, v32
	v_lshlrev_b32_e32 v4, 16, v31
	v_pk_mul_f32 v[8:9], v[10:11], v[4:5]
	v_lshlrev_b32_e32 v12, 16, v38
	v_add_f32_e32 v8, v6, v8
	ds_read_b128 v[4:7], v125 offset:224
	v_add_f32_e32 v18, v8, v9
	ds_read_b128 v[8:11], v125 offset:240
	s_waitcnt lgkmcnt(1)
	v_pk_mul_f32 v[4:5], v[4:5], v[12:13]
	s_nop 0
	v_add_f32_e32 v4, v18, v4
	v_add_f32_e32 v12, v4, v5
	s_waitcnt vmcnt(4)
	v_lshlrev_b32_e32 v5, 16, v39
	v_lshlrev_b32_e32 v4, 16, v33
	v_pk_mul_f32 v[4:5], v[6:7], v[4:5]
	s_nop 0
	v_add_f32_e32 v4, v12, v4
	v_add_f32_e32 v6, v4, v5
	s_waitcnt vmcnt(2)
	v_lshlrev_b32_e32 v5, 16, v17
	v_lshlrev_b32_e32 v4, 16, v16
	s_waitcnt lgkmcnt(0)
	v_pk_mul_f32 v[4:5], v[8:9], v[4:5]
	s_nop 0
	v_add_f32_e32 v4, v6, v4
	v_add_f32_e32 v6, v4, v5
	s_waitcnt vmcnt(0)
	v_lshlrev_b32_e32 v5, 16, v15
	v_lshlrev_b32_e32 v4, 16, v14
	v_pk_mul_f32 v[4:5], v[10:11], v[4:5]
	s_nop 0
	v_add_f32_e32 v4, v6, v4
	v_add_f32_e32 v110, v4, v5
	s_branch .LBB405_16
.LBB405_19:
	v_mov_b32_e32 v2, 0
	ds_read_b32 v2, v2 offset:1536
	s_cmp_lg_u64 s[6:7], 0
	s_cbranch_scc0 .LBB405_24
; %bb.20:
	s_load_dword s6, s[6:7], 0x0
	s_waitcnt lgkmcnt(0)
	v_div_scale_f32 v3, s[0:1], s6, s6, 1.0
	v_rcp_f32_e32 v4, v3
	v_div_scale_f32 v5, vcc, 1.0, s6, 1.0
	v_fma_f32 v6, -v3, v4, 1.0
	v_fmac_f32_e32 v4, v6, v4
	v_mul_f32_e32 v6, v5, v4
	v_fma_f32 v7, -v3, v6, v5
	v_fmac_f32_e32 v6, v7, v4
	v_fma_f32 v3, -v3, v6, v5
	v_div_fmas_f32 v3, v3, v4, v6
	v_div_fixup_f32 v3, v3, s6, 1.0
	s_andn2_b64 vcc, exec, s[28:29]
	s_cbranch_vccnz .LBB405_22
.LBB405_21:
	s_add_u32 s0, s26, s30
	s_addc_u32 s1, s27, s31
	s_load_dword s24, s[0:1], 0x0
	s_mov_b32 s25, 0
.LBB405_22:
	s_waitcnt lgkmcnt(0)
	v_add_f32_e32 v2, 0x358637bd, v2
	v_div_scale_f32 v4, s[0:1], v2, v2, 1.0
	v_rcp_f32_e32 v5, v4
	v_div_scale_f32 v6, vcc, 1.0, v2, 1.0
	s_mul_i32 s0, s3, s25
	v_fma_f32 v7, -v4, v5, 1.0
	v_fmac_f32_e32 v5, v7, v5
	v_mul_f32_e32 v7, v6, v5
	v_fma_f32 v8, -v4, v7, v6
	v_fmac_f32_e32 v7, v8, v5
	v_fma_f32 v4, -v4, v7, v6
	s_mul_hi_u32 s1, s3, s24
	v_div_fmas_f32 v4, v4, v5, v7
	s_add_i32 s1, s1, s0
	s_mul_i32 s0, s3, s24
	v_div_fixup_f32 v2, v4, v2, 1.0
	s_lshl_b64 s[0:1], s[0:1], 6
	v_mul_f32_e32 v2, v110, v2
	s_add_u32 s4, s4, s0
	s_mov_b32 s3, 0
	v_mul_f32_e32 v2, v2, v3
	s_addc_u32 s5, s5, s1
	s_lshl_b64 s[0:1], s[2:3], 6
	s_mov_b32 s2, 0x7f800000
	s_mov_b32 s3, 0x43700000
	v_mov_b32_e32 v3, 0xc3700000
	v_med3_f32 v3, v2, s3, v3
	v_cmp_nlg_f32_e64 vcc, |v2|, s2
	s_add_u32 s0, s4, s0
	s_addc_u32 s1, s5, s1
	v_cndmask_b32_e32 v2, v3, v2, vcc
	v_mov_b32_e32 v3, 0
	v_cvt_pk_fp8_f32 v3, v2, v2
	v_lshl_add_u64 v[0:1], s[0:1], 0, v[0:1]
	global_store_byte v[0:1], v3, off
	s_endpgm
.LBB405_23:
	s_mov_b64 s[6:7], 0
	s_branch .LBB405_2
.LBB405_24:
	v_mov_b32_e32 v3, 1.0
	s_andn2_b64 vcc, exec, s[28:29]
	s_cbranch_vccz .LBB405_21
	s_branch .LBB405_22
	.section	.rodata,"a",@progbits
	.p2align	6, 0x0
	.amdhsa_kernel _Z35paged_attention_ll4mi_reduce_kernelI14__hip_bfloat16hLi64ELi64ELi256ELi6EEvPT0_PKfS4_PKT_PKiS9_iS4_
		.amdhsa_group_segment_fixed_size 1540
		.amdhsa_private_segment_fixed_size 0
		.amdhsa_kernarg_size 320
		.amdhsa_user_sgpr_count 2
		.amdhsa_user_sgpr_dispatch_ptr 0
		.amdhsa_user_sgpr_queue_ptr 0
		.amdhsa_user_sgpr_kernarg_segment_ptr 1
		.amdhsa_user_sgpr_dispatch_id 0
		.amdhsa_user_sgpr_kernarg_preload_length 0
		.amdhsa_user_sgpr_kernarg_preload_offset 0
		.amdhsa_user_sgpr_private_segment_size 0
		.amdhsa_uses_dynamic_stack 0
		.amdhsa_enable_private_segment 0
		.amdhsa_system_sgpr_workgroup_id_x 1
		.amdhsa_system_sgpr_workgroup_id_y 1
		.amdhsa_system_sgpr_workgroup_id_z 0
		.amdhsa_system_sgpr_workgroup_info 0
		.amdhsa_system_vgpr_workitem_id 0
		.amdhsa_next_free_vgpr 127
		.amdhsa_next_free_sgpr 42
		.amdhsa_accum_offset 128
		.amdhsa_reserve_vcc 1
		.amdhsa_float_round_mode_32 0
		.amdhsa_float_round_mode_16_64 0
		.amdhsa_float_denorm_mode_32 3
		.amdhsa_float_denorm_mode_16_64 3
		.amdhsa_dx10_clamp 1
		.amdhsa_ieee_mode 1
		.amdhsa_fp16_overflow 0
		.amdhsa_tg_split 0
		.amdhsa_exception_fp_ieee_invalid_op 0
		.amdhsa_exception_fp_denorm_src 0
		.amdhsa_exception_fp_ieee_div_zero 0
		.amdhsa_exception_fp_ieee_overflow 0
		.amdhsa_exception_fp_ieee_underflow 0
		.amdhsa_exception_fp_ieee_inexact 0
		.amdhsa_exception_int_div_zero 0
	.end_amdhsa_kernel
	.section	.text._Z35paged_attention_ll4mi_reduce_kernelI14__hip_bfloat16hLi64ELi64ELi256ELi6EEvPT0_PKfS4_PKT_PKiS9_iS4_,"axG",@progbits,_Z35paged_attention_ll4mi_reduce_kernelI14__hip_bfloat16hLi64ELi64ELi256ELi6EEvPT0_PKfS4_PKT_PKiS9_iS4_,comdat
.Lfunc_end405:
	.size	_Z35paged_attention_ll4mi_reduce_kernelI14__hip_bfloat16hLi64ELi64ELi256ELi6EEvPT0_PKfS4_PKT_PKiS9_iS4_, .Lfunc_end405-_Z35paged_attention_ll4mi_reduce_kernelI14__hip_bfloat16hLi64ELi64ELi256ELi6EEvPT0_PKfS4_PKT_PKiS9_iS4_
                                        ; -- End function
	.section	.AMDGPU.csdata,"",@progbits
; Kernel info:
; codeLenInByte = 9020
; NumSgprs: 48
; NumVgprs: 127
; NumAgprs: 0
; TotalNumVgprs: 127
; ScratchSize: 0
; MemoryBound: 0
; FloatMode: 240
; IeeeMode: 1
; LDSByteSize: 1540 bytes/workgroup (compile time only)
; SGPRBlocks: 5
; VGPRBlocks: 15
; NumSGPRsForWavesPerEU: 48
; NumVGPRsForWavesPerEU: 127
; AccumOffset: 128
; Occupancy: 4
; WaveLimiterHint : 1
; COMPUTE_PGM_RSRC2:SCRATCH_EN: 0
; COMPUTE_PGM_RSRC2:USER_SGPR: 2
; COMPUTE_PGM_RSRC2:TRAP_HANDLER: 0
; COMPUTE_PGM_RSRC2:TGID_X_EN: 1
; COMPUTE_PGM_RSRC2:TGID_Y_EN: 1
; COMPUTE_PGM_RSRC2:TGID_Z_EN: 0
; COMPUTE_PGM_RSRC2:TIDIG_COMP_CNT: 0
; COMPUTE_PGM_RSRC3_GFX90A:ACCUM_OFFSET: 31
; COMPUTE_PGM_RSRC3_GFX90A:TG_SPLIT: 0
	.section	.text._Z35paged_attention_ll4mi_reduce_kernelI14__hip_bfloat16hLi64ELi64ELi256ELi7EEvPT0_PKfS4_PKT_PKiS9_iS4_,"axG",@progbits,_Z35paged_attention_ll4mi_reduce_kernelI14__hip_bfloat16hLi64ELi64ELi256ELi7EEvPT0_PKfS4_PKT_PKiS9_iS4_,comdat
	.protected	_Z35paged_attention_ll4mi_reduce_kernelI14__hip_bfloat16hLi64ELi64ELi256ELi7EEvPT0_PKfS4_PKT_PKiS9_iS4_ ; -- Begin function _Z35paged_attention_ll4mi_reduce_kernelI14__hip_bfloat16hLi64ELi64ELi256ELi7EEvPT0_PKfS4_PKT_PKiS9_iS4_
	.globl	_Z35paged_attention_ll4mi_reduce_kernelI14__hip_bfloat16hLi64ELi64ELi256ELi7EEvPT0_PKfS4_PKT_PKiS9_iS4_
	.p2align	8
	.type	_Z35paged_attention_ll4mi_reduce_kernelI14__hip_bfloat16hLi64ELi64ELi256ELi7EEvPT0_PKfS4_PKT_PKiS9_iS4_,@function
_Z35paged_attention_ll4mi_reduce_kernelI14__hip_bfloat16hLi64ELi64ELi256ELi7EEvPT0_PKfS4_PKT_PKiS9_iS4_: ; @_Z35paged_attention_ll4mi_reduce_kernelI14__hip_bfloat16hLi64ELi64ELi256ELi7EEvPT0_PKfS4_PKT_PKiS9_iS4_
; %bb.0:
	s_load_dwordx2 s[26:27], s[0:1], 0x28
	s_mov_b32 s24, s3
	s_mov_b64 s[4:5], 0
	s_waitcnt lgkmcnt(0)
	s_cmp_lg_u64 s[26:27], 0
	s_cselect_b64 s[28:29], -1, 0
	s_and_b64 vcc, exec, s[28:29]
	s_cbranch_vccz .LBB406_23
; %bb.1:
	s_add_i32 s6, s24, 1
	s_mov_b32 s7, 0
	s_lshl_b64 s[8:9], s[6:7], 2
	s_add_u32 s8, s26, s8
	s_mov_b32 s25, s7
	s_addc_u32 s9, s27, s9
	s_lshl_b64 s[6:7], s[24:25], 2
	s_add_u32 s6, s26, s6
	s_addc_u32 s7, s27, s7
	s_load_dword s3, s[8:9], 0x0
	s_load_dword s10, s[6:7], 0x0
	s_waitcnt lgkmcnt(0)
	s_sub_i32 s3, s3, s10
	s_cmp_eq_u32 s3, 1
	s_cselect_b64 s[6:7], -1, 0
	s_andn2_b64 vcc, exec, s[4:5]
	s_cbranch_vccnz .LBB406_3
.LBB406_2:
	s_mov_b32 s25, 0
	s_mov_b64 s[6:7], -1
.LBB406_3:
	s_andn2_b64 vcc, exec, s[6:7]
	s_cbranch_vccz .LBB406_5
; %bb.4:
	s_endpgm
.LBB406_5:
	s_load_dwordx4 s[20:23], s[0:1], 0x18
	s_load_dword s8, s[0:1], 0x30
	s_lshl_b64 s[30:31], s[24:25], 2
	v_cmp_lt_u32_e32 vcc, 63, v0
	s_waitcnt lgkmcnt(0)
	s_add_u32 s4, s22, s30
	s_addc_u32 s5, s23, s31
	s_load_dword s40, s[4:5], 0x0
	s_load_dword s3, s[0:1], 0x40
	s_mul_i32 s22, s2, s8
	s_mul_i32 s6, s24, s8
	s_waitcnt lgkmcnt(0)
	s_add_i32 s7, s40, 0xff
	s_ashr_i32 s4, s7, 31
	s_lshr_b32 s4, s4, 24
	s_add_i32 s7, s7, s4
	s_and_saveexec_b64 s[4:5], vcc
	s_xor_b64 s[4:5], exec, s[4:5]
	s_or_saveexec_b64 s[34:35], s[4:5]
	s_ashr_i32 s33, s7, 8
	v_mov_b32_e32 v1, s22
	s_mul_i32 s36, s6, s3
	s_xor_b64 exec, exec, s[34:35]
	s_cbranch_execz .LBB406_9
; %bb.6:
	s_add_i32 s4, s33, -1
	v_or_b32_e32 v3, 64, v0
	v_mov_b32_e32 v1, s4
	v_cmp_gt_u32_e64 s[12:13], s33, v3
	s_load_dwordx4 s[16:19], s[0:1], 0x8
	s_mov_b32 s37, 0
	v_cndmask_b32_e64 v4, v1, v3, s[12:13]
	v_or_b32_e32 v3, 0x80, v0
	v_cmp_gt_u32_e64 s[10:11], s33, v3
	s_lshl_b64 s[38:39], s[36:37], 2
	s_mov_b32 s23, s37
	v_cndmask_b32_e64 v6, v1, v3, s[10:11]
	v_or_b32_e32 v3, 0xc0, v0
	v_cmp_gt_u32_e64 s[8:9], s33, v3
	v_cmp_gt_u32_e64 s[14:15], s33, v0
	s_waitcnt lgkmcnt(0)
	s_add_u32 s37, s18, s38
	v_cndmask_b32_e64 v8, v1, v3, s[8:9]
	v_or_b32_e32 v3, 0x100, v0
	v_cmp_gt_u32_e64 s[6:7], s33, v3
	v_cndmask_b32_e64 v2, v1, v0, s[14:15]
	s_addc_u32 s41, s19, s39
	v_cndmask_b32_e64 v10, v1, v3, s[6:7]
	v_or_b32_e32 v3, 0x140, v0
	v_cmp_gt_u32_e64 s[4:5], s33, v3
	s_lshl_b64 s[18:19], s[22:23], 2
	s_add_u32 s42, s37, s18
	v_cndmask_b32_e64 v12, v1, v3, s[4:5]
	v_or_b32_e32 v3, 0x180, v0
	v_cmp_gt_u32_e32 vcc, s33, v3
	s_addc_u32 s43, s41, s19
	v_ashrrev_i32_e32 v5, 31, v4
	v_cndmask_b32_e32 v14, v1, v3, vcc
	v_ashrrev_i32_e32 v3, 31, v2
	v_lshlrev_b64 v[2:3], 2, v[2:3]
	v_ashrrev_i32_e32 v7, 31, v6
	v_ashrrev_i32_e32 v9, 31, v8
	;; [unrolled: 1-line block ×5, first 2 shown]
	v_lshl_add_u64 v[16:17], s[42:43], 0, v[2:3]
	v_lshlrev_b64 v[4:5], 2, v[4:5]
	v_lshlrev_b64 v[6:7], 2, v[6:7]
	;; [unrolled: 1-line block ×6, first 2 shown]
	v_lshl_add_u64 v[18:19], s[42:43], 0, v[4:5]
	v_lshl_add_u64 v[20:21], s[42:43], 0, v[6:7]
	;; [unrolled: 1-line block ×6, first 2 shown]
	global_load_dword v1, v[16:17], off
	global_load_dword v30, v[18:19], off
	;; [unrolled: 1-line block ×7, first 2 shown]
	v_mbcnt_lo_u32_b32 v16, -1, 0
	s_add_u32 s16, s16, s38
	v_mbcnt_hi_u32_b32 v16, -1, v16
	s_addc_u32 s17, s17, s39
	v_and_b32_e32 v18, 64, v16
	s_add_u32 s18, s16, s18
	v_xor_b32_e32 v19, 32, v16
	s_addc_u32 s19, s17, s19
	v_add_u32_e32 v18, 64, v18
	v_lshl_add_u64 v[2:3], s[18:19], 0, v[2:3]
	v_cmp_lt_i32_e64 s[16:17], v19, v18
	global_load_dword v22, v[2:3], off
	v_xor_b32_e32 v20, 16, v16
	v_cndmask_b32_e64 v2, v16, v19, s[16:17]
	v_lshlrev_b32_e32 v19, 2, v2
	v_cmp_lt_i32_e64 s[16:17], v20, v18
	v_xor_b32_e32 v21, 8, v16
	v_xor_b32_e32 v23, 4, v16
	;; [unrolled: 1-line block ×3, first 2 shown]
	s_mov_b32 s41, 0x3fb8aa3b
	s_mov_b32 s23, 0xc2ce8ed0
	;; [unrolled: 1-line block ×3, first 2 shown]
	v_mov_b32_e32 v17, 0x7f800000
	s_waitcnt vmcnt(5)
	v_max3_f32 v2, v1, v30, v31
	s_waitcnt vmcnt(3)
	v_max3_f32 v2, v2, v32, v33
	;; [unrolled: 2-line block ×3, first 2 shown]
	ds_bpermute_b32 v26, v19, v25
	v_cndmask_b32_e64 v2, v16, v20, s[16:17]
	v_lshlrev_b32_e32 v20, 2, v2
	v_lshl_add_u64 v[2:3], s[18:19], 0, v[4:5]
	global_load_dword v27, v[2:3], off
	s_waitcnt lgkmcnt(0)
	v_max_f32_e32 v2, v26, v26
	v_max_f32_e32 v2, v25, v2
	ds_bpermute_b32 v3, v20, v2
	v_cmp_lt_i32_e64 s[16:17], v21, v18
	v_xor_b32_e32 v4, 1, v16
	s_waitcnt lgkmcnt(0)
	v_max_f32_e32 v3, v3, v3
	v_cndmask_b32_e64 v5, v16, v21, s[16:17]
	v_lshlrev_b32_e32 v21, 2, v5
	v_max_f32_e32 v5, v2, v3
	ds_bpermute_b32 v25, v21, v5
	v_cmp_lt_i32_e64 s[16:17], v23, v18
	s_nop 1
	v_cndmask_b32_e64 v2, v16, v23, s[16:17]
	v_lshlrev_b32_e32 v23, 2, v2
	v_lshl_add_u64 v[2:3], s[18:19], 0, v[6:7]
	global_load_dword v26, v[2:3], off
	s_waitcnt lgkmcnt(0)
	v_max_f32_e32 v2, v25, v25
	v_max_f32_e32 v2, v5, v2
	ds_bpermute_b32 v3, v23, v2
	v_cmp_lt_i32_e64 s[16:17], v24, v18
	v_lshl_add_u64 v[6:7], s[18:19], 0, v[12:13]
	s_waitcnt lgkmcnt(0)
	v_max_f32_e32 v3, v3, v3
	v_cndmask_b32_e64 v5, v16, v24, s[16:17]
	v_cmp_lt_i32_e64 s[16:17], v4, v18
	v_max_f32_e32 v18, v2, v3
	v_lshl_add_u64 v[2:3], s[18:19], 0, v[8:9]
	global_load_dword v9, v[2:3], off
	v_cndmask_b32_e64 v4, v16, v4, s[16:17]
	v_lshlrev_b32_e32 v16, 2, v5
	v_lshlrev_b32_e32 v25, 2, v4
	v_lshl_add_u64 v[4:5], s[18:19], 0, v[10:11]
	v_lshl_add_u64 v[2:3], s[18:19], 0, v[14:15]
	global_load_dword v11, v[4:5], off
	global_load_dword v12, v[6:7], off
	;; [unrolled: 1-line block ×3, first 2 shown]
	ds_bpermute_b32 v24, v16, v18
	s_waitcnt lgkmcnt(0)
	v_max_f32_e32 v8, v24, v24
	v_max_f32_e32 v8, v18, v8
	ds_bpermute_b32 v10, v25, v8
	s_waitcnt lgkmcnt(0)
	v_max_f32_e32 v2, v10, v10
	v_max_f32_e32 v2, v8, v2
	v_sub_f32_e32 v1, v1, v2
	v_mul_f32_e32 v4, 0x3fb8aa3b, v1
	v_fma_f32 v5, v1, s41, -v4
	v_rndne_f32_e32 v6, v4
	v_fmac_f32_e32 v5, 0x32a5705f, v1
	v_sub_f32_e32 v4, v4, v6
	v_add_f32_e32 v4, v4, v5
	v_cvt_i32_f32_e32 v6, v6
	v_exp_f32_e32 v4, v4
	v_sub_f32_e32 v3, v30, v2
	v_mul_f32_e32 v5, 0x3fb8aa3b, v3
	v_fma_f32 v7, v3, s41, -v5
	v_ldexp_f32 v4, v4, v6
	v_rndne_f32_e32 v6, v5
	v_fmac_f32_e32 v7, 0x32a5705f, v3
	v_sub_f32_e32 v5, v5, v6
	v_add_f32_e32 v5, v5, v7
	v_exp_f32_e32 v5, v5
	v_cvt_i32_f32_e32 v6, v6
	v_cmp_ngt_f32_e64 s[16:17], s23, v1
	s_nop 1
	v_cndmask_b32_e64 v4, 0, v4, s[16:17]
	v_cmp_nlt_f32_e64 s[16:17], s37, v1
	s_nop 1
	v_cndmask_b32_e64 v1, v17, v4, s[16:17]
	v_ldexp_f32 v4, v5, v6
	v_sub_f32_e32 v5, v31, v2
	v_mul_f32_e32 v6, 0x3fb8aa3b, v5
	v_fma_f32 v7, v5, s41, -v6
	v_rndne_f32_e32 v8, v6
	v_fmac_f32_e32 v7, 0x32a5705f, v5
	v_sub_f32_e32 v6, v6, v8
	v_add_f32_e32 v6, v6, v7
	v_exp_f32_e32 v6, v6
	v_cvt_i32_f32_e32 v7, v8
	v_cndmask_b32_e64 v1, 0, v1, s[14:15]
	v_cmp_ngt_f32_e64 s[14:15], s23, v3
	s_waitcnt vmcnt(6)
	v_mul_f32_e32 v1, v22, v1
	v_cndmask_b32_e64 v4, 0, v4, s[14:15]
	v_cmp_nlt_f32_e64 s[14:15], s37, v3
	s_nop 1
	v_cndmask_b32_e64 v3, v17, v4, s[14:15]
	v_ldexp_f32 v4, v6, v7
	v_sub_f32_e32 v6, v32, v2
	v_mul_f32_e32 v7, 0x3fb8aa3b, v6
	v_fma_f32 v8, v6, s41, -v7
	v_rndne_f32_e32 v10, v7
	v_fmac_f32_e32 v8, 0x32a5705f, v6
	v_sub_f32_e32 v7, v7, v10
	v_add_f32_e32 v7, v7, v8
	v_exp_f32_e32 v7, v7
	v_cvt_i32_f32_e32 v8, v10
	v_cndmask_b32_e64 v3, 0, v3, s[12:13]
	v_cmp_ngt_f32_e64 s[12:13], s23, v5
	s_waitcnt vmcnt(5)
	v_mul_f32_e32 v3, v27, v3
	v_cndmask_b32_e64 v4, 0, v4, s[12:13]
	v_cmp_nlt_f32_e64 s[12:13], s37, v5
	v_ldexp_f32 v5, v7, v8
	v_sub_f32_e32 v7, v33, v2
	v_mul_f32_e32 v8, 0x3fb8aa3b, v7
	v_fma_f32 v10, v7, s41, -v8
	v_rndne_f32_e32 v14, v8
	v_fmac_f32_e32 v10, 0x32a5705f, v7
	v_sub_f32_e32 v8, v8, v14
	v_add_f32_e32 v8, v8, v10
	v_cndmask_b32_e64 v4, v17, v4, s[12:13]
	v_exp_f32_e32 v8, v8
	v_cvt_i32_f32_e32 v10, v14
	v_cndmask_b32_e64 v4, 0, v4, s[10:11]
	v_cmp_ngt_f32_e64 s[10:11], s23, v6
	s_waitcnt vmcnt(4)
	v_mul_f32_e32 v4, v26, v4
	v_cndmask_b32_e64 v5, 0, v5, s[10:11]
	v_cmp_nlt_f32_e64 s[10:11], s37, v6
	v_ldexp_f32 v6, v8, v10
	v_sub_f32_e32 v8, v34, v2
	v_cndmask_b32_e64 v5, v17, v5, s[10:11]
	v_cndmask_b32_e64 v5, 0, v5, s[8:9]
	s_waitcnt vmcnt(3)
	v_mul_f32_e32 v5, v9, v5
	v_mul_f32_e32 v9, 0x3fb8aa3b, v8
	v_fma_f32 v10, v8, s41, -v9
	v_rndne_f32_e32 v14, v9
	v_fmac_f32_e32 v10, 0x32a5705f, v8
	v_sub_f32_e32 v9, v9, v14
	v_add_f32_e32 v9, v9, v10
	v_exp_f32_e32 v9, v9
	v_cvt_i32_f32_e32 v10, v14
	v_cmp_ngt_f32_e64 s[8:9], s23, v7
	v_sub_f32_e32 v2, v35, v2
	s_nop 0
	v_cndmask_b32_e64 v6, 0, v6, s[8:9]
	v_cmp_nlt_f32_e64 s[8:9], s37, v7
	v_ldexp_f32 v7, v9, v10
	v_mul_f32_e32 v9, 0x3fb8aa3b, v2
	v_cndmask_b32_e64 v6, v17, v6, s[8:9]
	v_cndmask_b32_e64 v6, 0, v6, s[6:7]
	s_waitcnt vmcnt(2)
	v_mul_f32_e32 v6, v11, v6
	v_fma_f32 v10, v2, s41, -v9
	v_rndne_f32_e32 v11, v9
	v_fmac_f32_e32 v10, 0x32a5705f, v2
	v_sub_f32_e32 v9, v9, v11
	v_add_f32_e32 v9, v9, v10
	v_exp_f32_e32 v9, v9
	v_cvt_i32_f32_e32 v10, v11
	v_cmp_ngt_f32_e64 s[6:7], s23, v8
	v_lshlrev_b32_e32 v11, 2, v0
	ds_write2st64_b32 v11, v1, v3 offset1:1
	v_cndmask_b32_e64 v7, 0, v7, s[6:7]
	v_cmp_nlt_f32_e64 s[6:7], s37, v8
	v_ldexp_f32 v8, v9, v10
	s_nop 0
	v_cndmask_b32_e64 v7, v17, v7, s[6:7]
	v_cndmask_b32_e64 v7, 0, v7, s[4:5]
	v_cmp_ngt_f32_e64 s[4:5], s23, v2
	s_waitcnt vmcnt(1)
	v_mul_f32_e32 v7, v12, v7
	v_cndmask_b32_e64 v8, 0, v8, s[4:5]
	v_cmp_nlt_f32_e64 s[4:5], s37, v2
	s_nop 1
	v_cndmask_b32_e64 v2, v17, v8, s[4:5]
	v_add_f32_e32 v8, v1, v3
	v_add_f32_e32 v8, v8, v4
	;; [unrolled: 1-line block ×4, first 2 shown]
	v_cndmask_b32_e32 v2, 0, v2, vcc
	v_add_f32_e32 v8, v8, v7
	s_waitcnt vmcnt(0)
	v_fmac_f32_e32 v8, v13, v2
	ds_bpermute_b32 v9, v19, v8
	v_mul_f32_e32 v10, v13, v2
	v_cmp_eq_u32_e32 vcc, 0, v0
	ds_write2st64_b32 v11, v4, v5 offset0:2 offset1:3
	ds_write2st64_b32 v11, v6, v7 offset0:4 offset1:5
	ds_write_b32 v11, v10 offset:1536
	s_waitcnt lgkmcnt(3)
	v_add_f32_e32 v8, v8, v9
	ds_bpermute_b32 v9, v20, v8
	s_waitcnt lgkmcnt(0)
	v_add_f32_e32 v8, v8, v9
	ds_bpermute_b32 v9, v21, v8
	;; [unrolled: 3-line block ×5, first 2 shown]
	s_and_saveexec_b64 s[4:5], vcc
	s_cbranch_execz .LBB406_8
; %bb.7:
	s_waitcnt lgkmcnt(0)
	v_add_f32_e32 v1, v1, v2
	v_mov_b32_e32 v2, 0
	ds_write_b32 v2, v1 offset:1792
.LBB406_8:
	s_or_b64 exec, exec, s[4:5]
	v_mov_b32_e32 v1, s22
.LBB406_9:
	s_or_b64 exec, exec, s[34:35]
	s_lshl_b32 s4, s36, 6
	s_mov_b32 s5, 0
	s_lshl_b64 s[4:5], s[4:5], 1
	s_add_u32 s4, s20, s4
	s_addc_u32 s5, s21, s5
	s_lshl_b32 s10, s33, 6
	s_waitcnt lgkmcnt(0)
	v_lshlrev_b32_e32 v2, 6, v1
	v_mov_b32_e32 v1, 0
	s_sub_i32 s11, s10, 64
	v_mov_b32_e32 v3, v1
	s_cmp_lt_i32 s40, 1
	v_lshl_add_u64 v[2:3], v[2:3], 1, s[4:5]
	s_cselect_b32 s4, s11, 0
	v_lshlrev_b32_e32 v4, 1, v0
	v_mov_b32_e32 v5, v1
	s_ashr_i32 s5, s4, 31
	v_lshl_add_u64 v[2:3], v[2:3], 0, v[4:5]
	s_cmpk_lt_i32 s40, 0x101
	v_lshl_add_u64 v[4:5], s[4:5], 1, v[2:3]
	s_cselect_b32 s4, s11, 64
	s_ashr_i32 s5, s4, 31
	s_cmpk_lt_i32 s40, 0x201
	v_lshl_add_u64 v[6:7], s[4:5], 1, v[2:3]
	s_cselect_b32 s4, s11, 0x80
	s_ashr_i32 s5, s4, 31
	;; [unrolled: 4-line block ×8, first 2 shown]
	s_cmpk_lt_i32 s40, 0x901
	global_load_ushort v23, v[4:5], off
	global_load_ushort v22, v[6:7], off
	;; [unrolled: 1-line block ×8, first 2 shown]
	v_lshl_add_u64 v[4:5], s[4:5], 1, v[2:3]
	s_cselect_b32 s4, s11, 0x240
	s_ashr_i32 s5, s4, 31
	s_cmpk_lt_i32 s40, 0xa01
	v_lshl_add_u64 v[6:7], s[4:5], 1, v[2:3]
	s_cselect_b32 s4, s11, 0x280
	s_ashr_i32 s5, s4, 31
	s_cmpk_lt_i32 s40, 0xb01
	;; [unrolled: 4-line block ×6, first 2 shown]
	v_lshl_add_u64 v[32:33], s[4:5], 1, v[2:3]
	s_cselect_b32 s4, s11, 0x3c0
	s_ashr_i32 s5, s4, 31
	v_lshl_add_u64 v[34:35], s[4:5], 1, v[2:3]
	global_load_ushort v30, v[4:5], off
	global_load_ushort v31, v[6:7], off
	;; [unrolled: 1-line block ×8, first 2 shown]
	s_cmpk_gt_i32 s40, 0x1000
	s_cselect_b64 s[8:9], -1, 0
	s_cmpk_lt_i32 s40, 0x1001
	v_mov_b32_e32 v40, 0
	v_mov_b32_e32 v41, 0
	v_mov_b32_e32 v42, 0
	v_mov_b32_e32 v43, 0
	v_mov_b32_e32 v44, 0
	v_mov_b32_e32 v45, 0
	v_mov_b32_e32 v46, 0
	v_mov_b32_e32 v47, 0
	v_mov_b32_e32 v32, 0
	v_mov_b32_e32 v33, 0
	v_mov_b32_e32 v34, 0
	v_mov_b32_e32 v35, 0
	v_mov_b32_e32 v36, 0
	v_mov_b32_e32 v37, 0
	v_mov_b32_e32 v38, 0
	v_mov_b32_e32 v39, 0
	v_mov_b32_e32 v4, 0
	v_mov_b32_e32 v5, 0
	v_mov_b32_e32 v6, 0
	v_mov_b32_e32 v7, 0
	v_mov_b32_e32 v8, 0
	v_mov_b32_e32 v9, 0
	v_mov_b32_e32 v10, 0
	v_mov_b32_e32 v11, 0
	v_mov_b32_e32 v12, 0
	v_mov_b32_e32 v13, 0
	v_mov_b32_e32 v14, 0
	v_mov_b32_e32 v15, 0
	v_mov_b32_e32 v48, 0
	v_mov_b32_e32 v50, 0
	v_mov_b32_e32 v49, 0
	v_mov_b32_e32 v51, 0
	v_mov_b32_e32 v52, 0
	v_mov_b32_e32 v54, 0
	v_mov_b32_e32 v53, 0
	v_mov_b32_e32 v56, 0
	v_mov_b32_e32 v55, 0
	v_mov_b32_e32 v58, 0
	v_mov_b32_e32 v57, 0
	v_mov_b32_e32 v60, 0
	v_mov_b32_e32 v59, 0
	v_mov_b32_e32 v62, 0
	v_mov_b32_e32 v61, 0
	v_mov_b32_e32 v64, 0
	v_mov_b32_e32 v63, 0
	v_mov_b32_e32 v66, 0
	v_mov_b32_e32 v65, 0
	v_mov_b32_e32 v67, 0
	s_waitcnt lgkmcnt(0)
	; wave barrier
	s_cbranch_scc1 .LBB406_12
; %bb.10:
	s_cmpk_lt_u32 s40, 0x1101
	s_cselect_b32 s4, s11, 0x440
	s_ashr_i32 s5, s4, 31
	s_cmpk_lt_u32 s40, 0x1201
	v_lshl_add_u64 v[4:5], s[4:5], 1, v[2:3]
	s_cselect_b32 s4, s11, 0x480
	s_ashr_i32 s5, s4, 31
	s_cmpk_lt_u32 s40, 0x1301
	v_lshl_add_u64 v[6:7], s[4:5], 1, v[2:3]
	;; [unrolled: 4-line block ×7, first 2 shown]
	s_cselect_b32 s4, s11, 0x600
	s_ashr_i32 s5, s4, 31
	s_cmpk_lt_u32 s40, 0x1901
	global_load_ushort v39, v[2:3], off offset:2048
	global_load_ushort v38, v[4:5], off
	global_load_ushort v37, v[6:7], off
	;; [unrolled: 1-line block ×7, first 2 shown]
	v_lshl_add_u64 v[4:5], s[4:5], 1, v[2:3]
	s_cselect_b32 s4, s11, 0x640
	s_ashr_i32 s5, s4, 31
	s_cmpk_lt_u32 s40, 0x1a01
	v_lshl_add_u64 v[6:7], s[4:5], 1, v[2:3]
	s_cselect_b32 s4, s11, 0x680
	s_ashr_i32 s5, s4, 31
	s_cmpk_lt_u32 s40, 0x1b01
	;; [unrolled: 4-line block ×6, first 2 shown]
	v_lshl_add_u64 v[48:49], s[4:5], 1, v[2:3]
	s_cselect_b32 s4, s11, 0x7c0
	s_ashr_i32 s5, s4, 31
	v_lshl_add_u64 v[50:51], s[4:5], 1, v[2:3]
	global_load_ushort v47, v[4:5], off
	global_load_ushort v46, v[6:7], off
	;; [unrolled: 1-line block ×8, first 2 shown]
	s_cmpk_lt_u32 s40, 0x2001
	v_mov_b32_e32 v67, 0
	v_mov_b32_e32 v65, 0
	;; [unrolled: 1-line block ×32, first 2 shown]
	s_cbranch_scc1 .LBB406_12
; %bb.11:
	s_cmpk_lt_u32 s40, 0x2101
	s_cselect_b32 s4, s11, 0x840
	s_ashr_i32 s5, s4, 31
	s_cmpk_lt_u32 s40, 0x2201
	v_lshl_add_u64 v[4:5], s[4:5], 1, v[2:3]
	s_cselect_b32 s4, s11, 0x880
	s_ashr_i32 s5, s4, 31
	s_cmpk_lt_u32 s40, 0x2301
	v_lshl_add_u64 v[6:7], s[4:5], 1, v[2:3]
	;; [unrolled: 4-line block ×29, first 2 shown]
	s_cselect_b32 s4, s11, 0xf80
	s_ashr_i32 s5, s4, 31
	v_lshl_add_u64 v[94:95], s[4:5], 1, v[2:3]
	s_movk_i32 s4, 0x1000
	s_cmpk_lt_u32 s40, 0x3f01
	v_add_co_u32_e32 v96, vcc, s4, v2
	s_cselect_b32 s4, s11, 0xfc0
	s_nop 0
	v_addc_co_u32_e32 v97, vcc, 0, v3, vcc
	s_ashr_i32 s5, s4, 31
	global_load_ushort v98, v[96:97], off
	global_load_ushort v99, v[4:5], off
	global_load_ushort v100, v[6:7], off
	global_load_ushort v101, v[8:9], off
	global_load_ushort v102, v[10:11], off
	global_load_ushort v103, v[12:13], off
	global_load_ushort v104, v[14:15], off
	global_load_ushort v105, v[48:49], off
	global_load_ushort v106, v[50:51], off
	global_load_ushort v107, v[52:53], off
	global_load_ushort v108, v[54:55], off
	global_load_ushort v109, v[56:57], off
	global_load_ushort v110, v[58:59], off
	global_load_ushort v111, v[60:61], off
	global_load_ushort v112, v[62:63], off
                                        ; kill: killed $vgpr14_vgpr15
                                        ; kill: killed $vgpr96 killed $vgpr97
                                        ; kill: killed $vgpr52_vgpr53
                                        ; kill: killed $vgpr4_vgpr5
                                        ; kill: killed $vgpr58_vgpr59
                                        ; kill: killed $vgpr10_vgpr11
                                        ; kill: killed $vgpr48_vgpr49
                                        ; kill: killed $vgpr54_vgpr55
                                        ; kill: killed $vgpr6_vgpr7
                                        ; kill: killed $vgpr60_vgpr61
                                        ; kill: killed $vgpr12_vgpr13
                                        ; kill: killed $vgpr50_vgpr51
                                        ; kill: killed $vgpr56_vgpr57
                                        ; kill: killed $vgpr8_vgpr9
                                        ; kill: killed $vgpr62_vgpr63
	global_load_ushort v6, v[64:65], off
	global_load_ushort v7, v[66:67], off
	global_load_ushort v8, v[68:69], off
	global_load_ushort v9, v[70:71], off
	global_load_ushort v10, v[72:73], off
	global_load_ushort v11, v[82:83], off
	global_load_ushort v13, v[80:81], off
	global_load_ushort v12, v[78:79], off
	global_load_ushort v15, v[76:77], off
	global_load_ushort v14, v[74:75], off
	global_load_ushort v96, v[84:85], off
	global_load_ushort v97, v[94:95], off
	global_load_ushort v113, v[92:93], off
	global_load_ushort v114, v[90:91], off
	global_load_ushort v115, v[88:89], off
                                        ; kill: killed $vgpr78_vgpr79
                                        ; kill: killed $vgpr84_vgpr85
                                        ; kill: killed $vgpr68_vgpr69
                                        ; kill: killed $vgpr90_vgpr91
                                        ; kill: killed $vgpr74_vgpr75
                                        ; kill: killed $vgpr80_vgpr81
                                        ; kill: killed $vgpr64_vgpr65
                                        ; kill: killed $vgpr70_vgpr71
                                        ; kill: killed $vgpr92_vgpr93
                                        ; kill: killed $vgpr76_vgpr77
                                        ; kill: killed $vgpr82_vgpr83
                                        ; kill: killed $vgpr66_vgpr67
                                        ; kill: killed $vgpr88_vgpr89
                                        ; kill: killed $vgpr72_vgpr73
                                        ; kill: killed $vgpr94_vgpr95
	global_load_ushort v68, v[86:87], off
	v_lshl_add_u64 v[4:5], s[4:5], 1, v[2:3]
	global_load_ushort v5, v[4:5], off
	s_waitcnt vmcnt(31)
	v_lshlrev_b32_e32 v67, 16, v98
	s_waitcnt vmcnt(30)
	v_lshlrev_b32_e32 v65, 16, v99
	;; [unrolled: 2-line block ×32, first 2 shown]
.LBB406_12:
	s_load_dwordx2 s[4:5], s[0:1], 0x0
	s_load_dwordx2 s[6:7], s[0:1], 0x38
	ds_read_b128 v[68:71], v1
	s_waitcnt vmcnt(15)
	v_lshlrev_b32_e32 v23, 16, v23
	ds_read_b128 v[72:75], v1 offset:16
	ds_read_b128 v[76:79], v1 offset:32
	;; [unrolled: 1-line block ×3, first 2 shown]
	s_waitcnt vmcnt(14)
	v_lshlrev_b32_e32 v22, 16, v22
	s_waitcnt vmcnt(13)
	v_lshlrev_b32_e32 v21, 16, v21
	s_waitcnt lgkmcnt(0)
	v_fma_f32 v23, v68, v23, 0
	v_fmac_f32_e32 v23, v69, v22
	v_fmac_f32_e32 v23, v70, v21
	s_waitcnt vmcnt(12)
	v_lshlrev_b32_e32 v20, 16, v20
	s_waitcnt vmcnt(10)
	v_lshlrev_b32_e32 v19, 16, v19
	v_lshlrev_b32_e32 v18, 16, v18
	v_fmac_f32_e32 v23, v71, v20
	v_pk_mul_f32 v[18:19], v[72:73], v[18:19]
	s_waitcnt vmcnt(8)
	v_lshlrev_b32_e32 v17, 16, v17
	v_add_f32_e32 v18, v23, v18
	v_lshlrev_b32_e32 v16, 16, v16
	v_add_f32_e32 v18, v18, v19
	v_pk_mul_f32 v[16:17], v[74:75], v[16:17]
	s_and_b64 vcc, exec, s[8:9]
	v_add_f32_e32 v16, v18, v16
	v_add_f32_e32 v18, v16, v17
	s_waitcnt vmcnt(6)
	v_lshlrev_b32_e32 v17, 16, v31
	v_lshlrev_b32_e32 v16, 16, v30
	v_pk_mul_f32 v[16:17], v[76:77], v[16:17]
	s_nop 0
	v_add_f32_e32 v16, v18, v16
	v_add_f32_e32 v18, v16, v17
	s_waitcnt vmcnt(4)
	v_lshlrev_b32_e32 v17, 16, v29
	v_lshlrev_b32_e32 v16, 16, v28
	v_pk_mul_f32 v[16:17], v[78:79], v[16:17]
	s_nop 0
	;; [unrolled: 7-line block ×4, first 2 shown]
	v_add_f32_e32 v16, v18, v16
	v_add_f32_e32 v110, v16, v17
	s_cbranch_vccz .LBB406_15
; %bb.13:
	ds_read_b128 v[16:19], v1 offset:64
	v_lshlrev_b32_e32 v39, 16, v39
	ds_read_b128 v[20:23], v1 offset:80
	ds_read_b128 v[24:27], v1 offset:96
	;; [unrolled: 1-line block ×3, first 2 shown]
	s_cmpk_lt_u32 s40, 0x2001
	s_waitcnt lgkmcnt(3)
	v_fmac_f32_e32 v110, v16, v39
	v_lshlrev_b32_e32 v16, 16, v38
	v_fmac_f32_e32 v110, v17, v16
	v_lshlrev_b32_e32 v16, 16, v37
	v_fmac_f32_e32 v110, v18, v16
	v_lshlrev_b32_e32 v16, 16, v36
	v_fmac_f32_e32 v110, v19, v16
	v_lshlrev_b32_e32 v16, 16, v35
	s_waitcnt lgkmcnt(2)
	v_fmac_f32_e32 v110, v20, v16
	v_lshlrev_b32_e32 v16, 16, v34
	v_fmac_f32_e32 v110, v21, v16
	v_lshlrev_b32_e32 v16, 16, v33
	v_fmac_f32_e32 v110, v22, v16
	v_lshlrev_b32_e32 v16, 16, v32
	v_fmac_f32_e32 v110, v23, v16
	v_lshlrev_b32_e32 v16, 16, v47
	;; [unrolled: 9-line block ×3, first 2 shown]
	s_waitcnt lgkmcnt(0)
	v_fmac_f32_e32 v110, v28, v16
	v_lshlrev_b32_e32 v16, 16, v42
	v_fmac_f32_e32 v110, v29, v16
	v_lshlrev_b32_e32 v16, 16, v41
	;; [unrolled: 2-line block ×3, first 2 shown]
	v_fmac_f32_e32 v110, v31, v16
	s_cbranch_scc1 .LBB406_15
; %bb.14:
	v_mov_b32_e32 v32, 0
	ds_read_b128 v[16:19], v32 offset:128
	ds_read_b128 v[20:23], v32 offset:144
	;; [unrolled: 1-line block ×4, first 2 shown]
	s_waitcnt lgkmcnt(3)
	v_fmac_f32_e32 v110, v16, v67
	v_fmac_f32_e32 v110, v17, v65
	v_fmac_f32_e32 v110, v18, v66
	v_fmac_f32_e32 v110, v19, v63
	s_waitcnt lgkmcnt(2)
	v_fmac_f32_e32 v110, v20, v64
	v_fmac_f32_e32 v110, v21, v61
	v_fmac_f32_e32 v110, v22, v62
	v_fmac_f32_e32 v110, v23, v59
	s_waitcnt lgkmcnt(1)
	v_fmac_f32_e32 v110, v24, v60
	v_fmac_f32_e32 v110, v25, v57
	v_fmac_f32_e32 v110, v26, v58
	v_fmac_f32_e32 v110, v27, v55
	ds_read_b128 v[16:19], v32 offset:192
	ds_read_b128 v[20:23], v32 offset:208
	s_waitcnt lgkmcnt(2)
	v_fmac_f32_e32 v110, v28, v56
	v_fmac_f32_e32 v110, v29, v53
	;; [unrolled: 1-line block ×4, first 2 shown]
	s_waitcnt lgkmcnt(1)
	v_fmac_f32_e32 v110, v16, v51
	v_fmac_f32_e32 v110, v17, v49
	;; [unrolled: 1-line block ×4, first 2 shown]
	s_waitcnt lgkmcnt(0)
	v_pk_mul_f32 v[14:15], v[20:21], v[14:15]
	v_pk_mul_f32 v[12:13], v[22:23], v[12:13]
	v_add_f32_e32 v14, v110, v14
	v_add_f32_e32 v18, v14, v15
	ds_read_b128 v[14:17], v32 offset:224
	v_add_f32_e32 v12, v18, v12
	ds_read_b128 v[18:21], v32 offset:240
	v_add_f32_e32 v12, v12, v13
	s_waitcnt lgkmcnt(1)
	v_pk_mul_f32 v[10:11], v[14:15], v[10:11]
	s_nop 0
	v_add_f32_e32 v10, v12, v10
	v_add_f32_e32 v10, v10, v11
	v_pk_mul_f32 v[8:9], v[16:17], v[8:9]
	s_waitcnt lgkmcnt(0)
	v_pk_mul_f32 v[6:7], v[18:19], v[6:7]
	v_add_f32_e32 v8, v10, v8
	v_add_f32_e32 v8, v8, v9
	;; [unrolled: 1-line block ×4, first 2 shown]
	v_pk_mul_f32 v[4:5], v[20:21], v[4:5]
	s_nop 0
	v_add_f32_e32 v4, v6, v4
	v_add_f32_e32 v110, v4, v5
.LBB406_15:
	s_movk_i32 s0, 0x1fc0
	s_movk_i32 s1, 0x100
	s_mov_b32 s8, 64
	s_branch .LBB406_17
.LBB406_16:                             ;   in Loop: Header=BB406_17 Depth=1
	s_addk_i32 s0, 0x1000
	s_addk_i32 s1, 0x100
	s_add_i32 s8, s8, 64
	s_cmpk_eq_i32 s0, 0x7fc0
	s_cbranch_scc1 .LBB406_19
.LBB406_17:                             ; =>This Inner Loop Header: Depth=1
	s_cmp_le_i32 s33, s8
	s_cbranch_scc1 .LBB406_16
; %bb.18:                               ;   in Loop: Header=BB406_17 Depth=1
	s_add_i32 s9, s0, 0xfffff040
	s_cmp_lt_i32 s9, s10
	s_cselect_b32 s12, s9, s11
	s_ashr_i32 s13, s12, 31
	s_add_i32 s9, s0, 0xfffff080
	s_cmp_lt_i32 s9, s10
	v_lshl_add_u64 v[44:45], s[12:13], 1, v[2:3]
	s_cselect_b32 s12, s9, s11
	s_ashr_i32 s13, s12, 31
	s_add_i32 s9, s0, 0xfffff0c0
	s_cmp_lt_i32 s9, s10
	v_lshl_add_u64 v[4:5], s[12:13], 1, v[2:3]
	;; [unrolled: 5-line block ×17, first 2 shown]
	s_cselect_b32 s12, s9, s11
	s_ashr_i32 s13, s12, 31
	s_add_i32 s9, s0, 0xfffff4c0
	s_cmp_lt_i32 s9, s10
	global_load_ushort v111, v[44:45], off
	global_load_ushort v121, v[46:47], off
	v_lshl_add_u64 v[22:23], s[12:13], 1, v[2:3]
	s_cselect_b32 s12, s9, s11
	global_load_ushort v112, v[4:5], off
	global_load_ushort v113, v[6:7], off
	;; [unrolled: 1-line block ×7, first 2 shown]
	s_ashr_i32 s13, s12, 31
	s_add_i32 s9, s0, 0xfffff500
	s_cmp_lt_i32 s9, s10
	v_lshl_add_u64 v[24:25], s[12:13], 1, v[2:3]
	s_cselect_b32 s12, s9, s11
	s_ashr_i32 s13, s12, 31
	s_add_i32 s9, s0, 0xfffff540
	s_cmp_lt_i32 s9, s10
	v_lshl_add_u64 v[32:33], s[12:13], 1, v[2:3]
	s_cselect_b32 s12, s9, s11
	;; [unrolled: 5-line block ×3, first 2 shown]
	s_ashr_i32 s13, s12, 31
	s_add_i32 s9, s0, 0xfffff5c0
	s_cmp_lt_i32 s9, s10
	global_load_ushort v119, v[28:29], off
	global_load_ushort v120, v[30:31], off
	v_lshl_add_u64 v[34:35], s[12:13], 1, v[2:3]
	s_cselect_b32 s12, s9, s11
	s_ashr_i32 s13, s12, 31
	s_add_i32 s9, s0, 0xfffff600
	s_cmp_lt_i32 s9, s10
	v_lshl_add_u64 v[36:37], s[12:13], 1, v[2:3]
	s_cselect_b32 s12, s9, s11
	s_ashr_i32 s13, s12, 31
	s_add_i32 s9, s0, 0xfffff640
	s_cmp_lt_i32 s9, s10
	v_lshl_add_u64 v[50:51], s[12:13], 1, v[2:3]
	s_cselect_b32 s12, s9, s11
	global_load_ushort v122, v[54:55], off
	global_load_ushort v123, v[56:57], off
	s_ashr_i32 s13, s12, 31
	global_load_ushort v58, v[58:59], off
	s_add_i32 s9, s0, 0xfffff680
	s_cmp_lt_i32 s9, s10
	v_lshl_add_u64 v[38:39], s[12:13], 1, v[2:3]
	s_cselect_b32 s12, s9, s11
	global_load_ushort v59, v[60:61], off
	s_ashr_i32 s13, s12, 31
	s_add_i32 s9, s0, 0xfffff6c0
	global_load_ushort v60, v[66:67], off
	global_load_ushort v61, v[62:63], off
	s_cmp_lt_i32 s9, s10
	v_lshl_add_u64 v[18:19], s[12:13], 1, v[2:3]
	s_cselect_b32 s12, s9, s11
	s_ashr_i32 s13, s12, 31
	s_add_i32 s9, s0, 0xfffff700
	s_cmp_lt_i32 s9, s10
	v_lshl_add_u64 v[20:21], s[12:13], 1, v[2:3]
	s_cselect_b32 s12, s9, s11
	s_ashr_i32 s13, s12, 31
	s_add_i32 s9, s0, 0xfffff740
	;; [unrolled: 5-line block ×3, first 2 shown]
	s_cmp_lt_i32 s9, s10
	v_lshl_add_u64 v[42:43], s[12:13], 1, v[2:3]
	s_cselect_b32 s12, s9, s11
	global_load_ushort v62, v[22:23], off
	s_ashr_i32 s13, s12, 31
	s_add_i32 s9, s0, 0xfffff7c0
	global_load_ushort v66, v[32:33], off
	global_load_ushort v124, v[34:35], off
	;; [unrolled: 1-line block ×4, first 2 shown]
	s_cmp_lt_i32 s9, s10
	v_lshl_add_u64 v[26:27], s[12:13], 1, v[2:3]
	s_cselect_b32 s12, s9, s11
	global_load_ushort v67, v[48:49], off
	s_ashr_i32 s13, s12, 31
	s_add_i32 s9, s0, 0xfffff800
	s_cmp_lt_i32 s9, s10
	v_lshl_add_u64 v[52:53], s[12:13], 1, v[2:3]
	s_cselect_b32 s12, s9, s11
	s_ashr_i32 s13, s12, 31
	s_add_i32 s9, s0, 0xfffff840
	s_cmp_lt_i32 s9, s10
	v_lshl_add_u64 v[64:65], s[12:13], 1, v[2:3]
	s_cselect_b32 s12, s9, s11
	s_ashr_i32 s13, s12, 31
	s_add_i32 s9, s0, 0xfffff880
	s_cmp_lt_i32 s9, s10
	v_mov_b32_e32 v125, s1
	v_lshl_add_u64 v[68:69], s[12:13], 1, v[2:3]
	s_cselect_b32 s12, s9, s11
	ds_read_b128 v[30:33], v125
	ds_read_b128 v[34:37], v125 offset:16
	global_load_ushort v50, v[50:51], off
	s_ashr_i32 s13, s12, 31
	s_add_i32 s9, s0, 0xfffff8c0
	s_cmp_lt_i32 s9, s10
	v_lshl_add_u64 v[70:71], s[12:13], 1, v[2:3]
	s_cselect_b32 s12, s9, s11
	ds_read_b128 v[46:49], v125 offset:32
	ds_read_b128 v[54:57], v125 offset:48
	global_load_ushort v38, v[38:39], off
	s_ashr_i32 s13, s12, 31
	s_add_i32 s9, s0, 0xfffff900
	s_cmp_lt_i32 s9, s10
	v_lshl_add_u64 v[72:73], s[12:13], 1, v[2:3]
	s_cselect_b32 s12, s9, s11
	global_load_ushort v39, v[18:19], off
	s_ashr_i32 s13, s12, 31
	global_load_ushort v26, v[26:27], off
	s_add_i32 s9, s0, 0xfffff940
	s_cmp_lt_i32 s9, s10
	v_lshl_add_u64 v[74:75], s[12:13], 1, v[2:3]
	s_cselect_b32 s12, s9, s11
	s_ashr_i32 s13, s12, 31
	s_add_i32 s9, s0, 0xfffff980
	s_cmp_lt_i32 s9, s10
	v_lshl_add_u64 v[76:77], s[12:13], 1, v[2:3]
	s_cselect_b32 s12, s9, s11
	s_ashr_i32 s13, s12, 31
	;; [unrolled: 5-line block ×5, first 2 shown]
	s_add_i32 s9, s0, 0xfffffa80
	s_cmp_lt_i32 s9, s10
	v_lshl_add_u64 v[84:85], s[12:13], 1, v[2:3]
	global_load_ushort v51, v[84:85], off
	s_cselect_b32 s12, s9, s11
	s_ashr_i32 s13, s12, 31
	s_add_i32 s9, s0, 0xfffffac0
	s_cmp_lt_i32 s9, s10
	v_lshl_add_u64 v[86:87], s[12:13], 1, v[2:3]
	s_cselect_b32 s12, s9, s11
	s_ashr_i32 s13, s12, 31
	s_add_i32 s9, s0, 0xfffffb00
	s_cmp_lt_i32 s9, s10
	v_lshl_add_u64 v[88:89], s[12:13], 1, v[2:3]
	;; [unrolled: 5-line block ×3, first 2 shown]
	s_cselect_b32 s12, s9, s11
	s_ashr_i32 s13, s12, 31
	s_add_i32 s9, s0, 0xfffffb80
	s_waitcnt vmcnt(27)
	v_lshlrev_b32_e32 v111, 16, v111
	s_cmp_lt_i32 s9, s10
	s_waitcnt lgkmcnt(3)
	v_fmac_f32_e32 v110, v30, v111
	s_waitcnt vmcnt(25)
	v_lshlrev_b32_e32 v30, 16, v112
	v_lshl_add_u64 v[92:93], s[12:13], 1, v[2:3]
	s_cselect_b32 s12, s9, s11
	v_fmac_f32_e32 v110, v31, v30
	s_waitcnt vmcnt(24)
	v_lshlrev_b32_e32 v30, 16, v113
	s_ashr_i32 s13, s12, 31
	s_add_i32 s9, s0, 0xfffffbc0
	v_fmac_f32_e32 v110, v32, v30
	s_waitcnt vmcnt(23)
	v_lshlrev_b32_e32 v30, 16, v114
	s_cmp_lt_i32 s9, s10
	v_fmac_f32_e32 v110, v33, v30
	s_waitcnt vmcnt(22)
	v_lshlrev_b32_e32 v18, 16, v115
	v_lshl_add_u64 v[94:95], s[12:13], 1, v[2:3]
	s_cselect_b32 s12, s9, s11
	s_waitcnt lgkmcnt(2)
	v_fmac_f32_e32 v110, v34, v18
	global_load_ushort v34, v[20:21], off
	s_ashr_i32 s13, s12, 31
	global_load_ushort v40, v[40:41], off
	s_add_i32 s9, s0, 0xfffffc00
	s_waitcnt vmcnt(23)
	v_lshlrev_b32_e32 v18, 16, v116
	s_cmp_lt_i32 s9, s10
	v_fmac_f32_e32 v110, v35, v18
	global_load_ushort v35, v[42:43], off
	global_load_ushort v27, v[52:53], off
	v_lshl_add_u64 v[96:97], s[12:13], 1, v[2:3]
	s_cselect_b32 s12, s9, s11
	s_ashr_i32 s13, s12, 31
	s_add_i32 s9, s0, 0xfffffc40
	s_cmp_lt_i32 s9, s10
	s_waitcnt vmcnt(24)
	v_lshlrev_b32_e32 v18, 16, v117
	v_lshl_add_u64 v[100:101], s[12:13], 1, v[2:3]
	s_cselect_b32 s12, s9, s11
	v_fmac_f32_e32 v110, v36, v18
	global_load_ushort v36, v[64:65], off
	s_waitcnt vmcnt(24)
	v_lshlrev_b32_e32 v18, 16, v118
	s_ashr_i32 s13, s12, 31
	s_add_i32 s9, s0, 0xfffffc80
	v_fmac_f32_e32 v110, v37, v18
	global_load_ushort v37, v[68:69], off
	s_waitcnt vmcnt(24)
	v_lshlrev_b32_e32 v18, 16, v119
	s_cmp_lt_i32 s9, s10
	s_waitcnt lgkmcnt(1)
	v_fmac_f32_e32 v110, v46, v18
	global_load_ushort v46, v[76:77], off
	s_waitcnt vmcnt(24)
	v_lshlrev_b32_e32 v18, 16, v120
	v_lshl_add_u64 v[102:103], s[12:13], 1, v[2:3]
	s_cselect_b32 s12, s9, s11
	v_fmac_f32_e32 v110, v47, v18
	v_lshlrev_b32_e32 v18, 16, v121
	s_ashr_i32 s13, s12, 31
	s_add_i32 s9, s0, 0xfffffcc0
	v_fmac_f32_e32 v110, v48, v18
	global_load_ushort v48, v[80:81], off
	global_load_ushort v41, v[70:71], off
	;; [unrolled: 1-line block ×5, first 2 shown]
	s_cmp_lt_i32 s9, s10
	v_lshl_add_u64 v[104:105], s[12:13], 1, v[2:3]
	s_cselect_b32 s12, s9, s11
	s_ashr_i32 s13, s12, 31
	s_add_i32 s9, s0, 0xfffffd00
	s_cmp_lt_i32 s9, s10
	s_waitcnt vmcnt(28)
	v_lshlrev_b32_e32 v18, 16, v122
	v_lshl_add_u64 v[106:107], s[12:13], 1, v[2:3]
	s_cselect_b32 s12, s9, s11
	v_fmac_f32_e32 v110, v49, v18
	global_load_ushort v49, v[82:83], off
	global_load_ushort v52, v[86:87], off
	s_waitcnt vmcnt(29)
	v_lshlrev_b32_e32 v18, 16, v123
	s_ashr_i32 s13, s12, 31
	s_add_i32 s9, s0, 0xfffffd40
	s_waitcnt lgkmcnt(0)
	v_fmac_f32_e32 v110, v54, v18
	global_load_ushort v54, v[88:89], off
	s_waitcnt vmcnt(29)
	v_lshlrev_b32_e32 v18, 16, v58
	s_cmp_lt_i32 s9, s10
	v_fmac_f32_e32 v110, v55, v18
	global_load_ushort v55, v[90:91], off
	s_waitcnt vmcnt(29)
	v_lshlrev_b32_e32 v18, 16, v59
	v_lshl_add_u64 v[98:99], s[12:13], 1, v[2:3]
	s_cselect_b32 s12, s9, s11
	v_fmac_f32_e32 v110, v56, v18
	s_waitcnt vmcnt(28)
	v_lshlrev_b32_e32 v18, 16, v60
	s_ashr_i32 s13, s12, 31
	s_add_i32 s9, s0, 0xfffffd80
	v_fmac_f32_e32 v110, v57, v18
	ds_read_b128 v[18:21], v125 offset:64
	ds_read_b128 v[30:33], v125 offset:80
	s_cmp_lt_i32 s9, s10
	v_lshl_add_u64 v[44:45], s[12:13], 1, v[2:3]
	s_cselect_b32 s12, s9, s11
	s_ashr_i32 s13, s12, 31
	s_add_i32 s9, s0, 0xfffffdc0
	s_cmp_lt_i32 s9, s10
	s_waitcnt vmcnt(27)
	v_lshlrev_b32_e32 v53, 16, v61
	v_lshl_add_u64 v[108:109], s[12:13], 1, v[2:3]
	s_cselect_b32 s12, s9, s11
	s_waitcnt lgkmcnt(1)
	v_fmac_f32_e32 v110, v18, v53
	global_load_ushort v53, v[92:93], off
	global_load_ushort v56, v[94:95], off
	;; [unrolled: 1-line block ×6, first 2 shown]
	s_ashr_i32 s13, s12, 31
	s_add_i32 s9, s0, 0xfffffe00
	s_cmp_lt_i32 s9, s10
	v_lshl_add_u64 v[4:5], s[12:13], 1, v[2:3]
	s_cselect_b32 s12, s9, s11
	s_ashr_i32 s13, s12, 31
	s_add_i32 s9, s0, 0xfffffe40
	s_cmp_lt_i32 s9, s10
	s_waitcnt vmcnt(32)
	v_lshlrev_b32_e32 v18, 16, v62
	v_lshl_add_u64 v[6:7], s[12:13], 1, v[2:3]
	s_cselect_b32 s12, s9, s11
	v_fmac_f32_e32 v110, v19, v18
	s_waitcnt vmcnt(28)
	v_lshlrev_b32_e32 v18, 16, v63
	s_ashr_i32 s13, s12, 31
	s_add_i32 s9, s0, 0xfffffe80
	v_fmac_f32_e32 v110, v20, v18
	v_lshlrev_b32_e32 v18, 16, v66
	s_cmp_lt_i32 s9, s10
	v_fmac_f32_e32 v110, v21, v18
	s_waitcnt vmcnt(27)
	v_lshlrev_b32_e32 v18, 16, v67
	v_lshl_add_u64 v[8:9], s[12:13], 1, v[2:3]
	s_cselect_b32 s12, s9, s11
	s_waitcnt lgkmcnt(0)
	v_fmac_f32_e32 v110, v30, v18
	global_load_ushort v30, v[106:107], off
	s_ashr_i32 s13, s12, 31
	s_add_i32 s9, s0, 0xfffffec0
	s_cmp_lt_i32 s9, s10
	global_load_ushort v61, v[98:99], off
	global_load_ushort v62, v[44:45], off
	;; [unrolled: 1-line block ×3, first 2 shown]
	v_lshl_add_u64 v[12:13], s[12:13], 1, v[2:3]
	s_cselect_b32 s12, s9, s11
	v_lshlrev_b32_e32 v18, 16, v124
	s_ashr_i32 s13, s12, 31
	s_add_i32 s9, s0, 0xffffff00
	v_fmac_f32_e32 v110, v31, v18
	v_lshlrev_b32_e32 v18, 16, v126
	s_cmp_lt_i32 s9, s10
	v_fmac_f32_e32 v110, v32, v18
	global_load_ushort v31, v[4:5], off
	global_load_ushort v32, v[6:7], off
	v_lshl_add_u64 v[10:11], s[12:13], 1, v[2:3]
	s_cselect_b32 s12, s9, s11
	s_ashr_i32 s13, s12, 31
	s_add_i32 s9, s0, 0xffffff40
	s_cmp_lt_i32 s9, s10
	s_waitcnt vmcnt(32)
	v_lshlrev_b32_e32 v4, 16, v50
	v_lshl_add_u64 v[16:17], s[12:13], 1, v[2:3]
	s_cselect_b32 s12, s9, s11
	v_fmac_f32_e32 v110, v33, v4
	ds_read_b128 v[4:7], v125 offset:96
	s_ashr_i32 s13, s12, 31
	s_add_i32 s9, s0, 0xffffff80
	s_cmp_lt_i32 s9, s10
	s_waitcnt vmcnt(31)
	v_lshlrev_b32_e32 v33, 16, v38
	global_load_ushort v38, v[8:9], off
	global_load_ushort v44, v[12:13], off
	v_lshl_add_u64 v[14:15], s[12:13], 1, v[2:3]
	s_cselect_b32 s12, s9, s11
	s_ashr_i32 s13, s12, 31
	s_sub_i32 s9, s0, 64
	s_cmp_lt_i32 s9, s10
	ds_read_b128 v[18:21], v125 offset:112
	s_waitcnt lgkmcnt(1)
	v_fmac_f32_e32 v110, v4, v33
	s_waitcnt vmcnt(32)
	v_lshlrev_b32_e32 v4, 16, v39
	global_load_ushort v33, v[10:11], off
	global_load_ushort v39, v[16:17], off
	v_lshl_add_u64 v[28:29], s[12:13], 1, v[2:3]
	s_cselect_b32 s12, s9, s11
	s_ashr_i32 s13, s12, 31
	s_cmp_lt_i32 s0, s10
	global_load_ushort v16, v[14:15], off
	global_load_ushort v17, v[28:29], off
	v_lshl_add_u64 v[22:23], s[12:13], 1, v[2:3]
	s_cselect_b32 s12, s0, s11
	s_ashr_i32 s13, s12, 31
	v_lshl_add_u64 v[24:25], s[12:13], 1, v[2:3]
	global_load_ushort v14, v[22:23], off
	global_load_ushort v15, v[24:25], off
	v_fmac_f32_e32 v110, v5, v4
	s_waitcnt vmcnt(35)
	v_lshlrev_b32_e32 v4, 16, v34
	v_fmac_f32_e32 v110, v6, v4
	s_waitcnt vmcnt(34)
	v_lshlrev_b32_e32 v4, 16, v40
	;; [unrolled: 3-line block ×3, first 2 shown]
	s_waitcnt lgkmcnt(0)
	v_fmac_f32_e32 v110, v18, v4
	v_lshlrev_b32_e32 v4, 16, v26
	v_fmac_f32_e32 v110, v19, v4
	s_waitcnt vmcnt(32)
	v_lshlrev_b32_e32 v4, 16, v27
	v_fmac_f32_e32 v110, v20, v4
	ds_read_b128 v[4:7], v125 offset:128
	s_waitcnt vmcnt(31)
	v_lshlrev_b32_e32 v8, 16, v36
	v_fmac_f32_e32 v110, v21, v8
	ds_read_b128 v[8:11], v125 offset:144
	s_waitcnt vmcnt(30)
	v_lshlrev_b32_e32 v12, 16, v37
	s_waitcnt lgkmcnt(1)
	v_fmac_f32_e32 v110, v4, v12
	s_waitcnt vmcnt(27)
	v_lshlrev_b32_e32 v4, 16, v41
	v_fmac_f32_e32 v110, v5, v4
	s_waitcnt vmcnt(26)
	v_lshlrev_b32_e32 v4, 16, v42
	;; [unrolled: 3-line block ×3, first 2 shown]
	v_fmac_f32_e32 v110, v7, v4
	v_lshlrev_b32_e32 v4, 16, v46
	s_waitcnt lgkmcnt(0)
	v_fmac_f32_e32 v110, v8, v4
	s_waitcnt vmcnt(24)
	v_lshlrev_b32_e32 v4, 16, v47
	v_fmac_f32_e32 v110, v9, v4
	v_lshlrev_b32_e32 v4, 16, v48
	v_fmac_f32_e32 v110, v10, v4
	ds_read_b128 v[4:7], v125 offset:160
	s_waitcnt vmcnt(23)
	v_lshlrev_b32_e32 v8, 16, v49
	v_fmac_f32_e32 v110, v11, v8
	ds_read_b128 v[8:11], v125 offset:176
	v_lshlrev_b32_e32 v12, 16, v51
	s_waitcnt lgkmcnt(1)
	v_fmac_f32_e32 v110, v4, v12
	s_waitcnt vmcnt(22)
	v_lshlrev_b32_e32 v4, 16, v52
	v_fmac_f32_e32 v110, v5, v4
	s_waitcnt vmcnt(21)
	v_lshlrev_b32_e32 v4, 16, v54
	;; [unrolled: 3-line block ×4, first 2 shown]
	s_waitcnt lgkmcnt(0)
	v_fmac_f32_e32 v110, v8, v4
	s_waitcnt vmcnt(18)
	v_lshlrev_b32_e32 v4, 16, v56
	v_fmac_f32_e32 v110, v9, v4
	s_waitcnt vmcnt(17)
	v_lshlrev_b32_e32 v4, 16, v57
	v_fmac_f32_e32 v110, v10, v4
	ds_read_b128 v[4:7], v125 offset:192
	s_waitcnt vmcnt(16)
	v_lshlrev_b32_e32 v8, 16, v58
	v_fmac_f32_e32 v110, v11, v8
	ds_read_b128 v[8:11], v125 offset:208
	s_waitcnt vmcnt(15)
	v_lshlrev_b32_e32 v12, 16, v59
	s_waitcnt lgkmcnt(1)
	v_fmac_f32_e32 v110, v4, v12
	s_waitcnt vmcnt(14)
	v_lshlrev_b32_e32 v4, 16, v60
	v_fmac_f32_e32 v110, v5, v4
	s_waitcnt vmcnt(13)
	v_lshlrev_b32_e32 v4, 16, v30
	;; [unrolled: 3-line block ×4, first 2 shown]
	v_lshlrev_b32_e32 v4, 16, v62
	s_waitcnt lgkmcnt(0)
	v_pk_mul_f32 v[4:5], v[8:9], v[4:5]
	s_waitcnt vmcnt(6)
	v_lshlrev_b32_e32 v13, 16, v44
	v_add_f32_e32 v4, v110, v4
	v_add_f32_e32 v6, v4, v5
	v_lshlrev_b32_e32 v5, 16, v32
	v_lshlrev_b32_e32 v4, 16, v31
	v_pk_mul_f32 v[8:9], v[10:11], v[4:5]
	v_lshlrev_b32_e32 v12, 16, v38
	v_add_f32_e32 v8, v6, v8
	ds_read_b128 v[4:7], v125 offset:224
	v_add_f32_e32 v18, v8, v9
	ds_read_b128 v[8:11], v125 offset:240
	s_waitcnt lgkmcnt(1)
	v_pk_mul_f32 v[4:5], v[4:5], v[12:13]
	s_nop 0
	v_add_f32_e32 v4, v18, v4
	v_add_f32_e32 v12, v4, v5
	s_waitcnt vmcnt(4)
	v_lshlrev_b32_e32 v5, 16, v39
	v_lshlrev_b32_e32 v4, 16, v33
	v_pk_mul_f32 v[4:5], v[6:7], v[4:5]
	s_nop 0
	v_add_f32_e32 v4, v12, v4
	v_add_f32_e32 v6, v4, v5
	s_waitcnt vmcnt(2)
	v_lshlrev_b32_e32 v5, 16, v17
	v_lshlrev_b32_e32 v4, 16, v16
	s_waitcnt lgkmcnt(0)
	v_pk_mul_f32 v[4:5], v[8:9], v[4:5]
	s_nop 0
	v_add_f32_e32 v4, v6, v4
	v_add_f32_e32 v6, v4, v5
	s_waitcnt vmcnt(0)
	v_lshlrev_b32_e32 v5, 16, v15
	v_lshlrev_b32_e32 v4, 16, v14
	v_pk_mul_f32 v[4:5], v[10:11], v[4:5]
	s_nop 0
	v_add_f32_e32 v4, v6, v4
	v_add_f32_e32 v110, v4, v5
	s_branch .LBB406_16
.LBB406_19:
	v_mov_b32_e32 v2, 0
	ds_read_b32 v2, v2 offset:1792
	s_cmp_lg_u64 s[6:7], 0
	s_cbranch_scc0 .LBB406_24
; %bb.20:
	s_load_dword s6, s[6:7], 0x0
	s_waitcnt lgkmcnt(0)
	v_div_scale_f32 v3, s[0:1], s6, s6, 1.0
	v_rcp_f32_e32 v4, v3
	v_div_scale_f32 v5, vcc, 1.0, s6, 1.0
	v_fma_f32 v6, -v3, v4, 1.0
	v_fmac_f32_e32 v4, v6, v4
	v_mul_f32_e32 v6, v5, v4
	v_fma_f32 v7, -v3, v6, v5
	v_fmac_f32_e32 v6, v7, v4
	v_fma_f32 v3, -v3, v6, v5
	v_div_fmas_f32 v3, v3, v4, v6
	v_div_fixup_f32 v3, v3, s6, 1.0
	s_andn2_b64 vcc, exec, s[28:29]
	s_cbranch_vccnz .LBB406_22
.LBB406_21:
	s_add_u32 s0, s26, s30
	s_addc_u32 s1, s27, s31
	s_load_dword s24, s[0:1], 0x0
	s_mov_b32 s25, 0
.LBB406_22:
	s_waitcnt lgkmcnt(0)
	v_add_f32_e32 v2, 0x358637bd, v2
	v_div_scale_f32 v4, s[0:1], v2, v2, 1.0
	v_rcp_f32_e32 v5, v4
	v_div_scale_f32 v6, vcc, 1.0, v2, 1.0
	s_mul_i32 s0, s3, s25
	v_fma_f32 v7, -v4, v5, 1.0
	v_fmac_f32_e32 v5, v7, v5
	v_mul_f32_e32 v7, v6, v5
	v_fma_f32 v8, -v4, v7, v6
	v_fmac_f32_e32 v7, v8, v5
	v_fma_f32 v4, -v4, v7, v6
	s_mul_hi_u32 s1, s3, s24
	v_div_fmas_f32 v4, v4, v5, v7
	s_add_i32 s1, s1, s0
	s_mul_i32 s0, s3, s24
	v_div_fixup_f32 v2, v4, v2, 1.0
	s_lshl_b64 s[0:1], s[0:1], 6
	v_mul_f32_e32 v2, v110, v2
	s_add_u32 s4, s4, s0
	s_mov_b32 s3, 0
	v_mul_f32_e32 v2, v2, v3
	s_addc_u32 s5, s5, s1
	s_lshl_b64 s[0:1], s[2:3], 6
	s_mov_b32 s2, 0x7f800000
	s_mov_b32 s3, 0x43700000
	v_mov_b32_e32 v3, 0xc3700000
	v_med3_f32 v3, v2, s3, v3
	v_cmp_nlg_f32_e64 vcc, |v2|, s2
	s_add_u32 s0, s4, s0
	s_addc_u32 s1, s5, s1
	v_cndmask_b32_e32 v2, v3, v2, vcc
	v_mov_b32_e32 v3, 0
	v_cvt_pk_fp8_f32 v3, v2, v2
	v_lshl_add_u64 v[0:1], s[0:1], 0, v[0:1]
	global_store_byte v[0:1], v3, off
	s_endpgm
.LBB406_23:
	s_mov_b64 s[6:7], 0
	s_branch .LBB406_2
.LBB406_24:
	v_mov_b32_e32 v3, 1.0
	s_andn2_b64 vcc, exec, s[28:29]
	s_cbranch_vccz .LBB406_21
	s_branch .LBB406_22
	.section	.rodata,"a",@progbits
	.p2align	6, 0x0
	.amdhsa_kernel _Z35paged_attention_ll4mi_reduce_kernelI14__hip_bfloat16hLi64ELi64ELi256ELi7EEvPT0_PKfS4_PKT_PKiS9_iS4_
		.amdhsa_group_segment_fixed_size 1796
		.amdhsa_private_segment_fixed_size 0
		.amdhsa_kernarg_size 320
		.amdhsa_user_sgpr_count 2
		.amdhsa_user_sgpr_dispatch_ptr 0
		.amdhsa_user_sgpr_queue_ptr 0
		.amdhsa_user_sgpr_kernarg_segment_ptr 1
		.amdhsa_user_sgpr_dispatch_id 0
		.amdhsa_user_sgpr_kernarg_preload_length 0
		.amdhsa_user_sgpr_kernarg_preload_offset 0
		.amdhsa_user_sgpr_private_segment_size 0
		.amdhsa_uses_dynamic_stack 0
		.amdhsa_enable_private_segment 0
		.amdhsa_system_sgpr_workgroup_id_x 1
		.amdhsa_system_sgpr_workgroup_id_y 1
		.amdhsa_system_sgpr_workgroup_id_z 0
		.amdhsa_system_sgpr_workgroup_info 0
		.amdhsa_system_vgpr_workitem_id 0
		.amdhsa_next_free_vgpr 127
		.amdhsa_next_free_sgpr 44
		.amdhsa_accum_offset 128
		.amdhsa_reserve_vcc 1
		.amdhsa_float_round_mode_32 0
		.amdhsa_float_round_mode_16_64 0
		.amdhsa_float_denorm_mode_32 3
		.amdhsa_float_denorm_mode_16_64 3
		.amdhsa_dx10_clamp 1
		.amdhsa_ieee_mode 1
		.amdhsa_fp16_overflow 0
		.amdhsa_tg_split 0
		.amdhsa_exception_fp_ieee_invalid_op 0
		.amdhsa_exception_fp_denorm_src 0
		.amdhsa_exception_fp_ieee_div_zero 0
		.amdhsa_exception_fp_ieee_overflow 0
		.amdhsa_exception_fp_ieee_underflow 0
		.amdhsa_exception_fp_ieee_inexact 0
		.amdhsa_exception_int_div_zero 0
	.end_amdhsa_kernel
	.section	.text._Z35paged_attention_ll4mi_reduce_kernelI14__hip_bfloat16hLi64ELi64ELi256ELi7EEvPT0_PKfS4_PKT_PKiS9_iS4_,"axG",@progbits,_Z35paged_attention_ll4mi_reduce_kernelI14__hip_bfloat16hLi64ELi64ELi256ELi7EEvPT0_PKfS4_PKT_PKiS9_iS4_,comdat
.Lfunc_end406:
	.size	_Z35paged_attention_ll4mi_reduce_kernelI14__hip_bfloat16hLi64ELi64ELi256ELi7EEvPT0_PKfS4_PKT_PKiS9_iS4_, .Lfunc_end406-_Z35paged_attention_ll4mi_reduce_kernelI14__hip_bfloat16hLi64ELi64ELi256ELi7EEvPT0_PKfS4_PKT_PKiS9_iS4_
                                        ; -- End function
	.section	.AMDGPU.csdata,"",@progbits
; Kernel info:
; codeLenInByte = 9192
; NumSgprs: 50
; NumVgprs: 127
; NumAgprs: 0
; TotalNumVgprs: 127
; ScratchSize: 0
; MemoryBound: 0
; FloatMode: 240
; IeeeMode: 1
; LDSByteSize: 1796 bytes/workgroup (compile time only)
; SGPRBlocks: 6
; VGPRBlocks: 15
; NumSGPRsForWavesPerEU: 50
; NumVGPRsForWavesPerEU: 127
; AccumOffset: 128
; Occupancy: 4
; WaveLimiterHint : 1
; COMPUTE_PGM_RSRC2:SCRATCH_EN: 0
; COMPUTE_PGM_RSRC2:USER_SGPR: 2
; COMPUTE_PGM_RSRC2:TRAP_HANDLER: 0
; COMPUTE_PGM_RSRC2:TGID_X_EN: 1
; COMPUTE_PGM_RSRC2:TGID_Y_EN: 1
; COMPUTE_PGM_RSRC2:TGID_Z_EN: 0
; COMPUTE_PGM_RSRC2:TIDIG_COMP_CNT: 0
; COMPUTE_PGM_RSRC3_GFX90A:ACCUM_OFFSET: 31
; COMPUTE_PGM_RSRC3_GFX90A:TG_SPLIT: 0
	.section	.text._Z35paged_attention_ll4mi_reduce_kernelI14__hip_bfloat16hLi64ELi64ELi256ELi8EEvPT0_PKfS4_PKT_PKiS9_iS4_,"axG",@progbits,_Z35paged_attention_ll4mi_reduce_kernelI14__hip_bfloat16hLi64ELi64ELi256ELi8EEvPT0_PKfS4_PKT_PKiS9_iS4_,comdat
	.protected	_Z35paged_attention_ll4mi_reduce_kernelI14__hip_bfloat16hLi64ELi64ELi256ELi8EEvPT0_PKfS4_PKT_PKiS9_iS4_ ; -- Begin function _Z35paged_attention_ll4mi_reduce_kernelI14__hip_bfloat16hLi64ELi64ELi256ELi8EEvPT0_PKfS4_PKT_PKiS9_iS4_
	.globl	_Z35paged_attention_ll4mi_reduce_kernelI14__hip_bfloat16hLi64ELi64ELi256ELi8EEvPT0_PKfS4_PKT_PKiS9_iS4_
	.p2align	8
	.type	_Z35paged_attention_ll4mi_reduce_kernelI14__hip_bfloat16hLi64ELi64ELi256ELi8EEvPT0_PKfS4_PKT_PKiS9_iS4_,@function
_Z35paged_attention_ll4mi_reduce_kernelI14__hip_bfloat16hLi64ELi64ELi256ELi8EEvPT0_PKfS4_PKT_PKiS9_iS4_: ; @_Z35paged_attention_ll4mi_reduce_kernelI14__hip_bfloat16hLi64ELi64ELi256ELi8EEvPT0_PKfS4_PKT_PKiS9_iS4_
; %bb.0:
	s_load_dwordx2 s[30:31], s[0:1], 0x28
	s_mov_b32 s28, s3
	s_mov_b64 s[4:5], 0
	s_waitcnt lgkmcnt(0)
	s_cmp_lg_u64 s[30:31], 0
	s_cselect_b64 s[34:35], -1, 0
	s_and_b64 vcc, exec, s[34:35]
	s_cbranch_vccz .LBB407_23
; %bb.1:
	s_add_i32 s6, s28, 1
	s_mov_b32 s7, 0
	s_lshl_b64 s[8:9], s[6:7], 2
	s_add_u32 s8, s30, s8
	s_mov_b32 s29, s7
	s_addc_u32 s9, s31, s9
	s_lshl_b64 s[6:7], s[28:29], 2
	s_add_u32 s6, s30, s6
	s_addc_u32 s7, s31, s7
	s_load_dword s3, s[8:9], 0x0
	s_load_dword s10, s[6:7], 0x0
	s_waitcnt lgkmcnt(0)
	s_sub_i32 s3, s3, s10
	s_cmp_eq_u32 s3, 1
	s_cselect_b64 s[6:7], -1, 0
	s_andn2_b64 vcc, exec, s[4:5]
	s_cbranch_vccnz .LBB407_3
.LBB407_2:
	s_mov_b32 s29, 0
	s_mov_b64 s[6:7], -1
.LBB407_3:
	s_andn2_b64 vcc, exec, s[6:7]
	s_cbranch_vccz .LBB407_5
; %bb.4:
	s_endpgm
.LBB407_5:
	s_load_dwordx4 s[20:23], s[0:1], 0x18
	s_load_dword s8, s[0:1], 0x30
	s_lshl_b64 s[36:37], s[28:29], 2
	v_cmp_lt_u32_e32 vcc, 63, v0
	s_waitcnt lgkmcnt(0)
	s_add_u32 s4, s22, s36
	s_addc_u32 s5, s23, s37
	s_load_dword s44, s[4:5], 0x0
	s_load_dword s3, s[0:1], 0x40
	s_mul_i32 s22, s2, s8
	s_mul_i32 s6, s28, s8
	s_waitcnt lgkmcnt(0)
	s_add_i32 s7, s44, 0xff
	s_ashr_i32 s4, s7, 31
	s_lshr_b32 s4, s4, 24
	s_add_i32 s7, s7, s4
	s_and_saveexec_b64 s[4:5], vcc
	s_xor_b64 s[4:5], exec, s[4:5]
	s_or_saveexec_b64 s[38:39], s[4:5]
	s_ashr_i32 s33, s7, 8
	v_mov_b32_e32 v1, s22
	s_mul_i32 s40, s6, s3
	s_xor_b64 exec, exec, s[38:39]
	s_cbranch_execz .LBB407_9
; %bb.6:
	s_add_i32 s4, s33, -1
	v_or_b32_e32 v3, 64, v0
	v_mov_b32_e32 v1, s4
	v_cmp_gt_u32_e64 s[14:15], s33, v3
	s_load_dwordx4 s[24:27], s[0:1], 0x8
	s_mov_b32 s41, 0
	v_cndmask_b32_e64 v4, v1, v3, s[14:15]
	v_or_b32_e32 v3, 0x80, v0
	v_cmp_gt_u32_e64 s[12:13], s33, v3
	s_lshl_b64 s[42:43], s[40:41], 2
	s_mov_b32 s23, s41
	v_cndmask_b32_e64 v6, v1, v3, s[12:13]
	v_or_b32_e32 v3, 0xc0, v0
	v_cmp_gt_u32_e64 s[10:11], s33, v3
	v_cmp_gt_u32_e64 s[16:17], s33, v0
	s_waitcnt lgkmcnt(0)
	s_add_u32 s18, s26, s42
	v_cndmask_b32_e64 v8, v1, v3, s[10:11]
	v_or_b32_e32 v3, 0x100, v0
	v_cmp_gt_u32_e64 s[8:9], s33, v3
	v_cndmask_b32_e64 v2, v1, v0, s[16:17]
	s_addc_u32 s19, s27, s43
	v_cndmask_b32_e64 v10, v1, v3, s[8:9]
	v_or_b32_e32 v3, 0x140, v0
	v_cmp_gt_u32_e64 s[6:7], s33, v3
	s_lshl_b64 s[26:27], s[22:23], 2
	s_add_u32 s18, s18, s26
	v_cndmask_b32_e64 v12, v1, v3, s[6:7]
	v_or_b32_e32 v3, 0x180, v0
	v_cmp_gt_u32_e64 s[4:5], s33, v3
	s_addc_u32 s19, s19, s27
	v_ashrrev_i32_e32 v5, 31, v4
	v_cndmask_b32_e64 v14, v1, v3, s[4:5]
	v_or_b32_e32 v3, 0x1c0, v0
	v_cmp_gt_u32_e32 vcc, s33, v3
	v_ashrrev_i32_e32 v7, 31, v6
	v_ashrrev_i32_e32 v9, 31, v8
	v_cndmask_b32_e32 v16, v1, v3, vcc
	v_ashrrev_i32_e32 v3, 31, v2
	v_lshlrev_b64 v[2:3], 2, v[2:3]
	v_ashrrev_i32_e32 v11, 31, v10
	v_ashrrev_i32_e32 v13, 31, v12
	;; [unrolled: 1-line block ×4, first 2 shown]
	v_lshl_add_u64 v[18:19], s[18:19], 0, v[2:3]
	v_lshlrev_b64 v[4:5], 2, v[4:5]
	v_lshlrev_b64 v[6:7], 2, v[6:7]
	;; [unrolled: 1-line block ×7, first 2 shown]
	v_lshl_add_u64 v[20:21], s[18:19], 0, v[4:5]
	v_lshl_add_u64 v[22:23], s[18:19], 0, v[6:7]
	;; [unrolled: 1-line block ×7, first 2 shown]
	global_load_dword v1, v[18:19], off
	global_load_dword v34, v[20:21], off
	;; [unrolled: 1-line block ×8, first 2 shown]
	v_mbcnt_lo_u32_b32 v18, -1, 0
	v_mbcnt_hi_u32_b32 v18, -1, v18
	v_and_b32_e32 v19, 64, v18
	v_xor_b32_e32 v20, 32, v18
	v_add_u32_e32 v19, 64, v19
	v_cmp_lt_i32_e64 s[18:19], v20, v19
	v_xor_b32_e32 v21, 16, v18
	v_xor_b32_e32 v22, 8, v18
	v_cndmask_b32_e64 v20, v18, v20, s[18:19]
	s_add_u32 s18, s24, s42
	s_addc_u32 s19, s25, s43
	s_add_u32 s24, s18, s26
	s_addc_u32 s25, s19, s27
	v_lshl_add_u64 v[2:3], s[24:25], 0, v[2:3]
	global_load_dword v24, v[2:3], off
	v_lshlrev_b32_e32 v20, 2, v20
	v_cmp_lt_i32_e64 s[18:19], v21, v19
	v_xor_b32_e32 v23, 4, v18
	v_xor_b32_e32 v25, 2, v18
	v_cndmask_b32_e64 v21, v18, v21, s[18:19]
	v_lshlrev_b32_e32 v21, 2, v21
	v_cmp_lt_i32_e64 s[18:19], v22, v19
	s_mov_b32 s23, 0x3fb8aa3b
	s_waitcnt vmcnt(8)
	v_max_f32_e32 v3, v1, v1
	s_waitcnt vmcnt(7)
	v_max_f32_e32 v2, v34, v34
	v_max_f32_e32 v2, v3, v2
	s_waitcnt vmcnt(5)
	v_max3_f32 v2, v2, v35, v36
	s_waitcnt vmcnt(3)
	v_max3_f32 v2, v2, v37, v38
	;; [unrolled: 2-line block ×3, first 2 shown]
	ds_bpermute_b32 v3, v20, v2
	s_waitcnt lgkmcnt(0)
	v_max_f32_e32 v3, v3, v3
	v_max_f32_e32 v26, v2, v3
	ds_bpermute_b32 v27, v21, v26
	v_cndmask_b32_e64 v2, v18, v22, s[18:19]
	v_lshlrev_b32_e32 v22, 2, v2
	v_lshl_add_u64 v[2:3], s[24:25], 0, v[4:5]
	global_load_dword v28, v[2:3], off
	s_waitcnt lgkmcnt(0)
	v_max_f32_e32 v2, v27, v27
	v_max_f32_e32 v2, v26, v2
	ds_bpermute_b32 v3, v22, v2
	v_cmp_lt_i32_e64 s[18:19], v23, v19
	v_xor_b32_e32 v4, 1, v18
	s_waitcnt lgkmcnt(0)
	v_max_f32_e32 v3, v3, v3
	v_cndmask_b32_e64 v5, v18, v23, s[18:19]
	v_lshlrev_b32_e32 v23, 2, v5
	v_max_f32_e32 v5, v2, v3
	ds_bpermute_b32 v26, v23, v5
	v_cmp_lt_i32_e64 s[18:19], v25, v19
	s_nop 1
	v_cndmask_b32_e64 v2, v18, v25, s[18:19]
	v_lshlrev_b32_e32 v25, 2, v2
	v_lshl_add_u64 v[2:3], s[24:25], 0, v[6:7]
	global_load_dword v27, v[2:3], off
	s_waitcnt lgkmcnt(0)
	v_max_f32_e32 v2, v26, v26
	v_max_f32_e32 v5, v5, v2
	ds_bpermute_b32 v6, v25, v5
	v_cmp_lt_i32_e64 s[18:19], v4, v19
	s_nop 1
	v_cndmask_b32_e64 v2, v18, v4, s[18:19]
	s_waitcnt lgkmcnt(0)
	v_max_f32_e32 v4, v6, v6
	v_lshlrev_b32_e32 v18, 2, v2
	v_lshl_add_u64 v[2:3], s[24:25], 0, v[8:9]
	v_max_f32_e32 v19, v5, v4
	ds_bpermute_b32 v26, v18, v19
	global_load_dword v2, v[2:3], off
	v_lshl_add_u64 v[6:7], s[24:25], 0, v[12:13]
	v_lshl_add_u64 v[8:9], s[24:25], 0, v[14:15]
	;; [unrolled: 1-line block ×3, first 2 shown]
	s_waitcnt lgkmcnt(0)
	v_max_f32_e32 v12, v26, v26
	v_max_f32_e32 v12, v19, v12
	v_sub_f32_e32 v1, v1, v12
	v_mul_f32_e32 v3, 0x3fb8aa3b, v1
	v_fma_f32 v13, v1, s23, -v3
	v_rndne_f32_e32 v14, v3
	v_fmac_f32_e32 v13, 0x32a5705f, v1
	v_sub_f32_e32 v3, v3, v14
	v_lshl_add_u64 v[10:11], s[24:25], 0, v[16:17]
	v_add_f32_e32 v3, v3, v13
	v_cvt_i32_f32_e32 v13, v14
	global_load_dword v14, v[4:5], off
	global_load_dword v15, v[6:7], off
	;; [unrolled: 1-line block ×4, first 2 shown]
	v_sub_f32_e32 v5, v34, v12
	v_mul_f32_e32 v6, 0x3fb8aa3b, v5
	v_fma_f32 v7, v5, s23, -v6
	v_rndne_f32_e32 v8, v6
	v_exp_f32_e32 v3, v3
	v_fmac_f32_e32 v7, 0x32a5705f, v5
	v_sub_f32_e32 v6, v6, v8
	v_add_f32_e32 v6, v6, v7
	v_exp_f32_e32 v6, v6
	v_cvt_i32_f32_e32 v7, v8
	s_mov_b32 s24, 0xc2ce8ed0
	v_ldexp_f32 v3, v3, v13
	v_cmp_ngt_f32_e64 s[18:19], s24, v1
	s_mov_b32 s25, 0x42b17218
	v_mov_b32_e32 v4, 0x7f800000
	v_cndmask_b32_e64 v3, 0, v3, s[18:19]
	v_cmp_nlt_f32_e64 s[18:19], s25, v1
	s_nop 1
	v_cndmask_b32_e64 v1, v4, v3, s[18:19]
	v_ldexp_f32 v3, v6, v7
	v_sub_f32_e32 v6, v35, v12
	v_mul_f32_e32 v7, 0x3fb8aa3b, v6
	v_fma_f32 v8, v6, s23, -v7
	v_rndne_f32_e32 v9, v7
	v_fmac_f32_e32 v8, 0x32a5705f, v6
	v_sub_f32_e32 v7, v7, v9
	v_add_f32_e32 v7, v7, v8
	v_exp_f32_e32 v7, v7
	v_cvt_i32_f32_e32 v8, v9
	v_cndmask_b32_e64 v1, 0, v1, s[16:17]
	v_cmp_ngt_f32_e64 s[16:17], s24, v5
	s_waitcnt vmcnt(7)
	v_mul_f32_e32 v1, v24, v1
	v_cndmask_b32_e64 v3, 0, v3, s[16:17]
	v_cmp_nlt_f32_e64 s[16:17], s25, v5
	v_ldexp_f32 v5, v7, v8
	v_sub_f32_e32 v7, v36, v12
	v_mul_f32_e32 v8, 0x3fb8aa3b, v7
	v_fma_f32 v9, v7, s23, -v8
	v_rndne_f32_e32 v10, v8
	v_fmac_f32_e32 v9, 0x32a5705f, v7
	v_sub_f32_e32 v8, v8, v10
	v_add_f32_e32 v8, v8, v9
	v_exp_f32_e32 v8, v8
	v_cvt_i32_f32_e32 v9, v10
	v_cndmask_b32_e64 v3, v4, v3, s[16:17]
	v_cndmask_b32_e64 v3, 0, v3, s[14:15]
	v_cmp_ngt_f32_e64 s[14:15], s24, v6
	s_waitcnt vmcnt(6)
	v_mul_f32_e32 v3, v28, v3
	v_cndmask_b32_e64 v5, 0, v5, s[14:15]
	v_cmp_nlt_f32_e64 s[14:15], s25, v6
	v_ldexp_f32 v6, v8, v9
	v_sub_f32_e32 v8, v37, v12
	v_mul_f32_e32 v9, 0x3fb8aa3b, v8
	v_fma_f32 v10, v8, s23, -v9
	v_rndne_f32_e32 v11, v9
	v_fmac_f32_e32 v10, 0x32a5705f, v8
	v_sub_f32_e32 v9, v9, v11
	v_cndmask_b32_e64 v5, v4, v5, s[14:15]
	v_add_f32_e32 v9, v9, v10
	v_cndmask_b32_e64 v5, 0, v5, s[12:13]
	v_cmp_ngt_f32_e64 s[12:13], s24, v7
	v_exp_f32_e32 v9, v9
	v_cvt_i32_f32_e32 v10, v11
	v_cndmask_b32_e64 v6, 0, v6, s[12:13]
	v_cmp_nlt_f32_e64 s[12:13], s25, v7
	v_sub_f32_e32 v7, v38, v12
	s_waitcnt vmcnt(5)
	v_mul_f32_e32 v5, v27, v5
	v_cndmask_b32_e64 v6, v4, v6, s[12:13]
	v_cndmask_b32_e64 v6, 0, v6, s[10:11]
	s_waitcnt vmcnt(4)
	v_mul_f32_e32 v6, v2, v6
	v_ldexp_f32 v2, v9, v10
	v_mul_f32_e32 v9, 0x3fb8aa3b, v7
	v_fma_f32 v10, v7, s23, -v9
	v_rndne_f32_e32 v11, v9
	v_fmac_f32_e32 v10, 0x32a5705f, v7
	v_sub_f32_e32 v9, v9, v11
	v_add_f32_e32 v9, v9, v10
	v_cmp_ngt_f32_e64 s[10:11], s24, v8
	v_exp_f32_e32 v9, v9
	v_cvt_i32_f32_e32 v10, v11
	v_cndmask_b32_e64 v2, 0, v2, s[10:11]
	v_cmp_nlt_f32_e64 s[10:11], s25, v8
	s_nop 1
	v_cndmask_b32_e64 v2, v4, v2, s[10:11]
	v_cndmask_b32_e64 v2, 0, v2, s[8:9]
	s_waitcnt vmcnt(3)
	v_mul_f32_e32 v8, v14, v2
	v_ldexp_f32 v2, v9, v10
	v_sub_f32_e32 v9, v39, v12
	v_mul_f32_e32 v10, 0x3fb8aa3b, v9
	v_fma_f32 v11, v9, s23, -v10
	v_rndne_f32_e32 v13, v10
	v_fmac_f32_e32 v11, 0x32a5705f, v9
	v_sub_f32_e32 v10, v10, v13
	v_add_f32_e32 v10, v10, v11
	v_cmp_ngt_f32_e64 s[8:9], s24, v7
	v_exp_f32_e32 v10, v10
	v_cvt_i32_f32_e32 v11, v13
	v_cndmask_b32_e64 v2, 0, v2, s[8:9]
	v_cmp_nlt_f32_e64 s[8:9], s25, v7
	s_nop 1
	v_cndmask_b32_e64 v2, v4, v2, s[8:9]
	v_cndmask_b32_e64 v2, 0, v2, s[6:7]
	s_waitcnt vmcnt(2)
	v_mul_f32_e32 v7, v15, v2
	v_ldexp_f32 v2, v10, v11
	v_sub_f32_e32 v10, v40, v12
	v_mul_f32_e32 v11, 0x3fb8aa3b, v10
	v_fma_f32 v12, v10, s23, -v11
	v_rndne_f32_e32 v13, v11
	v_fmac_f32_e32 v12, 0x32a5705f, v10
	v_sub_f32_e32 v11, v11, v13
	v_add_f32_e32 v11, v11, v12
	v_exp_f32_e32 v11, v11
	v_cvt_i32_f32_e32 v12, v13
	v_cmp_ngt_f32_e64 s[6:7], s24, v9
	s_nop 1
	v_cndmask_b32_e64 v2, 0, v2, s[6:7]
	v_cmp_nlt_f32_e64 s[6:7], s25, v9
	v_ldexp_f32 v9, v11, v12
	v_lshlrev_b32_e32 v12, 2, v0
	v_cndmask_b32_e64 v2, v4, v2, s[6:7]
	v_cndmask_b32_e64 v2, 0, v2, s[4:5]
	v_cmp_ngt_f32_e64 s[4:5], s24, v10
	ds_write2st64_b32 v12, v1, v3 offset1:1
	s_waitcnt vmcnt(1)
	v_mul_f32_e32 v11, v16, v2
	v_cndmask_b32_e64 v9, 0, v9, s[4:5]
	v_cmp_nlt_f32_e64 s[4:5], s25, v10
	s_nop 1
	v_cndmask_b32_e64 v4, v4, v9, s[4:5]
	v_add_f32_e32 v9, v1, v3
	v_add_f32_e32 v9, v9, v5
	;; [unrolled: 1-line block ×5, first 2 shown]
	v_cndmask_b32_e32 v4, 0, v4, vcc
	v_fmac_f32_e32 v9, v16, v2
	s_waitcnt vmcnt(0)
	v_fmac_f32_e32 v9, v17, v4
	ds_bpermute_b32 v10, v20, v9
	v_cmp_eq_u32_e32 vcc, 0, v0
	v_mul_f32_e32 v4, v17, v4
	ds_write2st64_b32 v12, v5, v6 offset0:2 offset1:3
	ds_write2st64_b32 v12, v8, v7 offset0:4 offset1:5
	;; [unrolled: 1-line block ×3, first 2 shown]
	s_waitcnt lgkmcnt(3)
	v_add_f32_e32 v9, v9, v10
	ds_bpermute_b32 v10, v21, v9
	s_waitcnt lgkmcnt(0)
	v_add_f32_e32 v9, v9, v10
	ds_bpermute_b32 v10, v22, v9
	;; [unrolled: 3-line block ×5, first 2 shown]
	s_and_saveexec_b64 s[4:5], vcc
	s_cbranch_execz .LBB407_8
; %bb.7:
	s_waitcnt lgkmcnt(0)
	v_add_f32_e32 v1, v1, v2
	v_mov_b32_e32 v2, 0
	ds_write_b32 v2, v1 offset:2048
.LBB407_8:
	s_or_b64 exec, exec, s[4:5]
	v_mov_b32_e32 v1, s22
.LBB407_9:
	s_or_b64 exec, exec, s[38:39]
	s_lshl_b32 s4, s40, 6
	s_mov_b32 s5, 0
	s_lshl_b64 s[4:5], s[4:5], 1
	s_add_u32 s4, s20, s4
	s_addc_u32 s5, s21, s5
	s_lshl_b32 s10, s33, 6
	s_waitcnt lgkmcnt(0)
	v_lshlrev_b32_e32 v2, 6, v1
	v_mov_b32_e32 v1, 0
	s_sub_i32 s11, s10, 64
	v_mov_b32_e32 v3, v1
	s_cmp_lt_i32 s44, 1
	v_lshl_add_u64 v[2:3], v[2:3], 1, s[4:5]
	s_cselect_b32 s4, s11, 0
	v_lshlrev_b32_e32 v4, 1, v0
	v_mov_b32_e32 v5, v1
	s_ashr_i32 s5, s4, 31
	v_lshl_add_u64 v[2:3], v[2:3], 0, v[4:5]
	s_cmpk_lt_i32 s44, 0x101
	v_lshl_add_u64 v[4:5], s[4:5], 1, v[2:3]
	s_cselect_b32 s4, s11, 64
	s_ashr_i32 s5, s4, 31
	s_cmpk_lt_i32 s44, 0x201
	v_lshl_add_u64 v[6:7], s[4:5], 1, v[2:3]
	s_cselect_b32 s4, s11, 0x80
	s_ashr_i32 s5, s4, 31
	;; [unrolled: 4-line block ×8, first 2 shown]
	s_cmpk_lt_i32 s44, 0x901
	global_load_ushort v23, v[4:5], off
	global_load_ushort v22, v[6:7], off
	;; [unrolled: 1-line block ×8, first 2 shown]
	v_lshl_add_u64 v[4:5], s[4:5], 1, v[2:3]
	s_cselect_b32 s4, s11, 0x240
	s_ashr_i32 s5, s4, 31
	s_cmpk_lt_i32 s44, 0xa01
	v_lshl_add_u64 v[6:7], s[4:5], 1, v[2:3]
	s_cselect_b32 s4, s11, 0x280
	s_ashr_i32 s5, s4, 31
	s_cmpk_lt_i32 s44, 0xb01
	;; [unrolled: 4-line block ×6, first 2 shown]
	v_lshl_add_u64 v[32:33], s[4:5], 1, v[2:3]
	s_cselect_b32 s4, s11, 0x3c0
	s_ashr_i32 s5, s4, 31
	v_lshl_add_u64 v[34:35], s[4:5], 1, v[2:3]
	global_load_ushort v30, v[4:5], off
	global_load_ushort v31, v[6:7], off
	;; [unrolled: 1-line block ×8, first 2 shown]
	s_cmpk_gt_i32 s44, 0x1000
	s_cselect_b64 s[8:9], -1, 0
	s_cmpk_lt_i32 s44, 0x1001
	v_mov_b32_e32 v40, 0
	v_mov_b32_e32 v41, 0
	;; [unrolled: 1-line block ×48, first 2 shown]
	s_waitcnt lgkmcnt(0)
	; wave barrier
	s_cbranch_scc1 .LBB407_12
; %bb.10:
	s_cmpk_lt_u32 s44, 0x1101
	s_cselect_b32 s4, s11, 0x440
	s_ashr_i32 s5, s4, 31
	s_cmpk_lt_u32 s44, 0x1201
	v_lshl_add_u64 v[4:5], s[4:5], 1, v[2:3]
	s_cselect_b32 s4, s11, 0x480
	s_ashr_i32 s5, s4, 31
	s_cmpk_lt_u32 s44, 0x1301
	v_lshl_add_u64 v[6:7], s[4:5], 1, v[2:3]
	;; [unrolled: 4-line block ×7, first 2 shown]
	s_cselect_b32 s4, s11, 0x600
	s_ashr_i32 s5, s4, 31
	s_cmpk_lt_u32 s44, 0x1901
	global_load_ushort v39, v[2:3], off offset:2048
	global_load_ushort v38, v[4:5], off
	global_load_ushort v37, v[6:7], off
	;; [unrolled: 1-line block ×7, first 2 shown]
	v_lshl_add_u64 v[4:5], s[4:5], 1, v[2:3]
	s_cselect_b32 s4, s11, 0x640
	s_ashr_i32 s5, s4, 31
	s_cmpk_lt_u32 s44, 0x1a01
	v_lshl_add_u64 v[6:7], s[4:5], 1, v[2:3]
	s_cselect_b32 s4, s11, 0x680
	s_ashr_i32 s5, s4, 31
	s_cmpk_lt_u32 s44, 0x1b01
	;; [unrolled: 4-line block ×6, first 2 shown]
	v_lshl_add_u64 v[48:49], s[4:5], 1, v[2:3]
	s_cselect_b32 s4, s11, 0x7c0
	s_ashr_i32 s5, s4, 31
	v_lshl_add_u64 v[50:51], s[4:5], 1, v[2:3]
	global_load_ushort v47, v[4:5], off
	global_load_ushort v46, v[6:7], off
	;; [unrolled: 1-line block ×8, first 2 shown]
	s_cmpk_lt_u32 s44, 0x2001
	v_mov_b32_e32 v67, 0
	v_mov_b32_e32 v65, 0
	v_mov_b32_e32 v66, 0
	v_mov_b32_e32 v63, 0
	v_mov_b32_e32 v64, 0
	v_mov_b32_e32 v61, 0
	v_mov_b32_e32 v62, 0
	v_mov_b32_e32 v59, 0
	v_mov_b32_e32 v60, 0
	v_mov_b32_e32 v57, 0
	v_mov_b32_e32 v58, 0
	v_mov_b32_e32 v55, 0
	v_mov_b32_e32 v56, 0
	v_mov_b32_e32 v53, 0
	v_mov_b32_e32 v54, 0
	v_mov_b32_e32 v52, 0
	v_mov_b32_e32 v51, 0
	v_mov_b32_e32 v49, 0
	v_mov_b32_e32 v50, 0
	v_mov_b32_e32 v48, 0
	v_mov_b32_e32 v15, 0
	v_mov_b32_e32 v14, 0
	v_mov_b32_e32 v13, 0
	v_mov_b32_e32 v12, 0
	v_mov_b32_e32 v11, 0
	v_mov_b32_e32 v10, 0
	v_mov_b32_e32 v9, 0
	v_mov_b32_e32 v8, 0
	v_mov_b32_e32 v7, 0
	v_mov_b32_e32 v6, 0
	v_mov_b32_e32 v5, 0
	v_mov_b32_e32 v4, 0
	s_cbranch_scc1 .LBB407_12
; %bb.11:
	s_cmpk_lt_u32 s44, 0x2101
	s_cselect_b32 s4, s11, 0x840
	s_ashr_i32 s5, s4, 31
	s_cmpk_lt_u32 s44, 0x2201
	v_lshl_add_u64 v[4:5], s[4:5], 1, v[2:3]
	s_cselect_b32 s4, s11, 0x880
	s_ashr_i32 s5, s4, 31
	s_cmpk_lt_u32 s44, 0x2301
	v_lshl_add_u64 v[6:7], s[4:5], 1, v[2:3]
	;; [unrolled: 4-line block ×29, first 2 shown]
	s_cselect_b32 s4, s11, 0xf80
	s_ashr_i32 s5, s4, 31
	v_lshl_add_u64 v[94:95], s[4:5], 1, v[2:3]
	s_movk_i32 s4, 0x1000
	s_cmpk_lt_u32 s44, 0x3f01
	v_add_co_u32_e32 v96, vcc, s4, v2
	s_cselect_b32 s4, s11, 0xfc0
	s_nop 0
	v_addc_co_u32_e32 v97, vcc, 0, v3, vcc
	s_ashr_i32 s5, s4, 31
	global_load_ushort v98, v[96:97], off
	global_load_ushort v99, v[4:5], off
	;; [unrolled: 1-line block ×15, first 2 shown]
                                        ; kill: killed $vgpr62_vgpr63
                                        ; kill: killed $vgpr14_vgpr15
                                        ; kill: killed $vgpr96 killed $vgpr97
                                        ; kill: killed $vgpr52_vgpr53
                                        ; kill: killed $vgpr4_vgpr5
                                        ; kill: killed $vgpr58_vgpr59
                                        ; kill: killed $vgpr10_vgpr11
                                        ; kill: killed $vgpr48_vgpr49
                                        ; kill: killed $vgpr54_vgpr55
                                        ; kill: killed $vgpr6_vgpr7
                                        ; kill: killed $vgpr60_vgpr61
                                        ; kill: killed $vgpr12_vgpr13
                                        ; kill: killed $vgpr50_vgpr51
                                        ; kill: killed $vgpr56_vgpr57
                                        ; kill: killed $vgpr8_vgpr9
	global_load_ushort v6, v[64:65], off
	global_load_ushort v7, v[66:67], off
	;; [unrolled: 1-line block ×15, first 2 shown]
                                        ; kill: killed $vgpr94_vgpr95
                                        ; kill: killed $vgpr78_vgpr79
                                        ; kill: killed $vgpr84_vgpr85
                                        ; kill: killed $vgpr68_vgpr69
                                        ; kill: killed $vgpr90_vgpr91
                                        ; kill: killed $vgpr74_vgpr75
                                        ; kill: killed $vgpr80_vgpr81
                                        ; kill: killed $vgpr64_vgpr65
                                        ; kill: killed $vgpr70_vgpr71
                                        ; kill: killed $vgpr92_vgpr93
                                        ; kill: killed $vgpr76_vgpr77
                                        ; kill: killed $vgpr82_vgpr83
                                        ; kill: killed $vgpr66_vgpr67
                                        ; kill: killed $vgpr88_vgpr89
                                        ; kill: killed $vgpr72_vgpr73
	global_load_ushort v68, v[86:87], off
	v_lshl_add_u64 v[4:5], s[4:5], 1, v[2:3]
	global_load_ushort v5, v[4:5], off
	s_waitcnt vmcnt(31)
	v_lshlrev_b32_e32 v67, 16, v98
	s_waitcnt vmcnt(30)
	v_lshlrev_b32_e32 v65, 16, v99
	;; [unrolled: 2-line block ×32, first 2 shown]
.LBB407_12:
	s_load_dwordx2 s[4:5], s[0:1], 0x0
	s_load_dwordx2 s[6:7], s[0:1], 0x38
	ds_read_b128 v[68:71], v1
	s_waitcnt vmcnt(15)
	v_lshlrev_b32_e32 v23, 16, v23
	ds_read_b128 v[72:75], v1 offset:16
	ds_read_b128 v[76:79], v1 offset:32
	;; [unrolled: 1-line block ×3, first 2 shown]
	s_waitcnt vmcnt(14)
	v_lshlrev_b32_e32 v22, 16, v22
	s_waitcnt vmcnt(13)
	v_lshlrev_b32_e32 v21, 16, v21
	s_waitcnt lgkmcnt(0)
	v_fma_f32 v23, v68, v23, 0
	v_fmac_f32_e32 v23, v69, v22
	v_fmac_f32_e32 v23, v70, v21
	s_waitcnt vmcnt(12)
	v_lshlrev_b32_e32 v20, 16, v20
	s_waitcnt vmcnt(10)
	v_lshlrev_b32_e32 v19, 16, v19
	v_lshlrev_b32_e32 v18, 16, v18
	v_fmac_f32_e32 v23, v71, v20
	v_pk_mul_f32 v[18:19], v[72:73], v[18:19]
	s_waitcnt vmcnt(8)
	v_lshlrev_b32_e32 v17, 16, v17
	v_add_f32_e32 v18, v23, v18
	v_lshlrev_b32_e32 v16, 16, v16
	v_add_f32_e32 v18, v18, v19
	v_pk_mul_f32 v[16:17], v[74:75], v[16:17]
	s_and_b64 vcc, exec, s[8:9]
	v_add_f32_e32 v16, v18, v16
	v_add_f32_e32 v18, v16, v17
	s_waitcnt vmcnt(6)
	v_lshlrev_b32_e32 v17, 16, v31
	v_lshlrev_b32_e32 v16, 16, v30
	v_pk_mul_f32 v[16:17], v[76:77], v[16:17]
	s_nop 0
	v_add_f32_e32 v16, v18, v16
	v_add_f32_e32 v18, v16, v17
	s_waitcnt vmcnt(4)
	v_lshlrev_b32_e32 v17, 16, v29
	v_lshlrev_b32_e32 v16, 16, v28
	v_pk_mul_f32 v[16:17], v[78:79], v[16:17]
	s_nop 0
	;; [unrolled: 7-line block ×4, first 2 shown]
	v_add_f32_e32 v16, v18, v16
	v_add_f32_e32 v110, v16, v17
	s_cbranch_vccz .LBB407_15
; %bb.13:
	ds_read_b128 v[16:19], v1 offset:64
	v_lshlrev_b32_e32 v39, 16, v39
	ds_read_b128 v[20:23], v1 offset:80
	ds_read_b128 v[24:27], v1 offset:96
	;; [unrolled: 1-line block ×3, first 2 shown]
	s_cmpk_lt_u32 s44, 0x2001
	s_waitcnt lgkmcnt(3)
	v_fmac_f32_e32 v110, v16, v39
	v_lshlrev_b32_e32 v16, 16, v38
	v_fmac_f32_e32 v110, v17, v16
	v_lshlrev_b32_e32 v16, 16, v37
	v_fmac_f32_e32 v110, v18, v16
	v_lshlrev_b32_e32 v16, 16, v36
	v_fmac_f32_e32 v110, v19, v16
	v_lshlrev_b32_e32 v16, 16, v35
	s_waitcnt lgkmcnt(2)
	v_fmac_f32_e32 v110, v20, v16
	v_lshlrev_b32_e32 v16, 16, v34
	v_fmac_f32_e32 v110, v21, v16
	v_lshlrev_b32_e32 v16, 16, v33
	v_fmac_f32_e32 v110, v22, v16
	v_lshlrev_b32_e32 v16, 16, v32
	v_fmac_f32_e32 v110, v23, v16
	v_lshlrev_b32_e32 v16, 16, v47
	;; [unrolled: 9-line block ×3, first 2 shown]
	s_waitcnt lgkmcnt(0)
	v_fmac_f32_e32 v110, v28, v16
	v_lshlrev_b32_e32 v16, 16, v42
	v_fmac_f32_e32 v110, v29, v16
	v_lshlrev_b32_e32 v16, 16, v41
	;; [unrolled: 2-line block ×3, first 2 shown]
	v_fmac_f32_e32 v110, v31, v16
	s_cbranch_scc1 .LBB407_15
; %bb.14:
	v_mov_b32_e32 v32, 0
	ds_read_b128 v[16:19], v32 offset:128
	ds_read_b128 v[20:23], v32 offset:144
	;; [unrolled: 1-line block ×4, first 2 shown]
	s_waitcnt lgkmcnt(3)
	v_fmac_f32_e32 v110, v16, v67
	v_fmac_f32_e32 v110, v17, v65
	v_fmac_f32_e32 v110, v18, v66
	v_fmac_f32_e32 v110, v19, v63
	s_waitcnt lgkmcnt(2)
	v_fmac_f32_e32 v110, v20, v64
	v_fmac_f32_e32 v110, v21, v61
	v_fmac_f32_e32 v110, v22, v62
	v_fmac_f32_e32 v110, v23, v59
	s_waitcnt lgkmcnt(1)
	v_fmac_f32_e32 v110, v24, v60
	v_fmac_f32_e32 v110, v25, v57
	v_fmac_f32_e32 v110, v26, v58
	v_fmac_f32_e32 v110, v27, v55
	ds_read_b128 v[16:19], v32 offset:192
	ds_read_b128 v[20:23], v32 offset:208
	s_waitcnt lgkmcnt(2)
	v_fmac_f32_e32 v110, v28, v56
	v_fmac_f32_e32 v110, v29, v53
	;; [unrolled: 1-line block ×4, first 2 shown]
	s_waitcnt lgkmcnt(1)
	v_fmac_f32_e32 v110, v16, v51
	v_fmac_f32_e32 v110, v17, v49
	;; [unrolled: 1-line block ×4, first 2 shown]
	s_waitcnt lgkmcnt(0)
	v_pk_mul_f32 v[14:15], v[20:21], v[14:15]
	v_pk_mul_f32 v[12:13], v[22:23], v[12:13]
	v_add_f32_e32 v14, v110, v14
	v_add_f32_e32 v18, v14, v15
	ds_read_b128 v[14:17], v32 offset:224
	v_add_f32_e32 v12, v18, v12
	ds_read_b128 v[18:21], v32 offset:240
	v_add_f32_e32 v12, v12, v13
	s_waitcnt lgkmcnt(1)
	v_pk_mul_f32 v[10:11], v[14:15], v[10:11]
	s_nop 0
	v_add_f32_e32 v10, v12, v10
	v_add_f32_e32 v10, v10, v11
	v_pk_mul_f32 v[8:9], v[16:17], v[8:9]
	s_waitcnt lgkmcnt(0)
	v_pk_mul_f32 v[6:7], v[18:19], v[6:7]
	v_add_f32_e32 v8, v10, v8
	v_add_f32_e32 v8, v8, v9
	v_add_f32_e32 v6, v8, v6
	v_add_f32_e32 v6, v6, v7
	v_pk_mul_f32 v[4:5], v[20:21], v[4:5]
	s_nop 0
	v_add_f32_e32 v4, v6, v4
	v_add_f32_e32 v110, v4, v5
.LBB407_15:
	s_movk_i32 s0, 0x1fc0
	s_movk_i32 s1, 0x100
	s_mov_b32 s8, 64
	s_branch .LBB407_17
.LBB407_16:                             ;   in Loop: Header=BB407_17 Depth=1
	s_addk_i32 s0, 0x1000
	s_addk_i32 s1, 0x100
	s_add_i32 s8, s8, 64
	s_cmpk_eq_u32 s0, 0x8fc0
	s_cbranch_scc1 .LBB407_19
.LBB407_17:                             ; =>This Inner Loop Header: Depth=1
	s_cmp_le_i32 s33, s8
	s_cbranch_scc1 .LBB407_16
; %bb.18:                               ;   in Loop: Header=BB407_17 Depth=1
	s_add_i32 s9, s0, 0xfffff040
	s_cmp_lt_i32 s9, s10
	s_cselect_b32 s12, s9, s11
	s_ashr_i32 s13, s12, 31
	s_add_i32 s9, s0, 0xfffff080
	s_cmp_lt_i32 s9, s10
	v_lshl_add_u64 v[44:45], s[12:13], 1, v[2:3]
	s_cselect_b32 s12, s9, s11
	s_ashr_i32 s13, s12, 31
	s_add_i32 s9, s0, 0xfffff0c0
	s_cmp_lt_i32 s9, s10
	v_lshl_add_u64 v[4:5], s[12:13], 1, v[2:3]
	;; [unrolled: 5-line block ×17, first 2 shown]
	s_cselect_b32 s12, s9, s11
	s_ashr_i32 s13, s12, 31
	s_add_i32 s9, s0, 0xfffff4c0
	s_cmp_lt_i32 s9, s10
	global_load_ushort v111, v[44:45], off
	global_load_ushort v121, v[46:47], off
	v_lshl_add_u64 v[22:23], s[12:13], 1, v[2:3]
	s_cselect_b32 s12, s9, s11
	global_load_ushort v112, v[4:5], off
	global_load_ushort v113, v[6:7], off
	;; [unrolled: 1-line block ×7, first 2 shown]
	s_ashr_i32 s13, s12, 31
	s_add_i32 s9, s0, 0xfffff500
	s_cmp_lt_i32 s9, s10
	v_lshl_add_u64 v[24:25], s[12:13], 1, v[2:3]
	s_cselect_b32 s12, s9, s11
	s_ashr_i32 s13, s12, 31
	s_add_i32 s9, s0, 0xfffff540
	s_cmp_lt_i32 s9, s10
	v_lshl_add_u64 v[32:33], s[12:13], 1, v[2:3]
	s_cselect_b32 s12, s9, s11
	;; [unrolled: 5-line block ×3, first 2 shown]
	s_ashr_i32 s13, s12, 31
	s_add_i32 s9, s0, 0xfffff5c0
	s_cmp_lt_i32 s9, s10
	global_load_ushort v119, v[28:29], off
	global_load_ushort v120, v[30:31], off
	v_lshl_add_u64 v[34:35], s[12:13], 1, v[2:3]
	s_cselect_b32 s12, s9, s11
	s_ashr_i32 s13, s12, 31
	s_add_i32 s9, s0, 0xfffff600
	s_cmp_lt_i32 s9, s10
	v_lshl_add_u64 v[36:37], s[12:13], 1, v[2:3]
	s_cselect_b32 s12, s9, s11
	s_ashr_i32 s13, s12, 31
	s_add_i32 s9, s0, 0xfffff640
	s_cmp_lt_i32 s9, s10
	v_lshl_add_u64 v[50:51], s[12:13], 1, v[2:3]
	s_cselect_b32 s12, s9, s11
	global_load_ushort v122, v[54:55], off
	global_load_ushort v123, v[56:57], off
	s_ashr_i32 s13, s12, 31
	global_load_ushort v58, v[58:59], off
	s_add_i32 s9, s0, 0xfffff680
	s_cmp_lt_i32 s9, s10
	v_lshl_add_u64 v[38:39], s[12:13], 1, v[2:3]
	s_cselect_b32 s12, s9, s11
	global_load_ushort v59, v[60:61], off
	s_ashr_i32 s13, s12, 31
	s_add_i32 s9, s0, 0xfffff6c0
	global_load_ushort v60, v[66:67], off
	global_load_ushort v61, v[62:63], off
	s_cmp_lt_i32 s9, s10
	v_lshl_add_u64 v[18:19], s[12:13], 1, v[2:3]
	s_cselect_b32 s12, s9, s11
	s_ashr_i32 s13, s12, 31
	s_add_i32 s9, s0, 0xfffff700
	s_cmp_lt_i32 s9, s10
	v_lshl_add_u64 v[20:21], s[12:13], 1, v[2:3]
	s_cselect_b32 s12, s9, s11
	s_ashr_i32 s13, s12, 31
	s_add_i32 s9, s0, 0xfffff740
	s_cmp_lt_i32 s9, s10
	v_lshl_add_u64 v[40:41], s[12:13], 1, v[2:3]
	s_cselect_b32 s12, s9, s11
	s_ashr_i32 s13, s12, 31
	s_add_i32 s9, s0, 0xfffff780
	s_cmp_lt_i32 s9, s10
	v_lshl_add_u64 v[42:43], s[12:13], 1, v[2:3]
	s_cselect_b32 s12, s9, s11
	global_load_ushort v62, v[22:23], off
	s_ashr_i32 s13, s12, 31
	s_add_i32 s9, s0, 0xfffff7c0
	global_load_ushort v66, v[32:33], off
	global_load_ushort v124, v[34:35], off
	;; [unrolled: 1-line block ×4, first 2 shown]
	s_cmp_lt_i32 s9, s10
	v_lshl_add_u64 v[26:27], s[12:13], 1, v[2:3]
	s_cselect_b32 s12, s9, s11
	global_load_ushort v67, v[48:49], off
	s_ashr_i32 s13, s12, 31
	s_add_i32 s9, s0, 0xfffff800
	s_cmp_lt_i32 s9, s10
	v_lshl_add_u64 v[52:53], s[12:13], 1, v[2:3]
	s_cselect_b32 s12, s9, s11
	s_ashr_i32 s13, s12, 31
	s_add_i32 s9, s0, 0xfffff840
	s_cmp_lt_i32 s9, s10
	v_lshl_add_u64 v[64:65], s[12:13], 1, v[2:3]
	s_cselect_b32 s12, s9, s11
	s_ashr_i32 s13, s12, 31
	s_add_i32 s9, s0, 0xfffff880
	s_cmp_lt_i32 s9, s10
	v_mov_b32_e32 v125, s1
	v_lshl_add_u64 v[68:69], s[12:13], 1, v[2:3]
	s_cselect_b32 s12, s9, s11
	ds_read_b128 v[30:33], v125
	ds_read_b128 v[34:37], v125 offset:16
	global_load_ushort v50, v[50:51], off
	s_ashr_i32 s13, s12, 31
	s_add_i32 s9, s0, 0xfffff8c0
	s_cmp_lt_i32 s9, s10
	v_lshl_add_u64 v[70:71], s[12:13], 1, v[2:3]
	s_cselect_b32 s12, s9, s11
	ds_read_b128 v[46:49], v125 offset:32
	ds_read_b128 v[54:57], v125 offset:48
	global_load_ushort v38, v[38:39], off
	s_ashr_i32 s13, s12, 31
	s_add_i32 s9, s0, 0xfffff900
	s_cmp_lt_i32 s9, s10
	v_lshl_add_u64 v[72:73], s[12:13], 1, v[2:3]
	s_cselect_b32 s12, s9, s11
	global_load_ushort v39, v[18:19], off
	s_ashr_i32 s13, s12, 31
	global_load_ushort v26, v[26:27], off
	s_add_i32 s9, s0, 0xfffff940
	s_cmp_lt_i32 s9, s10
	v_lshl_add_u64 v[74:75], s[12:13], 1, v[2:3]
	s_cselect_b32 s12, s9, s11
	s_ashr_i32 s13, s12, 31
	s_add_i32 s9, s0, 0xfffff980
	s_cmp_lt_i32 s9, s10
	v_lshl_add_u64 v[76:77], s[12:13], 1, v[2:3]
	s_cselect_b32 s12, s9, s11
	s_ashr_i32 s13, s12, 31
	;; [unrolled: 5-line block ×5, first 2 shown]
	s_add_i32 s9, s0, 0xfffffa80
	s_cmp_lt_i32 s9, s10
	v_lshl_add_u64 v[84:85], s[12:13], 1, v[2:3]
	global_load_ushort v51, v[84:85], off
	s_cselect_b32 s12, s9, s11
	s_ashr_i32 s13, s12, 31
	s_add_i32 s9, s0, 0xfffffac0
	s_cmp_lt_i32 s9, s10
	v_lshl_add_u64 v[86:87], s[12:13], 1, v[2:3]
	s_cselect_b32 s12, s9, s11
	s_ashr_i32 s13, s12, 31
	s_add_i32 s9, s0, 0xfffffb00
	s_cmp_lt_i32 s9, s10
	v_lshl_add_u64 v[88:89], s[12:13], 1, v[2:3]
	;; [unrolled: 5-line block ×3, first 2 shown]
	s_cselect_b32 s12, s9, s11
	s_ashr_i32 s13, s12, 31
	s_add_i32 s9, s0, 0xfffffb80
	s_waitcnt vmcnt(27)
	v_lshlrev_b32_e32 v111, 16, v111
	s_cmp_lt_i32 s9, s10
	s_waitcnt lgkmcnt(3)
	v_fmac_f32_e32 v110, v30, v111
	s_waitcnt vmcnt(25)
	v_lshlrev_b32_e32 v30, 16, v112
	v_lshl_add_u64 v[92:93], s[12:13], 1, v[2:3]
	s_cselect_b32 s12, s9, s11
	v_fmac_f32_e32 v110, v31, v30
	s_waitcnt vmcnt(24)
	v_lshlrev_b32_e32 v30, 16, v113
	s_ashr_i32 s13, s12, 31
	s_add_i32 s9, s0, 0xfffffbc0
	v_fmac_f32_e32 v110, v32, v30
	s_waitcnt vmcnt(23)
	v_lshlrev_b32_e32 v30, 16, v114
	s_cmp_lt_i32 s9, s10
	v_fmac_f32_e32 v110, v33, v30
	s_waitcnt vmcnt(22)
	v_lshlrev_b32_e32 v18, 16, v115
	v_lshl_add_u64 v[94:95], s[12:13], 1, v[2:3]
	s_cselect_b32 s12, s9, s11
	s_waitcnt lgkmcnt(2)
	v_fmac_f32_e32 v110, v34, v18
	global_load_ushort v34, v[20:21], off
	s_ashr_i32 s13, s12, 31
	global_load_ushort v40, v[40:41], off
	s_add_i32 s9, s0, 0xfffffc00
	s_waitcnt vmcnt(23)
	v_lshlrev_b32_e32 v18, 16, v116
	s_cmp_lt_i32 s9, s10
	v_fmac_f32_e32 v110, v35, v18
	global_load_ushort v35, v[42:43], off
	global_load_ushort v27, v[52:53], off
	v_lshl_add_u64 v[96:97], s[12:13], 1, v[2:3]
	s_cselect_b32 s12, s9, s11
	s_ashr_i32 s13, s12, 31
	s_add_i32 s9, s0, 0xfffffc40
	s_cmp_lt_i32 s9, s10
	s_waitcnt vmcnt(24)
	v_lshlrev_b32_e32 v18, 16, v117
	v_lshl_add_u64 v[100:101], s[12:13], 1, v[2:3]
	s_cselect_b32 s12, s9, s11
	v_fmac_f32_e32 v110, v36, v18
	global_load_ushort v36, v[64:65], off
	s_waitcnt vmcnt(24)
	v_lshlrev_b32_e32 v18, 16, v118
	s_ashr_i32 s13, s12, 31
	s_add_i32 s9, s0, 0xfffffc80
	v_fmac_f32_e32 v110, v37, v18
	global_load_ushort v37, v[68:69], off
	s_waitcnt vmcnt(24)
	v_lshlrev_b32_e32 v18, 16, v119
	s_cmp_lt_i32 s9, s10
	s_waitcnt lgkmcnt(1)
	v_fmac_f32_e32 v110, v46, v18
	global_load_ushort v46, v[76:77], off
	s_waitcnt vmcnt(24)
	v_lshlrev_b32_e32 v18, 16, v120
	v_lshl_add_u64 v[102:103], s[12:13], 1, v[2:3]
	s_cselect_b32 s12, s9, s11
	v_fmac_f32_e32 v110, v47, v18
	v_lshlrev_b32_e32 v18, 16, v121
	s_ashr_i32 s13, s12, 31
	s_add_i32 s9, s0, 0xfffffcc0
	v_fmac_f32_e32 v110, v48, v18
	global_load_ushort v48, v[80:81], off
	global_load_ushort v41, v[70:71], off
	;; [unrolled: 1-line block ×5, first 2 shown]
	s_cmp_lt_i32 s9, s10
	v_lshl_add_u64 v[104:105], s[12:13], 1, v[2:3]
	s_cselect_b32 s12, s9, s11
	s_ashr_i32 s13, s12, 31
	s_add_i32 s9, s0, 0xfffffd00
	s_cmp_lt_i32 s9, s10
	s_waitcnt vmcnt(28)
	v_lshlrev_b32_e32 v18, 16, v122
	v_lshl_add_u64 v[106:107], s[12:13], 1, v[2:3]
	s_cselect_b32 s12, s9, s11
	v_fmac_f32_e32 v110, v49, v18
	global_load_ushort v49, v[82:83], off
	global_load_ushort v52, v[86:87], off
	s_waitcnt vmcnt(29)
	v_lshlrev_b32_e32 v18, 16, v123
	s_ashr_i32 s13, s12, 31
	s_add_i32 s9, s0, 0xfffffd40
	s_waitcnt lgkmcnt(0)
	v_fmac_f32_e32 v110, v54, v18
	global_load_ushort v54, v[88:89], off
	s_waitcnt vmcnt(29)
	v_lshlrev_b32_e32 v18, 16, v58
	s_cmp_lt_i32 s9, s10
	v_fmac_f32_e32 v110, v55, v18
	global_load_ushort v55, v[90:91], off
	s_waitcnt vmcnt(29)
	v_lshlrev_b32_e32 v18, 16, v59
	v_lshl_add_u64 v[98:99], s[12:13], 1, v[2:3]
	s_cselect_b32 s12, s9, s11
	v_fmac_f32_e32 v110, v56, v18
	s_waitcnt vmcnt(28)
	v_lshlrev_b32_e32 v18, 16, v60
	s_ashr_i32 s13, s12, 31
	s_add_i32 s9, s0, 0xfffffd80
	v_fmac_f32_e32 v110, v57, v18
	ds_read_b128 v[18:21], v125 offset:64
	ds_read_b128 v[30:33], v125 offset:80
	s_cmp_lt_i32 s9, s10
	v_lshl_add_u64 v[44:45], s[12:13], 1, v[2:3]
	s_cselect_b32 s12, s9, s11
	s_ashr_i32 s13, s12, 31
	s_add_i32 s9, s0, 0xfffffdc0
	s_cmp_lt_i32 s9, s10
	s_waitcnt vmcnt(27)
	v_lshlrev_b32_e32 v53, 16, v61
	v_lshl_add_u64 v[108:109], s[12:13], 1, v[2:3]
	s_cselect_b32 s12, s9, s11
	s_waitcnt lgkmcnt(1)
	v_fmac_f32_e32 v110, v18, v53
	global_load_ushort v53, v[92:93], off
	global_load_ushort v56, v[94:95], off
	;; [unrolled: 1-line block ×6, first 2 shown]
	s_ashr_i32 s13, s12, 31
	s_add_i32 s9, s0, 0xfffffe00
	s_cmp_lt_i32 s9, s10
	v_lshl_add_u64 v[4:5], s[12:13], 1, v[2:3]
	s_cselect_b32 s12, s9, s11
	s_ashr_i32 s13, s12, 31
	s_add_i32 s9, s0, 0xfffffe40
	s_cmp_lt_i32 s9, s10
	s_waitcnt vmcnt(32)
	v_lshlrev_b32_e32 v18, 16, v62
	v_lshl_add_u64 v[6:7], s[12:13], 1, v[2:3]
	s_cselect_b32 s12, s9, s11
	v_fmac_f32_e32 v110, v19, v18
	s_waitcnt vmcnt(28)
	v_lshlrev_b32_e32 v18, 16, v63
	s_ashr_i32 s13, s12, 31
	s_add_i32 s9, s0, 0xfffffe80
	v_fmac_f32_e32 v110, v20, v18
	v_lshlrev_b32_e32 v18, 16, v66
	s_cmp_lt_i32 s9, s10
	v_fmac_f32_e32 v110, v21, v18
	s_waitcnt vmcnt(27)
	v_lshlrev_b32_e32 v18, 16, v67
	v_lshl_add_u64 v[8:9], s[12:13], 1, v[2:3]
	s_cselect_b32 s12, s9, s11
	s_waitcnt lgkmcnt(0)
	v_fmac_f32_e32 v110, v30, v18
	global_load_ushort v30, v[106:107], off
	s_ashr_i32 s13, s12, 31
	s_add_i32 s9, s0, 0xfffffec0
	s_cmp_lt_i32 s9, s10
	global_load_ushort v61, v[98:99], off
	global_load_ushort v62, v[44:45], off
	;; [unrolled: 1-line block ×3, first 2 shown]
	v_lshl_add_u64 v[12:13], s[12:13], 1, v[2:3]
	s_cselect_b32 s12, s9, s11
	v_lshlrev_b32_e32 v18, 16, v124
	s_ashr_i32 s13, s12, 31
	s_add_i32 s9, s0, 0xffffff00
	v_fmac_f32_e32 v110, v31, v18
	v_lshlrev_b32_e32 v18, 16, v126
	s_cmp_lt_i32 s9, s10
	v_fmac_f32_e32 v110, v32, v18
	global_load_ushort v31, v[4:5], off
	global_load_ushort v32, v[6:7], off
	v_lshl_add_u64 v[10:11], s[12:13], 1, v[2:3]
	s_cselect_b32 s12, s9, s11
	s_ashr_i32 s13, s12, 31
	s_add_i32 s9, s0, 0xffffff40
	s_cmp_lt_i32 s9, s10
	s_waitcnt vmcnt(32)
	v_lshlrev_b32_e32 v4, 16, v50
	v_lshl_add_u64 v[16:17], s[12:13], 1, v[2:3]
	s_cselect_b32 s12, s9, s11
	v_fmac_f32_e32 v110, v33, v4
	ds_read_b128 v[4:7], v125 offset:96
	s_ashr_i32 s13, s12, 31
	s_add_i32 s9, s0, 0xffffff80
	s_cmp_lt_i32 s9, s10
	s_waitcnt vmcnt(31)
	v_lshlrev_b32_e32 v33, 16, v38
	global_load_ushort v38, v[8:9], off
	global_load_ushort v44, v[12:13], off
	v_lshl_add_u64 v[14:15], s[12:13], 1, v[2:3]
	s_cselect_b32 s12, s9, s11
	s_ashr_i32 s13, s12, 31
	s_sub_i32 s9, s0, 64
	s_cmp_lt_i32 s9, s10
	ds_read_b128 v[18:21], v125 offset:112
	s_waitcnt lgkmcnt(1)
	v_fmac_f32_e32 v110, v4, v33
	s_waitcnt vmcnt(32)
	v_lshlrev_b32_e32 v4, 16, v39
	global_load_ushort v33, v[10:11], off
	global_load_ushort v39, v[16:17], off
	v_lshl_add_u64 v[28:29], s[12:13], 1, v[2:3]
	s_cselect_b32 s12, s9, s11
	s_ashr_i32 s13, s12, 31
	s_cmp_lt_i32 s0, s10
	global_load_ushort v16, v[14:15], off
	global_load_ushort v17, v[28:29], off
	v_lshl_add_u64 v[22:23], s[12:13], 1, v[2:3]
	s_cselect_b32 s12, s0, s11
	s_ashr_i32 s13, s12, 31
	v_lshl_add_u64 v[24:25], s[12:13], 1, v[2:3]
	global_load_ushort v14, v[22:23], off
	global_load_ushort v15, v[24:25], off
	v_fmac_f32_e32 v110, v5, v4
	s_waitcnt vmcnt(35)
	v_lshlrev_b32_e32 v4, 16, v34
	v_fmac_f32_e32 v110, v6, v4
	s_waitcnt vmcnt(34)
	v_lshlrev_b32_e32 v4, 16, v40
	;; [unrolled: 3-line block ×3, first 2 shown]
	s_waitcnt lgkmcnt(0)
	v_fmac_f32_e32 v110, v18, v4
	v_lshlrev_b32_e32 v4, 16, v26
	v_fmac_f32_e32 v110, v19, v4
	s_waitcnt vmcnt(32)
	v_lshlrev_b32_e32 v4, 16, v27
	v_fmac_f32_e32 v110, v20, v4
	ds_read_b128 v[4:7], v125 offset:128
	s_waitcnt vmcnt(31)
	v_lshlrev_b32_e32 v8, 16, v36
	v_fmac_f32_e32 v110, v21, v8
	ds_read_b128 v[8:11], v125 offset:144
	s_waitcnt vmcnt(30)
	v_lshlrev_b32_e32 v12, 16, v37
	s_waitcnt lgkmcnt(1)
	v_fmac_f32_e32 v110, v4, v12
	s_waitcnt vmcnt(27)
	v_lshlrev_b32_e32 v4, 16, v41
	v_fmac_f32_e32 v110, v5, v4
	s_waitcnt vmcnt(26)
	v_lshlrev_b32_e32 v4, 16, v42
	;; [unrolled: 3-line block ×3, first 2 shown]
	v_fmac_f32_e32 v110, v7, v4
	v_lshlrev_b32_e32 v4, 16, v46
	s_waitcnt lgkmcnt(0)
	v_fmac_f32_e32 v110, v8, v4
	s_waitcnt vmcnt(24)
	v_lshlrev_b32_e32 v4, 16, v47
	v_fmac_f32_e32 v110, v9, v4
	v_lshlrev_b32_e32 v4, 16, v48
	v_fmac_f32_e32 v110, v10, v4
	ds_read_b128 v[4:7], v125 offset:160
	s_waitcnt vmcnt(23)
	v_lshlrev_b32_e32 v8, 16, v49
	v_fmac_f32_e32 v110, v11, v8
	ds_read_b128 v[8:11], v125 offset:176
	v_lshlrev_b32_e32 v12, 16, v51
	s_waitcnt lgkmcnt(1)
	v_fmac_f32_e32 v110, v4, v12
	s_waitcnt vmcnt(22)
	v_lshlrev_b32_e32 v4, 16, v52
	v_fmac_f32_e32 v110, v5, v4
	s_waitcnt vmcnt(21)
	v_lshlrev_b32_e32 v4, 16, v54
	;; [unrolled: 3-line block ×4, first 2 shown]
	s_waitcnt lgkmcnt(0)
	v_fmac_f32_e32 v110, v8, v4
	s_waitcnt vmcnt(18)
	v_lshlrev_b32_e32 v4, 16, v56
	v_fmac_f32_e32 v110, v9, v4
	s_waitcnt vmcnt(17)
	v_lshlrev_b32_e32 v4, 16, v57
	v_fmac_f32_e32 v110, v10, v4
	ds_read_b128 v[4:7], v125 offset:192
	s_waitcnt vmcnt(16)
	v_lshlrev_b32_e32 v8, 16, v58
	v_fmac_f32_e32 v110, v11, v8
	ds_read_b128 v[8:11], v125 offset:208
	s_waitcnt vmcnt(15)
	v_lshlrev_b32_e32 v12, 16, v59
	s_waitcnt lgkmcnt(1)
	v_fmac_f32_e32 v110, v4, v12
	s_waitcnt vmcnt(14)
	v_lshlrev_b32_e32 v4, 16, v60
	v_fmac_f32_e32 v110, v5, v4
	s_waitcnt vmcnt(13)
	v_lshlrev_b32_e32 v4, 16, v30
	;; [unrolled: 3-line block ×4, first 2 shown]
	v_lshlrev_b32_e32 v4, 16, v62
	s_waitcnt lgkmcnt(0)
	v_pk_mul_f32 v[4:5], v[8:9], v[4:5]
	s_waitcnt vmcnt(6)
	v_lshlrev_b32_e32 v13, 16, v44
	v_add_f32_e32 v4, v110, v4
	v_add_f32_e32 v6, v4, v5
	v_lshlrev_b32_e32 v5, 16, v32
	v_lshlrev_b32_e32 v4, 16, v31
	v_pk_mul_f32 v[8:9], v[10:11], v[4:5]
	v_lshlrev_b32_e32 v12, 16, v38
	v_add_f32_e32 v8, v6, v8
	ds_read_b128 v[4:7], v125 offset:224
	v_add_f32_e32 v18, v8, v9
	ds_read_b128 v[8:11], v125 offset:240
	s_waitcnt lgkmcnt(1)
	v_pk_mul_f32 v[4:5], v[4:5], v[12:13]
	s_nop 0
	v_add_f32_e32 v4, v18, v4
	v_add_f32_e32 v12, v4, v5
	s_waitcnt vmcnt(4)
	v_lshlrev_b32_e32 v5, 16, v39
	v_lshlrev_b32_e32 v4, 16, v33
	v_pk_mul_f32 v[4:5], v[6:7], v[4:5]
	s_nop 0
	v_add_f32_e32 v4, v12, v4
	v_add_f32_e32 v6, v4, v5
	s_waitcnt vmcnt(2)
	v_lshlrev_b32_e32 v5, 16, v17
	v_lshlrev_b32_e32 v4, 16, v16
	s_waitcnt lgkmcnt(0)
	v_pk_mul_f32 v[4:5], v[8:9], v[4:5]
	s_nop 0
	v_add_f32_e32 v4, v6, v4
	v_add_f32_e32 v6, v4, v5
	s_waitcnt vmcnt(0)
	v_lshlrev_b32_e32 v5, 16, v15
	v_lshlrev_b32_e32 v4, 16, v14
	v_pk_mul_f32 v[4:5], v[10:11], v[4:5]
	s_nop 0
	v_add_f32_e32 v4, v6, v4
	v_add_f32_e32 v110, v4, v5
	s_branch .LBB407_16
.LBB407_19:
	v_mov_b32_e32 v2, 0
	ds_read_b32 v2, v2 offset:2048
	s_cmp_lg_u64 s[6:7], 0
	s_cbranch_scc0 .LBB407_24
; %bb.20:
	s_load_dword s6, s[6:7], 0x0
	s_waitcnt lgkmcnt(0)
	v_div_scale_f32 v3, s[0:1], s6, s6, 1.0
	v_rcp_f32_e32 v4, v3
	v_div_scale_f32 v5, vcc, 1.0, s6, 1.0
	v_fma_f32 v6, -v3, v4, 1.0
	v_fmac_f32_e32 v4, v6, v4
	v_mul_f32_e32 v6, v5, v4
	v_fma_f32 v7, -v3, v6, v5
	v_fmac_f32_e32 v6, v7, v4
	v_fma_f32 v3, -v3, v6, v5
	v_div_fmas_f32 v3, v3, v4, v6
	v_div_fixup_f32 v3, v3, s6, 1.0
	s_andn2_b64 vcc, exec, s[34:35]
	s_cbranch_vccnz .LBB407_22
.LBB407_21:
	s_add_u32 s0, s30, s36
	s_addc_u32 s1, s31, s37
	s_load_dword s28, s[0:1], 0x0
	s_mov_b32 s29, 0
.LBB407_22:
	s_waitcnt lgkmcnt(0)
	v_add_f32_e32 v2, 0x358637bd, v2
	v_div_scale_f32 v4, s[0:1], v2, v2, 1.0
	v_rcp_f32_e32 v5, v4
	v_div_scale_f32 v6, vcc, 1.0, v2, 1.0
	s_mul_i32 s0, s3, s29
	v_fma_f32 v7, -v4, v5, 1.0
	v_fmac_f32_e32 v5, v7, v5
	v_mul_f32_e32 v7, v6, v5
	v_fma_f32 v8, -v4, v7, v6
	v_fmac_f32_e32 v7, v8, v5
	v_fma_f32 v4, -v4, v7, v6
	s_mul_hi_u32 s1, s3, s28
	v_div_fmas_f32 v4, v4, v5, v7
	s_add_i32 s1, s1, s0
	s_mul_i32 s0, s3, s28
	v_div_fixup_f32 v2, v4, v2, 1.0
	s_lshl_b64 s[0:1], s[0:1], 6
	v_mul_f32_e32 v2, v110, v2
	s_add_u32 s4, s4, s0
	s_mov_b32 s3, 0
	v_mul_f32_e32 v2, v2, v3
	s_addc_u32 s5, s5, s1
	s_lshl_b64 s[0:1], s[2:3], 6
	s_mov_b32 s2, 0x7f800000
	s_mov_b32 s3, 0x43700000
	v_mov_b32_e32 v3, 0xc3700000
	v_med3_f32 v3, v2, s3, v3
	v_cmp_nlg_f32_e64 vcc, |v2|, s2
	s_add_u32 s0, s4, s0
	s_addc_u32 s1, s5, s1
	v_cndmask_b32_e32 v2, v3, v2, vcc
	v_mov_b32_e32 v3, 0
	v_cvt_pk_fp8_f32 v3, v2, v2
	v_lshl_add_u64 v[0:1], s[0:1], 0, v[0:1]
	global_store_byte v[0:1], v3, off
	s_endpgm
.LBB407_23:
	s_mov_b64 s[6:7], 0
	s_branch .LBB407_2
.LBB407_24:
	v_mov_b32_e32 v3, 1.0
	s_andn2_b64 vcc, exec, s[34:35]
	s_cbranch_vccz .LBB407_21
	s_branch .LBB407_22
	.section	.rodata,"a",@progbits
	.p2align	6, 0x0
	.amdhsa_kernel _Z35paged_attention_ll4mi_reduce_kernelI14__hip_bfloat16hLi64ELi64ELi256ELi8EEvPT0_PKfS4_PKT_PKiS9_iS4_
		.amdhsa_group_segment_fixed_size 2052
		.amdhsa_private_segment_fixed_size 0
		.amdhsa_kernarg_size 320
		.amdhsa_user_sgpr_count 2
		.amdhsa_user_sgpr_dispatch_ptr 0
		.amdhsa_user_sgpr_queue_ptr 0
		.amdhsa_user_sgpr_kernarg_segment_ptr 1
		.amdhsa_user_sgpr_dispatch_id 0
		.amdhsa_user_sgpr_kernarg_preload_length 0
		.amdhsa_user_sgpr_kernarg_preload_offset 0
		.amdhsa_user_sgpr_private_segment_size 0
		.amdhsa_uses_dynamic_stack 0
		.amdhsa_enable_private_segment 0
		.amdhsa_system_sgpr_workgroup_id_x 1
		.amdhsa_system_sgpr_workgroup_id_y 1
		.amdhsa_system_sgpr_workgroup_id_z 0
		.amdhsa_system_sgpr_workgroup_info 0
		.amdhsa_system_vgpr_workitem_id 0
		.amdhsa_next_free_vgpr 127
		.amdhsa_next_free_sgpr 45
		.amdhsa_accum_offset 128
		.amdhsa_reserve_vcc 1
		.amdhsa_float_round_mode_32 0
		.amdhsa_float_round_mode_16_64 0
		.amdhsa_float_denorm_mode_32 3
		.amdhsa_float_denorm_mode_16_64 3
		.amdhsa_dx10_clamp 1
		.amdhsa_ieee_mode 1
		.amdhsa_fp16_overflow 0
		.amdhsa_tg_split 0
		.amdhsa_exception_fp_ieee_invalid_op 0
		.amdhsa_exception_fp_denorm_src 0
		.amdhsa_exception_fp_ieee_div_zero 0
		.amdhsa_exception_fp_ieee_overflow 0
		.amdhsa_exception_fp_ieee_underflow 0
		.amdhsa_exception_fp_ieee_inexact 0
		.amdhsa_exception_int_div_zero 0
	.end_amdhsa_kernel
	.section	.text._Z35paged_attention_ll4mi_reduce_kernelI14__hip_bfloat16hLi64ELi64ELi256ELi8EEvPT0_PKfS4_PKT_PKiS9_iS4_,"axG",@progbits,_Z35paged_attention_ll4mi_reduce_kernelI14__hip_bfloat16hLi64ELi64ELi256ELi8EEvPT0_PKfS4_PKT_PKiS9_iS4_,comdat
.Lfunc_end407:
	.size	_Z35paged_attention_ll4mi_reduce_kernelI14__hip_bfloat16hLi64ELi64ELi256ELi8EEvPT0_PKfS4_PKT_PKiS9_iS4_, .Lfunc_end407-_Z35paged_attention_ll4mi_reduce_kernelI14__hip_bfloat16hLi64ELi64ELi256ELi8EEvPT0_PKfS4_PKT_PKiS9_iS4_
                                        ; -- End function
	.section	.AMDGPU.csdata,"",@progbits
; Kernel info:
; codeLenInByte = 9388
; NumSgprs: 51
; NumVgprs: 127
; NumAgprs: 0
; TotalNumVgprs: 127
; ScratchSize: 0
; MemoryBound: 0
; FloatMode: 240
; IeeeMode: 1
; LDSByteSize: 2052 bytes/workgroup (compile time only)
; SGPRBlocks: 6
; VGPRBlocks: 15
; NumSGPRsForWavesPerEU: 51
; NumVGPRsForWavesPerEU: 127
; AccumOffset: 128
; Occupancy: 4
; WaveLimiterHint : 1
; COMPUTE_PGM_RSRC2:SCRATCH_EN: 0
; COMPUTE_PGM_RSRC2:USER_SGPR: 2
; COMPUTE_PGM_RSRC2:TRAP_HANDLER: 0
; COMPUTE_PGM_RSRC2:TGID_X_EN: 1
; COMPUTE_PGM_RSRC2:TGID_Y_EN: 1
; COMPUTE_PGM_RSRC2:TGID_Z_EN: 0
; COMPUTE_PGM_RSRC2:TIDIG_COMP_CNT: 0
; COMPUTE_PGM_RSRC3_GFX90A:ACCUM_OFFSET: 31
; COMPUTE_PGM_RSRC3_GFX90A:TG_SPLIT: 0
	.section	.text._Z39paged_attention_ll4mi_QKV_mfma16_kernelI14__hip_bfloat16S0_LN4vllm18Fp8KVCacheDataTypeE0EhLi16ELi64ELi256ELb1ELi1EEvPKT_PKT0_S8_ifPKiSA_SA_iPKfiiiPfSD_PS3_PT2_iSC_SC_,"axG",@progbits,_Z39paged_attention_ll4mi_QKV_mfma16_kernelI14__hip_bfloat16S0_LN4vllm18Fp8KVCacheDataTypeE0EhLi16ELi64ELi256ELb1ELi1EEvPKT_PKT0_S8_ifPKiSA_SA_iPKfiiiPfSD_PS3_PT2_iSC_SC_,comdat
	.protected	_Z39paged_attention_ll4mi_QKV_mfma16_kernelI14__hip_bfloat16S0_LN4vllm18Fp8KVCacheDataTypeE0EhLi16ELi64ELi256ELb1ELi1EEvPKT_PKT0_S8_ifPKiSA_SA_iPKfiiiPfSD_PS3_PT2_iSC_SC_ ; -- Begin function _Z39paged_attention_ll4mi_QKV_mfma16_kernelI14__hip_bfloat16S0_LN4vllm18Fp8KVCacheDataTypeE0EhLi16ELi64ELi256ELb1ELi1EEvPKT_PKT0_S8_ifPKiSA_SA_iPKfiiiPfSD_PS3_PT2_iSC_SC_
	.globl	_Z39paged_attention_ll4mi_QKV_mfma16_kernelI14__hip_bfloat16S0_LN4vllm18Fp8KVCacheDataTypeE0EhLi16ELi64ELi256ELb1ELi1EEvPKT_PKT0_S8_ifPKiSA_SA_iPKfiiiPfSD_PS3_PT2_iSC_SC_
	.p2align	8
	.type	_Z39paged_attention_ll4mi_QKV_mfma16_kernelI14__hip_bfloat16S0_LN4vllm18Fp8KVCacheDataTypeE0EhLi16ELi64ELi256ELb1ELi1EEvPKT_PKT0_S8_ifPKiSA_SA_iPKfiiiPfSD_PS3_PT2_iSC_SC_,@function
_Z39paged_attention_ll4mi_QKV_mfma16_kernelI14__hip_bfloat16S0_LN4vllm18Fp8KVCacheDataTypeE0EhLi16ELi64ELi256ELb1ELi1EEvPKT_PKT0_S8_ifPKiSA_SA_iPKfiiiPfSD_PS3_PT2_iSC_SC_: ; @_Z39paged_attention_ll4mi_QKV_mfma16_kernelI14__hip_bfloat16S0_LN4vllm18Fp8KVCacheDataTypeE0EhLi16ELi64ELi256ELb1ELi1EEvPKT_PKT0_S8_ifPKiSA_SA_iPKfiiiPfSD_PS3_PT2_iSC_SC_
; %bb.0:
	s_load_dwordx2 s[6:7], s[0:1], 0x30
	s_mov_b32 s30, s3
	s_mov_b64 s[8:9], 0
	s_waitcnt lgkmcnt(0)
	s_cmp_lg_u64 s[6:7], 0
	s_cselect_b64 s[10:11], -1, 0
	s_and_b64 vcc, exec, s[10:11]
	s_cbranch_vccz .LBB408_7
; %bb.1:
	s_add_i32 s12, s2, 1
	s_mov_b32 s13, 0
	s_lshl_b64 s[14:15], s[12:13], 2
	s_add_u32 s14, s6, s14
	s_mov_b32 s3, s13
	s_addc_u32 s15, s7, s15
	s_lshl_b64 s[12:13], s[2:3], 2
	s_add_u32 s12, s6, s12
	s_addc_u32 s13, s7, s13
	s_load_dword s5, s[14:15], 0x0
	s_load_dword s16, s[12:13], 0x0
	s_waitcnt lgkmcnt(0)
	s_sub_i32 s5, s5, s16
	s_cmp_eq_u32 s5, 1
	s_cselect_b64 s[12:13], -1, 0
	s_andn2_b64 vcc, exec, s[8:9]
	s_cbranch_vccnz .LBB408_3
.LBB408_2:
	s_mov_b32 s3, 0
	s_mov_b64 s[12:13], -1
.LBB408_3:
	s_andn2_b64 vcc, exec, s[12:13]
	s_cbranch_vccnz .LBB408_19
; %bb.4:
	s_load_dwordx2 s[8:9], s[0:1], 0x28
	s_lshl_b64 s[12:13], s[2:3], 2
	s_waitcnt lgkmcnt(0)
	s_add_u32 s8, s8, s12
	s_addc_u32 s9, s9, s13
	s_load_dword s31, s[8:9], 0x0
	s_lshl_b32 s16, s30, 8
	s_waitcnt lgkmcnt(0)
	s_cmp_ge_i32 s16, s31
	s_cbranch_scc1 .LBB408_19
; %bb.5:
	s_load_dwordx2 s[8:9], s[0:1], 0x20
	s_load_dword s5, s[0:1], 0x38
	s_add_i32 s14, s31, 15
	s_ashr_i32 s15, s14, 31
	v_and_b32_e32 v1, 0xcf, v0
	s_lshr_b32 s15, s15, 28
	v_add_u32_e32 v1, s16, v1
	s_add_i32 s14, s14, s15
	v_ashrrev_i32_e32 v2, 31, v1
	s_ashr_i32 s17, s14, 4
	v_lshrrev_b32_e32 v6, 28, v2
	s_add_i32 s17, s17, -1
	s_waitcnt lgkmcnt(0)
	s_mul_i32 s14, s2, s5
	s_mov_b32 s15, 0
	v_add_u32_e32 v2, v1, v6
	s_lshl_b64 s[14:15], s[14:15], 2
	v_ashrrev_i32_e32 v2, 4, v2
	v_mov_b32_e32 v7, s17
	v_cmp_gt_i32_e32 vcc, s31, v1
	s_add_u32 s8, s8, s14
	s_addc_u32 s9, s9, s15
	v_cndmask_b32_e32 v2, v7, v2, vcc
	v_ashrrev_i32_e32 v3, 31, v2
	v_lshl_add_u64 v[4:5], v[2:3], 2, s[8:9]
	v_or_b32_e32 v2, 16, v1
	v_add_u32_e32 v3, v2, v6
	v_ashrrev_i32_e32 v3, 4, v3
	v_cmp_gt_i32_e32 vcc, s31, v2
	s_load_dwordx2 s[14:15], s[0:1], 0x8
	s_nop 0
	v_cndmask_b32_e32 v2, v7, v3, vcc
	v_ashrrev_i32_e32 v3, 31, v2
	v_lshl_add_u64 v[8:9], v[2:3], 2, s[8:9]
	v_or_b32_e32 v2, 32, v1
	v_add_u32_e32 v3, v2, v6
	v_ashrrev_i32_e32 v3, 4, v3
	v_cmp_gt_i32_e32 vcc, s31, v2
	v_or_b32_e32 v1, 48, v1
	s_nop 0
	v_cndmask_b32_e32 v2, v7, v3, vcc
	v_ashrrev_i32_e32 v3, 31, v2
	v_lshl_add_u64 v[10:11], v[2:3], 2, s[8:9]
	v_add_u32_e32 v2, v1, v6
	v_ashrrev_i32_e32 v2, 4, v2
	v_cmp_gt_i32_e32 vcc, s31, v1
	s_nop 1
	v_cndmask_b32_e32 v2, v7, v2, vcc
	v_ashrrev_i32_e32 v3, 31, v2
	v_lshl_add_u64 v[12:13], v[2:3], 2, s[8:9]
	global_load_dword v3, v[4:5], off
	global_load_dword v2, v[8:9], off
	;; [unrolled: 1-line block ×4, first 2 shown]
	s_andn2_b64 vcc, exec, s[10:11]
	s_cbranch_vccnz .LBB408_8
; %bb.6:
	s_add_u32 s6, s6, s12
	s_addc_u32 s7, s7, s13
	s_load_dword s5, s[6:7], 0x0
	s_branch .LBB408_9
.LBB408_7:
	s_mov_b64 s[12:13], 0
	s_branch .LBB408_2
.LBB408_8:
	s_mov_b32 s5, s2
.LBB408_9:
	s_load_dwordx2 s[10:11], s[0:1], 0x10
	s_load_dwordx4 s[44:47], s[0:1], 0x48
	v_lshrrev_b32_e32 v52, 6, v0
	v_bfe_u32 v50, v0, 4, 2
	v_lshl_or_b32 v1, v52, 2, v50
	v_and_b32_e32 v53, 15, v0
	v_lshlrev_b32_e32 v4, 3, v53
	v_cmp_eq_u32_e32 vcc, 0, v1
	v_cmp_gt_u32_e64 s[6:7], 8, v53
	s_and_b64 s[18:19], s[6:7], vcc
	v_lshlrev_b32_e32 v1, 1, v4
	s_and_saveexec_b64 s[12:13], s[18:19]
	s_cbranch_execz .LBB408_11
; %bb.10:
	s_load_dwordx2 s[18:19], s[0:1], 0x0
	s_waitcnt lgkmcnt(0)
	s_ashr_i32 s20, s44, 31
	s_mul_hi_u32 s21, s5, s44
	s_mul_i32 s20, s5, s20
	s_add_i32 s21, s21, s20
	s_mul_i32 s20, s5, s44
	s_lshl_b64 s[20:21], s[20:21], 1
	s_add_u32 s5, s18, s20
	s_addc_u32 s20, s19, s21
	s_lshl_b32 s18, s4, 6
	s_ashr_i32 s19, s18, 31
	s_lshl_b64 s[18:19], s[18:19], 1
	s_add_u32 s18, s5, s18
	s_addc_u32 s19, s20, s19
	global_load_dwordx4 v[8:11], v1, s[18:19]
	v_and_b32_e32 v4, 3, v0
	v_lshlrev_b32_e32 v5, 9, v53
	v_lshlrev_b32_e32 v4, 9, v4
	s_movk_i32 s5, 0x1800
	v_and_or_b32 v4, v5, s5, v4
	s_waitcnt vmcnt(0)
	ds_write_b128 v4, v[8:11]
.LBB408_11:
	s_or_b64 exec, exec, s[12:13]
	s_waitcnt lgkmcnt(0)
	s_mul_i32 s12, s4, s46
	s_mov_b32 s13, 0
	s_lshl_b64 s[12:13], s[12:13], 1
	s_add_u32 s14, s14, s12
	v_lshlrev_b32_e32 v51, 4, v0
	s_addc_u32 s15, s15, s13
	v_and_b32_e32 v42, 0xf0, v51
	v_mov_b32_e32 v43, 0
	v_lshl_add_u64 v[16:17], s[14:15], 0, v[42:43]
	s_waitcnt vmcnt(3)
	v_mad_i64_i32 v[4:5], s[14:15], v3, s45, 0
	s_waitcnt vmcnt(2)
	v_mad_i64_i32 v[2:3], s[14:15], v2, s45, 0
	;; [unrolled: 2-line block ×3, first 2 shown]
	v_lshl_add_u64 v[4:5], v[4:5], 1, v[16:17]
	v_and_b32_e32 v42, 0x300, v51
	v_lshl_add_u64 v[2:3], v[2:3], 1, v[16:17]
	v_lshl_add_u64 v[6:7], v[6:7], 1, v[16:17]
	s_waitcnt vmcnt(0)
	v_mad_i64_i32 v[14:15], s[14:15], v14, s45, 0
	v_lshl_add_u64 v[4:5], v[4:5], 0, v[42:43]
	v_lshl_add_u64 v[8:9], v[2:3], 0, v[42:43]
	;; [unrolled: 1-line block ×4, first 2 shown]
	s_barrier
	global_load_dwordx4 v[30:33], v[4:5], off
	global_load_dwordx4 v[10:13], v[4:5], off offset:1024
	global_load_dwordx4 v[22:25], v[8:9], off
	s_nop 0
	global_load_dwordx4 v[2:5], v[8:9], off offset:1024
	global_load_dwordx4 v[26:29], v[18:19], off
	s_nop 0
	global_load_dwordx4 v[6:9], v[18:19], off offset:1024
	v_lshl_add_u64 v[18:19], v[14:15], 0, v[42:43]
	global_load_dwordx4 v[34:37], v[18:19], off
	global_load_dwordx4 v[14:17], v[18:19], off offset:1024
	v_lshlrev_b32_e32 v18, 9, v50
	ds_read_b128 v[38:41], v18
	ds_read_b128 v[18:21], v18 offset:2048
	v_and_b32_e32 v55, 63, v0
	v_cmp_eq_u32_e32 vcc, 0, v53
	v_mov_b32_e32 v56, 0
	s_and_saveexec_b64 s[14:15], vcc
	s_cbranch_execz .LBB408_13
; %bb.12:
	s_load_dwordx2 s[18:19], s[0:1], 0x40
	s_ashr_i32 s5, s4, 31
	s_lshl_b64 s[20:21], s[4:5], 2
	s_waitcnt lgkmcnt(0)
	s_add_u32 s18, s18, s20
	s_addc_u32 s19, s19, s21
	s_load_dword s5, s[18:19], 0x0
	s_waitcnt lgkmcnt(0)
	v_mov_b32_e32 v56, s5
.LBB408_13:
	s_or_b64 exec, exec, s[14:15]
	v_and_or_b32 v42, v0, 48, s16
	v_ashrrev_i32_e32 v44, 4, v42
	v_mov_b32_e32 v57, s17
	v_cmp_gt_i32_e32 vcc, s31, v42
	v_or_b32_e32 v54, 64, v42
	s_waitcnt vmcnt(5) lgkmcnt(1)
	v_mfma_f32_16x16x16_bf16 v[58:61], v[22:23], v[38:39], 0
	v_cndmask_b32_e32 v44, v57, v44, vcc
	v_ashrrev_i32_e32 v45, 31, v44
	v_lshl_add_u64 v[48:49], v[44:45], 2, s[8:9]
	v_mfma_f32_16x16x16_bf16 v[44:47], v[30:31], v[38:39], 0
	v_ashrrev_i32_e32 v30, 4, v54
	v_cmp_gt_i32_e32 vcc, s31, v54
	global_load_dword v70, v[48:49], off
	s_waitcnt vmcnt(4)
	v_mfma_f32_16x16x16_bf16 v[62:65], v[26:27], v[38:39], 0
	v_cndmask_b32_e32 v30, v57, v30, vcc
	v_ashrrev_i32_e32 v31, 31, v30
	v_lshl_add_u64 v[22:23], v[30:31], 2, s[8:9]
	global_load_dword v71, v[22:23], off
	v_mfma_f32_16x16x16_bf16 v[22:25], v[24:25], v[40:41], v[58:61]
	v_and_b32_e32 v26, 0xc0, v0
	s_load_dword s14, s[0:1], 0x1c
	s_mov_b32 s5, 0xff7fffff
	v_mfma_f32_16x16x16_bf16 v[30:33], v[32:33], v[40:41], v[44:47]
	s_add_u32 s10, s10, s12
	v_lshlrev_b32_e32 v54, 5, v53
	s_addc_u32 s11, s11, s13
	s_waitcnt vmcnt(3)
	v_mfma_f32_16x16x16_bf16 v[66:69], v[34:35], v[38:39], 0
	v_or_b32_e32 v38, 0x80, v42
	v_add_u32_e32 v44, s16, v26
	v_or_b32_e32 v39, 0xc0, v42
	v_mfma_f32_16x16x16_bf16 v[26:29], v[28:29], v[40:41], v[62:65]
	v_ashrrev_i32_e32 v45, 4, v38
	v_cmp_gt_i32_e32 vcc, s31, v38
	v_ashrrev_i32_e32 v46, 4, v39
	s_waitcnt lgkmcnt(0)
	v_mfma_f32_16x16x16_bf16 v[22:25], v[2:3], v[18:19], v[22:25]
	v_cndmask_b32_e32 v38, v57, v45, vcc
	v_cmp_gt_i32_e32 vcc, s31, v39
	v_ashrrev_i32_e32 v39, 31, v38
	v_mfma_f32_16x16x16_bf16 v[30:33], v[10:11], v[18:19], v[30:33]
	v_cndmask_b32_e32 v10, v57, v46, vcc
	v_ashrrev_i32_e32 v11, 31, v10
	v_lshl_or_b32 v58, v50, 2, v44
	v_mfma_f32_16x16x16_bf16 v[26:29], v[6:7], v[18:19], v[26:29]
	v_lshl_add_u64 v[6:7], v[38:39], 2, s[8:9]
	v_lshl_add_u64 v[38:39], v[10:11], 2, s[8:9]
	v_or_b32_e32 v57, 1, v58
	v_mfma_f32_16x16x16_bf16 v[2:5], v[4:5], v[20:21], v[22:25]
	s_nop 2
	global_load_dword v22, v[6:7], off
	global_load_dword v61, v[38:39], off
	v_subrev_u32_e32 v59, s31, v57
	v_cvt_f32_i32_e32 v60, v59
	v_mfma_f32_16x16x16_bf16 v[34:37], v[36:37], v[40:41], v[66:69]
	v_pk_mul_f32 v[44:45], s[14:15], v[4:5] op_sel_hi:[0,1]
	v_cmp_gt_i32_e64 s[34:35], s31, v58
	v_cmp_gt_i32_e64 s[36:37], s31, v57
	s_waitcnt vmcnt(4)
	v_mfma_f32_16x16x16_bf16 v[34:37], v[14:15], v[18:19], v[34:37]
	v_add_u32_e32 v14, 1, v59
	v_add_u32_e32 v15, 2, v59
	v_cvt_f32_i32_e32 v23, v14
	v_cvt_f32_i32_e32 v24, v15
	v_mfma_f32_16x16x16_bf16 v[14:17], v[16:17], v[20:21], v[34:37]
	v_add_u32_e32 v18, 3, v59
	v_cvt_f32_i32_e32 v18, v18
	v_add_u32_e32 v19, 16, v59
	v_mfma_f32_16x16x16_bf16 v[10:13], v[12:13], v[20:21], v[30:33]
	v_cvt_f32_i32_e32 v19, v19
	s_nop 1
	v_pk_mul_f32 v[36:37], s[14:15], v[14:15] op_sel_hi:[0,1]
	v_add_u32_e32 v15, 19, v59
	v_add_u32_e32 v31, 18, v59
	v_cvt_f32_i32_e32 v14, v31
	v_cvt_f32_i32_e32 v15, v15
	v_mfma_f32_16x16x16_bf16 v[6:9], v[8:9], v[20:21], v[26:29]
	v_pk_mul_f32 v[34:35], s[14:15], v[16:17] op_sel_hi:[0,1]
	v_fma_f32 v44, v56, v14, v44
	v_add_u32_e32 v14, 32, v59
	v_fmac_f32_e32 v45, v56, v15
	v_cvt_f32_i32_e32 v14, v14
	v_add_u32_e32 v15, 33, v59
	v_add_u32_e32 v16, 34, v59
	v_cvt_f32_i32_e32 v15, v15
	v_cvt_f32_i32_e32 v16, v16
	v_add_u32_e32 v17, 35, v59
	v_cvt_f32_i32_e32 v17, v17
	v_pk_mul_f32 v[40:41], s[14:15], v[6:7] op_sel_hi:[0,1]
	v_pk_mul_f32 v[38:39], s[14:15], v[8:9] op_sel_hi:[0,1]
	v_fma_f32 v40, v56, v14, v40
	v_add_u32_e32 v14, 48, v59
	v_fmac_f32_e32 v41, v56, v15
	v_fma_f32 v38, v56, v16, v38
	v_cvt_f32_i32_e32 v14, v14
	v_add_u32_e32 v15, 49, v59
	v_add_u32_e32 v16, 50, v59
	v_fmac_f32_e32 v39, v56, v17
	v_cvt_f32_i32_e32 v15, v15
	v_cvt_f32_i32_e32 v16, v16
	v_add_u32_e32 v17, 51, v59
	v_cvt_f32_i32_e32 v17, v17
	v_pk_mul_f32 v[10:11], s[14:15], v[10:11] op_sel_hi:[0,1]
	v_fma_f32 v10, v56, v60, v10
	v_fmac_f32_e32 v11, v56, v23
	v_fma_f32 v36, v56, v14, v36
	v_mov_b32_e32 v14, 0xff7fffff
	v_add_u32_e32 v30, 17, v59
	v_fmac_f32_e32 v37, v56, v15
	v_fma_f32 v34, v56, v16, v34
	v_cndmask_b32_e64 v15, v14, v10, s[34:35]
	v_cndmask_b32_e64 v16, v14, v11, s[36:37]
	v_cvt_f32_i32_e32 v25, v30
	v_pk_mul_f32 v[48:49], s[14:15], v[12:13] op_sel_hi:[0,1]
	v_fmac_f32_e32 v35, v56, v17
	v_max3_f32 v15, v15, s5, v16
	v_or_b32_e32 v16, 2, v58
	v_or_b32_e32 v17, 3, v58
	v_fma_f32 v48, v56, v24, v48
	v_fmac_f32_e32 v49, v56, v18
	v_cmp_gt_i32_e64 s[38:39], s31, v16
	v_cmp_gt_i32_e64 s[40:41], s31, v17
	v_pk_mul_f32 v[46:47], s[14:15], v[2:3] op_sel_hi:[0,1]
	v_cndmask_b32_e64 v16, v14, v48, s[38:39]
	v_cndmask_b32_e64 v17, v14, v49, s[40:41]
	v_max3_f32 v15, v15, v16, v17
	v_or_b32_e32 v16, 16, v58
	v_or_b32_e32 v17, 17, v58
	v_fma_f32 v46, v56, v19, v46
	v_fmac_f32_e32 v47, v56, v25
	v_cmp_gt_i32_e64 s[26:27], s31, v16
	v_cmp_gt_i32_e64 s[28:29], s31, v17
	v_lshl_or_b32 v42, v52, 9, v54
	v_cndmask_b32_e64 v16, v14, v46, s[26:27]
	v_cndmask_b32_e64 v17, v14, v47, s[28:29]
	v_max3_f32 v15, v15, v16, v17
	v_or_b32_e32 v16, 18, v58
	v_or_b32_e32 v17, 19, v58
	v_cmp_gt_i32_e64 s[22:23], s31, v16
	v_cmp_gt_i32_e64 s[24:25], s31, v17
	v_lshl_add_u64 v[42:43], s[10:11], 0, v[42:43]
	v_cndmask_b32_e64 v16, v14, v44, s[22:23]
	v_cndmask_b32_e64 v17, v14, v45, s[24:25]
	v_max3_f32 v15, v15, v16, v17
	v_or_b32_e32 v16, 32, v58
	v_or_b32_e32 v17, 33, v58
	v_cmp_gt_i32_e64 s[18:19], s31, v16
	v_cmp_gt_i32_e64 s[20:21], s31, v17
	s_waitcnt vmcnt(3)
	v_mad_i64_i32 v[2:3], s[8:9], v70, s45, 0
	v_cndmask_b32_e64 v16, v14, v40, s[18:19]
	v_cndmask_b32_e64 v17, v14, v41, s[20:21]
	v_max3_f32 v15, v15, v16, v17
	v_or_b32_e32 v16, 34, v58
	v_or_b32_e32 v17, 35, v58
	v_cmp_gt_i32_e64 s[14:15], s31, v16
	v_cmp_gt_i32_e64 s[16:17], s31, v17
	s_waitcnt vmcnt(2)
	v_mad_i64_i32 v[12:13], s[8:9], v71, s45, 0
	v_cndmask_b32_e64 v16, v14, v38, s[14:15]
	v_cndmask_b32_e64 v17, v14, v39, s[16:17]
	v_max3_f32 v15, v15, v16, v17
	v_or_b32_e32 v16, 48, v58
	v_or_b32_e32 v17, 49, v58
	v_cmp_gt_i32_e64 s[10:11], s31, v16
	v_cmp_gt_i32_e64 s[12:13], s31, v17
	v_lshl_add_u64 v[2:3], v[2:3], 1, v[42:43]
	v_cndmask_b32_e64 v16, v14, v36, s[10:11]
	v_cndmask_b32_e64 v17, v14, v37, s[12:13]
	v_max3_f32 v15, v15, v16, v17
	v_or_b32_e32 v16, 50, v58
	v_or_b32_e32 v17, 51, v58
	v_cmp_gt_i32_e32 vcc, s31, v16
	v_cmp_gt_i32_e64 s[8:9], s31, v17
	v_lshl_add_u64 v[12:13], v[12:13], 1, v[42:43]
	v_cndmask_b32_e32 v16, v14, v34, vcc
	v_cndmask_b32_e64 v14, v14, v35, s[8:9]
	v_max3_f32 v14, v15, v16, v14
	v_mbcnt_lo_u32_b32 v15, -1, 0
	v_mbcnt_hi_u32_b32 v15, -1, v15
	v_and_b32_e32 v16, 64, v15
	v_add_u32_e32 v16, 64, v16
	v_xor_b32_e32 v17, 32, v15
	v_cmp_lt_i32_e64 s[42:43], v17, v16
	global_load_dwordx4 v[6:9], v[2:3], off
	s_nop 0
	global_load_dwordx4 v[2:5], v[2:3], off offset:16
	v_cndmask_b32_e64 v17, v15, v17, s[42:43]
	v_lshlrev_b32_e32 v57, 2, v17
	ds_bpermute_b32 v17, v57, v14
	global_load_dwordx4 v[30:33], v[12:13], off
	global_load_dwordx4 v[26:29], v[12:13], off offset:16
	s_waitcnt vmcnt(5)
	v_mad_i64_i32 v[12:13], s[42:43], v22, s45, 0
	v_lshl_add_u64 v[12:13], v[12:13], 1, v[42:43]
	s_waitcnt lgkmcnt(0)
	v_max_f32_e32 v17, v17, v17
	v_max_f32_e32 v14, v14, v17
	v_xor_b32_e32 v17, 16, v15
	v_cmp_lt_i32_e64 s[42:43], v17, v16
	global_load_dwordx4 v[22:25], v[12:13], off
	global_load_dwordx4 v[18:21], v[12:13], off offset:16
	v_cndmask_b32_e64 v15, v15, v17, s[42:43]
	v_lshlrev_b32_e32 v58, 2, v15
	ds_bpermute_b32 v15, v58, v14
	s_waitcnt vmcnt(6)
	v_mad_i64_i32 v[12:13], s[42:43], v61, s45, 0
	v_lshl_add_u64 v[12:13], v[12:13], 1, v[42:43]
	s_waitcnt lgkmcnt(0)
	v_max_f32_e32 v15, v15, v15
	v_max_f32_e32 v56, v14, v15
	v_sub_f32_e32 v10, v10, v56
	v_mul_f32_e32 v10, 0x3fb8aa3b, v10
	v_exp_f32_e32 v42, v10
	v_sub_f32_e32 v10, v11, v56
	v_mul_f32_e32 v10, 0x3fb8aa3b, v10
	v_exp_f32_e32 v43, v10
	global_load_dwordx4 v[14:17], v[12:13], off
	s_nop 0
	global_load_dwordx4 v[10:13], v[12:13], off offset:16
	v_sub_f32_e32 v48, v48, v56
	v_mul_f32_e32 v48, 0x3fb8aa3b, v48
	v_sub_f32_e32 v49, v49, v56
	v_exp_f32_e32 v48, v48
	v_mul_f32_e32 v49, 0x3fb8aa3b, v49
	v_sub_f32_e32 v46, v46, v56
	v_exp_f32_e32 v49, v49
	v_mul_f32_e32 v46, 0x3fb8aa3b, v46
	v_sub_f32_e32 v47, v47, v56
	v_cndmask_b32_e64 v42, 0, v42, s[34:35]
	v_exp_f32_e32 v46, v46
	v_mul_f32_e32 v47, 0x3fb8aa3b, v47
	v_sub_f32_e32 v44, v44, v56
	v_add_f32_e32 v59, 0, v42
	v_cndmask_b32_e64 v43, 0, v43, s[36:37]
	v_exp_f32_e32 v47, v47
	v_mul_f32_e32 v44, 0x3fb8aa3b, v44
	v_sub_f32_e32 v45, v45, v56
	v_add_f32_e32 v59, v59, v43
	v_cndmask_b32_e64 v48, 0, v48, s[38:39]
	v_exp_f32_e32 v44, v44
	v_mul_f32_e32 v45, 0x3fb8aa3b, v45
	v_sub_f32_e32 v40, v40, v56
	v_add_f32_e32 v59, v59, v48
	v_cndmask_b32_e64 v49, 0, v49, s[40:41]
	v_exp_f32_e32 v45, v45
	v_mul_f32_e32 v40, 0x3fb8aa3b, v40
	v_sub_f32_e32 v41, v41, v56
	v_add_f32_e32 v59, v59, v49
	v_cndmask_b32_e64 v46, 0, v46, s[26:27]
	v_exp_f32_e32 v40, v40
	v_mul_f32_e32 v41, 0x3fb8aa3b, v41
	v_sub_f32_e32 v38, v38, v56
	v_add_f32_e32 v59, v59, v46
	v_cndmask_b32_e64 v47, 0, v47, s[28:29]
	v_exp_f32_e32 v41, v41
	v_mul_f32_e32 v38, 0x3fb8aa3b, v38
	v_sub_f32_e32 v39, v39, v56
	v_add_f32_e32 v59, v59, v47
	v_cndmask_b32_e64 v44, 0, v44, s[22:23]
	v_exp_f32_e32 v38, v38
	v_mul_f32_e32 v39, 0x3fb8aa3b, v39
	v_sub_f32_e32 v36, v36, v56
	v_add_f32_e32 v59, v59, v44
	v_cndmask_b32_e64 v45, 0, v45, s[24:25]
	v_exp_f32_e32 v39, v39
	v_mul_f32_e32 v36, 0x3fb8aa3b, v36
	v_sub_f32_e32 v37, v37, v56
	v_add_f32_e32 v59, v59, v45
	v_cndmask_b32_e64 v40, 0, v40, s[18:19]
	v_exp_f32_e32 v36, v36
	v_mul_f32_e32 v37, 0x3fb8aa3b, v37
	v_sub_f32_e32 v34, v34, v56
	v_add_f32_e32 v59, v59, v40
	v_cndmask_b32_e64 v41, 0, v41, s[20:21]
	v_exp_f32_e32 v37, v37
	v_mul_f32_e32 v34, 0x3fb8aa3b, v34
	v_sub_f32_e32 v35, v35, v56
	v_add_f32_e32 v59, v59, v41
	v_cndmask_b32_e64 v38, 0, v38, s[14:15]
	v_exp_f32_e32 v34, v34
	v_mul_f32_e32 v35, 0x3fb8aa3b, v35
	v_add_f32_e32 v59, v59, v38
	v_cndmask_b32_e64 v39, 0, v39, s[16:17]
	v_exp_f32_e32 v35, v35
	v_add_f32_e32 v59, v59, v39
	v_cndmask_b32_e64 v36, 0, v36, s[10:11]
	v_add_f32_e32 v59, v59, v36
	v_cndmask_b32_e64 v37, 0, v37, s[12:13]
	v_add_f32_e32 v59, v59, v37
	v_cndmask_b32_e32 v34, 0, v34, vcc
	v_add_f32_e32 v59, v59, v34
	v_cndmask_b32_e64 v35, 0, v35, s[8:9]
	v_add_f32_e32 v59, v59, v35
	ds_bpermute_b32 v57, v57, v59
	v_cmp_gt_u32_e64 s[8:9], 16, v55
	v_lshlrev_b32_e32 v55, 2, v53
	s_waitcnt lgkmcnt(0)
	s_barrier
	v_add_f32_e32 v57, v59, v57
	ds_bpermute_b32 v58, v58, v57
	s_waitcnt lgkmcnt(0)
	s_and_saveexec_b64 s[10:11], s[8:9]
	s_cbranch_execz .LBB408_15
; %bb.14:
	v_add_f32_e32 v53, v57, v58
	v_lshl_or_b32 v57, v52, 6, v55
	ds_write2st64_b32 v57, v56, v53 offset1:1
.LBB408_15:
	s_or_b64 exec, exec, s[10:11]
	s_load_dwordx2 s[10:11], s[0:1], 0x94
	s_waitcnt lgkmcnt(0)
	s_barrier
	ds_read2_b32 v[56:57], v55 offset1:16
	ds_read2_b32 v[58:59], v55 offset0:32 offset1:48
	ds_read2_b32 v[60:61], v55 offset0:64 offset1:80
	s_mov_b32 s14, 0x7060302
	s_waitcnt lgkmcnt(2)
	v_max3_f32 v53, v56, s5, v57
	s_waitcnt lgkmcnt(1)
	v_max3_f32 v53, v53, v58, v59
	v_sub_f32_e32 v56, v56, v53
	v_mul_f32_e32 v56, 0x3fb8aa3b, v56
	v_exp_f32_e32 v62, v56
	v_sub_f32_e32 v56, v57, v53
	v_mul_f32_e32 v56, 0x3fb8aa3b, v56
	v_exp_f32_e32 v63, v56
	;; [unrolled: 3-line block ×3, first 2 shown]
	ds_read2_b32 v[56:57], v55 offset0:96 offset1:112
	v_sub_f32_e32 v55, v59, v53
	v_mul_f32_e32 v55, 0x3fb8aa3b, v55
	v_exp_f32_e32 v59, v55
	s_waitcnt lgkmcnt(1)
	v_fma_f32 v55, v62, v60, 0
	v_fmac_f32_e32 v55, v63, v61
	s_waitcnt lgkmcnt(0)
	v_fmac_f32_e32 v55, v58, v56
	v_fmac_f32_e32 v55, v59, v57
	v_add_f32_e32 v57, 0x358637bd, v55
	v_div_scale_f32 v60, s[12:13], v57, v57, 1.0
	v_rcp_f32_e32 v61, v60
	s_movk_i32 s5, 0x7fff
	v_mov_b32_e32 v56, 0
	v_fma_f32 v64, -v60, v61, 1.0
	v_fmac_f32_e32 v61, v64, v61
	v_div_scale_f32 v64, vcc, 1.0, v57, 1.0
	v_mul_f32_e32 v65, v64, v61
	v_fma_f32 v66, -v60, v65, v64
	v_fmac_f32_e32 v65, v66, v61
	v_fma_f32 v60, -v60, v65, v64
	v_div_fmas_f32 v60, v60, v61, v65
	v_cmp_eq_u32_e32 vcc, 1, v52
	v_div_fixup_f32 v57, v60, v57, 1.0
	s_barrier
	v_cndmask_b32_e32 v60, v62, v63, vcc
	v_cmp_eq_u32_e32 vcc, 2, v52
	s_nop 1
	v_cndmask_b32_e32 v58, v60, v58, vcc
	v_cmp_eq_u32_e32 vcc, 3, v52
	s_nop 1
	v_cndmask_b32_e32 v58, v58, v59, vcc
	v_mul_f32_e32 v58, v58, v57
	v_pk_mul_f32 v[42:43], v[58:59], v[42:43] op_sel_hi:[0,1]
	v_pk_mul_f32 v[48:49], v[58:59], v[48:49] op_sel_hi:[0,1]
	v_bfe_u32 v57, v43, 16, 1
	v_bfe_u32 v59, v42, 16, 1
	v_add3_u32 v42, v42, v59, s5
	v_add3_u32 v43, v43, v57, s5
	v_perm_b32 v60, v43, v42, s14
	v_bfe_u32 v42, v49, 16, 1
	v_bfe_u32 v43, v48, 16, 1
	v_add3_u32 v43, v48, v43, s5
	v_add3_u32 v42, v49, v42, s5
	v_perm_b32 v61, v42, v43, s14
	v_lshlrev_b32_e32 v42, 3, v50
	v_lshlrev_b32_e32 v43, 11, v52
	v_pk_mul_f32 v[46:47], v[58:59], v[46:47] op_sel_hi:[0,1]
	v_or3_b32 v42, v43, v54, v42
	v_bfe_u32 v43, v47, 16, 1
	v_bfe_u32 v48, v46, 16, 1
	v_pk_mul_f32 v[44:45], v[58:59], v[44:45] op_sel_hi:[0,1]
	v_add3_u32 v46, v46, v48, s5
	v_add3_u32 v43, v47, v43, s5
	v_perm_b32 v46, v43, v46, s14
	v_bfe_u32 v43, v45, 16, 1
	v_bfe_u32 v47, v44, 16, 1
	v_add3_u32 v44, v44, v47, s5
	v_add3_u32 v43, v45, v43, s5
	v_pk_mul_f32 v[40:41], v[58:59], v[40:41] op_sel_hi:[0,1]
	v_perm_b32 v47, v43, v44, s14
	v_bfe_u32 v43, v41, 16, 1
	v_bfe_u32 v44, v40, 16, 1
	v_pk_mul_f32 v[38:39], v[58:59], v[38:39] op_sel_hi:[0,1]
	v_add3_u32 v40, v40, v44, s5
	v_add3_u32 v41, v41, v43, s5
	v_perm_b32 v40, v41, v40, s14
	v_bfe_u32 v41, v39, 16, 1
	v_bfe_u32 v43, v38, 16, 1
	v_add3_u32 v38, v38, v43, s5
	v_add3_u32 v39, v39, v41, s5
	v_pk_mul_f32 v[36:37], v[58:59], v[36:37] op_sel_hi:[0,1]
	v_perm_b32 v41, v39, v38, s14
	v_bfe_u32 v38, v37, 16, 1
	v_bfe_u32 v39, v36, 16, 1
	v_pk_mul_f32 v[34:35], v[58:59], v[34:35] op_sel_hi:[0,1]
	v_add3_u32 v36, v36, v39, s5
	v_add3_u32 v37, v37, v38, s5
	v_perm_b32 v36, v37, v36, s14
	v_bfe_u32 v37, v35, 16, 1
	v_bfe_u32 v38, v34, 16, 1
	v_add3_u32 v34, v34, v38, s5
	v_add3_u32 v35, v35, v37, s5
	v_perm_b32 v37, v35, v34, s14
	v_cmp_eq_u32_e32 vcc, 0, v0
	ds_write2st64_b64 v42, v[60:61], v[46:47] offset1:1
	ds_write2st64_b64 v42, v[40:41], v[36:37] offset0:2 offset1:3
	s_and_saveexec_b64 s[12:13], vcc
	s_cbranch_execz .LBB408_17
; %bb.16:
	s_mul_i32 s3, s3, s11
	s_mul_hi_u32 s15, s2, s11
	s_add_i32 s15, s15, s3
	s_mul_i32 s3, s2, s11
	s_add_u32 s3, s3, s4
	s_addc_u32 s15, s15, 0
	s_load_dwordx4 s[16:19], s[0:1], 0x58
	s_mul_i32 s15, s15, s10
	s_mul_hi_u32 s20, s3, s10
	s_add_i32 s15, s20, s15
	s_mul_i32 s3, s3, s10
	s_add_u32 s20, s3, s30
	s_addc_u32 s21, s15, 0
	s_lshl_b64 s[20:21], s[20:21], 2
	s_waitcnt lgkmcnt(0)
	s_add_u32 s18, s18, s20
	s_addc_u32 s19, s19, s21
	s_add_u32 s16, s16, s20
	s_addc_u32 s17, s17, s21
	global_store_dword v56, v53, s[18:19]
	global_store_dword v56, v55, s[16:17]
.LBB408_17:
	s_or_b64 exec, exec, s[12:13]
	v_lshl_or_b32 v43, v50, 9, v54
	s_waitcnt lgkmcnt(0)
	s_barrier
	ds_read_b128 v[34:37], v43
	ds_read_b128 v[38:41], v43 offset:16
	s_waitcnt vmcnt(7) lgkmcnt(1)
	v_mfma_f32_16x16x16_bf16 v[44:47], v[6:7], v[34:35], 0
	v_cmp_gt_u32_e32 vcc, 64, v0
	s_and_b64 s[6:7], s[6:7], vcc
	s_mov_b32 s3, 0
	v_mfma_f32_16x16x16_bf16 v[6:9], v[8:9], v[36:37], v[44:47]
	s_and_b64 s[6:7], s[6:7], s[8:9]
	s_waitcnt vmcnt(6) lgkmcnt(0)
	v_mfma_f32_16x16x16_bf16 v[6:9], v[2:3], v[38:39], v[6:9]
	v_mfma_f32_16x16x16_bf16 v[2:5], v[4:5], v[40:41], v[6:9]
	s_nop 5
	ds_read_b128 v[6:9], v43 offset:2048
	ds_read_b128 v[34:37], v43 offset:2064
	s_waitcnt vmcnt(5) lgkmcnt(1)
	v_mfma_f32_16x16x16_bf16 v[2:5], v[30:31], v[6:7], v[2:5]
	v_mfma_f32_16x16x16_bf16 v[2:5], v[32:33], v[8:9], v[2:5]
	s_waitcnt vmcnt(4) lgkmcnt(0)
	v_mfma_f32_16x16x16_bf16 v[2:5], v[26:27], v[34:35], v[2:5]
	v_mfma_f32_16x16x16_bf16 v[2:5], v[28:29], v[36:37], v[2:5]
	ds_read_b128 v[6:9], v43 offset:4096
	ds_read_b128 v[26:29], v43 offset:4112
	s_waitcnt vmcnt(3) lgkmcnt(1)
	v_mfma_f32_16x16x16_bf16 v[2:5], v[22:23], v[6:7], v[2:5]
	v_mfma_f32_16x16x16_bf16 v[2:5], v[24:25], v[8:9], v[2:5]
	s_waitcnt vmcnt(2) lgkmcnt(0)
	v_mfma_f32_16x16x16_bf16 v[2:5], v[18:19], v[26:27], v[2:5]
	v_mfma_f32_16x16x16_bf16 v[2:5], v[20:21], v[28:29], v[2:5]
	ds_read_b128 v[6:9], v43 offset:6144
	ds_read_b128 v[18:21], v43 offset:6160
	s_waitcnt lgkmcnt(0)
	s_barrier
	s_waitcnt vmcnt(1)
	v_mfma_f32_16x16x16_bf16 v[2:5], v[14:15], v[6:7], v[2:5]
	v_mfma_f32_16x16x16_bf16 v[2:5], v[16:17], v[8:9], v[2:5]
	s_waitcnt vmcnt(0)
	v_mfma_f32_16x16x16_bf16 v[2:5], v[10:11], v[18:19], v[2:5]
	v_mfma_f32_16x16x16_bf16 v[2:5], v[12:13], v[20:21], v[2:5]
	s_nop 6
	v_bfe_u32 v6, v3, 16, 1
	v_bfe_u32 v7, v2, 16, 1
	;; [unrolled: 1-line block ×4, first 2 shown]
	v_add3_u32 v2, v2, v7, s5
	v_add3_u32 v3, v3, v6, s5
	;; [unrolled: 1-line block ×4, first 2 shown]
	v_perm_b32 v2, v3, v2, s14
	v_perm_b32 v3, v5, v4, s14
	ds_write_b64 v42, v[2:3]
	s_waitcnt lgkmcnt(0)
	s_barrier
	s_and_saveexec_b64 s[8:9], s[6:7]
	s_cbranch_execz .LBB408_19
; %bb.18:
	s_load_dwordx2 s[0:1], s[0:1], 0x68
	s_mul_i32 s2, s11, s2
	s_lshl_b32 s5, s10, 6
	s_mul_hi_u32 s7, s2, s5
	s_mul_i32 s6, s2, s5
	s_lshl_b64 s[6:7], s[6:7], 1
	v_lshlrev_b32_e32 v0, 10, v0
	s_waitcnt lgkmcnt(0)
	s_add_u32 s6, s0, s6
	v_and_b32_e32 v0, 0x1800, v0
	v_lshlrev_b32_e32 v2, 5, v50
	v_and_b32_e32 v3, 16, v51
	s_addc_u32 s7, s1, s7
	s_lshl_b32 s2, s30, 6
	v_or3_b32 v0, v0, v2, v3
	s_lshl_b64 s[0:1], s[2:3], 1
	ds_read_b128 v[2:5], v0
	s_add_u32 s2, s6, s0
	s_addc_u32 s3, s7, s1
	s_mul_hi_u32 s1, s5, s4
	s_mul_i32 s0, s5, s4
	s_lshl_b64 s[0:1], s[0:1], 1
	s_add_u32 s0, s2, s0
	s_addc_u32 s1, s3, s1
	s_waitcnt lgkmcnt(0)
	global_store_dwordx4 v1, v[2:5], s[0:1]
.LBB408_19:
	s_endpgm
	.section	.rodata,"a",@progbits
	.p2align	6, 0x0
	.amdhsa_kernel _Z39paged_attention_ll4mi_QKV_mfma16_kernelI14__hip_bfloat16S0_LN4vllm18Fp8KVCacheDataTypeE0EhLi16ELi64ELi256ELb1ELi1EEvPKT_PKT0_S8_ifPKiSA_SA_iPKfiiiPfSD_PS3_PT2_iSC_SC_
		.amdhsa_group_segment_fixed_size 8192
		.amdhsa_private_segment_fixed_size 0
		.amdhsa_kernarg_size 400
		.amdhsa_user_sgpr_count 2
		.amdhsa_user_sgpr_dispatch_ptr 0
		.amdhsa_user_sgpr_queue_ptr 0
		.amdhsa_user_sgpr_kernarg_segment_ptr 1
		.amdhsa_user_sgpr_dispatch_id 0
		.amdhsa_user_sgpr_kernarg_preload_length 0
		.amdhsa_user_sgpr_kernarg_preload_offset 0
		.amdhsa_user_sgpr_private_segment_size 0
		.amdhsa_uses_dynamic_stack 0
		.amdhsa_enable_private_segment 0
		.amdhsa_system_sgpr_workgroup_id_x 1
		.amdhsa_system_sgpr_workgroup_id_y 1
		.amdhsa_system_sgpr_workgroup_id_z 1
		.amdhsa_system_sgpr_workgroup_info 0
		.amdhsa_system_vgpr_workitem_id 0
		.amdhsa_next_free_vgpr 72
		.amdhsa_next_free_sgpr 48
		.amdhsa_accum_offset 72
		.amdhsa_reserve_vcc 1
		.amdhsa_float_round_mode_32 0
		.amdhsa_float_round_mode_16_64 0
		.amdhsa_float_denorm_mode_32 3
		.amdhsa_float_denorm_mode_16_64 3
		.amdhsa_dx10_clamp 1
		.amdhsa_ieee_mode 1
		.amdhsa_fp16_overflow 0
		.amdhsa_tg_split 0
		.amdhsa_exception_fp_ieee_invalid_op 0
		.amdhsa_exception_fp_denorm_src 0
		.amdhsa_exception_fp_ieee_div_zero 0
		.amdhsa_exception_fp_ieee_overflow 0
		.amdhsa_exception_fp_ieee_underflow 0
		.amdhsa_exception_fp_ieee_inexact 0
		.amdhsa_exception_int_div_zero 0
	.end_amdhsa_kernel
	.section	.text._Z39paged_attention_ll4mi_QKV_mfma16_kernelI14__hip_bfloat16S0_LN4vllm18Fp8KVCacheDataTypeE0EhLi16ELi64ELi256ELb1ELi1EEvPKT_PKT0_S8_ifPKiSA_SA_iPKfiiiPfSD_PS3_PT2_iSC_SC_,"axG",@progbits,_Z39paged_attention_ll4mi_QKV_mfma16_kernelI14__hip_bfloat16S0_LN4vllm18Fp8KVCacheDataTypeE0EhLi16ELi64ELi256ELb1ELi1EEvPKT_PKT0_S8_ifPKiSA_SA_iPKfiiiPfSD_PS3_PT2_iSC_SC_,comdat
.Lfunc_end408:
	.size	_Z39paged_attention_ll4mi_QKV_mfma16_kernelI14__hip_bfloat16S0_LN4vllm18Fp8KVCacheDataTypeE0EhLi16ELi64ELi256ELb1ELi1EEvPKT_PKT0_S8_ifPKiSA_SA_iPKfiiiPfSD_PS3_PT2_iSC_SC_, .Lfunc_end408-_Z39paged_attention_ll4mi_QKV_mfma16_kernelI14__hip_bfloat16S0_LN4vllm18Fp8KVCacheDataTypeE0EhLi16ELi64ELi256ELb1ELi1EEvPKT_PKT0_S8_ifPKiSA_SA_iPKfiiiPfSD_PS3_PT2_iSC_SC_
                                        ; -- End function
	.section	.AMDGPU.csdata,"",@progbits
; Kernel info:
; codeLenInByte = 4160
; NumSgprs: 54
; NumVgprs: 72
; NumAgprs: 0
; TotalNumVgprs: 72
; ScratchSize: 0
; MemoryBound: 0
; FloatMode: 240
; IeeeMode: 1
; LDSByteSize: 8192 bytes/workgroup (compile time only)
; SGPRBlocks: 6
; VGPRBlocks: 8
; NumSGPRsForWavesPerEU: 54
; NumVGPRsForWavesPerEU: 72
; AccumOffset: 72
; Occupancy: 7
; WaveLimiterHint : 1
; COMPUTE_PGM_RSRC2:SCRATCH_EN: 0
; COMPUTE_PGM_RSRC2:USER_SGPR: 2
; COMPUTE_PGM_RSRC2:TRAP_HANDLER: 0
; COMPUTE_PGM_RSRC2:TGID_X_EN: 1
; COMPUTE_PGM_RSRC2:TGID_Y_EN: 1
; COMPUTE_PGM_RSRC2:TGID_Z_EN: 1
; COMPUTE_PGM_RSRC2:TIDIG_COMP_CNT: 0
; COMPUTE_PGM_RSRC3_GFX90A:ACCUM_OFFSET: 17
; COMPUTE_PGM_RSRC3_GFX90A:TG_SPLIT: 0
	.section	.text._Z39paged_attention_ll4mi_QKV_mfma16_kernelI14__hip_bfloat16S0_LN4vllm18Fp8KVCacheDataTypeE0EhLi16ELi64ELi256ELb1ELi2EEvPKT_PKT0_S8_ifPKiSA_SA_iPKfiiiPfSD_PS3_PT2_iSC_SC_,"axG",@progbits,_Z39paged_attention_ll4mi_QKV_mfma16_kernelI14__hip_bfloat16S0_LN4vllm18Fp8KVCacheDataTypeE0EhLi16ELi64ELi256ELb1ELi2EEvPKT_PKT0_S8_ifPKiSA_SA_iPKfiiiPfSD_PS3_PT2_iSC_SC_,comdat
	.protected	_Z39paged_attention_ll4mi_QKV_mfma16_kernelI14__hip_bfloat16S0_LN4vllm18Fp8KVCacheDataTypeE0EhLi16ELi64ELi256ELb1ELi2EEvPKT_PKT0_S8_ifPKiSA_SA_iPKfiiiPfSD_PS3_PT2_iSC_SC_ ; -- Begin function _Z39paged_attention_ll4mi_QKV_mfma16_kernelI14__hip_bfloat16S0_LN4vllm18Fp8KVCacheDataTypeE0EhLi16ELi64ELi256ELb1ELi2EEvPKT_PKT0_S8_ifPKiSA_SA_iPKfiiiPfSD_PS3_PT2_iSC_SC_
	.globl	_Z39paged_attention_ll4mi_QKV_mfma16_kernelI14__hip_bfloat16S0_LN4vllm18Fp8KVCacheDataTypeE0EhLi16ELi64ELi256ELb1ELi2EEvPKT_PKT0_S8_ifPKiSA_SA_iPKfiiiPfSD_PS3_PT2_iSC_SC_
	.p2align	8
	.type	_Z39paged_attention_ll4mi_QKV_mfma16_kernelI14__hip_bfloat16S0_LN4vllm18Fp8KVCacheDataTypeE0EhLi16ELi64ELi256ELb1ELi2EEvPKT_PKT0_S8_ifPKiSA_SA_iPKfiiiPfSD_PS3_PT2_iSC_SC_,@function
_Z39paged_attention_ll4mi_QKV_mfma16_kernelI14__hip_bfloat16S0_LN4vllm18Fp8KVCacheDataTypeE0EhLi16ELi64ELi256ELb1ELi2EEvPKT_PKT0_S8_ifPKiSA_SA_iPKfiiiPfSD_PS3_PT2_iSC_SC_: ; @_Z39paged_attention_ll4mi_QKV_mfma16_kernelI14__hip_bfloat16S0_LN4vllm18Fp8KVCacheDataTypeE0EhLi16ELi64ELi256ELb1ELi2EEvPKT_PKT0_S8_ifPKiSA_SA_iPKfiiiPfSD_PS3_PT2_iSC_SC_
; %bb.0:
	s_load_dwordx2 s[8:9], s[0:1], 0x30
	s_mov_b32 s28, s3
	s_mov_b64 s[6:7], 0
	s_waitcnt lgkmcnt(0)
	s_cmp_lg_u64 s[8:9], 0
	s_cselect_b64 s[10:11], -1, 0
	s_and_b64 vcc, exec, s[10:11]
	s_cbranch_vccz .LBB409_7
; %bb.1:
	s_add_i32 s12, s2, 1
	s_mov_b32 s13, 0
	s_lshl_b64 s[14:15], s[12:13], 2
	s_add_u32 s14, s8, s14
	s_mov_b32 s3, s13
	s_addc_u32 s15, s9, s15
	s_lshl_b64 s[12:13], s[2:3], 2
	s_add_u32 s12, s8, s12
	s_addc_u32 s13, s9, s13
	s_load_dword s5, s[14:15], 0x0
	s_load_dword s16, s[12:13], 0x0
	s_waitcnt lgkmcnt(0)
	s_sub_i32 s5, s5, s16
	s_cmp_eq_u32 s5, 1
	s_cselect_b64 s[12:13], -1, 0
	s_andn2_b64 vcc, exec, s[6:7]
	s_cbranch_vccnz .LBB409_3
.LBB409_2:
	s_mov_b32 s3, 0
	s_mov_b64 s[12:13], -1
.LBB409_3:
	s_andn2_b64 vcc, exec, s[12:13]
	s_cbranch_vccnz .LBB409_19
; %bb.4:
	s_load_dwordx2 s[6:7], s[0:1], 0x28
	s_lshl_b64 s[12:13], s[2:3], 2
	s_waitcnt lgkmcnt(0)
	s_add_u32 s6, s6, s12
	s_addc_u32 s7, s7, s13
	s_load_dword s33, s[6:7], 0x0
	s_lshl_b32 s16, s28, 8
	s_waitcnt lgkmcnt(0)
	s_cmp_ge_i32 s16, s33
	s_cbranch_scc1 .LBB409_19
; %bb.5:
	s_load_dwordx2 s[6:7], s[0:1], 0x20
	s_load_dword s5, s[0:1], 0x38
	s_add_i32 s14, s33, 15
	s_ashr_i32 s15, s14, 31
	v_and_b32_e32 v1, 0xcf, v0
	s_lshr_b32 s15, s15, 28
	v_add_u32_e32 v1, s16, v1
	s_add_i32 s14, s14, s15
	v_ashrrev_i32_e32 v2, 31, v1
	s_ashr_i32 s17, s14, 4
	v_lshrrev_b32_e32 v6, 28, v2
	s_add_i32 s17, s17, -1
	s_waitcnt lgkmcnt(0)
	s_mul_i32 s14, s2, s5
	s_mov_b32 s15, 0
	v_add_u32_e32 v2, v1, v6
	s_lshl_b64 s[14:15], s[14:15], 2
	v_ashrrev_i32_e32 v2, 4, v2
	v_mov_b32_e32 v7, s17
	v_cmp_gt_i32_e32 vcc, s33, v1
	s_add_u32 s6, s6, s14
	s_addc_u32 s7, s7, s15
	v_cndmask_b32_e32 v2, v7, v2, vcc
	v_ashrrev_i32_e32 v3, 31, v2
	v_lshl_add_u64 v[4:5], v[2:3], 2, s[6:7]
	v_or_b32_e32 v2, 16, v1
	v_add_u32_e32 v3, v2, v6
	v_ashrrev_i32_e32 v3, 4, v3
	v_cmp_gt_i32_e32 vcc, s33, v2
	s_load_dwordx2 s[14:15], s[0:1], 0x8
	s_nop 0
	v_cndmask_b32_e32 v2, v7, v3, vcc
	v_ashrrev_i32_e32 v3, 31, v2
	v_lshl_add_u64 v[8:9], v[2:3], 2, s[6:7]
	v_or_b32_e32 v2, 32, v1
	v_add_u32_e32 v3, v2, v6
	v_ashrrev_i32_e32 v3, 4, v3
	v_cmp_gt_i32_e32 vcc, s33, v2
	v_or_b32_e32 v1, 48, v1
	s_nop 0
	v_cndmask_b32_e32 v2, v7, v3, vcc
	v_ashrrev_i32_e32 v3, 31, v2
	v_lshl_add_u64 v[10:11], v[2:3], 2, s[6:7]
	v_add_u32_e32 v2, v1, v6
	v_ashrrev_i32_e32 v2, 4, v2
	v_cmp_gt_i32_e32 vcc, s33, v1
	s_nop 1
	v_cndmask_b32_e32 v2, v7, v2, vcc
	v_ashrrev_i32_e32 v3, 31, v2
	v_lshl_add_u64 v[12:13], v[2:3], 2, s[6:7]
	global_load_dword v3, v[4:5], off
	global_load_dword v2, v[8:9], off
	;; [unrolled: 1-line block ×4, first 2 shown]
	s_andn2_b64 vcc, exec, s[10:11]
	s_cbranch_vccnz .LBB409_8
; %bb.6:
	s_add_u32 s8, s8, s12
	s_addc_u32 s9, s9, s13
	s_load_dword s5, s[8:9], 0x0
	s_branch .LBB409_9
.LBB409_7:
	s_mov_b64 s[12:13], 0
	s_branch .LBB409_2
.LBB409_8:
	s_mov_b32 s5, s2
.LBB409_9:
	s_load_dwordx2 s[8:9], s[0:1], 0x10
	s_load_dwordx4 s[44:47], s[0:1], 0x48
	v_lshrrev_b32_e32 v54, 6, v0
	v_bfe_u32 v1, v0, 4, 2
	v_lshl_or_b32 v4, v54, 2, v1
	v_and_b32_e32 v55, 15, v0
	v_lshlrev_b32_e32 v5, 3, v55
	v_cmp_gt_u32_e32 vcc, 2, v4
	v_cmp_gt_u32_e64 s[30:31], 8, v55
	s_lshl_b32 s29, s4, 1
	s_and_b64 s[12:13], s[30:31], vcc
	v_lshlrev_b32_e32 v42, 1, v5
	s_and_saveexec_b64 s[10:11], s[12:13]
	s_cbranch_execz .LBB409_11
; %bb.10:
	s_load_dwordx2 s[12:13], s[0:1], 0x0
	s_waitcnt lgkmcnt(0)
	s_ashr_i32 s18, s44, 31
	s_mul_hi_u32 s19, s5, s44
	s_mul_i32 s18, s5, s18
	s_add_i32 s19, s19, s18
	s_mul_i32 s18, s5, s44
	s_lshl_b64 s[18:19], s[18:19], 1
	s_add_u32 s12, s12, s18
	v_add_lshl_u32 v8, v1, s29, 6
	s_addc_u32 s13, s13, s19
	v_ashrrev_i32_e32 v9, 31, v8
	v_lshl_add_u64 v[8:9], v[8:9], 1, s[12:13]
	v_mov_b32_e32 v43, 0
	v_lshl_add_u64 v[8:9], v[8:9], 0, v[42:43]
	global_load_dwordx4 v[8:11], v[8:9], off
	v_and_b32_e32 v5, 3, v0
	v_lshlrev_b32_e32 v7, 9, v55
	v_lshlrev_b32_e32 v4, 5, v4
	;; [unrolled: 1-line block ×3, first 2 shown]
	v_and_b32_e32 v7, 0x1800, v7
	v_or3_b32 v4, v7, v5, v4
	s_waitcnt vmcnt(0)
	ds_write_b128 v4, v[8:11]
.LBB409_11:
	s_or_b64 exec, exec, s[10:11]
	s_waitcnt lgkmcnt(0)
	s_mul_i32 s4, s4, s46
	s_mov_b32 s5, 0
	s_lshl_b64 s[4:5], s[4:5], 1
	s_add_u32 s10, s14, s4
	v_lshlrev_b32_e32 v52, 4, v0
	s_addc_u32 s11, s15, s5
	v_and_b32_e32 v44, 0xf0, v52
	v_mov_b32_e32 v45, 0
	v_lshl_add_u64 v[16:17], s[10:11], 0, v[44:45]
	s_waitcnt vmcnt(3)
	v_mad_i64_i32 v[4:5], s[10:11], v3, s45, 0
	s_waitcnt vmcnt(2)
	v_mad_i64_i32 v[2:3], s[10:11], v2, s45, 0
	;; [unrolled: 2-line block ×3, first 2 shown]
	v_lshl_add_u64 v[4:5], v[4:5], 1, v[16:17]
	v_and_b32_e32 v44, 0x300, v52
	v_lshl_add_u64 v[2:3], v[2:3], 1, v[16:17]
	v_lshl_add_u64 v[6:7], v[6:7], 1, v[16:17]
	s_waitcnt vmcnt(0)
	v_mad_i64_i32 v[14:15], s[10:11], v14, s45, 0
	v_lshl_add_u64 v[4:5], v[4:5], 0, v[44:45]
	v_lshl_add_u64 v[8:9], v[2:3], 0, v[44:45]
	;; [unrolled: 1-line block ×4, first 2 shown]
	s_barrier
	global_load_dwordx4 v[30:33], v[4:5], off
	global_load_dwordx4 v[10:13], v[4:5], off offset:1024
	global_load_dwordx4 v[22:25], v[8:9], off
	s_nop 0
	global_load_dwordx4 v[2:5], v[8:9], off offset:1024
	global_load_dwordx4 v[26:29], v[18:19], off
	s_nop 0
	global_load_dwordx4 v[6:9], v[18:19], off offset:1024
	v_lshl_add_u64 v[18:19], v[14:15], 0, v[44:45]
	global_load_dwordx4 v[34:37], v[18:19], off
	global_load_dwordx4 v[14:17], v[18:19], off offset:1024
	v_and_b32_e32 v18, 1, v0
	v_lshlrev_b32_e32 v18, 5, v18
	v_lshl_or_b32 v18, v1, 9, v18
	ds_read_b128 v[38:41], v18
	ds_read_b128 v[18:21], v18 offset:2048
	v_and_b32_e32 v53, 63, v0
	v_cmp_gt_u32_e32 vcc, 2, v55
	v_mov_b32_e32 v56, 0
	s_and_saveexec_b64 s[10:11], vcc
	s_cbranch_execz .LBB409_13
; %bb.12:
	s_load_dwordx2 s[12:13], s[0:1], 0x40
	v_or_b32_e32 v46, s29, v55
	v_ashrrev_i32_e32 v47, 31, v46
	s_waitcnt lgkmcnt(0)
	v_lshl_add_u64 v[46:47], v[46:47], 2, s[12:13]
	global_load_dword v56, v[46:47], off
.LBB409_13:
	s_or_b64 exec, exec, s[10:11]
	v_and_or_b32 v44, v0, 48, s16
	v_ashrrev_i32_e32 v43, 4, v44
	v_mov_b32_e32 v57, s17
	v_cmp_gt_i32_e32 vcc, s33, v44
	s_waitcnt vmcnt(5) lgkmcnt(1)
	v_mfma_f32_16x16x16_bf16 v[58:61], v[22:23], v[38:39], 0
	s_load_dword s10, s[0:1], 0x1c
	v_cndmask_b32_e32 v46, v57, v43, vcc
	v_ashrrev_i32_e32 v47, 31, v46
	v_or_b32_e32 v43, 64, v44
	v_lshl_add_u64 v[50:51], v[46:47], 2, s[6:7]
	v_mfma_f32_16x16x16_bf16 v[46:49], v[30:31], v[38:39], 0
	v_ashrrev_i32_e32 v30, 4, v43
	v_cmp_gt_i32_e32 vcc, s33, v43
	global_load_dword v70, v[50:51], off
	s_waitcnt vmcnt(4)
	v_mfma_f32_16x16x16_bf16 v[62:65], v[26:27], v[38:39], 0
	v_cndmask_b32_e32 v30, v57, v30, vcc
	v_ashrrev_i32_e32 v31, 31, v30
	v_lshl_add_u64 v[22:23], v[30:31], 2, s[6:7]
	global_load_dword v71, v[22:23], off
	v_mfma_f32_16x16x16_bf16 v[22:25], v[24:25], v[40:41], v[58:61]
	v_and_b32_e32 v26, 0xc0, v0
	s_add_u32 s4, s8, s4
	v_lshlrev_b32_e32 v43, 5, v55
	v_mfma_f32_16x16x16_bf16 v[30:33], v[32:33], v[40:41], v[46:49]
	s_addc_u32 s5, s9, s5
	s_mov_b32 s42, 0xff7fffff
	s_waitcnt vmcnt(3)
	v_mfma_f32_16x16x16_bf16 v[66:69], v[34:35], v[38:39], 0
	v_or_b32_e32 v38, 0x80, v44
	v_add_u32_e32 v46, s16, v26
	v_or_b32_e32 v39, 0xc0, v44
	v_mfma_f32_16x16x16_bf16 v[26:29], v[28:29], v[40:41], v[62:65]
	v_ashrrev_i32_e32 v47, 4, v38
	v_cmp_gt_i32_e32 vcc, s33, v38
	v_ashrrev_i32_e32 v48, 4, v39
	s_waitcnt lgkmcnt(0)
	v_mfma_f32_16x16x16_bf16 v[22:25], v[2:3], v[18:19], v[22:25]
	v_cndmask_b32_e32 v38, v57, v47, vcc
	v_cmp_gt_i32_e32 vcc, s33, v39
	v_ashrrev_i32_e32 v39, 31, v38
	v_mfma_f32_16x16x16_bf16 v[30:33], v[10:11], v[18:19], v[30:33]
	v_cndmask_b32_e32 v10, v57, v48, vcc
	v_ashrrev_i32_e32 v11, 31, v10
	v_lshl_or_b32 v58, v1, 2, v46
	v_mfma_f32_16x16x16_bf16 v[26:29], v[6:7], v[18:19], v[26:29]
	v_lshl_add_u64 v[6:7], v[38:39], 2, s[6:7]
	v_lshl_add_u64 v[38:39], v[10:11], 2, s[6:7]
	v_or_b32_e32 v57, 1, v58
	v_mfma_f32_16x16x16_bf16 v[2:5], v[4:5], v[20:21], v[22:25]
	s_nop 2
	global_load_dword v22, v[6:7], off
	global_load_dword v61, v[38:39], off
	v_subrev_u32_e32 v59, s33, v57
	v_cvt_f32_i32_e32 v60, v59
	v_mfma_f32_16x16x16_bf16 v[34:37], v[36:37], v[40:41], v[66:69]
	v_pk_mul_f32 v[46:47], s[10:11], v[4:5] op_sel_hi:[0,1]
	v_lshl_or_b32 v44, v54, 9, v43
	v_lshl_add_u64 v[44:45], s[4:5], 0, v[44:45]
	s_waitcnt vmcnt(4)
	v_mfma_f32_16x16x16_bf16 v[34:37], v[14:15], v[18:19], v[34:37]
	v_add_u32_e32 v14, 1, v59
	v_add_u32_e32 v15, 2, v59
	v_cvt_f32_i32_e32 v23, v14
	v_cvt_f32_i32_e32 v24, v15
	v_mfma_f32_16x16x16_bf16 v[14:17], v[16:17], v[20:21], v[34:37]
	v_add_u32_e32 v18, 3, v59
	v_cvt_f32_i32_e32 v18, v18
	v_pk_mul_f32 v[48:49], s[10:11], v[2:3] op_sel_hi:[0,1]
	v_mfma_f32_16x16x16_bf16 v[10:13], v[12:13], v[20:21], v[30:33]
	v_cmp_gt_i32_e64 s[34:35], s33, v57
	s_nop 1
	v_pk_mul_f32 v[36:37], s[10:11], v[14:15] op_sel_hi:[0,1]
	v_add_u32_e32 v15, 19, v59
	v_add_u32_e32 v31, 18, v59
	v_cvt_f32_i32_e32 v14, v31
	v_cvt_f32_i32_e32 v15, v15
	v_mfma_f32_16x16x16_bf16 v[6:9], v[8:9], v[20:21], v[26:29]
	v_pk_mul_f32 v[34:35], s[10:11], v[16:17] op_sel_hi:[0,1]
	v_fma_f32 v46, v56, v14, v46
	v_add_u32_e32 v14, 32, v59
	v_fmac_f32_e32 v47, v56, v15
	v_cvt_f32_i32_e32 v14, v14
	v_add_u32_e32 v15, 33, v59
	v_add_u32_e32 v16, 34, v59
	v_cvt_f32_i32_e32 v15, v15
	v_cvt_f32_i32_e32 v16, v16
	v_add_u32_e32 v17, 35, v59
	v_cvt_f32_i32_e32 v17, v17
	v_pk_mul_f32 v[40:41], s[10:11], v[6:7] op_sel_hi:[0,1]
	v_pk_mul_f32 v[38:39], s[10:11], v[8:9] op_sel_hi:[0,1]
	v_fma_f32 v40, v56, v14, v40
	v_add_u32_e32 v14, 48, v59
	v_fmac_f32_e32 v41, v56, v15
	v_fma_f32 v38, v56, v16, v38
	v_cvt_f32_i32_e32 v14, v14
	v_add_u32_e32 v15, 49, v59
	v_add_u32_e32 v16, 50, v59
	v_fmac_f32_e32 v39, v56, v17
	v_cvt_f32_i32_e32 v15, v15
	v_cvt_f32_i32_e32 v16, v16
	v_add_u32_e32 v17, 51, v59
	v_cvt_f32_i32_e32 v17, v17
	v_pk_mul_f32 v[50:51], s[10:11], v[12:13] op_sel_hi:[0,1]
	v_pk_mul_f32 v[10:11], s[10:11], v[10:11] op_sel_hi:[0,1]
	s_waitcnt vmcnt(3)
	v_mad_i64_i32 v[2:3], s[4:5], v70, s45, 0
	s_waitcnt vmcnt(2)
	v_mad_i64_i32 v[12:13], s[4:5], v71, s45, 0
	v_fma_f32 v10, v56, v60, v10
	v_fmac_f32_e32 v11, v56, v23
	v_fma_f32 v36, v56, v14, v36
	v_mov_b32_e32 v14, 0xff7fffff
	v_cmp_gt_i32_e64 s[4:5], s33, v58
	v_add_u32_e32 v19, 16, v59
	v_add_u32_e32 v30, 17, v59
	v_fmac_f32_e32 v37, v56, v15
	v_fma_f32 v34, v56, v16, v34
	v_cndmask_b32_e64 v15, v14, v10, s[4:5]
	v_cndmask_b32_e64 v16, v14, v11, s[34:35]
	v_cvt_f32_i32_e32 v19, v19
	v_cvt_f32_i32_e32 v25, v30
	v_fmac_f32_e32 v35, v56, v17
	v_max3_f32 v15, v15, s42, v16
	v_or_b32_e32 v16, 2, v58
	v_or_b32_e32 v17, 3, v58
	v_fma_f32 v50, v56, v24, v50
	v_fmac_f32_e32 v51, v56, v18
	v_cmp_gt_i32_e64 s[36:37], s33, v16
	v_cmp_gt_i32_e64 s[38:39], s33, v17
	v_fma_f32 v48, v56, v19, v48
	v_cndmask_b32_e64 v16, v14, v50, s[36:37]
	v_cndmask_b32_e64 v17, v14, v51, s[38:39]
	v_max3_f32 v15, v15, v16, v17
	v_or_b32_e32 v16, 16, v58
	v_or_b32_e32 v17, 17, v58
	v_fmac_f32_e32 v49, v56, v25
	v_cmp_gt_i32_e64 s[24:25], s33, v16
	v_cmp_gt_i32_e64 s[26:27], s33, v17
	v_lshl_add_u64 v[2:3], v[2:3], 1, v[44:45]
	v_cndmask_b32_e64 v16, v14, v48, s[24:25]
	v_cndmask_b32_e64 v17, v14, v49, s[26:27]
	v_max3_f32 v15, v15, v16, v17
	v_or_b32_e32 v16, 18, v58
	v_or_b32_e32 v17, 19, v58
	v_cmp_gt_i32_e64 s[20:21], s33, v16
	v_cmp_gt_i32_e64 s[22:23], s33, v17
	v_lshl_add_u64 v[12:13], v[12:13], 1, v[44:45]
	v_cndmask_b32_e64 v16, v14, v46, s[20:21]
	v_cndmask_b32_e64 v17, v14, v47, s[22:23]
	v_max3_f32 v15, v15, v16, v17
	v_or_b32_e32 v16, 32, v58
	v_or_b32_e32 v17, 33, v58
	v_cmp_gt_i32_e64 s[16:17], s33, v16
	v_cmp_gt_i32_e64 s[18:19], s33, v17
	global_load_dwordx4 v[6:9], v[2:3], off
	s_nop 0
	global_load_dwordx4 v[2:5], v[2:3], off offset:16
	v_cndmask_b32_e64 v16, v14, v40, s[16:17]
	v_cndmask_b32_e64 v17, v14, v41, s[18:19]
	v_max3_f32 v15, v15, v16, v17
	v_or_b32_e32 v16, 34, v58
	v_or_b32_e32 v17, 35, v58
	v_cmp_gt_i32_e64 s[12:13], s33, v16
	v_cmp_gt_i32_e64 s[14:15], s33, v17
	global_load_dwordx4 v[30:33], v[12:13], off
	global_load_dwordx4 v[26:29], v[12:13], off offset:16
	v_cndmask_b32_e64 v16, v14, v38, s[12:13]
	v_cndmask_b32_e64 v17, v14, v39, s[14:15]
	v_max3_f32 v15, v15, v16, v17
	v_or_b32_e32 v16, 48, v58
	v_or_b32_e32 v17, 49, v58
	v_cmp_gt_i32_e64 s[8:9], s33, v16
	v_cmp_gt_i32_e64 s[10:11], s33, v17
	s_nop 0
	v_cndmask_b32_e64 v16, v14, v36, s[8:9]
	v_cndmask_b32_e64 v17, v14, v37, s[10:11]
	v_max3_f32 v15, v15, v16, v17
	v_or_b32_e32 v16, 50, v58
	v_or_b32_e32 v17, 51, v58
	v_cmp_gt_i32_e32 vcc, s33, v16
	v_cmp_gt_i32_e64 s[6:7], s33, v17
	s_nop 0
	v_cndmask_b32_e32 v16, v14, v34, vcc
	v_cndmask_b32_e64 v14, v14, v35, s[6:7]
	v_max3_f32 v14, v15, v16, v14
	v_mbcnt_lo_u32_b32 v15, -1, 0
	v_mbcnt_hi_u32_b32 v15, -1, v15
	v_and_b32_e32 v16, 64, v15
	v_add_u32_e32 v16, 64, v16
	v_xor_b32_e32 v17, 32, v15
	v_cmp_lt_i32_e64 s[40:41], v17, v16
	s_nop 1
	v_cndmask_b32_e64 v17, v15, v17, s[40:41]
	v_lshlrev_b32_e32 v57, 2, v17
	ds_bpermute_b32 v17, v57, v14
	s_waitcnt vmcnt(5)
	v_mad_i64_i32 v[12:13], s[40:41], v22, s45, 0
	v_lshl_add_u64 v[12:13], v[12:13], 1, v[44:45]
	global_load_dwordx4 v[22:25], v[12:13], off
	global_load_dwordx4 v[18:21], v[12:13], off offset:16
	s_waitcnt lgkmcnt(0)
	v_max_f32_e32 v17, v17, v17
	v_max_f32_e32 v14, v14, v17
	v_xor_b32_e32 v17, 16, v15
	v_cmp_lt_i32_e64 s[40:41], v17, v16
	s_nop 1
	v_cndmask_b32_e64 v15, v15, v17, s[40:41]
	v_lshlrev_b32_e32 v59, 2, v15
	ds_bpermute_b32 v15, v59, v14
	s_waitcnt vmcnt(6)
	v_mad_i64_i32 v[12:13], s[40:41], v61, s45, 0
	v_lshl_add_u64 v[12:13], v[12:13], 1, v[44:45]
	s_waitcnt lgkmcnt(0)
	v_max_f32_e32 v15, v15, v15
	v_max_f32_e32 v56, v14, v15
	v_sub_f32_e32 v10, v10, v56
	v_mul_f32_e32 v10, 0x3fb8aa3b, v10
	v_exp_f32_e32 v44, v10
	v_sub_f32_e32 v10, v11, v56
	v_mul_f32_e32 v10, 0x3fb8aa3b, v10
	v_exp_f32_e32 v45, v10
	global_load_dwordx4 v[14:17], v[12:13], off
	s_nop 0
	global_load_dwordx4 v[10:13], v[12:13], off offset:16
	v_sub_f32_e32 v50, v50, v56
	v_mul_f32_e32 v50, 0x3fb8aa3b, v50
	v_sub_f32_e32 v51, v51, v56
	v_exp_f32_e32 v50, v50
	v_mul_f32_e32 v51, 0x3fb8aa3b, v51
	v_sub_f32_e32 v48, v48, v56
	v_exp_f32_e32 v51, v51
	v_mul_f32_e32 v48, 0x3fb8aa3b, v48
	v_sub_f32_e32 v49, v49, v56
	v_cndmask_b32_e64 v44, 0, v44, s[4:5]
	v_exp_f32_e32 v48, v48
	v_mul_f32_e32 v49, 0x3fb8aa3b, v49
	v_sub_f32_e32 v46, v46, v56
	v_add_f32_e32 v58, 0, v44
	v_cndmask_b32_e64 v45, 0, v45, s[34:35]
	v_exp_f32_e32 v49, v49
	v_mul_f32_e32 v46, 0x3fb8aa3b, v46
	v_sub_f32_e32 v47, v47, v56
	v_add_f32_e32 v58, v58, v45
	;; [unrolled: 5-line block ×10, first 2 shown]
	v_cndmask_b32_e64 v38, 0, v38, s[12:13]
	v_exp_f32_e32 v34, v34
	v_mul_f32_e32 v35, 0x3fb8aa3b, v35
	v_add_f32_e32 v58, v58, v38
	v_cndmask_b32_e64 v39, 0, v39, s[14:15]
	v_exp_f32_e32 v35, v35
	v_add_f32_e32 v58, v58, v39
	v_cndmask_b32_e64 v36, 0, v36, s[8:9]
	v_add_f32_e32 v58, v58, v36
	v_cndmask_b32_e64 v37, 0, v37, s[10:11]
	v_add_f32_e32 v58, v58, v37
	v_cndmask_b32_e32 v34, 0, v34, vcc
	v_add_f32_e32 v58, v58, v34
	v_cndmask_b32_e64 v35, 0, v35, s[6:7]
	v_add_f32_e32 v58, v58, v35
	ds_bpermute_b32 v57, v57, v58
	s_load_dword s7, s[0:1], 0x98
	v_cmp_gt_u32_e32 vcc, 16, v53
	s_waitcnt lgkmcnt(0)
	s_barrier
	v_add_f32_e32 v58, v58, v57
	ds_bpermute_b32 v59, v59, v58
	v_lshlrev_b32_e32 v57, 2, v55
	s_waitcnt lgkmcnt(0)
	s_and_saveexec_b64 s[4:5], vcc
	s_cbranch_execz .LBB409_15
; %bb.14:
	v_add_f32_e32 v55, v58, v59
	v_lshl_or_b32 v58, v54, 6, v57
	ds_write2st64_b32 v58, v56, v55 offset1:1
.LBB409_15:
	s_or_b64 exec, exec, s[4:5]
	s_load_dword s6, s[0:1], 0x94
	s_waitcnt lgkmcnt(0)
	s_barrier
	ds_read2_b32 v[58:59], v57 offset1:16
	ds_read2_b32 v[60:61], v57 offset0:32 offset1:48
	ds_read2_b32 v[62:63], v57 offset0:64 offset1:80
	s_movk_i32 s8, 0x7fff
	s_mov_b32 s9, 0x7060302
	s_waitcnt lgkmcnt(2)
	v_max3_f32 v55, v58, s42, v59
	s_waitcnt lgkmcnt(1)
	v_max3_f32 v55, v55, v60, v61
	v_sub_f32_e32 v56, v58, v55
	v_mul_f32_e32 v56, 0x3fb8aa3b, v56
	v_exp_f32_e32 v64, v56
	v_sub_f32_e32 v56, v59, v55
	v_mul_f32_e32 v56, 0x3fb8aa3b, v56
	v_exp_f32_e32 v65, v56
	;; [unrolled: 3-line block ×3, first 2 shown]
	ds_read2_b32 v[58:59], v57 offset0:96 offset1:112
	v_sub_f32_e32 v56, v61, v55
	v_mul_f32_e32 v56, 0x3fb8aa3b, v56
	v_exp_f32_e32 v57, v56
	s_waitcnt lgkmcnt(1)
	v_fma_f32 v56, v64, v62, 0
	v_fmac_f32_e32 v56, v65, v63
	s_waitcnt lgkmcnt(0)
	v_fmac_f32_e32 v56, v60, v58
	v_fmac_f32_e32 v56, v57, v59
	v_add_f32_e32 v58, 0x358637bd, v56
	v_div_scale_f32 v59, s[4:5], v58, v58, 1.0
	v_rcp_f32_e32 v61, v59
	s_lshl_b32 s7, s7, 1
	s_barrier
	v_fma_f32 v62, -v59, v61, 1.0
	v_fmac_f32_e32 v61, v62, v61
	v_div_scale_f32 v62, vcc, 1.0, v58, 1.0
	v_mul_f32_e32 v63, v62, v61
	v_fma_f32 v66, -v59, v63, v62
	v_fmac_f32_e32 v63, v66, v61
	v_fma_f32 v59, -v59, v63, v62
	v_div_fmas_f32 v59, v59, v61, v63
	v_cmp_eq_u32_e32 vcc, 1, v54
	v_div_fixup_f32 v58, v59, v58, 1.0
	s_nop 0
	v_cndmask_b32_e32 v59, v64, v65, vcc
	v_cmp_eq_u32_e32 vcc, 2, v54
	s_nop 1
	v_cndmask_b32_e32 v59, v59, v60, vcc
	v_cmp_eq_u32_e32 vcc, 3, v54
	s_nop 1
	v_cndmask_b32_e32 v57, v59, v57, vcc
	v_mul_f32_e32 v58, v57, v58
	v_pk_mul_f32 v[44:45], v[58:59], v[44:45] op_sel_hi:[0,1]
	v_pk_mul_f32 v[50:51], v[58:59], v[50:51] op_sel_hi:[0,1]
	v_bfe_u32 v57, v45, 16, 1
	v_bfe_u32 v59, v44, 16, 1
	v_add3_u32 v44, v44, v59, s8
	v_add3_u32 v45, v45, v57, s8
	v_perm_b32 v60, v45, v44, s9
	v_bfe_u32 v44, v51, 16, 1
	v_bfe_u32 v45, v50, 16, 1
	v_add3_u32 v45, v50, v45, s8
	v_add3_u32 v44, v51, v44, s8
	v_perm_b32 v61, v44, v45, s9
	v_lshlrev_b32_e32 v44, 3, v1
	v_lshlrev_b32_e32 v45, 11, v54
	v_pk_mul_f32 v[48:49], v[58:59], v[48:49] op_sel_hi:[0,1]
	v_or3_b32 v44, v45, v43, v44
	v_bfe_u32 v45, v49, 16, 1
	v_bfe_u32 v50, v48, 16, 1
	v_pk_mul_f32 v[46:47], v[58:59], v[46:47] op_sel_hi:[0,1]
	v_add3_u32 v48, v48, v50, s8
	v_add3_u32 v45, v49, v45, s8
	v_perm_b32 v48, v45, v48, s9
	v_bfe_u32 v45, v47, 16, 1
	v_bfe_u32 v49, v46, 16, 1
	v_add3_u32 v46, v46, v49, s8
	v_add3_u32 v45, v47, v45, s8
	v_pk_mul_f32 v[40:41], v[58:59], v[40:41] op_sel_hi:[0,1]
	v_perm_b32 v49, v45, v46, s9
	v_bfe_u32 v45, v41, 16, 1
	v_bfe_u32 v46, v40, 16, 1
	v_pk_mul_f32 v[38:39], v[58:59], v[38:39] op_sel_hi:[0,1]
	v_add3_u32 v40, v40, v46, s8
	v_add3_u32 v41, v41, v45, s8
	v_perm_b32 v40, v41, v40, s9
	v_bfe_u32 v41, v39, 16, 1
	v_bfe_u32 v45, v38, 16, 1
	v_add3_u32 v38, v38, v45, s8
	v_add3_u32 v39, v39, v41, s8
	v_pk_mul_f32 v[36:37], v[58:59], v[36:37] op_sel_hi:[0,1]
	v_perm_b32 v41, v39, v38, s9
	v_bfe_u32 v38, v37, 16, 1
	v_bfe_u32 v39, v36, 16, 1
	v_pk_mul_f32 v[34:35], v[58:59], v[34:35] op_sel_hi:[0,1]
	v_add3_u32 v36, v36, v39, s8
	v_add3_u32 v37, v37, v38, s8
	v_perm_b32 v36, v37, v36, s9
	v_bfe_u32 v37, v35, 16, 1
	v_bfe_u32 v38, v34, 16, 1
	v_add3_u32 v34, v34, v38, s8
	v_add3_u32 v35, v35, v37, s8
	v_perm_b32 v37, v35, v34, s9
	v_cmp_gt_u32_e32 vcc, 2, v0
	ds_write2st64_b64 v44, v[60:61], v[48:49] offset1:1
	ds_write2st64_b64 v44, v[40:41], v[36:37] offset0:2 offset1:3
	s_and_saveexec_b64 s[4:5], vcc
	s_cbranch_execz .LBB409_17
; %bb.16:
	v_or_b32_e32 v34, s29, v0
	v_mov_b32_e32 v35, 0
	v_mov_b32_e32 v36, s7
	v_mad_u64_u32 v[36:37], s[10:11], s2, v36, v[34:35]
	v_mov_b32_e32 v34, s28
	s_load_dwordx4 s[12:15], s[0:1], 0x58
	s_mul_i32 s3, s3, s7
	v_mad_u64_u32 v[34:35], s[10:11], v36, s6, v[34:35]
	v_add_u32_e32 v37, s3, v37
	v_mov_b32_e32 v36, v35
	v_mad_u64_u32 v[36:37], s[10:11], v37, s6, v[36:37]
	v_mov_b32_e32 v35, v36
	v_lshlrev_b64 v[34:35], 2, v[34:35]
	s_waitcnt lgkmcnt(0)
	v_lshl_add_u64 v[36:37], s[14:15], 0, v[34:35]
	v_lshl_add_u64 v[34:35], s[12:13], 0, v[34:35]
	global_store_dword v[36:37], v55, off
	global_store_dword v[34:35], v56, off
.LBB409_17:
	s_or_b64 exec, exec, s[4:5]
	v_lshl_or_b32 v43, v1, 9, v43
	s_waitcnt lgkmcnt(0)
	s_barrier
	ds_read_b128 v[34:37], v43
	ds_read_b128 v[38:41], v43 offset:16
	s_waitcnt vmcnt(7) lgkmcnt(1)
	v_mfma_f32_16x16x16_bf16 v[46:49], v[6:7], v[34:35], 0
	v_cmp_gt_u32_e32 vcc, 64, v0
	v_cmp_gt_u32_e64 s[4:5], 32, v53
	s_and_b64 s[4:5], s[4:5], vcc
	v_mfma_f32_16x16x16_bf16 v[6:9], v[8:9], v[36:37], v[46:49]
	s_mov_b32 s3, 0
	s_and_b64 s[4:5], s[4:5], s[30:31]
	s_waitcnt vmcnt(6) lgkmcnt(0)
	v_mfma_f32_16x16x16_bf16 v[6:9], v[2:3], v[38:39], v[6:9]
	v_mfma_f32_16x16x16_bf16 v[2:5], v[4:5], v[40:41], v[6:9]
	s_nop 5
	ds_read_b128 v[6:9], v43 offset:2048
	ds_read_b128 v[34:37], v43 offset:2064
	s_waitcnt vmcnt(5) lgkmcnt(1)
	v_mfma_f32_16x16x16_bf16 v[2:5], v[30:31], v[6:7], v[2:5]
	v_mfma_f32_16x16x16_bf16 v[2:5], v[32:33], v[8:9], v[2:5]
	s_waitcnt vmcnt(4) lgkmcnt(0)
	v_mfma_f32_16x16x16_bf16 v[2:5], v[26:27], v[34:35], v[2:5]
	v_mfma_f32_16x16x16_bf16 v[2:5], v[28:29], v[36:37], v[2:5]
	ds_read_b128 v[6:9], v43 offset:4096
	ds_read_b128 v[26:29], v43 offset:4112
	s_waitcnt vmcnt(3) lgkmcnt(1)
	v_mfma_f32_16x16x16_bf16 v[2:5], v[22:23], v[6:7], v[2:5]
	v_mfma_f32_16x16x16_bf16 v[2:5], v[24:25], v[8:9], v[2:5]
	s_waitcnt vmcnt(2) lgkmcnt(0)
	v_mfma_f32_16x16x16_bf16 v[2:5], v[18:19], v[26:27], v[2:5]
	v_mfma_f32_16x16x16_bf16 v[2:5], v[20:21], v[28:29], v[2:5]
	ds_read_b128 v[6:9], v43 offset:6144
	ds_read_b128 v[18:21], v43 offset:6160
	v_mov_b32_e32 v43, 0
	s_waitcnt vmcnt(1) lgkmcnt(0)
	v_mfma_f32_16x16x16_bf16 v[2:5], v[14:15], v[6:7], v[2:5]
	s_barrier
	v_mfma_f32_16x16x16_bf16 v[2:5], v[16:17], v[8:9], v[2:5]
	s_waitcnt vmcnt(0)
	v_mfma_f32_16x16x16_bf16 v[2:5], v[10:11], v[18:19], v[2:5]
	v_mfma_f32_16x16x16_bf16 v[2:5], v[12:13], v[20:21], v[2:5]
	s_nop 6
	v_bfe_u32 v6, v3, 16, 1
	v_bfe_u32 v7, v2, 16, 1
	;; [unrolled: 1-line block ×4, first 2 shown]
	v_add3_u32 v2, v2, v7, s8
	v_add3_u32 v3, v3, v6, s8
	;; [unrolled: 1-line block ×4, first 2 shown]
	v_perm_b32 v2, v3, v2, s9
	v_perm_b32 v3, v5, v4, s9
	ds_write_b64 v44, v[2:3]
	s_waitcnt lgkmcnt(0)
	s_barrier
	s_and_saveexec_b64 s[8:9], s[4:5]
	s_cbranch_execz .LBB409_19
; %bb.18:
	s_load_dwordx2 s[0:1], s[0:1], 0x68
	s_mul_i32 s2, s7, s2
	s_lshl_b32 s6, s6, 6
	s_mul_hi_u32 s5, s2, s6
	s_mul_i32 s4, s2, s6
	v_lshlrev_b32_e32 v0, 10, v0
	s_lshl_b64 s[4:5], s[4:5], 1
	v_and_b32_e32 v0, 0x1800, v0
	v_lshlrev_b32_e32 v2, 5, v1
	v_and_b32_e32 v3, 16, v52
	s_waitcnt lgkmcnt(0)
	s_add_u32 s4, s0, s4
	v_or3_b32 v0, v0, v2, v3
	s_addc_u32 s5, s1, s5
	s_lshl_b32 s2, s28, 6
	ds_read_b128 v[2:5], v0
	s_lshl_b64 s[0:1], s[2:3], 1
	s_add_u32 s0, s4, s0
	v_or_b32_e32 v0, s29, v1
	s_addc_u32 s1, s5, s1
	v_mad_u64_u32 v[0:1], s[2:3], s6, v0, 0
	v_lshl_add_u64 v[0:1], v[0:1], 1, s[0:1]
	v_lshl_add_u64 v[0:1], v[0:1], 0, v[42:43]
	s_waitcnt lgkmcnt(0)
	global_store_dwordx4 v[0:1], v[2:5], off
.LBB409_19:
	s_endpgm
	.section	.rodata,"a",@progbits
	.p2align	6, 0x0
	.amdhsa_kernel _Z39paged_attention_ll4mi_QKV_mfma16_kernelI14__hip_bfloat16S0_LN4vllm18Fp8KVCacheDataTypeE0EhLi16ELi64ELi256ELb1ELi2EEvPKT_PKT0_S8_ifPKiSA_SA_iPKfiiiPfSD_PS3_PT2_iSC_SC_
		.amdhsa_group_segment_fixed_size 8192
		.amdhsa_private_segment_fixed_size 0
		.amdhsa_kernarg_size 400
		.amdhsa_user_sgpr_count 2
		.amdhsa_user_sgpr_dispatch_ptr 0
		.amdhsa_user_sgpr_queue_ptr 0
		.amdhsa_user_sgpr_kernarg_segment_ptr 1
		.amdhsa_user_sgpr_dispatch_id 0
		.amdhsa_user_sgpr_kernarg_preload_length 0
		.amdhsa_user_sgpr_kernarg_preload_offset 0
		.amdhsa_user_sgpr_private_segment_size 0
		.amdhsa_uses_dynamic_stack 0
		.amdhsa_enable_private_segment 0
		.amdhsa_system_sgpr_workgroup_id_x 1
		.amdhsa_system_sgpr_workgroup_id_y 1
		.amdhsa_system_sgpr_workgroup_id_z 1
		.amdhsa_system_sgpr_workgroup_info 0
		.amdhsa_system_vgpr_workitem_id 0
		.amdhsa_next_free_vgpr 72
		.amdhsa_next_free_sgpr 48
		.amdhsa_accum_offset 72
		.amdhsa_reserve_vcc 1
		.amdhsa_float_round_mode_32 0
		.amdhsa_float_round_mode_16_64 0
		.amdhsa_float_denorm_mode_32 3
		.amdhsa_float_denorm_mode_16_64 3
		.amdhsa_dx10_clamp 1
		.amdhsa_ieee_mode 1
		.amdhsa_fp16_overflow 0
		.amdhsa_tg_split 0
		.amdhsa_exception_fp_ieee_invalid_op 0
		.amdhsa_exception_fp_denorm_src 0
		.amdhsa_exception_fp_ieee_div_zero 0
		.amdhsa_exception_fp_ieee_overflow 0
		.amdhsa_exception_fp_ieee_underflow 0
		.amdhsa_exception_fp_ieee_inexact 0
		.amdhsa_exception_int_div_zero 0
	.end_amdhsa_kernel
	.section	.text._Z39paged_attention_ll4mi_QKV_mfma16_kernelI14__hip_bfloat16S0_LN4vllm18Fp8KVCacheDataTypeE0EhLi16ELi64ELi256ELb1ELi2EEvPKT_PKT0_S8_ifPKiSA_SA_iPKfiiiPfSD_PS3_PT2_iSC_SC_,"axG",@progbits,_Z39paged_attention_ll4mi_QKV_mfma16_kernelI14__hip_bfloat16S0_LN4vllm18Fp8KVCacheDataTypeE0EhLi16ELi64ELi256ELb1ELi2EEvPKT_PKT0_S8_ifPKiSA_SA_iPKfiiiPfSD_PS3_PT2_iSC_SC_,comdat
.Lfunc_end409:
	.size	_Z39paged_attention_ll4mi_QKV_mfma16_kernelI14__hip_bfloat16S0_LN4vllm18Fp8KVCacheDataTypeE0EhLi16ELi64ELi256ELb1ELi2EEvPKT_PKT0_S8_ifPKiSA_SA_iPKfiiiPfSD_PS3_PT2_iSC_SC_, .Lfunc_end409-_Z39paged_attention_ll4mi_QKV_mfma16_kernelI14__hip_bfloat16S0_LN4vllm18Fp8KVCacheDataTypeE0EhLi16ELi64ELi256ELb1ELi2EEvPKT_PKT0_S8_ifPKiSA_SA_iPKfiiiPfSD_PS3_PT2_iSC_SC_
                                        ; -- End function
	.section	.AMDGPU.csdata,"",@progbits
; Kernel info:
; codeLenInByte = 4240
; NumSgprs: 54
; NumVgprs: 72
; NumAgprs: 0
; TotalNumVgprs: 72
; ScratchSize: 0
; MemoryBound: 0
; FloatMode: 240
; IeeeMode: 1
; LDSByteSize: 8192 bytes/workgroup (compile time only)
; SGPRBlocks: 6
; VGPRBlocks: 8
; NumSGPRsForWavesPerEU: 54
; NumVGPRsForWavesPerEU: 72
; AccumOffset: 72
; Occupancy: 7
; WaveLimiterHint : 1
; COMPUTE_PGM_RSRC2:SCRATCH_EN: 0
; COMPUTE_PGM_RSRC2:USER_SGPR: 2
; COMPUTE_PGM_RSRC2:TRAP_HANDLER: 0
; COMPUTE_PGM_RSRC2:TGID_X_EN: 1
; COMPUTE_PGM_RSRC2:TGID_Y_EN: 1
; COMPUTE_PGM_RSRC2:TGID_Z_EN: 1
; COMPUTE_PGM_RSRC2:TIDIG_COMP_CNT: 0
; COMPUTE_PGM_RSRC3_GFX90A:ACCUM_OFFSET: 17
; COMPUTE_PGM_RSRC3_GFX90A:TG_SPLIT: 0
	.section	.text._Z39paged_attention_ll4mi_QKV_mfma16_kernelI14__hip_bfloat16S0_LN4vllm18Fp8KVCacheDataTypeE0EhLi16ELi64ELi256ELb1ELi3EEvPKT_PKT0_S8_ifPKiSA_SA_iPKfiiiPfSD_PS3_PT2_iSC_SC_,"axG",@progbits,_Z39paged_attention_ll4mi_QKV_mfma16_kernelI14__hip_bfloat16S0_LN4vllm18Fp8KVCacheDataTypeE0EhLi16ELi64ELi256ELb1ELi3EEvPKT_PKT0_S8_ifPKiSA_SA_iPKfiiiPfSD_PS3_PT2_iSC_SC_,comdat
	.protected	_Z39paged_attention_ll4mi_QKV_mfma16_kernelI14__hip_bfloat16S0_LN4vllm18Fp8KVCacheDataTypeE0EhLi16ELi64ELi256ELb1ELi3EEvPKT_PKT0_S8_ifPKiSA_SA_iPKfiiiPfSD_PS3_PT2_iSC_SC_ ; -- Begin function _Z39paged_attention_ll4mi_QKV_mfma16_kernelI14__hip_bfloat16S0_LN4vllm18Fp8KVCacheDataTypeE0EhLi16ELi64ELi256ELb1ELi3EEvPKT_PKT0_S8_ifPKiSA_SA_iPKfiiiPfSD_PS3_PT2_iSC_SC_
	.globl	_Z39paged_attention_ll4mi_QKV_mfma16_kernelI14__hip_bfloat16S0_LN4vllm18Fp8KVCacheDataTypeE0EhLi16ELi64ELi256ELb1ELi3EEvPKT_PKT0_S8_ifPKiSA_SA_iPKfiiiPfSD_PS3_PT2_iSC_SC_
	.p2align	8
	.type	_Z39paged_attention_ll4mi_QKV_mfma16_kernelI14__hip_bfloat16S0_LN4vllm18Fp8KVCacheDataTypeE0EhLi16ELi64ELi256ELb1ELi3EEvPKT_PKT0_S8_ifPKiSA_SA_iPKfiiiPfSD_PS3_PT2_iSC_SC_,@function
_Z39paged_attention_ll4mi_QKV_mfma16_kernelI14__hip_bfloat16S0_LN4vllm18Fp8KVCacheDataTypeE0EhLi16ELi64ELi256ELb1ELi3EEvPKT_PKT0_S8_ifPKiSA_SA_iPKfiiiPfSD_PS3_PT2_iSC_SC_: ; @_Z39paged_attention_ll4mi_QKV_mfma16_kernelI14__hip_bfloat16S0_LN4vllm18Fp8KVCacheDataTypeE0EhLi16ELi64ELi256ELb1ELi3EEvPKT_PKT0_S8_ifPKiSA_SA_iPKfiiiPfSD_PS3_PT2_iSC_SC_
; %bb.0:
	s_load_dwordx2 s[8:9], s[0:1], 0x30
	s_mov_b32 s28, s3
	s_mov_b64 s[6:7], 0
	s_waitcnt lgkmcnt(0)
	s_cmp_lg_u64 s[8:9], 0
	s_cselect_b64 s[10:11], -1, 0
	s_and_b64 vcc, exec, s[10:11]
	s_cbranch_vccz .LBB410_7
; %bb.1:
	s_add_i32 s12, s2, 1
	s_mov_b32 s13, 0
	s_lshl_b64 s[14:15], s[12:13], 2
	s_add_u32 s14, s8, s14
	s_mov_b32 s3, s13
	s_addc_u32 s15, s9, s15
	s_lshl_b64 s[12:13], s[2:3], 2
	s_add_u32 s12, s8, s12
	s_addc_u32 s13, s9, s13
	s_load_dword s5, s[14:15], 0x0
	s_load_dword s16, s[12:13], 0x0
	s_waitcnt lgkmcnt(0)
	s_sub_i32 s5, s5, s16
	s_cmp_eq_u32 s5, 1
	s_cselect_b64 s[12:13], -1, 0
	s_andn2_b64 vcc, exec, s[6:7]
	s_cbranch_vccnz .LBB410_3
.LBB410_2:
	s_mov_b32 s3, 0
	s_mov_b64 s[12:13], -1
.LBB410_3:
	s_andn2_b64 vcc, exec, s[12:13]
	s_cbranch_vccnz .LBB410_19
; %bb.4:
	s_load_dwordx2 s[6:7], s[0:1], 0x28
	s_lshl_b64 s[14:15], s[2:3], 2
	s_waitcnt lgkmcnt(0)
	s_add_u32 s6, s6, s14
	s_addc_u32 s7, s7, s15
	s_load_dword s29, s[6:7], 0x0
	s_lshl_b32 s16, s28, 8
	s_waitcnt lgkmcnt(0)
	s_cmp_ge_i32 s16, s29
	s_cbranch_scc1 .LBB410_19
; %bb.5:
	s_load_dwordx2 s[6:7], s[0:1], 0x20
	s_load_dword s5, s[0:1], 0x38
	s_add_i32 s12, s29, 15
	s_ashr_i32 s13, s12, 31
	v_and_b32_e32 v1, 0xcf, v0
	s_lshr_b32 s13, s13, 28
	v_add_u32_e32 v1, s16, v1
	s_add_i32 s12, s12, s13
	v_ashrrev_i32_e32 v2, 31, v1
	s_ashr_i32 s17, s12, 4
	v_lshrrev_b32_e32 v6, 28, v2
	s_add_i32 s17, s17, -1
	s_waitcnt lgkmcnt(0)
	s_mul_i32 s12, s2, s5
	s_mov_b32 s13, 0
	v_add_u32_e32 v2, v1, v6
	s_lshl_b64 s[12:13], s[12:13], 2
	v_ashrrev_i32_e32 v2, 4, v2
	v_mov_b32_e32 v7, s17
	v_cmp_gt_i32_e32 vcc, s29, v1
	s_add_u32 s6, s6, s12
	s_addc_u32 s7, s7, s13
	v_cndmask_b32_e32 v2, v7, v2, vcc
	v_ashrrev_i32_e32 v3, 31, v2
	v_lshl_add_u64 v[4:5], v[2:3], 2, s[6:7]
	v_or_b32_e32 v2, 16, v1
	v_add_u32_e32 v3, v2, v6
	v_ashrrev_i32_e32 v3, 4, v3
	v_cmp_gt_i32_e32 vcc, s29, v2
	s_load_dwordx2 s[12:13], s[0:1], 0x8
	s_nop 0
	v_cndmask_b32_e32 v2, v7, v3, vcc
	v_ashrrev_i32_e32 v3, 31, v2
	v_lshl_add_u64 v[8:9], v[2:3], 2, s[6:7]
	v_or_b32_e32 v2, 32, v1
	v_add_u32_e32 v3, v2, v6
	v_ashrrev_i32_e32 v3, 4, v3
	v_cmp_gt_i32_e32 vcc, s29, v2
	v_or_b32_e32 v1, 48, v1
	s_nop 0
	v_cndmask_b32_e32 v2, v7, v3, vcc
	v_ashrrev_i32_e32 v3, 31, v2
	v_lshl_add_u64 v[10:11], v[2:3], 2, s[6:7]
	v_add_u32_e32 v2, v1, v6
	v_ashrrev_i32_e32 v2, 4, v2
	v_cmp_gt_i32_e32 vcc, s29, v1
	s_nop 1
	v_cndmask_b32_e32 v2, v7, v2, vcc
	v_ashrrev_i32_e32 v3, 31, v2
	v_lshl_add_u64 v[12:13], v[2:3], 2, s[6:7]
	global_load_dword v3, v[4:5], off
	global_load_dword v2, v[8:9], off
	;; [unrolled: 1-line block ×4, first 2 shown]
	s_andn2_b64 vcc, exec, s[10:11]
	s_cbranch_vccnz .LBB410_8
; %bb.6:
	s_add_u32 s8, s8, s14
	s_addc_u32 s9, s9, s15
	s_load_dword s5, s[8:9], 0x0
	s_branch .LBB410_9
.LBB410_7:
	s_mov_b64 s[12:13], 0
	s_branch .LBB410_2
.LBB410_8:
	s_mov_b32 s5, s2
.LBB410_9:
	s_load_dwordx2 s[8:9], s[0:1], 0x10
	s_load_dwordx4 s[44:47], s[0:1], 0x48
	v_lshrrev_b32_e32 v45, 6, v0
	v_bfe_u32 v54, v0, 4, 2
	v_lshl_or_b32 v4, v45, 2, v54
	v_and_b32_e32 v44, 15, v0
	s_mul_i32 s42, s4, 3
	v_lshlrev_b32_e32 v5, 3, v44
	v_cmp_gt_u32_e32 vcc, 3, v4
	v_cmp_gt_u32_e64 s[30:31], 8, v44
	v_add_u32_e32 v1, s42, v54
	s_and_b64 s[14:15], s[30:31], vcc
	v_lshlrev_b32_e32 v42, 1, v5
	s_and_saveexec_b64 s[10:11], s[14:15]
	s_cbranch_execz .LBB410_11
; %bb.10:
	s_load_dwordx2 s[14:15], s[0:1], 0x0
	s_waitcnt lgkmcnt(0)
	s_ashr_i32 s18, s44, 31
	s_mul_hi_u32 s19, s5, s44
	s_mul_i32 s18, s5, s18
	s_add_i32 s19, s19, s18
	s_mul_i32 s18, s5, s44
	s_lshl_b64 s[18:19], s[18:19], 1
	s_add_u32 s14, s14, s18
	v_lshlrev_b32_e32 v8, 6, v1
	s_addc_u32 s15, s15, s19
	v_ashrrev_i32_e32 v9, 31, v8
	v_lshl_add_u64 v[8:9], v[8:9], 1, s[14:15]
	v_mov_b32_e32 v43, 0
	v_lshl_add_u64 v[8:9], v[8:9], 0, v[42:43]
	global_load_dwordx4 v[8:11], v[8:9], off
	v_and_b32_e32 v5, 3, v0
	v_lshlrev_b32_e32 v7, 9, v44
	v_lshlrev_b32_e32 v4, 5, v4
	;; [unrolled: 1-line block ×3, first 2 shown]
	v_and_b32_e32 v7, 0x1800, v7
	v_or3_b32 v4, v7, v5, v4
	s_waitcnt vmcnt(0)
	ds_write_b128 v4, v[8:11]
.LBB410_11:
	s_or_b64 exec, exec, s[10:11]
	s_waitcnt lgkmcnt(0)
	s_mul_i32 s4, s4, s46
	s_mov_b32 s5, 0
	s_lshl_b64 s[4:5], s[4:5], 1
	s_add_u32 s10, s12, s4
	v_lshlrev_b32_e32 v55, 4, v0
	s_addc_u32 s11, s13, s5
	v_and_b32_e32 v46, 0xf0, v55
	v_mov_b32_e32 v47, 0
	v_lshl_add_u64 v[16:17], s[10:11], 0, v[46:47]
	s_waitcnt vmcnt(3)
	v_mad_i64_i32 v[4:5], s[10:11], v3, s45, 0
	s_waitcnt vmcnt(2)
	v_mad_i64_i32 v[2:3], s[10:11], v2, s45, 0
	;; [unrolled: 2-line block ×3, first 2 shown]
	v_lshl_add_u64 v[4:5], v[4:5], 1, v[16:17]
	v_and_b32_e32 v46, 0x300, v55
	v_lshl_add_u64 v[2:3], v[2:3], 1, v[16:17]
	v_lshl_add_u64 v[6:7], v[6:7], 1, v[16:17]
	s_waitcnt vmcnt(0)
	v_mad_i64_i32 v[14:15], s[10:11], v14, s45, 0
	v_lshl_add_u64 v[4:5], v[4:5], 0, v[46:47]
	v_lshl_add_u64 v[8:9], v[2:3], 0, v[46:47]
	;; [unrolled: 1-line block ×4, first 2 shown]
	s_barrier
	global_load_dwordx4 v[30:33], v[4:5], off
	global_load_dwordx4 v[10:13], v[4:5], off offset:1024
	global_load_dwordx4 v[22:25], v[8:9], off
	s_nop 0
	global_load_dwordx4 v[2:5], v[8:9], off offset:1024
	global_load_dwordx4 v[26:29], v[18:19], off
	s_nop 0
	global_load_dwordx4 v[6:9], v[18:19], off offset:1024
	v_lshl_add_u64 v[18:19], v[14:15], 0, v[46:47]
	global_load_dwordx4 v[34:37], v[18:19], off
	global_load_dwordx4 v[14:17], v[18:19], off offset:1024
	v_mul_lo_u16_e32 v18, 0x56, v44
	v_mov_b32_e32 v19, 3
	v_mul_lo_u16_sdwa v18, v18, v19 dst_sel:DWORD dst_unused:UNUSED_PAD src0_sel:BYTE_1 src1_sel:DWORD
	v_sub_u16_e32 v18, v44, v18
	v_mov_b32_e32 v19, 5
	v_lshlrev_b32_sdwa v18, v19, v18 dst_sel:DWORD dst_unused:UNUSED_PAD src0_sel:DWORD src1_sel:BYTE_0
	v_lshl_add_u32 v18, v54, 9, v18
	ds_read_b128 v[38:41], v18
	ds_read_b128 v[18:21], v18 offset:2048
	v_and_b32_e32 v56, 63, v0
	v_cmp_gt_u32_e32 vcc, 3, v44
	v_mov_b32_e32 v57, 0
	s_and_saveexec_b64 s[10:11], vcc
	s_cbranch_execz .LBB410_13
; %bb.12:
	s_load_dwordx2 s[12:13], s[0:1], 0x40
	v_add_u32_e32 v48, s42, v44
	v_ashrrev_i32_e32 v49, 31, v48
	s_waitcnt lgkmcnt(0)
	v_lshl_add_u64 v[48:49], v[48:49], 2, s[12:13]
	global_load_dword v57, v[48:49], off
.LBB410_13:
	s_or_b64 exec, exec, s[10:11]
	v_and_or_b32 v46, v0, 48, s16
	v_ashrrev_i32_e32 v43, 4, v46
	v_mov_b32_e32 v70, s17
	v_cmp_gt_i32_e32 vcc, s29, v46
	s_waitcnt vmcnt(5) lgkmcnt(1)
	v_mfma_f32_16x16x16_bf16 v[58:61], v[22:23], v[38:39], 0
	s_load_dword s10, s[0:1], 0x1c
	v_cndmask_b32_e32 v48, v70, v43, vcc
	v_ashrrev_i32_e32 v49, 31, v48
	v_or_b32_e32 v43, 64, v46
	v_lshl_add_u64 v[52:53], v[48:49], 2, s[6:7]
	v_mfma_f32_16x16x16_bf16 v[48:51], v[30:31], v[38:39], 0
	v_ashrrev_i32_e32 v30, 4, v43
	v_cmp_gt_i32_e32 vcc, s29, v43
	global_load_dword v71, v[52:53], off
	s_waitcnt vmcnt(4)
	v_mfma_f32_16x16x16_bf16 v[62:65], v[26:27], v[38:39], 0
	v_cndmask_b32_e32 v30, v70, v30, vcc
	v_ashrrev_i32_e32 v31, 31, v30
	v_lshl_add_u64 v[22:23], v[30:31], 2, s[6:7]
	global_load_dword v72, v[22:23], off
	v_mfma_f32_16x16x16_bf16 v[22:25], v[24:25], v[40:41], v[58:61]
	v_and_b32_e32 v26, 0xc0, v0
	s_add_u32 s4, s8, s4
	v_lshlrev_b32_e32 v43, 5, v44
	v_mfma_f32_16x16x16_bf16 v[30:33], v[32:33], v[40:41], v[48:51]
	s_addc_u32 s5, s9, s5
	s_mov_b32 s33, 0xff7fffff
	s_waitcnt vmcnt(3)
	v_mfma_f32_16x16x16_bf16 v[66:69], v[34:35], v[38:39], 0
	v_or_b32_e32 v38, 0x80, v46
	v_add_u32_e32 v48, s16, v26
	v_or_b32_e32 v39, 0xc0, v46
	v_mfma_f32_16x16x16_bf16 v[26:29], v[28:29], v[40:41], v[62:65]
	v_ashrrev_i32_e32 v49, 4, v38
	v_cmp_gt_i32_e32 vcc, s29, v38
	v_ashrrev_i32_e32 v50, 4, v39
	s_waitcnt lgkmcnt(0)
	v_mfma_f32_16x16x16_bf16 v[22:25], v[2:3], v[18:19], v[22:25]
	v_cndmask_b32_e32 v38, v70, v49, vcc
	v_cmp_gt_i32_e32 vcc, s29, v39
	v_ashrrev_i32_e32 v39, 31, v38
	v_mfma_f32_16x16x16_bf16 v[30:33], v[10:11], v[18:19], v[30:33]
	v_cndmask_b32_e32 v10, v70, v50, vcc
	v_ashrrev_i32_e32 v11, 31, v10
	v_lshl_or_b32 v58, v54, 2, v48
	v_mfma_f32_16x16x16_bf16 v[26:29], v[6:7], v[18:19], v[26:29]
	v_lshl_add_u64 v[6:7], v[38:39], 2, s[6:7]
	v_lshl_add_u64 v[38:39], v[10:11], 2, s[6:7]
	v_or_b32_e32 v59, 1, v58
	v_mfma_f32_16x16x16_bf16 v[2:5], v[4:5], v[20:21], v[22:25]
	s_nop 2
	global_load_dword v22, v[6:7], off
	global_load_dword v62, v[38:39], off
	v_subrev_u32_e32 v60, s29, v59
	v_cvt_f32_i32_e32 v61, v60
	v_mfma_f32_16x16x16_bf16 v[34:37], v[36:37], v[40:41], v[66:69]
	v_pk_mul_f32 v[48:49], s[10:11], v[4:5] op_sel_hi:[0,1]
	v_lshl_or_b32 v46, v45, 9, v43
	v_lshl_add_u64 v[46:47], s[4:5], 0, v[46:47]
	s_waitcnt vmcnt(4)
	v_mfma_f32_16x16x16_bf16 v[34:37], v[14:15], v[18:19], v[34:37]
	v_add_u32_e32 v14, 1, v60
	v_add_u32_e32 v15, 2, v60
	v_cvt_f32_i32_e32 v23, v14
	v_cvt_f32_i32_e32 v24, v15
	v_mfma_f32_16x16x16_bf16 v[14:17], v[16:17], v[20:21], v[34:37]
	v_add_u32_e32 v18, 3, v60
	v_cvt_f32_i32_e32 v18, v18
	v_pk_mul_f32 v[50:51], s[10:11], v[2:3] op_sel_hi:[0,1]
	v_mfma_f32_16x16x16_bf16 v[10:13], v[12:13], v[20:21], v[30:33]
	v_cmp_gt_i32_e64 s[34:35], s29, v59
	s_nop 1
	v_pk_mul_f32 v[36:37], s[10:11], v[14:15] op_sel_hi:[0,1]
	v_add_u32_e32 v15, 19, v60
	v_add_u32_e32 v31, 18, v60
	v_cvt_f32_i32_e32 v14, v31
	v_cvt_f32_i32_e32 v15, v15
	v_mfma_f32_16x16x16_bf16 v[6:9], v[8:9], v[20:21], v[26:29]
	v_pk_mul_f32 v[34:35], s[10:11], v[16:17] op_sel_hi:[0,1]
	v_fma_f32 v48, v57, v14, v48
	v_add_u32_e32 v14, 32, v60
	v_fmac_f32_e32 v49, v57, v15
	v_cvt_f32_i32_e32 v14, v14
	v_add_u32_e32 v15, 33, v60
	v_add_u32_e32 v16, 34, v60
	v_cvt_f32_i32_e32 v15, v15
	v_cvt_f32_i32_e32 v16, v16
	v_add_u32_e32 v17, 35, v60
	v_cvt_f32_i32_e32 v17, v17
	v_pk_mul_f32 v[40:41], s[10:11], v[6:7] op_sel_hi:[0,1]
	v_pk_mul_f32 v[38:39], s[10:11], v[8:9] op_sel_hi:[0,1]
	v_fma_f32 v40, v57, v14, v40
	v_add_u32_e32 v14, 48, v60
	v_fmac_f32_e32 v41, v57, v15
	v_fma_f32 v38, v57, v16, v38
	v_cvt_f32_i32_e32 v14, v14
	v_add_u32_e32 v15, 49, v60
	v_add_u32_e32 v16, 50, v60
	v_fmac_f32_e32 v39, v57, v17
	v_cvt_f32_i32_e32 v15, v15
	v_cvt_f32_i32_e32 v16, v16
	v_add_u32_e32 v17, 51, v60
	v_cvt_f32_i32_e32 v17, v17
	v_pk_mul_f32 v[52:53], s[10:11], v[12:13] op_sel_hi:[0,1]
	v_pk_mul_f32 v[10:11], s[10:11], v[10:11] op_sel_hi:[0,1]
	s_waitcnt vmcnt(3)
	v_mad_i64_i32 v[2:3], s[4:5], v71, s45, 0
	s_waitcnt vmcnt(2)
	v_mad_i64_i32 v[12:13], s[4:5], v72, s45, 0
	v_fma_f32 v10, v57, v61, v10
	v_fmac_f32_e32 v11, v57, v23
	v_fma_f32 v36, v57, v14, v36
	v_mov_b32_e32 v14, 0xff7fffff
	v_cmp_gt_i32_e64 s[4:5], s29, v58
	v_add_u32_e32 v19, 16, v60
	v_add_u32_e32 v30, 17, v60
	v_fmac_f32_e32 v37, v57, v15
	v_fma_f32 v34, v57, v16, v34
	v_cndmask_b32_e64 v15, v14, v10, s[4:5]
	v_cndmask_b32_e64 v16, v14, v11, s[34:35]
	v_cvt_f32_i32_e32 v19, v19
	v_cvt_f32_i32_e32 v25, v30
	v_fmac_f32_e32 v35, v57, v17
	v_max3_f32 v15, v15, s33, v16
	v_or_b32_e32 v16, 2, v58
	v_or_b32_e32 v17, 3, v58
	v_fma_f32 v52, v57, v24, v52
	v_fmac_f32_e32 v53, v57, v18
	v_cmp_gt_i32_e64 s[36:37], s29, v16
	v_cmp_gt_i32_e64 s[38:39], s29, v17
	v_fma_f32 v50, v57, v19, v50
	v_cndmask_b32_e64 v16, v14, v52, s[36:37]
	v_cndmask_b32_e64 v17, v14, v53, s[38:39]
	v_max3_f32 v15, v15, v16, v17
	v_or_b32_e32 v16, 16, v58
	v_or_b32_e32 v17, 17, v58
	v_fmac_f32_e32 v51, v57, v25
	v_cmp_gt_i32_e64 s[24:25], s29, v16
	v_cmp_gt_i32_e64 s[26:27], s29, v17
	v_lshl_add_u64 v[2:3], v[2:3], 1, v[46:47]
	v_cndmask_b32_e64 v16, v14, v50, s[24:25]
	v_cndmask_b32_e64 v17, v14, v51, s[26:27]
	v_max3_f32 v15, v15, v16, v17
	v_or_b32_e32 v16, 18, v58
	v_or_b32_e32 v17, 19, v58
	v_cmp_gt_i32_e64 s[20:21], s29, v16
	v_cmp_gt_i32_e64 s[22:23], s29, v17
	v_lshl_add_u64 v[12:13], v[12:13], 1, v[46:47]
	v_cndmask_b32_e64 v16, v14, v48, s[20:21]
	v_cndmask_b32_e64 v17, v14, v49, s[22:23]
	v_max3_f32 v15, v15, v16, v17
	v_or_b32_e32 v16, 32, v58
	v_or_b32_e32 v17, 33, v58
	v_cmp_gt_i32_e64 s[16:17], s29, v16
	v_cmp_gt_i32_e64 s[18:19], s29, v17
	global_load_dwordx4 v[6:9], v[2:3], off
	s_nop 0
	global_load_dwordx4 v[2:5], v[2:3], off offset:16
	v_cndmask_b32_e64 v16, v14, v40, s[16:17]
	v_cndmask_b32_e64 v17, v14, v41, s[18:19]
	v_max3_f32 v15, v15, v16, v17
	v_or_b32_e32 v16, 34, v58
	v_or_b32_e32 v17, 35, v58
	v_cmp_gt_i32_e64 s[12:13], s29, v16
	v_cmp_gt_i32_e64 s[14:15], s29, v17
	global_load_dwordx4 v[30:33], v[12:13], off
	global_load_dwordx4 v[26:29], v[12:13], off offset:16
	v_cndmask_b32_e64 v16, v14, v38, s[12:13]
	v_cndmask_b32_e64 v17, v14, v39, s[14:15]
	v_max3_f32 v15, v15, v16, v17
	v_or_b32_e32 v16, 48, v58
	v_or_b32_e32 v17, 49, v58
	v_cmp_gt_i32_e64 s[8:9], s29, v16
	v_cmp_gt_i32_e64 s[10:11], s29, v17
	s_nop 0
	v_cndmask_b32_e64 v16, v14, v36, s[8:9]
	v_cndmask_b32_e64 v17, v14, v37, s[10:11]
	v_max3_f32 v15, v15, v16, v17
	v_or_b32_e32 v16, 50, v58
	v_or_b32_e32 v17, 51, v58
	v_cmp_gt_i32_e32 vcc, s29, v16
	v_cmp_gt_i32_e64 s[6:7], s29, v17
	s_nop 0
	v_cndmask_b32_e32 v16, v14, v34, vcc
	v_cndmask_b32_e64 v14, v14, v35, s[6:7]
	v_max3_f32 v14, v15, v16, v14
	v_mbcnt_lo_u32_b32 v15, -1, 0
	v_mbcnt_hi_u32_b32 v15, -1, v15
	v_and_b32_e32 v16, 64, v15
	v_add_u32_e32 v16, 64, v16
	v_xor_b32_e32 v17, 32, v15
	v_cmp_lt_i32_e64 s[40:41], v17, v16
	s_nop 1
	v_cndmask_b32_e64 v17, v15, v17, s[40:41]
	v_lshlrev_b32_e32 v58, 2, v17
	ds_bpermute_b32 v17, v58, v14
	s_waitcnt vmcnt(5)
	v_mad_i64_i32 v[12:13], s[40:41], v22, s45, 0
	v_lshl_add_u64 v[12:13], v[12:13], 1, v[46:47]
	global_load_dwordx4 v[22:25], v[12:13], off
	global_load_dwordx4 v[18:21], v[12:13], off offset:16
	s_waitcnt lgkmcnt(0)
	v_max_f32_e32 v17, v17, v17
	v_max_f32_e32 v14, v14, v17
	v_xor_b32_e32 v17, 16, v15
	v_cmp_lt_i32_e64 s[40:41], v17, v16
	s_nop 1
	v_cndmask_b32_e64 v15, v15, v17, s[40:41]
	v_lshlrev_b32_e32 v60, 2, v15
	ds_bpermute_b32 v15, v60, v14
	s_waitcnt vmcnt(6)
	v_mad_i64_i32 v[12:13], s[40:41], v62, s45, 0
	v_lshl_add_u64 v[12:13], v[12:13], 1, v[46:47]
	s_waitcnt lgkmcnt(0)
	v_max_f32_e32 v15, v15, v15
	v_max_f32_e32 v57, v14, v15
	v_sub_f32_e32 v10, v10, v57
	v_mul_f32_e32 v10, 0x3fb8aa3b, v10
	v_exp_f32_e32 v46, v10
	v_sub_f32_e32 v10, v11, v57
	v_mul_f32_e32 v10, 0x3fb8aa3b, v10
	v_exp_f32_e32 v47, v10
	global_load_dwordx4 v[14:17], v[12:13], off
	s_nop 0
	global_load_dwordx4 v[10:13], v[12:13], off offset:16
	v_sub_f32_e32 v52, v52, v57
	v_mul_f32_e32 v52, 0x3fb8aa3b, v52
	v_sub_f32_e32 v53, v53, v57
	v_exp_f32_e32 v52, v52
	v_mul_f32_e32 v53, 0x3fb8aa3b, v53
	v_sub_f32_e32 v50, v50, v57
	v_exp_f32_e32 v53, v53
	v_mul_f32_e32 v50, 0x3fb8aa3b, v50
	v_sub_f32_e32 v51, v51, v57
	v_cndmask_b32_e64 v46, 0, v46, s[4:5]
	v_exp_f32_e32 v50, v50
	v_mul_f32_e32 v51, 0x3fb8aa3b, v51
	v_sub_f32_e32 v48, v48, v57
	v_add_f32_e32 v59, 0, v46
	v_cndmask_b32_e64 v47, 0, v47, s[34:35]
	v_exp_f32_e32 v51, v51
	v_mul_f32_e32 v48, 0x3fb8aa3b, v48
	v_sub_f32_e32 v49, v49, v57
	v_add_f32_e32 v59, v59, v47
	;; [unrolled: 5-line block ×10, first 2 shown]
	v_cndmask_b32_e64 v38, 0, v38, s[12:13]
	v_exp_f32_e32 v34, v34
	v_mul_f32_e32 v35, 0x3fb8aa3b, v35
	v_add_f32_e32 v59, v59, v38
	v_cndmask_b32_e64 v39, 0, v39, s[14:15]
	v_exp_f32_e32 v35, v35
	v_add_f32_e32 v59, v59, v39
	v_cndmask_b32_e64 v36, 0, v36, s[8:9]
	v_add_f32_e32 v59, v59, v36
	v_cndmask_b32_e64 v37, 0, v37, s[10:11]
	v_add_f32_e32 v59, v59, v37
	v_cndmask_b32_e32 v34, 0, v34, vcc
	v_add_f32_e32 v59, v59, v34
	v_cndmask_b32_e64 v35, 0, v35, s[6:7]
	v_add_f32_e32 v59, v59, v35
	ds_bpermute_b32 v58, v58, v59
	s_load_dword s7, s[0:1], 0x98
	v_cmp_gt_u32_e32 vcc, 16, v56
	s_waitcnt lgkmcnt(0)
	s_barrier
	v_add_f32_e32 v59, v59, v58
	ds_bpermute_b32 v60, v60, v59
	v_lshlrev_b32_e32 v58, 2, v44
	s_waitcnt lgkmcnt(0)
	s_and_saveexec_b64 s[4:5], vcc
	s_cbranch_execz .LBB410_15
; %bb.14:
	v_add_f32_e32 v56, v59, v60
	v_lshl_or_b32 v59, v45, 6, v58
	ds_write2st64_b32 v59, v57, v56 offset1:1
.LBB410_15:
	s_or_b64 exec, exec, s[4:5]
	s_load_dword s6, s[0:1], 0x94
	s_waitcnt lgkmcnt(0)
	s_barrier
	ds_read2_b32 v[60:61], v58 offset1:16
	ds_read2_b32 v[62:63], v58 offset0:32 offset1:48
	ds_read2_b32 v[64:65], v58 offset0:64 offset1:80
	;; [unrolled: 1-line block ×3, first 2 shown]
	s_movk_i32 s8, 0x7fff
	s_waitcnt lgkmcnt(3)
	v_max3_f32 v56, v60, s33, v61
	s_waitcnt lgkmcnt(2)
	v_max3_f32 v56, v56, v62, v63
	v_sub_f32_e32 v57, v60, v56
	v_mul_f32_e32 v57, 0x3fb8aa3b, v57
	v_exp_f32_e32 v60, v57
	v_sub_f32_e32 v57, v61, v56
	v_mul_f32_e32 v57, 0x3fb8aa3b, v57
	v_exp_f32_e32 v61, v57
	;; [unrolled: 3-line block ×4, first 2 shown]
	s_waitcnt lgkmcnt(1)
	v_fma_f32 v57, v60, v64, 0
	v_fmac_f32_e32 v57, v61, v65
	s_waitcnt lgkmcnt(0)
	v_fmac_f32_e32 v57, v62, v58
	v_fmac_f32_e32 v57, v63, v59
	v_add_f32_e32 v58, 0x358637bd, v57
	v_div_scale_f32 v59, s[4:5], v58, v58, 1.0
	v_rcp_f32_e32 v64, v59
	s_mov_b32 s9, 0x7060302
	s_mul_i32 s7, s7, 3
	v_fma_f32 v65, -v59, v64, 1.0
	v_fmac_f32_e32 v64, v65, v64
	v_div_scale_f32 v65, vcc, 1.0, v58, 1.0
	v_mul_f32_e32 v66, v65, v64
	v_fma_f32 v67, -v59, v66, v65
	v_fmac_f32_e32 v66, v67, v64
	v_fma_f32 v59, -v59, v66, v65
	v_div_fmas_f32 v59, v59, v64, v66
	v_cmp_eq_u32_e32 vcc, 1, v45
	v_div_fixup_f32 v58, v59, v58, 1.0
	s_barrier
	v_cndmask_b32_e32 v59, v60, v61, vcc
	v_cmp_eq_u32_e32 vcc, 2, v45
	s_nop 1
	v_cndmask_b32_e32 v59, v59, v62, vcc
	v_cmp_eq_u32_e32 vcc, 3, v45
	v_lshlrev_b32_e32 v45, 11, v45
	s_nop 0
	v_cndmask_b32_e32 v59, v59, v63, vcc
	v_mul_f32_e32 v58, v59, v58
	v_pk_mul_f32 v[46:47], v[58:59], v[46:47] op_sel_hi:[0,1]
	v_pk_mul_f32 v[52:53], v[58:59], v[52:53] op_sel_hi:[0,1]
	v_bfe_u32 v59, v47, 16, 1
	v_bfe_u32 v60, v46, 16, 1
	v_add3_u32 v46, v46, v60, s8
	v_add3_u32 v47, v47, v59, s8
	v_perm_b32 v60, v47, v46, s9
	v_bfe_u32 v46, v53, 16, 1
	v_bfe_u32 v47, v52, 16, 1
	v_add3_u32 v47, v52, v47, s8
	v_add3_u32 v46, v53, v46, s8
	v_perm_b32 v61, v46, v47, s9
	v_lshlrev_b32_e32 v46, 3, v54
	v_pk_mul_f32 v[50:51], v[58:59], v[50:51] op_sel_hi:[0,1]
	v_or3_b32 v46, v45, v43, v46
	v_bfe_u32 v45, v51, 16, 1
	v_bfe_u32 v47, v50, 16, 1
	v_pk_mul_f32 v[48:49], v[58:59], v[48:49] op_sel_hi:[0,1]
	v_add3_u32 v47, v50, v47, s8
	v_add3_u32 v45, v51, v45, s8
	v_perm_b32 v50, v45, v47, s9
	v_bfe_u32 v45, v49, 16, 1
	v_bfe_u32 v47, v48, 16, 1
	v_add3_u32 v47, v48, v47, s8
	v_add3_u32 v45, v49, v45, s8
	v_pk_mul_f32 v[40:41], v[58:59], v[40:41] op_sel_hi:[0,1]
	v_perm_b32 v51, v45, v47, s9
	v_bfe_u32 v45, v41, 16, 1
	v_bfe_u32 v47, v40, 16, 1
	v_pk_mul_f32 v[38:39], v[58:59], v[38:39] op_sel_hi:[0,1]
	v_add3_u32 v40, v40, v47, s8
	v_add3_u32 v41, v41, v45, s8
	v_perm_b32 v40, v41, v40, s9
	v_bfe_u32 v41, v39, 16, 1
	v_bfe_u32 v45, v38, 16, 1
	v_add3_u32 v38, v38, v45, s8
	v_add3_u32 v39, v39, v41, s8
	v_pk_mul_f32 v[36:37], v[58:59], v[36:37] op_sel_hi:[0,1]
	v_perm_b32 v41, v39, v38, s9
	v_bfe_u32 v38, v37, 16, 1
	v_bfe_u32 v39, v36, 16, 1
	v_pk_mul_f32 v[34:35], v[58:59], v[34:35] op_sel_hi:[0,1]
	v_add3_u32 v36, v36, v39, s8
	v_add3_u32 v37, v37, v38, s8
	v_perm_b32 v36, v37, v36, s9
	v_bfe_u32 v37, v35, 16, 1
	v_bfe_u32 v38, v34, 16, 1
	v_add3_u32 v34, v34, v38, s8
	v_add3_u32 v35, v35, v37, s8
	v_perm_b32 v37, v35, v34, s9
	v_cmp_gt_u32_e32 vcc, 3, v0
	ds_write2st64_b64 v46, v[60:61], v[50:51] offset1:1
	ds_write2st64_b64 v46, v[40:41], v[36:37] offset0:2 offset1:3
	s_and_saveexec_b64 s[4:5], vcc
	s_cbranch_execz .LBB410_17
; %bb.16:
	s_mov_b32 s43, 0
	v_mov_b32_e32 v45, 0
	v_lshl_add_u64 v[34:35], s[42:43], 0, v[44:45]
	v_mov_b32_e32 v36, s7
	v_mad_u64_u32 v[34:35], s[10:11], s2, v36, v[34:35]
	s_mul_i32 s3, s3, s7
	v_mov_b32_e32 v44, s28
	s_load_dwordx4 s[12:15], s[0:1], 0x58
	v_add_u32_e32 v37, s3, v35
	v_mad_u64_u32 v[34:35], s[10:11], v34, s6, v[44:45]
	v_mov_b32_e32 v36, v35
	v_mad_u64_u32 v[36:37], s[10:11], v37, s6, v[36:37]
	v_mov_b32_e32 v35, v36
	v_lshlrev_b64 v[34:35], 2, v[34:35]
	s_waitcnt lgkmcnt(0)
	v_lshl_add_u64 v[36:37], s[14:15], 0, v[34:35]
	v_lshl_add_u64 v[34:35], s[12:13], 0, v[34:35]
	global_store_dword v[36:37], v56, off
	global_store_dword v[34:35], v57, off
.LBB410_17:
	s_or_b64 exec, exec, s[4:5]
	v_lshl_or_b32 v43, v54, 9, v43
	s_waitcnt lgkmcnt(0)
	s_barrier
	ds_read_b128 v[34:37], v43
	ds_read_b128 v[38:41], v43 offset:16
	s_waitcnt vmcnt(7) lgkmcnt(1)
	v_mfma_f32_16x16x16_bf16 v[48:51], v[6:7], v[34:35], 0
	v_cmp_gt_u32_e32 vcc, 64, v0
	v_cmp_ne_u32_e64 s[4:5], 3, v54
	s_and_b64 s[4:5], s[4:5], vcc
	v_mfma_f32_16x16x16_bf16 v[6:9], v[8:9], v[36:37], v[48:51]
	s_mov_b32 s3, 0
	s_and_b64 s[4:5], s[4:5], s[30:31]
	s_waitcnt vmcnt(6) lgkmcnt(0)
	v_mfma_f32_16x16x16_bf16 v[6:9], v[2:3], v[38:39], v[6:9]
	v_mfma_f32_16x16x16_bf16 v[2:5], v[4:5], v[40:41], v[6:9]
	s_nop 5
	ds_read_b128 v[6:9], v43 offset:2048
	ds_read_b128 v[34:37], v43 offset:2064
	s_waitcnt vmcnt(5) lgkmcnt(1)
	v_mfma_f32_16x16x16_bf16 v[2:5], v[30:31], v[6:7], v[2:5]
	v_mfma_f32_16x16x16_bf16 v[2:5], v[32:33], v[8:9], v[2:5]
	s_waitcnt vmcnt(4) lgkmcnt(0)
	v_mfma_f32_16x16x16_bf16 v[2:5], v[26:27], v[34:35], v[2:5]
	v_mfma_f32_16x16x16_bf16 v[2:5], v[28:29], v[36:37], v[2:5]
	ds_read_b128 v[6:9], v43 offset:4096
	ds_read_b128 v[26:29], v43 offset:4112
	s_waitcnt vmcnt(3) lgkmcnt(1)
	v_mfma_f32_16x16x16_bf16 v[2:5], v[22:23], v[6:7], v[2:5]
	v_mfma_f32_16x16x16_bf16 v[2:5], v[24:25], v[8:9], v[2:5]
	s_waitcnt vmcnt(2) lgkmcnt(0)
	v_mfma_f32_16x16x16_bf16 v[2:5], v[18:19], v[26:27], v[2:5]
	v_mfma_f32_16x16x16_bf16 v[2:5], v[20:21], v[28:29], v[2:5]
	ds_read_b128 v[6:9], v43 offset:6144
	ds_read_b128 v[18:21], v43 offset:6160
	v_mov_b32_e32 v43, 0
	s_waitcnt vmcnt(1) lgkmcnt(0)
	v_mfma_f32_16x16x16_bf16 v[2:5], v[14:15], v[6:7], v[2:5]
	s_barrier
	v_mfma_f32_16x16x16_bf16 v[2:5], v[16:17], v[8:9], v[2:5]
	s_waitcnt vmcnt(0)
	v_mfma_f32_16x16x16_bf16 v[2:5], v[10:11], v[18:19], v[2:5]
	v_mfma_f32_16x16x16_bf16 v[2:5], v[12:13], v[20:21], v[2:5]
	s_nop 6
	v_bfe_u32 v6, v3, 16, 1
	v_bfe_u32 v7, v2, 16, 1
	;; [unrolled: 1-line block ×4, first 2 shown]
	v_add3_u32 v2, v2, v7, s8
	v_add3_u32 v3, v3, v6, s8
	;; [unrolled: 1-line block ×4, first 2 shown]
	v_perm_b32 v2, v3, v2, s9
	v_perm_b32 v3, v5, v4, s9
	ds_write_b64 v46, v[2:3]
	s_waitcnt lgkmcnt(0)
	s_barrier
	s_and_saveexec_b64 s[8:9], s[4:5]
	s_cbranch_execz .LBB410_19
; %bb.18:
	s_load_dwordx2 s[0:1], s[0:1], 0x68
	s_mul_i32 s2, s7, s2
	s_lshl_b32 s6, s6, 6
	s_mul_hi_u32 s5, s2, s6
	s_mul_i32 s4, s2, s6
	v_lshlrev_b32_e32 v0, 10, v0
	s_lshl_b64 s[4:5], s[4:5], 1
	v_and_b32_e32 v0, 0x1800, v0
	v_lshlrev_b32_e32 v2, 5, v54
	v_and_b32_e32 v3, 16, v55
	s_waitcnt lgkmcnt(0)
	s_add_u32 s4, s0, s4
	v_or3_b32 v0, v0, v2, v3
	s_addc_u32 s5, s1, s5
	s_lshl_b32 s2, s28, 6
	ds_read_b128 v[2:5], v0
	s_lshl_b64 s[0:1], s[2:3], 1
	s_add_u32 s0, s4, s0
	s_addc_u32 s1, s5, s1
	v_mad_u64_u32 v[0:1], s[2:3], s6, v1, 0
	v_lshl_add_u64 v[0:1], v[0:1], 1, s[0:1]
	v_lshl_add_u64 v[0:1], v[0:1], 0, v[42:43]
	s_waitcnt lgkmcnt(0)
	global_store_dwordx4 v[0:1], v[2:5], off
.LBB410_19:
	s_endpgm
	.section	.rodata,"a",@progbits
	.p2align	6, 0x0
	.amdhsa_kernel _Z39paged_attention_ll4mi_QKV_mfma16_kernelI14__hip_bfloat16S0_LN4vllm18Fp8KVCacheDataTypeE0EhLi16ELi64ELi256ELb1ELi3EEvPKT_PKT0_S8_ifPKiSA_SA_iPKfiiiPfSD_PS3_PT2_iSC_SC_
		.amdhsa_group_segment_fixed_size 8192
		.amdhsa_private_segment_fixed_size 0
		.amdhsa_kernarg_size 400
		.amdhsa_user_sgpr_count 2
		.amdhsa_user_sgpr_dispatch_ptr 0
		.amdhsa_user_sgpr_queue_ptr 0
		.amdhsa_user_sgpr_kernarg_segment_ptr 1
		.amdhsa_user_sgpr_dispatch_id 0
		.amdhsa_user_sgpr_kernarg_preload_length 0
		.amdhsa_user_sgpr_kernarg_preload_offset 0
		.amdhsa_user_sgpr_private_segment_size 0
		.amdhsa_uses_dynamic_stack 0
		.amdhsa_enable_private_segment 0
		.amdhsa_system_sgpr_workgroup_id_x 1
		.amdhsa_system_sgpr_workgroup_id_y 1
		.amdhsa_system_sgpr_workgroup_id_z 1
		.amdhsa_system_sgpr_workgroup_info 0
		.amdhsa_system_vgpr_workitem_id 0
		.amdhsa_next_free_vgpr 73
		.amdhsa_next_free_sgpr 48
		.amdhsa_accum_offset 76
		.amdhsa_reserve_vcc 1
		.amdhsa_float_round_mode_32 0
		.amdhsa_float_round_mode_16_64 0
		.amdhsa_float_denorm_mode_32 3
		.amdhsa_float_denorm_mode_16_64 3
		.amdhsa_dx10_clamp 1
		.amdhsa_ieee_mode 1
		.amdhsa_fp16_overflow 0
		.amdhsa_tg_split 0
		.amdhsa_exception_fp_ieee_invalid_op 0
		.amdhsa_exception_fp_denorm_src 0
		.amdhsa_exception_fp_ieee_div_zero 0
		.amdhsa_exception_fp_ieee_overflow 0
		.amdhsa_exception_fp_ieee_underflow 0
		.amdhsa_exception_fp_ieee_inexact 0
		.amdhsa_exception_int_div_zero 0
	.end_amdhsa_kernel
	.section	.text._Z39paged_attention_ll4mi_QKV_mfma16_kernelI14__hip_bfloat16S0_LN4vllm18Fp8KVCacheDataTypeE0EhLi16ELi64ELi256ELb1ELi3EEvPKT_PKT0_S8_ifPKiSA_SA_iPKfiiiPfSD_PS3_PT2_iSC_SC_,"axG",@progbits,_Z39paged_attention_ll4mi_QKV_mfma16_kernelI14__hip_bfloat16S0_LN4vllm18Fp8KVCacheDataTypeE0EhLi16ELi64ELi256ELb1ELi3EEvPKT_PKT0_S8_ifPKiSA_SA_iPKfiiiPfSD_PS3_PT2_iSC_SC_,comdat
.Lfunc_end410:
	.size	_Z39paged_attention_ll4mi_QKV_mfma16_kernelI14__hip_bfloat16S0_LN4vllm18Fp8KVCacheDataTypeE0EhLi16ELi64ELi256ELb1ELi3EEvPKT_PKT0_S8_ifPKiSA_SA_iPKfiiiPfSD_PS3_PT2_iSC_SC_, .Lfunc_end410-_Z39paged_attention_ll4mi_QKV_mfma16_kernelI14__hip_bfloat16S0_LN4vllm18Fp8KVCacheDataTypeE0EhLi16ELi64ELi256ELb1ELi3EEvPKT_PKT0_S8_ifPKiSA_SA_iPKfiiiPfSD_PS3_PT2_iSC_SC_
                                        ; -- End function
	.section	.AMDGPU.csdata,"",@progbits
; Kernel info:
; codeLenInByte = 4268
; NumSgprs: 54
; NumVgprs: 73
; NumAgprs: 0
; TotalNumVgprs: 73
; ScratchSize: 0
; MemoryBound: 0
; FloatMode: 240
; IeeeMode: 1
; LDSByteSize: 8192 bytes/workgroup (compile time only)
; SGPRBlocks: 6
; VGPRBlocks: 9
; NumSGPRsForWavesPerEU: 54
; NumVGPRsForWavesPerEU: 73
; AccumOffset: 76
; Occupancy: 6
; WaveLimiterHint : 1
; COMPUTE_PGM_RSRC2:SCRATCH_EN: 0
; COMPUTE_PGM_RSRC2:USER_SGPR: 2
; COMPUTE_PGM_RSRC2:TRAP_HANDLER: 0
; COMPUTE_PGM_RSRC2:TGID_X_EN: 1
; COMPUTE_PGM_RSRC2:TGID_Y_EN: 1
; COMPUTE_PGM_RSRC2:TGID_Z_EN: 1
; COMPUTE_PGM_RSRC2:TIDIG_COMP_CNT: 0
; COMPUTE_PGM_RSRC3_GFX90A:ACCUM_OFFSET: 18
; COMPUTE_PGM_RSRC3_GFX90A:TG_SPLIT: 0
	.section	.text._Z39paged_attention_ll4mi_QKV_mfma16_kernelI14__hip_bfloat16S0_LN4vllm18Fp8KVCacheDataTypeE0EhLi16ELi64ELi256ELb1ELi4EEvPKT_PKT0_S8_ifPKiSA_SA_iPKfiiiPfSD_PS3_PT2_iSC_SC_,"axG",@progbits,_Z39paged_attention_ll4mi_QKV_mfma16_kernelI14__hip_bfloat16S0_LN4vllm18Fp8KVCacheDataTypeE0EhLi16ELi64ELi256ELb1ELi4EEvPKT_PKT0_S8_ifPKiSA_SA_iPKfiiiPfSD_PS3_PT2_iSC_SC_,comdat
	.protected	_Z39paged_attention_ll4mi_QKV_mfma16_kernelI14__hip_bfloat16S0_LN4vllm18Fp8KVCacheDataTypeE0EhLi16ELi64ELi256ELb1ELi4EEvPKT_PKT0_S8_ifPKiSA_SA_iPKfiiiPfSD_PS3_PT2_iSC_SC_ ; -- Begin function _Z39paged_attention_ll4mi_QKV_mfma16_kernelI14__hip_bfloat16S0_LN4vllm18Fp8KVCacheDataTypeE0EhLi16ELi64ELi256ELb1ELi4EEvPKT_PKT0_S8_ifPKiSA_SA_iPKfiiiPfSD_PS3_PT2_iSC_SC_
	.globl	_Z39paged_attention_ll4mi_QKV_mfma16_kernelI14__hip_bfloat16S0_LN4vllm18Fp8KVCacheDataTypeE0EhLi16ELi64ELi256ELb1ELi4EEvPKT_PKT0_S8_ifPKiSA_SA_iPKfiiiPfSD_PS3_PT2_iSC_SC_
	.p2align	8
	.type	_Z39paged_attention_ll4mi_QKV_mfma16_kernelI14__hip_bfloat16S0_LN4vllm18Fp8KVCacheDataTypeE0EhLi16ELi64ELi256ELb1ELi4EEvPKT_PKT0_S8_ifPKiSA_SA_iPKfiiiPfSD_PS3_PT2_iSC_SC_,@function
_Z39paged_attention_ll4mi_QKV_mfma16_kernelI14__hip_bfloat16S0_LN4vllm18Fp8KVCacheDataTypeE0EhLi16ELi64ELi256ELb1ELi4EEvPKT_PKT0_S8_ifPKiSA_SA_iPKfiiiPfSD_PS3_PT2_iSC_SC_: ; @_Z39paged_attention_ll4mi_QKV_mfma16_kernelI14__hip_bfloat16S0_LN4vllm18Fp8KVCacheDataTypeE0EhLi16ELi64ELi256ELb1ELi4EEvPKT_PKT0_S8_ifPKiSA_SA_iPKfiiiPfSD_PS3_PT2_iSC_SC_
; %bb.0:
	s_load_dwordx2 s[6:7], s[0:1], 0x30
	s_mov_b32 s26, s3
	s_mov_b64 s[8:9], 0
	s_waitcnt lgkmcnt(0)
	s_cmp_lg_u64 s[6:7], 0
	s_cselect_b64 s[10:11], -1, 0
	s_and_b64 vcc, exec, s[10:11]
	s_cbranch_vccz .LBB411_7
; %bb.1:
	s_add_i32 s12, s2, 1
	s_mov_b32 s13, 0
	s_lshl_b64 s[14:15], s[12:13], 2
	s_add_u32 s14, s6, s14
	s_mov_b32 s3, s13
	s_addc_u32 s15, s7, s15
	s_lshl_b64 s[12:13], s[2:3], 2
	s_add_u32 s12, s6, s12
	s_addc_u32 s13, s7, s13
	s_load_dword s5, s[14:15], 0x0
	s_load_dword s16, s[12:13], 0x0
	s_waitcnt lgkmcnt(0)
	s_sub_i32 s5, s5, s16
	s_cmp_eq_u32 s5, 1
	s_cselect_b64 s[12:13], -1, 0
	s_andn2_b64 vcc, exec, s[8:9]
	s_cbranch_vccnz .LBB411_3
.LBB411_2:
	s_mov_b32 s3, 0
	s_mov_b64 s[12:13], -1
.LBB411_3:
	s_andn2_b64 vcc, exec, s[12:13]
	s_cbranch_vccnz .LBB411_19
; %bb.4:
	s_load_dwordx2 s[8:9], s[0:1], 0x28
	s_lshl_b64 s[12:13], s[2:3], 2
	s_waitcnt lgkmcnt(0)
	s_add_u32 s8, s8, s12
	s_addc_u32 s9, s9, s13
	s_load_dword s33, s[8:9], 0x0
	s_lshl_b32 s16, s26, 8
	s_waitcnt lgkmcnt(0)
	s_cmp_ge_i32 s16, s33
	s_cbranch_scc1 .LBB411_19
; %bb.5:
	s_load_dwordx2 s[8:9], s[0:1], 0x20
	s_load_dword s5, s[0:1], 0x38
	s_add_i32 s14, s33, 15
	s_ashr_i32 s15, s14, 31
	v_and_b32_e32 v1, 0xcf, v0
	s_lshr_b32 s15, s15, 28
	v_add_u32_e32 v1, s16, v1
	s_add_i32 s14, s14, s15
	v_ashrrev_i32_e32 v2, 31, v1
	s_ashr_i32 s17, s14, 4
	v_lshrrev_b32_e32 v6, 28, v2
	s_add_i32 s17, s17, -1
	s_waitcnt lgkmcnt(0)
	s_mul_i32 s14, s2, s5
	s_mov_b32 s15, 0
	v_add_u32_e32 v2, v1, v6
	s_lshl_b64 s[14:15], s[14:15], 2
	v_ashrrev_i32_e32 v2, 4, v2
	v_mov_b32_e32 v7, s17
	v_cmp_gt_i32_e32 vcc, s33, v1
	s_add_u32 s8, s8, s14
	s_addc_u32 s9, s9, s15
	v_cndmask_b32_e32 v2, v7, v2, vcc
	v_ashrrev_i32_e32 v3, 31, v2
	v_lshl_add_u64 v[4:5], v[2:3], 2, s[8:9]
	v_or_b32_e32 v2, 16, v1
	v_add_u32_e32 v3, v2, v6
	v_ashrrev_i32_e32 v3, 4, v3
	v_cmp_gt_i32_e32 vcc, s33, v2
	s_load_dwordx2 s[14:15], s[0:1], 0x8
	s_nop 0
	v_cndmask_b32_e32 v2, v7, v3, vcc
	v_ashrrev_i32_e32 v3, 31, v2
	v_lshl_add_u64 v[8:9], v[2:3], 2, s[8:9]
	v_or_b32_e32 v2, 32, v1
	v_add_u32_e32 v3, v2, v6
	v_ashrrev_i32_e32 v3, 4, v3
	v_cmp_gt_i32_e32 vcc, s33, v2
	v_or_b32_e32 v1, 48, v1
	s_nop 0
	v_cndmask_b32_e32 v2, v7, v3, vcc
	v_ashrrev_i32_e32 v3, 31, v2
	v_lshl_add_u64 v[10:11], v[2:3], 2, s[8:9]
	v_add_u32_e32 v2, v1, v6
	v_ashrrev_i32_e32 v2, 4, v2
	v_cmp_gt_i32_e32 vcc, s33, v1
	s_nop 1
	v_cndmask_b32_e32 v2, v7, v2, vcc
	v_ashrrev_i32_e32 v3, 31, v2
	v_lshl_add_u64 v[12:13], v[2:3], 2, s[8:9]
	global_load_dword v3, v[4:5], off
	global_load_dword v2, v[8:9], off
	;; [unrolled: 1-line block ×4, first 2 shown]
	s_andn2_b64 vcc, exec, s[10:11]
	s_cbranch_vccnz .LBB411_8
; %bb.6:
	s_add_u32 s6, s6, s12
	s_addc_u32 s7, s7, s13
	s_load_dword s5, s[6:7], 0x0
	s_branch .LBB411_9
.LBB411_7:
	s_mov_b64 s[12:13], 0
	s_branch .LBB411_2
.LBB411_8:
	s_mov_b32 s5, s2
.LBB411_9:
	s_load_dwordx2 s[10:11], s[0:1], 0x10
	s_load_dwordx4 s[40:43], s[0:1], 0x48
	v_and_b32_e32 v56, 15, v0
	v_bfe_u32 v54, v0, 4, 2
	s_lshl_b32 s27, s4, 2
	v_lshlrev_b32_e32 v4, 3, v56
	v_cmp_gt_u32_e32 vcc, 64, v0
	v_cmp_gt_u32_e64 s[6:7], 8, v56
	v_lshrrev_b32_e32 v55, 6, v0
	v_or_b32_e32 v1, s27, v54
	v_and_b32_e32 v18, 3, v0
	s_and_b64 s[44:45], vcc, s[6:7]
	v_lshlrev_b32_e32 v42, 1, v4
	v_lshlrev_b32_e32 v52, 5, v54
	s_and_saveexec_b64 s[6:7], s[44:45]
	s_cbranch_execz .LBB411_11
; %bb.10:
	s_load_dwordx2 s[12:13], s[0:1], 0x0
	s_waitcnt lgkmcnt(0)
	s_ashr_i32 s18, s40, 31
	s_mul_hi_u32 s19, s5, s40
	s_mul_i32 s18, s5, s18
	s_add_i32 s19, s19, s18
	s_mul_i32 s18, s5, s40
	s_lshl_b64 s[18:19], s[18:19], 1
	s_add_u32 s12, s12, s18
	v_lshlrev_b32_e32 v4, 6, v1
	s_addc_u32 s13, s13, s19
	v_ashrrev_i32_e32 v5, 31, v4
	v_lshl_add_u64 v[4:5], v[4:5], 1, s[12:13]
	v_mov_b32_e32 v43, 0
	v_lshl_add_u64 v[4:5], v[4:5], 0, v[42:43]
	global_load_dwordx4 v[8:11], v[4:5], off
	v_lshlrev_b32_e32 v7, 9, v56
	v_lshl_or_b32 v4, v55, 7, v52
	v_lshlrev_b32_e32 v5, 9, v18
	v_and_b32_e32 v7, 0x1800, v7
	v_or3_b32 v4, v7, v5, v4
	s_waitcnt vmcnt(0)
	ds_write_b128 v4, v[8:11]
.LBB411_11:
	s_or_b64 exec, exec, s[6:7]
	s_waitcnt lgkmcnt(0)
	s_mul_i32 s4, s4, s42
	s_mov_b32 s5, 0
	s_lshl_b64 s[4:5], s[4:5], 1
	s_add_u32 s6, s14, s4
	v_lshlrev_b32_e32 v53, 4, v0
	s_addc_u32 s7, s15, s5
	v_and_b32_e32 v44, 0xf0, v53
	v_mov_b32_e32 v45, 0
	v_lshl_add_u64 v[16:17], s[6:7], 0, v[44:45]
	s_waitcnt vmcnt(3)
	v_mad_i64_i32 v[4:5], s[6:7], v3, s41, 0
	s_waitcnt vmcnt(2)
	v_mad_i64_i32 v[2:3], s[6:7], v2, s41, 0
	;; [unrolled: 2-line block ×3, first 2 shown]
	v_lshl_add_u64 v[4:5], v[4:5], 1, v[16:17]
	v_and_b32_e32 v44, 0x300, v53
	v_lshl_add_u64 v[2:3], v[2:3], 1, v[16:17]
	v_lshl_add_u64 v[6:7], v[6:7], 1, v[16:17]
	s_waitcnt vmcnt(0)
	v_mad_i64_i32 v[14:15], s[6:7], v14, s41, 0
	v_lshl_add_u64 v[4:5], v[4:5], 0, v[44:45]
	v_lshl_add_u64 v[8:9], v[2:3], 0, v[44:45]
	;; [unrolled: 1-line block ×4, first 2 shown]
	s_barrier
	global_load_dwordx4 v[30:33], v[4:5], off
	global_load_dwordx4 v[10:13], v[4:5], off offset:1024
	global_load_dwordx4 v[22:25], v[8:9], off
	s_nop 0
	global_load_dwordx4 v[2:5], v[8:9], off offset:1024
	global_load_dwordx4 v[26:29], v[20:21], off
	s_nop 0
	global_load_dwordx4 v[6:9], v[20:21], off offset:1024
	v_lshl_add_u64 v[20:21], v[14:15], 0, v[44:45]
	global_load_dwordx4 v[34:37], v[20:21], off
	global_load_dwordx4 v[14:17], v[20:21], off offset:1024
	v_lshlrev_b32_e32 v18, 5, v18
	v_lshl_or_b32 v18, v54, 9, v18
	ds_read_b128 v[38:41], v18
	ds_read_b128 v[18:21], v18 offset:2048
	v_and_b32_e32 v57, 63, v0
	v_cmp_gt_u32_e32 vcc, 4, v56
	v_mov_b32_e32 v58, 0
	s_and_saveexec_b64 s[6:7], vcc
	s_cbranch_execz .LBB411_13
; %bb.12:
	s_load_dwordx2 s[12:13], s[0:1], 0x40
	v_or_b32_e32 v46, s27, v56
	v_ashrrev_i32_e32 v47, 31, v46
	s_waitcnt lgkmcnt(0)
	v_lshl_add_u64 v[46:47], v[46:47], 2, s[12:13]
	global_load_dword v58, v[46:47], off
.LBB411_13:
	s_or_b64 exec, exec, s[6:7]
	v_and_or_b32 v44, v0, 48, s16
	v_ashrrev_i32_e32 v43, 4, v44
	v_mov_b32_e32 v59, s17
	v_cmp_gt_i32_e32 vcc, s33, v44
	s_waitcnt vmcnt(5) lgkmcnt(1)
	v_mfma_f32_16x16x16_bf16 v[60:63], v[22:23], v[38:39], 0
	s_load_dword s6, s[0:1], 0x1c
	v_cndmask_b32_e32 v46, v59, v43, vcc
	v_ashrrev_i32_e32 v47, 31, v46
	v_or_b32_e32 v43, 64, v44
	v_lshl_add_u64 v[50:51], v[46:47], 2, s[8:9]
	v_mfma_f32_16x16x16_bf16 v[46:49], v[30:31], v[38:39], 0
	v_ashrrev_i32_e32 v30, 4, v43
	v_cmp_gt_i32_e32 vcc, s33, v43
	global_load_dword v72, v[50:51], off
	s_waitcnt vmcnt(4)
	v_mfma_f32_16x16x16_bf16 v[64:67], v[26:27], v[38:39], 0
	v_cndmask_b32_e32 v30, v59, v30, vcc
	v_ashrrev_i32_e32 v31, 31, v30
	v_lshl_add_u64 v[22:23], v[30:31], 2, s[8:9]
	global_load_dword v73, v[22:23], off
	v_mfma_f32_16x16x16_bf16 v[22:25], v[24:25], v[40:41], v[60:63]
	v_and_b32_e32 v26, 0xc0, v0
	s_mov_b32 s40, 0xff7fffff
	s_add_u32 s4, s10, s4
	v_mfma_f32_16x16x16_bf16 v[30:33], v[32:33], v[40:41], v[46:49]
	s_addc_u32 s5, s11, s5
	v_lshlrev_b32_e32 v43, 5, v56
	s_waitcnt vmcnt(3)
	v_mfma_f32_16x16x16_bf16 v[68:71], v[34:35], v[38:39], 0
	v_or_b32_e32 v38, 0x80, v44
	v_add_u32_e32 v46, s16, v26
	v_or_b32_e32 v39, 0xc0, v44
	v_mfma_f32_16x16x16_bf16 v[26:29], v[28:29], v[40:41], v[64:67]
	v_ashrrev_i32_e32 v47, 4, v38
	v_cmp_gt_i32_e32 vcc, s33, v38
	v_ashrrev_i32_e32 v48, 4, v39
	s_waitcnt lgkmcnt(0)
	v_mfma_f32_16x16x16_bf16 v[22:25], v[2:3], v[18:19], v[22:25]
	v_cndmask_b32_e32 v38, v59, v47, vcc
	v_cmp_gt_i32_e32 vcc, s33, v39
	v_ashrrev_i32_e32 v39, 31, v38
	v_mfma_f32_16x16x16_bf16 v[30:33], v[10:11], v[18:19], v[30:33]
	v_cndmask_b32_e32 v10, v59, v48, vcc
	v_ashrrev_i32_e32 v11, 31, v10
	v_lshl_or_b32 v60, v54, 2, v46
	v_mfma_f32_16x16x16_bf16 v[26:29], v[6:7], v[18:19], v[26:29]
	v_lshl_add_u64 v[6:7], v[38:39], 2, s[8:9]
	v_lshl_add_u64 v[38:39], v[10:11], 2, s[8:9]
	v_or_b32_e32 v59, 1, v60
	v_mfma_f32_16x16x16_bf16 v[2:5], v[4:5], v[20:21], v[22:25]
	s_nop 2
	global_load_dword v22, v[6:7], off
	global_load_dword v63, v[38:39], off
	v_subrev_u32_e32 v61, s33, v59
	v_cvt_f32_i32_e32 v62, v61
	v_mfma_f32_16x16x16_bf16 v[34:37], v[36:37], v[40:41], v[68:71]
	v_pk_mul_f32 v[46:47], s[6:7], v[4:5] op_sel_hi:[0,1]
	v_cmp_gt_i32_e64 s[28:29], s33, v60
	v_cmp_gt_i32_e64 s[30:31], s33, v59
	s_waitcnt vmcnt(4)
	v_mfma_f32_16x16x16_bf16 v[34:37], v[14:15], v[18:19], v[34:37]
	v_add_u32_e32 v14, 1, v61
	v_add_u32_e32 v15, 2, v61
	v_cvt_f32_i32_e32 v23, v14
	v_cvt_f32_i32_e32 v24, v15
	v_mfma_f32_16x16x16_bf16 v[14:17], v[16:17], v[20:21], v[34:37]
	v_add_u32_e32 v18, 3, v61
	v_cvt_f32_i32_e32 v18, v18
	v_add_u32_e32 v19, 16, v61
	v_mfma_f32_16x16x16_bf16 v[10:13], v[12:13], v[20:21], v[30:33]
	v_cvt_f32_i32_e32 v19, v19
	s_nop 1
	v_pk_mul_f32 v[36:37], s[6:7], v[14:15] op_sel_hi:[0,1]
	v_add_u32_e32 v15, 19, v61
	v_add_u32_e32 v31, 18, v61
	v_cvt_f32_i32_e32 v14, v31
	v_cvt_f32_i32_e32 v15, v15
	v_mfma_f32_16x16x16_bf16 v[6:9], v[8:9], v[20:21], v[26:29]
	v_pk_mul_f32 v[34:35], s[6:7], v[16:17] op_sel_hi:[0,1]
	v_fma_f32 v46, v58, v14, v46
	v_add_u32_e32 v14, 32, v61
	v_fmac_f32_e32 v47, v58, v15
	v_cvt_f32_i32_e32 v14, v14
	v_add_u32_e32 v15, 33, v61
	v_add_u32_e32 v16, 34, v61
	v_cvt_f32_i32_e32 v15, v15
	v_cvt_f32_i32_e32 v16, v16
	v_add_u32_e32 v17, 35, v61
	v_cvt_f32_i32_e32 v17, v17
	v_pk_mul_f32 v[40:41], s[6:7], v[6:7] op_sel_hi:[0,1]
	v_pk_mul_f32 v[38:39], s[6:7], v[8:9] op_sel_hi:[0,1]
	v_fma_f32 v40, v58, v14, v40
	v_add_u32_e32 v14, 48, v61
	v_fmac_f32_e32 v41, v58, v15
	v_fma_f32 v38, v58, v16, v38
	v_cvt_f32_i32_e32 v14, v14
	v_add_u32_e32 v15, 49, v61
	v_add_u32_e32 v16, 50, v61
	v_fmac_f32_e32 v39, v58, v17
	v_cvt_f32_i32_e32 v15, v15
	v_cvt_f32_i32_e32 v16, v16
	v_add_u32_e32 v17, 51, v61
	v_cvt_f32_i32_e32 v17, v17
	v_pk_mul_f32 v[10:11], s[6:7], v[10:11] op_sel_hi:[0,1]
	v_fma_f32 v10, v58, v62, v10
	v_fmac_f32_e32 v11, v58, v23
	v_fma_f32 v36, v58, v14, v36
	v_mov_b32_e32 v14, 0xff7fffff
	v_add_u32_e32 v30, 17, v61
	v_fmac_f32_e32 v37, v58, v15
	v_fma_f32 v34, v58, v16, v34
	v_cndmask_b32_e64 v15, v14, v10, s[28:29]
	v_cndmask_b32_e64 v16, v14, v11, s[30:31]
	v_cvt_f32_i32_e32 v25, v30
	v_pk_mul_f32 v[50:51], s[6:7], v[12:13] op_sel_hi:[0,1]
	v_fmac_f32_e32 v35, v58, v17
	v_max3_f32 v15, v15, s40, v16
	v_or_b32_e32 v16, 2, v60
	v_or_b32_e32 v17, 3, v60
	v_fma_f32 v50, v58, v24, v50
	v_fmac_f32_e32 v51, v58, v18
	v_cmp_gt_i32_e64 s[34:35], s33, v16
	v_cmp_gt_i32_e64 s[36:37], s33, v17
	v_pk_mul_f32 v[48:49], s[6:7], v[2:3] op_sel_hi:[0,1]
	v_cndmask_b32_e64 v16, v14, v50, s[34:35]
	v_cndmask_b32_e64 v17, v14, v51, s[36:37]
	v_max3_f32 v15, v15, v16, v17
	v_or_b32_e32 v16, 16, v60
	v_or_b32_e32 v17, 17, v60
	v_fma_f32 v48, v58, v19, v48
	v_fmac_f32_e32 v49, v58, v25
	v_cmp_gt_i32_e64 s[22:23], s33, v16
	v_cmp_gt_i32_e64 s[24:25], s33, v17
	v_lshl_or_b32 v44, v55, 9, v43
	v_cndmask_b32_e64 v16, v14, v48, s[22:23]
	v_cndmask_b32_e64 v17, v14, v49, s[24:25]
	v_max3_f32 v15, v15, v16, v17
	v_or_b32_e32 v16, 18, v60
	v_or_b32_e32 v17, 19, v60
	v_cmp_gt_i32_e64 s[18:19], s33, v16
	v_cmp_gt_i32_e64 s[20:21], s33, v17
	v_lshl_add_u64 v[44:45], s[4:5], 0, v[44:45]
	v_cndmask_b32_e64 v16, v14, v46, s[18:19]
	v_cndmask_b32_e64 v17, v14, v47, s[20:21]
	v_max3_f32 v15, v15, v16, v17
	v_or_b32_e32 v16, 32, v60
	v_or_b32_e32 v17, 33, v60
	v_cmp_gt_i32_e64 s[14:15], s33, v16
	v_cmp_gt_i32_e64 s[16:17], s33, v17
	s_waitcnt vmcnt(3)
	v_mad_i64_i32 v[2:3], s[4:5], v72, s41, 0
	v_cndmask_b32_e64 v16, v14, v40, s[14:15]
	v_cndmask_b32_e64 v17, v14, v41, s[16:17]
	v_max3_f32 v15, v15, v16, v17
	v_or_b32_e32 v16, 34, v60
	v_or_b32_e32 v17, 35, v60
	v_cmp_gt_i32_e64 s[10:11], s33, v16
	v_cmp_gt_i32_e64 s[12:13], s33, v17
	s_waitcnt vmcnt(2)
	v_mad_i64_i32 v[12:13], s[4:5], v73, s41, 0
	v_cndmask_b32_e64 v16, v14, v38, s[10:11]
	v_cndmask_b32_e64 v17, v14, v39, s[12:13]
	v_max3_f32 v15, v15, v16, v17
	v_or_b32_e32 v16, 48, v60
	v_or_b32_e32 v17, 49, v60
	v_cmp_gt_i32_e64 s[6:7], s33, v16
	v_cmp_gt_i32_e64 s[8:9], s33, v17
	v_lshl_add_u64 v[2:3], v[2:3], 1, v[44:45]
	v_cndmask_b32_e64 v16, v14, v36, s[6:7]
	v_cndmask_b32_e64 v17, v14, v37, s[8:9]
	v_max3_f32 v15, v15, v16, v17
	v_or_b32_e32 v16, 50, v60
	v_or_b32_e32 v17, 51, v60
	v_cmp_gt_i32_e32 vcc, s33, v16
	v_cmp_gt_i32_e64 s[4:5], s33, v17
	v_lshl_add_u64 v[12:13], v[12:13], 1, v[44:45]
	v_cndmask_b32_e32 v16, v14, v34, vcc
	v_cndmask_b32_e64 v14, v14, v35, s[4:5]
	v_max3_f32 v14, v15, v16, v14
	v_mbcnt_lo_u32_b32 v15, -1, 0
	v_mbcnt_hi_u32_b32 v15, -1, v15
	v_and_b32_e32 v16, 64, v15
	v_add_u32_e32 v16, 64, v16
	v_xor_b32_e32 v17, 32, v15
	v_cmp_lt_i32_e64 s[38:39], v17, v16
	global_load_dwordx4 v[6:9], v[2:3], off
	s_nop 0
	global_load_dwordx4 v[2:5], v[2:3], off offset:16
	v_cndmask_b32_e64 v17, v15, v17, s[38:39]
	v_lshlrev_b32_e32 v59, 2, v17
	ds_bpermute_b32 v17, v59, v14
	global_load_dwordx4 v[30:33], v[12:13], off
	global_load_dwordx4 v[26:29], v[12:13], off offset:16
	s_waitcnt vmcnt(5)
	v_mad_i64_i32 v[12:13], s[38:39], v22, s41, 0
	v_lshl_add_u64 v[12:13], v[12:13], 1, v[44:45]
	s_waitcnt lgkmcnt(0)
	v_max_f32_e32 v17, v17, v17
	v_max_f32_e32 v14, v14, v17
	v_xor_b32_e32 v17, 16, v15
	v_cmp_lt_i32_e64 s[38:39], v17, v16
	global_load_dwordx4 v[22:25], v[12:13], off
	global_load_dwordx4 v[18:21], v[12:13], off offset:16
	v_cndmask_b32_e64 v15, v15, v17, s[38:39]
	v_lshlrev_b32_e32 v60, 2, v15
	ds_bpermute_b32 v15, v60, v14
	s_waitcnt vmcnt(6)
	v_mad_i64_i32 v[12:13], s[38:39], v63, s41, 0
	v_lshl_add_u64 v[12:13], v[12:13], 1, v[44:45]
	s_waitcnt lgkmcnt(0)
	v_max_f32_e32 v15, v15, v15
	v_max_f32_e32 v58, v14, v15
	v_sub_f32_e32 v10, v10, v58
	v_mul_f32_e32 v10, 0x3fb8aa3b, v10
	v_exp_f32_e32 v44, v10
	v_sub_f32_e32 v10, v11, v58
	v_mul_f32_e32 v10, 0x3fb8aa3b, v10
	v_exp_f32_e32 v45, v10
	global_load_dwordx4 v[14:17], v[12:13], off
	s_nop 0
	global_load_dwordx4 v[10:13], v[12:13], off offset:16
	v_sub_f32_e32 v50, v50, v58
	v_mul_f32_e32 v50, 0x3fb8aa3b, v50
	v_sub_f32_e32 v51, v51, v58
	v_exp_f32_e32 v50, v50
	v_mul_f32_e32 v51, 0x3fb8aa3b, v51
	v_sub_f32_e32 v48, v48, v58
	v_exp_f32_e32 v51, v51
	v_mul_f32_e32 v48, 0x3fb8aa3b, v48
	v_sub_f32_e32 v49, v49, v58
	v_cndmask_b32_e64 v44, 0, v44, s[28:29]
	v_exp_f32_e32 v48, v48
	v_mul_f32_e32 v49, 0x3fb8aa3b, v49
	v_sub_f32_e32 v46, v46, v58
	v_add_f32_e32 v61, 0, v44
	v_cndmask_b32_e64 v45, 0, v45, s[30:31]
	v_exp_f32_e32 v49, v49
	v_mul_f32_e32 v46, 0x3fb8aa3b, v46
	v_sub_f32_e32 v47, v47, v58
	v_add_f32_e32 v61, v61, v45
	;; [unrolled: 5-line block ×10, first 2 shown]
	v_cndmask_b32_e64 v38, 0, v38, s[10:11]
	v_exp_f32_e32 v34, v34
	v_mul_f32_e32 v35, 0x3fb8aa3b, v35
	v_add_f32_e32 v61, v61, v38
	v_cndmask_b32_e64 v39, 0, v39, s[12:13]
	v_exp_f32_e32 v35, v35
	v_add_f32_e32 v61, v61, v39
	v_cndmask_b32_e64 v36, 0, v36, s[6:7]
	v_add_f32_e32 v61, v61, v36
	v_cndmask_b32_e64 v37, 0, v37, s[8:9]
	v_add_f32_e32 v61, v61, v37
	v_cndmask_b32_e32 v34, 0, v34, vcc
	v_add_f32_e32 v61, v61, v34
	v_cndmask_b32_e64 v35, 0, v35, s[4:5]
	v_add_f32_e32 v61, v61, v35
	ds_bpermute_b32 v59, v59, v61
	s_load_dword s7, s[0:1], 0x98
	v_cmp_gt_u32_e32 vcc, 16, v57
	v_lshlrev_b32_e32 v57, 2, v56
	s_waitcnt lgkmcnt(0)
	v_add_f32_e32 v59, v61, v59
	ds_bpermute_b32 v60, v60, v59
	s_barrier
	s_waitcnt lgkmcnt(0)
	s_and_saveexec_b64 s[4:5], vcc
	s_cbranch_execz .LBB411_15
; %bb.14:
	v_add_f32_e32 v56, v59, v60
	v_lshl_or_b32 v59, v55, 6, v57
	ds_write2st64_b32 v59, v58, v56 offset1:1
.LBB411_15:
	s_or_b64 exec, exec, s[4:5]
	s_load_dword s6, s[0:1], 0x94
	s_waitcnt lgkmcnt(0)
	s_barrier
	ds_read2_b32 v[58:59], v57 offset1:16
	ds_read2_b32 v[60:61], v57 offset0:32 offset1:48
	ds_read2_b32 v[62:63], v57 offset0:64 offset1:80
	s_movk_i32 s8, 0x7fff
	s_mov_b32 s9, 0x7060302
	s_waitcnt lgkmcnt(2)
	v_max3_f32 v56, v58, s40, v59
	s_waitcnt lgkmcnt(1)
	v_max3_f32 v56, v56, v60, v61
	v_sub_f32_e32 v58, v58, v56
	v_mul_f32_e32 v58, 0x3fb8aa3b, v58
	v_exp_f32_e32 v64, v58
	v_sub_f32_e32 v58, v59, v56
	v_mul_f32_e32 v58, 0x3fb8aa3b, v58
	v_exp_f32_e32 v65, v58
	v_sub_f32_e32 v58, v60, v56
	v_mul_f32_e32 v58, 0x3fb8aa3b, v58
	v_exp_f32_e32 v60, v58
	ds_read2_b32 v[58:59], v57 offset0:96 offset1:112
	v_sub_f32_e32 v57, v61, v56
	v_mul_f32_e32 v57, 0x3fb8aa3b, v57
	v_exp_f32_e32 v61, v57
	s_waitcnt lgkmcnt(1)
	v_fma_f32 v57, v64, v62, 0
	v_fmac_f32_e32 v57, v65, v63
	s_waitcnt lgkmcnt(0)
	v_fmac_f32_e32 v57, v60, v58
	v_fmac_f32_e32 v57, v61, v59
	v_add_f32_e32 v58, 0x358637bd, v57
	v_div_scale_f32 v59, s[4:5], v58, v58, 1.0
	v_rcp_f32_e32 v62, v59
	s_lshl_b32 s7, s7, 2
	s_barrier
	v_fma_f32 v63, -v59, v62, 1.0
	v_fmac_f32_e32 v62, v63, v62
	v_div_scale_f32 v63, vcc, 1.0, v58, 1.0
	v_mul_f32_e32 v66, v63, v62
	v_fma_f32 v67, -v59, v66, v63
	v_fmac_f32_e32 v66, v67, v62
	v_fma_f32 v59, -v59, v66, v63
	v_div_fmas_f32 v59, v59, v62, v66
	v_cmp_eq_u32_e32 vcc, 1, v55
	v_div_fixup_f32 v58, v59, v58, 1.0
	s_nop 0
	v_cndmask_b32_e32 v59, v64, v65, vcc
	v_cmp_eq_u32_e32 vcc, 2, v55
	s_nop 1
	v_cndmask_b32_e32 v59, v59, v60, vcc
	v_cmp_eq_u32_e32 vcc, 3, v55
	s_nop 1
	v_cndmask_b32_e32 v59, v59, v61, vcc
	v_mul_f32_e32 v58, v59, v58
	v_pk_mul_f32 v[44:45], v[58:59], v[44:45] op_sel_hi:[0,1]
	v_pk_mul_f32 v[50:51], v[58:59], v[50:51] op_sel_hi:[0,1]
	v_bfe_u32 v59, v45, 16, 1
	v_bfe_u32 v60, v44, 16, 1
	v_add3_u32 v44, v44, v60, s8
	v_add3_u32 v45, v45, v59, s8
	v_perm_b32 v60, v45, v44, s9
	v_bfe_u32 v44, v51, 16, 1
	v_bfe_u32 v45, v50, 16, 1
	v_add3_u32 v45, v50, v45, s8
	v_add3_u32 v44, v51, v44, s8
	v_perm_b32 v61, v44, v45, s9
	v_lshlrev_b32_e32 v44, 3, v54
	v_lshlrev_b32_e32 v45, 11, v55
	v_pk_mul_f32 v[48:49], v[58:59], v[48:49] op_sel_hi:[0,1]
	v_or3_b32 v44, v45, v43, v44
	v_bfe_u32 v45, v49, 16, 1
	v_bfe_u32 v50, v48, 16, 1
	v_pk_mul_f32 v[46:47], v[58:59], v[46:47] op_sel_hi:[0,1]
	v_add3_u32 v48, v48, v50, s8
	v_add3_u32 v45, v49, v45, s8
	v_perm_b32 v48, v45, v48, s9
	v_bfe_u32 v45, v47, 16, 1
	v_bfe_u32 v49, v46, 16, 1
	v_add3_u32 v46, v46, v49, s8
	v_add3_u32 v45, v47, v45, s8
	v_pk_mul_f32 v[40:41], v[58:59], v[40:41] op_sel_hi:[0,1]
	v_perm_b32 v49, v45, v46, s9
	v_bfe_u32 v45, v41, 16, 1
	v_bfe_u32 v46, v40, 16, 1
	v_pk_mul_f32 v[38:39], v[58:59], v[38:39] op_sel_hi:[0,1]
	v_add3_u32 v40, v40, v46, s8
	v_add3_u32 v41, v41, v45, s8
	v_perm_b32 v40, v41, v40, s9
	v_bfe_u32 v41, v39, 16, 1
	v_bfe_u32 v45, v38, 16, 1
	v_add3_u32 v38, v38, v45, s8
	v_add3_u32 v39, v39, v41, s8
	v_pk_mul_f32 v[36:37], v[58:59], v[36:37] op_sel_hi:[0,1]
	v_perm_b32 v41, v39, v38, s9
	v_bfe_u32 v38, v37, 16, 1
	v_bfe_u32 v39, v36, 16, 1
	v_pk_mul_f32 v[34:35], v[58:59], v[34:35] op_sel_hi:[0,1]
	v_add3_u32 v36, v36, v39, s8
	v_add3_u32 v37, v37, v38, s8
	v_perm_b32 v36, v37, v36, s9
	v_bfe_u32 v37, v35, 16, 1
	v_bfe_u32 v38, v34, 16, 1
	v_add3_u32 v34, v34, v38, s8
	v_add3_u32 v35, v35, v37, s8
	v_perm_b32 v37, v35, v34, s9
	v_cmp_gt_u32_e32 vcc, 4, v0
	ds_write2st64_b64 v44, v[60:61], v[48:49] offset1:1
	ds_write2st64_b64 v44, v[40:41], v[36:37] offset0:2 offset1:3
	s_and_saveexec_b64 s[4:5], vcc
	s_cbranch_execz .LBB411_17
; %bb.16:
	v_or_b32_e32 v34, s27, v0
	v_mov_b32_e32 v35, 0
	v_mov_b32_e32 v36, s7
	v_mad_u64_u32 v[36:37], s[10:11], s2, v36, v[34:35]
	v_mov_b32_e32 v34, s26
	s_load_dwordx4 s[12:15], s[0:1], 0x58
	s_mul_i32 s3, s3, s7
	v_mad_u64_u32 v[34:35], s[10:11], v36, s6, v[34:35]
	v_add_u32_e32 v37, s3, v37
	v_mov_b32_e32 v36, v35
	v_mad_u64_u32 v[36:37], s[10:11], v37, s6, v[36:37]
	v_mov_b32_e32 v35, v36
	v_lshlrev_b64 v[34:35], 2, v[34:35]
	s_waitcnt lgkmcnt(0)
	v_lshl_add_u64 v[36:37], s[14:15], 0, v[34:35]
	v_lshl_add_u64 v[34:35], s[12:13], 0, v[34:35]
	global_store_dword v[36:37], v56, off
	global_store_dword v[34:35], v57, off
.LBB411_17:
	s_or_b64 exec, exec, s[4:5]
	v_lshl_or_b32 v43, v54, 9, v43
	s_waitcnt lgkmcnt(0)
	s_barrier
	ds_read_b128 v[34:37], v43
	ds_read_b128 v[38:41], v43 offset:16
	s_waitcnt vmcnt(7) lgkmcnt(1)
	v_mfma_f32_16x16x16_bf16 v[46:49], v[6:7], v[34:35], 0
	s_mov_b32 s3, 0
	v_mfma_f32_16x16x16_bf16 v[6:9], v[8:9], v[36:37], v[46:49]
	s_waitcnt vmcnt(6) lgkmcnt(0)
	v_mfma_f32_16x16x16_bf16 v[6:9], v[2:3], v[38:39], v[6:9]
	v_mfma_f32_16x16x16_bf16 v[2:5], v[4:5], v[40:41], v[6:9]
	s_nop 5
	ds_read_b128 v[6:9], v43 offset:2048
	ds_read_b128 v[34:37], v43 offset:2064
	s_waitcnt vmcnt(5) lgkmcnt(1)
	v_mfma_f32_16x16x16_bf16 v[2:5], v[30:31], v[6:7], v[2:5]
	v_mfma_f32_16x16x16_bf16 v[2:5], v[32:33], v[8:9], v[2:5]
	s_waitcnt vmcnt(4) lgkmcnt(0)
	v_mfma_f32_16x16x16_bf16 v[2:5], v[26:27], v[34:35], v[2:5]
	v_mfma_f32_16x16x16_bf16 v[2:5], v[28:29], v[36:37], v[2:5]
	ds_read_b128 v[6:9], v43 offset:4096
	ds_read_b128 v[26:29], v43 offset:4112
	s_waitcnt vmcnt(3) lgkmcnt(1)
	v_mfma_f32_16x16x16_bf16 v[2:5], v[22:23], v[6:7], v[2:5]
	v_mfma_f32_16x16x16_bf16 v[2:5], v[24:25], v[8:9], v[2:5]
	s_waitcnt vmcnt(2) lgkmcnt(0)
	v_mfma_f32_16x16x16_bf16 v[2:5], v[18:19], v[26:27], v[2:5]
	v_mfma_f32_16x16x16_bf16 v[2:5], v[20:21], v[28:29], v[2:5]
	ds_read_b128 v[6:9], v43 offset:6144
	ds_read_b128 v[18:21], v43 offset:6160
	v_mov_b32_e32 v43, 0
	s_waitcnt vmcnt(1) lgkmcnt(0)
	v_mfma_f32_16x16x16_bf16 v[2:5], v[14:15], v[6:7], v[2:5]
	s_barrier
	v_mfma_f32_16x16x16_bf16 v[2:5], v[16:17], v[8:9], v[2:5]
	s_waitcnt vmcnt(0)
	v_mfma_f32_16x16x16_bf16 v[2:5], v[10:11], v[18:19], v[2:5]
	v_mfma_f32_16x16x16_bf16 v[2:5], v[12:13], v[20:21], v[2:5]
	s_nop 6
	v_bfe_u32 v6, v3, 16, 1
	v_bfe_u32 v7, v2, 16, 1
	;; [unrolled: 1-line block ×4, first 2 shown]
	v_add3_u32 v2, v2, v7, s8
	v_add3_u32 v3, v3, v6, s8
	v_add3_u32 v4, v4, v9, s8
	v_add3_u32 v5, v5, v8, s8
	v_perm_b32 v2, v3, v2, s9
	v_perm_b32 v3, v5, v4, s9
	ds_write_b64 v44, v[2:3]
	s_waitcnt lgkmcnt(0)
	s_barrier
	s_and_saveexec_b64 s[4:5], s[44:45]
	s_cbranch_execz .LBB411_19
; %bb.18:
	s_load_dwordx2 s[0:1], s[0:1], 0x68
	s_lshl_b32 s6, s6, 6
	s_mul_i32 s2, s7, s2
	s_mul_hi_u32 s5, s2, s6
	s_mul_i32 s4, s2, s6
	v_lshlrev_b32_e32 v0, 10, v0
	s_lshl_b64 s[4:5], s[4:5], 1
	v_and_b32_e32 v0, 0x1800, v0
	v_and_b32_e32 v2, 16, v53
	s_waitcnt lgkmcnt(0)
	s_add_u32 s4, s0, s4
	v_or3_b32 v0, v0, v52, v2
	s_addc_u32 s5, s1, s5
	s_lshl_b32 s2, s26, 6
	ds_read_b128 v[2:5], v0
	s_lshl_b64 s[0:1], s[2:3], 1
	s_add_u32 s0, s4, s0
	s_addc_u32 s1, s5, s1
	v_mad_u64_u32 v[0:1], s[2:3], s6, v1, 0
	v_lshl_add_u64 v[0:1], v[0:1], 1, s[0:1]
	v_lshl_add_u64 v[0:1], v[0:1], 0, v[42:43]
	s_waitcnt lgkmcnt(0)
	global_store_dwordx4 v[0:1], v[2:5], off
.LBB411_19:
	s_endpgm
	.section	.rodata,"a",@progbits
	.p2align	6, 0x0
	.amdhsa_kernel _Z39paged_attention_ll4mi_QKV_mfma16_kernelI14__hip_bfloat16S0_LN4vllm18Fp8KVCacheDataTypeE0EhLi16ELi64ELi256ELb1ELi4EEvPKT_PKT0_S8_ifPKiSA_SA_iPKfiiiPfSD_PS3_PT2_iSC_SC_
		.amdhsa_group_segment_fixed_size 8192
		.amdhsa_private_segment_fixed_size 0
		.amdhsa_kernarg_size 400
		.amdhsa_user_sgpr_count 2
		.amdhsa_user_sgpr_dispatch_ptr 0
		.amdhsa_user_sgpr_queue_ptr 0
		.amdhsa_user_sgpr_kernarg_segment_ptr 1
		.amdhsa_user_sgpr_dispatch_id 0
		.amdhsa_user_sgpr_kernarg_preload_length 0
		.amdhsa_user_sgpr_kernarg_preload_offset 0
		.amdhsa_user_sgpr_private_segment_size 0
		.amdhsa_uses_dynamic_stack 0
		.amdhsa_enable_private_segment 0
		.amdhsa_system_sgpr_workgroup_id_x 1
		.amdhsa_system_sgpr_workgroup_id_y 1
		.amdhsa_system_sgpr_workgroup_id_z 1
		.amdhsa_system_sgpr_workgroup_info 0
		.amdhsa_system_vgpr_workitem_id 0
		.amdhsa_next_free_vgpr 74
		.amdhsa_next_free_sgpr 46
		.amdhsa_accum_offset 76
		.amdhsa_reserve_vcc 1
		.amdhsa_float_round_mode_32 0
		.amdhsa_float_round_mode_16_64 0
		.amdhsa_float_denorm_mode_32 3
		.amdhsa_float_denorm_mode_16_64 3
		.amdhsa_dx10_clamp 1
		.amdhsa_ieee_mode 1
		.amdhsa_fp16_overflow 0
		.amdhsa_tg_split 0
		.amdhsa_exception_fp_ieee_invalid_op 0
		.amdhsa_exception_fp_denorm_src 0
		.amdhsa_exception_fp_ieee_div_zero 0
		.amdhsa_exception_fp_ieee_overflow 0
		.amdhsa_exception_fp_ieee_underflow 0
		.amdhsa_exception_fp_ieee_inexact 0
		.amdhsa_exception_int_div_zero 0
	.end_amdhsa_kernel
	.section	.text._Z39paged_attention_ll4mi_QKV_mfma16_kernelI14__hip_bfloat16S0_LN4vllm18Fp8KVCacheDataTypeE0EhLi16ELi64ELi256ELb1ELi4EEvPKT_PKT0_S8_ifPKiSA_SA_iPKfiiiPfSD_PS3_PT2_iSC_SC_,"axG",@progbits,_Z39paged_attention_ll4mi_QKV_mfma16_kernelI14__hip_bfloat16S0_LN4vllm18Fp8KVCacheDataTypeE0EhLi16ELi64ELi256ELb1ELi4EEvPKT_PKT0_S8_ifPKiSA_SA_iPKfiiiPfSD_PS3_PT2_iSC_SC_,comdat
.Lfunc_end411:
	.size	_Z39paged_attention_ll4mi_QKV_mfma16_kernelI14__hip_bfloat16S0_LN4vllm18Fp8KVCacheDataTypeE0EhLi16ELi64ELi256ELb1ELi4EEvPKT_PKT0_S8_ifPKiSA_SA_iPKfiiiPfSD_PS3_PT2_iSC_SC_, .Lfunc_end411-_Z39paged_attention_ll4mi_QKV_mfma16_kernelI14__hip_bfloat16S0_LN4vllm18Fp8KVCacheDataTypeE0EhLi16ELi64ELi256ELb1ELi4EEvPKT_PKT0_S8_ifPKiSA_SA_iPKfiiiPfSD_PS3_PT2_iSC_SC_
                                        ; -- End function
	.section	.AMDGPU.csdata,"",@progbits
; Kernel info:
; codeLenInByte = 4192
; NumSgprs: 52
; NumVgprs: 74
; NumAgprs: 0
; TotalNumVgprs: 74
; ScratchSize: 0
; MemoryBound: 0
; FloatMode: 240
; IeeeMode: 1
; LDSByteSize: 8192 bytes/workgroup (compile time only)
; SGPRBlocks: 6
; VGPRBlocks: 9
; NumSGPRsForWavesPerEU: 52
; NumVGPRsForWavesPerEU: 74
; AccumOffset: 76
; Occupancy: 6
; WaveLimiterHint : 1
; COMPUTE_PGM_RSRC2:SCRATCH_EN: 0
; COMPUTE_PGM_RSRC2:USER_SGPR: 2
; COMPUTE_PGM_RSRC2:TRAP_HANDLER: 0
; COMPUTE_PGM_RSRC2:TGID_X_EN: 1
; COMPUTE_PGM_RSRC2:TGID_Y_EN: 1
; COMPUTE_PGM_RSRC2:TGID_Z_EN: 1
; COMPUTE_PGM_RSRC2:TIDIG_COMP_CNT: 0
; COMPUTE_PGM_RSRC3_GFX90A:ACCUM_OFFSET: 18
; COMPUTE_PGM_RSRC3_GFX90A:TG_SPLIT: 0
	.section	.text._Z35paged_attention_ll4mi_reduce_kernelI14__hip_bfloat16hLi64ELi64ELi256ELi9EEvPT0_PKfS4_PKT_PKiS9_iS4_,"axG",@progbits,_Z35paged_attention_ll4mi_reduce_kernelI14__hip_bfloat16hLi64ELi64ELi256ELi9EEvPT0_PKfS4_PKT_PKiS9_iS4_,comdat
	.protected	_Z35paged_attention_ll4mi_reduce_kernelI14__hip_bfloat16hLi64ELi64ELi256ELi9EEvPT0_PKfS4_PKT_PKiS9_iS4_ ; -- Begin function _Z35paged_attention_ll4mi_reduce_kernelI14__hip_bfloat16hLi64ELi64ELi256ELi9EEvPT0_PKfS4_PKT_PKiS9_iS4_
	.globl	_Z35paged_attention_ll4mi_reduce_kernelI14__hip_bfloat16hLi64ELi64ELi256ELi9EEvPT0_PKfS4_PKT_PKiS9_iS4_
	.p2align	8
	.type	_Z35paged_attention_ll4mi_reduce_kernelI14__hip_bfloat16hLi64ELi64ELi256ELi9EEvPT0_PKfS4_PKT_PKiS9_iS4_,@function
_Z35paged_attention_ll4mi_reduce_kernelI14__hip_bfloat16hLi64ELi64ELi256ELi9EEvPT0_PKfS4_PKT_PKiS9_iS4_: ; @_Z35paged_attention_ll4mi_reduce_kernelI14__hip_bfloat16hLi64ELi64ELi256ELi9EEvPT0_PKfS4_PKT_PKiS9_iS4_
; %bb.0:
	s_load_dwordx2 s[34:35], s[0:1], 0x28
	s_mov_b32 s22, s3
	s_mov_b64 s[4:5], 0
	s_waitcnt lgkmcnt(0)
	s_cmp_lg_u64 s[34:35], 0
	s_cselect_b64 s[36:37], -1, 0
	s_and_b64 vcc, exec, s[36:37]
	s_cbranch_vccz .LBB412_23
; %bb.1:
	s_add_i32 s6, s22, 1
	s_mov_b32 s7, 0
	s_lshl_b64 s[8:9], s[6:7], 2
	s_add_u32 s8, s34, s8
	s_mov_b32 s23, s7
	s_addc_u32 s9, s35, s9
	s_lshl_b64 s[6:7], s[22:23], 2
	s_add_u32 s6, s34, s6
	s_addc_u32 s7, s35, s7
	s_load_dword s3, s[8:9], 0x0
	s_load_dword s10, s[6:7], 0x0
	s_waitcnt lgkmcnt(0)
	s_sub_i32 s3, s3, s10
	s_cmp_eq_u32 s3, 1
	s_cselect_b64 s[6:7], -1, 0
	s_andn2_b64 vcc, exec, s[4:5]
	s_cbranch_vccnz .LBB412_3
.LBB412_2:
	s_mov_b32 s23, 0
	s_mov_b64 s[6:7], -1
.LBB412_3:
	s_andn2_b64 vcc, exec, s[6:7]
	s_cbranch_vccz .LBB412_5
; %bb.4:
	s_endpgm
.LBB412_5:
	s_load_dwordx4 s[24:27], s[0:1], 0x18
	s_load_dword s8, s[0:1], 0x30
	s_lshl_b64 s[38:39], s[22:23], 2
	v_cmp_lt_u32_e32 vcc, 63, v0
	s_waitcnt lgkmcnt(0)
	s_add_u32 s4, s26, s38
	s_addc_u32 s5, s27, s39
	s_load_dword s46, s[4:5], 0x0
	s_load_dword s3, s[0:1], 0x40
	s_mul_i32 s26, s2, s8
	s_mul_i32 s6, s22, s8
	s_waitcnt lgkmcnt(0)
	s_add_i32 s7, s46, 0xff
	s_ashr_i32 s4, s7, 31
	s_lshr_b32 s4, s4, 24
	s_add_i32 s7, s7, s4
	s_and_saveexec_b64 s[4:5], vcc
	s_xor_b64 s[4:5], exec, s[4:5]
	s_or_saveexec_b64 s[40:41], s[4:5]
	s_ashr_i32 s33, s7, 8
	v_mov_b32_e32 v1, s26
	s_mul_i32 s42, s6, s3
	s_xor_b64 exec, exec, s[40:41]
	s_cbranch_execz .LBB412_9
; %bb.6:
	s_add_i32 s4, s33, -1
	v_or_b32_e32 v3, 64, v0
	v_mov_b32_e32 v1, s4
	v_cmp_gt_u32_e64 s[16:17], s33, v3
	s_load_dwordx4 s[28:31], s[0:1], 0x8
	s_mov_b32 s43, 0
	v_cndmask_b32_e64 v4, v1, v3, s[16:17]
	v_or_b32_e32 v3, 0x80, v0
	v_cmp_gt_u32_e64 s[14:15], s33, v3
	s_lshl_b64 s[44:45], s[42:43], 2
	s_mov_b32 s27, s43
	v_cndmask_b32_e64 v6, v1, v3, s[14:15]
	v_or_b32_e32 v3, 0xc0, v0
	v_cmp_gt_u32_e64 s[12:13], s33, v3
	v_cmp_gt_u32_e64 s[18:19], s33, v0
	s_waitcnt lgkmcnt(0)
	s_add_u32 s20, s30, s44
	v_cndmask_b32_e64 v8, v1, v3, s[12:13]
	v_or_b32_e32 v3, 0x100, v0
	v_cmp_gt_u32_e64 s[10:11], s33, v3
	v_cndmask_b32_e64 v2, v1, v0, s[18:19]
	s_addc_u32 s21, s31, s45
	v_cndmask_b32_e64 v10, v1, v3, s[10:11]
	v_or_b32_e32 v3, 0x140, v0
	v_cmp_gt_u32_e64 s[8:9], s33, v3
	s_lshl_b64 s[30:31], s[26:27], 2
	s_add_u32 s20, s20, s30
	v_cndmask_b32_e64 v12, v1, v3, s[8:9]
	v_or_b32_e32 v3, 0x180, v0
	v_cmp_gt_u32_e64 s[6:7], s33, v3
	s_addc_u32 s21, s21, s31
	v_ashrrev_i32_e32 v5, 31, v4
	v_cndmask_b32_e64 v14, v1, v3, s[6:7]
	v_or_b32_e32 v3, 0x1c0, v0
	v_cmp_gt_u32_e64 s[4:5], s33, v3
	v_ashrrev_i32_e32 v7, 31, v6
	v_ashrrev_i32_e32 v9, 31, v8
	v_cndmask_b32_e64 v16, v1, v3, s[4:5]
	v_or_b32_e32 v3, 0x200, v0
	v_cmp_gt_u32_e32 vcc, s33, v3
	v_ashrrev_i32_e32 v11, 31, v10
	v_ashrrev_i32_e32 v13, 31, v12
	v_cndmask_b32_e32 v18, v1, v3, vcc
	v_ashrrev_i32_e32 v3, 31, v2
	v_lshlrev_b64 v[2:3], 2, v[2:3]
	v_ashrrev_i32_e32 v15, 31, v14
	v_ashrrev_i32_e32 v17, 31, v16
	v_ashrrev_i32_e32 v19, 31, v18
	v_lshl_add_u64 v[20:21], s[20:21], 0, v[2:3]
	v_lshlrev_b64 v[4:5], 2, v[4:5]
	v_lshlrev_b64 v[6:7], 2, v[6:7]
	;; [unrolled: 1-line block ×8, first 2 shown]
	v_lshl_add_u64 v[22:23], s[20:21], 0, v[4:5]
	v_lshl_add_u64 v[24:25], s[20:21], 0, v[6:7]
	;; [unrolled: 1-line block ×7, first 2 shown]
	global_load_dword v1, v[20:21], off
	global_load_dword v36, v[22:23], off
	;; [unrolled: 1-line block ×8, first 2 shown]
	v_lshl_add_u64 v[20:21], s[20:21], 0, v[18:19]
	global_load_dword v20, v[20:21], off
	v_mbcnt_lo_u32_b32 v21, -1, 0
	v_mbcnt_hi_u32_b32 v21, -1, v21
	v_and_b32_e32 v22, 64, v21
	v_xor_b32_e32 v23, 32, v21
	v_add_u32_e32 v22, 64, v22
	v_cmp_lt_i32_e64 s[20:21], v23, v22
	v_xor_b32_e32 v24, 16, v21
	v_xor_b32_e32 v25, 8, v21
	v_cndmask_b32_e64 v23, v21, v23, s[20:21]
	s_add_u32 s20, s28, s44
	s_addc_u32 s21, s29, s45
	s_add_u32 s28, s20, s30
	s_addc_u32 s29, s21, s31
	v_lshl_add_u64 v[2:3], s[28:29], 0, v[2:3]
	global_load_dword v27, v[2:3], off
	v_lshlrev_b32_e32 v23, 2, v23
	v_cmp_lt_i32_e64 s[20:21], v24, v22
	v_xor_b32_e32 v26, 4, v21
	v_xor_b32_e32 v28, 2, v21
	v_cndmask_b32_e64 v24, v21, v24, s[20:21]
	v_lshlrev_b32_e32 v24, 2, v24
	v_cmp_lt_i32_e64 s[20:21], v25, v22
	s_mov_b32 s27, 0x3fb8aa3b
	s_waitcnt vmcnt(7)
	v_max3_f32 v2, v1, v36, v37
	s_waitcnt vmcnt(5)
	v_max3_f32 v2, v2, v38, v39
	;; [unrolled: 2-line block ×4, first 2 shown]
	ds_bpermute_b32 v3, v23, v2
	s_waitcnt lgkmcnt(0)
	v_max_f32_e32 v3, v3, v3
	v_max_f32_e32 v29, v2, v3
	ds_bpermute_b32 v30, v24, v29
	v_cndmask_b32_e64 v2, v21, v25, s[20:21]
	v_lshlrev_b32_e32 v25, 2, v2
	v_lshl_add_u64 v[2:3], s[28:29], 0, v[4:5]
	v_cmp_lt_i32_e64 s[20:21], v26, v22
	s_waitcnt lgkmcnt(0)
	v_max_f32_e32 v4, v30, v30
	v_max_f32_e32 v4, v29, v4
	ds_bpermute_b32 v5, v25, v4
	global_load_dword v29, v[2:3], off
	v_cndmask_b32_e64 v2, v21, v26, s[20:21]
	v_lshlrev_b32_e32 v26, 2, v2
	v_cmp_lt_i32_e64 s[20:21], v28, v22
	s_waitcnt lgkmcnt(0)
	v_max_f32_e32 v2, v5, v5
	v_max_f32_e32 v2, v4, v2
	ds_bpermute_b32 v3, v26, v2
	v_cndmask_b32_e64 v5, v21, v28, s[20:21]
	v_lshlrev_b32_e32 v28, 2, v5
	v_xor_b32_e32 v4, 1, v21
	v_cmp_lt_i32_e64 s[20:21], v4, v22
	s_waitcnt lgkmcnt(0)
	v_max_f32_e32 v3, v3, v3
	v_max_f32_e32 v5, v2, v3
	ds_bpermute_b32 v30, v28, v5
	v_lshl_add_u64 v[2:3], s[28:29], 0, v[6:7]
	global_load_dword v31, v[2:3], off
	v_cndmask_b32_e64 v2, v21, v4, s[20:21]
	v_lshlrev_b32_e32 v22, 2, v2
	s_waitcnt lgkmcnt(0)
	v_max_f32_e32 v3, v30, v30
	v_max_f32_e32 v21, v5, v3
	v_lshl_add_u64 v[2:3], s[28:29], 0, v[8:9]
	v_lshl_add_u64 v[8:9], s[28:29], 0, v[14:15]
	global_load_dword v14, v[2:3], off
	ds_bpermute_b32 v30, v22, v21
	v_lshl_add_u64 v[6:7], s[28:29], 0, v[12:13]
	v_lshl_add_u64 v[4:5], s[28:29], 0, v[10:11]
	;; [unrolled: 1-line block ×3, first 2 shown]
	s_waitcnt lgkmcnt(0)
	v_max_f32_e32 v12, v30, v30
	v_max_f32_e32 v12, v21, v12
	v_sub_f32_e32 v1, v1, v12
	v_mul_f32_e32 v13, 0x3fb8aa3b, v1
	v_fma_f32 v2, v1, s27, -v13
	v_rndne_f32_e32 v3, v13
	v_fmac_f32_e32 v2, 0x32a5705f, v1
	v_sub_f32_e32 v13, v13, v3
	v_add_f32_e32 v2, v13, v2
	global_load_dword v16, v[4:5], off
	global_load_dword v17, v[6:7], off
	;; [unrolled: 1-line block ×4, first 2 shown]
	v_exp_f32_e32 v13, v2
	v_cvt_i32_f32_e32 v15, v3
	v_lshl_add_u64 v[2:3], s[28:29], 0, v[18:19]
	global_load_dword v2, v[2:3], off
	v_sub_f32_e32 v5, v36, v12
	v_mul_f32_e32 v6, 0x3fb8aa3b, v5
	v_fma_f32 v7, v5, s27, -v6
	v_rndne_f32_e32 v8, v6
	v_fmac_f32_e32 v7, 0x32a5705f, v5
	v_sub_f32_e32 v6, v6, v8
	v_add_f32_e32 v6, v6, v7
	v_exp_f32_e32 v6, v6
	v_cvt_i32_f32_e32 v7, v8
	s_mov_b32 s28, 0xc2ce8ed0
	v_ldexp_f32 v3, v13, v15
	v_cmp_ngt_f32_e64 s[20:21], s28, v1
	s_mov_b32 s29, 0x42b17218
	v_mov_b32_e32 v4, 0x7f800000
	v_cndmask_b32_e64 v3, 0, v3, s[20:21]
	v_cmp_nlt_f32_e64 s[20:21], s29, v1
	s_nop 1
	v_cndmask_b32_e64 v1, v4, v3, s[20:21]
	v_ldexp_f32 v3, v6, v7
	v_sub_f32_e32 v6, v37, v12
	v_mul_f32_e32 v7, 0x3fb8aa3b, v6
	v_fma_f32 v8, v6, s27, -v7
	v_rndne_f32_e32 v9, v7
	v_fmac_f32_e32 v8, 0x32a5705f, v6
	v_sub_f32_e32 v7, v7, v9
	v_add_f32_e32 v7, v7, v8
	v_exp_f32_e32 v7, v7
	v_cvt_i32_f32_e32 v8, v9
	v_cndmask_b32_e64 v1, 0, v1, s[18:19]
	v_cmp_ngt_f32_e64 s[18:19], s28, v5
	s_waitcnt vmcnt(8)
	v_mul_f32_e32 v1, v27, v1
	v_cndmask_b32_e64 v3, 0, v3, s[18:19]
	v_cmp_nlt_f32_e64 s[18:19], s29, v5
	v_ldexp_f32 v5, v7, v8
	v_sub_f32_e32 v7, v38, v12
	v_mul_f32_e32 v8, 0x3fb8aa3b, v7
	v_fma_f32 v9, v7, s27, -v8
	v_rndne_f32_e32 v10, v8
	v_fmac_f32_e32 v9, 0x32a5705f, v7
	v_sub_f32_e32 v8, v8, v10
	v_add_f32_e32 v8, v8, v9
	v_exp_f32_e32 v8, v8
	v_cvt_i32_f32_e32 v9, v10
	v_cndmask_b32_e64 v3, v4, v3, s[18:19]
	v_cndmask_b32_e64 v3, 0, v3, s[16:17]
	v_cmp_ngt_f32_e64 s[16:17], s28, v6
	s_waitcnt vmcnt(7)
	v_mul_f32_e32 v3, v29, v3
	v_cndmask_b32_e64 v5, 0, v5, s[16:17]
	v_cmp_nlt_f32_e64 s[16:17], s29, v6
	v_ldexp_f32 v6, v8, v9
	v_sub_f32_e32 v8, v39, v12
	v_mul_f32_e32 v9, 0x3fb8aa3b, v8
	v_fma_f32 v10, v8, s27, -v9
	v_rndne_f32_e32 v11, v9
	v_fmac_f32_e32 v10, 0x32a5705f, v8
	v_sub_f32_e32 v9, v9, v11
	v_add_f32_e32 v9, v9, v10
	v_exp_f32_e32 v9, v9
	v_cvt_i32_f32_e32 v10, v11
	v_cndmask_b32_e64 v5, v4, v5, s[16:17]
	;; [unrolled: 17-line block ×5, first 2 shown]
	v_cndmask_b32_e64 v8, 0, v8, s[8:9]
	v_cmp_ngt_f32_e64 s[8:9], s28, v10
	v_sub_f32_e32 v12, v20, v12
	s_waitcnt vmcnt(3)
	v_mul_f32_e32 v8, v17, v8
	v_cndmask_b32_e64 v9, 0, v9, s[8:9]
	v_cmp_nlt_f32_e64 s[8:9], s29, v10
	v_ldexp_f32 v10, v13, v14
	v_mul_f32_e32 v13, 0x3fb8aa3b, v12
	v_fma_f32 v14, v12, s27, -v13
	v_rndne_f32_e32 v15, v13
	v_fmac_f32_e32 v14, 0x32a5705f, v12
	v_sub_f32_e32 v13, v13, v15
	v_add_f32_e32 v13, v13, v14
	v_cndmask_b32_e64 v9, v4, v9, s[8:9]
	v_exp_f32_e32 v13, v13
	v_cvt_i32_f32_e32 v14, v15
	v_cndmask_b32_e64 v9, 0, v9, s[6:7]
	v_cmp_ngt_f32_e64 s[6:7], s28, v11
	s_nop 1
	v_cndmask_b32_e64 v10, 0, v10, s[6:7]
	v_cmp_nlt_f32_e64 s[6:7], s29, v11
	v_ldexp_f32 v11, v13, v14
	v_lshlrev_b32_e32 v13, 2, v0
	v_cndmask_b32_e64 v10, v4, v10, s[6:7]
	v_cndmask_b32_e64 v10, 0, v10, s[4:5]
	v_cmp_ngt_f32_e64 s[4:5], s28, v12
	ds_write2st64_b32 v13, v1, v3 offset1:1
	ds_write2st64_b32 v13, v5, v6 offset0:2 offset1:3
	v_cndmask_b32_e64 v11, 0, v11, s[4:5]
	v_cmp_nlt_f32_e64 s[4:5], s29, v12
	s_nop 1
	v_cndmask_b32_e64 v4, v4, v11, s[4:5]
	v_add_f32_e32 v11, v1, v3
	v_add_f32_e32 v11, v11, v5
	;; [unrolled: 1-line block ×5, first 2 shown]
	s_waitcnt vmcnt(2)
	v_fmac_f32_e32 v11, v21, v9
	v_cndmask_b32_e32 v4, 0, v4, vcc
	s_waitcnt vmcnt(1)
	v_fmac_f32_e32 v11, v30, v10
	s_waitcnt vmcnt(0)
	v_fmac_f32_e32 v11, v2, v4
	ds_bpermute_b32 v12, v23, v11
	v_mul_f32_e32 v4, v2, v4
	v_cmp_eq_u32_e32 vcc, 0, v0
	v_mul_f32_e32 v9, v21, v9
	v_mul_f32_e32 v10, v30, v10
	s_waitcnt lgkmcnt(0)
	v_add_f32_e32 v11, v11, v12
	ds_bpermute_b32 v12, v24, v11
	ds_write2st64_b32 v13, v7, v8 offset0:4 offset1:5
	ds_write2st64_b32 v13, v9, v10 offset0:6 offset1:7
	ds_write_b32 v13, v4 offset:2048
	s_waitcnt lgkmcnt(3)
	v_add_f32_e32 v11, v11, v12
	ds_bpermute_b32 v12, v25, v11
	s_waitcnt lgkmcnt(0)
	v_add_f32_e32 v11, v11, v12
	ds_bpermute_b32 v12, v26, v11
	;; [unrolled: 3-line block ×4, first 2 shown]
	s_and_saveexec_b64 s[4:5], vcc
	s_cbranch_execz .LBB412_8
; %bb.7:
	s_waitcnt lgkmcnt(0)
	v_add_f32_e32 v1, v1, v2
	v_mov_b32_e32 v2, 0
	ds_write_b32 v2, v1 offset:2304
.LBB412_8:
	s_or_b64 exec, exec, s[4:5]
	v_mov_b32_e32 v1, s26
.LBB412_9:
	s_or_b64 exec, exec, s[40:41]
	s_lshl_b32 s4, s42, 6
	s_mov_b32 s5, 0
	s_lshl_b64 s[4:5], s[4:5], 1
	s_add_u32 s4, s24, s4
	s_addc_u32 s5, s25, s5
	s_lshl_b32 s10, s33, 6
	s_waitcnt lgkmcnt(0)
	v_lshlrev_b32_e32 v2, 6, v1
	v_mov_b32_e32 v1, 0
	s_sub_i32 s11, s10, 64
	v_mov_b32_e32 v3, v1
	s_cmp_lt_i32 s46, 1
	v_lshl_add_u64 v[2:3], v[2:3], 1, s[4:5]
	s_cselect_b32 s4, s11, 0
	v_lshlrev_b32_e32 v4, 1, v0
	v_mov_b32_e32 v5, v1
	s_ashr_i32 s5, s4, 31
	v_lshl_add_u64 v[2:3], v[2:3], 0, v[4:5]
	s_cmpk_lt_i32 s46, 0x101
	v_lshl_add_u64 v[4:5], s[4:5], 1, v[2:3]
	s_cselect_b32 s4, s11, 64
	s_ashr_i32 s5, s4, 31
	s_cmpk_lt_i32 s46, 0x201
	v_lshl_add_u64 v[6:7], s[4:5], 1, v[2:3]
	s_cselect_b32 s4, s11, 0x80
	s_ashr_i32 s5, s4, 31
	;; [unrolled: 4-line block ×8, first 2 shown]
	s_cmpk_lt_i32 s46, 0x901
	global_load_ushort v23, v[4:5], off
	global_load_ushort v22, v[6:7], off
	;; [unrolled: 1-line block ×8, first 2 shown]
	v_lshl_add_u64 v[4:5], s[4:5], 1, v[2:3]
	s_cselect_b32 s4, s11, 0x240
	s_ashr_i32 s5, s4, 31
	s_cmpk_lt_i32 s46, 0xa01
	v_lshl_add_u64 v[6:7], s[4:5], 1, v[2:3]
	s_cselect_b32 s4, s11, 0x280
	s_ashr_i32 s5, s4, 31
	s_cmpk_lt_i32 s46, 0xb01
	;; [unrolled: 4-line block ×6, first 2 shown]
	v_lshl_add_u64 v[32:33], s[4:5], 1, v[2:3]
	s_cselect_b32 s4, s11, 0x3c0
	s_ashr_i32 s5, s4, 31
	v_lshl_add_u64 v[34:35], s[4:5], 1, v[2:3]
	global_load_ushort v30, v[4:5], off
	global_load_ushort v31, v[6:7], off
	;; [unrolled: 1-line block ×8, first 2 shown]
	s_cmpk_gt_i32 s46, 0x1000
	s_cselect_b64 s[8:9], -1, 0
	s_cmpk_lt_i32 s46, 0x1001
	v_mov_b32_e32 v40, 0
	v_mov_b32_e32 v41, 0
	;; [unrolled: 1-line block ×48, first 2 shown]
	s_waitcnt lgkmcnt(0)
	; wave barrier
	s_cbranch_scc1 .LBB412_12
; %bb.10:
	s_cmpk_lt_u32 s46, 0x1101
	s_cselect_b32 s4, s11, 0x440
	s_ashr_i32 s5, s4, 31
	s_cmpk_lt_u32 s46, 0x1201
	v_lshl_add_u64 v[4:5], s[4:5], 1, v[2:3]
	s_cselect_b32 s4, s11, 0x480
	s_ashr_i32 s5, s4, 31
	s_cmpk_lt_u32 s46, 0x1301
	v_lshl_add_u64 v[6:7], s[4:5], 1, v[2:3]
	;; [unrolled: 4-line block ×7, first 2 shown]
	s_cselect_b32 s4, s11, 0x600
	s_ashr_i32 s5, s4, 31
	s_cmpk_lt_u32 s46, 0x1901
	global_load_ushort v39, v[2:3], off offset:2048
	global_load_ushort v38, v[4:5], off
	global_load_ushort v37, v[6:7], off
	;; [unrolled: 1-line block ×7, first 2 shown]
	v_lshl_add_u64 v[4:5], s[4:5], 1, v[2:3]
	s_cselect_b32 s4, s11, 0x640
	s_ashr_i32 s5, s4, 31
	s_cmpk_lt_u32 s46, 0x1a01
	v_lshl_add_u64 v[6:7], s[4:5], 1, v[2:3]
	s_cselect_b32 s4, s11, 0x680
	s_ashr_i32 s5, s4, 31
	s_cmpk_lt_u32 s46, 0x1b01
	;; [unrolled: 4-line block ×6, first 2 shown]
	v_lshl_add_u64 v[48:49], s[4:5], 1, v[2:3]
	s_cselect_b32 s4, s11, 0x7c0
	s_ashr_i32 s5, s4, 31
	v_lshl_add_u64 v[50:51], s[4:5], 1, v[2:3]
	global_load_ushort v47, v[4:5], off
	global_load_ushort v46, v[6:7], off
	;; [unrolled: 1-line block ×8, first 2 shown]
	s_cmpk_lt_u32 s46, 0x2001
	v_mov_b32_e32 v67, 0
	v_mov_b32_e32 v65, 0
	;; [unrolled: 1-line block ×32, first 2 shown]
	s_cbranch_scc1 .LBB412_12
; %bb.11:
	s_cmpk_lt_u32 s46, 0x2101
	s_cselect_b32 s4, s11, 0x840
	s_ashr_i32 s5, s4, 31
	s_cmpk_lt_u32 s46, 0x2201
	v_lshl_add_u64 v[4:5], s[4:5], 1, v[2:3]
	s_cselect_b32 s4, s11, 0x880
	s_ashr_i32 s5, s4, 31
	s_cmpk_lt_u32 s46, 0x2301
	v_lshl_add_u64 v[6:7], s[4:5], 1, v[2:3]
	;; [unrolled: 4-line block ×29, first 2 shown]
	s_cselect_b32 s4, s11, 0xf80
	s_ashr_i32 s5, s4, 31
	v_lshl_add_u64 v[94:95], s[4:5], 1, v[2:3]
	s_movk_i32 s4, 0x1000
	s_cmpk_lt_u32 s46, 0x3f01
	v_add_co_u32_e32 v96, vcc, s4, v2
	s_cselect_b32 s4, s11, 0xfc0
	s_nop 0
	v_addc_co_u32_e32 v97, vcc, 0, v3, vcc
	s_ashr_i32 s5, s4, 31
	global_load_ushort v98, v[96:97], off
	global_load_ushort v99, v[4:5], off
	;; [unrolled: 1-line block ×15, first 2 shown]
                                        ; kill: killed $vgpr52_vgpr53
                                        ; kill: killed $vgpr4_vgpr5
                                        ; kill: killed $vgpr58_vgpr59
                                        ; kill: killed $vgpr10_vgpr11
                                        ; kill: killed $vgpr48_vgpr49
                                        ; kill: killed $vgpr54_vgpr55
                                        ; kill: killed $vgpr6_vgpr7
                                        ; kill: killed $vgpr60_vgpr61
                                        ; kill: killed $vgpr12_vgpr13
                                        ; kill: killed $vgpr50_vgpr51
                                        ; kill: killed $vgpr56_vgpr57
                                        ; kill: killed $vgpr8_vgpr9
                                        ; kill: killed $vgpr62_vgpr63
                                        ; kill: killed $vgpr14_vgpr15
                                        ; kill: killed $vgpr96 killed $vgpr97
	global_load_ushort v6, v[64:65], off
	global_load_ushort v7, v[66:67], off
	;; [unrolled: 1-line block ×15, first 2 shown]
                                        ; kill: killed $vgpr84_vgpr85
                                        ; kill: killed $vgpr68_vgpr69
                                        ; kill: killed $vgpr90_vgpr91
                                        ; kill: killed $vgpr74_vgpr75
                                        ; kill: killed $vgpr80_vgpr81
                                        ; kill: killed $vgpr64_vgpr65
                                        ; kill: killed $vgpr70_vgpr71
                                        ; kill: killed $vgpr92_vgpr93
                                        ; kill: killed $vgpr76_vgpr77
                                        ; kill: killed $vgpr82_vgpr83
                                        ; kill: killed $vgpr66_vgpr67
                                        ; kill: killed $vgpr88_vgpr89
                                        ; kill: killed $vgpr72_vgpr73
                                        ; kill: killed $vgpr94_vgpr95
                                        ; kill: killed $vgpr78_vgpr79
	global_load_ushort v68, v[86:87], off
	v_lshl_add_u64 v[4:5], s[4:5], 1, v[2:3]
	global_load_ushort v5, v[4:5], off
	s_waitcnt vmcnt(31)
	v_lshlrev_b32_e32 v67, 16, v98
	s_waitcnt vmcnt(30)
	v_lshlrev_b32_e32 v65, 16, v99
	;; [unrolled: 2-line block ×32, first 2 shown]
.LBB412_12:
	s_load_dwordx2 s[4:5], s[0:1], 0x0
	s_load_dwordx2 s[6:7], s[0:1], 0x38
	ds_read_b128 v[68:71], v1
	s_waitcnt vmcnt(15)
	v_lshlrev_b32_e32 v23, 16, v23
	ds_read_b128 v[72:75], v1 offset:16
	ds_read_b128 v[76:79], v1 offset:32
	;; [unrolled: 1-line block ×3, first 2 shown]
	s_waitcnt vmcnt(14)
	v_lshlrev_b32_e32 v22, 16, v22
	s_waitcnt vmcnt(13)
	v_lshlrev_b32_e32 v21, 16, v21
	s_waitcnt lgkmcnt(0)
	v_fma_f32 v23, v68, v23, 0
	v_fmac_f32_e32 v23, v69, v22
	v_fmac_f32_e32 v23, v70, v21
	s_waitcnt vmcnt(12)
	v_lshlrev_b32_e32 v20, 16, v20
	s_waitcnt vmcnt(10)
	v_lshlrev_b32_e32 v19, 16, v19
	v_lshlrev_b32_e32 v18, 16, v18
	v_fmac_f32_e32 v23, v71, v20
	v_pk_mul_f32 v[18:19], v[72:73], v[18:19]
	s_waitcnt vmcnt(8)
	v_lshlrev_b32_e32 v17, 16, v17
	v_add_f32_e32 v18, v23, v18
	v_lshlrev_b32_e32 v16, 16, v16
	v_add_f32_e32 v18, v18, v19
	v_pk_mul_f32 v[16:17], v[74:75], v[16:17]
	s_and_b64 vcc, exec, s[8:9]
	v_add_f32_e32 v16, v18, v16
	v_add_f32_e32 v18, v16, v17
	s_waitcnt vmcnt(6)
	v_lshlrev_b32_e32 v17, 16, v31
	v_lshlrev_b32_e32 v16, 16, v30
	v_pk_mul_f32 v[16:17], v[76:77], v[16:17]
	s_nop 0
	v_add_f32_e32 v16, v18, v16
	v_add_f32_e32 v18, v16, v17
	s_waitcnt vmcnt(4)
	v_lshlrev_b32_e32 v17, 16, v29
	v_lshlrev_b32_e32 v16, 16, v28
	v_pk_mul_f32 v[16:17], v[78:79], v[16:17]
	s_nop 0
	;; [unrolled: 7-line block ×4, first 2 shown]
	v_add_f32_e32 v16, v18, v16
	v_add_f32_e32 v110, v16, v17
	s_cbranch_vccz .LBB412_15
; %bb.13:
	ds_read_b128 v[16:19], v1 offset:64
	v_lshlrev_b32_e32 v39, 16, v39
	ds_read_b128 v[20:23], v1 offset:80
	ds_read_b128 v[24:27], v1 offset:96
	;; [unrolled: 1-line block ×3, first 2 shown]
	s_cmpk_lt_u32 s46, 0x2001
	s_waitcnt lgkmcnt(3)
	v_fmac_f32_e32 v110, v16, v39
	v_lshlrev_b32_e32 v16, 16, v38
	v_fmac_f32_e32 v110, v17, v16
	v_lshlrev_b32_e32 v16, 16, v37
	v_fmac_f32_e32 v110, v18, v16
	v_lshlrev_b32_e32 v16, 16, v36
	v_fmac_f32_e32 v110, v19, v16
	v_lshlrev_b32_e32 v16, 16, v35
	s_waitcnt lgkmcnt(2)
	v_fmac_f32_e32 v110, v20, v16
	v_lshlrev_b32_e32 v16, 16, v34
	v_fmac_f32_e32 v110, v21, v16
	v_lshlrev_b32_e32 v16, 16, v33
	v_fmac_f32_e32 v110, v22, v16
	v_lshlrev_b32_e32 v16, 16, v32
	v_fmac_f32_e32 v110, v23, v16
	v_lshlrev_b32_e32 v16, 16, v47
	;; [unrolled: 9-line block ×3, first 2 shown]
	s_waitcnt lgkmcnt(0)
	v_fmac_f32_e32 v110, v28, v16
	v_lshlrev_b32_e32 v16, 16, v42
	v_fmac_f32_e32 v110, v29, v16
	v_lshlrev_b32_e32 v16, 16, v41
	;; [unrolled: 2-line block ×3, first 2 shown]
	v_fmac_f32_e32 v110, v31, v16
	s_cbranch_scc1 .LBB412_15
; %bb.14:
	v_mov_b32_e32 v32, 0
	ds_read_b128 v[16:19], v32 offset:128
	ds_read_b128 v[20:23], v32 offset:144
	;; [unrolled: 1-line block ×4, first 2 shown]
	s_waitcnt lgkmcnt(3)
	v_fmac_f32_e32 v110, v16, v67
	v_fmac_f32_e32 v110, v17, v65
	v_fmac_f32_e32 v110, v18, v66
	v_fmac_f32_e32 v110, v19, v63
	s_waitcnt lgkmcnt(2)
	v_fmac_f32_e32 v110, v20, v64
	v_fmac_f32_e32 v110, v21, v61
	v_fmac_f32_e32 v110, v22, v62
	v_fmac_f32_e32 v110, v23, v59
	;; [unrolled: 5-line block ×3, first 2 shown]
	ds_read_b128 v[16:19], v32 offset:192
	ds_read_b128 v[20:23], v32 offset:208
	s_waitcnt lgkmcnt(2)
	v_fmac_f32_e32 v110, v28, v56
	v_fmac_f32_e32 v110, v29, v53
	;; [unrolled: 1-line block ×4, first 2 shown]
	s_waitcnt lgkmcnt(1)
	v_fmac_f32_e32 v110, v16, v51
	v_fmac_f32_e32 v110, v17, v49
	;; [unrolled: 1-line block ×4, first 2 shown]
	s_waitcnt lgkmcnt(0)
	v_pk_mul_f32 v[14:15], v[20:21], v[14:15]
	v_pk_mul_f32 v[12:13], v[22:23], v[12:13]
	v_add_f32_e32 v14, v110, v14
	v_add_f32_e32 v18, v14, v15
	ds_read_b128 v[14:17], v32 offset:224
	v_add_f32_e32 v12, v18, v12
	ds_read_b128 v[18:21], v32 offset:240
	v_add_f32_e32 v12, v12, v13
	s_waitcnt lgkmcnt(1)
	v_pk_mul_f32 v[10:11], v[14:15], v[10:11]
	s_nop 0
	v_add_f32_e32 v10, v12, v10
	v_add_f32_e32 v10, v10, v11
	v_pk_mul_f32 v[8:9], v[16:17], v[8:9]
	s_waitcnt lgkmcnt(0)
	v_pk_mul_f32 v[6:7], v[18:19], v[6:7]
	v_add_f32_e32 v8, v10, v8
	v_add_f32_e32 v8, v8, v9
	;; [unrolled: 1-line block ×4, first 2 shown]
	v_pk_mul_f32 v[4:5], v[20:21], v[4:5]
	s_nop 0
	v_add_f32_e32 v4, v6, v4
	v_add_f32_e32 v110, v4, v5
.LBB412_15:
	s_movk_i32 s0, 0x1fc0
	s_movk_i32 s1, 0x100
	s_mov_b32 s8, 64
	s_branch .LBB412_17
.LBB412_16:                             ;   in Loop: Header=BB412_17 Depth=1
	s_addk_i32 s0, 0x1000
	s_addk_i32 s1, 0x100
	s_add_i32 s8, s8, 64
	s_cmpk_eq_u32 s0, 0x9fc0
	s_cbranch_scc1 .LBB412_19
.LBB412_17:                             ; =>This Inner Loop Header: Depth=1
	s_cmp_le_i32 s33, s8
	s_cbranch_scc1 .LBB412_16
; %bb.18:                               ;   in Loop: Header=BB412_17 Depth=1
	s_add_i32 s9, s0, 0xfffff040
	s_cmp_lt_i32 s9, s10
	s_cselect_b32 s12, s9, s11
	s_ashr_i32 s13, s12, 31
	s_add_i32 s9, s0, 0xfffff080
	s_cmp_lt_i32 s9, s10
	v_lshl_add_u64 v[44:45], s[12:13], 1, v[2:3]
	s_cselect_b32 s12, s9, s11
	s_ashr_i32 s13, s12, 31
	s_add_i32 s9, s0, 0xfffff0c0
	s_cmp_lt_i32 s9, s10
	v_lshl_add_u64 v[4:5], s[12:13], 1, v[2:3]
	;; [unrolled: 5-line block ×17, first 2 shown]
	s_cselect_b32 s12, s9, s11
	s_ashr_i32 s13, s12, 31
	s_add_i32 s9, s0, 0xfffff4c0
	s_cmp_lt_i32 s9, s10
	global_load_ushort v111, v[44:45], off
	global_load_ushort v121, v[46:47], off
	v_lshl_add_u64 v[22:23], s[12:13], 1, v[2:3]
	s_cselect_b32 s12, s9, s11
	global_load_ushort v112, v[4:5], off
	global_load_ushort v113, v[6:7], off
	;; [unrolled: 1-line block ×7, first 2 shown]
	s_ashr_i32 s13, s12, 31
	s_add_i32 s9, s0, 0xfffff500
	s_cmp_lt_i32 s9, s10
	v_lshl_add_u64 v[24:25], s[12:13], 1, v[2:3]
	s_cselect_b32 s12, s9, s11
	s_ashr_i32 s13, s12, 31
	s_add_i32 s9, s0, 0xfffff540
	s_cmp_lt_i32 s9, s10
	v_lshl_add_u64 v[32:33], s[12:13], 1, v[2:3]
	s_cselect_b32 s12, s9, s11
	;; [unrolled: 5-line block ×3, first 2 shown]
	s_ashr_i32 s13, s12, 31
	s_add_i32 s9, s0, 0xfffff5c0
	s_cmp_lt_i32 s9, s10
	global_load_ushort v119, v[28:29], off
	global_load_ushort v120, v[30:31], off
	v_lshl_add_u64 v[34:35], s[12:13], 1, v[2:3]
	s_cselect_b32 s12, s9, s11
	s_ashr_i32 s13, s12, 31
	s_add_i32 s9, s0, 0xfffff600
	s_cmp_lt_i32 s9, s10
	v_lshl_add_u64 v[36:37], s[12:13], 1, v[2:3]
	s_cselect_b32 s12, s9, s11
	s_ashr_i32 s13, s12, 31
	s_add_i32 s9, s0, 0xfffff640
	s_cmp_lt_i32 s9, s10
	v_lshl_add_u64 v[50:51], s[12:13], 1, v[2:3]
	s_cselect_b32 s12, s9, s11
	global_load_ushort v122, v[54:55], off
	global_load_ushort v123, v[56:57], off
	s_ashr_i32 s13, s12, 31
	global_load_ushort v58, v[58:59], off
	s_add_i32 s9, s0, 0xfffff680
	s_cmp_lt_i32 s9, s10
	v_lshl_add_u64 v[38:39], s[12:13], 1, v[2:3]
	s_cselect_b32 s12, s9, s11
	global_load_ushort v59, v[60:61], off
	s_ashr_i32 s13, s12, 31
	s_add_i32 s9, s0, 0xfffff6c0
	global_load_ushort v60, v[66:67], off
	global_load_ushort v61, v[62:63], off
	s_cmp_lt_i32 s9, s10
	v_lshl_add_u64 v[18:19], s[12:13], 1, v[2:3]
	s_cselect_b32 s12, s9, s11
	s_ashr_i32 s13, s12, 31
	s_add_i32 s9, s0, 0xfffff700
	s_cmp_lt_i32 s9, s10
	v_lshl_add_u64 v[20:21], s[12:13], 1, v[2:3]
	s_cselect_b32 s12, s9, s11
	s_ashr_i32 s13, s12, 31
	s_add_i32 s9, s0, 0xfffff740
	s_cmp_lt_i32 s9, s10
	v_lshl_add_u64 v[40:41], s[12:13], 1, v[2:3]
	s_cselect_b32 s12, s9, s11
	s_ashr_i32 s13, s12, 31
	s_add_i32 s9, s0, 0xfffff780
	s_cmp_lt_i32 s9, s10
	v_lshl_add_u64 v[42:43], s[12:13], 1, v[2:3]
	s_cselect_b32 s12, s9, s11
	global_load_ushort v62, v[22:23], off
	s_ashr_i32 s13, s12, 31
	s_add_i32 s9, s0, 0xfffff7c0
	global_load_ushort v66, v[32:33], off
	global_load_ushort v124, v[34:35], off
	;; [unrolled: 1-line block ×4, first 2 shown]
	s_cmp_lt_i32 s9, s10
	v_lshl_add_u64 v[26:27], s[12:13], 1, v[2:3]
	s_cselect_b32 s12, s9, s11
	global_load_ushort v67, v[48:49], off
	s_ashr_i32 s13, s12, 31
	s_add_i32 s9, s0, 0xfffff800
	s_cmp_lt_i32 s9, s10
	v_lshl_add_u64 v[52:53], s[12:13], 1, v[2:3]
	s_cselect_b32 s12, s9, s11
	s_ashr_i32 s13, s12, 31
	s_add_i32 s9, s0, 0xfffff840
	s_cmp_lt_i32 s9, s10
	v_lshl_add_u64 v[64:65], s[12:13], 1, v[2:3]
	s_cselect_b32 s12, s9, s11
	s_ashr_i32 s13, s12, 31
	s_add_i32 s9, s0, 0xfffff880
	s_cmp_lt_i32 s9, s10
	v_mov_b32_e32 v125, s1
	v_lshl_add_u64 v[68:69], s[12:13], 1, v[2:3]
	s_cselect_b32 s12, s9, s11
	ds_read_b128 v[30:33], v125
	ds_read_b128 v[34:37], v125 offset:16
	global_load_ushort v50, v[50:51], off
	s_ashr_i32 s13, s12, 31
	s_add_i32 s9, s0, 0xfffff8c0
	s_cmp_lt_i32 s9, s10
	v_lshl_add_u64 v[70:71], s[12:13], 1, v[2:3]
	s_cselect_b32 s12, s9, s11
	ds_read_b128 v[46:49], v125 offset:32
	ds_read_b128 v[54:57], v125 offset:48
	global_load_ushort v38, v[38:39], off
	s_ashr_i32 s13, s12, 31
	s_add_i32 s9, s0, 0xfffff900
	s_cmp_lt_i32 s9, s10
	v_lshl_add_u64 v[72:73], s[12:13], 1, v[2:3]
	s_cselect_b32 s12, s9, s11
	global_load_ushort v39, v[18:19], off
	s_ashr_i32 s13, s12, 31
	global_load_ushort v26, v[26:27], off
	s_add_i32 s9, s0, 0xfffff940
	s_cmp_lt_i32 s9, s10
	v_lshl_add_u64 v[74:75], s[12:13], 1, v[2:3]
	s_cselect_b32 s12, s9, s11
	s_ashr_i32 s13, s12, 31
	s_add_i32 s9, s0, 0xfffff980
	s_cmp_lt_i32 s9, s10
	v_lshl_add_u64 v[76:77], s[12:13], 1, v[2:3]
	s_cselect_b32 s12, s9, s11
	s_ashr_i32 s13, s12, 31
	;; [unrolled: 5-line block ×5, first 2 shown]
	s_add_i32 s9, s0, 0xfffffa80
	s_cmp_lt_i32 s9, s10
	v_lshl_add_u64 v[84:85], s[12:13], 1, v[2:3]
	global_load_ushort v51, v[84:85], off
	s_cselect_b32 s12, s9, s11
	s_ashr_i32 s13, s12, 31
	s_add_i32 s9, s0, 0xfffffac0
	s_cmp_lt_i32 s9, s10
	v_lshl_add_u64 v[86:87], s[12:13], 1, v[2:3]
	s_cselect_b32 s12, s9, s11
	s_ashr_i32 s13, s12, 31
	s_add_i32 s9, s0, 0xfffffb00
	s_cmp_lt_i32 s9, s10
	v_lshl_add_u64 v[88:89], s[12:13], 1, v[2:3]
	;; [unrolled: 5-line block ×3, first 2 shown]
	s_cselect_b32 s12, s9, s11
	s_ashr_i32 s13, s12, 31
	s_add_i32 s9, s0, 0xfffffb80
	s_waitcnt vmcnt(27)
	v_lshlrev_b32_e32 v111, 16, v111
	s_cmp_lt_i32 s9, s10
	s_waitcnt lgkmcnt(3)
	v_fmac_f32_e32 v110, v30, v111
	s_waitcnt vmcnt(25)
	v_lshlrev_b32_e32 v30, 16, v112
	v_lshl_add_u64 v[92:93], s[12:13], 1, v[2:3]
	s_cselect_b32 s12, s9, s11
	v_fmac_f32_e32 v110, v31, v30
	s_waitcnt vmcnt(24)
	v_lshlrev_b32_e32 v30, 16, v113
	s_ashr_i32 s13, s12, 31
	s_add_i32 s9, s0, 0xfffffbc0
	v_fmac_f32_e32 v110, v32, v30
	s_waitcnt vmcnt(23)
	v_lshlrev_b32_e32 v30, 16, v114
	s_cmp_lt_i32 s9, s10
	v_fmac_f32_e32 v110, v33, v30
	s_waitcnt vmcnt(22)
	v_lshlrev_b32_e32 v18, 16, v115
	v_lshl_add_u64 v[94:95], s[12:13], 1, v[2:3]
	s_cselect_b32 s12, s9, s11
	s_waitcnt lgkmcnt(2)
	v_fmac_f32_e32 v110, v34, v18
	global_load_ushort v34, v[20:21], off
	s_ashr_i32 s13, s12, 31
	global_load_ushort v40, v[40:41], off
	s_add_i32 s9, s0, 0xfffffc00
	s_waitcnt vmcnt(23)
	v_lshlrev_b32_e32 v18, 16, v116
	s_cmp_lt_i32 s9, s10
	v_fmac_f32_e32 v110, v35, v18
	global_load_ushort v35, v[42:43], off
	global_load_ushort v27, v[52:53], off
	v_lshl_add_u64 v[96:97], s[12:13], 1, v[2:3]
	s_cselect_b32 s12, s9, s11
	s_ashr_i32 s13, s12, 31
	s_add_i32 s9, s0, 0xfffffc40
	s_cmp_lt_i32 s9, s10
	s_waitcnt vmcnt(24)
	v_lshlrev_b32_e32 v18, 16, v117
	v_lshl_add_u64 v[100:101], s[12:13], 1, v[2:3]
	s_cselect_b32 s12, s9, s11
	v_fmac_f32_e32 v110, v36, v18
	global_load_ushort v36, v[64:65], off
	s_waitcnt vmcnt(24)
	v_lshlrev_b32_e32 v18, 16, v118
	s_ashr_i32 s13, s12, 31
	s_add_i32 s9, s0, 0xfffffc80
	v_fmac_f32_e32 v110, v37, v18
	global_load_ushort v37, v[68:69], off
	s_waitcnt vmcnt(24)
	v_lshlrev_b32_e32 v18, 16, v119
	s_cmp_lt_i32 s9, s10
	s_waitcnt lgkmcnt(1)
	v_fmac_f32_e32 v110, v46, v18
	global_load_ushort v46, v[76:77], off
	s_waitcnt vmcnt(24)
	v_lshlrev_b32_e32 v18, 16, v120
	v_lshl_add_u64 v[102:103], s[12:13], 1, v[2:3]
	s_cselect_b32 s12, s9, s11
	v_fmac_f32_e32 v110, v47, v18
	v_lshlrev_b32_e32 v18, 16, v121
	s_ashr_i32 s13, s12, 31
	s_add_i32 s9, s0, 0xfffffcc0
	v_fmac_f32_e32 v110, v48, v18
	global_load_ushort v48, v[80:81], off
	global_load_ushort v41, v[70:71], off
	;; [unrolled: 1-line block ×5, first 2 shown]
	s_cmp_lt_i32 s9, s10
	v_lshl_add_u64 v[104:105], s[12:13], 1, v[2:3]
	s_cselect_b32 s12, s9, s11
	s_ashr_i32 s13, s12, 31
	s_add_i32 s9, s0, 0xfffffd00
	s_cmp_lt_i32 s9, s10
	s_waitcnt vmcnt(28)
	v_lshlrev_b32_e32 v18, 16, v122
	v_lshl_add_u64 v[106:107], s[12:13], 1, v[2:3]
	s_cselect_b32 s12, s9, s11
	v_fmac_f32_e32 v110, v49, v18
	global_load_ushort v49, v[82:83], off
	global_load_ushort v52, v[86:87], off
	s_waitcnt vmcnt(29)
	v_lshlrev_b32_e32 v18, 16, v123
	s_ashr_i32 s13, s12, 31
	s_add_i32 s9, s0, 0xfffffd40
	s_waitcnt lgkmcnt(0)
	v_fmac_f32_e32 v110, v54, v18
	global_load_ushort v54, v[88:89], off
	s_waitcnt vmcnt(29)
	v_lshlrev_b32_e32 v18, 16, v58
	s_cmp_lt_i32 s9, s10
	v_fmac_f32_e32 v110, v55, v18
	global_load_ushort v55, v[90:91], off
	s_waitcnt vmcnt(29)
	v_lshlrev_b32_e32 v18, 16, v59
	v_lshl_add_u64 v[98:99], s[12:13], 1, v[2:3]
	s_cselect_b32 s12, s9, s11
	v_fmac_f32_e32 v110, v56, v18
	s_waitcnt vmcnt(28)
	v_lshlrev_b32_e32 v18, 16, v60
	s_ashr_i32 s13, s12, 31
	s_add_i32 s9, s0, 0xfffffd80
	v_fmac_f32_e32 v110, v57, v18
	ds_read_b128 v[18:21], v125 offset:64
	ds_read_b128 v[30:33], v125 offset:80
	s_cmp_lt_i32 s9, s10
	v_lshl_add_u64 v[44:45], s[12:13], 1, v[2:3]
	s_cselect_b32 s12, s9, s11
	s_ashr_i32 s13, s12, 31
	s_add_i32 s9, s0, 0xfffffdc0
	s_cmp_lt_i32 s9, s10
	s_waitcnt vmcnt(27)
	v_lshlrev_b32_e32 v53, 16, v61
	v_lshl_add_u64 v[108:109], s[12:13], 1, v[2:3]
	s_cselect_b32 s12, s9, s11
	s_waitcnt lgkmcnt(1)
	v_fmac_f32_e32 v110, v18, v53
	global_load_ushort v53, v[92:93], off
	global_load_ushort v56, v[94:95], off
	;; [unrolled: 1-line block ×6, first 2 shown]
	s_ashr_i32 s13, s12, 31
	s_add_i32 s9, s0, 0xfffffe00
	s_cmp_lt_i32 s9, s10
	v_lshl_add_u64 v[4:5], s[12:13], 1, v[2:3]
	s_cselect_b32 s12, s9, s11
	s_ashr_i32 s13, s12, 31
	s_add_i32 s9, s0, 0xfffffe40
	s_cmp_lt_i32 s9, s10
	s_waitcnt vmcnt(32)
	v_lshlrev_b32_e32 v18, 16, v62
	v_lshl_add_u64 v[6:7], s[12:13], 1, v[2:3]
	s_cselect_b32 s12, s9, s11
	v_fmac_f32_e32 v110, v19, v18
	s_waitcnt vmcnt(28)
	v_lshlrev_b32_e32 v18, 16, v63
	s_ashr_i32 s13, s12, 31
	s_add_i32 s9, s0, 0xfffffe80
	v_fmac_f32_e32 v110, v20, v18
	v_lshlrev_b32_e32 v18, 16, v66
	s_cmp_lt_i32 s9, s10
	v_fmac_f32_e32 v110, v21, v18
	s_waitcnt vmcnt(27)
	v_lshlrev_b32_e32 v18, 16, v67
	v_lshl_add_u64 v[8:9], s[12:13], 1, v[2:3]
	s_cselect_b32 s12, s9, s11
	s_waitcnt lgkmcnt(0)
	v_fmac_f32_e32 v110, v30, v18
	global_load_ushort v30, v[106:107], off
	s_ashr_i32 s13, s12, 31
	s_add_i32 s9, s0, 0xfffffec0
	s_cmp_lt_i32 s9, s10
	global_load_ushort v61, v[98:99], off
	global_load_ushort v62, v[44:45], off
	global_load_ushort v63, v[108:109], off
	v_lshl_add_u64 v[12:13], s[12:13], 1, v[2:3]
	s_cselect_b32 s12, s9, s11
	v_lshlrev_b32_e32 v18, 16, v124
	s_ashr_i32 s13, s12, 31
	s_add_i32 s9, s0, 0xffffff00
	v_fmac_f32_e32 v110, v31, v18
	v_lshlrev_b32_e32 v18, 16, v126
	s_cmp_lt_i32 s9, s10
	v_fmac_f32_e32 v110, v32, v18
	global_load_ushort v31, v[4:5], off
	global_load_ushort v32, v[6:7], off
	v_lshl_add_u64 v[10:11], s[12:13], 1, v[2:3]
	s_cselect_b32 s12, s9, s11
	s_ashr_i32 s13, s12, 31
	s_add_i32 s9, s0, 0xffffff40
	s_cmp_lt_i32 s9, s10
	s_waitcnt vmcnt(32)
	v_lshlrev_b32_e32 v4, 16, v50
	v_lshl_add_u64 v[16:17], s[12:13], 1, v[2:3]
	s_cselect_b32 s12, s9, s11
	v_fmac_f32_e32 v110, v33, v4
	ds_read_b128 v[4:7], v125 offset:96
	s_ashr_i32 s13, s12, 31
	s_add_i32 s9, s0, 0xffffff80
	s_cmp_lt_i32 s9, s10
	s_waitcnt vmcnt(31)
	v_lshlrev_b32_e32 v33, 16, v38
	global_load_ushort v38, v[8:9], off
	global_load_ushort v44, v[12:13], off
	v_lshl_add_u64 v[14:15], s[12:13], 1, v[2:3]
	s_cselect_b32 s12, s9, s11
	s_ashr_i32 s13, s12, 31
	s_sub_i32 s9, s0, 64
	s_cmp_lt_i32 s9, s10
	ds_read_b128 v[18:21], v125 offset:112
	s_waitcnt lgkmcnt(1)
	v_fmac_f32_e32 v110, v4, v33
	s_waitcnt vmcnt(32)
	v_lshlrev_b32_e32 v4, 16, v39
	global_load_ushort v33, v[10:11], off
	global_load_ushort v39, v[16:17], off
	v_lshl_add_u64 v[28:29], s[12:13], 1, v[2:3]
	s_cselect_b32 s12, s9, s11
	s_ashr_i32 s13, s12, 31
	s_cmp_lt_i32 s0, s10
	global_load_ushort v16, v[14:15], off
	global_load_ushort v17, v[28:29], off
	v_lshl_add_u64 v[22:23], s[12:13], 1, v[2:3]
	s_cselect_b32 s12, s0, s11
	s_ashr_i32 s13, s12, 31
	v_lshl_add_u64 v[24:25], s[12:13], 1, v[2:3]
	global_load_ushort v14, v[22:23], off
	global_load_ushort v15, v[24:25], off
	v_fmac_f32_e32 v110, v5, v4
	s_waitcnt vmcnt(35)
	v_lshlrev_b32_e32 v4, 16, v34
	v_fmac_f32_e32 v110, v6, v4
	s_waitcnt vmcnt(34)
	v_lshlrev_b32_e32 v4, 16, v40
	;; [unrolled: 3-line block ×3, first 2 shown]
	s_waitcnt lgkmcnt(0)
	v_fmac_f32_e32 v110, v18, v4
	v_lshlrev_b32_e32 v4, 16, v26
	v_fmac_f32_e32 v110, v19, v4
	s_waitcnt vmcnt(32)
	v_lshlrev_b32_e32 v4, 16, v27
	v_fmac_f32_e32 v110, v20, v4
	ds_read_b128 v[4:7], v125 offset:128
	s_waitcnt vmcnt(31)
	v_lshlrev_b32_e32 v8, 16, v36
	v_fmac_f32_e32 v110, v21, v8
	ds_read_b128 v[8:11], v125 offset:144
	s_waitcnt vmcnt(30)
	v_lshlrev_b32_e32 v12, 16, v37
	s_waitcnt lgkmcnt(1)
	v_fmac_f32_e32 v110, v4, v12
	s_waitcnt vmcnt(27)
	v_lshlrev_b32_e32 v4, 16, v41
	v_fmac_f32_e32 v110, v5, v4
	s_waitcnt vmcnt(26)
	v_lshlrev_b32_e32 v4, 16, v42
	;; [unrolled: 3-line block ×3, first 2 shown]
	v_fmac_f32_e32 v110, v7, v4
	v_lshlrev_b32_e32 v4, 16, v46
	s_waitcnt lgkmcnt(0)
	v_fmac_f32_e32 v110, v8, v4
	s_waitcnt vmcnt(24)
	v_lshlrev_b32_e32 v4, 16, v47
	v_fmac_f32_e32 v110, v9, v4
	v_lshlrev_b32_e32 v4, 16, v48
	v_fmac_f32_e32 v110, v10, v4
	ds_read_b128 v[4:7], v125 offset:160
	s_waitcnt vmcnt(23)
	v_lshlrev_b32_e32 v8, 16, v49
	v_fmac_f32_e32 v110, v11, v8
	ds_read_b128 v[8:11], v125 offset:176
	v_lshlrev_b32_e32 v12, 16, v51
	s_waitcnt lgkmcnt(1)
	v_fmac_f32_e32 v110, v4, v12
	s_waitcnt vmcnt(22)
	v_lshlrev_b32_e32 v4, 16, v52
	v_fmac_f32_e32 v110, v5, v4
	s_waitcnt vmcnt(21)
	v_lshlrev_b32_e32 v4, 16, v54
	;; [unrolled: 3-line block ×4, first 2 shown]
	s_waitcnt lgkmcnt(0)
	v_fmac_f32_e32 v110, v8, v4
	s_waitcnt vmcnt(18)
	v_lshlrev_b32_e32 v4, 16, v56
	v_fmac_f32_e32 v110, v9, v4
	s_waitcnt vmcnt(17)
	v_lshlrev_b32_e32 v4, 16, v57
	v_fmac_f32_e32 v110, v10, v4
	ds_read_b128 v[4:7], v125 offset:192
	s_waitcnt vmcnt(16)
	v_lshlrev_b32_e32 v8, 16, v58
	v_fmac_f32_e32 v110, v11, v8
	ds_read_b128 v[8:11], v125 offset:208
	s_waitcnt vmcnt(15)
	v_lshlrev_b32_e32 v12, 16, v59
	s_waitcnt lgkmcnt(1)
	v_fmac_f32_e32 v110, v4, v12
	s_waitcnt vmcnt(14)
	v_lshlrev_b32_e32 v4, 16, v60
	v_fmac_f32_e32 v110, v5, v4
	s_waitcnt vmcnt(13)
	v_lshlrev_b32_e32 v4, 16, v30
	v_fmac_f32_e32 v110, v6, v4
	s_waitcnt vmcnt(12)
	v_lshlrev_b32_e32 v4, 16, v61
	v_fmac_f32_e32 v110, v7, v4
	s_waitcnt vmcnt(10)
	v_lshlrev_b32_e32 v5, 16, v63
	v_lshlrev_b32_e32 v4, 16, v62
	s_waitcnt lgkmcnt(0)
	v_pk_mul_f32 v[4:5], v[8:9], v[4:5]
	s_waitcnt vmcnt(6)
	v_lshlrev_b32_e32 v13, 16, v44
	v_add_f32_e32 v4, v110, v4
	v_add_f32_e32 v6, v4, v5
	v_lshlrev_b32_e32 v5, 16, v32
	v_lshlrev_b32_e32 v4, 16, v31
	v_pk_mul_f32 v[8:9], v[10:11], v[4:5]
	v_lshlrev_b32_e32 v12, 16, v38
	v_add_f32_e32 v8, v6, v8
	ds_read_b128 v[4:7], v125 offset:224
	v_add_f32_e32 v18, v8, v9
	ds_read_b128 v[8:11], v125 offset:240
	s_waitcnt lgkmcnt(1)
	v_pk_mul_f32 v[4:5], v[4:5], v[12:13]
	s_nop 0
	v_add_f32_e32 v4, v18, v4
	v_add_f32_e32 v12, v4, v5
	s_waitcnt vmcnt(4)
	v_lshlrev_b32_e32 v5, 16, v39
	v_lshlrev_b32_e32 v4, 16, v33
	v_pk_mul_f32 v[4:5], v[6:7], v[4:5]
	s_nop 0
	v_add_f32_e32 v4, v12, v4
	v_add_f32_e32 v6, v4, v5
	s_waitcnt vmcnt(2)
	v_lshlrev_b32_e32 v5, 16, v17
	v_lshlrev_b32_e32 v4, 16, v16
	s_waitcnt lgkmcnt(0)
	v_pk_mul_f32 v[4:5], v[8:9], v[4:5]
	s_nop 0
	v_add_f32_e32 v4, v6, v4
	v_add_f32_e32 v6, v4, v5
	s_waitcnt vmcnt(0)
	v_lshlrev_b32_e32 v5, 16, v15
	v_lshlrev_b32_e32 v4, 16, v14
	v_pk_mul_f32 v[4:5], v[10:11], v[4:5]
	s_nop 0
	v_add_f32_e32 v4, v6, v4
	v_add_f32_e32 v110, v4, v5
	s_branch .LBB412_16
.LBB412_19:
	v_mov_b32_e32 v2, 0
	ds_read_b32 v2, v2 offset:2304
	s_cmp_lg_u64 s[6:7], 0
	s_cbranch_scc0 .LBB412_24
; %bb.20:
	s_load_dword s6, s[6:7], 0x0
	s_waitcnt lgkmcnt(0)
	v_div_scale_f32 v3, s[0:1], s6, s6, 1.0
	v_rcp_f32_e32 v4, v3
	v_div_scale_f32 v5, vcc, 1.0, s6, 1.0
	v_fma_f32 v6, -v3, v4, 1.0
	v_fmac_f32_e32 v4, v6, v4
	v_mul_f32_e32 v6, v5, v4
	v_fma_f32 v7, -v3, v6, v5
	v_fmac_f32_e32 v6, v7, v4
	v_fma_f32 v3, -v3, v6, v5
	v_div_fmas_f32 v3, v3, v4, v6
	v_div_fixup_f32 v3, v3, s6, 1.0
	s_andn2_b64 vcc, exec, s[36:37]
	s_cbranch_vccnz .LBB412_22
.LBB412_21:
	s_add_u32 s0, s34, s38
	s_addc_u32 s1, s35, s39
	s_load_dword s22, s[0:1], 0x0
	s_mov_b32 s23, 0
.LBB412_22:
	s_waitcnt lgkmcnt(0)
	v_add_f32_e32 v2, 0x358637bd, v2
	v_div_scale_f32 v4, s[0:1], v2, v2, 1.0
	v_rcp_f32_e32 v5, v4
	v_div_scale_f32 v6, vcc, 1.0, v2, 1.0
	s_mul_i32 s0, s3, s23
	v_fma_f32 v7, -v4, v5, 1.0
	v_fmac_f32_e32 v5, v7, v5
	v_mul_f32_e32 v7, v6, v5
	v_fma_f32 v8, -v4, v7, v6
	v_fmac_f32_e32 v7, v8, v5
	v_fma_f32 v4, -v4, v7, v6
	s_mul_hi_u32 s1, s3, s22
	v_div_fmas_f32 v4, v4, v5, v7
	s_add_i32 s1, s1, s0
	s_mul_i32 s0, s3, s22
	v_div_fixup_f32 v2, v4, v2, 1.0
	s_lshl_b64 s[0:1], s[0:1], 6
	v_mul_f32_e32 v2, v110, v2
	s_add_u32 s4, s4, s0
	s_mov_b32 s3, 0
	v_mul_f32_e32 v2, v2, v3
	s_addc_u32 s5, s5, s1
	s_lshl_b64 s[0:1], s[2:3], 6
	s_mov_b32 s2, 0x7f800000
	s_mov_b32 s3, 0x43700000
	v_mov_b32_e32 v3, 0xc3700000
	v_med3_f32 v3, v2, s3, v3
	v_cmp_nlg_f32_e64 vcc, |v2|, s2
	s_add_u32 s0, s4, s0
	s_addc_u32 s1, s5, s1
	v_cndmask_b32_e32 v2, v3, v2, vcc
	v_mov_b32_e32 v3, 0
	v_cvt_pk_fp8_f32 v3, v2, v2
	v_lshl_add_u64 v[0:1], s[0:1], 0, v[0:1]
	global_store_byte v[0:1], v3, off
	s_endpgm
.LBB412_23:
	s_mov_b64 s[6:7], 0
	s_branch .LBB412_2
.LBB412_24:
	v_mov_b32_e32 v3, 1.0
	s_andn2_b64 vcc, exec, s[36:37]
	s_cbranch_vccz .LBB412_21
	s_branch .LBB412_22
	.section	.rodata,"a",@progbits
	.p2align	6, 0x0
	.amdhsa_kernel _Z35paged_attention_ll4mi_reduce_kernelI14__hip_bfloat16hLi64ELi64ELi256ELi9EEvPT0_PKfS4_PKT_PKiS9_iS4_
		.amdhsa_group_segment_fixed_size 2308
		.amdhsa_private_segment_fixed_size 0
		.amdhsa_kernarg_size 320
		.amdhsa_user_sgpr_count 2
		.amdhsa_user_sgpr_dispatch_ptr 0
		.amdhsa_user_sgpr_queue_ptr 0
		.amdhsa_user_sgpr_kernarg_segment_ptr 1
		.amdhsa_user_sgpr_dispatch_id 0
		.amdhsa_user_sgpr_kernarg_preload_length 0
		.amdhsa_user_sgpr_kernarg_preload_offset 0
		.amdhsa_user_sgpr_private_segment_size 0
		.amdhsa_uses_dynamic_stack 0
		.amdhsa_enable_private_segment 0
		.amdhsa_system_sgpr_workgroup_id_x 1
		.amdhsa_system_sgpr_workgroup_id_y 1
		.amdhsa_system_sgpr_workgroup_id_z 0
		.amdhsa_system_sgpr_workgroup_info 0
		.amdhsa_system_vgpr_workitem_id 0
		.amdhsa_next_free_vgpr 127
		.amdhsa_next_free_sgpr 47
		.amdhsa_accum_offset 128
		.amdhsa_reserve_vcc 1
		.amdhsa_float_round_mode_32 0
		.amdhsa_float_round_mode_16_64 0
		.amdhsa_float_denorm_mode_32 3
		.amdhsa_float_denorm_mode_16_64 3
		.amdhsa_dx10_clamp 1
		.amdhsa_ieee_mode 1
		.amdhsa_fp16_overflow 0
		.amdhsa_tg_split 0
		.amdhsa_exception_fp_ieee_invalid_op 0
		.amdhsa_exception_fp_denorm_src 0
		.amdhsa_exception_fp_ieee_div_zero 0
		.amdhsa_exception_fp_ieee_overflow 0
		.amdhsa_exception_fp_ieee_underflow 0
		.amdhsa_exception_fp_ieee_inexact 0
		.amdhsa_exception_int_div_zero 0
	.end_amdhsa_kernel
	.section	.text._Z35paged_attention_ll4mi_reduce_kernelI14__hip_bfloat16hLi64ELi64ELi256ELi9EEvPT0_PKfS4_PKT_PKiS9_iS4_,"axG",@progbits,_Z35paged_attention_ll4mi_reduce_kernelI14__hip_bfloat16hLi64ELi64ELi256ELi9EEvPT0_PKfS4_PKT_PKiS9_iS4_,comdat
.Lfunc_end412:
	.size	_Z35paged_attention_ll4mi_reduce_kernelI14__hip_bfloat16hLi64ELi64ELi256ELi9EEvPT0_PKfS4_PKT_PKiS9_iS4_, .Lfunc_end412-_Z35paged_attention_ll4mi_reduce_kernelI14__hip_bfloat16hLi64ELi64ELi256ELi9EEvPT0_PKfS4_PKT_PKiS9_iS4_
                                        ; -- End function
	.section	.AMDGPU.csdata,"",@progbits
; Kernel info:
; codeLenInByte = 9548
; NumSgprs: 53
; NumVgprs: 127
; NumAgprs: 0
; TotalNumVgprs: 127
; ScratchSize: 0
; MemoryBound: 0
; FloatMode: 240
; IeeeMode: 1
; LDSByteSize: 2308 bytes/workgroup (compile time only)
; SGPRBlocks: 6
; VGPRBlocks: 15
; NumSGPRsForWavesPerEU: 53
; NumVGPRsForWavesPerEU: 127
; AccumOffset: 128
; Occupancy: 4
; WaveLimiterHint : 1
; COMPUTE_PGM_RSRC2:SCRATCH_EN: 0
; COMPUTE_PGM_RSRC2:USER_SGPR: 2
; COMPUTE_PGM_RSRC2:TRAP_HANDLER: 0
; COMPUTE_PGM_RSRC2:TGID_X_EN: 1
; COMPUTE_PGM_RSRC2:TGID_Y_EN: 1
; COMPUTE_PGM_RSRC2:TGID_Z_EN: 0
; COMPUTE_PGM_RSRC2:TIDIG_COMP_CNT: 0
; COMPUTE_PGM_RSRC3_GFX90A:ACCUM_OFFSET: 31
; COMPUTE_PGM_RSRC3_GFX90A:TG_SPLIT: 0
	.section	.text._Z35paged_attention_ll4mi_reduce_kernelI14__hip_bfloat16hLi64ELi64ELi256ELi10EEvPT0_PKfS4_PKT_PKiS9_iS4_,"axG",@progbits,_Z35paged_attention_ll4mi_reduce_kernelI14__hip_bfloat16hLi64ELi64ELi256ELi10EEvPT0_PKfS4_PKT_PKiS9_iS4_,comdat
	.protected	_Z35paged_attention_ll4mi_reduce_kernelI14__hip_bfloat16hLi64ELi64ELi256ELi10EEvPT0_PKfS4_PKT_PKiS9_iS4_ ; -- Begin function _Z35paged_attention_ll4mi_reduce_kernelI14__hip_bfloat16hLi64ELi64ELi256ELi10EEvPT0_PKfS4_PKT_PKiS9_iS4_
	.globl	_Z35paged_attention_ll4mi_reduce_kernelI14__hip_bfloat16hLi64ELi64ELi256ELi10EEvPT0_PKfS4_PKT_PKiS9_iS4_
	.p2align	8
	.type	_Z35paged_attention_ll4mi_reduce_kernelI14__hip_bfloat16hLi64ELi64ELi256ELi10EEvPT0_PKfS4_PKT_PKiS9_iS4_,@function
_Z35paged_attention_ll4mi_reduce_kernelI14__hip_bfloat16hLi64ELi64ELi256ELi10EEvPT0_PKfS4_PKT_PKiS9_iS4_: ; @_Z35paged_attention_ll4mi_reduce_kernelI14__hip_bfloat16hLi64ELi64ELi256ELi10EEvPT0_PKfS4_PKT_PKiS9_iS4_
; %bb.0:
	s_load_dwordx2 s[36:37], s[0:1], 0x28
	s_mov_b32 s34, s3
	s_mov_b64 s[4:5], 0
	s_waitcnt lgkmcnt(0)
	s_cmp_lg_u64 s[36:37], 0
	s_cselect_b64 s[38:39], -1, 0
	s_and_b64 vcc, exec, s[38:39]
	s_cbranch_vccz .LBB413_23
; %bb.1:
	s_add_i32 s6, s34, 1
	s_mov_b32 s7, 0
	s_lshl_b64 s[8:9], s[6:7], 2
	s_add_u32 s8, s36, s8
	s_mov_b32 s35, s7
	s_addc_u32 s9, s37, s9
	s_lshl_b64 s[6:7], s[34:35], 2
	s_add_u32 s6, s36, s6
	s_addc_u32 s7, s37, s7
	s_load_dword s3, s[8:9], 0x0
	s_load_dword s10, s[6:7], 0x0
	s_waitcnt lgkmcnt(0)
	s_sub_i32 s3, s3, s10
	s_cmp_eq_u32 s3, 1
	s_cselect_b64 s[6:7], -1, 0
	s_andn2_b64 vcc, exec, s[4:5]
	s_cbranch_vccnz .LBB413_3
.LBB413_2:
	s_mov_b32 s35, 0
	s_mov_b64 s[6:7], -1
.LBB413_3:
	s_andn2_b64 vcc, exec, s[6:7]
	s_cbranch_vccz .LBB413_5
; %bb.4:
	s_endpgm
.LBB413_5:
	s_load_dwordx4 s[24:27], s[0:1], 0x18
	s_load_dword s8, s[0:1], 0x30
	s_lshl_b64 s[40:41], s[34:35], 2
	v_cmp_lt_u32_e32 vcc, 63, v0
	s_waitcnt lgkmcnt(0)
	s_add_u32 s4, s26, s40
	s_addc_u32 s5, s27, s41
	s_load_dword s48, s[4:5], 0x0
	s_load_dword s3, s[0:1], 0x40
	s_mul_i32 s26, s2, s8
	s_mul_i32 s6, s34, s8
	s_waitcnt lgkmcnt(0)
	s_add_i32 s7, s48, 0xff
	s_ashr_i32 s4, s7, 31
	s_lshr_b32 s4, s4, 24
	s_add_i32 s7, s7, s4
	s_and_saveexec_b64 s[4:5], vcc
	s_xor_b64 s[4:5], exec, s[4:5]
	s_or_saveexec_b64 s[42:43], s[4:5]
	s_ashr_i32 s33, s7, 8
	v_mov_b32_e32 v1, s26
	s_mul_i32 s44, s6, s3
	s_xor_b64 exec, exec, s[42:43]
	s_cbranch_execz .LBB413_9
; %bb.6:
	s_add_i32 s4, s33, -1
	v_or_b32_e32 v3, 64, v0
	v_mov_b32_e32 v1, s4
	v_cmp_gt_u32_e64 s[18:19], s33, v3
	s_load_dwordx4 s[28:31], s[0:1], 0x8
	s_mov_b32 s45, 0
	v_cndmask_b32_e64 v4, v1, v3, s[18:19]
	v_or_b32_e32 v3, 0x80, v0
	v_cmp_gt_u32_e64 s[16:17], s33, v3
	s_lshl_b64 s[46:47], s[44:45], 2
	s_mov_b32 s27, s45
	v_cndmask_b32_e64 v6, v1, v3, s[16:17]
	v_or_b32_e32 v3, 0xc0, v0
	v_cmp_gt_u32_e64 s[14:15], s33, v3
	v_cmp_gt_u32_e64 s[20:21], s33, v0
	s_waitcnt lgkmcnt(0)
	s_add_u32 s22, s30, s46
	v_cndmask_b32_e64 v8, v1, v3, s[14:15]
	v_or_b32_e32 v3, 0x100, v0
	v_cmp_gt_u32_e64 s[12:13], s33, v3
	v_cndmask_b32_e64 v2, v1, v0, s[20:21]
	s_addc_u32 s23, s31, s47
	v_cndmask_b32_e64 v10, v1, v3, s[12:13]
	v_or_b32_e32 v3, 0x140, v0
	v_cmp_gt_u32_e64 s[10:11], s33, v3
	s_lshl_b64 s[30:31], s[26:27], 2
	s_add_u32 s22, s22, s30
	v_cndmask_b32_e64 v12, v1, v3, s[10:11]
	v_or_b32_e32 v3, 0x180, v0
	v_cmp_gt_u32_e64 s[8:9], s33, v3
	s_addc_u32 s23, s23, s31
	v_ashrrev_i32_e32 v5, 31, v4
	v_cndmask_b32_e64 v14, v1, v3, s[8:9]
	v_or_b32_e32 v3, 0x1c0, v0
	v_cmp_gt_u32_e64 s[6:7], s33, v3
	v_ashrrev_i32_e32 v7, 31, v6
	v_ashrrev_i32_e32 v9, 31, v8
	v_cndmask_b32_e64 v16, v1, v3, s[6:7]
	v_or_b32_e32 v3, 0x200, v0
	v_cmp_gt_u32_e64 s[4:5], s33, v3
	v_ashrrev_i32_e32 v11, 31, v10
	v_ashrrev_i32_e32 v13, 31, v12
	v_cndmask_b32_e64 v18, v1, v3, s[4:5]
	v_or_b32_e32 v3, 0x240, v0
	v_cmp_gt_u32_e32 vcc, s33, v3
	v_ashrrev_i32_e32 v15, 31, v14
	v_ashrrev_i32_e32 v17, 31, v16
	v_cndmask_b32_e32 v20, v1, v3, vcc
	v_ashrrev_i32_e32 v3, 31, v2
	v_lshlrev_b64 v[2:3], 2, v[2:3]
	v_ashrrev_i32_e32 v19, 31, v18
	v_lshl_add_u64 v[22:23], s[22:23], 0, v[2:3]
	v_lshlrev_b64 v[4:5], 2, v[4:5]
	v_lshlrev_b64 v[6:7], 2, v[6:7]
	;; [unrolled: 1-line block ×8, first 2 shown]
	v_ashrrev_i32_e32 v21, 31, v20
	v_lshl_add_u64 v[24:25], s[22:23], 0, v[4:5]
	v_lshl_add_u64 v[26:27], s[22:23], 0, v[6:7]
	v_lshl_add_u64 v[28:29], s[22:23], 0, v[8:9]
	v_lshl_add_u64 v[30:31], s[22:23], 0, v[10:11]
	v_lshl_add_u64 v[32:33], s[22:23], 0, v[12:13]
	v_lshl_add_u64 v[34:35], s[22:23], 0, v[14:15]
	v_lshl_add_u64 v[36:37], s[22:23], 0, v[16:17]
	global_load_dword v1, v[22:23], off
	global_load_dword v38, v[24:25], off
	;; [unrolled: 1-line block ×8, first 2 shown]
	v_lshl_add_u64 v[22:23], s[22:23], 0, v[18:19]
	v_lshlrev_b64 v[20:21], 2, v[20:21]
	v_lshl_add_u64 v[24:25], s[22:23], 0, v[20:21]
	global_load_dword v26, v[22:23], off
	global_load_dword v27, v[24:25], off
	v_mbcnt_lo_u32_b32 v22, -1, 0
	v_mbcnt_hi_u32_b32 v22, -1, v22
	v_and_b32_e32 v23, 64, v22
	v_xor_b32_e32 v24, 32, v22
	v_add_u32_e32 v23, 64, v23
	v_cmp_lt_i32_e64 s[22:23], v24, v23
	v_xor_b32_e32 v25, 16, v22
	v_xor_b32_e32 v30, 8, v22
	v_cndmask_b32_e64 v24, v22, v24, s[22:23]
	v_lshlrev_b32_e32 v24, 2, v24
	v_cmp_lt_i32_e64 s[22:23], v25, v23
	s_mov_b32 s27, 0x3fb8aa3b
	s_waitcnt vmcnt(9)
	v_max_f32_e32 v29, v1, v1
	s_waitcnt vmcnt(8)
	v_max_f32_e32 v28, v38, v38
	v_max_f32_e32 v28, v29, v28
	s_waitcnt vmcnt(6)
	v_max3_f32 v28, v28, v39, v40
	v_cndmask_b32_e64 v25, v22, v25, s[22:23]
	s_waitcnt vmcnt(4)
	v_max3_f32 v28, v28, v41, v42
	v_lshlrev_b32_e32 v25, 2, v25
	s_waitcnt vmcnt(2)
	v_max3_f32 v28, v28, v43, v44
	v_cmp_lt_i32_e64 s[22:23], v30, v23
	s_waitcnt vmcnt(0)
	v_max3_f32 v28, v28, v26, v27
	ds_bpermute_b32 v29, v24, v28
	v_cndmask_b32_e64 v30, v22, v30, s[22:23]
	v_lshlrev_b32_e32 v30, 2, v30
	s_add_u32 s22, s28, s46
	s_addc_u32 s23, s29, s47
	s_waitcnt lgkmcnt(0)
	v_max_f32_e32 v29, v29, v29
	v_max_f32_e32 v28, v28, v29
	ds_bpermute_b32 v29, v25, v28
	s_add_u32 s28, s22, s30
	s_addc_u32 s29, s23, s31
	v_lshl_add_u64 v[2:3], s[28:29], 0, v[2:3]
	global_load_dword v31, v[2:3], off
	s_waitcnt lgkmcnt(0)
	v_max_f32_e32 v29, v29, v29
	v_max_f32_e32 v28, v28, v29
	ds_bpermute_b32 v29, v30, v28
	s_waitcnt lgkmcnt(0)
	v_max_f32_e32 v2, v29, v29
	v_max_f32_e32 v28, v28, v2
	v_xor_b32_e32 v2, 4, v22
	v_cmp_lt_i32_e64 s[22:23], v2, v23
	s_nop 1
	v_cndmask_b32_e64 v2, v22, v2, s[22:23]
	v_lshlrev_b32_e32 v29, 2, v2
	ds_bpermute_b32 v2, v29, v28
	s_waitcnt lgkmcnt(0)
	v_max_f32_e32 v32, v2, v2
	v_lshl_add_u64 v[2:3], s[28:29], 0, v[4:5]
	global_load_dword v33, v[2:3], off
	v_xor_b32_e32 v3, 2, v22
	v_cmp_lt_i32_e64 s[22:23], v3, v23
	v_max_f32_e32 v2, v28, v32
	v_xor_b32_e32 v4, 1, v22
	v_cndmask_b32_e64 v3, v22, v3, s[22:23]
	v_lshlrev_b32_e32 v28, 2, v3
	ds_bpermute_b32 v3, v28, v2
	v_cmp_lt_i32_e64 s[22:23], v4, v23
	s_waitcnt lgkmcnt(0)
	v_max_f32_e32 v3, v3, v3
	v_max_f32_e32 v32, v2, v3
	v_lshl_add_u64 v[2:3], s[28:29], 0, v[6:7]
	global_load_dword v34, v[2:3], off
	v_cndmask_b32_e64 v2, v22, v4, s[22:23]
	v_lshlrev_b32_e32 v22, 2, v2
	v_lshl_add_u64 v[2:3], s[28:29], 0, v[8:9]
	v_lshl_add_u64 v[4:5], s[28:29], 0, v[10:11]
	;; [unrolled: 1-line block ×5, first 2 shown]
	global_load_dword v12, v[2:3], off
	global_load_dword v13, v[4:5], off
	global_load_dword v14, v[6:7], off
	global_load_dword v15, v[8:9], off
	global_load_dword v16, v[10:11], off
	ds_bpermute_b32 v23, v22, v32
	v_lshl_add_u64 v[2:3], s[28:29], 0, v[18:19]
	s_waitcnt lgkmcnt(0)
	v_max_f32_e32 v4, v23, v23
	v_max_f32_e32 v6, v32, v4
	v_sub_f32_e32 v1, v1, v6
	v_mul_f32_e32 v4, 0x3fb8aa3b, v1
	v_fma_f32 v5, v1, s27, -v4
	v_rndne_f32_e32 v7, v4
	v_fmac_f32_e32 v5, 0x32a5705f, v1
	v_sub_f32_e32 v4, v4, v7
	v_add_f32_e32 v4, v4, v5
	v_exp_f32_e32 v8, v4
	v_cvt_i32_f32_e32 v7, v7
	v_lshl_add_u64 v[4:5], s[28:29], 0, v[20:21]
	global_load_dword v9, v[2:3], off
	global_load_dword v10, v[4:5], off
	v_sub_f32_e32 v4, v38, v6
	v_mul_f32_e32 v5, 0x3fb8aa3b, v4
	v_ldexp_f32 v2, v8, v7
	v_fma_f32 v7, v4, s27, -v5
	v_rndne_f32_e32 v8, v5
	v_fmac_f32_e32 v7, 0x32a5705f, v4
	v_sub_f32_e32 v5, v5, v8
	v_add_f32_e32 v5, v5, v7
	v_exp_f32_e32 v5, v5
	v_cvt_i32_f32_e32 v7, v8
	s_mov_b32 s28, 0xc2ce8ed0
	v_cmp_ngt_f32_e64 s[22:23], s28, v1
	s_mov_b32 s29, 0x42b17218
	v_mov_b32_e32 v3, 0x7f800000
	v_cndmask_b32_e64 v2, 0, v2, s[22:23]
	v_cmp_nlt_f32_e64 s[22:23], s29, v1
	s_nop 1
	v_cndmask_b32_e64 v1, v3, v2, s[22:23]
	v_ldexp_f32 v2, v5, v7
	v_sub_f32_e32 v5, v39, v6
	v_mul_f32_e32 v7, 0x3fb8aa3b, v5
	v_fma_f32 v8, v5, s27, -v7
	v_rndne_f32_e32 v11, v7
	v_fmac_f32_e32 v8, 0x32a5705f, v5
	v_sub_f32_e32 v7, v7, v11
	v_add_f32_e32 v7, v7, v8
	v_exp_f32_e32 v7, v7
	v_cvt_i32_f32_e32 v8, v11
	v_cndmask_b32_e64 v1, 0, v1, s[20:21]
	v_cmp_ngt_f32_e64 s[20:21], s28, v4
	s_waitcnt vmcnt(9)
	v_mul_f32_e32 v1, v31, v1
	v_cndmask_b32_e64 v2, 0, v2, s[20:21]
	v_cmp_nlt_f32_e64 s[20:21], s29, v4
	v_ldexp_f32 v4, v7, v8
	v_sub_f32_e32 v7, v40, v6
	v_mul_f32_e32 v8, 0x3fb8aa3b, v7
	v_fma_f32 v11, v7, s27, -v8
	v_rndne_f32_e32 v17, v8
	v_fmac_f32_e32 v11, 0x32a5705f, v7
	v_sub_f32_e32 v8, v8, v17
	v_add_f32_e32 v8, v8, v11
	v_exp_f32_e32 v8, v8
	v_cvt_i32_f32_e32 v11, v17
	v_cndmask_b32_e64 v2, v3, v2, s[20:21]
	v_cndmask_b32_e64 v2, 0, v2, s[18:19]
	v_cmp_ngt_f32_e64 s[18:19], s28, v5
	s_waitcnt vmcnt(8)
	v_mul_f32_e32 v2, v33, v2
	v_cndmask_b32_e64 v4, 0, v4, s[18:19]
	v_cmp_nlt_f32_e64 s[18:19], s29, v5
	v_ldexp_f32 v5, v8, v11
	v_sub_f32_e32 v8, v41, v6
	v_mul_f32_e32 v11, 0x3fb8aa3b, v8
	v_fma_f32 v17, v8, s27, -v11
	v_rndne_f32_e32 v18, v11
	v_fmac_f32_e32 v17, 0x32a5705f, v8
	v_sub_f32_e32 v11, v11, v18
	v_add_f32_e32 v11, v11, v17
	v_cndmask_b32_e64 v4, v3, v4, s[18:19]
	v_exp_f32_e32 v11, v11
	v_cvt_i32_f32_e32 v17, v18
	v_cndmask_b32_e64 v4, 0, v4, s[16:17]
	v_cmp_ngt_f32_e64 s[16:17], s28, v7
	s_waitcnt vmcnt(7)
	v_mul_f32_e32 v4, v34, v4
	v_cndmask_b32_e64 v5, 0, v5, s[16:17]
	v_cmp_nlt_f32_e64 s[16:17], s29, v7
	v_ldexp_f32 v7, v11, v17
	v_sub_f32_e32 v11, v42, v6
	v_cndmask_b32_e64 v5, v3, v5, s[16:17]
	v_cndmask_b32_e64 v5, 0, v5, s[14:15]
	s_waitcnt vmcnt(6)
	v_mul_f32_e32 v5, v12, v5
	v_mul_f32_e32 v12, 0x3fb8aa3b, v11
	v_fma_f32 v17, v11, s27, -v12
	v_rndne_f32_e32 v18, v12
	v_fmac_f32_e32 v17, 0x32a5705f, v11
	v_sub_f32_e32 v12, v12, v18
	v_add_f32_e32 v12, v12, v17
	v_exp_f32_e32 v12, v12
	v_cvt_i32_f32_e32 v17, v18
	v_cmp_ngt_f32_e64 s[14:15], s28, v8
	s_nop 1
	v_cndmask_b32_e64 v7, 0, v7, s[14:15]
	v_cmp_nlt_f32_e64 s[14:15], s29, v8
	v_ldexp_f32 v8, v12, v17
	v_sub_f32_e32 v12, v43, v6
	v_cndmask_b32_e64 v7, v3, v7, s[14:15]
	v_cndmask_b32_e64 v7, 0, v7, s[12:13]
	s_waitcnt vmcnt(5)
	v_mul_f32_e32 v7, v13, v7
	v_mul_f32_e32 v13, 0x3fb8aa3b, v12
	v_fma_f32 v17, v12, s27, -v13
	v_rndne_f32_e32 v18, v13
	v_fmac_f32_e32 v17, 0x32a5705f, v12
	v_sub_f32_e32 v13, v13, v18
	v_add_f32_e32 v13, v13, v17
	v_exp_f32_e32 v13, v13
	v_cvt_i32_f32_e32 v17, v18
	v_cmp_ngt_f32_e64 s[12:13], s28, v11
	s_nop 1
	;; [unrolled: 18-line block ×3, first 2 shown]
	v_cndmask_b32_e64 v11, 0, v11, s[10:11]
	v_cmp_nlt_f32_e64 s[10:11], s29, v12
	v_ldexp_f32 v12, v14, v17
	v_sub_f32_e32 v14, v26, v6
	v_mul_f32_e32 v17, 0x3fb8aa3b, v14
	v_fma_f32 v18, v14, s27, -v17
	v_rndne_f32_e32 v19, v17
	v_fmac_f32_e32 v18, 0x32a5705f, v14
	v_sub_f32_e32 v17, v17, v19
	v_add_f32_e32 v17, v17, v18
	v_exp_f32_e32 v17, v17
	v_cvt_i32_f32_e32 v18, v19
	v_cndmask_b32_e64 v11, v3, v11, s[10:11]
	v_cndmask_b32_e64 v11, 0, v11, s[8:9]
	v_cmp_ngt_f32_e64 s[8:9], s28, v13
	v_sub_f32_e32 v6, v27, v6
	s_nop 0
	v_cndmask_b32_e64 v12, 0, v12, s[8:9]
	v_cmp_nlt_f32_e64 s[8:9], s29, v13
	v_ldexp_f32 v13, v17, v18
	v_mul_f32_e32 v17, 0x3fb8aa3b, v6
	v_fma_f32 v18, v6, s27, -v17
	v_rndne_f32_e32 v19, v17
	v_fmac_f32_e32 v18, 0x32a5705f, v6
	v_sub_f32_e32 v17, v17, v19
	v_add_f32_e32 v17, v17, v18
	v_cndmask_b32_e64 v12, v3, v12, s[8:9]
	v_exp_f32_e32 v17, v17
	v_cvt_i32_f32_e32 v18, v19
	v_cndmask_b32_e64 v12, 0, v12, s[6:7]
	v_cmp_ngt_f32_e64 s[6:7], s28, v14
	s_nop 1
	v_cndmask_b32_e64 v13, 0, v13, s[6:7]
	v_cmp_nlt_f32_e64 s[6:7], s29, v14
	v_ldexp_f32 v14, v17, v18
	s_nop 0
	v_cndmask_b32_e64 v13, v3, v13, s[6:7]
	v_cndmask_b32_e64 v13, 0, v13, s[4:5]
	v_cmp_ngt_f32_e64 s[4:5], s28, v6
	s_nop 1
	v_cndmask_b32_e64 v14, 0, v14, s[4:5]
	v_cmp_nlt_f32_e64 s[4:5], s29, v6
	v_add_f32_e32 v6, v1, v2
	v_add_f32_e32 v6, v6, v4
	;; [unrolled: 1-line block ×5, first 2 shown]
	s_waitcnt vmcnt(3)
	v_fmac_f32_e32 v6, v15, v11
	v_cndmask_b32_e64 v3, v3, v14, s[4:5]
	s_waitcnt vmcnt(2)
	v_fmac_f32_e32 v6, v16, v12
	v_cndmask_b32_e32 v3, 0, v3, vcc
	s_waitcnt vmcnt(1)
	v_fmac_f32_e32 v6, v9, v13
	s_waitcnt vmcnt(0)
	v_fmac_f32_e32 v6, v10, v3
	ds_bpermute_b32 v14, v24, v6
	v_mul_f32_e32 v9, v9, v13
	v_mul_f32_e32 v3, v10, v3
	v_lshlrev_b32_e32 v10, 2, v0
	ds_write2st64_b32 v10, v1, v2 offset1:1
	ds_write2st64_b32 v10, v4, v5 offset0:2 offset1:3
	s_waitcnt lgkmcnt(2)
	v_add_f32_e32 v6, v6, v14
	ds_bpermute_b32 v14, v25, v6
	v_cmp_eq_u32_e32 vcc, 0, v0
	v_mul_f32_e32 v11, v15, v11
	v_mul_f32_e32 v12, v16, v12
	ds_write2st64_b32 v10, v7, v8 offset0:4 offset1:5
	ds_write2st64_b32 v10, v11, v12 offset0:6 offset1:7
	;; [unrolled: 1-line block ×3, first 2 shown]
	s_waitcnt lgkmcnt(3)
	v_add_f32_e32 v6, v6, v14
	ds_bpermute_b32 v14, v30, v6
	s_waitcnt lgkmcnt(0)
	v_add_f32_e32 v6, v6, v14
	ds_bpermute_b32 v14, v29, v6
	;; [unrolled: 3-line block ×4, first 2 shown]
	s_and_saveexec_b64 s[4:5], vcc
	s_cbranch_execz .LBB413_8
; %bb.7:
	s_waitcnt lgkmcnt(0)
	v_add_f32_e32 v1, v1, v2
	v_mov_b32_e32 v2, 0
	ds_write_b32 v2, v1 offset:2560
.LBB413_8:
	s_or_b64 exec, exec, s[4:5]
	v_mov_b32_e32 v1, s26
.LBB413_9:
	s_or_b64 exec, exec, s[42:43]
	s_lshl_b32 s4, s44, 6
	s_mov_b32 s5, 0
	s_lshl_b64 s[4:5], s[4:5], 1
	s_add_u32 s4, s24, s4
	s_addc_u32 s5, s25, s5
	s_lshl_b32 s10, s33, 6
	s_waitcnt lgkmcnt(0)
	v_lshlrev_b32_e32 v2, 6, v1
	v_mov_b32_e32 v1, 0
	s_sub_i32 s11, s10, 64
	v_mov_b32_e32 v3, v1
	s_cmp_lt_i32 s48, 1
	v_lshl_add_u64 v[2:3], v[2:3], 1, s[4:5]
	s_cselect_b32 s4, s11, 0
	v_lshlrev_b32_e32 v4, 1, v0
	v_mov_b32_e32 v5, v1
	s_ashr_i32 s5, s4, 31
	v_lshl_add_u64 v[2:3], v[2:3], 0, v[4:5]
	s_cmpk_lt_i32 s48, 0x101
	v_lshl_add_u64 v[4:5], s[4:5], 1, v[2:3]
	s_cselect_b32 s4, s11, 64
	s_ashr_i32 s5, s4, 31
	s_cmpk_lt_i32 s48, 0x201
	v_lshl_add_u64 v[6:7], s[4:5], 1, v[2:3]
	s_cselect_b32 s4, s11, 0x80
	s_ashr_i32 s5, s4, 31
	;; [unrolled: 4-line block ×8, first 2 shown]
	s_cmpk_lt_i32 s48, 0x901
	global_load_ushort v23, v[4:5], off
	global_load_ushort v22, v[6:7], off
	;; [unrolled: 1-line block ×8, first 2 shown]
	v_lshl_add_u64 v[4:5], s[4:5], 1, v[2:3]
	s_cselect_b32 s4, s11, 0x240
	s_ashr_i32 s5, s4, 31
	s_cmpk_lt_i32 s48, 0xa01
	v_lshl_add_u64 v[6:7], s[4:5], 1, v[2:3]
	s_cselect_b32 s4, s11, 0x280
	s_ashr_i32 s5, s4, 31
	s_cmpk_lt_i32 s48, 0xb01
	;; [unrolled: 4-line block ×6, first 2 shown]
	v_lshl_add_u64 v[32:33], s[4:5], 1, v[2:3]
	s_cselect_b32 s4, s11, 0x3c0
	s_ashr_i32 s5, s4, 31
	v_lshl_add_u64 v[34:35], s[4:5], 1, v[2:3]
	global_load_ushort v30, v[4:5], off
	global_load_ushort v31, v[6:7], off
	;; [unrolled: 1-line block ×8, first 2 shown]
	s_cmpk_gt_i32 s48, 0x1000
	s_cselect_b64 s[8:9], -1, 0
	s_cmpk_lt_i32 s48, 0x1001
	v_mov_b32_e32 v40, 0
	v_mov_b32_e32 v41, 0
	;; [unrolled: 1-line block ×48, first 2 shown]
	s_waitcnt lgkmcnt(0)
	; wave barrier
	s_cbranch_scc1 .LBB413_12
; %bb.10:
	s_cmpk_lt_u32 s48, 0x1101
	s_cselect_b32 s4, s11, 0x440
	s_ashr_i32 s5, s4, 31
	s_cmpk_lt_u32 s48, 0x1201
	v_lshl_add_u64 v[4:5], s[4:5], 1, v[2:3]
	s_cselect_b32 s4, s11, 0x480
	s_ashr_i32 s5, s4, 31
	s_cmpk_lt_u32 s48, 0x1301
	v_lshl_add_u64 v[6:7], s[4:5], 1, v[2:3]
	;; [unrolled: 4-line block ×7, first 2 shown]
	s_cselect_b32 s4, s11, 0x600
	s_ashr_i32 s5, s4, 31
	s_cmpk_lt_u32 s48, 0x1901
	global_load_ushort v39, v[2:3], off offset:2048
	global_load_ushort v38, v[4:5], off
	global_load_ushort v37, v[6:7], off
	;; [unrolled: 1-line block ×7, first 2 shown]
	v_lshl_add_u64 v[4:5], s[4:5], 1, v[2:3]
	s_cselect_b32 s4, s11, 0x640
	s_ashr_i32 s5, s4, 31
	s_cmpk_lt_u32 s48, 0x1a01
	v_lshl_add_u64 v[6:7], s[4:5], 1, v[2:3]
	s_cselect_b32 s4, s11, 0x680
	s_ashr_i32 s5, s4, 31
	s_cmpk_lt_u32 s48, 0x1b01
	;; [unrolled: 4-line block ×6, first 2 shown]
	v_lshl_add_u64 v[48:49], s[4:5], 1, v[2:3]
	s_cselect_b32 s4, s11, 0x7c0
	s_ashr_i32 s5, s4, 31
	v_lshl_add_u64 v[50:51], s[4:5], 1, v[2:3]
	global_load_ushort v47, v[4:5], off
	global_load_ushort v46, v[6:7], off
	;; [unrolled: 1-line block ×8, first 2 shown]
	s_cmpk_lt_u32 s48, 0x2001
	v_mov_b32_e32 v67, 0
	v_mov_b32_e32 v65, 0
	;; [unrolled: 1-line block ×32, first 2 shown]
	s_cbranch_scc1 .LBB413_12
; %bb.11:
	s_cmpk_lt_u32 s48, 0x2101
	s_cselect_b32 s4, s11, 0x840
	s_ashr_i32 s5, s4, 31
	s_cmpk_lt_u32 s48, 0x2201
	v_lshl_add_u64 v[4:5], s[4:5], 1, v[2:3]
	s_cselect_b32 s4, s11, 0x880
	s_ashr_i32 s5, s4, 31
	s_cmpk_lt_u32 s48, 0x2301
	v_lshl_add_u64 v[6:7], s[4:5], 1, v[2:3]
	;; [unrolled: 4-line block ×29, first 2 shown]
	s_cselect_b32 s4, s11, 0xf80
	s_ashr_i32 s5, s4, 31
	v_lshl_add_u64 v[94:95], s[4:5], 1, v[2:3]
	s_movk_i32 s4, 0x1000
	s_cmpk_lt_u32 s48, 0x3f01
	v_add_co_u32_e32 v96, vcc, s4, v2
	s_cselect_b32 s4, s11, 0xfc0
	s_nop 0
	v_addc_co_u32_e32 v97, vcc, 0, v3, vcc
	s_ashr_i32 s5, s4, 31
	global_load_ushort v98, v[96:97], off
	global_load_ushort v99, v[4:5], off
	;; [unrolled: 1-line block ×15, first 2 shown]
                                        ; kill: killed $vgpr96 killed $vgpr97
                                        ; kill: killed $vgpr52_vgpr53
                                        ; kill: killed $vgpr4_vgpr5
                                        ; kill: killed $vgpr58_vgpr59
                                        ; kill: killed $vgpr10_vgpr11
                                        ; kill: killed $vgpr48_vgpr49
                                        ; kill: killed $vgpr54_vgpr55
                                        ; kill: killed $vgpr6_vgpr7
                                        ; kill: killed $vgpr60_vgpr61
                                        ; kill: killed $vgpr12_vgpr13
                                        ; kill: killed $vgpr50_vgpr51
                                        ; kill: killed $vgpr56_vgpr57
                                        ; kill: killed $vgpr8_vgpr9
                                        ; kill: killed $vgpr62_vgpr63
                                        ; kill: killed $vgpr14_vgpr15
	global_load_ushort v6, v[64:65], off
	global_load_ushort v7, v[66:67], off
	;; [unrolled: 1-line block ×15, first 2 shown]
                                        ; kill: killed $vgpr84_vgpr85
                                        ; kill: killed $vgpr68_vgpr69
                                        ; kill: killed $vgpr90_vgpr91
                                        ; kill: killed $vgpr74_vgpr75
                                        ; kill: killed $vgpr80_vgpr81
                                        ; kill: killed $vgpr64_vgpr65
                                        ; kill: killed $vgpr70_vgpr71
                                        ; kill: killed $vgpr92_vgpr93
                                        ; kill: killed $vgpr76_vgpr77
                                        ; kill: killed $vgpr82_vgpr83
                                        ; kill: killed $vgpr66_vgpr67
                                        ; kill: killed $vgpr88_vgpr89
                                        ; kill: killed $vgpr72_vgpr73
                                        ; kill: killed $vgpr94_vgpr95
                                        ; kill: killed $vgpr78_vgpr79
	global_load_ushort v68, v[86:87], off
	v_lshl_add_u64 v[4:5], s[4:5], 1, v[2:3]
	global_load_ushort v5, v[4:5], off
	s_waitcnt vmcnt(31)
	v_lshlrev_b32_e32 v67, 16, v98
	s_waitcnt vmcnt(30)
	v_lshlrev_b32_e32 v65, 16, v99
	;; [unrolled: 2-line block ×32, first 2 shown]
.LBB413_12:
	s_load_dwordx2 s[4:5], s[0:1], 0x0
	s_load_dwordx2 s[6:7], s[0:1], 0x38
	ds_read_b128 v[68:71], v1
	s_waitcnt vmcnt(15)
	v_lshlrev_b32_e32 v23, 16, v23
	ds_read_b128 v[72:75], v1 offset:16
	ds_read_b128 v[76:79], v1 offset:32
	;; [unrolled: 1-line block ×3, first 2 shown]
	s_waitcnt vmcnt(14)
	v_lshlrev_b32_e32 v22, 16, v22
	s_waitcnt vmcnt(13)
	v_lshlrev_b32_e32 v21, 16, v21
	s_waitcnt lgkmcnt(0)
	v_fma_f32 v23, v68, v23, 0
	v_fmac_f32_e32 v23, v69, v22
	v_fmac_f32_e32 v23, v70, v21
	s_waitcnt vmcnt(12)
	v_lshlrev_b32_e32 v20, 16, v20
	s_waitcnt vmcnt(10)
	v_lshlrev_b32_e32 v19, 16, v19
	v_lshlrev_b32_e32 v18, 16, v18
	v_fmac_f32_e32 v23, v71, v20
	v_pk_mul_f32 v[18:19], v[72:73], v[18:19]
	s_waitcnt vmcnt(8)
	v_lshlrev_b32_e32 v17, 16, v17
	v_add_f32_e32 v18, v23, v18
	v_lshlrev_b32_e32 v16, 16, v16
	v_add_f32_e32 v18, v18, v19
	v_pk_mul_f32 v[16:17], v[74:75], v[16:17]
	s_and_b64 vcc, exec, s[8:9]
	v_add_f32_e32 v16, v18, v16
	v_add_f32_e32 v18, v16, v17
	s_waitcnt vmcnt(6)
	v_lshlrev_b32_e32 v17, 16, v31
	v_lshlrev_b32_e32 v16, 16, v30
	v_pk_mul_f32 v[16:17], v[76:77], v[16:17]
	s_nop 0
	v_add_f32_e32 v16, v18, v16
	v_add_f32_e32 v18, v16, v17
	s_waitcnt vmcnt(4)
	v_lshlrev_b32_e32 v17, 16, v29
	v_lshlrev_b32_e32 v16, 16, v28
	v_pk_mul_f32 v[16:17], v[78:79], v[16:17]
	s_nop 0
	;; [unrolled: 7-line block ×4, first 2 shown]
	v_add_f32_e32 v16, v18, v16
	v_add_f32_e32 v110, v16, v17
	s_cbranch_vccz .LBB413_15
; %bb.13:
	ds_read_b128 v[16:19], v1 offset:64
	v_lshlrev_b32_e32 v39, 16, v39
	ds_read_b128 v[20:23], v1 offset:80
	ds_read_b128 v[24:27], v1 offset:96
	;; [unrolled: 1-line block ×3, first 2 shown]
	s_cmpk_lt_u32 s48, 0x2001
	s_waitcnt lgkmcnt(3)
	v_fmac_f32_e32 v110, v16, v39
	v_lshlrev_b32_e32 v16, 16, v38
	v_fmac_f32_e32 v110, v17, v16
	v_lshlrev_b32_e32 v16, 16, v37
	v_fmac_f32_e32 v110, v18, v16
	v_lshlrev_b32_e32 v16, 16, v36
	v_fmac_f32_e32 v110, v19, v16
	v_lshlrev_b32_e32 v16, 16, v35
	s_waitcnt lgkmcnt(2)
	v_fmac_f32_e32 v110, v20, v16
	v_lshlrev_b32_e32 v16, 16, v34
	v_fmac_f32_e32 v110, v21, v16
	v_lshlrev_b32_e32 v16, 16, v33
	v_fmac_f32_e32 v110, v22, v16
	v_lshlrev_b32_e32 v16, 16, v32
	v_fmac_f32_e32 v110, v23, v16
	v_lshlrev_b32_e32 v16, 16, v47
	;; [unrolled: 9-line block ×3, first 2 shown]
	s_waitcnt lgkmcnt(0)
	v_fmac_f32_e32 v110, v28, v16
	v_lshlrev_b32_e32 v16, 16, v42
	v_fmac_f32_e32 v110, v29, v16
	v_lshlrev_b32_e32 v16, 16, v41
	;; [unrolled: 2-line block ×3, first 2 shown]
	v_fmac_f32_e32 v110, v31, v16
	s_cbranch_scc1 .LBB413_15
; %bb.14:
	v_mov_b32_e32 v32, 0
	ds_read_b128 v[16:19], v32 offset:128
	ds_read_b128 v[20:23], v32 offset:144
	;; [unrolled: 1-line block ×4, first 2 shown]
	s_waitcnt lgkmcnt(3)
	v_fmac_f32_e32 v110, v16, v67
	v_fmac_f32_e32 v110, v17, v65
	v_fmac_f32_e32 v110, v18, v66
	v_fmac_f32_e32 v110, v19, v63
	s_waitcnt lgkmcnt(2)
	v_fmac_f32_e32 v110, v20, v64
	v_fmac_f32_e32 v110, v21, v61
	v_fmac_f32_e32 v110, v22, v62
	v_fmac_f32_e32 v110, v23, v59
	;; [unrolled: 5-line block ×3, first 2 shown]
	ds_read_b128 v[16:19], v32 offset:192
	ds_read_b128 v[20:23], v32 offset:208
	s_waitcnt lgkmcnt(2)
	v_fmac_f32_e32 v110, v28, v56
	v_fmac_f32_e32 v110, v29, v53
	;; [unrolled: 1-line block ×4, first 2 shown]
	s_waitcnt lgkmcnt(1)
	v_fmac_f32_e32 v110, v16, v51
	v_fmac_f32_e32 v110, v17, v49
	;; [unrolled: 1-line block ×4, first 2 shown]
	s_waitcnt lgkmcnt(0)
	v_pk_mul_f32 v[14:15], v[20:21], v[14:15]
	v_pk_mul_f32 v[12:13], v[22:23], v[12:13]
	v_add_f32_e32 v14, v110, v14
	v_add_f32_e32 v18, v14, v15
	ds_read_b128 v[14:17], v32 offset:224
	v_add_f32_e32 v12, v18, v12
	ds_read_b128 v[18:21], v32 offset:240
	v_add_f32_e32 v12, v12, v13
	s_waitcnt lgkmcnt(1)
	v_pk_mul_f32 v[10:11], v[14:15], v[10:11]
	s_nop 0
	v_add_f32_e32 v10, v12, v10
	v_add_f32_e32 v10, v10, v11
	v_pk_mul_f32 v[8:9], v[16:17], v[8:9]
	s_waitcnt lgkmcnt(0)
	v_pk_mul_f32 v[6:7], v[18:19], v[6:7]
	v_add_f32_e32 v8, v10, v8
	v_add_f32_e32 v8, v8, v9
	;; [unrolled: 1-line block ×4, first 2 shown]
	v_pk_mul_f32 v[4:5], v[20:21], v[4:5]
	s_nop 0
	v_add_f32_e32 v4, v6, v4
	v_add_f32_e32 v110, v4, v5
.LBB413_15:
	s_movk_i32 s0, 0x1fc0
	s_movk_i32 s1, 0x100
	s_mov_b32 s8, 64
	s_branch .LBB413_17
.LBB413_16:                             ;   in Loop: Header=BB413_17 Depth=1
	s_addk_i32 s0, 0x1000
	s_addk_i32 s1, 0x100
	s_add_i32 s8, s8, 64
	s_cmpk_eq_u32 s0, 0xafc0
	s_cbranch_scc1 .LBB413_19
.LBB413_17:                             ; =>This Inner Loop Header: Depth=1
	s_cmp_le_i32 s33, s8
	s_cbranch_scc1 .LBB413_16
; %bb.18:                               ;   in Loop: Header=BB413_17 Depth=1
	s_add_i32 s9, s0, 0xfffff040
	s_cmp_lt_i32 s9, s10
	s_cselect_b32 s12, s9, s11
	s_ashr_i32 s13, s12, 31
	s_add_i32 s9, s0, 0xfffff080
	s_cmp_lt_i32 s9, s10
	v_lshl_add_u64 v[44:45], s[12:13], 1, v[2:3]
	s_cselect_b32 s12, s9, s11
	s_ashr_i32 s13, s12, 31
	s_add_i32 s9, s0, 0xfffff0c0
	s_cmp_lt_i32 s9, s10
	v_lshl_add_u64 v[4:5], s[12:13], 1, v[2:3]
	;; [unrolled: 5-line block ×17, first 2 shown]
	s_cselect_b32 s12, s9, s11
	s_ashr_i32 s13, s12, 31
	s_add_i32 s9, s0, 0xfffff4c0
	s_cmp_lt_i32 s9, s10
	global_load_ushort v111, v[44:45], off
	global_load_ushort v121, v[46:47], off
	v_lshl_add_u64 v[22:23], s[12:13], 1, v[2:3]
	s_cselect_b32 s12, s9, s11
	global_load_ushort v112, v[4:5], off
	global_load_ushort v113, v[6:7], off
	;; [unrolled: 1-line block ×7, first 2 shown]
	s_ashr_i32 s13, s12, 31
	s_add_i32 s9, s0, 0xfffff500
	s_cmp_lt_i32 s9, s10
	v_lshl_add_u64 v[24:25], s[12:13], 1, v[2:3]
	s_cselect_b32 s12, s9, s11
	s_ashr_i32 s13, s12, 31
	s_add_i32 s9, s0, 0xfffff540
	s_cmp_lt_i32 s9, s10
	v_lshl_add_u64 v[32:33], s[12:13], 1, v[2:3]
	s_cselect_b32 s12, s9, s11
	;; [unrolled: 5-line block ×3, first 2 shown]
	s_ashr_i32 s13, s12, 31
	s_add_i32 s9, s0, 0xfffff5c0
	s_cmp_lt_i32 s9, s10
	global_load_ushort v119, v[28:29], off
	global_load_ushort v120, v[30:31], off
	v_lshl_add_u64 v[34:35], s[12:13], 1, v[2:3]
	s_cselect_b32 s12, s9, s11
	s_ashr_i32 s13, s12, 31
	s_add_i32 s9, s0, 0xfffff600
	s_cmp_lt_i32 s9, s10
	v_lshl_add_u64 v[36:37], s[12:13], 1, v[2:3]
	s_cselect_b32 s12, s9, s11
	s_ashr_i32 s13, s12, 31
	s_add_i32 s9, s0, 0xfffff640
	s_cmp_lt_i32 s9, s10
	v_lshl_add_u64 v[50:51], s[12:13], 1, v[2:3]
	s_cselect_b32 s12, s9, s11
	global_load_ushort v122, v[54:55], off
	global_load_ushort v123, v[56:57], off
	s_ashr_i32 s13, s12, 31
	global_load_ushort v58, v[58:59], off
	s_add_i32 s9, s0, 0xfffff680
	s_cmp_lt_i32 s9, s10
	v_lshl_add_u64 v[38:39], s[12:13], 1, v[2:3]
	s_cselect_b32 s12, s9, s11
	global_load_ushort v59, v[60:61], off
	s_ashr_i32 s13, s12, 31
	s_add_i32 s9, s0, 0xfffff6c0
	global_load_ushort v60, v[66:67], off
	global_load_ushort v61, v[62:63], off
	s_cmp_lt_i32 s9, s10
	v_lshl_add_u64 v[18:19], s[12:13], 1, v[2:3]
	s_cselect_b32 s12, s9, s11
	s_ashr_i32 s13, s12, 31
	s_add_i32 s9, s0, 0xfffff700
	s_cmp_lt_i32 s9, s10
	v_lshl_add_u64 v[20:21], s[12:13], 1, v[2:3]
	s_cselect_b32 s12, s9, s11
	s_ashr_i32 s13, s12, 31
	s_add_i32 s9, s0, 0xfffff740
	;; [unrolled: 5-line block ×3, first 2 shown]
	s_cmp_lt_i32 s9, s10
	v_lshl_add_u64 v[42:43], s[12:13], 1, v[2:3]
	s_cselect_b32 s12, s9, s11
	global_load_ushort v62, v[22:23], off
	s_ashr_i32 s13, s12, 31
	s_add_i32 s9, s0, 0xfffff7c0
	global_load_ushort v66, v[32:33], off
	global_load_ushort v124, v[34:35], off
	;; [unrolled: 1-line block ×4, first 2 shown]
	s_cmp_lt_i32 s9, s10
	v_lshl_add_u64 v[26:27], s[12:13], 1, v[2:3]
	s_cselect_b32 s12, s9, s11
	global_load_ushort v67, v[48:49], off
	s_ashr_i32 s13, s12, 31
	s_add_i32 s9, s0, 0xfffff800
	s_cmp_lt_i32 s9, s10
	v_lshl_add_u64 v[52:53], s[12:13], 1, v[2:3]
	s_cselect_b32 s12, s9, s11
	s_ashr_i32 s13, s12, 31
	s_add_i32 s9, s0, 0xfffff840
	s_cmp_lt_i32 s9, s10
	v_lshl_add_u64 v[64:65], s[12:13], 1, v[2:3]
	s_cselect_b32 s12, s9, s11
	s_ashr_i32 s13, s12, 31
	s_add_i32 s9, s0, 0xfffff880
	s_cmp_lt_i32 s9, s10
	v_mov_b32_e32 v125, s1
	v_lshl_add_u64 v[68:69], s[12:13], 1, v[2:3]
	s_cselect_b32 s12, s9, s11
	ds_read_b128 v[30:33], v125
	ds_read_b128 v[34:37], v125 offset:16
	global_load_ushort v50, v[50:51], off
	s_ashr_i32 s13, s12, 31
	s_add_i32 s9, s0, 0xfffff8c0
	s_cmp_lt_i32 s9, s10
	v_lshl_add_u64 v[70:71], s[12:13], 1, v[2:3]
	s_cselect_b32 s12, s9, s11
	ds_read_b128 v[46:49], v125 offset:32
	ds_read_b128 v[54:57], v125 offset:48
	global_load_ushort v38, v[38:39], off
	s_ashr_i32 s13, s12, 31
	s_add_i32 s9, s0, 0xfffff900
	s_cmp_lt_i32 s9, s10
	v_lshl_add_u64 v[72:73], s[12:13], 1, v[2:3]
	s_cselect_b32 s12, s9, s11
	global_load_ushort v39, v[18:19], off
	s_ashr_i32 s13, s12, 31
	global_load_ushort v26, v[26:27], off
	s_add_i32 s9, s0, 0xfffff940
	s_cmp_lt_i32 s9, s10
	v_lshl_add_u64 v[74:75], s[12:13], 1, v[2:3]
	s_cselect_b32 s12, s9, s11
	s_ashr_i32 s13, s12, 31
	s_add_i32 s9, s0, 0xfffff980
	s_cmp_lt_i32 s9, s10
	v_lshl_add_u64 v[76:77], s[12:13], 1, v[2:3]
	s_cselect_b32 s12, s9, s11
	s_ashr_i32 s13, s12, 31
	s_add_i32 s9, s0, 0xfffff9c0
	s_cmp_lt_i32 s9, s10
	v_lshl_add_u64 v[78:79], s[12:13], 1, v[2:3]
	s_cselect_b32 s12, s9, s11
	s_ashr_i32 s13, s12, 31
	s_add_i32 s9, s0, 0xfffffa00
	s_cmp_lt_i32 s9, s10
	v_lshl_add_u64 v[80:81], s[12:13], 1, v[2:3]
	s_cselect_b32 s12, s9, s11
	s_ashr_i32 s13, s12, 31
	s_add_i32 s9, s0, 0xfffffa40
	s_cmp_lt_i32 s9, s10
	v_lshl_add_u64 v[82:83], s[12:13], 1, v[2:3]
	s_cselect_b32 s12, s9, s11
	s_ashr_i32 s13, s12, 31
	s_add_i32 s9, s0, 0xfffffa80
	s_cmp_lt_i32 s9, s10
	v_lshl_add_u64 v[84:85], s[12:13], 1, v[2:3]
	global_load_ushort v51, v[84:85], off
	s_cselect_b32 s12, s9, s11
	s_ashr_i32 s13, s12, 31
	s_add_i32 s9, s0, 0xfffffac0
	s_cmp_lt_i32 s9, s10
	v_lshl_add_u64 v[86:87], s[12:13], 1, v[2:3]
	s_cselect_b32 s12, s9, s11
	s_ashr_i32 s13, s12, 31
	s_add_i32 s9, s0, 0xfffffb00
	s_cmp_lt_i32 s9, s10
	v_lshl_add_u64 v[88:89], s[12:13], 1, v[2:3]
	;; [unrolled: 5-line block ×3, first 2 shown]
	s_cselect_b32 s12, s9, s11
	s_ashr_i32 s13, s12, 31
	s_add_i32 s9, s0, 0xfffffb80
	s_waitcnt vmcnt(27)
	v_lshlrev_b32_e32 v111, 16, v111
	s_cmp_lt_i32 s9, s10
	s_waitcnt lgkmcnt(3)
	v_fmac_f32_e32 v110, v30, v111
	s_waitcnt vmcnt(25)
	v_lshlrev_b32_e32 v30, 16, v112
	v_lshl_add_u64 v[92:93], s[12:13], 1, v[2:3]
	s_cselect_b32 s12, s9, s11
	v_fmac_f32_e32 v110, v31, v30
	s_waitcnt vmcnt(24)
	v_lshlrev_b32_e32 v30, 16, v113
	s_ashr_i32 s13, s12, 31
	s_add_i32 s9, s0, 0xfffffbc0
	v_fmac_f32_e32 v110, v32, v30
	s_waitcnt vmcnt(23)
	v_lshlrev_b32_e32 v30, 16, v114
	s_cmp_lt_i32 s9, s10
	v_fmac_f32_e32 v110, v33, v30
	s_waitcnt vmcnt(22)
	v_lshlrev_b32_e32 v18, 16, v115
	v_lshl_add_u64 v[94:95], s[12:13], 1, v[2:3]
	s_cselect_b32 s12, s9, s11
	s_waitcnt lgkmcnt(2)
	v_fmac_f32_e32 v110, v34, v18
	global_load_ushort v34, v[20:21], off
	s_ashr_i32 s13, s12, 31
	global_load_ushort v40, v[40:41], off
	s_add_i32 s9, s0, 0xfffffc00
	s_waitcnt vmcnt(23)
	v_lshlrev_b32_e32 v18, 16, v116
	s_cmp_lt_i32 s9, s10
	v_fmac_f32_e32 v110, v35, v18
	global_load_ushort v35, v[42:43], off
	global_load_ushort v27, v[52:53], off
	v_lshl_add_u64 v[96:97], s[12:13], 1, v[2:3]
	s_cselect_b32 s12, s9, s11
	s_ashr_i32 s13, s12, 31
	s_add_i32 s9, s0, 0xfffffc40
	s_cmp_lt_i32 s9, s10
	s_waitcnt vmcnt(24)
	v_lshlrev_b32_e32 v18, 16, v117
	v_lshl_add_u64 v[100:101], s[12:13], 1, v[2:3]
	s_cselect_b32 s12, s9, s11
	v_fmac_f32_e32 v110, v36, v18
	global_load_ushort v36, v[64:65], off
	s_waitcnt vmcnt(24)
	v_lshlrev_b32_e32 v18, 16, v118
	s_ashr_i32 s13, s12, 31
	s_add_i32 s9, s0, 0xfffffc80
	v_fmac_f32_e32 v110, v37, v18
	global_load_ushort v37, v[68:69], off
	s_waitcnt vmcnt(24)
	v_lshlrev_b32_e32 v18, 16, v119
	s_cmp_lt_i32 s9, s10
	s_waitcnt lgkmcnt(1)
	v_fmac_f32_e32 v110, v46, v18
	global_load_ushort v46, v[76:77], off
	s_waitcnt vmcnt(24)
	v_lshlrev_b32_e32 v18, 16, v120
	v_lshl_add_u64 v[102:103], s[12:13], 1, v[2:3]
	s_cselect_b32 s12, s9, s11
	v_fmac_f32_e32 v110, v47, v18
	v_lshlrev_b32_e32 v18, 16, v121
	s_ashr_i32 s13, s12, 31
	s_add_i32 s9, s0, 0xfffffcc0
	v_fmac_f32_e32 v110, v48, v18
	global_load_ushort v48, v[80:81], off
	global_load_ushort v41, v[70:71], off
	;; [unrolled: 1-line block ×5, first 2 shown]
	s_cmp_lt_i32 s9, s10
	v_lshl_add_u64 v[104:105], s[12:13], 1, v[2:3]
	s_cselect_b32 s12, s9, s11
	s_ashr_i32 s13, s12, 31
	s_add_i32 s9, s0, 0xfffffd00
	s_cmp_lt_i32 s9, s10
	s_waitcnt vmcnt(28)
	v_lshlrev_b32_e32 v18, 16, v122
	v_lshl_add_u64 v[106:107], s[12:13], 1, v[2:3]
	s_cselect_b32 s12, s9, s11
	v_fmac_f32_e32 v110, v49, v18
	global_load_ushort v49, v[82:83], off
	global_load_ushort v52, v[86:87], off
	s_waitcnt vmcnt(29)
	v_lshlrev_b32_e32 v18, 16, v123
	s_ashr_i32 s13, s12, 31
	s_add_i32 s9, s0, 0xfffffd40
	s_waitcnt lgkmcnt(0)
	v_fmac_f32_e32 v110, v54, v18
	global_load_ushort v54, v[88:89], off
	s_waitcnt vmcnt(29)
	v_lshlrev_b32_e32 v18, 16, v58
	s_cmp_lt_i32 s9, s10
	v_fmac_f32_e32 v110, v55, v18
	global_load_ushort v55, v[90:91], off
	s_waitcnt vmcnt(29)
	v_lshlrev_b32_e32 v18, 16, v59
	v_lshl_add_u64 v[98:99], s[12:13], 1, v[2:3]
	s_cselect_b32 s12, s9, s11
	v_fmac_f32_e32 v110, v56, v18
	s_waitcnt vmcnt(28)
	v_lshlrev_b32_e32 v18, 16, v60
	s_ashr_i32 s13, s12, 31
	s_add_i32 s9, s0, 0xfffffd80
	v_fmac_f32_e32 v110, v57, v18
	ds_read_b128 v[18:21], v125 offset:64
	ds_read_b128 v[30:33], v125 offset:80
	s_cmp_lt_i32 s9, s10
	v_lshl_add_u64 v[44:45], s[12:13], 1, v[2:3]
	s_cselect_b32 s12, s9, s11
	s_ashr_i32 s13, s12, 31
	s_add_i32 s9, s0, 0xfffffdc0
	s_cmp_lt_i32 s9, s10
	s_waitcnt vmcnt(27)
	v_lshlrev_b32_e32 v53, 16, v61
	v_lshl_add_u64 v[108:109], s[12:13], 1, v[2:3]
	s_cselect_b32 s12, s9, s11
	s_waitcnt lgkmcnt(1)
	v_fmac_f32_e32 v110, v18, v53
	global_load_ushort v53, v[92:93], off
	global_load_ushort v56, v[94:95], off
	;; [unrolled: 1-line block ×6, first 2 shown]
	s_ashr_i32 s13, s12, 31
	s_add_i32 s9, s0, 0xfffffe00
	s_cmp_lt_i32 s9, s10
	v_lshl_add_u64 v[4:5], s[12:13], 1, v[2:3]
	s_cselect_b32 s12, s9, s11
	s_ashr_i32 s13, s12, 31
	s_add_i32 s9, s0, 0xfffffe40
	s_cmp_lt_i32 s9, s10
	s_waitcnt vmcnt(32)
	v_lshlrev_b32_e32 v18, 16, v62
	v_lshl_add_u64 v[6:7], s[12:13], 1, v[2:3]
	s_cselect_b32 s12, s9, s11
	v_fmac_f32_e32 v110, v19, v18
	s_waitcnt vmcnt(28)
	v_lshlrev_b32_e32 v18, 16, v63
	s_ashr_i32 s13, s12, 31
	s_add_i32 s9, s0, 0xfffffe80
	v_fmac_f32_e32 v110, v20, v18
	v_lshlrev_b32_e32 v18, 16, v66
	s_cmp_lt_i32 s9, s10
	v_fmac_f32_e32 v110, v21, v18
	s_waitcnt vmcnt(27)
	v_lshlrev_b32_e32 v18, 16, v67
	v_lshl_add_u64 v[8:9], s[12:13], 1, v[2:3]
	s_cselect_b32 s12, s9, s11
	s_waitcnt lgkmcnt(0)
	v_fmac_f32_e32 v110, v30, v18
	global_load_ushort v30, v[106:107], off
	s_ashr_i32 s13, s12, 31
	s_add_i32 s9, s0, 0xfffffec0
	s_cmp_lt_i32 s9, s10
	global_load_ushort v61, v[98:99], off
	global_load_ushort v62, v[44:45], off
	;; [unrolled: 1-line block ×3, first 2 shown]
	v_lshl_add_u64 v[12:13], s[12:13], 1, v[2:3]
	s_cselect_b32 s12, s9, s11
	v_lshlrev_b32_e32 v18, 16, v124
	s_ashr_i32 s13, s12, 31
	s_add_i32 s9, s0, 0xffffff00
	v_fmac_f32_e32 v110, v31, v18
	v_lshlrev_b32_e32 v18, 16, v126
	s_cmp_lt_i32 s9, s10
	v_fmac_f32_e32 v110, v32, v18
	global_load_ushort v31, v[4:5], off
	global_load_ushort v32, v[6:7], off
	v_lshl_add_u64 v[10:11], s[12:13], 1, v[2:3]
	s_cselect_b32 s12, s9, s11
	s_ashr_i32 s13, s12, 31
	s_add_i32 s9, s0, 0xffffff40
	s_cmp_lt_i32 s9, s10
	s_waitcnt vmcnt(32)
	v_lshlrev_b32_e32 v4, 16, v50
	v_lshl_add_u64 v[16:17], s[12:13], 1, v[2:3]
	s_cselect_b32 s12, s9, s11
	v_fmac_f32_e32 v110, v33, v4
	ds_read_b128 v[4:7], v125 offset:96
	s_ashr_i32 s13, s12, 31
	s_add_i32 s9, s0, 0xffffff80
	s_cmp_lt_i32 s9, s10
	s_waitcnt vmcnt(31)
	v_lshlrev_b32_e32 v33, 16, v38
	global_load_ushort v38, v[8:9], off
	global_load_ushort v44, v[12:13], off
	v_lshl_add_u64 v[14:15], s[12:13], 1, v[2:3]
	s_cselect_b32 s12, s9, s11
	s_ashr_i32 s13, s12, 31
	s_sub_i32 s9, s0, 64
	s_cmp_lt_i32 s9, s10
	ds_read_b128 v[18:21], v125 offset:112
	s_waitcnt lgkmcnt(1)
	v_fmac_f32_e32 v110, v4, v33
	s_waitcnt vmcnt(32)
	v_lshlrev_b32_e32 v4, 16, v39
	global_load_ushort v33, v[10:11], off
	global_load_ushort v39, v[16:17], off
	v_lshl_add_u64 v[28:29], s[12:13], 1, v[2:3]
	s_cselect_b32 s12, s9, s11
	s_ashr_i32 s13, s12, 31
	s_cmp_lt_i32 s0, s10
	global_load_ushort v16, v[14:15], off
	global_load_ushort v17, v[28:29], off
	v_lshl_add_u64 v[22:23], s[12:13], 1, v[2:3]
	s_cselect_b32 s12, s0, s11
	s_ashr_i32 s13, s12, 31
	v_lshl_add_u64 v[24:25], s[12:13], 1, v[2:3]
	global_load_ushort v14, v[22:23], off
	global_load_ushort v15, v[24:25], off
	v_fmac_f32_e32 v110, v5, v4
	s_waitcnt vmcnt(35)
	v_lshlrev_b32_e32 v4, 16, v34
	v_fmac_f32_e32 v110, v6, v4
	s_waitcnt vmcnt(34)
	v_lshlrev_b32_e32 v4, 16, v40
	;; [unrolled: 3-line block ×3, first 2 shown]
	s_waitcnt lgkmcnt(0)
	v_fmac_f32_e32 v110, v18, v4
	v_lshlrev_b32_e32 v4, 16, v26
	v_fmac_f32_e32 v110, v19, v4
	s_waitcnt vmcnt(32)
	v_lshlrev_b32_e32 v4, 16, v27
	v_fmac_f32_e32 v110, v20, v4
	ds_read_b128 v[4:7], v125 offset:128
	s_waitcnt vmcnt(31)
	v_lshlrev_b32_e32 v8, 16, v36
	v_fmac_f32_e32 v110, v21, v8
	ds_read_b128 v[8:11], v125 offset:144
	s_waitcnt vmcnt(30)
	v_lshlrev_b32_e32 v12, 16, v37
	s_waitcnt lgkmcnt(1)
	v_fmac_f32_e32 v110, v4, v12
	s_waitcnt vmcnt(27)
	v_lshlrev_b32_e32 v4, 16, v41
	v_fmac_f32_e32 v110, v5, v4
	s_waitcnt vmcnt(26)
	v_lshlrev_b32_e32 v4, 16, v42
	;; [unrolled: 3-line block ×3, first 2 shown]
	v_fmac_f32_e32 v110, v7, v4
	v_lshlrev_b32_e32 v4, 16, v46
	s_waitcnt lgkmcnt(0)
	v_fmac_f32_e32 v110, v8, v4
	s_waitcnt vmcnt(24)
	v_lshlrev_b32_e32 v4, 16, v47
	v_fmac_f32_e32 v110, v9, v4
	v_lshlrev_b32_e32 v4, 16, v48
	v_fmac_f32_e32 v110, v10, v4
	ds_read_b128 v[4:7], v125 offset:160
	s_waitcnt vmcnt(23)
	v_lshlrev_b32_e32 v8, 16, v49
	v_fmac_f32_e32 v110, v11, v8
	ds_read_b128 v[8:11], v125 offset:176
	v_lshlrev_b32_e32 v12, 16, v51
	s_waitcnt lgkmcnt(1)
	v_fmac_f32_e32 v110, v4, v12
	s_waitcnt vmcnt(22)
	v_lshlrev_b32_e32 v4, 16, v52
	v_fmac_f32_e32 v110, v5, v4
	s_waitcnt vmcnt(21)
	v_lshlrev_b32_e32 v4, 16, v54
	v_fmac_f32_e32 v110, v6, v4
	s_waitcnt vmcnt(20)
	v_lshlrev_b32_e32 v4, 16, v55
	v_fmac_f32_e32 v110, v7, v4
	s_waitcnt vmcnt(19)
	v_lshlrev_b32_e32 v4, 16, v53
	s_waitcnt lgkmcnt(0)
	v_fmac_f32_e32 v110, v8, v4
	s_waitcnt vmcnt(18)
	v_lshlrev_b32_e32 v4, 16, v56
	v_fmac_f32_e32 v110, v9, v4
	s_waitcnt vmcnt(17)
	v_lshlrev_b32_e32 v4, 16, v57
	v_fmac_f32_e32 v110, v10, v4
	ds_read_b128 v[4:7], v125 offset:192
	s_waitcnt vmcnt(16)
	v_lshlrev_b32_e32 v8, 16, v58
	v_fmac_f32_e32 v110, v11, v8
	ds_read_b128 v[8:11], v125 offset:208
	s_waitcnt vmcnt(15)
	v_lshlrev_b32_e32 v12, 16, v59
	s_waitcnt lgkmcnt(1)
	v_fmac_f32_e32 v110, v4, v12
	s_waitcnt vmcnt(14)
	v_lshlrev_b32_e32 v4, 16, v60
	v_fmac_f32_e32 v110, v5, v4
	s_waitcnt vmcnt(13)
	v_lshlrev_b32_e32 v4, 16, v30
	;; [unrolled: 3-line block ×4, first 2 shown]
	v_lshlrev_b32_e32 v4, 16, v62
	s_waitcnt lgkmcnt(0)
	v_pk_mul_f32 v[4:5], v[8:9], v[4:5]
	s_waitcnt vmcnt(6)
	v_lshlrev_b32_e32 v13, 16, v44
	v_add_f32_e32 v4, v110, v4
	v_add_f32_e32 v6, v4, v5
	v_lshlrev_b32_e32 v5, 16, v32
	v_lshlrev_b32_e32 v4, 16, v31
	v_pk_mul_f32 v[8:9], v[10:11], v[4:5]
	v_lshlrev_b32_e32 v12, 16, v38
	v_add_f32_e32 v8, v6, v8
	ds_read_b128 v[4:7], v125 offset:224
	v_add_f32_e32 v18, v8, v9
	ds_read_b128 v[8:11], v125 offset:240
	s_waitcnt lgkmcnt(1)
	v_pk_mul_f32 v[4:5], v[4:5], v[12:13]
	s_nop 0
	v_add_f32_e32 v4, v18, v4
	v_add_f32_e32 v12, v4, v5
	s_waitcnt vmcnt(4)
	v_lshlrev_b32_e32 v5, 16, v39
	v_lshlrev_b32_e32 v4, 16, v33
	v_pk_mul_f32 v[4:5], v[6:7], v[4:5]
	s_nop 0
	v_add_f32_e32 v4, v12, v4
	v_add_f32_e32 v6, v4, v5
	s_waitcnt vmcnt(2)
	v_lshlrev_b32_e32 v5, 16, v17
	v_lshlrev_b32_e32 v4, 16, v16
	s_waitcnt lgkmcnt(0)
	v_pk_mul_f32 v[4:5], v[8:9], v[4:5]
	s_nop 0
	v_add_f32_e32 v4, v6, v4
	v_add_f32_e32 v6, v4, v5
	s_waitcnt vmcnt(0)
	v_lshlrev_b32_e32 v5, 16, v15
	v_lshlrev_b32_e32 v4, 16, v14
	v_pk_mul_f32 v[4:5], v[10:11], v[4:5]
	s_nop 0
	v_add_f32_e32 v4, v6, v4
	v_add_f32_e32 v110, v4, v5
	s_branch .LBB413_16
.LBB413_19:
	v_mov_b32_e32 v2, 0
	ds_read_b32 v2, v2 offset:2560
	s_cmp_lg_u64 s[6:7], 0
	s_cbranch_scc0 .LBB413_24
; %bb.20:
	s_load_dword s6, s[6:7], 0x0
	s_waitcnt lgkmcnt(0)
	v_div_scale_f32 v3, s[0:1], s6, s6, 1.0
	v_rcp_f32_e32 v4, v3
	v_div_scale_f32 v5, vcc, 1.0, s6, 1.0
	v_fma_f32 v6, -v3, v4, 1.0
	v_fmac_f32_e32 v4, v6, v4
	v_mul_f32_e32 v6, v5, v4
	v_fma_f32 v7, -v3, v6, v5
	v_fmac_f32_e32 v6, v7, v4
	v_fma_f32 v3, -v3, v6, v5
	v_div_fmas_f32 v3, v3, v4, v6
	v_div_fixup_f32 v3, v3, s6, 1.0
	s_andn2_b64 vcc, exec, s[38:39]
	s_cbranch_vccnz .LBB413_22
.LBB413_21:
	s_add_u32 s0, s36, s40
	s_addc_u32 s1, s37, s41
	s_load_dword s34, s[0:1], 0x0
	s_mov_b32 s35, 0
.LBB413_22:
	s_waitcnt lgkmcnt(0)
	v_add_f32_e32 v2, 0x358637bd, v2
	v_div_scale_f32 v4, s[0:1], v2, v2, 1.0
	v_rcp_f32_e32 v5, v4
	v_div_scale_f32 v6, vcc, 1.0, v2, 1.0
	s_mul_i32 s0, s3, s35
	v_fma_f32 v7, -v4, v5, 1.0
	v_fmac_f32_e32 v5, v7, v5
	v_mul_f32_e32 v7, v6, v5
	v_fma_f32 v8, -v4, v7, v6
	v_fmac_f32_e32 v7, v8, v5
	v_fma_f32 v4, -v4, v7, v6
	s_mul_hi_u32 s1, s3, s34
	v_div_fmas_f32 v4, v4, v5, v7
	s_add_i32 s1, s1, s0
	s_mul_i32 s0, s3, s34
	v_div_fixup_f32 v2, v4, v2, 1.0
	s_lshl_b64 s[0:1], s[0:1], 6
	v_mul_f32_e32 v2, v110, v2
	s_add_u32 s4, s4, s0
	s_mov_b32 s3, 0
	v_mul_f32_e32 v2, v2, v3
	s_addc_u32 s5, s5, s1
	s_lshl_b64 s[0:1], s[2:3], 6
	s_mov_b32 s2, 0x7f800000
	s_mov_b32 s3, 0x43700000
	v_mov_b32_e32 v3, 0xc3700000
	v_med3_f32 v3, v2, s3, v3
	v_cmp_nlg_f32_e64 vcc, |v2|, s2
	s_add_u32 s0, s4, s0
	s_addc_u32 s1, s5, s1
	v_cndmask_b32_e32 v2, v3, v2, vcc
	v_mov_b32_e32 v3, 0
	v_cvt_pk_fp8_f32 v3, v2, v2
	v_lshl_add_u64 v[0:1], s[0:1], 0, v[0:1]
	global_store_byte v[0:1], v3, off
	s_endpgm
.LBB413_23:
	s_mov_b64 s[6:7], 0
	s_branch .LBB413_2
.LBB413_24:
	v_mov_b32_e32 v3, 1.0
	s_andn2_b64 vcc, exec, s[38:39]
	s_cbranch_vccz .LBB413_21
	s_branch .LBB413_22
	.section	.rodata,"a",@progbits
	.p2align	6, 0x0
	.amdhsa_kernel _Z35paged_attention_ll4mi_reduce_kernelI14__hip_bfloat16hLi64ELi64ELi256ELi10EEvPT0_PKfS4_PKT_PKiS9_iS4_
		.amdhsa_group_segment_fixed_size 2564
		.amdhsa_private_segment_fixed_size 0
		.amdhsa_kernarg_size 320
		.amdhsa_user_sgpr_count 2
		.amdhsa_user_sgpr_dispatch_ptr 0
		.amdhsa_user_sgpr_queue_ptr 0
		.amdhsa_user_sgpr_kernarg_segment_ptr 1
		.amdhsa_user_sgpr_dispatch_id 0
		.amdhsa_user_sgpr_kernarg_preload_length 0
		.amdhsa_user_sgpr_kernarg_preload_offset 0
		.amdhsa_user_sgpr_private_segment_size 0
		.amdhsa_uses_dynamic_stack 0
		.amdhsa_enable_private_segment 0
		.amdhsa_system_sgpr_workgroup_id_x 1
		.amdhsa_system_sgpr_workgroup_id_y 1
		.amdhsa_system_sgpr_workgroup_id_z 0
		.amdhsa_system_sgpr_workgroup_info 0
		.amdhsa_system_vgpr_workitem_id 0
		.amdhsa_next_free_vgpr 127
		.amdhsa_next_free_sgpr 49
		.amdhsa_accum_offset 128
		.amdhsa_reserve_vcc 1
		.amdhsa_float_round_mode_32 0
		.amdhsa_float_round_mode_16_64 0
		.amdhsa_float_denorm_mode_32 3
		.amdhsa_float_denorm_mode_16_64 3
		.amdhsa_dx10_clamp 1
		.amdhsa_ieee_mode 1
		.amdhsa_fp16_overflow 0
		.amdhsa_tg_split 0
		.amdhsa_exception_fp_ieee_invalid_op 0
		.amdhsa_exception_fp_denorm_src 0
		.amdhsa_exception_fp_ieee_div_zero 0
		.amdhsa_exception_fp_ieee_overflow 0
		.amdhsa_exception_fp_ieee_underflow 0
		.amdhsa_exception_fp_ieee_inexact 0
		.amdhsa_exception_int_div_zero 0
	.end_amdhsa_kernel
	.section	.text._Z35paged_attention_ll4mi_reduce_kernelI14__hip_bfloat16hLi64ELi64ELi256ELi10EEvPT0_PKfS4_PKT_PKiS9_iS4_,"axG",@progbits,_Z35paged_attention_ll4mi_reduce_kernelI14__hip_bfloat16hLi64ELi64ELi256ELi10EEvPT0_PKfS4_PKT_PKiS9_iS4_,comdat
.Lfunc_end413:
	.size	_Z35paged_attention_ll4mi_reduce_kernelI14__hip_bfloat16hLi64ELi64ELi256ELi10EEvPT0_PKfS4_PKT_PKiS9_iS4_, .Lfunc_end413-_Z35paged_attention_ll4mi_reduce_kernelI14__hip_bfloat16hLi64ELi64ELi256ELi10EEvPT0_PKfS4_PKT_PKiS9_iS4_
                                        ; -- End function
	.section	.AMDGPU.csdata,"",@progbits
; Kernel info:
; codeLenInByte = 9768
; NumSgprs: 55
; NumVgprs: 127
; NumAgprs: 0
; TotalNumVgprs: 127
; ScratchSize: 0
; MemoryBound: 0
; FloatMode: 240
; IeeeMode: 1
; LDSByteSize: 2564 bytes/workgroup (compile time only)
; SGPRBlocks: 6
; VGPRBlocks: 15
; NumSGPRsForWavesPerEU: 55
; NumVGPRsForWavesPerEU: 127
; AccumOffset: 128
; Occupancy: 4
; WaveLimiterHint : 1
; COMPUTE_PGM_RSRC2:SCRATCH_EN: 0
; COMPUTE_PGM_RSRC2:USER_SGPR: 2
; COMPUTE_PGM_RSRC2:TRAP_HANDLER: 0
; COMPUTE_PGM_RSRC2:TGID_X_EN: 1
; COMPUTE_PGM_RSRC2:TGID_Y_EN: 1
; COMPUTE_PGM_RSRC2:TGID_Z_EN: 0
; COMPUTE_PGM_RSRC2:TIDIG_COMP_CNT: 0
; COMPUTE_PGM_RSRC3_GFX90A:ACCUM_OFFSET: 31
; COMPUTE_PGM_RSRC3_GFX90A:TG_SPLIT: 0
	.section	.text._Z35paged_attention_ll4mi_reduce_kernelI14__hip_bfloat16hLi64ELi64ELi256ELi11EEvPT0_PKfS4_PKT_PKiS9_iS4_,"axG",@progbits,_Z35paged_attention_ll4mi_reduce_kernelI14__hip_bfloat16hLi64ELi64ELi256ELi11EEvPT0_PKfS4_PKT_PKiS9_iS4_,comdat
	.protected	_Z35paged_attention_ll4mi_reduce_kernelI14__hip_bfloat16hLi64ELi64ELi256ELi11EEvPT0_PKfS4_PKT_PKiS9_iS4_ ; -- Begin function _Z35paged_attention_ll4mi_reduce_kernelI14__hip_bfloat16hLi64ELi64ELi256ELi11EEvPT0_PKfS4_PKT_PKiS9_iS4_
	.globl	_Z35paged_attention_ll4mi_reduce_kernelI14__hip_bfloat16hLi64ELi64ELi256ELi11EEvPT0_PKfS4_PKT_PKiS9_iS4_
	.p2align	8
	.type	_Z35paged_attention_ll4mi_reduce_kernelI14__hip_bfloat16hLi64ELi64ELi256ELi11EEvPT0_PKfS4_PKT_PKiS9_iS4_,@function
_Z35paged_attention_ll4mi_reduce_kernelI14__hip_bfloat16hLi64ELi64ELi256ELi11EEvPT0_PKfS4_PKT_PKiS9_iS4_: ; @_Z35paged_attention_ll4mi_reduce_kernelI14__hip_bfloat16hLi64ELi64ELi256ELi11EEvPT0_PKfS4_PKT_PKiS9_iS4_
; %bb.0:
	s_load_dwordx2 s[34:35], s[0:1], 0x28
	s_mov_b32 s26, s3
	s_mov_b64 s[4:5], 0
	s_waitcnt lgkmcnt(0)
	s_cmp_lg_u64 s[34:35], 0
	s_cselect_b64 s[40:41], -1, 0
	s_and_b64 vcc, exec, s[40:41]
	s_cbranch_vccz .LBB414_23
; %bb.1:
	s_add_i32 s6, s26, 1
	s_mov_b32 s7, 0
	s_lshl_b64 s[8:9], s[6:7], 2
	s_add_u32 s8, s34, s8
	s_mov_b32 s27, s7
	s_addc_u32 s9, s35, s9
	s_lshl_b64 s[6:7], s[26:27], 2
	s_add_u32 s6, s34, s6
	s_addc_u32 s7, s35, s7
	s_load_dword s3, s[8:9], 0x0
	s_load_dword s10, s[6:7], 0x0
	s_waitcnt lgkmcnt(0)
	s_sub_i32 s3, s3, s10
	s_cmp_eq_u32 s3, 1
	s_cselect_b64 s[6:7], -1, 0
	s_andn2_b64 vcc, exec, s[4:5]
	s_cbranch_vccnz .LBB414_3
.LBB414_2:
	s_mov_b32 s27, 0
	s_mov_b64 s[6:7], -1
.LBB414_3:
	s_andn2_b64 vcc, exec, s[6:7]
	s_cbranch_vccz .LBB414_5
; %bb.4:
	s_endpgm
.LBB414_5:
	s_load_dwordx4 s[28:31], s[0:1], 0x18
	s_load_dword s8, s[0:1], 0x30
	s_lshl_b64 s[42:43], s[26:27], 2
	v_cmp_lt_u32_e32 vcc, 63, v0
	s_waitcnt lgkmcnt(0)
	s_add_u32 s4, s30, s42
	s_addc_u32 s5, s31, s43
	s_load_dword s50, s[4:5], 0x0
	s_load_dword s3, s[0:1], 0x40
	s_mul_i32 s30, s2, s8
	s_mul_i32 s6, s26, s8
	s_waitcnt lgkmcnt(0)
	s_add_i32 s7, s50, 0xff
	s_ashr_i32 s4, s7, 31
	s_lshr_b32 s4, s4, 24
	s_add_i32 s7, s7, s4
	s_and_saveexec_b64 s[4:5], vcc
	s_xor_b64 s[4:5], exec, s[4:5]
	s_or_saveexec_b64 s[44:45], s[4:5]
	s_ashr_i32 s33, s7, 8
	v_mov_b32_e32 v1, s30
	s_mul_i32 s46, s6, s3
	s_xor_b64 exec, exec, s[44:45]
	s_cbranch_execz .LBB414_9
; %bb.6:
	s_add_i32 s4, s33, -1
	v_or_b32_e32 v3, 64, v0
	v_mov_b32_e32 v1, s4
	v_cmp_gt_u32_e64 s[20:21], s33, v3
	s_load_dwordx4 s[36:39], s[0:1], 0x8
	s_mov_b32 s47, 0
	v_cndmask_b32_e64 v4, v1, v3, s[20:21]
	v_or_b32_e32 v3, 0x80, v0
	v_cmp_gt_u32_e64 s[18:19], s33, v3
	s_lshl_b64 s[48:49], s[46:47], 2
	s_mov_b32 s31, s47
	v_cndmask_b32_e64 v6, v1, v3, s[18:19]
	v_or_b32_e32 v3, 0xc0, v0
	v_cmp_gt_u32_e64 s[16:17], s33, v3
	v_cmp_gt_u32_e64 s[22:23], s33, v0
	s_waitcnt lgkmcnt(0)
	s_add_u32 s24, s38, s48
	v_cndmask_b32_e64 v8, v1, v3, s[16:17]
	v_or_b32_e32 v3, 0x100, v0
	v_cmp_gt_u32_e64 s[14:15], s33, v3
	v_cndmask_b32_e64 v2, v1, v0, s[22:23]
	s_addc_u32 s25, s39, s49
	v_cndmask_b32_e64 v10, v1, v3, s[14:15]
	v_or_b32_e32 v3, 0x140, v0
	v_cmp_gt_u32_e64 s[12:13], s33, v3
	s_lshl_b64 s[38:39], s[30:31], 2
	s_add_u32 s24, s24, s38
	v_cndmask_b32_e64 v12, v1, v3, s[12:13]
	v_or_b32_e32 v3, 0x180, v0
	v_cmp_gt_u32_e64 s[10:11], s33, v3
	v_ashrrev_i32_e32 v9, 31, v8
	v_ashrrev_i32_e32 v11, 31, v10
	v_cndmask_b32_e64 v14, v1, v3, s[10:11]
	v_or_b32_e32 v3, 0x1c0, v0
	v_cmp_gt_u32_e64 s[8:9], s33, v3
	v_ashrrev_i32_e32 v13, 31, v12
	s_addc_u32 s25, s25, s39
	v_cndmask_b32_e64 v16, v1, v3, s[8:9]
	v_or_b32_e32 v3, 0x200, v0
	v_cmp_gt_u32_e64 s[6:7], s33, v3
	v_ashrrev_i32_e32 v5, 31, v4
	v_ashrrev_i32_e32 v7, 31, v6
	v_cndmask_b32_e64 v18, v1, v3, s[6:7]
	v_or_b32_e32 v3, 0x240, v0
	v_cmp_gt_u32_e64 s[4:5], s33, v3
	v_lshlrev_b64 v[8:9], 2, v[8:9]
	v_lshlrev_b64 v[10:11], 2, v[10:11]
	v_cndmask_b32_e64 v20, v1, v3, s[4:5]
	v_or_b32_e32 v3, 0x280, v0
	v_cmp_gt_u32_e32 vcc, s33, v3
	v_lshlrev_b64 v[12:13], 2, v[12:13]
	v_ashrrev_i32_e32 v15, 31, v14
	v_cndmask_b32_e32 v22, v1, v3, vcc
	v_ashrrev_i32_e32 v3, 31, v2
	v_lshlrev_b64 v[2:3], 2, v[2:3]
	v_ashrrev_i32_e32 v17, 31, v16
	v_ashrrev_i32_e32 v19, 31, v18
	v_lshl_add_u64 v[24:25], s[24:25], 0, v[2:3]
	v_lshlrev_b64 v[4:5], 2, v[4:5]
	v_lshlrev_b64 v[6:7], 2, v[6:7]
	v_lshl_add_u64 v[30:31], s[24:25], 0, v[8:9]
	v_lshl_add_u64 v[32:33], s[24:25], 0, v[10:11]
	;; [unrolled: 1-line block ×3, first 2 shown]
	v_lshlrev_b64 v[14:15], 2, v[14:15]
	v_lshlrev_b64 v[16:17], 2, v[16:17]
	;; [unrolled: 1-line block ×3, first 2 shown]
	v_ashrrev_i32_e32 v21, 31, v20
	v_ashrrev_i32_e32 v23, 31, v22
	v_lshl_add_u64 v[26:27], s[24:25], 0, v[4:5]
	v_lshl_add_u64 v[28:29], s[24:25], 0, v[6:7]
	;; [unrolled: 1-line block ×4, first 2 shown]
	global_load_dword v1, v[24:25], off
	global_load_dword v40, v[26:27], off
	;; [unrolled: 1-line block ×3, first 2 shown]
	s_nop 0
	global_load_dword v30, v[30:31], off
	s_nop 0
	global_load_dword v31, v[32:33], off
	;; [unrolled: 2-line block ×3, first 2 shown]
	global_load_dword v33, v[36:37], off
	s_nop 0
	global_load_dword v34, v[38:39], off
	v_lshl_add_u64 v[24:25], s[24:25], 0, v[18:19]
	v_lshlrev_b64 v[20:21], 2, v[20:21]
	v_lshlrev_b64 v[22:23], 2, v[22:23]
	v_lshl_add_u64 v[26:27], s[24:25], 0, v[20:21]
	v_lshl_add_u64 v[28:29], s[24:25], 0, v[22:23]
	global_load_dword v24, v[24:25], off
	s_nop 0
	global_load_dword v25, v[26:27], off
	global_load_dword v35, v[28:29], off
	v_mbcnt_lo_u32_b32 v26, -1, 0
	v_mbcnt_hi_u32_b32 v26, -1, v26
	v_and_b32_e32 v27, 64, v26
	v_add_u32_e32 v27, 64, v27
	v_xor_b32_e32 v29, 32, v26
	v_cmp_lt_i32_e64 s[24:25], v29, v27
	v_xor_b32_e32 v42, 2, v26
	s_mov_b32 s31, 0x3fb8aa3b
	v_cndmask_b32_e64 v29, v26, v29, s[24:25]
	v_lshlrev_b32_e32 v29, 2, v29
	s_waitcnt vmcnt(8)
	v_max3_f32 v28, v1, v40, v41
	s_waitcnt vmcnt(6)
	v_max3_f32 v28, v28, v30, v31
	s_waitcnt vmcnt(4)
	v_max3_f32 v28, v28, v32, v33
	s_waitcnt vmcnt(2)
	v_max3_f32 v28, v28, v34, v24
	s_waitcnt vmcnt(0)
	v_max3_f32 v28, v28, v25, v35
	ds_bpermute_b32 v36, v29, v28
	s_waitcnt lgkmcnt(0)
	v_max_f32_e32 v36, v36, v36
	v_max_f32_e32 v28, v28, v36
	v_xor_b32_e32 v36, 16, v26
	v_cmp_lt_i32_e64 s[24:25], v36, v27
	s_nop 1
	v_cndmask_b32_e64 v36, v26, v36, s[24:25]
	v_lshlrev_b32_e32 v36, 2, v36
	ds_bpermute_b32 v37, v36, v28
	s_waitcnt lgkmcnt(0)
	v_max_f32_e32 v37, v37, v37
	v_max_f32_e32 v28, v28, v37
	v_xor_b32_e32 v37, 8, v26
	v_cmp_lt_i32_e64 s[24:25], v37, v27
	s_nop 1
	v_cndmask_b32_e64 v37, v26, v37, s[24:25]
	s_add_u32 s24, s36, s48
	v_lshlrev_b32_e32 v37, 2, v37
	s_addc_u32 s25, s37, s49
	ds_bpermute_b32 v38, v37, v28
	s_add_u32 s36, s24, s38
	s_addc_u32 s37, s25, s39
	v_lshl_add_u64 v[2:3], s[36:37], 0, v[2:3]
	global_load_dword v39, v[2:3], off
	v_xor_b32_e32 v3, 4, v26
	v_cmp_lt_i32_e64 s[24:25], v3, v27
	s_waitcnt lgkmcnt(0)
	v_max_f32_e32 v2, v38, v38
	v_max_f32_e32 v2, v28, v2
	v_cndmask_b32_e64 v3, v26, v3, s[24:25]
	v_lshlrev_b32_e32 v28, 2, v3
	ds_bpermute_b32 v3, v28, v2
	v_cmp_lt_i32_e64 s[24:25], v42, v27
	s_waitcnt lgkmcnt(0)
	v_max_f32_e32 v3, v3, v3
	v_max_f32_e32 v38, v2, v3
	v_lshl_add_u64 v[2:3], s[36:37], 0, v[4:5]
	global_load_dword v43, v[2:3], off
	v_cndmask_b32_e64 v2, v26, v42, s[24:25]
	v_lshlrev_b32_e32 v42, 2, v2
	ds_bpermute_b32 v2, v42, v38
	v_lshl_add_u64 v[4:5], s[36:37], 0, v[10:11]
	v_lshl_add_u64 v[10:11], s[36:37], 0, v[16:17]
	s_waitcnt lgkmcnt(0)
	v_max_f32_e32 v2, v2, v2
	v_max_f32_e32 v38, v38, v2
	v_xor_b32_e32 v2, 1, v26
	v_cmp_lt_i32_e64 s[24:25], v2, v27
	s_nop 1
	v_cndmask_b32_e64 v2, v26, v2, s[24:25]
	v_lshlrev_b32_e32 v26, 2, v2
	v_lshl_add_u64 v[2:3], s[36:37], 0, v[6:7]
	global_load_dword v27, v[2:3], off
	v_lshl_add_u64 v[2:3], s[36:37], 0, v[8:9]
	v_lshl_add_u64 v[6:7], s[36:37], 0, v[12:13]
	;; [unrolled: 1-line block ×3, first 2 shown]
	global_load_dword v12, v[2:3], off
	global_load_dword v13, v[4:5], off
	;; [unrolled: 1-line block ×5, first 2 shown]
	ds_bpermute_b32 v44, v26, v38
	v_lshl_add_u64 v[2:3], s[36:37], 0, v[18:19]
	v_lshl_add_u64 v[4:5], s[36:37], 0, v[20:21]
	v_lshl_add_u64 v[6:7], s[36:37], 0, v[22:23]
	s_mov_b32 s36, 0xc2ce8ed0
	s_waitcnt lgkmcnt(0)
	v_max_f32_e32 v8, v44, v44
	v_max_f32_e32 v8, v38, v8
	v_sub_f32_e32 v1, v1, v8
	v_mul_f32_e32 v9, 0x3fb8aa3b, v1
	v_fma_f32 v10, v1, s31, -v9
	v_rndne_f32_e32 v11, v9
	v_fmac_f32_e32 v10, 0x32a5705f, v1
	v_sub_f32_e32 v9, v9, v11
	v_add_f32_e32 v9, v9, v10
	v_cvt_i32_f32_e32 v10, v11
	global_load_dword v11, v[2:3], off
	global_load_dword v17, v[4:5], off
	;; [unrolled: 1-line block ×3, first 2 shown]
	v_sub_f32_e32 v4, v40, v8
	v_mul_f32_e32 v5, 0x3fb8aa3b, v4
	v_fma_f32 v6, v4, s31, -v5
	v_rndne_f32_e32 v7, v5
	v_exp_f32_e32 v9, v9
	v_fmac_f32_e32 v6, 0x32a5705f, v4
	v_sub_f32_e32 v5, v5, v7
	v_add_f32_e32 v5, v5, v6
	v_exp_f32_e32 v5, v5
	v_cvt_i32_f32_e32 v6, v7
	v_ldexp_f32 v2, v9, v10
	v_cmp_ngt_f32_e64 s[24:25], s36, v1
	s_mov_b32 s37, 0x42b17218
	v_mov_b32_e32 v3, 0x7f800000
	v_cndmask_b32_e64 v2, 0, v2, s[24:25]
	v_cmp_nlt_f32_e64 s[24:25], s37, v1
	s_nop 1
	v_cndmask_b32_e64 v1, v3, v2, s[24:25]
	v_ldexp_f32 v2, v5, v6
	v_sub_f32_e32 v5, v41, v8
	v_mul_f32_e32 v6, 0x3fb8aa3b, v5
	v_fma_f32 v7, v5, s31, -v6
	v_rndne_f32_e32 v9, v6
	v_fmac_f32_e32 v7, 0x32a5705f, v5
	v_sub_f32_e32 v6, v6, v9
	v_add_f32_e32 v6, v6, v7
	v_exp_f32_e32 v6, v6
	v_cvt_i32_f32_e32 v7, v9
	v_cndmask_b32_e64 v1, 0, v1, s[22:23]
	v_cmp_ngt_f32_e64 s[22:23], s36, v4
	s_waitcnt vmcnt(10)
	v_mul_f32_e32 v1, v39, v1
	v_cndmask_b32_e64 v2, 0, v2, s[22:23]
	v_cmp_nlt_f32_e64 s[22:23], s37, v4
	v_ldexp_f32 v4, v6, v7
	v_sub_f32_e32 v6, v30, v8
	v_mul_f32_e32 v7, 0x3fb8aa3b, v6
	v_fma_f32 v9, v6, s31, -v7
	v_rndne_f32_e32 v10, v7
	v_fmac_f32_e32 v9, 0x32a5705f, v6
	v_sub_f32_e32 v7, v7, v10
	v_add_f32_e32 v7, v7, v9
	v_exp_f32_e32 v7, v7
	v_cvt_i32_f32_e32 v9, v10
	v_cndmask_b32_e64 v2, v3, v2, s[22:23]
	v_cndmask_b32_e64 v2, 0, v2, s[20:21]
	v_cmp_ngt_f32_e64 s[20:21], s36, v5
	s_waitcnt vmcnt(9)
	v_mul_f32_e32 v2, v43, v2
	v_cndmask_b32_e64 v4, 0, v4, s[20:21]
	v_cmp_nlt_f32_e64 s[20:21], s37, v5
	v_ldexp_f32 v5, v7, v9
	v_sub_f32_e32 v7, v31, v8
	v_mul_f32_e32 v9, 0x3fb8aa3b, v7
	v_fma_f32 v10, v7, s31, -v9
	v_rndne_f32_e32 v19, v9
	v_fmac_f32_e32 v10, 0x32a5705f, v7
	v_sub_f32_e32 v9, v9, v19
	v_add_f32_e32 v9, v9, v10
	v_exp_f32_e32 v9, v9
	v_cvt_i32_f32_e32 v10, v19
	v_cndmask_b32_e64 v4, v3, v4, s[20:21]
	v_cndmask_b32_e64 v4, 0, v4, s[18:19]
	v_cmp_ngt_f32_e64 s[18:19], s36, v6
	s_waitcnt vmcnt(8)
	v_mul_f32_e32 v4, v27, v4
	v_cndmask_b32_e64 v5, 0, v5, s[18:19]
	v_cmp_nlt_f32_e64 s[18:19], s37, v6
	v_ldexp_f32 v6, v9, v10
	v_sub_f32_e32 v9, v32, v8
	v_cndmask_b32_e64 v5, v3, v5, s[18:19]
	v_cndmask_b32_e64 v5, 0, v5, s[16:17]
	v_mul_f32_e32 v10, 0x3fb8aa3b, v9
	s_waitcnt vmcnt(7)
	v_mul_f32_e32 v5, v12, v5
	v_fma_f32 v12, v9, s31, -v10
	v_rndne_f32_e32 v19, v10
	v_fmac_f32_e32 v12, 0x32a5705f, v9
	v_sub_f32_e32 v10, v10, v19
	v_add_f32_e32 v10, v10, v12
	v_exp_f32_e32 v10, v10
	v_cvt_i32_f32_e32 v12, v19
	v_cmp_ngt_f32_e64 s[16:17], s36, v7
	s_nop 1
	v_cndmask_b32_e64 v6, 0, v6, s[16:17]
	v_cmp_nlt_f32_e64 s[16:17], s37, v7
	v_ldexp_f32 v7, v10, v12
	v_sub_f32_e32 v10, v33, v8
	v_cndmask_b32_e64 v6, v3, v6, s[16:17]
	v_cndmask_b32_e64 v6, 0, v6, s[14:15]
	v_mul_f32_e32 v12, 0x3fb8aa3b, v10
	s_waitcnt vmcnt(6)
	v_mul_f32_e32 v6, v13, v6
	v_fma_f32 v13, v10, s31, -v12
	v_rndne_f32_e32 v19, v12
	v_fmac_f32_e32 v13, 0x32a5705f, v10
	v_sub_f32_e32 v12, v12, v19
	v_add_f32_e32 v12, v12, v13
	v_exp_f32_e32 v12, v12
	v_cvt_i32_f32_e32 v13, v19
	v_cmp_ngt_f32_e64 s[14:15], s36, v9
	s_nop 1
	;; [unrolled: 18-line block ×4, first 2 shown]
	v_cndmask_b32_e64 v10, 0, v10, s[10:11]
	v_cmp_nlt_f32_e64 s[10:11], s37, v12
	v_ldexp_f32 v12, v14, v15
	v_sub_f32_e32 v14, v25, v8
	v_cndmask_b32_e64 v10, v3, v10, s[10:11]
	v_cndmask_b32_e64 v10, 0, v10, s[8:9]
	v_mul_f32_e32 v15, 0x3fb8aa3b, v14
	s_waitcnt vmcnt(3)
	v_mul_f32_e32 v10, v16, v10
	v_fma_f32 v16, v14, s31, -v15
	v_rndne_f32_e32 v19, v15
	v_fmac_f32_e32 v16, 0x32a5705f, v14
	v_sub_f32_e32 v15, v15, v19
	v_add_f32_e32 v15, v15, v16
	v_cmp_ngt_f32_e64 s[8:9], s36, v13
	v_exp_f32_e32 v15, v15
	v_cvt_i32_f32_e32 v16, v19
	v_cndmask_b32_e64 v12, 0, v12, s[8:9]
	v_cmp_nlt_f32_e64 s[8:9], s37, v13
	v_sub_f32_e32 v8, v35, v8
	v_mul_f32_e32 v13, 0x3fb8aa3b, v8
	v_cndmask_b32_e64 v12, v3, v12, s[8:9]
	v_cndmask_b32_e64 v12, 0, v12, s[6:7]
	s_waitcnt vmcnt(2)
	v_mul_f32_e32 v11, v11, v12
	v_ldexp_f32 v12, v15, v16
	v_fma_f32 v15, v8, s31, -v13
	v_rndne_f32_e32 v16, v13
	v_fmac_f32_e32 v15, 0x32a5705f, v8
	v_sub_f32_e32 v13, v13, v16
	v_add_f32_e32 v13, v13, v15
	v_exp_f32_e32 v13, v13
	v_cvt_i32_f32_e32 v15, v16
	v_cmp_ngt_f32_e64 s[6:7], s36, v14
	v_ldexp_f32 v13, v13, v15
	s_nop 0
	v_cndmask_b32_e64 v12, 0, v12, s[6:7]
	v_cmp_nlt_f32_e64 s[6:7], s37, v14
	v_lshlrev_b32_e32 v14, 2, v0
	ds_write2st64_b32 v14, v1, v2 offset1:1
	ds_write2st64_b32 v14, v4, v5 offset0:2 offset1:3
	ds_write2st64_b32 v14, v6, v7 offset0:4 offset1:5
	v_cndmask_b32_e64 v12, v3, v12, s[6:7]
	v_cndmask_b32_e64 v12, 0, v12, s[4:5]
	v_cmp_ngt_f32_e64 s[4:5], s36, v8
	s_waitcnt vmcnt(1)
	v_mul_f32_e32 v12, v17, v12
	v_cndmask_b32_e64 v13, 0, v13, s[4:5]
	v_cmp_nlt_f32_e64 s[4:5], s37, v8
	v_add_f32_e32 v8, v1, v2
	v_add_f32_e32 v8, v8, v4
	;; [unrolled: 1-line block ×6, first 2 shown]
	v_cndmask_b32_e64 v3, v3, v13, s[4:5]
	v_add_f32_e32 v8, v8, v10
	v_cndmask_b32_e32 v3, 0, v3, vcc
	v_add_f32_e32 v8, v8, v11
	s_waitcnt vmcnt(0)
	v_mul_f32_e32 v3, v18, v3
	v_add_f32_e32 v8, v8, v12
	v_add_f32_e32 v8, v8, v3
	ds_bpermute_b32 v13, v29, v8
	v_cmp_eq_u32_e32 vcc, 0, v0
	ds_write2st64_b32 v14, v9, v10 offset0:6 offset1:7
	ds_write2st64_b32 v14, v11, v12 offset0:8 offset1:9
	ds_write_b32 v14, v3 offset:2560
	s_waitcnt lgkmcnt(3)
	v_add_f32_e32 v8, v8, v13
	ds_bpermute_b32 v13, v36, v8
	s_waitcnt lgkmcnt(0)
	v_add_f32_e32 v8, v8, v13
	ds_bpermute_b32 v13, v37, v8
	;; [unrolled: 3-line block ×5, first 2 shown]
	s_and_saveexec_b64 s[4:5], vcc
	s_cbranch_execz .LBB414_8
; %bb.7:
	s_waitcnt lgkmcnt(0)
	v_add_f32_e32 v1, v1, v2
	v_mov_b32_e32 v2, 0
	ds_write_b32 v2, v1 offset:2816
.LBB414_8:
	s_or_b64 exec, exec, s[4:5]
	v_mov_b32_e32 v1, s30
.LBB414_9:
	s_or_b64 exec, exec, s[44:45]
	s_lshl_b32 s4, s46, 6
	s_mov_b32 s5, 0
	s_lshl_b64 s[4:5], s[4:5], 1
	s_add_u32 s4, s28, s4
	s_addc_u32 s5, s29, s5
	s_lshl_b32 s10, s33, 6
	s_waitcnt lgkmcnt(0)
	v_lshlrev_b32_e32 v2, 6, v1
	v_mov_b32_e32 v1, 0
	s_sub_i32 s11, s10, 64
	v_mov_b32_e32 v3, v1
	s_cmp_lt_i32 s50, 1
	v_lshl_add_u64 v[2:3], v[2:3], 1, s[4:5]
	s_cselect_b32 s4, s11, 0
	v_lshlrev_b32_e32 v4, 1, v0
	v_mov_b32_e32 v5, v1
	s_ashr_i32 s5, s4, 31
	v_lshl_add_u64 v[2:3], v[2:3], 0, v[4:5]
	s_cmpk_lt_i32 s50, 0x101
	v_lshl_add_u64 v[4:5], s[4:5], 1, v[2:3]
	s_cselect_b32 s4, s11, 64
	s_ashr_i32 s5, s4, 31
	s_cmpk_lt_i32 s50, 0x201
	v_lshl_add_u64 v[6:7], s[4:5], 1, v[2:3]
	s_cselect_b32 s4, s11, 0x80
	s_ashr_i32 s5, s4, 31
	;; [unrolled: 4-line block ×8, first 2 shown]
	s_cmpk_lt_i32 s50, 0x901
	global_load_ushort v23, v[4:5], off
	global_load_ushort v22, v[6:7], off
	;; [unrolled: 1-line block ×8, first 2 shown]
	v_lshl_add_u64 v[4:5], s[4:5], 1, v[2:3]
	s_cselect_b32 s4, s11, 0x240
	s_ashr_i32 s5, s4, 31
	s_cmpk_lt_i32 s50, 0xa01
	v_lshl_add_u64 v[6:7], s[4:5], 1, v[2:3]
	s_cselect_b32 s4, s11, 0x280
	s_ashr_i32 s5, s4, 31
	s_cmpk_lt_i32 s50, 0xb01
	;; [unrolled: 4-line block ×6, first 2 shown]
	v_lshl_add_u64 v[32:33], s[4:5], 1, v[2:3]
	s_cselect_b32 s4, s11, 0x3c0
	s_ashr_i32 s5, s4, 31
	v_lshl_add_u64 v[34:35], s[4:5], 1, v[2:3]
	global_load_ushort v30, v[4:5], off
	global_load_ushort v31, v[6:7], off
	;; [unrolled: 1-line block ×8, first 2 shown]
	s_cmpk_gt_i32 s50, 0x1000
	s_cselect_b64 s[8:9], -1, 0
	s_cmpk_lt_i32 s50, 0x1001
	v_mov_b32_e32 v40, 0
	v_mov_b32_e32 v41, 0
	;; [unrolled: 1-line block ×48, first 2 shown]
	s_waitcnt lgkmcnt(0)
	; wave barrier
	s_cbranch_scc1 .LBB414_12
; %bb.10:
	s_cmpk_lt_u32 s50, 0x1101
	s_cselect_b32 s4, s11, 0x440
	s_ashr_i32 s5, s4, 31
	s_cmpk_lt_u32 s50, 0x1201
	v_lshl_add_u64 v[4:5], s[4:5], 1, v[2:3]
	s_cselect_b32 s4, s11, 0x480
	s_ashr_i32 s5, s4, 31
	s_cmpk_lt_u32 s50, 0x1301
	v_lshl_add_u64 v[6:7], s[4:5], 1, v[2:3]
	;; [unrolled: 4-line block ×7, first 2 shown]
	s_cselect_b32 s4, s11, 0x600
	s_ashr_i32 s5, s4, 31
	s_cmpk_lt_u32 s50, 0x1901
	global_load_ushort v39, v[2:3], off offset:2048
	global_load_ushort v38, v[4:5], off
	global_load_ushort v37, v[6:7], off
	;; [unrolled: 1-line block ×7, first 2 shown]
	v_lshl_add_u64 v[4:5], s[4:5], 1, v[2:3]
	s_cselect_b32 s4, s11, 0x640
	s_ashr_i32 s5, s4, 31
	s_cmpk_lt_u32 s50, 0x1a01
	v_lshl_add_u64 v[6:7], s[4:5], 1, v[2:3]
	s_cselect_b32 s4, s11, 0x680
	s_ashr_i32 s5, s4, 31
	s_cmpk_lt_u32 s50, 0x1b01
	v_lshl_add_u64 v[8:9], s[4:5], 1, v[2:3]
	s_cselect_b32 s4, s11, 0x6c0
	s_ashr_i32 s5, s4, 31
	s_cmpk_lt_u32 s50, 0x1c01
	v_lshl_add_u64 v[10:11], s[4:5], 1, v[2:3]
	s_cselect_b32 s4, s11, 0x700
	s_ashr_i32 s5, s4, 31
	s_cmpk_lt_u32 s50, 0x1d01
	v_lshl_add_u64 v[12:13], s[4:5], 1, v[2:3]
	s_cselect_b32 s4, s11, 0x740
	s_ashr_i32 s5, s4, 31
	s_cmpk_lt_u32 s50, 0x1e01
	v_lshl_add_u64 v[14:15], s[4:5], 1, v[2:3]
	s_cselect_b32 s4, s11, 0x780
	s_ashr_i32 s5, s4, 31
	s_cmpk_lt_u32 s50, 0x1f01
	v_lshl_add_u64 v[48:49], s[4:5], 1, v[2:3]
	s_cselect_b32 s4, s11, 0x7c0
	s_ashr_i32 s5, s4, 31
	v_lshl_add_u64 v[50:51], s[4:5], 1, v[2:3]
	global_load_ushort v47, v[4:5], off
	global_load_ushort v46, v[6:7], off
	;; [unrolled: 1-line block ×8, first 2 shown]
	s_cmpk_lt_u32 s50, 0x2001
	v_mov_b32_e32 v67, 0
	v_mov_b32_e32 v65, 0
	;; [unrolled: 1-line block ×32, first 2 shown]
	s_cbranch_scc1 .LBB414_12
; %bb.11:
	s_cmpk_lt_u32 s50, 0x2101
	s_cselect_b32 s4, s11, 0x840
	s_ashr_i32 s5, s4, 31
	s_cmpk_lt_u32 s50, 0x2201
	v_lshl_add_u64 v[4:5], s[4:5], 1, v[2:3]
	s_cselect_b32 s4, s11, 0x880
	s_ashr_i32 s5, s4, 31
	s_cmpk_lt_u32 s50, 0x2301
	v_lshl_add_u64 v[6:7], s[4:5], 1, v[2:3]
	;; [unrolled: 4-line block ×29, first 2 shown]
	s_cselect_b32 s4, s11, 0xf80
	s_ashr_i32 s5, s4, 31
	v_lshl_add_u64 v[94:95], s[4:5], 1, v[2:3]
	s_movk_i32 s4, 0x1000
	s_cmpk_lt_u32 s50, 0x3f01
	v_add_co_u32_e32 v96, vcc, s4, v2
	s_cselect_b32 s4, s11, 0xfc0
	s_nop 0
	v_addc_co_u32_e32 v97, vcc, 0, v3, vcc
	s_ashr_i32 s5, s4, 31
	global_load_ushort v98, v[96:97], off
	global_load_ushort v99, v[4:5], off
	;; [unrolled: 1-line block ×15, first 2 shown]
                                        ; kill: killed $vgpr6_vgpr7
                                        ; kill: killed $vgpr60_vgpr61
                                        ; kill: killed $vgpr12_vgpr13
                                        ; kill: killed $vgpr50_vgpr51
                                        ; kill: killed $vgpr56_vgpr57
                                        ; kill: killed $vgpr8_vgpr9
                                        ; kill: killed $vgpr62_vgpr63
                                        ; kill: killed $vgpr14_vgpr15
                                        ; kill: killed $vgpr96 killed $vgpr97
                                        ; kill: killed $vgpr52_vgpr53
                                        ; kill: killed $vgpr4_vgpr5
                                        ; kill: killed $vgpr58_vgpr59
                                        ; kill: killed $vgpr10_vgpr11
                                        ; kill: killed $vgpr48_vgpr49
                                        ; kill: killed $vgpr54_vgpr55
	global_load_ushort v6, v[64:65], off
	global_load_ushort v7, v[66:67], off
	;; [unrolled: 1-line block ×15, first 2 shown]
                                        ; kill: killed $vgpr70_vgpr71
                                        ; kill: killed $vgpr92_vgpr93
                                        ; kill: killed $vgpr76_vgpr77
                                        ; kill: killed $vgpr82_vgpr83
                                        ; kill: killed $vgpr66_vgpr67
                                        ; kill: killed $vgpr88_vgpr89
                                        ; kill: killed $vgpr72_vgpr73
                                        ; kill: killed $vgpr94_vgpr95
                                        ; kill: killed $vgpr78_vgpr79
                                        ; kill: killed $vgpr84_vgpr85
                                        ; kill: killed $vgpr68_vgpr69
                                        ; kill: killed $vgpr90_vgpr91
                                        ; kill: killed $vgpr74_vgpr75
                                        ; kill: killed $vgpr80_vgpr81
                                        ; kill: killed $vgpr64_vgpr65
	global_load_ushort v68, v[86:87], off
	v_lshl_add_u64 v[4:5], s[4:5], 1, v[2:3]
	global_load_ushort v5, v[4:5], off
	s_waitcnt vmcnt(31)
	v_lshlrev_b32_e32 v67, 16, v98
	s_waitcnt vmcnt(30)
	v_lshlrev_b32_e32 v65, 16, v99
	;; [unrolled: 2-line block ×32, first 2 shown]
.LBB414_12:
	s_load_dwordx2 s[4:5], s[0:1], 0x0
	s_load_dwordx2 s[6:7], s[0:1], 0x38
	ds_read_b128 v[68:71], v1
	s_waitcnt vmcnt(15)
	v_lshlrev_b32_e32 v23, 16, v23
	ds_read_b128 v[72:75], v1 offset:16
	ds_read_b128 v[76:79], v1 offset:32
	ds_read_b128 v[80:83], v1 offset:48
	s_waitcnt vmcnt(14)
	v_lshlrev_b32_e32 v22, 16, v22
	s_waitcnt vmcnt(13)
	v_lshlrev_b32_e32 v21, 16, v21
	s_waitcnt lgkmcnt(0)
	v_fma_f32 v23, v68, v23, 0
	v_fmac_f32_e32 v23, v69, v22
	v_fmac_f32_e32 v23, v70, v21
	s_waitcnt vmcnt(12)
	v_lshlrev_b32_e32 v20, 16, v20
	s_waitcnt vmcnt(10)
	v_lshlrev_b32_e32 v19, 16, v19
	v_lshlrev_b32_e32 v18, 16, v18
	v_fmac_f32_e32 v23, v71, v20
	v_pk_mul_f32 v[18:19], v[72:73], v[18:19]
	s_waitcnt vmcnt(8)
	v_lshlrev_b32_e32 v17, 16, v17
	v_add_f32_e32 v18, v23, v18
	v_lshlrev_b32_e32 v16, 16, v16
	v_add_f32_e32 v18, v18, v19
	v_pk_mul_f32 v[16:17], v[74:75], v[16:17]
	s_and_b64 vcc, exec, s[8:9]
	v_add_f32_e32 v16, v18, v16
	v_add_f32_e32 v18, v16, v17
	s_waitcnt vmcnt(6)
	v_lshlrev_b32_e32 v17, 16, v31
	v_lshlrev_b32_e32 v16, 16, v30
	v_pk_mul_f32 v[16:17], v[76:77], v[16:17]
	s_nop 0
	v_add_f32_e32 v16, v18, v16
	v_add_f32_e32 v18, v16, v17
	s_waitcnt vmcnt(4)
	v_lshlrev_b32_e32 v17, 16, v29
	v_lshlrev_b32_e32 v16, 16, v28
	v_pk_mul_f32 v[16:17], v[78:79], v[16:17]
	s_nop 0
	;; [unrolled: 7-line block ×4, first 2 shown]
	v_add_f32_e32 v16, v18, v16
	v_add_f32_e32 v110, v16, v17
	s_cbranch_vccz .LBB414_15
; %bb.13:
	ds_read_b128 v[16:19], v1 offset:64
	v_lshlrev_b32_e32 v39, 16, v39
	ds_read_b128 v[20:23], v1 offset:80
	ds_read_b128 v[24:27], v1 offset:96
	ds_read_b128 v[28:31], v1 offset:112
	s_cmpk_lt_u32 s50, 0x2001
	s_waitcnt lgkmcnt(3)
	v_fmac_f32_e32 v110, v16, v39
	v_lshlrev_b32_e32 v16, 16, v38
	v_fmac_f32_e32 v110, v17, v16
	v_lshlrev_b32_e32 v16, 16, v37
	v_fmac_f32_e32 v110, v18, v16
	v_lshlrev_b32_e32 v16, 16, v36
	v_fmac_f32_e32 v110, v19, v16
	v_lshlrev_b32_e32 v16, 16, v35
	s_waitcnt lgkmcnt(2)
	v_fmac_f32_e32 v110, v20, v16
	v_lshlrev_b32_e32 v16, 16, v34
	v_fmac_f32_e32 v110, v21, v16
	v_lshlrev_b32_e32 v16, 16, v33
	v_fmac_f32_e32 v110, v22, v16
	v_lshlrev_b32_e32 v16, 16, v32
	v_fmac_f32_e32 v110, v23, v16
	v_lshlrev_b32_e32 v16, 16, v47
	;; [unrolled: 9-line block ×3, first 2 shown]
	s_waitcnt lgkmcnt(0)
	v_fmac_f32_e32 v110, v28, v16
	v_lshlrev_b32_e32 v16, 16, v42
	v_fmac_f32_e32 v110, v29, v16
	v_lshlrev_b32_e32 v16, 16, v41
	;; [unrolled: 2-line block ×3, first 2 shown]
	v_fmac_f32_e32 v110, v31, v16
	s_cbranch_scc1 .LBB414_15
; %bb.14:
	v_mov_b32_e32 v32, 0
	ds_read_b128 v[16:19], v32 offset:128
	ds_read_b128 v[20:23], v32 offset:144
	ds_read_b128 v[24:27], v32 offset:160
	ds_read_b128 v[28:31], v32 offset:176
	s_waitcnt lgkmcnt(3)
	v_fmac_f32_e32 v110, v16, v67
	v_fmac_f32_e32 v110, v17, v65
	v_fmac_f32_e32 v110, v18, v66
	v_fmac_f32_e32 v110, v19, v63
	s_waitcnt lgkmcnt(2)
	v_fmac_f32_e32 v110, v20, v64
	v_fmac_f32_e32 v110, v21, v61
	v_fmac_f32_e32 v110, v22, v62
	v_fmac_f32_e32 v110, v23, v59
	;; [unrolled: 5-line block ×3, first 2 shown]
	ds_read_b128 v[16:19], v32 offset:192
	ds_read_b128 v[20:23], v32 offset:208
	s_waitcnt lgkmcnt(2)
	v_fmac_f32_e32 v110, v28, v56
	v_fmac_f32_e32 v110, v29, v53
	;; [unrolled: 1-line block ×4, first 2 shown]
	s_waitcnt lgkmcnt(1)
	v_fmac_f32_e32 v110, v16, v51
	v_fmac_f32_e32 v110, v17, v49
	;; [unrolled: 1-line block ×4, first 2 shown]
	s_waitcnt lgkmcnt(0)
	v_pk_mul_f32 v[14:15], v[20:21], v[14:15]
	v_pk_mul_f32 v[12:13], v[22:23], v[12:13]
	v_add_f32_e32 v14, v110, v14
	v_add_f32_e32 v18, v14, v15
	ds_read_b128 v[14:17], v32 offset:224
	v_add_f32_e32 v12, v18, v12
	ds_read_b128 v[18:21], v32 offset:240
	v_add_f32_e32 v12, v12, v13
	s_waitcnt lgkmcnt(1)
	v_pk_mul_f32 v[10:11], v[14:15], v[10:11]
	s_nop 0
	v_add_f32_e32 v10, v12, v10
	v_add_f32_e32 v10, v10, v11
	v_pk_mul_f32 v[8:9], v[16:17], v[8:9]
	s_waitcnt lgkmcnt(0)
	v_pk_mul_f32 v[6:7], v[18:19], v[6:7]
	v_add_f32_e32 v8, v10, v8
	v_add_f32_e32 v8, v8, v9
	;; [unrolled: 1-line block ×4, first 2 shown]
	v_pk_mul_f32 v[4:5], v[20:21], v[4:5]
	s_nop 0
	v_add_f32_e32 v4, v6, v4
	v_add_f32_e32 v110, v4, v5
.LBB414_15:
	s_movk_i32 s0, 0x1fc0
	s_movk_i32 s1, 0x100
	s_mov_b32 s8, 64
	s_branch .LBB414_17
.LBB414_16:                             ;   in Loop: Header=BB414_17 Depth=1
	s_addk_i32 s0, 0x1000
	s_addk_i32 s1, 0x100
	s_add_i32 s8, s8, 64
	s_cmpk_eq_u32 s0, 0xbfc0
	s_cbranch_scc1 .LBB414_19
.LBB414_17:                             ; =>This Inner Loop Header: Depth=1
	s_cmp_le_i32 s33, s8
	s_cbranch_scc1 .LBB414_16
; %bb.18:                               ;   in Loop: Header=BB414_17 Depth=1
	s_add_i32 s9, s0, 0xfffff040
	s_cmp_lt_i32 s9, s10
	s_cselect_b32 s12, s9, s11
	s_ashr_i32 s13, s12, 31
	s_add_i32 s9, s0, 0xfffff080
	s_cmp_lt_i32 s9, s10
	v_lshl_add_u64 v[44:45], s[12:13], 1, v[2:3]
	s_cselect_b32 s12, s9, s11
	s_ashr_i32 s13, s12, 31
	s_add_i32 s9, s0, 0xfffff0c0
	s_cmp_lt_i32 s9, s10
	v_lshl_add_u64 v[4:5], s[12:13], 1, v[2:3]
	;; [unrolled: 5-line block ×17, first 2 shown]
	s_cselect_b32 s12, s9, s11
	s_ashr_i32 s13, s12, 31
	s_add_i32 s9, s0, 0xfffff4c0
	s_cmp_lt_i32 s9, s10
	global_load_ushort v111, v[44:45], off
	global_load_ushort v121, v[46:47], off
	v_lshl_add_u64 v[22:23], s[12:13], 1, v[2:3]
	s_cselect_b32 s12, s9, s11
	global_load_ushort v112, v[4:5], off
	global_load_ushort v113, v[6:7], off
	;; [unrolled: 1-line block ×7, first 2 shown]
	s_ashr_i32 s13, s12, 31
	s_add_i32 s9, s0, 0xfffff500
	s_cmp_lt_i32 s9, s10
	v_lshl_add_u64 v[24:25], s[12:13], 1, v[2:3]
	s_cselect_b32 s12, s9, s11
	s_ashr_i32 s13, s12, 31
	s_add_i32 s9, s0, 0xfffff540
	s_cmp_lt_i32 s9, s10
	v_lshl_add_u64 v[32:33], s[12:13], 1, v[2:3]
	s_cselect_b32 s12, s9, s11
	;; [unrolled: 5-line block ×3, first 2 shown]
	s_ashr_i32 s13, s12, 31
	s_add_i32 s9, s0, 0xfffff5c0
	s_cmp_lt_i32 s9, s10
	global_load_ushort v119, v[28:29], off
	global_load_ushort v120, v[30:31], off
	v_lshl_add_u64 v[34:35], s[12:13], 1, v[2:3]
	s_cselect_b32 s12, s9, s11
	s_ashr_i32 s13, s12, 31
	s_add_i32 s9, s0, 0xfffff600
	s_cmp_lt_i32 s9, s10
	v_lshl_add_u64 v[36:37], s[12:13], 1, v[2:3]
	s_cselect_b32 s12, s9, s11
	s_ashr_i32 s13, s12, 31
	s_add_i32 s9, s0, 0xfffff640
	s_cmp_lt_i32 s9, s10
	v_lshl_add_u64 v[50:51], s[12:13], 1, v[2:3]
	s_cselect_b32 s12, s9, s11
	global_load_ushort v122, v[54:55], off
	global_load_ushort v123, v[56:57], off
	s_ashr_i32 s13, s12, 31
	global_load_ushort v58, v[58:59], off
	s_add_i32 s9, s0, 0xfffff680
	s_cmp_lt_i32 s9, s10
	v_lshl_add_u64 v[38:39], s[12:13], 1, v[2:3]
	s_cselect_b32 s12, s9, s11
	global_load_ushort v59, v[60:61], off
	s_ashr_i32 s13, s12, 31
	s_add_i32 s9, s0, 0xfffff6c0
	global_load_ushort v60, v[66:67], off
	global_load_ushort v61, v[62:63], off
	s_cmp_lt_i32 s9, s10
	v_lshl_add_u64 v[18:19], s[12:13], 1, v[2:3]
	s_cselect_b32 s12, s9, s11
	s_ashr_i32 s13, s12, 31
	s_add_i32 s9, s0, 0xfffff700
	s_cmp_lt_i32 s9, s10
	v_lshl_add_u64 v[20:21], s[12:13], 1, v[2:3]
	s_cselect_b32 s12, s9, s11
	s_ashr_i32 s13, s12, 31
	s_add_i32 s9, s0, 0xfffff740
	;; [unrolled: 5-line block ×3, first 2 shown]
	s_cmp_lt_i32 s9, s10
	v_lshl_add_u64 v[42:43], s[12:13], 1, v[2:3]
	s_cselect_b32 s12, s9, s11
	global_load_ushort v62, v[22:23], off
	s_ashr_i32 s13, s12, 31
	s_add_i32 s9, s0, 0xfffff7c0
	global_load_ushort v66, v[32:33], off
	global_load_ushort v124, v[34:35], off
	;; [unrolled: 1-line block ×4, first 2 shown]
	s_cmp_lt_i32 s9, s10
	v_lshl_add_u64 v[26:27], s[12:13], 1, v[2:3]
	s_cselect_b32 s12, s9, s11
	global_load_ushort v67, v[48:49], off
	s_ashr_i32 s13, s12, 31
	s_add_i32 s9, s0, 0xfffff800
	s_cmp_lt_i32 s9, s10
	v_lshl_add_u64 v[52:53], s[12:13], 1, v[2:3]
	s_cselect_b32 s12, s9, s11
	s_ashr_i32 s13, s12, 31
	s_add_i32 s9, s0, 0xfffff840
	s_cmp_lt_i32 s9, s10
	v_lshl_add_u64 v[64:65], s[12:13], 1, v[2:3]
	s_cselect_b32 s12, s9, s11
	s_ashr_i32 s13, s12, 31
	s_add_i32 s9, s0, 0xfffff880
	s_cmp_lt_i32 s9, s10
	v_mov_b32_e32 v125, s1
	v_lshl_add_u64 v[68:69], s[12:13], 1, v[2:3]
	s_cselect_b32 s12, s9, s11
	ds_read_b128 v[30:33], v125
	ds_read_b128 v[34:37], v125 offset:16
	global_load_ushort v50, v[50:51], off
	s_ashr_i32 s13, s12, 31
	s_add_i32 s9, s0, 0xfffff8c0
	s_cmp_lt_i32 s9, s10
	v_lshl_add_u64 v[70:71], s[12:13], 1, v[2:3]
	s_cselect_b32 s12, s9, s11
	ds_read_b128 v[46:49], v125 offset:32
	ds_read_b128 v[54:57], v125 offset:48
	global_load_ushort v38, v[38:39], off
	s_ashr_i32 s13, s12, 31
	s_add_i32 s9, s0, 0xfffff900
	s_cmp_lt_i32 s9, s10
	v_lshl_add_u64 v[72:73], s[12:13], 1, v[2:3]
	s_cselect_b32 s12, s9, s11
	global_load_ushort v39, v[18:19], off
	s_ashr_i32 s13, s12, 31
	global_load_ushort v26, v[26:27], off
	s_add_i32 s9, s0, 0xfffff940
	s_cmp_lt_i32 s9, s10
	v_lshl_add_u64 v[74:75], s[12:13], 1, v[2:3]
	s_cselect_b32 s12, s9, s11
	s_ashr_i32 s13, s12, 31
	s_add_i32 s9, s0, 0xfffff980
	s_cmp_lt_i32 s9, s10
	v_lshl_add_u64 v[76:77], s[12:13], 1, v[2:3]
	s_cselect_b32 s12, s9, s11
	s_ashr_i32 s13, s12, 31
	s_add_i32 s9, s0, 0xfffff9c0
	s_cmp_lt_i32 s9, s10
	v_lshl_add_u64 v[78:79], s[12:13], 1, v[2:3]
	s_cselect_b32 s12, s9, s11
	s_ashr_i32 s13, s12, 31
	s_add_i32 s9, s0, 0xfffffa00
	s_cmp_lt_i32 s9, s10
	v_lshl_add_u64 v[80:81], s[12:13], 1, v[2:3]
	s_cselect_b32 s12, s9, s11
	s_ashr_i32 s13, s12, 31
	s_add_i32 s9, s0, 0xfffffa40
	s_cmp_lt_i32 s9, s10
	v_lshl_add_u64 v[82:83], s[12:13], 1, v[2:3]
	s_cselect_b32 s12, s9, s11
	s_ashr_i32 s13, s12, 31
	s_add_i32 s9, s0, 0xfffffa80
	s_cmp_lt_i32 s9, s10
	v_lshl_add_u64 v[84:85], s[12:13], 1, v[2:3]
	global_load_ushort v51, v[84:85], off
	s_cselect_b32 s12, s9, s11
	s_ashr_i32 s13, s12, 31
	s_add_i32 s9, s0, 0xfffffac0
	s_cmp_lt_i32 s9, s10
	v_lshl_add_u64 v[86:87], s[12:13], 1, v[2:3]
	s_cselect_b32 s12, s9, s11
	s_ashr_i32 s13, s12, 31
	s_add_i32 s9, s0, 0xfffffb00
	s_cmp_lt_i32 s9, s10
	v_lshl_add_u64 v[88:89], s[12:13], 1, v[2:3]
	;; [unrolled: 5-line block ×3, first 2 shown]
	s_cselect_b32 s12, s9, s11
	s_ashr_i32 s13, s12, 31
	s_add_i32 s9, s0, 0xfffffb80
	s_waitcnt vmcnt(27)
	v_lshlrev_b32_e32 v111, 16, v111
	s_cmp_lt_i32 s9, s10
	s_waitcnt lgkmcnt(3)
	v_fmac_f32_e32 v110, v30, v111
	s_waitcnt vmcnt(25)
	v_lshlrev_b32_e32 v30, 16, v112
	v_lshl_add_u64 v[92:93], s[12:13], 1, v[2:3]
	s_cselect_b32 s12, s9, s11
	v_fmac_f32_e32 v110, v31, v30
	s_waitcnt vmcnt(24)
	v_lshlrev_b32_e32 v30, 16, v113
	s_ashr_i32 s13, s12, 31
	s_add_i32 s9, s0, 0xfffffbc0
	v_fmac_f32_e32 v110, v32, v30
	s_waitcnt vmcnt(23)
	v_lshlrev_b32_e32 v30, 16, v114
	s_cmp_lt_i32 s9, s10
	v_fmac_f32_e32 v110, v33, v30
	s_waitcnt vmcnt(22)
	v_lshlrev_b32_e32 v18, 16, v115
	v_lshl_add_u64 v[94:95], s[12:13], 1, v[2:3]
	s_cselect_b32 s12, s9, s11
	s_waitcnt lgkmcnt(2)
	v_fmac_f32_e32 v110, v34, v18
	global_load_ushort v34, v[20:21], off
	s_ashr_i32 s13, s12, 31
	global_load_ushort v40, v[40:41], off
	s_add_i32 s9, s0, 0xfffffc00
	s_waitcnt vmcnt(23)
	v_lshlrev_b32_e32 v18, 16, v116
	s_cmp_lt_i32 s9, s10
	v_fmac_f32_e32 v110, v35, v18
	global_load_ushort v35, v[42:43], off
	global_load_ushort v27, v[52:53], off
	v_lshl_add_u64 v[96:97], s[12:13], 1, v[2:3]
	s_cselect_b32 s12, s9, s11
	s_ashr_i32 s13, s12, 31
	s_add_i32 s9, s0, 0xfffffc40
	s_cmp_lt_i32 s9, s10
	s_waitcnt vmcnt(24)
	v_lshlrev_b32_e32 v18, 16, v117
	v_lshl_add_u64 v[98:99], s[12:13], 1, v[2:3]
	s_cselect_b32 s12, s9, s11
	v_fmac_f32_e32 v110, v36, v18
	global_load_ushort v36, v[64:65], off
	s_waitcnt vmcnt(24)
	v_lshlrev_b32_e32 v18, 16, v118
	s_ashr_i32 s13, s12, 31
	s_add_i32 s9, s0, 0xfffffc80
	v_fmac_f32_e32 v110, v37, v18
	global_load_ushort v37, v[68:69], off
	s_waitcnt vmcnt(24)
	v_lshlrev_b32_e32 v18, 16, v119
	s_cmp_lt_i32 s9, s10
	s_waitcnt lgkmcnt(1)
	v_fmac_f32_e32 v110, v46, v18
	global_load_ushort v46, v[76:77], off
	s_waitcnt vmcnt(24)
	v_lshlrev_b32_e32 v18, 16, v120
	v_lshl_add_u64 v[102:103], s[12:13], 1, v[2:3]
	s_cselect_b32 s12, s9, s11
	v_fmac_f32_e32 v110, v47, v18
	v_lshlrev_b32_e32 v18, 16, v121
	s_ashr_i32 s13, s12, 31
	s_add_i32 s9, s0, 0xfffffcc0
	v_fmac_f32_e32 v110, v48, v18
	global_load_ushort v48, v[80:81], off
	global_load_ushort v41, v[70:71], off
	;; [unrolled: 1-line block ×5, first 2 shown]
	s_cmp_lt_i32 s9, s10
	v_lshl_add_u64 v[104:105], s[12:13], 1, v[2:3]
	s_cselect_b32 s12, s9, s11
	s_ashr_i32 s13, s12, 31
	s_add_i32 s9, s0, 0xfffffd00
	s_cmp_lt_i32 s9, s10
	s_waitcnt vmcnt(28)
	v_lshlrev_b32_e32 v18, 16, v122
	v_lshl_add_u64 v[106:107], s[12:13], 1, v[2:3]
	s_cselect_b32 s12, s9, s11
	v_fmac_f32_e32 v110, v49, v18
	global_load_ushort v49, v[82:83], off
	global_load_ushort v52, v[86:87], off
	s_waitcnt vmcnt(29)
	v_lshlrev_b32_e32 v18, 16, v123
	s_ashr_i32 s13, s12, 31
	s_add_i32 s9, s0, 0xfffffd40
	s_waitcnt lgkmcnt(0)
	v_fmac_f32_e32 v110, v54, v18
	global_load_ushort v54, v[88:89], off
	s_waitcnt vmcnt(29)
	v_lshlrev_b32_e32 v18, 16, v58
	s_cmp_lt_i32 s9, s10
	v_fmac_f32_e32 v110, v55, v18
	global_load_ushort v55, v[90:91], off
	s_waitcnt vmcnt(29)
	v_lshlrev_b32_e32 v18, 16, v59
	v_lshl_add_u64 v[100:101], s[12:13], 1, v[2:3]
	s_cselect_b32 s12, s9, s11
	v_fmac_f32_e32 v110, v56, v18
	s_waitcnt vmcnt(28)
	v_lshlrev_b32_e32 v18, 16, v60
	s_ashr_i32 s13, s12, 31
	s_add_i32 s9, s0, 0xfffffd80
	v_fmac_f32_e32 v110, v57, v18
	ds_read_b128 v[18:21], v125 offset:64
	ds_read_b128 v[30:33], v125 offset:80
	s_cmp_lt_i32 s9, s10
	v_lshl_add_u64 v[44:45], s[12:13], 1, v[2:3]
	s_cselect_b32 s12, s9, s11
	s_ashr_i32 s13, s12, 31
	s_add_i32 s9, s0, 0xfffffdc0
	s_cmp_lt_i32 s9, s10
	s_waitcnt vmcnt(27)
	v_lshlrev_b32_e32 v53, 16, v61
	v_lshl_add_u64 v[108:109], s[12:13], 1, v[2:3]
	s_cselect_b32 s12, s9, s11
	s_waitcnt lgkmcnt(1)
	v_fmac_f32_e32 v110, v18, v53
	global_load_ushort v53, v[92:93], off
	global_load_ushort v56, v[94:95], off
	;; [unrolled: 1-line block ×6, first 2 shown]
	s_ashr_i32 s13, s12, 31
	s_add_i32 s9, s0, 0xfffffe00
	s_cmp_lt_i32 s9, s10
	v_lshl_add_u64 v[4:5], s[12:13], 1, v[2:3]
	s_cselect_b32 s12, s9, s11
	s_ashr_i32 s13, s12, 31
	s_add_i32 s9, s0, 0xfffffe40
	s_cmp_lt_i32 s9, s10
	s_waitcnt vmcnt(32)
	v_lshlrev_b32_e32 v18, 16, v62
	v_lshl_add_u64 v[6:7], s[12:13], 1, v[2:3]
	s_cselect_b32 s12, s9, s11
	v_fmac_f32_e32 v110, v19, v18
	s_waitcnt vmcnt(28)
	v_lshlrev_b32_e32 v18, 16, v63
	s_ashr_i32 s13, s12, 31
	s_add_i32 s9, s0, 0xfffffe80
	v_fmac_f32_e32 v110, v20, v18
	v_lshlrev_b32_e32 v18, 16, v66
	s_cmp_lt_i32 s9, s10
	v_fmac_f32_e32 v110, v21, v18
	s_waitcnt vmcnt(27)
	v_lshlrev_b32_e32 v18, 16, v67
	v_lshl_add_u64 v[8:9], s[12:13], 1, v[2:3]
	s_cselect_b32 s12, s9, s11
	s_waitcnt lgkmcnt(0)
	v_fmac_f32_e32 v110, v30, v18
	global_load_ushort v30, v[106:107], off
	s_ashr_i32 s13, s12, 31
	s_add_i32 s9, s0, 0xfffffec0
	s_cmp_lt_i32 s9, s10
	global_load_ushort v61, v[100:101], off
	global_load_ushort v62, v[44:45], off
	;; [unrolled: 1-line block ×3, first 2 shown]
	v_lshl_add_u64 v[12:13], s[12:13], 1, v[2:3]
	s_cselect_b32 s12, s9, s11
	v_lshlrev_b32_e32 v18, 16, v124
	s_ashr_i32 s13, s12, 31
	s_add_i32 s9, s0, 0xffffff00
	v_fmac_f32_e32 v110, v31, v18
	v_lshlrev_b32_e32 v18, 16, v126
	s_cmp_lt_i32 s9, s10
	v_fmac_f32_e32 v110, v32, v18
	global_load_ushort v31, v[4:5], off
	global_load_ushort v32, v[6:7], off
	v_lshl_add_u64 v[10:11], s[12:13], 1, v[2:3]
	s_cselect_b32 s12, s9, s11
	s_ashr_i32 s13, s12, 31
	s_add_i32 s9, s0, 0xffffff40
	s_cmp_lt_i32 s9, s10
	s_waitcnt vmcnt(32)
	v_lshlrev_b32_e32 v4, 16, v50
	v_lshl_add_u64 v[28:29], s[12:13], 1, v[2:3]
	s_cselect_b32 s12, s9, s11
	v_fmac_f32_e32 v110, v33, v4
	ds_read_b128 v[4:7], v125 offset:96
	s_ashr_i32 s13, s12, 31
	s_add_i32 s9, s0, 0xffffff80
	s_cmp_lt_i32 s9, s10
	s_waitcnt vmcnt(31)
	v_lshlrev_b32_e32 v33, 16, v38
	global_load_ushort v38, v[8:9], off
	global_load_ushort v44, v[12:13], off
	v_lshl_add_u64 v[14:15], s[12:13], 1, v[2:3]
	s_cselect_b32 s12, s9, s11
	s_ashr_i32 s13, s12, 31
	s_sub_i32 s9, s0, 64
	s_cmp_lt_i32 s9, s10
	ds_read_b128 v[18:21], v125 offset:112
	s_waitcnt lgkmcnt(1)
	v_fmac_f32_e32 v110, v4, v33
	s_waitcnt vmcnt(32)
	v_lshlrev_b32_e32 v4, 16, v39
	global_load_ushort v33, v[10:11], off
	global_load_ushort v39, v[28:29], off
	v_lshl_add_u64 v[22:23], s[12:13], 1, v[2:3]
	s_cselect_b32 s12, s9, s11
	s_ashr_i32 s13, s12, 31
	s_cmp_lt_i32 s0, s10
	global_load_ushort v28, v[14:15], off
	global_load_ushort v29, v[22:23], off
	v_lshl_add_u64 v[16:17], s[12:13], 1, v[2:3]
	s_cselect_b32 s12, s0, s11
	s_ashr_i32 s13, s12, 31
	v_lshl_add_u64 v[24:25], s[12:13], 1, v[2:3]
	global_load_ushort v14, v[16:17], off
	global_load_ushort v15, v[24:25], off
	v_fmac_f32_e32 v110, v5, v4
	s_waitcnt vmcnt(35)
	v_lshlrev_b32_e32 v4, 16, v34
	v_fmac_f32_e32 v110, v6, v4
	s_waitcnt vmcnt(34)
	v_lshlrev_b32_e32 v4, 16, v40
	;; [unrolled: 3-line block ×3, first 2 shown]
	s_waitcnt lgkmcnt(0)
	v_fmac_f32_e32 v110, v18, v4
	v_lshlrev_b32_e32 v4, 16, v26
	v_fmac_f32_e32 v110, v19, v4
	s_waitcnt vmcnt(32)
	v_lshlrev_b32_e32 v4, 16, v27
	v_fmac_f32_e32 v110, v20, v4
	ds_read_b128 v[4:7], v125 offset:128
	s_waitcnt vmcnt(31)
	v_lshlrev_b32_e32 v8, 16, v36
	v_fmac_f32_e32 v110, v21, v8
	ds_read_b128 v[8:11], v125 offset:144
	s_waitcnt vmcnt(30)
	v_lshlrev_b32_e32 v12, 16, v37
	s_waitcnt lgkmcnt(1)
	v_fmac_f32_e32 v110, v4, v12
	s_waitcnt vmcnt(27)
	v_lshlrev_b32_e32 v4, 16, v41
	v_fmac_f32_e32 v110, v5, v4
	s_waitcnt vmcnt(26)
	v_lshlrev_b32_e32 v4, 16, v42
	;; [unrolled: 3-line block ×3, first 2 shown]
	v_fmac_f32_e32 v110, v7, v4
	v_lshlrev_b32_e32 v4, 16, v46
	s_waitcnt lgkmcnt(0)
	v_fmac_f32_e32 v110, v8, v4
	s_waitcnt vmcnt(24)
	v_lshlrev_b32_e32 v4, 16, v47
	v_fmac_f32_e32 v110, v9, v4
	v_lshlrev_b32_e32 v4, 16, v48
	v_fmac_f32_e32 v110, v10, v4
	ds_read_b128 v[4:7], v125 offset:160
	s_waitcnt vmcnt(23)
	v_lshlrev_b32_e32 v8, 16, v49
	v_fmac_f32_e32 v110, v11, v8
	ds_read_b128 v[8:11], v125 offset:176
	v_lshlrev_b32_e32 v12, 16, v51
	s_waitcnt lgkmcnt(1)
	v_fmac_f32_e32 v110, v4, v12
	s_waitcnt vmcnt(22)
	v_lshlrev_b32_e32 v4, 16, v52
	v_fmac_f32_e32 v110, v5, v4
	s_waitcnt vmcnt(21)
	v_lshlrev_b32_e32 v4, 16, v54
	;; [unrolled: 3-line block ×4, first 2 shown]
	s_waitcnt lgkmcnt(0)
	v_fmac_f32_e32 v110, v8, v4
	s_waitcnt vmcnt(18)
	v_lshlrev_b32_e32 v4, 16, v56
	v_fmac_f32_e32 v110, v9, v4
	s_waitcnt vmcnt(17)
	v_lshlrev_b32_e32 v4, 16, v57
	v_fmac_f32_e32 v110, v10, v4
	ds_read_b128 v[4:7], v125 offset:192
	s_waitcnt vmcnt(16)
	v_lshlrev_b32_e32 v8, 16, v58
	v_fmac_f32_e32 v110, v11, v8
	ds_read_b128 v[8:11], v125 offset:208
	s_waitcnt vmcnt(15)
	v_lshlrev_b32_e32 v12, 16, v59
	s_waitcnt lgkmcnt(1)
	v_fmac_f32_e32 v110, v4, v12
	s_waitcnt vmcnt(14)
	v_lshlrev_b32_e32 v4, 16, v60
	v_fmac_f32_e32 v110, v5, v4
	s_waitcnt vmcnt(13)
	v_lshlrev_b32_e32 v4, 16, v30
	;; [unrolled: 3-line block ×4, first 2 shown]
	v_lshlrev_b32_e32 v4, 16, v62
	s_waitcnt lgkmcnt(0)
	v_pk_mul_f32 v[4:5], v[8:9], v[4:5]
	s_waitcnt vmcnt(6)
	v_lshlrev_b32_e32 v13, 16, v44
	v_add_f32_e32 v4, v110, v4
	v_add_f32_e32 v6, v4, v5
	v_lshlrev_b32_e32 v5, 16, v32
	v_lshlrev_b32_e32 v4, 16, v31
	v_pk_mul_f32 v[8:9], v[10:11], v[4:5]
	v_lshlrev_b32_e32 v12, 16, v38
	v_add_f32_e32 v8, v6, v8
	ds_read_b128 v[4:7], v125 offset:224
	v_add_f32_e32 v16, v8, v9
	ds_read_b128 v[8:11], v125 offset:240
	s_waitcnt lgkmcnt(1)
	v_pk_mul_f32 v[4:5], v[4:5], v[12:13]
	s_nop 0
	v_add_f32_e32 v4, v16, v4
	v_add_f32_e32 v12, v4, v5
	s_waitcnt vmcnt(4)
	v_lshlrev_b32_e32 v5, 16, v39
	v_lshlrev_b32_e32 v4, 16, v33
	v_pk_mul_f32 v[4:5], v[6:7], v[4:5]
	s_nop 0
	v_add_f32_e32 v4, v12, v4
	v_add_f32_e32 v6, v4, v5
	s_waitcnt vmcnt(2)
	v_lshlrev_b32_e32 v5, 16, v29
	v_lshlrev_b32_e32 v4, 16, v28
	s_waitcnt lgkmcnt(0)
	v_pk_mul_f32 v[4:5], v[8:9], v[4:5]
	s_nop 0
	v_add_f32_e32 v4, v6, v4
	v_add_f32_e32 v6, v4, v5
	s_waitcnt vmcnt(0)
	v_lshlrev_b32_e32 v5, 16, v15
	v_lshlrev_b32_e32 v4, 16, v14
	v_pk_mul_f32 v[4:5], v[10:11], v[4:5]
	s_nop 0
	v_add_f32_e32 v4, v6, v4
	v_add_f32_e32 v110, v4, v5
	s_branch .LBB414_16
.LBB414_19:
	v_mov_b32_e32 v2, 0
	ds_read_b32 v2, v2 offset:2816
	s_cmp_lg_u64 s[6:7], 0
	s_cbranch_scc0 .LBB414_24
; %bb.20:
	s_load_dword s6, s[6:7], 0x0
	s_waitcnt lgkmcnt(0)
	v_div_scale_f32 v3, s[0:1], s6, s6, 1.0
	v_rcp_f32_e32 v4, v3
	v_div_scale_f32 v5, vcc, 1.0, s6, 1.0
	v_fma_f32 v6, -v3, v4, 1.0
	v_fmac_f32_e32 v4, v6, v4
	v_mul_f32_e32 v6, v5, v4
	v_fma_f32 v7, -v3, v6, v5
	v_fmac_f32_e32 v6, v7, v4
	v_fma_f32 v3, -v3, v6, v5
	v_div_fmas_f32 v3, v3, v4, v6
	v_div_fixup_f32 v3, v3, s6, 1.0
	s_andn2_b64 vcc, exec, s[40:41]
	s_cbranch_vccnz .LBB414_22
.LBB414_21:
	s_add_u32 s0, s34, s42
	s_addc_u32 s1, s35, s43
	s_load_dword s26, s[0:1], 0x0
	s_mov_b32 s27, 0
.LBB414_22:
	s_waitcnt lgkmcnt(0)
	v_add_f32_e32 v2, 0x358637bd, v2
	v_div_scale_f32 v4, s[0:1], v2, v2, 1.0
	v_rcp_f32_e32 v5, v4
	v_div_scale_f32 v6, vcc, 1.0, v2, 1.0
	s_mul_i32 s0, s3, s27
	v_fma_f32 v7, -v4, v5, 1.0
	v_fmac_f32_e32 v5, v7, v5
	v_mul_f32_e32 v7, v6, v5
	v_fma_f32 v8, -v4, v7, v6
	v_fmac_f32_e32 v7, v8, v5
	v_fma_f32 v4, -v4, v7, v6
	s_mul_hi_u32 s1, s3, s26
	v_div_fmas_f32 v4, v4, v5, v7
	s_add_i32 s1, s1, s0
	s_mul_i32 s0, s3, s26
	v_div_fixup_f32 v2, v4, v2, 1.0
	s_lshl_b64 s[0:1], s[0:1], 6
	v_mul_f32_e32 v2, v110, v2
	s_add_u32 s4, s4, s0
	s_mov_b32 s3, 0
	v_mul_f32_e32 v2, v2, v3
	s_addc_u32 s5, s5, s1
	s_lshl_b64 s[0:1], s[2:3], 6
	s_mov_b32 s2, 0x7f800000
	s_mov_b32 s3, 0x43700000
	v_mov_b32_e32 v3, 0xc3700000
	v_med3_f32 v3, v2, s3, v3
	v_cmp_nlg_f32_e64 vcc, |v2|, s2
	s_add_u32 s0, s4, s0
	s_addc_u32 s1, s5, s1
	v_cndmask_b32_e32 v2, v3, v2, vcc
	v_mov_b32_e32 v3, 0
	v_cvt_pk_fp8_f32 v3, v2, v2
	v_lshl_add_u64 v[0:1], s[0:1], 0, v[0:1]
	global_store_byte v[0:1], v3, off
	s_endpgm
.LBB414_23:
	s_mov_b64 s[6:7], 0
	s_branch .LBB414_2
.LBB414_24:
	v_mov_b32_e32 v3, 1.0
	s_andn2_b64 vcc, exec, s[40:41]
	s_cbranch_vccz .LBB414_21
	s_branch .LBB414_22
	.section	.rodata,"a",@progbits
	.p2align	6, 0x0
	.amdhsa_kernel _Z35paged_attention_ll4mi_reduce_kernelI14__hip_bfloat16hLi64ELi64ELi256ELi11EEvPT0_PKfS4_PKT_PKiS9_iS4_
		.amdhsa_group_segment_fixed_size 2820
		.amdhsa_private_segment_fixed_size 0
		.amdhsa_kernarg_size 320
		.amdhsa_user_sgpr_count 2
		.amdhsa_user_sgpr_dispatch_ptr 0
		.amdhsa_user_sgpr_queue_ptr 0
		.amdhsa_user_sgpr_kernarg_segment_ptr 1
		.amdhsa_user_sgpr_dispatch_id 0
		.amdhsa_user_sgpr_kernarg_preload_length 0
		.amdhsa_user_sgpr_kernarg_preload_offset 0
		.amdhsa_user_sgpr_private_segment_size 0
		.amdhsa_uses_dynamic_stack 0
		.amdhsa_enable_private_segment 0
		.amdhsa_system_sgpr_workgroup_id_x 1
		.amdhsa_system_sgpr_workgroup_id_y 1
		.amdhsa_system_sgpr_workgroup_id_z 0
		.amdhsa_system_sgpr_workgroup_info 0
		.amdhsa_system_vgpr_workitem_id 0
		.amdhsa_next_free_vgpr 127
		.amdhsa_next_free_sgpr 51
		.amdhsa_accum_offset 128
		.amdhsa_reserve_vcc 1
		.amdhsa_float_round_mode_32 0
		.amdhsa_float_round_mode_16_64 0
		.amdhsa_float_denorm_mode_32 3
		.amdhsa_float_denorm_mode_16_64 3
		.amdhsa_dx10_clamp 1
		.amdhsa_ieee_mode 1
		.amdhsa_fp16_overflow 0
		.amdhsa_tg_split 0
		.amdhsa_exception_fp_ieee_invalid_op 0
		.amdhsa_exception_fp_denorm_src 0
		.amdhsa_exception_fp_ieee_div_zero 0
		.amdhsa_exception_fp_ieee_overflow 0
		.amdhsa_exception_fp_ieee_underflow 0
		.amdhsa_exception_fp_ieee_inexact 0
		.amdhsa_exception_int_div_zero 0
	.end_amdhsa_kernel
	.section	.text._Z35paged_attention_ll4mi_reduce_kernelI14__hip_bfloat16hLi64ELi64ELi256ELi11EEvPT0_PKfS4_PKT_PKiS9_iS4_,"axG",@progbits,_Z35paged_attention_ll4mi_reduce_kernelI14__hip_bfloat16hLi64ELi64ELi256ELi11EEvPT0_PKfS4_PKT_PKiS9_iS4_,comdat
.Lfunc_end414:
	.size	_Z35paged_attention_ll4mi_reduce_kernelI14__hip_bfloat16hLi64ELi64ELi256ELi11EEvPT0_PKfS4_PKT_PKiS9_iS4_, .Lfunc_end414-_Z35paged_attention_ll4mi_reduce_kernelI14__hip_bfloat16hLi64ELi64ELi256ELi11EEvPT0_PKfS4_PKT_PKiS9_iS4_
                                        ; -- End function
	.section	.AMDGPU.csdata,"",@progbits
; Kernel info:
; codeLenInByte = 9964
; NumSgprs: 57
; NumVgprs: 127
; NumAgprs: 0
; TotalNumVgprs: 127
; ScratchSize: 0
; MemoryBound: 0
; FloatMode: 240
; IeeeMode: 1
; LDSByteSize: 2820 bytes/workgroup (compile time only)
; SGPRBlocks: 7
; VGPRBlocks: 15
; NumSGPRsForWavesPerEU: 57
; NumVGPRsForWavesPerEU: 127
; AccumOffset: 128
; Occupancy: 4
; WaveLimiterHint : 1
; COMPUTE_PGM_RSRC2:SCRATCH_EN: 0
; COMPUTE_PGM_RSRC2:USER_SGPR: 2
; COMPUTE_PGM_RSRC2:TRAP_HANDLER: 0
; COMPUTE_PGM_RSRC2:TGID_X_EN: 1
; COMPUTE_PGM_RSRC2:TGID_Y_EN: 1
; COMPUTE_PGM_RSRC2:TGID_Z_EN: 0
; COMPUTE_PGM_RSRC2:TIDIG_COMP_CNT: 0
; COMPUTE_PGM_RSRC3_GFX90A:ACCUM_OFFSET: 31
; COMPUTE_PGM_RSRC3_GFX90A:TG_SPLIT: 0
	.section	.text._Z35paged_attention_ll4mi_reduce_kernelI14__hip_bfloat16hLi64ELi64ELi256ELi12EEvPT0_PKfS4_PKT_PKiS9_iS4_,"axG",@progbits,_Z35paged_attention_ll4mi_reduce_kernelI14__hip_bfloat16hLi64ELi64ELi256ELi12EEvPT0_PKfS4_PKT_PKiS9_iS4_,comdat
	.protected	_Z35paged_attention_ll4mi_reduce_kernelI14__hip_bfloat16hLi64ELi64ELi256ELi12EEvPT0_PKfS4_PKT_PKiS9_iS4_ ; -- Begin function _Z35paged_attention_ll4mi_reduce_kernelI14__hip_bfloat16hLi64ELi64ELi256ELi12EEvPT0_PKfS4_PKT_PKiS9_iS4_
	.globl	_Z35paged_attention_ll4mi_reduce_kernelI14__hip_bfloat16hLi64ELi64ELi256ELi12EEvPT0_PKfS4_PKT_PKiS9_iS4_
	.p2align	8
	.type	_Z35paged_attention_ll4mi_reduce_kernelI14__hip_bfloat16hLi64ELi64ELi256ELi12EEvPT0_PKfS4_PKT_PKiS9_iS4_,@function
_Z35paged_attention_ll4mi_reduce_kernelI14__hip_bfloat16hLi64ELi64ELi256ELi12EEvPT0_PKfS4_PKT_PKiS9_iS4_: ; @_Z35paged_attention_ll4mi_reduce_kernelI14__hip_bfloat16hLi64ELi64ELi256ELi12EEvPT0_PKfS4_PKT_PKiS9_iS4_
; %bb.0:
	s_load_dwordx2 s[40:41], s[0:1], 0x28
	s_mov_b32 s34, s3
	s_mov_b64 s[4:5], 0
	s_waitcnt lgkmcnt(0)
	s_cmp_lg_u64 s[40:41], 0
	s_cselect_b64 s[42:43], -1, 0
	s_and_b64 vcc, exec, s[42:43]
	s_cbranch_vccz .LBB415_23
; %bb.1:
	s_add_i32 s6, s34, 1
	s_mov_b32 s7, 0
	s_lshl_b64 s[8:9], s[6:7], 2
	s_add_u32 s8, s40, s8
	s_mov_b32 s35, s7
	s_addc_u32 s9, s41, s9
	s_lshl_b64 s[6:7], s[34:35], 2
	s_add_u32 s6, s40, s6
	s_addc_u32 s7, s41, s7
	s_load_dword s3, s[8:9], 0x0
	s_load_dword s10, s[6:7], 0x0
	s_waitcnt lgkmcnt(0)
	s_sub_i32 s3, s3, s10
	s_cmp_eq_u32 s3, 1
	s_cselect_b64 s[6:7], -1, 0
	s_andn2_b64 vcc, exec, s[4:5]
	s_cbranch_vccnz .LBB415_3
.LBB415_2:
	s_mov_b32 s35, 0
	s_mov_b64 s[6:7], -1
.LBB415_3:
	s_andn2_b64 vcc, exec, s[6:7]
	s_cbranch_vccz .LBB415_5
; %bb.4:
	s_endpgm
.LBB415_5:
	s_load_dwordx4 s[28:31], s[0:1], 0x18
	s_load_dword s8, s[0:1], 0x30
	s_lshl_b64 s[44:45], s[34:35], 2
	v_cmp_lt_u32_e32 vcc, 63, v0
	s_waitcnt lgkmcnt(0)
	s_add_u32 s4, s30, s44
	s_addc_u32 s5, s31, s45
	s_load_dword s52, s[4:5], 0x0
	s_load_dword s3, s[0:1], 0x40
	s_mul_i32 s30, s2, s8
	s_mul_i32 s6, s34, s8
	s_waitcnt lgkmcnt(0)
	s_add_i32 s7, s52, 0xff
	s_ashr_i32 s4, s7, 31
	s_lshr_b32 s4, s4, 24
	s_add_i32 s7, s7, s4
	s_and_saveexec_b64 s[4:5], vcc
	s_xor_b64 s[4:5], exec, s[4:5]
	s_or_saveexec_b64 s[46:47], s[4:5]
	s_ashr_i32 s33, s7, 8
	v_mov_b32_e32 v1, s30
	s_mul_i32 s48, s6, s3
	s_xor_b64 exec, exec, s[46:47]
	s_cbranch_execz .LBB415_9
; %bb.6:
	s_add_i32 s4, s33, -1
	v_or_b32_e32 v3, 64, v0
	v_mov_b32_e32 v1, s4
	v_cmp_gt_u32_e64 s[22:23], s33, v3
	s_load_dwordx4 s[36:39], s[0:1], 0x8
	s_mov_b32 s49, 0
	v_cndmask_b32_e64 v4, v1, v3, s[22:23]
	v_or_b32_e32 v3, 0x80, v0
	v_cmp_gt_u32_e64 s[20:21], s33, v3
	s_lshl_b64 s[50:51], s[48:49], 2
	s_mov_b32 s31, s49
	v_cndmask_b32_e64 v6, v1, v3, s[20:21]
	v_or_b32_e32 v3, 0xc0, v0
	v_cmp_gt_u32_e64 s[18:19], s33, v3
	v_cmp_gt_u32_e64 s[24:25], s33, v0
	s_waitcnt lgkmcnt(0)
	s_add_u32 s26, s38, s50
	v_cndmask_b32_e64 v8, v1, v3, s[18:19]
	v_or_b32_e32 v3, 0x100, v0
	v_cmp_gt_u32_e64 s[16:17], s33, v3
	v_cndmask_b32_e64 v2, v1, v0, s[24:25]
	s_addc_u32 s27, s39, s51
	v_cndmask_b32_e64 v10, v1, v3, s[16:17]
	v_or_b32_e32 v3, 0x140, v0
	v_cmp_gt_u32_e64 s[14:15], s33, v3
	s_lshl_b64 s[38:39], s[30:31], 2
	s_add_u32 s26, s26, s38
	v_cndmask_b32_e64 v12, v1, v3, s[14:15]
	v_or_b32_e32 v3, 0x180, v0
	v_cmp_gt_u32_e64 s[12:13], s33, v3
	v_ashrrev_i32_e32 v11, 31, v10
	v_ashrrev_i32_e32 v13, 31, v12
	v_cndmask_b32_e64 v14, v1, v3, s[12:13]
	v_or_b32_e32 v3, 0x1c0, v0
	v_cmp_gt_u32_e64 s[10:11], s33, v3
	s_addc_u32 s27, s27, s39
	v_ashrrev_i32_e32 v5, 31, v4
	v_cndmask_b32_e64 v16, v1, v3, s[10:11]
	v_or_b32_e32 v3, 0x200, v0
	v_cmp_gt_u32_e64 s[8:9], s33, v3
	v_ashrrev_i32_e32 v7, 31, v6
	v_ashrrev_i32_e32 v9, 31, v8
	v_cndmask_b32_e64 v18, v1, v3, s[8:9]
	v_or_b32_e32 v3, 0x240, v0
	v_cmp_gt_u32_e64 s[6:7], s33, v3
	v_lshlrev_b64 v[10:11], 2, v[10:11]
	v_lshlrev_b64 v[12:13], 2, v[12:13]
	v_cndmask_b32_e64 v20, v1, v3, s[6:7]
	v_or_b32_e32 v3, 0x280, v0
	v_cmp_gt_u32_e64 s[4:5], s33, v3
	v_ashrrev_i32_e32 v15, 31, v14
	v_ashrrev_i32_e32 v17, 31, v16
	v_cndmask_b32_e64 v22, v1, v3, s[4:5]
	v_or_b32_e32 v3, 0x2c0, v0
	v_cmp_gt_u32_e32 vcc, s33, v3
	v_lshlrev_b64 v[4:5], 2, v[4:5]
	v_lshlrev_b64 v[6:7], 2, v[6:7]
	v_cndmask_b32_e32 v24, v1, v3, vcc
	v_ashrrev_i32_e32 v3, 31, v2
	v_lshlrev_b64 v[2:3], 2, v[2:3]
	v_lshl_add_u64 v[26:27], s[26:27], 0, v[2:3]
	v_lshlrev_b64 v[8:9], 2, v[8:9]
	v_lshl_add_u64 v[34:35], s[26:27], 0, v[10:11]
	v_lshl_add_u64 v[36:37], s[26:27], 0, v[12:13]
	v_lshlrev_b64 v[14:15], 2, v[14:15]
	v_lshlrev_b64 v[16:17], 2, v[16:17]
	v_ashrrev_i32_e32 v19, 31, v18
	v_ashrrev_i32_e32 v21, 31, v20
	v_lshl_add_u64 v[28:29], s[26:27], 0, v[4:5]
	v_lshl_add_u64 v[30:31], s[26:27], 0, v[6:7]
	;; [unrolled: 1-line block ×5, first 2 shown]
	global_load_dword v1, v[26:27], off
	global_load_dword v42, v[28:29], off
	;; [unrolled: 1-line block ×4, first 2 shown]
	s_nop 0
	global_load_dword v34, v[34:35], off
	s_nop 0
	global_load_dword v35, v[36:37], off
	;; [unrolled: 2-line block ×3, first 2 shown]
	global_load_dword v37, v[40:41], off
	v_lshlrev_b64 v[18:19], 2, v[18:19]
	v_lshlrev_b64 v[20:21], 2, v[20:21]
	v_ashrrev_i32_e32 v23, 31, v22
	v_ashrrev_i32_e32 v25, 31, v24
	v_lshl_add_u64 v[26:27], s[26:27], 0, v[18:19]
	v_lshl_add_u64 v[28:29], s[26:27], 0, v[20:21]
	v_lshlrev_b64 v[22:23], 2, v[22:23]
	v_lshlrev_b64 v[24:25], 2, v[24:25]
	v_lshl_add_u64 v[30:31], s[26:27], 0, v[22:23]
	v_lshl_add_u64 v[32:33], s[26:27], 0, v[24:25]
	global_load_dword v26, v[26:27], off
	s_nop 0
	global_load_dword v27, v[28:29], off
	s_nop 0
	global_load_dword v28, v[30:31], off
	global_load_dword v29, v[32:33], off
	s_mov_b32 s31, 0x3fb8aa3b
	s_waitcnt vmcnt(11)
	v_max_f32_e32 v31, v1, v1
	s_waitcnt vmcnt(10)
	v_max_f32_e32 v30, v42, v42
	v_max_f32_e32 v30, v31, v30
	v_mbcnt_lo_u32_b32 v31, -1, 0
	v_mbcnt_hi_u32_b32 v31, -1, v31
	s_waitcnt vmcnt(8)
	v_max3_f32 v30, v30, v43, v44
	v_and_b32_e32 v32, 64, v31
	s_waitcnt vmcnt(6)
	v_max3_f32 v30, v30, v34, v35
	v_add_u32_e32 v32, 64, v32
	v_xor_b32_e32 v33, 32, v31
	s_waitcnt vmcnt(4)
	v_max3_f32 v30, v30, v36, v37
	v_cmp_lt_i32_e64 s[26:27], v33, v32
	s_waitcnt vmcnt(2)
	v_max3_f32 v30, v30, v26, v27
	v_cndmask_b32_e64 v33, v31, v33, s[26:27]
	s_waitcnt vmcnt(0)
	v_max3_f32 v30, v30, v28, v29
	v_lshlrev_b32_e32 v33, 2, v33
	ds_bpermute_b32 v38, v33, v30
	s_waitcnt lgkmcnt(0)
	v_max_f32_e32 v38, v38, v38
	v_max_f32_e32 v30, v30, v38
	v_xor_b32_e32 v38, 16, v31
	v_cmp_lt_i32_e64 s[26:27], v38, v32
	s_nop 1
	v_cndmask_b32_e64 v38, v31, v38, s[26:27]
	v_lshlrev_b32_e32 v38, 2, v38
	ds_bpermute_b32 v39, v38, v30
	s_waitcnt lgkmcnt(0)
	v_max_f32_e32 v39, v39, v39
	v_max_f32_e32 v30, v30, v39
	v_xor_b32_e32 v39, 8, v31
	v_cmp_lt_i32_e64 s[26:27], v39, v32
	s_nop 1
	v_cndmask_b32_e64 v39, v31, v39, s[26:27]
	v_lshlrev_b32_e32 v39, 2, v39
	ds_bpermute_b32 v40, v39, v30
	s_add_u32 s26, s36, s50
	s_addc_u32 s27, s37, s51
	s_add_u32 s36, s26, s38
	s_addc_u32 s37, s27, s39
	s_waitcnt lgkmcnt(0)
	v_max_f32_e32 v40, v40, v40
	v_lshl_add_u64 v[2:3], s[36:37], 0, v[2:3]
	v_max_f32_e32 v30, v30, v40
	global_load_dword v40, v[2:3], off
	v_xor_b32_e32 v2, 4, v31
	v_cmp_lt_i32_e64 s[26:27], v2, v32
	s_nop 1
	v_cndmask_b32_e64 v2, v31, v2, s[26:27]
	v_lshlrev_b32_e32 v41, 2, v2
	ds_bpermute_b32 v2, v41, v30
	s_waitcnt lgkmcnt(0)
	v_max_f32_e32 v2, v2, v2
	v_max_f32_e32 v30, v30, v2
	v_xor_b32_e32 v2, 2, v31
	v_cmp_lt_i32_e64 s[26:27], v2, v32
	s_nop 1
	v_cndmask_b32_e64 v45, v31, v2, s[26:27]
	v_lshl_add_u64 v[2:3], s[36:37], 0, v[4:5]
	v_lshlrev_b32_e32 v45, 2, v45
	global_load_dword v46, v[2:3], off
	ds_bpermute_b32 v2, v45, v30
	v_lshl_add_u64 v[4:5], s[36:37], 0, v[8:9]
	v_lshl_add_u64 v[8:9], s[36:37], 0, v[14:15]
	s_waitcnt lgkmcnt(0)
	v_max_f32_e32 v2, v2, v2
	v_max_f32_e32 v30, v30, v2
	v_xor_b32_e32 v2, 1, v31
	v_cmp_lt_i32_e64 s[26:27], v2, v32
	s_nop 1
	v_cndmask_b32_e64 v2, v31, v2, s[26:27]
	v_lshlrev_b32_e32 v31, 2, v2
	v_lshl_add_u64 v[2:3], s[36:37], 0, v[6:7]
	global_load_dword v47, v[2:3], off
	v_lshl_add_u64 v[2:3], s[36:37], 0, v[10:11]
	v_lshl_add_u64 v[6:7], s[36:37], 0, v[12:13]
	;; [unrolled: 1-line block ×3, first 2 shown]
	global_load_dword v12, v[4:5], off
	global_load_dword v13, v[2:3], off
	;; [unrolled: 1-line block ×5, first 2 shown]
	ds_bpermute_b32 v32, v31, v30
	v_lshl_add_u64 v[2:3], s[36:37], 0, v[18:19]
	v_lshl_add_u64 v[4:5], s[36:37], 0, v[20:21]
	;; [unrolled: 1-line block ×4, first 2 shown]
	s_waitcnt lgkmcnt(0)
	v_max_f32_e32 v10, v32, v32
	v_max_f32_e32 v10, v30, v10
	v_sub_f32_e32 v1, v1, v10
	v_mul_f32_e32 v11, 0x3fb8aa3b, v1
	v_fma_f32 v17, v1, s31, -v11
	v_rndne_f32_e32 v18, v11
	v_fmac_f32_e32 v17, 0x32a5705f, v1
	v_sub_f32_e32 v11, v11, v18
	v_add_f32_e32 v11, v11, v17
	v_cvt_i32_f32_e32 v17, v18
	global_load_dword v18, v[2:3], off
	global_load_dword v19, v[4:5], off
	;; [unrolled: 1-line block ×4, first 2 shown]
	v_sub_f32_e32 v4, v42, v10
	v_mul_f32_e32 v5, 0x3fb8aa3b, v4
	v_fma_f32 v6, v4, s31, -v5
	v_rndne_f32_e32 v7, v5
	v_exp_f32_e32 v11, v11
	v_fmac_f32_e32 v6, 0x32a5705f, v4
	v_sub_f32_e32 v5, v5, v7
	v_add_f32_e32 v5, v5, v6
	v_exp_f32_e32 v5, v5
	v_cvt_i32_f32_e32 v6, v7
	s_mov_b32 s36, 0xc2ce8ed0
	v_ldexp_f32 v2, v11, v17
	v_cmp_ngt_f32_e64 s[26:27], s36, v1
	s_mov_b32 s37, 0x42b17218
	v_mov_b32_e32 v3, 0x7f800000
	v_cndmask_b32_e64 v2, 0, v2, s[26:27]
	v_cmp_nlt_f32_e64 s[26:27], s37, v1
	s_nop 1
	v_cndmask_b32_e64 v1, v3, v2, s[26:27]
	v_ldexp_f32 v2, v5, v6
	v_sub_f32_e32 v5, v43, v10
	v_mul_f32_e32 v6, 0x3fb8aa3b, v5
	v_fma_f32 v7, v5, s31, -v6
	v_rndne_f32_e32 v8, v6
	v_fmac_f32_e32 v7, 0x32a5705f, v5
	v_sub_f32_e32 v6, v6, v8
	v_add_f32_e32 v6, v6, v7
	v_exp_f32_e32 v6, v6
	v_cvt_i32_f32_e32 v7, v8
	v_cndmask_b32_e64 v1, 0, v1, s[24:25]
	v_cmp_ngt_f32_e64 s[24:25], s36, v4
	s_waitcnt vmcnt(11)
	v_mul_f32_e32 v1, v40, v1
	v_cndmask_b32_e64 v2, 0, v2, s[24:25]
	v_cmp_nlt_f32_e64 s[24:25], s37, v4
	v_ldexp_f32 v4, v6, v7
	v_sub_f32_e32 v6, v44, v10
	v_mul_f32_e32 v7, 0x3fb8aa3b, v6
	v_fma_f32 v8, v6, s31, -v7
	v_rndne_f32_e32 v9, v7
	v_fmac_f32_e32 v8, 0x32a5705f, v6
	v_sub_f32_e32 v7, v7, v9
	v_add_f32_e32 v7, v7, v8
	v_exp_f32_e32 v7, v7
	v_cvt_i32_f32_e32 v8, v9
	v_cndmask_b32_e64 v2, v3, v2, s[24:25]
	v_cndmask_b32_e64 v2, 0, v2, s[22:23]
	v_cmp_ngt_f32_e64 s[22:23], s36, v5
	s_waitcnt vmcnt(10)
	v_mul_f32_e32 v2, v46, v2
	v_cndmask_b32_e64 v4, 0, v4, s[22:23]
	v_cmp_nlt_f32_e64 s[22:23], s37, v5
	v_ldexp_f32 v5, v7, v8
	v_sub_f32_e32 v7, v34, v10
	v_mul_f32_e32 v8, 0x3fb8aa3b, v7
	v_fma_f32 v9, v7, s31, -v8
	v_rndne_f32_e32 v11, v8
	v_fmac_f32_e32 v9, 0x32a5705f, v7
	v_sub_f32_e32 v8, v8, v11
	v_add_f32_e32 v8, v8, v9
	v_exp_f32_e32 v8, v8
	v_cvt_i32_f32_e32 v9, v11
	v_cndmask_b32_e64 v4, v3, v4, s[22:23]
	v_cndmask_b32_e64 v4, 0, v4, s[20:21]
	v_cmp_ngt_f32_e64 s[20:21], s36, v6
	s_waitcnt vmcnt(9)
	v_mul_f32_e32 v4, v47, v4
	v_cndmask_b32_e64 v5, 0, v5, s[20:21]
	v_cmp_nlt_f32_e64 s[20:21], s37, v6
	v_ldexp_f32 v6, v8, v9
	v_sub_f32_e32 v8, v35, v10
	v_cndmask_b32_e64 v5, v3, v5, s[20:21]
	v_cndmask_b32_e64 v5, 0, v5, s[18:19]
	v_mul_f32_e32 v9, 0x3fb8aa3b, v8
	s_waitcnt vmcnt(8)
	v_mul_f32_e32 v5, v12, v5
	v_fma_f32 v11, v8, s31, -v9
	v_rndne_f32_e32 v12, v9
	v_fmac_f32_e32 v11, 0x32a5705f, v8
	v_sub_f32_e32 v9, v9, v12
	v_add_f32_e32 v9, v9, v11
	v_exp_f32_e32 v9, v9
	v_cvt_i32_f32_e32 v11, v12
	v_cmp_ngt_f32_e64 s[18:19], s36, v7
	s_nop 1
	v_cndmask_b32_e64 v6, 0, v6, s[18:19]
	v_cmp_nlt_f32_e64 s[18:19], s37, v7
	v_ldexp_f32 v7, v9, v11
	v_sub_f32_e32 v9, v36, v10
	v_cndmask_b32_e64 v6, v3, v6, s[18:19]
	v_cndmask_b32_e64 v6, 0, v6, s[16:17]
	v_mul_f32_e32 v11, 0x3fb8aa3b, v9
	s_waitcnt vmcnt(7)
	v_mul_f32_e32 v6, v13, v6
	v_fma_f32 v12, v9, s31, -v11
	v_rndne_f32_e32 v13, v11
	v_fmac_f32_e32 v12, 0x32a5705f, v9
	v_sub_f32_e32 v11, v11, v13
	v_add_f32_e32 v11, v11, v12
	v_exp_f32_e32 v11, v11
	v_cvt_i32_f32_e32 v12, v13
	v_cmp_ngt_f32_e64 s[16:17], s36, v8
	s_nop 1
	;; [unrolled: 18-line block ×5, first 2 shown]
	v_cndmask_b32_e64 v11, 0, v11, s[10:11]
	v_cmp_nlt_f32_e64 s[10:11], s37, v12
	v_ldexp_f32 v12, v14, v15
	v_sub_f32_e32 v14, v28, v10
	v_mul_f32_e32 v15, 0x3fb8aa3b, v14
	v_fma_f32 v16, v14, s31, -v15
	v_rndne_f32_e32 v17, v15
	v_fmac_f32_e32 v16, 0x32a5705f, v14
	v_sub_f32_e32 v15, v15, v17
	v_add_f32_e32 v15, v15, v16
	v_exp_f32_e32 v15, v15
	v_cvt_i32_f32_e32 v16, v17
	v_cndmask_b32_e64 v11, v3, v11, s[10:11]
	v_cndmask_b32_e64 v11, 0, v11, s[8:9]
	v_cmp_ngt_f32_e64 s[8:9], s36, v13
	v_sub_f32_e32 v10, v29, v10
	s_waitcnt vmcnt(3)
	v_mul_f32_e32 v11, v18, v11
	v_cndmask_b32_e64 v12, 0, v12, s[8:9]
	v_cmp_nlt_f32_e64 s[8:9], s37, v13
	v_ldexp_f32 v13, v15, v16
	v_mul_f32_e32 v15, 0x3fb8aa3b, v10
	v_fma_f32 v16, v10, s31, -v15
	v_rndne_f32_e32 v17, v15
	v_fmac_f32_e32 v16, 0x32a5705f, v10
	v_sub_f32_e32 v15, v15, v17
	v_add_f32_e32 v15, v15, v16
	v_cndmask_b32_e64 v12, v3, v12, s[8:9]
	v_exp_f32_e32 v15, v15
	v_cvt_i32_f32_e32 v16, v17
	v_cndmask_b32_e64 v12, 0, v12, s[6:7]
	v_cmp_ngt_f32_e64 s[6:7], s36, v14
	s_waitcnt vmcnt(2)
	v_mul_f32_e32 v12, v19, v12
	v_cndmask_b32_e64 v13, 0, v13, s[6:7]
	v_cmp_nlt_f32_e64 s[6:7], s37, v14
	v_ldexp_f32 v14, v15, v16
	v_lshlrev_b32_e32 v15, 2, v0
	v_cndmask_b32_e64 v13, v3, v13, s[6:7]
	v_cndmask_b32_e64 v13, 0, v13, s[4:5]
	v_cmp_ngt_f32_e64 s[4:5], s36, v10
	s_waitcnt vmcnt(1)
	v_mul_f32_e32 v13, v20, v13
	ds_write2st64_b32 v15, v1, v2 offset1:1
	ds_write2st64_b32 v15, v4, v5 offset0:2 offset1:3
	ds_write2st64_b32 v15, v6, v7 offset0:4 offset1:5
	v_cndmask_b32_e64 v14, 0, v14, s[4:5]
	v_cmp_nlt_f32_e64 s[4:5], s37, v10
	v_add_f32_e32 v10, v1, v2
	v_add_f32_e32 v10, v10, v4
	;; [unrolled: 1-line block ×8, first 2 shown]
	v_cndmask_b32_e64 v3, v3, v14, s[4:5]
	v_add_f32_e32 v10, v10, v12
	v_cndmask_b32_e32 v3, 0, v3, vcc
	v_add_f32_e32 v10, v10, v13
	s_waitcnt vmcnt(0)
	v_fmac_f32_e32 v10, v21, v3
	ds_bpermute_b32 v14, v33, v10
	v_cmp_eq_u32_e32 vcc, 0, v0
	v_mul_f32_e32 v3, v21, v3
	ds_write2st64_b32 v15, v8, v9 offset0:6 offset1:7
	ds_write2st64_b32 v15, v11, v12 offset0:8 offset1:9
	;; [unrolled: 1-line block ×3, first 2 shown]
	s_waitcnt lgkmcnt(3)
	v_add_f32_e32 v10, v10, v14
	ds_bpermute_b32 v14, v38, v10
	s_waitcnt lgkmcnt(0)
	v_add_f32_e32 v10, v10, v14
	ds_bpermute_b32 v14, v39, v10
	s_waitcnt lgkmcnt(0)
	v_add_f32_e32 v10, v10, v14
	ds_bpermute_b32 v14, v41, v10
	s_waitcnt lgkmcnt(0)
	v_add_f32_e32 v10, v10, v14
	ds_bpermute_b32 v14, v45, v10
	s_waitcnt lgkmcnt(0)
	v_add_f32_e32 v1, v10, v14
	ds_bpermute_b32 v2, v31, v1
	s_and_saveexec_b64 s[4:5], vcc
	s_cbranch_execz .LBB415_8
; %bb.7:
	s_waitcnt lgkmcnt(0)
	v_add_f32_e32 v1, v1, v2
	v_mov_b32_e32 v2, 0
	ds_write_b32 v2, v1 offset:3072
.LBB415_8:
	s_or_b64 exec, exec, s[4:5]
	v_mov_b32_e32 v1, s30
.LBB415_9:
	s_or_b64 exec, exec, s[46:47]
	s_lshl_b32 s4, s48, 6
	s_mov_b32 s5, 0
	s_lshl_b64 s[4:5], s[4:5], 1
	s_add_u32 s4, s28, s4
	s_addc_u32 s5, s29, s5
	s_lshl_b32 s10, s33, 6
	s_waitcnt lgkmcnt(0)
	v_lshlrev_b32_e32 v2, 6, v1
	v_mov_b32_e32 v1, 0
	s_sub_i32 s11, s10, 64
	v_mov_b32_e32 v3, v1
	s_cmp_lt_i32 s52, 1
	v_lshl_add_u64 v[2:3], v[2:3], 1, s[4:5]
	s_cselect_b32 s4, s11, 0
	v_lshlrev_b32_e32 v4, 1, v0
	v_mov_b32_e32 v5, v1
	s_ashr_i32 s5, s4, 31
	v_lshl_add_u64 v[2:3], v[2:3], 0, v[4:5]
	s_cmpk_lt_i32 s52, 0x101
	v_lshl_add_u64 v[4:5], s[4:5], 1, v[2:3]
	s_cselect_b32 s4, s11, 64
	s_ashr_i32 s5, s4, 31
	s_cmpk_lt_i32 s52, 0x201
	v_lshl_add_u64 v[6:7], s[4:5], 1, v[2:3]
	s_cselect_b32 s4, s11, 0x80
	s_ashr_i32 s5, s4, 31
	;; [unrolled: 4-line block ×8, first 2 shown]
	s_cmpk_lt_i32 s52, 0x901
	global_load_ushort v23, v[4:5], off
	global_load_ushort v22, v[6:7], off
	global_load_ushort v21, v[8:9], off
	global_load_ushort v20, v[10:11], off
	global_load_ushort v18, v[12:13], off
	global_load_ushort v19, v[14:15], off
	global_load_ushort v16, v[24:25], off
	global_load_ushort v17, v[26:27], off
	v_lshl_add_u64 v[4:5], s[4:5], 1, v[2:3]
	s_cselect_b32 s4, s11, 0x240
	s_ashr_i32 s5, s4, 31
	s_cmpk_lt_i32 s52, 0xa01
	v_lshl_add_u64 v[6:7], s[4:5], 1, v[2:3]
	s_cselect_b32 s4, s11, 0x280
	s_ashr_i32 s5, s4, 31
	s_cmpk_lt_i32 s52, 0xb01
	;; [unrolled: 4-line block ×6, first 2 shown]
	v_lshl_add_u64 v[32:33], s[4:5], 1, v[2:3]
	s_cselect_b32 s4, s11, 0x3c0
	s_ashr_i32 s5, s4, 31
	v_lshl_add_u64 v[34:35], s[4:5], 1, v[2:3]
	global_load_ushort v30, v[4:5], off
	global_load_ushort v31, v[6:7], off
	;; [unrolled: 1-line block ×8, first 2 shown]
	s_cmpk_gt_i32 s52, 0x1000
	s_cselect_b64 s[8:9], -1, 0
	s_cmpk_lt_i32 s52, 0x1001
	v_mov_b32_e32 v40, 0
	v_mov_b32_e32 v41, 0
	;; [unrolled: 1-line block ×48, first 2 shown]
	s_waitcnt lgkmcnt(0)
	; wave barrier
	s_cbranch_scc1 .LBB415_12
; %bb.10:
	s_cmpk_lt_u32 s52, 0x1101
	s_cselect_b32 s4, s11, 0x440
	s_ashr_i32 s5, s4, 31
	s_cmpk_lt_u32 s52, 0x1201
	v_lshl_add_u64 v[4:5], s[4:5], 1, v[2:3]
	s_cselect_b32 s4, s11, 0x480
	s_ashr_i32 s5, s4, 31
	s_cmpk_lt_u32 s52, 0x1301
	v_lshl_add_u64 v[6:7], s[4:5], 1, v[2:3]
	;; [unrolled: 4-line block ×7, first 2 shown]
	s_cselect_b32 s4, s11, 0x600
	s_ashr_i32 s5, s4, 31
	s_cmpk_lt_u32 s52, 0x1901
	global_load_ushort v39, v[2:3], off offset:2048
	global_load_ushort v38, v[4:5], off
	global_load_ushort v37, v[6:7], off
	;; [unrolled: 1-line block ×7, first 2 shown]
	v_lshl_add_u64 v[4:5], s[4:5], 1, v[2:3]
	s_cselect_b32 s4, s11, 0x640
	s_ashr_i32 s5, s4, 31
	s_cmpk_lt_u32 s52, 0x1a01
	v_lshl_add_u64 v[6:7], s[4:5], 1, v[2:3]
	s_cselect_b32 s4, s11, 0x680
	s_ashr_i32 s5, s4, 31
	s_cmpk_lt_u32 s52, 0x1b01
	;; [unrolled: 4-line block ×6, first 2 shown]
	v_lshl_add_u64 v[48:49], s[4:5], 1, v[2:3]
	s_cselect_b32 s4, s11, 0x7c0
	s_ashr_i32 s5, s4, 31
	v_lshl_add_u64 v[50:51], s[4:5], 1, v[2:3]
	global_load_ushort v47, v[4:5], off
	global_load_ushort v46, v[6:7], off
	;; [unrolled: 1-line block ×8, first 2 shown]
	s_cmpk_lt_u32 s52, 0x2001
	v_mov_b32_e32 v67, 0
	v_mov_b32_e32 v65, 0
	;; [unrolled: 1-line block ×32, first 2 shown]
	s_cbranch_scc1 .LBB415_12
; %bb.11:
	s_cmpk_lt_u32 s52, 0x2101
	s_cselect_b32 s4, s11, 0x840
	s_ashr_i32 s5, s4, 31
	s_cmpk_lt_u32 s52, 0x2201
	v_lshl_add_u64 v[4:5], s[4:5], 1, v[2:3]
	s_cselect_b32 s4, s11, 0x880
	s_ashr_i32 s5, s4, 31
	s_cmpk_lt_u32 s52, 0x2301
	v_lshl_add_u64 v[6:7], s[4:5], 1, v[2:3]
	;; [unrolled: 4-line block ×29, first 2 shown]
	s_cselect_b32 s4, s11, 0xf80
	s_ashr_i32 s5, s4, 31
	v_lshl_add_u64 v[94:95], s[4:5], 1, v[2:3]
	s_movk_i32 s4, 0x1000
	s_cmpk_lt_u32 s52, 0x3f01
	v_add_co_u32_e32 v96, vcc, s4, v2
	s_cselect_b32 s4, s11, 0xfc0
	s_nop 0
	v_addc_co_u32_e32 v97, vcc, 0, v3, vcc
	s_ashr_i32 s5, s4, 31
	global_load_ushort v98, v[96:97], off
	global_load_ushort v99, v[4:5], off
	;; [unrolled: 1-line block ×15, first 2 shown]
                                        ; kill: killed $vgpr52_vgpr53
                                        ; kill: killed $vgpr4_vgpr5
                                        ; kill: killed $vgpr58_vgpr59
                                        ; kill: killed $vgpr10_vgpr11
                                        ; kill: killed $vgpr48_vgpr49
                                        ; kill: killed $vgpr54_vgpr55
                                        ; kill: killed $vgpr6_vgpr7
                                        ; kill: killed $vgpr60_vgpr61
                                        ; kill: killed $vgpr12_vgpr13
                                        ; kill: killed $vgpr50_vgpr51
                                        ; kill: killed $vgpr56_vgpr57
                                        ; kill: killed $vgpr8_vgpr9
                                        ; kill: killed $vgpr62_vgpr63
                                        ; kill: killed $vgpr14_vgpr15
                                        ; kill: killed $vgpr96 killed $vgpr97
	global_load_ushort v6, v[64:65], off
	global_load_ushort v7, v[66:67], off
	global_load_ushort v8, v[68:69], off
	global_load_ushort v9, v[70:71], off
	global_load_ushort v10, v[72:73], off
	global_load_ushort v11, v[82:83], off
	global_load_ushort v13, v[80:81], off
	global_load_ushort v12, v[78:79], off
	global_load_ushort v15, v[76:77], off
	global_load_ushort v14, v[74:75], off
	global_load_ushort v96, v[84:85], off
	global_load_ushort v97, v[94:95], off
	global_load_ushort v113, v[92:93], off
	global_load_ushort v114, v[90:91], off
	global_load_ushort v115, v[88:89], off
                                        ; kill: killed $vgpr84_vgpr85
                                        ; kill: killed $vgpr68_vgpr69
                                        ; kill: killed $vgpr90_vgpr91
                                        ; kill: killed $vgpr74_vgpr75
                                        ; kill: killed $vgpr80_vgpr81
                                        ; kill: killed $vgpr64_vgpr65
                                        ; kill: killed $vgpr70_vgpr71
                                        ; kill: killed $vgpr92_vgpr93
                                        ; kill: killed $vgpr76_vgpr77
                                        ; kill: killed $vgpr82_vgpr83
                                        ; kill: killed $vgpr66_vgpr67
                                        ; kill: killed $vgpr88_vgpr89
                                        ; kill: killed $vgpr72_vgpr73
                                        ; kill: killed $vgpr94_vgpr95
                                        ; kill: killed $vgpr78_vgpr79
	global_load_ushort v68, v[86:87], off
	v_lshl_add_u64 v[4:5], s[4:5], 1, v[2:3]
	global_load_ushort v5, v[4:5], off
	s_waitcnt vmcnt(31)
	v_lshlrev_b32_e32 v67, 16, v98
	s_waitcnt vmcnt(30)
	v_lshlrev_b32_e32 v65, 16, v99
	;; [unrolled: 2-line block ×32, first 2 shown]
.LBB415_12:
	s_load_dwordx2 s[4:5], s[0:1], 0x0
	s_load_dwordx2 s[6:7], s[0:1], 0x38
	ds_read_b128 v[68:71], v1
	s_waitcnt vmcnt(15)
	v_lshlrev_b32_e32 v23, 16, v23
	ds_read_b128 v[72:75], v1 offset:16
	ds_read_b128 v[76:79], v1 offset:32
	;; [unrolled: 1-line block ×3, first 2 shown]
	s_waitcnt vmcnt(14)
	v_lshlrev_b32_e32 v22, 16, v22
	s_waitcnt vmcnt(13)
	v_lshlrev_b32_e32 v21, 16, v21
	s_waitcnt lgkmcnt(0)
	v_fma_f32 v23, v68, v23, 0
	v_fmac_f32_e32 v23, v69, v22
	v_fmac_f32_e32 v23, v70, v21
	s_waitcnt vmcnt(12)
	v_lshlrev_b32_e32 v20, 16, v20
	s_waitcnt vmcnt(10)
	v_lshlrev_b32_e32 v19, 16, v19
	v_lshlrev_b32_e32 v18, 16, v18
	v_fmac_f32_e32 v23, v71, v20
	v_pk_mul_f32 v[18:19], v[72:73], v[18:19]
	s_waitcnt vmcnt(8)
	v_lshlrev_b32_e32 v17, 16, v17
	v_add_f32_e32 v18, v23, v18
	v_lshlrev_b32_e32 v16, 16, v16
	v_add_f32_e32 v18, v18, v19
	v_pk_mul_f32 v[16:17], v[74:75], v[16:17]
	s_and_b64 vcc, exec, s[8:9]
	v_add_f32_e32 v16, v18, v16
	v_add_f32_e32 v18, v16, v17
	s_waitcnt vmcnt(6)
	v_lshlrev_b32_e32 v17, 16, v31
	v_lshlrev_b32_e32 v16, 16, v30
	v_pk_mul_f32 v[16:17], v[76:77], v[16:17]
	s_nop 0
	v_add_f32_e32 v16, v18, v16
	v_add_f32_e32 v18, v16, v17
	s_waitcnt vmcnt(4)
	v_lshlrev_b32_e32 v17, 16, v29
	v_lshlrev_b32_e32 v16, 16, v28
	v_pk_mul_f32 v[16:17], v[78:79], v[16:17]
	s_nop 0
	;; [unrolled: 7-line block ×4, first 2 shown]
	v_add_f32_e32 v16, v18, v16
	v_add_f32_e32 v110, v16, v17
	s_cbranch_vccz .LBB415_15
; %bb.13:
	ds_read_b128 v[16:19], v1 offset:64
	v_lshlrev_b32_e32 v39, 16, v39
	ds_read_b128 v[20:23], v1 offset:80
	ds_read_b128 v[24:27], v1 offset:96
	;; [unrolled: 1-line block ×3, first 2 shown]
	s_cmpk_lt_u32 s52, 0x2001
	s_waitcnt lgkmcnt(3)
	v_fmac_f32_e32 v110, v16, v39
	v_lshlrev_b32_e32 v16, 16, v38
	v_fmac_f32_e32 v110, v17, v16
	v_lshlrev_b32_e32 v16, 16, v37
	v_fmac_f32_e32 v110, v18, v16
	v_lshlrev_b32_e32 v16, 16, v36
	v_fmac_f32_e32 v110, v19, v16
	v_lshlrev_b32_e32 v16, 16, v35
	s_waitcnt lgkmcnt(2)
	v_fmac_f32_e32 v110, v20, v16
	v_lshlrev_b32_e32 v16, 16, v34
	v_fmac_f32_e32 v110, v21, v16
	v_lshlrev_b32_e32 v16, 16, v33
	v_fmac_f32_e32 v110, v22, v16
	v_lshlrev_b32_e32 v16, 16, v32
	v_fmac_f32_e32 v110, v23, v16
	v_lshlrev_b32_e32 v16, 16, v47
	;; [unrolled: 9-line block ×3, first 2 shown]
	s_waitcnt lgkmcnt(0)
	v_fmac_f32_e32 v110, v28, v16
	v_lshlrev_b32_e32 v16, 16, v42
	v_fmac_f32_e32 v110, v29, v16
	v_lshlrev_b32_e32 v16, 16, v41
	;; [unrolled: 2-line block ×3, first 2 shown]
	v_fmac_f32_e32 v110, v31, v16
	s_cbranch_scc1 .LBB415_15
; %bb.14:
	v_mov_b32_e32 v32, 0
	ds_read_b128 v[16:19], v32 offset:128
	ds_read_b128 v[20:23], v32 offset:144
	ds_read_b128 v[24:27], v32 offset:160
	ds_read_b128 v[28:31], v32 offset:176
	s_waitcnt lgkmcnt(3)
	v_fmac_f32_e32 v110, v16, v67
	v_fmac_f32_e32 v110, v17, v65
	v_fmac_f32_e32 v110, v18, v66
	v_fmac_f32_e32 v110, v19, v63
	s_waitcnt lgkmcnt(2)
	v_fmac_f32_e32 v110, v20, v64
	v_fmac_f32_e32 v110, v21, v61
	v_fmac_f32_e32 v110, v22, v62
	v_fmac_f32_e32 v110, v23, v59
	;; [unrolled: 5-line block ×3, first 2 shown]
	ds_read_b128 v[16:19], v32 offset:192
	ds_read_b128 v[20:23], v32 offset:208
	s_waitcnt lgkmcnt(2)
	v_fmac_f32_e32 v110, v28, v56
	v_fmac_f32_e32 v110, v29, v53
	;; [unrolled: 1-line block ×4, first 2 shown]
	s_waitcnt lgkmcnt(1)
	v_fmac_f32_e32 v110, v16, v51
	v_fmac_f32_e32 v110, v17, v49
	;; [unrolled: 1-line block ×4, first 2 shown]
	s_waitcnt lgkmcnt(0)
	v_pk_mul_f32 v[14:15], v[20:21], v[14:15]
	v_pk_mul_f32 v[12:13], v[22:23], v[12:13]
	v_add_f32_e32 v14, v110, v14
	v_add_f32_e32 v18, v14, v15
	ds_read_b128 v[14:17], v32 offset:224
	v_add_f32_e32 v12, v18, v12
	ds_read_b128 v[18:21], v32 offset:240
	v_add_f32_e32 v12, v12, v13
	s_waitcnt lgkmcnt(1)
	v_pk_mul_f32 v[10:11], v[14:15], v[10:11]
	s_nop 0
	v_add_f32_e32 v10, v12, v10
	v_add_f32_e32 v10, v10, v11
	v_pk_mul_f32 v[8:9], v[16:17], v[8:9]
	s_waitcnt lgkmcnt(0)
	v_pk_mul_f32 v[6:7], v[18:19], v[6:7]
	v_add_f32_e32 v8, v10, v8
	v_add_f32_e32 v8, v8, v9
	;; [unrolled: 1-line block ×4, first 2 shown]
	v_pk_mul_f32 v[4:5], v[20:21], v[4:5]
	s_nop 0
	v_add_f32_e32 v4, v6, v4
	v_add_f32_e32 v110, v4, v5
.LBB415_15:
	s_movk_i32 s0, 0x1fc0
	s_movk_i32 s1, 0x100
	s_mov_b32 s8, 64
	s_branch .LBB415_17
.LBB415_16:                             ;   in Loop: Header=BB415_17 Depth=1
	s_addk_i32 s0, 0x1000
	s_addk_i32 s1, 0x100
	s_add_i32 s8, s8, 64
	s_cmpk_eq_u32 s0, 0xcfc0
	s_cbranch_scc1 .LBB415_19
.LBB415_17:                             ; =>This Inner Loop Header: Depth=1
	s_cmp_le_i32 s33, s8
	s_cbranch_scc1 .LBB415_16
; %bb.18:                               ;   in Loop: Header=BB415_17 Depth=1
	s_add_i32 s9, s0, 0xfffff040
	s_cmp_lt_i32 s9, s10
	s_cselect_b32 s12, s9, s11
	s_ashr_i32 s13, s12, 31
	s_add_i32 s9, s0, 0xfffff080
	s_cmp_lt_i32 s9, s10
	v_lshl_add_u64 v[44:45], s[12:13], 1, v[2:3]
	s_cselect_b32 s12, s9, s11
	s_ashr_i32 s13, s12, 31
	s_add_i32 s9, s0, 0xfffff0c0
	s_cmp_lt_i32 s9, s10
	v_lshl_add_u64 v[4:5], s[12:13], 1, v[2:3]
	s_cselect_b32 s12, s9, s11
	s_ashr_i32 s13, s12, 31
	s_add_i32 s9, s0, 0xfffff100
	s_cmp_lt_i32 s9, s10
	v_lshl_add_u64 v[6:7], s[12:13], 1, v[2:3]
	s_cselect_b32 s12, s9, s11
	s_ashr_i32 s13, s12, 31
	s_add_i32 s9, s0, 0xfffff140
	s_cmp_lt_i32 s9, s10
	v_lshl_add_u64 v[8:9], s[12:13], 1, v[2:3]
	s_cselect_b32 s12, s9, s11
	s_ashr_i32 s13, s12, 31
	s_add_i32 s9, s0, 0xfffff180
	s_cmp_lt_i32 s9, s10
	v_lshl_add_u64 v[10:11], s[12:13], 1, v[2:3]
	s_cselect_b32 s12, s9, s11
	s_ashr_i32 s13, s12, 31
	s_add_i32 s9, s0, 0xfffff1c0
	s_cmp_lt_i32 s9, s10
	v_lshl_add_u64 v[12:13], s[12:13], 1, v[2:3]
	s_cselect_b32 s12, s9, s11
	s_ashr_i32 s13, s12, 31
	s_add_i32 s9, s0, 0xfffff200
	s_cmp_lt_i32 s9, s10
	v_lshl_add_u64 v[14:15], s[12:13], 1, v[2:3]
	s_cselect_b32 s12, s9, s11
	s_ashr_i32 s13, s12, 31
	s_add_i32 s9, s0, 0xfffff240
	s_cmp_lt_i32 s9, s10
	v_lshl_add_u64 v[16:17], s[12:13], 1, v[2:3]
	s_cselect_b32 s12, s9, s11
	s_ashr_i32 s13, s12, 31
	s_add_i32 s9, s0, 0xfffff280
	s_cmp_lt_i32 s9, s10
	v_lshl_add_u64 v[28:29], s[12:13], 1, v[2:3]
	s_cselect_b32 s12, s9, s11
	s_ashr_i32 s13, s12, 31
	s_add_i32 s9, s0, 0xfffff2c0
	s_cmp_lt_i32 s9, s10
	v_lshl_add_u64 v[30:31], s[12:13], 1, v[2:3]
	s_cselect_b32 s12, s9, s11
	s_ashr_i32 s13, s12, 31
	s_add_i32 s9, s0, 0xfffff300
	s_cmp_lt_i32 s9, s10
	v_lshl_add_u64 v[46:47], s[12:13], 1, v[2:3]
	s_cselect_b32 s12, s9, s11
	s_ashr_i32 s13, s12, 31
	s_add_i32 s9, s0, 0xfffff340
	s_cmp_lt_i32 s9, s10
	v_lshl_add_u64 v[54:55], s[12:13], 1, v[2:3]
	s_cselect_b32 s12, s9, s11
	s_ashr_i32 s13, s12, 31
	s_add_i32 s9, s0, 0xfffff380
	s_cmp_lt_i32 s9, s10
	v_lshl_add_u64 v[56:57], s[12:13], 1, v[2:3]
	s_cselect_b32 s12, s9, s11
	s_ashr_i32 s13, s12, 31
	s_add_i32 s9, s0, 0xfffff3c0
	s_cmp_lt_i32 s9, s10
	v_lshl_add_u64 v[58:59], s[12:13], 1, v[2:3]
	s_cselect_b32 s12, s9, s11
	s_ashr_i32 s13, s12, 31
	s_add_i32 s9, s0, 0xfffff400
	s_cmp_lt_i32 s9, s10
	v_lshl_add_u64 v[60:61], s[12:13], 1, v[2:3]
	s_cselect_b32 s12, s9, s11
	s_ashr_i32 s13, s12, 31
	s_add_i32 s9, s0, 0xfffff440
	s_cmp_lt_i32 s9, s10
	v_lshl_add_u64 v[66:67], s[12:13], 1, v[2:3]
	s_cselect_b32 s12, s9, s11
	s_ashr_i32 s13, s12, 31
	s_add_i32 s9, s0, 0xfffff480
	s_cmp_lt_i32 s9, s10
	v_lshl_add_u64 v[62:63], s[12:13], 1, v[2:3]
	s_cselect_b32 s12, s9, s11
	s_ashr_i32 s13, s12, 31
	s_add_i32 s9, s0, 0xfffff4c0
	s_cmp_lt_i32 s9, s10
	global_load_ushort v111, v[44:45], off
	global_load_ushort v121, v[46:47], off
	v_lshl_add_u64 v[22:23], s[12:13], 1, v[2:3]
	s_cselect_b32 s12, s9, s11
	global_load_ushort v112, v[4:5], off
	global_load_ushort v113, v[6:7], off
	;; [unrolled: 1-line block ×7, first 2 shown]
	s_ashr_i32 s13, s12, 31
	s_add_i32 s9, s0, 0xfffff500
	s_cmp_lt_i32 s9, s10
	v_lshl_add_u64 v[24:25], s[12:13], 1, v[2:3]
	s_cselect_b32 s12, s9, s11
	s_ashr_i32 s13, s12, 31
	s_add_i32 s9, s0, 0xfffff540
	s_cmp_lt_i32 s9, s10
	v_lshl_add_u64 v[32:33], s[12:13], 1, v[2:3]
	s_cselect_b32 s12, s9, s11
	;; [unrolled: 5-line block ×3, first 2 shown]
	s_ashr_i32 s13, s12, 31
	s_add_i32 s9, s0, 0xfffff5c0
	s_cmp_lt_i32 s9, s10
	global_load_ushort v119, v[28:29], off
	global_load_ushort v120, v[30:31], off
	v_lshl_add_u64 v[34:35], s[12:13], 1, v[2:3]
	s_cselect_b32 s12, s9, s11
	s_ashr_i32 s13, s12, 31
	s_add_i32 s9, s0, 0xfffff600
	s_cmp_lt_i32 s9, s10
	v_lshl_add_u64 v[36:37], s[12:13], 1, v[2:3]
	s_cselect_b32 s12, s9, s11
	s_ashr_i32 s13, s12, 31
	s_add_i32 s9, s0, 0xfffff640
	s_cmp_lt_i32 s9, s10
	v_lshl_add_u64 v[50:51], s[12:13], 1, v[2:3]
	s_cselect_b32 s12, s9, s11
	global_load_ushort v122, v[54:55], off
	global_load_ushort v123, v[56:57], off
	s_ashr_i32 s13, s12, 31
	global_load_ushort v58, v[58:59], off
	s_add_i32 s9, s0, 0xfffff680
	s_cmp_lt_i32 s9, s10
	v_lshl_add_u64 v[38:39], s[12:13], 1, v[2:3]
	s_cselect_b32 s12, s9, s11
	global_load_ushort v59, v[60:61], off
	s_ashr_i32 s13, s12, 31
	s_add_i32 s9, s0, 0xfffff6c0
	global_load_ushort v60, v[66:67], off
	global_load_ushort v61, v[62:63], off
	s_cmp_lt_i32 s9, s10
	v_lshl_add_u64 v[18:19], s[12:13], 1, v[2:3]
	s_cselect_b32 s12, s9, s11
	s_ashr_i32 s13, s12, 31
	s_add_i32 s9, s0, 0xfffff700
	s_cmp_lt_i32 s9, s10
	v_lshl_add_u64 v[20:21], s[12:13], 1, v[2:3]
	s_cselect_b32 s12, s9, s11
	s_ashr_i32 s13, s12, 31
	s_add_i32 s9, s0, 0xfffff740
	;; [unrolled: 5-line block ×3, first 2 shown]
	s_cmp_lt_i32 s9, s10
	v_lshl_add_u64 v[42:43], s[12:13], 1, v[2:3]
	s_cselect_b32 s12, s9, s11
	global_load_ushort v62, v[22:23], off
	s_ashr_i32 s13, s12, 31
	s_add_i32 s9, s0, 0xfffff7c0
	global_load_ushort v66, v[32:33], off
	global_load_ushort v124, v[34:35], off
	;; [unrolled: 1-line block ×4, first 2 shown]
	s_cmp_lt_i32 s9, s10
	v_lshl_add_u64 v[26:27], s[12:13], 1, v[2:3]
	s_cselect_b32 s12, s9, s11
	global_load_ushort v67, v[48:49], off
	s_ashr_i32 s13, s12, 31
	s_add_i32 s9, s0, 0xfffff800
	s_cmp_lt_i32 s9, s10
	v_lshl_add_u64 v[52:53], s[12:13], 1, v[2:3]
	s_cselect_b32 s12, s9, s11
	s_ashr_i32 s13, s12, 31
	s_add_i32 s9, s0, 0xfffff840
	s_cmp_lt_i32 s9, s10
	v_lshl_add_u64 v[64:65], s[12:13], 1, v[2:3]
	s_cselect_b32 s12, s9, s11
	s_ashr_i32 s13, s12, 31
	s_add_i32 s9, s0, 0xfffff880
	s_cmp_lt_i32 s9, s10
	v_mov_b32_e32 v125, s1
	v_lshl_add_u64 v[68:69], s[12:13], 1, v[2:3]
	s_cselect_b32 s12, s9, s11
	ds_read_b128 v[30:33], v125
	ds_read_b128 v[34:37], v125 offset:16
	global_load_ushort v50, v[50:51], off
	s_ashr_i32 s13, s12, 31
	s_add_i32 s9, s0, 0xfffff8c0
	s_cmp_lt_i32 s9, s10
	v_lshl_add_u64 v[70:71], s[12:13], 1, v[2:3]
	s_cselect_b32 s12, s9, s11
	ds_read_b128 v[46:49], v125 offset:32
	ds_read_b128 v[54:57], v125 offset:48
	global_load_ushort v38, v[38:39], off
	s_ashr_i32 s13, s12, 31
	s_add_i32 s9, s0, 0xfffff900
	s_cmp_lt_i32 s9, s10
	v_lshl_add_u64 v[72:73], s[12:13], 1, v[2:3]
	s_cselect_b32 s12, s9, s11
	global_load_ushort v39, v[18:19], off
	s_ashr_i32 s13, s12, 31
	global_load_ushort v26, v[26:27], off
	s_add_i32 s9, s0, 0xfffff940
	s_cmp_lt_i32 s9, s10
	v_lshl_add_u64 v[74:75], s[12:13], 1, v[2:3]
	s_cselect_b32 s12, s9, s11
	s_ashr_i32 s13, s12, 31
	s_add_i32 s9, s0, 0xfffff980
	s_cmp_lt_i32 s9, s10
	v_lshl_add_u64 v[76:77], s[12:13], 1, v[2:3]
	s_cselect_b32 s12, s9, s11
	s_ashr_i32 s13, s12, 31
	s_add_i32 s9, s0, 0xfffff9c0
	s_cmp_lt_i32 s9, s10
	v_lshl_add_u64 v[78:79], s[12:13], 1, v[2:3]
	s_cselect_b32 s12, s9, s11
	s_ashr_i32 s13, s12, 31
	s_add_i32 s9, s0, 0xfffffa00
	s_cmp_lt_i32 s9, s10
	v_lshl_add_u64 v[80:81], s[12:13], 1, v[2:3]
	s_cselect_b32 s12, s9, s11
	s_ashr_i32 s13, s12, 31
	s_add_i32 s9, s0, 0xfffffa40
	s_cmp_lt_i32 s9, s10
	v_lshl_add_u64 v[82:83], s[12:13], 1, v[2:3]
	s_cselect_b32 s12, s9, s11
	s_ashr_i32 s13, s12, 31
	s_add_i32 s9, s0, 0xfffffa80
	s_cmp_lt_i32 s9, s10
	v_lshl_add_u64 v[84:85], s[12:13], 1, v[2:3]
	global_load_ushort v51, v[84:85], off
	s_cselect_b32 s12, s9, s11
	s_ashr_i32 s13, s12, 31
	s_add_i32 s9, s0, 0xfffffac0
	s_cmp_lt_i32 s9, s10
	v_lshl_add_u64 v[86:87], s[12:13], 1, v[2:3]
	s_cselect_b32 s12, s9, s11
	s_ashr_i32 s13, s12, 31
	s_add_i32 s9, s0, 0xfffffb00
	s_cmp_lt_i32 s9, s10
	v_lshl_add_u64 v[88:89], s[12:13], 1, v[2:3]
	s_cselect_b32 s12, s9, s11
	s_ashr_i32 s13, s12, 31
	s_add_i32 s9, s0, 0xfffffb40
	s_cmp_lt_i32 s9, s10
	v_lshl_add_u64 v[90:91], s[12:13], 1, v[2:3]
	s_cselect_b32 s12, s9, s11
	s_ashr_i32 s13, s12, 31
	s_add_i32 s9, s0, 0xfffffb80
	s_waitcnt vmcnt(27)
	v_lshlrev_b32_e32 v111, 16, v111
	s_cmp_lt_i32 s9, s10
	s_waitcnt lgkmcnt(3)
	v_fmac_f32_e32 v110, v30, v111
	s_waitcnt vmcnt(25)
	v_lshlrev_b32_e32 v30, 16, v112
	v_lshl_add_u64 v[92:93], s[12:13], 1, v[2:3]
	s_cselect_b32 s12, s9, s11
	v_fmac_f32_e32 v110, v31, v30
	s_waitcnt vmcnt(24)
	v_lshlrev_b32_e32 v30, 16, v113
	s_ashr_i32 s13, s12, 31
	s_add_i32 s9, s0, 0xfffffbc0
	v_fmac_f32_e32 v110, v32, v30
	s_waitcnt vmcnt(23)
	v_lshlrev_b32_e32 v30, 16, v114
	s_cmp_lt_i32 s9, s10
	v_fmac_f32_e32 v110, v33, v30
	s_waitcnt vmcnt(22)
	v_lshlrev_b32_e32 v18, 16, v115
	v_lshl_add_u64 v[94:95], s[12:13], 1, v[2:3]
	s_cselect_b32 s12, s9, s11
	s_waitcnt lgkmcnt(2)
	v_fmac_f32_e32 v110, v34, v18
	global_load_ushort v34, v[20:21], off
	s_ashr_i32 s13, s12, 31
	global_load_ushort v40, v[40:41], off
	s_add_i32 s9, s0, 0xfffffc00
	s_waitcnt vmcnt(23)
	v_lshlrev_b32_e32 v18, 16, v116
	s_cmp_lt_i32 s9, s10
	v_fmac_f32_e32 v110, v35, v18
	global_load_ushort v35, v[42:43], off
	global_load_ushort v27, v[52:53], off
	v_lshl_add_u64 v[96:97], s[12:13], 1, v[2:3]
	s_cselect_b32 s12, s9, s11
	s_ashr_i32 s13, s12, 31
	s_add_i32 s9, s0, 0xfffffc40
	s_cmp_lt_i32 s9, s10
	s_waitcnt vmcnt(24)
	v_lshlrev_b32_e32 v18, 16, v117
	v_lshl_add_u64 v[100:101], s[12:13], 1, v[2:3]
	s_cselect_b32 s12, s9, s11
	v_fmac_f32_e32 v110, v36, v18
	global_load_ushort v36, v[64:65], off
	s_waitcnt vmcnt(24)
	v_lshlrev_b32_e32 v18, 16, v118
	s_ashr_i32 s13, s12, 31
	s_add_i32 s9, s0, 0xfffffc80
	v_fmac_f32_e32 v110, v37, v18
	global_load_ushort v37, v[68:69], off
	s_waitcnt vmcnt(24)
	v_lshlrev_b32_e32 v18, 16, v119
	s_cmp_lt_i32 s9, s10
	s_waitcnt lgkmcnt(1)
	v_fmac_f32_e32 v110, v46, v18
	global_load_ushort v46, v[76:77], off
	s_waitcnt vmcnt(24)
	v_lshlrev_b32_e32 v18, 16, v120
	v_lshl_add_u64 v[102:103], s[12:13], 1, v[2:3]
	s_cselect_b32 s12, s9, s11
	v_fmac_f32_e32 v110, v47, v18
	v_lshlrev_b32_e32 v18, 16, v121
	s_ashr_i32 s13, s12, 31
	s_add_i32 s9, s0, 0xfffffcc0
	v_fmac_f32_e32 v110, v48, v18
	global_load_ushort v48, v[80:81], off
	global_load_ushort v41, v[70:71], off
	;; [unrolled: 1-line block ×5, first 2 shown]
	s_cmp_lt_i32 s9, s10
	v_lshl_add_u64 v[104:105], s[12:13], 1, v[2:3]
	s_cselect_b32 s12, s9, s11
	s_ashr_i32 s13, s12, 31
	s_add_i32 s9, s0, 0xfffffd00
	s_cmp_lt_i32 s9, s10
	s_waitcnt vmcnt(28)
	v_lshlrev_b32_e32 v18, 16, v122
	v_lshl_add_u64 v[106:107], s[12:13], 1, v[2:3]
	s_cselect_b32 s12, s9, s11
	v_fmac_f32_e32 v110, v49, v18
	global_load_ushort v49, v[82:83], off
	global_load_ushort v52, v[86:87], off
	s_waitcnt vmcnt(29)
	v_lshlrev_b32_e32 v18, 16, v123
	s_ashr_i32 s13, s12, 31
	s_add_i32 s9, s0, 0xfffffd40
	s_waitcnt lgkmcnt(0)
	v_fmac_f32_e32 v110, v54, v18
	global_load_ushort v54, v[88:89], off
	s_waitcnt vmcnt(29)
	v_lshlrev_b32_e32 v18, 16, v58
	s_cmp_lt_i32 s9, s10
	v_fmac_f32_e32 v110, v55, v18
	global_load_ushort v55, v[90:91], off
	s_waitcnt vmcnt(29)
	v_lshlrev_b32_e32 v18, 16, v59
	v_lshl_add_u64 v[98:99], s[12:13], 1, v[2:3]
	s_cselect_b32 s12, s9, s11
	v_fmac_f32_e32 v110, v56, v18
	s_waitcnt vmcnt(28)
	v_lshlrev_b32_e32 v18, 16, v60
	s_ashr_i32 s13, s12, 31
	s_add_i32 s9, s0, 0xfffffd80
	v_fmac_f32_e32 v110, v57, v18
	ds_read_b128 v[18:21], v125 offset:64
	ds_read_b128 v[30:33], v125 offset:80
	s_cmp_lt_i32 s9, s10
	v_lshl_add_u64 v[44:45], s[12:13], 1, v[2:3]
	s_cselect_b32 s12, s9, s11
	s_ashr_i32 s13, s12, 31
	s_add_i32 s9, s0, 0xfffffdc0
	s_cmp_lt_i32 s9, s10
	s_waitcnt vmcnt(27)
	v_lshlrev_b32_e32 v53, 16, v61
	v_lshl_add_u64 v[108:109], s[12:13], 1, v[2:3]
	s_cselect_b32 s12, s9, s11
	s_waitcnt lgkmcnt(1)
	v_fmac_f32_e32 v110, v18, v53
	global_load_ushort v53, v[92:93], off
	global_load_ushort v56, v[94:95], off
	;; [unrolled: 1-line block ×6, first 2 shown]
	s_ashr_i32 s13, s12, 31
	s_add_i32 s9, s0, 0xfffffe00
	s_cmp_lt_i32 s9, s10
	v_lshl_add_u64 v[4:5], s[12:13], 1, v[2:3]
	s_cselect_b32 s12, s9, s11
	s_ashr_i32 s13, s12, 31
	s_add_i32 s9, s0, 0xfffffe40
	s_cmp_lt_i32 s9, s10
	s_waitcnt vmcnt(32)
	v_lshlrev_b32_e32 v18, 16, v62
	v_lshl_add_u64 v[6:7], s[12:13], 1, v[2:3]
	s_cselect_b32 s12, s9, s11
	v_fmac_f32_e32 v110, v19, v18
	s_waitcnt vmcnt(28)
	v_lshlrev_b32_e32 v18, 16, v63
	s_ashr_i32 s13, s12, 31
	s_add_i32 s9, s0, 0xfffffe80
	v_fmac_f32_e32 v110, v20, v18
	v_lshlrev_b32_e32 v18, 16, v66
	s_cmp_lt_i32 s9, s10
	v_fmac_f32_e32 v110, v21, v18
	s_waitcnt vmcnt(27)
	v_lshlrev_b32_e32 v18, 16, v67
	v_lshl_add_u64 v[8:9], s[12:13], 1, v[2:3]
	s_cselect_b32 s12, s9, s11
	s_waitcnt lgkmcnt(0)
	v_fmac_f32_e32 v110, v30, v18
	global_load_ushort v30, v[106:107], off
	s_ashr_i32 s13, s12, 31
	s_add_i32 s9, s0, 0xfffffec0
	s_cmp_lt_i32 s9, s10
	global_load_ushort v61, v[98:99], off
	global_load_ushort v62, v[44:45], off
	;; [unrolled: 1-line block ×3, first 2 shown]
	v_lshl_add_u64 v[12:13], s[12:13], 1, v[2:3]
	s_cselect_b32 s12, s9, s11
	v_lshlrev_b32_e32 v18, 16, v124
	s_ashr_i32 s13, s12, 31
	s_add_i32 s9, s0, 0xffffff00
	v_fmac_f32_e32 v110, v31, v18
	v_lshlrev_b32_e32 v18, 16, v126
	s_cmp_lt_i32 s9, s10
	v_fmac_f32_e32 v110, v32, v18
	global_load_ushort v31, v[4:5], off
	global_load_ushort v32, v[6:7], off
	v_lshl_add_u64 v[10:11], s[12:13], 1, v[2:3]
	s_cselect_b32 s12, s9, s11
	s_ashr_i32 s13, s12, 31
	s_add_i32 s9, s0, 0xffffff40
	s_cmp_lt_i32 s9, s10
	s_waitcnt vmcnt(32)
	v_lshlrev_b32_e32 v4, 16, v50
	v_lshl_add_u64 v[16:17], s[12:13], 1, v[2:3]
	s_cselect_b32 s12, s9, s11
	v_fmac_f32_e32 v110, v33, v4
	ds_read_b128 v[4:7], v125 offset:96
	s_ashr_i32 s13, s12, 31
	s_add_i32 s9, s0, 0xffffff80
	s_cmp_lt_i32 s9, s10
	s_waitcnt vmcnt(31)
	v_lshlrev_b32_e32 v33, 16, v38
	global_load_ushort v38, v[8:9], off
	global_load_ushort v44, v[12:13], off
	v_lshl_add_u64 v[14:15], s[12:13], 1, v[2:3]
	s_cselect_b32 s12, s9, s11
	s_ashr_i32 s13, s12, 31
	s_sub_i32 s9, s0, 64
	s_cmp_lt_i32 s9, s10
	ds_read_b128 v[18:21], v125 offset:112
	s_waitcnt lgkmcnt(1)
	v_fmac_f32_e32 v110, v4, v33
	s_waitcnt vmcnt(32)
	v_lshlrev_b32_e32 v4, 16, v39
	global_load_ushort v33, v[10:11], off
	global_load_ushort v39, v[16:17], off
	v_lshl_add_u64 v[28:29], s[12:13], 1, v[2:3]
	s_cselect_b32 s12, s9, s11
	s_ashr_i32 s13, s12, 31
	s_cmp_lt_i32 s0, s10
	global_load_ushort v16, v[14:15], off
	global_load_ushort v17, v[28:29], off
	v_lshl_add_u64 v[22:23], s[12:13], 1, v[2:3]
	s_cselect_b32 s12, s0, s11
	s_ashr_i32 s13, s12, 31
	v_lshl_add_u64 v[24:25], s[12:13], 1, v[2:3]
	global_load_ushort v14, v[22:23], off
	global_load_ushort v15, v[24:25], off
	v_fmac_f32_e32 v110, v5, v4
	s_waitcnt vmcnt(35)
	v_lshlrev_b32_e32 v4, 16, v34
	v_fmac_f32_e32 v110, v6, v4
	s_waitcnt vmcnt(34)
	v_lshlrev_b32_e32 v4, 16, v40
	;; [unrolled: 3-line block ×3, first 2 shown]
	s_waitcnt lgkmcnt(0)
	v_fmac_f32_e32 v110, v18, v4
	v_lshlrev_b32_e32 v4, 16, v26
	v_fmac_f32_e32 v110, v19, v4
	s_waitcnt vmcnt(32)
	v_lshlrev_b32_e32 v4, 16, v27
	v_fmac_f32_e32 v110, v20, v4
	ds_read_b128 v[4:7], v125 offset:128
	s_waitcnt vmcnt(31)
	v_lshlrev_b32_e32 v8, 16, v36
	v_fmac_f32_e32 v110, v21, v8
	ds_read_b128 v[8:11], v125 offset:144
	s_waitcnt vmcnt(30)
	v_lshlrev_b32_e32 v12, 16, v37
	s_waitcnt lgkmcnt(1)
	v_fmac_f32_e32 v110, v4, v12
	s_waitcnt vmcnt(27)
	v_lshlrev_b32_e32 v4, 16, v41
	v_fmac_f32_e32 v110, v5, v4
	s_waitcnt vmcnt(26)
	v_lshlrev_b32_e32 v4, 16, v42
	v_fmac_f32_e32 v110, v6, v4
	s_waitcnt vmcnt(25)
	v_lshlrev_b32_e32 v4, 16, v43
	v_fmac_f32_e32 v110, v7, v4
	v_lshlrev_b32_e32 v4, 16, v46
	s_waitcnt lgkmcnt(0)
	v_fmac_f32_e32 v110, v8, v4
	s_waitcnt vmcnt(24)
	v_lshlrev_b32_e32 v4, 16, v47
	v_fmac_f32_e32 v110, v9, v4
	v_lshlrev_b32_e32 v4, 16, v48
	v_fmac_f32_e32 v110, v10, v4
	ds_read_b128 v[4:7], v125 offset:160
	s_waitcnt vmcnt(23)
	v_lshlrev_b32_e32 v8, 16, v49
	v_fmac_f32_e32 v110, v11, v8
	ds_read_b128 v[8:11], v125 offset:176
	v_lshlrev_b32_e32 v12, 16, v51
	s_waitcnt lgkmcnt(1)
	v_fmac_f32_e32 v110, v4, v12
	s_waitcnt vmcnt(22)
	v_lshlrev_b32_e32 v4, 16, v52
	v_fmac_f32_e32 v110, v5, v4
	s_waitcnt vmcnt(21)
	v_lshlrev_b32_e32 v4, 16, v54
	v_fmac_f32_e32 v110, v6, v4
	s_waitcnt vmcnt(20)
	v_lshlrev_b32_e32 v4, 16, v55
	v_fmac_f32_e32 v110, v7, v4
	s_waitcnt vmcnt(19)
	v_lshlrev_b32_e32 v4, 16, v53
	s_waitcnt lgkmcnt(0)
	v_fmac_f32_e32 v110, v8, v4
	s_waitcnt vmcnt(18)
	v_lshlrev_b32_e32 v4, 16, v56
	v_fmac_f32_e32 v110, v9, v4
	s_waitcnt vmcnt(17)
	v_lshlrev_b32_e32 v4, 16, v57
	v_fmac_f32_e32 v110, v10, v4
	ds_read_b128 v[4:7], v125 offset:192
	s_waitcnt vmcnt(16)
	v_lshlrev_b32_e32 v8, 16, v58
	v_fmac_f32_e32 v110, v11, v8
	ds_read_b128 v[8:11], v125 offset:208
	s_waitcnt vmcnt(15)
	v_lshlrev_b32_e32 v12, 16, v59
	s_waitcnt lgkmcnt(1)
	v_fmac_f32_e32 v110, v4, v12
	s_waitcnt vmcnt(14)
	v_lshlrev_b32_e32 v4, 16, v60
	v_fmac_f32_e32 v110, v5, v4
	s_waitcnt vmcnt(13)
	v_lshlrev_b32_e32 v4, 16, v30
	;; [unrolled: 3-line block ×4, first 2 shown]
	v_lshlrev_b32_e32 v4, 16, v62
	s_waitcnt lgkmcnt(0)
	v_pk_mul_f32 v[4:5], v[8:9], v[4:5]
	s_waitcnt vmcnt(6)
	v_lshlrev_b32_e32 v13, 16, v44
	v_add_f32_e32 v4, v110, v4
	v_add_f32_e32 v6, v4, v5
	v_lshlrev_b32_e32 v5, 16, v32
	v_lshlrev_b32_e32 v4, 16, v31
	v_pk_mul_f32 v[8:9], v[10:11], v[4:5]
	v_lshlrev_b32_e32 v12, 16, v38
	v_add_f32_e32 v8, v6, v8
	ds_read_b128 v[4:7], v125 offset:224
	v_add_f32_e32 v18, v8, v9
	ds_read_b128 v[8:11], v125 offset:240
	s_waitcnt lgkmcnt(1)
	v_pk_mul_f32 v[4:5], v[4:5], v[12:13]
	s_nop 0
	v_add_f32_e32 v4, v18, v4
	v_add_f32_e32 v12, v4, v5
	s_waitcnt vmcnt(4)
	v_lshlrev_b32_e32 v5, 16, v39
	v_lshlrev_b32_e32 v4, 16, v33
	v_pk_mul_f32 v[4:5], v[6:7], v[4:5]
	s_nop 0
	v_add_f32_e32 v4, v12, v4
	v_add_f32_e32 v6, v4, v5
	s_waitcnt vmcnt(2)
	v_lshlrev_b32_e32 v5, 16, v17
	v_lshlrev_b32_e32 v4, 16, v16
	s_waitcnt lgkmcnt(0)
	v_pk_mul_f32 v[4:5], v[8:9], v[4:5]
	s_nop 0
	v_add_f32_e32 v4, v6, v4
	v_add_f32_e32 v6, v4, v5
	s_waitcnt vmcnt(0)
	v_lshlrev_b32_e32 v5, 16, v15
	v_lshlrev_b32_e32 v4, 16, v14
	v_pk_mul_f32 v[4:5], v[10:11], v[4:5]
	s_nop 0
	v_add_f32_e32 v4, v6, v4
	v_add_f32_e32 v110, v4, v5
	s_branch .LBB415_16
.LBB415_19:
	v_mov_b32_e32 v2, 0
	ds_read_b32 v2, v2 offset:3072
	s_cmp_lg_u64 s[6:7], 0
	s_cbranch_scc0 .LBB415_24
; %bb.20:
	s_load_dword s6, s[6:7], 0x0
	s_waitcnt lgkmcnt(0)
	v_div_scale_f32 v3, s[0:1], s6, s6, 1.0
	v_rcp_f32_e32 v4, v3
	v_div_scale_f32 v5, vcc, 1.0, s6, 1.0
	v_fma_f32 v6, -v3, v4, 1.0
	v_fmac_f32_e32 v4, v6, v4
	v_mul_f32_e32 v6, v5, v4
	v_fma_f32 v7, -v3, v6, v5
	v_fmac_f32_e32 v6, v7, v4
	v_fma_f32 v3, -v3, v6, v5
	v_div_fmas_f32 v3, v3, v4, v6
	v_div_fixup_f32 v3, v3, s6, 1.0
	s_andn2_b64 vcc, exec, s[42:43]
	s_cbranch_vccnz .LBB415_22
.LBB415_21:
	s_add_u32 s0, s40, s44
	s_addc_u32 s1, s41, s45
	s_load_dword s34, s[0:1], 0x0
	s_mov_b32 s35, 0
.LBB415_22:
	s_waitcnt lgkmcnt(0)
	v_add_f32_e32 v2, 0x358637bd, v2
	v_div_scale_f32 v4, s[0:1], v2, v2, 1.0
	v_rcp_f32_e32 v5, v4
	v_div_scale_f32 v6, vcc, 1.0, v2, 1.0
	s_mul_i32 s0, s3, s35
	v_fma_f32 v7, -v4, v5, 1.0
	v_fmac_f32_e32 v5, v7, v5
	v_mul_f32_e32 v7, v6, v5
	v_fma_f32 v8, -v4, v7, v6
	v_fmac_f32_e32 v7, v8, v5
	v_fma_f32 v4, -v4, v7, v6
	s_mul_hi_u32 s1, s3, s34
	v_div_fmas_f32 v4, v4, v5, v7
	s_add_i32 s1, s1, s0
	s_mul_i32 s0, s3, s34
	v_div_fixup_f32 v2, v4, v2, 1.0
	s_lshl_b64 s[0:1], s[0:1], 6
	v_mul_f32_e32 v2, v110, v2
	s_add_u32 s4, s4, s0
	s_mov_b32 s3, 0
	v_mul_f32_e32 v2, v2, v3
	s_addc_u32 s5, s5, s1
	s_lshl_b64 s[0:1], s[2:3], 6
	s_mov_b32 s2, 0x7f800000
	s_mov_b32 s3, 0x43700000
	v_mov_b32_e32 v3, 0xc3700000
	v_med3_f32 v3, v2, s3, v3
	v_cmp_nlg_f32_e64 vcc, |v2|, s2
	s_add_u32 s0, s4, s0
	s_addc_u32 s1, s5, s1
	v_cndmask_b32_e32 v2, v3, v2, vcc
	v_mov_b32_e32 v3, 0
	v_cvt_pk_fp8_f32 v3, v2, v2
	v_lshl_add_u64 v[0:1], s[0:1], 0, v[0:1]
	global_store_byte v[0:1], v3, off
	s_endpgm
.LBB415_23:
	s_mov_b64 s[6:7], 0
	s_branch .LBB415_2
.LBB415_24:
	v_mov_b32_e32 v3, 1.0
	s_andn2_b64 vcc, exec, s[42:43]
	s_cbranch_vccz .LBB415_21
	s_branch .LBB415_22
	.section	.rodata,"a",@progbits
	.p2align	6, 0x0
	.amdhsa_kernel _Z35paged_attention_ll4mi_reduce_kernelI14__hip_bfloat16hLi64ELi64ELi256ELi12EEvPT0_PKfS4_PKT_PKiS9_iS4_
		.amdhsa_group_segment_fixed_size 3076
		.amdhsa_private_segment_fixed_size 0
		.amdhsa_kernarg_size 320
		.amdhsa_user_sgpr_count 2
		.amdhsa_user_sgpr_dispatch_ptr 0
		.amdhsa_user_sgpr_queue_ptr 0
		.amdhsa_user_sgpr_kernarg_segment_ptr 1
		.amdhsa_user_sgpr_dispatch_id 0
		.amdhsa_user_sgpr_kernarg_preload_length 0
		.amdhsa_user_sgpr_kernarg_preload_offset 0
		.amdhsa_user_sgpr_private_segment_size 0
		.amdhsa_uses_dynamic_stack 0
		.amdhsa_enable_private_segment 0
		.amdhsa_system_sgpr_workgroup_id_x 1
		.amdhsa_system_sgpr_workgroup_id_y 1
		.amdhsa_system_sgpr_workgroup_id_z 0
		.amdhsa_system_sgpr_workgroup_info 0
		.amdhsa_system_vgpr_workitem_id 0
		.amdhsa_next_free_vgpr 127
		.amdhsa_next_free_sgpr 53
		.amdhsa_accum_offset 128
		.amdhsa_reserve_vcc 1
		.amdhsa_float_round_mode_32 0
		.amdhsa_float_round_mode_16_64 0
		.amdhsa_float_denorm_mode_32 3
		.amdhsa_float_denorm_mode_16_64 3
		.amdhsa_dx10_clamp 1
		.amdhsa_ieee_mode 1
		.amdhsa_fp16_overflow 0
		.amdhsa_tg_split 0
		.amdhsa_exception_fp_ieee_invalid_op 0
		.amdhsa_exception_fp_denorm_src 0
		.amdhsa_exception_fp_ieee_div_zero 0
		.amdhsa_exception_fp_ieee_overflow 0
		.amdhsa_exception_fp_ieee_underflow 0
		.amdhsa_exception_fp_ieee_inexact 0
		.amdhsa_exception_int_div_zero 0
	.end_amdhsa_kernel
	.section	.text._Z35paged_attention_ll4mi_reduce_kernelI14__hip_bfloat16hLi64ELi64ELi256ELi12EEvPT0_PKfS4_PKT_PKiS9_iS4_,"axG",@progbits,_Z35paged_attention_ll4mi_reduce_kernelI14__hip_bfloat16hLi64ELi64ELi256ELi12EEvPT0_PKfS4_PKT_PKiS9_iS4_,comdat
.Lfunc_end415:
	.size	_Z35paged_attention_ll4mi_reduce_kernelI14__hip_bfloat16hLi64ELi64ELi256ELi12EEvPT0_PKfS4_PKT_PKiS9_iS4_, .Lfunc_end415-_Z35paged_attention_ll4mi_reduce_kernelI14__hip_bfloat16hLi64ELi64ELi256ELi12EEvPT0_PKfS4_PKT_PKiS9_iS4_
                                        ; -- End function
	.section	.AMDGPU.csdata,"",@progbits
; Kernel info:
; codeLenInByte = 10168
; NumSgprs: 59
; NumVgprs: 127
; NumAgprs: 0
; TotalNumVgprs: 127
; ScratchSize: 0
; MemoryBound: 0
; FloatMode: 240
; IeeeMode: 1
; LDSByteSize: 3076 bytes/workgroup (compile time only)
; SGPRBlocks: 7
; VGPRBlocks: 15
; NumSGPRsForWavesPerEU: 59
; NumVGPRsForWavesPerEU: 127
; AccumOffset: 128
; Occupancy: 4
; WaveLimiterHint : 1
; COMPUTE_PGM_RSRC2:SCRATCH_EN: 0
; COMPUTE_PGM_RSRC2:USER_SGPR: 2
; COMPUTE_PGM_RSRC2:TRAP_HANDLER: 0
; COMPUTE_PGM_RSRC2:TGID_X_EN: 1
; COMPUTE_PGM_RSRC2:TGID_Y_EN: 1
; COMPUTE_PGM_RSRC2:TGID_Z_EN: 0
; COMPUTE_PGM_RSRC2:TIDIG_COMP_CNT: 0
; COMPUTE_PGM_RSRC3_GFX90A:ACCUM_OFFSET: 31
; COMPUTE_PGM_RSRC3_GFX90A:TG_SPLIT: 0
	.section	.text._Z35paged_attention_ll4mi_reduce_kernelI14__hip_bfloat16hLi64ELi64ELi256ELi13EEvPT0_PKfS4_PKT_PKiS9_iS4_,"axG",@progbits,_Z35paged_attention_ll4mi_reduce_kernelI14__hip_bfloat16hLi64ELi64ELi256ELi13EEvPT0_PKfS4_PKT_PKiS9_iS4_,comdat
	.protected	_Z35paged_attention_ll4mi_reduce_kernelI14__hip_bfloat16hLi64ELi64ELi256ELi13EEvPT0_PKfS4_PKT_PKiS9_iS4_ ; -- Begin function _Z35paged_attention_ll4mi_reduce_kernelI14__hip_bfloat16hLi64ELi64ELi256ELi13EEvPT0_PKfS4_PKT_PKiS9_iS4_
	.globl	_Z35paged_attention_ll4mi_reduce_kernelI14__hip_bfloat16hLi64ELi64ELi256ELi13EEvPT0_PKfS4_PKT_PKiS9_iS4_
	.p2align	8
	.type	_Z35paged_attention_ll4mi_reduce_kernelI14__hip_bfloat16hLi64ELi64ELi256ELi13EEvPT0_PKfS4_PKT_PKiS9_iS4_,@function
_Z35paged_attention_ll4mi_reduce_kernelI14__hip_bfloat16hLi64ELi64ELi256ELi13EEvPT0_PKfS4_PKT_PKiS9_iS4_: ; @_Z35paged_attention_ll4mi_reduce_kernelI14__hip_bfloat16hLi64ELi64ELi256ELi13EEvPT0_PKfS4_PKT_PKiS9_iS4_
; %bb.0:
	s_load_dwordx2 s[34:35], s[0:1], 0x28
	s_mov_b32 s30, s3
	s_mov_b64 s[4:5], 0
	s_waitcnt lgkmcnt(0)
	s_cmp_lg_u64 s[34:35], 0
	s_cselect_b64 s[44:45], -1, 0
	s_and_b64 vcc, exec, s[44:45]
	s_cbranch_vccz .LBB416_23
; %bb.1:
	s_add_i32 s6, s30, 1
	s_mov_b32 s7, 0
	s_lshl_b64 s[8:9], s[6:7], 2
	s_add_u32 s8, s34, s8
	s_mov_b32 s31, s7
	s_addc_u32 s9, s35, s9
	s_lshl_b64 s[6:7], s[30:31], 2
	s_add_u32 s6, s34, s6
	s_addc_u32 s7, s35, s7
	s_load_dword s3, s[8:9], 0x0
	s_load_dword s10, s[6:7], 0x0
	s_waitcnt lgkmcnt(0)
	s_sub_i32 s3, s3, s10
	s_cmp_eq_u32 s3, 1
	s_cselect_b64 s[6:7], -1, 0
	s_andn2_b64 vcc, exec, s[4:5]
	s_cbranch_vccnz .LBB416_3
.LBB416_2:
	s_mov_b32 s31, 0
	s_mov_b64 s[6:7], -1
.LBB416_3:
	s_andn2_b64 vcc, exec, s[6:7]
	s_cbranch_vccz .LBB416_5
; %bb.4:
	s_endpgm
.LBB416_5:
	s_load_dwordx4 s[36:39], s[0:1], 0x18
	s_load_dword s8, s[0:1], 0x30
	s_lshl_b64 s[46:47], s[30:31], 2
	v_cmp_lt_u32_e32 vcc, 63, v0
	s_waitcnt lgkmcnt(0)
	s_add_u32 s4, s38, s46
	s_addc_u32 s5, s39, s47
	s_load_dword s54, s[4:5], 0x0
	s_load_dword s3, s[0:1], 0x40
	s_mul_i32 s38, s2, s8
	s_mul_i32 s6, s30, s8
	s_waitcnt lgkmcnt(0)
	s_add_i32 s7, s54, 0xff
	s_ashr_i32 s4, s7, 31
	s_lshr_b32 s4, s4, 24
	s_add_i32 s7, s7, s4
	s_and_saveexec_b64 s[4:5], vcc
	s_xor_b64 s[4:5], exec, s[4:5]
	s_or_saveexec_b64 s[48:49], s[4:5]
	s_ashr_i32 s33, s7, 8
	v_mov_b32_e32 v1, s38
	s_mul_i32 s50, s6, s3
	s_xor_b64 exec, exec, s[48:49]
	s_cbranch_execz .LBB416_9
; %bb.6:
	s_add_i32 s4, s33, -1
	v_or_b32_e32 v3, 64, v0
	v_mov_b32_e32 v1, s4
	v_cmp_gt_u32_e64 s[24:25], s33, v3
	s_load_dwordx4 s[40:43], s[0:1], 0x8
	s_mov_b32 s51, 0
	v_cndmask_b32_e64 v4, v1, v3, s[24:25]
	v_or_b32_e32 v3, 0x80, v0
	v_cmp_gt_u32_e64 s[22:23], s33, v3
	s_lshl_b64 s[52:53], s[50:51], 2
	s_mov_b32 s39, s51
	v_cndmask_b32_e64 v6, v1, v3, s[22:23]
	v_or_b32_e32 v3, 0xc0, v0
	v_cmp_gt_u32_e64 s[20:21], s33, v3
	v_cmp_gt_u32_e64 s[26:27], s33, v0
	s_waitcnt lgkmcnt(0)
	s_add_u32 s28, s42, s52
	v_cndmask_b32_e64 v8, v1, v3, s[20:21]
	v_or_b32_e32 v3, 0x100, v0
	v_cmp_gt_u32_e64 s[18:19], s33, v3
	v_cndmask_b32_e64 v2, v1, v0, s[26:27]
	s_addc_u32 s29, s43, s53
	v_cndmask_b32_e64 v10, v1, v3, s[18:19]
	v_or_b32_e32 v3, 0x140, v0
	v_cmp_gt_u32_e64 s[16:17], s33, v3
	s_lshl_b64 s[42:43], s[38:39], 2
	s_add_u32 s28, s28, s42
	v_cndmask_b32_e64 v12, v1, v3, s[16:17]
	v_or_b32_e32 v3, 0x180, v0
	v_cmp_gt_u32_e64 s[14:15], s33, v3
	v_ashrrev_i32_e32 v13, 31, v12
	s_addc_u32 s29, s29, s43
	v_cndmask_b32_e64 v14, v1, v3, s[14:15]
	v_or_b32_e32 v3, 0x1c0, v0
	v_cmp_gt_u32_e64 s[12:13], s33, v3
	v_ashrrev_i32_e32 v15, 31, v14
	v_ashrrev_i32_e32 v5, 31, v4
	v_cndmask_b32_e64 v16, v1, v3, s[12:13]
	v_or_b32_e32 v3, 0x200, v0
	v_cmp_gt_u32_e64 s[10:11], s33, v3
	v_ashrrev_i32_e32 v7, 31, v6
	v_ashrrev_i32_e32 v9, 31, v8
	v_cndmask_b32_e64 v18, v1, v3, s[10:11]
	v_or_b32_e32 v3, 0x240, v0
	v_cmp_gt_u32_e64 s[8:9], s33, v3
	v_ashrrev_i32_e32 v11, 31, v10
	v_lshlrev_b64 v[12:13], 2, v[12:13]
	v_cndmask_b32_e64 v20, v1, v3, s[8:9]
	v_or_b32_e32 v3, 0x280, v0
	v_cmp_gt_u32_e64 s[6:7], s33, v3
	v_lshlrev_b64 v[14:15], 2, v[14:15]
	v_ashrrev_i32_e32 v17, 31, v16
	v_cndmask_b32_e64 v22, v1, v3, s[6:7]
	v_or_b32_e32 v3, 0x2c0, v0
	v_cmp_gt_u32_e64 s[4:5], s33, v3
	v_lshlrev_b64 v[4:5], 2, v[4:5]
	v_lshlrev_b64 v[6:7], 2, v[6:7]
	v_cndmask_b32_e64 v24, v1, v3, s[4:5]
	v_or_b32_e32 v3, 0x300, v0
	v_cmp_gt_u32_e32 vcc, s33, v3
	v_lshlrev_b64 v[8:9], 2, v[8:9]
	v_lshlrev_b64 v[10:11], 2, v[10:11]
	v_cndmask_b32_e32 v26, v1, v3, vcc
	v_ashrrev_i32_e32 v3, 31, v2
	v_lshlrev_b64 v[2:3], 2, v[2:3]
	v_lshl_add_u64 v[28:29], s[28:29], 0, v[2:3]
	v_lshl_add_u64 v[38:39], s[28:29], 0, v[12:13]
	;; [unrolled: 1-line block ×3, first 2 shown]
	v_lshlrev_b64 v[16:17], 2, v[16:17]
	v_ashrrev_i32_e32 v19, 31, v18
	v_ashrrev_i32_e32 v21, 31, v20
	;; [unrolled: 1-line block ×3, first 2 shown]
	v_lshl_add_u64 v[30:31], s[28:29], 0, v[4:5]
	v_lshl_add_u64 v[32:33], s[28:29], 0, v[6:7]
	;; [unrolled: 1-line block ×5, first 2 shown]
	global_load_dword v1, v[28:29], off
	global_load_dword v44, v[30:31], off
	;; [unrolled: 1-line block ×5, first 2 shown]
	s_nop 0
	global_load_dword v38, v[38:39], off
	s_nop 0
	global_load_dword v39, v[40:41], off
	;; [unrolled: 2-line block ×3, first 2 shown]
	v_lshlrev_b64 v[18:19], 2, v[18:19]
	v_lshlrev_b64 v[20:21], 2, v[20:21]
	v_lshlrev_b64 v[22:23], 2, v[22:23]
	v_ashrrev_i32_e32 v25, 31, v24
	v_ashrrev_i32_e32 v27, 31, v26
	v_lshl_add_u64 v[28:29], s[28:29], 0, v[18:19]
	v_lshl_add_u64 v[30:31], s[28:29], 0, v[20:21]
	;; [unrolled: 1-line block ×3, first 2 shown]
	v_lshlrev_b64 v[24:25], 2, v[24:25]
	v_lshlrev_b64 v[26:27], 2, v[26:27]
	v_lshl_add_u64 v[34:35], s[28:29], 0, v[24:25]
	v_lshl_add_u64 v[36:37], s[28:29], 0, v[26:27]
	global_load_dword v28, v[28:29], off
	s_nop 0
	global_load_dword v29, v[30:31], off
	s_nop 0
	global_load_dword v30, v[32:33], off
	global_load_dword v31, v[34:35], off
	s_nop 0
	global_load_dword v32, v[36:37], off
	v_mbcnt_lo_u32_b32 v34, -1, 0
	v_mbcnt_hi_u32_b32 v34, -1, v34
	v_and_b32_e32 v35, 64, v34
	v_add_u32_e32 v35, 64, v35
	v_xor_b32_e32 v36, 32, v34
	v_cmp_lt_i32_e64 s[28:29], v36, v35
	s_mov_b32 s39, 0x3fb8aa3b
	s_waitcnt vmcnt(10)
	v_max3_f32 v33, v1, v44, v45
	v_cndmask_b32_e64 v36, v34, v36, s[28:29]
	s_waitcnt vmcnt(8)
	v_max3_f32 v33, v33, v46, v47
	v_lshlrev_b32_e32 v36, 2, v36
	s_waitcnt vmcnt(6)
	v_max3_f32 v33, v33, v38, v39
	s_waitcnt vmcnt(4)
	v_max3_f32 v33, v33, v40, v28
	;; [unrolled: 2-line block ×4, first 2 shown]
	ds_bpermute_b32 v37, v36, v33
	s_waitcnt lgkmcnt(0)
	v_max_f32_e32 v37, v37, v37
	v_max_f32_e32 v33, v33, v37
	v_xor_b32_e32 v37, 16, v34
	v_cmp_lt_i32_e64 s[28:29], v37, v35
	s_nop 1
	v_cndmask_b32_e64 v37, v34, v37, s[28:29]
	v_lshlrev_b32_e32 v37, 2, v37
	ds_bpermute_b32 v41, v37, v33
	s_waitcnt lgkmcnt(0)
	v_max_f32_e32 v41, v41, v41
	v_max_f32_e32 v33, v33, v41
	v_xor_b32_e32 v41, 8, v34
	v_cmp_lt_i32_e64 s[28:29], v41, v35
	s_nop 1
	v_cndmask_b32_e64 v41, v34, v41, s[28:29]
	v_lshlrev_b32_e32 v41, 2, v41
	ds_bpermute_b32 v42, v41, v33
	s_add_u32 s28, s40, s52
	s_addc_u32 s29, s41, s53
	s_add_u32 s40, s28, s42
	s_addc_u32 s41, s29, s43
	s_waitcnt lgkmcnt(0)
	v_max_f32_e32 v42, v42, v42
	v_max_f32_e32 v33, v33, v42
	v_xor_b32_e32 v42, 4, v34
	v_lshl_add_u64 v[2:3], s[40:41], 0, v[2:3]
	v_cmp_lt_i32_e64 s[28:29], v42, v35
	global_load_dword v43, v[2:3], off
	s_nop 0
	v_cndmask_b32_e64 v2, v34, v42, s[28:29]
	v_lshlrev_b32_e32 v42, 2, v2
	ds_bpermute_b32 v2, v42, v33
	s_waitcnt lgkmcnt(0)
	v_max_f32_e32 v2, v2, v2
	v_max_f32_e32 v33, v33, v2
	v_xor_b32_e32 v2, 2, v34
	v_cmp_lt_i32_e64 s[28:29], v2, v35
	s_nop 1
	v_cndmask_b32_e64 v2, v34, v2, s[28:29]
	v_lshlrev_b32_e32 v48, 2, v2
	ds_bpermute_b32 v49, v48, v33
	v_lshl_add_u64 v[2:3], s[40:41], 0, v[4:5]
	global_load_dword v50, v[2:3], off
	v_lshl_add_u64 v[4:5], s[40:41], 0, v[8:9]
	v_lshl_add_u64 v[8:9], s[40:41], 0, v[12:13]
	s_waitcnt lgkmcnt(0)
	v_max_f32_e32 v2, v49, v49
	v_max_f32_e32 v33, v33, v2
	v_xor_b32_e32 v2, 1, v34
	v_cmp_lt_i32_e64 s[28:29], v2, v35
	s_nop 1
	v_cndmask_b32_e64 v2, v34, v2, s[28:29]
	v_lshlrev_b32_e32 v34, 2, v2
	v_lshl_add_u64 v[2:3], s[40:41], 0, v[6:7]
	global_load_dword v12, v[2:3], off
	v_lshl_add_u64 v[6:7], s[40:41], 0, v[10:11]
	v_lshl_add_u64 v[2:3], s[40:41], 0, v[14:15]
	;; [unrolled: 1-line block ×3, first 2 shown]
	global_load_dword v13, v[4:5], off
	global_load_dword v14, v[6:7], off
	;; [unrolled: 1-line block ×5, first 2 shown]
	ds_bpermute_b32 v35, v34, v33
	v_lshl_add_u64 v[2:3], s[40:41], 0, v[18:19]
	v_lshl_add_u64 v[4:5], s[40:41], 0, v[20:21]
	;; [unrolled: 1-line block ×4, first 2 shown]
	s_waitcnt lgkmcnt(0)
	v_max_f32_e32 v18, v35, v35
	v_max_f32_e32 v18, v33, v18
	v_sub_f32_e32 v1, v1, v18
	v_mul_f32_e32 v19, 0x3fb8aa3b, v1
	v_fma_f32 v20, v1, s39, -v19
	v_rndne_f32_e32 v21, v19
	v_fmac_f32_e32 v20, 0x32a5705f, v1
	v_sub_f32_e32 v19, v19, v21
	v_lshl_add_u64 v[10:11], s[40:41], 0, v[26:27]
	v_add_f32_e32 v19, v19, v20
	v_cvt_i32_f32_e32 v20, v21
	global_load_dword v21, v[2:3], off
	global_load_dword v22, v[4:5], off
	;; [unrolled: 1-line block ×5, first 2 shown]
	v_sub_f32_e32 v4, v44, v18
	v_mul_f32_e32 v5, 0x3fb8aa3b, v4
	v_fma_f32 v6, v4, s39, -v5
	v_rndne_f32_e32 v7, v5
	v_exp_f32_e32 v19, v19
	v_fmac_f32_e32 v6, 0x32a5705f, v4
	v_sub_f32_e32 v5, v5, v7
	v_add_f32_e32 v5, v5, v6
	v_exp_f32_e32 v5, v5
	v_cvt_i32_f32_e32 v6, v7
	s_mov_b32 s40, 0xc2ce8ed0
	v_ldexp_f32 v2, v19, v20
	v_cmp_ngt_f32_e64 s[28:29], s40, v1
	s_mov_b32 s41, 0x42b17218
	v_mov_b32_e32 v3, 0x7f800000
	v_cndmask_b32_e64 v2, 0, v2, s[28:29]
	v_cmp_nlt_f32_e64 s[28:29], s41, v1
	s_nop 1
	v_cndmask_b32_e64 v1, v3, v2, s[28:29]
	v_ldexp_f32 v2, v5, v6
	v_sub_f32_e32 v5, v45, v18
	v_mul_f32_e32 v6, 0x3fb8aa3b, v5
	v_fma_f32 v7, v5, s39, -v6
	v_rndne_f32_e32 v8, v6
	v_fmac_f32_e32 v7, 0x32a5705f, v5
	v_sub_f32_e32 v6, v6, v8
	v_add_f32_e32 v6, v6, v7
	v_exp_f32_e32 v6, v6
	v_cvt_i32_f32_e32 v7, v8
	v_cndmask_b32_e64 v1, 0, v1, s[26:27]
	v_cmp_ngt_f32_e64 s[26:27], s40, v4
	s_waitcnt vmcnt(12)
	v_mul_f32_e32 v1, v43, v1
	v_cndmask_b32_e64 v2, 0, v2, s[26:27]
	v_cmp_nlt_f32_e64 s[26:27], s41, v4
	v_ldexp_f32 v4, v6, v7
	v_sub_f32_e32 v6, v46, v18
	v_mul_f32_e32 v7, 0x3fb8aa3b, v6
	v_fma_f32 v8, v6, s39, -v7
	v_rndne_f32_e32 v9, v7
	v_fmac_f32_e32 v8, 0x32a5705f, v6
	v_sub_f32_e32 v7, v7, v9
	v_add_f32_e32 v7, v7, v8
	v_exp_f32_e32 v7, v7
	v_cvt_i32_f32_e32 v8, v9
	v_cndmask_b32_e64 v2, v3, v2, s[26:27]
	v_cndmask_b32_e64 v2, 0, v2, s[24:25]
	v_cmp_ngt_f32_e64 s[24:25], s40, v5
	s_waitcnt vmcnt(11)
	v_mul_f32_e32 v2, v50, v2
	v_cndmask_b32_e64 v4, 0, v4, s[24:25]
	v_cmp_nlt_f32_e64 s[24:25], s41, v5
	v_ldexp_f32 v5, v7, v8
	v_sub_f32_e32 v7, v47, v18
	v_mul_f32_e32 v8, 0x3fb8aa3b, v7
	v_fma_f32 v9, v7, s39, -v8
	v_rndne_f32_e32 v10, v8
	v_fmac_f32_e32 v9, 0x32a5705f, v7
	v_sub_f32_e32 v8, v8, v10
	v_add_f32_e32 v8, v8, v9
	v_exp_f32_e32 v8, v8
	v_cvt_i32_f32_e32 v9, v10
	v_cndmask_b32_e64 v4, v3, v4, s[24:25]
	v_cndmask_b32_e64 v4, 0, v4, s[22:23]
	v_cmp_ngt_f32_e64 s[22:23], s40, v6
	s_waitcnt vmcnt(10)
	v_mul_f32_e32 v4, v12, v4
	v_cndmask_b32_e64 v5, 0, v5, s[22:23]
	v_cmp_nlt_f32_e64 s[22:23], s41, v6
	v_ldexp_f32 v6, v8, v9
	v_sub_f32_e32 v8, v38, v18
	v_mul_f32_e32 v9, 0x3fb8aa3b, v8
	v_fma_f32 v10, v8, s39, -v9
	v_rndne_f32_e32 v11, v9
	v_fmac_f32_e32 v10, 0x32a5705f, v8
	v_sub_f32_e32 v9, v9, v11
	v_add_f32_e32 v9, v9, v10
	v_exp_f32_e32 v9, v9
	v_cvt_i32_f32_e32 v10, v11
	v_cndmask_b32_e64 v5, v3, v5, s[22:23]
	v_cndmask_b32_e64 v5, 0, v5, s[20:21]
	v_cmp_ngt_f32_e64 s[20:21], s40, v7
	s_waitcnt vmcnt(9)
	v_mul_f32_e32 v5, v13, v5
	v_cndmask_b32_e64 v6, 0, v6, s[20:21]
	v_cmp_nlt_f32_e64 s[20:21], s41, v7
	v_ldexp_f32 v7, v9, v10
	v_sub_f32_e32 v9, v39, v18
	v_mul_f32_e32 v10, 0x3fb8aa3b, v9
	v_fma_f32 v11, v9, s39, -v10
	v_rndne_f32_e32 v12, v10
	v_fmac_f32_e32 v11, 0x32a5705f, v9
	v_sub_f32_e32 v10, v10, v12
	v_add_f32_e32 v10, v10, v11
	v_exp_f32_e32 v10, v10
	v_cvt_i32_f32_e32 v11, v12
	v_cndmask_b32_e64 v6, v3, v6, s[20:21]
	v_cndmask_b32_e64 v6, 0, v6, s[18:19]
	v_cmp_ngt_f32_e64 s[18:19], s40, v8
	s_waitcnt vmcnt(8)
	v_mul_f32_e32 v6, v14, v6
	v_cndmask_b32_e64 v7, 0, v7, s[18:19]
	v_cmp_nlt_f32_e64 s[18:19], s41, v8
	v_ldexp_f32 v8, v10, v11
	v_sub_f32_e32 v10, v40, v18
	v_mul_f32_e32 v11, 0x3fb8aa3b, v10
	v_fma_f32 v12, v10, s39, -v11
	v_rndne_f32_e32 v13, v11
	v_fmac_f32_e32 v12, 0x32a5705f, v10
	v_sub_f32_e32 v11, v11, v13
	v_add_f32_e32 v11, v11, v12
	v_exp_f32_e32 v11, v11
	v_cvt_i32_f32_e32 v12, v13
	v_cndmask_b32_e64 v7, v3, v7, s[18:19]
	v_cndmask_b32_e64 v7, 0, v7, s[16:17]
	v_cmp_ngt_f32_e64 s[16:17], s40, v9
	s_waitcnt vmcnt(7)
	v_mul_f32_e32 v7, v15, v7
	v_cndmask_b32_e64 v8, 0, v8, s[16:17]
	v_cmp_nlt_f32_e64 s[16:17], s41, v9
	v_ldexp_f32 v9, v11, v12
	v_sub_f32_e32 v11, v28, v18
	v_mul_f32_e32 v12, 0x3fb8aa3b, v11
	v_fma_f32 v13, v11, s39, -v12
	v_rndne_f32_e32 v14, v12
	v_fmac_f32_e32 v13, 0x32a5705f, v11
	v_sub_f32_e32 v12, v12, v14
	v_add_f32_e32 v12, v12, v13
	v_exp_f32_e32 v12, v12
	v_cvt_i32_f32_e32 v13, v14
	v_cndmask_b32_e64 v8, v3, v8, s[16:17]
	v_cndmask_b32_e64 v8, 0, v8, s[14:15]
	v_cmp_ngt_f32_e64 s[14:15], s40, v10
	s_waitcnt vmcnt(6)
	v_mul_f32_e32 v8, v16, v8
	v_cndmask_b32_e64 v9, 0, v9, s[14:15]
	v_cmp_nlt_f32_e64 s[14:15], s41, v10
	v_ldexp_f32 v10, v12, v13
	v_sub_f32_e32 v12, v29, v18
	v_mul_f32_e32 v13, 0x3fb8aa3b, v12
	v_fma_f32 v14, v12, s39, -v13
	v_rndne_f32_e32 v15, v13
	v_fmac_f32_e32 v14, 0x32a5705f, v12
	v_sub_f32_e32 v13, v13, v15
	v_add_f32_e32 v13, v13, v14
	v_exp_f32_e32 v13, v13
	v_cvt_i32_f32_e32 v14, v15
	v_cndmask_b32_e64 v9, v3, v9, s[14:15]
	v_cndmask_b32_e64 v9, 0, v9, s[12:13]
	v_cmp_ngt_f32_e64 s[12:13], s40, v11
	s_waitcnt vmcnt(5)
	v_mul_f32_e32 v9, v17, v9
	v_cndmask_b32_e64 v10, 0, v10, s[12:13]
	v_cmp_nlt_f32_e64 s[12:13], s41, v11
	v_ldexp_f32 v11, v13, v14
	v_sub_f32_e32 v13, v30, v18
	v_mul_f32_e32 v14, 0x3fb8aa3b, v13
	v_fma_f32 v15, v13, s39, -v14
	v_rndne_f32_e32 v16, v14
	v_fmac_f32_e32 v15, 0x32a5705f, v13
	v_sub_f32_e32 v14, v14, v16
	v_add_f32_e32 v14, v14, v15
	v_exp_f32_e32 v14, v14
	v_cvt_i32_f32_e32 v15, v16
	v_cndmask_b32_e64 v10, v3, v10, s[12:13]
	v_cndmask_b32_e64 v10, 0, v10, s[10:11]
	v_cmp_ngt_f32_e64 s[10:11], s40, v12
	s_waitcnt vmcnt(4)
	v_mul_f32_e32 v10, v21, v10
	v_cndmask_b32_e64 v11, 0, v11, s[10:11]
	v_cmp_nlt_f32_e64 s[10:11], s41, v12
	v_ldexp_f32 v12, v14, v15
	v_sub_f32_e32 v14, v31, v18
	v_mul_f32_e32 v15, 0x3fb8aa3b, v14
	v_fma_f32 v16, v14, s39, -v15
	v_rndne_f32_e32 v17, v15
	v_fmac_f32_e32 v16, 0x32a5705f, v14
	v_sub_f32_e32 v15, v15, v17
	v_add_f32_e32 v15, v15, v16
	v_exp_f32_e32 v15, v15
	v_cvt_i32_f32_e32 v16, v17
	v_cndmask_b32_e64 v11, v3, v11, s[10:11]
	v_cndmask_b32_e64 v11, 0, v11, s[8:9]
	v_cmp_ngt_f32_e64 s[8:9], s40, v13
	s_waitcnt vmcnt(3)
	v_mul_f32_e32 v11, v22, v11
	v_cndmask_b32_e64 v12, 0, v12, s[8:9]
	v_cmp_nlt_f32_e64 s[8:9], s41, v13
	v_ldexp_f32 v13, v15, v16
	v_sub_f32_e32 v15, v32, v18
	v_mul_f32_e32 v16, 0x3fb8aa3b, v15
	v_fma_f32 v17, v15, s39, -v16
	v_rndne_f32_e32 v18, v16
	v_fmac_f32_e32 v17, 0x32a5705f, v15
	v_sub_f32_e32 v16, v16, v18
	v_add_f32_e32 v16, v16, v17
	v_cndmask_b32_e64 v12, v3, v12, s[8:9]
	v_exp_f32_e32 v16, v16
	v_cvt_i32_f32_e32 v17, v18
	v_cndmask_b32_e64 v12, 0, v12, s[6:7]
	v_cmp_ngt_f32_e64 s[6:7], s40, v14
	s_waitcnt vmcnt(2)
	v_mul_f32_e32 v12, v23, v12
	v_cndmask_b32_e64 v13, 0, v13, s[6:7]
	v_cmp_nlt_f32_e64 s[6:7], s41, v14
	v_ldexp_f32 v14, v16, v17
	v_lshlrev_b32_e32 v16, 2, v0
	v_cndmask_b32_e64 v13, v3, v13, s[6:7]
	v_cndmask_b32_e64 v13, 0, v13, s[4:5]
	v_cmp_ngt_f32_e64 s[4:5], s40, v15
	ds_write2st64_b32 v16, v1, v2 offset1:1
	ds_write2st64_b32 v16, v4, v5 offset0:2 offset1:3
	ds_write2st64_b32 v16, v6, v7 offset0:4 offset1:5
	;; [unrolled: 1-line block ×3, first 2 shown]
	v_cndmask_b32_e64 v14, 0, v14, s[4:5]
	v_cmp_nlt_f32_e64 s[4:5], s41, v15
	s_nop 1
	v_cndmask_b32_e64 v3, v3, v14, s[4:5]
	v_add_f32_e32 v14, v1, v2
	v_add_f32_e32 v14, v14, v4
	;; [unrolled: 1-line block ×10, first 2 shown]
	v_cndmask_b32_e32 v3, 0, v3, vcc
	s_waitcnt vmcnt(1)
	v_fmac_f32_e32 v14, v24, v13
	s_waitcnt vmcnt(0)
	v_fmac_f32_e32 v14, v25, v3
	ds_bpermute_b32 v15, v36, v14
	v_cmp_eq_u32_e32 vcc, 0, v0
	v_mul_f32_e32 v13, v24, v13
	v_mul_f32_e32 v3, v25, v3
	ds_write2st64_b32 v16, v10, v11 offset0:8 offset1:9
	ds_write2st64_b32 v16, v12, v13 offset0:10 offset1:11
	ds_write_b32 v16, v3 offset:3072
	s_waitcnt lgkmcnt(3)
	v_add_f32_e32 v14, v14, v15
	ds_bpermute_b32 v15, v37, v14
	s_waitcnt lgkmcnt(0)
	v_add_f32_e32 v14, v14, v15
	ds_bpermute_b32 v15, v41, v14
	;; [unrolled: 3-line block ×5, first 2 shown]
	s_and_saveexec_b64 s[4:5], vcc
	s_cbranch_execz .LBB416_8
; %bb.7:
	s_waitcnt lgkmcnt(0)
	v_add_f32_e32 v1, v1, v2
	v_mov_b32_e32 v2, 0
	ds_write_b32 v2, v1 offset:3328
.LBB416_8:
	s_or_b64 exec, exec, s[4:5]
	v_mov_b32_e32 v1, s38
.LBB416_9:
	s_or_b64 exec, exec, s[48:49]
	s_lshl_b32 s4, s50, 6
	s_mov_b32 s5, 0
	s_lshl_b64 s[4:5], s[4:5], 1
	s_add_u32 s4, s36, s4
	s_addc_u32 s5, s37, s5
	s_lshl_b32 s10, s33, 6
	s_waitcnt lgkmcnt(0)
	v_lshlrev_b32_e32 v2, 6, v1
	v_mov_b32_e32 v1, 0
	s_sub_i32 s11, s10, 64
	v_mov_b32_e32 v3, v1
	s_cmp_lt_i32 s54, 1
	v_lshl_add_u64 v[2:3], v[2:3], 1, s[4:5]
	s_cselect_b32 s4, s11, 0
	v_lshlrev_b32_e32 v4, 1, v0
	v_mov_b32_e32 v5, v1
	s_ashr_i32 s5, s4, 31
	v_lshl_add_u64 v[2:3], v[2:3], 0, v[4:5]
	s_cmpk_lt_i32 s54, 0x101
	v_lshl_add_u64 v[4:5], s[4:5], 1, v[2:3]
	s_cselect_b32 s4, s11, 64
	s_ashr_i32 s5, s4, 31
	s_cmpk_lt_i32 s54, 0x201
	v_lshl_add_u64 v[6:7], s[4:5], 1, v[2:3]
	s_cselect_b32 s4, s11, 0x80
	s_ashr_i32 s5, s4, 31
	;; [unrolled: 4-line block ×8, first 2 shown]
	s_cmpk_lt_i32 s54, 0x901
	global_load_ushort v23, v[4:5], off
	global_load_ushort v22, v[6:7], off
	;; [unrolled: 1-line block ×8, first 2 shown]
	v_lshl_add_u64 v[4:5], s[4:5], 1, v[2:3]
	s_cselect_b32 s4, s11, 0x240
	s_ashr_i32 s5, s4, 31
	s_cmpk_lt_i32 s54, 0xa01
	v_lshl_add_u64 v[6:7], s[4:5], 1, v[2:3]
	s_cselect_b32 s4, s11, 0x280
	s_ashr_i32 s5, s4, 31
	s_cmpk_lt_i32 s54, 0xb01
	;; [unrolled: 4-line block ×6, first 2 shown]
	v_lshl_add_u64 v[32:33], s[4:5], 1, v[2:3]
	s_cselect_b32 s4, s11, 0x3c0
	s_ashr_i32 s5, s4, 31
	v_lshl_add_u64 v[34:35], s[4:5], 1, v[2:3]
	global_load_ushort v30, v[4:5], off
	global_load_ushort v31, v[6:7], off
	;; [unrolled: 1-line block ×8, first 2 shown]
	s_cmpk_gt_i32 s54, 0x1000
	s_cselect_b64 s[8:9], -1, 0
	s_cmpk_lt_i32 s54, 0x1001
	v_mov_b32_e32 v40, 0
	v_mov_b32_e32 v41, 0
	;; [unrolled: 1-line block ×48, first 2 shown]
	s_waitcnt lgkmcnt(0)
	; wave barrier
	s_cbranch_scc1 .LBB416_12
; %bb.10:
	s_cmpk_lt_u32 s54, 0x1101
	s_cselect_b32 s4, s11, 0x440
	s_ashr_i32 s5, s4, 31
	s_cmpk_lt_u32 s54, 0x1201
	v_lshl_add_u64 v[4:5], s[4:5], 1, v[2:3]
	s_cselect_b32 s4, s11, 0x480
	s_ashr_i32 s5, s4, 31
	s_cmpk_lt_u32 s54, 0x1301
	v_lshl_add_u64 v[6:7], s[4:5], 1, v[2:3]
	s_cselect_b32 s4, s11, 0x4c0
	s_ashr_i32 s5, s4, 31
	s_cmpk_lt_u32 s54, 0x1401
	v_lshl_add_u64 v[8:9], s[4:5], 1, v[2:3]
	s_cselect_b32 s4, s11, 0x500
	s_ashr_i32 s5, s4, 31
	s_cmpk_lt_u32 s54, 0x1501
	v_lshl_add_u64 v[10:11], s[4:5], 1, v[2:3]
	s_cselect_b32 s4, s11, 0x540
	s_ashr_i32 s5, s4, 31
	s_cmpk_lt_u32 s54, 0x1601
	v_lshl_add_u64 v[12:13], s[4:5], 1, v[2:3]
	s_cselect_b32 s4, s11, 0x580
	s_ashr_i32 s5, s4, 31
	s_cmpk_lt_u32 s54, 0x1701
	v_lshl_add_u64 v[14:15], s[4:5], 1, v[2:3]
	s_cselect_b32 s4, s11, 0x5c0
	s_ashr_i32 s5, s4, 31
	s_cmpk_lt_u32 s54, 0x1801
	v_lshl_add_u64 v[40:41], s[4:5], 1, v[2:3]
	s_cselect_b32 s4, s11, 0x600
	s_ashr_i32 s5, s4, 31
	s_cmpk_lt_u32 s54, 0x1901
	global_load_ushort v39, v[2:3], off offset:2048
	global_load_ushort v38, v[4:5], off
	global_load_ushort v37, v[6:7], off
	;; [unrolled: 1-line block ×7, first 2 shown]
	v_lshl_add_u64 v[4:5], s[4:5], 1, v[2:3]
	s_cselect_b32 s4, s11, 0x640
	s_ashr_i32 s5, s4, 31
	s_cmpk_lt_u32 s54, 0x1a01
	v_lshl_add_u64 v[6:7], s[4:5], 1, v[2:3]
	s_cselect_b32 s4, s11, 0x680
	s_ashr_i32 s5, s4, 31
	s_cmpk_lt_u32 s54, 0x1b01
	;; [unrolled: 4-line block ×6, first 2 shown]
	v_lshl_add_u64 v[48:49], s[4:5], 1, v[2:3]
	s_cselect_b32 s4, s11, 0x7c0
	s_ashr_i32 s5, s4, 31
	v_lshl_add_u64 v[50:51], s[4:5], 1, v[2:3]
	global_load_ushort v47, v[4:5], off
	global_load_ushort v46, v[6:7], off
	;; [unrolled: 1-line block ×8, first 2 shown]
	s_cmpk_lt_u32 s54, 0x2001
	v_mov_b32_e32 v67, 0
	v_mov_b32_e32 v65, 0
	;; [unrolled: 1-line block ×32, first 2 shown]
	s_cbranch_scc1 .LBB416_12
; %bb.11:
	s_cmpk_lt_u32 s54, 0x2101
	s_cselect_b32 s4, s11, 0x840
	s_ashr_i32 s5, s4, 31
	s_cmpk_lt_u32 s54, 0x2201
	v_lshl_add_u64 v[4:5], s[4:5], 1, v[2:3]
	s_cselect_b32 s4, s11, 0x880
	s_ashr_i32 s5, s4, 31
	s_cmpk_lt_u32 s54, 0x2301
	v_lshl_add_u64 v[6:7], s[4:5], 1, v[2:3]
	s_cselect_b32 s4, s11, 0x8c0
	s_ashr_i32 s5, s4, 31
	s_cmpk_lt_u32 s54, 0x2401
	v_lshl_add_u64 v[8:9], s[4:5], 1, v[2:3]
	s_cselect_b32 s4, s11, 0x900
	s_ashr_i32 s5, s4, 31
	s_cmpk_lt_u32 s54, 0x2501
	v_lshl_add_u64 v[10:11], s[4:5], 1, v[2:3]
	s_cselect_b32 s4, s11, 0x940
	s_ashr_i32 s5, s4, 31
	s_cmpk_lt_u32 s54, 0x2601
	v_lshl_add_u64 v[12:13], s[4:5], 1, v[2:3]
	s_cselect_b32 s4, s11, 0x980
	s_ashr_i32 s5, s4, 31
	s_cmpk_lt_u32 s54, 0x2701
	v_lshl_add_u64 v[14:15], s[4:5], 1, v[2:3]
	s_cselect_b32 s4, s11, 0x9c0
	s_ashr_i32 s5, s4, 31
	s_cmpk_lt_u32 s54, 0x2801
	v_lshl_add_u64 v[48:49], s[4:5], 1, v[2:3]
	s_cselect_b32 s4, s11, 0xa00
	s_ashr_i32 s5, s4, 31
	s_cmpk_lt_u32 s54, 0x2901
	v_lshl_add_u64 v[50:51], s[4:5], 1, v[2:3]
	s_cselect_b32 s4, s11, 0xa40
	s_ashr_i32 s5, s4, 31
	s_cmpk_lt_u32 s54, 0x2a01
	v_lshl_add_u64 v[52:53], s[4:5], 1, v[2:3]
	s_cselect_b32 s4, s11, 0xa80
	s_ashr_i32 s5, s4, 31
	s_cmpk_lt_u32 s54, 0x2b01
	v_lshl_add_u64 v[54:55], s[4:5], 1, v[2:3]
	s_cselect_b32 s4, s11, 0xac0
	s_ashr_i32 s5, s4, 31
	s_cmpk_lt_u32 s54, 0x2c01
	v_lshl_add_u64 v[56:57], s[4:5], 1, v[2:3]
	s_cselect_b32 s4, s11, 0xb00
	s_ashr_i32 s5, s4, 31
	s_cmpk_lt_u32 s54, 0x2d01
	v_lshl_add_u64 v[58:59], s[4:5], 1, v[2:3]
	s_cselect_b32 s4, s11, 0xb40
	s_ashr_i32 s5, s4, 31
	s_cmpk_lt_u32 s54, 0x2e01
	v_lshl_add_u64 v[60:61], s[4:5], 1, v[2:3]
	s_cselect_b32 s4, s11, 0xb80
	s_ashr_i32 s5, s4, 31
	s_cmpk_lt_u32 s54, 0x2f01
	v_lshl_add_u64 v[62:63], s[4:5], 1, v[2:3]
	s_cselect_b32 s4, s11, 0xbc0
	s_ashr_i32 s5, s4, 31
	s_cmpk_lt_u32 s54, 0x3001
	v_lshl_add_u64 v[64:65], s[4:5], 1, v[2:3]
	s_cselect_b32 s4, s11, 0xc00
	s_ashr_i32 s5, s4, 31
	s_cmpk_lt_u32 s54, 0x3101
	v_lshl_add_u64 v[66:67], s[4:5], 1, v[2:3]
	s_cselect_b32 s4, s11, 0xc40
	s_ashr_i32 s5, s4, 31
	s_cmpk_lt_u32 s54, 0x3201
	v_lshl_add_u64 v[68:69], s[4:5], 1, v[2:3]
	s_cselect_b32 s4, s11, 0xc80
	s_ashr_i32 s5, s4, 31
	s_cmpk_lt_u32 s54, 0x3301
	v_lshl_add_u64 v[70:71], s[4:5], 1, v[2:3]
	s_cselect_b32 s4, s11, 0xcc0
	s_ashr_i32 s5, s4, 31
	s_cmpk_lt_u32 s54, 0x3401
	v_lshl_add_u64 v[72:73], s[4:5], 1, v[2:3]
	s_cselect_b32 s4, s11, 0xd00
	s_ashr_i32 s5, s4, 31
	s_cmpk_lt_u32 s54, 0x3501
	v_lshl_add_u64 v[74:75], s[4:5], 1, v[2:3]
	s_cselect_b32 s4, s11, 0xd40
	s_ashr_i32 s5, s4, 31
	s_cmpk_lt_u32 s54, 0x3601
	v_lshl_add_u64 v[76:77], s[4:5], 1, v[2:3]
	s_cselect_b32 s4, s11, 0xd80
	s_ashr_i32 s5, s4, 31
	s_cmpk_lt_u32 s54, 0x3701
	v_lshl_add_u64 v[78:79], s[4:5], 1, v[2:3]
	s_cselect_b32 s4, s11, 0xdc0
	s_ashr_i32 s5, s4, 31
	s_cmpk_lt_u32 s54, 0x3801
	v_lshl_add_u64 v[80:81], s[4:5], 1, v[2:3]
	s_cselect_b32 s4, s11, 0xe00
	s_ashr_i32 s5, s4, 31
	s_cmpk_lt_u32 s54, 0x3901
	v_lshl_add_u64 v[82:83], s[4:5], 1, v[2:3]
	s_cselect_b32 s4, s11, 0xe40
	s_ashr_i32 s5, s4, 31
	s_cmpk_lt_u32 s54, 0x3a01
	v_lshl_add_u64 v[84:85], s[4:5], 1, v[2:3]
	s_cselect_b32 s4, s11, 0xe80
	s_ashr_i32 s5, s4, 31
	s_cmpk_lt_u32 s54, 0x3b01
	v_lshl_add_u64 v[86:87], s[4:5], 1, v[2:3]
	s_cselect_b32 s4, s11, 0xec0
	s_ashr_i32 s5, s4, 31
	s_cmpk_lt_u32 s54, 0x3c01
	v_lshl_add_u64 v[88:89], s[4:5], 1, v[2:3]
	s_cselect_b32 s4, s11, 0xf00
	s_ashr_i32 s5, s4, 31
	s_cmpk_lt_u32 s54, 0x3d01
	v_lshl_add_u64 v[90:91], s[4:5], 1, v[2:3]
	s_cselect_b32 s4, s11, 0xf40
	s_ashr_i32 s5, s4, 31
	s_cmpk_lt_u32 s54, 0x3e01
	v_lshl_add_u64 v[92:93], s[4:5], 1, v[2:3]
	s_cselect_b32 s4, s11, 0xf80
	s_ashr_i32 s5, s4, 31
	v_lshl_add_u64 v[94:95], s[4:5], 1, v[2:3]
	s_movk_i32 s4, 0x1000
	s_cmpk_lt_u32 s54, 0x3f01
	v_add_co_u32_e32 v96, vcc, s4, v2
	s_cselect_b32 s4, s11, 0xfc0
	s_nop 0
	v_addc_co_u32_e32 v97, vcc, 0, v3, vcc
	s_ashr_i32 s5, s4, 31
	global_load_ushort v98, v[96:97], off
	global_load_ushort v99, v[4:5], off
	;; [unrolled: 1-line block ×15, first 2 shown]
                                        ; kill: killed $vgpr52_vgpr53
                                        ; kill: killed $vgpr4_vgpr5
                                        ; kill: killed $vgpr58_vgpr59
                                        ; kill: killed $vgpr10_vgpr11
                                        ; kill: killed $vgpr48_vgpr49
                                        ; kill: killed $vgpr54_vgpr55
                                        ; kill: killed $vgpr6_vgpr7
                                        ; kill: killed $vgpr60_vgpr61
                                        ; kill: killed $vgpr12_vgpr13
                                        ; kill: killed $vgpr50_vgpr51
                                        ; kill: killed $vgpr56_vgpr57
                                        ; kill: killed $vgpr8_vgpr9
                                        ; kill: killed $vgpr62_vgpr63
                                        ; kill: killed $vgpr14_vgpr15
                                        ; kill: killed $vgpr96 killed $vgpr97
	global_load_ushort v6, v[64:65], off
	global_load_ushort v7, v[66:67], off
	;; [unrolled: 1-line block ×15, first 2 shown]
                                        ; kill: killed $vgpr84_vgpr85
                                        ; kill: killed $vgpr68_vgpr69
                                        ; kill: killed $vgpr90_vgpr91
                                        ; kill: killed $vgpr74_vgpr75
                                        ; kill: killed $vgpr80_vgpr81
                                        ; kill: killed $vgpr64_vgpr65
                                        ; kill: killed $vgpr70_vgpr71
                                        ; kill: killed $vgpr92_vgpr93
                                        ; kill: killed $vgpr76_vgpr77
                                        ; kill: killed $vgpr82_vgpr83
                                        ; kill: killed $vgpr66_vgpr67
                                        ; kill: killed $vgpr88_vgpr89
                                        ; kill: killed $vgpr72_vgpr73
                                        ; kill: killed $vgpr94_vgpr95
                                        ; kill: killed $vgpr78_vgpr79
	global_load_ushort v68, v[86:87], off
	v_lshl_add_u64 v[4:5], s[4:5], 1, v[2:3]
	global_load_ushort v5, v[4:5], off
	s_waitcnt vmcnt(31)
	v_lshlrev_b32_e32 v67, 16, v98
	s_waitcnt vmcnt(30)
	v_lshlrev_b32_e32 v65, 16, v99
	;; [unrolled: 2-line block ×32, first 2 shown]
.LBB416_12:
	s_load_dwordx2 s[4:5], s[0:1], 0x0
	s_load_dwordx2 s[6:7], s[0:1], 0x38
	ds_read_b128 v[68:71], v1
	s_waitcnt vmcnt(15)
	v_lshlrev_b32_e32 v23, 16, v23
	ds_read_b128 v[72:75], v1 offset:16
	ds_read_b128 v[76:79], v1 offset:32
	;; [unrolled: 1-line block ×3, first 2 shown]
	s_waitcnt vmcnt(14)
	v_lshlrev_b32_e32 v22, 16, v22
	s_waitcnt vmcnt(13)
	v_lshlrev_b32_e32 v21, 16, v21
	s_waitcnt lgkmcnt(0)
	v_fma_f32 v23, v68, v23, 0
	v_fmac_f32_e32 v23, v69, v22
	v_fmac_f32_e32 v23, v70, v21
	s_waitcnt vmcnt(12)
	v_lshlrev_b32_e32 v20, 16, v20
	s_waitcnt vmcnt(10)
	v_lshlrev_b32_e32 v19, 16, v19
	v_lshlrev_b32_e32 v18, 16, v18
	v_fmac_f32_e32 v23, v71, v20
	v_pk_mul_f32 v[18:19], v[72:73], v[18:19]
	s_waitcnt vmcnt(8)
	v_lshlrev_b32_e32 v17, 16, v17
	v_add_f32_e32 v18, v23, v18
	v_lshlrev_b32_e32 v16, 16, v16
	v_add_f32_e32 v18, v18, v19
	v_pk_mul_f32 v[16:17], v[74:75], v[16:17]
	s_and_b64 vcc, exec, s[8:9]
	v_add_f32_e32 v16, v18, v16
	v_add_f32_e32 v18, v16, v17
	s_waitcnt vmcnt(6)
	v_lshlrev_b32_e32 v17, 16, v31
	v_lshlrev_b32_e32 v16, 16, v30
	v_pk_mul_f32 v[16:17], v[76:77], v[16:17]
	s_nop 0
	v_add_f32_e32 v16, v18, v16
	v_add_f32_e32 v18, v16, v17
	s_waitcnt vmcnt(4)
	v_lshlrev_b32_e32 v17, 16, v29
	v_lshlrev_b32_e32 v16, 16, v28
	v_pk_mul_f32 v[16:17], v[78:79], v[16:17]
	s_nop 0
	;; [unrolled: 7-line block ×4, first 2 shown]
	v_add_f32_e32 v16, v18, v16
	v_add_f32_e32 v110, v16, v17
	s_cbranch_vccz .LBB416_15
; %bb.13:
	ds_read_b128 v[16:19], v1 offset:64
	v_lshlrev_b32_e32 v39, 16, v39
	ds_read_b128 v[20:23], v1 offset:80
	ds_read_b128 v[24:27], v1 offset:96
	ds_read_b128 v[28:31], v1 offset:112
	s_cmpk_lt_u32 s54, 0x2001
	s_waitcnt lgkmcnt(3)
	v_fmac_f32_e32 v110, v16, v39
	v_lshlrev_b32_e32 v16, 16, v38
	v_fmac_f32_e32 v110, v17, v16
	v_lshlrev_b32_e32 v16, 16, v37
	v_fmac_f32_e32 v110, v18, v16
	v_lshlrev_b32_e32 v16, 16, v36
	v_fmac_f32_e32 v110, v19, v16
	v_lshlrev_b32_e32 v16, 16, v35
	s_waitcnt lgkmcnt(2)
	v_fmac_f32_e32 v110, v20, v16
	v_lshlrev_b32_e32 v16, 16, v34
	v_fmac_f32_e32 v110, v21, v16
	v_lshlrev_b32_e32 v16, 16, v33
	v_fmac_f32_e32 v110, v22, v16
	v_lshlrev_b32_e32 v16, 16, v32
	v_fmac_f32_e32 v110, v23, v16
	v_lshlrev_b32_e32 v16, 16, v47
	;; [unrolled: 9-line block ×3, first 2 shown]
	s_waitcnt lgkmcnt(0)
	v_fmac_f32_e32 v110, v28, v16
	v_lshlrev_b32_e32 v16, 16, v42
	v_fmac_f32_e32 v110, v29, v16
	v_lshlrev_b32_e32 v16, 16, v41
	;; [unrolled: 2-line block ×3, first 2 shown]
	v_fmac_f32_e32 v110, v31, v16
	s_cbranch_scc1 .LBB416_15
; %bb.14:
	v_mov_b32_e32 v32, 0
	ds_read_b128 v[16:19], v32 offset:128
	ds_read_b128 v[20:23], v32 offset:144
	;; [unrolled: 1-line block ×4, first 2 shown]
	s_waitcnt lgkmcnt(3)
	v_fmac_f32_e32 v110, v16, v67
	v_fmac_f32_e32 v110, v17, v65
	v_fmac_f32_e32 v110, v18, v66
	v_fmac_f32_e32 v110, v19, v63
	s_waitcnt lgkmcnt(2)
	v_fmac_f32_e32 v110, v20, v64
	v_fmac_f32_e32 v110, v21, v61
	v_fmac_f32_e32 v110, v22, v62
	v_fmac_f32_e32 v110, v23, v59
	;; [unrolled: 5-line block ×3, first 2 shown]
	ds_read_b128 v[16:19], v32 offset:192
	ds_read_b128 v[20:23], v32 offset:208
	s_waitcnt lgkmcnt(2)
	v_fmac_f32_e32 v110, v28, v56
	v_fmac_f32_e32 v110, v29, v53
	;; [unrolled: 1-line block ×4, first 2 shown]
	s_waitcnt lgkmcnt(1)
	v_fmac_f32_e32 v110, v16, v51
	v_fmac_f32_e32 v110, v17, v49
	;; [unrolled: 1-line block ×4, first 2 shown]
	s_waitcnt lgkmcnt(0)
	v_pk_mul_f32 v[14:15], v[20:21], v[14:15]
	v_pk_mul_f32 v[12:13], v[22:23], v[12:13]
	v_add_f32_e32 v14, v110, v14
	v_add_f32_e32 v18, v14, v15
	ds_read_b128 v[14:17], v32 offset:224
	v_add_f32_e32 v12, v18, v12
	ds_read_b128 v[18:21], v32 offset:240
	v_add_f32_e32 v12, v12, v13
	s_waitcnt lgkmcnt(1)
	v_pk_mul_f32 v[10:11], v[14:15], v[10:11]
	s_nop 0
	v_add_f32_e32 v10, v12, v10
	v_add_f32_e32 v10, v10, v11
	v_pk_mul_f32 v[8:9], v[16:17], v[8:9]
	s_waitcnt lgkmcnt(0)
	v_pk_mul_f32 v[6:7], v[18:19], v[6:7]
	v_add_f32_e32 v8, v10, v8
	v_add_f32_e32 v8, v8, v9
	;; [unrolled: 1-line block ×4, first 2 shown]
	v_pk_mul_f32 v[4:5], v[20:21], v[4:5]
	s_nop 0
	v_add_f32_e32 v4, v6, v4
	v_add_f32_e32 v110, v4, v5
.LBB416_15:
	s_movk_i32 s0, 0x1fc0
	s_movk_i32 s1, 0x100
	s_mov_b32 s8, 64
	s_branch .LBB416_17
.LBB416_16:                             ;   in Loop: Header=BB416_17 Depth=1
	s_addk_i32 s0, 0x1000
	s_addk_i32 s1, 0x100
	s_add_i32 s8, s8, 64
	s_cmpk_eq_u32 s0, 0xdfc0
	s_cbranch_scc1 .LBB416_19
.LBB416_17:                             ; =>This Inner Loop Header: Depth=1
	s_cmp_le_i32 s33, s8
	s_cbranch_scc1 .LBB416_16
; %bb.18:                               ;   in Loop: Header=BB416_17 Depth=1
	s_add_i32 s9, s0, 0xfffff040
	s_cmp_lt_i32 s9, s10
	s_cselect_b32 s12, s9, s11
	s_ashr_i32 s13, s12, 31
	s_add_i32 s9, s0, 0xfffff080
	s_cmp_lt_i32 s9, s10
	v_lshl_add_u64 v[44:45], s[12:13], 1, v[2:3]
	s_cselect_b32 s12, s9, s11
	s_ashr_i32 s13, s12, 31
	s_add_i32 s9, s0, 0xfffff0c0
	s_cmp_lt_i32 s9, s10
	v_lshl_add_u64 v[4:5], s[12:13], 1, v[2:3]
	s_cselect_b32 s12, s9, s11
	s_ashr_i32 s13, s12, 31
	s_add_i32 s9, s0, 0xfffff100
	s_cmp_lt_i32 s9, s10
	v_lshl_add_u64 v[6:7], s[12:13], 1, v[2:3]
	s_cselect_b32 s12, s9, s11
	s_ashr_i32 s13, s12, 31
	s_add_i32 s9, s0, 0xfffff140
	s_cmp_lt_i32 s9, s10
	v_lshl_add_u64 v[8:9], s[12:13], 1, v[2:3]
	s_cselect_b32 s12, s9, s11
	s_ashr_i32 s13, s12, 31
	s_add_i32 s9, s0, 0xfffff180
	s_cmp_lt_i32 s9, s10
	v_lshl_add_u64 v[10:11], s[12:13], 1, v[2:3]
	s_cselect_b32 s12, s9, s11
	s_ashr_i32 s13, s12, 31
	s_add_i32 s9, s0, 0xfffff1c0
	s_cmp_lt_i32 s9, s10
	v_lshl_add_u64 v[12:13], s[12:13], 1, v[2:3]
	s_cselect_b32 s12, s9, s11
	s_ashr_i32 s13, s12, 31
	s_add_i32 s9, s0, 0xfffff200
	s_cmp_lt_i32 s9, s10
	v_lshl_add_u64 v[14:15], s[12:13], 1, v[2:3]
	s_cselect_b32 s12, s9, s11
	s_ashr_i32 s13, s12, 31
	s_add_i32 s9, s0, 0xfffff240
	s_cmp_lt_i32 s9, s10
	v_lshl_add_u64 v[16:17], s[12:13], 1, v[2:3]
	s_cselect_b32 s12, s9, s11
	s_ashr_i32 s13, s12, 31
	s_add_i32 s9, s0, 0xfffff280
	s_cmp_lt_i32 s9, s10
	v_lshl_add_u64 v[28:29], s[12:13], 1, v[2:3]
	s_cselect_b32 s12, s9, s11
	s_ashr_i32 s13, s12, 31
	s_add_i32 s9, s0, 0xfffff2c0
	s_cmp_lt_i32 s9, s10
	v_lshl_add_u64 v[30:31], s[12:13], 1, v[2:3]
	s_cselect_b32 s12, s9, s11
	s_ashr_i32 s13, s12, 31
	s_add_i32 s9, s0, 0xfffff300
	s_cmp_lt_i32 s9, s10
	v_lshl_add_u64 v[46:47], s[12:13], 1, v[2:3]
	s_cselect_b32 s12, s9, s11
	s_ashr_i32 s13, s12, 31
	s_add_i32 s9, s0, 0xfffff340
	s_cmp_lt_i32 s9, s10
	v_lshl_add_u64 v[54:55], s[12:13], 1, v[2:3]
	s_cselect_b32 s12, s9, s11
	s_ashr_i32 s13, s12, 31
	s_add_i32 s9, s0, 0xfffff380
	s_cmp_lt_i32 s9, s10
	v_lshl_add_u64 v[56:57], s[12:13], 1, v[2:3]
	s_cselect_b32 s12, s9, s11
	s_ashr_i32 s13, s12, 31
	s_add_i32 s9, s0, 0xfffff3c0
	s_cmp_lt_i32 s9, s10
	v_lshl_add_u64 v[58:59], s[12:13], 1, v[2:3]
	s_cselect_b32 s12, s9, s11
	s_ashr_i32 s13, s12, 31
	s_add_i32 s9, s0, 0xfffff400
	s_cmp_lt_i32 s9, s10
	v_lshl_add_u64 v[60:61], s[12:13], 1, v[2:3]
	s_cselect_b32 s12, s9, s11
	s_ashr_i32 s13, s12, 31
	s_add_i32 s9, s0, 0xfffff440
	s_cmp_lt_i32 s9, s10
	v_lshl_add_u64 v[66:67], s[12:13], 1, v[2:3]
	s_cselect_b32 s12, s9, s11
	s_ashr_i32 s13, s12, 31
	s_add_i32 s9, s0, 0xfffff480
	s_cmp_lt_i32 s9, s10
	v_lshl_add_u64 v[62:63], s[12:13], 1, v[2:3]
	s_cselect_b32 s12, s9, s11
	s_ashr_i32 s13, s12, 31
	s_add_i32 s9, s0, 0xfffff4c0
	s_cmp_lt_i32 s9, s10
	global_load_ushort v111, v[44:45], off
	global_load_ushort v121, v[46:47], off
	v_lshl_add_u64 v[22:23], s[12:13], 1, v[2:3]
	s_cselect_b32 s12, s9, s11
	global_load_ushort v112, v[4:5], off
	global_load_ushort v113, v[6:7], off
	;; [unrolled: 1-line block ×7, first 2 shown]
	s_ashr_i32 s13, s12, 31
	s_add_i32 s9, s0, 0xfffff500
	s_cmp_lt_i32 s9, s10
	v_lshl_add_u64 v[24:25], s[12:13], 1, v[2:3]
	s_cselect_b32 s12, s9, s11
	s_ashr_i32 s13, s12, 31
	s_add_i32 s9, s0, 0xfffff540
	s_cmp_lt_i32 s9, s10
	v_lshl_add_u64 v[32:33], s[12:13], 1, v[2:3]
	s_cselect_b32 s12, s9, s11
	s_ashr_i32 s13, s12, 31
	s_add_i32 s9, s0, 0xfffff580
	s_cmp_lt_i32 s9, s10
	v_lshl_add_u64 v[48:49], s[12:13], 1, v[2:3]
	s_cselect_b32 s12, s9, s11
	s_ashr_i32 s13, s12, 31
	s_add_i32 s9, s0, 0xfffff5c0
	s_cmp_lt_i32 s9, s10
	global_load_ushort v119, v[28:29], off
	global_load_ushort v120, v[30:31], off
	v_lshl_add_u64 v[34:35], s[12:13], 1, v[2:3]
	s_cselect_b32 s12, s9, s11
	s_ashr_i32 s13, s12, 31
	s_add_i32 s9, s0, 0xfffff600
	s_cmp_lt_i32 s9, s10
	v_lshl_add_u64 v[36:37], s[12:13], 1, v[2:3]
	s_cselect_b32 s12, s9, s11
	s_ashr_i32 s13, s12, 31
	s_add_i32 s9, s0, 0xfffff640
	s_cmp_lt_i32 s9, s10
	v_lshl_add_u64 v[50:51], s[12:13], 1, v[2:3]
	s_cselect_b32 s12, s9, s11
	global_load_ushort v122, v[54:55], off
	global_load_ushort v123, v[56:57], off
	s_ashr_i32 s13, s12, 31
	global_load_ushort v58, v[58:59], off
	s_add_i32 s9, s0, 0xfffff680
	s_cmp_lt_i32 s9, s10
	v_lshl_add_u64 v[38:39], s[12:13], 1, v[2:3]
	s_cselect_b32 s12, s9, s11
	global_load_ushort v59, v[60:61], off
	s_ashr_i32 s13, s12, 31
	s_add_i32 s9, s0, 0xfffff6c0
	global_load_ushort v60, v[66:67], off
	global_load_ushort v61, v[62:63], off
	s_cmp_lt_i32 s9, s10
	v_lshl_add_u64 v[18:19], s[12:13], 1, v[2:3]
	s_cselect_b32 s12, s9, s11
	s_ashr_i32 s13, s12, 31
	s_add_i32 s9, s0, 0xfffff700
	s_cmp_lt_i32 s9, s10
	v_lshl_add_u64 v[20:21], s[12:13], 1, v[2:3]
	s_cselect_b32 s12, s9, s11
	s_ashr_i32 s13, s12, 31
	s_add_i32 s9, s0, 0xfffff740
	;; [unrolled: 5-line block ×3, first 2 shown]
	s_cmp_lt_i32 s9, s10
	v_lshl_add_u64 v[42:43], s[12:13], 1, v[2:3]
	s_cselect_b32 s12, s9, s11
	global_load_ushort v62, v[22:23], off
	s_ashr_i32 s13, s12, 31
	s_add_i32 s9, s0, 0xfffff7c0
	global_load_ushort v66, v[32:33], off
	global_load_ushort v124, v[34:35], off
	;; [unrolled: 1-line block ×4, first 2 shown]
	s_cmp_lt_i32 s9, s10
	v_lshl_add_u64 v[26:27], s[12:13], 1, v[2:3]
	s_cselect_b32 s12, s9, s11
	global_load_ushort v67, v[48:49], off
	s_ashr_i32 s13, s12, 31
	s_add_i32 s9, s0, 0xfffff800
	s_cmp_lt_i32 s9, s10
	v_lshl_add_u64 v[52:53], s[12:13], 1, v[2:3]
	s_cselect_b32 s12, s9, s11
	s_ashr_i32 s13, s12, 31
	s_add_i32 s9, s0, 0xfffff840
	s_cmp_lt_i32 s9, s10
	v_lshl_add_u64 v[64:65], s[12:13], 1, v[2:3]
	s_cselect_b32 s12, s9, s11
	s_ashr_i32 s13, s12, 31
	s_add_i32 s9, s0, 0xfffff880
	s_cmp_lt_i32 s9, s10
	v_mov_b32_e32 v125, s1
	v_lshl_add_u64 v[68:69], s[12:13], 1, v[2:3]
	s_cselect_b32 s12, s9, s11
	ds_read_b128 v[30:33], v125
	ds_read_b128 v[34:37], v125 offset:16
	global_load_ushort v50, v[50:51], off
	s_ashr_i32 s13, s12, 31
	s_add_i32 s9, s0, 0xfffff8c0
	s_cmp_lt_i32 s9, s10
	v_lshl_add_u64 v[70:71], s[12:13], 1, v[2:3]
	s_cselect_b32 s12, s9, s11
	ds_read_b128 v[46:49], v125 offset:32
	ds_read_b128 v[54:57], v125 offset:48
	global_load_ushort v38, v[38:39], off
	s_ashr_i32 s13, s12, 31
	s_add_i32 s9, s0, 0xfffff900
	s_cmp_lt_i32 s9, s10
	v_lshl_add_u64 v[72:73], s[12:13], 1, v[2:3]
	s_cselect_b32 s12, s9, s11
	global_load_ushort v39, v[18:19], off
	s_ashr_i32 s13, s12, 31
	global_load_ushort v26, v[26:27], off
	s_add_i32 s9, s0, 0xfffff940
	s_cmp_lt_i32 s9, s10
	v_lshl_add_u64 v[74:75], s[12:13], 1, v[2:3]
	s_cselect_b32 s12, s9, s11
	s_ashr_i32 s13, s12, 31
	s_add_i32 s9, s0, 0xfffff980
	s_cmp_lt_i32 s9, s10
	v_lshl_add_u64 v[76:77], s[12:13], 1, v[2:3]
	s_cselect_b32 s12, s9, s11
	s_ashr_i32 s13, s12, 31
	;; [unrolled: 5-line block ×5, first 2 shown]
	s_add_i32 s9, s0, 0xfffffa80
	s_cmp_lt_i32 s9, s10
	v_lshl_add_u64 v[84:85], s[12:13], 1, v[2:3]
	global_load_ushort v51, v[84:85], off
	s_cselect_b32 s12, s9, s11
	s_ashr_i32 s13, s12, 31
	s_add_i32 s9, s0, 0xfffffac0
	s_cmp_lt_i32 s9, s10
	v_lshl_add_u64 v[86:87], s[12:13], 1, v[2:3]
	s_cselect_b32 s12, s9, s11
	s_ashr_i32 s13, s12, 31
	s_add_i32 s9, s0, 0xfffffb00
	s_cmp_lt_i32 s9, s10
	v_lshl_add_u64 v[88:89], s[12:13], 1, v[2:3]
	;; [unrolled: 5-line block ×3, first 2 shown]
	s_cselect_b32 s12, s9, s11
	s_ashr_i32 s13, s12, 31
	s_add_i32 s9, s0, 0xfffffb80
	s_waitcnt vmcnt(27)
	v_lshlrev_b32_e32 v111, 16, v111
	s_cmp_lt_i32 s9, s10
	s_waitcnt lgkmcnt(3)
	v_fmac_f32_e32 v110, v30, v111
	s_waitcnt vmcnt(25)
	v_lshlrev_b32_e32 v30, 16, v112
	v_lshl_add_u64 v[92:93], s[12:13], 1, v[2:3]
	s_cselect_b32 s12, s9, s11
	v_fmac_f32_e32 v110, v31, v30
	s_waitcnt vmcnt(24)
	v_lshlrev_b32_e32 v30, 16, v113
	s_ashr_i32 s13, s12, 31
	s_add_i32 s9, s0, 0xfffffbc0
	v_fmac_f32_e32 v110, v32, v30
	s_waitcnt vmcnt(23)
	v_lshlrev_b32_e32 v30, 16, v114
	s_cmp_lt_i32 s9, s10
	v_fmac_f32_e32 v110, v33, v30
	s_waitcnt vmcnt(22)
	v_lshlrev_b32_e32 v18, 16, v115
	v_lshl_add_u64 v[94:95], s[12:13], 1, v[2:3]
	s_cselect_b32 s12, s9, s11
	s_waitcnt lgkmcnt(2)
	v_fmac_f32_e32 v110, v34, v18
	global_load_ushort v34, v[20:21], off
	s_ashr_i32 s13, s12, 31
	global_load_ushort v40, v[40:41], off
	s_add_i32 s9, s0, 0xfffffc00
	s_waitcnt vmcnt(23)
	v_lshlrev_b32_e32 v18, 16, v116
	s_cmp_lt_i32 s9, s10
	v_fmac_f32_e32 v110, v35, v18
	global_load_ushort v35, v[42:43], off
	global_load_ushort v27, v[52:53], off
	v_lshl_add_u64 v[96:97], s[12:13], 1, v[2:3]
	s_cselect_b32 s12, s9, s11
	s_ashr_i32 s13, s12, 31
	s_add_i32 s9, s0, 0xfffffc40
	s_cmp_lt_i32 s9, s10
	s_waitcnt vmcnt(24)
	v_lshlrev_b32_e32 v18, 16, v117
	v_lshl_add_u64 v[100:101], s[12:13], 1, v[2:3]
	s_cselect_b32 s12, s9, s11
	v_fmac_f32_e32 v110, v36, v18
	global_load_ushort v36, v[64:65], off
	s_waitcnt vmcnt(24)
	v_lshlrev_b32_e32 v18, 16, v118
	s_ashr_i32 s13, s12, 31
	s_add_i32 s9, s0, 0xfffffc80
	v_fmac_f32_e32 v110, v37, v18
	global_load_ushort v37, v[68:69], off
	s_waitcnt vmcnt(24)
	v_lshlrev_b32_e32 v18, 16, v119
	s_cmp_lt_i32 s9, s10
	s_waitcnt lgkmcnt(1)
	v_fmac_f32_e32 v110, v46, v18
	global_load_ushort v46, v[76:77], off
	s_waitcnt vmcnt(24)
	v_lshlrev_b32_e32 v18, 16, v120
	v_lshl_add_u64 v[102:103], s[12:13], 1, v[2:3]
	s_cselect_b32 s12, s9, s11
	v_fmac_f32_e32 v110, v47, v18
	v_lshlrev_b32_e32 v18, 16, v121
	s_ashr_i32 s13, s12, 31
	s_add_i32 s9, s0, 0xfffffcc0
	v_fmac_f32_e32 v110, v48, v18
	global_load_ushort v48, v[80:81], off
	global_load_ushort v41, v[70:71], off
	;; [unrolled: 1-line block ×5, first 2 shown]
	s_cmp_lt_i32 s9, s10
	v_lshl_add_u64 v[104:105], s[12:13], 1, v[2:3]
	s_cselect_b32 s12, s9, s11
	s_ashr_i32 s13, s12, 31
	s_add_i32 s9, s0, 0xfffffd00
	s_cmp_lt_i32 s9, s10
	s_waitcnt vmcnt(28)
	v_lshlrev_b32_e32 v18, 16, v122
	v_lshl_add_u64 v[106:107], s[12:13], 1, v[2:3]
	s_cselect_b32 s12, s9, s11
	v_fmac_f32_e32 v110, v49, v18
	global_load_ushort v49, v[82:83], off
	global_load_ushort v52, v[86:87], off
	s_waitcnt vmcnt(29)
	v_lshlrev_b32_e32 v18, 16, v123
	s_ashr_i32 s13, s12, 31
	s_add_i32 s9, s0, 0xfffffd40
	s_waitcnt lgkmcnt(0)
	v_fmac_f32_e32 v110, v54, v18
	global_load_ushort v54, v[88:89], off
	s_waitcnt vmcnt(29)
	v_lshlrev_b32_e32 v18, 16, v58
	s_cmp_lt_i32 s9, s10
	v_fmac_f32_e32 v110, v55, v18
	global_load_ushort v55, v[90:91], off
	s_waitcnt vmcnt(29)
	v_lshlrev_b32_e32 v18, 16, v59
	v_lshl_add_u64 v[98:99], s[12:13], 1, v[2:3]
	s_cselect_b32 s12, s9, s11
	v_fmac_f32_e32 v110, v56, v18
	s_waitcnt vmcnt(28)
	v_lshlrev_b32_e32 v18, 16, v60
	s_ashr_i32 s13, s12, 31
	s_add_i32 s9, s0, 0xfffffd80
	v_fmac_f32_e32 v110, v57, v18
	ds_read_b128 v[18:21], v125 offset:64
	ds_read_b128 v[30:33], v125 offset:80
	s_cmp_lt_i32 s9, s10
	v_lshl_add_u64 v[44:45], s[12:13], 1, v[2:3]
	s_cselect_b32 s12, s9, s11
	s_ashr_i32 s13, s12, 31
	s_add_i32 s9, s0, 0xfffffdc0
	s_cmp_lt_i32 s9, s10
	s_waitcnt vmcnt(27)
	v_lshlrev_b32_e32 v53, 16, v61
	v_lshl_add_u64 v[108:109], s[12:13], 1, v[2:3]
	s_cselect_b32 s12, s9, s11
	s_waitcnt lgkmcnt(1)
	v_fmac_f32_e32 v110, v18, v53
	global_load_ushort v53, v[92:93], off
	global_load_ushort v56, v[94:95], off
	;; [unrolled: 1-line block ×6, first 2 shown]
	s_ashr_i32 s13, s12, 31
	s_add_i32 s9, s0, 0xfffffe00
	s_cmp_lt_i32 s9, s10
	v_lshl_add_u64 v[4:5], s[12:13], 1, v[2:3]
	s_cselect_b32 s12, s9, s11
	s_ashr_i32 s13, s12, 31
	s_add_i32 s9, s0, 0xfffffe40
	s_cmp_lt_i32 s9, s10
	s_waitcnt vmcnt(32)
	v_lshlrev_b32_e32 v18, 16, v62
	v_lshl_add_u64 v[6:7], s[12:13], 1, v[2:3]
	s_cselect_b32 s12, s9, s11
	v_fmac_f32_e32 v110, v19, v18
	s_waitcnt vmcnt(28)
	v_lshlrev_b32_e32 v18, 16, v63
	s_ashr_i32 s13, s12, 31
	s_add_i32 s9, s0, 0xfffffe80
	v_fmac_f32_e32 v110, v20, v18
	v_lshlrev_b32_e32 v18, 16, v66
	s_cmp_lt_i32 s9, s10
	v_fmac_f32_e32 v110, v21, v18
	s_waitcnt vmcnt(27)
	v_lshlrev_b32_e32 v18, 16, v67
	v_lshl_add_u64 v[8:9], s[12:13], 1, v[2:3]
	s_cselect_b32 s12, s9, s11
	s_waitcnt lgkmcnt(0)
	v_fmac_f32_e32 v110, v30, v18
	global_load_ushort v30, v[106:107], off
	s_ashr_i32 s13, s12, 31
	s_add_i32 s9, s0, 0xfffffec0
	s_cmp_lt_i32 s9, s10
	global_load_ushort v61, v[98:99], off
	global_load_ushort v62, v[44:45], off
	;; [unrolled: 1-line block ×3, first 2 shown]
	v_lshl_add_u64 v[12:13], s[12:13], 1, v[2:3]
	s_cselect_b32 s12, s9, s11
	v_lshlrev_b32_e32 v18, 16, v124
	s_ashr_i32 s13, s12, 31
	s_add_i32 s9, s0, 0xffffff00
	v_fmac_f32_e32 v110, v31, v18
	v_lshlrev_b32_e32 v18, 16, v126
	s_cmp_lt_i32 s9, s10
	v_fmac_f32_e32 v110, v32, v18
	global_load_ushort v31, v[4:5], off
	global_load_ushort v32, v[6:7], off
	v_lshl_add_u64 v[10:11], s[12:13], 1, v[2:3]
	s_cselect_b32 s12, s9, s11
	s_ashr_i32 s13, s12, 31
	s_add_i32 s9, s0, 0xffffff40
	s_cmp_lt_i32 s9, s10
	s_waitcnt vmcnt(32)
	v_lshlrev_b32_e32 v4, 16, v50
	v_lshl_add_u64 v[16:17], s[12:13], 1, v[2:3]
	s_cselect_b32 s12, s9, s11
	v_fmac_f32_e32 v110, v33, v4
	ds_read_b128 v[4:7], v125 offset:96
	s_ashr_i32 s13, s12, 31
	s_add_i32 s9, s0, 0xffffff80
	s_cmp_lt_i32 s9, s10
	s_waitcnt vmcnt(31)
	v_lshlrev_b32_e32 v33, 16, v38
	global_load_ushort v38, v[8:9], off
	global_load_ushort v44, v[12:13], off
	v_lshl_add_u64 v[14:15], s[12:13], 1, v[2:3]
	s_cselect_b32 s12, s9, s11
	s_ashr_i32 s13, s12, 31
	s_sub_i32 s9, s0, 64
	s_cmp_lt_i32 s9, s10
	ds_read_b128 v[18:21], v125 offset:112
	s_waitcnt lgkmcnt(1)
	v_fmac_f32_e32 v110, v4, v33
	s_waitcnt vmcnt(32)
	v_lshlrev_b32_e32 v4, 16, v39
	global_load_ushort v33, v[10:11], off
	global_load_ushort v39, v[16:17], off
	v_lshl_add_u64 v[28:29], s[12:13], 1, v[2:3]
	s_cselect_b32 s12, s9, s11
	s_ashr_i32 s13, s12, 31
	s_cmp_lt_i32 s0, s10
	global_load_ushort v16, v[14:15], off
	global_load_ushort v17, v[28:29], off
	v_lshl_add_u64 v[22:23], s[12:13], 1, v[2:3]
	s_cselect_b32 s12, s0, s11
	s_ashr_i32 s13, s12, 31
	v_lshl_add_u64 v[24:25], s[12:13], 1, v[2:3]
	global_load_ushort v14, v[22:23], off
	global_load_ushort v15, v[24:25], off
	v_fmac_f32_e32 v110, v5, v4
	s_waitcnt vmcnt(35)
	v_lshlrev_b32_e32 v4, 16, v34
	v_fmac_f32_e32 v110, v6, v4
	s_waitcnt vmcnt(34)
	v_lshlrev_b32_e32 v4, 16, v40
	;; [unrolled: 3-line block ×3, first 2 shown]
	s_waitcnt lgkmcnt(0)
	v_fmac_f32_e32 v110, v18, v4
	v_lshlrev_b32_e32 v4, 16, v26
	v_fmac_f32_e32 v110, v19, v4
	s_waitcnt vmcnt(32)
	v_lshlrev_b32_e32 v4, 16, v27
	v_fmac_f32_e32 v110, v20, v4
	ds_read_b128 v[4:7], v125 offset:128
	s_waitcnt vmcnt(31)
	v_lshlrev_b32_e32 v8, 16, v36
	v_fmac_f32_e32 v110, v21, v8
	ds_read_b128 v[8:11], v125 offset:144
	s_waitcnt vmcnt(30)
	v_lshlrev_b32_e32 v12, 16, v37
	s_waitcnt lgkmcnt(1)
	v_fmac_f32_e32 v110, v4, v12
	s_waitcnt vmcnt(27)
	v_lshlrev_b32_e32 v4, 16, v41
	v_fmac_f32_e32 v110, v5, v4
	s_waitcnt vmcnt(26)
	v_lshlrev_b32_e32 v4, 16, v42
	;; [unrolled: 3-line block ×3, first 2 shown]
	v_fmac_f32_e32 v110, v7, v4
	v_lshlrev_b32_e32 v4, 16, v46
	s_waitcnt lgkmcnt(0)
	v_fmac_f32_e32 v110, v8, v4
	s_waitcnt vmcnt(24)
	v_lshlrev_b32_e32 v4, 16, v47
	v_fmac_f32_e32 v110, v9, v4
	v_lshlrev_b32_e32 v4, 16, v48
	v_fmac_f32_e32 v110, v10, v4
	ds_read_b128 v[4:7], v125 offset:160
	s_waitcnt vmcnt(23)
	v_lshlrev_b32_e32 v8, 16, v49
	v_fmac_f32_e32 v110, v11, v8
	ds_read_b128 v[8:11], v125 offset:176
	v_lshlrev_b32_e32 v12, 16, v51
	s_waitcnt lgkmcnt(1)
	v_fmac_f32_e32 v110, v4, v12
	s_waitcnt vmcnt(22)
	v_lshlrev_b32_e32 v4, 16, v52
	v_fmac_f32_e32 v110, v5, v4
	s_waitcnt vmcnt(21)
	v_lshlrev_b32_e32 v4, 16, v54
	;; [unrolled: 3-line block ×4, first 2 shown]
	s_waitcnt lgkmcnt(0)
	v_fmac_f32_e32 v110, v8, v4
	s_waitcnt vmcnt(18)
	v_lshlrev_b32_e32 v4, 16, v56
	v_fmac_f32_e32 v110, v9, v4
	s_waitcnt vmcnt(17)
	v_lshlrev_b32_e32 v4, 16, v57
	v_fmac_f32_e32 v110, v10, v4
	ds_read_b128 v[4:7], v125 offset:192
	s_waitcnt vmcnt(16)
	v_lshlrev_b32_e32 v8, 16, v58
	v_fmac_f32_e32 v110, v11, v8
	ds_read_b128 v[8:11], v125 offset:208
	s_waitcnt vmcnt(15)
	v_lshlrev_b32_e32 v12, 16, v59
	s_waitcnt lgkmcnt(1)
	v_fmac_f32_e32 v110, v4, v12
	s_waitcnt vmcnt(14)
	v_lshlrev_b32_e32 v4, 16, v60
	v_fmac_f32_e32 v110, v5, v4
	s_waitcnt vmcnt(13)
	v_lshlrev_b32_e32 v4, 16, v30
	;; [unrolled: 3-line block ×4, first 2 shown]
	v_lshlrev_b32_e32 v4, 16, v62
	s_waitcnt lgkmcnt(0)
	v_pk_mul_f32 v[4:5], v[8:9], v[4:5]
	s_waitcnt vmcnt(6)
	v_lshlrev_b32_e32 v13, 16, v44
	v_add_f32_e32 v4, v110, v4
	v_add_f32_e32 v6, v4, v5
	v_lshlrev_b32_e32 v5, 16, v32
	v_lshlrev_b32_e32 v4, 16, v31
	v_pk_mul_f32 v[8:9], v[10:11], v[4:5]
	v_lshlrev_b32_e32 v12, 16, v38
	v_add_f32_e32 v8, v6, v8
	ds_read_b128 v[4:7], v125 offset:224
	v_add_f32_e32 v18, v8, v9
	ds_read_b128 v[8:11], v125 offset:240
	s_waitcnt lgkmcnt(1)
	v_pk_mul_f32 v[4:5], v[4:5], v[12:13]
	s_nop 0
	v_add_f32_e32 v4, v18, v4
	v_add_f32_e32 v12, v4, v5
	s_waitcnt vmcnt(4)
	v_lshlrev_b32_e32 v5, 16, v39
	v_lshlrev_b32_e32 v4, 16, v33
	v_pk_mul_f32 v[4:5], v[6:7], v[4:5]
	s_nop 0
	v_add_f32_e32 v4, v12, v4
	v_add_f32_e32 v6, v4, v5
	s_waitcnt vmcnt(2)
	v_lshlrev_b32_e32 v5, 16, v17
	v_lshlrev_b32_e32 v4, 16, v16
	s_waitcnt lgkmcnt(0)
	v_pk_mul_f32 v[4:5], v[8:9], v[4:5]
	s_nop 0
	v_add_f32_e32 v4, v6, v4
	v_add_f32_e32 v6, v4, v5
	s_waitcnt vmcnt(0)
	v_lshlrev_b32_e32 v5, 16, v15
	v_lshlrev_b32_e32 v4, 16, v14
	v_pk_mul_f32 v[4:5], v[10:11], v[4:5]
	s_nop 0
	v_add_f32_e32 v4, v6, v4
	v_add_f32_e32 v110, v4, v5
	s_branch .LBB416_16
.LBB416_19:
	v_mov_b32_e32 v2, 0
	ds_read_b32 v2, v2 offset:3328
	s_cmp_lg_u64 s[6:7], 0
	s_cbranch_scc0 .LBB416_24
; %bb.20:
	s_load_dword s6, s[6:7], 0x0
	s_waitcnt lgkmcnt(0)
	v_div_scale_f32 v3, s[0:1], s6, s6, 1.0
	v_rcp_f32_e32 v4, v3
	v_div_scale_f32 v5, vcc, 1.0, s6, 1.0
	v_fma_f32 v6, -v3, v4, 1.0
	v_fmac_f32_e32 v4, v6, v4
	v_mul_f32_e32 v6, v5, v4
	v_fma_f32 v7, -v3, v6, v5
	v_fmac_f32_e32 v6, v7, v4
	v_fma_f32 v3, -v3, v6, v5
	v_div_fmas_f32 v3, v3, v4, v6
	v_div_fixup_f32 v3, v3, s6, 1.0
	s_andn2_b64 vcc, exec, s[44:45]
	s_cbranch_vccnz .LBB416_22
.LBB416_21:
	s_add_u32 s0, s34, s46
	s_addc_u32 s1, s35, s47
	s_load_dword s30, s[0:1], 0x0
	s_mov_b32 s31, 0
.LBB416_22:
	s_waitcnt lgkmcnt(0)
	v_add_f32_e32 v2, 0x358637bd, v2
	v_div_scale_f32 v4, s[0:1], v2, v2, 1.0
	v_rcp_f32_e32 v5, v4
	v_div_scale_f32 v6, vcc, 1.0, v2, 1.0
	s_mul_i32 s0, s3, s31
	v_fma_f32 v7, -v4, v5, 1.0
	v_fmac_f32_e32 v5, v7, v5
	v_mul_f32_e32 v7, v6, v5
	v_fma_f32 v8, -v4, v7, v6
	v_fmac_f32_e32 v7, v8, v5
	v_fma_f32 v4, -v4, v7, v6
	s_mul_hi_u32 s1, s3, s30
	v_div_fmas_f32 v4, v4, v5, v7
	s_add_i32 s1, s1, s0
	s_mul_i32 s0, s3, s30
	v_div_fixup_f32 v2, v4, v2, 1.0
	s_lshl_b64 s[0:1], s[0:1], 6
	v_mul_f32_e32 v2, v110, v2
	s_add_u32 s4, s4, s0
	s_mov_b32 s3, 0
	v_mul_f32_e32 v2, v2, v3
	s_addc_u32 s5, s5, s1
	s_lshl_b64 s[0:1], s[2:3], 6
	s_mov_b32 s2, 0x7f800000
	s_mov_b32 s3, 0x43700000
	v_mov_b32_e32 v3, 0xc3700000
	v_med3_f32 v3, v2, s3, v3
	v_cmp_nlg_f32_e64 vcc, |v2|, s2
	s_add_u32 s0, s4, s0
	s_addc_u32 s1, s5, s1
	v_cndmask_b32_e32 v2, v3, v2, vcc
	v_mov_b32_e32 v3, 0
	v_cvt_pk_fp8_f32 v3, v2, v2
	v_lshl_add_u64 v[0:1], s[0:1], 0, v[0:1]
	global_store_byte v[0:1], v3, off
	s_endpgm
.LBB416_23:
	s_mov_b64 s[6:7], 0
	s_branch .LBB416_2
.LBB416_24:
	v_mov_b32_e32 v3, 1.0
	s_andn2_b64 vcc, exec, s[44:45]
	s_cbranch_vccz .LBB416_21
	s_branch .LBB416_22
	.section	.rodata,"a",@progbits
	.p2align	6, 0x0
	.amdhsa_kernel _Z35paged_attention_ll4mi_reduce_kernelI14__hip_bfloat16hLi64ELi64ELi256ELi13EEvPT0_PKfS4_PKT_PKiS9_iS4_
		.amdhsa_group_segment_fixed_size 3332
		.amdhsa_private_segment_fixed_size 0
		.amdhsa_kernarg_size 320
		.amdhsa_user_sgpr_count 2
		.amdhsa_user_sgpr_dispatch_ptr 0
		.amdhsa_user_sgpr_queue_ptr 0
		.amdhsa_user_sgpr_kernarg_segment_ptr 1
		.amdhsa_user_sgpr_dispatch_id 0
		.amdhsa_user_sgpr_kernarg_preload_length 0
		.amdhsa_user_sgpr_kernarg_preload_offset 0
		.amdhsa_user_sgpr_private_segment_size 0
		.amdhsa_uses_dynamic_stack 0
		.amdhsa_enable_private_segment 0
		.amdhsa_system_sgpr_workgroup_id_x 1
		.amdhsa_system_sgpr_workgroup_id_y 1
		.amdhsa_system_sgpr_workgroup_id_z 0
		.amdhsa_system_sgpr_workgroup_info 0
		.amdhsa_system_vgpr_workitem_id 0
		.amdhsa_next_free_vgpr 127
		.amdhsa_next_free_sgpr 55
		.amdhsa_accum_offset 128
		.amdhsa_reserve_vcc 1
		.amdhsa_float_round_mode_32 0
		.amdhsa_float_round_mode_16_64 0
		.amdhsa_float_denorm_mode_32 3
		.amdhsa_float_denorm_mode_16_64 3
		.amdhsa_dx10_clamp 1
		.amdhsa_ieee_mode 1
		.amdhsa_fp16_overflow 0
		.amdhsa_tg_split 0
		.amdhsa_exception_fp_ieee_invalid_op 0
		.amdhsa_exception_fp_denorm_src 0
		.amdhsa_exception_fp_ieee_div_zero 0
		.amdhsa_exception_fp_ieee_overflow 0
		.amdhsa_exception_fp_ieee_underflow 0
		.amdhsa_exception_fp_ieee_inexact 0
		.amdhsa_exception_int_div_zero 0
	.end_amdhsa_kernel
	.section	.text._Z35paged_attention_ll4mi_reduce_kernelI14__hip_bfloat16hLi64ELi64ELi256ELi13EEvPT0_PKfS4_PKT_PKiS9_iS4_,"axG",@progbits,_Z35paged_attention_ll4mi_reduce_kernelI14__hip_bfloat16hLi64ELi64ELi256ELi13EEvPT0_PKfS4_PKT_PKiS9_iS4_,comdat
.Lfunc_end416:
	.size	_Z35paged_attention_ll4mi_reduce_kernelI14__hip_bfloat16hLi64ELi64ELi256ELi13EEvPT0_PKfS4_PKT_PKiS9_iS4_, .Lfunc_end416-_Z35paged_attention_ll4mi_reduce_kernelI14__hip_bfloat16hLi64ELi64ELi256ELi13EEvPT0_PKfS4_PKT_PKiS9_iS4_
                                        ; -- End function
	.section	.AMDGPU.csdata,"",@progbits
; Kernel info:
; codeLenInByte = 10332
; NumSgprs: 61
; NumVgprs: 127
; NumAgprs: 0
; TotalNumVgprs: 127
; ScratchSize: 0
; MemoryBound: 0
; FloatMode: 240
; IeeeMode: 1
; LDSByteSize: 3332 bytes/workgroup (compile time only)
; SGPRBlocks: 7
; VGPRBlocks: 15
; NumSGPRsForWavesPerEU: 61
; NumVGPRsForWavesPerEU: 127
; AccumOffset: 128
; Occupancy: 4
; WaveLimiterHint : 1
; COMPUTE_PGM_RSRC2:SCRATCH_EN: 0
; COMPUTE_PGM_RSRC2:USER_SGPR: 2
; COMPUTE_PGM_RSRC2:TRAP_HANDLER: 0
; COMPUTE_PGM_RSRC2:TGID_X_EN: 1
; COMPUTE_PGM_RSRC2:TGID_Y_EN: 1
; COMPUTE_PGM_RSRC2:TGID_Z_EN: 0
; COMPUTE_PGM_RSRC2:TIDIG_COMP_CNT: 0
; COMPUTE_PGM_RSRC3_GFX90A:ACCUM_OFFSET: 31
; COMPUTE_PGM_RSRC3_GFX90A:TG_SPLIT: 0
	.section	.text._Z35paged_attention_ll4mi_reduce_kernelI14__hip_bfloat16hLi64ELi64ELi256ELi14EEvPT0_PKfS4_PKT_PKiS9_iS4_,"axG",@progbits,_Z35paged_attention_ll4mi_reduce_kernelI14__hip_bfloat16hLi64ELi64ELi256ELi14EEvPT0_PKfS4_PKT_PKiS9_iS4_,comdat
	.protected	_Z35paged_attention_ll4mi_reduce_kernelI14__hip_bfloat16hLi64ELi64ELi256ELi14EEvPT0_PKfS4_PKT_PKiS9_iS4_ ; -- Begin function _Z35paged_attention_ll4mi_reduce_kernelI14__hip_bfloat16hLi64ELi64ELi256ELi14EEvPT0_PKfS4_PKT_PKiS9_iS4_
	.globl	_Z35paged_attention_ll4mi_reduce_kernelI14__hip_bfloat16hLi64ELi64ELi256ELi14EEvPT0_PKfS4_PKT_PKiS9_iS4_
	.p2align	8
	.type	_Z35paged_attention_ll4mi_reduce_kernelI14__hip_bfloat16hLi64ELi64ELi256ELi14EEvPT0_PKfS4_PKT_PKiS9_iS4_,@function
_Z35paged_attention_ll4mi_reduce_kernelI14__hip_bfloat16hLi64ELi64ELi256ELi14EEvPT0_PKfS4_PKT_PKiS9_iS4_: ; @_Z35paged_attention_ll4mi_reduce_kernelI14__hip_bfloat16hLi64ELi64ELi256ELi14EEvPT0_PKfS4_PKT_PKiS9_iS4_
; %bb.0:
	s_load_dwordx2 s[44:45], s[0:1], 0x28
	s_mov_b32 s34, s3
	s_mov_b64 s[4:5], 0
	s_waitcnt lgkmcnt(0)
	s_cmp_lg_u64 s[44:45], 0
	s_cselect_b64 s[46:47], -1, 0
	s_and_b64 vcc, exec, s[46:47]
	s_cbranch_vccz .LBB417_23
; %bb.1:
	s_add_i32 s6, s34, 1
	s_mov_b32 s7, 0
	s_lshl_b64 s[8:9], s[6:7], 2
	s_add_u32 s8, s44, s8
	s_mov_b32 s35, s7
	s_addc_u32 s9, s45, s9
	s_lshl_b64 s[6:7], s[34:35], 2
	s_add_u32 s6, s44, s6
	s_addc_u32 s7, s45, s7
	s_load_dword s3, s[8:9], 0x0
	s_load_dword s10, s[6:7], 0x0
	s_waitcnt lgkmcnt(0)
	s_sub_i32 s3, s3, s10
	s_cmp_eq_u32 s3, 1
	s_cselect_b64 s[6:7], -1, 0
	s_andn2_b64 vcc, exec, s[4:5]
	s_cbranch_vccnz .LBB417_3
.LBB417_2:
	s_mov_b32 s35, 0
	s_mov_b64 s[6:7], -1
.LBB417_3:
	s_andn2_b64 vcc, exec, s[6:7]
	s_cbranch_vccz .LBB417_5
; %bb.4:
	s_endpgm
.LBB417_5:
	s_load_dwordx4 s[36:39], s[0:1], 0x18
	s_load_dword s8, s[0:1], 0x30
	s_lshl_b64 s[48:49], s[34:35], 2
	v_cmp_lt_u32_e32 vcc, 63, v0
	s_waitcnt lgkmcnt(0)
	s_add_u32 s4, s38, s48
	s_addc_u32 s5, s39, s49
	s_load_dword s56, s[4:5], 0x0
	s_load_dword s3, s[0:1], 0x40
	s_mul_i32 s38, s2, s8
	s_mul_i32 s6, s34, s8
	s_waitcnt lgkmcnt(0)
	s_add_i32 s7, s56, 0xff
	s_ashr_i32 s4, s7, 31
	s_lshr_b32 s4, s4, 24
	s_add_i32 s7, s7, s4
	s_and_saveexec_b64 s[4:5], vcc
	s_xor_b64 s[4:5], exec, s[4:5]
	s_or_saveexec_b64 s[50:51], s[4:5]
	s_ashr_i32 s33, s7, 8
	v_mov_b32_e32 v1, s38
	s_mul_i32 s52, s6, s3
	s_xor_b64 exec, exec, s[50:51]
	s_cbranch_execz .LBB417_9
; %bb.6:
	s_add_i32 s4, s33, -1
	v_or_b32_e32 v3, 64, v0
	v_mov_b32_e32 v1, s4
	v_cmp_gt_u32_e64 s[26:27], s33, v3
	s_load_dwordx4 s[40:43], s[0:1], 0x8
	s_mov_b32 s53, 0
	v_cndmask_b32_e64 v4, v1, v3, s[26:27]
	v_or_b32_e32 v3, 0x80, v0
	v_cmp_gt_u32_e64 s[24:25], s33, v3
	s_lshl_b64 s[54:55], s[52:53], 2
	s_mov_b32 s39, s53
	v_cndmask_b32_e64 v6, v1, v3, s[24:25]
	v_or_b32_e32 v3, 0xc0, v0
	v_cmp_gt_u32_e64 s[22:23], s33, v3
	v_cmp_gt_u32_e64 s[28:29], s33, v0
	s_waitcnt lgkmcnt(0)
	s_add_u32 s30, s42, s54
	v_cndmask_b32_e64 v8, v1, v3, s[22:23]
	v_or_b32_e32 v3, 0x100, v0
	v_cmp_gt_u32_e64 s[20:21], s33, v3
	v_cndmask_b32_e64 v2, v1, v0, s[28:29]
	s_addc_u32 s31, s43, s55
	v_cndmask_b32_e64 v10, v1, v3, s[20:21]
	v_or_b32_e32 v3, 0x140, v0
	v_cmp_gt_u32_e64 s[18:19], s33, v3
	s_lshl_b64 s[42:43], s[38:39], 2
	s_add_u32 s30, s30, s42
	v_cndmask_b32_e64 v12, v1, v3, s[18:19]
	v_or_b32_e32 v3, 0x180, v0
	v_cmp_gt_u32_e64 s[16:17], s33, v3
	s_addc_u32 s31, s31, s43
	v_ashrrev_i32_e32 v5, 31, v4
	v_cndmask_b32_e64 v14, v1, v3, s[16:17]
	v_or_b32_e32 v3, 0x1c0, v0
	v_cmp_gt_u32_e64 s[14:15], s33, v3
	v_ashrrev_i32_e32 v15, 31, v14
	v_ashrrev_i32_e32 v7, 31, v6
	v_cndmask_b32_e64 v16, v1, v3, s[14:15]
	v_or_b32_e32 v3, 0x200, v0
	v_cmp_gt_u32_e64 s[12:13], s33, v3
	v_ashrrev_i32_e32 v9, 31, v8
	;; [unrolled: 5-line block ×3, first 2 shown]
	v_lshlrev_b64 v[14:15], 2, v[14:15]
	v_cndmask_b32_e64 v20, v1, v3, s[10:11]
	v_or_b32_e32 v3, 0x280, v0
	v_cmp_gt_u32_e64 s[8:9], s33, v3
	v_ashrrev_i32_e32 v17, 31, v16
	v_lshlrev_b64 v[4:5], 2, v[4:5]
	v_cndmask_b32_e64 v22, v1, v3, s[8:9]
	v_or_b32_e32 v3, 0x2c0, v0
	v_cmp_gt_u32_e64 s[6:7], s33, v3
	v_lshlrev_b64 v[6:7], 2, v[6:7]
	v_lshlrev_b64 v[8:9], 2, v[8:9]
	v_cndmask_b32_e64 v24, v1, v3, s[6:7]
	v_or_b32_e32 v3, 0x300, v0
	v_cmp_gt_u32_e64 s[4:5], s33, v3
	v_lshlrev_b64 v[10:11], 2, v[10:11]
	v_lshlrev_b64 v[12:13], 2, v[12:13]
	v_cndmask_b32_e64 v26, v1, v3, s[4:5]
	v_or_b32_e32 v3, 0x340, v0
	v_cmp_gt_u32_e32 vcc, s33, v3
	v_lshl_add_u64 v[42:43], s[30:31], 0, v[14:15]
	v_lshlrev_b64 v[16:17], 2, v[16:17]
	v_cndmask_b32_e32 v28, v1, v3, vcc
	v_ashrrev_i32_e32 v3, 31, v2
	v_lshlrev_b64 v[2:3], 2, v[2:3]
	v_lshl_add_u64 v[30:31], s[30:31], 0, v[2:3]
	v_lshl_add_u64 v[32:33], s[30:31], 0, v[4:5]
	v_lshl_add_u64 v[34:35], s[30:31], 0, v[6:7]
	v_lshl_add_u64 v[36:37], s[30:31], 0, v[8:9]
	v_lshl_add_u64 v[38:39], s[30:31], 0, v[10:11]
	v_lshl_add_u64 v[40:41], s[30:31], 0, v[12:13]
	v_lshl_add_u64 v[44:45], s[30:31], 0, v[16:17]
	global_load_dword v1, v[30:31], off
	global_load_dword v46, v[32:33], off
	global_load_dword v47, v[34:35], off
	global_load_dword v48, v[36:37], off
	global_load_dword v49, v[38:39], off
	global_load_dword v50, v[40:41], off
	s_nop 0
	global_load_dword v42, v[42:43], off
	s_nop 0
	global_load_dword v43, v[44:45], off
	v_ashrrev_i32_e32 v19, 31, v18
	v_ashrrev_i32_e32 v21, 31, v20
	;; [unrolled: 1-line block ×3, first 2 shown]
	v_lshlrev_b64 v[18:19], 2, v[18:19]
	v_lshlrev_b64 v[20:21], 2, v[20:21]
	;; [unrolled: 1-line block ×3, first 2 shown]
	v_ashrrev_i32_e32 v25, 31, v24
	v_ashrrev_i32_e32 v27, 31, v26
	;; [unrolled: 1-line block ×3, first 2 shown]
	v_lshl_add_u64 v[30:31], s[30:31], 0, v[18:19]
	v_lshl_add_u64 v[32:33], s[30:31], 0, v[20:21]
	;; [unrolled: 1-line block ×3, first 2 shown]
	v_lshlrev_b64 v[24:25], 2, v[24:25]
	v_lshlrev_b64 v[26:27], 2, v[26:27]
	v_lshlrev_b64 v[28:29], 2, v[28:29]
	v_lshl_add_u64 v[36:37], s[30:31], 0, v[24:25]
	v_lshl_add_u64 v[38:39], s[30:31], 0, v[26:27]
	v_lshl_add_u64 v[40:41], s[30:31], 0, v[28:29]
	global_load_dword v30, v[30:31], off
	s_nop 0
	global_load_dword v31, v[32:33], off
	s_nop 0
	global_load_dword v32, v[34:35], off
	global_load_dword v33, v[36:37], off
	s_nop 0
	global_load_dword v34, v[38:39], off
	global_load_dword v35, v[40:41], off
	s_mov_b32 s39, 0x3fb8aa3b
	s_waitcnt vmcnt(13)
	v_max_f32_e32 v37, v1, v1
	s_waitcnt vmcnt(12)
	v_max_f32_e32 v36, v46, v46
	v_max_f32_e32 v36, v37, v36
	v_mbcnt_lo_u32_b32 v37, -1, 0
	s_waitcnt vmcnt(10)
	v_max3_f32 v36, v36, v47, v48
	v_mbcnt_hi_u32_b32 v37, -1, v37
	s_waitcnt vmcnt(8)
	v_max3_f32 v36, v36, v49, v50
	v_and_b32_e32 v38, 64, v37
	s_waitcnt vmcnt(6)
	v_max3_f32 v36, v36, v42, v43
	v_add_u32_e32 v38, 64, v38
	v_xor_b32_e32 v39, 32, v37
	v_cmp_lt_i32_e64 s[30:31], v39, v38
	s_waitcnt vmcnt(4)
	v_max3_f32 v36, v36, v30, v31
	v_cndmask_b32_e64 v39, v37, v39, s[30:31]
	s_waitcnt vmcnt(2)
	v_max3_f32 v36, v36, v32, v33
	v_lshlrev_b32_e32 v39, 2, v39
	s_waitcnt vmcnt(0)
	v_max3_f32 v36, v36, v34, v35
	ds_bpermute_b32 v40, v39, v36
	s_waitcnt lgkmcnt(0)
	v_max_f32_e32 v40, v40, v40
	v_max_f32_e32 v36, v36, v40
	v_xor_b32_e32 v40, 16, v37
	v_cmp_lt_i32_e64 s[30:31], v40, v38
	s_nop 1
	v_cndmask_b32_e64 v40, v37, v40, s[30:31]
	v_lshlrev_b32_e32 v40, 2, v40
	ds_bpermute_b32 v41, v40, v36
	s_waitcnt lgkmcnt(0)
	v_max_f32_e32 v41, v41, v41
	v_max_f32_e32 v36, v36, v41
	v_xor_b32_e32 v41, 8, v37
	v_cmp_lt_i32_e64 s[30:31], v41, v38
	s_nop 1
	v_cndmask_b32_e64 v41, v37, v41, s[30:31]
	v_lshlrev_b32_e32 v41, 2, v41
	ds_bpermute_b32 v44, v41, v36
	s_add_u32 s30, s40, s54
	s_addc_u32 s31, s41, s55
	s_add_u32 s40, s30, s42
	s_addc_u32 s41, s31, s43
	s_waitcnt lgkmcnt(0)
	v_max_f32_e32 v44, v44, v44
	v_max_f32_e32 v36, v36, v44
	v_xor_b32_e32 v44, 4, v37
	v_lshl_add_u64 v[2:3], s[40:41], 0, v[2:3]
	v_cmp_lt_i32_e64 s[30:31], v44, v38
	global_load_dword v45, v[2:3], off
	s_nop 0
	v_cndmask_b32_e64 v2, v37, v44, s[30:31]
	v_lshlrev_b32_e32 v44, 2, v2
	ds_bpermute_b32 v2, v44, v36
	s_waitcnt lgkmcnt(0)
	v_max_f32_e32 v2, v2, v2
	v_max_f32_e32 v36, v36, v2
	v_xor_b32_e32 v2, 2, v37
	v_cmp_lt_i32_e64 s[30:31], v2, v38
	s_nop 1
	v_cndmask_b32_e64 v2, v37, v2, s[30:31]
	v_lshlrev_b32_e32 v51, 2, v2
	ds_bpermute_b32 v52, v51, v36
	v_lshl_add_u64 v[2:3], s[40:41], 0, v[4:5]
	global_load_dword v53, v[2:3], off
	v_lshl_add_u64 v[4:5], s[40:41], 0, v[8:9]
	v_lshl_add_u64 v[8:9], s[40:41], 0, v[12:13]
	s_waitcnt lgkmcnt(0)
	v_max_f32_e32 v2, v52, v52
	v_max_f32_e32 v36, v36, v2
	v_xor_b32_e32 v2, 1, v37
	v_cmp_lt_i32_e64 s[30:31], v2, v38
	v_lshl_add_u64 v[12:13], s[40:41], 0, v[16:17]
	s_nop 0
	v_cndmask_b32_e64 v2, v37, v2, s[30:31]
	v_lshlrev_b32_e32 v37, 2, v2
	v_lshl_add_u64 v[2:3], s[40:41], 0, v[6:7]
	v_lshl_add_u64 v[6:7], s[40:41], 0, v[10:11]
	;; [unrolled: 1-line block ×3, first 2 shown]
	global_load_dword v14, v[2:3], off
	global_load_dword v15, v[4:5], off
	global_load_dword v16, v[6:7], off
	global_load_dword v17, v[8:9], off
	global_load_dword v52, v[10:11], off
	global_load_dword v54, v[12:13], off
	ds_bpermute_b32 v38, v37, v36
	v_lshl_add_u64 v[2:3], s[40:41], 0, v[18:19]
	v_lshl_add_u64 v[4:5], s[40:41], 0, v[20:21]
	;; [unrolled: 1-line block ×4, first 2 shown]
	s_waitcnt lgkmcnt(0)
	v_max_f32_e32 v18, v38, v38
	v_max_f32_e32 v18, v36, v18
	v_sub_f32_e32 v1, v1, v18
	v_mul_f32_e32 v19, 0x3fb8aa3b, v1
	v_fma_f32 v20, v1, s39, -v19
	v_rndne_f32_e32 v21, v19
	v_fmac_f32_e32 v20, 0x32a5705f, v1
	v_sub_f32_e32 v19, v19, v21
	v_lshl_add_u64 v[10:11], s[40:41], 0, v[26:27]
	v_lshl_add_u64 v[12:13], s[40:41], 0, v[28:29]
	v_add_f32_e32 v19, v19, v20
	v_cvt_i32_f32_e32 v20, v21
	global_load_dword v2, v[2:3], off
	s_nop 0
	global_load_dword v3, v[4:5], off
	global_load_dword v21, v[6:7], off
	;; [unrolled: 1-line block ×5, first 2 shown]
	v_sub_f32_e32 v6, v46, v18
	v_mul_f32_e32 v7, 0x3fb8aa3b, v6
	v_fma_f32 v8, v6, s39, -v7
	v_rndne_f32_e32 v9, v7
	v_exp_f32_e32 v19, v19
	v_fmac_f32_e32 v8, 0x32a5705f, v6
	v_sub_f32_e32 v7, v7, v9
	v_add_f32_e32 v7, v7, v8
	v_exp_f32_e32 v7, v7
	v_cvt_i32_f32_e32 v8, v9
	s_mov_b32 s40, 0xc2ce8ed0
	v_ldexp_f32 v4, v19, v20
	v_cmp_ngt_f32_e64 s[30:31], s40, v1
	s_mov_b32 s41, 0x42b17218
	v_mov_b32_e32 v5, 0x7f800000
	v_cndmask_b32_e64 v4, 0, v4, s[30:31]
	v_cmp_nlt_f32_e64 s[30:31], s41, v1
	s_nop 1
	v_cndmask_b32_e64 v1, v5, v4, s[30:31]
	v_ldexp_f32 v4, v7, v8
	v_sub_f32_e32 v7, v47, v18
	v_mul_f32_e32 v8, 0x3fb8aa3b, v7
	v_fma_f32 v9, v7, s39, -v8
	v_rndne_f32_e32 v10, v8
	v_fmac_f32_e32 v9, 0x32a5705f, v7
	v_sub_f32_e32 v8, v8, v10
	v_add_f32_e32 v8, v8, v9
	v_exp_f32_e32 v8, v8
	v_cvt_i32_f32_e32 v9, v10
	v_cndmask_b32_e64 v1, 0, v1, s[28:29]
	v_cmp_ngt_f32_e64 s[28:29], s40, v6
	s_waitcnt vmcnt(13)
	v_mul_f32_e32 v1, v45, v1
	v_cndmask_b32_e64 v4, 0, v4, s[28:29]
	v_cmp_nlt_f32_e64 s[28:29], s41, v6
	v_ldexp_f32 v6, v8, v9
	v_sub_f32_e32 v8, v48, v18
	v_mul_f32_e32 v9, 0x3fb8aa3b, v8
	v_fma_f32 v10, v8, s39, -v9
	v_rndne_f32_e32 v11, v9
	v_fmac_f32_e32 v10, 0x32a5705f, v8
	v_sub_f32_e32 v9, v9, v11
	v_add_f32_e32 v9, v9, v10
	v_exp_f32_e32 v9, v9
	v_cvt_i32_f32_e32 v10, v11
	v_cndmask_b32_e64 v4, v5, v4, s[28:29]
	v_cndmask_b32_e64 v4, 0, v4, s[26:27]
	v_cmp_ngt_f32_e64 s[26:27], s40, v7
	s_waitcnt vmcnt(12)
	v_mul_f32_e32 v4, v53, v4
	v_cndmask_b32_e64 v6, 0, v6, s[26:27]
	v_cmp_nlt_f32_e64 s[26:27], s41, v7
	v_ldexp_f32 v7, v9, v10
	v_sub_f32_e32 v9, v49, v18
	v_mul_f32_e32 v10, 0x3fb8aa3b, v9
	v_fma_f32 v11, v9, s39, -v10
	v_rndne_f32_e32 v12, v10
	v_fmac_f32_e32 v11, 0x32a5705f, v9
	v_sub_f32_e32 v10, v10, v12
	v_add_f32_e32 v10, v10, v11
	v_exp_f32_e32 v10, v10
	v_cvt_i32_f32_e32 v11, v12
	v_cndmask_b32_e64 v6, v5, v6, s[26:27]
	;; [unrolled: 17-line block ×6, first 2 shown]
	v_cndmask_b32_e64 v10, 0, v10, s[16:17]
	v_cmp_ngt_f32_e64 s[16:17], s40, v12
	s_waitcnt vmcnt(7)
	v_mul_f32_e32 v10, v52, v10
	v_cndmask_b32_e64 v11, 0, v11, s[16:17]
	v_cmp_nlt_f32_e64 s[16:17], s41, v12
	v_ldexp_f32 v12, v14, v15
	v_sub_f32_e32 v14, v31, v18
	v_mul_f32_e32 v15, 0x3fb8aa3b, v14
	v_fma_f32 v16, v14, s39, -v15
	v_rndne_f32_e32 v17, v15
	v_fmac_f32_e32 v16, 0x32a5705f, v14
	v_sub_f32_e32 v15, v15, v17
	v_cndmask_b32_e64 v11, v5, v11, s[16:17]
	v_add_f32_e32 v15, v15, v16
	v_cndmask_b32_e64 v11, 0, v11, s[14:15]
	v_cmp_ngt_f32_e64 s[14:15], s40, v13
	v_exp_f32_e32 v15, v15
	v_cvt_i32_f32_e32 v16, v17
	v_cndmask_b32_e64 v12, 0, v12, s[14:15]
	v_cmp_nlt_f32_e64 s[14:15], s41, v13
	v_sub_f32_e32 v13, v32, v18
	s_waitcnt vmcnt(6)
	v_mul_f32_e32 v11, v54, v11
	v_cndmask_b32_e64 v12, v5, v12, s[14:15]
	v_cndmask_b32_e64 v12, 0, v12, s[12:13]
	s_waitcnt vmcnt(5)
	v_mul_f32_e32 v12, v2, v12
	v_ldexp_f32 v2, v15, v16
	v_mul_f32_e32 v15, 0x3fb8aa3b, v13
	v_fma_f32 v16, v13, s39, -v15
	v_rndne_f32_e32 v17, v15
	v_fmac_f32_e32 v16, 0x32a5705f, v13
	v_sub_f32_e32 v15, v15, v17
	v_add_f32_e32 v15, v15, v16
	v_cmp_ngt_f32_e64 s[12:13], s40, v14
	v_exp_f32_e32 v15, v15
	v_cvt_i32_f32_e32 v16, v17
	v_cndmask_b32_e64 v2, 0, v2, s[12:13]
	v_cmp_nlt_f32_e64 s[12:13], s41, v14
	v_sub_f32_e32 v14, v33, v18
	s_nop 0
	v_cndmask_b32_e64 v2, v5, v2, s[12:13]
	v_cndmask_b32_e64 v2, 0, v2, s[10:11]
	s_waitcnt vmcnt(4)
	v_mul_f32_e32 v3, v3, v2
	v_ldexp_f32 v2, v15, v16
	v_mul_f32_e32 v15, 0x3fb8aa3b, v14
	v_fma_f32 v16, v14, s39, -v15
	v_rndne_f32_e32 v17, v15
	v_fmac_f32_e32 v16, 0x32a5705f, v14
	v_sub_f32_e32 v15, v15, v17
	v_add_f32_e32 v15, v15, v16
	v_cmp_ngt_f32_e64 s[10:11], s40, v13
	v_exp_f32_e32 v15, v15
	v_cvt_i32_f32_e32 v16, v17
	v_cndmask_b32_e64 v2, 0, v2, s[10:11]
	v_cmp_nlt_f32_e64 s[10:11], s41, v13
	s_nop 1
	v_cndmask_b32_e64 v2, v5, v2, s[10:11]
	v_cndmask_b32_e64 v2, 0, v2, s[8:9]
	s_waitcnt vmcnt(3)
	v_mul_f32_e32 v13, v21, v2
	v_ldexp_f32 v2, v15, v16
	v_sub_f32_e32 v15, v34, v18
	v_mul_f32_e32 v16, 0x3fb8aa3b, v15
	v_fma_f32 v17, v15, s39, -v16
	v_rndne_f32_e32 v19, v16
	v_fmac_f32_e32 v17, 0x32a5705f, v15
	v_sub_f32_e32 v16, v16, v19
	v_add_f32_e32 v16, v16, v17
	v_exp_f32_e32 v16, v16
	v_cvt_i32_f32_e32 v17, v19
	v_cmp_ngt_f32_e64 s[8:9], s40, v14
	s_nop 1
	v_cndmask_b32_e64 v2, 0, v2, s[8:9]
	v_cmp_nlt_f32_e64 s[8:9], s41, v14
	v_ldexp_f32 v14, v16, v17
	v_sub_f32_e32 v16, v35, v18
	v_mul_f32_e32 v17, 0x3fb8aa3b, v16
	v_fma_f32 v18, v16, s39, -v17
	v_rndne_f32_e32 v19, v17
	v_fmac_f32_e32 v18, 0x32a5705f, v16
	v_sub_f32_e32 v17, v17, v19
	v_add_f32_e32 v17, v17, v18
	v_cndmask_b32_e64 v2, v5, v2, s[8:9]
	v_exp_f32_e32 v17, v17
	v_cvt_i32_f32_e32 v18, v19
	v_cndmask_b32_e64 v2, 0, v2, s[6:7]
	v_cmp_ngt_f32_e64 s[6:7], s40, v15
	s_nop 1
	v_cndmask_b32_e64 v14, 0, v14, s[6:7]
	v_cmp_nlt_f32_e64 s[6:7], s41, v15
	v_ldexp_f32 v15, v17, v18
	s_waitcnt vmcnt(2)
	v_mul_f32_e32 v17, v22, v2
	v_cndmask_b32_e64 v14, v5, v14, s[6:7]
	v_cndmask_b32_e64 v14, 0, v14, s[4:5]
	v_cmp_ngt_f32_e64 s[4:5], s40, v16
	v_lshlrev_b32_e32 v18, 2, v0
	ds_write2st64_b32 v18, v1, v4 offset1:1
	ds_write2st64_b32 v18, v6, v7 offset0:2 offset1:3
	ds_write2st64_b32 v18, v8, v9 offset0:4 offset1:5
	;; [unrolled: 1-line block ×3, first 2 shown]
	v_cndmask_b32_e64 v15, 0, v15, s[4:5]
	v_cmp_nlt_f32_e64 s[4:5], s41, v16
	s_nop 1
	v_cndmask_b32_e64 v5, v5, v15, s[4:5]
	v_add_f32_e32 v15, v1, v4
	v_add_f32_e32 v15, v15, v6
	;; [unrolled: 1-line block ×10, first 2 shown]
	v_fmac_f32_e32 v15, v22, v2
	v_cndmask_b32_e32 v5, 0, v5, vcc
	s_waitcnt vmcnt(1)
	v_fmac_f32_e32 v15, v23, v14
	s_waitcnt vmcnt(0)
	v_fmac_f32_e32 v15, v24, v5
	ds_bpermute_b32 v16, v39, v15
	v_cmp_eq_u32_e32 vcc, 0, v0
	v_mul_f32_e32 v14, v23, v14
	v_mul_f32_e32 v5, v24, v5
	ds_write2st64_b32 v18, v12, v3 offset0:8 offset1:9
	ds_write2st64_b32 v18, v13, v17 offset0:10 offset1:11
	;; [unrolled: 1-line block ×3, first 2 shown]
	s_waitcnt lgkmcnt(3)
	v_add_f32_e32 v15, v15, v16
	ds_bpermute_b32 v16, v40, v15
	s_waitcnt lgkmcnt(0)
	v_add_f32_e32 v15, v15, v16
	ds_bpermute_b32 v16, v41, v15
	s_waitcnt lgkmcnt(0)
	v_add_f32_e32 v15, v15, v16
	ds_bpermute_b32 v16, v44, v15
	s_waitcnt lgkmcnt(0)
	v_add_f32_e32 v2, v15, v16
	ds_bpermute_b32 v15, v51, v2
	s_waitcnt lgkmcnt(0)
	v_add_f32_e32 v1, v2, v15
	ds_bpermute_b32 v2, v37, v1
	s_and_saveexec_b64 s[4:5], vcc
	s_cbranch_execz .LBB417_8
; %bb.7:
	s_waitcnt lgkmcnt(0)
	v_add_f32_e32 v1, v1, v2
	v_mov_b32_e32 v2, 0
	ds_write_b32 v2, v1 offset:3584
.LBB417_8:
	s_or_b64 exec, exec, s[4:5]
	v_mov_b32_e32 v1, s38
.LBB417_9:
	s_or_b64 exec, exec, s[50:51]
	s_lshl_b32 s4, s52, 6
	s_mov_b32 s5, 0
	s_lshl_b64 s[4:5], s[4:5], 1
	s_add_u32 s4, s36, s4
	s_addc_u32 s5, s37, s5
	s_lshl_b32 s10, s33, 6
	s_waitcnt lgkmcnt(0)
	v_lshlrev_b32_e32 v2, 6, v1
	v_mov_b32_e32 v1, 0
	s_sub_i32 s11, s10, 64
	v_mov_b32_e32 v3, v1
	s_cmp_lt_i32 s56, 1
	v_lshl_add_u64 v[2:3], v[2:3], 1, s[4:5]
	s_cselect_b32 s4, s11, 0
	v_lshlrev_b32_e32 v4, 1, v0
	v_mov_b32_e32 v5, v1
	s_ashr_i32 s5, s4, 31
	v_lshl_add_u64 v[2:3], v[2:3], 0, v[4:5]
	s_cmpk_lt_i32 s56, 0x101
	v_lshl_add_u64 v[4:5], s[4:5], 1, v[2:3]
	s_cselect_b32 s4, s11, 64
	s_ashr_i32 s5, s4, 31
	s_cmpk_lt_i32 s56, 0x201
	v_lshl_add_u64 v[6:7], s[4:5], 1, v[2:3]
	s_cselect_b32 s4, s11, 0x80
	s_ashr_i32 s5, s4, 31
	;; [unrolled: 4-line block ×8, first 2 shown]
	s_cmpk_lt_i32 s56, 0x901
	global_load_ushort v23, v[4:5], off
	global_load_ushort v22, v[6:7], off
	;; [unrolled: 1-line block ×8, first 2 shown]
	v_lshl_add_u64 v[4:5], s[4:5], 1, v[2:3]
	s_cselect_b32 s4, s11, 0x240
	s_ashr_i32 s5, s4, 31
	s_cmpk_lt_i32 s56, 0xa01
	v_lshl_add_u64 v[6:7], s[4:5], 1, v[2:3]
	s_cselect_b32 s4, s11, 0x280
	s_ashr_i32 s5, s4, 31
	s_cmpk_lt_i32 s56, 0xb01
	v_lshl_add_u64 v[8:9], s[4:5], 1, v[2:3]
	s_cselect_b32 s4, s11, 0x2c0
	s_ashr_i32 s5, s4, 31
	s_cmpk_lt_i32 s56, 0xc01
	v_lshl_add_u64 v[10:11], s[4:5], 1, v[2:3]
	s_cselect_b32 s4, s11, 0x300
	s_ashr_i32 s5, s4, 31
	s_cmpk_lt_i32 s56, 0xd01
	v_lshl_add_u64 v[12:13], s[4:5], 1, v[2:3]
	s_cselect_b32 s4, s11, 0x340
	s_ashr_i32 s5, s4, 31
	s_cmpk_lt_i32 s56, 0xe01
	v_lshl_add_u64 v[14:15], s[4:5], 1, v[2:3]
	s_cselect_b32 s4, s11, 0x380
	s_ashr_i32 s5, s4, 31
	s_cmpk_lt_i32 s56, 0xf01
	v_lshl_add_u64 v[32:33], s[4:5], 1, v[2:3]
	s_cselect_b32 s4, s11, 0x3c0
	s_ashr_i32 s5, s4, 31
	v_lshl_add_u64 v[34:35], s[4:5], 1, v[2:3]
	global_load_ushort v30, v[4:5], off
	global_load_ushort v31, v[6:7], off
	;; [unrolled: 1-line block ×8, first 2 shown]
	s_cmpk_gt_i32 s56, 0x1000
	s_cselect_b64 s[8:9], -1, 0
	s_cmpk_lt_i32 s56, 0x1001
	v_mov_b32_e32 v40, 0
	v_mov_b32_e32 v41, 0
	;; [unrolled: 1-line block ×48, first 2 shown]
	s_waitcnt lgkmcnt(0)
	; wave barrier
	s_cbranch_scc1 .LBB417_12
; %bb.10:
	s_cmpk_lt_u32 s56, 0x1101
	s_cselect_b32 s4, s11, 0x440
	s_ashr_i32 s5, s4, 31
	s_cmpk_lt_u32 s56, 0x1201
	v_lshl_add_u64 v[4:5], s[4:5], 1, v[2:3]
	s_cselect_b32 s4, s11, 0x480
	s_ashr_i32 s5, s4, 31
	s_cmpk_lt_u32 s56, 0x1301
	v_lshl_add_u64 v[6:7], s[4:5], 1, v[2:3]
	;; [unrolled: 4-line block ×7, first 2 shown]
	s_cselect_b32 s4, s11, 0x600
	s_ashr_i32 s5, s4, 31
	s_cmpk_lt_u32 s56, 0x1901
	global_load_ushort v39, v[2:3], off offset:2048
	global_load_ushort v38, v[4:5], off
	global_load_ushort v37, v[6:7], off
	;; [unrolled: 1-line block ×7, first 2 shown]
	v_lshl_add_u64 v[4:5], s[4:5], 1, v[2:3]
	s_cselect_b32 s4, s11, 0x640
	s_ashr_i32 s5, s4, 31
	s_cmpk_lt_u32 s56, 0x1a01
	v_lshl_add_u64 v[6:7], s[4:5], 1, v[2:3]
	s_cselect_b32 s4, s11, 0x680
	s_ashr_i32 s5, s4, 31
	s_cmpk_lt_u32 s56, 0x1b01
	;; [unrolled: 4-line block ×6, first 2 shown]
	v_lshl_add_u64 v[48:49], s[4:5], 1, v[2:3]
	s_cselect_b32 s4, s11, 0x7c0
	s_ashr_i32 s5, s4, 31
	v_lshl_add_u64 v[50:51], s[4:5], 1, v[2:3]
	global_load_ushort v47, v[4:5], off
	global_load_ushort v46, v[6:7], off
	global_load_ushort v45, v[8:9], off
	global_load_ushort v44, v[10:11], off
	global_load_ushort v43, v[12:13], off
	global_load_ushort v42, v[14:15], off
	global_load_ushort v41, v[48:49], off
	global_load_ushort v40, v[50:51], off
	s_cmpk_lt_u32 s56, 0x2001
	v_mov_b32_e32 v67, 0
	v_mov_b32_e32 v65, 0
	;; [unrolled: 1-line block ×32, first 2 shown]
	s_cbranch_scc1 .LBB417_12
; %bb.11:
	s_cmpk_lt_u32 s56, 0x2101
	s_cselect_b32 s4, s11, 0x840
	s_ashr_i32 s5, s4, 31
	s_cmpk_lt_u32 s56, 0x2201
	v_lshl_add_u64 v[4:5], s[4:5], 1, v[2:3]
	s_cselect_b32 s4, s11, 0x880
	s_ashr_i32 s5, s4, 31
	s_cmpk_lt_u32 s56, 0x2301
	v_lshl_add_u64 v[6:7], s[4:5], 1, v[2:3]
	;; [unrolled: 4-line block ×29, first 2 shown]
	s_cselect_b32 s4, s11, 0xf80
	s_ashr_i32 s5, s4, 31
	v_lshl_add_u64 v[94:95], s[4:5], 1, v[2:3]
	s_movk_i32 s4, 0x1000
	s_cmpk_lt_u32 s56, 0x3f01
	v_add_co_u32_e32 v96, vcc, s4, v2
	s_cselect_b32 s4, s11, 0xfc0
	s_nop 0
	v_addc_co_u32_e32 v97, vcc, 0, v3, vcc
	s_ashr_i32 s5, s4, 31
	global_load_ushort v98, v[96:97], off
	global_load_ushort v99, v[4:5], off
	global_load_ushort v100, v[6:7], off
	global_load_ushort v101, v[8:9], off
	global_load_ushort v102, v[10:11], off
	global_load_ushort v103, v[12:13], off
	global_load_ushort v104, v[14:15], off
	global_load_ushort v105, v[48:49], off
	global_load_ushort v106, v[50:51], off
	global_load_ushort v107, v[52:53], off
	global_load_ushort v108, v[54:55], off
	global_load_ushort v109, v[56:57], off
	global_load_ushort v110, v[58:59], off
	global_load_ushort v111, v[60:61], off
	global_load_ushort v112, v[62:63], off
                                        ; kill: killed $vgpr14_vgpr15
                                        ; kill: killed $vgpr96 killed $vgpr97
                                        ; kill: killed $vgpr52_vgpr53
                                        ; kill: killed $vgpr4_vgpr5
                                        ; kill: killed $vgpr58_vgpr59
                                        ; kill: killed $vgpr10_vgpr11
                                        ; kill: killed $vgpr48_vgpr49
                                        ; kill: killed $vgpr54_vgpr55
                                        ; kill: killed $vgpr6_vgpr7
                                        ; kill: killed $vgpr60_vgpr61
                                        ; kill: killed $vgpr12_vgpr13
                                        ; kill: killed $vgpr50_vgpr51
                                        ; kill: killed $vgpr56_vgpr57
                                        ; kill: killed $vgpr8_vgpr9
                                        ; kill: killed $vgpr62_vgpr63
	global_load_ushort v6, v[64:65], off
	global_load_ushort v7, v[66:67], off
	;; [unrolled: 1-line block ×15, first 2 shown]
                                        ; kill: killed $vgpr78_vgpr79
                                        ; kill: killed $vgpr84_vgpr85
                                        ; kill: killed $vgpr68_vgpr69
                                        ; kill: killed $vgpr90_vgpr91
                                        ; kill: killed $vgpr74_vgpr75
                                        ; kill: killed $vgpr80_vgpr81
                                        ; kill: killed $vgpr64_vgpr65
                                        ; kill: killed $vgpr70_vgpr71
                                        ; kill: killed $vgpr92_vgpr93
                                        ; kill: killed $vgpr76_vgpr77
                                        ; kill: killed $vgpr82_vgpr83
                                        ; kill: killed $vgpr66_vgpr67
                                        ; kill: killed $vgpr88_vgpr89
                                        ; kill: killed $vgpr72_vgpr73
                                        ; kill: killed $vgpr94_vgpr95
	global_load_ushort v68, v[86:87], off
	v_lshl_add_u64 v[4:5], s[4:5], 1, v[2:3]
	global_load_ushort v5, v[4:5], off
	s_waitcnt vmcnt(31)
	v_lshlrev_b32_e32 v67, 16, v98
	s_waitcnt vmcnt(30)
	v_lshlrev_b32_e32 v65, 16, v99
	;; [unrolled: 2-line block ×32, first 2 shown]
.LBB417_12:
	s_load_dwordx2 s[4:5], s[0:1], 0x0
	s_load_dwordx2 s[6:7], s[0:1], 0x38
	ds_read_b128 v[68:71], v1
	s_waitcnt vmcnt(15)
	v_lshlrev_b32_e32 v23, 16, v23
	ds_read_b128 v[72:75], v1 offset:16
	ds_read_b128 v[76:79], v1 offset:32
	;; [unrolled: 1-line block ×3, first 2 shown]
	s_waitcnt vmcnt(14)
	v_lshlrev_b32_e32 v22, 16, v22
	s_waitcnt vmcnt(13)
	v_lshlrev_b32_e32 v21, 16, v21
	s_waitcnt lgkmcnt(0)
	v_fma_f32 v23, v68, v23, 0
	v_fmac_f32_e32 v23, v69, v22
	v_fmac_f32_e32 v23, v70, v21
	s_waitcnt vmcnt(12)
	v_lshlrev_b32_e32 v20, 16, v20
	s_waitcnt vmcnt(10)
	v_lshlrev_b32_e32 v19, 16, v19
	v_lshlrev_b32_e32 v18, 16, v18
	v_fmac_f32_e32 v23, v71, v20
	v_pk_mul_f32 v[18:19], v[72:73], v[18:19]
	s_waitcnt vmcnt(8)
	v_lshlrev_b32_e32 v17, 16, v17
	v_add_f32_e32 v18, v23, v18
	v_lshlrev_b32_e32 v16, 16, v16
	v_add_f32_e32 v18, v18, v19
	v_pk_mul_f32 v[16:17], v[74:75], v[16:17]
	s_and_b64 vcc, exec, s[8:9]
	v_add_f32_e32 v16, v18, v16
	v_add_f32_e32 v18, v16, v17
	s_waitcnt vmcnt(6)
	v_lshlrev_b32_e32 v17, 16, v31
	v_lshlrev_b32_e32 v16, 16, v30
	v_pk_mul_f32 v[16:17], v[76:77], v[16:17]
	s_nop 0
	v_add_f32_e32 v16, v18, v16
	v_add_f32_e32 v18, v16, v17
	s_waitcnt vmcnt(4)
	v_lshlrev_b32_e32 v17, 16, v29
	v_lshlrev_b32_e32 v16, 16, v28
	v_pk_mul_f32 v[16:17], v[78:79], v[16:17]
	s_nop 0
	;; [unrolled: 7-line block ×4, first 2 shown]
	v_add_f32_e32 v16, v18, v16
	v_add_f32_e32 v110, v16, v17
	s_cbranch_vccz .LBB417_15
; %bb.13:
	ds_read_b128 v[16:19], v1 offset:64
	v_lshlrev_b32_e32 v39, 16, v39
	ds_read_b128 v[20:23], v1 offset:80
	ds_read_b128 v[24:27], v1 offset:96
	;; [unrolled: 1-line block ×3, first 2 shown]
	s_cmpk_lt_u32 s56, 0x2001
	s_waitcnt lgkmcnt(3)
	v_fmac_f32_e32 v110, v16, v39
	v_lshlrev_b32_e32 v16, 16, v38
	v_fmac_f32_e32 v110, v17, v16
	v_lshlrev_b32_e32 v16, 16, v37
	v_fmac_f32_e32 v110, v18, v16
	v_lshlrev_b32_e32 v16, 16, v36
	v_fmac_f32_e32 v110, v19, v16
	v_lshlrev_b32_e32 v16, 16, v35
	s_waitcnt lgkmcnt(2)
	v_fmac_f32_e32 v110, v20, v16
	v_lshlrev_b32_e32 v16, 16, v34
	v_fmac_f32_e32 v110, v21, v16
	v_lshlrev_b32_e32 v16, 16, v33
	v_fmac_f32_e32 v110, v22, v16
	v_lshlrev_b32_e32 v16, 16, v32
	v_fmac_f32_e32 v110, v23, v16
	v_lshlrev_b32_e32 v16, 16, v47
	;; [unrolled: 9-line block ×3, first 2 shown]
	s_waitcnt lgkmcnt(0)
	v_fmac_f32_e32 v110, v28, v16
	v_lshlrev_b32_e32 v16, 16, v42
	v_fmac_f32_e32 v110, v29, v16
	v_lshlrev_b32_e32 v16, 16, v41
	;; [unrolled: 2-line block ×3, first 2 shown]
	v_fmac_f32_e32 v110, v31, v16
	s_cbranch_scc1 .LBB417_15
; %bb.14:
	v_mov_b32_e32 v32, 0
	ds_read_b128 v[16:19], v32 offset:128
	ds_read_b128 v[20:23], v32 offset:144
	;; [unrolled: 1-line block ×4, first 2 shown]
	s_waitcnt lgkmcnt(3)
	v_fmac_f32_e32 v110, v16, v67
	v_fmac_f32_e32 v110, v17, v65
	v_fmac_f32_e32 v110, v18, v66
	v_fmac_f32_e32 v110, v19, v63
	s_waitcnt lgkmcnt(2)
	v_fmac_f32_e32 v110, v20, v64
	v_fmac_f32_e32 v110, v21, v61
	v_fmac_f32_e32 v110, v22, v62
	v_fmac_f32_e32 v110, v23, v59
	;; [unrolled: 5-line block ×3, first 2 shown]
	ds_read_b128 v[16:19], v32 offset:192
	ds_read_b128 v[20:23], v32 offset:208
	s_waitcnt lgkmcnt(2)
	v_fmac_f32_e32 v110, v28, v56
	v_fmac_f32_e32 v110, v29, v53
	;; [unrolled: 1-line block ×4, first 2 shown]
	s_waitcnt lgkmcnt(1)
	v_fmac_f32_e32 v110, v16, v51
	v_fmac_f32_e32 v110, v17, v49
	;; [unrolled: 1-line block ×4, first 2 shown]
	s_waitcnt lgkmcnt(0)
	v_pk_mul_f32 v[14:15], v[20:21], v[14:15]
	v_pk_mul_f32 v[12:13], v[22:23], v[12:13]
	v_add_f32_e32 v14, v110, v14
	v_add_f32_e32 v18, v14, v15
	ds_read_b128 v[14:17], v32 offset:224
	v_add_f32_e32 v12, v18, v12
	ds_read_b128 v[18:21], v32 offset:240
	v_add_f32_e32 v12, v12, v13
	s_waitcnt lgkmcnt(1)
	v_pk_mul_f32 v[10:11], v[14:15], v[10:11]
	s_nop 0
	v_add_f32_e32 v10, v12, v10
	v_add_f32_e32 v10, v10, v11
	v_pk_mul_f32 v[8:9], v[16:17], v[8:9]
	s_waitcnt lgkmcnt(0)
	v_pk_mul_f32 v[6:7], v[18:19], v[6:7]
	v_add_f32_e32 v8, v10, v8
	v_add_f32_e32 v8, v8, v9
	;; [unrolled: 1-line block ×4, first 2 shown]
	v_pk_mul_f32 v[4:5], v[20:21], v[4:5]
	s_nop 0
	v_add_f32_e32 v4, v6, v4
	v_add_f32_e32 v110, v4, v5
.LBB417_15:
	s_movk_i32 s0, 0x1fc0
	s_movk_i32 s1, 0x100
	s_mov_b32 s8, 64
	s_branch .LBB417_17
.LBB417_16:                             ;   in Loop: Header=BB417_17 Depth=1
	s_addk_i32 s0, 0x1000
	s_addk_i32 s1, 0x100
	s_add_i32 s8, s8, 64
	s_cmpk_eq_u32 s0, 0xefc0
	s_cbranch_scc1 .LBB417_19
.LBB417_17:                             ; =>This Inner Loop Header: Depth=1
	s_cmp_le_i32 s33, s8
	s_cbranch_scc1 .LBB417_16
; %bb.18:                               ;   in Loop: Header=BB417_17 Depth=1
	s_add_i32 s9, s0, 0xfffff040
	s_cmp_lt_i32 s9, s10
	s_cselect_b32 s12, s9, s11
	s_ashr_i32 s13, s12, 31
	s_add_i32 s9, s0, 0xfffff080
	s_cmp_lt_i32 s9, s10
	v_lshl_add_u64 v[44:45], s[12:13], 1, v[2:3]
	s_cselect_b32 s12, s9, s11
	s_ashr_i32 s13, s12, 31
	s_add_i32 s9, s0, 0xfffff0c0
	s_cmp_lt_i32 s9, s10
	v_lshl_add_u64 v[4:5], s[12:13], 1, v[2:3]
	;; [unrolled: 5-line block ×17, first 2 shown]
	s_cselect_b32 s12, s9, s11
	s_ashr_i32 s13, s12, 31
	s_add_i32 s9, s0, 0xfffff4c0
	s_cmp_lt_i32 s9, s10
	global_load_ushort v111, v[44:45], off
	global_load_ushort v121, v[46:47], off
	v_lshl_add_u64 v[22:23], s[12:13], 1, v[2:3]
	s_cselect_b32 s12, s9, s11
	global_load_ushort v112, v[4:5], off
	global_load_ushort v113, v[6:7], off
	global_load_ushort v114, v[8:9], off
	global_load_ushort v115, v[10:11], off
	global_load_ushort v116, v[12:13], off
	global_load_ushort v117, v[14:15], off
	global_load_ushort v118, v[16:17], off
	s_ashr_i32 s13, s12, 31
	s_add_i32 s9, s0, 0xfffff500
	s_cmp_lt_i32 s9, s10
	v_lshl_add_u64 v[24:25], s[12:13], 1, v[2:3]
	s_cselect_b32 s12, s9, s11
	s_ashr_i32 s13, s12, 31
	s_add_i32 s9, s0, 0xfffff540
	s_cmp_lt_i32 s9, s10
	v_lshl_add_u64 v[32:33], s[12:13], 1, v[2:3]
	s_cselect_b32 s12, s9, s11
	;; [unrolled: 5-line block ×3, first 2 shown]
	s_ashr_i32 s13, s12, 31
	s_add_i32 s9, s0, 0xfffff5c0
	s_cmp_lt_i32 s9, s10
	global_load_ushort v119, v[28:29], off
	global_load_ushort v120, v[30:31], off
	v_lshl_add_u64 v[34:35], s[12:13], 1, v[2:3]
	s_cselect_b32 s12, s9, s11
	s_ashr_i32 s13, s12, 31
	s_add_i32 s9, s0, 0xfffff600
	s_cmp_lt_i32 s9, s10
	v_lshl_add_u64 v[36:37], s[12:13], 1, v[2:3]
	s_cselect_b32 s12, s9, s11
	s_ashr_i32 s13, s12, 31
	s_add_i32 s9, s0, 0xfffff640
	s_cmp_lt_i32 s9, s10
	v_lshl_add_u64 v[50:51], s[12:13], 1, v[2:3]
	s_cselect_b32 s12, s9, s11
	global_load_ushort v122, v[54:55], off
	global_load_ushort v123, v[56:57], off
	s_ashr_i32 s13, s12, 31
	global_load_ushort v58, v[58:59], off
	s_add_i32 s9, s0, 0xfffff680
	s_cmp_lt_i32 s9, s10
	v_lshl_add_u64 v[38:39], s[12:13], 1, v[2:3]
	s_cselect_b32 s12, s9, s11
	global_load_ushort v59, v[60:61], off
	s_ashr_i32 s13, s12, 31
	s_add_i32 s9, s0, 0xfffff6c0
	global_load_ushort v60, v[66:67], off
	global_load_ushort v61, v[62:63], off
	s_cmp_lt_i32 s9, s10
	v_lshl_add_u64 v[18:19], s[12:13], 1, v[2:3]
	s_cselect_b32 s12, s9, s11
	s_ashr_i32 s13, s12, 31
	s_add_i32 s9, s0, 0xfffff700
	s_cmp_lt_i32 s9, s10
	v_lshl_add_u64 v[20:21], s[12:13], 1, v[2:3]
	s_cselect_b32 s12, s9, s11
	s_ashr_i32 s13, s12, 31
	s_add_i32 s9, s0, 0xfffff740
	;; [unrolled: 5-line block ×3, first 2 shown]
	s_cmp_lt_i32 s9, s10
	v_lshl_add_u64 v[42:43], s[12:13], 1, v[2:3]
	s_cselect_b32 s12, s9, s11
	global_load_ushort v62, v[22:23], off
	s_ashr_i32 s13, s12, 31
	s_add_i32 s9, s0, 0xfffff7c0
	global_load_ushort v66, v[32:33], off
	global_load_ushort v124, v[34:35], off
	;; [unrolled: 1-line block ×4, first 2 shown]
	s_cmp_lt_i32 s9, s10
	v_lshl_add_u64 v[26:27], s[12:13], 1, v[2:3]
	s_cselect_b32 s12, s9, s11
	global_load_ushort v67, v[48:49], off
	s_ashr_i32 s13, s12, 31
	s_add_i32 s9, s0, 0xfffff800
	s_cmp_lt_i32 s9, s10
	v_lshl_add_u64 v[52:53], s[12:13], 1, v[2:3]
	s_cselect_b32 s12, s9, s11
	s_ashr_i32 s13, s12, 31
	s_add_i32 s9, s0, 0xfffff840
	s_cmp_lt_i32 s9, s10
	v_lshl_add_u64 v[64:65], s[12:13], 1, v[2:3]
	s_cselect_b32 s12, s9, s11
	s_ashr_i32 s13, s12, 31
	s_add_i32 s9, s0, 0xfffff880
	s_cmp_lt_i32 s9, s10
	v_mov_b32_e32 v125, s1
	v_lshl_add_u64 v[68:69], s[12:13], 1, v[2:3]
	s_cselect_b32 s12, s9, s11
	ds_read_b128 v[30:33], v125
	ds_read_b128 v[34:37], v125 offset:16
	global_load_ushort v50, v[50:51], off
	s_ashr_i32 s13, s12, 31
	s_add_i32 s9, s0, 0xfffff8c0
	s_cmp_lt_i32 s9, s10
	v_lshl_add_u64 v[70:71], s[12:13], 1, v[2:3]
	s_cselect_b32 s12, s9, s11
	ds_read_b128 v[46:49], v125 offset:32
	ds_read_b128 v[54:57], v125 offset:48
	global_load_ushort v38, v[38:39], off
	s_ashr_i32 s13, s12, 31
	s_add_i32 s9, s0, 0xfffff900
	s_cmp_lt_i32 s9, s10
	v_lshl_add_u64 v[72:73], s[12:13], 1, v[2:3]
	s_cselect_b32 s12, s9, s11
	global_load_ushort v39, v[18:19], off
	s_ashr_i32 s13, s12, 31
	global_load_ushort v26, v[26:27], off
	s_add_i32 s9, s0, 0xfffff940
	s_cmp_lt_i32 s9, s10
	v_lshl_add_u64 v[74:75], s[12:13], 1, v[2:3]
	s_cselect_b32 s12, s9, s11
	s_ashr_i32 s13, s12, 31
	s_add_i32 s9, s0, 0xfffff980
	s_cmp_lt_i32 s9, s10
	v_lshl_add_u64 v[76:77], s[12:13], 1, v[2:3]
	s_cselect_b32 s12, s9, s11
	s_ashr_i32 s13, s12, 31
	;; [unrolled: 5-line block ×5, first 2 shown]
	s_add_i32 s9, s0, 0xfffffa80
	s_cmp_lt_i32 s9, s10
	v_lshl_add_u64 v[84:85], s[12:13], 1, v[2:3]
	global_load_ushort v51, v[84:85], off
	s_cselect_b32 s12, s9, s11
	s_ashr_i32 s13, s12, 31
	s_add_i32 s9, s0, 0xfffffac0
	s_cmp_lt_i32 s9, s10
	v_lshl_add_u64 v[86:87], s[12:13], 1, v[2:3]
	s_cselect_b32 s12, s9, s11
	s_ashr_i32 s13, s12, 31
	s_add_i32 s9, s0, 0xfffffb00
	s_cmp_lt_i32 s9, s10
	v_lshl_add_u64 v[88:89], s[12:13], 1, v[2:3]
	;; [unrolled: 5-line block ×3, first 2 shown]
	s_cselect_b32 s12, s9, s11
	s_ashr_i32 s13, s12, 31
	s_add_i32 s9, s0, 0xfffffb80
	s_waitcnt vmcnt(27)
	v_lshlrev_b32_e32 v111, 16, v111
	s_cmp_lt_i32 s9, s10
	s_waitcnt lgkmcnt(3)
	v_fmac_f32_e32 v110, v30, v111
	s_waitcnt vmcnt(25)
	v_lshlrev_b32_e32 v30, 16, v112
	v_lshl_add_u64 v[92:93], s[12:13], 1, v[2:3]
	s_cselect_b32 s12, s9, s11
	v_fmac_f32_e32 v110, v31, v30
	s_waitcnt vmcnt(24)
	v_lshlrev_b32_e32 v30, 16, v113
	s_ashr_i32 s13, s12, 31
	s_add_i32 s9, s0, 0xfffffbc0
	v_fmac_f32_e32 v110, v32, v30
	s_waitcnt vmcnt(23)
	v_lshlrev_b32_e32 v30, 16, v114
	s_cmp_lt_i32 s9, s10
	v_fmac_f32_e32 v110, v33, v30
	s_waitcnt vmcnt(22)
	v_lshlrev_b32_e32 v18, 16, v115
	v_lshl_add_u64 v[94:95], s[12:13], 1, v[2:3]
	s_cselect_b32 s12, s9, s11
	s_waitcnt lgkmcnt(2)
	v_fmac_f32_e32 v110, v34, v18
	global_load_ushort v34, v[20:21], off
	s_ashr_i32 s13, s12, 31
	global_load_ushort v40, v[40:41], off
	s_add_i32 s9, s0, 0xfffffc00
	s_waitcnt vmcnt(23)
	v_lshlrev_b32_e32 v18, 16, v116
	s_cmp_lt_i32 s9, s10
	v_fmac_f32_e32 v110, v35, v18
	global_load_ushort v35, v[42:43], off
	global_load_ushort v27, v[52:53], off
	v_lshl_add_u64 v[96:97], s[12:13], 1, v[2:3]
	s_cselect_b32 s12, s9, s11
	s_ashr_i32 s13, s12, 31
	s_add_i32 s9, s0, 0xfffffc40
	s_cmp_lt_i32 s9, s10
	s_waitcnt vmcnt(24)
	v_lshlrev_b32_e32 v18, 16, v117
	v_lshl_add_u64 v[100:101], s[12:13], 1, v[2:3]
	s_cselect_b32 s12, s9, s11
	v_fmac_f32_e32 v110, v36, v18
	global_load_ushort v36, v[64:65], off
	s_waitcnt vmcnt(24)
	v_lshlrev_b32_e32 v18, 16, v118
	s_ashr_i32 s13, s12, 31
	s_add_i32 s9, s0, 0xfffffc80
	v_fmac_f32_e32 v110, v37, v18
	global_load_ushort v37, v[68:69], off
	s_waitcnt vmcnt(24)
	v_lshlrev_b32_e32 v18, 16, v119
	s_cmp_lt_i32 s9, s10
	s_waitcnt lgkmcnt(1)
	v_fmac_f32_e32 v110, v46, v18
	global_load_ushort v46, v[76:77], off
	s_waitcnt vmcnt(24)
	v_lshlrev_b32_e32 v18, 16, v120
	v_lshl_add_u64 v[102:103], s[12:13], 1, v[2:3]
	s_cselect_b32 s12, s9, s11
	v_fmac_f32_e32 v110, v47, v18
	v_lshlrev_b32_e32 v18, 16, v121
	s_ashr_i32 s13, s12, 31
	s_add_i32 s9, s0, 0xfffffcc0
	v_fmac_f32_e32 v110, v48, v18
	global_load_ushort v48, v[80:81], off
	global_load_ushort v41, v[70:71], off
	;; [unrolled: 1-line block ×5, first 2 shown]
	s_cmp_lt_i32 s9, s10
	v_lshl_add_u64 v[104:105], s[12:13], 1, v[2:3]
	s_cselect_b32 s12, s9, s11
	s_ashr_i32 s13, s12, 31
	s_add_i32 s9, s0, 0xfffffd00
	s_cmp_lt_i32 s9, s10
	s_waitcnt vmcnt(28)
	v_lshlrev_b32_e32 v18, 16, v122
	v_lshl_add_u64 v[106:107], s[12:13], 1, v[2:3]
	s_cselect_b32 s12, s9, s11
	v_fmac_f32_e32 v110, v49, v18
	global_load_ushort v49, v[82:83], off
	global_load_ushort v52, v[86:87], off
	s_waitcnt vmcnt(29)
	v_lshlrev_b32_e32 v18, 16, v123
	s_ashr_i32 s13, s12, 31
	s_add_i32 s9, s0, 0xfffffd40
	s_waitcnt lgkmcnt(0)
	v_fmac_f32_e32 v110, v54, v18
	global_load_ushort v54, v[88:89], off
	s_waitcnt vmcnt(29)
	v_lshlrev_b32_e32 v18, 16, v58
	s_cmp_lt_i32 s9, s10
	v_fmac_f32_e32 v110, v55, v18
	global_load_ushort v55, v[90:91], off
	s_waitcnt vmcnt(29)
	v_lshlrev_b32_e32 v18, 16, v59
	v_lshl_add_u64 v[98:99], s[12:13], 1, v[2:3]
	s_cselect_b32 s12, s9, s11
	v_fmac_f32_e32 v110, v56, v18
	s_waitcnt vmcnt(28)
	v_lshlrev_b32_e32 v18, 16, v60
	s_ashr_i32 s13, s12, 31
	s_add_i32 s9, s0, 0xfffffd80
	v_fmac_f32_e32 v110, v57, v18
	ds_read_b128 v[18:21], v125 offset:64
	ds_read_b128 v[30:33], v125 offset:80
	s_cmp_lt_i32 s9, s10
	v_lshl_add_u64 v[44:45], s[12:13], 1, v[2:3]
	s_cselect_b32 s12, s9, s11
	s_ashr_i32 s13, s12, 31
	s_add_i32 s9, s0, 0xfffffdc0
	s_cmp_lt_i32 s9, s10
	s_waitcnt vmcnt(27)
	v_lshlrev_b32_e32 v53, 16, v61
	v_lshl_add_u64 v[108:109], s[12:13], 1, v[2:3]
	s_cselect_b32 s12, s9, s11
	s_waitcnt lgkmcnt(1)
	v_fmac_f32_e32 v110, v18, v53
	global_load_ushort v53, v[92:93], off
	global_load_ushort v56, v[94:95], off
	;; [unrolled: 1-line block ×6, first 2 shown]
	s_ashr_i32 s13, s12, 31
	s_add_i32 s9, s0, 0xfffffe00
	s_cmp_lt_i32 s9, s10
	v_lshl_add_u64 v[4:5], s[12:13], 1, v[2:3]
	s_cselect_b32 s12, s9, s11
	s_ashr_i32 s13, s12, 31
	s_add_i32 s9, s0, 0xfffffe40
	s_cmp_lt_i32 s9, s10
	s_waitcnt vmcnt(32)
	v_lshlrev_b32_e32 v18, 16, v62
	v_lshl_add_u64 v[6:7], s[12:13], 1, v[2:3]
	s_cselect_b32 s12, s9, s11
	v_fmac_f32_e32 v110, v19, v18
	s_waitcnt vmcnt(28)
	v_lshlrev_b32_e32 v18, 16, v63
	s_ashr_i32 s13, s12, 31
	s_add_i32 s9, s0, 0xfffffe80
	v_fmac_f32_e32 v110, v20, v18
	v_lshlrev_b32_e32 v18, 16, v66
	s_cmp_lt_i32 s9, s10
	v_fmac_f32_e32 v110, v21, v18
	s_waitcnt vmcnt(27)
	v_lshlrev_b32_e32 v18, 16, v67
	v_lshl_add_u64 v[8:9], s[12:13], 1, v[2:3]
	s_cselect_b32 s12, s9, s11
	s_waitcnt lgkmcnt(0)
	v_fmac_f32_e32 v110, v30, v18
	global_load_ushort v30, v[106:107], off
	s_ashr_i32 s13, s12, 31
	s_add_i32 s9, s0, 0xfffffec0
	s_cmp_lt_i32 s9, s10
	global_load_ushort v61, v[98:99], off
	global_load_ushort v62, v[44:45], off
	;; [unrolled: 1-line block ×3, first 2 shown]
	v_lshl_add_u64 v[12:13], s[12:13], 1, v[2:3]
	s_cselect_b32 s12, s9, s11
	v_lshlrev_b32_e32 v18, 16, v124
	s_ashr_i32 s13, s12, 31
	s_add_i32 s9, s0, 0xffffff00
	v_fmac_f32_e32 v110, v31, v18
	v_lshlrev_b32_e32 v18, 16, v126
	s_cmp_lt_i32 s9, s10
	v_fmac_f32_e32 v110, v32, v18
	global_load_ushort v31, v[4:5], off
	global_load_ushort v32, v[6:7], off
	v_lshl_add_u64 v[10:11], s[12:13], 1, v[2:3]
	s_cselect_b32 s12, s9, s11
	s_ashr_i32 s13, s12, 31
	s_add_i32 s9, s0, 0xffffff40
	s_cmp_lt_i32 s9, s10
	s_waitcnt vmcnt(32)
	v_lshlrev_b32_e32 v4, 16, v50
	v_lshl_add_u64 v[16:17], s[12:13], 1, v[2:3]
	s_cselect_b32 s12, s9, s11
	v_fmac_f32_e32 v110, v33, v4
	ds_read_b128 v[4:7], v125 offset:96
	s_ashr_i32 s13, s12, 31
	s_add_i32 s9, s0, 0xffffff80
	s_cmp_lt_i32 s9, s10
	s_waitcnt vmcnt(31)
	v_lshlrev_b32_e32 v33, 16, v38
	global_load_ushort v38, v[8:9], off
	global_load_ushort v44, v[12:13], off
	v_lshl_add_u64 v[14:15], s[12:13], 1, v[2:3]
	s_cselect_b32 s12, s9, s11
	s_ashr_i32 s13, s12, 31
	s_sub_i32 s9, s0, 64
	s_cmp_lt_i32 s9, s10
	ds_read_b128 v[18:21], v125 offset:112
	s_waitcnt lgkmcnt(1)
	v_fmac_f32_e32 v110, v4, v33
	s_waitcnt vmcnt(32)
	v_lshlrev_b32_e32 v4, 16, v39
	global_load_ushort v33, v[10:11], off
	global_load_ushort v39, v[16:17], off
	v_lshl_add_u64 v[28:29], s[12:13], 1, v[2:3]
	s_cselect_b32 s12, s9, s11
	s_ashr_i32 s13, s12, 31
	s_cmp_lt_i32 s0, s10
	global_load_ushort v16, v[14:15], off
	global_load_ushort v17, v[28:29], off
	v_lshl_add_u64 v[22:23], s[12:13], 1, v[2:3]
	s_cselect_b32 s12, s0, s11
	s_ashr_i32 s13, s12, 31
	v_lshl_add_u64 v[24:25], s[12:13], 1, v[2:3]
	global_load_ushort v14, v[22:23], off
	global_load_ushort v15, v[24:25], off
	v_fmac_f32_e32 v110, v5, v4
	s_waitcnt vmcnt(35)
	v_lshlrev_b32_e32 v4, 16, v34
	v_fmac_f32_e32 v110, v6, v4
	s_waitcnt vmcnt(34)
	v_lshlrev_b32_e32 v4, 16, v40
	;; [unrolled: 3-line block ×3, first 2 shown]
	s_waitcnt lgkmcnt(0)
	v_fmac_f32_e32 v110, v18, v4
	v_lshlrev_b32_e32 v4, 16, v26
	v_fmac_f32_e32 v110, v19, v4
	s_waitcnt vmcnt(32)
	v_lshlrev_b32_e32 v4, 16, v27
	v_fmac_f32_e32 v110, v20, v4
	ds_read_b128 v[4:7], v125 offset:128
	s_waitcnt vmcnt(31)
	v_lshlrev_b32_e32 v8, 16, v36
	v_fmac_f32_e32 v110, v21, v8
	ds_read_b128 v[8:11], v125 offset:144
	s_waitcnt vmcnt(30)
	v_lshlrev_b32_e32 v12, 16, v37
	s_waitcnt lgkmcnt(1)
	v_fmac_f32_e32 v110, v4, v12
	s_waitcnt vmcnt(27)
	v_lshlrev_b32_e32 v4, 16, v41
	v_fmac_f32_e32 v110, v5, v4
	s_waitcnt vmcnt(26)
	v_lshlrev_b32_e32 v4, 16, v42
	v_fmac_f32_e32 v110, v6, v4
	s_waitcnt vmcnt(25)
	v_lshlrev_b32_e32 v4, 16, v43
	v_fmac_f32_e32 v110, v7, v4
	v_lshlrev_b32_e32 v4, 16, v46
	s_waitcnt lgkmcnt(0)
	v_fmac_f32_e32 v110, v8, v4
	s_waitcnt vmcnt(24)
	v_lshlrev_b32_e32 v4, 16, v47
	v_fmac_f32_e32 v110, v9, v4
	v_lshlrev_b32_e32 v4, 16, v48
	v_fmac_f32_e32 v110, v10, v4
	ds_read_b128 v[4:7], v125 offset:160
	s_waitcnt vmcnt(23)
	v_lshlrev_b32_e32 v8, 16, v49
	v_fmac_f32_e32 v110, v11, v8
	ds_read_b128 v[8:11], v125 offset:176
	v_lshlrev_b32_e32 v12, 16, v51
	s_waitcnt lgkmcnt(1)
	v_fmac_f32_e32 v110, v4, v12
	s_waitcnt vmcnt(22)
	v_lshlrev_b32_e32 v4, 16, v52
	v_fmac_f32_e32 v110, v5, v4
	s_waitcnt vmcnt(21)
	v_lshlrev_b32_e32 v4, 16, v54
	;; [unrolled: 3-line block ×4, first 2 shown]
	s_waitcnt lgkmcnt(0)
	v_fmac_f32_e32 v110, v8, v4
	s_waitcnt vmcnt(18)
	v_lshlrev_b32_e32 v4, 16, v56
	v_fmac_f32_e32 v110, v9, v4
	s_waitcnt vmcnt(17)
	v_lshlrev_b32_e32 v4, 16, v57
	v_fmac_f32_e32 v110, v10, v4
	ds_read_b128 v[4:7], v125 offset:192
	s_waitcnt vmcnt(16)
	v_lshlrev_b32_e32 v8, 16, v58
	v_fmac_f32_e32 v110, v11, v8
	ds_read_b128 v[8:11], v125 offset:208
	s_waitcnt vmcnt(15)
	v_lshlrev_b32_e32 v12, 16, v59
	s_waitcnt lgkmcnt(1)
	v_fmac_f32_e32 v110, v4, v12
	s_waitcnt vmcnt(14)
	v_lshlrev_b32_e32 v4, 16, v60
	v_fmac_f32_e32 v110, v5, v4
	s_waitcnt vmcnt(13)
	v_lshlrev_b32_e32 v4, 16, v30
	;; [unrolled: 3-line block ×4, first 2 shown]
	v_lshlrev_b32_e32 v4, 16, v62
	s_waitcnt lgkmcnt(0)
	v_pk_mul_f32 v[4:5], v[8:9], v[4:5]
	s_waitcnt vmcnt(6)
	v_lshlrev_b32_e32 v13, 16, v44
	v_add_f32_e32 v4, v110, v4
	v_add_f32_e32 v6, v4, v5
	v_lshlrev_b32_e32 v5, 16, v32
	v_lshlrev_b32_e32 v4, 16, v31
	v_pk_mul_f32 v[8:9], v[10:11], v[4:5]
	v_lshlrev_b32_e32 v12, 16, v38
	v_add_f32_e32 v8, v6, v8
	ds_read_b128 v[4:7], v125 offset:224
	v_add_f32_e32 v18, v8, v9
	ds_read_b128 v[8:11], v125 offset:240
	s_waitcnt lgkmcnt(1)
	v_pk_mul_f32 v[4:5], v[4:5], v[12:13]
	s_nop 0
	v_add_f32_e32 v4, v18, v4
	v_add_f32_e32 v12, v4, v5
	s_waitcnt vmcnt(4)
	v_lshlrev_b32_e32 v5, 16, v39
	v_lshlrev_b32_e32 v4, 16, v33
	v_pk_mul_f32 v[4:5], v[6:7], v[4:5]
	s_nop 0
	v_add_f32_e32 v4, v12, v4
	v_add_f32_e32 v6, v4, v5
	s_waitcnt vmcnt(2)
	v_lshlrev_b32_e32 v5, 16, v17
	v_lshlrev_b32_e32 v4, 16, v16
	s_waitcnt lgkmcnt(0)
	v_pk_mul_f32 v[4:5], v[8:9], v[4:5]
	s_nop 0
	v_add_f32_e32 v4, v6, v4
	v_add_f32_e32 v6, v4, v5
	s_waitcnt vmcnt(0)
	v_lshlrev_b32_e32 v5, 16, v15
	v_lshlrev_b32_e32 v4, 16, v14
	v_pk_mul_f32 v[4:5], v[10:11], v[4:5]
	s_nop 0
	v_add_f32_e32 v4, v6, v4
	v_add_f32_e32 v110, v4, v5
	s_branch .LBB417_16
.LBB417_19:
	v_mov_b32_e32 v2, 0
	ds_read_b32 v2, v2 offset:3584
	s_cmp_lg_u64 s[6:7], 0
	s_cbranch_scc0 .LBB417_24
; %bb.20:
	s_load_dword s6, s[6:7], 0x0
	s_waitcnt lgkmcnt(0)
	v_div_scale_f32 v3, s[0:1], s6, s6, 1.0
	v_rcp_f32_e32 v4, v3
	v_div_scale_f32 v5, vcc, 1.0, s6, 1.0
	v_fma_f32 v6, -v3, v4, 1.0
	v_fmac_f32_e32 v4, v6, v4
	v_mul_f32_e32 v6, v5, v4
	v_fma_f32 v7, -v3, v6, v5
	v_fmac_f32_e32 v6, v7, v4
	v_fma_f32 v3, -v3, v6, v5
	v_div_fmas_f32 v3, v3, v4, v6
	v_div_fixup_f32 v3, v3, s6, 1.0
	s_andn2_b64 vcc, exec, s[46:47]
	s_cbranch_vccnz .LBB417_22
.LBB417_21:
	s_add_u32 s0, s44, s48
	s_addc_u32 s1, s45, s49
	s_load_dword s34, s[0:1], 0x0
	s_mov_b32 s35, 0
.LBB417_22:
	s_waitcnt lgkmcnt(0)
	v_add_f32_e32 v2, 0x358637bd, v2
	v_div_scale_f32 v4, s[0:1], v2, v2, 1.0
	v_rcp_f32_e32 v5, v4
	v_div_scale_f32 v6, vcc, 1.0, v2, 1.0
	s_mul_i32 s0, s3, s35
	v_fma_f32 v7, -v4, v5, 1.0
	v_fmac_f32_e32 v5, v7, v5
	v_mul_f32_e32 v7, v6, v5
	v_fma_f32 v8, -v4, v7, v6
	v_fmac_f32_e32 v7, v8, v5
	v_fma_f32 v4, -v4, v7, v6
	s_mul_hi_u32 s1, s3, s34
	v_div_fmas_f32 v4, v4, v5, v7
	s_add_i32 s1, s1, s0
	s_mul_i32 s0, s3, s34
	v_div_fixup_f32 v2, v4, v2, 1.0
	s_lshl_b64 s[0:1], s[0:1], 6
	v_mul_f32_e32 v2, v110, v2
	s_add_u32 s4, s4, s0
	s_mov_b32 s3, 0
	v_mul_f32_e32 v2, v2, v3
	s_addc_u32 s5, s5, s1
	s_lshl_b64 s[0:1], s[2:3], 6
	s_mov_b32 s2, 0x7f800000
	s_mov_b32 s3, 0x43700000
	v_mov_b32_e32 v3, 0xc3700000
	v_med3_f32 v3, v2, s3, v3
	v_cmp_nlg_f32_e64 vcc, |v2|, s2
	s_add_u32 s0, s4, s0
	s_addc_u32 s1, s5, s1
	v_cndmask_b32_e32 v2, v3, v2, vcc
	v_mov_b32_e32 v3, 0
	v_cvt_pk_fp8_f32 v3, v2, v2
	v_lshl_add_u64 v[0:1], s[0:1], 0, v[0:1]
	global_store_byte v[0:1], v3, off
	s_endpgm
.LBB417_23:
	s_mov_b64 s[6:7], 0
	s_branch .LBB417_2
.LBB417_24:
	v_mov_b32_e32 v3, 1.0
	s_andn2_b64 vcc, exec, s[46:47]
	s_cbranch_vccz .LBB417_21
	s_branch .LBB417_22
	.section	.rodata,"a",@progbits
	.p2align	6, 0x0
	.amdhsa_kernel _Z35paged_attention_ll4mi_reduce_kernelI14__hip_bfloat16hLi64ELi64ELi256ELi14EEvPT0_PKfS4_PKT_PKiS9_iS4_
		.amdhsa_group_segment_fixed_size 3588
		.amdhsa_private_segment_fixed_size 0
		.amdhsa_kernarg_size 320
		.amdhsa_user_sgpr_count 2
		.amdhsa_user_sgpr_dispatch_ptr 0
		.amdhsa_user_sgpr_queue_ptr 0
		.amdhsa_user_sgpr_kernarg_segment_ptr 1
		.amdhsa_user_sgpr_dispatch_id 0
		.amdhsa_user_sgpr_kernarg_preload_length 0
		.amdhsa_user_sgpr_kernarg_preload_offset 0
		.amdhsa_user_sgpr_private_segment_size 0
		.amdhsa_uses_dynamic_stack 0
		.amdhsa_enable_private_segment 0
		.amdhsa_system_sgpr_workgroup_id_x 1
		.amdhsa_system_sgpr_workgroup_id_y 1
		.amdhsa_system_sgpr_workgroup_id_z 0
		.amdhsa_system_sgpr_workgroup_info 0
		.amdhsa_system_vgpr_workitem_id 0
		.amdhsa_next_free_vgpr 127
		.amdhsa_next_free_sgpr 57
		.amdhsa_accum_offset 128
		.amdhsa_reserve_vcc 1
		.amdhsa_float_round_mode_32 0
		.amdhsa_float_round_mode_16_64 0
		.amdhsa_float_denorm_mode_32 3
		.amdhsa_float_denorm_mode_16_64 3
		.amdhsa_dx10_clamp 1
		.amdhsa_ieee_mode 1
		.amdhsa_fp16_overflow 0
		.amdhsa_tg_split 0
		.amdhsa_exception_fp_ieee_invalid_op 0
		.amdhsa_exception_fp_denorm_src 0
		.amdhsa_exception_fp_ieee_div_zero 0
		.amdhsa_exception_fp_ieee_overflow 0
		.amdhsa_exception_fp_ieee_underflow 0
		.amdhsa_exception_fp_ieee_inexact 0
		.amdhsa_exception_int_div_zero 0
	.end_amdhsa_kernel
	.section	.text._Z35paged_attention_ll4mi_reduce_kernelI14__hip_bfloat16hLi64ELi64ELi256ELi14EEvPT0_PKfS4_PKT_PKiS9_iS4_,"axG",@progbits,_Z35paged_attention_ll4mi_reduce_kernelI14__hip_bfloat16hLi64ELi64ELi256ELi14EEvPT0_PKfS4_PKT_PKiS9_iS4_,comdat
.Lfunc_end417:
	.size	_Z35paged_attention_ll4mi_reduce_kernelI14__hip_bfloat16hLi64ELi64ELi256ELi14EEvPT0_PKfS4_PKT_PKiS9_iS4_, .Lfunc_end417-_Z35paged_attention_ll4mi_reduce_kernelI14__hip_bfloat16hLi64ELi64ELi256ELi14EEvPT0_PKfS4_PKT_PKiS9_iS4_
                                        ; -- End function
	.section	.AMDGPU.csdata,"",@progbits
; Kernel info:
; codeLenInByte = 10544
; NumSgprs: 63
; NumVgprs: 127
; NumAgprs: 0
; TotalNumVgprs: 127
; ScratchSize: 0
; MemoryBound: 0
; FloatMode: 240
; IeeeMode: 1
; LDSByteSize: 3588 bytes/workgroup (compile time only)
; SGPRBlocks: 7
; VGPRBlocks: 15
; NumSGPRsForWavesPerEU: 63
; NumVGPRsForWavesPerEU: 127
; AccumOffset: 128
; Occupancy: 4
; WaveLimiterHint : 1
; COMPUTE_PGM_RSRC2:SCRATCH_EN: 0
; COMPUTE_PGM_RSRC2:USER_SGPR: 2
; COMPUTE_PGM_RSRC2:TRAP_HANDLER: 0
; COMPUTE_PGM_RSRC2:TGID_X_EN: 1
; COMPUTE_PGM_RSRC2:TGID_Y_EN: 1
; COMPUTE_PGM_RSRC2:TGID_Z_EN: 0
; COMPUTE_PGM_RSRC2:TIDIG_COMP_CNT: 0
; COMPUTE_PGM_RSRC3_GFX90A:ACCUM_OFFSET: 31
; COMPUTE_PGM_RSRC3_GFX90A:TG_SPLIT: 0
	.section	.text._Z35paged_attention_ll4mi_reduce_kernelI14__hip_bfloat16hLi64ELi64ELi256ELi15EEvPT0_PKfS4_PKT_PKiS9_iS4_,"axG",@progbits,_Z35paged_attention_ll4mi_reduce_kernelI14__hip_bfloat16hLi64ELi64ELi256ELi15EEvPT0_PKfS4_PKT_PKiS9_iS4_,comdat
	.protected	_Z35paged_attention_ll4mi_reduce_kernelI14__hip_bfloat16hLi64ELi64ELi256ELi15EEvPT0_PKfS4_PKT_PKiS9_iS4_ ; -- Begin function _Z35paged_attention_ll4mi_reduce_kernelI14__hip_bfloat16hLi64ELi64ELi256ELi15EEvPT0_PKfS4_PKT_PKiS9_iS4_
	.globl	_Z35paged_attention_ll4mi_reduce_kernelI14__hip_bfloat16hLi64ELi64ELi256ELi15EEvPT0_PKfS4_PKT_PKiS9_iS4_
	.p2align	8
	.type	_Z35paged_attention_ll4mi_reduce_kernelI14__hip_bfloat16hLi64ELi64ELi256ELi15EEvPT0_PKfS4_PKT_PKiS9_iS4_,@function
_Z35paged_attention_ll4mi_reduce_kernelI14__hip_bfloat16hLi64ELi64ELi256ELi15EEvPT0_PKfS4_PKT_PKiS9_iS4_: ; @_Z35paged_attention_ll4mi_reduce_kernelI14__hip_bfloat16hLi64ELi64ELi256ELi15EEvPT0_PKfS4_PKT_PKiS9_iS4_
; %bb.0:
	s_load_dwordx2 s[46:47], s[0:1], 0x28
	s_mov_b32 s44, s3
	s_mov_b64 s[4:5], 0
	s_waitcnt lgkmcnt(0)
	s_cmp_lg_u64 s[46:47], 0
	s_cselect_b64 s[48:49], -1, 0
	s_and_b64 vcc, exec, s[48:49]
	s_cbranch_vccz .LBB418_23
; %bb.1:
	s_add_i32 s6, s44, 1
	s_mov_b32 s7, 0
	s_lshl_b64 s[8:9], s[6:7], 2
	s_add_u32 s8, s46, s8
	s_mov_b32 s45, s7
	s_addc_u32 s9, s47, s9
	s_lshl_b64 s[6:7], s[44:45], 2
	s_add_u32 s6, s46, s6
	s_addc_u32 s7, s47, s7
	s_load_dword s3, s[8:9], 0x0
	s_load_dword s10, s[6:7], 0x0
	s_waitcnt lgkmcnt(0)
	s_sub_i32 s3, s3, s10
	s_cmp_eq_u32 s3, 1
	s_cselect_b64 s[6:7], -1, 0
	s_andn2_b64 vcc, exec, s[4:5]
	s_cbranch_vccnz .LBB418_3
.LBB418_2:
	s_mov_b32 s45, 0
	s_mov_b64 s[6:7], -1
.LBB418_3:
	s_andn2_b64 vcc, exec, s[6:7]
	s_cbranch_vccz .LBB418_5
; %bb.4:
	s_endpgm
.LBB418_5:
	s_load_dwordx4 s[36:39], s[0:1], 0x18
	s_load_dword s8, s[0:1], 0x30
	s_lshl_b64 s[50:51], s[44:45], 2
	v_cmp_lt_u32_e32 vcc, 63, v0
	s_waitcnt lgkmcnt(0)
	s_add_u32 s4, s38, s50
	s_addc_u32 s5, s39, s51
	s_load_dword s58, s[4:5], 0x0
	s_load_dword s3, s[0:1], 0x40
	s_mul_i32 s38, s2, s8
	s_mul_i32 s6, s44, s8
	s_waitcnt lgkmcnt(0)
	s_add_i32 s7, s58, 0xff
	s_ashr_i32 s4, s7, 31
	s_lshr_b32 s4, s4, 24
	s_add_i32 s7, s7, s4
	s_and_saveexec_b64 s[4:5], vcc
	s_xor_b64 s[4:5], exec, s[4:5]
	s_or_saveexec_b64 s[52:53], s[4:5]
	s_ashr_i32 s33, s7, 8
	v_mov_b32_e32 v1, s38
	s_mul_i32 s54, s6, s3
	s_xor_b64 exec, exec, s[52:53]
	s_cbranch_execz .LBB418_9
; %bb.6:
	s_add_i32 s4, s33, -1
	v_or_b32_e32 v3, 64, v0
	v_mov_b32_e32 v1, s4
	v_cmp_gt_u32_e64 s[28:29], s33, v3
	s_load_dwordx4 s[40:43], s[0:1], 0x8
	s_mov_b32 s55, 0
	v_cndmask_b32_e64 v4, v1, v3, s[28:29]
	v_or_b32_e32 v3, 0x80, v0
	v_cmp_gt_u32_e64 s[26:27], s33, v3
	s_lshl_b64 s[56:57], s[54:55], 2
	s_mov_b32 s39, s55
	v_cndmask_b32_e64 v6, v1, v3, s[26:27]
	v_or_b32_e32 v3, 0xc0, v0
	v_cmp_gt_u32_e64 s[24:25], s33, v3
	v_cmp_gt_u32_e64 s[30:31], s33, v0
	s_waitcnt lgkmcnt(0)
	s_add_u32 s34, s42, s56
	v_cndmask_b32_e64 v8, v1, v3, s[24:25]
	v_or_b32_e32 v3, 0x100, v0
	v_cmp_gt_u32_e64 s[22:23], s33, v3
	v_cndmask_b32_e64 v2, v1, v0, s[30:31]
	s_addc_u32 s35, s43, s57
	v_cndmask_b32_e64 v10, v1, v3, s[22:23]
	v_or_b32_e32 v3, 0x140, v0
	v_cmp_gt_u32_e64 s[20:21], s33, v3
	s_lshl_b64 s[42:43], s[38:39], 2
	s_add_u32 s34, s34, s42
	v_cndmask_b32_e64 v12, v1, v3, s[20:21]
	v_or_b32_e32 v3, 0x180, v0
	v_cmp_gt_u32_e64 s[18:19], s33, v3
	s_addc_u32 s35, s35, s43
	v_ashrrev_i32_e32 v5, 31, v4
	v_cndmask_b32_e64 v14, v1, v3, s[18:19]
	v_or_b32_e32 v3, 0x1c0, v0
	v_cmp_gt_u32_e64 s[16:17], s33, v3
	v_ashrrev_i32_e32 v7, 31, v6
	v_ashrrev_i32_e32 v9, 31, v8
	v_cndmask_b32_e64 v16, v1, v3, s[16:17]
	v_or_b32_e32 v3, 0x200, v0
	v_cmp_gt_u32_e64 s[14:15], s33, v3
	v_ashrrev_i32_e32 v17, 31, v16
	;; [unrolled: 5-line block ×3, first 2 shown]
	v_ashrrev_i32_e32 v15, 31, v14
	v_cndmask_b32_e64 v20, v1, v3, s[12:13]
	v_or_b32_e32 v3, 0x280, v0
	v_cmp_gt_u32_e64 s[10:11], s33, v3
	v_lshlrev_b64 v[16:17], 2, v[16:17]
	v_lshlrev_b64 v[4:5], 2, v[4:5]
	v_cndmask_b32_e64 v22, v1, v3, s[10:11]
	v_or_b32_e32 v3, 0x2c0, v0
	v_cmp_gt_u32_e64 s[8:9], s33, v3
	v_lshlrev_b64 v[6:7], 2, v[6:7]
	v_lshlrev_b64 v[8:9], 2, v[8:9]
	;; [unrolled: 5-line block ×3, first 2 shown]
	v_cndmask_b32_e64 v26, v1, v3, s[6:7]
	v_or_b32_e32 v3, 0x340, v0
	v_cmp_gt_u32_e64 s[4:5], s33, v3
	v_lshlrev_b64 v[14:15], 2, v[14:15]
	v_lshl_add_u64 v[46:47], s[34:35], 0, v[16:17]
	v_cndmask_b32_e64 v28, v1, v3, s[4:5]
	v_or_b32_e32 v3, 0x380, v0
	v_cmp_gt_u32_e32 vcc, s33, v3
	v_lshl_add_u64 v[34:35], s[34:35], 0, v[4:5]
	v_lshl_add_u64 v[36:37], s[34:35], 0, v[6:7]
	v_cndmask_b32_e32 v30, v1, v3, vcc
	v_ashrrev_i32_e32 v3, 31, v2
	v_lshlrev_b64 v[2:3], 2, v[2:3]
	v_lshl_add_u64 v[32:33], s[34:35], 0, v[2:3]
	v_lshl_add_u64 v[38:39], s[34:35], 0, v[8:9]
	;; [unrolled: 1-line block ×5, first 2 shown]
	global_load_dword v1, v[32:33], off
	global_load_dword v48, v[34:35], off
	;; [unrolled: 1-line block ×7, first 2 shown]
	s_nop 0
	global_load_dword v46, v[46:47], off
	v_ashrrev_i32_e32 v19, 31, v18
	v_ashrrev_i32_e32 v21, 31, v20
	;; [unrolled: 1-line block ×4, first 2 shown]
	v_lshlrev_b64 v[18:19], 2, v[18:19]
	v_lshlrev_b64 v[20:21], 2, v[20:21]
	;; [unrolled: 1-line block ×4, first 2 shown]
	v_ashrrev_i32_e32 v27, 31, v26
	v_ashrrev_i32_e32 v29, 31, v28
	;; [unrolled: 1-line block ×3, first 2 shown]
	v_lshl_add_u64 v[32:33], s[34:35], 0, v[18:19]
	v_lshl_add_u64 v[34:35], s[34:35], 0, v[20:21]
	v_lshl_add_u64 v[36:37], s[34:35], 0, v[22:23]
	v_lshl_add_u64 v[38:39], s[34:35], 0, v[24:25]
	v_lshlrev_b64 v[26:27], 2, v[26:27]
	v_lshlrev_b64 v[28:29], 2, v[28:29]
	;; [unrolled: 1-line block ×3, first 2 shown]
	v_lshl_add_u64 v[40:41], s[34:35], 0, v[26:27]
	v_lshl_add_u64 v[42:43], s[34:35], 0, v[28:29]
	;; [unrolled: 1-line block ×3, first 2 shown]
	global_load_dword v32, v[32:33], off
	s_nop 0
	global_load_dword v33, v[34:35], off
	s_nop 0
	global_load_dword v34, v[36:37], off
	global_load_dword v35, v[38:39], off
	s_nop 0
	global_load_dword v36, v[40:41], off
	global_load_dword v37, v[42:43], off
	;; [unrolled: 1-line block ×3, first 2 shown]
	v_mbcnt_lo_u32_b32 v40, -1, 0
	v_mbcnt_hi_u32_b32 v40, -1, v40
	v_and_b32_e32 v41, 64, v40
	v_add_u32_e32 v41, 64, v41
	v_xor_b32_e32 v42, 32, v40
	v_cmp_lt_i32_e64 s[34:35], v42, v41
	s_mov_b32 s39, 0x3fb8aa3b
	s_waitcnt vmcnt(12)
	v_max3_f32 v39, v1, v48, v49
	v_cndmask_b32_e64 v42, v40, v42, s[34:35]
	s_waitcnt vmcnt(10)
	v_max3_f32 v39, v39, v50, v51
	v_lshlrev_b32_e32 v42, 2, v42
	s_waitcnt vmcnt(8)
	v_max3_f32 v39, v39, v52, v53
	s_waitcnt vmcnt(6)
	v_max3_f32 v39, v39, v46, v32
	;; [unrolled: 2-line block ×5, first 2 shown]
	ds_bpermute_b32 v43, v42, v39
	s_waitcnt lgkmcnt(0)
	v_max_f32_e32 v43, v43, v43
	v_max_f32_e32 v39, v39, v43
	v_xor_b32_e32 v43, 16, v40
	v_cmp_lt_i32_e64 s[34:35], v43, v41
	s_nop 1
	v_cndmask_b32_e64 v43, v40, v43, s[34:35]
	v_lshlrev_b32_e32 v43, 2, v43
	ds_bpermute_b32 v44, v43, v39
	s_waitcnt lgkmcnt(0)
	v_max_f32_e32 v44, v44, v44
	v_max_f32_e32 v39, v39, v44
	v_xor_b32_e32 v44, 8, v40
	v_cmp_lt_i32_e64 s[34:35], v44, v41
	s_nop 1
	v_cndmask_b32_e64 v44, v40, v44, s[34:35]
	v_lshlrev_b32_e32 v44, 2, v44
	ds_bpermute_b32 v45, v44, v39
	s_waitcnt lgkmcnt(0)
	v_max_f32_e32 v45, v45, v45
	v_max_f32_e32 v39, v39, v45
	v_xor_b32_e32 v45, 4, v40
	v_cmp_lt_i32_e64 s[34:35], v45, v41
	s_nop 1
	v_cndmask_b32_e64 v45, v40, v45, s[34:35]
	s_add_u32 s34, s40, s56
	s_addc_u32 s35, s41, s57
	s_add_u32 s40, s34, s42
	s_addc_u32 s41, s35, s43
	v_lshlrev_b32_e32 v45, 2, v45
	v_lshl_add_u64 v[2:3], s[40:41], 0, v[2:3]
	global_load_dword v47, v[2:3], off
	ds_bpermute_b32 v2, v45, v39
	s_waitcnt lgkmcnt(0)
	v_max_f32_e32 v2, v2, v2
	v_max_f32_e32 v39, v39, v2
	v_xor_b32_e32 v2, 2, v40
	v_cmp_lt_i32_e64 s[34:35], v2, v41
	s_nop 1
	v_cndmask_b32_e64 v2, v40, v2, s[34:35]
	v_lshlrev_b32_e32 v54, 2, v2
	ds_bpermute_b32 v55, v54, v39
	v_lshl_add_u64 v[2:3], s[40:41], 0, v[4:5]
	global_load_dword v56, v[2:3], off
	v_lshl_add_u64 v[4:5], s[40:41], 0, v[8:9]
	v_lshl_add_u64 v[8:9], s[40:41], 0, v[12:13]
	s_waitcnt lgkmcnt(0)
	v_max_f32_e32 v2, v55, v55
	v_max_f32_e32 v39, v39, v2
	v_xor_b32_e32 v2, 1, v40
	v_cmp_lt_i32_e64 s[34:35], v2, v41
	v_lshl_add_u64 v[12:13], s[40:41], 0, v[16:17]
	s_nop 0
	v_cndmask_b32_e64 v2, v40, v2, s[34:35]
	v_lshlrev_b32_e32 v40, 2, v2
	v_lshl_add_u64 v[2:3], s[40:41], 0, v[6:7]
	v_lshl_add_u64 v[6:7], s[40:41], 0, v[10:11]
	;; [unrolled: 1-line block ×3, first 2 shown]
	global_load_dword v16, v[2:3], off
	global_load_dword v17, v[4:5], off
	;; [unrolled: 1-line block ×6, first 2 shown]
	ds_bpermute_b32 v41, v40, v39
	v_lshl_add_u64 v[2:3], s[40:41], 0, v[18:19]
	v_lshl_add_u64 v[4:5], s[40:41], 0, v[20:21]
	;; [unrolled: 1-line block ×4, first 2 shown]
	s_waitcnt lgkmcnt(0)
	v_max_f32_e32 v18, v41, v41
	v_max_f32_e32 v18, v39, v18
	v_sub_f32_e32 v1, v1, v18
	v_lshl_add_u64 v[10:11], s[40:41], 0, v[26:27]
	v_mul_f32_e32 v19, 0x3fb8aa3b, v1
	v_lshl_add_u64 v[12:13], s[40:41], 0, v[28:29]
	v_lshl_add_u64 v[14:15], s[40:41], 0, v[30:31]
	v_fma_f32 v20, v1, s39, -v19
	v_rndne_f32_e32 v21, v19
	global_load_dword v2, v[2:3], off
	s_nop 0
	global_load_dword v3, v[4:5], off
	s_nop 0
	global_load_dword v4, v[6:7], off
	global_load_dword v5, v[8:9], off
	s_nop 0
	global_load_dword v6, v[10:11], off
	global_load_dword v7, v[12:13], off
	;; [unrolled: 1-line block ×3, first 2 shown]
	v_sub_f32_e32 v11, v48, v18
	v_fmac_f32_e32 v20, 0x32a5705f, v1
	v_sub_f32_e32 v19, v19, v21
	v_mul_f32_e32 v12, 0x3fb8aa3b, v11
	v_add_f32_e32 v19, v19, v20
	v_fma_f32 v13, v11, s39, -v12
	v_rndne_f32_e32 v14, v12
	v_exp_f32_e32 v19, v19
	v_cvt_i32_f32_e32 v20, v21
	v_fmac_f32_e32 v13, 0x32a5705f, v11
	v_sub_f32_e32 v12, v12, v14
	v_add_f32_e32 v12, v12, v13
	v_exp_f32_e32 v12, v12
	v_cvt_i32_f32_e32 v13, v14
	s_mov_b32 s40, 0xc2ce8ed0
	v_ldexp_f32 v9, v19, v20
	v_cmp_ngt_f32_e64 s[34:35], s40, v1
	s_mov_b32 s41, 0x42b17218
	v_mov_b32_e32 v10, 0x7f800000
	v_cndmask_b32_e64 v9, 0, v9, s[34:35]
	v_cmp_nlt_f32_e64 s[34:35], s41, v1
	s_nop 1
	v_cndmask_b32_e64 v1, v10, v9, s[34:35]
	v_ldexp_f32 v9, v12, v13
	v_sub_f32_e32 v12, v49, v18
	v_mul_f32_e32 v13, 0x3fb8aa3b, v12
	v_fma_f32 v14, v12, s39, -v13
	v_rndne_f32_e32 v15, v13
	v_fmac_f32_e32 v14, 0x32a5705f, v12
	v_sub_f32_e32 v13, v13, v15
	v_add_f32_e32 v13, v13, v14
	v_exp_f32_e32 v13, v13
	v_cvt_i32_f32_e32 v14, v15
	v_cndmask_b32_e64 v1, 0, v1, s[30:31]
	v_cmp_ngt_f32_e64 s[30:31], s40, v11
	s_waitcnt vmcnt(14)
	v_mul_f32_e32 v1, v47, v1
	v_cndmask_b32_e64 v9, 0, v9, s[30:31]
	v_cmp_nlt_f32_e64 s[30:31], s41, v11
	v_ldexp_f32 v11, v13, v14
	v_sub_f32_e32 v13, v50, v18
	v_mul_f32_e32 v14, 0x3fb8aa3b, v13
	v_fma_f32 v15, v13, s39, -v14
	v_rndne_f32_e32 v19, v14
	v_fmac_f32_e32 v15, 0x32a5705f, v13
	v_sub_f32_e32 v14, v14, v19
	v_add_f32_e32 v14, v14, v15
	v_exp_f32_e32 v14, v14
	v_cvt_i32_f32_e32 v15, v19
	v_cndmask_b32_e64 v9, v10, v9, s[30:31]
	v_cndmask_b32_e64 v9, 0, v9, s[28:29]
	v_cmp_ngt_f32_e64 s[28:29], s40, v12
	s_waitcnt vmcnt(13)
	v_mul_f32_e32 v9, v56, v9
	v_cndmask_b32_e64 v11, 0, v11, s[28:29]
	v_cmp_nlt_f32_e64 s[28:29], s41, v12
	v_ldexp_f32 v12, v14, v15
	v_sub_f32_e32 v14, v51, v18
	v_cndmask_b32_e64 v11, v10, v11, s[28:29]
	v_cndmask_b32_e64 v11, 0, v11, s[26:27]
	v_mul_f32_e32 v15, 0x3fb8aa3b, v14
	s_waitcnt vmcnt(12)
	v_mul_f32_e32 v11, v16, v11
	v_fma_f32 v16, v14, s39, -v15
	v_rndne_f32_e32 v19, v15
	v_fmac_f32_e32 v16, 0x32a5705f, v14
	v_sub_f32_e32 v15, v15, v19
	v_add_f32_e32 v15, v15, v16
	v_exp_f32_e32 v15, v15
	v_cvt_i32_f32_e32 v16, v19
	v_cmp_ngt_f32_e64 s[26:27], s40, v13
	s_nop 1
	v_cndmask_b32_e64 v12, 0, v12, s[26:27]
	v_cmp_nlt_f32_e64 s[26:27], s41, v13
	v_ldexp_f32 v13, v15, v16
	v_sub_f32_e32 v15, v52, v18
	v_cndmask_b32_e64 v12, v10, v12, s[26:27]
	v_cndmask_b32_e64 v12, 0, v12, s[24:25]
	v_mul_f32_e32 v16, 0x3fb8aa3b, v15
	s_waitcnt vmcnt(11)
	v_mul_f32_e32 v12, v17, v12
	v_fma_f32 v17, v15, s39, -v16
	v_rndne_f32_e32 v19, v16
	v_fmac_f32_e32 v17, 0x32a5705f, v15
	v_sub_f32_e32 v16, v16, v19
	v_add_f32_e32 v16, v16, v17
	v_exp_f32_e32 v16, v16
	v_cvt_i32_f32_e32 v17, v19
	v_cmp_ngt_f32_e64 s[24:25], s40, v14
	s_nop 1
	v_cndmask_b32_e64 v13, 0, v13, s[24:25]
	v_cmp_nlt_f32_e64 s[24:25], s41, v14
	v_ldexp_f32 v14, v16, v17
	v_sub_f32_e32 v16, v53, v18
	v_mul_f32_e32 v17, 0x3fb8aa3b, v16
	v_fma_f32 v19, v16, s39, -v17
	v_rndne_f32_e32 v20, v17
	v_fmac_f32_e32 v19, 0x32a5705f, v16
	v_sub_f32_e32 v17, v17, v20
	v_add_f32_e32 v17, v17, v19
	v_exp_f32_e32 v17, v17
	v_cvt_i32_f32_e32 v19, v20
	v_cndmask_b32_e64 v13, v10, v13, s[24:25]
	v_cndmask_b32_e64 v13, 0, v13, s[22:23]
	v_cmp_ngt_f32_e64 s[22:23], s40, v15
	s_waitcnt vmcnt(10)
	v_mul_f32_e32 v13, v55, v13
	v_cndmask_b32_e64 v14, 0, v14, s[22:23]
	v_cmp_nlt_f32_e64 s[22:23], s41, v15
	v_ldexp_f32 v15, v17, v19
	v_sub_f32_e32 v17, v46, v18
	v_mul_f32_e32 v19, 0x3fb8aa3b, v17
	v_fma_f32 v20, v17, s39, -v19
	v_rndne_f32_e32 v21, v19
	v_fmac_f32_e32 v20, 0x32a5705f, v17
	v_sub_f32_e32 v19, v19, v21
	v_add_f32_e32 v19, v19, v20
	v_exp_f32_e32 v19, v19
	v_cvt_i32_f32_e32 v20, v21
	v_cndmask_b32_e64 v14, v10, v14, s[22:23]
	v_cndmask_b32_e64 v14, 0, v14, s[20:21]
	v_cmp_ngt_f32_e64 s[20:21], s40, v16
	s_waitcnt vmcnt(9)
	v_mul_f32_e32 v14, v57, v14
	;; [unrolled: 17-line block ×3, first 2 shown]
	v_cndmask_b32_e64 v16, 0, v16, s[18:19]
	v_cmp_nlt_f32_e64 s[18:19], s41, v17
	v_ldexp_f32 v17, v20, v21
	v_sub_f32_e32 v20, v33, v18
	v_mul_f32_e32 v21, 0x3fb8aa3b, v20
	v_fma_f32 v22, v20, s39, -v21
	v_rndne_f32_e32 v23, v21
	v_fmac_f32_e32 v22, 0x32a5705f, v20
	v_sub_f32_e32 v21, v21, v23
	v_cndmask_b32_e64 v16, v10, v16, s[18:19]
	v_add_f32_e32 v21, v21, v22
	v_cndmask_b32_e64 v16, 0, v16, s[16:17]
	v_cmp_ngt_f32_e64 s[16:17], s40, v19
	v_exp_f32_e32 v21, v21
	v_cvt_i32_f32_e32 v22, v23
	v_cndmask_b32_e64 v17, 0, v17, s[16:17]
	v_cmp_nlt_f32_e64 s[16:17], s41, v19
	v_sub_f32_e32 v19, v34, v18
	s_waitcnt vmcnt(7)
	v_mul_f32_e32 v16, v59, v16
	v_cndmask_b32_e64 v17, v10, v17, s[16:17]
	v_cndmask_b32_e64 v17, 0, v17, s[14:15]
	s_waitcnt vmcnt(6)
	v_mul_f32_e32 v2, v2, v17
	v_ldexp_f32 v17, v21, v22
	v_mul_f32_e32 v21, 0x3fb8aa3b, v19
	v_fma_f32 v22, v19, s39, -v21
	v_rndne_f32_e32 v23, v21
	v_fmac_f32_e32 v22, 0x32a5705f, v19
	v_sub_f32_e32 v21, v21, v23
	v_add_f32_e32 v21, v21, v22
	v_cmp_ngt_f32_e64 s[14:15], s40, v20
	v_exp_f32_e32 v21, v21
	v_cvt_i32_f32_e32 v22, v23
	v_cndmask_b32_e64 v17, 0, v17, s[14:15]
	v_cmp_nlt_f32_e64 s[14:15], s41, v20
	v_sub_f32_e32 v20, v35, v18
	s_nop 0
	v_cndmask_b32_e64 v17, v10, v17, s[14:15]
	v_cndmask_b32_e64 v17, 0, v17, s[12:13]
	s_waitcnt vmcnt(5)
	v_mul_f32_e32 v3, v3, v17
	v_ldexp_f32 v17, v21, v22
	v_mul_f32_e32 v21, 0x3fb8aa3b, v20
	v_fma_f32 v22, v20, s39, -v21
	v_rndne_f32_e32 v23, v21
	v_fmac_f32_e32 v22, 0x32a5705f, v20
	v_sub_f32_e32 v21, v21, v23
	v_add_f32_e32 v21, v21, v22
	v_cmp_ngt_f32_e64 s[12:13], s40, v19
	v_exp_f32_e32 v21, v21
	v_cvt_i32_f32_e32 v22, v23
	v_cndmask_b32_e64 v17, 0, v17, s[12:13]
	v_cmp_nlt_f32_e64 s[12:13], s41, v19
	v_sub_f32_e32 v19, v36, v18
	s_nop 0
	v_cndmask_b32_e64 v17, v10, v17, s[12:13]
	v_cndmask_b32_e64 v17, 0, v17, s[10:11]
	s_waitcnt vmcnt(4)
	v_mul_f32_e32 v4, v4, v17
	v_ldexp_f32 v17, v21, v22
	v_mul_f32_e32 v21, 0x3fb8aa3b, v19
	v_fma_f32 v22, v19, s39, -v21
	v_rndne_f32_e32 v23, v21
	v_fmac_f32_e32 v22, 0x32a5705f, v19
	v_sub_f32_e32 v21, v21, v23
	v_add_f32_e32 v21, v21, v22
	v_exp_f32_e32 v21, v21
	v_cvt_i32_f32_e32 v22, v23
	v_cmp_ngt_f32_e64 s[10:11], s40, v20
	s_nop 1
	v_cndmask_b32_e64 v17, 0, v17, s[10:11]
	v_cmp_nlt_f32_e64 s[10:11], s41, v20
	v_ldexp_f32 v20, v21, v22
	v_sub_f32_e32 v21, v37, v18
	v_mul_f32_e32 v22, 0x3fb8aa3b, v21
	v_fma_f32 v23, v21, s39, -v22
	v_rndne_f32_e32 v24, v22
	v_fmac_f32_e32 v23, 0x32a5705f, v21
	v_sub_f32_e32 v22, v22, v24
	v_add_f32_e32 v22, v22, v23
	v_exp_f32_e32 v22, v22
	v_cvt_i32_f32_e32 v23, v24
	v_cndmask_b32_e64 v17, v10, v17, s[10:11]
	v_cndmask_b32_e64 v17, 0, v17, s[8:9]
	v_cmp_ngt_f32_e64 s[8:9], s40, v19
	v_sub_f32_e32 v18, v38, v18
	s_nop 0
	v_cndmask_b32_e64 v20, 0, v20, s[8:9]
	v_cmp_nlt_f32_e64 s[8:9], s41, v19
	s_nop 1
	v_cndmask_b32_e64 v19, v10, v20, s[8:9]
	v_ldexp_f32 v20, v22, v23
	v_mul_f32_e32 v22, 0x3fb8aa3b, v18
	v_fma_f32 v23, v18, s39, -v22
	v_rndne_f32_e32 v24, v22
	v_fmac_f32_e32 v23, 0x32a5705f, v18
	v_sub_f32_e32 v22, v22, v24
	v_add_f32_e32 v22, v22, v23
	v_exp_f32_e32 v22, v22
	v_cvt_i32_f32_e32 v23, v24
	v_cndmask_b32_e64 v19, 0, v19, s[6:7]
	v_cmp_ngt_f32_e64 s[6:7], s40, v21
	s_nop 1
	v_cndmask_b32_e64 v20, 0, v20, s[6:7]
	v_cmp_nlt_f32_e64 s[6:7], s41, v21
	v_ldexp_f32 v21, v22, v23
	s_nop 0
	v_cndmask_b32_e64 v20, v10, v20, s[6:7]
	v_cndmask_b32_e64 v20, 0, v20, s[4:5]
	v_cmp_ngt_f32_e64 s[4:5], s40, v18
	s_nop 1
	v_cndmask_b32_e64 v21, 0, v21, s[4:5]
	v_cmp_nlt_f32_e64 s[4:5], s41, v18
	v_add_f32_e32 v18, v1, v9
	v_add_f32_e32 v18, v18, v11
	v_add_f32_e32 v18, v18, v12
	v_add_f32_e32 v18, v18, v13
	v_add_f32_e32 v18, v18, v14
	v_add_f32_e32 v18, v18, v15
	v_add_f32_e32 v18, v18, v16
	v_add_f32_e32 v18, v18, v2
	v_add_f32_e32 v18, v18, v3
	v_add_f32_e32 v18, v18, v4
	s_waitcnt vmcnt(3)
	v_fmac_f32_e32 v18, v5, v17
	v_cndmask_b32_e64 v10, v10, v21, s[4:5]
	s_waitcnt vmcnt(2)
	v_fmac_f32_e32 v18, v6, v19
	v_cndmask_b32_e32 v10, 0, v10, vcc
	s_waitcnt vmcnt(1)
	v_fmac_f32_e32 v18, v7, v20
	s_waitcnt vmcnt(0)
	v_fmac_f32_e32 v18, v8, v10
	ds_bpermute_b32 v21, v42, v18
	v_mul_f32_e32 v5, v5, v17
	v_mul_f32_e32 v8, v8, v10
	v_lshlrev_b32_e32 v10, 2, v0
	ds_write2st64_b32 v10, v1, v9 offset1:1
	s_waitcnt lgkmcnt(1)
	v_add_f32_e32 v18, v18, v21
	ds_bpermute_b32 v21, v43, v18
	ds_write2st64_b32 v10, v11, v12 offset0:2 offset1:3
	ds_write2st64_b32 v10, v13, v14 offset0:4 offset1:5
	;; [unrolled: 1-line block ×4, first 2 shown]
	v_cmp_eq_u32_e32 vcc, 0, v0
	v_mul_f32_e32 v6, v6, v19
	v_mul_f32_e32 v7, v7, v20
	s_waitcnt lgkmcnt(4)
	v_add_f32_e32 v18, v18, v21
	ds_bpermute_b32 v21, v44, v18
	ds_write2st64_b32 v10, v4, v5 offset0:10 offset1:11
	ds_write2st64_b32 v10, v6, v7 offset0:12 offset1:13
	ds_write_b32 v10, v8 offset:3584
	s_waitcnt lgkmcnt(3)
	v_add_f32_e32 v17, v18, v21
	ds_bpermute_b32 v18, v45, v17
	s_waitcnt lgkmcnt(0)
	v_add_f32_e32 v1, v17, v18
	ds_bpermute_b32 v9, v54, v1
	;; [unrolled: 3-line block ×3, first 2 shown]
	s_and_saveexec_b64 s[4:5], vcc
	s_cbranch_execz .LBB418_8
; %bb.7:
	s_waitcnt lgkmcnt(0)
	v_add_f32_e32 v1, v1, v2
	v_mov_b32_e32 v2, 0
	ds_write_b32 v2, v1 offset:3840
.LBB418_8:
	s_or_b64 exec, exec, s[4:5]
	v_mov_b32_e32 v1, s38
.LBB418_9:
	s_or_b64 exec, exec, s[52:53]
	s_lshl_b32 s4, s54, 6
	s_mov_b32 s5, 0
	s_lshl_b64 s[4:5], s[4:5], 1
	s_add_u32 s4, s36, s4
	s_addc_u32 s5, s37, s5
	s_lshl_b32 s10, s33, 6
	s_waitcnt lgkmcnt(0)
	v_lshlrev_b32_e32 v2, 6, v1
	v_mov_b32_e32 v1, 0
	s_sub_i32 s11, s10, 64
	v_mov_b32_e32 v3, v1
	s_cmp_lt_i32 s58, 1
	v_lshl_add_u64 v[2:3], v[2:3], 1, s[4:5]
	s_cselect_b32 s4, s11, 0
	v_lshlrev_b32_e32 v4, 1, v0
	v_mov_b32_e32 v5, v1
	s_ashr_i32 s5, s4, 31
	v_lshl_add_u64 v[2:3], v[2:3], 0, v[4:5]
	s_cmpk_lt_i32 s58, 0x101
	v_lshl_add_u64 v[4:5], s[4:5], 1, v[2:3]
	s_cselect_b32 s4, s11, 64
	s_ashr_i32 s5, s4, 31
	s_cmpk_lt_i32 s58, 0x201
	v_lshl_add_u64 v[6:7], s[4:5], 1, v[2:3]
	s_cselect_b32 s4, s11, 0x80
	s_ashr_i32 s5, s4, 31
	;; [unrolled: 4-line block ×8, first 2 shown]
	s_cmpk_lt_i32 s58, 0x901
	global_load_ushort v23, v[4:5], off
	global_load_ushort v22, v[6:7], off
	;; [unrolled: 1-line block ×8, first 2 shown]
	v_lshl_add_u64 v[4:5], s[4:5], 1, v[2:3]
	s_cselect_b32 s4, s11, 0x240
	s_ashr_i32 s5, s4, 31
	s_cmpk_lt_i32 s58, 0xa01
	v_lshl_add_u64 v[6:7], s[4:5], 1, v[2:3]
	s_cselect_b32 s4, s11, 0x280
	s_ashr_i32 s5, s4, 31
	s_cmpk_lt_i32 s58, 0xb01
	;; [unrolled: 4-line block ×6, first 2 shown]
	v_lshl_add_u64 v[32:33], s[4:5], 1, v[2:3]
	s_cselect_b32 s4, s11, 0x3c0
	s_ashr_i32 s5, s4, 31
	v_lshl_add_u64 v[34:35], s[4:5], 1, v[2:3]
	global_load_ushort v30, v[4:5], off
	global_load_ushort v31, v[6:7], off
	;; [unrolled: 1-line block ×8, first 2 shown]
	s_cmpk_gt_i32 s58, 0x1000
	s_cselect_b64 s[8:9], -1, 0
	s_cmpk_lt_i32 s58, 0x1001
	v_mov_b32_e32 v40, 0
	v_mov_b32_e32 v41, 0
	;; [unrolled: 1-line block ×48, first 2 shown]
	s_waitcnt lgkmcnt(0)
	; wave barrier
	s_cbranch_scc1 .LBB418_12
; %bb.10:
	s_cmpk_lt_u32 s58, 0x1101
	s_cselect_b32 s4, s11, 0x440
	s_ashr_i32 s5, s4, 31
	s_cmpk_lt_u32 s58, 0x1201
	v_lshl_add_u64 v[4:5], s[4:5], 1, v[2:3]
	s_cselect_b32 s4, s11, 0x480
	s_ashr_i32 s5, s4, 31
	s_cmpk_lt_u32 s58, 0x1301
	v_lshl_add_u64 v[6:7], s[4:5], 1, v[2:3]
	;; [unrolled: 4-line block ×7, first 2 shown]
	s_cselect_b32 s4, s11, 0x600
	s_ashr_i32 s5, s4, 31
	s_cmpk_lt_u32 s58, 0x1901
	global_load_ushort v39, v[2:3], off offset:2048
	global_load_ushort v38, v[4:5], off
	global_load_ushort v37, v[6:7], off
	;; [unrolled: 1-line block ×7, first 2 shown]
	v_lshl_add_u64 v[4:5], s[4:5], 1, v[2:3]
	s_cselect_b32 s4, s11, 0x640
	s_ashr_i32 s5, s4, 31
	s_cmpk_lt_u32 s58, 0x1a01
	v_lshl_add_u64 v[6:7], s[4:5], 1, v[2:3]
	s_cselect_b32 s4, s11, 0x680
	s_ashr_i32 s5, s4, 31
	s_cmpk_lt_u32 s58, 0x1b01
	;; [unrolled: 4-line block ×6, first 2 shown]
	v_lshl_add_u64 v[48:49], s[4:5], 1, v[2:3]
	s_cselect_b32 s4, s11, 0x7c0
	s_ashr_i32 s5, s4, 31
	v_lshl_add_u64 v[50:51], s[4:5], 1, v[2:3]
	global_load_ushort v47, v[4:5], off
	global_load_ushort v46, v[6:7], off
	;; [unrolled: 1-line block ×8, first 2 shown]
	s_cmpk_lt_u32 s58, 0x2001
	v_mov_b32_e32 v67, 0
	v_mov_b32_e32 v65, 0
	;; [unrolled: 1-line block ×32, first 2 shown]
	s_cbranch_scc1 .LBB418_12
; %bb.11:
	s_cmpk_lt_u32 s58, 0x2101
	s_cselect_b32 s4, s11, 0x840
	s_ashr_i32 s5, s4, 31
	s_cmpk_lt_u32 s58, 0x2201
	v_lshl_add_u64 v[4:5], s[4:5], 1, v[2:3]
	s_cselect_b32 s4, s11, 0x880
	s_ashr_i32 s5, s4, 31
	s_cmpk_lt_u32 s58, 0x2301
	v_lshl_add_u64 v[6:7], s[4:5], 1, v[2:3]
	;; [unrolled: 4-line block ×29, first 2 shown]
	s_cselect_b32 s4, s11, 0xf80
	s_ashr_i32 s5, s4, 31
	v_lshl_add_u64 v[94:95], s[4:5], 1, v[2:3]
	s_movk_i32 s4, 0x1000
	s_cmpk_lt_u32 s58, 0x3f01
	v_add_co_u32_e32 v96, vcc, s4, v2
	s_cselect_b32 s4, s11, 0xfc0
	s_nop 0
	v_addc_co_u32_e32 v97, vcc, 0, v3, vcc
	s_ashr_i32 s5, s4, 31
	global_load_ushort v98, v[96:97], off
	global_load_ushort v99, v[4:5], off
	;; [unrolled: 1-line block ×15, first 2 shown]
                                        ; kill: killed $vgpr52_vgpr53
                                        ; kill: killed $vgpr4_vgpr5
                                        ; kill: killed $vgpr58_vgpr59
                                        ; kill: killed $vgpr10_vgpr11
                                        ; kill: killed $vgpr48_vgpr49
                                        ; kill: killed $vgpr54_vgpr55
                                        ; kill: killed $vgpr6_vgpr7
                                        ; kill: killed $vgpr60_vgpr61
                                        ; kill: killed $vgpr12_vgpr13
                                        ; kill: killed $vgpr50_vgpr51
                                        ; kill: killed $vgpr56_vgpr57
                                        ; kill: killed $vgpr8_vgpr9
                                        ; kill: killed $vgpr62_vgpr63
                                        ; kill: killed $vgpr14_vgpr15
                                        ; kill: killed $vgpr96 killed $vgpr97
	global_load_ushort v6, v[64:65], off
	global_load_ushort v7, v[66:67], off
	;; [unrolled: 1-line block ×15, first 2 shown]
                                        ; kill: killed $vgpr84_vgpr85
                                        ; kill: killed $vgpr68_vgpr69
                                        ; kill: killed $vgpr90_vgpr91
                                        ; kill: killed $vgpr74_vgpr75
                                        ; kill: killed $vgpr80_vgpr81
                                        ; kill: killed $vgpr64_vgpr65
                                        ; kill: killed $vgpr70_vgpr71
                                        ; kill: killed $vgpr92_vgpr93
                                        ; kill: killed $vgpr76_vgpr77
                                        ; kill: killed $vgpr82_vgpr83
                                        ; kill: killed $vgpr66_vgpr67
                                        ; kill: killed $vgpr88_vgpr89
                                        ; kill: killed $vgpr72_vgpr73
                                        ; kill: killed $vgpr94_vgpr95
                                        ; kill: killed $vgpr78_vgpr79
	global_load_ushort v68, v[86:87], off
	v_lshl_add_u64 v[4:5], s[4:5], 1, v[2:3]
	global_load_ushort v5, v[4:5], off
	s_waitcnt vmcnt(31)
	v_lshlrev_b32_e32 v67, 16, v98
	s_waitcnt vmcnt(30)
	v_lshlrev_b32_e32 v65, 16, v99
	;; [unrolled: 2-line block ×32, first 2 shown]
.LBB418_12:
	s_load_dwordx2 s[4:5], s[0:1], 0x0
	s_load_dwordx2 s[6:7], s[0:1], 0x38
	ds_read_b128 v[68:71], v1
	s_waitcnt vmcnt(15)
	v_lshlrev_b32_e32 v23, 16, v23
	ds_read_b128 v[72:75], v1 offset:16
	ds_read_b128 v[76:79], v1 offset:32
	;; [unrolled: 1-line block ×3, first 2 shown]
	s_waitcnt vmcnt(14)
	v_lshlrev_b32_e32 v22, 16, v22
	s_waitcnt vmcnt(13)
	v_lshlrev_b32_e32 v21, 16, v21
	s_waitcnt lgkmcnt(0)
	v_fma_f32 v23, v68, v23, 0
	v_fmac_f32_e32 v23, v69, v22
	v_fmac_f32_e32 v23, v70, v21
	s_waitcnt vmcnt(12)
	v_lshlrev_b32_e32 v20, 16, v20
	s_waitcnt vmcnt(10)
	v_lshlrev_b32_e32 v19, 16, v19
	v_lshlrev_b32_e32 v18, 16, v18
	v_fmac_f32_e32 v23, v71, v20
	v_pk_mul_f32 v[18:19], v[72:73], v[18:19]
	s_waitcnt vmcnt(8)
	v_lshlrev_b32_e32 v17, 16, v17
	v_add_f32_e32 v18, v23, v18
	v_lshlrev_b32_e32 v16, 16, v16
	v_add_f32_e32 v18, v18, v19
	v_pk_mul_f32 v[16:17], v[74:75], v[16:17]
	s_and_b64 vcc, exec, s[8:9]
	v_add_f32_e32 v16, v18, v16
	v_add_f32_e32 v18, v16, v17
	s_waitcnt vmcnt(6)
	v_lshlrev_b32_e32 v17, 16, v31
	v_lshlrev_b32_e32 v16, 16, v30
	v_pk_mul_f32 v[16:17], v[76:77], v[16:17]
	s_nop 0
	v_add_f32_e32 v16, v18, v16
	v_add_f32_e32 v18, v16, v17
	s_waitcnt vmcnt(4)
	v_lshlrev_b32_e32 v17, 16, v29
	v_lshlrev_b32_e32 v16, 16, v28
	v_pk_mul_f32 v[16:17], v[78:79], v[16:17]
	s_nop 0
	v_add_f32_e32 v16, v18, v16
	v_add_f32_e32 v18, v16, v17
	s_waitcnt vmcnt(2)
	v_lshlrev_b32_e32 v17, 16, v27
	v_lshlrev_b32_e32 v16, 16, v26
	v_pk_mul_f32 v[16:17], v[80:81], v[16:17]
	s_nop 0
	v_add_f32_e32 v16, v18, v16
	v_add_f32_e32 v18, v16, v17
	s_waitcnt vmcnt(0)
	v_lshlrev_b32_e32 v17, 16, v25
	v_lshlrev_b32_e32 v16, 16, v24
	v_pk_mul_f32 v[16:17], v[82:83], v[16:17]
	s_nop 0
	v_add_f32_e32 v16, v18, v16
	v_add_f32_e32 v110, v16, v17
	s_cbranch_vccz .LBB418_15
; %bb.13:
	ds_read_b128 v[16:19], v1 offset:64
	v_lshlrev_b32_e32 v39, 16, v39
	ds_read_b128 v[20:23], v1 offset:80
	ds_read_b128 v[24:27], v1 offset:96
	;; [unrolled: 1-line block ×3, first 2 shown]
	s_cmpk_lt_u32 s58, 0x2001
	s_waitcnt lgkmcnt(3)
	v_fmac_f32_e32 v110, v16, v39
	v_lshlrev_b32_e32 v16, 16, v38
	v_fmac_f32_e32 v110, v17, v16
	v_lshlrev_b32_e32 v16, 16, v37
	v_fmac_f32_e32 v110, v18, v16
	v_lshlrev_b32_e32 v16, 16, v36
	v_fmac_f32_e32 v110, v19, v16
	v_lshlrev_b32_e32 v16, 16, v35
	s_waitcnt lgkmcnt(2)
	v_fmac_f32_e32 v110, v20, v16
	v_lshlrev_b32_e32 v16, 16, v34
	v_fmac_f32_e32 v110, v21, v16
	v_lshlrev_b32_e32 v16, 16, v33
	v_fmac_f32_e32 v110, v22, v16
	v_lshlrev_b32_e32 v16, 16, v32
	v_fmac_f32_e32 v110, v23, v16
	v_lshlrev_b32_e32 v16, 16, v47
	;; [unrolled: 9-line block ×3, first 2 shown]
	s_waitcnt lgkmcnt(0)
	v_fmac_f32_e32 v110, v28, v16
	v_lshlrev_b32_e32 v16, 16, v42
	v_fmac_f32_e32 v110, v29, v16
	v_lshlrev_b32_e32 v16, 16, v41
	v_fmac_f32_e32 v110, v30, v16
	v_lshlrev_b32_e32 v16, 16, v40
	v_fmac_f32_e32 v110, v31, v16
	s_cbranch_scc1 .LBB418_15
; %bb.14:
	v_mov_b32_e32 v32, 0
	ds_read_b128 v[16:19], v32 offset:128
	ds_read_b128 v[20:23], v32 offset:144
	;; [unrolled: 1-line block ×4, first 2 shown]
	s_waitcnt lgkmcnt(3)
	v_fmac_f32_e32 v110, v16, v67
	v_fmac_f32_e32 v110, v17, v65
	v_fmac_f32_e32 v110, v18, v66
	v_fmac_f32_e32 v110, v19, v63
	s_waitcnt lgkmcnt(2)
	v_fmac_f32_e32 v110, v20, v64
	v_fmac_f32_e32 v110, v21, v61
	v_fmac_f32_e32 v110, v22, v62
	v_fmac_f32_e32 v110, v23, v59
	;; [unrolled: 5-line block ×3, first 2 shown]
	ds_read_b128 v[16:19], v32 offset:192
	ds_read_b128 v[20:23], v32 offset:208
	s_waitcnt lgkmcnt(2)
	v_fmac_f32_e32 v110, v28, v56
	v_fmac_f32_e32 v110, v29, v53
	;; [unrolled: 1-line block ×4, first 2 shown]
	s_waitcnt lgkmcnt(1)
	v_fmac_f32_e32 v110, v16, v51
	v_fmac_f32_e32 v110, v17, v49
	;; [unrolled: 1-line block ×4, first 2 shown]
	s_waitcnt lgkmcnt(0)
	v_pk_mul_f32 v[14:15], v[20:21], v[14:15]
	v_pk_mul_f32 v[12:13], v[22:23], v[12:13]
	v_add_f32_e32 v14, v110, v14
	v_add_f32_e32 v18, v14, v15
	ds_read_b128 v[14:17], v32 offset:224
	v_add_f32_e32 v12, v18, v12
	ds_read_b128 v[18:21], v32 offset:240
	v_add_f32_e32 v12, v12, v13
	s_waitcnt lgkmcnt(1)
	v_pk_mul_f32 v[10:11], v[14:15], v[10:11]
	s_nop 0
	v_add_f32_e32 v10, v12, v10
	v_add_f32_e32 v10, v10, v11
	v_pk_mul_f32 v[8:9], v[16:17], v[8:9]
	s_waitcnt lgkmcnt(0)
	v_pk_mul_f32 v[6:7], v[18:19], v[6:7]
	v_add_f32_e32 v8, v10, v8
	v_add_f32_e32 v8, v8, v9
	;; [unrolled: 1-line block ×4, first 2 shown]
	v_pk_mul_f32 v[4:5], v[20:21], v[4:5]
	s_nop 0
	v_add_f32_e32 v4, v6, v4
	v_add_f32_e32 v110, v4, v5
.LBB418_15:
	s_movk_i32 s0, 0x1fc0
	s_movk_i32 s1, 0x100
	s_mov_b32 s8, 64
	s_branch .LBB418_17
.LBB418_16:                             ;   in Loop: Header=BB418_17 Depth=1
	s_addk_i32 s0, 0x1000
	s_addk_i32 s1, 0x100
	s_add_i32 s8, s8, 64
	s_cmpk_eq_u32 s0, 0xffc0
	s_cbranch_scc1 .LBB418_19
.LBB418_17:                             ; =>This Inner Loop Header: Depth=1
	s_cmp_le_i32 s33, s8
	s_cbranch_scc1 .LBB418_16
; %bb.18:                               ;   in Loop: Header=BB418_17 Depth=1
	s_add_i32 s9, s0, 0xfffff040
	s_cmp_lt_i32 s9, s10
	s_cselect_b32 s12, s9, s11
	s_ashr_i32 s13, s12, 31
	s_add_i32 s9, s0, 0xfffff080
	s_cmp_lt_i32 s9, s10
	v_lshl_add_u64 v[44:45], s[12:13], 1, v[2:3]
	s_cselect_b32 s12, s9, s11
	s_ashr_i32 s13, s12, 31
	s_add_i32 s9, s0, 0xfffff0c0
	s_cmp_lt_i32 s9, s10
	v_lshl_add_u64 v[4:5], s[12:13], 1, v[2:3]
	;; [unrolled: 5-line block ×17, first 2 shown]
	s_cselect_b32 s12, s9, s11
	s_ashr_i32 s13, s12, 31
	s_add_i32 s9, s0, 0xfffff4c0
	s_cmp_lt_i32 s9, s10
	global_load_ushort v111, v[44:45], off
	global_load_ushort v121, v[46:47], off
	v_lshl_add_u64 v[22:23], s[12:13], 1, v[2:3]
	s_cselect_b32 s12, s9, s11
	global_load_ushort v112, v[4:5], off
	global_load_ushort v113, v[6:7], off
	;; [unrolled: 1-line block ×7, first 2 shown]
	s_ashr_i32 s13, s12, 31
	s_add_i32 s9, s0, 0xfffff500
	s_cmp_lt_i32 s9, s10
	v_lshl_add_u64 v[24:25], s[12:13], 1, v[2:3]
	s_cselect_b32 s12, s9, s11
	s_ashr_i32 s13, s12, 31
	s_add_i32 s9, s0, 0xfffff540
	s_cmp_lt_i32 s9, s10
	v_lshl_add_u64 v[32:33], s[12:13], 1, v[2:3]
	s_cselect_b32 s12, s9, s11
	;; [unrolled: 5-line block ×3, first 2 shown]
	s_ashr_i32 s13, s12, 31
	s_add_i32 s9, s0, 0xfffff5c0
	s_cmp_lt_i32 s9, s10
	global_load_ushort v119, v[28:29], off
	global_load_ushort v120, v[30:31], off
	v_lshl_add_u64 v[34:35], s[12:13], 1, v[2:3]
	s_cselect_b32 s12, s9, s11
	s_ashr_i32 s13, s12, 31
	s_add_i32 s9, s0, 0xfffff600
	s_cmp_lt_i32 s9, s10
	v_lshl_add_u64 v[36:37], s[12:13], 1, v[2:3]
	s_cselect_b32 s12, s9, s11
	s_ashr_i32 s13, s12, 31
	s_add_i32 s9, s0, 0xfffff640
	s_cmp_lt_i32 s9, s10
	v_lshl_add_u64 v[50:51], s[12:13], 1, v[2:3]
	s_cselect_b32 s12, s9, s11
	global_load_ushort v122, v[54:55], off
	global_load_ushort v123, v[56:57], off
	s_ashr_i32 s13, s12, 31
	global_load_ushort v58, v[58:59], off
	s_add_i32 s9, s0, 0xfffff680
	s_cmp_lt_i32 s9, s10
	v_lshl_add_u64 v[38:39], s[12:13], 1, v[2:3]
	s_cselect_b32 s12, s9, s11
	global_load_ushort v59, v[60:61], off
	s_ashr_i32 s13, s12, 31
	s_add_i32 s9, s0, 0xfffff6c0
	global_load_ushort v60, v[66:67], off
	global_load_ushort v61, v[62:63], off
	s_cmp_lt_i32 s9, s10
	v_lshl_add_u64 v[18:19], s[12:13], 1, v[2:3]
	s_cselect_b32 s12, s9, s11
	s_ashr_i32 s13, s12, 31
	s_add_i32 s9, s0, 0xfffff700
	s_cmp_lt_i32 s9, s10
	v_lshl_add_u64 v[20:21], s[12:13], 1, v[2:3]
	s_cselect_b32 s12, s9, s11
	s_ashr_i32 s13, s12, 31
	s_add_i32 s9, s0, 0xfffff740
	;; [unrolled: 5-line block ×3, first 2 shown]
	s_cmp_lt_i32 s9, s10
	v_lshl_add_u64 v[42:43], s[12:13], 1, v[2:3]
	s_cselect_b32 s12, s9, s11
	global_load_ushort v62, v[22:23], off
	s_ashr_i32 s13, s12, 31
	s_add_i32 s9, s0, 0xfffff7c0
	global_load_ushort v66, v[32:33], off
	global_load_ushort v124, v[34:35], off
	;; [unrolled: 1-line block ×4, first 2 shown]
	s_cmp_lt_i32 s9, s10
	v_lshl_add_u64 v[26:27], s[12:13], 1, v[2:3]
	s_cselect_b32 s12, s9, s11
	global_load_ushort v67, v[48:49], off
	s_ashr_i32 s13, s12, 31
	s_add_i32 s9, s0, 0xfffff800
	s_cmp_lt_i32 s9, s10
	v_lshl_add_u64 v[52:53], s[12:13], 1, v[2:3]
	s_cselect_b32 s12, s9, s11
	s_ashr_i32 s13, s12, 31
	s_add_i32 s9, s0, 0xfffff840
	s_cmp_lt_i32 s9, s10
	v_lshl_add_u64 v[64:65], s[12:13], 1, v[2:3]
	s_cselect_b32 s12, s9, s11
	s_ashr_i32 s13, s12, 31
	s_add_i32 s9, s0, 0xfffff880
	s_cmp_lt_i32 s9, s10
	v_mov_b32_e32 v125, s1
	v_lshl_add_u64 v[68:69], s[12:13], 1, v[2:3]
	s_cselect_b32 s12, s9, s11
	ds_read_b128 v[30:33], v125
	ds_read_b128 v[34:37], v125 offset:16
	global_load_ushort v50, v[50:51], off
	s_ashr_i32 s13, s12, 31
	s_add_i32 s9, s0, 0xfffff8c0
	s_cmp_lt_i32 s9, s10
	v_lshl_add_u64 v[70:71], s[12:13], 1, v[2:3]
	s_cselect_b32 s12, s9, s11
	ds_read_b128 v[46:49], v125 offset:32
	ds_read_b128 v[54:57], v125 offset:48
	global_load_ushort v38, v[38:39], off
	s_ashr_i32 s13, s12, 31
	s_add_i32 s9, s0, 0xfffff900
	s_cmp_lt_i32 s9, s10
	v_lshl_add_u64 v[72:73], s[12:13], 1, v[2:3]
	s_cselect_b32 s12, s9, s11
	global_load_ushort v39, v[18:19], off
	s_ashr_i32 s13, s12, 31
	global_load_ushort v26, v[26:27], off
	s_add_i32 s9, s0, 0xfffff940
	s_cmp_lt_i32 s9, s10
	v_lshl_add_u64 v[74:75], s[12:13], 1, v[2:3]
	s_cselect_b32 s12, s9, s11
	s_ashr_i32 s13, s12, 31
	s_add_i32 s9, s0, 0xfffff980
	s_cmp_lt_i32 s9, s10
	v_lshl_add_u64 v[76:77], s[12:13], 1, v[2:3]
	s_cselect_b32 s12, s9, s11
	s_ashr_i32 s13, s12, 31
	;; [unrolled: 5-line block ×5, first 2 shown]
	s_add_i32 s9, s0, 0xfffffa80
	s_cmp_lt_i32 s9, s10
	v_lshl_add_u64 v[84:85], s[12:13], 1, v[2:3]
	global_load_ushort v51, v[84:85], off
	s_cselect_b32 s12, s9, s11
	s_ashr_i32 s13, s12, 31
	s_add_i32 s9, s0, 0xfffffac0
	s_cmp_lt_i32 s9, s10
	v_lshl_add_u64 v[86:87], s[12:13], 1, v[2:3]
	s_cselect_b32 s12, s9, s11
	s_ashr_i32 s13, s12, 31
	s_add_i32 s9, s0, 0xfffffb00
	s_cmp_lt_i32 s9, s10
	v_lshl_add_u64 v[88:89], s[12:13], 1, v[2:3]
	;; [unrolled: 5-line block ×3, first 2 shown]
	s_cselect_b32 s12, s9, s11
	s_ashr_i32 s13, s12, 31
	s_add_i32 s9, s0, 0xfffffb80
	s_waitcnt vmcnt(27)
	v_lshlrev_b32_e32 v111, 16, v111
	s_cmp_lt_i32 s9, s10
	s_waitcnt lgkmcnt(3)
	v_fmac_f32_e32 v110, v30, v111
	s_waitcnt vmcnt(25)
	v_lshlrev_b32_e32 v30, 16, v112
	v_lshl_add_u64 v[92:93], s[12:13], 1, v[2:3]
	s_cselect_b32 s12, s9, s11
	v_fmac_f32_e32 v110, v31, v30
	s_waitcnt vmcnt(24)
	v_lshlrev_b32_e32 v30, 16, v113
	s_ashr_i32 s13, s12, 31
	s_add_i32 s9, s0, 0xfffffbc0
	v_fmac_f32_e32 v110, v32, v30
	s_waitcnt vmcnt(23)
	v_lshlrev_b32_e32 v30, 16, v114
	s_cmp_lt_i32 s9, s10
	v_fmac_f32_e32 v110, v33, v30
	s_waitcnt vmcnt(22)
	v_lshlrev_b32_e32 v18, 16, v115
	v_lshl_add_u64 v[94:95], s[12:13], 1, v[2:3]
	s_cselect_b32 s12, s9, s11
	s_waitcnt lgkmcnt(2)
	v_fmac_f32_e32 v110, v34, v18
	global_load_ushort v34, v[20:21], off
	s_ashr_i32 s13, s12, 31
	global_load_ushort v40, v[40:41], off
	s_add_i32 s9, s0, 0xfffffc00
	s_waitcnt vmcnt(23)
	v_lshlrev_b32_e32 v18, 16, v116
	s_cmp_lt_i32 s9, s10
	v_fmac_f32_e32 v110, v35, v18
	global_load_ushort v35, v[42:43], off
	global_load_ushort v27, v[52:53], off
	v_lshl_add_u64 v[96:97], s[12:13], 1, v[2:3]
	s_cselect_b32 s12, s9, s11
	s_ashr_i32 s13, s12, 31
	s_add_i32 s9, s0, 0xfffffc40
	s_cmp_lt_i32 s9, s10
	s_waitcnt vmcnt(24)
	v_lshlrev_b32_e32 v18, 16, v117
	v_lshl_add_u64 v[100:101], s[12:13], 1, v[2:3]
	s_cselect_b32 s12, s9, s11
	v_fmac_f32_e32 v110, v36, v18
	global_load_ushort v36, v[64:65], off
	s_waitcnt vmcnt(24)
	v_lshlrev_b32_e32 v18, 16, v118
	s_ashr_i32 s13, s12, 31
	s_add_i32 s9, s0, 0xfffffc80
	v_fmac_f32_e32 v110, v37, v18
	global_load_ushort v37, v[68:69], off
	s_waitcnt vmcnt(24)
	v_lshlrev_b32_e32 v18, 16, v119
	s_cmp_lt_i32 s9, s10
	s_waitcnt lgkmcnt(1)
	v_fmac_f32_e32 v110, v46, v18
	global_load_ushort v46, v[76:77], off
	s_waitcnt vmcnt(24)
	v_lshlrev_b32_e32 v18, 16, v120
	v_lshl_add_u64 v[102:103], s[12:13], 1, v[2:3]
	s_cselect_b32 s12, s9, s11
	v_fmac_f32_e32 v110, v47, v18
	v_lshlrev_b32_e32 v18, 16, v121
	s_ashr_i32 s13, s12, 31
	s_add_i32 s9, s0, 0xfffffcc0
	v_fmac_f32_e32 v110, v48, v18
	global_load_ushort v48, v[80:81], off
	global_load_ushort v41, v[70:71], off
	;; [unrolled: 1-line block ×5, first 2 shown]
	s_cmp_lt_i32 s9, s10
	v_lshl_add_u64 v[104:105], s[12:13], 1, v[2:3]
	s_cselect_b32 s12, s9, s11
	s_ashr_i32 s13, s12, 31
	s_add_i32 s9, s0, 0xfffffd00
	s_cmp_lt_i32 s9, s10
	s_waitcnt vmcnt(28)
	v_lshlrev_b32_e32 v18, 16, v122
	v_lshl_add_u64 v[106:107], s[12:13], 1, v[2:3]
	s_cselect_b32 s12, s9, s11
	v_fmac_f32_e32 v110, v49, v18
	global_load_ushort v49, v[82:83], off
	global_load_ushort v52, v[86:87], off
	s_waitcnt vmcnt(29)
	v_lshlrev_b32_e32 v18, 16, v123
	s_ashr_i32 s13, s12, 31
	s_add_i32 s9, s0, 0xfffffd40
	s_waitcnt lgkmcnt(0)
	v_fmac_f32_e32 v110, v54, v18
	global_load_ushort v54, v[88:89], off
	s_waitcnt vmcnt(29)
	v_lshlrev_b32_e32 v18, 16, v58
	s_cmp_lt_i32 s9, s10
	v_fmac_f32_e32 v110, v55, v18
	global_load_ushort v55, v[90:91], off
	s_waitcnt vmcnt(29)
	v_lshlrev_b32_e32 v18, 16, v59
	v_lshl_add_u64 v[98:99], s[12:13], 1, v[2:3]
	s_cselect_b32 s12, s9, s11
	v_fmac_f32_e32 v110, v56, v18
	s_waitcnt vmcnt(28)
	v_lshlrev_b32_e32 v18, 16, v60
	s_ashr_i32 s13, s12, 31
	s_add_i32 s9, s0, 0xfffffd80
	v_fmac_f32_e32 v110, v57, v18
	ds_read_b128 v[18:21], v125 offset:64
	ds_read_b128 v[30:33], v125 offset:80
	s_cmp_lt_i32 s9, s10
	v_lshl_add_u64 v[44:45], s[12:13], 1, v[2:3]
	s_cselect_b32 s12, s9, s11
	s_ashr_i32 s13, s12, 31
	s_add_i32 s9, s0, 0xfffffdc0
	s_cmp_lt_i32 s9, s10
	s_waitcnt vmcnt(27)
	v_lshlrev_b32_e32 v53, 16, v61
	v_lshl_add_u64 v[108:109], s[12:13], 1, v[2:3]
	s_cselect_b32 s12, s9, s11
	s_waitcnt lgkmcnt(1)
	v_fmac_f32_e32 v110, v18, v53
	global_load_ushort v53, v[92:93], off
	global_load_ushort v56, v[94:95], off
	;; [unrolled: 1-line block ×6, first 2 shown]
	s_ashr_i32 s13, s12, 31
	s_add_i32 s9, s0, 0xfffffe00
	s_cmp_lt_i32 s9, s10
	v_lshl_add_u64 v[4:5], s[12:13], 1, v[2:3]
	s_cselect_b32 s12, s9, s11
	s_ashr_i32 s13, s12, 31
	s_add_i32 s9, s0, 0xfffffe40
	s_cmp_lt_i32 s9, s10
	s_waitcnt vmcnt(32)
	v_lshlrev_b32_e32 v18, 16, v62
	v_lshl_add_u64 v[6:7], s[12:13], 1, v[2:3]
	s_cselect_b32 s12, s9, s11
	v_fmac_f32_e32 v110, v19, v18
	s_waitcnt vmcnt(28)
	v_lshlrev_b32_e32 v18, 16, v63
	s_ashr_i32 s13, s12, 31
	s_add_i32 s9, s0, 0xfffffe80
	v_fmac_f32_e32 v110, v20, v18
	v_lshlrev_b32_e32 v18, 16, v66
	s_cmp_lt_i32 s9, s10
	v_fmac_f32_e32 v110, v21, v18
	s_waitcnt vmcnt(27)
	v_lshlrev_b32_e32 v18, 16, v67
	v_lshl_add_u64 v[8:9], s[12:13], 1, v[2:3]
	s_cselect_b32 s12, s9, s11
	s_waitcnt lgkmcnt(0)
	v_fmac_f32_e32 v110, v30, v18
	global_load_ushort v30, v[106:107], off
	s_ashr_i32 s13, s12, 31
	s_add_i32 s9, s0, 0xfffffec0
	s_cmp_lt_i32 s9, s10
	global_load_ushort v61, v[98:99], off
	global_load_ushort v62, v[44:45], off
	;; [unrolled: 1-line block ×3, first 2 shown]
	v_lshl_add_u64 v[12:13], s[12:13], 1, v[2:3]
	s_cselect_b32 s12, s9, s11
	v_lshlrev_b32_e32 v18, 16, v124
	s_ashr_i32 s13, s12, 31
	s_add_i32 s9, s0, 0xffffff00
	v_fmac_f32_e32 v110, v31, v18
	v_lshlrev_b32_e32 v18, 16, v126
	s_cmp_lt_i32 s9, s10
	v_fmac_f32_e32 v110, v32, v18
	global_load_ushort v31, v[4:5], off
	global_load_ushort v32, v[6:7], off
	v_lshl_add_u64 v[10:11], s[12:13], 1, v[2:3]
	s_cselect_b32 s12, s9, s11
	s_ashr_i32 s13, s12, 31
	s_add_i32 s9, s0, 0xffffff40
	s_cmp_lt_i32 s9, s10
	s_waitcnt vmcnt(32)
	v_lshlrev_b32_e32 v4, 16, v50
	v_lshl_add_u64 v[16:17], s[12:13], 1, v[2:3]
	s_cselect_b32 s12, s9, s11
	v_fmac_f32_e32 v110, v33, v4
	ds_read_b128 v[4:7], v125 offset:96
	s_ashr_i32 s13, s12, 31
	s_add_i32 s9, s0, 0xffffff80
	s_cmp_lt_i32 s9, s10
	s_waitcnt vmcnt(31)
	v_lshlrev_b32_e32 v33, 16, v38
	global_load_ushort v38, v[8:9], off
	global_load_ushort v44, v[12:13], off
	v_lshl_add_u64 v[14:15], s[12:13], 1, v[2:3]
	s_cselect_b32 s12, s9, s11
	s_ashr_i32 s13, s12, 31
	s_sub_i32 s9, s0, 64
	s_cmp_lt_i32 s9, s10
	ds_read_b128 v[18:21], v125 offset:112
	s_waitcnt lgkmcnt(1)
	v_fmac_f32_e32 v110, v4, v33
	s_waitcnt vmcnt(32)
	v_lshlrev_b32_e32 v4, 16, v39
	global_load_ushort v33, v[10:11], off
	global_load_ushort v39, v[16:17], off
	v_lshl_add_u64 v[28:29], s[12:13], 1, v[2:3]
	s_cselect_b32 s12, s9, s11
	s_ashr_i32 s13, s12, 31
	s_cmp_lt_i32 s0, s10
	global_load_ushort v16, v[14:15], off
	global_load_ushort v17, v[28:29], off
	v_lshl_add_u64 v[22:23], s[12:13], 1, v[2:3]
	s_cselect_b32 s12, s0, s11
	s_ashr_i32 s13, s12, 31
	v_lshl_add_u64 v[24:25], s[12:13], 1, v[2:3]
	global_load_ushort v14, v[22:23], off
	global_load_ushort v15, v[24:25], off
	v_fmac_f32_e32 v110, v5, v4
	s_waitcnt vmcnt(35)
	v_lshlrev_b32_e32 v4, 16, v34
	v_fmac_f32_e32 v110, v6, v4
	s_waitcnt vmcnt(34)
	v_lshlrev_b32_e32 v4, 16, v40
	;; [unrolled: 3-line block ×3, first 2 shown]
	s_waitcnt lgkmcnt(0)
	v_fmac_f32_e32 v110, v18, v4
	v_lshlrev_b32_e32 v4, 16, v26
	v_fmac_f32_e32 v110, v19, v4
	s_waitcnt vmcnt(32)
	v_lshlrev_b32_e32 v4, 16, v27
	v_fmac_f32_e32 v110, v20, v4
	ds_read_b128 v[4:7], v125 offset:128
	s_waitcnt vmcnt(31)
	v_lshlrev_b32_e32 v8, 16, v36
	v_fmac_f32_e32 v110, v21, v8
	ds_read_b128 v[8:11], v125 offset:144
	s_waitcnt vmcnt(30)
	v_lshlrev_b32_e32 v12, 16, v37
	s_waitcnt lgkmcnt(1)
	v_fmac_f32_e32 v110, v4, v12
	s_waitcnt vmcnt(27)
	v_lshlrev_b32_e32 v4, 16, v41
	v_fmac_f32_e32 v110, v5, v4
	s_waitcnt vmcnt(26)
	v_lshlrev_b32_e32 v4, 16, v42
	;; [unrolled: 3-line block ×3, first 2 shown]
	v_fmac_f32_e32 v110, v7, v4
	v_lshlrev_b32_e32 v4, 16, v46
	s_waitcnt lgkmcnt(0)
	v_fmac_f32_e32 v110, v8, v4
	s_waitcnt vmcnt(24)
	v_lshlrev_b32_e32 v4, 16, v47
	v_fmac_f32_e32 v110, v9, v4
	v_lshlrev_b32_e32 v4, 16, v48
	v_fmac_f32_e32 v110, v10, v4
	ds_read_b128 v[4:7], v125 offset:160
	s_waitcnt vmcnt(23)
	v_lshlrev_b32_e32 v8, 16, v49
	v_fmac_f32_e32 v110, v11, v8
	ds_read_b128 v[8:11], v125 offset:176
	v_lshlrev_b32_e32 v12, 16, v51
	s_waitcnt lgkmcnt(1)
	v_fmac_f32_e32 v110, v4, v12
	s_waitcnt vmcnt(22)
	v_lshlrev_b32_e32 v4, 16, v52
	v_fmac_f32_e32 v110, v5, v4
	s_waitcnt vmcnt(21)
	v_lshlrev_b32_e32 v4, 16, v54
	;; [unrolled: 3-line block ×4, first 2 shown]
	s_waitcnt lgkmcnt(0)
	v_fmac_f32_e32 v110, v8, v4
	s_waitcnt vmcnt(18)
	v_lshlrev_b32_e32 v4, 16, v56
	v_fmac_f32_e32 v110, v9, v4
	s_waitcnt vmcnt(17)
	v_lshlrev_b32_e32 v4, 16, v57
	v_fmac_f32_e32 v110, v10, v4
	ds_read_b128 v[4:7], v125 offset:192
	s_waitcnt vmcnt(16)
	v_lshlrev_b32_e32 v8, 16, v58
	v_fmac_f32_e32 v110, v11, v8
	ds_read_b128 v[8:11], v125 offset:208
	s_waitcnt vmcnt(15)
	v_lshlrev_b32_e32 v12, 16, v59
	s_waitcnt lgkmcnt(1)
	v_fmac_f32_e32 v110, v4, v12
	s_waitcnt vmcnt(14)
	v_lshlrev_b32_e32 v4, 16, v60
	v_fmac_f32_e32 v110, v5, v4
	s_waitcnt vmcnt(13)
	v_lshlrev_b32_e32 v4, 16, v30
	;; [unrolled: 3-line block ×4, first 2 shown]
	v_lshlrev_b32_e32 v4, 16, v62
	s_waitcnt lgkmcnt(0)
	v_pk_mul_f32 v[4:5], v[8:9], v[4:5]
	s_waitcnt vmcnt(6)
	v_lshlrev_b32_e32 v13, 16, v44
	v_add_f32_e32 v4, v110, v4
	v_add_f32_e32 v6, v4, v5
	v_lshlrev_b32_e32 v5, 16, v32
	v_lshlrev_b32_e32 v4, 16, v31
	v_pk_mul_f32 v[8:9], v[10:11], v[4:5]
	v_lshlrev_b32_e32 v12, 16, v38
	v_add_f32_e32 v8, v6, v8
	ds_read_b128 v[4:7], v125 offset:224
	v_add_f32_e32 v18, v8, v9
	ds_read_b128 v[8:11], v125 offset:240
	s_waitcnt lgkmcnt(1)
	v_pk_mul_f32 v[4:5], v[4:5], v[12:13]
	s_nop 0
	v_add_f32_e32 v4, v18, v4
	v_add_f32_e32 v12, v4, v5
	s_waitcnt vmcnt(4)
	v_lshlrev_b32_e32 v5, 16, v39
	v_lshlrev_b32_e32 v4, 16, v33
	v_pk_mul_f32 v[4:5], v[6:7], v[4:5]
	s_nop 0
	v_add_f32_e32 v4, v12, v4
	v_add_f32_e32 v6, v4, v5
	s_waitcnt vmcnt(2)
	v_lshlrev_b32_e32 v5, 16, v17
	v_lshlrev_b32_e32 v4, 16, v16
	s_waitcnt lgkmcnt(0)
	v_pk_mul_f32 v[4:5], v[8:9], v[4:5]
	s_nop 0
	v_add_f32_e32 v4, v6, v4
	v_add_f32_e32 v6, v4, v5
	s_waitcnt vmcnt(0)
	v_lshlrev_b32_e32 v5, 16, v15
	v_lshlrev_b32_e32 v4, 16, v14
	v_pk_mul_f32 v[4:5], v[10:11], v[4:5]
	s_nop 0
	v_add_f32_e32 v4, v6, v4
	v_add_f32_e32 v110, v4, v5
	s_branch .LBB418_16
.LBB418_19:
	v_mov_b32_e32 v2, 0
	ds_read_b32 v2, v2 offset:3840
	s_cmp_lg_u64 s[6:7], 0
	s_cbranch_scc0 .LBB418_24
; %bb.20:
	s_load_dword s6, s[6:7], 0x0
	s_waitcnt lgkmcnt(0)
	v_div_scale_f32 v3, s[0:1], s6, s6, 1.0
	v_rcp_f32_e32 v4, v3
	v_div_scale_f32 v5, vcc, 1.0, s6, 1.0
	v_fma_f32 v6, -v3, v4, 1.0
	v_fmac_f32_e32 v4, v6, v4
	v_mul_f32_e32 v6, v5, v4
	v_fma_f32 v7, -v3, v6, v5
	v_fmac_f32_e32 v6, v7, v4
	v_fma_f32 v3, -v3, v6, v5
	v_div_fmas_f32 v3, v3, v4, v6
	v_div_fixup_f32 v3, v3, s6, 1.0
	s_andn2_b64 vcc, exec, s[48:49]
	s_cbranch_vccnz .LBB418_22
.LBB418_21:
	s_add_u32 s0, s46, s50
	s_addc_u32 s1, s47, s51
	s_load_dword s44, s[0:1], 0x0
	s_mov_b32 s45, 0
.LBB418_22:
	s_waitcnt lgkmcnt(0)
	v_add_f32_e32 v2, 0x358637bd, v2
	v_div_scale_f32 v4, s[0:1], v2, v2, 1.0
	v_rcp_f32_e32 v5, v4
	v_div_scale_f32 v6, vcc, 1.0, v2, 1.0
	s_mul_i32 s0, s3, s45
	v_fma_f32 v7, -v4, v5, 1.0
	v_fmac_f32_e32 v5, v7, v5
	v_mul_f32_e32 v7, v6, v5
	v_fma_f32 v8, -v4, v7, v6
	v_fmac_f32_e32 v7, v8, v5
	v_fma_f32 v4, -v4, v7, v6
	s_mul_hi_u32 s1, s3, s44
	v_div_fmas_f32 v4, v4, v5, v7
	s_add_i32 s1, s1, s0
	s_mul_i32 s0, s3, s44
	v_div_fixup_f32 v2, v4, v2, 1.0
	s_lshl_b64 s[0:1], s[0:1], 6
	v_mul_f32_e32 v2, v110, v2
	s_add_u32 s4, s4, s0
	s_mov_b32 s3, 0
	v_mul_f32_e32 v2, v2, v3
	s_addc_u32 s5, s5, s1
	s_lshl_b64 s[0:1], s[2:3], 6
	s_mov_b32 s2, 0x7f800000
	s_mov_b32 s3, 0x43700000
	v_mov_b32_e32 v3, 0xc3700000
	v_med3_f32 v3, v2, s3, v3
	v_cmp_nlg_f32_e64 vcc, |v2|, s2
	s_add_u32 s0, s4, s0
	s_addc_u32 s1, s5, s1
	v_cndmask_b32_e32 v2, v3, v2, vcc
	v_mov_b32_e32 v3, 0
	v_cvt_pk_fp8_f32 v3, v2, v2
	v_lshl_add_u64 v[0:1], s[0:1], 0, v[0:1]
	global_store_byte v[0:1], v3, off
	s_endpgm
.LBB418_23:
	s_mov_b64 s[6:7], 0
	s_branch .LBB418_2
.LBB418_24:
	v_mov_b32_e32 v3, 1.0
	s_andn2_b64 vcc, exec, s[48:49]
	s_cbranch_vccz .LBB418_21
	s_branch .LBB418_22
	.section	.rodata,"a",@progbits
	.p2align	6, 0x0
	.amdhsa_kernel _Z35paged_attention_ll4mi_reduce_kernelI14__hip_bfloat16hLi64ELi64ELi256ELi15EEvPT0_PKfS4_PKT_PKiS9_iS4_
		.amdhsa_group_segment_fixed_size 3844
		.amdhsa_private_segment_fixed_size 0
		.amdhsa_kernarg_size 320
		.amdhsa_user_sgpr_count 2
		.amdhsa_user_sgpr_dispatch_ptr 0
		.amdhsa_user_sgpr_queue_ptr 0
		.amdhsa_user_sgpr_kernarg_segment_ptr 1
		.amdhsa_user_sgpr_dispatch_id 0
		.amdhsa_user_sgpr_kernarg_preload_length 0
		.amdhsa_user_sgpr_kernarg_preload_offset 0
		.amdhsa_user_sgpr_private_segment_size 0
		.amdhsa_uses_dynamic_stack 0
		.amdhsa_enable_private_segment 0
		.amdhsa_system_sgpr_workgroup_id_x 1
		.amdhsa_system_sgpr_workgroup_id_y 1
		.amdhsa_system_sgpr_workgroup_id_z 0
		.amdhsa_system_sgpr_workgroup_info 0
		.amdhsa_system_vgpr_workitem_id 0
		.amdhsa_next_free_vgpr 127
		.amdhsa_next_free_sgpr 59
		.amdhsa_accum_offset 128
		.amdhsa_reserve_vcc 1
		.amdhsa_float_round_mode_32 0
		.amdhsa_float_round_mode_16_64 0
		.amdhsa_float_denorm_mode_32 3
		.amdhsa_float_denorm_mode_16_64 3
		.amdhsa_dx10_clamp 1
		.amdhsa_ieee_mode 1
		.amdhsa_fp16_overflow 0
		.amdhsa_tg_split 0
		.amdhsa_exception_fp_ieee_invalid_op 0
		.amdhsa_exception_fp_denorm_src 0
		.amdhsa_exception_fp_ieee_div_zero 0
		.amdhsa_exception_fp_ieee_overflow 0
		.amdhsa_exception_fp_ieee_underflow 0
		.amdhsa_exception_fp_ieee_inexact 0
		.amdhsa_exception_int_div_zero 0
	.end_amdhsa_kernel
	.section	.text._Z35paged_attention_ll4mi_reduce_kernelI14__hip_bfloat16hLi64ELi64ELi256ELi15EEvPT0_PKfS4_PKT_PKiS9_iS4_,"axG",@progbits,_Z35paged_attention_ll4mi_reduce_kernelI14__hip_bfloat16hLi64ELi64ELi256ELi15EEvPT0_PKfS4_PKT_PKiS9_iS4_,comdat
.Lfunc_end418:
	.size	_Z35paged_attention_ll4mi_reduce_kernelI14__hip_bfloat16hLi64ELi64ELi256ELi15EEvPT0_PKfS4_PKT_PKiS9_iS4_, .Lfunc_end418-_Z35paged_attention_ll4mi_reduce_kernelI14__hip_bfloat16hLi64ELi64ELi256ELi15EEvPT0_PKfS4_PKT_PKiS9_iS4_
                                        ; -- End function
	.section	.AMDGPU.csdata,"",@progbits
; Kernel info:
; codeLenInByte = 10744
; NumSgprs: 65
; NumVgprs: 127
; NumAgprs: 0
; TotalNumVgprs: 127
; ScratchSize: 0
; MemoryBound: 0
; FloatMode: 240
; IeeeMode: 1
; LDSByteSize: 3844 bytes/workgroup (compile time only)
; SGPRBlocks: 8
; VGPRBlocks: 15
; NumSGPRsForWavesPerEU: 65
; NumVGPRsForWavesPerEU: 127
; AccumOffset: 128
; Occupancy: 4
; WaveLimiterHint : 1
; COMPUTE_PGM_RSRC2:SCRATCH_EN: 0
; COMPUTE_PGM_RSRC2:USER_SGPR: 2
; COMPUTE_PGM_RSRC2:TRAP_HANDLER: 0
; COMPUTE_PGM_RSRC2:TGID_X_EN: 1
; COMPUTE_PGM_RSRC2:TGID_Y_EN: 1
; COMPUTE_PGM_RSRC2:TGID_Z_EN: 0
; COMPUTE_PGM_RSRC2:TIDIG_COMP_CNT: 0
; COMPUTE_PGM_RSRC3_GFX90A:ACCUM_OFFSET: 31
; COMPUTE_PGM_RSRC3_GFX90A:TG_SPLIT: 0
	.section	.text._Z35paged_attention_ll4mi_reduce_kernelI14__hip_bfloat16hLi64ELi64ELi256ELi16EEvPT0_PKfS4_PKT_PKiS9_iS4_,"axG",@progbits,_Z35paged_attention_ll4mi_reduce_kernelI14__hip_bfloat16hLi64ELi64ELi256ELi16EEvPT0_PKfS4_PKT_PKiS9_iS4_,comdat
	.protected	_Z35paged_attention_ll4mi_reduce_kernelI14__hip_bfloat16hLi64ELi64ELi256ELi16EEvPT0_PKfS4_PKT_PKiS9_iS4_ ; -- Begin function _Z35paged_attention_ll4mi_reduce_kernelI14__hip_bfloat16hLi64ELi64ELi256ELi16EEvPT0_PKfS4_PKT_PKiS9_iS4_
	.globl	_Z35paged_attention_ll4mi_reduce_kernelI14__hip_bfloat16hLi64ELi64ELi256ELi16EEvPT0_PKfS4_PKT_PKiS9_iS4_
	.p2align	8
	.type	_Z35paged_attention_ll4mi_reduce_kernelI14__hip_bfloat16hLi64ELi64ELi256ELi16EEvPT0_PKfS4_PKT_PKiS9_iS4_,@function
_Z35paged_attention_ll4mi_reduce_kernelI14__hip_bfloat16hLi64ELi64ELi256ELi16EEvPT0_PKfS4_PKT_PKiS9_iS4_: ; @_Z35paged_attention_ll4mi_reduce_kernelI14__hip_bfloat16hLi64ELi64ELi256ELi16EEvPT0_PKfS4_PKT_PKiS9_iS4_
; %bb.0:
	s_load_dwordx2 s[48:49], s[0:1], 0x28
	s_mov_b32 s38, s3
	s_mov_b64 s[4:5], 0
	s_waitcnt lgkmcnt(0)
	s_cmp_lg_u64 s[48:49], 0
	s_cselect_b64 s[50:51], -1, 0
	s_and_b64 vcc, exec, s[50:51]
	s_cbranch_vccz .LBB419_23
; %bb.1:
	s_add_i32 s6, s38, 1
	s_mov_b32 s7, 0
	s_lshl_b64 s[8:9], s[6:7], 2
	s_add_u32 s8, s48, s8
	s_mov_b32 s39, s7
	s_addc_u32 s9, s49, s9
	s_lshl_b64 s[6:7], s[38:39], 2
	s_add_u32 s6, s48, s6
	s_addc_u32 s7, s49, s7
	s_load_dword s3, s[8:9], 0x0
	s_load_dword s10, s[6:7], 0x0
	s_waitcnt lgkmcnt(0)
	s_sub_i32 s3, s3, s10
	s_cmp_eq_u32 s3, 1
	s_cselect_b64 s[6:7], -1, 0
	s_andn2_b64 vcc, exec, s[4:5]
	s_cbranch_vccnz .LBB419_3
.LBB419_2:
	s_mov_b32 s39, 0
	s_mov_b64 s[6:7], -1
.LBB419_3:
	s_andn2_b64 vcc, exec, s[6:7]
	s_cbranch_vccz .LBB419_5
; %bb.4:
	s_endpgm
.LBB419_5:
	s_load_dwordx4 s[40:43], s[0:1], 0x18
	s_load_dword s8, s[0:1], 0x30
	s_lshl_b64 s[52:53], s[38:39], 2
	v_cmp_lt_u32_e32 vcc, 63, v0
	s_waitcnt lgkmcnt(0)
	s_add_u32 s4, s42, s52
	s_addc_u32 s5, s43, s53
	s_load_dword s60, s[4:5], 0x0
	s_load_dword s3, s[0:1], 0x40
	s_mul_i32 s42, s2, s8
	s_mul_i32 s6, s38, s8
	s_waitcnt lgkmcnt(0)
	s_add_i32 s7, s60, 0xff
	s_ashr_i32 s4, s7, 31
	s_lshr_b32 s4, s4, 24
	s_add_i32 s7, s7, s4
	s_and_saveexec_b64 s[4:5], vcc
	s_xor_b64 s[4:5], exec, s[4:5]
	s_or_saveexec_b64 s[54:55], s[4:5]
	s_ashr_i32 s33, s7, 8
	v_mov_b32_e32 v1, s42
	s_mul_i32 s56, s6, s3
	s_xor_b64 exec, exec, s[54:55]
	s_cbranch_execz .LBB419_9
; %bb.6:
	s_add_i32 s4, s33, -1
	v_or_b32_e32 v3, 64, v0
	v_mov_b32_e32 v1, s4
	v_cmp_gt_u32_e64 s[30:31], s33, v3
	s_load_dwordx4 s[44:47], s[0:1], 0x8
	s_mov_b32 s57, 0
	v_cndmask_b32_e64 v4, v1, v3, s[30:31]
	v_or_b32_e32 v3, 0x80, v0
	v_cmp_gt_u32_e64 s[28:29], s33, v3
	s_lshl_b64 s[58:59], s[56:57], 2
	s_mov_b32 s43, s57
	v_cndmask_b32_e64 v6, v1, v3, s[28:29]
	v_or_b32_e32 v3, 0xc0, v0
	v_cmp_gt_u32_e64 s[26:27], s33, v3
	v_cmp_gt_u32_e64 s[34:35], s33, v0
	s_waitcnt lgkmcnt(0)
	s_add_u32 s36, s46, s58
	v_cndmask_b32_e64 v8, v1, v3, s[26:27]
	v_or_b32_e32 v3, 0x100, v0
	v_cmp_gt_u32_e64 s[24:25], s33, v3
	v_cndmask_b32_e64 v2, v1, v0, s[34:35]
	s_addc_u32 s37, s47, s59
	v_cndmask_b32_e64 v10, v1, v3, s[24:25]
	v_or_b32_e32 v3, 0x140, v0
	v_cmp_gt_u32_e64 s[22:23], s33, v3
	s_lshl_b64 s[46:47], s[42:43], 2
	s_add_u32 s36, s36, s46
	v_cndmask_b32_e64 v12, v1, v3, s[22:23]
	v_or_b32_e32 v3, 0x180, v0
	v_cmp_gt_u32_e64 s[20:21], s33, v3
	s_addc_u32 s37, s37, s47
	v_ashrrev_i32_e32 v5, 31, v4
	v_cndmask_b32_e64 v14, v1, v3, s[20:21]
	v_or_b32_e32 v3, 0x1c0, v0
	v_cmp_gt_u32_e64 s[16:17], s33, v3
	v_ashrrev_i32_e32 v7, 31, v6
	v_ashrrev_i32_e32 v9, 31, v8
	v_cndmask_b32_e64 v16, v1, v3, s[16:17]
	v_or_b32_e32 v3, 0x200, v0
	v_cmp_gt_u32_e64 s[12:13], s33, v3
	v_ashrrev_i32_e32 v11, 31, v10
	;; [unrolled: 5-line block ×3, first 2 shown]
	v_ashrrev_i32_e32 v17, 31, v16
	v_cndmask_b32_e64 v20, v1, v3, s[8:9]
	v_or_b32_e32 v3, 0x280, v0
	v_cmp_gt_u32_e64 s[6:7], s33, v3
	v_lshlrev_b64 v[4:5], 2, v[4:5]
	v_lshlrev_b64 v[6:7], 2, v[6:7]
	v_cndmask_b32_e64 v22, v1, v3, s[6:7]
	v_or_b32_e32 v3, 0x2c0, v0
	v_cmp_gt_u32_e64 s[18:19], s33, v3
	v_lshlrev_b64 v[8:9], 2, v[8:9]
	v_lshlrev_b64 v[10:11], 2, v[10:11]
	;; [unrolled: 5-line block ×3, first 2 shown]
	v_cndmask_b32_e64 v26, v1, v3, s[14:15]
	v_or_b32_e32 v3, 0x340, v0
	v_cmp_gt_u32_e64 s[10:11], s33, v3
	v_lshlrev_b64 v[16:17], 2, v[16:17]
	v_lshl_add_u64 v[36:37], s[36:37], 0, v[4:5]
	v_cndmask_b32_e64 v28, v1, v3, s[10:11]
	v_or_b32_e32 v3, 0x380, v0
	v_cmp_gt_u32_e64 s[4:5], s33, v3
	v_lshl_add_u64 v[38:39], s[36:37], 0, v[6:7]
	v_lshl_add_u64 v[40:41], s[36:37], 0, v[8:9]
	v_cndmask_b32_e64 v30, v1, v3, s[4:5]
	v_or_b32_e32 v3, 0x3c0, v0
	v_cmp_gt_u32_e32 vcc, s33, v3
	v_lshl_add_u64 v[42:43], s[36:37], 0, v[10:11]
	v_lshl_add_u64 v[44:45], s[36:37], 0, v[12:13]
	v_cndmask_b32_e32 v32, v1, v3, vcc
	v_ashrrev_i32_e32 v3, 31, v2
	v_lshlrev_b64 v[2:3], 2, v[2:3]
	v_lshl_add_u64 v[34:35], s[36:37], 0, v[2:3]
	v_lshl_add_u64 v[46:47], s[36:37], 0, v[14:15]
	;; [unrolled: 1-line block ×3, first 2 shown]
	global_load_dword v1, v[34:35], off
	global_load_dword v50, v[36:37], off
	;; [unrolled: 1-line block ×8, first 2 shown]
	v_ashrrev_i32_e32 v19, 31, v18
	v_ashrrev_i32_e32 v21, 31, v20
	;; [unrolled: 1-line block ×4, first 2 shown]
	v_lshlrev_b64 v[18:19], 2, v[18:19]
	v_lshlrev_b64 v[20:21], 2, v[20:21]
	;; [unrolled: 1-line block ×4, first 2 shown]
	v_ashrrev_i32_e32 v27, 31, v26
	v_ashrrev_i32_e32 v29, 31, v28
	v_ashrrev_i32_e32 v31, 31, v30
	v_ashrrev_i32_e32 v33, 31, v32
	v_lshl_add_u64 v[34:35], s[36:37], 0, v[18:19]
	v_lshl_add_u64 v[36:37], s[36:37], 0, v[20:21]
	;; [unrolled: 1-line block ×4, first 2 shown]
	v_lshlrev_b64 v[26:27], 2, v[26:27]
	v_lshlrev_b64 v[28:29], 2, v[28:29]
	;; [unrolled: 1-line block ×4, first 2 shown]
	v_lshl_add_u64 v[42:43], s[36:37], 0, v[26:27]
	v_lshl_add_u64 v[44:45], s[36:37], 0, v[28:29]
	v_lshl_add_u64 v[46:47], s[36:37], 0, v[30:31]
	v_lshl_add_u64 v[48:49], s[36:37], 0, v[32:33]
	global_load_dword v34, v[34:35], off
	s_nop 0
	global_load_dword v35, v[36:37], off
	s_nop 0
	global_load_dword v36, v[38:39], off
	global_load_dword v37, v[40:41], off
	s_nop 0
	global_load_dword v38, v[42:43], off
	global_load_dword v39, v[44:45], off
	;; [unrolled: 1-line block ×4, first 2 shown]
	s_mov_b32 s43, 0x3fb8aa3b
	s_waitcnt vmcnt(15)
	v_max_f32_e32 v43, v1, v1
	s_waitcnt vmcnt(14)
	v_max_f32_e32 v42, v50, v50
	v_max_f32_e32 v42, v43, v42
	s_waitcnt vmcnt(12)
	v_max3_f32 v42, v42, v51, v52
	v_mbcnt_lo_u32_b32 v43, -1, 0
	s_waitcnt vmcnt(10)
	v_max3_f32 v42, v42, v53, v54
	v_mbcnt_hi_u32_b32 v43, -1, v43
	s_waitcnt vmcnt(8)
	v_max3_f32 v42, v42, v55, v56
	v_and_b32_e32 v44, 64, v43
	v_add_u32_e32 v44, 64, v44
	v_xor_b32_e32 v45, 32, v43
	v_cmp_lt_i32_e64 s[36:37], v45, v44
	s_waitcnt vmcnt(6)
	v_max3_f32 v42, v42, v34, v35
	v_cndmask_b32_e64 v45, v43, v45, s[36:37]
	s_waitcnt vmcnt(4)
	v_max3_f32 v42, v42, v36, v37
	v_lshlrev_b32_e32 v45, 2, v45
	s_waitcnt vmcnt(2)
	v_max3_f32 v42, v42, v38, v39
	s_waitcnt vmcnt(0)
	v_max3_f32 v42, v42, v40, v41
	ds_bpermute_b32 v46, v45, v42
	s_waitcnt lgkmcnt(0)
	v_max_f32_e32 v46, v46, v46
	v_max_f32_e32 v42, v42, v46
	v_xor_b32_e32 v46, 16, v43
	v_cmp_lt_i32_e64 s[36:37], v46, v44
	s_nop 1
	v_cndmask_b32_e64 v46, v43, v46, s[36:37]
	v_lshlrev_b32_e32 v46, 2, v46
	ds_bpermute_b32 v47, v46, v42
	s_waitcnt lgkmcnt(0)
	v_max_f32_e32 v47, v47, v47
	v_max_f32_e32 v42, v42, v47
	v_xor_b32_e32 v47, 8, v43
	v_cmp_lt_i32_e64 s[36:37], v47, v44
	s_nop 1
	v_cndmask_b32_e64 v47, v43, v47, s[36:37]
	v_lshlrev_b32_e32 v47, 2, v47
	ds_bpermute_b32 v48, v47, v42
	s_waitcnt lgkmcnt(0)
	v_max_f32_e32 v48, v48, v48
	v_max_f32_e32 v42, v42, v48
	v_xor_b32_e32 v48, 4, v43
	v_cmp_lt_i32_e64 s[36:37], v48, v44
	s_nop 1
	v_cndmask_b32_e64 v48, v43, v48, s[36:37]
	s_add_u32 s36, s44, s58
	v_lshlrev_b32_e32 v48, 2, v48
	s_addc_u32 s37, s45, s59
	ds_bpermute_b32 v49, v48, v42
	s_add_u32 s44, s36, s46
	s_addc_u32 s45, s37, s47
	v_lshl_add_u64 v[2:3], s[44:45], 0, v[2:3]
	global_load_dword v57, v[2:3], off
	v_xor_b32_e32 v3, 2, v43
	v_cmp_lt_i32_e64 s[36:37], v3, v44
	s_waitcnt lgkmcnt(0)
	v_max_f32_e32 v2, v49, v49
	v_max_f32_e32 v2, v42, v2
	v_cndmask_b32_e64 v3, v43, v3, s[36:37]
	v_lshlrev_b32_e32 v42, 2, v3
	ds_bpermute_b32 v3, v42, v2
	s_waitcnt lgkmcnt(0)
	v_max_f32_e32 v3, v3, v3
	v_max_f32_e32 v49, v2, v3
	v_lshl_add_u64 v[2:3], s[44:45], 0, v[4:5]
	global_load_dword v58, v[2:3], off
	v_xor_b32_e32 v2, 1, v43
	v_cmp_lt_i32_e64 s[36:37], v2, v44
	v_lshl_add_u64 v[4:5], s[44:45], 0, v[8:9]
	v_lshl_add_u64 v[8:9], s[44:45], 0, v[12:13]
	v_cndmask_b32_e64 v2, v43, v2, s[36:37]
	v_lshlrev_b32_e32 v43, 2, v2
	v_lshl_add_u64 v[2:3], s[44:45], 0, v[6:7]
	v_lshl_add_u64 v[6:7], s[44:45], 0, v[10:11]
	;; [unrolled: 1-line block ×4, first 2 shown]
	global_load_dword v59, v[2:3], off
	global_load_dword v60, v[4:5], off
	;; [unrolled: 1-line block ×4, first 2 shown]
	s_nop 0
	global_load_dword v10, v[10:11], off
	s_nop 0
	global_load_dword v63, v[12:13], off
	ds_bpermute_b32 v44, v43, v49
	v_lshl_add_u64 v[4:5], s[44:45], 0, v[20:21]
	v_lshl_add_u64 v[6:7], s[44:45], 0, v[22:23]
	v_lshl_add_u64 v[2:3], s[44:45], 0, v[18:19]
	v_lshl_add_u64 v[12:13], s[44:45], 0, v[26:27]
	s_waitcnt lgkmcnt(0)
	v_max_f32_e32 v11, v44, v44
	v_max_f32_e32 v20, v49, v11
	v_sub_f32_e32 v1, v1, v20
	v_mul_f32_e32 v11, 0x3fb8aa3b, v1
	v_fma_f32 v21, v1, s43, -v11
	v_rndne_f32_e32 v22, v11
	v_fmac_f32_e32 v21, 0x32a5705f, v1
	v_sub_f32_e32 v11, v11, v22
	v_lshl_add_u64 v[14:15], s[44:45], 0, v[28:29]
	v_add_f32_e32 v11, v11, v21
	v_lshl_add_u64 v[8:9], s[44:45], 0, v[24:25]
	v_lshl_add_u64 v[16:17], s[44:45], 0, v[30:31]
	;; [unrolled: 1-line block ×3, first 2 shown]
	v_exp_f32_e32 v21, v11
	global_load_dword v2, v[2:3], off
	s_nop 0
	global_load_dword v3, v[4:5], off
	s_nop 0
	global_load_dword v4, v[6:7], off
	global_load_dword v11, v[8:9], off
	s_nop 0
	global_load_dword v12, v[12:13], off
	s_nop 0
	;; [unrolled: 2-line block ×3, first 2 shown]
	global_load_dword v14, v[16:17], off
	global_load_dword v15, v[18:19], off
	v_sub_f32_e32 v6, v50, v20
	v_mul_f32_e32 v7, 0x3fb8aa3b, v6
	v_fma_f32 v8, v6, s43, -v7
	v_rndne_f32_e32 v9, v7
	v_cvt_i32_f32_e32 v22, v22
	v_fmac_f32_e32 v8, 0x32a5705f, v6
	v_sub_f32_e32 v7, v7, v9
	v_add_f32_e32 v7, v7, v8
	v_exp_f32_e32 v7, v7
	v_cvt_i32_f32_e32 v8, v9
	s_mov_b32 s44, 0xc2ce8ed0
	v_ldexp_f32 v5, v21, v22
	v_cmp_ngt_f32_e64 s[36:37], s44, v1
	s_mov_b32 s45, 0x42b17218
	v_mov_b32_e32 v16, 0x7f800000
	v_cndmask_b32_e64 v5, 0, v5, s[36:37]
	v_cmp_nlt_f32_e64 s[36:37], s45, v1
	v_sub_f32_e32 v23, v37, v20
	v_mul_f32_e32 v24, 0x3fb8aa3b, v23
	v_cndmask_b32_e64 v1, v16, v5, s[36:37]
	v_ldexp_f32 v5, v7, v8
	v_sub_f32_e32 v7, v51, v20
	v_mul_f32_e32 v8, 0x3fb8aa3b, v7
	v_fma_f32 v9, v7, s43, -v8
	v_rndne_f32_e32 v17, v8
	v_fmac_f32_e32 v9, 0x32a5705f, v7
	v_sub_f32_e32 v8, v8, v17
	v_add_f32_e32 v8, v8, v9
	v_exp_f32_e32 v8, v8
	v_cvt_i32_f32_e32 v9, v17
	v_cndmask_b32_e64 v1, 0, v1, s[34:35]
	v_cmp_ngt_f32_e64 s[34:35], s44, v6
	v_fma_f32 v25, v23, s43, -v24
	v_rndne_f32_e32 v26, v24
	v_cndmask_b32_e64 v5, 0, v5, s[34:35]
	v_cmp_nlt_f32_e64 s[34:35], s45, v6
	v_ldexp_f32 v6, v8, v9
	v_sub_f32_e32 v8, v52, v20
	v_mul_f32_e32 v9, 0x3fb8aa3b, v8
	v_fma_f32 v17, v8, s43, -v9
	v_rndne_f32_e32 v18, v9
	v_fmac_f32_e32 v17, 0x32a5705f, v8
	v_sub_f32_e32 v9, v9, v18
	v_cndmask_b32_e64 v5, v16, v5, s[34:35]
	v_add_f32_e32 v9, v9, v17
	v_cndmask_b32_e64 v5, 0, v5, s[30:31]
	v_cmp_ngt_f32_e64 s[30:31], s44, v7
	v_exp_f32_e32 v9, v9
	v_cvt_i32_f32_e32 v17, v18
	v_cndmask_b32_e64 v6, 0, v6, s[30:31]
	v_cmp_nlt_f32_e64 s[30:31], s45, v7
	v_sub_f32_e32 v7, v53, v20
	v_fmac_f32_e32 v25, 0x32a5705f, v23
	v_cndmask_b32_e64 v6, v16, v6, s[30:31]
	v_cndmask_b32_e64 v6, 0, v6, s[28:29]
	s_waitcnt vmcnt(13)
	v_mul_f32_e32 v18, v59, v6
	v_ldexp_f32 v6, v9, v17
	v_mul_f32_e32 v9, 0x3fb8aa3b, v7
	v_fma_f32 v17, v7, s43, -v9
	v_rndne_f32_e32 v19, v9
	v_fmac_f32_e32 v17, 0x32a5705f, v7
	v_sub_f32_e32 v9, v9, v19
	v_add_f32_e32 v9, v9, v17
	v_cmp_ngt_f32_e64 s[28:29], s44, v8
	v_exp_f32_e32 v9, v9
	v_cvt_i32_f32_e32 v17, v19
	v_cndmask_b32_e64 v6, 0, v6, s[28:29]
	v_cmp_nlt_f32_e64 s[28:29], s45, v8
	v_sub_f32_e32 v8, v54, v20
	v_sub_f32_e32 v24, v24, v26
	v_cndmask_b32_e64 v6, v16, v6, s[28:29]
	v_cndmask_b32_e64 v6, 0, v6, s[26:27]
	s_waitcnt vmcnt(12)
	v_mul_f32_e32 v19, v60, v6
	v_ldexp_f32 v6, v9, v17
	v_mul_f32_e32 v9, 0x3fb8aa3b, v8
	v_fma_f32 v17, v8, s43, -v9
	v_rndne_f32_e32 v21, v9
	v_fmac_f32_e32 v17, 0x32a5705f, v8
	v_sub_f32_e32 v9, v9, v21
	v_add_f32_e32 v9, v9, v17
	v_cmp_ngt_f32_e64 s[26:27], s44, v7
	v_exp_f32_e32 v9, v9
	v_cvt_i32_f32_e32 v17, v21
	v_cndmask_b32_e64 v6, 0, v6, s[26:27]
	v_cmp_nlt_f32_e64 s[26:27], s45, v7
	v_sub_f32_e32 v7, v55, v20
	v_add_f32_e32 v24, v24, v25
	v_cndmask_b32_e64 v6, v16, v6, s[26:27]
	v_cndmask_b32_e64 v6, 0, v6, s[24:25]
	s_waitcnt vmcnt(11)
	v_mul_f32_e32 v21, v61, v6
	v_ldexp_f32 v6, v9, v17
	v_mul_f32_e32 v9, 0x3fb8aa3b, v7
	v_fma_f32 v17, v7, s43, -v9
	v_rndne_f32_e32 v22, v9
	v_fmac_f32_e32 v17, 0x32a5705f, v7
	v_sub_f32_e32 v9, v9, v22
	v_add_f32_e32 v9, v9, v17
	v_cmp_ngt_f32_e64 s[24:25], s44, v8
	v_exp_f32_e32 v9, v9
	v_cvt_i32_f32_e32 v17, v22
	v_cndmask_b32_e64 v6, 0, v6, s[24:25]
	v_cmp_nlt_f32_e64 s[24:25], s45, v8
	v_exp_f32_e32 v24, v24
	v_cvt_i32_f32_e32 v25, v26
	v_cndmask_b32_e64 v6, v16, v6, s[24:25]
	v_cndmask_b32_e64 v6, 0, v6, s[22:23]
	s_waitcnt vmcnt(10)
	v_mul_f32_e32 v22, v62, v6
	v_ldexp_f32 v6, v9, v17
	v_cmp_ngt_f32_e64 s[22:23], s44, v7
	v_mul_f32_e32 v1, v57, v1
	v_mul_f32_e32 v5, v58, v5
	v_cndmask_b32_e64 v6, 0, v6, s[22:23]
	v_cmp_nlt_f32_e64 s[22:23], s45, v7
	v_sub_f32_e32 v7, v56, v20
	v_mul_f32_e32 v8, 0x3fb8aa3b, v7
	v_fma_f32 v9, v7, s43, -v8
	v_rndne_f32_e32 v17, v8
	v_fmac_f32_e32 v9, 0x32a5705f, v7
	v_sub_f32_e32 v8, v8, v17
	v_add_f32_e32 v8, v8, v9
	v_exp_f32_e32 v8, v8
	v_cvt_i32_f32_e32 v9, v17
	v_cndmask_b32_e64 v6, v16, v6, s[22:23]
	v_cndmask_b32_e64 v6, 0, v6, s[20:21]
	v_ldexp_f32 v17, v24, v25
	v_cmp_ngt_f32_e64 s[20:21], s44, v23
	v_ldexp_f32 v8, v8, v9
	v_sub_f32_e32 v9, v34, v20
	v_cndmask_b32_e64 v17, 0, v17, s[20:21]
	v_cmp_nlt_f32_e64 s[20:21], s45, v23
	s_waitcnt vmcnt(9)
	v_mul_f32_e32 v6, v10, v6
	v_mul_f32_e32 v10, 0x3fb8aa3b, v9
	v_cndmask_b32_e64 v17, v16, v17, s[20:21]
	v_cndmask_b32_e64 v17, 0, v17, s[18:19]
	s_waitcnt vmcnt(4)
	v_mul_f32_e32 v11, v11, v17
	v_fma_f32 v17, v9, s43, -v10
	v_rndne_f32_e32 v23, v10
	v_fmac_f32_e32 v17, 0x32a5705f, v9
	v_sub_f32_e32 v10, v10, v23
	v_add_f32_e32 v10, v10, v17
	v_exp_f32_e32 v10, v10
	v_cvt_i32_f32_e32 v17, v23
	v_cmp_ngt_f32_e64 s[18:19], s44, v7
	s_nop 1
	v_cndmask_b32_e64 v8, 0, v8, s[18:19]
	v_cmp_nlt_f32_e64 s[18:19], s45, v7
	s_nop 1
	v_cndmask_b32_e64 v7, v16, v8, s[18:19]
	v_ldexp_f32 v8, v10, v17
	v_sub_f32_e32 v10, v35, v20
	v_mul_f32_e32 v17, 0x3fb8aa3b, v10
	v_fma_f32 v23, v10, s43, -v17
	v_rndne_f32_e32 v24, v17
	v_fmac_f32_e32 v23, 0x32a5705f, v10
	v_sub_f32_e32 v17, v17, v24
	v_add_f32_e32 v17, v17, v23
	v_cvt_i32_f32_e32 v23, v24
	v_sub_f32_e32 v24, v38, v20
	v_mul_f32_e32 v25, 0x3fb8aa3b, v24
	v_fma_f32 v26, v24, s43, -v25
	v_rndne_f32_e32 v27, v25
	v_fmac_f32_e32 v26, 0x32a5705f, v24
	v_sub_f32_e32 v25, v25, v27
	v_add_f32_e32 v25, v25, v26
	v_exp_f32_e32 v17, v17
	v_exp_f32_e32 v25, v25
	v_cvt_i32_f32_e32 v26, v27
	v_cndmask_b32_e64 v7, 0, v7, s[16:17]
	v_ldexp_f32 v17, v17, v23
	v_cmp_ngt_f32_e64 s[16:17], s44, v9
	v_ldexp_f32 v23, v25, v26
	v_sub_f32_e32 v25, v39, v20
	v_mul_f32_e32 v26, 0x3fb8aa3b, v25
	v_cndmask_b32_e64 v8, 0, v8, s[16:17]
	v_cmp_ngt_f32_e64 s[16:17], s44, v24
	v_cmp_nlt_f32_e64 s[18:19], s45, v9
	v_fma_f32 v27, v25, s43, -v26
	v_rndne_f32_e32 v28, v26
	v_cndmask_b32_e64 v23, 0, v23, s[16:17]
	v_cmp_nlt_f32_e64 s[16:17], s45, v24
	v_cndmask_b32_e64 v8, v16, v8, s[18:19]
	v_fmac_f32_e32 v27, 0x32a5705f, v25
	v_sub_f32_e32 v26, v26, v28
	v_cndmask_b32_e64 v8, 0, v8, s[12:13]
	v_cmp_ngt_f32_e64 s[12:13], s44, v10
	v_cndmask_b32_e64 v23, v16, v23, s[16:17]
	v_add_f32_e32 v26, v26, v27
	v_cndmask_b32_e64 v9, 0, v17, s[12:13]
	v_sub_f32_e32 v17, v36, v20
	v_cndmask_b32_e64 v23, 0, v23, s[14:15]
	v_exp_f32_e32 v26, v26
	v_cvt_i32_f32_e32 v27, v28
	s_waitcnt vmcnt(3)
	v_mul_f32_e32 v12, v12, v23
	v_mul_f32_e32 v23, 0x3fb8aa3b, v17
	v_fma_f32 v24, v17, s43, -v23
	v_rndne_f32_e32 v28, v23
	v_cmp_nlt_f32_e64 s[12:13], s45, v10
	v_fmac_f32_e32 v24, 0x32a5705f, v17
	v_sub_f32_e32 v23, v23, v28
	v_mul_f32_e32 v8, v2, v8
	v_cndmask_b32_e64 v2, v16, v9, s[12:13]
	v_add_f32_e32 v23, v23, v24
	v_ldexp_f32 v24, v26, v27
	v_cndmask_b32_e64 v2, 0, v2, s[8:9]
	v_cmp_ngt_f32_e64 s[8:9], s44, v25
	v_exp_f32_e32 v10, v23
	v_cvt_i32_f32_e32 v23, v28
	v_cndmask_b32_e64 v9, 0, v24, s[8:9]
	v_cmp_nlt_f32_e64 s[8:9], s45, v25
	v_mul_f32_e32 v7, v63, v7
	s_nop 0
	v_cndmask_b32_e64 v9, v16, v9, s[8:9]
	v_cndmask_b32_e64 v9, 0, v9, s[10:11]
	s_waitcnt vmcnt(2)
	v_mul_f32_e32 v13, v13, v9
	v_mul_f32_e32 v9, v3, v2
	v_sub_f32_e32 v3, v40, v20
	v_ldexp_f32 v2, v10, v23
	v_mul_f32_e32 v10, 0x3fb8aa3b, v3
	v_fma_f32 v23, v3, s43, -v10
	v_rndne_f32_e32 v24, v10
	v_fmac_f32_e32 v23, 0x32a5705f, v3
	v_sub_f32_e32 v10, v10, v24
	v_add_f32_e32 v10, v10, v23
	v_exp_f32_e32 v10, v10
	v_cvt_i32_f32_e32 v23, v24
	v_cmp_ngt_f32_e64 s[8:9], s44, v17
	v_ldexp_f32 v10, v10, v23
	s_nop 0
	v_cndmask_b32_e64 v2, 0, v2, s[8:9]
	v_cmp_nlt_f32_e64 s[8:9], s45, v17
	v_sub_f32_e32 v17, v41, v20
	s_nop 0
	v_cndmask_b32_e64 v2, v16, v2, s[8:9]
	v_cndmask_b32_e64 v2, 0, v2, s[6:7]
	v_cmp_ngt_f32_e64 s[6:7], s44, v3
	s_nop 1
	v_cndmask_b32_e64 v10, 0, v10, s[6:7]
	v_cmp_nlt_f32_e64 s[6:7], s45, v3
	s_nop 1
	v_cndmask_b32_e64 v3, v16, v10, s[6:7]
	v_mul_f32_e32 v10, 0x3fb8aa3b, v17
	v_fma_f32 v20, v17, s43, -v10
	v_rndne_f32_e32 v23, v10
	v_fmac_f32_e32 v20, 0x32a5705f, v17
	v_sub_f32_e32 v10, v10, v23
	v_add_f32_e32 v10, v10, v20
	v_exp_f32_e32 v20, v10
	v_cvt_i32_f32_e32 v23, v23
	v_cndmask_b32_e64 v3, 0, v3, s[4:5]
	v_mul_f32_e32 v10, v4, v2
	v_cmp_ngt_f32_e64 s[4:5], s44, v17
	v_ldexp_f32 v2, v20, v23
	s_waitcnt vmcnt(1)
	v_mul_f32_e32 v3, v14, v3
	v_cndmask_b32_e64 v2, 0, v2, s[4:5]
	v_cmp_nlt_f32_e64 s[4:5], s45, v17
	s_nop 1
	v_cndmask_b32_e64 v2, v16, v2, s[4:5]
	v_cndmask_b32_e32 v2, 0, v2, vcc
	s_waitcnt vmcnt(0)
	v_mul_f32_e32 v4, v15, v2
	v_add_f32_e32 v2, v1, v5
	v_add_f32_e32 v2, v2, v18
	;; [unrolled: 1-line block ×15, first 2 shown]
	ds_bpermute_b32 v14, v45, v2
	v_lshlrev_b32_e32 v15, 2, v0
	ds_write2st64_b32 v15, v1, v5 offset1:1
	v_cmp_eq_u32_e32 vcc, 0, v0
	ds_write2st64_b32 v15, v18, v19 offset0:2 offset1:3
	ds_write2st64_b32 v15, v21, v22 offset0:4 offset1:5
	;; [unrolled: 1-line block ×4, first 2 shown]
	s_waitcnt lgkmcnt(5)
	v_add_f32_e32 v2, v2, v14
	ds_bpermute_b32 v14, v46, v2
	ds_write2st64_b32 v15, v10, v11 offset0:10 offset1:11
	ds_write2st64_b32 v15, v12, v13 offset0:12 offset1:13
	;; [unrolled: 1-line block ×3, first 2 shown]
	s_waitcnt lgkmcnt(3)
	v_add_f32_e32 v2, v2, v14
	ds_bpermute_b32 v14, v47, v2
	s_waitcnt lgkmcnt(0)
	v_add_f32_e32 v2, v2, v14
	ds_bpermute_b32 v14, v48, v2
	;; [unrolled: 3-line block ×4, first 2 shown]
	s_and_saveexec_b64 s[4:5], vcc
	s_cbranch_execz .LBB419_8
; %bb.7:
	s_waitcnt lgkmcnt(0)
	v_add_f32_e32 v1, v1, v2
	v_mov_b32_e32 v2, 0
	ds_write_b32 v2, v1 offset:4096
.LBB419_8:
	s_or_b64 exec, exec, s[4:5]
	v_mov_b32_e32 v1, s42
.LBB419_9:
	s_or_b64 exec, exec, s[54:55]
	s_lshl_b32 s4, s56, 6
	s_mov_b32 s5, 0
	s_lshl_b64 s[4:5], s[4:5], 1
	s_add_u32 s4, s40, s4
	s_addc_u32 s5, s41, s5
	s_lshl_b32 s10, s33, 6
	s_waitcnt lgkmcnt(0)
	v_lshlrev_b32_e32 v2, 6, v1
	v_mov_b32_e32 v1, 0
	s_sub_i32 s11, s10, 64
	v_mov_b32_e32 v3, v1
	s_cmp_lt_i32 s60, 1
	v_lshl_add_u64 v[2:3], v[2:3], 1, s[4:5]
	s_cselect_b32 s4, s11, 0
	v_lshlrev_b32_e32 v4, 1, v0
	v_mov_b32_e32 v5, v1
	s_ashr_i32 s5, s4, 31
	v_lshl_add_u64 v[2:3], v[2:3], 0, v[4:5]
	s_cmpk_lt_i32 s60, 0x101
	v_lshl_add_u64 v[4:5], s[4:5], 1, v[2:3]
	s_cselect_b32 s4, s11, 64
	s_ashr_i32 s5, s4, 31
	s_cmpk_lt_i32 s60, 0x201
	v_lshl_add_u64 v[6:7], s[4:5], 1, v[2:3]
	s_cselect_b32 s4, s11, 0x80
	s_ashr_i32 s5, s4, 31
	;; [unrolled: 4-line block ×8, first 2 shown]
	s_cmpk_lt_i32 s60, 0x901
	global_load_ushort v23, v[4:5], off
	global_load_ushort v22, v[6:7], off
	;; [unrolled: 1-line block ×8, first 2 shown]
	v_lshl_add_u64 v[4:5], s[4:5], 1, v[2:3]
	s_cselect_b32 s4, s11, 0x240
	s_ashr_i32 s5, s4, 31
	s_cmpk_lt_i32 s60, 0xa01
	v_lshl_add_u64 v[6:7], s[4:5], 1, v[2:3]
	s_cselect_b32 s4, s11, 0x280
	s_ashr_i32 s5, s4, 31
	s_cmpk_lt_i32 s60, 0xb01
	;; [unrolled: 4-line block ×6, first 2 shown]
	v_lshl_add_u64 v[32:33], s[4:5], 1, v[2:3]
	s_cselect_b32 s4, s11, 0x3c0
	s_ashr_i32 s5, s4, 31
	v_lshl_add_u64 v[34:35], s[4:5], 1, v[2:3]
	global_load_ushort v30, v[4:5], off
	global_load_ushort v31, v[6:7], off
	;; [unrolled: 1-line block ×8, first 2 shown]
	s_cmpk_gt_i32 s60, 0x1000
	s_cselect_b64 s[8:9], -1, 0
	s_cmpk_lt_i32 s60, 0x1001
	v_mov_b32_e32 v40, 0
	v_mov_b32_e32 v41, 0
	;; [unrolled: 1-line block ×48, first 2 shown]
	s_waitcnt lgkmcnt(0)
	; wave barrier
	s_cbranch_scc1 .LBB419_12
; %bb.10:
	s_cmpk_lt_u32 s60, 0x1101
	s_cselect_b32 s4, s11, 0x440
	s_ashr_i32 s5, s4, 31
	s_cmpk_lt_u32 s60, 0x1201
	v_lshl_add_u64 v[4:5], s[4:5], 1, v[2:3]
	s_cselect_b32 s4, s11, 0x480
	s_ashr_i32 s5, s4, 31
	s_cmpk_lt_u32 s60, 0x1301
	v_lshl_add_u64 v[6:7], s[4:5], 1, v[2:3]
	;; [unrolled: 4-line block ×7, first 2 shown]
	s_cselect_b32 s4, s11, 0x600
	s_ashr_i32 s5, s4, 31
	s_cmpk_lt_u32 s60, 0x1901
	global_load_ushort v39, v[2:3], off offset:2048
	global_load_ushort v38, v[4:5], off
	global_load_ushort v37, v[6:7], off
	;; [unrolled: 1-line block ×7, first 2 shown]
	v_lshl_add_u64 v[4:5], s[4:5], 1, v[2:3]
	s_cselect_b32 s4, s11, 0x640
	s_ashr_i32 s5, s4, 31
	s_cmpk_lt_u32 s60, 0x1a01
	v_lshl_add_u64 v[6:7], s[4:5], 1, v[2:3]
	s_cselect_b32 s4, s11, 0x680
	s_ashr_i32 s5, s4, 31
	s_cmpk_lt_u32 s60, 0x1b01
	;; [unrolled: 4-line block ×6, first 2 shown]
	v_lshl_add_u64 v[48:49], s[4:5], 1, v[2:3]
	s_cselect_b32 s4, s11, 0x7c0
	s_ashr_i32 s5, s4, 31
	v_lshl_add_u64 v[50:51], s[4:5], 1, v[2:3]
	global_load_ushort v47, v[4:5], off
	global_load_ushort v46, v[6:7], off
	;; [unrolled: 1-line block ×8, first 2 shown]
	s_cmpk_lt_u32 s60, 0x2001
	v_mov_b32_e32 v67, 0
	v_mov_b32_e32 v65, 0
	;; [unrolled: 1-line block ×32, first 2 shown]
	s_cbranch_scc1 .LBB419_12
; %bb.11:
	s_cmpk_lt_u32 s60, 0x2101
	s_cselect_b32 s4, s11, 0x840
	s_ashr_i32 s5, s4, 31
	s_cmpk_lt_u32 s60, 0x2201
	v_lshl_add_u64 v[4:5], s[4:5], 1, v[2:3]
	s_cselect_b32 s4, s11, 0x880
	s_ashr_i32 s5, s4, 31
	s_cmpk_lt_u32 s60, 0x2301
	v_lshl_add_u64 v[6:7], s[4:5], 1, v[2:3]
	;; [unrolled: 4-line block ×29, first 2 shown]
	s_cselect_b32 s4, s11, 0xf80
	s_ashr_i32 s5, s4, 31
	v_lshl_add_u64 v[94:95], s[4:5], 1, v[2:3]
	s_movk_i32 s4, 0x1000
	s_cmpk_lt_u32 s60, 0x3f01
	v_add_co_u32_e32 v96, vcc, s4, v2
	s_cselect_b32 s4, s11, 0xfc0
	s_nop 0
	v_addc_co_u32_e32 v97, vcc, 0, v3, vcc
	s_ashr_i32 s5, s4, 31
	global_load_ushort v98, v[96:97], off
	global_load_ushort v99, v[4:5], off
	;; [unrolled: 1-line block ×15, first 2 shown]
                                        ; kill: killed $vgpr56_vgpr57
                                        ; kill: killed $vgpr8_vgpr9
                                        ; kill: killed $vgpr62_vgpr63
                                        ; kill: killed $vgpr14_vgpr15
                                        ; kill: killed $vgpr96 killed $vgpr97
                                        ; kill: killed $vgpr52_vgpr53
                                        ; kill: killed $vgpr4_vgpr5
                                        ; kill: killed $vgpr58_vgpr59
                                        ; kill: killed $vgpr10_vgpr11
                                        ; kill: killed $vgpr48_vgpr49
                                        ; kill: killed $vgpr54_vgpr55
                                        ; kill: killed $vgpr6_vgpr7
                                        ; kill: killed $vgpr60_vgpr61
                                        ; kill: killed $vgpr12_vgpr13
                                        ; kill: killed $vgpr50_vgpr51
	global_load_ushort v6, v[64:65], off
	global_load_ushort v7, v[66:67], off
	;; [unrolled: 1-line block ×15, first 2 shown]
                                        ; kill: killed $vgpr88_vgpr89
                                        ; kill: killed $vgpr72_vgpr73
                                        ; kill: killed $vgpr94_vgpr95
                                        ; kill: killed $vgpr78_vgpr79
                                        ; kill: killed $vgpr84_vgpr85
                                        ; kill: killed $vgpr68_vgpr69
                                        ; kill: killed $vgpr90_vgpr91
                                        ; kill: killed $vgpr74_vgpr75
                                        ; kill: killed $vgpr80_vgpr81
                                        ; kill: killed $vgpr64_vgpr65
                                        ; kill: killed $vgpr70_vgpr71
                                        ; kill: killed $vgpr92_vgpr93
                                        ; kill: killed $vgpr76_vgpr77
                                        ; kill: killed $vgpr82_vgpr83
                                        ; kill: killed $vgpr66_vgpr67
	global_load_ushort v68, v[86:87], off
	v_lshl_add_u64 v[4:5], s[4:5], 1, v[2:3]
	global_load_ushort v5, v[4:5], off
	s_waitcnt vmcnt(31)
	v_lshlrev_b32_e32 v67, 16, v98
	s_waitcnt vmcnt(30)
	v_lshlrev_b32_e32 v65, 16, v99
	;; [unrolled: 2-line block ×32, first 2 shown]
.LBB419_12:
	s_load_dwordx2 s[4:5], s[0:1], 0x0
	s_load_dwordx2 s[6:7], s[0:1], 0x38
	ds_read_b128 v[68:71], v1
	s_waitcnt vmcnt(15)
	v_lshlrev_b32_e32 v23, 16, v23
	ds_read_b128 v[72:75], v1 offset:16
	ds_read_b128 v[76:79], v1 offset:32
	;; [unrolled: 1-line block ×3, first 2 shown]
	s_waitcnt vmcnt(14)
	v_lshlrev_b32_e32 v22, 16, v22
	s_waitcnt vmcnt(13)
	v_lshlrev_b32_e32 v21, 16, v21
	s_waitcnt lgkmcnt(0)
	v_fma_f32 v23, v68, v23, 0
	v_fmac_f32_e32 v23, v69, v22
	v_fmac_f32_e32 v23, v70, v21
	s_waitcnt vmcnt(12)
	v_lshlrev_b32_e32 v20, 16, v20
	s_waitcnt vmcnt(10)
	v_lshlrev_b32_e32 v19, 16, v19
	v_lshlrev_b32_e32 v18, 16, v18
	v_fmac_f32_e32 v23, v71, v20
	v_pk_mul_f32 v[18:19], v[72:73], v[18:19]
	s_waitcnt vmcnt(8)
	v_lshlrev_b32_e32 v17, 16, v17
	v_add_f32_e32 v18, v23, v18
	v_lshlrev_b32_e32 v16, 16, v16
	v_add_f32_e32 v18, v18, v19
	v_pk_mul_f32 v[16:17], v[74:75], v[16:17]
	s_and_b64 vcc, exec, s[8:9]
	v_add_f32_e32 v16, v18, v16
	v_add_f32_e32 v18, v16, v17
	s_waitcnt vmcnt(6)
	v_lshlrev_b32_e32 v17, 16, v31
	v_lshlrev_b32_e32 v16, 16, v30
	v_pk_mul_f32 v[16:17], v[76:77], v[16:17]
	s_nop 0
	v_add_f32_e32 v16, v18, v16
	v_add_f32_e32 v18, v16, v17
	s_waitcnt vmcnt(4)
	v_lshlrev_b32_e32 v17, 16, v29
	v_lshlrev_b32_e32 v16, 16, v28
	v_pk_mul_f32 v[16:17], v[78:79], v[16:17]
	s_nop 0
	;; [unrolled: 7-line block ×4, first 2 shown]
	v_add_f32_e32 v16, v18, v16
	v_add_f32_e32 v108, v16, v17
	s_cbranch_vccz .LBB419_15
; %bb.13:
	ds_read_b128 v[16:19], v1 offset:64
	v_lshlrev_b32_e32 v39, 16, v39
	ds_read_b128 v[20:23], v1 offset:80
	ds_read_b128 v[24:27], v1 offset:96
	;; [unrolled: 1-line block ×3, first 2 shown]
	s_cmpk_lt_u32 s60, 0x2001
	s_waitcnt lgkmcnt(3)
	v_fmac_f32_e32 v108, v16, v39
	v_lshlrev_b32_e32 v16, 16, v38
	v_fmac_f32_e32 v108, v17, v16
	v_lshlrev_b32_e32 v16, 16, v37
	v_fmac_f32_e32 v108, v18, v16
	v_lshlrev_b32_e32 v16, 16, v36
	v_fmac_f32_e32 v108, v19, v16
	v_lshlrev_b32_e32 v16, 16, v35
	s_waitcnt lgkmcnt(2)
	v_fmac_f32_e32 v108, v20, v16
	v_lshlrev_b32_e32 v16, 16, v34
	v_fmac_f32_e32 v108, v21, v16
	v_lshlrev_b32_e32 v16, 16, v33
	v_fmac_f32_e32 v108, v22, v16
	v_lshlrev_b32_e32 v16, 16, v32
	v_fmac_f32_e32 v108, v23, v16
	v_lshlrev_b32_e32 v16, 16, v47
	;; [unrolled: 9-line block ×3, first 2 shown]
	s_waitcnt lgkmcnt(0)
	v_fmac_f32_e32 v108, v28, v16
	v_lshlrev_b32_e32 v16, 16, v42
	v_fmac_f32_e32 v108, v29, v16
	v_lshlrev_b32_e32 v16, 16, v41
	;; [unrolled: 2-line block ×3, first 2 shown]
	v_fmac_f32_e32 v108, v31, v16
	s_cbranch_scc1 .LBB419_15
; %bb.14:
	v_mov_b32_e32 v32, 0
	ds_read_b128 v[16:19], v32 offset:128
	ds_read_b128 v[20:23], v32 offset:144
	;; [unrolled: 1-line block ×4, first 2 shown]
	s_waitcnt lgkmcnt(3)
	v_fmac_f32_e32 v108, v16, v67
	v_fmac_f32_e32 v108, v17, v65
	v_fmac_f32_e32 v108, v18, v66
	v_fmac_f32_e32 v108, v19, v63
	s_waitcnt lgkmcnt(2)
	v_fmac_f32_e32 v108, v20, v64
	v_fmac_f32_e32 v108, v21, v61
	v_fmac_f32_e32 v108, v22, v62
	v_fmac_f32_e32 v108, v23, v59
	;; [unrolled: 5-line block ×3, first 2 shown]
	ds_read_b128 v[16:19], v32 offset:192
	ds_read_b128 v[20:23], v32 offset:208
	s_waitcnt lgkmcnt(2)
	v_fmac_f32_e32 v108, v28, v56
	v_fmac_f32_e32 v108, v29, v53
	;; [unrolled: 1-line block ×4, first 2 shown]
	s_waitcnt lgkmcnt(1)
	v_fmac_f32_e32 v108, v16, v51
	v_fmac_f32_e32 v108, v17, v49
	;; [unrolled: 1-line block ×4, first 2 shown]
	s_waitcnt lgkmcnt(0)
	v_pk_mul_f32 v[14:15], v[20:21], v[14:15]
	v_pk_mul_f32 v[12:13], v[22:23], v[12:13]
	v_add_f32_e32 v14, v108, v14
	v_add_f32_e32 v18, v14, v15
	ds_read_b128 v[14:17], v32 offset:224
	v_add_f32_e32 v12, v18, v12
	ds_read_b128 v[18:21], v32 offset:240
	v_add_f32_e32 v12, v12, v13
	s_waitcnt lgkmcnt(1)
	v_pk_mul_f32 v[10:11], v[14:15], v[10:11]
	s_nop 0
	v_add_f32_e32 v10, v12, v10
	v_add_f32_e32 v10, v10, v11
	v_pk_mul_f32 v[8:9], v[16:17], v[8:9]
	s_waitcnt lgkmcnt(0)
	v_pk_mul_f32 v[6:7], v[18:19], v[6:7]
	v_add_f32_e32 v8, v10, v8
	v_add_f32_e32 v8, v8, v9
	;; [unrolled: 1-line block ×4, first 2 shown]
	v_pk_mul_f32 v[4:5], v[20:21], v[4:5]
	s_nop 0
	v_add_f32_e32 v4, v6, v4
	v_add_f32_e32 v108, v4, v5
.LBB419_15:
	s_movk_i32 s0, 0x1fc0
	s_movk_i32 s1, 0x100
	s_mov_b32 s8, 64
	s_branch .LBB419_17
.LBB419_16:                             ;   in Loop: Header=BB419_17 Depth=1
	s_addk_i32 s0, 0x1000
	s_addk_i32 s1, 0x100
	s_add_i32 s8, s8, 64
	s_cmp_eq_u32 s0, 0x10fc0
	s_cbranch_scc1 .LBB419_19
.LBB419_17:                             ; =>This Inner Loop Header: Depth=1
	s_cmp_le_i32 s33, s8
	s_cbranch_scc1 .LBB419_16
; %bb.18:                               ;   in Loop: Header=BB419_17 Depth=1
	s_add_i32 s9, s0, 0xfffff040
	s_cmp_lt_i32 s9, s10
	s_cselect_b32 s12, s9, s11
	s_ashr_i32 s13, s12, 31
	s_add_i32 s9, s0, 0xfffff080
	s_cmp_lt_i32 s9, s10
	v_lshl_add_u64 v[74:75], s[12:13], 1, v[2:3]
	s_cselect_b32 s12, s9, s11
	s_ashr_i32 s13, s12, 31
	s_add_i32 s9, s0, 0xfffff0c0
	s_cmp_lt_i32 s9, s10
	v_lshl_add_u64 v[8:9], s[12:13], 1, v[2:3]
	;; [unrolled: 5-line block ×24, first 2 shown]
	s_cselect_b32 s12, s9, s11
	s_ashr_i32 s13, s12, 31
	global_load_ushort v109, v[74:75], off
	v_lshl_add_u64 v[32:33], s[12:13], 1, v[2:3]
	global_load_ushort v62, v[62:63], off
	s_add_i32 s9, s0, 0xfffff680
	global_load_ushort v110, v[8:9], off
	global_load_ushort v112, v[10:11], off
	;; [unrolled: 1-line block ×15, first 2 shown]
	s_cmp_lt_i32 s9, s10
	global_load_ushort v67, v[38:39], off
	s_cselect_b32 s12, s9, s11
	global_load_ushort v32, v[32:33], off
	s_ashr_i32 s13, s12, 31
	global_load_ushort v26, v[26:27], off
	s_add_i32 s9, s0, 0xfffff6c0
	global_load_ushort v111, v[4:5], off
	s_cmp_lt_i32 s9, s10
	v_lshl_add_u64 v[14:15], s[12:13], 1, v[2:3]
	s_cselect_b32 s12, s9, s11
	s_ashr_i32 s13, s12, 31
	s_add_i32 s9, s0, 0xfffff700
	s_cmp_lt_i32 s9, s10
	v_lshl_add_u64 v[6:7], s[12:13], 1, v[2:3]
	s_cselect_b32 s12, s9, s11
	s_ashr_i32 s13, s12, 31
	s_add_i32 s9, s0, 0xfffff740
	s_cmp_lt_i32 s9, s10
	global_load_ushort v66, v[36:37], off
	global_load_ushort v27, v[40:41], off
	v_lshl_add_u64 v[20:21], s[12:13], 1, v[2:3]
	s_cselect_b32 s12, s9, s11
	s_ashr_i32 s13, s12, 31
	s_add_i32 s9, s0, 0xfffff780
	s_cmp_lt_i32 s9, s10
	v_lshl_add_u64 v[22:23], s[12:13], 1, v[2:3]
	s_cselect_b32 s12, s9, s11
	s_ashr_i32 s13, s12, 31
	s_add_i32 s9, s0, 0xfffff7c0
	s_cmp_lt_i32 s9, s10
	global_load_ushort v70, v[46:47], off
	v_lshl_add_u64 v[16:17], s[12:13], 1, v[2:3]
	s_cselect_b32 s12, s9, s11
	global_load_ushort v71, v[56:57], off
	s_ashr_i32 s13, s12, 31
	s_add_i32 s9, s0, 0xfffff800
	s_cmp_lt_i32 s9, s10
	v_lshl_add_u64 v[28:29], s[12:13], 1, v[2:3]
	s_cselect_b32 s12, s9, s11
	s_ashr_i32 s13, s12, 31
	s_add_i32 s9, s0, 0xfffff840
	s_cmp_lt_i32 s9, s10
	v_lshl_add_u64 v[34:35], s[12:13], 1, v[2:3]
	s_cselect_b32 s12, s9, s11
	;; [unrolled: 5-line block ×13, first 2 shown]
	v_mov_b32_e32 v123, s1
	s_ashr_i32 s13, s12, 31
	s_add_i32 s9, s0, 0xfffffb40
	ds_read_b128 v[46:49], v123
	ds_read_b128 v[54:57], v123 offset:16
	s_cmp_lt_i32 s9, s10
	v_lshl_add_u64 v[90:91], s[12:13], 1, v[2:3]
	s_cselect_b32 s12, s9, s11
	s_ashr_i32 s13, s12, 31
	s_add_i32 s9, s0, 0xfffffb80
	s_cmp_lt_i32 s9, s10
	s_waitcnt vmcnt(24)
	v_lshlrev_b32_e32 v58, 16, v109
	v_lshl_add_u64 v[92:93], s[12:13], 1, v[2:3]
	s_cselect_b32 s12, s9, s11
	s_waitcnt lgkmcnt(1)
	v_fmac_f32_e32 v108, v46, v58
	s_waitcnt vmcnt(22)
	v_lshlrev_b32_e32 v40, 16, v110
	s_ashr_i32 s13, s12, 31
	s_add_i32 s9, s0, 0xfffffbc0
	v_fmac_f32_e32 v108, v47, v40
	s_waitcnt vmcnt(4)
	v_lshlrev_b32_e32 v33, 16, v111
	s_cmp_lt_i32 s9, s10
	v_fmac_f32_e32 v108, v48, v33
	v_lshlrev_b32_e32 v33, 16, v112
	global_load_ushort v40, v[14:15], off
	global_load_ushort v41, v[20:21], off
	v_lshl_add_u64 v[94:95], s[12:13], 1, v[2:3]
	global_load_ushort v28, v[28:29], off
	s_cselect_b32 s12, s9, s11
	v_fmac_f32_e32 v108, v49, v33
	global_load_ushort v33, v[6:7], off
	s_ashr_i32 s13, s12, 31
	s_add_i32 s9, s0, 0xfffffc00
	v_lshlrev_b32_e32 v14, 16, v113
	s_cmp_lt_i32 s9, s10
	s_waitcnt lgkmcnt(0)
	v_fmac_f32_e32 v108, v54, v14
	v_lshlrev_b32_e32 v6, 16, v114
	global_load_ushort v29, v[34:35], off
	global_load_ushort v54, v[22:23], off
	v_lshl_add_u64 v[98:99], s[12:13], 1, v[2:3]
	s_cselect_b32 s12, s9, s11
	v_fmac_f32_e32 v108, v55, v6
	global_load_ushort v55, v[16:17], off
	s_ashr_i32 s13, s12, 31
	s_add_i32 s9, s0, 0xfffffc40
	global_load_ushort v34, v[50:51], off
	global_load_ushort v35, v[52:53], off
	ds_read_b128 v[58:61], v123 offset:32
	ds_read_b128 v[46:49], v123 offset:48
	s_cmp_lt_i32 s9, s10
	v_lshl_add_u64 v[100:101], s[12:13], 1, v[2:3]
	s_cselect_b32 s12, s9, s11
	v_lshlrev_b32_e32 v6, 16, v115
	s_ashr_i32 s13, s12, 31
	s_add_i32 s9, s0, 0xfffffc80
	v_fmac_f32_e32 v108, v56, v6
	v_lshlrev_b32_e32 v6, 16, v116
	s_cmp_lt_i32 s9, s10
	v_fmac_f32_e32 v108, v57, v6
	v_lshlrev_b32_e32 v6, 16, v117
	v_lshl_add_u64 v[102:103], s[12:13], 1, v[2:3]
	s_cselect_b32 s12, s9, s11
	s_waitcnt lgkmcnt(1)
	v_fmac_f32_e32 v108, v58, v6
	v_lshlrev_b32_e32 v6, 16, v118
	s_ashr_i32 s13, s12, 31
	s_add_i32 s9, s0, 0xfffffcc0
	v_fmac_f32_e32 v108, v59, v6
	v_lshlrev_b32_e32 v6, 16, v119
	s_cmp_lt_i32 s9, s10
	v_fmac_f32_e32 v108, v60, v6
	v_lshlrev_b32_e32 v6, 16, v120
	global_load_ushort v50, v[68:69], off
	global_load_ushort v51, v[72:73], off
	v_lshl_add_u64 v[104:105], s[12:13], 1, v[2:3]
	s_cselect_b32 s12, s9, s11
	v_fmac_f32_e32 v108, v61, v6
	v_lshlrev_b32_e32 v6, 16, v121
	s_ashr_i32 s13, s12, 31
	s_add_i32 s9, s0, 0xfffffd00
	s_waitcnt lgkmcnt(0)
	v_fmac_f32_e32 v108, v46, v6
	global_load_ushort v46, v[76:77], off
	global_load_ushort v52, v[78:79], off
	s_cmp_lt_i32 s9, s10
	v_lshlrev_b32_e32 v6, 16, v62
	v_lshl_add_u64 v[106:107], s[12:13], 1, v[2:3]
	s_cselect_b32 s12, s9, s11
	v_fmac_f32_e32 v108, v47, v6
	global_load_ushort v47, v[80:81], off
	s_ashr_i32 s13, s12, 31
	s_add_i32 s9, s0, 0xfffffd40
	s_cmp_lt_i32 s9, s10
	v_lshl_add_u64 v[96:97], s[12:13], 1, v[2:3]
	s_cselect_b32 s12, s9, s11
	v_lshlrev_b32_e32 v6, 16, v63
	s_ashr_i32 s13, s12, 31
	s_add_i32 s9, s0, 0xfffffd80
	v_fmac_f32_e32 v108, v48, v6
	global_load_ushort v48, v[82:83], off
	global_load_ushort v53, v[84:85], off
	ds_read_b128 v[14:17], v123 offset:64
	ds_read_b128 v[20:23], v123 offset:80
	s_cmp_lt_i32 s9, s10
	v_lshlrev_b32_e32 v6, 16, v64
	v_lshl_add_u64 v[74:75], s[12:13], 1, v[2:3]
	s_cselect_b32 s12, s9, s11
	v_fmac_f32_e32 v108, v49, v6
	global_load_ushort v49, v[86:87], off
	s_ashr_i32 s13, s12, 31
	s_add_i32 s9, s0, 0xfffffdc0
	global_load_ushort v56, v[88:89], off
	global_load_ushort v57, v[90:91], off
	s_cmp_lt_i32 s9, s10
	v_lshlrev_b32_e32 v6, 16, v65
	v_lshl_add_u64 v[8:9], s[12:13], 1, v[2:3]
	s_cselect_b32 s12, s9, s11
	s_waitcnt lgkmcnt(1)
	v_fmac_f32_e32 v108, v14, v6
	global_load_ushort v14, v[92:93], off
	global_load_ushort v58, v[94:95], off
	s_ashr_i32 s13, s12, 31
	s_add_i32 s9, s0, 0xfffffe00
	s_waitcnt vmcnt(24)
	v_lshlrev_b32_e32 v6, 16, v66
	s_cmp_lt_i32 s9, s10
	v_fmac_f32_e32 v108, v15, v6
	global_load_ushort v15, v[98:99], off
	v_lshl_add_u64 v[4:5], s[12:13], 1, v[2:3]
	s_cselect_b32 s12, s9, s11
	s_ashr_i32 s13, s12, 31
	s_add_i32 s9, s0, 0xfffffe40
	s_cmp_lt_i32 s9, s10
	v_lshlrev_b32_e32 v6, 16, v67
	v_lshl_add_u64 v[10:11], s[12:13], 1, v[2:3]
	s_cselect_b32 s12, s9, s11
	v_fmac_f32_e32 v108, v16, v6
	global_load_ushort v16, v[100:101], off
	global_load_ushort v59, v[102:103], off
	s_ashr_i32 s13, s12, 31
	s_add_i32 s9, s0, 0xfffffe80
	s_waitcnt vmcnt(25)
	v_lshlrev_b32_e32 v6, 16, v70
	s_cmp_lt_i32 s9, s10
	v_fmac_f32_e32 v108, v17, v6
	global_load_ushort v17, v[104:105], off
	s_waitcnt vmcnt(25)
	v_lshlrev_b32_e32 v6, 16, v71
	v_lshl_add_u64 v[12:13], s[12:13], 1, v[2:3]
	s_cselect_b32 s12, s9, s11
	s_waitcnt lgkmcnt(0)
	v_fmac_f32_e32 v108, v20, v6
	global_load_ushort v20, v[106:107], off
	s_ashr_i32 s13, s12, 31
	s_add_i32 s9, s0, 0xfffffec0
	s_cmp_lt_i32 s9, s10
	global_load_ushort v60, v[96:97], off
	global_load_ushort v61, v[74:75], off
	;; [unrolled: 1-line block ×3, first 2 shown]
	v_lshl_add_u64 v[24:25], s[12:13], 1, v[2:3]
	s_cselect_b32 s12, s9, s11
	v_lshlrev_b32_e32 v6, 16, v122
	s_ashr_i32 s13, s12, 31
	s_add_i32 s9, s0, 0xffffff00
	v_fmac_f32_e32 v108, v21, v6
	v_lshlrev_b32_e32 v6, 16, v26
	s_cmp_lt_i32 s9, s10
	v_fmac_f32_e32 v108, v22, v6
	global_load_ushort v21, v[4:5], off
	global_load_ushort v22, v[10:11], off
	v_lshl_add_u64 v[18:19], s[12:13], 1, v[2:3]
	s_cselect_b32 s12, s9, s11
	s_ashr_i32 s13, s12, 31
	s_add_i32 s9, s0, 0xffffff40
	s_cmp_lt_i32 s9, s10
	v_lshlrev_b32_e32 v4, 16, v27
	v_lshl_add_u64 v[42:43], s[12:13], 1, v[2:3]
	s_cselect_b32 s12, s9, s11
	v_fmac_f32_e32 v108, v23, v4
	ds_read_b128 v[4:7], v123 offset:96
	s_ashr_i32 s13, s12, 31
	s_add_i32 s9, s0, 0xffffff80
	s_cmp_lt_i32 s9, s10
	global_load_ushort v26, v[12:13], off
	global_load_ushort v27, v[24:25], off
	v_lshl_add_u64 v[30:31], s[12:13], 1, v[2:3]
	s_cselect_b32 s12, s9, s11
	s_ashr_i32 s13, s12, 31
	s_sub_i32 s9, s0, 64
	v_lshlrev_b32_e32 v23, 16, v32
	s_cmp_lt_i32 s9, s10
	ds_read_b128 v[8:11], v123 offset:112
	s_waitcnt lgkmcnt(1)
	v_fmac_f32_e32 v108, v4, v23
	global_load_ushort v23, v[18:19], off
	global_load_ushort v24, v[42:43], off
	v_lshl_add_u64 v[44:45], s[12:13], 1, v[2:3]
	s_cselect_b32 s12, s9, s11
	s_ashr_i32 s13, s12, 31
	s_cmp_lt_i32 s0, s10
	global_load_ushort v18, v[30:31], off
	global_load_ushort v19, v[44:45], off
	v_lshl_add_u64 v[36:37], s[12:13], 1, v[2:3]
	s_cselect_b32 s12, s0, s11
	s_ashr_i32 s13, s12, 31
	v_lshl_add_u64 v[38:39], s[12:13], 1, v[2:3]
	global_load_ushort v25, v[36:37], off
	global_load_ushort v30, v[38:39], off
	s_waitcnt vmcnt(38)
	v_lshlrev_b32_e32 v4, 16, v40
	v_fmac_f32_e32 v108, v5, v4
	s_waitcnt vmcnt(35)
	v_lshlrev_b32_e32 v4, 16, v33
	v_fmac_f32_e32 v108, v6, v4
	v_lshlrev_b32_e32 v4, 16, v41
	v_fmac_f32_e32 v108, v7, v4
	s_waitcnt vmcnt(33)
	v_lshlrev_b32_e32 v4, 16, v54
	s_waitcnt lgkmcnt(0)
	v_fmac_f32_e32 v108, v8, v4
	s_waitcnt vmcnt(32)
	v_lshlrev_b32_e32 v4, 16, v55
	v_fmac_f32_e32 v108, v9, v4
	v_lshlrev_b32_e32 v4, 16, v28
	v_fmac_f32_e32 v108, v10, v4
	ds_read_b128 v[4:7], v123 offset:128
	v_lshlrev_b32_e32 v8, 16, v29
	v_fmac_f32_e32 v108, v11, v8
	ds_read_b128 v[8:11], v123 offset:144
	s_waitcnt vmcnt(31)
	v_lshlrev_b32_e32 v12, 16, v34
	s_waitcnt lgkmcnt(1)
	v_fmac_f32_e32 v108, v4, v12
	s_waitcnt vmcnt(30)
	v_lshlrev_b32_e32 v4, 16, v35
	v_fmac_f32_e32 v108, v5, v4
	s_waitcnt vmcnt(29)
	v_lshlrev_b32_e32 v4, 16, v50
	v_fmac_f32_e32 v108, v6, v4
	s_waitcnt vmcnt(28)
	v_lshlrev_b32_e32 v4, 16, v51
	v_fmac_f32_e32 v108, v7, v4
	s_waitcnt vmcnt(27)
	v_lshlrev_b32_e32 v4, 16, v46
	s_waitcnt lgkmcnt(0)
	v_fmac_f32_e32 v108, v8, v4
	s_waitcnt vmcnt(26)
	v_lshlrev_b32_e32 v4, 16, v52
	v_fmac_f32_e32 v108, v9, v4
	s_waitcnt vmcnt(25)
	v_lshlrev_b32_e32 v4, 16, v47
	v_fmac_f32_e32 v108, v10, v4
	ds_read_b128 v[4:7], v123 offset:160
	s_waitcnt vmcnt(24)
	v_lshlrev_b32_e32 v8, 16, v48
	v_fmac_f32_e32 v108, v11, v8
	ds_read_b128 v[8:11], v123 offset:176
	s_waitcnt vmcnt(23)
	v_lshlrev_b32_e32 v12, 16, v53
	s_waitcnt lgkmcnt(1)
	v_fmac_f32_e32 v108, v4, v12
	s_waitcnt vmcnt(22)
	v_lshlrev_b32_e32 v4, 16, v49
	v_fmac_f32_e32 v108, v5, v4
	s_waitcnt vmcnt(21)
	v_lshlrev_b32_e32 v4, 16, v56
	v_fmac_f32_e32 v108, v6, v4
	s_waitcnt vmcnt(20)
	v_lshlrev_b32_e32 v4, 16, v57
	v_fmac_f32_e32 v108, v7, v4
	s_waitcnt vmcnt(19)
	v_lshlrev_b32_e32 v4, 16, v14
	s_waitcnt lgkmcnt(0)
	v_fmac_f32_e32 v108, v8, v4
	s_waitcnt vmcnt(18)
	v_lshlrev_b32_e32 v4, 16, v58
	v_fmac_f32_e32 v108, v9, v4
	s_waitcnt vmcnt(17)
	v_lshlrev_b32_e32 v4, 16, v15
	v_fmac_f32_e32 v108, v10, v4
	ds_read_b128 v[4:7], v123 offset:192
	s_waitcnt vmcnt(16)
	v_lshlrev_b32_e32 v8, 16, v16
	v_fmac_f32_e32 v108, v11, v8
	ds_read_b128 v[8:11], v123 offset:208
	s_waitcnt vmcnt(15)
	v_lshlrev_b32_e32 v12, 16, v59
	s_waitcnt lgkmcnt(1)
	v_fmac_f32_e32 v108, v4, v12
	s_waitcnt vmcnt(14)
	v_lshlrev_b32_e32 v4, 16, v17
	v_fmac_f32_e32 v108, v5, v4
	s_waitcnt vmcnt(13)
	v_lshlrev_b32_e32 v4, 16, v20
	;; [unrolled: 3-line block ×4, first 2 shown]
	v_lshlrev_b32_e32 v4, 16, v61
	s_waitcnt lgkmcnt(0)
	v_pk_mul_f32 v[4:5], v[8:9], v[4:5]
	s_waitcnt vmcnt(6)
	v_lshlrev_b32_e32 v13, 16, v27
	v_add_f32_e32 v4, v108, v4
	v_add_f32_e32 v6, v4, v5
	v_lshlrev_b32_e32 v5, 16, v22
	v_lshlrev_b32_e32 v4, 16, v21
	v_pk_mul_f32 v[8:9], v[10:11], v[4:5]
	v_lshlrev_b32_e32 v12, 16, v26
	v_add_f32_e32 v8, v6, v8
	ds_read_b128 v[4:7], v123 offset:224
	v_add_f32_e32 v14, v8, v9
	ds_read_b128 v[8:11], v123 offset:240
	s_waitcnt lgkmcnt(1)
	v_pk_mul_f32 v[4:5], v[4:5], v[12:13]
	s_nop 0
	v_add_f32_e32 v4, v14, v4
	v_add_f32_e32 v12, v4, v5
	s_waitcnt vmcnt(4)
	v_lshlrev_b32_e32 v5, 16, v24
	v_lshlrev_b32_e32 v4, 16, v23
	v_pk_mul_f32 v[4:5], v[6:7], v[4:5]
	s_nop 0
	v_add_f32_e32 v4, v12, v4
	v_add_f32_e32 v6, v4, v5
	s_waitcnt vmcnt(2)
	v_lshlrev_b32_e32 v5, 16, v19
	v_lshlrev_b32_e32 v4, 16, v18
	s_waitcnt lgkmcnt(0)
	v_pk_mul_f32 v[4:5], v[8:9], v[4:5]
	s_nop 0
	v_add_f32_e32 v4, v6, v4
	v_add_f32_e32 v6, v4, v5
	s_waitcnt vmcnt(0)
	v_lshlrev_b32_e32 v5, 16, v30
	v_lshlrev_b32_e32 v4, 16, v25
	v_pk_mul_f32 v[4:5], v[10:11], v[4:5]
	s_nop 0
	v_add_f32_e32 v4, v6, v4
	v_add_f32_e32 v108, v4, v5
	s_branch .LBB419_16
.LBB419_19:
	v_mov_b32_e32 v2, 0
	ds_read_b32 v2, v2 offset:4096
	s_cmp_lg_u64 s[6:7], 0
	s_cbranch_scc0 .LBB419_24
; %bb.20:
	s_load_dword s6, s[6:7], 0x0
	s_waitcnt lgkmcnt(0)
	v_div_scale_f32 v3, s[0:1], s6, s6, 1.0
	v_rcp_f32_e32 v4, v3
	v_div_scale_f32 v5, vcc, 1.0, s6, 1.0
	v_fma_f32 v6, -v3, v4, 1.0
	v_fmac_f32_e32 v4, v6, v4
	v_mul_f32_e32 v6, v5, v4
	v_fma_f32 v7, -v3, v6, v5
	v_fmac_f32_e32 v6, v7, v4
	v_fma_f32 v3, -v3, v6, v5
	v_div_fmas_f32 v3, v3, v4, v6
	v_div_fixup_f32 v3, v3, s6, 1.0
	s_andn2_b64 vcc, exec, s[50:51]
	s_cbranch_vccnz .LBB419_22
.LBB419_21:
	s_add_u32 s0, s48, s52
	s_addc_u32 s1, s49, s53
	s_load_dword s38, s[0:1], 0x0
	s_mov_b32 s39, 0
.LBB419_22:
	s_waitcnt lgkmcnt(0)
	v_add_f32_e32 v2, 0x358637bd, v2
	v_div_scale_f32 v4, s[0:1], v2, v2, 1.0
	v_rcp_f32_e32 v5, v4
	v_div_scale_f32 v6, vcc, 1.0, v2, 1.0
	s_mul_i32 s0, s3, s39
	v_fma_f32 v7, -v4, v5, 1.0
	v_fmac_f32_e32 v5, v7, v5
	v_mul_f32_e32 v7, v6, v5
	v_fma_f32 v8, -v4, v7, v6
	v_fmac_f32_e32 v7, v8, v5
	v_fma_f32 v4, -v4, v7, v6
	s_mul_hi_u32 s1, s3, s38
	v_div_fmas_f32 v4, v4, v5, v7
	s_add_i32 s1, s1, s0
	s_mul_i32 s0, s3, s38
	v_div_fixup_f32 v2, v4, v2, 1.0
	s_lshl_b64 s[0:1], s[0:1], 6
	v_mul_f32_e32 v2, v108, v2
	s_add_u32 s4, s4, s0
	s_mov_b32 s3, 0
	v_mul_f32_e32 v2, v2, v3
	s_addc_u32 s5, s5, s1
	s_lshl_b64 s[0:1], s[2:3], 6
	s_mov_b32 s2, 0x7f800000
	s_mov_b32 s3, 0x43700000
	v_mov_b32_e32 v3, 0xc3700000
	v_med3_f32 v3, v2, s3, v3
	v_cmp_nlg_f32_e64 vcc, |v2|, s2
	s_add_u32 s0, s4, s0
	s_addc_u32 s1, s5, s1
	v_cndmask_b32_e32 v2, v3, v2, vcc
	v_mov_b32_e32 v3, 0
	v_cvt_pk_fp8_f32 v3, v2, v2
	v_lshl_add_u64 v[0:1], s[0:1], 0, v[0:1]
	global_store_byte v[0:1], v3, off
	s_endpgm
.LBB419_23:
	s_mov_b64 s[6:7], 0
	s_branch .LBB419_2
.LBB419_24:
	v_mov_b32_e32 v3, 1.0
	s_andn2_b64 vcc, exec, s[50:51]
	s_cbranch_vccz .LBB419_21
	s_branch .LBB419_22
	.section	.rodata,"a",@progbits
	.p2align	6, 0x0
	.amdhsa_kernel _Z35paged_attention_ll4mi_reduce_kernelI14__hip_bfloat16hLi64ELi64ELi256ELi16EEvPT0_PKfS4_PKT_PKiS9_iS4_
		.amdhsa_group_segment_fixed_size 4100
		.amdhsa_private_segment_fixed_size 0
		.amdhsa_kernarg_size 320
		.amdhsa_user_sgpr_count 2
		.amdhsa_user_sgpr_dispatch_ptr 0
		.amdhsa_user_sgpr_queue_ptr 0
		.amdhsa_user_sgpr_kernarg_segment_ptr 1
		.amdhsa_user_sgpr_dispatch_id 0
		.amdhsa_user_sgpr_kernarg_preload_length 0
		.amdhsa_user_sgpr_kernarg_preload_offset 0
		.amdhsa_user_sgpr_private_segment_size 0
		.amdhsa_uses_dynamic_stack 0
		.amdhsa_enable_private_segment 0
		.amdhsa_system_sgpr_workgroup_id_x 1
		.amdhsa_system_sgpr_workgroup_id_y 1
		.amdhsa_system_sgpr_workgroup_id_z 0
		.amdhsa_system_sgpr_workgroup_info 0
		.amdhsa_system_vgpr_workitem_id 0
		.amdhsa_next_free_vgpr 124
		.amdhsa_next_free_sgpr 61
		.amdhsa_accum_offset 124
		.amdhsa_reserve_vcc 1
		.amdhsa_float_round_mode_32 0
		.amdhsa_float_round_mode_16_64 0
		.amdhsa_float_denorm_mode_32 3
		.amdhsa_float_denorm_mode_16_64 3
		.amdhsa_dx10_clamp 1
		.amdhsa_ieee_mode 1
		.amdhsa_fp16_overflow 0
		.amdhsa_tg_split 0
		.amdhsa_exception_fp_ieee_invalid_op 0
		.amdhsa_exception_fp_denorm_src 0
		.amdhsa_exception_fp_ieee_div_zero 0
		.amdhsa_exception_fp_ieee_overflow 0
		.amdhsa_exception_fp_ieee_underflow 0
		.amdhsa_exception_fp_ieee_inexact 0
		.amdhsa_exception_int_div_zero 0
	.end_amdhsa_kernel
	.section	.text._Z35paged_attention_ll4mi_reduce_kernelI14__hip_bfloat16hLi64ELi64ELi256ELi16EEvPT0_PKfS4_PKT_PKiS9_iS4_,"axG",@progbits,_Z35paged_attention_ll4mi_reduce_kernelI14__hip_bfloat16hLi64ELi64ELi256ELi16EEvPT0_PKfS4_PKT_PKiS9_iS4_,comdat
.Lfunc_end419:
	.size	_Z35paged_attention_ll4mi_reduce_kernelI14__hip_bfloat16hLi64ELi64ELi256ELi16EEvPT0_PKfS4_PKT_PKiS9_iS4_, .Lfunc_end419-_Z35paged_attention_ll4mi_reduce_kernelI14__hip_bfloat16hLi64ELi64ELi256ELi16EEvPT0_PKfS4_PKT_PKiS9_iS4_
                                        ; -- End function
	.section	.AMDGPU.csdata,"",@progbits
; Kernel info:
; codeLenInByte = 10856
; NumSgprs: 67
; NumVgprs: 124
; NumAgprs: 0
; TotalNumVgprs: 124
; ScratchSize: 0
; MemoryBound: 0
; FloatMode: 240
; IeeeMode: 1
; LDSByteSize: 4100 bytes/workgroup (compile time only)
; SGPRBlocks: 8
; VGPRBlocks: 15
; NumSGPRsForWavesPerEU: 67
; NumVGPRsForWavesPerEU: 124
; AccumOffset: 124
; Occupancy: 4
; WaveLimiterHint : 1
; COMPUTE_PGM_RSRC2:SCRATCH_EN: 0
; COMPUTE_PGM_RSRC2:USER_SGPR: 2
; COMPUTE_PGM_RSRC2:TRAP_HANDLER: 0
; COMPUTE_PGM_RSRC2:TGID_X_EN: 1
; COMPUTE_PGM_RSRC2:TGID_Y_EN: 1
; COMPUTE_PGM_RSRC2:TGID_Z_EN: 0
; COMPUTE_PGM_RSRC2:TIDIG_COMP_CNT: 0
; COMPUTE_PGM_RSRC3_GFX90A:ACCUM_OFFSET: 30
; COMPUTE_PGM_RSRC3_GFX90A:TG_SPLIT: 0
	.section	.text._Z38paged_attention_ll4mi_QKV_mfma4_kernelI14__hip_bfloat16S0_LN4vllm18Fp8KVCacheDataTypeE0EhLi16ELi64ELi256ELb0ELi1EEvPKT_PKT0_S8_ifPKiSA_SA_iPKfiiiPfSD_PS3_PT2_iSC_SC_,"axG",@progbits,_Z38paged_attention_ll4mi_QKV_mfma4_kernelI14__hip_bfloat16S0_LN4vllm18Fp8KVCacheDataTypeE0EhLi16ELi64ELi256ELb0ELi1EEvPKT_PKT0_S8_ifPKiSA_SA_iPKfiiiPfSD_PS3_PT2_iSC_SC_,comdat
	.protected	_Z38paged_attention_ll4mi_QKV_mfma4_kernelI14__hip_bfloat16S0_LN4vllm18Fp8KVCacheDataTypeE0EhLi16ELi64ELi256ELb0ELi1EEvPKT_PKT0_S8_ifPKiSA_SA_iPKfiiiPfSD_PS3_PT2_iSC_SC_ ; -- Begin function _Z38paged_attention_ll4mi_QKV_mfma4_kernelI14__hip_bfloat16S0_LN4vllm18Fp8KVCacheDataTypeE0EhLi16ELi64ELi256ELb0ELi1EEvPKT_PKT0_S8_ifPKiSA_SA_iPKfiiiPfSD_PS3_PT2_iSC_SC_
	.globl	_Z38paged_attention_ll4mi_QKV_mfma4_kernelI14__hip_bfloat16S0_LN4vllm18Fp8KVCacheDataTypeE0EhLi16ELi64ELi256ELb0ELi1EEvPKT_PKT0_S8_ifPKiSA_SA_iPKfiiiPfSD_PS3_PT2_iSC_SC_
	.p2align	8
	.type	_Z38paged_attention_ll4mi_QKV_mfma4_kernelI14__hip_bfloat16S0_LN4vllm18Fp8KVCacheDataTypeE0EhLi16ELi64ELi256ELb0ELi1EEvPKT_PKT0_S8_ifPKiSA_SA_iPKfiiiPfSD_PS3_PT2_iSC_SC_,@function
_Z38paged_attention_ll4mi_QKV_mfma4_kernelI14__hip_bfloat16S0_LN4vllm18Fp8KVCacheDataTypeE0EhLi16ELi64ELi256ELb0ELi1EEvPKT_PKT0_S8_ifPKiSA_SA_iPKfiiiPfSD_PS3_PT2_iSC_SC_: ; @_Z38paged_attention_ll4mi_QKV_mfma4_kernelI14__hip_bfloat16S0_LN4vllm18Fp8KVCacheDataTypeE0EhLi16ELi64ELi256ELb0ELi1EEvPKT_PKT0_S8_ifPKiSA_SA_iPKfiiiPfSD_PS3_PT2_iSC_SC_
; %bb.0:
	s_load_dwordx2 s[16:17], s[0:1], 0x30
	s_mov_b32 s20, s3
	s_mov_b64 s[6:7], 0
	s_waitcnt lgkmcnt(0)
	s_cmp_lg_u64 s[16:17], 0
	s_cselect_b64 s[18:19], -1, 0
	s_and_b64 vcc, exec, s[18:19]
	s_cbranch_vccz .LBB420_10
; %bb.1:
	s_add_i32 s8, s2, 1
	s_mov_b32 s9, 0
	s_lshl_b64 s[10:11], s[8:9], 2
	s_add_u32 s10, s16, s10
	s_mov_b32 s3, s9
	s_addc_u32 s11, s17, s11
	s_lshl_b64 s[8:9], s[2:3], 2
	s_add_u32 s8, s16, s8
	s_addc_u32 s9, s17, s9
	s_load_dword s5, s[10:11], 0x0
	s_load_dword s12, s[8:9], 0x0
	s_waitcnt lgkmcnt(0)
	s_sub_i32 s5, s5, s12
	s_cmp_eq_u32 s5, 1
	s_cselect_b64 s[8:9], -1, 0
	s_andn2_b64 vcc, exec, s[6:7]
	s_cbranch_vccnz .LBB420_3
.LBB420_2:
	s_mov_b32 s3, 0
	s_mov_b64 s[8:9], -1
.LBB420_3:
	s_andn2_b64 vcc, exec, s[8:9]
	s_cbranch_vccnz .LBB420_23
; %bb.4:
	s_load_dword s5, s[0:1], 0x9c
	s_load_dwordx2 s[6:7], s[0:1], 0x28
	s_add_u32 s24, s0, 0x90
	s_addc_u32 s25, s1, 0
	s_lshl_b64 s[28:29], s[2:3], 2
	s_waitcnt lgkmcnt(0)
	s_and_b32 s5, s5, 0xffff
	s_add_u32 s6, s6, s28
	s_addc_u32 s7, s7, s29
	s_load_dword s3, s[6:7], 0x0
	s_mul_i32 s10, s20, s5
	s_waitcnt lgkmcnt(0)
	s_cmp_ge_i32 s10, s3
	s_cbranch_scc1 .LBB420_23
; %bb.5:
	v_and_b32_e32 v2, 0xc0, v0
	v_add_u32_e32 v2, s10, v2
	v_lshrrev_b32_e32 v1, 6, v0
	v_cmp_gt_i32_e64 s[6:7], s3, v2
	v_cmp_le_i32_e32 vcc, s3, v2
                                        ; implicit-def: $sgpr21
                                        ; implicit-def: $sgpr11
	s_and_saveexec_b64 s[8:9], vcc
	s_xor_b64 s[8:9], exec, s[8:9]
	s_cbranch_execz .LBB420_7
; %bb.6:
	v_mul_u32_u24_e32 v2, 20, v1
	v_or_b32_e32 v2, 0xa00, v2
	v_mov_b32_e32 v3, 0xa50
	v_mov_b32_e32 v4, 0xff7fffff
	v_mad_u32_u24 v3, v1, 20, v3
	ds_write2_b32 v2, v4, v4 offset1:1
	v_mov_b32_e32 v2, 0
	ds_write2_b32 v3, v2, v2 offset1:1
	v_mov_b32_e32 v3, 0xa08
	s_mov_b32 s11, 0xff7fffff
	s_mov_b32 s21, 0
	v_mad_u32_u24 v3, v1, 20, v3
	v_mov_b32_e32 v5, 0xa58
	v_mad_u32_u24 v5, v1, 20, v5
	ds_write2_b32 v3, v4, v4 offset1:1
	ds_write2_b32 v5, v2, v2 offset1:1
                                        ; implicit-def: $vgpr2
.LBB420_7:
	s_or_saveexec_b64 s[26:27], s[8:9]
	s_load_dwordx2 s[22:23], s[0:1], 0x68
	s_load_dwordx4 s[12:15], s[0:1], 0x58
	s_load_dword s5, s[24:25], 0x4
	v_and_b32_e32 v40, 63, v0
	v_and_b32_e32 v39, 3, v0
	v_mov_b32_e32 v37, s21
	v_mov_b32_e32 v41, s11
	;; [unrolled: 1-line block ×5, first 2 shown]
                                        ; implicit-def: $vgpr3
                                        ; implicit-def: $vgpr7
                                        ; implicit-def: $vgpr11
                                        ; implicit-def: $vgpr15
                                        ; implicit-def: $vgpr19
                                        ; implicit-def: $vgpr23
                                        ; implicit-def: $vgpr27
                                        ; implicit-def: $vgpr31
	s_xor_b64 exec, exec, s[26:27]
	s_cbranch_execz .LBB420_17
; %bb.8:
	s_add_i32 s21, s3, 15
	s_load_dwordx2 s[8:9], s[0:1], 0x20
	s_load_dword s11, s[0:1], 0x38
	s_ashr_i32 s30, s21, 31
	s_lshr_b32 s30, s30, 28
	v_add_u32_e32 v38, s10, v0
	s_add_i32 s21, s21, s30
	v_ashrrev_i32_e32 v3, 31, v38
	s_ashr_i32 s21, s21, 4
	v_lshrrev_b32_e32 v3, 28, v3
	s_add_i32 s21, s21, -1
	v_add_u32_e32 v3, v38, v3
	s_waitcnt lgkmcnt(0)
	s_mul_i32 s30, s2, s11
	s_mov_b32 s31, 0
	v_ashrrev_i32_e32 v3, 4, v3
	v_mov_b32_e32 v4, s21
	v_cmp_gt_i32_e32 vcc, s3, v38
	s_lshl_b64 s[30:31], s[30:31], 2
	s_add_u32 s8, s8, s30
	v_cndmask_b32_e32 v4, v4, v3, vcc
	v_ashrrev_i32_e32 v3, 31, v2
	v_lshrrev_b32_e32 v3, 28, v3
	s_addc_u32 s9, s9, s31
	v_ashrrev_i32_e32 v5, 31, v4
	v_add_u32_e32 v2, v2, v3
	v_lshl_add_u64 v[8:9], v[4:5], 2, s[8:9]
	v_ashrrev_i32_e32 v4, 4, v2
	v_min_i32_e32 v2, s21, v4
	v_ashrrev_i32_e32 v3, 31, v2
	v_lshl_add_u64 v[10:11], v[2:3], 2, s[8:9]
	v_add_u32_e32 v2, 1, v4
	v_min_i32_e32 v2, s21, v2
	v_ashrrev_i32_e32 v3, 31, v2
	v_lshl_add_u64 v[12:13], v[2:3], 2, s[8:9]
	v_add_u32_e32 v2, 2, v4
	;; [unrolled: 4-line block ×3, first 2 shown]
	v_min_i32_e32 v2, s21, v2
	v_ashrrev_i32_e32 v3, 31, v2
	v_lshl_add_u64 v[16:17], v[2:3], 2, s[8:9]
	global_load_dword v2, v[8:9], off
	global_load_dword v7, v[10:11], off
	;; [unrolled: 1-line block ×5, first 2 shown]
	s_load_dwordx4 s[8:11], s[0:1], 0x8
	s_andn2_b64 vcc, exec, s[18:19]
	s_cbranch_vccnz .LBB420_11
; %bb.9:
	s_add_u32 s16, s16, s28
	s_addc_u32 s17, s17, s29
	s_load_dword s21, s[16:17], 0x0
	s_branch .LBB420_12
.LBB420_10:
	s_mov_b64 s[8:9], 0
	s_branch .LBB420_2
.LBB420_11:
	s_mov_b32 s21, s2
.LBB420_12:
	s_load_dwordx4 s[16:19], s[0:1], 0x48
	v_cmp_eq_u32_e32 vcc, 0, v39
	s_mov_b32 s29, 0
	v_mov_b32_e32 v41, 0
	v_mov_b32_e32 v3, 0
	;; [unrolled: 1-line block ×6, first 2 shown]
	s_and_saveexec_b64 s[30:31], vcc
	s_cbranch_execz .LBB420_14
; %bb.13:
	s_load_dwordx2 s[34:35], s[0:1], 0x0
	s_waitcnt lgkmcnt(0)
	s_ashr_i32 s19, s16, 31
	s_mul_hi_u32 s28, s21, s16
	s_mul_i32 s19, s21, s19
	s_add_i32 s37, s28, s19
	s_mul_i32 s36, s21, s16
	s_lshl_b64 s[36:37], s[36:37], 1
	s_add_u32 s16, s34, s36
	s_addc_u32 s19, s35, s37
	s_lshl_b32 s28, s4, 6
	s_lshl_b64 s[34:35], s[28:29], 1
	s_add_u32 s34, s16, s34
	s_addc_u32 s35, s19, s35
	v_lshlrev_b32_e32 v8, 2, v40
	global_load_dwordx4 v[34:37], v8, s[34:35]
	v_mov_b32_e32 v41, 1.0
.LBB420_14:
	s_or_b64 exec, exec, s[30:31]
	s_waitcnt lgkmcnt(0)
	s_mul_i32 s28, s4, s18
	s_lshl_b64 s[18:19], s[28:29], 1
	s_add_u32 s8, s18, s8
	s_waitcnt vmcnt(4)
	v_mad_i64_i32 v[8:9], s[30:31], v2, s17, 0
	s_addc_u32 s9, s19, s9
	v_and_b32_e32 v2, 15, v0
	v_lshl_add_u64 v[8:9], v[8:9], 1, s[8:9]
	v_lshlrev_b32_e32 v2, 4, v2
	v_lshl_add_u64 v[32:33], v[8:9], 0, v[2:3]
	global_load_dwordx4 v[8:11], v[32:33], off
	global_load_dwordx4 v[12:15], v[32:33], off offset:256
	global_load_dwordx4 v[16:19], v[32:33], off offset:512
	;; [unrolled: 1-line block ×7, first 2 shown]
	s_waitcnt vmcnt(11)
	v_mul_hi_i32 v2, v7, s17
	s_add_u32 s8, s10, s18
	s_waitcnt vmcnt(10)
	v_mul_hi_i32 v32, v6, s17
	s_waitcnt vmcnt(9)
	v_mul_hi_i32 v33, v5, s17
	v_ashrrev_i32_e32 v51, 31, v2
	s_addc_u32 s9, s11, s19
	v_lshlrev_b32_e32 v2, 5, v40
	s_waitcnt vmcnt(8)
	v_mul_hi_i32 v50, v4, s17
	v_ashrrev_i32_e32 v52, 31, v32
	v_ashrrev_i32_e32 v53, 31, v33
	v_lshl_add_u64 v[32:33], s[8:9], 0, v[2:3]
	v_lshrrev_b32_e32 v2, 29, v51
	v_ashrrev_i32_e32 v54, 31, v50
	v_mad_i64_i32 v[50:51], s[8:9], v7, s17, v[2:3]
	v_lshrrev_b32_e32 v2, 29, v52
	v_lshlrev_b64 v[50:51], 1, v[50:51]
	v_mad_i64_i32 v[6:7], s[8:9], v6, s17, v[2:3]
	v_lshrrev_b32_e32 v2, 29, v53
	v_and_b32_e32 v50, -16, v50
	v_lshlrev_b64 v[52:53], 1, v[6:7]
	v_mad_i64_i32 v[6:7], s[8:9], v5, s17, v[2:3]
	v_lshrrev_b32_e32 v2, 29, v54
	v_lshl_add_u64 v[50:51], v[32:33], 0, v[50:51]
	v_and_b32_e32 v52, -16, v52
	v_lshlrev_b64 v[54:55], 1, v[6:7]
	v_and_b32_e32 v54, -16, v54
	s_load_dword s0, s[0:1], 0x1c
	v_cmp_eq_u32_e32 vcc, 1, v39
	v_and_b32_e32 v59, -4, v38
	v_or_b32_e32 v38, 3, v38
	v_cndmask_b32_e64 v56, 0, 1.0, vcc
	v_cmp_eq_u32_e32 vcc, 2, v39
	v_cmp_gt_i32_e64 s[10:11], s3, v38
	v_lshlrev_b32_e32 v60, 2, v0
	v_cndmask_b32_e64 v57, 0, 1.0, vcc
	v_cmp_eq_u32_e32 vcc, 3, v39
	s_waitcnt vmcnt(7)
	v_mfma_f32_4x4x4_16b_bf16 a[0:3], v[34:35], v[8:9], 0 cbsz:4
	v_cndmask_b32_e64 v58, 0, 1.0, vcc
	s_nop 0
	v_mfma_f32_4x4x4_16b_bf16 a[0:3], v[36:37], v[10:11], a[0:3] cbsz:4
	v_mad_i64_i32 v[10:11], s[8:9], v4, s17, v[2:3]
	s_waitcnt vmcnt(6)
	v_mfma_f32_4x4x4_16b_bf16 a[0:3], v[34:35], v[12:13], a[0:3] cbsz:4 abid:1
	global_load_dwordx4 v[2:5], v[50:51], off
	global_load_dwordx4 v[6:9], v[50:51], off offset:16
	v_mfma_f32_4x4x4_16b_bf16 a[0:3], v[36:37], v[14:15], a[0:3] cbsz:4 abid:1
	v_lshl_add_u64 v[50:51], v[32:33], 0, v[52:53]
	v_lshlrev_b64 v[52:53], 1, v[10:11]
	s_waitcnt vmcnt(7)
	v_mfma_f32_4x4x4_16b_bf16 a[0:3], v[34:35], v[16:17], a[0:3] cbsz:4 abid:2
	global_load_dwordx4 v[10:13], v[50:51], off
	global_load_dwordx4 v[14:17], v[50:51], off offset:16
	v_mfma_f32_4x4x4_16b_bf16 a[0:3], v[36:37], v[18:19], a[0:3] cbsz:4 abid:2
	v_lshl_add_u64 v[50:51], v[32:33], 0, v[54:55]
	v_and_b32_e32 v52, -16, v52
	s_waitcnt vmcnt(8)
	v_mfma_f32_4x4x4_16b_bf16 a[0:3], v[34:35], v[20:21], a[0:3] cbsz:4 abid:3
	v_cmp_gt_i32_e32 vcc, s3, v59
	s_nop 0
	v_mfma_f32_4x4x4_16b_bf16 a[0:3], v[36:37], v[22:23], a[0:3] cbsz:4 abid:3
	s_waitcnt vmcnt(7)
	s_nop 0
	v_mfma_f32_4x4x4_16b_bf16 a[0:3], v[34:35], v[24:25], a[0:3] cbsz:4 abid:4
	global_load_dwordx4 v[18:21], v[50:51], off
	global_load_dwordx4 v[22:25], v[50:51], off offset:16
	v_mfma_f32_4x4x4_16b_bf16 a[0:3], v[36:37], v[26:27], a[0:3] cbsz:4 abid:4
	v_lshl_add_u64 v[50:51], v[32:33], 0, v[52:53]
	s_waitcnt vmcnt(8)
	v_mfma_f32_4x4x4_16b_bf16 a[0:3], v[34:35], v[28:29], a[0:3] cbsz:4 abid:5
	s_nop 1
	v_mfma_f32_4x4x4_16b_bf16 a[0:3], v[36:37], v[30:31], a[0:3] cbsz:4 abid:5
	global_load_dwordx4 v[26:29], v[50:51], off
	global_load_dwordx4 v[30:33], v[50:51], off offset:16
	s_waitcnt vmcnt(9)
	v_mfma_f32_4x4x4_16b_bf16 a[0:3], v[34:35], v[42:43], a[0:3] cbsz:4 abid:6
	v_mov_b32_e32 v42, 0xff7fffff
	v_and_or_b32 v43, v60, 48, v39
	v_mfma_f32_4x4x4_16b_bf16 a[0:3], v[36:37], v[44:45], a[0:3] cbsz:4 abid:6
	v_lshlrev_b32_e32 v43, 2, v43
	s_waitcnt vmcnt(8)
	v_mfma_f32_4x4x4_16b_bf16 a[0:3], v[34:35], v[46:47], a[0:3] cbsz:4 abid:7
	s_nop 1
	v_mfma_f32_4x4x4_16b_bf16 a[0:3], v[36:37], v[48:49], a[0:3] cbsz:4 abid:7
	s_nop 4
	v_accvgpr_read_b32 v35, a1
	v_accvgpr_read_b32 v34, a0
	s_waitcnt lgkmcnt(0)
	v_pk_mul_f32 v[34:35], s[0:1], v[34:35] op_sel_hi:[0,1]
	v_accvgpr_read_b32 v37, a3
	v_accvgpr_read_b32 v36, a2
	v_pk_mul_f32 v[36:37], s[0:1], v[36:37] op_sel_hi:[0,1]
	v_mfma_f32_4x4x1_16b_f32 a[0:3], v34, v41, 0
	v_or_b32_e32 v34, 1, v59
	s_nop 0
	v_mfma_f32_4x4x1_16b_f32 a[0:3], v35, v56, a[0:3]
	v_cmp_gt_i32_e64 s[0:1], s3, v34
	v_or_b32_e32 v35, 2, v59
	v_mfma_f32_4x4x1_16b_f32 a[0:3], v36, v57, a[0:3]
	v_cmp_gt_i32_e64 s[8:9], s3, v35
	s_nop 0
	v_mfma_f32_4x4x1_16b_f32 a[0:3], v37, v58, a[0:3]
	s_nop 3
	v_accvgpr_read_b32 v36, a0
	v_max_f32_e32 v41, v36, v36
	v_accvgpr_read_b32 v37, a1
	v_max_f32_e32 v41, 0xff7fffff, v41
	v_max_f32_e32 v46, v37, v37
	v_cndmask_b32_e32 v41, v42, v41, vcc
	v_accvgpr_read_b32 v44, a2
	v_max_f32_e32 v42, v41, v46
	v_max_f32_e32 v47, v44, v44
	v_cndmask_b32_e64 v34, v41, v42, s[0:1]
	v_accvgpr_read_b32 v45, a3
	v_max_f32_e32 v41, v34, v47
	v_max_f32_e32 v48, v45, v45
	v_cndmask_b32_e64 v34, v34, v41, s[8:9]
	v_max_f32_e32 v35, v34, v48
	v_cndmask_b32_e64 v34, v34, v35, s[10:11]
	;;#ASMSTART
	v_nop
 v_nop
 v_max_f32_dpp v34, v34, v34 row_ror:4
	;;#ASMEND
	s_nop 0
	;;#ASMSTART
	v_nop
 v_nop
 v_max_f32_dpp v34, v34, v34 row_ror:8
	;;#ASMEND
	ds_bpermute_b32 v34, v43, v34
	s_waitcnt lgkmcnt(0)
	;;#ASMSTART
	v_nop
 v_nop
 v_max_f32_dpp v34, v34, v34 row_ror:4
	;;#ASMEND
	s_nop 0
	;;#ASMSTART
	v_nop
 v_nop
 v_max_f32_dpp v41, v34, v34 row_ror:8
	;;#ASMEND
	s_nop 0
	v_sub_f32_e32 v34, v36, v41
	v_sub_f32_e32 v35, v37, v41
	v_mul_f32_e32 v34, 0x3fb8aa3b, v34
	v_sub_f32_e32 v36, v44, v41
	v_mul_f32_e32 v35, 0x3fb8aa3b, v35
	v_exp_f32_e32 v34, v34
	v_sub_f32_e32 v37, v45, v41
	v_mul_f32_e32 v36, 0x3fb8aa3b, v36
	v_exp_f32_e32 v35, v35
	v_mul_f32_e32 v37, 0x3fb8aa3b, v37
	v_exp_f32_e32 v36, v36
	v_exp_f32_e32 v37, v37
	v_cndmask_b32_e32 v34, 0, v34, vcc
	v_cndmask_b32_e64 v35, 0, v35, s[0:1]
	v_add_f32_e32 v38, 0, v34
	v_cndmask_b32_e64 v36, 0, v36, s[8:9]
	v_add_f32_e32 v38, v38, v35
	;; [unrolled: 2-line block ×3, first 2 shown]
	v_add_f32_e32 v38, v38, v37
	;;#ASMSTART
	v_nop
 v_nop
 v_add_f32_dpp v38, v38, v38 row_ror:4
	;;#ASMEND
	v_cmp_gt_u32_e32 vcc, 4, v40
	;;#ASMSTART
	v_nop
 v_nop
 v_add_f32_dpp v38, v38, v38 row_ror:8
	;;#ASMEND
	ds_bpermute_b32 v38, v43, v38
	s_waitcnt lgkmcnt(0)
	;;#ASMSTART
	v_nop
 v_nop
 v_add_f32_dpp v38, v38, v38 row_ror:4
	;;#ASMEND
	s_nop 0
	;;#ASMSTART
	v_nop
 v_nop
 v_add_f32_dpp v38, v38, v38 row_ror:8
	;;#ASMEND
	s_and_saveexec_b64 s[0:1], vcc
	s_cbranch_execz .LBB420_16
; %bb.15:
	v_mul_u32_u24_e32 v42, 20, v1
	v_lshl_add_u32 v42, v39, 2, v42
	v_add_u32_e32 v42, 0x800, v42
	ds_write2_b32 v42, v41, v38 offset0:128 offset1:148
.LBB420_16:
	s_or_b64 exec, exec, s[0:1]
.LBB420_17:
	s_or_b64 exec, exec, s[26:27]
	s_waitcnt lgkmcnt(0)
	s_barrier
	s_load_dword s0, s[24:25], 0x8
	v_lshlrev_b32_e32 v38, 2, v39
	v_add_u32_e32 v43, 0x800, v38
	ds_read2_b32 v[44:45], v43 offset0:128 offset1:133
	ds_read2_b32 v[46:47], v43 offset0:138 offset1:143
	s_mul_i32 s1, s5, s2
	s_waitcnt lgkmcnt(0)
	s_mul_i32 s0, s1, s0
	s_mov_b32 s1, 0xff7fffff
	v_max3_f32 v38, v44, s1, v45
	v_max3_f32 v42, v38, v46, v47
	v_sub_f32_e32 v38, v44, v42
	v_sub_f32_e32 v44, v45, v42
	v_mul_f32_e32 v44, 0x3fb8aa3b, v44
	ds_read2_b32 v[48:49], v43 offset0:148 offset1:153
	v_mul_f32_e32 v38, 0x3fb8aa3b, v38
	v_exp_f32_e32 v51, v44
	ds_read2_b32 v[44:45], v43 offset0:158 offset1:163
	v_sub_f32_e32 v43, v46, v42
	v_exp_f32_e32 v50, v38
	v_mul_f32_e32 v43, 0x3fb8aa3b, v43
	v_exp_f32_e32 v46, v43
	v_sub_f32_e32 v43, v47, v42
	v_mul_f32_e32 v43, 0x3fb8aa3b, v43
	v_exp_f32_e32 v47, v43
	s_waitcnt lgkmcnt(1)
	v_fma_f32 v43, v50, v48, 0
	v_fmac_f32_e32 v43, v51, v49
	s_waitcnt lgkmcnt(0)
	v_fmac_f32_e32 v43, v46, v44
	v_mov_b32_e32 v38, 0
	v_fmac_f32_e32 v43, v47, v45
	s_mov_b32 s1, 0
	v_cmp_eq_u32_e32 vcc, 0, v39
	s_and_saveexec_b64 s[2:3], vcc
	s_cbranch_execz .LBB420_19
; %bb.18:
	s_lshl_b64 s[8:9], s[0:1], 2
	s_add_u32 s12, s12, s8
	s_mov_b32 s21, s1
	s_addc_u32 s13, s13, s9
	s_lshl_b64 s[10:11], s[20:21], 2
	s_add_u32 s12, s12, s10
	s_addc_u32 s13, s13, s11
	s_add_u32 s8, s14, s8
	s_addc_u32 s9, s15, s9
	;; [unrolled: 2-line block ×3, first 2 shown]
	s_mul_i32 s8, s5, s4
	s_mov_b32 s9, s1
	s_lshl_b64 s[8:9], s[8:9], 2
	s_add_u32 s10, s12, s8
	s_addc_u32 s11, s13, s9
	s_add_u32 s8, s14, s8
	s_addc_u32 s9, s15, s9
	global_store_dword v38, v42, s[8:9]
	global_store_dword v38, v43, s[10:11]
.LBB420_19:
	s_or_b64 exec, exec, s[2:3]
	v_mov_b32_e32 v39, 0
	s_and_saveexec_b64 s[2:3], s[6:7]
	s_cbranch_execz .LBB420_21
; %bb.20:
	v_add_f32_e32 v38, 0x358637bd, v43
	v_div_scale_f32 v39, s[6:7], v38, v38, 1.0
	v_rcp_f32_e32 v43, v39
	v_div_scale_f32 v44, vcc, 1.0, v38, 1.0
	v_sub_f32_e32 v41, v41, v42
	v_fma_f32 v45, -v39, v43, 1.0
	v_fmac_f32_e32 v43, v45, v43
	v_mul_f32_e32 v45, v44, v43
	v_fma_f32 v46, -v39, v45, v44
	v_mul_f32_e32 v41, 0x3fb8aa3b, v41
	v_fmac_f32_e32 v45, v46, v43
	v_exp_f32_e32 v41, v41
	v_fma_f32 v39, -v39, v45, v44
	v_div_fmas_f32 v39, v39, v43, v45
	v_div_fixup_f32 v38, v39, v38, 1.0
	v_mul_f32_e32 v38, v41, v38
	v_pk_mul_f32 v[34:35], v[34:35], v[38:39] op_sel_hi:[1,0]
	v_pk_mul_f32 v[36:37], v[36:37], v[38:39] op_sel_hi:[1,0]
	v_bfe_u32 v38, v35, 16, 1
	v_bfe_u32 v39, v34, 16, 1
	s_movk_i32 s1, 0x7fff
	v_add3_u32 v34, v34, v39, s1
	v_add3_u32 v35, v35, v38, s1
	s_mov_b32 s6, 0x7060302
	v_perm_b32 v34, v35, v34, s6
	v_bfe_u32 v35, v37, 16, 1
	v_bfe_u32 v38, v36, 16, 1
	v_add3_u32 v36, v36, v38, s1
	v_add3_u32 v35, v37, v35, s1
	v_perm_b32 v35, v35, v36, s6
	s_waitcnt vmcnt(7)
	s_nop 0
	v_mfma_f32_4x4x4_16b_bf16 a[0:3], v[34:35], v[2:3], 0 cbsz:4
	s_nop 1
	v_mfma_f32_4x4x4_16b_bf16 a[0:3], v[34:35], v[4:5], a[0:3] cbsz:4 abid:1
	s_waitcnt vmcnt(6)
	s_nop 0
	v_mfma_f32_4x4x4_16b_bf16 a[0:3], v[34:35], v[6:7], a[0:3] cbsz:4 abid:2
	s_nop 1
	v_mfma_f32_4x4x4_16b_bf16 a[0:3], v[34:35], v[8:9], a[0:3] cbsz:4 abid:3
	s_waitcnt vmcnt(5)
	s_nop 0
	v_mfma_f32_4x4x4_16b_bf16 a[0:3], v[34:35], v[10:11], a[0:3] cbsz:4 abid:4
	;; [unrolled: 5-line block ×7, first 2 shown]
	s_nop 1
	v_mfma_f32_4x4x4_16b_bf16 a[0:3], v[34:35], v[32:33], a[0:3] cbsz:4 abid:15
	s_nop 4
	v_accvgpr_read_b32 v5, a1
	v_accvgpr_read_b32 v2, a2
	v_accvgpr_read_b32 v3, a3
	v_accvgpr_read_b32 v4, a0
	v_bfe_u32 v6, v5, 16, 1
	v_bfe_u32 v7, v4, 16, 1
	;; [unrolled: 1-line block ×3, first 2 shown]
	v_add3_u32 v5, v5, v6, s1
	v_bfe_u32 v6, v2, 16, 1
	v_add3_u32 v4, v4, v7, s1
	v_add3_u32 v2, v2, v6, s1
	;; [unrolled: 1-line block ×3, first 2 shown]
	v_perm_b32 v39, v3, v2, s6
	v_perm_b32 v38, v5, v4, s6
.LBB420_21:
	s_or_b64 exec, exec, s[2:3]
	v_lshlrev_b32_e32 v1, 3, v1
	v_mad_u32_u24 v1, v40, 40, v1
	v_cmp_gt_u32_e32 vcc, 64, v0
	ds_write_b64 v1, v[38:39]
	s_waitcnt lgkmcnt(0)
	s_barrier
	s_and_saveexec_b64 s[2:3], vcc
	s_cbranch_execz .LBB420_23
; %bb.22:
	s_waitcnt vmcnt(6)
	v_mul_u32_u24_e32 v6, 40, v40
	ds_read2_b64 v[2:5], v6 offset1:1
	ds_read2_b64 v[6:9], v6 offset0:2 offset1:3
	s_lshl_b32 s0, s0, 6
	s_mov_b32 s1, 0
	s_lshl_b64 s[2:3], s[0:1], 1
	s_waitcnt lgkmcnt(1)
	v_lshlrev_b32_e32 v2, 16, v2
	v_add_f32_e32 v2, 0, v2
	s_add_u32 s2, s22, s2
	v_and_b32_e32 v2, 0xffff0000, v2
	v_lshlrev_b32_e32 v3, 16, v4
	s_addc_u32 s3, s23, s3
	s_lshl_b32 s0, s20, 6
	v_add_f32_e32 v2, v2, v3
	s_lshl_b64 s[0:1], s[0:1], 1
	v_and_b32_e32 v2, 0xffff0000, v2
	s_waitcnt lgkmcnt(0)
	v_lshlrev_b32_e32 v3, 16, v6
	s_add_u32 s0, s2, s0
	s_mul_i32 s4, s4, s5
	v_add_f32_e32 v2, v2, v3
	s_addc_u32 s1, s3, s1
	v_lshl_or_b32 v0, s4, 6, v0
	v_mov_b32_e32 v1, 0
	v_and_b32_e32 v2, 0xffff0000, v2
	v_lshlrev_b32_e32 v3, 16, v8
	v_lshl_add_u64 v[0:1], v[0:1], 1, s[0:1]
	v_add_f32_e32 v2, v2, v3
	global_store_short_d16_hi v[0:1], v2, off
.LBB420_23:
	s_endpgm
	.section	.rodata,"a",@progbits
	.p2align	6, 0x0
	.amdhsa_kernel _Z38paged_attention_ll4mi_QKV_mfma4_kernelI14__hip_bfloat16S0_LN4vllm18Fp8KVCacheDataTypeE0EhLi16ELi64ELi256ELb0ELi1EEvPKT_PKT0_S8_ifPKiSA_SA_iPKfiiiPfSD_PS3_PT2_iSC_SC_
		.amdhsa_group_segment_fixed_size 2720
		.amdhsa_private_segment_fixed_size 0
		.amdhsa_kernarg_size 400
		.amdhsa_user_sgpr_count 2
		.amdhsa_user_sgpr_dispatch_ptr 0
		.amdhsa_user_sgpr_queue_ptr 0
		.amdhsa_user_sgpr_kernarg_segment_ptr 1
		.amdhsa_user_sgpr_dispatch_id 0
		.amdhsa_user_sgpr_kernarg_preload_length 0
		.amdhsa_user_sgpr_kernarg_preload_offset 0
		.amdhsa_user_sgpr_private_segment_size 0
		.amdhsa_uses_dynamic_stack 0
		.amdhsa_enable_private_segment 0
		.amdhsa_system_sgpr_workgroup_id_x 1
		.amdhsa_system_sgpr_workgroup_id_y 1
		.amdhsa_system_sgpr_workgroup_id_z 1
		.amdhsa_system_sgpr_workgroup_info 0
		.amdhsa_system_vgpr_workitem_id 0
		.amdhsa_next_free_vgpr 68
		.amdhsa_next_free_sgpr 38
		.amdhsa_accum_offset 64
		.amdhsa_reserve_vcc 1
		.amdhsa_float_round_mode_32 0
		.amdhsa_float_round_mode_16_64 0
		.amdhsa_float_denorm_mode_32 3
		.amdhsa_float_denorm_mode_16_64 3
		.amdhsa_dx10_clamp 1
		.amdhsa_ieee_mode 1
		.amdhsa_fp16_overflow 0
		.amdhsa_tg_split 0
		.amdhsa_exception_fp_ieee_invalid_op 0
		.amdhsa_exception_fp_denorm_src 0
		.amdhsa_exception_fp_ieee_div_zero 0
		.amdhsa_exception_fp_ieee_overflow 0
		.amdhsa_exception_fp_ieee_underflow 0
		.amdhsa_exception_fp_ieee_inexact 0
		.amdhsa_exception_int_div_zero 0
	.end_amdhsa_kernel
	.section	.text._Z38paged_attention_ll4mi_QKV_mfma4_kernelI14__hip_bfloat16S0_LN4vllm18Fp8KVCacheDataTypeE0EhLi16ELi64ELi256ELb0ELi1EEvPKT_PKT0_S8_ifPKiSA_SA_iPKfiiiPfSD_PS3_PT2_iSC_SC_,"axG",@progbits,_Z38paged_attention_ll4mi_QKV_mfma4_kernelI14__hip_bfloat16S0_LN4vllm18Fp8KVCacheDataTypeE0EhLi16ELi64ELi256ELb0ELi1EEvPKT_PKT0_S8_ifPKiSA_SA_iPKfiiiPfSD_PS3_PT2_iSC_SC_,comdat
.Lfunc_end420:
	.size	_Z38paged_attention_ll4mi_QKV_mfma4_kernelI14__hip_bfloat16S0_LN4vllm18Fp8KVCacheDataTypeE0EhLi16ELi64ELi256ELb0ELi1EEvPKT_PKT0_S8_ifPKiSA_SA_iPKfiiiPfSD_PS3_PT2_iSC_SC_, .Lfunc_end420-_Z38paged_attention_ll4mi_QKV_mfma4_kernelI14__hip_bfloat16S0_LN4vllm18Fp8KVCacheDataTypeE0EhLi16ELi64ELi256ELb0ELi1EEvPKT_PKT0_S8_ifPKiSA_SA_iPKfiiiPfSD_PS3_PT2_iSC_SC_
                                        ; -- End function
	.section	.AMDGPU.csdata,"",@progbits
; Kernel info:
; codeLenInByte = 3176
; NumSgprs: 44
; NumVgprs: 61
; NumAgprs: 4
; TotalNumVgprs: 68
; ScratchSize: 0
; MemoryBound: 0
; FloatMode: 240
; IeeeMode: 1
; LDSByteSize: 2720 bytes/workgroup (compile time only)
; SGPRBlocks: 5
; VGPRBlocks: 8
; NumSGPRsForWavesPerEU: 44
; NumVGPRsForWavesPerEU: 68
; AccumOffset: 64
; Occupancy: 7
; WaveLimiterHint : 1
; COMPUTE_PGM_RSRC2:SCRATCH_EN: 0
; COMPUTE_PGM_RSRC2:USER_SGPR: 2
; COMPUTE_PGM_RSRC2:TRAP_HANDLER: 0
; COMPUTE_PGM_RSRC2:TGID_X_EN: 1
; COMPUTE_PGM_RSRC2:TGID_Y_EN: 1
; COMPUTE_PGM_RSRC2:TGID_Z_EN: 1
; COMPUTE_PGM_RSRC2:TIDIG_COMP_CNT: 0
; COMPUTE_PGM_RSRC3_GFX90A:ACCUM_OFFSET: 15
; COMPUTE_PGM_RSRC3_GFX90A:TG_SPLIT: 0
	.section	.text._Z38paged_attention_ll4mi_QKV_mfma4_kernelI14__hip_bfloat16S0_LN4vllm18Fp8KVCacheDataTypeE0EhLi16ELi64ELi256ELb0ELi2EEvPKT_PKT0_S8_ifPKiSA_SA_iPKfiiiPfSD_PS3_PT2_iSC_SC_,"axG",@progbits,_Z38paged_attention_ll4mi_QKV_mfma4_kernelI14__hip_bfloat16S0_LN4vllm18Fp8KVCacheDataTypeE0EhLi16ELi64ELi256ELb0ELi2EEvPKT_PKT0_S8_ifPKiSA_SA_iPKfiiiPfSD_PS3_PT2_iSC_SC_,comdat
	.protected	_Z38paged_attention_ll4mi_QKV_mfma4_kernelI14__hip_bfloat16S0_LN4vllm18Fp8KVCacheDataTypeE0EhLi16ELi64ELi256ELb0ELi2EEvPKT_PKT0_S8_ifPKiSA_SA_iPKfiiiPfSD_PS3_PT2_iSC_SC_ ; -- Begin function _Z38paged_attention_ll4mi_QKV_mfma4_kernelI14__hip_bfloat16S0_LN4vllm18Fp8KVCacheDataTypeE0EhLi16ELi64ELi256ELb0ELi2EEvPKT_PKT0_S8_ifPKiSA_SA_iPKfiiiPfSD_PS3_PT2_iSC_SC_
	.globl	_Z38paged_attention_ll4mi_QKV_mfma4_kernelI14__hip_bfloat16S0_LN4vllm18Fp8KVCacheDataTypeE0EhLi16ELi64ELi256ELb0ELi2EEvPKT_PKT0_S8_ifPKiSA_SA_iPKfiiiPfSD_PS3_PT2_iSC_SC_
	.p2align	8
	.type	_Z38paged_attention_ll4mi_QKV_mfma4_kernelI14__hip_bfloat16S0_LN4vllm18Fp8KVCacheDataTypeE0EhLi16ELi64ELi256ELb0ELi2EEvPKT_PKT0_S8_ifPKiSA_SA_iPKfiiiPfSD_PS3_PT2_iSC_SC_,@function
_Z38paged_attention_ll4mi_QKV_mfma4_kernelI14__hip_bfloat16S0_LN4vllm18Fp8KVCacheDataTypeE0EhLi16ELi64ELi256ELb0ELi2EEvPKT_PKT0_S8_ifPKiSA_SA_iPKfiiiPfSD_PS3_PT2_iSC_SC_: ; @_Z38paged_attention_ll4mi_QKV_mfma4_kernelI14__hip_bfloat16S0_LN4vllm18Fp8KVCacheDataTypeE0EhLi16ELi64ELi256ELb0ELi2EEvPKT_PKT0_S8_ifPKiSA_SA_iPKfiiiPfSD_PS3_PT2_iSC_SC_
; %bb.0:
	s_load_dwordx2 s[16:17], s[0:1], 0x30
	s_mov_b32 s20, s3
	s_mov_b64 s[6:7], 0
	s_waitcnt lgkmcnt(0)
	s_cmp_lg_u64 s[16:17], 0
	s_cselect_b64 s[18:19], -1, 0
	s_and_b64 vcc, exec, s[18:19]
	s_cbranch_vccz .LBB421_10
; %bb.1:
	s_add_i32 s8, s2, 1
	s_mov_b32 s9, 0
	s_lshl_b64 s[10:11], s[8:9], 2
	s_add_u32 s10, s16, s10
	s_mov_b32 s3, s9
	s_addc_u32 s11, s17, s11
	s_lshl_b64 s[8:9], s[2:3], 2
	s_add_u32 s8, s16, s8
	s_addc_u32 s9, s17, s9
	s_load_dword s5, s[10:11], 0x0
	s_load_dword s12, s[8:9], 0x0
	s_waitcnt lgkmcnt(0)
	s_sub_i32 s5, s5, s12
	s_cmp_eq_u32 s5, 1
	s_cselect_b64 s[8:9], -1, 0
	s_andn2_b64 vcc, exec, s[6:7]
	s_cbranch_vccnz .LBB421_3
.LBB421_2:
	s_mov_b32 s3, 0
	s_mov_b64 s[8:9], -1
.LBB421_3:
	s_andn2_b64 vcc, exec, s[8:9]
	s_cbranch_vccnz .LBB421_23
; %bb.4:
	s_load_dword s5, s[0:1], 0x9c
	s_load_dwordx2 s[6:7], s[0:1], 0x28
	s_add_u32 s24, s0, 0x90
	s_addc_u32 s25, s1, 0
	s_lshl_b64 s[28:29], s[2:3], 2
	s_waitcnt lgkmcnt(0)
	s_and_b32 s5, s5, 0xffff
	s_add_u32 s6, s6, s28
	s_addc_u32 s7, s7, s29
	s_load_dword s3, s[6:7], 0x0
	s_mul_i32 s10, s20, s5
	s_waitcnt lgkmcnt(0)
	s_cmp_ge_i32 s10, s3
	s_cbranch_scc1 .LBB421_23
; %bb.5:
	v_and_b32_e32 v2, 0xc0, v0
	v_add_u32_e32 v2, s10, v2
	v_lshrrev_b32_e32 v1, 6, v0
	v_cmp_gt_i32_e64 s[6:7], s3, v2
	v_cmp_le_i32_e32 vcc, s3, v2
                                        ; implicit-def: $sgpr21
                                        ; implicit-def: $sgpr11
	s_and_saveexec_b64 s[8:9], vcc
	s_xor_b64 s[8:9], exec, s[8:9]
	s_cbranch_execz .LBB421_7
; %bb.6:
	v_mul_u32_u24_e32 v2, 20, v1
	v_or_b32_e32 v2, 0xa00, v2
	v_mov_b32_e32 v3, 0xa50
	v_mov_b32_e32 v4, 0xff7fffff
	v_mad_u32_u24 v3, v1, 20, v3
	ds_write2_b32 v2, v4, v4 offset1:1
	v_mov_b32_e32 v2, 0
	ds_write2_b32 v3, v2, v2 offset1:1
	v_mov_b32_e32 v3, 0xa08
	s_mov_b32 s11, 0xff7fffff
	s_mov_b32 s21, 0
	v_mad_u32_u24 v3, v1, 20, v3
	v_mov_b32_e32 v5, 0xa58
	v_mad_u32_u24 v5, v1, 20, v5
	ds_write2_b32 v3, v4, v4 offset1:1
	ds_write2_b32 v5, v2, v2 offset1:1
                                        ; implicit-def: $vgpr2
.LBB421_7:
	s_or_saveexec_b64 s[26:27], s[8:9]
	s_load_dwordx2 s[22:23], s[0:1], 0x68
	s_load_dwordx4 s[12:15], s[0:1], 0x58
	s_load_dword s5, s[24:25], 0x4
	v_and_b32_e32 v40, 63, v0
	v_and_b32_e32 v38, 3, v0
	v_mov_b32_e32 v37, s21
	v_mov_b32_e32 v41, s11
	;; [unrolled: 1-line block ×5, first 2 shown]
                                        ; implicit-def: $vgpr3
                                        ; implicit-def: $vgpr7
                                        ; implicit-def: $vgpr11
                                        ; implicit-def: $vgpr15
                                        ; implicit-def: $vgpr19
                                        ; implicit-def: $vgpr23
                                        ; implicit-def: $vgpr27
                                        ; implicit-def: $vgpr31
	s_xor_b64 exec, exec, s[26:27]
	s_cbranch_execz .LBB421_17
; %bb.8:
	s_add_i32 s21, s3, 15
	s_load_dwordx2 s[8:9], s[0:1], 0x20
	s_load_dword s11, s[0:1], 0x38
	s_ashr_i32 s30, s21, 31
	s_lshr_b32 s30, s30, 28
	v_add_u32_e32 v39, s10, v0
	s_add_i32 s21, s21, s30
	v_ashrrev_i32_e32 v3, 31, v39
	s_ashr_i32 s21, s21, 4
	v_lshrrev_b32_e32 v3, 28, v3
	s_add_i32 s21, s21, -1
	v_add_u32_e32 v3, v39, v3
	s_waitcnt lgkmcnt(0)
	s_mul_i32 s30, s2, s11
	s_mov_b32 s31, 0
	v_ashrrev_i32_e32 v3, 4, v3
	v_mov_b32_e32 v4, s21
	v_cmp_gt_i32_e32 vcc, s3, v39
	s_lshl_b64 s[30:31], s[30:31], 2
	s_add_u32 s8, s8, s30
	v_cndmask_b32_e32 v4, v4, v3, vcc
	v_ashrrev_i32_e32 v3, 31, v2
	v_lshrrev_b32_e32 v3, 28, v3
	s_addc_u32 s9, s9, s31
	v_ashrrev_i32_e32 v5, 31, v4
	v_add_u32_e32 v2, v2, v3
	v_lshl_add_u64 v[8:9], v[4:5], 2, s[8:9]
	v_ashrrev_i32_e32 v4, 4, v2
	v_min_i32_e32 v2, s21, v4
	v_ashrrev_i32_e32 v3, 31, v2
	v_lshl_add_u64 v[10:11], v[2:3], 2, s[8:9]
	v_add_u32_e32 v2, 1, v4
	v_min_i32_e32 v2, s21, v2
	v_ashrrev_i32_e32 v3, 31, v2
	v_lshl_add_u64 v[12:13], v[2:3], 2, s[8:9]
	v_add_u32_e32 v2, 2, v4
	v_min_i32_e32 v2, s21, v2
	v_ashrrev_i32_e32 v3, 31, v2
	v_lshl_add_u64 v[14:15], v[2:3], 2, s[8:9]
	v_add_u32_e32 v2, 3, v4
	v_min_i32_e32 v2, s21, v2
	v_ashrrev_i32_e32 v3, 31, v2
	v_lshl_add_u64 v[16:17], v[2:3], 2, s[8:9]
	global_load_dword v2, v[8:9], off
	global_load_dword v7, v[10:11], off
	;; [unrolled: 1-line block ×5, first 2 shown]
	s_load_dwordx4 s[8:11], s[0:1], 0x8
	s_andn2_b64 vcc, exec, s[18:19]
	s_cbranch_vccnz .LBB421_11
; %bb.9:
	s_add_u32 s16, s16, s28
	s_addc_u32 s17, s17, s29
	s_load_dword s21, s[16:17], 0x0
	s_branch .LBB421_12
.LBB421_10:
	s_mov_b64 s[8:9], 0
	s_branch .LBB421_2
.LBB421_11:
	s_mov_b32 s21, s2
.LBB421_12:
	s_load_dwordx4 s[16:19], s[0:1], 0x48
	v_cmp_gt_u32_e32 vcc, 2, v38
	s_mov_b32 s29, 0
	v_mov_b32_e32 v3, 0
	v_mov_b32_e32 v34, 0
	;; [unrolled: 1-line block ×5, first 2 shown]
	s_and_saveexec_b64 s[30:31], vcc
	s_cbranch_execz .LBB421_14
; %bb.13:
	s_load_dwordx2 s[34:35], s[0:1], 0x0
	s_waitcnt lgkmcnt(0)
	s_ashr_i32 s19, s16, 31
	s_mul_hi_u32 s28, s21, s16
	s_mul_i32 s19, s21, s19
	s_add_i32 s37, s28, s19
	s_mul_i32 s36, s21, s16
	s_lshl_b64 s[36:37], s[36:37], 1
	s_add_u32 s16, s34, s36
	s_addc_u32 s19, s35, s37
	s_lshl_b32 s28, s4, 7
	s_lshl_b64 s[34:35], s[28:29], 1
	s_add_u32 s34, s16, s34
	v_lshlrev_b32_e32 v8, 3, v38
	v_lshrrev_b32_e32 v9, 2, v40
	s_addc_u32 s35, s19, s35
	v_add_lshl_u32 v8, v8, v9, 4
	global_load_dwordx4 v[34:37], v8, s[34:35]
.LBB421_14:
	s_or_b64 exec, exec, s[30:31]
	s_waitcnt lgkmcnt(0)
	s_mul_i32 s28, s4, s18
	s_lshl_b64 s[18:19], s[28:29], 1
	s_add_u32 s8, s18, s8
	s_waitcnt vmcnt(4)
	v_mad_i64_i32 v[8:9], s[30:31], v2, s17, 0
	s_addc_u32 s9, s19, s9
	v_and_b32_e32 v2, 15, v0
	v_lshl_add_u64 v[8:9], v[8:9], 1, s[8:9]
	v_lshlrev_b32_e32 v2, 4, v2
	v_lshl_add_u64 v[32:33], v[8:9], 0, v[2:3]
	global_load_dwordx4 v[8:11], v[32:33], off
	global_load_dwordx4 v[12:15], v[32:33], off offset:256
	global_load_dwordx4 v[16:19], v[32:33], off offset:512
	;; [unrolled: 1-line block ×7, first 2 shown]
	s_waitcnt vmcnt(11)
	v_mul_hi_i32 v2, v7, s17
	s_add_u32 s8, s10, s18
	s_waitcnt vmcnt(10)
	v_mul_hi_i32 v32, v6, s17
	s_waitcnt vmcnt(9)
	v_mul_hi_i32 v33, v5, s17
	v_ashrrev_i32_e32 v50, 31, v2
	s_addc_u32 s9, s11, s19
	v_lshlrev_b32_e32 v2, 5, v40
	v_ashrrev_i32_e32 v52, 31, v32
	v_ashrrev_i32_e32 v53, 31, v33
	v_lshl_add_u64 v[32:33], s[8:9], 0, v[2:3]
	v_lshrrev_b32_e32 v2, 29, v50
	s_waitcnt vmcnt(8)
	v_mul_hi_i32 v41, v4, s17
	v_mad_i64_i32 v[50:51], s[8:9], v7, s17, v[2:3]
	v_lshrrev_b32_e32 v2, 29, v52
	v_ashrrev_i32_e32 v41, 31, v41
	v_lshlrev_b64 v[50:51], 1, v[50:51]
	v_mad_i64_i32 v[6:7], s[8:9], v6, s17, v[2:3]
	v_lshrrev_b32_e32 v2, 29, v53
	v_and_b32_e32 v50, -16, v50
	v_lshlrev_b64 v[52:53], 1, v[6:7]
	v_mad_i64_i32 v[6:7], s[8:9], v5, s17, v[2:3]
	v_lshrrev_b32_e32 v2, 29, v41
	v_lshl_add_u64 v[50:51], v[32:33], 0, v[50:51]
	v_and_b32_e32 v52, -16, v52
	v_lshlrev_b64 v[54:55], 1, v[6:7]
	v_and_b32_e32 v54, -16, v54
	s_load_dword s0, s[0:1], 0x1c
	v_cmp_eq_u32_e32 vcc, 0, v38
	v_and_b32_e32 v60, -4, v39
	v_mov_b32_e32 v41, 0xff7fffff
	v_cndmask_b32_e64 v56, 0, 1.0, vcc
	v_cmp_eq_u32_e32 vcc, 1, v38
	v_or_b32_e32 v39, 3, v39
	v_cmp_gt_i32_e64 s[10:11], s3, v39
	v_cndmask_b32_e64 v57, 0, 1.0, vcc
	v_cmp_eq_u32_e32 vcc, 2, v38
	v_lshlrev_b32_e32 v61, 2, v0
	s_waitcnt vmcnt(7)
	v_mfma_f32_4x4x4_16b_bf16 a[0:3], v[34:35], v[8:9], 0 cbsz:4
	v_cndmask_b32_e64 v58, 0, 1.0, vcc
	s_nop 0
	v_mfma_f32_4x4x4_16b_bf16 a[0:3], v[36:37], v[10:11], a[0:3] cbsz:4
	v_mad_i64_i32 v[10:11], s[8:9], v4, s17, v[2:3]
	s_waitcnt vmcnt(6)
	v_mfma_f32_4x4x4_16b_bf16 a[0:3], v[34:35], v[12:13], a[0:3] cbsz:4 abid:1
	global_load_dwordx4 v[2:5], v[50:51], off
	global_load_dwordx4 v[6:9], v[50:51], off offset:16
	v_mfma_f32_4x4x4_16b_bf16 a[0:3], v[36:37], v[14:15], a[0:3] cbsz:4 abid:1
	v_lshl_add_u64 v[50:51], v[32:33], 0, v[52:53]
	v_lshlrev_b64 v[52:53], 1, v[10:11]
	s_waitcnt vmcnt(7)
	v_mfma_f32_4x4x4_16b_bf16 a[0:3], v[34:35], v[16:17], a[0:3] cbsz:4 abid:2
	global_load_dwordx4 v[10:13], v[50:51], off
	global_load_dwordx4 v[14:17], v[50:51], off offset:16
	v_mfma_f32_4x4x4_16b_bf16 a[0:3], v[36:37], v[18:19], a[0:3] cbsz:4 abid:2
	v_lshl_add_u64 v[50:51], v[32:33], 0, v[54:55]
	v_and_b32_e32 v52, -16, v52
	s_waitcnt vmcnt(8)
	v_mfma_f32_4x4x4_16b_bf16 a[0:3], v[34:35], v[20:21], a[0:3] cbsz:4 abid:3
	v_cmp_eq_u32_e32 vcc, 3, v38
	s_nop 0
	v_mfma_f32_4x4x4_16b_bf16 a[0:3], v[36:37], v[22:23], a[0:3] cbsz:4 abid:3
	v_cndmask_b32_e64 v59, 0, 1.0, vcc
	v_cmp_gt_i32_e32 vcc, s3, v60
	s_waitcnt vmcnt(7)
	v_mfma_f32_4x4x4_16b_bf16 a[0:3], v[34:35], v[24:25], a[0:3] cbsz:4 abid:4
	global_load_dwordx4 v[18:21], v[50:51], off
	global_load_dwordx4 v[22:25], v[50:51], off offset:16
	v_mfma_f32_4x4x4_16b_bf16 a[0:3], v[36:37], v[26:27], a[0:3] cbsz:4 abid:4
	v_lshl_add_u64 v[50:51], v[32:33], 0, v[52:53]
	s_waitcnt vmcnt(8)
	v_mfma_f32_4x4x4_16b_bf16 a[0:3], v[34:35], v[28:29], a[0:3] cbsz:4 abid:5
	s_nop 1
	v_mfma_f32_4x4x4_16b_bf16 a[0:3], v[36:37], v[30:31], a[0:3] cbsz:4 abid:5
	global_load_dwordx4 v[26:29], v[50:51], off
	global_load_dwordx4 v[30:33], v[50:51], off offset:16
	s_waitcnt vmcnt(9)
	v_mfma_f32_4x4x4_16b_bf16 a[0:3], v[34:35], v[42:43], a[0:3] cbsz:4 abid:6
	v_and_or_b32 v42, v61, 48, v38
	v_lshlrev_b32_e32 v42, 2, v42
	v_mfma_f32_4x4x4_16b_bf16 a[0:3], v[36:37], v[44:45], a[0:3] cbsz:4 abid:6
	s_waitcnt vmcnt(8)
	s_nop 0
	v_mfma_f32_4x4x4_16b_bf16 a[0:3], v[34:35], v[46:47], a[0:3] cbsz:4 abid:7
	s_nop 1
	v_mfma_f32_4x4x4_16b_bf16 a[0:3], v[36:37], v[48:49], a[0:3] cbsz:4 abid:7
	s_nop 4
	v_accvgpr_read_b32 v35, a1
	v_accvgpr_read_b32 v34, a0
	s_waitcnt lgkmcnt(0)
	v_pk_mul_f32 v[34:35], s[0:1], v[34:35] op_sel_hi:[0,1]
	v_accvgpr_read_b32 v37, a3
	v_accvgpr_read_b32 v36, a2
	v_pk_mul_f32 v[36:37], s[0:1], v[36:37] op_sel_hi:[0,1]
	v_mfma_f32_4x4x1_16b_f32 a[0:3], v34, v56, 0
	v_or_b32_e32 v34, 1, v60
	s_nop 0
	v_mfma_f32_4x4x1_16b_f32 a[0:3], v35, v57, a[0:3]
	v_cmp_gt_i32_e64 s[0:1], s3, v34
	v_or_b32_e32 v35, 2, v60
	v_mfma_f32_4x4x1_16b_f32 a[0:3], v36, v58, a[0:3]
	v_cmp_gt_i32_e64 s[8:9], s3, v35
	s_nop 0
	v_mfma_f32_4x4x1_16b_f32 a[0:3], v37, v59, a[0:3]
	s_nop 3
	v_accvgpr_read_b32 v36, a0
	v_max_f32_e32 v45, v36, v36
	v_accvgpr_read_b32 v37, a1
	v_max_f32_e32 v45, 0xff7fffff, v45
	v_max_f32_e32 v46, v37, v37
	v_cndmask_b32_e32 v41, v41, v45, vcc
	v_accvgpr_read_b32 v43, a2
	v_max_f32_e32 v45, v41, v46
	v_max_f32_e32 v47, v43, v43
	v_cndmask_b32_e64 v34, v41, v45, s[0:1]
	v_accvgpr_read_b32 v44, a3
	v_max_f32_e32 v41, v34, v47
	v_max_f32_e32 v48, v44, v44
	v_cndmask_b32_e64 v34, v34, v41, s[8:9]
	v_max_f32_e32 v35, v34, v48
	v_cndmask_b32_e64 v34, v34, v35, s[10:11]
	;;#ASMSTART
	v_nop
 v_nop
 v_max_f32_dpp v34, v34, v34 row_ror:4
	;;#ASMEND
	s_nop 0
	;;#ASMSTART
	v_nop
 v_nop
 v_max_f32_dpp v34, v34, v34 row_ror:8
	;;#ASMEND
	ds_bpermute_b32 v34, v42, v34
	s_waitcnt lgkmcnt(0)
	;;#ASMSTART
	v_nop
 v_nop
 v_max_f32_dpp v34, v34, v34 row_ror:4
	;;#ASMEND
	s_nop 0
	;;#ASMSTART
	v_nop
 v_nop
 v_max_f32_dpp v41, v34, v34 row_ror:8
	;;#ASMEND
	s_nop 0
	v_sub_f32_e32 v34, v36, v41
	v_sub_f32_e32 v35, v37, v41
	v_mul_f32_e32 v34, 0x3fb8aa3b, v34
	v_sub_f32_e32 v36, v43, v41
	v_mul_f32_e32 v35, 0x3fb8aa3b, v35
	v_exp_f32_e32 v34, v34
	v_sub_f32_e32 v37, v44, v41
	v_mul_f32_e32 v36, 0x3fb8aa3b, v36
	v_exp_f32_e32 v35, v35
	v_mul_f32_e32 v37, 0x3fb8aa3b, v37
	v_exp_f32_e32 v36, v36
	v_exp_f32_e32 v37, v37
	v_cndmask_b32_e32 v34, 0, v34, vcc
	v_cndmask_b32_e64 v35, 0, v35, s[0:1]
	v_add_f32_e32 v39, 0, v34
	v_cndmask_b32_e64 v36, 0, v36, s[8:9]
	v_add_f32_e32 v39, v39, v35
	;; [unrolled: 2-line block ×3, first 2 shown]
	v_add_f32_e32 v39, v39, v37
	;;#ASMSTART
	v_nop
 v_nop
 v_add_f32_dpp v39, v39, v39 row_ror:4
	;;#ASMEND
	v_cmp_gt_u32_e32 vcc, 4, v40
	;;#ASMSTART
	v_nop
 v_nop
 v_add_f32_dpp v39, v39, v39 row_ror:8
	;;#ASMEND
	ds_bpermute_b32 v39, v42, v39
	s_waitcnt lgkmcnt(0)
	;;#ASMSTART
	v_nop
 v_nop
 v_add_f32_dpp v39, v39, v39 row_ror:4
	;;#ASMEND
	s_nop 0
	;;#ASMSTART
	v_nop
 v_nop
 v_add_f32_dpp v39, v39, v39 row_ror:8
	;;#ASMEND
	s_and_saveexec_b64 s[0:1], vcc
	s_cbranch_execz .LBB421_16
; %bb.15:
	v_mul_u32_u24_e32 v42, 20, v1
	v_lshl_add_u32 v42, v38, 2, v42
	v_add_u32_e32 v42, 0x800, v42
	ds_write2_b32 v42, v41, v39 offset0:128 offset1:148
.LBB421_16:
	s_or_b64 exec, exec, s[0:1]
.LBB421_17:
	s_or_b64 exec, exec, s[26:27]
	s_waitcnt lgkmcnt(0)
	s_barrier
	s_load_dword s0, s[24:25], 0x8
	v_lshlrev_b32_e32 v39, 2, v38
	v_add_u32_e32 v39, 0x800, v39
	ds_read2_b32 v[44:45], v39 offset0:128 offset1:133
	ds_read2_b32 v[46:47], v39 offset0:138 offset1:143
	s_mul_i32 s1, s2, s5
	s_waitcnt lgkmcnt(0)
	s_mul_i32 s1, s1, s0
	s_lshl_b32 s0, s1, 1
	s_mov_b32 s1, 0xff7fffff
	v_max3_f32 v42, v44, s1, v45
	v_max3_f32 v42, v42, v46, v47
	v_sub_f32_e32 v43, v44, v42
	v_sub_f32_e32 v44, v45, v42
	ds_read2_b32 v[48:49], v39 offset0:148 offset1:153
	v_mul_f32_e32 v43, 0x3fb8aa3b, v43
	v_mul_f32_e32 v44, 0x3fb8aa3b, v44
	v_exp_f32_e32 v43, v43
	v_exp_f32_e32 v50, v44
	ds_read2_b32 v[44:45], v39 offset0:158 offset1:163
	v_sub_f32_e32 v39, v46, v42
	v_mul_f32_e32 v39, 0x3fb8aa3b, v39
	v_sub_f32_e32 v46, v47, v42
	v_exp_f32_e32 v39, v39
	v_mul_f32_e32 v46, 0x3fb8aa3b, v46
	v_exp_f32_e32 v46, v46
	s_waitcnt lgkmcnt(1)
	v_fma_f32 v43, v43, v48, 0
	v_fmac_f32_e32 v43, v50, v49
	s_waitcnt lgkmcnt(0)
	v_fmac_f32_e32 v43, v39, v44
	s_lshl_b32 s4, s4, 1
	v_fmac_f32_e32 v43, v46, v45
	v_cmp_gt_u32_e32 vcc, 2, v38
	s_and_saveexec_b64 s[2:3], vcc
	s_cbranch_execz .LBB421_19
; %bb.18:
	s_mov_b32 s1, 0
	s_lshl_b64 s[8:9], s[0:1], 2
	s_add_u32 s12, s12, s8
	s_mov_b32 s21, s1
	s_addc_u32 s13, s13, s9
	s_lshl_b64 s[10:11], s[20:21], 2
	s_add_u32 s12, s12, s10
	s_addc_u32 s13, s13, s11
	s_add_u32 s1, s14, s8
	s_addc_u32 s9, s15, s9
	v_or_b32_e32 v38, s4, v38
	s_add_u32 s8, s1, s10
	v_mul_lo_u32 v38, s5, v38
	v_mov_b32_e32 v39, 0
	s_addc_u32 s9, s9, s11
	v_lshlrev_b64 v[38:39], 2, v[38:39]
	v_lshl_add_u64 v[44:45], s[12:13], 0, v[38:39]
	v_lshl_add_u64 v[38:39], s[8:9], 0, v[38:39]
	global_store_dword v[38:39], v42, off
	global_store_dword v[44:45], v43, off
.LBB421_19:
	s_or_b64 exec, exec, s[2:3]
	v_mov_b32_e32 v38, 0
	v_mov_b32_e32 v39, 0
	s_and_saveexec_b64 s[2:3], s[6:7]
	s_cbranch_execz .LBB421_21
; %bb.20:
	v_add_f32_e32 v38, 0x358637bd, v43
	v_div_scale_f32 v39, s[6:7], v38, v38, 1.0
	v_rcp_f32_e32 v43, v39
	v_div_scale_f32 v44, vcc, 1.0, v38, 1.0
	v_sub_f32_e32 v41, v41, v42
	v_fma_f32 v45, -v39, v43, 1.0
	v_fmac_f32_e32 v43, v45, v43
	v_mul_f32_e32 v45, v44, v43
	v_fma_f32 v46, -v39, v45, v44
	v_mul_f32_e32 v41, 0x3fb8aa3b, v41
	v_fmac_f32_e32 v45, v46, v43
	v_exp_f32_e32 v41, v41
	v_fma_f32 v39, -v39, v45, v44
	v_div_fmas_f32 v39, v39, v43, v45
	v_div_fixup_f32 v38, v39, v38, 1.0
	v_mul_f32_e32 v38, v41, v38
	v_pk_mul_f32 v[34:35], v[34:35], v[38:39] op_sel_hi:[1,0]
	v_pk_mul_f32 v[36:37], v[36:37], v[38:39] op_sel_hi:[1,0]
	v_bfe_u32 v38, v35, 16, 1
	v_bfe_u32 v39, v34, 16, 1
	s_movk_i32 s1, 0x7fff
	v_add3_u32 v34, v34, v39, s1
	v_add3_u32 v35, v35, v38, s1
	s_mov_b32 s6, 0x7060302
	v_perm_b32 v34, v35, v34, s6
	v_bfe_u32 v35, v37, 16, 1
	v_bfe_u32 v38, v36, 16, 1
	v_add3_u32 v36, v36, v38, s1
	v_add3_u32 v35, v37, v35, s1
	v_perm_b32 v35, v35, v36, s6
	s_waitcnt vmcnt(7)
	s_nop 0
	v_mfma_f32_4x4x4_16b_bf16 a[0:3], v[34:35], v[2:3], 0 cbsz:4
	s_nop 1
	v_mfma_f32_4x4x4_16b_bf16 a[0:3], v[34:35], v[4:5], a[0:3] cbsz:4 abid:1
	s_waitcnt vmcnt(6)
	s_nop 0
	v_mfma_f32_4x4x4_16b_bf16 a[0:3], v[34:35], v[6:7], a[0:3] cbsz:4 abid:2
	s_nop 1
	v_mfma_f32_4x4x4_16b_bf16 a[0:3], v[34:35], v[8:9], a[0:3] cbsz:4 abid:3
	s_waitcnt vmcnt(5)
	s_nop 0
	v_mfma_f32_4x4x4_16b_bf16 a[0:3], v[34:35], v[10:11], a[0:3] cbsz:4 abid:4
	;; [unrolled: 5-line block ×7, first 2 shown]
	s_nop 1
	v_mfma_f32_4x4x4_16b_bf16 a[0:3], v[34:35], v[32:33], a[0:3] cbsz:4 abid:15
	s_nop 4
	v_accvgpr_read_b32 v5, a1
	v_accvgpr_read_b32 v2, a2
	;; [unrolled: 1-line block ×4, first 2 shown]
	v_bfe_u32 v6, v5, 16, 1
	v_bfe_u32 v7, v4, 16, 1
	;; [unrolled: 1-line block ×3, first 2 shown]
	v_add3_u32 v5, v5, v6, s1
	v_bfe_u32 v6, v2, 16, 1
	v_add3_u32 v4, v4, v7, s1
	v_add3_u32 v2, v2, v6, s1
	;; [unrolled: 1-line block ×3, first 2 shown]
	v_perm_b32 v39, v3, v2, s6
	v_perm_b32 v38, v5, v4, s6
.LBB421_21:
	s_or_b64 exec, exec, s[2:3]
	v_lshlrev_b32_e32 v1, 3, v1
	v_mad_u32_u24 v1, v40, 40, v1
	v_cmp_gt_u32_e32 vcc, 64, v0
	ds_write_b64 v1, v[38:39]
	s_waitcnt lgkmcnt(0)
	s_barrier
	s_and_saveexec_b64 s[2:3], vcc
	s_cbranch_execz .LBB421_23
; %bb.22:
	v_mul_u32_u24_e32 v1, 40, v40
	s_waitcnt vmcnt(7)
	ds_read2_b64 v[2:5], v1 offset1:1
	s_waitcnt vmcnt(6)
	ds_read2_b64 v[6:9], v1 offset0:2 offset1:3
	s_mov_b32 s1, 0
	s_lshl_b32 s0, s0, 6
	s_lshl_b64 s[2:3], s[0:1], 1
	s_waitcnt lgkmcnt(1)
	v_and_b32_e32 v1, 0xffff0000, v2
	v_add_f32_e32 v1, 0, v1
	v_and_b32_e32 v3, 0xffff0000, v4
	v_and_b32_e32 v1, 0xffff0000, v1
	v_add_f32_e32 v1, v1, v3
	s_waitcnt lgkmcnt(0)
	v_and_b32_e32 v5, 0xffff0000, v6
	v_and_b32_e32 v1, 0xffff0000, v1
	v_add_f32_e32 v1, v1, v5
	v_and_b32_e32 v1, 0xffff0000, v1
	v_and_b32_e32 v3, 0xffff0000, v8
	v_add_f32_e32 v7, v1, v3
	v_lshlrev_b32_e32 v1, 16, v2
	s_add_u32 s2, s22, s2
	v_add_f32_e32 v1, 0, v1
	s_addc_u32 s3, s23, s3
	s_lshl_b32 s0, s20, 6
	v_and_b32_e32 v1, 0xffff0000, v1
	v_lshlrev_b32_e32 v2, 16, v4
	s_lshl_b64 s[0:1], s[0:1], 1
	v_add_f32_e32 v1, v1, v2
	s_add_u32 s0, s2, s0
	v_and_b32_e32 v1, 0xffff0000, v1
	v_lshlrev_b32_e32 v2, 16, v6
	s_addc_u32 s1, s3, s1
	s_lshl_b32 s2, s5, 6
	v_add_f32_e32 v1, v1, v2
	v_and_b32_e32 v1, 0xffff0000, v1
	v_lshlrev_b32_e32 v2, 16, v8
	s_mul_i32 s3, s2, s4
	v_add_f32_e32 v1, v1, v2
	v_or_b32_e32 v2, s3, v0
	v_mov_b32_e32 v3, 0
	s_add_i32 s3, s3, s2
	v_lshl_add_u64 v[4:5], v[2:3], 1, s[0:1]
	v_or_b32_e32 v2, s3, v0
	global_store_short_d16_hi v[4:5], v1, off
	v_lshl_add_u64 v[0:1], v[2:3], 1, s[0:1]
	global_store_short_d16_hi v[0:1], v7, off
.LBB421_23:
	s_endpgm
	.section	.rodata,"a",@progbits
	.p2align	6, 0x0
	.amdhsa_kernel _Z38paged_attention_ll4mi_QKV_mfma4_kernelI14__hip_bfloat16S0_LN4vllm18Fp8KVCacheDataTypeE0EhLi16ELi64ELi256ELb0ELi2EEvPKT_PKT0_S8_ifPKiSA_SA_iPKfiiiPfSD_PS3_PT2_iSC_SC_
		.amdhsa_group_segment_fixed_size 2720
		.amdhsa_private_segment_fixed_size 0
		.amdhsa_kernarg_size 400
		.amdhsa_user_sgpr_count 2
		.amdhsa_user_sgpr_dispatch_ptr 0
		.amdhsa_user_sgpr_queue_ptr 0
		.amdhsa_user_sgpr_kernarg_segment_ptr 1
		.amdhsa_user_sgpr_dispatch_id 0
		.amdhsa_user_sgpr_kernarg_preload_length 0
		.amdhsa_user_sgpr_kernarg_preload_offset 0
		.amdhsa_user_sgpr_private_segment_size 0
		.amdhsa_uses_dynamic_stack 0
		.amdhsa_enable_private_segment 0
		.amdhsa_system_sgpr_workgroup_id_x 1
		.amdhsa_system_sgpr_workgroup_id_y 1
		.amdhsa_system_sgpr_workgroup_id_z 1
		.amdhsa_system_sgpr_workgroup_info 0
		.amdhsa_system_vgpr_workitem_id 0
		.amdhsa_next_free_vgpr 68
		.amdhsa_next_free_sgpr 38
		.amdhsa_accum_offset 64
		.amdhsa_reserve_vcc 1
		.amdhsa_float_round_mode_32 0
		.amdhsa_float_round_mode_16_64 0
		.amdhsa_float_denorm_mode_32 3
		.amdhsa_float_denorm_mode_16_64 3
		.amdhsa_dx10_clamp 1
		.amdhsa_ieee_mode 1
		.amdhsa_fp16_overflow 0
		.amdhsa_tg_split 0
		.amdhsa_exception_fp_ieee_invalid_op 0
		.amdhsa_exception_fp_denorm_src 0
		.amdhsa_exception_fp_ieee_div_zero 0
		.amdhsa_exception_fp_ieee_overflow 0
		.amdhsa_exception_fp_ieee_underflow 0
		.amdhsa_exception_fp_ieee_inexact 0
		.amdhsa_exception_int_div_zero 0
	.end_amdhsa_kernel
	.section	.text._Z38paged_attention_ll4mi_QKV_mfma4_kernelI14__hip_bfloat16S0_LN4vllm18Fp8KVCacheDataTypeE0EhLi16ELi64ELi256ELb0ELi2EEvPKT_PKT0_S8_ifPKiSA_SA_iPKfiiiPfSD_PS3_PT2_iSC_SC_,"axG",@progbits,_Z38paged_attention_ll4mi_QKV_mfma4_kernelI14__hip_bfloat16S0_LN4vllm18Fp8KVCacheDataTypeE0EhLi16ELi64ELi256ELb0ELi2EEvPKT_PKT0_S8_ifPKiSA_SA_iPKfiiiPfSD_PS3_PT2_iSC_SC_,comdat
.Lfunc_end421:
	.size	_Z38paged_attention_ll4mi_QKV_mfma4_kernelI14__hip_bfloat16S0_LN4vllm18Fp8KVCacheDataTypeE0EhLi16ELi64ELi256ELb0ELi2EEvPKT_PKT0_S8_ifPKiSA_SA_iPKfiiiPfSD_PS3_PT2_iSC_SC_, .Lfunc_end421-_Z38paged_attention_ll4mi_QKV_mfma4_kernelI14__hip_bfloat16S0_LN4vllm18Fp8KVCacheDataTypeE0EhLi16ELi64ELi256ELb0ELi2EEvPKT_PKT0_S8_ifPKiSA_SA_iPKfiiiPfSD_PS3_PT2_iSC_SC_
                                        ; -- End function
	.section	.AMDGPU.csdata,"",@progbits
; Kernel info:
; codeLenInByte = 3312
; NumSgprs: 44
; NumVgprs: 62
; NumAgprs: 4
; TotalNumVgprs: 68
; ScratchSize: 0
; MemoryBound: 0
; FloatMode: 240
; IeeeMode: 1
; LDSByteSize: 2720 bytes/workgroup (compile time only)
; SGPRBlocks: 5
; VGPRBlocks: 8
; NumSGPRsForWavesPerEU: 44
; NumVGPRsForWavesPerEU: 68
; AccumOffset: 64
; Occupancy: 7
; WaveLimiterHint : 1
; COMPUTE_PGM_RSRC2:SCRATCH_EN: 0
; COMPUTE_PGM_RSRC2:USER_SGPR: 2
; COMPUTE_PGM_RSRC2:TRAP_HANDLER: 0
; COMPUTE_PGM_RSRC2:TGID_X_EN: 1
; COMPUTE_PGM_RSRC2:TGID_Y_EN: 1
; COMPUTE_PGM_RSRC2:TGID_Z_EN: 1
; COMPUTE_PGM_RSRC2:TIDIG_COMP_CNT: 0
; COMPUTE_PGM_RSRC3_GFX90A:ACCUM_OFFSET: 15
; COMPUTE_PGM_RSRC3_GFX90A:TG_SPLIT: 0
	.section	.text._Z38paged_attention_ll4mi_QKV_mfma4_kernelI14__hip_bfloat16S0_LN4vllm18Fp8KVCacheDataTypeE0EhLi16ELi64ELi256ELb0ELi3EEvPKT_PKT0_S8_ifPKiSA_SA_iPKfiiiPfSD_PS3_PT2_iSC_SC_,"axG",@progbits,_Z38paged_attention_ll4mi_QKV_mfma4_kernelI14__hip_bfloat16S0_LN4vllm18Fp8KVCacheDataTypeE0EhLi16ELi64ELi256ELb0ELi3EEvPKT_PKT0_S8_ifPKiSA_SA_iPKfiiiPfSD_PS3_PT2_iSC_SC_,comdat
	.protected	_Z38paged_attention_ll4mi_QKV_mfma4_kernelI14__hip_bfloat16S0_LN4vllm18Fp8KVCacheDataTypeE0EhLi16ELi64ELi256ELb0ELi3EEvPKT_PKT0_S8_ifPKiSA_SA_iPKfiiiPfSD_PS3_PT2_iSC_SC_ ; -- Begin function _Z38paged_attention_ll4mi_QKV_mfma4_kernelI14__hip_bfloat16S0_LN4vllm18Fp8KVCacheDataTypeE0EhLi16ELi64ELi256ELb0ELi3EEvPKT_PKT0_S8_ifPKiSA_SA_iPKfiiiPfSD_PS3_PT2_iSC_SC_
	.globl	_Z38paged_attention_ll4mi_QKV_mfma4_kernelI14__hip_bfloat16S0_LN4vllm18Fp8KVCacheDataTypeE0EhLi16ELi64ELi256ELb0ELi3EEvPKT_PKT0_S8_ifPKiSA_SA_iPKfiiiPfSD_PS3_PT2_iSC_SC_
	.p2align	8
	.type	_Z38paged_attention_ll4mi_QKV_mfma4_kernelI14__hip_bfloat16S0_LN4vllm18Fp8KVCacheDataTypeE0EhLi16ELi64ELi256ELb0ELi3EEvPKT_PKT0_S8_ifPKiSA_SA_iPKfiiiPfSD_PS3_PT2_iSC_SC_,@function
_Z38paged_attention_ll4mi_QKV_mfma4_kernelI14__hip_bfloat16S0_LN4vllm18Fp8KVCacheDataTypeE0EhLi16ELi64ELi256ELb0ELi3EEvPKT_PKT0_S8_ifPKiSA_SA_iPKfiiiPfSD_PS3_PT2_iSC_SC_: ; @_Z38paged_attention_ll4mi_QKV_mfma4_kernelI14__hip_bfloat16S0_LN4vllm18Fp8KVCacheDataTypeE0EhLi16ELi64ELi256ELb0ELi3EEvPKT_PKT0_S8_ifPKiSA_SA_iPKfiiiPfSD_PS3_PT2_iSC_SC_
; %bb.0:
	s_load_dwordx2 s[16:17], s[0:1], 0x30
	s_mov_b32 s20, s3
	s_mov_b64 s[6:7], 0
	s_waitcnt lgkmcnt(0)
	s_cmp_lg_u64 s[16:17], 0
	s_cselect_b64 s[18:19], -1, 0
	s_and_b64 vcc, exec, s[18:19]
	s_cbranch_vccz .LBB422_10
; %bb.1:
	s_add_i32 s8, s2, 1
	s_mov_b32 s9, 0
	s_lshl_b64 s[10:11], s[8:9], 2
	s_add_u32 s10, s16, s10
	s_mov_b32 s3, s9
	s_addc_u32 s11, s17, s11
	s_lshl_b64 s[8:9], s[2:3], 2
	s_add_u32 s8, s16, s8
	s_addc_u32 s9, s17, s9
	s_load_dword s5, s[10:11], 0x0
	s_load_dword s12, s[8:9], 0x0
	s_waitcnt lgkmcnt(0)
	s_sub_i32 s5, s5, s12
	s_cmp_eq_u32 s5, 1
	s_cselect_b64 s[8:9], -1, 0
	s_andn2_b64 vcc, exec, s[6:7]
	s_cbranch_vccnz .LBB422_3
.LBB422_2:
	s_mov_b32 s3, 0
	s_mov_b64 s[8:9], -1
.LBB422_3:
	s_andn2_b64 vcc, exec, s[8:9]
	s_cbranch_vccnz .LBB422_23
; %bb.4:
	s_load_dword s5, s[0:1], 0x9c
	s_load_dwordx2 s[6:7], s[0:1], 0x28
	s_add_u32 s24, s0, 0x90
	s_addc_u32 s25, s1, 0
	s_lshl_b64 s[28:29], s[2:3], 2
	s_waitcnt lgkmcnt(0)
	s_and_b32 s5, s5, 0xffff
	s_add_u32 s6, s6, s28
	s_addc_u32 s7, s7, s29
	s_load_dword s3, s[6:7], 0x0
	s_mul_i32 s10, s20, s5
	s_waitcnt lgkmcnt(0)
	s_cmp_ge_i32 s10, s3
	s_cbranch_scc1 .LBB422_23
; %bb.5:
	v_and_b32_e32 v2, 0xc0, v0
	v_add_u32_e32 v2, s10, v2
	v_lshrrev_b32_e32 v1, 6, v0
	v_cmp_gt_i32_e64 s[6:7], s3, v2
	v_cmp_le_i32_e32 vcc, s3, v2
                                        ; implicit-def: $sgpr21
                                        ; implicit-def: $sgpr11
	s_and_saveexec_b64 s[8:9], vcc
	s_xor_b64 s[8:9], exec, s[8:9]
	s_cbranch_execz .LBB422_7
; %bb.6:
	v_mul_u32_u24_e32 v2, 20, v1
	v_or_b32_e32 v2, 0xa00, v2
	v_mov_b32_e32 v3, 0xa50
	v_mov_b32_e32 v4, 0xff7fffff
	v_mad_u32_u24 v3, v1, 20, v3
	ds_write2_b32 v2, v4, v4 offset1:1
	v_mov_b32_e32 v2, 0
	ds_write2_b32 v3, v2, v2 offset1:1
	v_mov_b32_e32 v3, 0xa08
	s_mov_b32 s11, 0xff7fffff
	s_mov_b32 s21, 0
	v_mad_u32_u24 v3, v1, 20, v3
	v_mov_b32_e32 v5, 0xa58
	v_mad_u32_u24 v5, v1, 20, v5
	ds_write2_b32 v3, v4, v4 offset1:1
	ds_write2_b32 v5, v2, v2 offset1:1
                                        ; implicit-def: $vgpr2
.LBB422_7:
	s_or_saveexec_b64 s[26:27], s[8:9]
	s_load_dwordx2 s[22:23], s[0:1], 0x68
	s_load_dwordx4 s[12:15], s[0:1], 0x58
	s_load_dword s5, s[24:25], 0x4
	v_and_b32_e32 v40, 63, v0
	v_and_b32_e32 v38, 3, v0
	v_mov_b32_e32 v37, s21
	v_mov_b32_e32 v41, s11
	;; [unrolled: 1-line block ×5, first 2 shown]
                                        ; implicit-def: $vgpr3
                                        ; implicit-def: $vgpr7
                                        ; implicit-def: $vgpr11
                                        ; implicit-def: $vgpr15
                                        ; implicit-def: $vgpr19
                                        ; implicit-def: $vgpr23
                                        ; implicit-def: $vgpr27
                                        ; implicit-def: $vgpr31
	s_xor_b64 exec, exec, s[26:27]
	s_cbranch_execz .LBB422_17
; %bb.8:
	s_add_i32 s21, s3, 15
	s_load_dwordx2 s[8:9], s[0:1], 0x20
	s_load_dword s11, s[0:1], 0x38
	s_ashr_i32 s30, s21, 31
	s_lshr_b32 s30, s30, 28
	v_add_u32_e32 v39, s10, v0
	s_add_i32 s21, s21, s30
	v_ashrrev_i32_e32 v3, 31, v39
	s_ashr_i32 s21, s21, 4
	v_lshrrev_b32_e32 v3, 28, v3
	s_add_i32 s21, s21, -1
	v_add_u32_e32 v3, v39, v3
	s_waitcnt lgkmcnt(0)
	s_mul_i32 s30, s2, s11
	s_mov_b32 s31, 0
	v_ashrrev_i32_e32 v3, 4, v3
	v_mov_b32_e32 v4, s21
	v_cmp_gt_i32_e32 vcc, s3, v39
	s_lshl_b64 s[30:31], s[30:31], 2
	s_add_u32 s8, s8, s30
	v_cndmask_b32_e32 v4, v4, v3, vcc
	v_ashrrev_i32_e32 v3, 31, v2
	v_lshrrev_b32_e32 v3, 28, v3
	s_addc_u32 s9, s9, s31
	v_ashrrev_i32_e32 v5, 31, v4
	v_add_u32_e32 v2, v2, v3
	v_lshl_add_u64 v[8:9], v[4:5], 2, s[8:9]
	v_ashrrev_i32_e32 v4, 4, v2
	v_min_i32_e32 v2, s21, v4
	v_ashrrev_i32_e32 v3, 31, v2
	v_lshl_add_u64 v[10:11], v[2:3], 2, s[8:9]
	v_add_u32_e32 v2, 1, v4
	v_min_i32_e32 v2, s21, v2
	v_ashrrev_i32_e32 v3, 31, v2
	v_lshl_add_u64 v[12:13], v[2:3], 2, s[8:9]
	v_add_u32_e32 v2, 2, v4
	;; [unrolled: 4-line block ×3, first 2 shown]
	v_min_i32_e32 v2, s21, v2
	v_ashrrev_i32_e32 v3, 31, v2
	v_lshl_add_u64 v[16:17], v[2:3], 2, s[8:9]
	global_load_dword v2, v[8:9], off
	global_load_dword v7, v[10:11], off
	;; [unrolled: 1-line block ×5, first 2 shown]
	s_load_dwordx4 s[8:11], s[0:1], 0x8
	s_andn2_b64 vcc, exec, s[18:19]
	s_cbranch_vccnz .LBB422_11
; %bb.9:
	s_add_u32 s16, s16, s28
	s_addc_u32 s17, s17, s29
	s_load_dword s21, s[16:17], 0x0
	s_branch .LBB422_12
.LBB422_10:
	s_mov_b64 s[8:9], 0
	s_branch .LBB422_2
.LBB422_11:
	s_mov_b32 s21, s2
.LBB422_12:
	s_load_dwordx4 s[16:19], s[0:1], 0x48
	v_cmp_ne_u32_e32 vcc, 3, v38
	s_mov_b32 s29, 0
	v_mov_b32_e32 v41, 1.0
	v_mov_b32_e32 v3, 0
	v_mov_b32_e32 v34, 0
	;; [unrolled: 1-line block ×5, first 2 shown]
	s_and_saveexec_b64 s[30:31], vcc
	s_cbranch_execz .LBB422_14
; %bb.13:
	s_load_dwordx2 s[34:35], s[0:1], 0x0
	s_waitcnt lgkmcnt(0)
	s_ashr_i32 s19, s16, 31
	s_mul_hi_u32 s28, s21, s16
	s_mul_i32 s19, s21, s19
	s_add_i32 s37, s28, s19
	s_mul_i32 s36, s21, s16
	s_lshl_b64 s[36:37], s[36:37], 1
	s_add_u32 s16, s34, s36
	s_mul_i32 s28, s4, 0xc0
	s_addc_u32 s19, s35, s37
	s_lshl_b64 s[34:35], s[28:29], 1
	s_add_u32 s34, s16, s34
	v_lshlrev_b32_e32 v8, 3, v38
	v_lshrrev_b32_e32 v9, 2, v40
	s_addc_u32 s35, s19, s35
	v_add_lshl_u32 v8, v8, v9, 4
	global_load_dwordx4 v[34:37], v8, s[34:35]
	v_mov_b32_e32 v41, 0
.LBB422_14:
	s_or_b64 exec, exec, s[30:31]
	s_waitcnt lgkmcnt(0)
	s_mul_i32 s28, s4, s18
	s_lshl_b64 s[18:19], s[28:29], 1
	s_add_u32 s8, s18, s8
	s_waitcnt vmcnt(4)
	v_mad_i64_i32 v[8:9], s[30:31], v2, s17, 0
	s_addc_u32 s9, s19, s9
	v_and_b32_e32 v2, 15, v0
	v_lshl_add_u64 v[8:9], v[8:9], 1, s[8:9]
	v_lshlrev_b32_e32 v2, 4, v2
	v_lshl_add_u64 v[32:33], v[8:9], 0, v[2:3]
	global_load_dwordx4 v[8:11], v[32:33], off
	global_load_dwordx4 v[12:15], v[32:33], off offset:256
	global_load_dwordx4 v[16:19], v[32:33], off offset:512
	;; [unrolled: 1-line block ×7, first 2 shown]
	s_waitcnt vmcnt(11)
	v_mul_hi_i32 v2, v7, s17
	s_add_u32 s8, s10, s18
	s_waitcnt vmcnt(10)
	v_mul_hi_i32 v32, v6, s17
	s_waitcnt vmcnt(9)
	v_mul_hi_i32 v33, v5, s17
	v_ashrrev_i32_e32 v51, 31, v2
	s_addc_u32 s9, s11, s19
	v_lshlrev_b32_e32 v2, 5, v40
	s_waitcnt vmcnt(8)
	v_mul_hi_i32 v50, v4, s17
	v_ashrrev_i32_e32 v52, 31, v32
	v_ashrrev_i32_e32 v53, 31, v33
	v_lshl_add_u64 v[32:33], s[8:9], 0, v[2:3]
	v_lshrrev_b32_e32 v2, 29, v51
	v_ashrrev_i32_e32 v54, 31, v50
	v_mad_i64_i32 v[50:51], s[8:9], v7, s17, v[2:3]
	v_lshrrev_b32_e32 v2, 29, v52
	v_lshlrev_b64 v[50:51], 1, v[50:51]
	v_mad_i64_i32 v[6:7], s[8:9], v6, s17, v[2:3]
	v_lshrrev_b32_e32 v2, 29, v53
	v_and_b32_e32 v50, -16, v50
	v_lshlrev_b64 v[52:53], 1, v[6:7]
	v_mad_i64_i32 v[6:7], s[8:9], v5, s17, v[2:3]
	v_lshrrev_b32_e32 v2, 29, v54
	v_lshl_add_u64 v[50:51], v[32:33], 0, v[50:51]
	v_and_b32_e32 v52, -16, v52
	v_lshlrev_b64 v[54:55], 1, v[6:7]
	v_and_b32_e32 v54, -16, v54
	s_load_dword s0, s[0:1], 0x1c
	v_cmp_eq_u32_e32 vcc, 0, v38
	v_and_b32_e32 v59, -4, v39
	v_or_b32_e32 v39, 3, v39
	v_cndmask_b32_e64 v56, 0, 1.0, vcc
	v_cmp_eq_u32_e32 vcc, 1, v38
	v_cmp_gt_i32_e64 s[10:11], s3, v39
	v_lshlrev_b32_e32 v60, 2, v0
	v_cndmask_b32_e64 v57, 0, 1.0, vcc
	v_cmp_eq_u32_e32 vcc, 2, v38
	s_waitcnt vmcnt(7)
	v_mfma_f32_4x4x4_16b_bf16 a[0:3], v[34:35], v[8:9], 0 cbsz:4
	v_cndmask_b32_e64 v58, 0, 1.0, vcc
	s_nop 0
	v_mfma_f32_4x4x4_16b_bf16 a[0:3], v[36:37], v[10:11], a[0:3] cbsz:4
	v_mad_i64_i32 v[10:11], s[8:9], v4, s17, v[2:3]
	s_waitcnt vmcnt(6)
	v_mfma_f32_4x4x4_16b_bf16 a[0:3], v[34:35], v[12:13], a[0:3] cbsz:4 abid:1
	global_load_dwordx4 v[2:5], v[50:51], off
	global_load_dwordx4 v[6:9], v[50:51], off offset:16
	v_mfma_f32_4x4x4_16b_bf16 a[0:3], v[36:37], v[14:15], a[0:3] cbsz:4 abid:1
	v_lshl_add_u64 v[50:51], v[32:33], 0, v[52:53]
	v_lshlrev_b64 v[52:53], 1, v[10:11]
	s_waitcnt vmcnt(7)
	v_mfma_f32_4x4x4_16b_bf16 a[0:3], v[34:35], v[16:17], a[0:3] cbsz:4 abid:2
	global_load_dwordx4 v[10:13], v[50:51], off
	global_load_dwordx4 v[14:17], v[50:51], off offset:16
	v_mfma_f32_4x4x4_16b_bf16 a[0:3], v[36:37], v[18:19], a[0:3] cbsz:4 abid:2
	v_lshl_add_u64 v[50:51], v[32:33], 0, v[54:55]
	v_and_b32_e32 v52, -16, v52
	s_waitcnt vmcnt(8)
	v_mfma_f32_4x4x4_16b_bf16 a[0:3], v[34:35], v[20:21], a[0:3] cbsz:4 abid:3
	v_cmp_gt_i32_e32 vcc, s3, v59
	s_nop 0
	v_mfma_f32_4x4x4_16b_bf16 a[0:3], v[36:37], v[22:23], a[0:3] cbsz:4 abid:3
	s_waitcnt vmcnt(7)
	s_nop 0
	v_mfma_f32_4x4x4_16b_bf16 a[0:3], v[34:35], v[24:25], a[0:3] cbsz:4 abid:4
	global_load_dwordx4 v[18:21], v[50:51], off
	global_load_dwordx4 v[22:25], v[50:51], off offset:16
	v_mfma_f32_4x4x4_16b_bf16 a[0:3], v[36:37], v[26:27], a[0:3] cbsz:4 abid:4
	v_lshl_add_u64 v[50:51], v[32:33], 0, v[52:53]
	s_waitcnt vmcnt(8)
	v_mfma_f32_4x4x4_16b_bf16 a[0:3], v[34:35], v[28:29], a[0:3] cbsz:4 abid:5
	s_nop 1
	v_mfma_f32_4x4x4_16b_bf16 a[0:3], v[36:37], v[30:31], a[0:3] cbsz:4 abid:5
	global_load_dwordx4 v[26:29], v[50:51], off
	global_load_dwordx4 v[30:33], v[50:51], off offset:16
	s_waitcnt vmcnt(9)
	v_mfma_f32_4x4x4_16b_bf16 a[0:3], v[34:35], v[42:43], a[0:3] cbsz:4 abid:6
	v_mov_b32_e32 v42, 0xff7fffff
	v_and_or_b32 v43, v60, 48, v38
	v_mfma_f32_4x4x4_16b_bf16 a[0:3], v[36:37], v[44:45], a[0:3] cbsz:4 abid:6
	v_lshlrev_b32_e32 v43, 2, v43
	s_waitcnt vmcnt(8)
	v_mfma_f32_4x4x4_16b_bf16 a[0:3], v[34:35], v[46:47], a[0:3] cbsz:4 abid:7
	s_nop 1
	v_mfma_f32_4x4x4_16b_bf16 a[0:3], v[36:37], v[48:49], a[0:3] cbsz:4 abid:7
	s_nop 4
	v_accvgpr_read_b32 v35, a1
	v_accvgpr_read_b32 v34, a0
	s_waitcnt lgkmcnt(0)
	v_pk_mul_f32 v[34:35], s[0:1], v[34:35] op_sel_hi:[0,1]
	v_accvgpr_read_b32 v37, a3
	v_accvgpr_read_b32 v36, a2
	v_pk_mul_f32 v[36:37], s[0:1], v[36:37] op_sel_hi:[0,1]
	v_mfma_f32_4x4x1_16b_f32 a[0:3], v34, v56, 0
	v_or_b32_e32 v34, 1, v59
	s_nop 0
	v_mfma_f32_4x4x1_16b_f32 a[0:3], v35, v57, a[0:3]
	v_cmp_gt_i32_e64 s[0:1], s3, v34
	v_or_b32_e32 v35, 2, v59
	v_mfma_f32_4x4x1_16b_f32 a[0:3], v36, v58, a[0:3]
	v_cmp_gt_i32_e64 s[8:9], s3, v35
	s_nop 0
	v_mfma_f32_4x4x1_16b_f32 a[0:3], v37, v41, a[0:3]
	s_nop 3
	v_accvgpr_read_b32 v36, a0
	v_max_f32_e32 v41, v36, v36
	v_accvgpr_read_b32 v37, a1
	v_max_f32_e32 v41, 0xff7fffff, v41
	v_max_f32_e32 v46, v37, v37
	v_cndmask_b32_e32 v41, v42, v41, vcc
	v_accvgpr_read_b32 v44, a2
	v_max_f32_e32 v42, v41, v46
	v_max_f32_e32 v47, v44, v44
	v_cndmask_b32_e64 v34, v41, v42, s[0:1]
	v_accvgpr_read_b32 v45, a3
	v_max_f32_e32 v41, v34, v47
	v_max_f32_e32 v48, v45, v45
	v_cndmask_b32_e64 v34, v34, v41, s[8:9]
	v_max_f32_e32 v35, v34, v48
	v_cndmask_b32_e64 v34, v34, v35, s[10:11]
	;;#ASMSTART
	v_nop
 v_nop
 v_max_f32_dpp v34, v34, v34 row_ror:4
	;;#ASMEND
	s_nop 0
	;;#ASMSTART
	v_nop
 v_nop
 v_max_f32_dpp v34, v34, v34 row_ror:8
	;;#ASMEND
	ds_bpermute_b32 v34, v43, v34
	s_waitcnt lgkmcnt(0)
	;;#ASMSTART
	v_nop
 v_nop
 v_max_f32_dpp v34, v34, v34 row_ror:4
	;;#ASMEND
	s_nop 0
	;;#ASMSTART
	v_nop
 v_nop
 v_max_f32_dpp v41, v34, v34 row_ror:8
	;;#ASMEND
	s_nop 0
	v_sub_f32_e32 v34, v36, v41
	v_sub_f32_e32 v35, v37, v41
	v_mul_f32_e32 v34, 0x3fb8aa3b, v34
	v_sub_f32_e32 v36, v44, v41
	v_mul_f32_e32 v35, 0x3fb8aa3b, v35
	v_exp_f32_e32 v34, v34
	v_sub_f32_e32 v37, v45, v41
	v_mul_f32_e32 v36, 0x3fb8aa3b, v36
	v_exp_f32_e32 v35, v35
	v_mul_f32_e32 v37, 0x3fb8aa3b, v37
	v_exp_f32_e32 v36, v36
	v_exp_f32_e32 v37, v37
	v_cndmask_b32_e32 v34, 0, v34, vcc
	v_cndmask_b32_e64 v35, 0, v35, s[0:1]
	v_add_f32_e32 v39, 0, v34
	v_cndmask_b32_e64 v36, 0, v36, s[8:9]
	v_add_f32_e32 v39, v39, v35
	;; [unrolled: 2-line block ×3, first 2 shown]
	v_add_f32_e32 v39, v39, v37
	;;#ASMSTART
	v_nop
 v_nop
 v_add_f32_dpp v39, v39, v39 row_ror:4
	;;#ASMEND
	v_cmp_gt_u32_e32 vcc, 4, v40
	;;#ASMSTART
	v_nop
 v_nop
 v_add_f32_dpp v39, v39, v39 row_ror:8
	;;#ASMEND
	ds_bpermute_b32 v39, v43, v39
	s_waitcnt lgkmcnt(0)
	;;#ASMSTART
	v_nop
 v_nop
 v_add_f32_dpp v39, v39, v39 row_ror:4
	;;#ASMEND
	s_nop 0
	;;#ASMSTART
	v_nop
 v_nop
 v_add_f32_dpp v39, v39, v39 row_ror:8
	;;#ASMEND
	s_and_saveexec_b64 s[0:1], vcc
	s_cbranch_execz .LBB422_16
; %bb.15:
	v_mul_u32_u24_e32 v42, 20, v1
	v_lshl_add_u32 v42, v38, 2, v42
	v_add_u32_e32 v42, 0x800, v42
	ds_write2_b32 v42, v41, v39 offset0:128 offset1:148
.LBB422_16:
	s_or_b64 exec, exec, s[0:1]
.LBB422_17:
	s_or_b64 exec, exec, s[26:27]
	s_waitcnt lgkmcnt(0)
	s_barrier
	s_load_dword s0, s[24:25], 0x8
	v_lshlrev_b32_e32 v39, 2, v38
	v_add_u32_e32 v39, 0x800, v39
	ds_read2_b32 v[44:45], v39 offset0:128 offset1:133
	ds_read2_b32 v[46:47], v39 offset0:138 offset1:143
	s_mul_i32 s1, s2, s5
	s_waitcnt lgkmcnt(0)
	s_mul_i32 s0, s1, s0
	s_mov_b32 s1, 0xff7fffff
	v_max3_f32 v42, v44, s1, v45
	v_max3_f32 v42, v42, v46, v47
	v_sub_f32_e32 v43, v44, v42
	v_sub_f32_e32 v44, v45, v42
	ds_read2_b32 v[48:49], v39 offset0:148 offset1:153
	v_mul_f32_e32 v43, 0x3fb8aa3b, v43
	v_mul_f32_e32 v44, 0x3fb8aa3b, v44
	v_exp_f32_e32 v43, v43
	v_exp_f32_e32 v50, v44
	ds_read2_b32 v[44:45], v39 offset0:158 offset1:163
	v_sub_f32_e32 v39, v46, v42
	v_mul_f32_e32 v39, 0x3fb8aa3b, v39
	v_sub_f32_e32 v46, v47, v42
	v_exp_f32_e32 v39, v39
	v_mul_f32_e32 v46, 0x3fb8aa3b, v46
	v_exp_f32_e32 v46, v46
	s_waitcnt lgkmcnt(1)
	v_fma_f32 v43, v43, v48, 0
	v_fmac_f32_e32 v43, v50, v49
	s_waitcnt lgkmcnt(0)
	v_fmac_f32_e32 v43, v39, v44
	s_mul_i32 s4, s4, 3
	s_mul_i32 s0, s0, 3
	v_fmac_f32_e32 v43, v46, v45
	v_cmp_ne_u32_e32 vcc, 3, v38
	s_and_saveexec_b64 s[2:3], vcc
	s_cbranch_execz .LBB422_19
; %bb.18:
	s_mov_b32 s1, 0
	s_lshl_b64 s[8:9], s[0:1], 2
	s_add_u32 s12, s12, s8
	s_mov_b32 s21, s1
	s_addc_u32 s13, s13, s9
	s_lshl_b64 s[10:11], s[20:21], 2
	s_add_u32 s12, s12, s10
	s_addc_u32 s13, s13, s11
	s_add_u32 s1, s14, s8
	s_addc_u32 s9, s15, s9
	v_add_u32_e32 v38, s4, v38
	s_add_u32 s8, s1, s10
	v_mul_lo_u32 v38, s5, v38
	v_mov_b32_e32 v39, 0
	s_addc_u32 s9, s9, s11
	v_lshlrev_b64 v[38:39], 2, v[38:39]
	v_lshl_add_u64 v[44:45], s[12:13], 0, v[38:39]
	v_lshl_add_u64 v[38:39], s[8:9], 0, v[38:39]
	global_store_dword v[38:39], v42, off
	global_store_dword v[44:45], v43, off
.LBB422_19:
	s_or_b64 exec, exec, s[2:3]
	v_mov_b32_e32 v38, 0
	v_mov_b32_e32 v39, 0
	s_and_saveexec_b64 s[2:3], s[6:7]
	s_cbranch_execz .LBB422_21
; %bb.20:
	v_add_f32_e32 v38, 0x358637bd, v43
	v_div_scale_f32 v39, s[6:7], v38, v38, 1.0
	v_rcp_f32_e32 v43, v39
	v_div_scale_f32 v44, vcc, 1.0, v38, 1.0
	v_sub_f32_e32 v41, v41, v42
	v_fma_f32 v45, -v39, v43, 1.0
	v_fmac_f32_e32 v43, v45, v43
	v_mul_f32_e32 v45, v44, v43
	v_fma_f32 v46, -v39, v45, v44
	v_mul_f32_e32 v41, 0x3fb8aa3b, v41
	v_fmac_f32_e32 v45, v46, v43
	v_exp_f32_e32 v41, v41
	v_fma_f32 v39, -v39, v45, v44
	v_div_fmas_f32 v39, v39, v43, v45
	v_div_fixup_f32 v38, v39, v38, 1.0
	v_mul_f32_e32 v38, v41, v38
	v_pk_mul_f32 v[34:35], v[34:35], v[38:39] op_sel_hi:[1,0]
	v_pk_mul_f32 v[36:37], v[36:37], v[38:39] op_sel_hi:[1,0]
	v_bfe_u32 v38, v35, 16, 1
	v_bfe_u32 v39, v34, 16, 1
	s_movk_i32 s1, 0x7fff
	v_add3_u32 v34, v34, v39, s1
	v_add3_u32 v35, v35, v38, s1
	s_mov_b32 s6, 0x7060302
	v_perm_b32 v34, v35, v34, s6
	v_bfe_u32 v35, v37, 16, 1
	v_bfe_u32 v38, v36, 16, 1
	v_add3_u32 v36, v36, v38, s1
	v_add3_u32 v35, v37, v35, s1
	v_perm_b32 v35, v35, v36, s6
	s_waitcnt vmcnt(7)
	s_nop 0
	v_mfma_f32_4x4x4_16b_bf16 a[0:3], v[34:35], v[2:3], 0 cbsz:4
	s_nop 1
	v_mfma_f32_4x4x4_16b_bf16 a[0:3], v[34:35], v[4:5], a[0:3] cbsz:4 abid:1
	s_waitcnt vmcnt(6)
	s_nop 0
	v_mfma_f32_4x4x4_16b_bf16 a[0:3], v[34:35], v[6:7], a[0:3] cbsz:4 abid:2
	s_nop 1
	v_mfma_f32_4x4x4_16b_bf16 a[0:3], v[34:35], v[8:9], a[0:3] cbsz:4 abid:3
	s_waitcnt vmcnt(5)
	s_nop 0
	v_mfma_f32_4x4x4_16b_bf16 a[0:3], v[34:35], v[10:11], a[0:3] cbsz:4 abid:4
	;; [unrolled: 5-line block ×7, first 2 shown]
	s_nop 1
	v_mfma_f32_4x4x4_16b_bf16 a[0:3], v[34:35], v[32:33], a[0:3] cbsz:4 abid:15
	s_nop 4
	v_accvgpr_read_b32 v5, a1
	v_accvgpr_read_b32 v2, a2
	;; [unrolled: 1-line block ×4, first 2 shown]
	v_bfe_u32 v6, v5, 16, 1
	v_bfe_u32 v7, v4, 16, 1
	;; [unrolled: 1-line block ×3, first 2 shown]
	v_add3_u32 v5, v5, v6, s1
	v_bfe_u32 v6, v2, 16, 1
	v_add3_u32 v4, v4, v7, s1
	v_add3_u32 v2, v2, v6, s1
	;; [unrolled: 1-line block ×3, first 2 shown]
	v_perm_b32 v39, v3, v2, s6
	v_perm_b32 v38, v5, v4, s6
.LBB422_21:
	s_or_b64 exec, exec, s[2:3]
	v_lshlrev_b32_e32 v1, 3, v1
	v_mad_u32_u24 v1, v40, 40, v1
	v_cmp_gt_u32_e32 vcc, 64, v0
	ds_write_b64 v1, v[38:39]
	s_waitcnt lgkmcnt(0)
	s_barrier
	s_and_saveexec_b64 s[2:3], vcc
	s_cbranch_execz .LBB422_23
; %bb.22:
	v_mul_u32_u24_e32 v1, 40, v40
	s_waitcnt vmcnt(7)
	ds_read2_b64 v[2:5], v1 offset1:1
	s_waitcnt vmcnt(6)
	ds_read2_b64 v[6:9], v1 offset0:2 offset1:3
	s_mov_b32 s1, 0
	s_lshl_b32 s0, s0, 6
	s_lshl_b64 s[2:3], s[0:1], 1
	s_waitcnt lgkmcnt(1)
	v_and_b32_e32 v1, 0xffff0000, v2
	v_lshlrev_b32_e32 v3, 16, v3
	v_add_f32_e32 v1, 0, v1
	v_add_f32_e32 v3, 0, v3
	v_and_b32_e32 v1, 0xffff0000, v1
	s_waitcnt vmcnt(5)
	v_and_b32_e32 v10, 0xffff0000, v4
	v_and_b32_e32 v3, 0xffff0000, v3
	v_add_f32_e32 v1, v1, v10
	v_lshlrev_b32_e32 v5, 16, v5
	v_and_b32_e32 v1, 0xffff0000, v1
	v_add_f32_e32 v3, v3, v5
	s_waitcnt lgkmcnt(0)
	v_and_b32_e32 v5, 0xffff0000, v6
	v_and_b32_e32 v3, 0xffff0000, v3
	v_add_f32_e32 v1, v1, v5
	v_lshlrev_b32_e32 v5, 16, v7
	v_and_b32_e32 v1, 0xffff0000, v1
	v_add_f32_e32 v3, v3, v5
	v_and_b32_e32 v5, 0xffff0000, v8
	v_lshlrev_b32_e32 v2, 16, v2
	v_and_b32_e32 v3, 0xffff0000, v3
	v_add_f32_e32 v1, v1, v5
	v_lshlrev_b32_e32 v5, 16, v9
	s_add_u32 s2, s22, s2
	v_add_f32_e32 v2, 0, v2
	v_add_f32_e32 v7, v3, v5
	s_addc_u32 s3, s23, s3
	s_lshl_b32 s0, s20, 6
	v_and_b32_e32 v2, 0xffff0000, v2
	v_lshlrev_b32_e32 v3, 16, v4
	s_lshl_b64 s[0:1], s[0:1], 1
	v_add_f32_e32 v2, v2, v3
	s_add_u32 s0, s2, s0
	v_and_b32_e32 v2, 0xffff0000, v2
	v_lshlrev_b32_e32 v3, 16, v6
	s_addc_u32 s1, s3, s1
	s_lshl_b32 s2, s5, 6
	v_add_f32_e32 v2, v2, v3
	v_and_b32_e32 v2, 0xffff0000, v2
	v_lshlrev_b32_e32 v3, 16, v8
	s_mul_i32 s3, s2, s4
	v_add_f32_e32 v6, v2, v3
	v_or_b32_e32 v2, s3, v0
	v_mov_b32_e32 v3, 0
	s_add_i32 s3, s3, s2
	v_lshl_add_u64 v[4:5], v[2:3], 1, s[0:1]
	v_or_b32_e32 v2, s3, v0
	s_add_i32 s3, s3, s2
	global_store_short_d16_hi v[4:5], v6, off
	v_lshl_add_u64 v[4:5], v[2:3], 1, s[0:1]
	v_or_b32_e32 v2, s3, v0
	global_store_short_d16_hi v[4:5], v1, off
	v_lshl_add_u64 v[0:1], v[2:3], 1, s[0:1]
	global_store_short_d16_hi v[0:1], v7, off
.LBB422_23:
	s_endpgm
	.section	.rodata,"a",@progbits
	.p2align	6, 0x0
	.amdhsa_kernel _Z38paged_attention_ll4mi_QKV_mfma4_kernelI14__hip_bfloat16S0_LN4vllm18Fp8KVCacheDataTypeE0EhLi16ELi64ELi256ELb0ELi3EEvPKT_PKT0_S8_ifPKiSA_SA_iPKfiiiPfSD_PS3_PT2_iSC_SC_
		.amdhsa_group_segment_fixed_size 2720
		.amdhsa_private_segment_fixed_size 0
		.amdhsa_kernarg_size 400
		.amdhsa_user_sgpr_count 2
		.amdhsa_user_sgpr_dispatch_ptr 0
		.amdhsa_user_sgpr_queue_ptr 0
		.amdhsa_user_sgpr_kernarg_segment_ptr 1
		.amdhsa_user_sgpr_dispatch_id 0
		.amdhsa_user_sgpr_kernarg_preload_length 0
		.amdhsa_user_sgpr_kernarg_preload_offset 0
		.amdhsa_user_sgpr_private_segment_size 0
		.amdhsa_uses_dynamic_stack 0
		.amdhsa_enable_private_segment 0
		.amdhsa_system_sgpr_workgroup_id_x 1
		.amdhsa_system_sgpr_workgroup_id_y 1
		.amdhsa_system_sgpr_workgroup_id_z 1
		.amdhsa_system_sgpr_workgroup_info 0
		.amdhsa_system_vgpr_workitem_id 0
		.amdhsa_next_free_vgpr 68
		.amdhsa_next_free_sgpr 38
		.amdhsa_accum_offset 64
		.amdhsa_reserve_vcc 1
		.amdhsa_float_round_mode_32 0
		.amdhsa_float_round_mode_16_64 0
		.amdhsa_float_denorm_mode_32 3
		.amdhsa_float_denorm_mode_16_64 3
		.amdhsa_dx10_clamp 1
		.amdhsa_ieee_mode 1
		.amdhsa_fp16_overflow 0
		.amdhsa_tg_split 0
		.amdhsa_exception_fp_ieee_invalid_op 0
		.amdhsa_exception_fp_denorm_src 0
		.amdhsa_exception_fp_ieee_div_zero 0
		.amdhsa_exception_fp_ieee_overflow 0
		.amdhsa_exception_fp_ieee_underflow 0
		.amdhsa_exception_fp_ieee_inexact 0
		.amdhsa_exception_int_div_zero 0
	.end_amdhsa_kernel
	.section	.text._Z38paged_attention_ll4mi_QKV_mfma4_kernelI14__hip_bfloat16S0_LN4vllm18Fp8KVCacheDataTypeE0EhLi16ELi64ELi256ELb0ELi3EEvPKT_PKT0_S8_ifPKiSA_SA_iPKfiiiPfSD_PS3_PT2_iSC_SC_,"axG",@progbits,_Z38paged_attention_ll4mi_QKV_mfma4_kernelI14__hip_bfloat16S0_LN4vllm18Fp8KVCacheDataTypeE0EhLi16ELi64ELi256ELb0ELi3EEvPKT_PKT0_S8_ifPKiSA_SA_iPKfiiiPfSD_PS3_PT2_iSC_SC_,comdat
.Lfunc_end422:
	.size	_Z38paged_attention_ll4mi_QKV_mfma4_kernelI14__hip_bfloat16S0_LN4vllm18Fp8KVCacheDataTypeE0EhLi16ELi64ELi256ELb0ELi3EEvPKT_PKT0_S8_ifPKiSA_SA_iPKfiiiPfSD_PS3_PT2_iSC_SC_, .Lfunc_end422-_Z38paged_attention_ll4mi_QKV_mfma4_kernelI14__hip_bfloat16S0_LN4vllm18Fp8KVCacheDataTypeE0EhLi16ELi64ELi256ELb0ELi3EEvPKT_PKT0_S8_ifPKiSA_SA_iPKfiiiPfSD_PS3_PT2_iSC_SC_
                                        ; -- End function
	.section	.AMDGPU.csdata,"",@progbits
; Kernel info:
; codeLenInByte = 3396
; NumSgprs: 44
; NumVgprs: 61
; NumAgprs: 4
; TotalNumVgprs: 68
; ScratchSize: 0
; MemoryBound: 0
; FloatMode: 240
; IeeeMode: 1
; LDSByteSize: 2720 bytes/workgroup (compile time only)
; SGPRBlocks: 5
; VGPRBlocks: 8
; NumSGPRsForWavesPerEU: 44
; NumVGPRsForWavesPerEU: 68
; AccumOffset: 64
; Occupancy: 7
; WaveLimiterHint : 1
; COMPUTE_PGM_RSRC2:SCRATCH_EN: 0
; COMPUTE_PGM_RSRC2:USER_SGPR: 2
; COMPUTE_PGM_RSRC2:TRAP_HANDLER: 0
; COMPUTE_PGM_RSRC2:TGID_X_EN: 1
; COMPUTE_PGM_RSRC2:TGID_Y_EN: 1
; COMPUTE_PGM_RSRC2:TGID_Z_EN: 1
; COMPUTE_PGM_RSRC2:TIDIG_COMP_CNT: 0
; COMPUTE_PGM_RSRC3_GFX90A:ACCUM_OFFSET: 15
; COMPUTE_PGM_RSRC3_GFX90A:TG_SPLIT: 0
	.section	.text._Z38paged_attention_ll4mi_QKV_mfma4_kernelI14__hip_bfloat16S0_LN4vllm18Fp8KVCacheDataTypeE0EhLi16ELi64ELi256ELb0ELi4EEvPKT_PKT0_S8_ifPKiSA_SA_iPKfiiiPfSD_PS3_PT2_iSC_SC_,"axG",@progbits,_Z38paged_attention_ll4mi_QKV_mfma4_kernelI14__hip_bfloat16S0_LN4vllm18Fp8KVCacheDataTypeE0EhLi16ELi64ELi256ELb0ELi4EEvPKT_PKT0_S8_ifPKiSA_SA_iPKfiiiPfSD_PS3_PT2_iSC_SC_,comdat
	.protected	_Z38paged_attention_ll4mi_QKV_mfma4_kernelI14__hip_bfloat16S0_LN4vllm18Fp8KVCacheDataTypeE0EhLi16ELi64ELi256ELb0ELi4EEvPKT_PKT0_S8_ifPKiSA_SA_iPKfiiiPfSD_PS3_PT2_iSC_SC_ ; -- Begin function _Z38paged_attention_ll4mi_QKV_mfma4_kernelI14__hip_bfloat16S0_LN4vllm18Fp8KVCacheDataTypeE0EhLi16ELi64ELi256ELb0ELi4EEvPKT_PKT0_S8_ifPKiSA_SA_iPKfiiiPfSD_PS3_PT2_iSC_SC_
	.globl	_Z38paged_attention_ll4mi_QKV_mfma4_kernelI14__hip_bfloat16S0_LN4vllm18Fp8KVCacheDataTypeE0EhLi16ELi64ELi256ELb0ELi4EEvPKT_PKT0_S8_ifPKiSA_SA_iPKfiiiPfSD_PS3_PT2_iSC_SC_
	.p2align	8
	.type	_Z38paged_attention_ll4mi_QKV_mfma4_kernelI14__hip_bfloat16S0_LN4vllm18Fp8KVCacheDataTypeE0EhLi16ELi64ELi256ELb0ELi4EEvPKT_PKT0_S8_ifPKiSA_SA_iPKfiiiPfSD_PS3_PT2_iSC_SC_,@function
_Z38paged_attention_ll4mi_QKV_mfma4_kernelI14__hip_bfloat16S0_LN4vllm18Fp8KVCacheDataTypeE0EhLi16ELi64ELi256ELb0ELi4EEvPKT_PKT0_S8_ifPKiSA_SA_iPKfiiiPfSD_PS3_PT2_iSC_SC_: ; @_Z38paged_attention_ll4mi_QKV_mfma4_kernelI14__hip_bfloat16S0_LN4vllm18Fp8KVCacheDataTypeE0EhLi16ELi64ELi256ELb0ELi4EEvPKT_PKT0_S8_ifPKiSA_SA_iPKfiiiPfSD_PS3_PT2_iSC_SC_
; %bb.0:
	s_load_dwordx2 s[8:9], s[0:1], 0x30
	s_mov_b32 s20, s3
	s_mov_b64 s[6:7], 0
	s_waitcnt lgkmcnt(0)
	s_cmp_lg_u64 s[8:9], 0
	s_cselect_b64 s[10:11], -1, 0
	s_and_b64 vcc, exec, s[10:11]
	s_cbranch_vccz .LBB423_18
; %bb.1:
	s_add_i32 s12, s2, 1
	s_mov_b32 s13, 0
	s_lshl_b64 s[14:15], s[12:13], 2
	s_add_u32 s14, s8, s14
	s_mov_b32 s3, s13
	s_addc_u32 s15, s9, s15
	s_lshl_b64 s[12:13], s[2:3], 2
	s_add_u32 s12, s8, s12
	s_addc_u32 s13, s9, s13
	s_load_dword s5, s[14:15], 0x0
	s_load_dword s16, s[12:13], 0x0
	s_mov_b64 s[30:31], s[2:3]
	s_waitcnt lgkmcnt(0)
	s_sub_i32 s5, s5, s16
	s_cmp_eq_u32 s5, 1
	s_cselect_b64 s[12:13], -1, 0
	s_andn2_b64 vcc, exec, s[6:7]
	s_cbranch_vccnz .LBB423_3
.LBB423_2:
	s_mov_b32 s3, 0
	s_mov_b64 s[12:13], -1
	s_mov_b64 s[30:31], s[2:3]
.LBB423_3:
	s_andn2_b64 vcc, exec, s[12:13]
	s_cbranch_vccnz .LBB423_17
; %bb.4:
	s_load_dword s3, s[0:1], 0x9c
	s_load_dwordx2 s[6:7], s[0:1], 0x28
	s_add_u32 s24, s0, 0x90
	s_addc_u32 s25, s1, 0
	s_lshl_b64 s[34:35], s[30:31], 2
	s_waitcnt lgkmcnt(0)
	s_and_b32 s5, s3, 0xffff
	s_add_u32 s6, s6, s34
	s_addc_u32 s7, s7, s35
	s_load_dword s3, s[6:7], 0x0
	s_mul_i32 s16, s20, s5
	s_waitcnt lgkmcnt(0)
	s_cmp_ge_i32 s16, s3
	s_cbranch_scc1 .LBB423_17
; %bb.5:
	v_and_b32_e32 v2, 0xc0, v0
	v_add_u32_e32 v2, s16, v2
	v_lshrrev_b32_e32 v1, 6, v0
	v_cmp_gt_i32_e64 s[6:7], s3, v2
	v_cmp_le_i32_e32 vcc, s3, v2
                                        ; implicit-def: $sgpr18
                                        ; implicit-def: $sgpr17
	s_and_saveexec_b64 s[12:13], vcc
	s_xor_b64 s[12:13], exec, s[12:13]
	s_cbranch_execz .LBB423_7
; %bb.6:
	v_mul_u32_u24_e32 v2, 20, v1
	v_or_b32_e32 v2, 0xa00, v2
	v_mov_b32_e32 v3, 0xa50
	v_mov_b32_e32 v4, 0xff7fffff
	v_mad_u32_u24 v3, v1, 20, v3
	ds_write2_b32 v2, v4, v4 offset1:1
	v_mov_b32_e32 v2, 0
	ds_write2_b32 v3, v2, v2 offset1:1
	v_mov_b32_e32 v3, 0xa08
	s_mov_b32 s17, 0xff7fffff
	s_mov_b32 s18, 0
	v_mad_u32_u24 v3, v1, 20, v3
	v_mov_b32_e32 v5, 0xa58
	v_mad_u32_u24 v5, v1, 20, v5
	ds_write2_b32 v3, v4, v4 offset1:1
	ds_write2_b32 v5, v2, v2 offset1:1
                                        ; implicit-def: $vgpr2
.LBB423_7:
	s_or_saveexec_b64 s[26:27], s[12:13]
	s_load_dwordx2 s[22:23], s[0:1], 0x68
	s_load_dwordx4 s[12:15], s[0:1], 0x58
	s_load_dword s5, s[24:25], 0x4
	v_and_b32_e32 v40, 63, v0
	v_and_b32_e32 v38, 3, v0
	v_mov_b32_e32 v37, s18
	v_mov_b32_e32 v41, s17
	;; [unrolled: 1-line block ×5, first 2 shown]
                                        ; implicit-def: $vgpr3
                                        ; implicit-def: $vgpr7
                                        ; implicit-def: $vgpr11
                                        ; implicit-def: $vgpr15
                                        ; implicit-def: $vgpr19
                                        ; implicit-def: $vgpr23
                                        ; implicit-def: $vgpr27
                                        ; implicit-def: $vgpr31
	s_xor_b64 exec, exec, s[26:27]
	s_cbranch_execz .LBB423_13
; %bb.8:
	s_add_i32 s21, s3, 15
	s_load_dwordx2 s[18:19], s[0:1], 0x20
	s_load_dword s17, s[0:1], 0x38
	s_ashr_i32 s28, s21, 31
	s_lshr_b32 s28, s28, 28
	v_add_u32_e32 v34, s16, v0
	s_add_i32 s21, s21, s28
	v_ashrrev_i32_e32 v3, 31, v34
	s_ashr_i32 s21, s21, 4
	v_lshrrev_b32_e32 v3, 28, v3
	s_add_i32 s21, s21, -1
	v_add_u32_e32 v3, v34, v3
	s_waitcnt lgkmcnt(0)
	s_mul_i32 s36, s2, s17
	s_mov_b32 s37, 0
	v_ashrrev_i32_e32 v3, 4, v3
	v_mov_b32_e32 v4, s21
	v_cmp_gt_i32_e32 vcc, s3, v34
	s_lshl_b64 s[28:29], s[36:37], 2
	s_add_u32 s18, s18, s28
	v_cndmask_b32_e32 v4, v4, v3, vcc
	v_ashrrev_i32_e32 v3, 31, v2
	v_lshrrev_b32_e32 v3, 28, v3
	s_addc_u32 s19, s19, s29
	v_ashrrev_i32_e32 v5, 31, v4
	v_add_u32_e32 v2, v2, v3
	v_lshl_add_u64 v[8:9], v[4:5], 2, s[18:19]
	v_ashrrev_i32_e32 v4, 4, v2
	v_min_i32_e32 v2, s21, v4
	v_ashrrev_i32_e32 v3, 31, v2
	v_lshl_add_u64 v[10:11], v[2:3], 2, s[18:19]
	v_add_u32_e32 v2, 1, v4
	v_min_i32_e32 v2, s21, v2
	v_ashrrev_i32_e32 v3, 31, v2
	v_lshl_add_u64 v[12:13], v[2:3], 2, s[18:19]
	v_add_u32_e32 v2, 2, v4
	;; [unrolled: 4-line block ×3, first 2 shown]
	v_min_i32_e32 v2, s21, v2
	v_ashrrev_i32_e32 v3, 31, v2
	v_lshl_add_u64 v[16:17], v[2:3], 2, s[18:19]
	global_load_dword v6, v[8:9], off
	global_load_dword v5, v[10:11], off
	global_load_dword v4, v[12:13], off
	global_load_dword v3, v[14:15], off
	global_load_dword v2, v[16:17], off
	s_load_dwordx4 s[16:19], s[0:1], 0x0
	s_load_dwordx2 s[28:29], s[0:1], 0x10
	s_andn2_b64 vcc, exec, s[10:11]
	s_cbranch_vccnz .LBB423_10
; %bb.9:
	s_add_u32 s8, s8, s34
	s_addc_u32 s9, s9, s35
	s_load_dword s36, s[8:9], 0x0
	s_waitcnt lgkmcnt(0)
	s_mov_b64 s[30:31], s[36:37]
.LBB423_10:
	s_load_dwordx4 s[8:11], s[0:1], 0x48
	v_lshrrev_b32_e32 v7, 2, v40
	v_lshlrev_b32_e32 v8, 3, v38
	v_add_lshl_u32 v7, v8, v7, 4
	v_and_b32_e32 v8, 15, v0
	s_waitcnt lgkmcnt(0)
	s_ashr_i32 s11, s8, 31
	s_mul_hi_u32 s21, s30, s8
	s_mul_i32 s31, s31, s8
	s_mul_i32 s34, s30, s8
	;; [unrolled: 1-line block ×3, first 2 shown]
	s_add_i32 s8, s21, s8
	s_add_i32 s35, s8, s31
	s_lshl_b64 s[30:31], s[34:35], 1
	s_add_u32 s8, s16, s30
	s_addc_u32 s11, s17, s31
	s_lshl_b32 s36, s4, 8
	s_lshl_b64 s[16:17], s[36:37], 1
	s_add_u32 s16, s8, s16
	s_addc_u32 s17, s11, s17
	global_load_dwordx4 v[42:45], v7, s[16:17]
	s_mul_i32 s36, s4, s10
	s_waitcnt vmcnt(5)
	v_mad_i64_i32 v[6:7], s[16:17], v6, s9, 0
	s_lshl_b64 s[10:11], s[36:37], 1
	s_add_u32 s16, s10, s18
	s_addc_u32 s17, s11, s19
	v_lshl_add_u64 v[6:7], v[6:7], 1, s[16:17]
	v_lshlrev_b32_e32 v30, 4, v8
	v_mov_b32_e32 v31, 0
	v_lshl_add_u64 v[32:33], v[6:7], 0, v[30:31]
	global_load_dwordx4 v[6:9], v[32:33], off
	global_load_dwordx4 v[10:13], v[32:33], off offset:256
	global_load_dwordx4 v[14:17], v[32:33], off offset:512
	;; [unrolled: 1-line block ×7, first 2 shown]
	s_waitcnt vmcnt(12)
	v_mul_hi_i32 v30, v5, s9
	s_add_u32 s10, s28, s10
	s_waitcnt vmcnt(11)
	v_mul_hi_i32 v32, v4, s9
	s_waitcnt vmcnt(10)
	v_mul_hi_i32 v33, v3, s9
	v_ashrrev_i32_e32 v36, 31, v30
	s_addc_u32 s11, s29, s11
	v_lshlrev_b32_e32 v30, 5, v40
	v_ashrrev_i32_e32 v54, 31, v32
	v_ashrrev_i32_e32 v55, 31, v33
	v_lshl_add_u64 v[32:33], s[10:11], 0, v[30:31]
	v_lshrrev_b32_e32 v30, 29, v36
	s_waitcnt vmcnt(9)
	v_mul_hi_i32 v35, v2, s9
	v_mad_i64_i32 v[36:37], s[10:11], v5, s9, v[30:31]
	v_lshrrev_b32_e32 v30, 29, v54
	v_ashrrev_i32_e32 v35, 31, v35
	v_lshlrev_b64 v[36:37], 1, v[36:37]
	v_mad_i64_i32 v[4:5], s[10:11], v4, s9, v[30:31]
	v_lshrrev_b32_e32 v30, 29, v55
	v_and_b32_e32 v36, -16, v36
	v_lshlrev_b64 v[54:55], 1, v[4:5]
	v_mad_i64_i32 v[4:5], s[10:11], v3, s9, v[30:31]
	v_lshrrev_b32_e32 v30, 29, v35
	v_lshl_add_u64 v[36:37], v[32:33], 0, v[36:37]
	v_and_b32_e32 v54, -16, v54
	v_lshlrev_b64 v[56:57], 1, v[4:5]
	v_and_b32_e32 v56, -16, v56
	s_load_dword s0, s[0:1], 0x1c
	v_and_b32_e32 v60, -4, v34
	v_cmp_eq_u32_e32 vcc, 0, v38
	v_lshlrev_b32_e32 v61, 2, v0
	s_waitcnt vmcnt(7)
	v_mfma_f32_4x4x4_16b_bf16 a[0:3], v[42:43], v[6:7], 0 cbsz:4
	v_cndmask_b32_e64 v39, 0, 1.0, vcc
	s_nop 0
	v_mfma_f32_4x4x4_16b_bf16 a[0:3], v[44:45], v[8:9], a[0:3] cbsz:4
	v_cmp_eq_u32_e32 vcc, 1, v38
	s_waitcnt vmcnt(6)
	v_mfma_f32_4x4x4_16b_bf16 a[0:3], v[42:43], v[10:11], a[0:3] cbsz:4 abid:1
	v_mad_i64_i32 v[10:11], s[8:9], v2, s9, v[30:31]
	s_nop 0
	v_mfma_f32_4x4x4_16b_bf16 a[0:3], v[44:45], v[12:13], a[0:3] cbsz:4 abid:1
	global_load_dwordx4 v[2:5], v[36:37], off
	global_load_dwordx4 v[6:9], v[36:37], off offset:16
	s_waitcnt vmcnt(7)
	v_mfma_f32_4x4x4_16b_bf16 a[0:3], v[42:43], v[14:15], a[0:3] cbsz:4 abid:2
	v_lshlrev_b64 v[36:37], 1, v[10:11]
	v_lshl_add_u64 v[30:31], v[32:33], 0, v[54:55]
	v_mfma_f32_4x4x4_16b_bf16 a[0:3], v[44:45], v[16:17], a[0:3] cbsz:4 abid:2
	v_and_b32_e32 v36, -16, v36
	global_load_dwordx4 v[10:13], v[30:31], off
	global_load_dwordx4 v[14:17], v[30:31], off offset:16
	s_waitcnt vmcnt(8)
	v_mfma_f32_4x4x4_16b_bf16 a[0:3], v[42:43], v[18:19], a[0:3] cbsz:4 abid:3
	v_lshl_add_u64 v[30:31], v[32:33], 0, v[56:57]
	v_lshl_add_u64 v[36:37], v[32:33], 0, v[36:37]
	v_mfma_f32_4x4x4_16b_bf16 a[0:3], v[44:45], v[20:21], a[0:3] cbsz:4 abid:3
	v_cndmask_b32_e64 v41, 0, 1.0, vcc
	v_cmp_eq_u32_e32 vcc, 2, v38
	s_waitcnt vmcnt(7)
	v_mfma_f32_4x4x4_16b_bf16 a[0:3], v[42:43], v[22:23], a[0:3] cbsz:4 abid:4
	v_cndmask_b32_e64 v58, 0, 1.0, vcc
	s_nop 0
	v_mfma_f32_4x4x4_16b_bf16 a[0:3], v[44:45], v[24:25], a[0:3] cbsz:4 abid:4
	global_load_dwordx4 v[18:21], v[30:31], off
	global_load_dwordx4 v[22:25], v[30:31], off offset:16
	s_waitcnt vmcnt(8)
	v_mfma_f32_4x4x4_16b_bf16 a[0:3], v[42:43], v[26:27], a[0:3] cbsz:4 abid:5
	v_cmp_eq_u32_e32 vcc, 3, v38
	s_nop 0
	v_mfma_f32_4x4x4_16b_bf16 a[0:3], v[44:45], v[28:29], a[0:3] cbsz:4 abid:5
	global_load_dwordx4 v[26:29], v[36:37], off
	global_load_dwordx4 v[30:33], v[36:37], off offset:16
	s_waitcnt vmcnt(9)
	v_mfma_f32_4x4x4_16b_bf16 a[0:3], v[42:43], v[46:47], a[0:3] cbsz:4 abid:6
	v_cndmask_b32_e64 v59, 0, 1.0, vcc
	v_mov_b32_e32 v46, 0xff7fffff
	v_mfma_f32_4x4x4_16b_bf16 a[0:3], v[44:45], v[48:49], a[0:3] cbsz:4 abid:6
	v_cmp_gt_i32_e32 vcc, s3, v60
	s_waitcnt vmcnt(8)
	v_mfma_f32_4x4x4_16b_bf16 a[0:3], v[42:43], v[50:51], a[0:3] cbsz:4 abid:7
	v_or_b32_e32 v42, 3, v34
	v_and_or_b32 v43, v61, 48, v38
	v_mfma_f32_4x4x4_16b_bf16 a[0:3], v[44:45], v[52:53], a[0:3] cbsz:4 abid:7
	v_cmp_gt_i32_e64 s[10:11], s3, v42
	s_nop 3
	v_accvgpr_read_b32 v35, a1
	v_accvgpr_read_b32 v34, a0
	s_waitcnt lgkmcnt(0)
	v_pk_mul_f32 v[34:35], s[0:1], v[34:35] op_sel_hi:[0,1]
	v_accvgpr_read_b32 v37, a3
	v_accvgpr_read_b32 v36, a2
	v_pk_mul_f32 v[36:37], s[0:1], v[36:37] op_sel_hi:[0,1]
	v_mfma_f32_4x4x1_16b_f32 a[0:3], v34, v39, 0
	v_or_b32_e32 v34, 1, v60
	s_nop 0
	v_mfma_f32_4x4x1_16b_f32 a[0:3], v35, v41, a[0:3]
	v_lshlrev_b32_e32 v39, 2, v43
	v_cmp_gt_i32_e64 s[0:1], s3, v34
	v_mfma_f32_4x4x1_16b_f32 a[0:3], v36, v58, a[0:3]
	v_or_b32_e32 v35, 2, v60
	v_cmp_gt_i32_e64 s[8:9], s3, v35
	v_mfma_f32_4x4x1_16b_f32 a[0:3], v37, v59, a[0:3]
	s_nop 3
	v_accvgpr_read_b32 v36, a0
	v_max_f32_e32 v41, v36, v36
	v_accvgpr_read_b32 v37, a1
	v_max_f32_e32 v41, 0xff7fffff, v41
	v_max_f32_e32 v45, v37, v37
	v_cndmask_b32_e32 v41, v46, v41, vcc
	v_accvgpr_read_b32 v43, a2
	v_max_f32_e32 v45, v41, v45
	v_max_f32_e32 v47, v43, v43
	v_cndmask_b32_e64 v34, v41, v45, s[0:1]
	v_accvgpr_read_b32 v44, a3
	v_max_f32_e32 v41, v34, v47
	v_max_f32_e32 v48, v44, v44
	v_cndmask_b32_e64 v34, v34, v41, s[8:9]
	v_max_f32_e32 v35, v34, v48
	v_cndmask_b32_e64 v34, v34, v35, s[10:11]
	;;#ASMSTART
	v_nop
 v_nop
 v_max_f32_dpp v34, v34, v34 row_ror:4
	;;#ASMEND
	s_nop 0
	;;#ASMSTART
	v_nop
 v_nop
 v_max_f32_dpp v34, v34, v34 row_ror:8
	;;#ASMEND
	ds_bpermute_b32 v34, v39, v34
	s_waitcnt lgkmcnt(0)
	;;#ASMSTART
	v_nop
 v_nop
 v_max_f32_dpp v34, v34, v34 row_ror:4
	;;#ASMEND
	s_nop 0
	;;#ASMSTART
	v_nop
 v_nop
 v_max_f32_dpp v41, v34, v34 row_ror:8
	;;#ASMEND
	s_nop 0
	v_sub_f32_e32 v34, v36, v41
	v_sub_f32_e32 v35, v37, v41
	v_mul_f32_e32 v34, 0x3fb8aa3b, v34
	v_sub_f32_e32 v36, v43, v41
	v_mul_f32_e32 v35, 0x3fb8aa3b, v35
	v_exp_f32_e32 v34, v34
	v_sub_f32_e32 v37, v44, v41
	v_mul_f32_e32 v36, 0x3fb8aa3b, v36
	v_exp_f32_e32 v35, v35
	v_mul_f32_e32 v37, 0x3fb8aa3b, v37
	v_exp_f32_e32 v36, v36
	v_exp_f32_e32 v37, v37
	v_cndmask_b32_e32 v34, 0, v34, vcc
	v_cndmask_b32_e64 v35, 0, v35, s[0:1]
	v_add_f32_e32 v42, 0, v34
	v_cndmask_b32_e64 v36, 0, v36, s[8:9]
	v_add_f32_e32 v42, v42, v35
	;; [unrolled: 2-line block ×3, first 2 shown]
	v_add_f32_e32 v42, v42, v37
	;;#ASMSTART
	v_nop
 v_nop
 v_add_f32_dpp v42, v42, v42 row_ror:4
	;;#ASMEND
	v_cmp_gt_u32_e32 vcc, 4, v40
	;;#ASMSTART
	v_nop
 v_nop
 v_add_f32_dpp v42, v42, v42 row_ror:8
	;;#ASMEND
	ds_bpermute_b32 v39, v39, v42
	s_waitcnt lgkmcnt(0)
	;;#ASMSTART
	v_nop
 v_nop
 v_add_f32_dpp v39, v39, v39 row_ror:4
	;;#ASMEND
	s_nop 0
	;;#ASMSTART
	v_nop
 v_nop
 v_add_f32_dpp v39, v39, v39 row_ror:8
	;;#ASMEND
	s_and_saveexec_b64 s[0:1], vcc
	s_cbranch_execz .LBB423_12
; %bb.11:
	v_mul_u32_u24_e32 v42, 20, v1
	v_lshl_add_u32 v42, v38, 2, v42
	v_add_u32_e32 v42, 0x800, v42
	ds_write2_b32 v42, v41, v39 offset0:128 offset1:148
.LBB423_12:
	s_or_b64 exec, exec, s[0:1]
.LBB423_13:
	s_or_b64 exec, exec, s[26:27]
	v_lshlrev_b32_e32 v39, 2, v38
	v_add_u32_e32 v39, 0x800, v39
	s_waitcnt lgkmcnt(0)
	s_barrier
	s_load_dword s0, s[24:25], 0x8
	ds_read2_b32 v[44:45], v39 offset0:128 offset1:133
	ds_read2_b32 v[46:47], v39 offset0:138 offset1:143
	s_mov_b32 s8, 0xff7fffff
	s_mul_i32 s1, s2, s5
	s_lshl_b32 s4, s4, 2
	s_waitcnt lgkmcnt(0)
	v_max3_f32 v42, v44, s8, v45
	s_mul_i32 s1, s1, s0
	v_max3_f32 v42, v42, v46, v47
	s_lshl_b32 s0, s1, 2
	s_mov_b32 s1, 0
	v_sub_f32_e32 v43, v44, v42
	v_sub_f32_e32 v44, v45, v42
	s_lshl_b64 s[2:3], s[0:1], 2
	ds_read2_b32 v[48:49], v39 offset0:148 offset1:153
	v_mul_f32_e32 v43, 0x3fb8aa3b, v43
	v_mul_f32_e32 v44, 0x3fb8aa3b, v44
	s_mov_b32 s21, s1
	s_add_u32 s1, s12, s2
	v_exp_f32_e32 v43, v43
	v_exp_f32_e32 v50, v44
	ds_read2_b32 v[44:45], v39 offset0:158 offset1:163
	v_sub_f32_e32 v39, v46, v42
	s_addc_u32 s10, s13, s3
	v_mul_f32_e32 v39, 0x3fb8aa3b, v39
	v_sub_f32_e32 v46, v47, v42
	s_add_u32 s8, s14, s2
	v_exp_f32_e32 v39, v39
	v_mul_f32_e32 v46, 0x3fb8aa3b, v46
	s_addc_u32 s9, s15, s3
	s_lshl_b64 s[2:3], s[20:21], 2
	v_exp_f32_e32 v46, v46
	s_add_u32 s8, s8, s2
	s_waitcnt lgkmcnt(1)
	v_fma_f32 v43, v43, v48, 0
	s_addc_u32 s9, s9, s3
	v_fmac_f32_e32 v43, v50, v49
	v_or_b32_e32 v38, s4, v38
	s_waitcnt lgkmcnt(0)
	v_fmac_f32_e32 v43, v39, v44
	s_add_u32 s2, s1, s2
	v_mul_lo_u32 v38, s5, v38
	v_mov_b32_e32 v39, 0
	v_fmac_f32_e32 v43, v46, v45
	s_addc_u32 s3, s10, s3
	v_lshlrev_b64 v[44:45], 2, v[38:39]
	v_lshl_add_u64 v[46:47], s[8:9], 0, v[44:45]
	v_lshl_add_u64 v[44:45], s[2:3], 0, v[44:45]
	v_mov_b32_e32 v38, v39
	global_store_dword v[46:47], v42, off
	global_store_dword v[44:45], v43, off
	s_and_saveexec_b64 s[2:3], s[6:7]
	s_cbranch_execz .LBB423_15
; %bb.14:
	v_add_f32_e32 v38, 0x358637bd, v43
	v_div_scale_f32 v39, s[6:7], v38, v38, 1.0
	v_rcp_f32_e32 v43, v39
	v_div_scale_f32 v44, vcc, 1.0, v38, 1.0
	v_sub_f32_e32 v41, v41, v42
	v_fma_f32 v45, -v39, v43, 1.0
	v_fmac_f32_e32 v43, v45, v43
	v_mul_f32_e32 v45, v44, v43
	v_fma_f32 v46, -v39, v45, v44
	v_mul_f32_e32 v41, 0x3fb8aa3b, v41
	v_fmac_f32_e32 v45, v46, v43
	v_exp_f32_e32 v41, v41
	v_fma_f32 v39, -v39, v45, v44
	v_div_fmas_f32 v39, v39, v43, v45
	v_div_fixup_f32 v38, v39, v38, 1.0
	v_mul_f32_e32 v38, v41, v38
	v_pk_mul_f32 v[34:35], v[34:35], v[38:39] op_sel_hi:[1,0]
	v_pk_mul_f32 v[36:37], v[36:37], v[38:39] op_sel_hi:[1,0]
	v_bfe_u32 v38, v35, 16, 1
	v_bfe_u32 v39, v34, 16, 1
	s_movk_i32 s1, 0x7fff
	v_add3_u32 v34, v34, v39, s1
	v_add3_u32 v35, v35, v38, s1
	s_mov_b32 s6, 0x7060302
	v_perm_b32 v34, v35, v34, s6
	v_bfe_u32 v35, v37, 16, 1
	v_bfe_u32 v38, v36, 16, 1
	v_add3_u32 v36, v36, v38, s1
	v_add3_u32 v35, v37, v35, s1
	v_perm_b32 v35, v35, v36, s6
	s_waitcnt vmcnt(9)
	s_nop 0
	v_mfma_f32_4x4x4_16b_bf16 a[0:3], v[34:35], v[2:3], 0 cbsz:4
	s_nop 1
	v_mfma_f32_4x4x4_16b_bf16 a[0:3], v[34:35], v[4:5], a[0:3] cbsz:4 abid:1
	s_waitcnt vmcnt(8)
	s_nop 0
	v_mfma_f32_4x4x4_16b_bf16 a[0:3], v[34:35], v[6:7], a[0:3] cbsz:4 abid:2
	s_nop 1
	v_mfma_f32_4x4x4_16b_bf16 a[0:3], v[34:35], v[8:9], a[0:3] cbsz:4 abid:3
	s_waitcnt vmcnt(7)
	s_nop 0
	v_mfma_f32_4x4x4_16b_bf16 a[0:3], v[34:35], v[10:11], a[0:3] cbsz:4 abid:4
	;; [unrolled: 5-line block ×7, first 2 shown]
	s_nop 1
	v_mfma_f32_4x4x4_16b_bf16 a[0:3], v[34:35], v[32:33], a[0:3] cbsz:4 abid:15
	s_nop 4
	v_accvgpr_read_b32 v5, a1
	v_accvgpr_read_b32 v2, a2
	;; [unrolled: 1-line block ×4, first 2 shown]
	v_bfe_u32 v6, v5, 16, 1
	v_bfe_u32 v7, v4, 16, 1
	;; [unrolled: 1-line block ×3, first 2 shown]
	v_add3_u32 v5, v5, v6, s1
	v_bfe_u32 v6, v2, 16, 1
	v_add3_u32 v4, v4, v7, s1
	v_add3_u32 v2, v2, v6, s1
	;; [unrolled: 1-line block ×3, first 2 shown]
	v_perm_b32 v39, v3, v2, s6
	v_perm_b32 v38, v5, v4, s6
.LBB423_15:
	s_or_b64 exec, exec, s[2:3]
	v_lshlrev_b32_e32 v1, 3, v1
	v_mad_u32_u24 v1, v40, 40, v1
	v_cmp_gt_u32_e32 vcc, 64, v0
	ds_write_b64 v1, v[38:39]
	s_waitcnt lgkmcnt(0)
	s_barrier
	s_and_saveexec_b64 s[2:3], vcc
	s_cbranch_execz .LBB423_17
; %bb.16:
	v_mul_u32_u24_e32 v1, 40, v40
	s_waitcnt vmcnt(9)
	ds_read2_b64 v[2:5], v1 offset1:1
	s_waitcnt vmcnt(8)
	ds_read2_b64 v[6:9], v1 offset0:2 offset1:3
	s_mov_b32 s1, 0
	s_lshl_b32 s0, s0, 6
	s_lshl_b64 s[2:3], s[0:1], 1
	s_waitcnt lgkmcnt(1)
	v_lshlrev_b32_e32 v1, 16, v2
	v_and_b32_e32 v2, 0xffff0000, v2
	v_add_f32_e32 v1, 0, v1
	v_add_f32_e32 v2, 0, v2
	s_waitcnt vmcnt(7)
	v_lshlrev_b32_e32 v10, 16, v3
	v_and_b32_e32 v3, 0xffff0000, v3
	v_and_b32_e32 v1, 0xffff0000, v1
	;; [unrolled: 1-line block ×3, first 2 shown]
	v_add_f32_e32 v3, 0, v3
	v_lshlrev_b32_e32 v11, 16, v4
	v_and_b32_e32 v4, 0xffff0000, v4
	v_add_f32_e32 v10, 0, v10
	v_and_b32_e32 v3, 0xffff0000, v3
	v_add_f32_e32 v1, v1, v11
	v_add_f32_e32 v2, v2, v4
	v_lshlrev_b32_e32 v4, 16, v5
	v_and_b32_e32 v5, 0xffff0000, v5
	v_and_b32_e32 v10, 0xffff0000, v10
	;; [unrolled: 1-line block ×3, first 2 shown]
	v_add_f32_e32 v3, v3, v5
	s_waitcnt lgkmcnt(0)
	v_lshlrev_b32_e32 v5, 16, v6
	v_and_b32_e32 v2, 0xffff0000, v2
	v_add_f32_e32 v4, v10, v4
	v_add_f32_e32 v1, v1, v5
	v_and_b32_e32 v5, 0xffff0000, v6
	v_and_b32_e32 v4, 0xffff0000, v4
	v_add_f32_e32 v2, v2, v5
	v_lshlrev_b32_e32 v5, 16, v7
	s_add_u32 s2, s22, s2
	v_and_b32_e32 v3, 0xffff0000, v3
	v_add_f32_e32 v4, v4, v5
	v_and_b32_e32 v5, 0xffff0000, v7
	s_addc_u32 s3, s23, s3
	s_lshl_b32 s0, s20, 6
	v_and_b32_e32 v1, 0xffff0000, v1
	v_add_f32_e32 v3, v3, v5
	v_lshlrev_b32_e32 v5, 16, v8
	s_lshl_b64 s[0:1], s[0:1], 1
	v_and_b32_e32 v2, 0xffff0000, v2
	v_add_f32_e32 v1, v1, v5
	v_and_b32_e32 v5, 0xffff0000, v8
	s_add_u32 s0, s2, s0
	v_and_b32_e32 v4, 0xffff0000, v4
	v_add_f32_e32 v6, v2, v5
	v_lshlrev_b32_e32 v2, 16, v9
	s_addc_u32 s1, s3, s1
	s_lshl_b32 s2, s5, 6
	v_and_b32_e32 v3, 0xffff0000, v3
	v_add_f32_e32 v7, v4, v2
	v_and_b32_e32 v2, 0xffff0000, v9
	s_mul_i32 s3, s2, s4
	v_add_f32_e32 v8, v3, v2
	v_or_b32_e32 v2, s3, v0
	v_mov_b32_e32 v3, 0
	s_add_i32 s3, s3, s2
	v_lshl_add_u64 v[4:5], v[2:3], 1, s[0:1]
	v_or_b32_e32 v2, s3, v0
	s_add_i32 s3, s3, s2
	global_store_short_d16_hi v[4:5], v1, off
	v_lshl_add_u64 v[4:5], v[2:3], 1, s[0:1]
	v_or_b32_e32 v2, s3, v0
	s_add_i32 s3, s3, s2
	global_store_short_d16_hi v[4:5], v6, off
	v_lshl_add_u64 v[4:5], v[2:3], 1, s[0:1]
	v_or_b32_e32 v2, s3, v0
	v_lshl_add_u64 v[0:1], v[2:3], 1, s[0:1]
	global_store_short_d16_hi v[4:5], v7, off
	global_store_short_d16_hi v[0:1], v8, off
.LBB423_17:
	s_endpgm
.LBB423_18:
	s_mov_b64 s[12:13], 0
                                        ; implicit-def: $sgpr30_sgpr31
	s_branch .LBB423_2
	.section	.rodata,"a",@progbits
	.p2align	6, 0x0
	.amdhsa_kernel _Z38paged_attention_ll4mi_QKV_mfma4_kernelI14__hip_bfloat16S0_LN4vllm18Fp8KVCacheDataTypeE0EhLi16ELi64ELi256ELb0ELi4EEvPKT_PKT0_S8_ifPKiSA_SA_iPKfiiiPfSD_PS3_PT2_iSC_SC_
		.amdhsa_group_segment_fixed_size 2720
		.amdhsa_private_segment_fixed_size 0
		.amdhsa_kernarg_size 400
		.amdhsa_user_sgpr_count 2
		.amdhsa_user_sgpr_dispatch_ptr 0
		.amdhsa_user_sgpr_queue_ptr 0
		.amdhsa_user_sgpr_kernarg_segment_ptr 1
		.amdhsa_user_sgpr_dispatch_id 0
		.amdhsa_user_sgpr_kernarg_preload_length 0
		.amdhsa_user_sgpr_kernarg_preload_offset 0
		.amdhsa_user_sgpr_private_segment_size 0
		.amdhsa_uses_dynamic_stack 0
		.amdhsa_enable_private_segment 0
		.amdhsa_system_sgpr_workgroup_id_x 1
		.amdhsa_system_sgpr_workgroup_id_y 1
		.amdhsa_system_sgpr_workgroup_id_z 1
		.amdhsa_system_sgpr_workgroup_info 0
		.amdhsa_system_vgpr_workitem_id 0
		.amdhsa_next_free_vgpr 68
		.amdhsa_next_free_sgpr 38
		.amdhsa_accum_offset 64
		.amdhsa_reserve_vcc 1
		.amdhsa_float_round_mode_32 0
		.amdhsa_float_round_mode_16_64 0
		.amdhsa_float_denorm_mode_32 3
		.amdhsa_float_denorm_mode_16_64 3
		.amdhsa_dx10_clamp 1
		.amdhsa_ieee_mode 1
		.amdhsa_fp16_overflow 0
		.amdhsa_tg_split 0
		.amdhsa_exception_fp_ieee_invalid_op 0
		.amdhsa_exception_fp_denorm_src 0
		.amdhsa_exception_fp_ieee_div_zero 0
		.amdhsa_exception_fp_ieee_overflow 0
		.amdhsa_exception_fp_ieee_underflow 0
		.amdhsa_exception_fp_ieee_inexact 0
		.amdhsa_exception_int_div_zero 0
	.end_amdhsa_kernel
	.section	.text._Z38paged_attention_ll4mi_QKV_mfma4_kernelI14__hip_bfloat16S0_LN4vllm18Fp8KVCacheDataTypeE0EhLi16ELi64ELi256ELb0ELi4EEvPKT_PKT0_S8_ifPKiSA_SA_iPKfiiiPfSD_PS3_PT2_iSC_SC_,"axG",@progbits,_Z38paged_attention_ll4mi_QKV_mfma4_kernelI14__hip_bfloat16S0_LN4vllm18Fp8KVCacheDataTypeE0EhLi16ELi64ELi256ELb0ELi4EEvPKT_PKT0_S8_ifPKiSA_SA_iPKfiiiPfSD_PS3_PT2_iSC_SC_,comdat
.Lfunc_end423:
	.size	_Z38paged_attention_ll4mi_QKV_mfma4_kernelI14__hip_bfloat16S0_LN4vllm18Fp8KVCacheDataTypeE0EhLi16ELi64ELi256ELb0ELi4EEvPKT_PKT0_S8_ifPKiSA_SA_iPKfiiiPfSD_PS3_PT2_iSC_SC_, .Lfunc_end423-_Z38paged_attention_ll4mi_QKV_mfma4_kernelI14__hip_bfloat16S0_LN4vllm18Fp8KVCacheDataTypeE0EhLi16ELi64ELi256ELb0ELi4EEvPKT_PKT0_S8_ifPKiSA_SA_iPKfiiiPfSD_PS3_PT2_iSC_SC_
                                        ; -- End function
	.section	.AMDGPU.csdata,"",@progbits
; Kernel info:
; codeLenInByte = 3440
; NumSgprs: 44
; NumVgprs: 62
; NumAgprs: 4
; TotalNumVgprs: 68
; ScratchSize: 0
; MemoryBound: 0
; FloatMode: 240
; IeeeMode: 1
; LDSByteSize: 2720 bytes/workgroup (compile time only)
; SGPRBlocks: 5
; VGPRBlocks: 8
; NumSGPRsForWavesPerEU: 44
; NumVGPRsForWavesPerEU: 68
; AccumOffset: 64
; Occupancy: 7
; WaveLimiterHint : 1
; COMPUTE_PGM_RSRC2:SCRATCH_EN: 0
; COMPUTE_PGM_RSRC2:USER_SGPR: 2
; COMPUTE_PGM_RSRC2:TRAP_HANDLER: 0
; COMPUTE_PGM_RSRC2:TGID_X_EN: 1
; COMPUTE_PGM_RSRC2:TGID_Y_EN: 1
; COMPUTE_PGM_RSRC2:TGID_Z_EN: 1
; COMPUTE_PGM_RSRC2:TIDIG_COMP_CNT: 0
; COMPUTE_PGM_RSRC3_GFX90A:ACCUM_OFFSET: 15
; COMPUTE_PGM_RSRC3_GFX90A:TG_SPLIT: 0
	.section	.text._Z39paged_attention_ll4mi_QKV_mfma16_kernelI14__hip_bfloat16S0_LN4vllm18Fp8KVCacheDataTypeE0EhLi16ELi64ELi256ELb0ELi5EEvPKT_PKT0_S8_ifPKiSA_SA_iPKfiiiPfSD_PS3_PT2_iSC_SC_,"axG",@progbits,_Z39paged_attention_ll4mi_QKV_mfma16_kernelI14__hip_bfloat16S0_LN4vllm18Fp8KVCacheDataTypeE0EhLi16ELi64ELi256ELb0ELi5EEvPKT_PKT0_S8_ifPKiSA_SA_iPKfiiiPfSD_PS3_PT2_iSC_SC_,comdat
	.protected	_Z39paged_attention_ll4mi_QKV_mfma16_kernelI14__hip_bfloat16S0_LN4vllm18Fp8KVCacheDataTypeE0EhLi16ELi64ELi256ELb0ELi5EEvPKT_PKT0_S8_ifPKiSA_SA_iPKfiiiPfSD_PS3_PT2_iSC_SC_ ; -- Begin function _Z39paged_attention_ll4mi_QKV_mfma16_kernelI14__hip_bfloat16S0_LN4vllm18Fp8KVCacheDataTypeE0EhLi16ELi64ELi256ELb0ELi5EEvPKT_PKT0_S8_ifPKiSA_SA_iPKfiiiPfSD_PS3_PT2_iSC_SC_
	.globl	_Z39paged_attention_ll4mi_QKV_mfma16_kernelI14__hip_bfloat16S0_LN4vllm18Fp8KVCacheDataTypeE0EhLi16ELi64ELi256ELb0ELi5EEvPKT_PKT0_S8_ifPKiSA_SA_iPKfiiiPfSD_PS3_PT2_iSC_SC_
	.p2align	8
	.type	_Z39paged_attention_ll4mi_QKV_mfma16_kernelI14__hip_bfloat16S0_LN4vllm18Fp8KVCacheDataTypeE0EhLi16ELi64ELi256ELb0ELi5EEvPKT_PKT0_S8_ifPKiSA_SA_iPKfiiiPfSD_PS3_PT2_iSC_SC_,@function
_Z39paged_attention_ll4mi_QKV_mfma16_kernelI14__hip_bfloat16S0_LN4vllm18Fp8KVCacheDataTypeE0EhLi16ELi64ELi256ELb0ELi5EEvPKT_PKT0_S8_ifPKiSA_SA_iPKfiiiPfSD_PS3_PT2_iSC_SC_: ; @_Z39paged_attention_ll4mi_QKV_mfma16_kernelI14__hip_bfloat16S0_LN4vllm18Fp8KVCacheDataTypeE0EhLi16ELi64ELi256ELb0ELi5EEvPKT_PKT0_S8_ifPKiSA_SA_iPKfiiiPfSD_PS3_PT2_iSC_SC_
; %bb.0:
	s_load_dwordx2 s[12:13], s[0:1], 0x30
	s_mov_b32 s28, s3
	s_mov_b64 s[6:7], 0
	s_waitcnt lgkmcnt(0)
	s_cmp_lg_u64 s[12:13], 0
	s_cselect_b64 s[14:15], -1, 0
	s_and_b64 vcc, exec, s[14:15]
	s_cbranch_vccz .LBB424_7
; %bb.1:
	s_add_i32 s8, s2, 1
	s_mov_b32 s9, 0
	s_lshl_b64 s[10:11], s[8:9], 2
	s_add_u32 s10, s12, s10
	s_mov_b32 s3, s9
	s_addc_u32 s11, s13, s11
	s_lshl_b64 s[8:9], s[2:3], 2
	s_add_u32 s8, s12, s8
	s_addc_u32 s9, s13, s9
	s_load_dword s5, s[10:11], 0x0
	s_load_dword s16, s[8:9], 0x0
	s_waitcnt lgkmcnt(0)
	s_sub_i32 s5, s5, s16
	s_cmp_eq_u32 s5, 1
	s_cselect_b64 s[8:9], -1, 0
	s_andn2_b64 vcc, exec, s[6:7]
	s_cbranch_vccnz .LBB424_3
.LBB424_2:
	s_mov_b32 s3, 0
	s_mov_b64 s[8:9], -1
.LBB424_3:
	s_andn2_b64 vcc, exec, s[8:9]
	s_cbranch_vccnz .LBB424_18
; %bb.4:
	s_load_dwordx2 s[6:7], s[0:1], 0x28
	s_lshl_b64 s[16:17], s[2:3], 2
	s_waitcnt lgkmcnt(0)
	s_add_u32 s6, s6, s16
	s_addc_u32 s7, s7, s17
	s_load_dword s33, s[6:7], 0x0
	s_lshl_b32 s18, s28, 8
	s_waitcnt lgkmcnt(0)
	s_cmp_ge_i32 s18, s33
	s_cbranch_scc1 .LBB424_18
; %bb.5:
	s_load_dwordx2 s[6:7], s[0:1], 0x20
	s_load_dword s5, s[0:1], 0x38
	s_add_i32 s8, s33, 15
	s_ashr_i32 s9, s8, 31
	v_and_b32_e32 v1, 0xcf, v0
	s_lshr_b32 s9, s9, 28
	v_add_u32_e32 v1, s18, v1
	s_add_i32 s8, s8, s9
	v_ashrrev_i32_e32 v2, 31, v1
	s_ashr_i32 s19, s8, 4
	v_lshrrev_b32_e32 v10, 28, v2
	s_add_i32 s19, s19, -1
	s_waitcnt lgkmcnt(0)
	s_mul_i32 s8, s2, s5
	s_mov_b32 s9, 0
	v_add_u32_e32 v2, v1, v10
	s_lshl_b64 s[8:9], s[8:9], 2
	v_ashrrev_i32_e32 v2, 4, v2
	v_mov_b32_e32 v11, s19
	v_cmp_gt_i32_e32 vcc, s33, v1
	s_add_u32 s6, s6, s8
	s_addc_u32 s7, s7, s9
	v_cndmask_b32_e32 v2, v11, v2, vcc
	v_ashrrev_i32_e32 v3, 31, v2
	v_lshl_add_u64 v[4:5], v[2:3], 2, s[6:7]
	v_or_b32_e32 v2, 16, v1
	v_add_u32_e32 v3, v2, v10
	v_ashrrev_i32_e32 v3, 4, v3
	v_cmp_gt_i32_e32 vcc, s33, v2
	s_load_dwordx4 s[8:11], s[0:1], 0x8
	s_nop 0
	v_cndmask_b32_e32 v2, v11, v3, vcc
	v_ashrrev_i32_e32 v3, 31, v2
	v_lshl_add_u64 v[6:7], v[2:3], 2, s[6:7]
	v_or_b32_e32 v2, 32, v1
	v_add_u32_e32 v3, v2, v10
	v_ashrrev_i32_e32 v3, 4, v3
	v_cmp_gt_i32_e32 vcc, s33, v2
	v_or_b32_e32 v1, 48, v1
	s_nop 0
	v_cndmask_b32_e32 v2, v11, v3, vcc
	v_ashrrev_i32_e32 v3, 31, v2
	v_lshl_add_u64 v[8:9], v[2:3], 2, s[6:7]
	v_add_u32_e32 v2, v1, v10
	v_ashrrev_i32_e32 v2, 4, v2
	v_cmp_gt_i32_e32 vcc, s33, v1
	s_nop 1
	v_cndmask_b32_e32 v2, v11, v2, vcc
	v_ashrrev_i32_e32 v3, 31, v2
	v_lshl_add_u64 v[12:13], v[2:3], 2, s[6:7]
	global_load_dword v3, v[4:5], off
	global_load_dword v2, v[6:7], off
	;; [unrolled: 1-line block ×4, first 2 shown]
	s_andn2_b64 vcc, exec, s[14:15]
	s_cbranch_vccnz .LBB424_8
; %bb.6:
	s_add_u32 s12, s12, s16
	s_addc_u32 s13, s13, s17
	s_load_dword s5, s[12:13], 0x0
	s_branch .LBB424_9
.LBB424_7:
	s_mov_b64 s[8:9], 0
	s_branch .LBB424_2
.LBB424_8:
	s_mov_b32 s5, s2
.LBB424_9:
	s_load_dwordx4 s[44:47], s[0:1], 0x48
	v_lshrrev_b32_e32 v37, 6, v0
	v_bfe_u32 v54, v0, 4, 2
	v_lshl_or_b32 v1, v37, 2, v54
	v_and_b32_e32 v36, 15, v0
	v_lshlrev_b32_e32 v4, 3, v36
	v_cmp_gt_u32_e32 vcc, 5, v1
	v_cmp_gt_u32_e64 s[30:31], 8, v36
	v_and_b32_e32 v55, 63, v0
	s_mul_i32 s42, s4, 5
	s_and_b64 s[14:15], s[30:31], vcc
	v_lshlrev_b32_e32 v34, 1, v4
	s_and_saveexec_b64 s[12:13], s[14:15]
	s_cbranch_execz .LBB424_11
; %bb.10:
	s_load_dwordx2 s[14:15], s[0:1], 0x0
	s_waitcnt lgkmcnt(0)
	s_ashr_i32 s16, s44, 31
	s_mul_hi_u32 s17, s5, s44
	s_mul_i32 s16, s5, s16
	s_add_i32 s17, s17, s16
	s_mul_i32 s16, s5, s44
	s_lshl_b64 s[16:17], s[16:17], 1
	s_add_u32 s14, s14, s16
	v_add_lshl_u32 v4, v1, s42, 6
	s_addc_u32 s15, s15, s17
	v_ashrrev_i32_e32 v5, 31, v4
	v_lshl_add_u64 v[4:5], v[4:5], 1, s[14:15]
	v_mov_b32_e32 v35, 0
	v_lshl_add_u64 v[4:5], v[4:5], 0, v[34:35]
	global_load_dwordx4 v[4:7], v[4:5], off
	v_and_b32_e32 v8, 3, v0
	v_lshlrev_b32_e32 v9, 9, v36
	v_lshlrev_b32_e32 v1, 5, v1
	;; [unrolled: 1-line block ×3, first 2 shown]
	v_and_b32_e32 v9, 0x1800, v9
	v_or3_b32 v1, v9, v8, v1
	s_waitcnt vmcnt(0)
	ds_write_b128 v1, v[4:7]
.LBB424_11:
	s_or_b64 exec, exec, s[12:13]
	s_waitcnt lgkmcnt(0)
	s_mul_i32 s4, s4, s46
	s_mov_b32 s5, 0
	s_lshl_b64 s[4:5], s[4:5], 1
	s_add_u32 s8, s8, s4
	v_lshlrev_b32_e32 v1, 4, v0
	s_addc_u32 s9, s9, s5
	v_and_b32_e32 v30, 0xf0, v1
	v_mov_b32_e32 v31, 0
	v_lshl_add_u64 v[18:19], s[8:9], 0, v[30:31]
	s_waitcnt vmcnt(3)
	v_mad_i64_i32 v[4:5], s[8:9], v3, s45, 0
	v_lshl_add_u64 v[4:5], v[4:5], 1, v[18:19]
	v_and_b32_e32 v30, 0x300, v1
	s_waitcnt vmcnt(2)
	v_mad_i64_i32 v[2:3], s[8:9], v2, s45, 0
	v_lshl_add_u64 v[14:15], v[4:5], 0, v[30:31]
	v_lshl_add_u64 v[2:3], v[2:3], 1, v[18:19]
	s_load_dword s29, s[0:1], 0x98
	s_load_dword s12, s[0:1], 0x1c
	s_waitcnt lgkmcnt(0)
	s_barrier
	global_load_dwordx4 v[6:9], v[14:15], off
	global_load_dwordx4 v[26:29], v[14:15], off offset:1024
	v_lshl_add_u64 v[32:33], v[2:3], 0, v[30:31]
	global_load_dwordx4 v[2:5], v[32:33], off
	global_load_dwordx4 v[46:49], v[32:33], off offset:1024
	s_waitcnt vmcnt(5)
	v_mad_i64_i32 v[10:11], s[8:9], v10, s45, 0
	v_lshl_add_u64 v[10:11], v[10:11], 1, v[18:19]
	v_lshl_add_u64 v[38:39], v[10:11], 0, v[30:31]
	global_load_dwordx4 v[10:13], v[38:39], off
	global_load_dwordx4 v[56:59], v[38:39], off offset:1024
	s_waitcnt vmcnt(6)
	v_mad_i64_i32 v[16:17], s[8:9], v16, s45, 0
	v_lshl_add_u64 v[16:17], v[16:17], 1, v[18:19]
	v_lshl_add_u64 v[40:41], v[16:17], 0, v[30:31]
	global_load_dwordx4 v[18:21], v[40:41], off
	v_mul_lo_u16_e32 v16, 52, v36
	v_mov_b32_e32 v17, 5
	v_mul_lo_u16_sdwa v16, v16, v17 dst_sel:DWORD dst_unused:UNUSED_PAD src0_sel:BYTE_1 src1_sel:DWORD
	v_sub_u16_e32 v16, v36, v16
	v_lshlrev_b32_sdwa v16, v17, v16 dst_sel:DWORD dst_unused:UNUSED_PAD src0_sel:DWORD src1_sel:BYTE_0
	v_lshl_add_u32 v16, v54, 9, v16
	ds_read_b128 v[22:25], v16
	global_load_dwordx4 v[38:41], v[40:41], off offset:1024
	v_and_or_b32 v30, v0, 48, s18
	v_mov_b32_e32 v68, s19
	v_cmp_gt_i32_e32 vcc, s33, v30
	ds_read_b128 v[14:17], v16 offset:2048
	v_lshlrev_b32_e32 v35, 5, v36
	s_add_u32 s4, s10, s4
	s_addc_u32 s5, s11, s5
	s_mov_b32 s43, 0xff7fffff
	s_waitcnt vmcnt(7) lgkmcnt(1)
	v_mfma_f32_16x16x16_bf16 v[42:45], v[6:7], v[22:23], 0
	v_ashrrev_i32_e32 v6, 4, v30
	v_or_b32_e32 v7, 64, v30
	s_waitcnt vmcnt(5)
	v_mfma_f32_16x16x16_bf16 v[50:53], v[2:3], v[22:23], 0
	v_cndmask_b32_e32 v2, v68, v6, vcc
	v_ashrrev_i32_e32 v3, 31, v2
	v_ashrrev_i32_e32 v6, 4, v7
	v_cmp_gt_i32_e32 vcc, s33, v7
	v_lshl_add_u64 v[2:3], v[2:3], 2, s[6:7]
	s_waitcnt vmcnt(3)
	v_mfma_f32_16x16x16_bf16 v[60:63], v[10:11], v[22:23], 0
	v_cndmask_b32_e32 v10, v68, v6, vcc
	v_ashrrev_i32_e32 v11, 31, v10
	v_lshl_add_u64 v[10:11], v[10:11], 2, s[6:7]
	v_mfma_f32_16x16x16_bf16 v[6:9], v[8:9], v[24:25], v[42:45]
	s_nop 2
	global_load_dword v42, v[2:3], off
	global_load_dword v43, v[10:11], off
	s_waitcnt vmcnt(3)
	v_mfma_f32_16x16x16_bf16 v[64:67], v[18:19], v[22:23], 0
	v_or_b32_e32 v22, 0x80, v30
	v_or_b32_e32 v23, 0xc0, v30
	v_ashrrev_i32_e32 v30, 4, v22
	v_cmp_gt_i32_e32 vcc, s33, v22
	v_ashrrev_i32_e32 v32, 4, v23
	v_mfma_f32_16x16x16_bf16 v[2:5], v[4:5], v[24:25], v[50:53]
	v_cndmask_b32_e32 v22, v68, v30, vcc
	v_cmp_gt_i32_e32 vcc, s33, v23
	v_ashrrev_i32_e32 v23, 31, v22
	v_mfma_f32_16x16x16_bf16 v[10:13], v[12:13], v[24:25], v[60:63]
	v_lshl_or_b32 v30, v37, 9, v35
	v_mfma_f32_16x16x16_bf16 v[18:21], v[20:21], v[24:25], v[64:67]
	v_cndmask_b32_e32 v24, v68, v32, vcc
	v_ashrrev_i32_e32 v25, 31, v24
	v_lshl_add_u64 v[32:33], v[24:25], 2, s[6:7]
	s_waitcnt lgkmcnt(0)
	v_mfma_f32_16x16x16_bf16 v[6:9], v[26:27], v[14:15], v[6:9]
	v_lshl_add_u64 v[26:27], v[22:23], 2, s[6:7]
	global_load_dword v60, v[26:27], off
	global_load_dword v61, v[32:33], off
	v_mfma_f32_16x16x16_bf16 v[2:5], v[46:47], v[14:15], v[2:5]
	v_mfma_f32_16x16x16_bf16 v[22:25], v[56:57], v[14:15], v[10:13]
	s_waitcnt vmcnt(4)
	v_mfma_f32_16x16x16_bf16 v[18:21], v[38:39], v[14:15], v[18:21]
	s_nop 0
	v_lshl_add_u64 v[10:11], s[4:5], 0, v[30:31]
	s_waitcnt vmcnt(3)
	v_mad_i64_i32 v[26:27], s[4:5], v42, s45, 0
	v_mfma_f32_16x16x16_bf16 v[12:15], v[28:29], v[16:17], v[6:9]
	v_lshl_add_u64 v[30:31], v[26:27], 1, v[10:11]
	s_waitcnt vmcnt(2)
	v_mad_i64_i32 v[32:33], s[4:5], v43, s45, 0
	v_mfma_f32_16x16x16_bf16 v[26:29], v[48:49], v[16:17], v[2:5]
	v_lshl_add_u64 v[56:57], v[32:33], 1, v[10:11]
	s_nop 1
	v_pk_mul_f32 v[50:51], s[12:13], v[14:15] op_sel_hi:[0,1]
	v_pk_mul_f32 v[12:13], s[12:13], v[12:13] op_sel_hi:[0,1]
	v_mfma_f32_16x16x16_bf16 v[22:25], v[58:59], v[16:17], v[22:25]
	global_load_dwordx4 v[6:9], v[30:31], off
	global_load_dwordx4 v[2:5], v[30:31], off offset:16
	v_pk_mul_f32 v[42:43], s[12:13], v[26:27] op_sel_hi:[0,1]
	v_pk_mul_f32 v[52:53], s[12:13], v[28:29] op_sel_hi:[0,1]
	v_mfma_f32_16x16x16_bf16 v[14:17], v[40:41], v[16:17], v[18:21]
	s_nop 1
	v_pk_mul_f32 v[46:47], s[12:13], v[22:23] op_sel_hi:[0,1]
	v_pk_mul_f32 v[48:49], s[12:13], v[24:25] op_sel_hi:[0,1]
	global_load_dwordx4 v[30:33], v[56:57], off
	global_load_dwordx4 v[26:29], v[56:57], off offset:16
	s_nop 0
	v_pk_mul_f32 v[44:45], s[12:13], v[14:15] op_sel_hi:[0,1]
	v_and_b32_e32 v14, 0xc0, v0
	v_add_u32_e32 v14, s18, v14
	v_lshl_or_b32 v14, v54, 2, v14
	v_pk_mul_f32 v[38:39], s[12:13], v[16:17] op_sel_hi:[0,1]
	v_or_b32_e32 v17, 1, v14
	v_mov_b32_e32 v15, 0xff7fffff
	v_cmp_gt_i32_e64 s[4:5], s33, v14
	v_cmp_gt_i32_e64 s[34:35], s33, v17
	v_or_b32_e32 v18, 3, v14
	v_cndmask_b32_e64 v16, v15, v12, s[4:5]
	v_cndmask_b32_e64 v17, v15, v13, s[34:35]
	v_max3_f32 v16, v16, s43, v17
	v_or_b32_e32 v17, 2, v14
	v_cmp_gt_i32_e64 s[36:37], s33, v17
	v_cmp_gt_i32_e64 s[38:39], s33, v18
	s_nop 0
	v_cndmask_b32_e64 v17, v15, v50, s[36:37]
	v_cndmask_b32_e64 v18, v15, v51, s[38:39]
	v_max3_f32 v16, v16, v17, v18
	v_or_b32_e32 v17, 16, v14
	v_or_b32_e32 v18, 17, v14
	v_cmp_gt_i32_e64 s[24:25], s33, v17
	v_cmp_gt_i32_e64 s[26:27], s33, v18
	s_nop 0
	v_cndmask_b32_e64 v17, v15, v42, s[24:25]
	v_cndmask_b32_e64 v18, v15, v43, s[26:27]
	v_max3_f32 v16, v16, v17, v18
	v_or_b32_e32 v17, 18, v14
	;; [unrolled: 8-line block ×6, first 2 shown]
	v_or_b32_e32 v14, 51, v14
	v_cmp_gt_i32_e32 vcc, s33, v17
	v_cmp_gt_i32_e64 s[6:7], s33, v14
	s_nop 0
	v_cndmask_b32_e32 v17, v15, v38, vcc
	v_cndmask_b32_e64 v14, v15, v39, s[6:7]
	v_max3_f32 v16, v16, v17, v14
	v_mbcnt_lo_u32_b32 v14, -1, 0
	v_mbcnt_hi_u32_b32 v17, -1, v14
	v_and_b32_e32 v14, 64, v17
	v_add_u32_e32 v18, 64, v14
	v_xor_b32_e32 v14, 32, v17
	v_cmp_lt_i32_e64 s[40:41], v14, v18
	s_nop 1
	v_cndmask_b32_e64 v14, v17, v14, s[40:41]
	v_lshlrev_b32_e32 v58, 2, v14
	ds_bpermute_b32 v19, v58, v16
	s_waitcnt vmcnt(5)
	v_mad_i64_i32 v[14:15], s[40:41], v60, s45, 0
	v_lshl_add_u64 v[14:15], v[14:15], 1, v[10:11]
	s_waitcnt lgkmcnt(0)
	v_max_f32_e32 v19, v19, v19
	v_max_f32_e32 v16, v16, v19
	v_xor_b32_e32 v19, 16, v17
	v_cmp_lt_i32_e64 s[40:41], v19, v18
	s_nop 1
	v_cndmask_b32_e64 v17, v17, v19, s[40:41]
	v_lshlrev_b32_e32 v57, 2, v17
	ds_bpermute_b32 v17, v57, v16
	global_load_dwordx4 v[22:25], v[14:15], off
	global_load_dwordx4 v[18:21], v[14:15], off offset:16
	s_waitcnt vmcnt(6)
	v_mad_i64_i32 v[14:15], s[40:41], v61, s45, 0
	v_lshl_add_u64 v[10:11], v[14:15], 1, v[10:11]
	s_waitcnt lgkmcnt(0)
	v_max_f32_e32 v14, v17, v17
	v_max_f32_e32 v56, v16, v14
	v_sub_f32_e32 v12, v12, v56
	v_mul_f32_e32 v12, 0x3fb8aa3b, v12
	v_exp_f32_e32 v40, v12
	v_sub_f32_e32 v12, v13, v56
	v_mul_f32_e32 v12, 0x3fb8aa3b, v12
	v_exp_f32_e32 v41, v12
	global_load_dwordx4 v[14:17], v[10:11], off
	s_nop 0
	global_load_dwordx4 v[10:13], v[10:11], off offset:16
	v_sub_f32_e32 v50, v50, v56
	v_mul_f32_e32 v50, 0x3fb8aa3b, v50
	v_sub_f32_e32 v51, v51, v56
	v_exp_f32_e32 v50, v50
	v_mul_f32_e32 v51, 0x3fb8aa3b, v51
	v_sub_f32_e32 v42, v42, v56
	v_exp_f32_e32 v51, v51
	v_mul_f32_e32 v42, 0x3fb8aa3b, v42
	v_sub_f32_e32 v43, v43, v56
	v_cndmask_b32_e64 v40, 0, v40, s[4:5]
	v_exp_f32_e32 v42, v42
	v_mul_f32_e32 v43, 0x3fb8aa3b, v43
	v_sub_f32_e32 v52, v52, v56
	v_add_f32_e32 v59, 0, v40
	v_cndmask_b32_e64 v41, 0, v41, s[34:35]
	v_exp_f32_e32 v43, v43
	v_mul_f32_e32 v52, 0x3fb8aa3b, v52
	v_sub_f32_e32 v53, v53, v56
	v_add_f32_e32 v59, v59, v41
	;; [unrolled: 5-line block ×10, first 2 shown]
	v_cndmask_b32_e64 v48, 0, v48, s[12:13]
	v_exp_f32_e32 v38, v38
	v_mul_f32_e32 v39, 0x3fb8aa3b, v39
	v_add_f32_e32 v59, v59, v48
	v_cndmask_b32_e64 v49, 0, v49, s[14:15]
	v_exp_f32_e32 v39, v39
	v_add_f32_e32 v59, v59, v49
	v_cndmask_b32_e64 v44, 0, v44, s[8:9]
	v_add_f32_e32 v59, v59, v44
	v_cndmask_b32_e64 v45, 0, v45, s[10:11]
	v_add_f32_e32 v59, v59, v45
	v_cndmask_b32_e32 v38, 0, v38, vcc
	v_add_f32_e32 v59, v59, v38
	v_cndmask_b32_e64 v39, 0, v39, s[6:7]
	v_add_f32_e32 v59, v59, v39
	ds_bpermute_b32 v58, v58, v59
	v_cmp_gt_u32_e64 s[6:7], 16, v55
	s_waitcnt lgkmcnt(0)
	s_barrier
	v_add_f32_e32 v58, v59, v58
	ds_bpermute_b32 v59, v57, v58
	v_lshlrev_b32_e32 v57, 2, v36
	s_and_saveexec_b64 s[4:5], s[6:7]
	s_cbranch_execz .LBB424_13
; %bb.12:
	s_waitcnt lgkmcnt(0)
	v_add_f32_e32 v55, v58, v59
	v_lshl_or_b32 v58, v37, 6, v57
	ds_write2st64_b32 v58, v56, v55 offset1:1
.LBB424_13:
	s_or_b64 exec, exec, s[4:5]
	s_load_dword s8, s[0:1], 0x94
	s_waitcnt lgkmcnt(0)
	s_barrier
	ds_read2_b32 v[58:59], v57 offset1:16
	ds_read2_b32 v[60:61], v57 offset0:32 offset1:48
	ds_read2_b32 v[62:63], v57 offset0:64 offset1:80
	s_movk_i32 s10, 0x7fff
	s_mov_b32 s11, 0x7060302
	s_waitcnt lgkmcnt(2)
	v_max3_f32 v55, v58, s43, v59
	s_waitcnt lgkmcnt(1)
	v_max3_f32 v55, v55, v60, v61
	v_sub_f32_e32 v56, v58, v55
	v_mul_f32_e32 v56, 0x3fb8aa3b, v56
	v_exp_f32_e32 v64, v56
	v_sub_f32_e32 v56, v59, v55
	v_mul_f32_e32 v56, 0x3fb8aa3b, v56
	v_exp_f32_e32 v65, v56
	;; [unrolled: 3-line block ×3, first 2 shown]
	ds_read2_b32 v[58:59], v57 offset0:96 offset1:112
	v_sub_f32_e32 v56, v61, v55
	v_mul_f32_e32 v56, 0x3fb8aa3b, v56
	v_exp_f32_e32 v57, v56
	s_waitcnt lgkmcnt(1)
	v_fma_f32 v56, v64, v62, 0
	v_fmac_f32_e32 v56, v65, v63
	s_waitcnt lgkmcnt(0)
	v_fmac_f32_e32 v56, v60, v58
	v_fmac_f32_e32 v56, v57, v59
	v_add_f32_e32 v58, 0x358637bd, v56
	v_div_scale_f32 v59, s[4:5], v58, v58, 1.0
	v_rcp_f32_e32 v61, v59
	s_barrier
	v_fma_f32 v62, -v59, v61, 1.0
	v_fmac_f32_e32 v61, v62, v61
	v_div_scale_f32 v62, vcc, 1.0, v58, 1.0
	v_mul_f32_e32 v63, v62, v61
	v_fma_f32 v66, -v59, v63, v62
	v_fmac_f32_e32 v63, v66, v61
	v_fma_f32 v59, -v59, v63, v62
	v_div_fmas_f32 v59, v59, v61, v63
	v_cmp_eq_u32_e32 vcc, 1, v37
	v_div_fixup_f32 v58, v59, v58, 1.0
	s_mul_i32 s9, s29, 5
	v_cndmask_b32_e32 v59, v64, v65, vcc
	v_cmp_eq_u32_e32 vcc, 2, v37
	s_nop 1
	v_cndmask_b32_e32 v59, v59, v60, vcc
	v_cmp_eq_u32_e32 vcc, 3, v37
	v_lshlrev_b32_e32 v37, 11, v37
	s_nop 0
	v_cndmask_b32_e32 v57, v59, v57, vcc
	v_mul_f32_e32 v58, v57, v58
	v_pk_mul_f32 v[40:41], v[58:59], v[40:41] op_sel_hi:[0,1]
	v_pk_mul_f32 v[50:51], v[58:59], v[50:51] op_sel_hi:[0,1]
	v_bfe_u32 v57, v41, 16, 1
	v_bfe_u32 v59, v40, 16, 1
	v_add3_u32 v40, v40, v59, s10
	v_add3_u32 v41, v41, v57, s10
	v_perm_b32 v60, v41, v40, s11
	v_bfe_u32 v40, v51, 16, 1
	v_bfe_u32 v41, v50, 16, 1
	v_add3_u32 v41, v50, v41, s10
	v_add3_u32 v40, v51, v40, s10
	v_perm_b32 v61, v40, v41, s11
	v_lshlrev_b32_e32 v40, 3, v54
	v_pk_mul_f32 v[42:43], v[58:59], v[42:43] op_sel_hi:[0,1]
	v_or3_b32 v40, v37, v35, v40
	v_bfe_u32 v37, v43, 16, 1
	v_bfe_u32 v41, v42, 16, 1
	v_pk_mul_f32 v[50:51], v[58:59], v[52:53] op_sel_hi:[0,1]
	v_add3_u32 v41, v42, v41, s10
	v_add3_u32 v37, v43, v37, s10
	v_perm_b32 v42, v37, v41, s11
	v_bfe_u32 v37, v51, 16, 1
	v_bfe_u32 v41, v50, 16, 1
	v_add3_u32 v41, v50, v41, s10
	v_add3_u32 v37, v51, v37, s10
	v_pk_mul_f32 v[46:47], v[58:59], v[46:47] op_sel_hi:[0,1]
	v_perm_b32 v43, v37, v41, s11
	v_bfe_u32 v37, v47, 16, 1
	v_bfe_u32 v41, v46, 16, 1
	ds_write2st64_b64 v40, v[60:61], v[42:43] offset1:1
	v_pk_mul_f32 v[42:43], v[58:59], v[48:49] op_sel_hi:[0,1]
	v_add3_u32 v41, v46, v41, s10
	v_add3_u32 v37, v47, v37, s10
	v_perm_b32 v46, v37, v41, s11
	v_bfe_u32 v37, v43, 16, 1
	v_bfe_u32 v41, v42, 16, 1
	v_add3_u32 v41, v42, v41, s10
	v_add3_u32 v37, v43, v37, s10
	v_pk_mul_f32 v[42:43], v[58:59], v[44:45] op_sel_hi:[0,1]
	v_perm_b32 v47, v37, v41, s11
	v_bfe_u32 v37, v43, 16, 1
	v_bfe_u32 v41, v42, 16, 1
	v_pk_mul_f32 v[38:39], v[58:59], v[38:39] op_sel_hi:[0,1]
	v_add3_u32 v41, v42, v41, s10
	v_add3_u32 v37, v43, v37, s10
	v_perm_b32 v42, v37, v41, s11
	v_bfe_u32 v37, v39, 16, 1
	v_bfe_u32 v41, v38, 16, 1
	v_add3_u32 v38, v38, v41, s10
	v_add3_u32 v37, v39, v37, s10
	v_perm_b32 v43, v37, v38, s11
	v_cmp_gt_u32_e32 vcc, 5, v0
	ds_write2st64_b64 v40, v[46:47], v[42:43] offset0:2 offset1:3
	s_and_saveexec_b64 s[4:5], vcc
	s_cbranch_execz .LBB424_15
; %bb.14:
	s_mov_b32 s43, 0
	v_mov_b32_e32 v37, 0
	v_lshl_add_u64 v[38:39], s[42:43], 0, v[36:37]
	v_mov_b32_e32 v36, s9
	v_mad_u64_u32 v[38:39], s[16:17], s2, v36, v[38:39]
	v_mov_b32_e32 v36, s28
	s_load_dwordx4 s[12:15], s[0:1], 0x58
	s_mul_i32 s3, s3, s9
	v_mad_u64_u32 v[36:37], s[16:17], v38, s8, v[36:37]
	v_add_u32_e32 v39, s3, v39
	v_mov_b32_e32 v38, v37
	v_mad_u64_u32 v[38:39], s[16:17], v39, s8, v[38:39]
	v_mov_b32_e32 v37, v38
	v_lshlrev_b64 v[36:37], 2, v[36:37]
	s_waitcnt lgkmcnt(0)
	v_lshl_add_u64 v[38:39], s[14:15], 0, v[36:37]
	v_lshl_add_u64 v[36:37], s[12:13], 0, v[36:37]
	global_store_dword v[38:39], v55, off
	global_store_dword v[36:37], v56, off
.LBB424_15:
	s_or_b64 exec, exec, s[4:5]
	v_lshl_or_b32 v35, v54, 9, v35
	s_waitcnt lgkmcnt(0)
	s_barrier
	ds_read_b128 v[36:39], v35
	ds_read_b128 v[42:45], v35 offset:16
	s_waitcnt vmcnt(7) lgkmcnt(1)
	v_mfma_f32_16x16x16_bf16 v[46:49], v[6:7], v[36:37], 0
	v_cmp_gt_u32_e32 vcc, 64, v0
	s_mov_b32 s3, 0
	s_and_b64 s[4:5], vcc, s[30:31]
	v_mfma_f32_16x16x16_bf16 v[6:9], v[8:9], v[38:39], v[46:49]
	s_waitcnt vmcnt(6) lgkmcnt(0)
	v_mfma_f32_16x16x16_bf16 v[6:9], v[2:3], v[42:43], v[6:9]
	v_mfma_f32_16x16x16_bf16 v[2:5], v[4:5], v[44:45], v[6:9]
	s_nop 5
	ds_read_b128 v[6:9], v35 offset:2048
	ds_read_b128 v[36:39], v35 offset:2064
	s_waitcnt vmcnt(5) lgkmcnt(1)
	v_mfma_f32_16x16x16_bf16 v[2:5], v[30:31], v[6:7], v[2:5]
	v_mfma_f32_16x16x16_bf16 v[2:5], v[32:33], v[8:9], v[2:5]
	s_waitcnt vmcnt(4) lgkmcnt(0)
	v_mfma_f32_16x16x16_bf16 v[2:5], v[26:27], v[36:37], v[2:5]
	v_mfma_f32_16x16x16_bf16 v[2:5], v[28:29], v[38:39], v[2:5]
	ds_read_b128 v[6:9], v35 offset:4096
	ds_read_b128 v[26:29], v35 offset:4112
	s_waitcnt vmcnt(3) lgkmcnt(1)
	v_mfma_f32_16x16x16_bf16 v[2:5], v[22:23], v[6:7], v[2:5]
	v_mfma_f32_16x16x16_bf16 v[2:5], v[24:25], v[8:9], v[2:5]
	s_waitcnt vmcnt(2) lgkmcnt(0)
	v_mfma_f32_16x16x16_bf16 v[2:5], v[18:19], v[26:27], v[2:5]
	v_mfma_f32_16x16x16_bf16 v[2:5], v[20:21], v[28:29], v[2:5]
	ds_read_b128 v[6:9], v35 offset:6144
	ds_read_b128 v[18:21], v35 offset:6160
	v_mov_b32_e32 v35, 0
	s_waitcnt vmcnt(1) lgkmcnt(0)
	v_mfma_f32_16x16x16_bf16 v[2:5], v[14:15], v[6:7], v[2:5]
	s_barrier
	v_mfma_f32_16x16x16_bf16 v[2:5], v[16:17], v[8:9], v[2:5]
	s_waitcnt vmcnt(0)
	v_mfma_f32_16x16x16_bf16 v[2:5], v[10:11], v[18:19], v[2:5]
	v_mfma_f32_16x16x16_bf16 v[2:5], v[12:13], v[20:21], v[2:5]
	s_nop 6
	v_bfe_u32 v6, v3, 16, 1
	v_bfe_u32 v7, v2, 16, 1
	v_bfe_u32 v8, v5, 16, 1
	v_bfe_u32 v9, v4, 16, 1
	v_add3_u32 v2, v2, v7, s10
	v_add3_u32 v3, v3, v6, s10
	;; [unrolled: 1-line block ×4, first 2 shown]
	v_perm_b32 v2, v3, v2, s11
	v_perm_b32 v3, v5, v4, s11
	ds_write_b64 v40, v[2:3]
	s_waitcnt lgkmcnt(0)
	s_barrier
	s_and_saveexec_b64 s[10:11], s[4:5]
	s_cbranch_execz .LBB424_18
; %bb.16:
	s_load_dwordx2 s[4:5], s[0:1], 0x68
	s_lshl_b32 s0, s8, 6
	s_mul_i32 s1, s9, s2
	s_mul_hi_u32 s9, s1, s0
	s_mul_i32 s8, s1, s0
	v_lshlrev_b32_e32 v0, 10, v0
	s_lshl_b64 s[8:9], s[8:9], 1
	v_and_b32_e32 v0, 0x1800, v0
	v_lshlrev_b32_e32 v2, 5, v54
	v_and_b32_e32 v1, 16, v1
	s_waitcnt lgkmcnt(0)
	s_add_u32 s1, s4, s8
	v_or3_b32 v2, v0, v2, v1
	s_addc_u32 s4, s5, s9
	s_lshl_b32 s2, s28, 6
	s_lshl_b64 s[2:3], s[2:3], 1
	ds_read_b128 v[4:7], v2
	s_add_u32 s2, s1, s2
	s_addc_u32 s3, s4, s3
	v_add_u32_e32 v3, s42, v54
	v_lshl_add_u64 v[0:1], s[2:3], 0, v[34:35]
	v_mad_u64_u32 v[8:9], s[2:3], v3, s0, 0
	v_lshl_add_u64 v[8:9], v[8:9], 1, v[0:1]
	s_waitcnt lgkmcnt(0)
	global_store_dwordx4 v[8:9], v[4:7], off
	s_and_b64 exec, exec, s[6:7]
	s_cbranch_execz .LBB424_18
; %bb.17:
	ds_read_b128 v[2:5], v2 offset:128
	v_add3_u32 v6, s42, v54, 4
	v_mad_u64_u32 v[6:7], s[0:1], v6, s0, 0
	v_lshl_add_u64 v[0:1], v[6:7], 1, v[0:1]
	s_waitcnt lgkmcnt(0)
	global_store_dwordx4 v[0:1], v[2:5], off
.LBB424_18:
	s_endpgm
	.section	.rodata,"a",@progbits
	.p2align	6, 0x0
	.amdhsa_kernel _Z39paged_attention_ll4mi_QKV_mfma16_kernelI14__hip_bfloat16S0_LN4vllm18Fp8KVCacheDataTypeE0EhLi16ELi64ELi256ELb0ELi5EEvPKT_PKT0_S8_ifPKiSA_SA_iPKfiiiPfSD_PS3_PT2_iSC_SC_
		.amdhsa_group_segment_fixed_size 8192
		.amdhsa_private_segment_fixed_size 0
		.amdhsa_kernarg_size 400
		.amdhsa_user_sgpr_count 2
		.amdhsa_user_sgpr_dispatch_ptr 0
		.amdhsa_user_sgpr_queue_ptr 0
		.amdhsa_user_sgpr_kernarg_segment_ptr 1
		.amdhsa_user_sgpr_dispatch_id 0
		.amdhsa_user_sgpr_kernarg_preload_length 0
		.amdhsa_user_sgpr_kernarg_preload_offset 0
		.amdhsa_user_sgpr_private_segment_size 0
		.amdhsa_uses_dynamic_stack 0
		.amdhsa_enable_private_segment 0
		.amdhsa_system_sgpr_workgroup_id_x 1
		.amdhsa_system_sgpr_workgroup_id_y 1
		.amdhsa_system_sgpr_workgroup_id_z 1
		.amdhsa_system_sgpr_workgroup_info 0
		.amdhsa_system_vgpr_workitem_id 0
		.amdhsa_next_free_vgpr 69
		.amdhsa_next_free_sgpr 48
		.amdhsa_accum_offset 72
		.amdhsa_reserve_vcc 1
		.amdhsa_float_round_mode_32 0
		.amdhsa_float_round_mode_16_64 0
		.amdhsa_float_denorm_mode_32 3
		.amdhsa_float_denorm_mode_16_64 3
		.amdhsa_dx10_clamp 1
		.amdhsa_ieee_mode 1
		.amdhsa_fp16_overflow 0
		.amdhsa_tg_split 0
		.amdhsa_exception_fp_ieee_invalid_op 0
		.amdhsa_exception_fp_denorm_src 0
		.amdhsa_exception_fp_ieee_div_zero 0
		.amdhsa_exception_fp_ieee_overflow 0
		.amdhsa_exception_fp_ieee_underflow 0
		.amdhsa_exception_fp_ieee_inexact 0
		.amdhsa_exception_int_div_zero 0
	.end_amdhsa_kernel
	.section	.text._Z39paged_attention_ll4mi_QKV_mfma16_kernelI14__hip_bfloat16S0_LN4vllm18Fp8KVCacheDataTypeE0EhLi16ELi64ELi256ELb0ELi5EEvPKT_PKT0_S8_ifPKiSA_SA_iPKfiiiPfSD_PS3_PT2_iSC_SC_,"axG",@progbits,_Z39paged_attention_ll4mi_QKV_mfma16_kernelI14__hip_bfloat16S0_LN4vllm18Fp8KVCacheDataTypeE0EhLi16ELi64ELi256ELb0ELi5EEvPKT_PKT0_S8_ifPKiSA_SA_iPKfiiiPfSD_PS3_PT2_iSC_SC_,comdat
.Lfunc_end424:
	.size	_Z39paged_attention_ll4mi_QKV_mfma16_kernelI14__hip_bfloat16S0_LN4vllm18Fp8KVCacheDataTypeE0EhLi16ELi64ELi256ELb0ELi5EEvPKT_PKT0_S8_ifPKiSA_SA_iPKfiiiPfSD_PS3_PT2_iSC_SC_, .Lfunc_end424-_Z39paged_attention_ll4mi_QKV_mfma16_kernelI14__hip_bfloat16S0_LN4vllm18Fp8KVCacheDataTypeE0EhLi16ELi64ELi256ELb0ELi5EEvPKT_PKT0_S8_ifPKiSA_SA_iPKfiiiPfSD_PS3_PT2_iSC_SC_
                                        ; -- End function
	.section	.AMDGPU.csdata,"",@progbits
; Kernel info:
; codeLenInByte = 4048
; NumSgprs: 54
; NumVgprs: 69
; NumAgprs: 0
; TotalNumVgprs: 69
; ScratchSize: 0
; MemoryBound: 0
; FloatMode: 240
; IeeeMode: 1
; LDSByteSize: 8192 bytes/workgroup (compile time only)
; SGPRBlocks: 6
; VGPRBlocks: 8
; NumSGPRsForWavesPerEU: 54
; NumVGPRsForWavesPerEU: 69
; AccumOffset: 72
; Occupancy: 7
; WaveLimiterHint : 1
; COMPUTE_PGM_RSRC2:SCRATCH_EN: 0
; COMPUTE_PGM_RSRC2:USER_SGPR: 2
; COMPUTE_PGM_RSRC2:TRAP_HANDLER: 0
; COMPUTE_PGM_RSRC2:TGID_X_EN: 1
; COMPUTE_PGM_RSRC2:TGID_Y_EN: 1
; COMPUTE_PGM_RSRC2:TGID_Z_EN: 1
; COMPUTE_PGM_RSRC2:TIDIG_COMP_CNT: 0
; COMPUTE_PGM_RSRC3_GFX90A:ACCUM_OFFSET: 17
; COMPUTE_PGM_RSRC3_GFX90A:TG_SPLIT: 0
	.section	.text._Z39paged_attention_ll4mi_QKV_mfma16_kernelI14__hip_bfloat16S0_LN4vllm18Fp8KVCacheDataTypeE0EhLi16ELi64ELi256ELb0ELi6EEvPKT_PKT0_S8_ifPKiSA_SA_iPKfiiiPfSD_PS3_PT2_iSC_SC_,"axG",@progbits,_Z39paged_attention_ll4mi_QKV_mfma16_kernelI14__hip_bfloat16S0_LN4vllm18Fp8KVCacheDataTypeE0EhLi16ELi64ELi256ELb0ELi6EEvPKT_PKT0_S8_ifPKiSA_SA_iPKfiiiPfSD_PS3_PT2_iSC_SC_,comdat
	.protected	_Z39paged_attention_ll4mi_QKV_mfma16_kernelI14__hip_bfloat16S0_LN4vllm18Fp8KVCacheDataTypeE0EhLi16ELi64ELi256ELb0ELi6EEvPKT_PKT0_S8_ifPKiSA_SA_iPKfiiiPfSD_PS3_PT2_iSC_SC_ ; -- Begin function _Z39paged_attention_ll4mi_QKV_mfma16_kernelI14__hip_bfloat16S0_LN4vllm18Fp8KVCacheDataTypeE0EhLi16ELi64ELi256ELb0ELi6EEvPKT_PKT0_S8_ifPKiSA_SA_iPKfiiiPfSD_PS3_PT2_iSC_SC_
	.globl	_Z39paged_attention_ll4mi_QKV_mfma16_kernelI14__hip_bfloat16S0_LN4vllm18Fp8KVCacheDataTypeE0EhLi16ELi64ELi256ELb0ELi6EEvPKT_PKT0_S8_ifPKiSA_SA_iPKfiiiPfSD_PS3_PT2_iSC_SC_
	.p2align	8
	.type	_Z39paged_attention_ll4mi_QKV_mfma16_kernelI14__hip_bfloat16S0_LN4vllm18Fp8KVCacheDataTypeE0EhLi16ELi64ELi256ELb0ELi6EEvPKT_PKT0_S8_ifPKiSA_SA_iPKfiiiPfSD_PS3_PT2_iSC_SC_,@function
_Z39paged_attention_ll4mi_QKV_mfma16_kernelI14__hip_bfloat16S0_LN4vllm18Fp8KVCacheDataTypeE0EhLi16ELi64ELi256ELb0ELi6EEvPKT_PKT0_S8_ifPKiSA_SA_iPKfiiiPfSD_PS3_PT2_iSC_SC_: ; @_Z39paged_attention_ll4mi_QKV_mfma16_kernelI14__hip_bfloat16S0_LN4vllm18Fp8KVCacheDataTypeE0EhLi16ELi64ELi256ELb0ELi6EEvPKT_PKT0_S8_ifPKiSA_SA_iPKfiiiPfSD_PS3_PT2_iSC_SC_
; %bb.0:
	s_load_dwordx2 s[12:13], s[0:1], 0x30
	s_mov_b32 s28, s3
	s_mov_b64 s[6:7], 0
	s_waitcnt lgkmcnt(0)
	s_cmp_lg_u64 s[12:13], 0
	s_cselect_b64 s[14:15], -1, 0
	s_and_b64 vcc, exec, s[14:15]
	s_cbranch_vccz .LBB425_7
; %bb.1:
	s_add_i32 s8, s2, 1
	s_mov_b32 s9, 0
	s_lshl_b64 s[10:11], s[8:9], 2
	s_add_u32 s10, s12, s10
	s_mov_b32 s3, s9
	s_addc_u32 s11, s13, s11
	s_lshl_b64 s[8:9], s[2:3], 2
	s_add_u32 s8, s12, s8
	s_addc_u32 s9, s13, s9
	s_load_dword s5, s[10:11], 0x0
	s_load_dword s16, s[8:9], 0x0
	s_waitcnt lgkmcnt(0)
	s_sub_i32 s5, s5, s16
	s_cmp_eq_u32 s5, 1
	s_cselect_b64 s[8:9], -1, 0
	s_andn2_b64 vcc, exec, s[6:7]
	s_cbranch_vccnz .LBB425_3
.LBB425_2:
	s_mov_b32 s3, 0
	s_mov_b64 s[8:9], -1
.LBB425_3:
	s_andn2_b64 vcc, exec, s[8:9]
	s_cbranch_vccnz .LBB425_18
; %bb.4:
	s_load_dwordx2 s[6:7], s[0:1], 0x28
	s_lshl_b64 s[16:17], s[2:3], 2
	s_waitcnt lgkmcnt(0)
	s_add_u32 s6, s6, s16
	s_addc_u32 s7, s7, s17
	s_load_dword s33, s[6:7], 0x0
	s_lshl_b32 s18, s28, 8
	s_waitcnt lgkmcnt(0)
	s_cmp_ge_i32 s18, s33
	s_cbranch_scc1 .LBB425_18
; %bb.5:
	s_load_dwordx2 s[6:7], s[0:1], 0x20
	s_load_dword s5, s[0:1], 0x38
	s_add_i32 s8, s33, 15
	s_ashr_i32 s9, s8, 31
	v_and_b32_e32 v1, 0xcf, v0
	s_lshr_b32 s9, s9, 28
	v_add_u32_e32 v1, s18, v1
	s_add_i32 s8, s8, s9
	v_ashrrev_i32_e32 v2, 31, v1
	s_ashr_i32 s19, s8, 4
	v_lshrrev_b32_e32 v10, 28, v2
	s_add_i32 s19, s19, -1
	s_waitcnt lgkmcnt(0)
	s_mul_i32 s8, s2, s5
	s_mov_b32 s9, 0
	v_add_u32_e32 v2, v1, v10
	s_lshl_b64 s[8:9], s[8:9], 2
	v_ashrrev_i32_e32 v2, 4, v2
	v_mov_b32_e32 v11, s19
	v_cmp_gt_i32_e32 vcc, s33, v1
	s_add_u32 s6, s6, s8
	s_addc_u32 s7, s7, s9
	v_cndmask_b32_e32 v2, v11, v2, vcc
	v_ashrrev_i32_e32 v3, 31, v2
	v_lshl_add_u64 v[4:5], v[2:3], 2, s[6:7]
	v_or_b32_e32 v2, 16, v1
	v_add_u32_e32 v3, v2, v10
	v_ashrrev_i32_e32 v3, 4, v3
	v_cmp_gt_i32_e32 vcc, s33, v2
	s_load_dwordx4 s[8:11], s[0:1], 0x8
	s_nop 0
	v_cndmask_b32_e32 v2, v11, v3, vcc
	v_ashrrev_i32_e32 v3, 31, v2
	v_lshl_add_u64 v[6:7], v[2:3], 2, s[6:7]
	v_or_b32_e32 v2, 32, v1
	v_add_u32_e32 v3, v2, v10
	v_ashrrev_i32_e32 v3, 4, v3
	v_cmp_gt_i32_e32 vcc, s33, v2
	v_or_b32_e32 v1, 48, v1
	s_nop 0
	v_cndmask_b32_e32 v2, v11, v3, vcc
	v_ashrrev_i32_e32 v3, 31, v2
	v_lshl_add_u64 v[8:9], v[2:3], 2, s[6:7]
	v_add_u32_e32 v2, v1, v10
	v_ashrrev_i32_e32 v2, 4, v2
	v_cmp_gt_i32_e32 vcc, s33, v1
	s_nop 1
	v_cndmask_b32_e32 v2, v11, v2, vcc
	v_ashrrev_i32_e32 v3, 31, v2
	v_lshl_add_u64 v[12:13], v[2:3], 2, s[6:7]
	global_load_dword v3, v[4:5], off
	global_load_dword v2, v[6:7], off
	;; [unrolled: 1-line block ×4, first 2 shown]
	s_andn2_b64 vcc, exec, s[14:15]
	s_cbranch_vccnz .LBB425_8
; %bb.6:
	s_add_u32 s12, s12, s16
	s_addc_u32 s13, s13, s17
	s_load_dword s5, s[12:13], 0x0
	s_branch .LBB425_9
.LBB425_7:
	s_mov_b64 s[8:9], 0
	s_branch .LBB425_2
.LBB425_8:
	s_mov_b32 s5, s2
.LBB425_9:
	s_load_dwordx4 s[44:47], s[0:1], 0x48
	v_lshrrev_b32_e32 v37, 6, v0
	v_bfe_u32 v54, v0, 4, 2
	v_lshl_or_b32 v1, v37, 2, v54
	v_and_b32_e32 v36, 15, v0
	v_lshlrev_b32_e32 v4, 3, v36
	v_cmp_gt_u32_e32 vcc, 6, v1
	v_cmp_gt_u32_e64 s[30:31], 8, v36
	v_and_b32_e32 v55, 63, v0
	s_mul_i32 s42, s4, 6
	s_and_b64 s[14:15], s[30:31], vcc
	v_lshlrev_b32_e32 v34, 1, v4
	s_and_saveexec_b64 s[12:13], s[14:15]
	s_cbranch_execz .LBB425_11
; %bb.10:
	s_load_dwordx2 s[14:15], s[0:1], 0x0
	s_waitcnt lgkmcnt(0)
	s_ashr_i32 s16, s44, 31
	s_mul_hi_u32 s17, s5, s44
	s_mul_i32 s16, s5, s16
	s_add_i32 s17, s17, s16
	s_mul_i32 s16, s5, s44
	s_lshl_b64 s[16:17], s[16:17], 1
	s_add_u32 s14, s14, s16
	v_add_lshl_u32 v4, v1, s42, 6
	s_addc_u32 s15, s15, s17
	v_ashrrev_i32_e32 v5, 31, v4
	v_lshl_add_u64 v[4:5], v[4:5], 1, s[14:15]
	v_mov_b32_e32 v35, 0
	v_lshl_add_u64 v[4:5], v[4:5], 0, v[34:35]
	global_load_dwordx4 v[4:7], v[4:5], off
	v_and_b32_e32 v8, 3, v0
	v_lshlrev_b32_e32 v9, 9, v36
	v_lshlrev_b32_e32 v1, 5, v1
	;; [unrolled: 1-line block ×3, first 2 shown]
	v_and_b32_e32 v9, 0x1800, v9
	v_or3_b32 v1, v9, v8, v1
	s_waitcnt vmcnt(0)
	ds_write_b128 v1, v[4:7]
.LBB425_11:
	s_or_b64 exec, exec, s[12:13]
	s_waitcnt lgkmcnt(0)
	s_mul_i32 s4, s4, s46
	s_mov_b32 s5, 0
	s_lshl_b64 s[4:5], s[4:5], 1
	s_add_u32 s8, s8, s4
	v_lshlrev_b32_e32 v1, 4, v0
	s_addc_u32 s9, s9, s5
	v_and_b32_e32 v30, 0xf0, v1
	v_mov_b32_e32 v31, 0
	v_lshl_add_u64 v[18:19], s[8:9], 0, v[30:31]
	s_waitcnt vmcnt(3)
	v_mad_i64_i32 v[4:5], s[8:9], v3, s45, 0
	v_lshl_add_u64 v[4:5], v[4:5], 1, v[18:19]
	v_and_b32_e32 v30, 0x300, v1
	s_waitcnt vmcnt(2)
	v_mad_i64_i32 v[2:3], s[8:9], v2, s45, 0
	v_lshl_add_u64 v[14:15], v[4:5], 0, v[30:31]
	v_lshl_add_u64 v[2:3], v[2:3], 1, v[18:19]
	s_load_dword s29, s[0:1], 0x98
	s_load_dword s12, s[0:1], 0x1c
	s_waitcnt lgkmcnt(0)
	s_barrier
	global_load_dwordx4 v[6:9], v[14:15], off
	global_load_dwordx4 v[26:29], v[14:15], off offset:1024
	v_lshl_add_u64 v[32:33], v[2:3], 0, v[30:31]
	global_load_dwordx4 v[2:5], v[32:33], off
	global_load_dwordx4 v[46:49], v[32:33], off offset:1024
	s_waitcnt vmcnt(5)
	v_mad_i64_i32 v[10:11], s[8:9], v10, s45, 0
	v_lshl_add_u64 v[10:11], v[10:11], 1, v[18:19]
	v_lshl_add_u64 v[38:39], v[10:11], 0, v[30:31]
	global_load_dwordx4 v[10:13], v[38:39], off
	global_load_dwordx4 v[56:59], v[38:39], off offset:1024
	s_waitcnt vmcnt(6)
	v_mad_i64_i32 v[16:17], s[8:9], v16, s45, 0
	v_lshl_add_u64 v[16:17], v[16:17], 1, v[18:19]
	v_lshl_add_u64 v[40:41], v[16:17], 0, v[30:31]
	global_load_dwordx4 v[18:21], v[40:41], off
	v_mul_lo_u16_e32 v16, 43, v36
	v_mov_b32_e32 v17, 6
	v_mul_lo_u16_sdwa v16, v16, v17 dst_sel:DWORD dst_unused:UNUSED_PAD src0_sel:BYTE_1 src1_sel:DWORD
	v_mov_b32_e32 v22, 5
	v_sub_u16_e32 v16, v36, v16
	v_lshlrev_b32_sdwa v16, v22, v16 dst_sel:DWORD dst_unused:UNUSED_PAD src0_sel:DWORD src1_sel:BYTE_0
	v_lshl_add_u32 v16, v54, 9, v16
	ds_read_b128 v[22:25], v16
	global_load_dwordx4 v[38:41], v[40:41], off offset:1024
	v_and_or_b32 v30, v0, 48, s18
	v_mov_b32_e32 v68, s19
	v_cmp_gt_i32_e32 vcc, s33, v30
	ds_read_b128 v[14:17], v16 offset:2048
	v_lshlrev_b32_e32 v35, 5, v36
	s_add_u32 s4, s10, s4
	s_addc_u32 s5, s11, s5
	s_mov_b32 s43, 0xff7fffff
	s_waitcnt vmcnt(7) lgkmcnt(1)
	v_mfma_f32_16x16x16_bf16 v[42:45], v[6:7], v[22:23], 0
	v_ashrrev_i32_e32 v6, 4, v30
	v_or_b32_e32 v7, 64, v30
	s_waitcnt vmcnt(5)
	v_mfma_f32_16x16x16_bf16 v[50:53], v[2:3], v[22:23], 0
	v_cndmask_b32_e32 v2, v68, v6, vcc
	v_ashrrev_i32_e32 v3, 31, v2
	v_ashrrev_i32_e32 v6, 4, v7
	v_cmp_gt_i32_e32 vcc, s33, v7
	v_lshl_add_u64 v[2:3], v[2:3], 2, s[6:7]
	s_waitcnt vmcnt(3)
	v_mfma_f32_16x16x16_bf16 v[60:63], v[10:11], v[22:23], 0
	v_cndmask_b32_e32 v10, v68, v6, vcc
	v_ashrrev_i32_e32 v11, 31, v10
	v_lshl_add_u64 v[10:11], v[10:11], 2, s[6:7]
	v_mfma_f32_16x16x16_bf16 v[6:9], v[8:9], v[24:25], v[42:45]
	s_nop 2
	global_load_dword v42, v[2:3], off
	global_load_dword v43, v[10:11], off
	s_waitcnt vmcnt(3)
	v_mfma_f32_16x16x16_bf16 v[64:67], v[18:19], v[22:23], 0
	v_or_b32_e32 v22, 0x80, v30
	v_or_b32_e32 v23, 0xc0, v30
	v_ashrrev_i32_e32 v30, 4, v22
	v_cmp_gt_i32_e32 vcc, s33, v22
	v_ashrrev_i32_e32 v32, 4, v23
	v_mfma_f32_16x16x16_bf16 v[2:5], v[4:5], v[24:25], v[50:53]
	v_cndmask_b32_e32 v22, v68, v30, vcc
	v_cmp_gt_i32_e32 vcc, s33, v23
	v_ashrrev_i32_e32 v23, 31, v22
	v_mfma_f32_16x16x16_bf16 v[10:13], v[12:13], v[24:25], v[60:63]
	v_lshl_or_b32 v30, v37, 9, v35
	v_mfma_f32_16x16x16_bf16 v[18:21], v[20:21], v[24:25], v[64:67]
	v_cndmask_b32_e32 v24, v68, v32, vcc
	v_ashrrev_i32_e32 v25, 31, v24
	v_lshl_add_u64 v[32:33], v[24:25], 2, s[6:7]
	s_waitcnt lgkmcnt(0)
	v_mfma_f32_16x16x16_bf16 v[6:9], v[26:27], v[14:15], v[6:9]
	v_lshl_add_u64 v[26:27], v[22:23], 2, s[6:7]
	global_load_dword v60, v[26:27], off
	global_load_dword v61, v[32:33], off
	v_mfma_f32_16x16x16_bf16 v[2:5], v[46:47], v[14:15], v[2:5]
	v_mfma_f32_16x16x16_bf16 v[22:25], v[56:57], v[14:15], v[10:13]
	s_waitcnt vmcnt(4)
	v_mfma_f32_16x16x16_bf16 v[18:21], v[38:39], v[14:15], v[18:21]
	s_nop 0
	v_lshl_add_u64 v[10:11], s[4:5], 0, v[30:31]
	s_waitcnt vmcnt(3)
	v_mad_i64_i32 v[26:27], s[4:5], v42, s45, 0
	v_mfma_f32_16x16x16_bf16 v[12:15], v[28:29], v[16:17], v[6:9]
	v_lshl_add_u64 v[30:31], v[26:27], 1, v[10:11]
	s_waitcnt vmcnt(2)
	v_mad_i64_i32 v[32:33], s[4:5], v43, s45, 0
	v_mfma_f32_16x16x16_bf16 v[26:29], v[48:49], v[16:17], v[2:5]
	v_lshl_add_u64 v[56:57], v[32:33], 1, v[10:11]
	s_nop 1
	v_pk_mul_f32 v[50:51], s[12:13], v[14:15] op_sel_hi:[0,1]
	v_pk_mul_f32 v[12:13], s[12:13], v[12:13] op_sel_hi:[0,1]
	v_mfma_f32_16x16x16_bf16 v[22:25], v[58:59], v[16:17], v[22:25]
	global_load_dwordx4 v[6:9], v[30:31], off
	global_load_dwordx4 v[2:5], v[30:31], off offset:16
	v_pk_mul_f32 v[42:43], s[12:13], v[26:27] op_sel_hi:[0,1]
	v_pk_mul_f32 v[52:53], s[12:13], v[28:29] op_sel_hi:[0,1]
	v_mfma_f32_16x16x16_bf16 v[14:17], v[40:41], v[16:17], v[18:21]
	s_nop 1
	v_pk_mul_f32 v[46:47], s[12:13], v[22:23] op_sel_hi:[0,1]
	v_pk_mul_f32 v[48:49], s[12:13], v[24:25] op_sel_hi:[0,1]
	global_load_dwordx4 v[30:33], v[56:57], off
	global_load_dwordx4 v[26:29], v[56:57], off offset:16
	s_nop 0
	v_pk_mul_f32 v[44:45], s[12:13], v[14:15] op_sel_hi:[0,1]
	v_and_b32_e32 v14, 0xc0, v0
	v_add_u32_e32 v14, s18, v14
	v_lshl_or_b32 v14, v54, 2, v14
	v_pk_mul_f32 v[38:39], s[12:13], v[16:17] op_sel_hi:[0,1]
	v_or_b32_e32 v17, 1, v14
	v_mov_b32_e32 v15, 0xff7fffff
	v_cmp_gt_i32_e64 s[4:5], s33, v14
	v_cmp_gt_i32_e64 s[34:35], s33, v17
	v_or_b32_e32 v18, 3, v14
	v_cndmask_b32_e64 v16, v15, v12, s[4:5]
	v_cndmask_b32_e64 v17, v15, v13, s[34:35]
	v_max3_f32 v16, v16, s43, v17
	v_or_b32_e32 v17, 2, v14
	v_cmp_gt_i32_e64 s[36:37], s33, v17
	v_cmp_gt_i32_e64 s[38:39], s33, v18
	s_nop 0
	v_cndmask_b32_e64 v17, v15, v50, s[36:37]
	v_cndmask_b32_e64 v18, v15, v51, s[38:39]
	v_max3_f32 v16, v16, v17, v18
	v_or_b32_e32 v17, 16, v14
	v_or_b32_e32 v18, 17, v14
	v_cmp_gt_i32_e64 s[24:25], s33, v17
	v_cmp_gt_i32_e64 s[26:27], s33, v18
	s_nop 0
	v_cndmask_b32_e64 v17, v15, v42, s[24:25]
	v_cndmask_b32_e64 v18, v15, v43, s[26:27]
	v_max3_f32 v16, v16, v17, v18
	v_or_b32_e32 v17, 18, v14
	;; [unrolled: 8-line block ×6, first 2 shown]
	v_or_b32_e32 v14, 51, v14
	v_cmp_gt_i32_e32 vcc, s33, v17
	v_cmp_gt_i32_e64 s[6:7], s33, v14
	s_nop 0
	v_cndmask_b32_e32 v17, v15, v38, vcc
	v_cndmask_b32_e64 v14, v15, v39, s[6:7]
	v_max3_f32 v16, v16, v17, v14
	v_mbcnt_lo_u32_b32 v14, -1, 0
	v_mbcnt_hi_u32_b32 v17, -1, v14
	v_and_b32_e32 v14, 64, v17
	v_add_u32_e32 v18, 64, v14
	v_xor_b32_e32 v14, 32, v17
	v_cmp_lt_i32_e64 s[40:41], v14, v18
	s_nop 1
	v_cndmask_b32_e64 v14, v17, v14, s[40:41]
	v_lshlrev_b32_e32 v58, 2, v14
	ds_bpermute_b32 v19, v58, v16
	s_waitcnt vmcnt(5)
	v_mad_i64_i32 v[14:15], s[40:41], v60, s45, 0
	v_lshl_add_u64 v[14:15], v[14:15], 1, v[10:11]
	s_waitcnt lgkmcnt(0)
	v_max_f32_e32 v19, v19, v19
	v_max_f32_e32 v16, v16, v19
	v_xor_b32_e32 v19, 16, v17
	v_cmp_lt_i32_e64 s[40:41], v19, v18
	s_nop 1
	v_cndmask_b32_e64 v17, v17, v19, s[40:41]
	v_lshlrev_b32_e32 v57, 2, v17
	ds_bpermute_b32 v17, v57, v16
	global_load_dwordx4 v[22:25], v[14:15], off
	global_load_dwordx4 v[18:21], v[14:15], off offset:16
	s_waitcnt vmcnt(6)
	v_mad_i64_i32 v[14:15], s[40:41], v61, s45, 0
	v_lshl_add_u64 v[10:11], v[14:15], 1, v[10:11]
	s_waitcnt lgkmcnt(0)
	v_max_f32_e32 v14, v17, v17
	v_max_f32_e32 v56, v16, v14
	v_sub_f32_e32 v12, v12, v56
	v_mul_f32_e32 v12, 0x3fb8aa3b, v12
	v_exp_f32_e32 v40, v12
	v_sub_f32_e32 v12, v13, v56
	v_mul_f32_e32 v12, 0x3fb8aa3b, v12
	v_exp_f32_e32 v41, v12
	global_load_dwordx4 v[14:17], v[10:11], off
	s_nop 0
	global_load_dwordx4 v[10:13], v[10:11], off offset:16
	v_sub_f32_e32 v50, v50, v56
	v_mul_f32_e32 v50, 0x3fb8aa3b, v50
	v_sub_f32_e32 v51, v51, v56
	v_exp_f32_e32 v50, v50
	v_mul_f32_e32 v51, 0x3fb8aa3b, v51
	v_sub_f32_e32 v42, v42, v56
	v_exp_f32_e32 v51, v51
	v_mul_f32_e32 v42, 0x3fb8aa3b, v42
	v_sub_f32_e32 v43, v43, v56
	v_cndmask_b32_e64 v40, 0, v40, s[4:5]
	v_exp_f32_e32 v42, v42
	v_mul_f32_e32 v43, 0x3fb8aa3b, v43
	v_sub_f32_e32 v52, v52, v56
	v_add_f32_e32 v59, 0, v40
	v_cndmask_b32_e64 v41, 0, v41, s[34:35]
	v_exp_f32_e32 v43, v43
	v_mul_f32_e32 v52, 0x3fb8aa3b, v52
	v_sub_f32_e32 v53, v53, v56
	v_add_f32_e32 v59, v59, v41
	v_cndmask_b32_e64 v50, 0, v50, s[36:37]
	v_exp_f32_e32 v52, v52
	v_mul_f32_e32 v53, 0x3fb8aa3b, v53
	v_sub_f32_e32 v46, v46, v56
	v_add_f32_e32 v59, v59, v50
	v_cndmask_b32_e64 v51, 0, v51, s[38:39]
	v_exp_f32_e32 v53, v53
	v_mul_f32_e32 v46, 0x3fb8aa3b, v46
	v_sub_f32_e32 v47, v47, v56
	v_add_f32_e32 v59, v59, v51
	v_cndmask_b32_e64 v42, 0, v42, s[24:25]
	v_exp_f32_e32 v46, v46
	v_mul_f32_e32 v47, 0x3fb8aa3b, v47
	v_sub_f32_e32 v48, v48, v56
	v_add_f32_e32 v59, v59, v42
	v_cndmask_b32_e64 v43, 0, v43, s[26:27]
	v_exp_f32_e32 v47, v47
	v_mul_f32_e32 v48, 0x3fb8aa3b, v48
	v_sub_f32_e32 v49, v49, v56
	v_add_f32_e32 v59, v59, v43
	v_cndmask_b32_e64 v52, 0, v52, s[20:21]
	v_exp_f32_e32 v48, v48
	v_mul_f32_e32 v49, 0x3fb8aa3b, v49
	v_sub_f32_e32 v44, v44, v56
	v_add_f32_e32 v59, v59, v52
	v_cndmask_b32_e64 v53, 0, v53, s[22:23]
	v_exp_f32_e32 v49, v49
	v_mul_f32_e32 v44, 0x3fb8aa3b, v44
	v_sub_f32_e32 v45, v45, v56
	v_add_f32_e32 v59, v59, v53
	v_cndmask_b32_e64 v46, 0, v46, s[16:17]
	v_exp_f32_e32 v44, v44
	v_mul_f32_e32 v45, 0x3fb8aa3b, v45
	v_sub_f32_e32 v38, v38, v56
	v_add_f32_e32 v59, v59, v46
	v_cndmask_b32_e64 v47, 0, v47, s[18:19]
	v_exp_f32_e32 v45, v45
	v_mul_f32_e32 v38, 0x3fb8aa3b, v38
	v_sub_f32_e32 v39, v39, v56
	v_add_f32_e32 v59, v59, v47
	v_cndmask_b32_e64 v48, 0, v48, s[12:13]
	v_exp_f32_e32 v38, v38
	v_mul_f32_e32 v39, 0x3fb8aa3b, v39
	v_add_f32_e32 v59, v59, v48
	v_cndmask_b32_e64 v49, 0, v49, s[14:15]
	v_exp_f32_e32 v39, v39
	v_add_f32_e32 v59, v59, v49
	v_cndmask_b32_e64 v44, 0, v44, s[8:9]
	v_add_f32_e32 v59, v59, v44
	v_cndmask_b32_e64 v45, 0, v45, s[10:11]
	v_add_f32_e32 v59, v59, v45
	v_cndmask_b32_e32 v38, 0, v38, vcc
	v_add_f32_e32 v59, v59, v38
	v_cndmask_b32_e64 v39, 0, v39, s[6:7]
	v_add_f32_e32 v59, v59, v39
	ds_bpermute_b32 v58, v58, v59
	v_cmp_gt_u32_e32 vcc, 16, v55
	s_waitcnt lgkmcnt(0)
	s_barrier
	v_add_f32_e32 v58, v59, v58
	ds_bpermute_b32 v59, v57, v58
	v_lshlrev_b32_e32 v57, 2, v36
	s_and_saveexec_b64 s[4:5], vcc
	s_cbranch_execz .LBB425_13
; %bb.12:
	s_waitcnt lgkmcnt(0)
	v_add_f32_e32 v55, v58, v59
	v_lshl_or_b32 v58, v37, 6, v57
	ds_write2st64_b32 v58, v56, v55 offset1:1
.LBB425_13:
	s_or_b64 exec, exec, s[4:5]
	s_load_dword s6, s[0:1], 0x94
	s_waitcnt lgkmcnt(0)
	s_barrier
	ds_read2_b32 v[58:59], v57 offset1:16
	ds_read2_b32 v[60:61], v57 offset0:32 offset1:48
	ds_read2_b32 v[62:63], v57 offset0:64 offset1:80
	s_movk_i32 s8, 0x7fff
	s_mov_b32 s9, 0x7060302
	s_waitcnt lgkmcnt(2)
	v_max3_f32 v55, v58, s43, v59
	s_waitcnt lgkmcnt(1)
	v_max3_f32 v55, v55, v60, v61
	v_sub_f32_e32 v56, v58, v55
	v_mul_f32_e32 v56, 0x3fb8aa3b, v56
	v_exp_f32_e32 v64, v56
	v_sub_f32_e32 v56, v59, v55
	v_mul_f32_e32 v56, 0x3fb8aa3b, v56
	v_exp_f32_e32 v65, v56
	;; [unrolled: 3-line block ×3, first 2 shown]
	ds_read2_b32 v[58:59], v57 offset0:96 offset1:112
	v_sub_f32_e32 v56, v61, v55
	v_mul_f32_e32 v56, 0x3fb8aa3b, v56
	v_exp_f32_e32 v57, v56
	s_waitcnt lgkmcnt(1)
	v_fma_f32 v56, v64, v62, 0
	v_fmac_f32_e32 v56, v65, v63
	s_waitcnt lgkmcnt(0)
	v_fmac_f32_e32 v56, v60, v58
	v_fmac_f32_e32 v56, v57, v59
	v_add_f32_e32 v58, 0x358637bd, v56
	v_div_scale_f32 v59, s[4:5], v58, v58, 1.0
	v_rcp_f32_e32 v61, v59
	s_barrier
	v_fma_f32 v62, -v59, v61, 1.0
	v_fmac_f32_e32 v61, v62, v61
	v_div_scale_f32 v62, vcc, 1.0, v58, 1.0
	v_mul_f32_e32 v63, v62, v61
	v_fma_f32 v66, -v59, v63, v62
	v_fmac_f32_e32 v63, v66, v61
	v_fma_f32 v59, -v59, v63, v62
	v_div_fmas_f32 v59, v59, v61, v63
	v_cmp_eq_u32_e32 vcc, 1, v37
	v_div_fixup_f32 v58, v59, v58, 1.0
	s_mul_i32 s7, s29, 6
	v_cndmask_b32_e32 v59, v64, v65, vcc
	v_cmp_eq_u32_e32 vcc, 2, v37
	s_nop 1
	v_cndmask_b32_e32 v59, v59, v60, vcc
	v_cmp_eq_u32_e32 vcc, 3, v37
	v_lshlrev_b32_e32 v37, 11, v37
	s_nop 0
	v_cndmask_b32_e32 v57, v59, v57, vcc
	v_mul_f32_e32 v58, v57, v58
	v_pk_mul_f32 v[40:41], v[58:59], v[40:41] op_sel_hi:[0,1]
	v_pk_mul_f32 v[50:51], v[58:59], v[50:51] op_sel_hi:[0,1]
	v_bfe_u32 v57, v41, 16, 1
	v_bfe_u32 v59, v40, 16, 1
	v_add3_u32 v40, v40, v59, s8
	v_add3_u32 v41, v41, v57, s8
	v_perm_b32 v60, v41, v40, s9
	v_bfe_u32 v40, v51, 16, 1
	v_bfe_u32 v41, v50, 16, 1
	v_add3_u32 v41, v50, v41, s8
	v_add3_u32 v40, v51, v40, s8
	v_perm_b32 v61, v40, v41, s9
	v_lshlrev_b32_e32 v40, 3, v54
	v_pk_mul_f32 v[42:43], v[58:59], v[42:43] op_sel_hi:[0,1]
	v_or3_b32 v40, v37, v35, v40
	v_bfe_u32 v37, v43, 16, 1
	v_bfe_u32 v41, v42, 16, 1
	v_pk_mul_f32 v[50:51], v[58:59], v[52:53] op_sel_hi:[0,1]
	v_add3_u32 v41, v42, v41, s8
	v_add3_u32 v37, v43, v37, s8
	v_perm_b32 v42, v37, v41, s9
	v_bfe_u32 v37, v51, 16, 1
	v_bfe_u32 v41, v50, 16, 1
	v_add3_u32 v41, v50, v41, s8
	v_add3_u32 v37, v51, v37, s8
	v_pk_mul_f32 v[46:47], v[58:59], v[46:47] op_sel_hi:[0,1]
	v_perm_b32 v43, v37, v41, s9
	v_bfe_u32 v37, v47, 16, 1
	v_bfe_u32 v41, v46, 16, 1
	ds_write2st64_b64 v40, v[60:61], v[42:43] offset1:1
	v_pk_mul_f32 v[42:43], v[58:59], v[48:49] op_sel_hi:[0,1]
	v_add3_u32 v41, v46, v41, s8
	v_add3_u32 v37, v47, v37, s8
	v_perm_b32 v46, v37, v41, s9
	v_bfe_u32 v37, v43, 16, 1
	v_bfe_u32 v41, v42, 16, 1
	v_add3_u32 v41, v42, v41, s8
	v_add3_u32 v37, v43, v37, s8
	v_pk_mul_f32 v[42:43], v[58:59], v[44:45] op_sel_hi:[0,1]
	v_perm_b32 v47, v37, v41, s9
	v_bfe_u32 v37, v43, 16, 1
	v_bfe_u32 v41, v42, 16, 1
	v_pk_mul_f32 v[38:39], v[58:59], v[38:39] op_sel_hi:[0,1]
	v_add3_u32 v41, v42, v41, s8
	v_add3_u32 v37, v43, v37, s8
	v_perm_b32 v42, v37, v41, s9
	v_bfe_u32 v37, v39, 16, 1
	v_bfe_u32 v41, v38, 16, 1
	v_add3_u32 v38, v38, v41, s8
	v_add3_u32 v37, v39, v37, s8
	v_perm_b32 v43, v37, v38, s9
	v_cmp_gt_u32_e32 vcc, 6, v0
	ds_write2st64_b64 v40, v[46:47], v[42:43] offset0:2 offset1:3
	s_and_saveexec_b64 s[4:5], vcc
	s_cbranch_execz .LBB425_15
; %bb.14:
	s_mov_b32 s43, 0
	v_mov_b32_e32 v37, 0
	v_lshl_add_u64 v[38:39], s[42:43], 0, v[36:37]
	v_mov_b32_e32 v36, s7
	v_mad_u64_u32 v[38:39], s[10:11], s2, v36, v[38:39]
	v_mov_b32_e32 v36, s28
	s_load_dwordx4 s[12:15], s[0:1], 0x58
	s_mul_i32 s3, s3, s7
	v_mad_u64_u32 v[36:37], s[10:11], v38, s6, v[36:37]
	v_add_u32_e32 v39, s3, v39
	v_mov_b32_e32 v38, v37
	v_mad_u64_u32 v[38:39], s[10:11], v39, s6, v[38:39]
	v_mov_b32_e32 v37, v38
	v_lshlrev_b64 v[36:37], 2, v[36:37]
	s_waitcnt lgkmcnt(0)
	v_lshl_add_u64 v[38:39], s[14:15], 0, v[36:37]
	v_lshl_add_u64 v[36:37], s[12:13], 0, v[36:37]
	global_store_dword v[38:39], v55, off
	global_store_dword v[36:37], v56, off
.LBB425_15:
	s_or_b64 exec, exec, s[4:5]
	v_lshl_or_b32 v35, v54, 9, v35
	s_waitcnt lgkmcnt(0)
	s_barrier
	ds_read_b128 v[36:39], v35
	ds_read_b128 v[42:45], v35 offset:16
	s_waitcnt vmcnt(7) lgkmcnt(1)
	v_mfma_f32_16x16x16_bf16 v[46:49], v[6:7], v[36:37], 0
	v_cmp_gt_u32_e32 vcc, 64, v0
	s_mov_b32 s3, 0
	s_and_b64 s[4:5], vcc, s[30:31]
	v_mfma_f32_16x16x16_bf16 v[6:9], v[8:9], v[38:39], v[46:49]
	s_waitcnt vmcnt(6) lgkmcnt(0)
	v_mfma_f32_16x16x16_bf16 v[6:9], v[2:3], v[42:43], v[6:9]
	v_mfma_f32_16x16x16_bf16 v[2:5], v[4:5], v[44:45], v[6:9]
	s_nop 5
	ds_read_b128 v[6:9], v35 offset:2048
	ds_read_b128 v[36:39], v35 offset:2064
	s_waitcnt vmcnt(5) lgkmcnt(1)
	v_mfma_f32_16x16x16_bf16 v[2:5], v[30:31], v[6:7], v[2:5]
	v_mfma_f32_16x16x16_bf16 v[2:5], v[32:33], v[8:9], v[2:5]
	s_waitcnt vmcnt(4) lgkmcnt(0)
	v_mfma_f32_16x16x16_bf16 v[2:5], v[26:27], v[36:37], v[2:5]
	v_mfma_f32_16x16x16_bf16 v[2:5], v[28:29], v[38:39], v[2:5]
	ds_read_b128 v[6:9], v35 offset:4096
	ds_read_b128 v[26:29], v35 offset:4112
	s_waitcnt vmcnt(3) lgkmcnt(1)
	v_mfma_f32_16x16x16_bf16 v[2:5], v[22:23], v[6:7], v[2:5]
	v_mfma_f32_16x16x16_bf16 v[2:5], v[24:25], v[8:9], v[2:5]
	s_waitcnt vmcnt(2) lgkmcnt(0)
	v_mfma_f32_16x16x16_bf16 v[2:5], v[18:19], v[26:27], v[2:5]
	v_mfma_f32_16x16x16_bf16 v[2:5], v[20:21], v[28:29], v[2:5]
	ds_read_b128 v[6:9], v35 offset:6144
	ds_read_b128 v[18:21], v35 offset:6160
	v_mov_b32_e32 v35, 0
	s_waitcnt vmcnt(1) lgkmcnt(0)
	v_mfma_f32_16x16x16_bf16 v[2:5], v[14:15], v[6:7], v[2:5]
	s_barrier
	v_mfma_f32_16x16x16_bf16 v[2:5], v[16:17], v[8:9], v[2:5]
	s_waitcnt vmcnt(0)
	v_mfma_f32_16x16x16_bf16 v[2:5], v[10:11], v[18:19], v[2:5]
	v_mfma_f32_16x16x16_bf16 v[2:5], v[12:13], v[20:21], v[2:5]
	s_nop 6
	v_bfe_u32 v6, v3, 16, 1
	v_bfe_u32 v7, v2, 16, 1
	v_bfe_u32 v8, v5, 16, 1
	v_bfe_u32 v9, v4, 16, 1
	v_add3_u32 v2, v2, v7, s8
	v_add3_u32 v3, v3, v6, s8
	;; [unrolled: 1-line block ×4, first 2 shown]
	v_perm_b32 v2, v3, v2, s9
	v_perm_b32 v3, v5, v4, s9
	ds_write_b64 v40, v[2:3]
	s_waitcnt lgkmcnt(0)
	s_barrier
	s_and_saveexec_b64 s[8:9], s[4:5]
	s_cbranch_execz .LBB425_18
; %bb.16:
	s_load_dwordx2 s[4:5], s[0:1], 0x68
	s_lshl_b32 s0, s6, 6
	s_mul_i32 s1, s7, s2
	s_mul_hi_u32 s7, s1, s0
	s_mul_i32 s6, s1, s0
	v_lshlrev_b32_e32 v0, 10, v0
	s_lshl_b64 s[6:7], s[6:7], 1
	v_and_b32_e32 v0, 0x1800, v0
	v_lshlrev_b32_e32 v3, 5, v54
	v_and_b32_e32 v1, 16, v1
	s_waitcnt lgkmcnt(0)
	s_add_u32 s1, s4, s6
	v_or3_b32 v3, v0, v3, v1
	s_addc_u32 s4, s5, s7
	s_lshl_b32 s2, s28, 6
	s_lshl_b64 s[2:3], s[2:3], 1
	ds_read_b128 v[4:7], v3
	s_add_u32 s2, s1, s2
	s_addc_u32 s3, s4, s3
	v_add_u32_e32 v8, s42, v54
	v_or_b32_e32 v2, 4, v54
	v_lshl_add_u64 v[0:1], s[2:3], 0, v[34:35]
	v_mad_u64_u32 v[8:9], s[2:3], v8, s0, 0
	v_lshl_add_u64 v[8:9], v[8:9], 1, v[0:1]
	v_cmp_gt_u32_e32 vcc, 6, v2
	s_waitcnt lgkmcnt(0)
	global_store_dwordx4 v[8:9], v[4:7], off
	s_and_b64 exec, exec, vcc
	s_cbranch_execz .LBB425_18
; %bb.17:
	ds_read_b128 v[4:7], v3 offset:128
	v_add_u32_e32 v2, s42, v2
	v_mad_u64_u32 v[2:3], s[0:1], v2, s0, 0
	v_lshl_add_u64 v[0:1], v[2:3], 1, v[0:1]
	s_waitcnt lgkmcnt(0)
	global_store_dwordx4 v[0:1], v[4:7], off
.LBB425_18:
	s_endpgm
	.section	.rodata,"a",@progbits
	.p2align	6, 0x0
	.amdhsa_kernel _Z39paged_attention_ll4mi_QKV_mfma16_kernelI14__hip_bfloat16S0_LN4vllm18Fp8KVCacheDataTypeE0EhLi16ELi64ELi256ELb0ELi6EEvPKT_PKT0_S8_ifPKiSA_SA_iPKfiiiPfSD_PS3_PT2_iSC_SC_
		.amdhsa_group_segment_fixed_size 8192
		.amdhsa_private_segment_fixed_size 0
		.amdhsa_kernarg_size 400
		.amdhsa_user_sgpr_count 2
		.amdhsa_user_sgpr_dispatch_ptr 0
		.amdhsa_user_sgpr_queue_ptr 0
		.amdhsa_user_sgpr_kernarg_segment_ptr 1
		.amdhsa_user_sgpr_dispatch_id 0
		.amdhsa_user_sgpr_kernarg_preload_length 0
		.amdhsa_user_sgpr_kernarg_preload_offset 0
		.amdhsa_user_sgpr_private_segment_size 0
		.amdhsa_uses_dynamic_stack 0
		.amdhsa_enable_private_segment 0
		.amdhsa_system_sgpr_workgroup_id_x 1
		.amdhsa_system_sgpr_workgroup_id_y 1
		.amdhsa_system_sgpr_workgroup_id_z 1
		.amdhsa_system_sgpr_workgroup_info 0
		.amdhsa_system_vgpr_workitem_id 0
		.amdhsa_next_free_vgpr 69
		.amdhsa_next_free_sgpr 48
		.amdhsa_accum_offset 72
		.amdhsa_reserve_vcc 1
		.amdhsa_float_round_mode_32 0
		.amdhsa_float_round_mode_16_64 0
		.amdhsa_float_denorm_mode_32 3
		.amdhsa_float_denorm_mode_16_64 3
		.amdhsa_dx10_clamp 1
		.amdhsa_ieee_mode 1
		.amdhsa_fp16_overflow 0
		.amdhsa_tg_split 0
		.amdhsa_exception_fp_ieee_invalid_op 0
		.amdhsa_exception_fp_denorm_src 0
		.amdhsa_exception_fp_ieee_div_zero 0
		.amdhsa_exception_fp_ieee_overflow 0
		.amdhsa_exception_fp_ieee_underflow 0
		.amdhsa_exception_fp_ieee_inexact 0
		.amdhsa_exception_int_div_zero 0
	.end_amdhsa_kernel
	.section	.text._Z39paged_attention_ll4mi_QKV_mfma16_kernelI14__hip_bfloat16S0_LN4vllm18Fp8KVCacheDataTypeE0EhLi16ELi64ELi256ELb0ELi6EEvPKT_PKT0_S8_ifPKiSA_SA_iPKfiiiPfSD_PS3_PT2_iSC_SC_,"axG",@progbits,_Z39paged_attention_ll4mi_QKV_mfma16_kernelI14__hip_bfloat16S0_LN4vllm18Fp8KVCacheDataTypeE0EhLi16ELi64ELi256ELb0ELi6EEvPKT_PKT0_S8_ifPKiSA_SA_iPKfiiiPfSD_PS3_PT2_iSC_SC_,comdat
.Lfunc_end425:
	.size	_Z39paged_attention_ll4mi_QKV_mfma16_kernelI14__hip_bfloat16S0_LN4vllm18Fp8KVCacheDataTypeE0EhLi16ELi64ELi256ELb0ELi6EEvPKT_PKT0_S8_ifPKiSA_SA_iPKfiiiPfSD_PS3_PT2_iSC_SC_, .Lfunc_end425-_Z39paged_attention_ll4mi_QKV_mfma16_kernelI14__hip_bfloat16S0_LN4vllm18Fp8KVCacheDataTypeE0EhLi16ELi64ELi256ELb0ELi6EEvPKT_PKT0_S8_ifPKiSA_SA_iPKfiiiPfSD_PS3_PT2_iSC_SC_
                                        ; -- End function
	.section	.AMDGPU.csdata,"",@progbits
; Kernel info:
; codeLenInByte = 4052
; NumSgprs: 54
; NumVgprs: 69
; NumAgprs: 0
; TotalNumVgprs: 69
; ScratchSize: 0
; MemoryBound: 0
; FloatMode: 240
; IeeeMode: 1
; LDSByteSize: 8192 bytes/workgroup (compile time only)
; SGPRBlocks: 6
; VGPRBlocks: 8
; NumSGPRsForWavesPerEU: 54
; NumVGPRsForWavesPerEU: 69
; AccumOffset: 72
; Occupancy: 7
; WaveLimiterHint : 1
; COMPUTE_PGM_RSRC2:SCRATCH_EN: 0
; COMPUTE_PGM_RSRC2:USER_SGPR: 2
; COMPUTE_PGM_RSRC2:TRAP_HANDLER: 0
; COMPUTE_PGM_RSRC2:TGID_X_EN: 1
; COMPUTE_PGM_RSRC2:TGID_Y_EN: 1
; COMPUTE_PGM_RSRC2:TGID_Z_EN: 1
; COMPUTE_PGM_RSRC2:TIDIG_COMP_CNT: 0
; COMPUTE_PGM_RSRC3_GFX90A:ACCUM_OFFSET: 17
; COMPUTE_PGM_RSRC3_GFX90A:TG_SPLIT: 0
	.section	.text._Z39paged_attention_ll4mi_QKV_mfma16_kernelI14__hip_bfloat16S0_LN4vllm18Fp8KVCacheDataTypeE0EhLi16ELi64ELi256ELb0ELi7EEvPKT_PKT0_S8_ifPKiSA_SA_iPKfiiiPfSD_PS3_PT2_iSC_SC_,"axG",@progbits,_Z39paged_attention_ll4mi_QKV_mfma16_kernelI14__hip_bfloat16S0_LN4vllm18Fp8KVCacheDataTypeE0EhLi16ELi64ELi256ELb0ELi7EEvPKT_PKT0_S8_ifPKiSA_SA_iPKfiiiPfSD_PS3_PT2_iSC_SC_,comdat
	.protected	_Z39paged_attention_ll4mi_QKV_mfma16_kernelI14__hip_bfloat16S0_LN4vllm18Fp8KVCacheDataTypeE0EhLi16ELi64ELi256ELb0ELi7EEvPKT_PKT0_S8_ifPKiSA_SA_iPKfiiiPfSD_PS3_PT2_iSC_SC_ ; -- Begin function _Z39paged_attention_ll4mi_QKV_mfma16_kernelI14__hip_bfloat16S0_LN4vllm18Fp8KVCacheDataTypeE0EhLi16ELi64ELi256ELb0ELi7EEvPKT_PKT0_S8_ifPKiSA_SA_iPKfiiiPfSD_PS3_PT2_iSC_SC_
	.globl	_Z39paged_attention_ll4mi_QKV_mfma16_kernelI14__hip_bfloat16S0_LN4vllm18Fp8KVCacheDataTypeE0EhLi16ELi64ELi256ELb0ELi7EEvPKT_PKT0_S8_ifPKiSA_SA_iPKfiiiPfSD_PS3_PT2_iSC_SC_
	.p2align	8
	.type	_Z39paged_attention_ll4mi_QKV_mfma16_kernelI14__hip_bfloat16S0_LN4vllm18Fp8KVCacheDataTypeE0EhLi16ELi64ELi256ELb0ELi7EEvPKT_PKT0_S8_ifPKiSA_SA_iPKfiiiPfSD_PS3_PT2_iSC_SC_,@function
_Z39paged_attention_ll4mi_QKV_mfma16_kernelI14__hip_bfloat16S0_LN4vllm18Fp8KVCacheDataTypeE0EhLi16ELi64ELi256ELb0ELi7EEvPKT_PKT0_S8_ifPKiSA_SA_iPKfiiiPfSD_PS3_PT2_iSC_SC_: ; @_Z39paged_attention_ll4mi_QKV_mfma16_kernelI14__hip_bfloat16S0_LN4vllm18Fp8KVCacheDataTypeE0EhLi16ELi64ELi256ELb0ELi7EEvPKT_PKT0_S8_ifPKiSA_SA_iPKfiiiPfSD_PS3_PT2_iSC_SC_
; %bb.0:
	s_load_dwordx2 s[12:13], s[0:1], 0x30
	s_mov_b32 s28, s3
	s_mov_b64 s[6:7], 0
	s_waitcnt lgkmcnt(0)
	s_cmp_lg_u64 s[12:13], 0
	s_cselect_b64 s[14:15], -1, 0
	s_and_b64 vcc, exec, s[14:15]
	s_cbranch_vccz .LBB426_7
; %bb.1:
	s_add_i32 s8, s2, 1
	s_mov_b32 s9, 0
	s_lshl_b64 s[10:11], s[8:9], 2
	s_add_u32 s10, s12, s10
	s_mov_b32 s3, s9
	s_addc_u32 s11, s13, s11
	s_lshl_b64 s[8:9], s[2:3], 2
	s_add_u32 s8, s12, s8
	s_addc_u32 s9, s13, s9
	s_load_dword s5, s[10:11], 0x0
	s_load_dword s16, s[8:9], 0x0
	s_waitcnt lgkmcnt(0)
	s_sub_i32 s5, s5, s16
	s_cmp_eq_u32 s5, 1
	s_cselect_b64 s[8:9], -1, 0
	s_andn2_b64 vcc, exec, s[6:7]
	s_cbranch_vccnz .LBB426_3
.LBB426_2:
	s_mov_b32 s3, 0
	s_mov_b64 s[8:9], -1
.LBB426_3:
	s_andn2_b64 vcc, exec, s[8:9]
	s_cbranch_vccnz .LBB426_18
; %bb.4:
	s_load_dwordx2 s[6:7], s[0:1], 0x28
	s_lshl_b64 s[16:17], s[2:3], 2
	s_waitcnt lgkmcnt(0)
	s_add_u32 s6, s6, s16
	s_addc_u32 s7, s7, s17
	s_load_dword s33, s[6:7], 0x0
	s_lshl_b32 s18, s28, 8
	s_waitcnt lgkmcnt(0)
	s_cmp_ge_i32 s18, s33
	s_cbranch_scc1 .LBB426_18
; %bb.5:
	s_load_dwordx2 s[6:7], s[0:1], 0x20
	s_load_dword s5, s[0:1], 0x38
	s_add_i32 s8, s33, 15
	s_ashr_i32 s9, s8, 31
	v_and_b32_e32 v1, 0xcf, v0
	s_lshr_b32 s9, s9, 28
	v_add_u32_e32 v1, s18, v1
	s_add_i32 s8, s8, s9
	v_ashrrev_i32_e32 v2, 31, v1
	s_ashr_i32 s19, s8, 4
	v_lshrrev_b32_e32 v10, 28, v2
	s_add_i32 s19, s19, -1
	s_waitcnt lgkmcnt(0)
	s_mul_i32 s8, s2, s5
	s_mov_b32 s9, 0
	v_add_u32_e32 v2, v1, v10
	s_lshl_b64 s[8:9], s[8:9], 2
	v_ashrrev_i32_e32 v2, 4, v2
	v_mov_b32_e32 v11, s19
	v_cmp_gt_i32_e32 vcc, s33, v1
	s_add_u32 s6, s6, s8
	s_addc_u32 s7, s7, s9
	v_cndmask_b32_e32 v2, v11, v2, vcc
	v_ashrrev_i32_e32 v3, 31, v2
	v_lshl_add_u64 v[4:5], v[2:3], 2, s[6:7]
	v_or_b32_e32 v2, 16, v1
	v_add_u32_e32 v3, v2, v10
	v_ashrrev_i32_e32 v3, 4, v3
	v_cmp_gt_i32_e32 vcc, s33, v2
	s_load_dwordx4 s[8:11], s[0:1], 0x8
	s_nop 0
	v_cndmask_b32_e32 v2, v11, v3, vcc
	v_ashrrev_i32_e32 v3, 31, v2
	v_lshl_add_u64 v[6:7], v[2:3], 2, s[6:7]
	v_or_b32_e32 v2, 32, v1
	v_add_u32_e32 v3, v2, v10
	v_ashrrev_i32_e32 v3, 4, v3
	v_cmp_gt_i32_e32 vcc, s33, v2
	v_or_b32_e32 v1, 48, v1
	s_nop 0
	v_cndmask_b32_e32 v2, v11, v3, vcc
	v_ashrrev_i32_e32 v3, 31, v2
	v_lshl_add_u64 v[8:9], v[2:3], 2, s[6:7]
	v_add_u32_e32 v2, v1, v10
	v_ashrrev_i32_e32 v2, 4, v2
	v_cmp_gt_i32_e32 vcc, s33, v1
	s_nop 1
	v_cndmask_b32_e32 v2, v11, v2, vcc
	v_ashrrev_i32_e32 v3, 31, v2
	v_lshl_add_u64 v[12:13], v[2:3], 2, s[6:7]
	global_load_dword v3, v[4:5], off
	global_load_dword v2, v[6:7], off
	;; [unrolled: 1-line block ×4, first 2 shown]
	s_andn2_b64 vcc, exec, s[14:15]
	s_cbranch_vccnz .LBB426_8
; %bb.6:
	s_add_u32 s12, s12, s16
	s_addc_u32 s13, s13, s17
	s_load_dword s5, s[12:13], 0x0
	s_branch .LBB426_9
.LBB426_7:
	s_mov_b64 s[8:9], 0
	s_branch .LBB426_2
.LBB426_8:
	s_mov_b32 s5, s2
.LBB426_9:
	s_load_dwordx4 s[44:47], s[0:1], 0x48
	v_lshrrev_b32_e32 v37, 6, v0
	v_bfe_u32 v54, v0, 4, 2
	v_lshl_or_b32 v1, v37, 2, v54
	v_and_b32_e32 v36, 15, v0
	v_lshlrev_b32_e32 v4, 3, v36
	v_cmp_gt_u32_e32 vcc, 7, v1
	v_cmp_gt_u32_e64 s[30:31], 8, v36
	v_and_b32_e32 v55, 63, v0
	s_mul_i32 s42, s4, 7
	s_and_b64 s[14:15], s[30:31], vcc
	v_lshlrev_b32_e32 v34, 1, v4
	s_and_saveexec_b64 s[12:13], s[14:15]
	s_cbranch_execz .LBB426_11
; %bb.10:
	s_load_dwordx2 s[14:15], s[0:1], 0x0
	s_waitcnt lgkmcnt(0)
	s_ashr_i32 s16, s44, 31
	s_mul_hi_u32 s17, s5, s44
	s_mul_i32 s16, s5, s16
	s_add_i32 s17, s17, s16
	s_mul_i32 s16, s5, s44
	s_lshl_b64 s[16:17], s[16:17], 1
	s_add_u32 s14, s14, s16
	v_add_lshl_u32 v4, v1, s42, 6
	s_addc_u32 s15, s15, s17
	v_ashrrev_i32_e32 v5, 31, v4
	v_lshl_add_u64 v[4:5], v[4:5], 1, s[14:15]
	v_mov_b32_e32 v35, 0
	v_lshl_add_u64 v[4:5], v[4:5], 0, v[34:35]
	global_load_dwordx4 v[4:7], v[4:5], off
	v_and_b32_e32 v8, 3, v0
	v_lshlrev_b32_e32 v9, 9, v36
	v_lshlrev_b32_e32 v1, 5, v1
	;; [unrolled: 1-line block ×3, first 2 shown]
	v_and_b32_e32 v9, 0x1800, v9
	v_or3_b32 v1, v9, v8, v1
	s_waitcnt vmcnt(0)
	ds_write_b128 v1, v[4:7]
.LBB426_11:
	s_or_b64 exec, exec, s[12:13]
	s_waitcnt lgkmcnt(0)
	s_mul_i32 s4, s4, s46
	s_mov_b32 s5, 0
	s_lshl_b64 s[4:5], s[4:5], 1
	s_add_u32 s8, s8, s4
	v_lshlrev_b32_e32 v1, 4, v0
	s_addc_u32 s9, s9, s5
	v_and_b32_e32 v30, 0xf0, v1
	v_mov_b32_e32 v31, 0
	v_lshl_add_u64 v[18:19], s[8:9], 0, v[30:31]
	s_waitcnt vmcnt(3)
	v_mad_i64_i32 v[4:5], s[8:9], v3, s45, 0
	v_lshl_add_u64 v[4:5], v[4:5], 1, v[18:19]
	v_and_b32_e32 v30, 0x300, v1
	s_waitcnt vmcnt(2)
	v_mad_i64_i32 v[2:3], s[8:9], v2, s45, 0
	v_lshl_add_u64 v[14:15], v[4:5], 0, v[30:31]
	v_lshl_add_u64 v[2:3], v[2:3], 1, v[18:19]
	s_load_dword s29, s[0:1], 0x98
	s_load_dword s12, s[0:1], 0x1c
	s_waitcnt lgkmcnt(0)
	s_barrier
	global_load_dwordx4 v[6:9], v[14:15], off
	global_load_dwordx4 v[26:29], v[14:15], off offset:1024
	v_lshl_add_u64 v[32:33], v[2:3], 0, v[30:31]
	global_load_dwordx4 v[2:5], v[32:33], off
	global_load_dwordx4 v[46:49], v[32:33], off offset:1024
	s_waitcnt vmcnt(5)
	v_mad_i64_i32 v[10:11], s[8:9], v10, s45, 0
	v_lshl_add_u64 v[10:11], v[10:11], 1, v[18:19]
	v_lshl_add_u64 v[38:39], v[10:11], 0, v[30:31]
	global_load_dwordx4 v[10:13], v[38:39], off
	global_load_dwordx4 v[56:59], v[38:39], off offset:1024
	s_waitcnt vmcnt(6)
	v_mad_i64_i32 v[16:17], s[8:9], v16, s45, 0
	v_lshl_add_u64 v[16:17], v[16:17], 1, v[18:19]
	v_lshl_add_u64 v[40:41], v[16:17], 0, v[30:31]
	global_load_dwordx4 v[18:21], v[40:41], off
	v_mul_lo_u16_e32 v16, 37, v36
	v_mov_b32_e32 v17, 7
	v_mul_lo_u16_sdwa v16, v16, v17 dst_sel:DWORD dst_unused:UNUSED_PAD src0_sel:BYTE_1 src1_sel:DWORD
	v_mov_b32_e32 v22, 5
	v_sub_u16_e32 v16, v36, v16
	v_lshlrev_b32_sdwa v16, v22, v16 dst_sel:DWORD dst_unused:UNUSED_PAD src0_sel:DWORD src1_sel:BYTE_0
	v_lshl_add_u32 v16, v54, 9, v16
	ds_read_b128 v[22:25], v16
	global_load_dwordx4 v[38:41], v[40:41], off offset:1024
	v_and_or_b32 v30, v0, 48, s18
	v_mov_b32_e32 v68, s19
	v_cmp_gt_i32_e32 vcc, s33, v30
	ds_read_b128 v[14:17], v16 offset:2048
	v_lshlrev_b32_e32 v35, 5, v36
	s_add_u32 s4, s10, s4
	s_addc_u32 s5, s11, s5
	s_mov_b32 s43, 0xff7fffff
	s_waitcnt vmcnt(7) lgkmcnt(1)
	v_mfma_f32_16x16x16_bf16 v[42:45], v[6:7], v[22:23], 0
	v_ashrrev_i32_e32 v6, 4, v30
	v_or_b32_e32 v7, 64, v30
	s_waitcnt vmcnt(5)
	v_mfma_f32_16x16x16_bf16 v[50:53], v[2:3], v[22:23], 0
	v_cndmask_b32_e32 v2, v68, v6, vcc
	v_ashrrev_i32_e32 v3, 31, v2
	v_ashrrev_i32_e32 v6, 4, v7
	v_cmp_gt_i32_e32 vcc, s33, v7
	v_lshl_add_u64 v[2:3], v[2:3], 2, s[6:7]
	s_waitcnt vmcnt(3)
	v_mfma_f32_16x16x16_bf16 v[60:63], v[10:11], v[22:23], 0
	v_cndmask_b32_e32 v10, v68, v6, vcc
	v_ashrrev_i32_e32 v11, 31, v10
	v_lshl_add_u64 v[10:11], v[10:11], 2, s[6:7]
	v_mfma_f32_16x16x16_bf16 v[6:9], v[8:9], v[24:25], v[42:45]
	s_nop 2
	global_load_dword v42, v[2:3], off
	global_load_dword v43, v[10:11], off
	s_waitcnt vmcnt(3)
	v_mfma_f32_16x16x16_bf16 v[64:67], v[18:19], v[22:23], 0
	v_or_b32_e32 v22, 0x80, v30
	v_or_b32_e32 v23, 0xc0, v30
	v_ashrrev_i32_e32 v30, 4, v22
	v_cmp_gt_i32_e32 vcc, s33, v22
	v_ashrrev_i32_e32 v32, 4, v23
	v_mfma_f32_16x16x16_bf16 v[2:5], v[4:5], v[24:25], v[50:53]
	v_cndmask_b32_e32 v22, v68, v30, vcc
	v_cmp_gt_i32_e32 vcc, s33, v23
	v_ashrrev_i32_e32 v23, 31, v22
	v_mfma_f32_16x16x16_bf16 v[10:13], v[12:13], v[24:25], v[60:63]
	v_lshl_or_b32 v30, v37, 9, v35
	v_mfma_f32_16x16x16_bf16 v[18:21], v[20:21], v[24:25], v[64:67]
	v_cndmask_b32_e32 v24, v68, v32, vcc
	v_ashrrev_i32_e32 v25, 31, v24
	v_lshl_add_u64 v[32:33], v[24:25], 2, s[6:7]
	s_waitcnt lgkmcnt(0)
	v_mfma_f32_16x16x16_bf16 v[6:9], v[26:27], v[14:15], v[6:9]
	v_lshl_add_u64 v[26:27], v[22:23], 2, s[6:7]
	global_load_dword v60, v[26:27], off
	global_load_dword v61, v[32:33], off
	v_mfma_f32_16x16x16_bf16 v[2:5], v[46:47], v[14:15], v[2:5]
	v_mfma_f32_16x16x16_bf16 v[22:25], v[56:57], v[14:15], v[10:13]
	s_waitcnt vmcnt(4)
	v_mfma_f32_16x16x16_bf16 v[18:21], v[38:39], v[14:15], v[18:21]
	s_nop 0
	v_lshl_add_u64 v[10:11], s[4:5], 0, v[30:31]
	s_waitcnt vmcnt(3)
	v_mad_i64_i32 v[26:27], s[4:5], v42, s45, 0
	v_mfma_f32_16x16x16_bf16 v[12:15], v[28:29], v[16:17], v[6:9]
	v_lshl_add_u64 v[30:31], v[26:27], 1, v[10:11]
	s_waitcnt vmcnt(2)
	v_mad_i64_i32 v[32:33], s[4:5], v43, s45, 0
	v_mfma_f32_16x16x16_bf16 v[26:29], v[48:49], v[16:17], v[2:5]
	v_lshl_add_u64 v[56:57], v[32:33], 1, v[10:11]
	s_nop 1
	v_pk_mul_f32 v[50:51], s[12:13], v[14:15] op_sel_hi:[0,1]
	v_pk_mul_f32 v[12:13], s[12:13], v[12:13] op_sel_hi:[0,1]
	v_mfma_f32_16x16x16_bf16 v[22:25], v[58:59], v[16:17], v[22:25]
	global_load_dwordx4 v[6:9], v[30:31], off
	global_load_dwordx4 v[2:5], v[30:31], off offset:16
	v_pk_mul_f32 v[42:43], s[12:13], v[26:27] op_sel_hi:[0,1]
	v_pk_mul_f32 v[52:53], s[12:13], v[28:29] op_sel_hi:[0,1]
	v_mfma_f32_16x16x16_bf16 v[14:17], v[40:41], v[16:17], v[18:21]
	s_nop 1
	v_pk_mul_f32 v[46:47], s[12:13], v[22:23] op_sel_hi:[0,1]
	v_pk_mul_f32 v[48:49], s[12:13], v[24:25] op_sel_hi:[0,1]
	global_load_dwordx4 v[30:33], v[56:57], off
	global_load_dwordx4 v[26:29], v[56:57], off offset:16
	s_nop 0
	v_pk_mul_f32 v[44:45], s[12:13], v[14:15] op_sel_hi:[0,1]
	v_and_b32_e32 v14, 0xc0, v0
	v_add_u32_e32 v14, s18, v14
	v_lshl_or_b32 v14, v54, 2, v14
	v_pk_mul_f32 v[38:39], s[12:13], v[16:17] op_sel_hi:[0,1]
	v_or_b32_e32 v17, 1, v14
	v_mov_b32_e32 v15, 0xff7fffff
	v_cmp_gt_i32_e64 s[4:5], s33, v14
	v_cmp_gt_i32_e64 s[34:35], s33, v17
	v_or_b32_e32 v18, 3, v14
	v_cndmask_b32_e64 v16, v15, v12, s[4:5]
	v_cndmask_b32_e64 v17, v15, v13, s[34:35]
	v_max3_f32 v16, v16, s43, v17
	v_or_b32_e32 v17, 2, v14
	v_cmp_gt_i32_e64 s[36:37], s33, v17
	v_cmp_gt_i32_e64 s[38:39], s33, v18
	s_nop 0
	v_cndmask_b32_e64 v17, v15, v50, s[36:37]
	v_cndmask_b32_e64 v18, v15, v51, s[38:39]
	v_max3_f32 v16, v16, v17, v18
	v_or_b32_e32 v17, 16, v14
	v_or_b32_e32 v18, 17, v14
	v_cmp_gt_i32_e64 s[24:25], s33, v17
	v_cmp_gt_i32_e64 s[26:27], s33, v18
	s_nop 0
	v_cndmask_b32_e64 v17, v15, v42, s[24:25]
	v_cndmask_b32_e64 v18, v15, v43, s[26:27]
	v_max3_f32 v16, v16, v17, v18
	v_or_b32_e32 v17, 18, v14
	;; [unrolled: 8-line block ×6, first 2 shown]
	v_or_b32_e32 v14, 51, v14
	v_cmp_gt_i32_e32 vcc, s33, v17
	v_cmp_gt_i32_e64 s[6:7], s33, v14
	s_nop 0
	v_cndmask_b32_e32 v17, v15, v38, vcc
	v_cndmask_b32_e64 v14, v15, v39, s[6:7]
	v_max3_f32 v16, v16, v17, v14
	v_mbcnt_lo_u32_b32 v14, -1, 0
	v_mbcnt_hi_u32_b32 v17, -1, v14
	v_and_b32_e32 v14, 64, v17
	v_add_u32_e32 v18, 64, v14
	v_xor_b32_e32 v14, 32, v17
	v_cmp_lt_i32_e64 s[40:41], v14, v18
	s_nop 1
	v_cndmask_b32_e64 v14, v17, v14, s[40:41]
	v_lshlrev_b32_e32 v58, 2, v14
	ds_bpermute_b32 v19, v58, v16
	s_waitcnt vmcnt(5)
	v_mad_i64_i32 v[14:15], s[40:41], v60, s45, 0
	v_lshl_add_u64 v[14:15], v[14:15], 1, v[10:11]
	s_waitcnt lgkmcnt(0)
	v_max_f32_e32 v19, v19, v19
	v_max_f32_e32 v16, v16, v19
	v_xor_b32_e32 v19, 16, v17
	v_cmp_lt_i32_e64 s[40:41], v19, v18
	s_nop 1
	v_cndmask_b32_e64 v17, v17, v19, s[40:41]
	v_lshlrev_b32_e32 v57, 2, v17
	ds_bpermute_b32 v17, v57, v16
	global_load_dwordx4 v[22:25], v[14:15], off
	global_load_dwordx4 v[18:21], v[14:15], off offset:16
	s_waitcnt vmcnt(6)
	v_mad_i64_i32 v[14:15], s[40:41], v61, s45, 0
	v_lshl_add_u64 v[10:11], v[14:15], 1, v[10:11]
	s_waitcnt lgkmcnt(0)
	v_max_f32_e32 v14, v17, v17
	v_max_f32_e32 v56, v16, v14
	v_sub_f32_e32 v12, v12, v56
	v_mul_f32_e32 v12, 0x3fb8aa3b, v12
	v_exp_f32_e32 v40, v12
	v_sub_f32_e32 v12, v13, v56
	v_mul_f32_e32 v12, 0x3fb8aa3b, v12
	v_exp_f32_e32 v41, v12
	global_load_dwordx4 v[14:17], v[10:11], off
	s_nop 0
	global_load_dwordx4 v[10:13], v[10:11], off offset:16
	v_sub_f32_e32 v50, v50, v56
	v_mul_f32_e32 v50, 0x3fb8aa3b, v50
	v_sub_f32_e32 v51, v51, v56
	v_exp_f32_e32 v50, v50
	v_mul_f32_e32 v51, 0x3fb8aa3b, v51
	v_sub_f32_e32 v42, v42, v56
	v_exp_f32_e32 v51, v51
	v_mul_f32_e32 v42, 0x3fb8aa3b, v42
	v_sub_f32_e32 v43, v43, v56
	v_cndmask_b32_e64 v40, 0, v40, s[4:5]
	v_exp_f32_e32 v42, v42
	v_mul_f32_e32 v43, 0x3fb8aa3b, v43
	v_sub_f32_e32 v52, v52, v56
	v_add_f32_e32 v59, 0, v40
	v_cndmask_b32_e64 v41, 0, v41, s[34:35]
	v_exp_f32_e32 v43, v43
	v_mul_f32_e32 v52, 0x3fb8aa3b, v52
	v_sub_f32_e32 v53, v53, v56
	v_add_f32_e32 v59, v59, v41
	;; [unrolled: 5-line block ×10, first 2 shown]
	v_cndmask_b32_e64 v48, 0, v48, s[12:13]
	v_exp_f32_e32 v38, v38
	v_mul_f32_e32 v39, 0x3fb8aa3b, v39
	v_add_f32_e32 v59, v59, v48
	v_cndmask_b32_e64 v49, 0, v49, s[14:15]
	v_exp_f32_e32 v39, v39
	v_add_f32_e32 v59, v59, v49
	v_cndmask_b32_e64 v44, 0, v44, s[8:9]
	v_add_f32_e32 v59, v59, v44
	v_cndmask_b32_e64 v45, 0, v45, s[10:11]
	v_add_f32_e32 v59, v59, v45
	v_cndmask_b32_e32 v38, 0, v38, vcc
	v_add_f32_e32 v59, v59, v38
	v_cndmask_b32_e64 v39, 0, v39, s[6:7]
	v_add_f32_e32 v59, v59, v39
	ds_bpermute_b32 v58, v58, v59
	v_cmp_gt_u32_e32 vcc, 16, v55
	s_waitcnt lgkmcnt(0)
	s_barrier
	v_add_f32_e32 v58, v59, v58
	ds_bpermute_b32 v59, v57, v58
	v_lshlrev_b32_e32 v57, 2, v36
	s_and_saveexec_b64 s[4:5], vcc
	s_cbranch_execz .LBB426_13
; %bb.12:
	s_waitcnt lgkmcnt(0)
	v_add_f32_e32 v55, v58, v59
	v_lshl_or_b32 v58, v37, 6, v57
	ds_write2st64_b32 v58, v56, v55 offset1:1
.LBB426_13:
	s_or_b64 exec, exec, s[4:5]
	s_load_dword s6, s[0:1], 0x94
	s_waitcnt lgkmcnt(0)
	s_barrier
	ds_read2_b32 v[58:59], v57 offset1:16
	ds_read2_b32 v[60:61], v57 offset0:32 offset1:48
	ds_read2_b32 v[62:63], v57 offset0:64 offset1:80
	s_movk_i32 s8, 0x7fff
	s_mov_b32 s9, 0x7060302
	s_waitcnt lgkmcnt(2)
	v_max3_f32 v55, v58, s43, v59
	s_waitcnt lgkmcnt(1)
	v_max3_f32 v55, v55, v60, v61
	v_sub_f32_e32 v56, v58, v55
	v_mul_f32_e32 v56, 0x3fb8aa3b, v56
	v_exp_f32_e32 v64, v56
	v_sub_f32_e32 v56, v59, v55
	v_mul_f32_e32 v56, 0x3fb8aa3b, v56
	v_exp_f32_e32 v65, v56
	v_sub_f32_e32 v56, v60, v55
	v_mul_f32_e32 v56, 0x3fb8aa3b, v56
	v_exp_f32_e32 v60, v56
	ds_read2_b32 v[58:59], v57 offset0:96 offset1:112
	v_sub_f32_e32 v56, v61, v55
	v_mul_f32_e32 v56, 0x3fb8aa3b, v56
	v_exp_f32_e32 v57, v56
	s_waitcnt lgkmcnt(1)
	v_fma_f32 v56, v64, v62, 0
	v_fmac_f32_e32 v56, v65, v63
	s_waitcnt lgkmcnt(0)
	v_fmac_f32_e32 v56, v60, v58
	v_fmac_f32_e32 v56, v57, v59
	v_add_f32_e32 v58, 0x358637bd, v56
	v_div_scale_f32 v59, s[4:5], v58, v58, 1.0
	v_rcp_f32_e32 v61, v59
	s_barrier
	v_fma_f32 v62, -v59, v61, 1.0
	v_fmac_f32_e32 v61, v62, v61
	v_div_scale_f32 v62, vcc, 1.0, v58, 1.0
	v_mul_f32_e32 v63, v62, v61
	v_fma_f32 v66, -v59, v63, v62
	v_fmac_f32_e32 v63, v66, v61
	v_fma_f32 v59, -v59, v63, v62
	v_div_fmas_f32 v59, v59, v61, v63
	v_cmp_eq_u32_e32 vcc, 1, v37
	v_div_fixup_f32 v58, v59, v58, 1.0
	s_mul_i32 s7, s29, 7
	v_cndmask_b32_e32 v59, v64, v65, vcc
	v_cmp_eq_u32_e32 vcc, 2, v37
	s_nop 1
	v_cndmask_b32_e32 v59, v59, v60, vcc
	v_cmp_eq_u32_e32 vcc, 3, v37
	v_lshlrev_b32_e32 v37, 11, v37
	s_nop 0
	v_cndmask_b32_e32 v57, v59, v57, vcc
	v_mul_f32_e32 v58, v57, v58
	v_pk_mul_f32 v[40:41], v[58:59], v[40:41] op_sel_hi:[0,1]
	v_pk_mul_f32 v[50:51], v[58:59], v[50:51] op_sel_hi:[0,1]
	v_bfe_u32 v57, v41, 16, 1
	v_bfe_u32 v59, v40, 16, 1
	v_add3_u32 v40, v40, v59, s8
	v_add3_u32 v41, v41, v57, s8
	v_perm_b32 v60, v41, v40, s9
	v_bfe_u32 v40, v51, 16, 1
	v_bfe_u32 v41, v50, 16, 1
	v_add3_u32 v41, v50, v41, s8
	v_add3_u32 v40, v51, v40, s8
	v_perm_b32 v61, v40, v41, s9
	v_lshlrev_b32_e32 v40, 3, v54
	v_pk_mul_f32 v[42:43], v[58:59], v[42:43] op_sel_hi:[0,1]
	v_or3_b32 v40, v37, v35, v40
	v_bfe_u32 v37, v43, 16, 1
	v_bfe_u32 v41, v42, 16, 1
	v_pk_mul_f32 v[50:51], v[58:59], v[52:53] op_sel_hi:[0,1]
	v_add3_u32 v41, v42, v41, s8
	v_add3_u32 v37, v43, v37, s8
	v_perm_b32 v42, v37, v41, s9
	v_bfe_u32 v37, v51, 16, 1
	v_bfe_u32 v41, v50, 16, 1
	v_add3_u32 v41, v50, v41, s8
	v_add3_u32 v37, v51, v37, s8
	v_pk_mul_f32 v[46:47], v[58:59], v[46:47] op_sel_hi:[0,1]
	v_perm_b32 v43, v37, v41, s9
	v_bfe_u32 v37, v47, 16, 1
	v_bfe_u32 v41, v46, 16, 1
	ds_write2st64_b64 v40, v[60:61], v[42:43] offset1:1
	v_pk_mul_f32 v[42:43], v[58:59], v[48:49] op_sel_hi:[0,1]
	v_add3_u32 v41, v46, v41, s8
	v_add3_u32 v37, v47, v37, s8
	v_perm_b32 v46, v37, v41, s9
	v_bfe_u32 v37, v43, 16, 1
	v_bfe_u32 v41, v42, 16, 1
	v_add3_u32 v41, v42, v41, s8
	v_add3_u32 v37, v43, v37, s8
	v_pk_mul_f32 v[42:43], v[58:59], v[44:45] op_sel_hi:[0,1]
	v_perm_b32 v47, v37, v41, s9
	v_bfe_u32 v37, v43, 16, 1
	v_bfe_u32 v41, v42, 16, 1
	v_pk_mul_f32 v[38:39], v[58:59], v[38:39] op_sel_hi:[0,1]
	v_add3_u32 v41, v42, v41, s8
	v_add3_u32 v37, v43, v37, s8
	v_perm_b32 v42, v37, v41, s9
	v_bfe_u32 v37, v39, 16, 1
	v_bfe_u32 v41, v38, 16, 1
	v_add3_u32 v38, v38, v41, s8
	v_add3_u32 v37, v39, v37, s8
	v_perm_b32 v43, v37, v38, s9
	v_cmp_gt_u32_e32 vcc, 7, v0
	ds_write2st64_b64 v40, v[46:47], v[42:43] offset0:2 offset1:3
	s_and_saveexec_b64 s[4:5], vcc
	s_cbranch_execz .LBB426_15
; %bb.14:
	s_mov_b32 s43, 0
	v_mov_b32_e32 v37, 0
	v_lshl_add_u64 v[38:39], s[42:43], 0, v[36:37]
	v_mov_b32_e32 v36, s7
	v_mad_u64_u32 v[38:39], s[10:11], s2, v36, v[38:39]
	v_mov_b32_e32 v36, s28
	s_load_dwordx4 s[12:15], s[0:1], 0x58
	s_mul_i32 s3, s3, s7
	v_mad_u64_u32 v[36:37], s[10:11], v38, s6, v[36:37]
	v_add_u32_e32 v39, s3, v39
	v_mov_b32_e32 v38, v37
	v_mad_u64_u32 v[38:39], s[10:11], v39, s6, v[38:39]
	v_mov_b32_e32 v37, v38
	v_lshlrev_b64 v[36:37], 2, v[36:37]
	s_waitcnt lgkmcnt(0)
	v_lshl_add_u64 v[38:39], s[14:15], 0, v[36:37]
	v_lshl_add_u64 v[36:37], s[12:13], 0, v[36:37]
	global_store_dword v[38:39], v55, off
	global_store_dword v[36:37], v56, off
.LBB426_15:
	s_or_b64 exec, exec, s[4:5]
	v_lshl_or_b32 v35, v54, 9, v35
	s_waitcnt lgkmcnt(0)
	s_barrier
	ds_read_b128 v[36:39], v35
	ds_read_b128 v[42:45], v35 offset:16
	s_waitcnt vmcnt(7) lgkmcnt(1)
	v_mfma_f32_16x16x16_bf16 v[46:49], v[6:7], v[36:37], 0
	v_cmp_gt_u32_e32 vcc, 64, v0
	s_mov_b32 s3, 0
	s_and_b64 s[4:5], vcc, s[30:31]
	v_mfma_f32_16x16x16_bf16 v[6:9], v[8:9], v[38:39], v[46:49]
	s_waitcnt vmcnt(6) lgkmcnt(0)
	v_mfma_f32_16x16x16_bf16 v[6:9], v[2:3], v[42:43], v[6:9]
	v_mfma_f32_16x16x16_bf16 v[2:5], v[4:5], v[44:45], v[6:9]
	s_nop 5
	ds_read_b128 v[6:9], v35 offset:2048
	ds_read_b128 v[36:39], v35 offset:2064
	s_waitcnt vmcnt(5) lgkmcnt(1)
	v_mfma_f32_16x16x16_bf16 v[2:5], v[30:31], v[6:7], v[2:5]
	v_mfma_f32_16x16x16_bf16 v[2:5], v[32:33], v[8:9], v[2:5]
	s_waitcnt vmcnt(4) lgkmcnt(0)
	v_mfma_f32_16x16x16_bf16 v[2:5], v[26:27], v[36:37], v[2:5]
	v_mfma_f32_16x16x16_bf16 v[2:5], v[28:29], v[38:39], v[2:5]
	ds_read_b128 v[6:9], v35 offset:4096
	ds_read_b128 v[26:29], v35 offset:4112
	s_waitcnt vmcnt(3) lgkmcnt(1)
	v_mfma_f32_16x16x16_bf16 v[2:5], v[22:23], v[6:7], v[2:5]
	v_mfma_f32_16x16x16_bf16 v[2:5], v[24:25], v[8:9], v[2:5]
	s_waitcnt vmcnt(2) lgkmcnt(0)
	v_mfma_f32_16x16x16_bf16 v[2:5], v[18:19], v[26:27], v[2:5]
	v_mfma_f32_16x16x16_bf16 v[2:5], v[20:21], v[28:29], v[2:5]
	ds_read_b128 v[6:9], v35 offset:6144
	ds_read_b128 v[18:21], v35 offset:6160
	v_mov_b32_e32 v35, 0
	s_waitcnt vmcnt(1) lgkmcnt(0)
	v_mfma_f32_16x16x16_bf16 v[2:5], v[14:15], v[6:7], v[2:5]
	s_barrier
	v_mfma_f32_16x16x16_bf16 v[2:5], v[16:17], v[8:9], v[2:5]
	s_waitcnt vmcnt(0)
	v_mfma_f32_16x16x16_bf16 v[2:5], v[10:11], v[18:19], v[2:5]
	v_mfma_f32_16x16x16_bf16 v[2:5], v[12:13], v[20:21], v[2:5]
	s_nop 6
	v_bfe_u32 v6, v3, 16, 1
	v_bfe_u32 v7, v2, 16, 1
	;; [unrolled: 1-line block ×4, first 2 shown]
	v_add3_u32 v2, v2, v7, s8
	v_add3_u32 v3, v3, v6, s8
	;; [unrolled: 1-line block ×4, first 2 shown]
	v_perm_b32 v2, v3, v2, s9
	v_perm_b32 v3, v5, v4, s9
	ds_write_b64 v40, v[2:3]
	s_waitcnt lgkmcnt(0)
	s_barrier
	s_and_saveexec_b64 s[8:9], s[4:5]
	s_cbranch_execz .LBB426_18
; %bb.16:
	s_load_dwordx2 s[4:5], s[0:1], 0x68
	s_lshl_b32 s0, s6, 6
	s_mul_i32 s1, s7, s2
	s_mul_hi_u32 s7, s1, s0
	s_mul_i32 s6, s1, s0
	v_lshlrev_b32_e32 v0, 10, v0
	s_lshl_b64 s[6:7], s[6:7], 1
	v_and_b32_e32 v0, 0x1800, v0
	v_lshlrev_b32_e32 v2, 5, v54
	v_and_b32_e32 v1, 16, v1
	s_waitcnt lgkmcnt(0)
	s_add_u32 s1, s4, s6
	v_or3_b32 v2, v0, v2, v1
	s_addc_u32 s4, s5, s7
	s_lshl_b32 s2, s28, 6
	s_lshl_b64 s[2:3], s[2:3], 1
	ds_read_b128 v[4:7], v2
	s_add_u32 s2, s1, s2
	s_addc_u32 s3, s4, s3
	v_add_u32_e32 v3, s42, v54
	v_lshl_add_u64 v[0:1], s[2:3], 0, v[34:35]
	v_mad_u64_u32 v[8:9], s[2:3], v3, s0, 0
	v_lshl_add_u64 v[8:9], v[8:9], 1, v[0:1]
	v_cmp_ne_u32_e32 vcc, 3, v54
	s_waitcnt lgkmcnt(0)
	global_store_dwordx4 v[8:9], v[4:7], off
	s_and_b64 exec, exec, vcc
	s_cbranch_execz .LBB426_18
; %bb.17:
	ds_read_b128 v[2:5], v2 offset:128
	v_add3_u32 v6, s42, v54, 4
	v_mad_u64_u32 v[6:7], s[0:1], v6, s0, 0
	v_lshl_add_u64 v[0:1], v[6:7], 1, v[0:1]
	s_waitcnt lgkmcnt(0)
	global_store_dwordx4 v[0:1], v[2:5], off
.LBB426_18:
	s_endpgm
	.section	.rodata,"a",@progbits
	.p2align	6, 0x0
	.amdhsa_kernel _Z39paged_attention_ll4mi_QKV_mfma16_kernelI14__hip_bfloat16S0_LN4vllm18Fp8KVCacheDataTypeE0EhLi16ELi64ELi256ELb0ELi7EEvPKT_PKT0_S8_ifPKiSA_SA_iPKfiiiPfSD_PS3_PT2_iSC_SC_
		.amdhsa_group_segment_fixed_size 8192
		.amdhsa_private_segment_fixed_size 0
		.amdhsa_kernarg_size 400
		.amdhsa_user_sgpr_count 2
		.amdhsa_user_sgpr_dispatch_ptr 0
		.amdhsa_user_sgpr_queue_ptr 0
		.amdhsa_user_sgpr_kernarg_segment_ptr 1
		.amdhsa_user_sgpr_dispatch_id 0
		.amdhsa_user_sgpr_kernarg_preload_length 0
		.amdhsa_user_sgpr_kernarg_preload_offset 0
		.amdhsa_user_sgpr_private_segment_size 0
		.amdhsa_uses_dynamic_stack 0
		.amdhsa_enable_private_segment 0
		.amdhsa_system_sgpr_workgroup_id_x 1
		.amdhsa_system_sgpr_workgroup_id_y 1
		.amdhsa_system_sgpr_workgroup_id_z 1
		.amdhsa_system_sgpr_workgroup_info 0
		.amdhsa_system_vgpr_workitem_id 0
		.amdhsa_next_free_vgpr 69
		.amdhsa_next_free_sgpr 48
		.amdhsa_accum_offset 72
		.amdhsa_reserve_vcc 1
		.amdhsa_float_round_mode_32 0
		.amdhsa_float_round_mode_16_64 0
		.amdhsa_float_denorm_mode_32 3
		.amdhsa_float_denorm_mode_16_64 3
		.amdhsa_dx10_clamp 1
		.amdhsa_ieee_mode 1
		.amdhsa_fp16_overflow 0
		.amdhsa_tg_split 0
		.amdhsa_exception_fp_ieee_invalid_op 0
		.amdhsa_exception_fp_denorm_src 0
		.amdhsa_exception_fp_ieee_div_zero 0
		.amdhsa_exception_fp_ieee_overflow 0
		.amdhsa_exception_fp_ieee_underflow 0
		.amdhsa_exception_fp_ieee_inexact 0
		.amdhsa_exception_int_div_zero 0
	.end_amdhsa_kernel
	.section	.text._Z39paged_attention_ll4mi_QKV_mfma16_kernelI14__hip_bfloat16S0_LN4vllm18Fp8KVCacheDataTypeE0EhLi16ELi64ELi256ELb0ELi7EEvPKT_PKT0_S8_ifPKiSA_SA_iPKfiiiPfSD_PS3_PT2_iSC_SC_,"axG",@progbits,_Z39paged_attention_ll4mi_QKV_mfma16_kernelI14__hip_bfloat16S0_LN4vllm18Fp8KVCacheDataTypeE0EhLi16ELi64ELi256ELb0ELi7EEvPKT_PKT0_S8_ifPKiSA_SA_iPKfiiiPfSD_PS3_PT2_iSC_SC_,comdat
.Lfunc_end426:
	.size	_Z39paged_attention_ll4mi_QKV_mfma16_kernelI14__hip_bfloat16S0_LN4vllm18Fp8KVCacheDataTypeE0EhLi16ELi64ELi256ELb0ELi7EEvPKT_PKT0_S8_ifPKiSA_SA_iPKfiiiPfSD_PS3_PT2_iSC_SC_, .Lfunc_end426-_Z39paged_attention_ll4mi_QKV_mfma16_kernelI14__hip_bfloat16S0_LN4vllm18Fp8KVCacheDataTypeE0EhLi16ELi64ELi256ELb0ELi7EEvPKT_PKT0_S8_ifPKiSA_SA_iPKfiiiPfSD_PS3_PT2_iSC_SC_
                                        ; -- End function
	.section	.AMDGPU.csdata,"",@progbits
; Kernel info:
; codeLenInByte = 4052
; NumSgprs: 54
; NumVgprs: 69
; NumAgprs: 0
; TotalNumVgprs: 69
; ScratchSize: 0
; MemoryBound: 0
; FloatMode: 240
; IeeeMode: 1
; LDSByteSize: 8192 bytes/workgroup (compile time only)
; SGPRBlocks: 6
; VGPRBlocks: 8
; NumSGPRsForWavesPerEU: 54
; NumVGPRsForWavesPerEU: 69
; AccumOffset: 72
; Occupancy: 7
; WaveLimiterHint : 1
; COMPUTE_PGM_RSRC2:SCRATCH_EN: 0
; COMPUTE_PGM_RSRC2:USER_SGPR: 2
; COMPUTE_PGM_RSRC2:TRAP_HANDLER: 0
; COMPUTE_PGM_RSRC2:TGID_X_EN: 1
; COMPUTE_PGM_RSRC2:TGID_Y_EN: 1
; COMPUTE_PGM_RSRC2:TGID_Z_EN: 1
; COMPUTE_PGM_RSRC2:TIDIG_COMP_CNT: 0
; COMPUTE_PGM_RSRC3_GFX90A:ACCUM_OFFSET: 17
; COMPUTE_PGM_RSRC3_GFX90A:TG_SPLIT: 0
	.section	.text._Z39paged_attention_ll4mi_QKV_mfma16_kernelI14__hip_bfloat16S0_LN4vllm18Fp8KVCacheDataTypeE0EhLi16ELi64ELi256ELb0ELi8EEvPKT_PKT0_S8_ifPKiSA_SA_iPKfiiiPfSD_PS3_PT2_iSC_SC_,"axG",@progbits,_Z39paged_attention_ll4mi_QKV_mfma16_kernelI14__hip_bfloat16S0_LN4vllm18Fp8KVCacheDataTypeE0EhLi16ELi64ELi256ELb0ELi8EEvPKT_PKT0_S8_ifPKiSA_SA_iPKfiiiPfSD_PS3_PT2_iSC_SC_,comdat
	.protected	_Z39paged_attention_ll4mi_QKV_mfma16_kernelI14__hip_bfloat16S0_LN4vllm18Fp8KVCacheDataTypeE0EhLi16ELi64ELi256ELb0ELi8EEvPKT_PKT0_S8_ifPKiSA_SA_iPKfiiiPfSD_PS3_PT2_iSC_SC_ ; -- Begin function _Z39paged_attention_ll4mi_QKV_mfma16_kernelI14__hip_bfloat16S0_LN4vllm18Fp8KVCacheDataTypeE0EhLi16ELi64ELi256ELb0ELi8EEvPKT_PKT0_S8_ifPKiSA_SA_iPKfiiiPfSD_PS3_PT2_iSC_SC_
	.globl	_Z39paged_attention_ll4mi_QKV_mfma16_kernelI14__hip_bfloat16S0_LN4vllm18Fp8KVCacheDataTypeE0EhLi16ELi64ELi256ELb0ELi8EEvPKT_PKT0_S8_ifPKiSA_SA_iPKfiiiPfSD_PS3_PT2_iSC_SC_
	.p2align	8
	.type	_Z39paged_attention_ll4mi_QKV_mfma16_kernelI14__hip_bfloat16S0_LN4vllm18Fp8KVCacheDataTypeE0EhLi16ELi64ELi256ELb0ELi8EEvPKT_PKT0_S8_ifPKiSA_SA_iPKfiiiPfSD_PS3_PT2_iSC_SC_,@function
_Z39paged_attention_ll4mi_QKV_mfma16_kernelI14__hip_bfloat16S0_LN4vllm18Fp8KVCacheDataTypeE0EhLi16ELi64ELi256ELb0ELi8EEvPKT_PKT0_S8_ifPKiSA_SA_iPKfiiiPfSD_PS3_PT2_iSC_SC_: ; @_Z39paged_attention_ll4mi_QKV_mfma16_kernelI14__hip_bfloat16S0_LN4vllm18Fp8KVCacheDataTypeE0EhLi16ELi64ELi256ELb0ELi8EEvPKT_PKT0_S8_ifPKiSA_SA_iPKfiiiPfSD_PS3_PT2_iSC_SC_
; %bb.0:
	s_load_dwordx2 s[12:13], s[0:1], 0x30
	s_mov_b32 s28, s3
	s_mov_b64 s[6:7], 0
	s_waitcnt lgkmcnt(0)
	s_cmp_lg_u64 s[12:13], 0
	s_cselect_b64 s[14:15], -1, 0
	s_and_b64 vcc, exec, s[14:15]
	s_cbranch_vccz .LBB427_7
; %bb.1:
	s_add_i32 s8, s2, 1
	s_mov_b32 s9, 0
	s_lshl_b64 s[10:11], s[8:9], 2
	s_add_u32 s10, s12, s10
	s_mov_b32 s3, s9
	s_addc_u32 s11, s13, s11
	s_lshl_b64 s[8:9], s[2:3], 2
	s_add_u32 s8, s12, s8
	s_addc_u32 s9, s13, s9
	s_load_dword s5, s[10:11], 0x0
	s_load_dword s16, s[8:9], 0x0
	s_waitcnt lgkmcnt(0)
	s_sub_i32 s5, s5, s16
	s_cmp_eq_u32 s5, 1
	s_cselect_b64 s[8:9], -1, 0
	s_andn2_b64 vcc, exec, s[6:7]
	s_cbranch_vccnz .LBB427_3
.LBB427_2:
	s_mov_b32 s3, 0
	s_mov_b64 s[8:9], -1
.LBB427_3:
	s_andn2_b64 vcc, exec, s[8:9]
	s_cbranch_vccnz .LBB427_17
; %bb.4:
	s_load_dwordx2 s[6:7], s[0:1], 0x28
	s_lshl_b64 s[16:17], s[2:3], 2
	s_waitcnt lgkmcnt(0)
	s_add_u32 s6, s6, s16
	s_addc_u32 s7, s7, s17
	s_load_dword s40, s[6:7], 0x0
	s_lshl_b32 s18, s28, 8
	s_waitcnt lgkmcnt(0)
	s_cmp_ge_i32 s18, s40
	s_cbranch_scc1 .LBB427_17
; %bb.5:
	s_load_dwordx2 s[6:7], s[0:1], 0x20
	s_load_dword s5, s[0:1], 0x38
	s_add_i32 s8, s40, 15
	s_ashr_i32 s9, s8, 31
	v_and_b32_e32 v1, 0xcf, v0
	s_lshr_b32 s9, s9, 28
	v_add_u32_e32 v1, s18, v1
	s_add_i32 s8, s8, s9
	v_ashrrev_i32_e32 v2, 31, v1
	s_ashr_i32 s19, s8, 4
	v_lshrrev_b32_e32 v8, 28, v2
	s_add_i32 s19, s19, -1
	s_waitcnt lgkmcnt(0)
	s_mul_i32 s8, s2, s5
	s_mov_b32 s9, 0
	v_add_u32_e32 v2, v1, v8
	s_lshl_b64 s[8:9], s[8:9], 2
	v_ashrrev_i32_e32 v2, 4, v2
	v_mov_b32_e32 v9, s19
	v_cmp_gt_i32_e32 vcc, s40, v1
	s_add_u32 s6, s6, s8
	s_addc_u32 s7, s7, s9
	v_cndmask_b32_e32 v2, v9, v2, vcc
	v_ashrrev_i32_e32 v3, 31, v2
	v_lshl_add_u64 v[4:5], v[2:3], 2, s[6:7]
	v_or_b32_e32 v2, 16, v1
	v_add_u32_e32 v3, v2, v8
	v_ashrrev_i32_e32 v3, 4, v3
	v_cmp_gt_i32_e32 vcc, s40, v2
	s_load_dwordx4 s[8:11], s[0:1], 0x8
	s_nop 0
	v_cndmask_b32_e32 v2, v9, v3, vcc
	v_ashrrev_i32_e32 v3, 31, v2
	v_lshl_add_u64 v[6:7], v[2:3], 2, s[6:7]
	v_or_b32_e32 v2, 32, v1
	v_add_u32_e32 v3, v2, v8
	v_ashrrev_i32_e32 v3, 4, v3
	v_cmp_gt_i32_e32 vcc, s40, v2
	v_or_b32_e32 v1, 48, v1
	s_nop 0
	v_cndmask_b32_e32 v2, v9, v3, vcc
	v_ashrrev_i32_e32 v3, 31, v2
	v_lshl_add_u64 v[12:13], v[2:3], 2, s[6:7]
	v_add_u32_e32 v2, v1, v8
	v_ashrrev_i32_e32 v2, 4, v2
	v_cmp_gt_i32_e32 vcc, s40, v1
	s_nop 1
	v_cndmask_b32_e32 v2, v9, v2, vcc
	v_ashrrev_i32_e32 v3, 31, v2
	v_lshl_add_u64 v[14:15], v[2:3], 2, s[6:7]
	global_load_dword v2, v[4:5], off
	global_load_dword v10, v[6:7], off
	;; [unrolled: 1-line block ×4, first 2 shown]
	s_andn2_b64 vcc, exec, s[14:15]
	s_cbranch_vccnz .LBB427_8
; %bb.6:
	s_add_u32 s12, s12, s16
	s_addc_u32 s13, s13, s17
	s_load_dword s5, s[12:13], 0x0
	s_branch .LBB427_9
.LBB427_7:
	s_mov_b64 s[8:9], 0
	s_branch .LBB427_2
.LBB427_8:
	s_mov_b32 s5, s2
.LBB427_9:
	s_load_dwordx4 s[44:47], s[0:1], 0x48
	v_and_b32_e32 v55, 15, v0
	s_movk_i32 s12, 0x80
	v_lshlrev_b32_e32 v3, 3, v55
	v_cmp_gt_u32_e32 vcc, s12, v0
	v_cmp_gt_u32_e64 s[30:31], 8, v55
	v_lshrrev_b32_e32 v53, 6, v0
	v_and_b32_e32 v54, 63, v0
	v_bfe_u32 v1, v0, 4, 2
	s_lshl_b32 s29, s4, 3
	s_and_b64 s[14:15], vcc, s[30:31]
	v_lshlrev_b32_e32 v34, 1, v3
	s_and_saveexec_b64 s[12:13], s[14:15]
	s_cbranch_execz .LBB427_11
; %bb.10:
	s_load_dwordx2 s[14:15], s[0:1], 0x0
	s_waitcnt lgkmcnt(0)
	s_ashr_i32 s16, s44, 31
	s_mul_hi_u32 s17, s5, s44
	s_mul_i32 s16, s5, s16
	s_add_i32 s17, s17, s16
	s_mul_i32 s16, s5, s44
	v_lshl_or_b32 v3, v53, 2, v1
	s_lshl_b64 s[16:17], s[16:17], 1
	s_add_u32 s14, s14, s16
	v_add_lshl_u32 v4, v3, s29, 6
	s_addc_u32 s15, s15, s17
	v_ashrrev_i32_e32 v5, 31, v4
	v_lshl_add_u64 v[4:5], v[4:5], 1, s[14:15]
	v_mov_b32_e32 v35, 0
	v_lshl_add_u64 v[4:5], v[4:5], 0, v[34:35]
	global_load_dwordx4 v[4:7], v[4:5], off
	v_and_b32_e32 v11, 3, v0
	v_lshlrev_b32_e32 v12, 9, v55
	v_lshlrev_b32_e32 v3, 5, v3
	;; [unrolled: 1-line block ×3, first 2 shown]
	v_and_b32_e32 v12, 0x1800, v12
	v_or3_b32 v3, v12, v11, v3
	s_waitcnt vmcnt(0)
	ds_write_b128 v3, v[4:7]
.LBB427_11:
	s_or_b64 exec, exec, s[12:13]
	s_waitcnt lgkmcnt(0)
	s_mul_i32 s4, s4, s46
	s_mov_b32 s5, 0
	s_lshl_b64 s[4:5], s[4:5], 1
	s_add_u32 s8, s8, s4
	v_lshlrev_b32_e32 v52, 4, v0
	s_addc_u32 s9, s9, s5
	v_and_b32_e32 v6, 0xf0, v52
	v_mov_b32_e32 v7, 0
	v_lshl_add_u64 v[12:13], s[8:9], 0, v[6:7]
	s_waitcnt vmcnt(3)
	v_mad_i64_i32 v[2:3], s[8:9], v2, s45, 0
	v_lshl_add_u64 v[2:3], v[2:3], 1, v[12:13]
	v_and_b32_e32 v6, 0x300, v52
	v_and_b32_e32 v11, 7, v0
	s_waitcnt vmcnt(2)
	v_mad_i64_i32 v[20:21], s[8:9], v10, s45, 0
	s_waitcnt vmcnt(1)
	v_mad_i64_i32 v[24:25], s[8:9], v9, s45, 0
	v_lshl_add_u64 v[14:15], v[2:3], 0, v[6:7]
	s_waitcnt vmcnt(0)
	v_mad_i64_i32 v[26:27], s[8:9], v8, s45, 0
	v_lshlrev_b32_e32 v8, 5, v11
	v_lshl_add_u64 v[20:21], v[20:21], 1, v[12:13]
	v_lshl_add_u64 v[24:25], v[24:25], 1, v[12:13]
	s_load_dword s33, s[0:1], 0x98
	s_load_dword s12, s[0:1], 0x1c
	s_waitcnt lgkmcnt(0)
	s_barrier
	global_load_dwordx4 v[2:5], v[14:15], off
	v_lshl_or_b32 v8, v1, 9, v8
	v_lshl_add_u64 v[32:33], v[20:21], 0, v[6:7]
	v_lshl_add_u64 v[30:31], v[24:25], 0, v[6:7]
	ds_read_b128 v[16:19], v8
	ds_read_b128 v[8:11], v8 offset:2048
	global_load_dwordx4 v[20:23], v[32:33], off
	v_lshl_add_u64 v[12:13], v[26:27], 1, v[12:13]
	global_load_dwordx4 v[24:27], v[30:31], off
	v_lshl_add_u64 v[28:29], v[12:13], 0, v[6:7]
	global_load_dwordx4 v[12:15], v[14:15], off offset:1024
	s_nop 0
	global_load_dwordx4 v[40:43], v[28:29], off
	global_load_dwordx4 v[44:47], v[32:33], off offset:1024
	global_load_dwordx4 v[60:63], v[28:29], off offset:1024
	v_and_or_b32 v6, v0, 48, s18
	global_load_dwordx4 v[30:33], v[30:31], off offset:1024
	v_mov_b32_e32 v68, s19
	v_cmp_gt_i32_e32 vcc, s40, v6
	v_or_b32_e32 v28, 0x80, v6
	v_ashrrev_i32_e32 v29, 4, v28
	v_lshlrev_b32_e32 v35, 5, v55
	s_add_u32 s4, s10, s4
	s_addc_u32 s5, s11, s5
	s_mov_b32 s42, 0xff7fffff
	v_lshlrev_b32_e32 v55, 2, v55
	s_waitcnt vmcnt(3) lgkmcnt(1)
	v_mfma_f32_16x16x16_bf16 v[64:67], v[40:41], v[16:17], 0
	v_mfma_f32_16x16x16_bf16 v[36:39], v[2:3], v[16:17], 0
	v_ashrrev_i32_e32 v2, 4, v6
	v_mfma_f32_16x16x16_bf16 v[48:51], v[20:21], v[16:17], 0
	v_or_b32_e32 v20, 64, v6
	v_ashrrev_i32_e32 v21, 4, v20
	v_or_b32_e32 v6, 0xc0, v6
	v_mfma_f32_16x16x16_bf16 v[56:59], v[24:25], v[16:17], 0
	v_cndmask_b32_e32 v16, v68, v2, vcc
	v_ashrrev_i32_e32 v17, 31, v16
	v_lshl_add_u64 v[16:17], v[16:17], 2, s[6:7]
	v_mfma_f32_16x16x16_bf16 v[2:5], v[4:5], v[18:19], v[36:39]
	v_cmp_gt_i32_e32 vcc, s40, v20
	s_nop 1
	global_load_dword v36, v[16:17], off
	v_cndmask_b32_e32 v24, v68, v21, vcc
	v_ashrrev_i32_e32 v25, 31, v24
	v_lshl_add_u64 v[16:17], v[24:25], 2, s[6:7]
	global_load_dword v37, v[16:17], off
	v_cmp_gt_i32_e32 vcc, s40, v28
	v_ashrrev_i32_e32 v38, 4, v6
	s_waitcnt lgkmcnt(0)
	v_mfma_f32_16x16x16_bf16 v[2:5], v[12:13], v[8:9], v[2:5]
	v_cndmask_b32_e32 v12, v68, v29, vcc
	v_cmp_gt_i32_e32 vcc, s40, v6
	v_ashrrev_i32_e32 v13, 31, v12
	v_lshl_add_u64 v[12:13], v[12:13], 2, s[6:7]
	v_cndmask_b32_e32 v28, v68, v38, vcc
	v_ashrrev_i32_e32 v29, 31, v28
	v_mfma_f32_16x16x16_bf16 v[24:27], v[26:27], v[18:19], v[56:59]
	v_lshl_add_u64 v[28:29], v[28:29], 2, s[6:7]
	s_nop 1
	global_load_dword v56, v[12:13], off
	global_load_dword v57, v[28:29], off
	v_lshl_or_b32 v6, v53, 9, v35
	v_mfma_f32_16x16x16_bf16 v[20:23], v[22:23], v[18:19], v[48:51]
	v_lshl_add_u64 v[12:13], s[4:5], 0, v[6:7]
	v_mfma_f32_16x16x16_bf16 v[16:19], v[42:43], v[18:19], v[64:67]
	s_waitcnt vmcnt(5)
	v_mfma_f32_16x16x16_bf16 v[16:19], v[60:61], v[8:9], v[16:19]
	s_waitcnt vmcnt(4)
	v_mfma_f32_16x16x16_bf16 v[24:27], v[30:31], v[8:9], v[24:27]
	v_mfma_f32_16x16x16_bf16 v[28:31], v[14:15], v[10:11], v[2:5]
	;; [unrolled: 1-line block ×3, first 2 shown]
	s_waitcnt vmcnt(3)
	s_nop 0
	v_mad_i64_i32 v[2:3], s[4:5], v36, s45, 0
	v_lshl_add_u64 v[14:15], v[2:3], 1, v[12:13]
	global_load_dwordx4 v[6:9], v[14:15], off
	global_load_dwordx4 v[2:5], v[14:15], off offset:16
	v_mfma_f32_16x16x16_bf16 v[14:17], v[62:63], v[10:11], v[16:19]
	s_waitcnt vmcnt(4)
	v_mad_i64_i32 v[36:37], s[4:5], v37, s45, 0
	v_lshl_add_u64 v[38:39], v[36:37], 1, v[12:13]
	v_mfma_f32_16x16x16_bf16 v[20:23], v[46:47], v[10:11], v[20:23]
	v_pk_mul_f32 v[48:49], s[12:13], v[30:31] op_sel_hi:[0,1]
	s_nop 1
	v_pk_mul_f32 v[42:43], s[12:13], v[14:15] op_sel_hi:[0,1]
	v_and_b32_e32 v14, 0xc0, v0
	v_add_u32_e32 v14, s18, v14
	v_lshl_or_b32 v14, v1, 2, v14
	v_pk_mul_f32 v[36:37], s[12:13], v[16:17] op_sel_hi:[0,1]
	v_or_b32_e32 v17, 1, v14
	v_mfma_f32_16x16x16_bf16 v[24:27], v[32:33], v[10:11], v[24:27]
	v_pk_mul_f32 v[10:11], s[12:13], v[28:29] op_sel_hi:[0,1]
	v_mov_b32_e32 v15, 0xff7fffff
	v_cmp_gt_i32_e64 s[4:5], s40, v14
	v_cmp_gt_i32_e64 s[34:35], s40, v17
	v_or_b32_e32 v18, 3, v14
	v_cndmask_b32_e64 v16, v15, v10, s[4:5]
	v_cndmask_b32_e64 v17, v15, v11, s[34:35]
	v_max3_f32 v16, v16, s42, v17
	v_or_b32_e32 v17, 2, v14
	v_cmp_gt_i32_e64 s[36:37], s40, v17
	v_cmp_gt_i32_e64 s[38:39], s40, v18
	v_pk_mul_f32 v[40:41], s[12:13], v[20:21] op_sel_hi:[0,1]
	v_cndmask_b32_e64 v17, v15, v48, s[36:37]
	v_cndmask_b32_e64 v18, v15, v49, s[38:39]
	v_max3_f32 v16, v16, v17, v18
	v_or_b32_e32 v17, 16, v14
	v_or_b32_e32 v18, 17, v14
	v_cmp_gt_i32_e64 s[24:25], s40, v17
	v_cmp_gt_i32_e64 s[26:27], s40, v18
	v_pk_mul_f32 v[50:51], s[12:13], v[22:23] op_sel_hi:[0,1]
	v_cndmask_b32_e64 v17, v15, v40, s[24:25]
	v_cndmask_b32_e64 v18, v15, v41, s[26:27]
	v_max3_f32 v16, v16, v17, v18
	v_or_b32_e32 v17, 18, v14
	;; [unrolled: 8-line block ×4, first 2 shown]
	v_or_b32_e32 v18, 35, v14
	v_cmp_gt_i32_e64 s[12:13], s40, v17
	v_cmp_gt_i32_e64 s[14:15], s40, v18
	global_load_dwordx4 v[30:33], v[38:39], off
	global_load_dwordx4 v[26:29], v[38:39], off offset:16
	v_cndmask_b32_e64 v17, v15, v46, s[12:13]
	v_cndmask_b32_e64 v18, v15, v47, s[14:15]
	v_max3_f32 v16, v16, v17, v18
	v_or_b32_e32 v17, 48, v14
	v_or_b32_e32 v18, 49, v14
	v_cmp_gt_i32_e64 s[8:9], s40, v17
	v_cmp_gt_i32_e64 s[10:11], s40, v18
	s_nop 0
	v_cndmask_b32_e64 v17, v15, v42, s[8:9]
	v_cndmask_b32_e64 v18, v15, v43, s[10:11]
	v_max3_f32 v16, v16, v17, v18
	v_or_b32_e32 v17, 50, v14
	v_or_b32_e32 v14, 51, v14
	v_cmp_gt_i32_e32 vcc, s40, v17
	v_cmp_gt_i32_e64 s[6:7], s40, v14
	s_nop 0
	v_cndmask_b32_e32 v17, v15, v36, vcc
	v_cndmask_b32_e64 v14, v15, v37, s[6:7]
	v_max3_f32 v16, v16, v17, v14
	v_mbcnt_lo_u32_b32 v14, -1, 0
	v_mbcnt_hi_u32_b32 v17, -1, v14
	v_and_b32_e32 v14, 64, v17
	v_add_u32_e32 v18, 64, v14
	v_xor_b32_e32 v14, 32, v17
	v_cmp_lt_i32_e64 s[40:41], v14, v18
	s_nop 1
	v_cndmask_b32_e64 v14, v17, v14, s[40:41]
	v_lshlrev_b32_e32 v58, 2, v14
	ds_bpermute_b32 v19, v58, v16
	s_waitcnt vmcnt(5)
	v_mad_i64_i32 v[14:15], s[40:41], v56, s45, 0
	v_lshl_add_u64 v[14:15], v[14:15], 1, v[12:13]
	s_waitcnt lgkmcnt(0)
	v_max_f32_e32 v19, v19, v19
	v_max_f32_e32 v16, v16, v19
	v_xor_b32_e32 v19, 16, v17
	v_cmp_lt_i32_e64 s[40:41], v19, v18
	s_nop 1
	v_cndmask_b32_e64 v17, v17, v19, s[40:41]
	v_lshlrev_b32_e32 v59, 2, v17
	ds_bpermute_b32 v17, v59, v16
	global_load_dwordx4 v[22:25], v[14:15], off
	global_load_dwordx4 v[18:21], v[14:15], off offset:16
	s_waitcnt vmcnt(6)
	v_mad_i64_i32 v[14:15], s[40:41], v57, s45, 0
	v_lshl_add_u64 v[12:13], v[14:15], 1, v[12:13]
	s_waitcnt lgkmcnt(0)
	v_max_f32_e32 v14, v17, v17
	v_max_f32_e32 v56, v16, v14
	v_sub_f32_e32 v10, v10, v56
	v_mul_f32_e32 v10, 0x3fb8aa3b, v10
	v_exp_f32_e32 v38, v10
	v_sub_f32_e32 v10, v11, v56
	v_mul_f32_e32 v10, 0x3fb8aa3b, v10
	v_exp_f32_e32 v39, v10
	global_load_dwordx4 v[14:17], v[12:13], off
	s_nop 0
	global_load_dwordx4 v[10:13], v[12:13], off offset:16
	v_sub_f32_e32 v48, v48, v56
	v_mul_f32_e32 v48, 0x3fb8aa3b, v48
	v_sub_f32_e32 v49, v49, v56
	v_exp_f32_e32 v48, v48
	v_mul_f32_e32 v49, 0x3fb8aa3b, v49
	v_sub_f32_e32 v40, v40, v56
	v_exp_f32_e32 v49, v49
	v_mul_f32_e32 v40, 0x3fb8aa3b, v40
	v_sub_f32_e32 v41, v41, v56
	v_cndmask_b32_e64 v38, 0, v38, s[4:5]
	v_exp_f32_e32 v40, v40
	v_mul_f32_e32 v41, 0x3fb8aa3b, v41
	v_sub_f32_e32 v50, v50, v56
	v_add_f32_e32 v57, 0, v38
	v_cndmask_b32_e64 v39, 0, v39, s[34:35]
	v_exp_f32_e32 v41, v41
	v_mul_f32_e32 v50, 0x3fb8aa3b, v50
	v_sub_f32_e32 v51, v51, v56
	v_add_f32_e32 v57, v57, v39
	v_cndmask_b32_e64 v48, 0, v48, s[36:37]
	v_exp_f32_e32 v50, v50
	v_mul_f32_e32 v51, 0x3fb8aa3b, v51
	v_sub_f32_e32 v44, v44, v56
	v_add_f32_e32 v57, v57, v48
	v_cndmask_b32_e64 v49, 0, v49, s[38:39]
	v_exp_f32_e32 v51, v51
	v_mul_f32_e32 v44, 0x3fb8aa3b, v44
	v_sub_f32_e32 v45, v45, v56
	v_add_f32_e32 v57, v57, v49
	v_cndmask_b32_e64 v40, 0, v40, s[24:25]
	v_exp_f32_e32 v44, v44
	v_mul_f32_e32 v45, 0x3fb8aa3b, v45
	v_sub_f32_e32 v46, v46, v56
	v_add_f32_e32 v57, v57, v40
	v_cndmask_b32_e64 v41, 0, v41, s[26:27]
	v_exp_f32_e32 v45, v45
	v_mul_f32_e32 v46, 0x3fb8aa3b, v46
	v_sub_f32_e32 v47, v47, v56
	v_add_f32_e32 v57, v57, v41
	v_cndmask_b32_e64 v50, 0, v50, s[20:21]
	v_exp_f32_e32 v46, v46
	v_mul_f32_e32 v47, 0x3fb8aa3b, v47
	v_sub_f32_e32 v42, v42, v56
	v_add_f32_e32 v57, v57, v50
	v_cndmask_b32_e64 v51, 0, v51, s[22:23]
	v_exp_f32_e32 v47, v47
	v_mul_f32_e32 v42, 0x3fb8aa3b, v42
	v_sub_f32_e32 v43, v43, v56
	v_add_f32_e32 v57, v57, v51
	v_cndmask_b32_e64 v44, 0, v44, s[16:17]
	v_exp_f32_e32 v42, v42
	v_mul_f32_e32 v43, 0x3fb8aa3b, v43
	v_sub_f32_e32 v36, v36, v56
	v_add_f32_e32 v57, v57, v44
	v_cndmask_b32_e64 v45, 0, v45, s[18:19]
	v_exp_f32_e32 v43, v43
	v_mul_f32_e32 v36, 0x3fb8aa3b, v36
	v_sub_f32_e32 v37, v37, v56
	v_add_f32_e32 v57, v57, v45
	v_cndmask_b32_e64 v46, 0, v46, s[12:13]
	v_exp_f32_e32 v36, v36
	v_mul_f32_e32 v37, 0x3fb8aa3b, v37
	v_add_f32_e32 v57, v57, v46
	v_cndmask_b32_e64 v47, 0, v47, s[14:15]
	v_exp_f32_e32 v37, v37
	v_add_f32_e32 v57, v57, v47
	v_cndmask_b32_e64 v42, 0, v42, s[8:9]
	v_add_f32_e32 v57, v57, v42
	v_cndmask_b32_e64 v43, 0, v43, s[10:11]
	v_add_f32_e32 v57, v57, v43
	v_cndmask_b32_e32 v36, 0, v36, vcc
	v_add_f32_e32 v57, v57, v36
	v_cndmask_b32_e64 v37, 0, v37, s[6:7]
	v_add_f32_e32 v57, v57, v37
	ds_bpermute_b32 v58, v58, v57
	v_cmp_gt_u32_e32 vcc, 16, v54
	s_waitcnt lgkmcnt(0)
	s_barrier
	v_add_f32_e32 v57, v57, v58
	ds_bpermute_b32 v58, v59, v57
	s_and_saveexec_b64 s[4:5], vcc
	s_cbranch_execz .LBB427_13
; %bb.12:
	s_waitcnt lgkmcnt(0)
	v_add_f32_e32 v54, v57, v58
	v_lshl_or_b32 v57, v53, 6, v55
	ds_write2st64_b32 v57, v56, v54 offset1:1
.LBB427_13:
	s_or_b64 exec, exec, s[4:5]
	s_load_dword s6, s[0:1], 0x94
	s_waitcnt lgkmcnt(0)
	s_barrier
	ds_read2_b32 v[56:57], v55 offset1:16
	ds_read2_b32 v[58:59], v55 offset0:32 offset1:48
	ds_read2_b32 v[60:61], v55 offset0:64 offset1:80
	s_movk_i32 s8, 0x7fff
	s_mov_b32 s9, 0x7060302
	s_waitcnt lgkmcnt(2)
	v_max3_f32 v54, v56, s42, v57
	s_waitcnt lgkmcnt(1)
	v_max3_f32 v54, v54, v58, v59
	v_sub_f32_e32 v56, v56, v54
	v_mul_f32_e32 v56, 0x3fb8aa3b, v56
	v_exp_f32_e32 v62, v56
	v_sub_f32_e32 v56, v57, v54
	v_mul_f32_e32 v56, 0x3fb8aa3b, v56
	v_exp_f32_e32 v63, v56
	;; [unrolled: 3-line block ×3, first 2 shown]
	ds_read2_b32 v[56:57], v55 offset0:96 offset1:112
	v_sub_f32_e32 v55, v59, v54
	v_mul_f32_e32 v55, 0x3fb8aa3b, v55
	v_exp_f32_e32 v59, v55
	s_waitcnt lgkmcnt(1)
	v_fma_f32 v55, v62, v60, 0
	v_fmac_f32_e32 v55, v63, v61
	s_waitcnt lgkmcnt(0)
	v_fmac_f32_e32 v55, v58, v56
	v_fmac_f32_e32 v55, v59, v57
	v_add_f32_e32 v56, 0x358637bd, v55
	v_div_scale_f32 v57, s[4:5], v56, v56, 1.0
	v_rcp_f32_e32 v60, v57
	s_barrier
	v_fma_f32 v61, -v57, v60, 1.0
	v_fmac_f32_e32 v60, v61, v60
	v_div_scale_f32 v61, vcc, 1.0, v56, 1.0
	v_mul_f32_e32 v64, v61, v60
	v_fma_f32 v65, -v57, v64, v61
	v_fmac_f32_e32 v64, v65, v60
	v_fma_f32 v57, -v57, v64, v61
	v_div_fmas_f32 v57, v57, v60, v64
	v_cmp_eq_u32_e32 vcc, 1, v53
	v_div_fixup_f32 v56, v57, v56, 1.0
	s_lshl_b32 s7, s33, 3
	v_cndmask_b32_e32 v57, v62, v63, vcc
	v_cmp_eq_u32_e32 vcc, 2, v53
	s_nop 1
	v_cndmask_b32_e32 v57, v57, v58, vcc
	v_cmp_eq_u32_e32 vcc, 3, v53
	s_nop 1
	v_cndmask_b32_e32 v57, v57, v59, vcc
	v_mul_f32_e32 v56, v57, v56
	v_pk_mul_f32 v[38:39], v[56:57], v[38:39] op_sel_hi:[0,1]
	v_pk_mul_f32 v[48:49], v[56:57], v[48:49] op_sel_hi:[0,1]
	v_bfe_u32 v57, v39, 16, 1
	v_bfe_u32 v58, v38, 16, 1
	v_add3_u32 v38, v38, v58, s8
	v_add3_u32 v39, v39, v57, s8
	v_perm_b32 v58, v39, v38, s9
	v_bfe_u32 v38, v49, 16, 1
	v_bfe_u32 v39, v48, 16, 1
	v_add3_u32 v39, v48, v39, s8
	v_add3_u32 v38, v49, v38, s8
	v_perm_b32 v59, v38, v39, s9
	v_lshlrev_b32_e32 v38, 3, v1
	v_lshlrev_b32_e32 v39, 11, v53
	v_pk_mul_f32 v[40:41], v[56:57], v[40:41] op_sel_hi:[0,1]
	v_or3_b32 v38, v39, v35, v38
	v_pk_mul_f32 v[48:49], v[56:57], v[50:51] op_sel_hi:[0,1]
	v_bfe_u32 v39, v41, 16, 1
	v_bfe_u32 v50, v40, 16, 1
	v_add3_u32 v40, v40, v50, s8
	v_add3_u32 v39, v41, v39, s8
	v_perm_b32 v40, v39, v40, s9
	v_bfe_u32 v39, v49, 16, 1
	v_bfe_u32 v41, v48, 16, 1
	v_add3_u32 v41, v48, v41, s8
	v_add3_u32 v39, v49, v39, s8
	v_perm_b32 v41, v39, v41, s9
	v_pk_mul_f32 v[44:45], v[56:57], v[44:45] op_sel_hi:[0,1]
	ds_write2st64_b64 v38, v[58:59], v[40:41] offset1:1
	v_pk_mul_f32 v[40:41], v[56:57], v[46:47] op_sel_hi:[0,1]
	v_bfe_u32 v39, v45, 16, 1
	v_bfe_u32 v46, v44, 16, 1
	v_add3_u32 v44, v44, v46, s8
	v_add3_u32 v39, v45, v39, s8
	v_perm_b32 v44, v39, v44, s9
	v_bfe_u32 v39, v41, 16, 1
	v_bfe_u32 v45, v40, 16, 1
	v_add3_u32 v40, v40, v45, s8
	v_add3_u32 v39, v41, v39, s8
	v_perm_b32 v45, v39, v40, s9
	v_pk_mul_f32 v[40:41], v[56:57], v[42:43] op_sel_hi:[0,1]
	v_bfe_u32 v39, v41, 16, 1
	v_bfe_u32 v42, v40, 16, 1
	v_pk_mul_f32 v[36:37], v[56:57], v[36:37] op_sel_hi:[0,1]
	v_add3_u32 v40, v40, v42, s8
	v_add3_u32 v39, v41, v39, s8
	v_perm_b32 v40, v39, v40, s9
	v_bfe_u32 v39, v37, 16, 1
	v_bfe_u32 v41, v36, 16, 1
	v_add3_u32 v36, v36, v41, s8
	v_add3_u32 v37, v37, v39, s8
	v_perm_b32 v41, v37, v36, s9
	v_cmp_gt_u32_e32 vcc, 8, v0
	ds_write2st64_b64 v38, v[44:45], v[40:41] offset0:2 offset1:3
	s_and_saveexec_b64 s[4:5], vcc
	s_cbranch_execz .LBB427_15
; %bb.14:
	v_or_b32_e32 v36, s29, v0
	v_mov_b32_e32 v37, 0
	v_mov_b32_e32 v39, s7
	v_mad_u64_u32 v[40:41], s[10:11], s2, v39, v[36:37]
	v_mov_b32_e32 v36, s28
	s_load_dwordx4 s[12:15], s[0:1], 0x58
	s_mul_i32 s3, s3, s7
	v_mad_u64_u32 v[36:37], s[10:11], v40, s6, v[36:37]
	v_add_u32_e32 v39, s3, v41
	v_mov_b32_e32 v40, v37
	v_mad_u64_u32 v[40:41], s[10:11], v39, s6, v[40:41]
	v_mov_b32_e32 v37, v40
	v_lshlrev_b64 v[36:37], 2, v[36:37]
	s_waitcnt lgkmcnt(0)
	v_lshl_add_u64 v[40:41], s[14:15], 0, v[36:37]
	v_lshl_add_u64 v[36:37], s[12:13], 0, v[36:37]
	global_store_dword v[40:41], v54, off
	global_store_dword v[36:37], v55, off
.LBB427_15:
	s_or_b64 exec, exec, s[4:5]
	v_lshl_or_b32 v35, v1, 9, v35
	s_waitcnt lgkmcnt(0)
	s_barrier
	ds_read_b128 v[40:43], v35
	ds_read_b128 v[44:47], v35 offset:16
	s_waitcnt vmcnt(7) lgkmcnt(1)
	v_mfma_f32_16x16x16_bf16 v[48:51], v[6:7], v[40:41], 0
	v_cmp_gt_u32_e32 vcc, 64, v0
	s_mov_b32 s3, 0
	s_and_b64 s[4:5], vcc, s[30:31]
	v_mfma_f32_16x16x16_bf16 v[6:9], v[8:9], v[42:43], v[48:51]
	s_waitcnt vmcnt(6) lgkmcnt(0)
	v_mfma_f32_16x16x16_bf16 v[6:9], v[2:3], v[44:45], v[6:9]
	v_mfma_f32_16x16x16_bf16 v[2:5], v[4:5], v[46:47], v[6:9]
	s_nop 5
	ds_read_b128 v[6:9], v35 offset:2048
	ds_read_b128 v[40:43], v35 offset:2064
	s_waitcnt vmcnt(5) lgkmcnt(1)
	v_mfma_f32_16x16x16_bf16 v[2:5], v[30:31], v[6:7], v[2:5]
	v_mfma_f32_16x16x16_bf16 v[2:5], v[32:33], v[8:9], v[2:5]
	s_waitcnt vmcnt(4) lgkmcnt(0)
	v_mfma_f32_16x16x16_bf16 v[2:5], v[26:27], v[40:41], v[2:5]
	v_mfma_f32_16x16x16_bf16 v[2:5], v[28:29], v[42:43], v[2:5]
	ds_read_b128 v[6:9], v35 offset:4096
	ds_read_b128 v[26:29], v35 offset:4112
	s_waitcnt vmcnt(3) lgkmcnt(1)
	v_mfma_f32_16x16x16_bf16 v[2:5], v[22:23], v[6:7], v[2:5]
	v_mfma_f32_16x16x16_bf16 v[2:5], v[24:25], v[8:9], v[2:5]
	s_waitcnt vmcnt(2) lgkmcnt(0)
	v_mfma_f32_16x16x16_bf16 v[2:5], v[18:19], v[26:27], v[2:5]
	v_mfma_f32_16x16x16_bf16 v[2:5], v[20:21], v[28:29], v[2:5]
	ds_read_b128 v[6:9], v35 offset:6144
	ds_read_b128 v[18:21], v35 offset:6160
	v_mov_b32_e32 v35, 0
	s_waitcnt vmcnt(1) lgkmcnt(0)
	v_mfma_f32_16x16x16_bf16 v[2:5], v[14:15], v[6:7], v[2:5]
	s_barrier
	v_mfma_f32_16x16x16_bf16 v[2:5], v[16:17], v[8:9], v[2:5]
	s_waitcnt vmcnt(0)
	v_mfma_f32_16x16x16_bf16 v[2:5], v[10:11], v[18:19], v[2:5]
	v_mfma_f32_16x16x16_bf16 v[2:5], v[12:13], v[20:21], v[2:5]
	s_nop 6
	v_bfe_u32 v6, v3, 16, 1
	v_bfe_u32 v7, v2, 16, 1
	;; [unrolled: 1-line block ×4, first 2 shown]
	v_add3_u32 v2, v2, v7, s8
	v_add3_u32 v3, v3, v6, s8
	;; [unrolled: 1-line block ×4, first 2 shown]
	v_perm_b32 v2, v3, v2, s9
	v_perm_b32 v3, v5, v4, s9
	ds_write_b64 v38, v[2:3]
	s_waitcnt lgkmcnt(0)
	s_barrier
	s_and_saveexec_b64 s[8:9], s[4:5]
	s_cbranch_execz .LBB427_17
; %bb.16:
	s_load_dwordx2 s[0:1], s[0:1], 0x68
	s_lshl_b32 s6, s6, 6
	s_mul_i32 s2, s7, s2
	s_mul_hi_u32 s5, s2, s6
	s_mul_i32 s4, s2, s6
	s_lshl_b64 s[4:5], s[4:5], 1
	v_lshlrev_b32_e32 v0, 10, v0
	s_waitcnt lgkmcnt(0)
	s_add_u32 s4, s0, s4
	v_and_b32_e32 v0, 0x1800, v0
	v_lshlrev_b32_e32 v2, 5, v1
	v_and_b32_e32 v3, 16, v52
	s_addc_u32 s5, s1, s5
	s_lshl_b32 s2, s28, 6
	v_or3_b32 v0, v0, v2, v3
	s_lshl_b64 s[0:1], s[2:3], 1
	ds_read_b128 v[2:5], v0
	ds_read_b128 v[6:9], v0 offset:128
	s_add_u32 s0, s4, s0
	s_addc_u32 s1, s5, s1
	v_or_b32_e32 v12, s29, v1
	v_lshl_add_u64 v[10:11], s[0:1], 0, v[34:35]
	v_mad_u64_u32 v[0:1], s[0:1], v12, s6, 0
	v_lshl_add_u64 v[0:1], v[0:1], 1, v[10:11]
	s_waitcnt lgkmcnt(1)
	global_store_dwordx4 v[0:1], v[2:5], off
	v_or_b32_e32 v0, 4, v12
	v_mad_u64_u32 v[0:1], s[0:1], v0, s6, 0
	v_lshl_add_u64 v[0:1], v[0:1], 1, v[10:11]
	s_waitcnt lgkmcnt(0)
	global_store_dwordx4 v[0:1], v[6:9], off
.LBB427_17:
	s_endpgm
	.section	.rodata,"a",@progbits
	.p2align	6, 0x0
	.amdhsa_kernel _Z39paged_attention_ll4mi_QKV_mfma16_kernelI14__hip_bfloat16S0_LN4vllm18Fp8KVCacheDataTypeE0EhLi16ELi64ELi256ELb0ELi8EEvPKT_PKT0_S8_ifPKiSA_SA_iPKfiiiPfSD_PS3_PT2_iSC_SC_
		.amdhsa_group_segment_fixed_size 8192
		.amdhsa_private_segment_fixed_size 0
		.amdhsa_kernarg_size 400
		.amdhsa_user_sgpr_count 2
		.amdhsa_user_sgpr_dispatch_ptr 0
		.amdhsa_user_sgpr_queue_ptr 0
		.amdhsa_user_sgpr_kernarg_segment_ptr 1
		.amdhsa_user_sgpr_dispatch_id 0
		.amdhsa_user_sgpr_kernarg_preload_length 0
		.amdhsa_user_sgpr_kernarg_preload_offset 0
		.amdhsa_user_sgpr_private_segment_size 0
		.amdhsa_uses_dynamic_stack 0
		.amdhsa_enable_private_segment 0
		.amdhsa_system_sgpr_workgroup_id_x 1
		.amdhsa_system_sgpr_workgroup_id_y 1
		.amdhsa_system_sgpr_workgroup_id_z 1
		.amdhsa_system_sgpr_workgroup_info 0
		.amdhsa_system_vgpr_workitem_id 0
		.amdhsa_next_free_vgpr 69
		.amdhsa_next_free_sgpr 48
		.amdhsa_accum_offset 72
		.amdhsa_reserve_vcc 1
		.amdhsa_float_round_mode_32 0
		.amdhsa_float_round_mode_16_64 0
		.amdhsa_float_denorm_mode_32 3
		.amdhsa_float_denorm_mode_16_64 3
		.amdhsa_dx10_clamp 1
		.amdhsa_ieee_mode 1
		.amdhsa_fp16_overflow 0
		.amdhsa_tg_split 0
		.amdhsa_exception_fp_ieee_invalid_op 0
		.amdhsa_exception_fp_denorm_src 0
		.amdhsa_exception_fp_ieee_div_zero 0
		.amdhsa_exception_fp_ieee_overflow 0
		.amdhsa_exception_fp_ieee_underflow 0
		.amdhsa_exception_fp_ieee_inexact 0
		.amdhsa_exception_int_div_zero 0
	.end_amdhsa_kernel
	.section	.text._Z39paged_attention_ll4mi_QKV_mfma16_kernelI14__hip_bfloat16S0_LN4vllm18Fp8KVCacheDataTypeE0EhLi16ELi64ELi256ELb0ELi8EEvPKT_PKT0_S8_ifPKiSA_SA_iPKfiiiPfSD_PS3_PT2_iSC_SC_,"axG",@progbits,_Z39paged_attention_ll4mi_QKV_mfma16_kernelI14__hip_bfloat16S0_LN4vllm18Fp8KVCacheDataTypeE0EhLi16ELi64ELi256ELb0ELi8EEvPKT_PKT0_S8_ifPKiSA_SA_iPKfiiiPfSD_PS3_PT2_iSC_SC_,comdat
.Lfunc_end427:
	.size	_Z39paged_attention_ll4mi_QKV_mfma16_kernelI14__hip_bfloat16S0_LN4vllm18Fp8KVCacheDataTypeE0EhLi16ELi64ELi256ELb0ELi8EEvPKT_PKT0_S8_ifPKiSA_SA_iPKfiiiPfSD_PS3_PT2_iSC_SC_, .Lfunc_end427-_Z39paged_attention_ll4mi_QKV_mfma16_kernelI14__hip_bfloat16S0_LN4vllm18Fp8KVCacheDataTypeE0EhLi16ELi64ELi256ELb0ELi8EEvPKT_PKT0_S8_ifPKiSA_SA_iPKfiiiPfSD_PS3_PT2_iSC_SC_
                                        ; -- End function
	.section	.AMDGPU.csdata,"",@progbits
; Kernel info:
; codeLenInByte = 3980
; NumSgprs: 54
; NumVgprs: 69
; NumAgprs: 0
; TotalNumVgprs: 69
; ScratchSize: 0
; MemoryBound: 0
; FloatMode: 240
; IeeeMode: 1
; LDSByteSize: 8192 bytes/workgroup (compile time only)
; SGPRBlocks: 6
; VGPRBlocks: 8
; NumSGPRsForWavesPerEU: 54
; NumVGPRsForWavesPerEU: 69
; AccumOffset: 72
; Occupancy: 7
; WaveLimiterHint : 1
; COMPUTE_PGM_RSRC2:SCRATCH_EN: 0
; COMPUTE_PGM_RSRC2:USER_SGPR: 2
; COMPUTE_PGM_RSRC2:TRAP_HANDLER: 0
; COMPUTE_PGM_RSRC2:TGID_X_EN: 1
; COMPUTE_PGM_RSRC2:TGID_Y_EN: 1
; COMPUTE_PGM_RSRC2:TGID_Z_EN: 1
; COMPUTE_PGM_RSRC2:TIDIG_COMP_CNT: 0
; COMPUTE_PGM_RSRC3_GFX90A:ACCUM_OFFSET: 17
; COMPUTE_PGM_RSRC3_GFX90A:TG_SPLIT: 0
	.section	.text._Z39paged_attention_ll4mi_QKV_mfma16_kernelI14__hip_bfloat16S0_LN4vllm18Fp8KVCacheDataTypeE0EhLi16ELi64ELi256ELb0ELi9EEvPKT_PKT0_S8_ifPKiSA_SA_iPKfiiiPfSD_PS3_PT2_iSC_SC_,"axG",@progbits,_Z39paged_attention_ll4mi_QKV_mfma16_kernelI14__hip_bfloat16S0_LN4vllm18Fp8KVCacheDataTypeE0EhLi16ELi64ELi256ELb0ELi9EEvPKT_PKT0_S8_ifPKiSA_SA_iPKfiiiPfSD_PS3_PT2_iSC_SC_,comdat
	.protected	_Z39paged_attention_ll4mi_QKV_mfma16_kernelI14__hip_bfloat16S0_LN4vllm18Fp8KVCacheDataTypeE0EhLi16ELi64ELi256ELb0ELi9EEvPKT_PKT0_S8_ifPKiSA_SA_iPKfiiiPfSD_PS3_PT2_iSC_SC_ ; -- Begin function _Z39paged_attention_ll4mi_QKV_mfma16_kernelI14__hip_bfloat16S0_LN4vllm18Fp8KVCacheDataTypeE0EhLi16ELi64ELi256ELb0ELi9EEvPKT_PKT0_S8_ifPKiSA_SA_iPKfiiiPfSD_PS3_PT2_iSC_SC_
	.globl	_Z39paged_attention_ll4mi_QKV_mfma16_kernelI14__hip_bfloat16S0_LN4vllm18Fp8KVCacheDataTypeE0EhLi16ELi64ELi256ELb0ELi9EEvPKT_PKT0_S8_ifPKiSA_SA_iPKfiiiPfSD_PS3_PT2_iSC_SC_
	.p2align	8
	.type	_Z39paged_attention_ll4mi_QKV_mfma16_kernelI14__hip_bfloat16S0_LN4vllm18Fp8KVCacheDataTypeE0EhLi16ELi64ELi256ELb0ELi9EEvPKT_PKT0_S8_ifPKiSA_SA_iPKfiiiPfSD_PS3_PT2_iSC_SC_,@function
_Z39paged_attention_ll4mi_QKV_mfma16_kernelI14__hip_bfloat16S0_LN4vllm18Fp8KVCacheDataTypeE0EhLi16ELi64ELi256ELb0ELi9EEvPKT_PKT0_S8_ifPKiSA_SA_iPKfiiiPfSD_PS3_PT2_iSC_SC_: ; @_Z39paged_attention_ll4mi_QKV_mfma16_kernelI14__hip_bfloat16S0_LN4vllm18Fp8KVCacheDataTypeE0EhLi16ELi64ELi256ELb0ELi9EEvPKT_PKT0_S8_ifPKiSA_SA_iPKfiiiPfSD_PS3_PT2_iSC_SC_
; %bb.0:
	s_load_dwordx2 s[12:13], s[0:1], 0x30
	s_mov_b32 s28, s3
	s_mov_b64 s[6:7], 0
	s_waitcnt lgkmcnt(0)
	s_cmp_lg_u64 s[12:13], 0
	s_cselect_b64 s[14:15], -1, 0
	s_and_b64 vcc, exec, s[14:15]
	s_cbranch_vccz .LBB428_7
; %bb.1:
	s_add_i32 s8, s2, 1
	s_mov_b32 s9, 0
	s_lshl_b64 s[10:11], s[8:9], 2
	s_add_u32 s10, s12, s10
	s_mov_b32 s3, s9
	s_addc_u32 s11, s13, s11
	s_lshl_b64 s[8:9], s[2:3], 2
	s_add_u32 s8, s12, s8
	s_addc_u32 s9, s13, s9
	s_load_dword s5, s[10:11], 0x0
	s_load_dword s16, s[8:9], 0x0
	s_waitcnt lgkmcnt(0)
	s_sub_i32 s5, s5, s16
	s_cmp_eq_u32 s5, 1
	s_cselect_b64 s[8:9], -1, 0
	s_andn2_b64 vcc, exec, s[6:7]
	s_cbranch_vccnz .LBB428_3
.LBB428_2:
	s_mov_b32 s3, 0
	s_mov_b64 s[8:9], -1
.LBB428_3:
	s_andn2_b64 vcc, exec, s[8:9]
	s_cbranch_vccnz .LBB428_18
; %bb.4:
	s_load_dwordx2 s[6:7], s[0:1], 0x28
	s_lshl_b64 s[16:17], s[2:3], 2
	s_waitcnt lgkmcnt(0)
	s_add_u32 s6, s6, s16
	s_addc_u32 s7, s7, s17
	s_load_dword s33, s[6:7], 0x0
	s_lshl_b32 s18, s28, 8
	s_waitcnt lgkmcnt(0)
	s_cmp_ge_i32 s18, s33
	s_cbranch_scc1 .LBB428_18
; %bb.5:
	s_load_dwordx2 s[6:7], s[0:1], 0x20
	s_load_dword s5, s[0:1], 0x38
	s_add_i32 s8, s33, 15
	s_ashr_i32 s9, s8, 31
	v_and_b32_e32 v1, 0xcf, v0
	s_lshr_b32 s9, s9, 28
	v_add_u32_e32 v1, s18, v1
	s_add_i32 s8, s8, s9
	v_ashrrev_i32_e32 v2, 31, v1
	s_ashr_i32 s19, s8, 4
	v_lshrrev_b32_e32 v6, 28, v2
	s_add_i32 s19, s19, -1
	s_waitcnt lgkmcnt(0)
	s_mul_i32 s8, s2, s5
	s_mov_b32 s9, 0
	v_add_u32_e32 v2, v1, v6
	s_lshl_b64 s[8:9], s[8:9], 2
	v_ashrrev_i32_e32 v2, 4, v2
	v_mov_b32_e32 v7, s19
	v_cmp_gt_i32_e32 vcc, s33, v1
	s_add_u32 s6, s6, s8
	s_addc_u32 s7, s7, s9
	v_cndmask_b32_e32 v2, v7, v2, vcc
	v_ashrrev_i32_e32 v3, 31, v2
	v_lshl_add_u64 v[4:5], v[2:3], 2, s[6:7]
	v_or_b32_e32 v2, 16, v1
	v_add_u32_e32 v3, v2, v6
	v_ashrrev_i32_e32 v3, 4, v3
	v_cmp_gt_i32_e32 vcc, s33, v2
	s_load_dwordx4 s[8:11], s[0:1], 0x8
	s_nop 0
	v_cndmask_b32_e32 v2, v7, v3, vcc
	v_ashrrev_i32_e32 v3, 31, v2
	v_lshl_add_u64 v[8:9], v[2:3], 2, s[6:7]
	v_or_b32_e32 v2, 32, v1
	v_add_u32_e32 v3, v2, v6
	v_ashrrev_i32_e32 v3, 4, v3
	v_cmp_gt_i32_e32 vcc, s33, v2
	v_or_b32_e32 v1, 48, v1
	s_nop 0
	v_cndmask_b32_e32 v2, v7, v3, vcc
	v_ashrrev_i32_e32 v3, 31, v2
	v_lshl_add_u64 v[12:13], v[2:3], 2, s[6:7]
	v_add_u32_e32 v2, v1, v6
	v_ashrrev_i32_e32 v2, 4, v2
	v_cmp_gt_i32_e32 vcc, s33, v1
	s_nop 1
	v_cndmask_b32_e32 v2, v7, v2, vcc
	v_ashrrev_i32_e32 v3, 31, v2
	v_lshl_add_u64 v[14:15], v[2:3], 2, s[6:7]
	global_load_dword v2, v[4:5], off
	global_load_dword v6, v[8:9], off
	;; [unrolled: 1-line block ×4, first 2 shown]
	s_andn2_b64 vcc, exec, s[14:15]
	s_cbranch_vccnz .LBB428_8
; %bb.6:
	s_add_u32 s12, s12, s16
	s_addc_u32 s13, s13, s17
	s_load_dword s5, s[12:13], 0x0
	s_branch .LBB428_9
.LBB428_7:
	s_mov_b64 s[8:9], 0
	s_branch .LBB428_2
.LBB428_8:
	s_mov_b32 s5, s2
.LBB428_9:
	s_load_dwordx4 s[44:47], s[0:1], 0x48
	v_lshrrev_b32_e32 v37, 6, v0
	v_bfe_u32 v54, v0, 4, 2
	v_lshl_or_b32 v1, v37, 2, v54
	v_and_b32_e32 v36, 15, v0
	v_lshlrev_b32_e32 v3, 3, v36
	v_cmp_gt_u32_e32 vcc, 9, v1
	v_cmp_gt_u32_e64 s[30:31], 8, v36
	v_and_b32_e32 v55, 63, v0
	s_mul_i32 s42, s4, 9
	s_and_b64 s[14:15], s[30:31], vcc
	v_lshlrev_b32_e32 v34, 1, v3
	s_and_saveexec_b64 s[12:13], s[14:15]
	s_cbranch_execz .LBB428_11
; %bb.10:
	s_load_dwordx2 s[14:15], s[0:1], 0x0
	s_waitcnt lgkmcnt(0)
	s_ashr_i32 s16, s44, 31
	s_mul_hi_u32 s17, s5, s44
	s_mul_i32 s16, s5, s16
	s_add_i32 s17, s17, s16
	s_mul_i32 s16, s5, s44
	s_lshl_b64 s[16:17], s[16:17], 1
	s_add_u32 s14, s14, s16
	v_add_lshl_u32 v4, v1, s42, 6
	s_addc_u32 s15, s15, s17
	v_ashrrev_i32_e32 v5, 31, v4
	v_lshl_add_u64 v[4:5], v[4:5], 1, s[14:15]
	v_mov_b32_e32 v35, 0
	v_lshl_add_u64 v[4:5], v[4:5], 0, v[34:35]
	global_load_dwordx4 v[12:15], v[4:5], off
	v_and_b32_e32 v3, 3, v0
	v_lshlrev_b32_e32 v4, 9, v36
	v_lshlrev_b32_e32 v1, 5, v1
	;; [unrolled: 1-line block ×3, first 2 shown]
	v_and_b32_e32 v4, 0x1800, v4
	v_or3_b32 v1, v4, v3, v1
	s_waitcnt vmcnt(0)
	ds_write_b128 v1, v[12:15]
.LBB428_11:
	s_or_b64 exec, exec, s[12:13]
	s_waitcnt lgkmcnt(0)
	s_mul_i32 s4, s4, s46
	s_mov_b32 s5, 0
	s_lshl_b64 s[4:5], s[4:5], 1
	s_add_u32 s8, s8, s4
	v_lshlrev_b32_e32 v1, 4, v0
	s_addc_u32 s9, s9, s5
	v_and_b32_e32 v30, 0xf0, v1
	v_mov_b32_e32 v31, 0
	v_lshl_add_u64 v[18:19], s[8:9], 0, v[30:31]
	s_waitcnt vmcnt(3)
	v_mad_i64_i32 v[2:3], s[8:9], v2, s45, 0
	v_lshl_add_u64 v[2:3], v[2:3], 1, v[18:19]
	v_and_b32_e32 v30, 0x300, v1
	v_lshl_add_u64 v[14:15], v[2:3], 0, v[30:31]
	s_load_dword s29, s[0:1], 0x98
	s_load_dword s12, s[0:1], 0x1c
	s_waitcnt lgkmcnt(0)
	s_barrier
	global_load_dwordx4 v[2:5], v[14:15], off
	global_load_dwordx4 v[26:29], v[14:15], off offset:1024
	s_waitcnt vmcnt(3)
	v_mad_i64_i32 v[10:11], s[8:9], v10, s45, 0
	v_lshl_add_u64 v[10:11], v[10:11], 1, v[18:19]
	v_lshl_add_u64 v[38:39], v[10:11], 0, v[30:31]
	global_load_dwordx4 v[10:13], v[38:39], off
	global_load_dwordx4 v[56:59], v[38:39], off offset:1024
	v_mad_i64_i32 v[6:7], s[8:9], v6, s45, 0
	v_lshl_add_u64 v[6:7], v[6:7], 1, v[18:19]
	v_lshl_add_u64 v[32:33], v[6:7], 0, v[30:31]
	global_load_dwordx4 v[6:9], v[32:33], off
	global_load_dwordx4 v[46:49], v[32:33], off offset:1024
	s_waitcnt vmcnt(6)
	v_mad_i64_i32 v[16:17], s[8:9], v16, s45, 0
	v_lshl_add_u64 v[16:17], v[16:17], 1, v[18:19]
	v_lshl_add_u64 v[40:41], v[16:17], 0, v[30:31]
	global_load_dwordx4 v[18:21], v[40:41], off
	v_add_u32_e32 v16, -9, v36
	v_cmp_gt_u32_e32 vcc, 9, v36
	global_load_dwordx4 v[38:41], v[40:41], off offset:1024
	v_and_or_b32 v30, v0, 48, s18
	v_cndmask_b32_e32 v16, v16, v36, vcc
	v_lshlrev_b32_e32 v16, 5, v16
	v_lshl_add_u32 v16, v54, 9, v16
	ds_read_b128 v[22:25], v16
	v_mov_b32_e32 v68, s19
	v_cmp_gt_i32_e32 vcc, s33, v30
	v_or_b32_e32 v32, 64, v30
	ds_read_b128 v[14:17], v16 offset:2048
	v_lshlrev_b32_e32 v35, 5, v36
	s_add_u32 s4, s10, s4
	s_addc_u32 s5, s11, s5
	s_mov_b32 s43, 0xff7fffff
	s_waitcnt vmcnt(7) lgkmcnt(1)
	v_mfma_f32_16x16x16_bf16 v[42:45], v[2:3], v[22:23], 0
	v_ashrrev_i32_e32 v2, 4, v30
	v_cndmask_b32_e32 v2, v68, v2, vcc
	v_ashrrev_i32_e32 v3, 31, v2
	s_waitcnt vmcnt(5)
	v_mfma_f32_16x16x16_bf16 v[60:63], v[10:11], v[22:23], 0
	v_lshl_add_u64 v[10:11], v[2:3], 2, s[6:7]
	v_cmp_gt_i32_e32 vcc, s33, v32
	v_mfma_f32_16x16x16_bf16 v[2:5], v[4:5], v[24:25], v[42:45]
	s_nop 2
	global_load_dword v42, v[10:11], off
	s_waitcnt vmcnt(4)
	v_mfma_f32_16x16x16_bf16 v[50:53], v[6:7], v[22:23], 0
	v_ashrrev_i32_e32 v6, 4, v32
	v_cndmask_b32_e32 v6, v68, v6, vcc
	v_ashrrev_i32_e32 v7, 31, v6
	v_lshl_add_u64 v[10:11], v[6:7], 2, s[6:7]
	global_load_dword v43, v[10:11], off
	s_waitcnt vmcnt(3)
	v_mfma_f32_16x16x16_bf16 v[64:67], v[18:19], v[22:23], 0
	v_or_b32_e32 v22, 0x80, v30
	v_or_b32_e32 v23, 0xc0, v30
	v_ashrrev_i32_e32 v30, 4, v22
	v_cmp_gt_i32_e32 vcc, s33, v22
	v_ashrrev_i32_e32 v32, 4, v23
	v_mfma_f32_16x16x16_bf16 v[6:9], v[8:9], v[24:25], v[50:53]
	v_cndmask_b32_e32 v22, v68, v30, vcc
	v_cmp_gt_i32_e32 vcc, s33, v23
	v_ashrrev_i32_e32 v23, 31, v22
	v_mfma_f32_16x16x16_bf16 v[10:13], v[12:13], v[24:25], v[60:63]
	v_lshl_or_b32 v30, v37, 9, v35
	v_mfma_f32_16x16x16_bf16 v[18:21], v[20:21], v[24:25], v[64:67]
	v_cndmask_b32_e32 v24, v68, v32, vcc
	v_ashrrev_i32_e32 v25, 31, v24
	v_lshl_add_u64 v[32:33], v[24:25], 2, s[6:7]
	s_waitcnt lgkmcnt(0)
	v_mfma_f32_16x16x16_bf16 v[2:5], v[26:27], v[14:15], v[2:5]
	v_lshl_add_u64 v[26:27], v[22:23], 2, s[6:7]
	global_load_dword v60, v[26:27], off
	global_load_dword v61, v[32:33], off
	v_mfma_f32_16x16x16_bf16 v[6:9], v[46:47], v[14:15], v[6:9]
	v_mfma_f32_16x16x16_bf16 v[22:25], v[56:57], v[14:15], v[10:13]
	s_waitcnt vmcnt(4)
	v_mfma_f32_16x16x16_bf16 v[18:21], v[38:39], v[14:15], v[18:21]
	s_nop 0
	v_lshl_add_u64 v[10:11], s[4:5], 0, v[30:31]
	s_waitcnt vmcnt(3)
	v_mad_i64_i32 v[26:27], s[4:5], v42, s45, 0
	v_mfma_f32_16x16x16_bf16 v[12:15], v[28:29], v[16:17], v[2:5]
	v_lshl_add_u64 v[30:31], v[26:27], 1, v[10:11]
	s_waitcnt vmcnt(2)
	v_mad_i64_i32 v[32:33], s[4:5], v43, s45, 0
	v_mfma_f32_16x16x16_bf16 v[26:29], v[48:49], v[16:17], v[6:9]
	s_nop 2
	v_pk_mul_f32 v[50:51], s[12:13], v[14:15] op_sel_hi:[0,1]
	v_pk_mul_f32 v[12:13], s[12:13], v[12:13] op_sel_hi:[0,1]
	v_lshl_add_u64 v[56:57], v[32:33], 1, v[10:11]
	v_mfma_f32_16x16x16_bf16 v[22:25], v[58:59], v[16:17], v[22:25]
	global_load_dwordx4 v[6:9], v[30:31], off
	global_load_dwordx4 v[2:5], v[30:31], off offset:16
	v_pk_mul_f32 v[42:43], s[12:13], v[26:27] op_sel_hi:[0,1]
	v_pk_mul_f32 v[52:53], s[12:13], v[28:29] op_sel_hi:[0,1]
	v_mfma_f32_16x16x16_bf16 v[14:17], v[40:41], v[16:17], v[18:21]
	s_nop 1
	v_pk_mul_f32 v[46:47], s[12:13], v[22:23] op_sel_hi:[0,1]
	v_pk_mul_f32 v[48:49], s[12:13], v[24:25] op_sel_hi:[0,1]
	global_load_dwordx4 v[30:33], v[56:57], off
	global_load_dwordx4 v[26:29], v[56:57], off offset:16
	s_nop 0
	v_pk_mul_f32 v[44:45], s[12:13], v[14:15] op_sel_hi:[0,1]
	v_and_b32_e32 v14, 0xc0, v0
	v_add_u32_e32 v14, s18, v14
	v_lshl_or_b32 v14, v54, 2, v14
	v_pk_mul_f32 v[38:39], s[12:13], v[16:17] op_sel_hi:[0,1]
	v_or_b32_e32 v17, 1, v14
	v_mov_b32_e32 v15, 0xff7fffff
	v_cmp_gt_i32_e64 s[4:5], s33, v14
	v_cmp_gt_i32_e64 s[34:35], s33, v17
	v_or_b32_e32 v18, 3, v14
	v_cndmask_b32_e64 v16, v15, v12, s[4:5]
	v_cndmask_b32_e64 v17, v15, v13, s[34:35]
	v_max3_f32 v16, v16, s43, v17
	v_or_b32_e32 v17, 2, v14
	v_cmp_gt_i32_e64 s[36:37], s33, v17
	v_cmp_gt_i32_e64 s[38:39], s33, v18
	s_nop 0
	v_cndmask_b32_e64 v17, v15, v50, s[36:37]
	v_cndmask_b32_e64 v18, v15, v51, s[38:39]
	v_max3_f32 v16, v16, v17, v18
	v_or_b32_e32 v17, 16, v14
	v_or_b32_e32 v18, 17, v14
	v_cmp_gt_i32_e64 s[24:25], s33, v17
	v_cmp_gt_i32_e64 s[26:27], s33, v18
	s_nop 0
	v_cndmask_b32_e64 v17, v15, v42, s[24:25]
	v_cndmask_b32_e64 v18, v15, v43, s[26:27]
	v_max3_f32 v16, v16, v17, v18
	v_or_b32_e32 v17, 18, v14
	;; [unrolled: 8-line block ×6, first 2 shown]
	v_or_b32_e32 v14, 51, v14
	v_cmp_gt_i32_e32 vcc, s33, v17
	v_cmp_gt_i32_e64 s[6:7], s33, v14
	s_nop 0
	v_cndmask_b32_e32 v17, v15, v38, vcc
	v_cndmask_b32_e64 v14, v15, v39, s[6:7]
	v_max3_f32 v16, v16, v17, v14
	v_mbcnt_lo_u32_b32 v14, -1, 0
	v_mbcnt_hi_u32_b32 v17, -1, v14
	v_and_b32_e32 v14, 64, v17
	v_add_u32_e32 v18, 64, v14
	v_xor_b32_e32 v14, 32, v17
	v_cmp_lt_i32_e64 s[40:41], v14, v18
	s_nop 1
	v_cndmask_b32_e64 v14, v17, v14, s[40:41]
	v_lshlrev_b32_e32 v58, 2, v14
	ds_bpermute_b32 v19, v58, v16
	s_waitcnt vmcnt(5)
	v_mad_i64_i32 v[14:15], s[40:41], v60, s45, 0
	v_lshl_add_u64 v[14:15], v[14:15], 1, v[10:11]
	s_waitcnt lgkmcnt(0)
	v_max_f32_e32 v19, v19, v19
	v_max_f32_e32 v16, v16, v19
	v_xor_b32_e32 v19, 16, v17
	v_cmp_lt_i32_e64 s[40:41], v19, v18
	s_nop 1
	v_cndmask_b32_e64 v17, v17, v19, s[40:41]
	v_lshlrev_b32_e32 v57, 2, v17
	ds_bpermute_b32 v17, v57, v16
	global_load_dwordx4 v[22:25], v[14:15], off
	global_load_dwordx4 v[18:21], v[14:15], off offset:16
	s_waitcnt vmcnt(6)
	v_mad_i64_i32 v[14:15], s[40:41], v61, s45, 0
	v_lshl_add_u64 v[10:11], v[14:15], 1, v[10:11]
	s_waitcnt lgkmcnt(0)
	v_max_f32_e32 v14, v17, v17
	v_max_f32_e32 v56, v16, v14
	v_sub_f32_e32 v12, v12, v56
	v_mul_f32_e32 v12, 0x3fb8aa3b, v12
	v_exp_f32_e32 v40, v12
	v_sub_f32_e32 v12, v13, v56
	v_mul_f32_e32 v12, 0x3fb8aa3b, v12
	v_exp_f32_e32 v41, v12
	global_load_dwordx4 v[14:17], v[10:11], off
	s_nop 0
	global_load_dwordx4 v[10:13], v[10:11], off offset:16
	v_sub_f32_e32 v50, v50, v56
	v_mul_f32_e32 v50, 0x3fb8aa3b, v50
	v_sub_f32_e32 v51, v51, v56
	v_exp_f32_e32 v50, v50
	v_mul_f32_e32 v51, 0x3fb8aa3b, v51
	v_sub_f32_e32 v42, v42, v56
	v_exp_f32_e32 v51, v51
	v_mul_f32_e32 v42, 0x3fb8aa3b, v42
	v_sub_f32_e32 v43, v43, v56
	v_cndmask_b32_e64 v40, 0, v40, s[4:5]
	v_exp_f32_e32 v42, v42
	v_mul_f32_e32 v43, 0x3fb8aa3b, v43
	v_sub_f32_e32 v52, v52, v56
	v_add_f32_e32 v59, 0, v40
	v_cndmask_b32_e64 v41, 0, v41, s[34:35]
	v_exp_f32_e32 v43, v43
	v_mul_f32_e32 v52, 0x3fb8aa3b, v52
	v_sub_f32_e32 v53, v53, v56
	v_add_f32_e32 v59, v59, v41
	;; [unrolled: 5-line block ×10, first 2 shown]
	v_cndmask_b32_e64 v48, 0, v48, s[12:13]
	v_exp_f32_e32 v38, v38
	v_mul_f32_e32 v39, 0x3fb8aa3b, v39
	v_add_f32_e32 v59, v59, v48
	v_cndmask_b32_e64 v49, 0, v49, s[14:15]
	v_exp_f32_e32 v39, v39
	v_add_f32_e32 v59, v59, v49
	v_cndmask_b32_e64 v44, 0, v44, s[8:9]
	v_add_f32_e32 v59, v59, v44
	v_cndmask_b32_e64 v45, 0, v45, s[10:11]
	v_add_f32_e32 v59, v59, v45
	v_cndmask_b32_e32 v38, 0, v38, vcc
	v_add_f32_e32 v59, v59, v38
	v_cndmask_b32_e64 v39, 0, v39, s[6:7]
	v_add_f32_e32 v59, v59, v39
	ds_bpermute_b32 v58, v58, v59
	v_cmp_gt_u32_e64 s[6:7], 16, v55
	s_waitcnt lgkmcnt(0)
	s_barrier
	v_add_f32_e32 v58, v59, v58
	ds_bpermute_b32 v59, v57, v58
	v_lshlrev_b32_e32 v57, 2, v36
	s_and_saveexec_b64 s[4:5], s[6:7]
	s_cbranch_execz .LBB428_13
; %bb.12:
	s_waitcnt lgkmcnt(0)
	v_add_f32_e32 v55, v58, v59
	v_lshl_or_b32 v58, v37, 6, v57
	ds_write2st64_b32 v58, v56, v55 offset1:1
.LBB428_13:
	s_or_b64 exec, exec, s[4:5]
	s_load_dword s8, s[0:1], 0x94
	s_waitcnt lgkmcnt(0)
	s_barrier
	ds_read2_b32 v[58:59], v57 offset1:16
	ds_read2_b32 v[60:61], v57 offset0:32 offset1:48
	ds_read2_b32 v[62:63], v57 offset0:64 offset1:80
	s_movk_i32 s10, 0x7fff
	s_mov_b32 s11, 0x7060302
	s_waitcnt lgkmcnt(2)
	v_max3_f32 v55, v58, s43, v59
	s_waitcnt lgkmcnt(1)
	v_max3_f32 v55, v55, v60, v61
	v_sub_f32_e32 v56, v58, v55
	v_mul_f32_e32 v56, 0x3fb8aa3b, v56
	v_exp_f32_e32 v64, v56
	v_sub_f32_e32 v56, v59, v55
	v_mul_f32_e32 v56, 0x3fb8aa3b, v56
	v_exp_f32_e32 v65, v56
	;; [unrolled: 3-line block ×3, first 2 shown]
	ds_read2_b32 v[58:59], v57 offset0:96 offset1:112
	v_sub_f32_e32 v56, v61, v55
	v_mul_f32_e32 v56, 0x3fb8aa3b, v56
	v_exp_f32_e32 v57, v56
	s_waitcnt lgkmcnt(1)
	v_fma_f32 v56, v64, v62, 0
	v_fmac_f32_e32 v56, v65, v63
	s_waitcnt lgkmcnt(0)
	v_fmac_f32_e32 v56, v60, v58
	v_fmac_f32_e32 v56, v57, v59
	v_add_f32_e32 v58, 0x358637bd, v56
	v_div_scale_f32 v59, s[4:5], v58, v58, 1.0
	v_rcp_f32_e32 v61, v59
	s_barrier
	v_fma_f32 v62, -v59, v61, 1.0
	v_fmac_f32_e32 v61, v62, v61
	v_div_scale_f32 v62, vcc, 1.0, v58, 1.0
	v_mul_f32_e32 v63, v62, v61
	v_fma_f32 v66, -v59, v63, v62
	v_fmac_f32_e32 v63, v66, v61
	v_fma_f32 v59, -v59, v63, v62
	v_div_fmas_f32 v59, v59, v61, v63
	v_cmp_eq_u32_e32 vcc, 1, v37
	v_div_fixup_f32 v58, v59, v58, 1.0
	s_mul_i32 s9, s29, 9
	v_cndmask_b32_e32 v59, v64, v65, vcc
	v_cmp_eq_u32_e32 vcc, 2, v37
	s_nop 1
	v_cndmask_b32_e32 v59, v59, v60, vcc
	v_cmp_eq_u32_e32 vcc, 3, v37
	v_lshlrev_b32_e32 v37, 11, v37
	s_nop 0
	v_cndmask_b32_e32 v57, v59, v57, vcc
	v_mul_f32_e32 v58, v57, v58
	v_pk_mul_f32 v[40:41], v[58:59], v[40:41] op_sel_hi:[0,1]
	v_pk_mul_f32 v[50:51], v[58:59], v[50:51] op_sel_hi:[0,1]
	v_bfe_u32 v57, v41, 16, 1
	v_bfe_u32 v59, v40, 16, 1
	v_add3_u32 v40, v40, v59, s10
	v_add3_u32 v41, v41, v57, s10
	v_perm_b32 v60, v41, v40, s11
	v_bfe_u32 v40, v51, 16, 1
	v_bfe_u32 v41, v50, 16, 1
	v_add3_u32 v41, v50, v41, s10
	v_add3_u32 v40, v51, v40, s10
	v_perm_b32 v61, v40, v41, s11
	v_lshlrev_b32_e32 v40, 3, v54
	v_pk_mul_f32 v[42:43], v[58:59], v[42:43] op_sel_hi:[0,1]
	v_or3_b32 v40, v37, v35, v40
	v_bfe_u32 v37, v43, 16, 1
	v_bfe_u32 v41, v42, 16, 1
	v_pk_mul_f32 v[50:51], v[58:59], v[52:53] op_sel_hi:[0,1]
	v_add3_u32 v41, v42, v41, s10
	v_add3_u32 v37, v43, v37, s10
	v_perm_b32 v42, v37, v41, s11
	v_bfe_u32 v37, v51, 16, 1
	v_bfe_u32 v41, v50, 16, 1
	v_add3_u32 v41, v50, v41, s10
	v_add3_u32 v37, v51, v37, s10
	v_pk_mul_f32 v[46:47], v[58:59], v[46:47] op_sel_hi:[0,1]
	v_perm_b32 v43, v37, v41, s11
	v_bfe_u32 v37, v47, 16, 1
	v_bfe_u32 v41, v46, 16, 1
	ds_write2st64_b64 v40, v[60:61], v[42:43] offset1:1
	v_pk_mul_f32 v[42:43], v[58:59], v[48:49] op_sel_hi:[0,1]
	v_add3_u32 v41, v46, v41, s10
	v_add3_u32 v37, v47, v37, s10
	v_perm_b32 v46, v37, v41, s11
	v_bfe_u32 v37, v43, 16, 1
	v_bfe_u32 v41, v42, 16, 1
	v_add3_u32 v41, v42, v41, s10
	v_add3_u32 v37, v43, v37, s10
	v_pk_mul_f32 v[42:43], v[58:59], v[44:45] op_sel_hi:[0,1]
	v_perm_b32 v47, v37, v41, s11
	v_bfe_u32 v37, v43, 16, 1
	v_bfe_u32 v41, v42, 16, 1
	v_pk_mul_f32 v[38:39], v[58:59], v[38:39] op_sel_hi:[0,1]
	v_add3_u32 v41, v42, v41, s10
	v_add3_u32 v37, v43, v37, s10
	v_perm_b32 v42, v37, v41, s11
	v_bfe_u32 v37, v39, 16, 1
	v_bfe_u32 v41, v38, 16, 1
	v_add3_u32 v38, v38, v41, s10
	v_add3_u32 v37, v39, v37, s10
	v_perm_b32 v43, v37, v38, s11
	v_cmp_gt_u32_e32 vcc, 9, v0
	ds_write2st64_b64 v40, v[46:47], v[42:43] offset0:2 offset1:3
	s_and_saveexec_b64 s[4:5], vcc
	s_cbranch_execz .LBB428_15
; %bb.14:
	s_mov_b32 s43, 0
	v_mov_b32_e32 v37, 0
	v_lshl_add_u64 v[38:39], s[42:43], 0, v[36:37]
	v_mov_b32_e32 v36, s9
	v_mad_u64_u32 v[38:39], s[16:17], s2, v36, v[38:39]
	v_mov_b32_e32 v36, s28
	s_load_dwordx4 s[12:15], s[0:1], 0x58
	s_mul_i32 s3, s3, s9
	v_mad_u64_u32 v[36:37], s[16:17], v38, s8, v[36:37]
	v_add_u32_e32 v39, s3, v39
	v_mov_b32_e32 v38, v37
	v_mad_u64_u32 v[38:39], s[16:17], v39, s8, v[38:39]
	v_mov_b32_e32 v37, v38
	v_lshlrev_b64 v[36:37], 2, v[36:37]
	s_waitcnt lgkmcnt(0)
	v_lshl_add_u64 v[38:39], s[14:15], 0, v[36:37]
	v_lshl_add_u64 v[36:37], s[12:13], 0, v[36:37]
	global_store_dword v[38:39], v55, off
	global_store_dword v[36:37], v56, off
.LBB428_15:
	s_or_b64 exec, exec, s[4:5]
	v_lshl_or_b32 v35, v54, 9, v35
	s_waitcnt lgkmcnt(0)
	s_barrier
	ds_read_b128 v[36:39], v35
	ds_read_b128 v[42:45], v35 offset:16
	s_waitcnt vmcnt(7) lgkmcnt(1)
	v_mfma_f32_16x16x16_bf16 v[46:49], v[6:7], v[36:37], 0
	v_cmp_gt_u32_e32 vcc, 64, v0
	s_mov_b32 s3, 0
	s_and_b64 s[4:5], vcc, s[30:31]
	v_mfma_f32_16x16x16_bf16 v[6:9], v[8:9], v[38:39], v[46:49]
	s_waitcnt vmcnt(6) lgkmcnt(0)
	v_mfma_f32_16x16x16_bf16 v[6:9], v[2:3], v[42:43], v[6:9]
	v_mfma_f32_16x16x16_bf16 v[2:5], v[4:5], v[44:45], v[6:9]
	s_nop 5
	ds_read_b128 v[6:9], v35 offset:2048
	ds_read_b128 v[36:39], v35 offset:2064
	s_waitcnt vmcnt(5) lgkmcnt(1)
	v_mfma_f32_16x16x16_bf16 v[2:5], v[30:31], v[6:7], v[2:5]
	v_mfma_f32_16x16x16_bf16 v[2:5], v[32:33], v[8:9], v[2:5]
	s_waitcnt vmcnt(4) lgkmcnt(0)
	v_mfma_f32_16x16x16_bf16 v[2:5], v[26:27], v[36:37], v[2:5]
	v_mfma_f32_16x16x16_bf16 v[2:5], v[28:29], v[38:39], v[2:5]
	ds_read_b128 v[6:9], v35 offset:4096
	ds_read_b128 v[26:29], v35 offset:4112
	s_waitcnt vmcnt(3) lgkmcnt(1)
	v_mfma_f32_16x16x16_bf16 v[2:5], v[22:23], v[6:7], v[2:5]
	v_mfma_f32_16x16x16_bf16 v[2:5], v[24:25], v[8:9], v[2:5]
	s_waitcnt vmcnt(2) lgkmcnt(0)
	v_mfma_f32_16x16x16_bf16 v[2:5], v[18:19], v[26:27], v[2:5]
	v_mfma_f32_16x16x16_bf16 v[2:5], v[20:21], v[28:29], v[2:5]
	ds_read_b128 v[6:9], v35 offset:6144
	ds_read_b128 v[18:21], v35 offset:6160
	v_mov_b32_e32 v35, 0
	s_waitcnt vmcnt(1) lgkmcnt(0)
	v_mfma_f32_16x16x16_bf16 v[2:5], v[14:15], v[6:7], v[2:5]
	s_barrier
	v_mfma_f32_16x16x16_bf16 v[2:5], v[16:17], v[8:9], v[2:5]
	s_waitcnt vmcnt(0)
	v_mfma_f32_16x16x16_bf16 v[2:5], v[10:11], v[18:19], v[2:5]
	v_mfma_f32_16x16x16_bf16 v[2:5], v[12:13], v[20:21], v[2:5]
	s_nop 6
	v_bfe_u32 v6, v3, 16, 1
	v_bfe_u32 v7, v2, 16, 1
	;; [unrolled: 1-line block ×4, first 2 shown]
	v_add3_u32 v2, v2, v7, s10
	v_add3_u32 v3, v3, v6, s10
	v_add3_u32 v4, v4, v9, s10
	v_add3_u32 v5, v5, v8, s10
	v_perm_b32 v2, v3, v2, s11
	v_perm_b32 v3, v5, v4, s11
	ds_write_b64 v40, v[2:3]
	s_waitcnt lgkmcnt(0)
	s_barrier
	s_and_saveexec_b64 s[10:11], s[4:5]
	s_cbranch_execz .LBB428_18
; %bb.16:
	s_load_dwordx2 s[4:5], s[0:1], 0x68
	s_lshl_b32 s0, s8, 6
	s_mul_i32 s1, s9, s2
	s_mul_hi_u32 s9, s1, s0
	s_mul_i32 s8, s1, s0
	v_lshlrev_b32_e32 v0, 10, v0
	s_lshl_b64 s[8:9], s[8:9], 1
	v_and_b32_e32 v0, 0x1800, v0
	v_lshlrev_b32_e32 v2, 5, v54
	v_and_b32_e32 v1, 16, v1
	s_waitcnt lgkmcnt(0)
	s_add_u32 s1, s4, s8
	v_or3_b32 v2, v0, v2, v1
	s_addc_u32 s4, s5, s9
	s_lshl_b32 s2, s28, 6
	s_lshl_b64 s[2:3], s[2:3], 1
	ds_read_b128 v[4:7], v2 offset:128
	ds_read_b128 v[8:11], v2
	s_add_u32 s2, s1, s2
	s_addc_u32 s3, s4, s3
	v_add_u32_e32 v3, s42, v54
	v_lshl_add_u64 v[0:1], s[2:3], 0, v[34:35]
	v_mad_u64_u32 v[12:13], s[2:3], v3, s0, 0
	v_lshl_add_u64 v[12:13], v[12:13], 1, v[0:1]
	v_add_u32_e32 v3, 4, v3
	s_waitcnt lgkmcnt(0)
	global_store_dwordx4 v[12:13], v[8:11], off
	s_nop 1
	v_mad_u64_u32 v[8:9], s[2:3], v3, s0, 0
	v_lshl_add_u64 v[8:9], v[8:9], 1, v[0:1]
	global_store_dwordx4 v[8:9], v[4:7], off
	s_and_b64 exec, exec, s[6:7]
	s_cbranch_execz .LBB428_18
; %bb.17:
	ds_read_b128 v[2:5], v2 offset:256
	v_add3_u32 v6, s42, v54, 8
	v_mad_u64_u32 v[6:7], s[0:1], v6, s0, 0
	v_lshl_add_u64 v[0:1], v[6:7], 1, v[0:1]
	s_waitcnt lgkmcnt(0)
	global_store_dwordx4 v[0:1], v[2:5], off
.LBB428_18:
	s_endpgm
	.section	.rodata,"a",@progbits
	.p2align	6, 0x0
	.amdhsa_kernel _Z39paged_attention_ll4mi_QKV_mfma16_kernelI14__hip_bfloat16S0_LN4vllm18Fp8KVCacheDataTypeE0EhLi16ELi64ELi256ELb0ELi9EEvPKT_PKT0_S8_ifPKiSA_SA_iPKfiiiPfSD_PS3_PT2_iSC_SC_
		.amdhsa_group_segment_fixed_size 8192
		.amdhsa_private_segment_fixed_size 0
		.amdhsa_kernarg_size 400
		.amdhsa_user_sgpr_count 2
		.amdhsa_user_sgpr_dispatch_ptr 0
		.amdhsa_user_sgpr_queue_ptr 0
		.amdhsa_user_sgpr_kernarg_segment_ptr 1
		.amdhsa_user_sgpr_dispatch_id 0
		.amdhsa_user_sgpr_kernarg_preload_length 0
		.amdhsa_user_sgpr_kernarg_preload_offset 0
		.amdhsa_user_sgpr_private_segment_size 0
		.amdhsa_uses_dynamic_stack 0
		.amdhsa_enable_private_segment 0
		.amdhsa_system_sgpr_workgroup_id_x 1
		.amdhsa_system_sgpr_workgroup_id_y 1
		.amdhsa_system_sgpr_workgroup_id_z 1
		.amdhsa_system_sgpr_workgroup_info 0
		.amdhsa_system_vgpr_workitem_id 0
		.amdhsa_next_free_vgpr 69
		.amdhsa_next_free_sgpr 48
		.amdhsa_accum_offset 72
		.amdhsa_reserve_vcc 1
		.amdhsa_float_round_mode_32 0
		.amdhsa_float_round_mode_16_64 0
		.amdhsa_float_denorm_mode_32 3
		.amdhsa_float_denorm_mode_16_64 3
		.amdhsa_dx10_clamp 1
		.amdhsa_ieee_mode 1
		.amdhsa_fp16_overflow 0
		.amdhsa_tg_split 0
		.amdhsa_exception_fp_ieee_invalid_op 0
		.amdhsa_exception_fp_denorm_src 0
		.amdhsa_exception_fp_ieee_div_zero 0
		.amdhsa_exception_fp_ieee_overflow 0
		.amdhsa_exception_fp_ieee_underflow 0
		.amdhsa_exception_fp_ieee_inexact 0
		.amdhsa_exception_int_div_zero 0
	.end_amdhsa_kernel
	.section	.text._Z39paged_attention_ll4mi_QKV_mfma16_kernelI14__hip_bfloat16S0_LN4vllm18Fp8KVCacheDataTypeE0EhLi16ELi64ELi256ELb0ELi9EEvPKT_PKT0_S8_ifPKiSA_SA_iPKfiiiPfSD_PS3_PT2_iSC_SC_,"axG",@progbits,_Z39paged_attention_ll4mi_QKV_mfma16_kernelI14__hip_bfloat16S0_LN4vllm18Fp8KVCacheDataTypeE0EhLi16ELi64ELi256ELb0ELi9EEvPKT_PKT0_S8_ifPKiSA_SA_iPKfiiiPfSD_PS3_PT2_iSC_SC_,comdat
.Lfunc_end428:
	.size	_Z39paged_attention_ll4mi_QKV_mfma16_kernelI14__hip_bfloat16S0_LN4vllm18Fp8KVCacheDataTypeE0EhLi16ELi64ELi256ELb0ELi9EEvPKT_PKT0_S8_ifPKiSA_SA_iPKfiiiPfSD_PS3_PT2_iSC_SC_, .Lfunc_end428-_Z39paged_attention_ll4mi_QKV_mfma16_kernelI14__hip_bfloat16S0_LN4vllm18Fp8KVCacheDataTypeE0EhLi16ELi64ELi256ELb0ELi9EEvPKT_PKT0_S8_ifPKiSA_SA_iPKfiiiPfSD_PS3_PT2_iSC_SC_
                                        ; -- End function
	.section	.AMDGPU.csdata,"",@progbits
; Kernel info:
; codeLenInByte = 4072
; NumSgprs: 54
; NumVgprs: 69
; NumAgprs: 0
; TotalNumVgprs: 69
; ScratchSize: 0
; MemoryBound: 0
; FloatMode: 240
; IeeeMode: 1
; LDSByteSize: 8192 bytes/workgroup (compile time only)
; SGPRBlocks: 6
; VGPRBlocks: 8
; NumSGPRsForWavesPerEU: 54
; NumVGPRsForWavesPerEU: 69
; AccumOffset: 72
; Occupancy: 7
; WaveLimiterHint : 1
; COMPUTE_PGM_RSRC2:SCRATCH_EN: 0
; COMPUTE_PGM_RSRC2:USER_SGPR: 2
; COMPUTE_PGM_RSRC2:TRAP_HANDLER: 0
; COMPUTE_PGM_RSRC2:TGID_X_EN: 1
; COMPUTE_PGM_RSRC2:TGID_Y_EN: 1
; COMPUTE_PGM_RSRC2:TGID_Z_EN: 1
; COMPUTE_PGM_RSRC2:TIDIG_COMP_CNT: 0
; COMPUTE_PGM_RSRC3_GFX90A:ACCUM_OFFSET: 17
; COMPUTE_PGM_RSRC3_GFX90A:TG_SPLIT: 0
	.section	.text._Z39paged_attention_ll4mi_QKV_mfma16_kernelI14__hip_bfloat16S0_LN4vllm18Fp8KVCacheDataTypeE0EhLi16ELi64ELi256ELb0ELi10EEvPKT_PKT0_S8_ifPKiSA_SA_iPKfiiiPfSD_PS3_PT2_iSC_SC_,"axG",@progbits,_Z39paged_attention_ll4mi_QKV_mfma16_kernelI14__hip_bfloat16S0_LN4vllm18Fp8KVCacheDataTypeE0EhLi16ELi64ELi256ELb0ELi10EEvPKT_PKT0_S8_ifPKiSA_SA_iPKfiiiPfSD_PS3_PT2_iSC_SC_,comdat
	.protected	_Z39paged_attention_ll4mi_QKV_mfma16_kernelI14__hip_bfloat16S0_LN4vllm18Fp8KVCacheDataTypeE0EhLi16ELi64ELi256ELb0ELi10EEvPKT_PKT0_S8_ifPKiSA_SA_iPKfiiiPfSD_PS3_PT2_iSC_SC_ ; -- Begin function _Z39paged_attention_ll4mi_QKV_mfma16_kernelI14__hip_bfloat16S0_LN4vllm18Fp8KVCacheDataTypeE0EhLi16ELi64ELi256ELb0ELi10EEvPKT_PKT0_S8_ifPKiSA_SA_iPKfiiiPfSD_PS3_PT2_iSC_SC_
	.globl	_Z39paged_attention_ll4mi_QKV_mfma16_kernelI14__hip_bfloat16S0_LN4vllm18Fp8KVCacheDataTypeE0EhLi16ELi64ELi256ELb0ELi10EEvPKT_PKT0_S8_ifPKiSA_SA_iPKfiiiPfSD_PS3_PT2_iSC_SC_
	.p2align	8
	.type	_Z39paged_attention_ll4mi_QKV_mfma16_kernelI14__hip_bfloat16S0_LN4vllm18Fp8KVCacheDataTypeE0EhLi16ELi64ELi256ELb0ELi10EEvPKT_PKT0_S8_ifPKiSA_SA_iPKfiiiPfSD_PS3_PT2_iSC_SC_,@function
_Z39paged_attention_ll4mi_QKV_mfma16_kernelI14__hip_bfloat16S0_LN4vllm18Fp8KVCacheDataTypeE0EhLi16ELi64ELi256ELb0ELi10EEvPKT_PKT0_S8_ifPKiSA_SA_iPKfiiiPfSD_PS3_PT2_iSC_SC_: ; @_Z39paged_attention_ll4mi_QKV_mfma16_kernelI14__hip_bfloat16S0_LN4vllm18Fp8KVCacheDataTypeE0EhLi16ELi64ELi256ELb0ELi10EEvPKT_PKT0_S8_ifPKiSA_SA_iPKfiiiPfSD_PS3_PT2_iSC_SC_
; %bb.0:
	s_load_dwordx2 s[12:13], s[0:1], 0x30
	s_mov_b32 s28, s3
	s_mov_b64 s[6:7], 0
	s_waitcnt lgkmcnt(0)
	s_cmp_lg_u64 s[12:13], 0
	s_cselect_b64 s[14:15], -1, 0
	s_and_b64 vcc, exec, s[14:15]
	s_cbranch_vccz .LBB429_7
; %bb.1:
	s_add_i32 s8, s2, 1
	s_mov_b32 s9, 0
	s_lshl_b64 s[10:11], s[8:9], 2
	s_add_u32 s10, s12, s10
	s_mov_b32 s3, s9
	s_addc_u32 s11, s13, s11
	s_lshl_b64 s[8:9], s[2:3], 2
	s_add_u32 s8, s12, s8
	s_addc_u32 s9, s13, s9
	s_load_dword s5, s[10:11], 0x0
	s_load_dword s16, s[8:9], 0x0
	s_waitcnt lgkmcnt(0)
	s_sub_i32 s5, s5, s16
	s_cmp_eq_u32 s5, 1
	s_cselect_b64 s[8:9], -1, 0
	s_andn2_b64 vcc, exec, s[6:7]
	s_cbranch_vccnz .LBB429_3
.LBB429_2:
	s_mov_b32 s3, 0
	s_mov_b64 s[8:9], -1
.LBB429_3:
	s_andn2_b64 vcc, exec, s[8:9]
	s_cbranch_vccnz .LBB429_18
; %bb.4:
	s_load_dwordx2 s[6:7], s[0:1], 0x28
	s_lshl_b64 s[16:17], s[2:3], 2
	s_waitcnt lgkmcnt(0)
	s_add_u32 s6, s6, s16
	s_addc_u32 s7, s7, s17
	s_load_dword s33, s[6:7], 0x0
	s_lshl_b32 s18, s28, 8
	s_waitcnt lgkmcnt(0)
	s_cmp_ge_i32 s18, s33
	s_cbranch_scc1 .LBB429_18
; %bb.5:
	s_load_dwordx2 s[6:7], s[0:1], 0x20
	s_load_dword s5, s[0:1], 0x38
	s_add_i32 s8, s33, 15
	s_ashr_i32 s9, s8, 31
	v_and_b32_e32 v1, 0xcf, v0
	s_lshr_b32 s9, s9, 28
	v_add_u32_e32 v1, s18, v1
	s_add_i32 s8, s8, s9
	v_ashrrev_i32_e32 v2, 31, v1
	s_ashr_i32 s19, s8, 4
	v_lshrrev_b32_e32 v6, 28, v2
	s_add_i32 s19, s19, -1
	s_waitcnt lgkmcnt(0)
	s_mul_i32 s8, s2, s5
	s_mov_b32 s9, 0
	v_add_u32_e32 v2, v1, v6
	s_lshl_b64 s[8:9], s[8:9], 2
	v_ashrrev_i32_e32 v2, 4, v2
	v_mov_b32_e32 v7, s19
	v_cmp_gt_i32_e32 vcc, s33, v1
	s_add_u32 s6, s6, s8
	s_addc_u32 s7, s7, s9
	v_cndmask_b32_e32 v2, v7, v2, vcc
	v_ashrrev_i32_e32 v3, 31, v2
	v_lshl_add_u64 v[4:5], v[2:3], 2, s[6:7]
	v_or_b32_e32 v2, 16, v1
	v_add_u32_e32 v3, v2, v6
	v_ashrrev_i32_e32 v3, 4, v3
	v_cmp_gt_i32_e32 vcc, s33, v2
	s_load_dwordx4 s[8:11], s[0:1], 0x8
	s_nop 0
	v_cndmask_b32_e32 v2, v7, v3, vcc
	v_ashrrev_i32_e32 v3, 31, v2
	v_lshl_add_u64 v[8:9], v[2:3], 2, s[6:7]
	v_or_b32_e32 v2, 32, v1
	v_add_u32_e32 v3, v2, v6
	v_ashrrev_i32_e32 v3, 4, v3
	v_cmp_gt_i32_e32 vcc, s33, v2
	v_or_b32_e32 v1, 48, v1
	s_nop 0
	v_cndmask_b32_e32 v2, v7, v3, vcc
	v_ashrrev_i32_e32 v3, 31, v2
	v_lshl_add_u64 v[12:13], v[2:3], 2, s[6:7]
	v_add_u32_e32 v2, v1, v6
	v_ashrrev_i32_e32 v2, 4, v2
	v_cmp_gt_i32_e32 vcc, s33, v1
	s_nop 1
	v_cndmask_b32_e32 v2, v7, v2, vcc
	v_ashrrev_i32_e32 v3, 31, v2
	v_lshl_add_u64 v[14:15], v[2:3], 2, s[6:7]
	global_load_dword v2, v[4:5], off
	global_load_dword v6, v[8:9], off
	;; [unrolled: 1-line block ×4, first 2 shown]
	s_andn2_b64 vcc, exec, s[14:15]
	s_cbranch_vccnz .LBB429_8
; %bb.6:
	s_add_u32 s12, s12, s16
	s_addc_u32 s13, s13, s17
	s_load_dword s5, s[12:13], 0x0
	s_branch .LBB429_9
.LBB429_7:
	s_mov_b64 s[8:9], 0
	s_branch .LBB429_2
.LBB429_8:
	s_mov_b32 s5, s2
.LBB429_9:
	s_load_dwordx4 s[44:47], s[0:1], 0x48
	v_lshrrev_b32_e32 v37, 6, v0
	v_bfe_u32 v54, v0, 4, 2
	v_lshl_or_b32 v1, v37, 2, v54
	v_and_b32_e32 v36, 15, v0
	v_lshlrev_b32_e32 v3, 3, v36
	v_cmp_gt_u32_e32 vcc, 10, v1
	v_cmp_gt_u32_e64 s[30:31], 8, v36
	v_and_b32_e32 v55, 63, v0
	s_mul_i32 s42, s4, 10
	s_and_b64 s[14:15], s[30:31], vcc
	v_lshlrev_b32_e32 v34, 1, v3
	s_and_saveexec_b64 s[12:13], s[14:15]
	s_cbranch_execz .LBB429_11
; %bb.10:
	s_load_dwordx2 s[14:15], s[0:1], 0x0
	s_waitcnt lgkmcnt(0)
	s_ashr_i32 s16, s44, 31
	s_mul_hi_u32 s17, s5, s44
	s_mul_i32 s16, s5, s16
	s_add_i32 s17, s17, s16
	s_mul_i32 s16, s5, s44
	s_lshl_b64 s[16:17], s[16:17], 1
	s_add_u32 s14, s14, s16
	v_add_lshl_u32 v4, v1, s42, 6
	s_addc_u32 s15, s15, s17
	v_ashrrev_i32_e32 v5, 31, v4
	v_lshl_add_u64 v[4:5], v[4:5], 1, s[14:15]
	v_mov_b32_e32 v35, 0
	v_lshl_add_u64 v[4:5], v[4:5], 0, v[34:35]
	global_load_dwordx4 v[12:15], v[4:5], off
	v_and_b32_e32 v3, 3, v0
	v_lshlrev_b32_e32 v4, 9, v36
	v_lshlrev_b32_e32 v1, 5, v1
	;; [unrolled: 1-line block ×3, first 2 shown]
	v_and_b32_e32 v4, 0x1800, v4
	v_or3_b32 v1, v4, v3, v1
	s_waitcnt vmcnt(0)
	ds_write_b128 v1, v[12:15]
.LBB429_11:
	s_or_b64 exec, exec, s[12:13]
	s_waitcnt lgkmcnt(0)
	s_mul_i32 s4, s4, s46
	s_mov_b32 s5, 0
	s_lshl_b64 s[4:5], s[4:5], 1
	s_add_u32 s8, s8, s4
	v_lshlrev_b32_e32 v1, 4, v0
	s_addc_u32 s9, s9, s5
	v_and_b32_e32 v30, 0xf0, v1
	v_mov_b32_e32 v31, 0
	v_lshl_add_u64 v[18:19], s[8:9], 0, v[30:31]
	s_waitcnt vmcnt(3)
	v_mad_i64_i32 v[2:3], s[8:9], v2, s45, 0
	v_lshl_add_u64 v[2:3], v[2:3], 1, v[18:19]
	v_and_b32_e32 v30, 0x300, v1
	v_lshl_add_u64 v[14:15], v[2:3], 0, v[30:31]
	s_load_dword s29, s[0:1], 0x98
	s_load_dword s12, s[0:1], 0x1c
	s_waitcnt lgkmcnt(0)
	s_barrier
	global_load_dwordx4 v[2:5], v[14:15], off
	global_load_dwordx4 v[26:29], v[14:15], off offset:1024
	s_waitcnt vmcnt(3)
	v_mad_i64_i32 v[10:11], s[8:9], v10, s45, 0
	v_lshl_add_u64 v[10:11], v[10:11], 1, v[18:19]
	v_lshl_add_u64 v[38:39], v[10:11], 0, v[30:31]
	global_load_dwordx4 v[10:13], v[38:39], off
	global_load_dwordx4 v[56:59], v[38:39], off offset:1024
	v_mad_i64_i32 v[6:7], s[8:9], v6, s45, 0
	v_lshl_add_u64 v[6:7], v[6:7], 1, v[18:19]
	v_lshl_add_u64 v[32:33], v[6:7], 0, v[30:31]
	global_load_dwordx4 v[6:9], v[32:33], off
	global_load_dwordx4 v[46:49], v[32:33], off offset:1024
	s_waitcnt vmcnt(6)
	v_mad_i64_i32 v[16:17], s[8:9], v16, s45, 0
	v_lshl_add_u64 v[16:17], v[16:17], 1, v[18:19]
	v_lshl_add_u64 v[40:41], v[16:17], 0, v[30:31]
	global_load_dwordx4 v[18:21], v[40:41], off
	v_add_u32_e32 v16, -10, v36
	v_cmp_gt_u32_e32 vcc, 10, v36
	global_load_dwordx4 v[38:41], v[40:41], off offset:1024
	v_and_or_b32 v30, v0, 48, s18
	v_cndmask_b32_e32 v16, v16, v36, vcc
	v_lshlrev_b32_e32 v16, 5, v16
	v_lshl_add_u32 v16, v54, 9, v16
	ds_read_b128 v[22:25], v16
	v_mov_b32_e32 v68, s19
	v_cmp_gt_i32_e32 vcc, s33, v30
	v_or_b32_e32 v32, 64, v30
	ds_read_b128 v[14:17], v16 offset:2048
	v_lshlrev_b32_e32 v35, 5, v36
	s_add_u32 s4, s10, s4
	s_addc_u32 s5, s11, s5
	s_mov_b32 s43, 0xff7fffff
	s_waitcnt vmcnt(7) lgkmcnt(1)
	v_mfma_f32_16x16x16_bf16 v[42:45], v[2:3], v[22:23], 0
	v_ashrrev_i32_e32 v2, 4, v30
	v_cndmask_b32_e32 v2, v68, v2, vcc
	v_ashrrev_i32_e32 v3, 31, v2
	s_waitcnt vmcnt(5)
	v_mfma_f32_16x16x16_bf16 v[60:63], v[10:11], v[22:23], 0
	v_lshl_add_u64 v[10:11], v[2:3], 2, s[6:7]
	v_cmp_gt_i32_e32 vcc, s33, v32
	v_mfma_f32_16x16x16_bf16 v[2:5], v[4:5], v[24:25], v[42:45]
	s_nop 2
	global_load_dword v42, v[10:11], off
	s_waitcnt vmcnt(4)
	v_mfma_f32_16x16x16_bf16 v[50:53], v[6:7], v[22:23], 0
	v_ashrrev_i32_e32 v6, 4, v32
	v_cndmask_b32_e32 v6, v68, v6, vcc
	v_ashrrev_i32_e32 v7, 31, v6
	v_lshl_add_u64 v[10:11], v[6:7], 2, s[6:7]
	global_load_dword v43, v[10:11], off
	s_waitcnt vmcnt(3)
	v_mfma_f32_16x16x16_bf16 v[64:67], v[18:19], v[22:23], 0
	v_or_b32_e32 v22, 0x80, v30
	v_or_b32_e32 v23, 0xc0, v30
	v_ashrrev_i32_e32 v30, 4, v22
	v_cmp_gt_i32_e32 vcc, s33, v22
	v_ashrrev_i32_e32 v32, 4, v23
	v_mfma_f32_16x16x16_bf16 v[6:9], v[8:9], v[24:25], v[50:53]
	v_cndmask_b32_e32 v22, v68, v30, vcc
	v_cmp_gt_i32_e32 vcc, s33, v23
	v_ashrrev_i32_e32 v23, 31, v22
	v_mfma_f32_16x16x16_bf16 v[10:13], v[12:13], v[24:25], v[60:63]
	v_lshl_or_b32 v30, v37, 9, v35
	v_mfma_f32_16x16x16_bf16 v[18:21], v[20:21], v[24:25], v[64:67]
	v_cndmask_b32_e32 v24, v68, v32, vcc
	v_ashrrev_i32_e32 v25, 31, v24
	v_lshl_add_u64 v[32:33], v[24:25], 2, s[6:7]
	s_waitcnt lgkmcnt(0)
	v_mfma_f32_16x16x16_bf16 v[2:5], v[26:27], v[14:15], v[2:5]
	v_lshl_add_u64 v[26:27], v[22:23], 2, s[6:7]
	global_load_dword v60, v[26:27], off
	global_load_dword v61, v[32:33], off
	v_mfma_f32_16x16x16_bf16 v[6:9], v[46:47], v[14:15], v[6:9]
	v_mfma_f32_16x16x16_bf16 v[22:25], v[56:57], v[14:15], v[10:13]
	s_waitcnt vmcnt(4)
	v_mfma_f32_16x16x16_bf16 v[18:21], v[38:39], v[14:15], v[18:21]
	s_nop 0
	v_lshl_add_u64 v[10:11], s[4:5], 0, v[30:31]
	s_waitcnt vmcnt(3)
	v_mad_i64_i32 v[26:27], s[4:5], v42, s45, 0
	v_mfma_f32_16x16x16_bf16 v[12:15], v[28:29], v[16:17], v[2:5]
	v_lshl_add_u64 v[30:31], v[26:27], 1, v[10:11]
	s_waitcnt vmcnt(2)
	v_mad_i64_i32 v[32:33], s[4:5], v43, s45, 0
	v_mfma_f32_16x16x16_bf16 v[26:29], v[48:49], v[16:17], v[6:9]
	s_nop 2
	v_pk_mul_f32 v[50:51], s[12:13], v[14:15] op_sel_hi:[0,1]
	v_pk_mul_f32 v[12:13], s[12:13], v[12:13] op_sel_hi:[0,1]
	v_lshl_add_u64 v[56:57], v[32:33], 1, v[10:11]
	v_mfma_f32_16x16x16_bf16 v[22:25], v[58:59], v[16:17], v[22:25]
	global_load_dwordx4 v[6:9], v[30:31], off
	global_load_dwordx4 v[2:5], v[30:31], off offset:16
	v_pk_mul_f32 v[42:43], s[12:13], v[26:27] op_sel_hi:[0,1]
	v_pk_mul_f32 v[52:53], s[12:13], v[28:29] op_sel_hi:[0,1]
	v_mfma_f32_16x16x16_bf16 v[14:17], v[40:41], v[16:17], v[18:21]
	s_nop 1
	v_pk_mul_f32 v[46:47], s[12:13], v[22:23] op_sel_hi:[0,1]
	v_pk_mul_f32 v[48:49], s[12:13], v[24:25] op_sel_hi:[0,1]
	global_load_dwordx4 v[30:33], v[56:57], off
	global_load_dwordx4 v[26:29], v[56:57], off offset:16
	s_nop 0
	v_pk_mul_f32 v[44:45], s[12:13], v[14:15] op_sel_hi:[0,1]
	v_and_b32_e32 v14, 0xc0, v0
	v_add_u32_e32 v14, s18, v14
	v_lshl_or_b32 v14, v54, 2, v14
	v_pk_mul_f32 v[38:39], s[12:13], v[16:17] op_sel_hi:[0,1]
	v_or_b32_e32 v17, 1, v14
	v_mov_b32_e32 v15, 0xff7fffff
	v_cmp_gt_i32_e64 s[4:5], s33, v14
	v_cmp_gt_i32_e64 s[34:35], s33, v17
	v_or_b32_e32 v18, 3, v14
	v_cndmask_b32_e64 v16, v15, v12, s[4:5]
	v_cndmask_b32_e64 v17, v15, v13, s[34:35]
	v_max3_f32 v16, v16, s43, v17
	v_or_b32_e32 v17, 2, v14
	v_cmp_gt_i32_e64 s[36:37], s33, v17
	v_cmp_gt_i32_e64 s[38:39], s33, v18
	s_nop 0
	v_cndmask_b32_e64 v17, v15, v50, s[36:37]
	v_cndmask_b32_e64 v18, v15, v51, s[38:39]
	v_max3_f32 v16, v16, v17, v18
	v_or_b32_e32 v17, 16, v14
	v_or_b32_e32 v18, 17, v14
	v_cmp_gt_i32_e64 s[24:25], s33, v17
	v_cmp_gt_i32_e64 s[26:27], s33, v18
	s_nop 0
	v_cndmask_b32_e64 v17, v15, v42, s[24:25]
	v_cndmask_b32_e64 v18, v15, v43, s[26:27]
	v_max3_f32 v16, v16, v17, v18
	v_or_b32_e32 v17, 18, v14
	;; [unrolled: 8-line block ×6, first 2 shown]
	v_or_b32_e32 v14, 51, v14
	v_cmp_gt_i32_e32 vcc, s33, v17
	v_cmp_gt_i32_e64 s[6:7], s33, v14
	s_nop 0
	v_cndmask_b32_e32 v17, v15, v38, vcc
	v_cndmask_b32_e64 v14, v15, v39, s[6:7]
	v_max3_f32 v16, v16, v17, v14
	v_mbcnt_lo_u32_b32 v14, -1, 0
	v_mbcnt_hi_u32_b32 v17, -1, v14
	v_and_b32_e32 v14, 64, v17
	v_add_u32_e32 v18, 64, v14
	v_xor_b32_e32 v14, 32, v17
	v_cmp_lt_i32_e64 s[40:41], v14, v18
	s_nop 1
	v_cndmask_b32_e64 v14, v17, v14, s[40:41]
	v_lshlrev_b32_e32 v58, 2, v14
	ds_bpermute_b32 v19, v58, v16
	s_waitcnt vmcnt(5)
	v_mad_i64_i32 v[14:15], s[40:41], v60, s45, 0
	v_lshl_add_u64 v[14:15], v[14:15], 1, v[10:11]
	s_waitcnt lgkmcnt(0)
	v_max_f32_e32 v19, v19, v19
	v_max_f32_e32 v16, v16, v19
	v_xor_b32_e32 v19, 16, v17
	v_cmp_lt_i32_e64 s[40:41], v19, v18
	s_nop 1
	v_cndmask_b32_e64 v17, v17, v19, s[40:41]
	v_lshlrev_b32_e32 v57, 2, v17
	ds_bpermute_b32 v17, v57, v16
	global_load_dwordx4 v[22:25], v[14:15], off
	global_load_dwordx4 v[18:21], v[14:15], off offset:16
	s_waitcnt vmcnt(6)
	v_mad_i64_i32 v[14:15], s[40:41], v61, s45, 0
	v_lshl_add_u64 v[10:11], v[14:15], 1, v[10:11]
	s_waitcnt lgkmcnt(0)
	v_max_f32_e32 v14, v17, v17
	v_max_f32_e32 v56, v16, v14
	v_sub_f32_e32 v12, v12, v56
	v_mul_f32_e32 v12, 0x3fb8aa3b, v12
	v_exp_f32_e32 v40, v12
	v_sub_f32_e32 v12, v13, v56
	v_mul_f32_e32 v12, 0x3fb8aa3b, v12
	v_exp_f32_e32 v41, v12
	global_load_dwordx4 v[14:17], v[10:11], off
	s_nop 0
	global_load_dwordx4 v[10:13], v[10:11], off offset:16
	v_sub_f32_e32 v50, v50, v56
	v_mul_f32_e32 v50, 0x3fb8aa3b, v50
	v_sub_f32_e32 v51, v51, v56
	v_exp_f32_e32 v50, v50
	v_mul_f32_e32 v51, 0x3fb8aa3b, v51
	v_sub_f32_e32 v42, v42, v56
	v_exp_f32_e32 v51, v51
	v_mul_f32_e32 v42, 0x3fb8aa3b, v42
	v_sub_f32_e32 v43, v43, v56
	v_cndmask_b32_e64 v40, 0, v40, s[4:5]
	v_exp_f32_e32 v42, v42
	v_mul_f32_e32 v43, 0x3fb8aa3b, v43
	v_sub_f32_e32 v52, v52, v56
	v_add_f32_e32 v59, 0, v40
	v_cndmask_b32_e64 v41, 0, v41, s[34:35]
	v_exp_f32_e32 v43, v43
	v_mul_f32_e32 v52, 0x3fb8aa3b, v52
	v_sub_f32_e32 v53, v53, v56
	v_add_f32_e32 v59, v59, v41
	v_cndmask_b32_e64 v50, 0, v50, s[36:37]
	v_exp_f32_e32 v52, v52
	v_mul_f32_e32 v53, 0x3fb8aa3b, v53
	v_sub_f32_e32 v46, v46, v56
	v_add_f32_e32 v59, v59, v50
	v_cndmask_b32_e64 v51, 0, v51, s[38:39]
	v_exp_f32_e32 v53, v53
	v_mul_f32_e32 v46, 0x3fb8aa3b, v46
	v_sub_f32_e32 v47, v47, v56
	v_add_f32_e32 v59, v59, v51
	v_cndmask_b32_e64 v42, 0, v42, s[24:25]
	v_exp_f32_e32 v46, v46
	v_mul_f32_e32 v47, 0x3fb8aa3b, v47
	v_sub_f32_e32 v48, v48, v56
	v_add_f32_e32 v59, v59, v42
	v_cndmask_b32_e64 v43, 0, v43, s[26:27]
	v_exp_f32_e32 v47, v47
	v_mul_f32_e32 v48, 0x3fb8aa3b, v48
	v_sub_f32_e32 v49, v49, v56
	v_add_f32_e32 v59, v59, v43
	v_cndmask_b32_e64 v52, 0, v52, s[20:21]
	v_exp_f32_e32 v48, v48
	v_mul_f32_e32 v49, 0x3fb8aa3b, v49
	v_sub_f32_e32 v44, v44, v56
	v_add_f32_e32 v59, v59, v52
	v_cndmask_b32_e64 v53, 0, v53, s[22:23]
	v_exp_f32_e32 v49, v49
	v_mul_f32_e32 v44, 0x3fb8aa3b, v44
	v_sub_f32_e32 v45, v45, v56
	v_add_f32_e32 v59, v59, v53
	v_cndmask_b32_e64 v46, 0, v46, s[16:17]
	v_exp_f32_e32 v44, v44
	v_mul_f32_e32 v45, 0x3fb8aa3b, v45
	v_sub_f32_e32 v38, v38, v56
	v_add_f32_e32 v59, v59, v46
	v_cndmask_b32_e64 v47, 0, v47, s[18:19]
	v_exp_f32_e32 v45, v45
	v_mul_f32_e32 v38, 0x3fb8aa3b, v38
	v_sub_f32_e32 v39, v39, v56
	v_add_f32_e32 v59, v59, v47
	v_cndmask_b32_e64 v48, 0, v48, s[12:13]
	v_exp_f32_e32 v38, v38
	v_mul_f32_e32 v39, 0x3fb8aa3b, v39
	v_add_f32_e32 v59, v59, v48
	v_cndmask_b32_e64 v49, 0, v49, s[14:15]
	v_exp_f32_e32 v39, v39
	v_add_f32_e32 v59, v59, v49
	v_cndmask_b32_e64 v44, 0, v44, s[8:9]
	v_add_f32_e32 v59, v59, v44
	v_cndmask_b32_e64 v45, 0, v45, s[10:11]
	v_add_f32_e32 v59, v59, v45
	v_cndmask_b32_e32 v38, 0, v38, vcc
	v_add_f32_e32 v59, v59, v38
	v_cndmask_b32_e64 v39, 0, v39, s[6:7]
	v_add_f32_e32 v59, v59, v39
	ds_bpermute_b32 v58, v58, v59
	v_cmp_gt_u32_e32 vcc, 16, v55
	s_waitcnt lgkmcnt(0)
	s_barrier
	v_add_f32_e32 v58, v59, v58
	ds_bpermute_b32 v59, v57, v58
	v_lshlrev_b32_e32 v57, 2, v36
	s_and_saveexec_b64 s[4:5], vcc
	s_cbranch_execz .LBB429_13
; %bb.12:
	s_waitcnt lgkmcnt(0)
	v_add_f32_e32 v55, v58, v59
	v_lshl_or_b32 v58, v37, 6, v57
	ds_write2st64_b32 v58, v56, v55 offset1:1
.LBB429_13:
	s_or_b64 exec, exec, s[4:5]
	s_load_dword s6, s[0:1], 0x94
	s_waitcnt lgkmcnt(0)
	s_barrier
	ds_read2_b32 v[58:59], v57 offset1:16
	ds_read2_b32 v[60:61], v57 offset0:32 offset1:48
	ds_read2_b32 v[62:63], v57 offset0:64 offset1:80
	s_movk_i32 s8, 0x7fff
	s_mov_b32 s9, 0x7060302
	s_waitcnt lgkmcnt(2)
	v_max3_f32 v55, v58, s43, v59
	s_waitcnt lgkmcnt(1)
	v_max3_f32 v55, v55, v60, v61
	v_sub_f32_e32 v56, v58, v55
	v_mul_f32_e32 v56, 0x3fb8aa3b, v56
	v_exp_f32_e32 v64, v56
	v_sub_f32_e32 v56, v59, v55
	v_mul_f32_e32 v56, 0x3fb8aa3b, v56
	v_exp_f32_e32 v65, v56
	;; [unrolled: 3-line block ×3, first 2 shown]
	ds_read2_b32 v[58:59], v57 offset0:96 offset1:112
	v_sub_f32_e32 v56, v61, v55
	v_mul_f32_e32 v56, 0x3fb8aa3b, v56
	v_exp_f32_e32 v57, v56
	s_waitcnt lgkmcnt(1)
	v_fma_f32 v56, v64, v62, 0
	v_fmac_f32_e32 v56, v65, v63
	s_waitcnt lgkmcnt(0)
	v_fmac_f32_e32 v56, v60, v58
	v_fmac_f32_e32 v56, v57, v59
	v_add_f32_e32 v58, 0x358637bd, v56
	v_div_scale_f32 v59, s[4:5], v58, v58, 1.0
	v_rcp_f32_e32 v61, v59
	s_barrier
	v_fma_f32 v62, -v59, v61, 1.0
	v_fmac_f32_e32 v61, v62, v61
	v_div_scale_f32 v62, vcc, 1.0, v58, 1.0
	v_mul_f32_e32 v63, v62, v61
	v_fma_f32 v66, -v59, v63, v62
	v_fmac_f32_e32 v63, v66, v61
	v_fma_f32 v59, -v59, v63, v62
	v_div_fmas_f32 v59, v59, v61, v63
	v_cmp_eq_u32_e32 vcc, 1, v37
	v_div_fixup_f32 v58, v59, v58, 1.0
	s_mul_i32 s7, s29, 10
	v_cndmask_b32_e32 v59, v64, v65, vcc
	v_cmp_eq_u32_e32 vcc, 2, v37
	s_nop 1
	v_cndmask_b32_e32 v59, v59, v60, vcc
	v_cmp_eq_u32_e32 vcc, 3, v37
	v_lshlrev_b32_e32 v37, 11, v37
	s_nop 0
	v_cndmask_b32_e32 v57, v59, v57, vcc
	v_mul_f32_e32 v58, v57, v58
	v_pk_mul_f32 v[40:41], v[58:59], v[40:41] op_sel_hi:[0,1]
	v_pk_mul_f32 v[50:51], v[58:59], v[50:51] op_sel_hi:[0,1]
	v_bfe_u32 v57, v41, 16, 1
	v_bfe_u32 v59, v40, 16, 1
	v_add3_u32 v40, v40, v59, s8
	v_add3_u32 v41, v41, v57, s8
	v_perm_b32 v60, v41, v40, s9
	v_bfe_u32 v40, v51, 16, 1
	v_bfe_u32 v41, v50, 16, 1
	v_add3_u32 v41, v50, v41, s8
	v_add3_u32 v40, v51, v40, s8
	v_perm_b32 v61, v40, v41, s9
	v_lshlrev_b32_e32 v40, 3, v54
	v_pk_mul_f32 v[42:43], v[58:59], v[42:43] op_sel_hi:[0,1]
	v_or3_b32 v40, v37, v35, v40
	v_bfe_u32 v37, v43, 16, 1
	v_bfe_u32 v41, v42, 16, 1
	v_pk_mul_f32 v[50:51], v[58:59], v[52:53] op_sel_hi:[0,1]
	v_add3_u32 v41, v42, v41, s8
	v_add3_u32 v37, v43, v37, s8
	v_perm_b32 v42, v37, v41, s9
	v_bfe_u32 v37, v51, 16, 1
	v_bfe_u32 v41, v50, 16, 1
	v_add3_u32 v41, v50, v41, s8
	v_add3_u32 v37, v51, v37, s8
	v_pk_mul_f32 v[46:47], v[58:59], v[46:47] op_sel_hi:[0,1]
	v_perm_b32 v43, v37, v41, s9
	v_bfe_u32 v37, v47, 16, 1
	v_bfe_u32 v41, v46, 16, 1
	ds_write2st64_b64 v40, v[60:61], v[42:43] offset1:1
	v_pk_mul_f32 v[42:43], v[58:59], v[48:49] op_sel_hi:[0,1]
	v_add3_u32 v41, v46, v41, s8
	v_add3_u32 v37, v47, v37, s8
	v_perm_b32 v46, v37, v41, s9
	v_bfe_u32 v37, v43, 16, 1
	v_bfe_u32 v41, v42, 16, 1
	v_add3_u32 v41, v42, v41, s8
	v_add3_u32 v37, v43, v37, s8
	v_pk_mul_f32 v[42:43], v[58:59], v[44:45] op_sel_hi:[0,1]
	v_perm_b32 v47, v37, v41, s9
	v_bfe_u32 v37, v43, 16, 1
	v_bfe_u32 v41, v42, 16, 1
	v_pk_mul_f32 v[38:39], v[58:59], v[38:39] op_sel_hi:[0,1]
	v_add3_u32 v41, v42, v41, s8
	v_add3_u32 v37, v43, v37, s8
	v_perm_b32 v42, v37, v41, s9
	v_bfe_u32 v37, v39, 16, 1
	v_bfe_u32 v41, v38, 16, 1
	v_add3_u32 v38, v38, v41, s8
	v_add3_u32 v37, v39, v37, s8
	v_perm_b32 v43, v37, v38, s9
	v_cmp_gt_u32_e32 vcc, 10, v0
	ds_write2st64_b64 v40, v[46:47], v[42:43] offset0:2 offset1:3
	s_and_saveexec_b64 s[4:5], vcc
	s_cbranch_execz .LBB429_15
; %bb.14:
	s_mov_b32 s43, 0
	v_mov_b32_e32 v37, 0
	v_lshl_add_u64 v[38:39], s[42:43], 0, v[36:37]
	v_mov_b32_e32 v36, s7
	v_mad_u64_u32 v[38:39], s[10:11], s2, v36, v[38:39]
	v_mov_b32_e32 v36, s28
	s_load_dwordx4 s[12:15], s[0:1], 0x58
	s_mul_i32 s3, s3, s7
	v_mad_u64_u32 v[36:37], s[10:11], v38, s6, v[36:37]
	v_add_u32_e32 v39, s3, v39
	v_mov_b32_e32 v38, v37
	v_mad_u64_u32 v[38:39], s[10:11], v39, s6, v[38:39]
	v_mov_b32_e32 v37, v38
	v_lshlrev_b64 v[36:37], 2, v[36:37]
	s_waitcnt lgkmcnt(0)
	v_lshl_add_u64 v[38:39], s[14:15], 0, v[36:37]
	v_lshl_add_u64 v[36:37], s[12:13], 0, v[36:37]
	global_store_dword v[38:39], v55, off
	global_store_dword v[36:37], v56, off
.LBB429_15:
	s_or_b64 exec, exec, s[4:5]
	v_lshl_or_b32 v35, v54, 9, v35
	s_waitcnt lgkmcnt(0)
	s_barrier
	ds_read_b128 v[36:39], v35
	ds_read_b128 v[42:45], v35 offset:16
	s_waitcnt vmcnt(7) lgkmcnt(1)
	v_mfma_f32_16x16x16_bf16 v[46:49], v[6:7], v[36:37], 0
	v_cmp_gt_u32_e32 vcc, 64, v0
	s_mov_b32 s3, 0
	s_and_b64 s[4:5], vcc, s[30:31]
	v_mfma_f32_16x16x16_bf16 v[6:9], v[8:9], v[38:39], v[46:49]
	s_waitcnt vmcnt(6) lgkmcnt(0)
	v_mfma_f32_16x16x16_bf16 v[6:9], v[2:3], v[42:43], v[6:9]
	v_mfma_f32_16x16x16_bf16 v[2:5], v[4:5], v[44:45], v[6:9]
	s_nop 5
	ds_read_b128 v[6:9], v35 offset:2048
	ds_read_b128 v[36:39], v35 offset:2064
	s_waitcnt vmcnt(5) lgkmcnt(1)
	v_mfma_f32_16x16x16_bf16 v[2:5], v[30:31], v[6:7], v[2:5]
	v_mfma_f32_16x16x16_bf16 v[2:5], v[32:33], v[8:9], v[2:5]
	s_waitcnt vmcnt(4) lgkmcnt(0)
	v_mfma_f32_16x16x16_bf16 v[2:5], v[26:27], v[36:37], v[2:5]
	v_mfma_f32_16x16x16_bf16 v[2:5], v[28:29], v[38:39], v[2:5]
	ds_read_b128 v[6:9], v35 offset:4096
	ds_read_b128 v[26:29], v35 offset:4112
	s_waitcnt vmcnt(3) lgkmcnt(1)
	v_mfma_f32_16x16x16_bf16 v[2:5], v[22:23], v[6:7], v[2:5]
	v_mfma_f32_16x16x16_bf16 v[2:5], v[24:25], v[8:9], v[2:5]
	s_waitcnt vmcnt(2) lgkmcnt(0)
	v_mfma_f32_16x16x16_bf16 v[2:5], v[18:19], v[26:27], v[2:5]
	v_mfma_f32_16x16x16_bf16 v[2:5], v[20:21], v[28:29], v[2:5]
	ds_read_b128 v[6:9], v35 offset:6144
	ds_read_b128 v[18:21], v35 offset:6160
	v_mov_b32_e32 v35, 0
	s_waitcnt vmcnt(1) lgkmcnt(0)
	v_mfma_f32_16x16x16_bf16 v[2:5], v[14:15], v[6:7], v[2:5]
	s_barrier
	v_mfma_f32_16x16x16_bf16 v[2:5], v[16:17], v[8:9], v[2:5]
	s_waitcnt vmcnt(0)
	v_mfma_f32_16x16x16_bf16 v[2:5], v[10:11], v[18:19], v[2:5]
	v_mfma_f32_16x16x16_bf16 v[2:5], v[12:13], v[20:21], v[2:5]
	s_nop 6
	v_bfe_u32 v6, v3, 16, 1
	v_bfe_u32 v7, v2, 16, 1
	;; [unrolled: 1-line block ×4, first 2 shown]
	v_add3_u32 v2, v2, v7, s8
	v_add3_u32 v3, v3, v6, s8
	;; [unrolled: 1-line block ×4, first 2 shown]
	v_perm_b32 v2, v3, v2, s9
	v_perm_b32 v3, v5, v4, s9
	ds_write_b64 v40, v[2:3]
	s_waitcnt lgkmcnt(0)
	s_barrier
	s_and_saveexec_b64 s[8:9], s[4:5]
	s_cbranch_execz .LBB429_18
; %bb.16:
	s_load_dwordx2 s[4:5], s[0:1], 0x68
	s_lshl_b32 s0, s6, 6
	s_mul_i32 s1, s7, s2
	s_mul_hi_u32 s7, s1, s0
	s_mul_i32 s6, s1, s0
	v_lshlrev_b32_e32 v0, 10, v0
	s_lshl_b64 s[6:7], s[6:7], 1
	v_and_b32_e32 v0, 0x1800, v0
	v_lshlrev_b32_e32 v2, 5, v54
	v_and_b32_e32 v1, 16, v1
	s_waitcnt lgkmcnt(0)
	s_add_u32 s1, s4, s6
	v_or3_b32 v2, v0, v2, v1
	s_addc_u32 s4, s5, s7
	s_lshl_b32 s2, s28, 6
	s_lshl_b64 s[2:3], s[2:3], 1
	ds_read_b128 v[4:7], v2 offset:128
	ds_read_b128 v[8:11], v2
	s_add_u32 s2, s1, s2
	s_addc_u32 s3, s4, s3
	v_add_u32_e32 v14, s42, v54
	v_lshl_add_u64 v[0:1], s[2:3], 0, v[34:35]
	v_mad_u64_u32 v[12:13], s[2:3], v14, s0, 0
	v_lshl_add_u64 v[12:13], v[12:13], 1, v[0:1]
	s_waitcnt lgkmcnt(0)
	global_store_dwordx4 v[12:13], v[8:11], off
	v_or_b32_e32 v3, 8, v54
	v_cmp_gt_u32_e32 vcc, 10, v3
	v_add_u32_e32 v8, 4, v14
	v_mad_u64_u32 v[8:9], s[2:3], v8, s0, 0
	v_lshl_add_u64 v[8:9], v[8:9], 1, v[0:1]
	global_store_dwordx4 v[8:9], v[4:7], off
	s_and_b64 exec, exec, vcc
	s_cbranch_execz .LBB429_18
; %bb.17:
	ds_read_b128 v[4:7], v2 offset:256
	v_add_u32_e32 v2, s42, v3
	v_mad_u64_u32 v[2:3], s[0:1], v2, s0, 0
	v_lshl_add_u64 v[0:1], v[2:3], 1, v[0:1]
	s_waitcnt lgkmcnt(0)
	global_store_dwordx4 v[0:1], v[4:7], off
.LBB429_18:
	s_endpgm
	.section	.rodata,"a",@progbits
	.p2align	6, 0x0
	.amdhsa_kernel _Z39paged_attention_ll4mi_QKV_mfma16_kernelI14__hip_bfloat16S0_LN4vllm18Fp8KVCacheDataTypeE0EhLi16ELi64ELi256ELb0ELi10EEvPKT_PKT0_S8_ifPKiSA_SA_iPKfiiiPfSD_PS3_PT2_iSC_SC_
		.amdhsa_group_segment_fixed_size 8192
		.amdhsa_private_segment_fixed_size 0
		.amdhsa_kernarg_size 400
		.amdhsa_user_sgpr_count 2
		.amdhsa_user_sgpr_dispatch_ptr 0
		.amdhsa_user_sgpr_queue_ptr 0
		.amdhsa_user_sgpr_kernarg_segment_ptr 1
		.amdhsa_user_sgpr_dispatch_id 0
		.amdhsa_user_sgpr_kernarg_preload_length 0
		.amdhsa_user_sgpr_kernarg_preload_offset 0
		.amdhsa_user_sgpr_private_segment_size 0
		.amdhsa_uses_dynamic_stack 0
		.amdhsa_enable_private_segment 0
		.amdhsa_system_sgpr_workgroup_id_x 1
		.amdhsa_system_sgpr_workgroup_id_y 1
		.amdhsa_system_sgpr_workgroup_id_z 1
		.amdhsa_system_sgpr_workgroup_info 0
		.amdhsa_system_vgpr_workitem_id 0
		.amdhsa_next_free_vgpr 69
		.amdhsa_next_free_sgpr 48
		.amdhsa_accum_offset 72
		.amdhsa_reserve_vcc 1
		.amdhsa_float_round_mode_32 0
		.amdhsa_float_round_mode_16_64 0
		.amdhsa_float_denorm_mode_32 3
		.amdhsa_float_denorm_mode_16_64 3
		.amdhsa_dx10_clamp 1
		.amdhsa_ieee_mode 1
		.amdhsa_fp16_overflow 0
		.amdhsa_tg_split 0
		.amdhsa_exception_fp_ieee_invalid_op 0
		.amdhsa_exception_fp_denorm_src 0
		.amdhsa_exception_fp_ieee_div_zero 0
		.amdhsa_exception_fp_ieee_overflow 0
		.amdhsa_exception_fp_ieee_underflow 0
		.amdhsa_exception_fp_ieee_inexact 0
		.amdhsa_exception_int_div_zero 0
	.end_amdhsa_kernel
	.section	.text._Z39paged_attention_ll4mi_QKV_mfma16_kernelI14__hip_bfloat16S0_LN4vllm18Fp8KVCacheDataTypeE0EhLi16ELi64ELi256ELb0ELi10EEvPKT_PKT0_S8_ifPKiSA_SA_iPKfiiiPfSD_PS3_PT2_iSC_SC_,"axG",@progbits,_Z39paged_attention_ll4mi_QKV_mfma16_kernelI14__hip_bfloat16S0_LN4vllm18Fp8KVCacheDataTypeE0EhLi16ELi64ELi256ELb0ELi10EEvPKT_PKT0_S8_ifPKiSA_SA_iPKfiiiPfSD_PS3_PT2_iSC_SC_,comdat
.Lfunc_end429:
	.size	_Z39paged_attention_ll4mi_QKV_mfma16_kernelI14__hip_bfloat16S0_LN4vllm18Fp8KVCacheDataTypeE0EhLi16ELi64ELi256ELb0ELi10EEvPKT_PKT0_S8_ifPKiSA_SA_iPKfiiiPfSD_PS3_PT2_iSC_SC_, .Lfunc_end429-_Z39paged_attention_ll4mi_QKV_mfma16_kernelI14__hip_bfloat16S0_LN4vllm18Fp8KVCacheDataTypeE0EhLi16ELi64ELi256ELb0ELi10EEvPKT_PKT0_S8_ifPKiSA_SA_iPKfiiiPfSD_PS3_PT2_iSC_SC_
                                        ; -- End function
	.section	.AMDGPU.csdata,"",@progbits
; Kernel info:
; codeLenInByte = 4068
; NumSgprs: 54
; NumVgprs: 69
; NumAgprs: 0
; TotalNumVgprs: 69
; ScratchSize: 0
; MemoryBound: 0
; FloatMode: 240
; IeeeMode: 1
; LDSByteSize: 8192 bytes/workgroup (compile time only)
; SGPRBlocks: 6
; VGPRBlocks: 8
; NumSGPRsForWavesPerEU: 54
; NumVGPRsForWavesPerEU: 69
; AccumOffset: 72
; Occupancy: 7
; WaveLimiterHint : 1
; COMPUTE_PGM_RSRC2:SCRATCH_EN: 0
; COMPUTE_PGM_RSRC2:USER_SGPR: 2
; COMPUTE_PGM_RSRC2:TRAP_HANDLER: 0
; COMPUTE_PGM_RSRC2:TGID_X_EN: 1
; COMPUTE_PGM_RSRC2:TGID_Y_EN: 1
; COMPUTE_PGM_RSRC2:TGID_Z_EN: 1
; COMPUTE_PGM_RSRC2:TIDIG_COMP_CNT: 0
; COMPUTE_PGM_RSRC3_GFX90A:ACCUM_OFFSET: 17
; COMPUTE_PGM_RSRC3_GFX90A:TG_SPLIT: 0
	.section	.text._Z39paged_attention_ll4mi_QKV_mfma16_kernelI14__hip_bfloat16S0_LN4vllm18Fp8KVCacheDataTypeE0EhLi16ELi64ELi256ELb0ELi11EEvPKT_PKT0_S8_ifPKiSA_SA_iPKfiiiPfSD_PS3_PT2_iSC_SC_,"axG",@progbits,_Z39paged_attention_ll4mi_QKV_mfma16_kernelI14__hip_bfloat16S0_LN4vllm18Fp8KVCacheDataTypeE0EhLi16ELi64ELi256ELb0ELi11EEvPKT_PKT0_S8_ifPKiSA_SA_iPKfiiiPfSD_PS3_PT2_iSC_SC_,comdat
	.protected	_Z39paged_attention_ll4mi_QKV_mfma16_kernelI14__hip_bfloat16S0_LN4vllm18Fp8KVCacheDataTypeE0EhLi16ELi64ELi256ELb0ELi11EEvPKT_PKT0_S8_ifPKiSA_SA_iPKfiiiPfSD_PS3_PT2_iSC_SC_ ; -- Begin function _Z39paged_attention_ll4mi_QKV_mfma16_kernelI14__hip_bfloat16S0_LN4vllm18Fp8KVCacheDataTypeE0EhLi16ELi64ELi256ELb0ELi11EEvPKT_PKT0_S8_ifPKiSA_SA_iPKfiiiPfSD_PS3_PT2_iSC_SC_
	.globl	_Z39paged_attention_ll4mi_QKV_mfma16_kernelI14__hip_bfloat16S0_LN4vllm18Fp8KVCacheDataTypeE0EhLi16ELi64ELi256ELb0ELi11EEvPKT_PKT0_S8_ifPKiSA_SA_iPKfiiiPfSD_PS3_PT2_iSC_SC_
	.p2align	8
	.type	_Z39paged_attention_ll4mi_QKV_mfma16_kernelI14__hip_bfloat16S0_LN4vllm18Fp8KVCacheDataTypeE0EhLi16ELi64ELi256ELb0ELi11EEvPKT_PKT0_S8_ifPKiSA_SA_iPKfiiiPfSD_PS3_PT2_iSC_SC_,@function
_Z39paged_attention_ll4mi_QKV_mfma16_kernelI14__hip_bfloat16S0_LN4vllm18Fp8KVCacheDataTypeE0EhLi16ELi64ELi256ELb0ELi11EEvPKT_PKT0_S8_ifPKiSA_SA_iPKfiiiPfSD_PS3_PT2_iSC_SC_: ; @_Z39paged_attention_ll4mi_QKV_mfma16_kernelI14__hip_bfloat16S0_LN4vllm18Fp8KVCacheDataTypeE0EhLi16ELi64ELi256ELb0ELi11EEvPKT_PKT0_S8_ifPKiSA_SA_iPKfiiiPfSD_PS3_PT2_iSC_SC_
; %bb.0:
	s_load_dwordx2 s[12:13], s[0:1], 0x30
	s_mov_b32 s28, s3
	s_mov_b64 s[6:7], 0
	s_waitcnt lgkmcnt(0)
	s_cmp_lg_u64 s[12:13], 0
	s_cselect_b64 s[14:15], -1, 0
	s_and_b64 vcc, exec, s[14:15]
	s_cbranch_vccz .LBB430_7
; %bb.1:
	s_add_i32 s8, s2, 1
	s_mov_b32 s9, 0
	s_lshl_b64 s[10:11], s[8:9], 2
	s_add_u32 s10, s12, s10
	s_mov_b32 s3, s9
	s_addc_u32 s11, s13, s11
	s_lshl_b64 s[8:9], s[2:3], 2
	s_add_u32 s8, s12, s8
	s_addc_u32 s9, s13, s9
	s_load_dword s5, s[10:11], 0x0
	s_load_dword s16, s[8:9], 0x0
	s_waitcnt lgkmcnt(0)
	s_sub_i32 s5, s5, s16
	s_cmp_eq_u32 s5, 1
	s_cselect_b64 s[8:9], -1, 0
	s_andn2_b64 vcc, exec, s[6:7]
	s_cbranch_vccnz .LBB430_3
.LBB430_2:
	s_mov_b32 s3, 0
	s_mov_b64 s[8:9], -1
.LBB430_3:
	s_andn2_b64 vcc, exec, s[8:9]
	s_cbranch_vccnz .LBB430_18
; %bb.4:
	s_load_dwordx2 s[6:7], s[0:1], 0x28
	s_lshl_b64 s[16:17], s[2:3], 2
	s_waitcnt lgkmcnt(0)
	s_add_u32 s6, s6, s16
	s_addc_u32 s7, s7, s17
	s_load_dword s33, s[6:7], 0x0
	s_lshl_b32 s18, s28, 8
	s_waitcnt lgkmcnt(0)
	s_cmp_ge_i32 s18, s33
	s_cbranch_scc1 .LBB430_18
; %bb.5:
	s_load_dwordx2 s[6:7], s[0:1], 0x20
	s_load_dword s5, s[0:1], 0x38
	s_add_i32 s8, s33, 15
	s_ashr_i32 s9, s8, 31
	v_and_b32_e32 v1, 0xcf, v0
	s_lshr_b32 s9, s9, 28
	v_add_u32_e32 v1, s18, v1
	s_add_i32 s8, s8, s9
	v_ashrrev_i32_e32 v2, 31, v1
	s_ashr_i32 s19, s8, 4
	v_lshrrev_b32_e32 v6, 28, v2
	s_add_i32 s19, s19, -1
	s_waitcnt lgkmcnt(0)
	s_mul_i32 s8, s2, s5
	s_mov_b32 s9, 0
	v_add_u32_e32 v2, v1, v6
	s_lshl_b64 s[8:9], s[8:9], 2
	v_ashrrev_i32_e32 v2, 4, v2
	v_mov_b32_e32 v7, s19
	v_cmp_gt_i32_e32 vcc, s33, v1
	s_add_u32 s6, s6, s8
	s_addc_u32 s7, s7, s9
	v_cndmask_b32_e32 v2, v7, v2, vcc
	v_ashrrev_i32_e32 v3, 31, v2
	v_lshl_add_u64 v[4:5], v[2:3], 2, s[6:7]
	v_or_b32_e32 v2, 16, v1
	v_add_u32_e32 v3, v2, v6
	v_ashrrev_i32_e32 v3, 4, v3
	v_cmp_gt_i32_e32 vcc, s33, v2
	s_load_dwordx4 s[8:11], s[0:1], 0x8
	s_nop 0
	v_cndmask_b32_e32 v2, v7, v3, vcc
	v_ashrrev_i32_e32 v3, 31, v2
	v_lshl_add_u64 v[8:9], v[2:3], 2, s[6:7]
	v_or_b32_e32 v2, 32, v1
	v_add_u32_e32 v3, v2, v6
	v_ashrrev_i32_e32 v3, 4, v3
	v_cmp_gt_i32_e32 vcc, s33, v2
	v_or_b32_e32 v1, 48, v1
	s_nop 0
	v_cndmask_b32_e32 v2, v7, v3, vcc
	v_ashrrev_i32_e32 v3, 31, v2
	v_lshl_add_u64 v[12:13], v[2:3], 2, s[6:7]
	v_add_u32_e32 v2, v1, v6
	v_ashrrev_i32_e32 v2, 4, v2
	v_cmp_gt_i32_e32 vcc, s33, v1
	s_nop 1
	v_cndmask_b32_e32 v2, v7, v2, vcc
	v_ashrrev_i32_e32 v3, 31, v2
	v_lshl_add_u64 v[14:15], v[2:3], 2, s[6:7]
	global_load_dword v2, v[4:5], off
	global_load_dword v6, v[8:9], off
	;; [unrolled: 1-line block ×4, first 2 shown]
	s_andn2_b64 vcc, exec, s[14:15]
	s_cbranch_vccnz .LBB430_8
; %bb.6:
	s_add_u32 s12, s12, s16
	s_addc_u32 s13, s13, s17
	s_load_dword s5, s[12:13], 0x0
	s_branch .LBB430_9
.LBB430_7:
	s_mov_b64 s[8:9], 0
	s_branch .LBB430_2
.LBB430_8:
	s_mov_b32 s5, s2
.LBB430_9:
	s_load_dwordx4 s[44:47], s[0:1], 0x48
	v_lshrrev_b32_e32 v37, 6, v0
	v_bfe_u32 v54, v0, 4, 2
	v_lshl_or_b32 v1, v37, 2, v54
	v_and_b32_e32 v36, 15, v0
	v_lshlrev_b32_e32 v3, 3, v36
	v_cmp_gt_u32_e32 vcc, 11, v1
	v_cmp_gt_u32_e64 s[30:31], 8, v36
	v_and_b32_e32 v55, 63, v0
	s_mul_i32 s42, s4, 11
	s_and_b64 s[14:15], s[30:31], vcc
	v_lshlrev_b32_e32 v34, 1, v3
	s_and_saveexec_b64 s[12:13], s[14:15]
	s_cbranch_execz .LBB430_11
; %bb.10:
	s_load_dwordx2 s[14:15], s[0:1], 0x0
	s_waitcnt lgkmcnt(0)
	s_ashr_i32 s16, s44, 31
	s_mul_hi_u32 s17, s5, s44
	s_mul_i32 s16, s5, s16
	s_add_i32 s17, s17, s16
	s_mul_i32 s16, s5, s44
	s_lshl_b64 s[16:17], s[16:17], 1
	s_add_u32 s14, s14, s16
	v_add_lshl_u32 v4, v1, s42, 6
	s_addc_u32 s15, s15, s17
	v_ashrrev_i32_e32 v5, 31, v4
	v_lshl_add_u64 v[4:5], v[4:5], 1, s[14:15]
	v_mov_b32_e32 v35, 0
	v_lshl_add_u64 v[4:5], v[4:5], 0, v[34:35]
	global_load_dwordx4 v[12:15], v[4:5], off
	v_and_b32_e32 v3, 3, v0
	v_lshlrev_b32_e32 v4, 9, v36
	v_lshlrev_b32_e32 v1, 5, v1
	;; [unrolled: 1-line block ×3, first 2 shown]
	v_and_b32_e32 v4, 0x1800, v4
	v_or3_b32 v1, v4, v3, v1
	s_waitcnt vmcnt(0)
	ds_write_b128 v1, v[12:15]
.LBB430_11:
	s_or_b64 exec, exec, s[12:13]
	s_waitcnt lgkmcnt(0)
	s_mul_i32 s4, s4, s46
	s_mov_b32 s5, 0
	s_lshl_b64 s[4:5], s[4:5], 1
	s_add_u32 s8, s8, s4
	v_lshlrev_b32_e32 v1, 4, v0
	s_addc_u32 s9, s9, s5
	v_and_b32_e32 v30, 0xf0, v1
	v_mov_b32_e32 v31, 0
	v_lshl_add_u64 v[18:19], s[8:9], 0, v[30:31]
	s_waitcnt vmcnt(3)
	v_mad_i64_i32 v[2:3], s[8:9], v2, s45, 0
	v_lshl_add_u64 v[2:3], v[2:3], 1, v[18:19]
	v_and_b32_e32 v30, 0x300, v1
	v_lshl_add_u64 v[14:15], v[2:3], 0, v[30:31]
	s_load_dword s29, s[0:1], 0x98
	s_load_dword s12, s[0:1], 0x1c
	s_waitcnt lgkmcnt(0)
	s_barrier
	global_load_dwordx4 v[2:5], v[14:15], off
	global_load_dwordx4 v[26:29], v[14:15], off offset:1024
	s_waitcnt vmcnt(3)
	v_mad_i64_i32 v[10:11], s[8:9], v10, s45, 0
	v_lshl_add_u64 v[10:11], v[10:11], 1, v[18:19]
	v_lshl_add_u64 v[38:39], v[10:11], 0, v[30:31]
	global_load_dwordx4 v[10:13], v[38:39], off
	global_load_dwordx4 v[56:59], v[38:39], off offset:1024
	v_mad_i64_i32 v[6:7], s[8:9], v6, s45, 0
	v_lshl_add_u64 v[6:7], v[6:7], 1, v[18:19]
	v_lshl_add_u64 v[32:33], v[6:7], 0, v[30:31]
	global_load_dwordx4 v[6:9], v[32:33], off
	global_load_dwordx4 v[46:49], v[32:33], off offset:1024
	s_waitcnt vmcnt(6)
	v_mad_i64_i32 v[16:17], s[8:9], v16, s45, 0
	v_lshl_add_u64 v[16:17], v[16:17], 1, v[18:19]
	v_lshl_add_u64 v[40:41], v[16:17], 0, v[30:31]
	global_load_dwordx4 v[18:21], v[40:41], off
	v_add_u32_e32 v16, -11, v36
	v_cmp_gt_u32_e32 vcc, 11, v36
	global_load_dwordx4 v[38:41], v[40:41], off offset:1024
	v_and_or_b32 v30, v0, 48, s18
	v_cndmask_b32_e32 v16, v16, v36, vcc
	v_lshlrev_b32_e32 v16, 5, v16
	v_lshl_add_u32 v16, v54, 9, v16
	ds_read_b128 v[22:25], v16
	v_mov_b32_e32 v68, s19
	v_cmp_gt_i32_e32 vcc, s33, v30
	v_or_b32_e32 v32, 64, v30
	ds_read_b128 v[14:17], v16 offset:2048
	v_lshlrev_b32_e32 v35, 5, v36
	s_add_u32 s4, s10, s4
	s_addc_u32 s5, s11, s5
	s_mov_b32 s43, 0xff7fffff
	s_waitcnt vmcnt(7) lgkmcnt(1)
	v_mfma_f32_16x16x16_bf16 v[42:45], v[2:3], v[22:23], 0
	v_ashrrev_i32_e32 v2, 4, v30
	v_cndmask_b32_e32 v2, v68, v2, vcc
	v_ashrrev_i32_e32 v3, 31, v2
	s_waitcnt vmcnt(5)
	v_mfma_f32_16x16x16_bf16 v[60:63], v[10:11], v[22:23], 0
	v_lshl_add_u64 v[10:11], v[2:3], 2, s[6:7]
	v_cmp_gt_i32_e32 vcc, s33, v32
	v_mfma_f32_16x16x16_bf16 v[2:5], v[4:5], v[24:25], v[42:45]
	s_nop 2
	global_load_dword v42, v[10:11], off
	s_waitcnt vmcnt(4)
	v_mfma_f32_16x16x16_bf16 v[50:53], v[6:7], v[22:23], 0
	v_ashrrev_i32_e32 v6, 4, v32
	v_cndmask_b32_e32 v6, v68, v6, vcc
	v_ashrrev_i32_e32 v7, 31, v6
	v_lshl_add_u64 v[10:11], v[6:7], 2, s[6:7]
	global_load_dword v43, v[10:11], off
	s_waitcnt vmcnt(3)
	v_mfma_f32_16x16x16_bf16 v[64:67], v[18:19], v[22:23], 0
	v_or_b32_e32 v22, 0x80, v30
	v_or_b32_e32 v23, 0xc0, v30
	v_ashrrev_i32_e32 v30, 4, v22
	v_cmp_gt_i32_e32 vcc, s33, v22
	v_ashrrev_i32_e32 v32, 4, v23
	v_mfma_f32_16x16x16_bf16 v[6:9], v[8:9], v[24:25], v[50:53]
	v_cndmask_b32_e32 v22, v68, v30, vcc
	v_cmp_gt_i32_e32 vcc, s33, v23
	v_ashrrev_i32_e32 v23, 31, v22
	v_mfma_f32_16x16x16_bf16 v[10:13], v[12:13], v[24:25], v[60:63]
	v_lshl_or_b32 v30, v37, 9, v35
	v_mfma_f32_16x16x16_bf16 v[18:21], v[20:21], v[24:25], v[64:67]
	v_cndmask_b32_e32 v24, v68, v32, vcc
	v_ashrrev_i32_e32 v25, 31, v24
	v_lshl_add_u64 v[32:33], v[24:25], 2, s[6:7]
	s_waitcnt lgkmcnt(0)
	v_mfma_f32_16x16x16_bf16 v[2:5], v[26:27], v[14:15], v[2:5]
	v_lshl_add_u64 v[26:27], v[22:23], 2, s[6:7]
	global_load_dword v60, v[26:27], off
	global_load_dword v61, v[32:33], off
	v_mfma_f32_16x16x16_bf16 v[6:9], v[46:47], v[14:15], v[6:9]
	v_mfma_f32_16x16x16_bf16 v[22:25], v[56:57], v[14:15], v[10:13]
	s_waitcnt vmcnt(4)
	v_mfma_f32_16x16x16_bf16 v[18:21], v[38:39], v[14:15], v[18:21]
	s_nop 0
	v_lshl_add_u64 v[10:11], s[4:5], 0, v[30:31]
	s_waitcnt vmcnt(3)
	v_mad_i64_i32 v[26:27], s[4:5], v42, s45, 0
	v_mfma_f32_16x16x16_bf16 v[12:15], v[28:29], v[16:17], v[2:5]
	v_lshl_add_u64 v[30:31], v[26:27], 1, v[10:11]
	s_waitcnt vmcnt(2)
	v_mad_i64_i32 v[32:33], s[4:5], v43, s45, 0
	v_mfma_f32_16x16x16_bf16 v[26:29], v[48:49], v[16:17], v[6:9]
	s_nop 2
	v_pk_mul_f32 v[50:51], s[12:13], v[14:15] op_sel_hi:[0,1]
	v_pk_mul_f32 v[12:13], s[12:13], v[12:13] op_sel_hi:[0,1]
	v_lshl_add_u64 v[56:57], v[32:33], 1, v[10:11]
	v_mfma_f32_16x16x16_bf16 v[22:25], v[58:59], v[16:17], v[22:25]
	global_load_dwordx4 v[6:9], v[30:31], off
	global_load_dwordx4 v[2:5], v[30:31], off offset:16
	v_pk_mul_f32 v[42:43], s[12:13], v[26:27] op_sel_hi:[0,1]
	v_pk_mul_f32 v[52:53], s[12:13], v[28:29] op_sel_hi:[0,1]
	v_mfma_f32_16x16x16_bf16 v[14:17], v[40:41], v[16:17], v[18:21]
	s_nop 1
	v_pk_mul_f32 v[46:47], s[12:13], v[22:23] op_sel_hi:[0,1]
	v_pk_mul_f32 v[48:49], s[12:13], v[24:25] op_sel_hi:[0,1]
	global_load_dwordx4 v[30:33], v[56:57], off
	global_load_dwordx4 v[26:29], v[56:57], off offset:16
	s_nop 0
	v_pk_mul_f32 v[44:45], s[12:13], v[14:15] op_sel_hi:[0,1]
	v_and_b32_e32 v14, 0xc0, v0
	v_add_u32_e32 v14, s18, v14
	v_lshl_or_b32 v14, v54, 2, v14
	v_pk_mul_f32 v[38:39], s[12:13], v[16:17] op_sel_hi:[0,1]
	v_or_b32_e32 v17, 1, v14
	v_mov_b32_e32 v15, 0xff7fffff
	v_cmp_gt_i32_e64 s[4:5], s33, v14
	v_cmp_gt_i32_e64 s[34:35], s33, v17
	v_or_b32_e32 v18, 3, v14
	v_cndmask_b32_e64 v16, v15, v12, s[4:5]
	v_cndmask_b32_e64 v17, v15, v13, s[34:35]
	v_max3_f32 v16, v16, s43, v17
	v_or_b32_e32 v17, 2, v14
	v_cmp_gt_i32_e64 s[36:37], s33, v17
	v_cmp_gt_i32_e64 s[38:39], s33, v18
	s_nop 0
	v_cndmask_b32_e64 v17, v15, v50, s[36:37]
	v_cndmask_b32_e64 v18, v15, v51, s[38:39]
	v_max3_f32 v16, v16, v17, v18
	v_or_b32_e32 v17, 16, v14
	v_or_b32_e32 v18, 17, v14
	v_cmp_gt_i32_e64 s[24:25], s33, v17
	v_cmp_gt_i32_e64 s[26:27], s33, v18
	s_nop 0
	v_cndmask_b32_e64 v17, v15, v42, s[24:25]
	v_cndmask_b32_e64 v18, v15, v43, s[26:27]
	v_max3_f32 v16, v16, v17, v18
	v_or_b32_e32 v17, 18, v14
	;; [unrolled: 8-line block ×6, first 2 shown]
	v_or_b32_e32 v14, 51, v14
	v_cmp_gt_i32_e32 vcc, s33, v17
	v_cmp_gt_i32_e64 s[6:7], s33, v14
	s_nop 0
	v_cndmask_b32_e32 v17, v15, v38, vcc
	v_cndmask_b32_e64 v14, v15, v39, s[6:7]
	v_max3_f32 v16, v16, v17, v14
	v_mbcnt_lo_u32_b32 v14, -1, 0
	v_mbcnt_hi_u32_b32 v17, -1, v14
	v_and_b32_e32 v14, 64, v17
	v_add_u32_e32 v18, 64, v14
	v_xor_b32_e32 v14, 32, v17
	v_cmp_lt_i32_e64 s[40:41], v14, v18
	s_nop 1
	v_cndmask_b32_e64 v14, v17, v14, s[40:41]
	v_lshlrev_b32_e32 v58, 2, v14
	ds_bpermute_b32 v19, v58, v16
	s_waitcnt vmcnt(5)
	v_mad_i64_i32 v[14:15], s[40:41], v60, s45, 0
	v_lshl_add_u64 v[14:15], v[14:15], 1, v[10:11]
	s_waitcnt lgkmcnt(0)
	v_max_f32_e32 v19, v19, v19
	v_max_f32_e32 v16, v16, v19
	v_xor_b32_e32 v19, 16, v17
	v_cmp_lt_i32_e64 s[40:41], v19, v18
	s_nop 1
	v_cndmask_b32_e64 v17, v17, v19, s[40:41]
	v_lshlrev_b32_e32 v57, 2, v17
	ds_bpermute_b32 v17, v57, v16
	global_load_dwordx4 v[22:25], v[14:15], off
	global_load_dwordx4 v[18:21], v[14:15], off offset:16
	s_waitcnt vmcnt(6)
	v_mad_i64_i32 v[14:15], s[40:41], v61, s45, 0
	v_lshl_add_u64 v[10:11], v[14:15], 1, v[10:11]
	s_waitcnt lgkmcnt(0)
	v_max_f32_e32 v14, v17, v17
	v_max_f32_e32 v56, v16, v14
	v_sub_f32_e32 v12, v12, v56
	v_mul_f32_e32 v12, 0x3fb8aa3b, v12
	v_exp_f32_e32 v40, v12
	v_sub_f32_e32 v12, v13, v56
	v_mul_f32_e32 v12, 0x3fb8aa3b, v12
	v_exp_f32_e32 v41, v12
	global_load_dwordx4 v[14:17], v[10:11], off
	s_nop 0
	global_load_dwordx4 v[10:13], v[10:11], off offset:16
	v_sub_f32_e32 v50, v50, v56
	v_mul_f32_e32 v50, 0x3fb8aa3b, v50
	v_sub_f32_e32 v51, v51, v56
	v_exp_f32_e32 v50, v50
	v_mul_f32_e32 v51, 0x3fb8aa3b, v51
	v_sub_f32_e32 v42, v42, v56
	v_exp_f32_e32 v51, v51
	v_mul_f32_e32 v42, 0x3fb8aa3b, v42
	v_sub_f32_e32 v43, v43, v56
	v_cndmask_b32_e64 v40, 0, v40, s[4:5]
	v_exp_f32_e32 v42, v42
	v_mul_f32_e32 v43, 0x3fb8aa3b, v43
	v_sub_f32_e32 v52, v52, v56
	v_add_f32_e32 v59, 0, v40
	v_cndmask_b32_e64 v41, 0, v41, s[34:35]
	v_exp_f32_e32 v43, v43
	v_mul_f32_e32 v52, 0x3fb8aa3b, v52
	v_sub_f32_e32 v53, v53, v56
	v_add_f32_e32 v59, v59, v41
	;; [unrolled: 5-line block ×10, first 2 shown]
	v_cndmask_b32_e64 v48, 0, v48, s[12:13]
	v_exp_f32_e32 v38, v38
	v_mul_f32_e32 v39, 0x3fb8aa3b, v39
	v_add_f32_e32 v59, v59, v48
	v_cndmask_b32_e64 v49, 0, v49, s[14:15]
	v_exp_f32_e32 v39, v39
	v_add_f32_e32 v59, v59, v49
	v_cndmask_b32_e64 v44, 0, v44, s[8:9]
	v_add_f32_e32 v59, v59, v44
	v_cndmask_b32_e64 v45, 0, v45, s[10:11]
	v_add_f32_e32 v59, v59, v45
	v_cndmask_b32_e32 v38, 0, v38, vcc
	v_add_f32_e32 v59, v59, v38
	v_cndmask_b32_e64 v39, 0, v39, s[6:7]
	v_add_f32_e32 v59, v59, v39
	ds_bpermute_b32 v58, v58, v59
	v_cmp_gt_u32_e32 vcc, 16, v55
	s_waitcnt lgkmcnt(0)
	s_barrier
	v_add_f32_e32 v58, v59, v58
	ds_bpermute_b32 v59, v57, v58
	v_lshlrev_b32_e32 v57, 2, v36
	s_and_saveexec_b64 s[4:5], vcc
	s_cbranch_execz .LBB430_13
; %bb.12:
	s_waitcnt lgkmcnt(0)
	v_add_f32_e32 v55, v58, v59
	v_lshl_or_b32 v58, v37, 6, v57
	ds_write2st64_b32 v58, v56, v55 offset1:1
.LBB430_13:
	s_or_b64 exec, exec, s[4:5]
	s_load_dword s6, s[0:1], 0x94
	s_waitcnt lgkmcnt(0)
	s_barrier
	ds_read2_b32 v[58:59], v57 offset1:16
	ds_read2_b32 v[60:61], v57 offset0:32 offset1:48
	ds_read2_b32 v[62:63], v57 offset0:64 offset1:80
	s_movk_i32 s8, 0x7fff
	s_mov_b32 s9, 0x7060302
	s_waitcnt lgkmcnt(2)
	v_max3_f32 v55, v58, s43, v59
	s_waitcnt lgkmcnt(1)
	v_max3_f32 v55, v55, v60, v61
	v_sub_f32_e32 v56, v58, v55
	v_mul_f32_e32 v56, 0x3fb8aa3b, v56
	v_exp_f32_e32 v64, v56
	v_sub_f32_e32 v56, v59, v55
	v_mul_f32_e32 v56, 0x3fb8aa3b, v56
	v_exp_f32_e32 v65, v56
	;; [unrolled: 3-line block ×3, first 2 shown]
	ds_read2_b32 v[58:59], v57 offset0:96 offset1:112
	v_sub_f32_e32 v56, v61, v55
	v_mul_f32_e32 v56, 0x3fb8aa3b, v56
	v_exp_f32_e32 v57, v56
	s_waitcnt lgkmcnt(1)
	v_fma_f32 v56, v64, v62, 0
	v_fmac_f32_e32 v56, v65, v63
	s_waitcnt lgkmcnt(0)
	v_fmac_f32_e32 v56, v60, v58
	v_fmac_f32_e32 v56, v57, v59
	v_add_f32_e32 v58, 0x358637bd, v56
	v_div_scale_f32 v59, s[4:5], v58, v58, 1.0
	v_rcp_f32_e32 v61, v59
	s_barrier
	v_fma_f32 v62, -v59, v61, 1.0
	v_fmac_f32_e32 v61, v62, v61
	v_div_scale_f32 v62, vcc, 1.0, v58, 1.0
	v_mul_f32_e32 v63, v62, v61
	v_fma_f32 v66, -v59, v63, v62
	v_fmac_f32_e32 v63, v66, v61
	v_fma_f32 v59, -v59, v63, v62
	v_div_fmas_f32 v59, v59, v61, v63
	v_cmp_eq_u32_e32 vcc, 1, v37
	v_div_fixup_f32 v58, v59, v58, 1.0
	s_mul_i32 s7, s29, 11
	v_cndmask_b32_e32 v59, v64, v65, vcc
	v_cmp_eq_u32_e32 vcc, 2, v37
	s_nop 1
	v_cndmask_b32_e32 v59, v59, v60, vcc
	v_cmp_eq_u32_e32 vcc, 3, v37
	v_lshlrev_b32_e32 v37, 11, v37
	s_nop 0
	v_cndmask_b32_e32 v57, v59, v57, vcc
	v_mul_f32_e32 v58, v57, v58
	v_pk_mul_f32 v[40:41], v[58:59], v[40:41] op_sel_hi:[0,1]
	v_pk_mul_f32 v[50:51], v[58:59], v[50:51] op_sel_hi:[0,1]
	v_bfe_u32 v57, v41, 16, 1
	v_bfe_u32 v59, v40, 16, 1
	v_add3_u32 v40, v40, v59, s8
	v_add3_u32 v41, v41, v57, s8
	v_perm_b32 v60, v41, v40, s9
	v_bfe_u32 v40, v51, 16, 1
	v_bfe_u32 v41, v50, 16, 1
	v_add3_u32 v41, v50, v41, s8
	v_add3_u32 v40, v51, v40, s8
	v_perm_b32 v61, v40, v41, s9
	v_lshlrev_b32_e32 v40, 3, v54
	v_pk_mul_f32 v[42:43], v[58:59], v[42:43] op_sel_hi:[0,1]
	v_or3_b32 v40, v37, v35, v40
	v_bfe_u32 v37, v43, 16, 1
	v_bfe_u32 v41, v42, 16, 1
	v_pk_mul_f32 v[50:51], v[58:59], v[52:53] op_sel_hi:[0,1]
	v_add3_u32 v41, v42, v41, s8
	v_add3_u32 v37, v43, v37, s8
	v_perm_b32 v42, v37, v41, s9
	v_bfe_u32 v37, v51, 16, 1
	v_bfe_u32 v41, v50, 16, 1
	v_add3_u32 v41, v50, v41, s8
	v_add3_u32 v37, v51, v37, s8
	v_pk_mul_f32 v[46:47], v[58:59], v[46:47] op_sel_hi:[0,1]
	v_perm_b32 v43, v37, v41, s9
	v_bfe_u32 v37, v47, 16, 1
	v_bfe_u32 v41, v46, 16, 1
	ds_write2st64_b64 v40, v[60:61], v[42:43] offset1:1
	v_pk_mul_f32 v[42:43], v[58:59], v[48:49] op_sel_hi:[0,1]
	v_add3_u32 v41, v46, v41, s8
	v_add3_u32 v37, v47, v37, s8
	v_perm_b32 v46, v37, v41, s9
	v_bfe_u32 v37, v43, 16, 1
	v_bfe_u32 v41, v42, 16, 1
	v_add3_u32 v41, v42, v41, s8
	v_add3_u32 v37, v43, v37, s8
	v_pk_mul_f32 v[42:43], v[58:59], v[44:45] op_sel_hi:[0,1]
	v_perm_b32 v47, v37, v41, s9
	v_bfe_u32 v37, v43, 16, 1
	v_bfe_u32 v41, v42, 16, 1
	v_pk_mul_f32 v[38:39], v[58:59], v[38:39] op_sel_hi:[0,1]
	v_add3_u32 v41, v42, v41, s8
	v_add3_u32 v37, v43, v37, s8
	v_perm_b32 v42, v37, v41, s9
	v_bfe_u32 v37, v39, 16, 1
	v_bfe_u32 v41, v38, 16, 1
	v_add3_u32 v38, v38, v41, s8
	v_add3_u32 v37, v39, v37, s8
	v_perm_b32 v43, v37, v38, s9
	v_cmp_gt_u32_e32 vcc, 11, v0
	ds_write2st64_b64 v40, v[46:47], v[42:43] offset0:2 offset1:3
	s_and_saveexec_b64 s[4:5], vcc
	s_cbranch_execz .LBB430_15
; %bb.14:
	s_mov_b32 s43, 0
	v_mov_b32_e32 v37, 0
	v_lshl_add_u64 v[38:39], s[42:43], 0, v[36:37]
	v_mov_b32_e32 v36, s7
	v_mad_u64_u32 v[38:39], s[10:11], s2, v36, v[38:39]
	v_mov_b32_e32 v36, s28
	s_load_dwordx4 s[12:15], s[0:1], 0x58
	s_mul_i32 s3, s3, s7
	v_mad_u64_u32 v[36:37], s[10:11], v38, s6, v[36:37]
	v_add_u32_e32 v39, s3, v39
	v_mov_b32_e32 v38, v37
	v_mad_u64_u32 v[38:39], s[10:11], v39, s6, v[38:39]
	v_mov_b32_e32 v37, v38
	v_lshlrev_b64 v[36:37], 2, v[36:37]
	s_waitcnt lgkmcnt(0)
	v_lshl_add_u64 v[38:39], s[14:15], 0, v[36:37]
	v_lshl_add_u64 v[36:37], s[12:13], 0, v[36:37]
	global_store_dword v[38:39], v55, off
	global_store_dword v[36:37], v56, off
.LBB430_15:
	s_or_b64 exec, exec, s[4:5]
	v_lshl_or_b32 v35, v54, 9, v35
	s_waitcnt lgkmcnt(0)
	s_barrier
	ds_read_b128 v[36:39], v35
	ds_read_b128 v[42:45], v35 offset:16
	s_waitcnt vmcnt(7) lgkmcnt(1)
	v_mfma_f32_16x16x16_bf16 v[46:49], v[6:7], v[36:37], 0
	v_cmp_gt_u32_e32 vcc, 64, v0
	s_mov_b32 s3, 0
	s_and_b64 s[4:5], vcc, s[30:31]
	v_mfma_f32_16x16x16_bf16 v[6:9], v[8:9], v[38:39], v[46:49]
	s_waitcnt vmcnt(6) lgkmcnt(0)
	v_mfma_f32_16x16x16_bf16 v[6:9], v[2:3], v[42:43], v[6:9]
	v_mfma_f32_16x16x16_bf16 v[2:5], v[4:5], v[44:45], v[6:9]
	s_nop 5
	ds_read_b128 v[6:9], v35 offset:2048
	ds_read_b128 v[36:39], v35 offset:2064
	s_waitcnt vmcnt(5) lgkmcnt(1)
	v_mfma_f32_16x16x16_bf16 v[2:5], v[30:31], v[6:7], v[2:5]
	v_mfma_f32_16x16x16_bf16 v[2:5], v[32:33], v[8:9], v[2:5]
	s_waitcnt vmcnt(4) lgkmcnt(0)
	v_mfma_f32_16x16x16_bf16 v[2:5], v[26:27], v[36:37], v[2:5]
	v_mfma_f32_16x16x16_bf16 v[2:5], v[28:29], v[38:39], v[2:5]
	ds_read_b128 v[6:9], v35 offset:4096
	ds_read_b128 v[26:29], v35 offset:4112
	s_waitcnt vmcnt(3) lgkmcnt(1)
	v_mfma_f32_16x16x16_bf16 v[2:5], v[22:23], v[6:7], v[2:5]
	v_mfma_f32_16x16x16_bf16 v[2:5], v[24:25], v[8:9], v[2:5]
	s_waitcnt vmcnt(2) lgkmcnt(0)
	v_mfma_f32_16x16x16_bf16 v[2:5], v[18:19], v[26:27], v[2:5]
	v_mfma_f32_16x16x16_bf16 v[2:5], v[20:21], v[28:29], v[2:5]
	ds_read_b128 v[6:9], v35 offset:6144
	ds_read_b128 v[18:21], v35 offset:6160
	v_mov_b32_e32 v35, 0
	s_waitcnt vmcnt(1) lgkmcnt(0)
	v_mfma_f32_16x16x16_bf16 v[2:5], v[14:15], v[6:7], v[2:5]
	s_barrier
	v_mfma_f32_16x16x16_bf16 v[2:5], v[16:17], v[8:9], v[2:5]
	s_waitcnt vmcnt(0)
	v_mfma_f32_16x16x16_bf16 v[2:5], v[10:11], v[18:19], v[2:5]
	v_mfma_f32_16x16x16_bf16 v[2:5], v[12:13], v[20:21], v[2:5]
	s_nop 6
	v_bfe_u32 v6, v3, 16, 1
	v_bfe_u32 v7, v2, 16, 1
	;; [unrolled: 1-line block ×4, first 2 shown]
	v_add3_u32 v2, v2, v7, s8
	v_add3_u32 v3, v3, v6, s8
	;; [unrolled: 1-line block ×4, first 2 shown]
	v_perm_b32 v2, v3, v2, s9
	v_perm_b32 v3, v5, v4, s9
	ds_write_b64 v40, v[2:3]
	s_waitcnt lgkmcnt(0)
	s_barrier
	s_and_saveexec_b64 s[8:9], s[4:5]
	s_cbranch_execz .LBB430_18
; %bb.16:
	s_load_dwordx2 s[4:5], s[0:1], 0x68
	s_lshl_b32 s0, s6, 6
	s_mul_i32 s1, s7, s2
	s_mul_hi_u32 s7, s1, s0
	s_mul_i32 s6, s1, s0
	v_lshlrev_b32_e32 v0, 10, v0
	s_lshl_b64 s[6:7], s[6:7], 1
	v_and_b32_e32 v0, 0x1800, v0
	v_lshlrev_b32_e32 v2, 5, v54
	v_and_b32_e32 v1, 16, v1
	s_waitcnt lgkmcnt(0)
	s_add_u32 s1, s4, s6
	v_or3_b32 v2, v0, v2, v1
	s_addc_u32 s4, s5, s7
	s_lshl_b32 s2, s28, 6
	s_lshl_b64 s[2:3], s[2:3], 1
	ds_read_b128 v[4:7], v2 offset:128
	ds_read_b128 v[8:11], v2
	s_add_u32 s2, s1, s2
	s_addc_u32 s3, s4, s3
	v_add_u32_e32 v3, s42, v54
	v_lshl_add_u64 v[0:1], s[2:3], 0, v[34:35]
	v_mad_u64_u32 v[12:13], s[2:3], v3, s0, 0
	v_lshl_add_u64 v[12:13], v[12:13], 1, v[0:1]
	v_add_u32_e32 v3, 4, v3
	s_waitcnt lgkmcnt(0)
	global_store_dwordx4 v[12:13], v[8:11], off
	v_cmp_ne_u32_e32 vcc, 3, v54
	s_nop 0
	v_mad_u64_u32 v[8:9], s[2:3], v3, s0, 0
	v_lshl_add_u64 v[8:9], v[8:9], 1, v[0:1]
	global_store_dwordx4 v[8:9], v[4:7], off
	s_and_b64 exec, exec, vcc
	s_cbranch_execz .LBB430_18
; %bb.17:
	ds_read_b128 v[2:5], v2 offset:256
	v_add3_u32 v6, s42, v54, 8
	v_mad_u64_u32 v[6:7], s[0:1], v6, s0, 0
	v_lshl_add_u64 v[0:1], v[6:7], 1, v[0:1]
	s_waitcnt lgkmcnt(0)
	global_store_dwordx4 v[0:1], v[2:5], off
.LBB430_18:
	s_endpgm
	.section	.rodata,"a",@progbits
	.p2align	6, 0x0
	.amdhsa_kernel _Z39paged_attention_ll4mi_QKV_mfma16_kernelI14__hip_bfloat16S0_LN4vllm18Fp8KVCacheDataTypeE0EhLi16ELi64ELi256ELb0ELi11EEvPKT_PKT0_S8_ifPKiSA_SA_iPKfiiiPfSD_PS3_PT2_iSC_SC_
		.amdhsa_group_segment_fixed_size 8192
		.amdhsa_private_segment_fixed_size 0
		.amdhsa_kernarg_size 400
		.amdhsa_user_sgpr_count 2
		.amdhsa_user_sgpr_dispatch_ptr 0
		.amdhsa_user_sgpr_queue_ptr 0
		.amdhsa_user_sgpr_kernarg_segment_ptr 1
		.amdhsa_user_sgpr_dispatch_id 0
		.amdhsa_user_sgpr_kernarg_preload_length 0
		.amdhsa_user_sgpr_kernarg_preload_offset 0
		.amdhsa_user_sgpr_private_segment_size 0
		.amdhsa_uses_dynamic_stack 0
		.amdhsa_enable_private_segment 0
		.amdhsa_system_sgpr_workgroup_id_x 1
		.amdhsa_system_sgpr_workgroup_id_y 1
		.amdhsa_system_sgpr_workgroup_id_z 1
		.amdhsa_system_sgpr_workgroup_info 0
		.amdhsa_system_vgpr_workitem_id 0
		.amdhsa_next_free_vgpr 69
		.amdhsa_next_free_sgpr 48
		.amdhsa_accum_offset 72
		.amdhsa_reserve_vcc 1
		.amdhsa_float_round_mode_32 0
		.amdhsa_float_round_mode_16_64 0
		.amdhsa_float_denorm_mode_32 3
		.amdhsa_float_denorm_mode_16_64 3
		.amdhsa_dx10_clamp 1
		.amdhsa_ieee_mode 1
		.amdhsa_fp16_overflow 0
		.amdhsa_tg_split 0
		.amdhsa_exception_fp_ieee_invalid_op 0
		.amdhsa_exception_fp_denorm_src 0
		.amdhsa_exception_fp_ieee_div_zero 0
		.amdhsa_exception_fp_ieee_overflow 0
		.amdhsa_exception_fp_ieee_underflow 0
		.amdhsa_exception_fp_ieee_inexact 0
		.amdhsa_exception_int_div_zero 0
	.end_amdhsa_kernel
	.section	.text._Z39paged_attention_ll4mi_QKV_mfma16_kernelI14__hip_bfloat16S0_LN4vllm18Fp8KVCacheDataTypeE0EhLi16ELi64ELi256ELb0ELi11EEvPKT_PKT0_S8_ifPKiSA_SA_iPKfiiiPfSD_PS3_PT2_iSC_SC_,"axG",@progbits,_Z39paged_attention_ll4mi_QKV_mfma16_kernelI14__hip_bfloat16S0_LN4vllm18Fp8KVCacheDataTypeE0EhLi16ELi64ELi256ELb0ELi11EEvPKT_PKT0_S8_ifPKiSA_SA_iPKfiiiPfSD_PS3_PT2_iSC_SC_,comdat
.Lfunc_end430:
	.size	_Z39paged_attention_ll4mi_QKV_mfma16_kernelI14__hip_bfloat16S0_LN4vllm18Fp8KVCacheDataTypeE0EhLi16ELi64ELi256ELb0ELi11EEvPKT_PKT0_S8_ifPKiSA_SA_iPKfiiiPfSD_PS3_PT2_iSC_SC_, .Lfunc_end430-_Z39paged_attention_ll4mi_QKV_mfma16_kernelI14__hip_bfloat16S0_LN4vllm18Fp8KVCacheDataTypeE0EhLi16ELi64ELi256ELb0ELi11EEvPKT_PKT0_S8_ifPKiSA_SA_iPKfiiiPfSD_PS3_PT2_iSC_SC_
                                        ; -- End function
	.section	.AMDGPU.csdata,"",@progbits
; Kernel info:
; codeLenInByte = 4072
; NumSgprs: 54
; NumVgprs: 69
; NumAgprs: 0
; TotalNumVgprs: 69
; ScratchSize: 0
; MemoryBound: 0
; FloatMode: 240
; IeeeMode: 1
; LDSByteSize: 8192 bytes/workgroup (compile time only)
; SGPRBlocks: 6
; VGPRBlocks: 8
; NumSGPRsForWavesPerEU: 54
; NumVGPRsForWavesPerEU: 69
; AccumOffset: 72
; Occupancy: 7
; WaveLimiterHint : 1
; COMPUTE_PGM_RSRC2:SCRATCH_EN: 0
; COMPUTE_PGM_RSRC2:USER_SGPR: 2
; COMPUTE_PGM_RSRC2:TRAP_HANDLER: 0
; COMPUTE_PGM_RSRC2:TGID_X_EN: 1
; COMPUTE_PGM_RSRC2:TGID_Y_EN: 1
; COMPUTE_PGM_RSRC2:TGID_Z_EN: 1
; COMPUTE_PGM_RSRC2:TIDIG_COMP_CNT: 0
; COMPUTE_PGM_RSRC3_GFX90A:ACCUM_OFFSET: 17
; COMPUTE_PGM_RSRC3_GFX90A:TG_SPLIT: 0
	.section	.text._Z39paged_attention_ll4mi_QKV_mfma16_kernelI14__hip_bfloat16S0_LN4vllm18Fp8KVCacheDataTypeE0EhLi16ELi64ELi256ELb0ELi12EEvPKT_PKT0_S8_ifPKiSA_SA_iPKfiiiPfSD_PS3_PT2_iSC_SC_,"axG",@progbits,_Z39paged_attention_ll4mi_QKV_mfma16_kernelI14__hip_bfloat16S0_LN4vllm18Fp8KVCacheDataTypeE0EhLi16ELi64ELi256ELb0ELi12EEvPKT_PKT0_S8_ifPKiSA_SA_iPKfiiiPfSD_PS3_PT2_iSC_SC_,comdat
	.protected	_Z39paged_attention_ll4mi_QKV_mfma16_kernelI14__hip_bfloat16S0_LN4vllm18Fp8KVCacheDataTypeE0EhLi16ELi64ELi256ELb0ELi12EEvPKT_PKT0_S8_ifPKiSA_SA_iPKfiiiPfSD_PS3_PT2_iSC_SC_ ; -- Begin function _Z39paged_attention_ll4mi_QKV_mfma16_kernelI14__hip_bfloat16S0_LN4vllm18Fp8KVCacheDataTypeE0EhLi16ELi64ELi256ELb0ELi12EEvPKT_PKT0_S8_ifPKiSA_SA_iPKfiiiPfSD_PS3_PT2_iSC_SC_
	.globl	_Z39paged_attention_ll4mi_QKV_mfma16_kernelI14__hip_bfloat16S0_LN4vllm18Fp8KVCacheDataTypeE0EhLi16ELi64ELi256ELb0ELi12EEvPKT_PKT0_S8_ifPKiSA_SA_iPKfiiiPfSD_PS3_PT2_iSC_SC_
	.p2align	8
	.type	_Z39paged_attention_ll4mi_QKV_mfma16_kernelI14__hip_bfloat16S0_LN4vllm18Fp8KVCacheDataTypeE0EhLi16ELi64ELi256ELb0ELi12EEvPKT_PKT0_S8_ifPKiSA_SA_iPKfiiiPfSD_PS3_PT2_iSC_SC_,@function
_Z39paged_attention_ll4mi_QKV_mfma16_kernelI14__hip_bfloat16S0_LN4vllm18Fp8KVCacheDataTypeE0EhLi16ELi64ELi256ELb0ELi12EEvPKT_PKT0_S8_ifPKiSA_SA_iPKfiiiPfSD_PS3_PT2_iSC_SC_: ; @_Z39paged_attention_ll4mi_QKV_mfma16_kernelI14__hip_bfloat16S0_LN4vllm18Fp8KVCacheDataTypeE0EhLi16ELi64ELi256ELb0ELi12EEvPKT_PKT0_S8_ifPKiSA_SA_iPKfiiiPfSD_PS3_PT2_iSC_SC_
; %bb.0:
	s_load_dwordx2 s[12:13], s[0:1], 0x30
	s_mov_b32 s28, s3
	s_mov_b64 s[6:7], 0
	s_waitcnt lgkmcnt(0)
	s_cmp_lg_u64 s[12:13], 0
	s_cselect_b64 s[14:15], -1, 0
	s_and_b64 vcc, exec, s[14:15]
	s_cbranch_vccz .LBB431_7
; %bb.1:
	s_add_i32 s8, s2, 1
	s_mov_b32 s9, 0
	s_lshl_b64 s[10:11], s[8:9], 2
	s_add_u32 s10, s12, s10
	s_mov_b32 s3, s9
	s_addc_u32 s11, s13, s11
	s_lshl_b64 s[8:9], s[2:3], 2
	s_add_u32 s8, s12, s8
	s_addc_u32 s9, s13, s9
	s_load_dword s5, s[10:11], 0x0
	s_load_dword s16, s[8:9], 0x0
	s_waitcnt lgkmcnt(0)
	s_sub_i32 s5, s5, s16
	s_cmp_eq_u32 s5, 1
	s_cselect_b64 s[8:9], -1, 0
	s_andn2_b64 vcc, exec, s[6:7]
	s_cbranch_vccnz .LBB431_3
.LBB431_2:
	s_mov_b32 s3, 0
	s_mov_b64 s[8:9], -1
.LBB431_3:
	s_andn2_b64 vcc, exec, s[8:9]
	s_cbranch_vccnz .LBB431_17
; %bb.4:
	s_load_dwordx2 s[6:7], s[0:1], 0x28
	s_lshl_b64 s[16:17], s[2:3], 2
	s_waitcnt lgkmcnt(0)
	s_add_u32 s6, s6, s16
	s_addc_u32 s7, s7, s17
	s_load_dword s33, s[6:7], 0x0
	s_lshl_b32 s18, s28, 8
	s_waitcnt lgkmcnt(0)
	s_cmp_ge_i32 s18, s33
	s_cbranch_scc1 .LBB431_17
; %bb.5:
	s_load_dwordx2 s[6:7], s[0:1], 0x20
	s_load_dword s5, s[0:1], 0x38
	s_add_i32 s8, s33, 15
	s_ashr_i32 s9, s8, 31
	v_and_b32_e32 v1, 0xcf, v0
	s_lshr_b32 s9, s9, 28
	v_add_u32_e32 v1, s18, v1
	s_add_i32 s8, s8, s9
	v_ashrrev_i32_e32 v2, 31, v1
	s_ashr_i32 s19, s8, 4
	v_lshrrev_b32_e32 v6, 28, v2
	s_add_i32 s19, s19, -1
	s_waitcnt lgkmcnt(0)
	s_mul_i32 s8, s2, s5
	s_mov_b32 s9, 0
	v_add_u32_e32 v2, v1, v6
	s_lshl_b64 s[8:9], s[8:9], 2
	v_ashrrev_i32_e32 v2, 4, v2
	v_mov_b32_e32 v7, s19
	v_cmp_gt_i32_e32 vcc, s33, v1
	s_add_u32 s6, s6, s8
	s_addc_u32 s7, s7, s9
	v_cndmask_b32_e32 v2, v7, v2, vcc
	v_ashrrev_i32_e32 v3, 31, v2
	v_lshl_add_u64 v[4:5], v[2:3], 2, s[6:7]
	v_or_b32_e32 v2, 16, v1
	v_add_u32_e32 v3, v2, v6
	v_ashrrev_i32_e32 v3, 4, v3
	v_cmp_gt_i32_e32 vcc, s33, v2
	s_load_dwordx4 s[8:11], s[0:1], 0x8
	s_nop 0
	v_cndmask_b32_e32 v2, v7, v3, vcc
	v_ashrrev_i32_e32 v3, 31, v2
	v_lshl_add_u64 v[8:9], v[2:3], 2, s[6:7]
	v_or_b32_e32 v2, 32, v1
	v_add_u32_e32 v3, v2, v6
	v_ashrrev_i32_e32 v3, 4, v3
	v_cmp_gt_i32_e32 vcc, s33, v2
	v_or_b32_e32 v1, 48, v1
	s_nop 0
	v_cndmask_b32_e32 v2, v7, v3, vcc
	v_ashrrev_i32_e32 v3, 31, v2
	v_lshl_add_u64 v[12:13], v[2:3], 2, s[6:7]
	v_add_u32_e32 v2, v1, v6
	v_ashrrev_i32_e32 v2, 4, v2
	v_cmp_gt_i32_e32 vcc, s33, v1
	s_nop 1
	v_cndmask_b32_e32 v2, v7, v2, vcc
	v_ashrrev_i32_e32 v3, 31, v2
	v_lshl_add_u64 v[14:15], v[2:3], 2, s[6:7]
	global_load_dword v2, v[4:5], off
	global_load_dword v6, v[8:9], off
	;; [unrolled: 1-line block ×4, first 2 shown]
	s_andn2_b64 vcc, exec, s[14:15]
	s_cbranch_vccnz .LBB431_8
; %bb.6:
	s_add_u32 s12, s12, s16
	s_addc_u32 s13, s13, s17
	s_load_dword s5, s[12:13], 0x0
	s_branch .LBB431_9
.LBB431_7:
	s_mov_b64 s[8:9], 0
	s_branch .LBB431_2
.LBB431_8:
	s_mov_b32 s5, s2
.LBB431_9:
	s_load_dwordx4 s[44:47], s[0:1], 0x48
	v_and_b32_e32 v36, 15, v0
	s_movk_i32 s12, 0xc0
	v_lshlrev_b32_e32 v3, 3, v36
	v_cmp_gt_u32_e32 vcc, s12, v0
	v_cmp_gt_u32_e64 s[30:31], 8, v36
	v_lshrrev_b32_e32 v37, 6, v0
	v_and_b32_e32 v55, 63, v0
	v_bfe_u32 v1, v0, 4, 2
	s_mul_i32 s42, s4, 12
	s_and_b64 s[14:15], vcc, s[30:31]
	v_lshlrev_b32_e32 v34, 1, v3
	s_and_saveexec_b64 s[12:13], s[14:15]
	s_cbranch_execz .LBB431_11
; %bb.10:
	s_load_dwordx2 s[14:15], s[0:1], 0x0
	s_waitcnt lgkmcnt(0)
	s_ashr_i32 s16, s44, 31
	s_mul_hi_u32 s17, s5, s44
	s_mul_i32 s16, s5, s16
	s_add_i32 s17, s17, s16
	s_mul_i32 s16, s5, s44
	v_lshl_or_b32 v3, v37, 2, v1
	s_lshl_b64 s[16:17], s[16:17], 1
	s_add_u32 s14, s14, s16
	v_add_lshl_u32 v4, v3, s42, 6
	s_addc_u32 s15, s15, s17
	v_ashrrev_i32_e32 v5, 31, v4
	v_lshl_add_u64 v[4:5], v[4:5], 1, s[14:15]
	v_mov_b32_e32 v35, 0
	v_lshl_add_u64 v[4:5], v[4:5], 0, v[34:35]
	global_load_dwordx4 v[12:15], v[4:5], off
	v_and_b32_e32 v4, 3, v0
	v_lshlrev_b32_e32 v5, 9, v36
	v_lshlrev_b32_e32 v3, 5, v3
	;; [unrolled: 1-line block ×3, first 2 shown]
	v_and_b32_e32 v5, 0x1800, v5
	v_or3_b32 v3, v5, v4, v3
	s_waitcnt vmcnt(0)
	ds_write_b128 v3, v[12:15]
.LBB431_11:
	s_or_b64 exec, exec, s[12:13]
	s_waitcnt lgkmcnt(0)
	s_mul_i32 s4, s4, s46
	s_mov_b32 s5, 0
	s_lshl_b64 s[4:5], s[4:5], 1
	s_add_u32 s8, s8, s4
	v_lshlrev_b32_e32 v54, 4, v0
	s_addc_u32 s9, s9, s5
	v_and_b32_e32 v30, 0xf0, v54
	v_mov_b32_e32 v31, 0
	v_lshl_add_u64 v[18:19], s[8:9], 0, v[30:31]
	s_waitcnt vmcnt(3)
	v_mad_i64_i32 v[2:3], s[8:9], v2, s45, 0
	v_lshl_add_u64 v[2:3], v[2:3], 1, v[18:19]
	v_and_b32_e32 v30, 0x300, v54
	v_lshl_add_u64 v[14:15], v[2:3], 0, v[30:31]
	s_load_dword s29, s[0:1], 0x98
	s_load_dword s12, s[0:1], 0x1c
	s_waitcnt lgkmcnt(0)
	s_barrier
	global_load_dwordx4 v[2:5], v[14:15], off
	global_load_dwordx4 v[26:29], v[14:15], off offset:1024
	s_waitcnt vmcnt(3)
	v_mad_i64_i32 v[10:11], s[8:9], v10, s45, 0
	v_lshl_add_u64 v[10:11], v[10:11], 1, v[18:19]
	v_lshl_add_u64 v[38:39], v[10:11], 0, v[30:31]
	global_load_dwordx4 v[10:13], v[38:39], off
	global_load_dwordx4 v[56:59], v[38:39], off offset:1024
	v_mad_i64_i32 v[6:7], s[8:9], v6, s45, 0
	v_lshl_add_u64 v[6:7], v[6:7], 1, v[18:19]
	v_lshl_add_u64 v[32:33], v[6:7], 0, v[30:31]
	global_load_dwordx4 v[6:9], v[32:33], off
	global_load_dwordx4 v[46:49], v[32:33], off offset:1024
	s_waitcnt vmcnt(6)
	v_mad_i64_i32 v[16:17], s[8:9], v16, s45, 0
	v_lshl_add_u64 v[16:17], v[16:17], 1, v[18:19]
	v_lshl_add_u64 v[40:41], v[16:17], 0, v[30:31]
	global_load_dwordx4 v[18:21], v[40:41], off
	v_add_u32_e32 v16, -12, v36
	v_cmp_gt_u32_e32 vcc, 12, v36
	global_load_dwordx4 v[38:41], v[40:41], off offset:1024
	v_and_or_b32 v30, v0, 48, s18
	v_cndmask_b32_e32 v16, v16, v36, vcc
	v_lshlrev_b32_e32 v16, 5, v16
	v_lshl_add_u32 v16, v1, 9, v16
	ds_read_b128 v[22:25], v16
	v_mov_b32_e32 v68, s19
	v_cmp_gt_i32_e32 vcc, s33, v30
	v_or_b32_e32 v32, 64, v30
	ds_read_b128 v[14:17], v16 offset:2048
	v_lshlrev_b32_e32 v35, 5, v36
	s_add_u32 s4, s10, s4
	s_addc_u32 s5, s11, s5
	s_mov_b32 s43, 0xff7fffff
	s_waitcnt vmcnt(7) lgkmcnt(1)
	v_mfma_f32_16x16x16_bf16 v[42:45], v[2:3], v[22:23], 0
	v_ashrrev_i32_e32 v2, 4, v30
	v_cndmask_b32_e32 v2, v68, v2, vcc
	v_ashrrev_i32_e32 v3, 31, v2
	s_waitcnt vmcnt(5)
	v_mfma_f32_16x16x16_bf16 v[60:63], v[10:11], v[22:23], 0
	v_lshl_add_u64 v[10:11], v[2:3], 2, s[6:7]
	v_cmp_gt_i32_e32 vcc, s33, v32
	v_mfma_f32_16x16x16_bf16 v[2:5], v[4:5], v[24:25], v[42:45]
	s_nop 2
	global_load_dword v42, v[10:11], off
	s_waitcnt vmcnt(4)
	v_mfma_f32_16x16x16_bf16 v[50:53], v[6:7], v[22:23], 0
	v_ashrrev_i32_e32 v6, 4, v32
	v_cndmask_b32_e32 v6, v68, v6, vcc
	v_ashrrev_i32_e32 v7, 31, v6
	v_lshl_add_u64 v[10:11], v[6:7], 2, s[6:7]
	global_load_dword v43, v[10:11], off
	s_waitcnt vmcnt(3)
	v_mfma_f32_16x16x16_bf16 v[64:67], v[18:19], v[22:23], 0
	v_or_b32_e32 v22, 0x80, v30
	v_or_b32_e32 v23, 0xc0, v30
	v_ashrrev_i32_e32 v30, 4, v22
	v_cmp_gt_i32_e32 vcc, s33, v22
	v_ashrrev_i32_e32 v32, 4, v23
	v_mfma_f32_16x16x16_bf16 v[6:9], v[8:9], v[24:25], v[50:53]
	v_cndmask_b32_e32 v22, v68, v30, vcc
	v_cmp_gt_i32_e32 vcc, s33, v23
	v_ashrrev_i32_e32 v23, 31, v22
	v_mfma_f32_16x16x16_bf16 v[10:13], v[12:13], v[24:25], v[60:63]
	v_lshl_or_b32 v30, v37, 9, v35
	v_mfma_f32_16x16x16_bf16 v[18:21], v[20:21], v[24:25], v[64:67]
	v_cndmask_b32_e32 v24, v68, v32, vcc
	v_ashrrev_i32_e32 v25, 31, v24
	v_lshl_add_u64 v[32:33], v[24:25], 2, s[6:7]
	s_waitcnt lgkmcnt(0)
	v_mfma_f32_16x16x16_bf16 v[2:5], v[26:27], v[14:15], v[2:5]
	v_lshl_add_u64 v[26:27], v[22:23], 2, s[6:7]
	global_load_dword v60, v[26:27], off
	global_load_dword v61, v[32:33], off
	v_mfma_f32_16x16x16_bf16 v[6:9], v[46:47], v[14:15], v[6:9]
	v_mfma_f32_16x16x16_bf16 v[22:25], v[56:57], v[14:15], v[10:13]
	s_waitcnt vmcnt(4)
	v_mfma_f32_16x16x16_bf16 v[18:21], v[38:39], v[14:15], v[18:21]
	s_nop 0
	v_lshl_add_u64 v[10:11], s[4:5], 0, v[30:31]
	s_waitcnt vmcnt(3)
	v_mad_i64_i32 v[26:27], s[4:5], v42, s45, 0
	v_mfma_f32_16x16x16_bf16 v[12:15], v[28:29], v[16:17], v[2:5]
	v_lshl_add_u64 v[30:31], v[26:27], 1, v[10:11]
	s_waitcnt vmcnt(2)
	v_mad_i64_i32 v[32:33], s[4:5], v43, s45, 0
	v_mfma_f32_16x16x16_bf16 v[26:29], v[48:49], v[16:17], v[6:9]
	s_nop 2
	v_pk_mul_f32 v[50:51], s[12:13], v[14:15] op_sel_hi:[0,1]
	v_pk_mul_f32 v[12:13], s[12:13], v[12:13] op_sel_hi:[0,1]
	v_lshl_add_u64 v[56:57], v[32:33], 1, v[10:11]
	v_mfma_f32_16x16x16_bf16 v[22:25], v[58:59], v[16:17], v[22:25]
	global_load_dwordx4 v[6:9], v[30:31], off
	global_load_dwordx4 v[2:5], v[30:31], off offset:16
	v_pk_mul_f32 v[42:43], s[12:13], v[26:27] op_sel_hi:[0,1]
	v_pk_mul_f32 v[52:53], s[12:13], v[28:29] op_sel_hi:[0,1]
	v_mfma_f32_16x16x16_bf16 v[14:17], v[40:41], v[16:17], v[18:21]
	s_nop 1
	v_pk_mul_f32 v[46:47], s[12:13], v[22:23] op_sel_hi:[0,1]
	v_pk_mul_f32 v[48:49], s[12:13], v[24:25] op_sel_hi:[0,1]
	global_load_dwordx4 v[30:33], v[56:57], off
	global_load_dwordx4 v[26:29], v[56:57], off offset:16
	s_nop 0
	v_pk_mul_f32 v[44:45], s[12:13], v[14:15] op_sel_hi:[0,1]
	v_and_b32_e32 v14, 0xc0, v0
	v_add_u32_e32 v14, s18, v14
	v_lshl_or_b32 v14, v1, 2, v14
	v_pk_mul_f32 v[38:39], s[12:13], v[16:17] op_sel_hi:[0,1]
	v_or_b32_e32 v17, 1, v14
	v_mov_b32_e32 v15, 0xff7fffff
	v_cmp_gt_i32_e64 s[4:5], s33, v14
	v_cmp_gt_i32_e64 s[34:35], s33, v17
	v_or_b32_e32 v18, 3, v14
	v_cndmask_b32_e64 v16, v15, v12, s[4:5]
	v_cndmask_b32_e64 v17, v15, v13, s[34:35]
	v_max3_f32 v16, v16, s43, v17
	v_or_b32_e32 v17, 2, v14
	v_cmp_gt_i32_e64 s[36:37], s33, v17
	v_cmp_gt_i32_e64 s[38:39], s33, v18
	s_nop 0
	v_cndmask_b32_e64 v17, v15, v50, s[36:37]
	v_cndmask_b32_e64 v18, v15, v51, s[38:39]
	v_max3_f32 v16, v16, v17, v18
	v_or_b32_e32 v17, 16, v14
	v_or_b32_e32 v18, 17, v14
	v_cmp_gt_i32_e64 s[24:25], s33, v17
	v_cmp_gt_i32_e64 s[26:27], s33, v18
	s_nop 0
	v_cndmask_b32_e64 v17, v15, v42, s[24:25]
	v_cndmask_b32_e64 v18, v15, v43, s[26:27]
	v_max3_f32 v16, v16, v17, v18
	v_or_b32_e32 v17, 18, v14
	;; [unrolled: 8-line block ×6, first 2 shown]
	v_or_b32_e32 v14, 51, v14
	v_cmp_gt_i32_e32 vcc, s33, v17
	v_cmp_gt_i32_e64 s[6:7], s33, v14
	s_nop 0
	v_cndmask_b32_e32 v17, v15, v38, vcc
	v_cndmask_b32_e64 v14, v15, v39, s[6:7]
	v_max3_f32 v16, v16, v17, v14
	v_mbcnt_lo_u32_b32 v14, -1, 0
	v_mbcnt_hi_u32_b32 v17, -1, v14
	v_and_b32_e32 v14, 64, v17
	v_add_u32_e32 v18, 64, v14
	v_xor_b32_e32 v14, 32, v17
	v_cmp_lt_i32_e64 s[40:41], v14, v18
	s_nop 1
	v_cndmask_b32_e64 v14, v17, v14, s[40:41]
	v_lshlrev_b32_e32 v58, 2, v14
	ds_bpermute_b32 v19, v58, v16
	s_waitcnt vmcnt(5)
	v_mad_i64_i32 v[14:15], s[40:41], v60, s45, 0
	v_lshl_add_u64 v[14:15], v[14:15], 1, v[10:11]
	s_waitcnt lgkmcnt(0)
	v_max_f32_e32 v19, v19, v19
	v_max_f32_e32 v16, v16, v19
	v_xor_b32_e32 v19, 16, v17
	v_cmp_lt_i32_e64 s[40:41], v19, v18
	s_nop 1
	v_cndmask_b32_e64 v17, v17, v19, s[40:41]
	v_lshlrev_b32_e32 v57, 2, v17
	ds_bpermute_b32 v17, v57, v16
	global_load_dwordx4 v[22:25], v[14:15], off
	global_load_dwordx4 v[18:21], v[14:15], off offset:16
	s_waitcnt vmcnt(6)
	v_mad_i64_i32 v[14:15], s[40:41], v61, s45, 0
	v_lshl_add_u64 v[10:11], v[14:15], 1, v[10:11]
	s_waitcnt lgkmcnt(0)
	v_max_f32_e32 v14, v17, v17
	v_max_f32_e32 v56, v16, v14
	v_sub_f32_e32 v12, v12, v56
	v_mul_f32_e32 v12, 0x3fb8aa3b, v12
	v_exp_f32_e32 v40, v12
	v_sub_f32_e32 v12, v13, v56
	v_mul_f32_e32 v12, 0x3fb8aa3b, v12
	v_exp_f32_e32 v41, v12
	global_load_dwordx4 v[14:17], v[10:11], off
	s_nop 0
	global_load_dwordx4 v[10:13], v[10:11], off offset:16
	v_sub_f32_e32 v50, v50, v56
	v_mul_f32_e32 v50, 0x3fb8aa3b, v50
	v_sub_f32_e32 v51, v51, v56
	v_exp_f32_e32 v50, v50
	v_mul_f32_e32 v51, 0x3fb8aa3b, v51
	v_sub_f32_e32 v42, v42, v56
	v_exp_f32_e32 v51, v51
	v_mul_f32_e32 v42, 0x3fb8aa3b, v42
	v_sub_f32_e32 v43, v43, v56
	v_cndmask_b32_e64 v40, 0, v40, s[4:5]
	v_exp_f32_e32 v42, v42
	v_mul_f32_e32 v43, 0x3fb8aa3b, v43
	v_sub_f32_e32 v52, v52, v56
	v_add_f32_e32 v59, 0, v40
	v_cndmask_b32_e64 v41, 0, v41, s[34:35]
	v_exp_f32_e32 v43, v43
	v_mul_f32_e32 v52, 0x3fb8aa3b, v52
	v_sub_f32_e32 v53, v53, v56
	v_add_f32_e32 v59, v59, v41
	;; [unrolled: 5-line block ×10, first 2 shown]
	v_cndmask_b32_e64 v48, 0, v48, s[12:13]
	v_exp_f32_e32 v38, v38
	v_mul_f32_e32 v39, 0x3fb8aa3b, v39
	v_add_f32_e32 v59, v59, v48
	v_cndmask_b32_e64 v49, 0, v49, s[14:15]
	v_exp_f32_e32 v39, v39
	v_add_f32_e32 v59, v59, v49
	v_cndmask_b32_e64 v44, 0, v44, s[8:9]
	v_add_f32_e32 v59, v59, v44
	v_cndmask_b32_e64 v45, 0, v45, s[10:11]
	v_add_f32_e32 v59, v59, v45
	v_cndmask_b32_e32 v38, 0, v38, vcc
	v_add_f32_e32 v59, v59, v38
	v_cndmask_b32_e64 v39, 0, v39, s[6:7]
	v_add_f32_e32 v59, v59, v39
	ds_bpermute_b32 v58, v58, v59
	v_cmp_gt_u32_e32 vcc, 16, v55
	s_waitcnt lgkmcnt(0)
	s_barrier
	v_add_f32_e32 v58, v59, v58
	ds_bpermute_b32 v59, v57, v58
	v_lshlrev_b32_e32 v57, 2, v36
	s_and_saveexec_b64 s[4:5], vcc
	s_cbranch_execz .LBB431_13
; %bb.12:
	s_waitcnt lgkmcnt(0)
	v_add_f32_e32 v55, v58, v59
	v_lshl_or_b32 v58, v37, 6, v57
	ds_write2st64_b32 v58, v56, v55 offset1:1
.LBB431_13:
	s_or_b64 exec, exec, s[4:5]
	s_load_dword s6, s[0:1], 0x94
	s_waitcnt lgkmcnt(0)
	s_barrier
	ds_read2_b32 v[58:59], v57 offset1:16
	ds_read2_b32 v[60:61], v57 offset0:32 offset1:48
	ds_read2_b32 v[62:63], v57 offset0:64 offset1:80
	s_movk_i32 s8, 0x7fff
	s_mov_b32 s9, 0x7060302
	s_waitcnt lgkmcnt(2)
	v_max3_f32 v55, v58, s43, v59
	s_waitcnt lgkmcnt(1)
	v_max3_f32 v55, v55, v60, v61
	v_sub_f32_e32 v56, v58, v55
	v_mul_f32_e32 v56, 0x3fb8aa3b, v56
	v_exp_f32_e32 v64, v56
	v_sub_f32_e32 v56, v59, v55
	v_mul_f32_e32 v56, 0x3fb8aa3b, v56
	v_exp_f32_e32 v65, v56
	;; [unrolled: 3-line block ×3, first 2 shown]
	ds_read2_b32 v[58:59], v57 offset0:96 offset1:112
	v_sub_f32_e32 v56, v61, v55
	v_mul_f32_e32 v56, 0x3fb8aa3b, v56
	v_exp_f32_e32 v57, v56
	s_waitcnt lgkmcnt(1)
	v_fma_f32 v56, v64, v62, 0
	v_fmac_f32_e32 v56, v65, v63
	s_waitcnt lgkmcnt(0)
	v_fmac_f32_e32 v56, v60, v58
	v_fmac_f32_e32 v56, v57, v59
	v_add_f32_e32 v58, 0x358637bd, v56
	v_div_scale_f32 v59, s[4:5], v58, v58, 1.0
	v_rcp_f32_e32 v61, v59
	s_barrier
	v_fma_f32 v62, -v59, v61, 1.0
	v_fmac_f32_e32 v61, v62, v61
	v_div_scale_f32 v62, vcc, 1.0, v58, 1.0
	v_mul_f32_e32 v63, v62, v61
	v_fma_f32 v66, -v59, v63, v62
	v_fmac_f32_e32 v63, v66, v61
	v_fma_f32 v59, -v59, v63, v62
	v_div_fmas_f32 v59, v59, v61, v63
	v_cmp_eq_u32_e32 vcc, 1, v37
	v_div_fixup_f32 v58, v59, v58, 1.0
	s_mul_i32 s7, s29, 12
	v_cndmask_b32_e32 v59, v64, v65, vcc
	v_cmp_eq_u32_e32 vcc, 2, v37
	s_nop 1
	v_cndmask_b32_e32 v59, v59, v60, vcc
	v_cmp_eq_u32_e32 vcc, 3, v37
	v_lshlrev_b32_e32 v37, 11, v37
	s_nop 0
	v_cndmask_b32_e32 v57, v59, v57, vcc
	v_mul_f32_e32 v58, v57, v58
	v_pk_mul_f32 v[40:41], v[58:59], v[40:41] op_sel_hi:[0,1]
	v_pk_mul_f32 v[50:51], v[58:59], v[50:51] op_sel_hi:[0,1]
	v_bfe_u32 v57, v41, 16, 1
	v_bfe_u32 v59, v40, 16, 1
	v_add3_u32 v40, v40, v59, s8
	v_add3_u32 v41, v41, v57, s8
	v_perm_b32 v60, v41, v40, s9
	v_bfe_u32 v40, v51, 16, 1
	v_bfe_u32 v41, v50, 16, 1
	v_add3_u32 v41, v50, v41, s8
	v_add3_u32 v40, v51, v40, s8
	v_perm_b32 v61, v40, v41, s9
	v_lshlrev_b32_e32 v40, 3, v1
	v_pk_mul_f32 v[42:43], v[58:59], v[42:43] op_sel_hi:[0,1]
	v_or3_b32 v40, v37, v35, v40
	v_bfe_u32 v37, v43, 16, 1
	v_bfe_u32 v41, v42, 16, 1
	v_pk_mul_f32 v[50:51], v[58:59], v[52:53] op_sel_hi:[0,1]
	v_add3_u32 v41, v42, v41, s8
	v_add3_u32 v37, v43, v37, s8
	v_perm_b32 v42, v37, v41, s9
	v_bfe_u32 v37, v51, 16, 1
	v_bfe_u32 v41, v50, 16, 1
	v_add3_u32 v41, v50, v41, s8
	v_add3_u32 v37, v51, v37, s8
	v_pk_mul_f32 v[46:47], v[58:59], v[46:47] op_sel_hi:[0,1]
	v_perm_b32 v43, v37, v41, s9
	v_bfe_u32 v37, v47, 16, 1
	v_bfe_u32 v41, v46, 16, 1
	ds_write2st64_b64 v40, v[60:61], v[42:43] offset1:1
	v_pk_mul_f32 v[42:43], v[58:59], v[48:49] op_sel_hi:[0,1]
	v_add3_u32 v41, v46, v41, s8
	v_add3_u32 v37, v47, v37, s8
	v_perm_b32 v46, v37, v41, s9
	v_bfe_u32 v37, v43, 16, 1
	v_bfe_u32 v41, v42, 16, 1
	v_add3_u32 v41, v42, v41, s8
	v_add3_u32 v37, v43, v37, s8
	v_pk_mul_f32 v[42:43], v[58:59], v[44:45] op_sel_hi:[0,1]
	v_perm_b32 v47, v37, v41, s9
	v_bfe_u32 v37, v43, 16, 1
	v_bfe_u32 v41, v42, 16, 1
	v_pk_mul_f32 v[38:39], v[58:59], v[38:39] op_sel_hi:[0,1]
	v_add3_u32 v41, v42, v41, s8
	v_add3_u32 v37, v43, v37, s8
	v_perm_b32 v42, v37, v41, s9
	v_bfe_u32 v37, v39, 16, 1
	v_bfe_u32 v41, v38, 16, 1
	v_add3_u32 v38, v38, v41, s8
	v_add3_u32 v37, v39, v37, s8
	v_perm_b32 v43, v37, v38, s9
	v_cmp_gt_u32_e32 vcc, 12, v0
	ds_write2st64_b64 v40, v[46:47], v[42:43] offset0:2 offset1:3
	s_and_saveexec_b64 s[4:5], vcc
	s_cbranch_execz .LBB431_15
; %bb.14:
	s_mov_b32 s43, 0
	v_mov_b32_e32 v37, 0
	v_lshl_add_u64 v[38:39], s[42:43], 0, v[36:37]
	v_mov_b32_e32 v36, s7
	v_mad_u64_u32 v[38:39], s[10:11], s2, v36, v[38:39]
	v_mov_b32_e32 v36, s28
	s_load_dwordx4 s[12:15], s[0:1], 0x58
	s_mul_i32 s3, s3, s7
	v_mad_u64_u32 v[36:37], s[10:11], v38, s6, v[36:37]
	v_add_u32_e32 v39, s3, v39
	v_mov_b32_e32 v38, v37
	v_mad_u64_u32 v[38:39], s[10:11], v39, s6, v[38:39]
	v_mov_b32_e32 v37, v38
	v_lshlrev_b64 v[36:37], 2, v[36:37]
	s_waitcnt lgkmcnt(0)
	v_lshl_add_u64 v[38:39], s[14:15], 0, v[36:37]
	v_lshl_add_u64 v[36:37], s[12:13], 0, v[36:37]
	global_store_dword v[38:39], v55, off
	global_store_dword v[36:37], v56, off
.LBB431_15:
	s_or_b64 exec, exec, s[4:5]
	v_lshl_or_b32 v35, v1, 9, v35
	s_waitcnt lgkmcnt(0)
	s_barrier
	ds_read_b128 v[36:39], v35
	ds_read_b128 v[42:45], v35 offset:16
	s_waitcnt vmcnt(7) lgkmcnt(1)
	v_mfma_f32_16x16x16_bf16 v[46:49], v[6:7], v[36:37], 0
	v_cmp_gt_u32_e32 vcc, 64, v0
	s_mov_b32 s3, 0
	s_and_b64 s[4:5], vcc, s[30:31]
	v_mfma_f32_16x16x16_bf16 v[6:9], v[8:9], v[38:39], v[46:49]
	s_waitcnt vmcnt(6) lgkmcnt(0)
	v_mfma_f32_16x16x16_bf16 v[6:9], v[2:3], v[42:43], v[6:9]
	v_mfma_f32_16x16x16_bf16 v[2:5], v[4:5], v[44:45], v[6:9]
	s_nop 5
	ds_read_b128 v[6:9], v35 offset:2048
	ds_read_b128 v[36:39], v35 offset:2064
	s_waitcnt vmcnt(5) lgkmcnt(1)
	v_mfma_f32_16x16x16_bf16 v[2:5], v[30:31], v[6:7], v[2:5]
	v_mfma_f32_16x16x16_bf16 v[2:5], v[32:33], v[8:9], v[2:5]
	s_waitcnt vmcnt(4) lgkmcnt(0)
	v_mfma_f32_16x16x16_bf16 v[2:5], v[26:27], v[36:37], v[2:5]
	v_mfma_f32_16x16x16_bf16 v[2:5], v[28:29], v[38:39], v[2:5]
	ds_read_b128 v[6:9], v35 offset:4096
	ds_read_b128 v[26:29], v35 offset:4112
	s_waitcnt vmcnt(3) lgkmcnt(1)
	v_mfma_f32_16x16x16_bf16 v[2:5], v[22:23], v[6:7], v[2:5]
	v_mfma_f32_16x16x16_bf16 v[2:5], v[24:25], v[8:9], v[2:5]
	s_waitcnt vmcnt(2) lgkmcnt(0)
	v_mfma_f32_16x16x16_bf16 v[2:5], v[18:19], v[26:27], v[2:5]
	v_mfma_f32_16x16x16_bf16 v[2:5], v[20:21], v[28:29], v[2:5]
	ds_read_b128 v[6:9], v35 offset:6144
	ds_read_b128 v[18:21], v35 offset:6160
	v_mov_b32_e32 v35, 0
	s_waitcnt vmcnt(1) lgkmcnt(0)
	v_mfma_f32_16x16x16_bf16 v[2:5], v[14:15], v[6:7], v[2:5]
	s_barrier
	v_mfma_f32_16x16x16_bf16 v[2:5], v[16:17], v[8:9], v[2:5]
	s_waitcnt vmcnt(0)
	v_mfma_f32_16x16x16_bf16 v[2:5], v[10:11], v[18:19], v[2:5]
	v_mfma_f32_16x16x16_bf16 v[2:5], v[12:13], v[20:21], v[2:5]
	s_nop 6
	v_bfe_u32 v6, v3, 16, 1
	v_bfe_u32 v7, v2, 16, 1
	;; [unrolled: 1-line block ×4, first 2 shown]
	v_add3_u32 v2, v2, v7, s8
	v_add3_u32 v3, v3, v6, s8
	;; [unrolled: 1-line block ×4, first 2 shown]
	v_perm_b32 v2, v3, v2, s9
	v_perm_b32 v3, v5, v4, s9
	ds_write_b64 v40, v[2:3]
	s_waitcnt lgkmcnt(0)
	s_barrier
	s_and_saveexec_b64 s[8:9], s[4:5]
	s_cbranch_execz .LBB431_17
; %bb.16:
	s_load_dwordx2 s[0:1], s[0:1], 0x68
	s_lshl_b32 s6, s6, 6
	s_mul_i32 s2, s7, s2
	s_mul_hi_u32 s5, s2, s6
	s_mul_i32 s4, s2, s6
	s_lshl_b64 s[4:5], s[4:5], 1
	s_waitcnt lgkmcnt(0)
	s_add_u32 s4, s0, s4
	v_lshlrev_b32_e32 v0, 10, v0
	s_addc_u32 s5, s1, s5
	s_lshl_b32 s2, s28, 6
	v_and_b32_e32 v0, 0x1800, v0
	v_lshlrev_b32_e32 v2, 5, v1
	v_and_b32_e32 v3, 16, v54
	s_lshl_b64 s[0:1], s[2:3], 1
	v_or3_b32 v0, v0, v2, v3
	s_add_u32 s0, s4, s0
	ds_read_b128 v[2:5], v0
	ds_read_b128 v[6:9], v0 offset:128
	ds_read_b128 v[10:13], v0 offset:256
	s_addc_u32 s1, s5, s1
	v_or_b32_e32 v16, s42, v1
	v_lshl_add_u64 v[0:1], s[0:1], 0, v[34:35]
	v_mad_u64_u32 v[14:15], s[0:1], v16, s6, 0
	v_lshl_add_u64 v[14:15], v[14:15], 1, v[0:1]
	s_waitcnt lgkmcnt(2)
	global_store_dwordx4 v[14:15], v[2:5], off
	s_nop 1
	v_add_u32_e32 v2, 4, v16
	v_mad_u64_u32 v[2:3], s[0:1], v2, s6, 0
	v_lshl_add_u64 v[2:3], v[2:3], 1, v[0:1]
	s_waitcnt lgkmcnt(1)
	global_store_dwordx4 v[2:3], v[6:9], off
	v_add_u32_e32 v2, 8, v16
	v_mad_u64_u32 v[2:3], s[0:1], v2, s6, 0
	v_lshl_add_u64 v[0:1], v[2:3], 1, v[0:1]
	s_waitcnt lgkmcnt(0)
	global_store_dwordx4 v[0:1], v[10:13], off
.LBB431_17:
	s_endpgm
	.section	.rodata,"a",@progbits
	.p2align	6, 0x0
	.amdhsa_kernel _Z39paged_attention_ll4mi_QKV_mfma16_kernelI14__hip_bfloat16S0_LN4vllm18Fp8KVCacheDataTypeE0EhLi16ELi64ELi256ELb0ELi12EEvPKT_PKT0_S8_ifPKiSA_SA_iPKfiiiPfSD_PS3_PT2_iSC_SC_
		.amdhsa_group_segment_fixed_size 8192
		.amdhsa_private_segment_fixed_size 0
		.amdhsa_kernarg_size 400
		.amdhsa_user_sgpr_count 2
		.amdhsa_user_sgpr_dispatch_ptr 0
		.amdhsa_user_sgpr_queue_ptr 0
		.amdhsa_user_sgpr_kernarg_segment_ptr 1
		.amdhsa_user_sgpr_dispatch_id 0
		.amdhsa_user_sgpr_kernarg_preload_length 0
		.amdhsa_user_sgpr_kernarg_preload_offset 0
		.amdhsa_user_sgpr_private_segment_size 0
		.amdhsa_uses_dynamic_stack 0
		.amdhsa_enable_private_segment 0
		.amdhsa_system_sgpr_workgroup_id_x 1
		.amdhsa_system_sgpr_workgroup_id_y 1
		.amdhsa_system_sgpr_workgroup_id_z 1
		.amdhsa_system_sgpr_workgroup_info 0
		.amdhsa_system_vgpr_workitem_id 0
		.amdhsa_next_free_vgpr 69
		.amdhsa_next_free_sgpr 48
		.amdhsa_accum_offset 72
		.amdhsa_reserve_vcc 1
		.amdhsa_float_round_mode_32 0
		.amdhsa_float_round_mode_16_64 0
		.amdhsa_float_denorm_mode_32 3
		.amdhsa_float_denorm_mode_16_64 3
		.amdhsa_dx10_clamp 1
		.amdhsa_ieee_mode 1
		.amdhsa_fp16_overflow 0
		.amdhsa_tg_split 0
		.amdhsa_exception_fp_ieee_invalid_op 0
		.amdhsa_exception_fp_denorm_src 0
		.amdhsa_exception_fp_ieee_div_zero 0
		.amdhsa_exception_fp_ieee_overflow 0
		.amdhsa_exception_fp_ieee_underflow 0
		.amdhsa_exception_fp_ieee_inexact 0
		.amdhsa_exception_int_div_zero 0
	.end_amdhsa_kernel
	.section	.text._Z39paged_attention_ll4mi_QKV_mfma16_kernelI14__hip_bfloat16S0_LN4vllm18Fp8KVCacheDataTypeE0EhLi16ELi64ELi256ELb0ELi12EEvPKT_PKT0_S8_ifPKiSA_SA_iPKfiiiPfSD_PS3_PT2_iSC_SC_,"axG",@progbits,_Z39paged_attention_ll4mi_QKV_mfma16_kernelI14__hip_bfloat16S0_LN4vllm18Fp8KVCacheDataTypeE0EhLi16ELi64ELi256ELb0ELi12EEvPKT_PKT0_S8_ifPKiSA_SA_iPKfiiiPfSD_PS3_PT2_iSC_SC_,comdat
.Lfunc_end431:
	.size	_Z39paged_attention_ll4mi_QKV_mfma16_kernelI14__hip_bfloat16S0_LN4vllm18Fp8KVCacheDataTypeE0EhLi16ELi64ELi256ELb0ELi12EEvPKT_PKT0_S8_ifPKiSA_SA_iPKfiiiPfSD_PS3_PT2_iSC_SC_, .Lfunc_end431-_Z39paged_attention_ll4mi_QKV_mfma16_kernelI14__hip_bfloat16S0_LN4vllm18Fp8KVCacheDataTypeE0EhLi16ELi64ELi256ELb0ELi12EEvPKT_PKT0_S8_ifPKiSA_SA_iPKfiiiPfSD_PS3_PT2_iSC_SC_
                                        ; -- End function
	.section	.AMDGPU.csdata,"",@progbits
; Kernel info:
; codeLenInByte = 4064
; NumSgprs: 54
; NumVgprs: 69
; NumAgprs: 0
; TotalNumVgprs: 69
; ScratchSize: 0
; MemoryBound: 0
; FloatMode: 240
; IeeeMode: 1
; LDSByteSize: 8192 bytes/workgroup (compile time only)
; SGPRBlocks: 6
; VGPRBlocks: 8
; NumSGPRsForWavesPerEU: 54
; NumVGPRsForWavesPerEU: 69
; AccumOffset: 72
; Occupancy: 7
; WaveLimiterHint : 1
; COMPUTE_PGM_RSRC2:SCRATCH_EN: 0
; COMPUTE_PGM_RSRC2:USER_SGPR: 2
; COMPUTE_PGM_RSRC2:TRAP_HANDLER: 0
; COMPUTE_PGM_RSRC2:TGID_X_EN: 1
; COMPUTE_PGM_RSRC2:TGID_Y_EN: 1
; COMPUTE_PGM_RSRC2:TGID_Z_EN: 1
; COMPUTE_PGM_RSRC2:TIDIG_COMP_CNT: 0
; COMPUTE_PGM_RSRC3_GFX90A:ACCUM_OFFSET: 17
; COMPUTE_PGM_RSRC3_GFX90A:TG_SPLIT: 0
	.section	.text._Z39paged_attention_ll4mi_QKV_mfma16_kernelI14__hip_bfloat16S0_LN4vllm18Fp8KVCacheDataTypeE0EhLi16ELi64ELi256ELb0ELi13EEvPKT_PKT0_S8_ifPKiSA_SA_iPKfiiiPfSD_PS3_PT2_iSC_SC_,"axG",@progbits,_Z39paged_attention_ll4mi_QKV_mfma16_kernelI14__hip_bfloat16S0_LN4vllm18Fp8KVCacheDataTypeE0EhLi16ELi64ELi256ELb0ELi13EEvPKT_PKT0_S8_ifPKiSA_SA_iPKfiiiPfSD_PS3_PT2_iSC_SC_,comdat
	.protected	_Z39paged_attention_ll4mi_QKV_mfma16_kernelI14__hip_bfloat16S0_LN4vllm18Fp8KVCacheDataTypeE0EhLi16ELi64ELi256ELb0ELi13EEvPKT_PKT0_S8_ifPKiSA_SA_iPKfiiiPfSD_PS3_PT2_iSC_SC_ ; -- Begin function _Z39paged_attention_ll4mi_QKV_mfma16_kernelI14__hip_bfloat16S0_LN4vllm18Fp8KVCacheDataTypeE0EhLi16ELi64ELi256ELb0ELi13EEvPKT_PKT0_S8_ifPKiSA_SA_iPKfiiiPfSD_PS3_PT2_iSC_SC_
	.globl	_Z39paged_attention_ll4mi_QKV_mfma16_kernelI14__hip_bfloat16S0_LN4vllm18Fp8KVCacheDataTypeE0EhLi16ELi64ELi256ELb0ELi13EEvPKT_PKT0_S8_ifPKiSA_SA_iPKfiiiPfSD_PS3_PT2_iSC_SC_
	.p2align	8
	.type	_Z39paged_attention_ll4mi_QKV_mfma16_kernelI14__hip_bfloat16S0_LN4vllm18Fp8KVCacheDataTypeE0EhLi16ELi64ELi256ELb0ELi13EEvPKT_PKT0_S8_ifPKiSA_SA_iPKfiiiPfSD_PS3_PT2_iSC_SC_,@function
_Z39paged_attention_ll4mi_QKV_mfma16_kernelI14__hip_bfloat16S0_LN4vllm18Fp8KVCacheDataTypeE0EhLi16ELi64ELi256ELb0ELi13EEvPKT_PKT0_S8_ifPKiSA_SA_iPKfiiiPfSD_PS3_PT2_iSC_SC_: ; @_Z39paged_attention_ll4mi_QKV_mfma16_kernelI14__hip_bfloat16S0_LN4vllm18Fp8KVCacheDataTypeE0EhLi16ELi64ELi256ELb0ELi13EEvPKT_PKT0_S8_ifPKiSA_SA_iPKfiiiPfSD_PS3_PT2_iSC_SC_
; %bb.0:
	s_load_dwordx2 s[12:13], s[0:1], 0x30
	s_mov_b32 s28, s3
	s_mov_b64 s[6:7], 0
	s_waitcnt lgkmcnt(0)
	s_cmp_lg_u64 s[12:13], 0
	s_cselect_b64 s[14:15], -1, 0
	s_and_b64 vcc, exec, s[14:15]
	s_cbranch_vccz .LBB432_7
; %bb.1:
	s_add_i32 s8, s2, 1
	s_mov_b32 s9, 0
	s_lshl_b64 s[10:11], s[8:9], 2
	s_add_u32 s10, s12, s10
	s_mov_b32 s3, s9
	s_addc_u32 s11, s13, s11
	s_lshl_b64 s[8:9], s[2:3], 2
	s_add_u32 s8, s12, s8
	s_addc_u32 s9, s13, s9
	s_load_dword s5, s[10:11], 0x0
	s_load_dword s16, s[8:9], 0x0
	s_waitcnt lgkmcnt(0)
	s_sub_i32 s5, s5, s16
	s_cmp_eq_u32 s5, 1
	s_cselect_b64 s[8:9], -1, 0
	s_andn2_b64 vcc, exec, s[6:7]
	s_cbranch_vccnz .LBB432_3
.LBB432_2:
	s_mov_b32 s3, 0
	s_mov_b64 s[8:9], -1
.LBB432_3:
	s_andn2_b64 vcc, exec, s[8:9]
	s_cbranch_vccnz .LBB432_18
; %bb.4:
	s_load_dwordx2 s[6:7], s[0:1], 0x28
	s_lshl_b64 s[16:17], s[2:3], 2
	s_waitcnt lgkmcnt(0)
	s_add_u32 s6, s6, s16
	s_addc_u32 s7, s7, s17
	s_load_dword s33, s[6:7], 0x0
	s_lshl_b32 s18, s28, 8
	s_waitcnt lgkmcnt(0)
	s_cmp_ge_i32 s18, s33
	s_cbranch_scc1 .LBB432_18
; %bb.5:
	s_load_dwordx2 s[6:7], s[0:1], 0x20
	s_load_dword s5, s[0:1], 0x38
	s_add_i32 s8, s33, 15
	s_ashr_i32 s9, s8, 31
	v_and_b32_e32 v1, 0xcf, v0
	s_lshr_b32 s9, s9, 28
	v_add_u32_e32 v1, s18, v1
	s_add_i32 s8, s8, s9
	v_ashrrev_i32_e32 v2, 31, v1
	s_ashr_i32 s19, s8, 4
	v_lshrrev_b32_e32 v6, 28, v2
	s_add_i32 s19, s19, -1
	s_waitcnt lgkmcnt(0)
	s_mul_i32 s8, s2, s5
	s_mov_b32 s9, 0
	v_add_u32_e32 v2, v1, v6
	s_lshl_b64 s[8:9], s[8:9], 2
	v_ashrrev_i32_e32 v2, 4, v2
	v_mov_b32_e32 v7, s19
	v_cmp_gt_i32_e32 vcc, s33, v1
	s_add_u32 s6, s6, s8
	s_addc_u32 s7, s7, s9
	v_cndmask_b32_e32 v2, v7, v2, vcc
	v_ashrrev_i32_e32 v3, 31, v2
	v_lshl_add_u64 v[4:5], v[2:3], 2, s[6:7]
	v_or_b32_e32 v2, 16, v1
	v_add_u32_e32 v3, v2, v6
	v_ashrrev_i32_e32 v3, 4, v3
	v_cmp_gt_i32_e32 vcc, s33, v2
	s_load_dwordx4 s[8:11], s[0:1], 0x8
	s_nop 0
	v_cndmask_b32_e32 v2, v7, v3, vcc
	v_ashrrev_i32_e32 v3, 31, v2
	v_lshl_add_u64 v[8:9], v[2:3], 2, s[6:7]
	v_or_b32_e32 v2, 32, v1
	v_add_u32_e32 v3, v2, v6
	v_ashrrev_i32_e32 v3, 4, v3
	v_cmp_gt_i32_e32 vcc, s33, v2
	v_or_b32_e32 v1, 48, v1
	s_nop 0
	v_cndmask_b32_e32 v2, v7, v3, vcc
	v_ashrrev_i32_e32 v3, 31, v2
	v_lshl_add_u64 v[12:13], v[2:3], 2, s[6:7]
	v_add_u32_e32 v2, v1, v6
	v_ashrrev_i32_e32 v2, 4, v2
	v_cmp_gt_i32_e32 vcc, s33, v1
	s_nop 1
	v_cndmask_b32_e32 v2, v7, v2, vcc
	v_ashrrev_i32_e32 v3, 31, v2
	v_lshl_add_u64 v[14:15], v[2:3], 2, s[6:7]
	global_load_dword v2, v[4:5], off
	global_load_dword v6, v[8:9], off
	;; [unrolled: 1-line block ×4, first 2 shown]
	s_andn2_b64 vcc, exec, s[14:15]
	s_cbranch_vccnz .LBB432_8
; %bb.6:
	s_add_u32 s12, s12, s16
	s_addc_u32 s13, s13, s17
	s_load_dword s5, s[12:13], 0x0
	s_branch .LBB432_9
.LBB432_7:
	s_mov_b64 s[8:9], 0
	s_branch .LBB432_2
.LBB432_8:
	s_mov_b32 s5, s2
.LBB432_9:
	s_load_dwordx4 s[44:47], s[0:1], 0x48
	v_lshrrev_b32_e32 v37, 6, v0
	v_bfe_u32 v54, v0, 4, 2
	v_lshl_or_b32 v1, v37, 2, v54
	v_and_b32_e32 v36, 15, v0
	v_lshlrev_b32_e32 v3, 3, v36
	v_cmp_gt_u32_e32 vcc, 13, v1
	v_cmp_gt_u32_e64 s[30:31], 8, v36
	v_and_b32_e32 v55, 63, v0
	s_mul_i32 s42, s4, 13
	s_and_b64 s[14:15], s[30:31], vcc
	v_lshlrev_b32_e32 v34, 1, v3
	s_and_saveexec_b64 s[12:13], s[14:15]
	s_cbranch_execz .LBB432_11
; %bb.10:
	s_load_dwordx2 s[14:15], s[0:1], 0x0
	s_waitcnt lgkmcnt(0)
	s_ashr_i32 s16, s44, 31
	s_mul_hi_u32 s17, s5, s44
	s_mul_i32 s16, s5, s16
	s_add_i32 s17, s17, s16
	s_mul_i32 s16, s5, s44
	s_lshl_b64 s[16:17], s[16:17], 1
	s_add_u32 s14, s14, s16
	v_add_lshl_u32 v4, v1, s42, 6
	s_addc_u32 s15, s15, s17
	v_ashrrev_i32_e32 v5, 31, v4
	v_lshl_add_u64 v[4:5], v[4:5], 1, s[14:15]
	v_mov_b32_e32 v35, 0
	v_lshl_add_u64 v[4:5], v[4:5], 0, v[34:35]
	global_load_dwordx4 v[12:15], v[4:5], off
	v_and_b32_e32 v3, 3, v0
	v_lshlrev_b32_e32 v4, 9, v36
	v_lshlrev_b32_e32 v1, 5, v1
	;; [unrolled: 1-line block ×3, first 2 shown]
	v_and_b32_e32 v4, 0x1800, v4
	v_or3_b32 v1, v4, v3, v1
	s_waitcnt vmcnt(0)
	ds_write_b128 v1, v[12:15]
.LBB432_11:
	s_or_b64 exec, exec, s[12:13]
	s_waitcnt lgkmcnt(0)
	s_mul_i32 s4, s4, s46
	s_mov_b32 s5, 0
	s_lshl_b64 s[4:5], s[4:5], 1
	s_add_u32 s8, s8, s4
	v_lshlrev_b32_e32 v1, 4, v0
	s_addc_u32 s9, s9, s5
	v_and_b32_e32 v30, 0xf0, v1
	v_mov_b32_e32 v31, 0
	v_lshl_add_u64 v[18:19], s[8:9], 0, v[30:31]
	s_waitcnt vmcnt(3)
	v_mad_i64_i32 v[2:3], s[8:9], v2, s45, 0
	v_lshl_add_u64 v[2:3], v[2:3], 1, v[18:19]
	v_and_b32_e32 v30, 0x300, v1
	v_lshl_add_u64 v[14:15], v[2:3], 0, v[30:31]
	s_load_dword s29, s[0:1], 0x98
	s_load_dword s12, s[0:1], 0x1c
	s_waitcnt lgkmcnt(0)
	s_barrier
	global_load_dwordx4 v[2:5], v[14:15], off
	global_load_dwordx4 v[26:29], v[14:15], off offset:1024
	s_waitcnt vmcnt(3)
	v_mad_i64_i32 v[10:11], s[8:9], v10, s45, 0
	v_lshl_add_u64 v[10:11], v[10:11], 1, v[18:19]
	v_lshl_add_u64 v[38:39], v[10:11], 0, v[30:31]
	global_load_dwordx4 v[10:13], v[38:39], off
	global_load_dwordx4 v[56:59], v[38:39], off offset:1024
	v_mad_i64_i32 v[6:7], s[8:9], v6, s45, 0
	v_lshl_add_u64 v[6:7], v[6:7], 1, v[18:19]
	v_lshl_add_u64 v[32:33], v[6:7], 0, v[30:31]
	global_load_dwordx4 v[6:9], v[32:33], off
	global_load_dwordx4 v[46:49], v[32:33], off offset:1024
	s_waitcnt vmcnt(6)
	v_mad_i64_i32 v[16:17], s[8:9], v16, s45, 0
	v_lshl_add_u64 v[16:17], v[16:17], 1, v[18:19]
	v_lshl_add_u64 v[40:41], v[16:17], 0, v[30:31]
	global_load_dwordx4 v[18:21], v[40:41], off
	v_add_u32_e32 v16, -13, v36
	v_cmp_gt_u32_e32 vcc, 13, v36
	global_load_dwordx4 v[38:41], v[40:41], off offset:1024
	v_and_or_b32 v30, v0, 48, s18
	v_cndmask_b32_e32 v16, v16, v36, vcc
	v_lshlrev_b32_e32 v16, 5, v16
	v_lshl_add_u32 v16, v54, 9, v16
	ds_read_b128 v[22:25], v16
	v_mov_b32_e32 v68, s19
	v_cmp_gt_i32_e32 vcc, s33, v30
	v_or_b32_e32 v32, 64, v30
	ds_read_b128 v[14:17], v16 offset:2048
	v_lshlrev_b32_e32 v35, 5, v36
	s_add_u32 s4, s10, s4
	s_addc_u32 s5, s11, s5
	s_mov_b32 s43, 0xff7fffff
	s_waitcnt vmcnt(7) lgkmcnt(1)
	v_mfma_f32_16x16x16_bf16 v[42:45], v[2:3], v[22:23], 0
	v_ashrrev_i32_e32 v2, 4, v30
	v_cndmask_b32_e32 v2, v68, v2, vcc
	v_ashrrev_i32_e32 v3, 31, v2
	s_waitcnt vmcnt(5)
	v_mfma_f32_16x16x16_bf16 v[60:63], v[10:11], v[22:23], 0
	v_lshl_add_u64 v[10:11], v[2:3], 2, s[6:7]
	v_cmp_gt_i32_e32 vcc, s33, v32
	v_mfma_f32_16x16x16_bf16 v[2:5], v[4:5], v[24:25], v[42:45]
	s_nop 2
	global_load_dword v42, v[10:11], off
	s_waitcnt vmcnt(4)
	v_mfma_f32_16x16x16_bf16 v[50:53], v[6:7], v[22:23], 0
	v_ashrrev_i32_e32 v6, 4, v32
	v_cndmask_b32_e32 v6, v68, v6, vcc
	v_ashrrev_i32_e32 v7, 31, v6
	v_lshl_add_u64 v[10:11], v[6:7], 2, s[6:7]
	global_load_dword v43, v[10:11], off
	s_waitcnt vmcnt(3)
	v_mfma_f32_16x16x16_bf16 v[64:67], v[18:19], v[22:23], 0
	v_or_b32_e32 v22, 0x80, v30
	v_or_b32_e32 v23, 0xc0, v30
	v_ashrrev_i32_e32 v30, 4, v22
	v_cmp_gt_i32_e32 vcc, s33, v22
	v_ashrrev_i32_e32 v32, 4, v23
	v_mfma_f32_16x16x16_bf16 v[6:9], v[8:9], v[24:25], v[50:53]
	v_cndmask_b32_e32 v22, v68, v30, vcc
	v_cmp_gt_i32_e32 vcc, s33, v23
	v_ashrrev_i32_e32 v23, 31, v22
	v_mfma_f32_16x16x16_bf16 v[10:13], v[12:13], v[24:25], v[60:63]
	v_lshl_or_b32 v30, v37, 9, v35
	v_mfma_f32_16x16x16_bf16 v[18:21], v[20:21], v[24:25], v[64:67]
	v_cndmask_b32_e32 v24, v68, v32, vcc
	v_ashrrev_i32_e32 v25, 31, v24
	v_lshl_add_u64 v[32:33], v[24:25], 2, s[6:7]
	s_waitcnt lgkmcnt(0)
	v_mfma_f32_16x16x16_bf16 v[2:5], v[26:27], v[14:15], v[2:5]
	v_lshl_add_u64 v[26:27], v[22:23], 2, s[6:7]
	global_load_dword v60, v[26:27], off
	global_load_dword v61, v[32:33], off
	v_mfma_f32_16x16x16_bf16 v[6:9], v[46:47], v[14:15], v[6:9]
	v_mfma_f32_16x16x16_bf16 v[22:25], v[56:57], v[14:15], v[10:13]
	s_waitcnt vmcnt(4)
	v_mfma_f32_16x16x16_bf16 v[18:21], v[38:39], v[14:15], v[18:21]
	s_nop 0
	v_lshl_add_u64 v[10:11], s[4:5], 0, v[30:31]
	s_waitcnt vmcnt(3)
	v_mad_i64_i32 v[26:27], s[4:5], v42, s45, 0
	v_mfma_f32_16x16x16_bf16 v[12:15], v[28:29], v[16:17], v[2:5]
	v_lshl_add_u64 v[30:31], v[26:27], 1, v[10:11]
	s_waitcnt vmcnt(2)
	v_mad_i64_i32 v[32:33], s[4:5], v43, s45, 0
	v_mfma_f32_16x16x16_bf16 v[26:29], v[48:49], v[16:17], v[6:9]
	s_nop 2
	v_pk_mul_f32 v[50:51], s[12:13], v[14:15] op_sel_hi:[0,1]
	v_pk_mul_f32 v[12:13], s[12:13], v[12:13] op_sel_hi:[0,1]
	v_lshl_add_u64 v[56:57], v[32:33], 1, v[10:11]
	v_mfma_f32_16x16x16_bf16 v[22:25], v[58:59], v[16:17], v[22:25]
	global_load_dwordx4 v[6:9], v[30:31], off
	global_load_dwordx4 v[2:5], v[30:31], off offset:16
	v_pk_mul_f32 v[42:43], s[12:13], v[26:27] op_sel_hi:[0,1]
	v_pk_mul_f32 v[52:53], s[12:13], v[28:29] op_sel_hi:[0,1]
	v_mfma_f32_16x16x16_bf16 v[14:17], v[40:41], v[16:17], v[18:21]
	s_nop 1
	v_pk_mul_f32 v[46:47], s[12:13], v[22:23] op_sel_hi:[0,1]
	v_pk_mul_f32 v[48:49], s[12:13], v[24:25] op_sel_hi:[0,1]
	global_load_dwordx4 v[30:33], v[56:57], off
	global_load_dwordx4 v[26:29], v[56:57], off offset:16
	s_nop 0
	v_pk_mul_f32 v[44:45], s[12:13], v[14:15] op_sel_hi:[0,1]
	v_and_b32_e32 v14, 0xc0, v0
	v_add_u32_e32 v14, s18, v14
	v_lshl_or_b32 v14, v54, 2, v14
	v_pk_mul_f32 v[38:39], s[12:13], v[16:17] op_sel_hi:[0,1]
	v_or_b32_e32 v17, 1, v14
	v_mov_b32_e32 v15, 0xff7fffff
	v_cmp_gt_i32_e64 s[4:5], s33, v14
	v_cmp_gt_i32_e64 s[34:35], s33, v17
	v_or_b32_e32 v18, 3, v14
	v_cndmask_b32_e64 v16, v15, v12, s[4:5]
	v_cndmask_b32_e64 v17, v15, v13, s[34:35]
	v_max3_f32 v16, v16, s43, v17
	v_or_b32_e32 v17, 2, v14
	v_cmp_gt_i32_e64 s[36:37], s33, v17
	v_cmp_gt_i32_e64 s[38:39], s33, v18
	s_nop 0
	v_cndmask_b32_e64 v17, v15, v50, s[36:37]
	v_cndmask_b32_e64 v18, v15, v51, s[38:39]
	v_max3_f32 v16, v16, v17, v18
	v_or_b32_e32 v17, 16, v14
	v_or_b32_e32 v18, 17, v14
	v_cmp_gt_i32_e64 s[24:25], s33, v17
	v_cmp_gt_i32_e64 s[26:27], s33, v18
	s_nop 0
	v_cndmask_b32_e64 v17, v15, v42, s[24:25]
	v_cndmask_b32_e64 v18, v15, v43, s[26:27]
	v_max3_f32 v16, v16, v17, v18
	v_or_b32_e32 v17, 18, v14
	;; [unrolled: 8-line block ×6, first 2 shown]
	v_or_b32_e32 v14, 51, v14
	v_cmp_gt_i32_e32 vcc, s33, v17
	v_cmp_gt_i32_e64 s[6:7], s33, v14
	s_nop 0
	v_cndmask_b32_e32 v17, v15, v38, vcc
	v_cndmask_b32_e64 v14, v15, v39, s[6:7]
	v_max3_f32 v16, v16, v17, v14
	v_mbcnt_lo_u32_b32 v14, -1, 0
	v_mbcnt_hi_u32_b32 v17, -1, v14
	v_and_b32_e32 v14, 64, v17
	v_add_u32_e32 v18, 64, v14
	v_xor_b32_e32 v14, 32, v17
	v_cmp_lt_i32_e64 s[40:41], v14, v18
	s_nop 1
	v_cndmask_b32_e64 v14, v17, v14, s[40:41]
	v_lshlrev_b32_e32 v58, 2, v14
	ds_bpermute_b32 v19, v58, v16
	s_waitcnt vmcnt(5)
	v_mad_i64_i32 v[14:15], s[40:41], v60, s45, 0
	v_lshl_add_u64 v[14:15], v[14:15], 1, v[10:11]
	s_waitcnt lgkmcnt(0)
	v_max_f32_e32 v19, v19, v19
	v_max_f32_e32 v16, v16, v19
	v_xor_b32_e32 v19, 16, v17
	v_cmp_lt_i32_e64 s[40:41], v19, v18
	s_nop 1
	v_cndmask_b32_e64 v17, v17, v19, s[40:41]
	v_lshlrev_b32_e32 v57, 2, v17
	ds_bpermute_b32 v17, v57, v16
	global_load_dwordx4 v[22:25], v[14:15], off
	global_load_dwordx4 v[18:21], v[14:15], off offset:16
	s_waitcnt vmcnt(6)
	v_mad_i64_i32 v[14:15], s[40:41], v61, s45, 0
	v_lshl_add_u64 v[10:11], v[14:15], 1, v[10:11]
	s_waitcnt lgkmcnt(0)
	v_max_f32_e32 v14, v17, v17
	v_max_f32_e32 v56, v16, v14
	v_sub_f32_e32 v12, v12, v56
	v_mul_f32_e32 v12, 0x3fb8aa3b, v12
	v_exp_f32_e32 v40, v12
	v_sub_f32_e32 v12, v13, v56
	v_mul_f32_e32 v12, 0x3fb8aa3b, v12
	v_exp_f32_e32 v41, v12
	global_load_dwordx4 v[14:17], v[10:11], off
	s_nop 0
	global_load_dwordx4 v[10:13], v[10:11], off offset:16
	v_sub_f32_e32 v50, v50, v56
	v_mul_f32_e32 v50, 0x3fb8aa3b, v50
	v_sub_f32_e32 v51, v51, v56
	v_exp_f32_e32 v50, v50
	v_mul_f32_e32 v51, 0x3fb8aa3b, v51
	v_sub_f32_e32 v42, v42, v56
	v_exp_f32_e32 v51, v51
	v_mul_f32_e32 v42, 0x3fb8aa3b, v42
	v_sub_f32_e32 v43, v43, v56
	v_cndmask_b32_e64 v40, 0, v40, s[4:5]
	v_exp_f32_e32 v42, v42
	v_mul_f32_e32 v43, 0x3fb8aa3b, v43
	v_sub_f32_e32 v52, v52, v56
	v_add_f32_e32 v59, 0, v40
	v_cndmask_b32_e64 v41, 0, v41, s[34:35]
	v_exp_f32_e32 v43, v43
	v_mul_f32_e32 v52, 0x3fb8aa3b, v52
	v_sub_f32_e32 v53, v53, v56
	v_add_f32_e32 v59, v59, v41
	;; [unrolled: 5-line block ×10, first 2 shown]
	v_cndmask_b32_e64 v48, 0, v48, s[12:13]
	v_exp_f32_e32 v38, v38
	v_mul_f32_e32 v39, 0x3fb8aa3b, v39
	v_add_f32_e32 v59, v59, v48
	v_cndmask_b32_e64 v49, 0, v49, s[14:15]
	v_exp_f32_e32 v39, v39
	v_add_f32_e32 v59, v59, v49
	v_cndmask_b32_e64 v44, 0, v44, s[8:9]
	v_add_f32_e32 v59, v59, v44
	v_cndmask_b32_e64 v45, 0, v45, s[10:11]
	v_add_f32_e32 v59, v59, v45
	v_cndmask_b32_e32 v38, 0, v38, vcc
	v_add_f32_e32 v59, v59, v38
	v_cndmask_b32_e64 v39, 0, v39, s[6:7]
	v_add_f32_e32 v59, v59, v39
	ds_bpermute_b32 v58, v58, v59
	v_cmp_gt_u32_e64 s[6:7], 16, v55
	s_waitcnt lgkmcnt(0)
	s_barrier
	v_add_f32_e32 v58, v59, v58
	ds_bpermute_b32 v59, v57, v58
	v_lshlrev_b32_e32 v57, 2, v36
	s_and_saveexec_b64 s[4:5], s[6:7]
	s_cbranch_execz .LBB432_13
; %bb.12:
	s_waitcnt lgkmcnt(0)
	v_add_f32_e32 v55, v58, v59
	v_lshl_or_b32 v58, v37, 6, v57
	ds_write2st64_b32 v58, v56, v55 offset1:1
.LBB432_13:
	s_or_b64 exec, exec, s[4:5]
	s_load_dword s8, s[0:1], 0x94
	s_waitcnt lgkmcnt(0)
	s_barrier
	ds_read2_b32 v[58:59], v57 offset1:16
	ds_read2_b32 v[60:61], v57 offset0:32 offset1:48
	ds_read2_b32 v[62:63], v57 offset0:64 offset1:80
	s_movk_i32 s10, 0x7fff
	s_mov_b32 s11, 0x7060302
	s_waitcnt lgkmcnt(2)
	v_max3_f32 v55, v58, s43, v59
	s_waitcnt lgkmcnt(1)
	v_max3_f32 v55, v55, v60, v61
	v_sub_f32_e32 v56, v58, v55
	v_mul_f32_e32 v56, 0x3fb8aa3b, v56
	v_exp_f32_e32 v64, v56
	v_sub_f32_e32 v56, v59, v55
	v_mul_f32_e32 v56, 0x3fb8aa3b, v56
	v_exp_f32_e32 v65, v56
	;; [unrolled: 3-line block ×3, first 2 shown]
	ds_read2_b32 v[58:59], v57 offset0:96 offset1:112
	v_sub_f32_e32 v56, v61, v55
	v_mul_f32_e32 v56, 0x3fb8aa3b, v56
	v_exp_f32_e32 v57, v56
	s_waitcnt lgkmcnt(1)
	v_fma_f32 v56, v64, v62, 0
	v_fmac_f32_e32 v56, v65, v63
	s_waitcnt lgkmcnt(0)
	v_fmac_f32_e32 v56, v60, v58
	v_fmac_f32_e32 v56, v57, v59
	v_add_f32_e32 v58, 0x358637bd, v56
	v_div_scale_f32 v59, s[4:5], v58, v58, 1.0
	v_rcp_f32_e32 v61, v59
	s_barrier
	v_fma_f32 v62, -v59, v61, 1.0
	v_fmac_f32_e32 v61, v62, v61
	v_div_scale_f32 v62, vcc, 1.0, v58, 1.0
	v_mul_f32_e32 v63, v62, v61
	v_fma_f32 v66, -v59, v63, v62
	v_fmac_f32_e32 v63, v66, v61
	v_fma_f32 v59, -v59, v63, v62
	v_div_fmas_f32 v59, v59, v61, v63
	v_cmp_eq_u32_e32 vcc, 1, v37
	v_div_fixup_f32 v58, v59, v58, 1.0
	s_mul_i32 s9, s29, 13
	v_cndmask_b32_e32 v59, v64, v65, vcc
	v_cmp_eq_u32_e32 vcc, 2, v37
	s_nop 1
	v_cndmask_b32_e32 v59, v59, v60, vcc
	v_cmp_eq_u32_e32 vcc, 3, v37
	v_lshlrev_b32_e32 v37, 11, v37
	s_nop 0
	v_cndmask_b32_e32 v57, v59, v57, vcc
	v_mul_f32_e32 v58, v57, v58
	v_pk_mul_f32 v[40:41], v[58:59], v[40:41] op_sel_hi:[0,1]
	v_pk_mul_f32 v[50:51], v[58:59], v[50:51] op_sel_hi:[0,1]
	v_bfe_u32 v57, v41, 16, 1
	v_bfe_u32 v59, v40, 16, 1
	v_add3_u32 v40, v40, v59, s10
	v_add3_u32 v41, v41, v57, s10
	v_perm_b32 v60, v41, v40, s11
	v_bfe_u32 v40, v51, 16, 1
	v_bfe_u32 v41, v50, 16, 1
	v_add3_u32 v41, v50, v41, s10
	v_add3_u32 v40, v51, v40, s10
	v_perm_b32 v61, v40, v41, s11
	v_lshlrev_b32_e32 v40, 3, v54
	v_pk_mul_f32 v[42:43], v[58:59], v[42:43] op_sel_hi:[0,1]
	v_or3_b32 v40, v37, v35, v40
	v_bfe_u32 v37, v43, 16, 1
	v_bfe_u32 v41, v42, 16, 1
	v_pk_mul_f32 v[50:51], v[58:59], v[52:53] op_sel_hi:[0,1]
	v_add3_u32 v41, v42, v41, s10
	v_add3_u32 v37, v43, v37, s10
	v_perm_b32 v42, v37, v41, s11
	v_bfe_u32 v37, v51, 16, 1
	v_bfe_u32 v41, v50, 16, 1
	v_add3_u32 v41, v50, v41, s10
	v_add3_u32 v37, v51, v37, s10
	v_pk_mul_f32 v[46:47], v[58:59], v[46:47] op_sel_hi:[0,1]
	v_perm_b32 v43, v37, v41, s11
	v_bfe_u32 v37, v47, 16, 1
	v_bfe_u32 v41, v46, 16, 1
	ds_write2st64_b64 v40, v[60:61], v[42:43] offset1:1
	v_pk_mul_f32 v[42:43], v[58:59], v[48:49] op_sel_hi:[0,1]
	v_add3_u32 v41, v46, v41, s10
	v_add3_u32 v37, v47, v37, s10
	v_perm_b32 v46, v37, v41, s11
	v_bfe_u32 v37, v43, 16, 1
	v_bfe_u32 v41, v42, 16, 1
	v_add3_u32 v41, v42, v41, s10
	v_add3_u32 v37, v43, v37, s10
	v_pk_mul_f32 v[42:43], v[58:59], v[44:45] op_sel_hi:[0,1]
	v_perm_b32 v47, v37, v41, s11
	v_bfe_u32 v37, v43, 16, 1
	v_bfe_u32 v41, v42, 16, 1
	v_pk_mul_f32 v[38:39], v[58:59], v[38:39] op_sel_hi:[0,1]
	v_add3_u32 v41, v42, v41, s10
	v_add3_u32 v37, v43, v37, s10
	v_perm_b32 v42, v37, v41, s11
	v_bfe_u32 v37, v39, 16, 1
	v_bfe_u32 v41, v38, 16, 1
	v_add3_u32 v38, v38, v41, s10
	v_add3_u32 v37, v39, v37, s10
	v_perm_b32 v43, v37, v38, s11
	v_cmp_gt_u32_e32 vcc, 13, v0
	ds_write2st64_b64 v40, v[46:47], v[42:43] offset0:2 offset1:3
	s_and_saveexec_b64 s[4:5], vcc
	s_cbranch_execz .LBB432_15
; %bb.14:
	s_mov_b32 s43, 0
	v_mov_b32_e32 v37, 0
	v_lshl_add_u64 v[38:39], s[42:43], 0, v[36:37]
	v_mov_b32_e32 v36, s9
	v_mad_u64_u32 v[38:39], s[16:17], s2, v36, v[38:39]
	v_mov_b32_e32 v36, s28
	s_load_dwordx4 s[12:15], s[0:1], 0x58
	s_mul_i32 s3, s3, s9
	v_mad_u64_u32 v[36:37], s[16:17], v38, s8, v[36:37]
	v_add_u32_e32 v39, s3, v39
	v_mov_b32_e32 v38, v37
	v_mad_u64_u32 v[38:39], s[16:17], v39, s8, v[38:39]
	v_mov_b32_e32 v37, v38
	v_lshlrev_b64 v[36:37], 2, v[36:37]
	s_waitcnt lgkmcnt(0)
	v_lshl_add_u64 v[38:39], s[14:15], 0, v[36:37]
	v_lshl_add_u64 v[36:37], s[12:13], 0, v[36:37]
	global_store_dword v[38:39], v55, off
	global_store_dword v[36:37], v56, off
.LBB432_15:
	s_or_b64 exec, exec, s[4:5]
	v_lshl_or_b32 v35, v54, 9, v35
	s_waitcnt lgkmcnt(0)
	s_barrier
	ds_read_b128 v[36:39], v35
	ds_read_b128 v[42:45], v35 offset:16
	s_waitcnt vmcnt(7) lgkmcnt(1)
	v_mfma_f32_16x16x16_bf16 v[46:49], v[6:7], v[36:37], 0
	v_cmp_gt_u32_e32 vcc, 64, v0
	s_mov_b32 s3, 0
	s_and_b64 s[4:5], vcc, s[30:31]
	v_mfma_f32_16x16x16_bf16 v[6:9], v[8:9], v[38:39], v[46:49]
	s_waitcnt vmcnt(6) lgkmcnt(0)
	v_mfma_f32_16x16x16_bf16 v[6:9], v[2:3], v[42:43], v[6:9]
	v_mfma_f32_16x16x16_bf16 v[2:5], v[4:5], v[44:45], v[6:9]
	s_nop 5
	ds_read_b128 v[6:9], v35 offset:2048
	ds_read_b128 v[36:39], v35 offset:2064
	s_waitcnt vmcnt(5) lgkmcnt(1)
	v_mfma_f32_16x16x16_bf16 v[2:5], v[30:31], v[6:7], v[2:5]
	v_mfma_f32_16x16x16_bf16 v[2:5], v[32:33], v[8:9], v[2:5]
	s_waitcnt vmcnt(4) lgkmcnt(0)
	v_mfma_f32_16x16x16_bf16 v[2:5], v[26:27], v[36:37], v[2:5]
	v_mfma_f32_16x16x16_bf16 v[2:5], v[28:29], v[38:39], v[2:5]
	ds_read_b128 v[6:9], v35 offset:4096
	ds_read_b128 v[26:29], v35 offset:4112
	s_waitcnt vmcnt(3) lgkmcnt(1)
	v_mfma_f32_16x16x16_bf16 v[2:5], v[22:23], v[6:7], v[2:5]
	v_mfma_f32_16x16x16_bf16 v[2:5], v[24:25], v[8:9], v[2:5]
	s_waitcnt vmcnt(2) lgkmcnt(0)
	v_mfma_f32_16x16x16_bf16 v[2:5], v[18:19], v[26:27], v[2:5]
	v_mfma_f32_16x16x16_bf16 v[2:5], v[20:21], v[28:29], v[2:5]
	ds_read_b128 v[6:9], v35 offset:6144
	ds_read_b128 v[18:21], v35 offset:6160
	v_mov_b32_e32 v35, 0
	s_waitcnt vmcnt(1) lgkmcnt(0)
	v_mfma_f32_16x16x16_bf16 v[2:5], v[14:15], v[6:7], v[2:5]
	s_barrier
	v_mfma_f32_16x16x16_bf16 v[2:5], v[16:17], v[8:9], v[2:5]
	s_waitcnt vmcnt(0)
	v_mfma_f32_16x16x16_bf16 v[2:5], v[10:11], v[18:19], v[2:5]
	v_mfma_f32_16x16x16_bf16 v[2:5], v[12:13], v[20:21], v[2:5]
	s_nop 6
	v_bfe_u32 v6, v3, 16, 1
	v_bfe_u32 v7, v2, 16, 1
	;; [unrolled: 1-line block ×4, first 2 shown]
	v_add3_u32 v2, v2, v7, s10
	v_add3_u32 v3, v3, v6, s10
	;; [unrolled: 1-line block ×4, first 2 shown]
	v_perm_b32 v2, v3, v2, s11
	v_perm_b32 v3, v5, v4, s11
	ds_write_b64 v40, v[2:3]
	s_waitcnt lgkmcnt(0)
	s_barrier
	s_and_saveexec_b64 s[10:11], s[4:5]
	s_cbranch_execz .LBB432_18
; %bb.16:
	s_load_dwordx2 s[4:5], s[0:1], 0x68
	s_lshl_b32 s0, s8, 6
	s_mul_i32 s1, s9, s2
	s_mul_hi_u32 s9, s1, s0
	s_mul_i32 s8, s1, s0
	v_lshlrev_b32_e32 v0, 10, v0
	s_lshl_b64 s[8:9], s[8:9], 1
	v_and_b32_e32 v0, 0x1800, v0
	v_lshlrev_b32_e32 v2, 5, v54
	v_and_b32_e32 v1, 16, v1
	s_waitcnt lgkmcnt(0)
	s_add_u32 s1, s4, s8
	v_or3_b32 v2, v0, v2, v1
	s_addc_u32 s4, s5, s9
	s_lshl_b32 s2, s28, 6
	ds_read_b128 v[4:7], v2 offset:256
	s_lshl_b64 s[2:3], s[2:3], 1
	ds_read_b128 v[8:11], v2 offset:128
	ds_read_b128 v[12:15], v2
	s_add_u32 s2, s1, s2
	s_addc_u32 s3, s4, s3
	v_add_u32_e32 v3, s42, v54
	v_lshl_add_u64 v[0:1], s[2:3], 0, v[34:35]
	v_mad_u64_u32 v[16:17], s[2:3], v3, s0, 0
	v_lshl_add_u64 v[16:17], v[16:17], 1, v[0:1]
	s_waitcnt lgkmcnt(0)
	global_store_dwordx4 v[16:17], v[12:15], off
	s_nop 1
	v_add_u32_e32 v12, 4, v3
	v_mad_u64_u32 v[12:13], s[2:3], v12, s0, 0
	v_lshl_add_u64 v[12:13], v[12:13], 1, v[0:1]
	v_add_u32_e32 v3, 8, v3
	global_store_dwordx4 v[12:13], v[8:11], off
	s_nop 1
	v_mad_u64_u32 v[8:9], s[2:3], v3, s0, 0
	v_lshl_add_u64 v[8:9], v[8:9], 1, v[0:1]
	global_store_dwordx4 v[8:9], v[4:7], off
	s_and_b64 exec, exec, s[6:7]
	s_cbranch_execz .LBB432_18
; %bb.17:
	ds_read_b128 v[2:5], v2 offset:384
	v_add3_u32 v6, s42, v54, 12
	v_mad_u64_u32 v[6:7], s[0:1], v6, s0, 0
	v_lshl_add_u64 v[0:1], v[6:7], 1, v[0:1]
	s_waitcnt lgkmcnt(0)
	global_store_dwordx4 v[0:1], v[2:5], off
.LBB432_18:
	s_endpgm
	.section	.rodata,"a",@progbits
	.p2align	6, 0x0
	.amdhsa_kernel _Z39paged_attention_ll4mi_QKV_mfma16_kernelI14__hip_bfloat16S0_LN4vllm18Fp8KVCacheDataTypeE0EhLi16ELi64ELi256ELb0ELi13EEvPKT_PKT0_S8_ifPKiSA_SA_iPKfiiiPfSD_PS3_PT2_iSC_SC_
		.amdhsa_group_segment_fixed_size 8192
		.amdhsa_private_segment_fixed_size 0
		.amdhsa_kernarg_size 400
		.amdhsa_user_sgpr_count 2
		.amdhsa_user_sgpr_dispatch_ptr 0
		.amdhsa_user_sgpr_queue_ptr 0
		.amdhsa_user_sgpr_kernarg_segment_ptr 1
		.amdhsa_user_sgpr_dispatch_id 0
		.amdhsa_user_sgpr_kernarg_preload_length 0
		.amdhsa_user_sgpr_kernarg_preload_offset 0
		.amdhsa_user_sgpr_private_segment_size 0
		.amdhsa_uses_dynamic_stack 0
		.amdhsa_enable_private_segment 0
		.amdhsa_system_sgpr_workgroup_id_x 1
		.amdhsa_system_sgpr_workgroup_id_y 1
		.amdhsa_system_sgpr_workgroup_id_z 1
		.amdhsa_system_sgpr_workgroup_info 0
		.amdhsa_system_vgpr_workitem_id 0
		.amdhsa_next_free_vgpr 69
		.amdhsa_next_free_sgpr 48
		.amdhsa_accum_offset 72
		.amdhsa_reserve_vcc 1
		.amdhsa_float_round_mode_32 0
		.amdhsa_float_round_mode_16_64 0
		.amdhsa_float_denorm_mode_32 3
		.amdhsa_float_denorm_mode_16_64 3
		.amdhsa_dx10_clamp 1
		.amdhsa_ieee_mode 1
		.amdhsa_fp16_overflow 0
		.amdhsa_tg_split 0
		.amdhsa_exception_fp_ieee_invalid_op 0
		.amdhsa_exception_fp_denorm_src 0
		.amdhsa_exception_fp_ieee_div_zero 0
		.amdhsa_exception_fp_ieee_overflow 0
		.amdhsa_exception_fp_ieee_underflow 0
		.amdhsa_exception_fp_ieee_inexact 0
		.amdhsa_exception_int_div_zero 0
	.end_amdhsa_kernel
	.section	.text._Z39paged_attention_ll4mi_QKV_mfma16_kernelI14__hip_bfloat16S0_LN4vllm18Fp8KVCacheDataTypeE0EhLi16ELi64ELi256ELb0ELi13EEvPKT_PKT0_S8_ifPKiSA_SA_iPKfiiiPfSD_PS3_PT2_iSC_SC_,"axG",@progbits,_Z39paged_attention_ll4mi_QKV_mfma16_kernelI14__hip_bfloat16S0_LN4vllm18Fp8KVCacheDataTypeE0EhLi16ELi64ELi256ELb0ELi13EEvPKT_PKT0_S8_ifPKiSA_SA_iPKfiiiPfSD_PS3_PT2_iSC_SC_,comdat
.Lfunc_end432:
	.size	_Z39paged_attention_ll4mi_QKV_mfma16_kernelI14__hip_bfloat16S0_LN4vllm18Fp8KVCacheDataTypeE0EhLi16ELi64ELi256ELb0ELi13EEvPKT_PKT0_S8_ifPKiSA_SA_iPKfiiiPfSD_PS3_PT2_iSC_SC_, .Lfunc_end432-_Z39paged_attention_ll4mi_QKV_mfma16_kernelI14__hip_bfloat16S0_LN4vllm18Fp8KVCacheDataTypeE0EhLi16ELi64ELi256ELb0ELi13EEvPKT_PKT0_S8_ifPKiSA_SA_iPKfiiiPfSD_PS3_PT2_iSC_SC_
                                        ; -- End function
	.section	.AMDGPU.csdata,"",@progbits
; Kernel info:
; codeLenInByte = 4112
; NumSgprs: 54
; NumVgprs: 69
; NumAgprs: 0
; TotalNumVgprs: 69
; ScratchSize: 0
; MemoryBound: 0
; FloatMode: 240
; IeeeMode: 1
; LDSByteSize: 8192 bytes/workgroup (compile time only)
; SGPRBlocks: 6
; VGPRBlocks: 8
; NumSGPRsForWavesPerEU: 54
; NumVGPRsForWavesPerEU: 69
; AccumOffset: 72
; Occupancy: 7
; WaveLimiterHint : 1
; COMPUTE_PGM_RSRC2:SCRATCH_EN: 0
; COMPUTE_PGM_RSRC2:USER_SGPR: 2
; COMPUTE_PGM_RSRC2:TRAP_HANDLER: 0
; COMPUTE_PGM_RSRC2:TGID_X_EN: 1
; COMPUTE_PGM_RSRC2:TGID_Y_EN: 1
; COMPUTE_PGM_RSRC2:TGID_Z_EN: 1
; COMPUTE_PGM_RSRC2:TIDIG_COMP_CNT: 0
; COMPUTE_PGM_RSRC3_GFX90A:ACCUM_OFFSET: 17
; COMPUTE_PGM_RSRC3_GFX90A:TG_SPLIT: 0
	.section	.text._Z39paged_attention_ll4mi_QKV_mfma16_kernelI14__hip_bfloat16S0_LN4vllm18Fp8KVCacheDataTypeE0EhLi16ELi64ELi256ELb0ELi14EEvPKT_PKT0_S8_ifPKiSA_SA_iPKfiiiPfSD_PS3_PT2_iSC_SC_,"axG",@progbits,_Z39paged_attention_ll4mi_QKV_mfma16_kernelI14__hip_bfloat16S0_LN4vllm18Fp8KVCacheDataTypeE0EhLi16ELi64ELi256ELb0ELi14EEvPKT_PKT0_S8_ifPKiSA_SA_iPKfiiiPfSD_PS3_PT2_iSC_SC_,comdat
	.protected	_Z39paged_attention_ll4mi_QKV_mfma16_kernelI14__hip_bfloat16S0_LN4vllm18Fp8KVCacheDataTypeE0EhLi16ELi64ELi256ELb0ELi14EEvPKT_PKT0_S8_ifPKiSA_SA_iPKfiiiPfSD_PS3_PT2_iSC_SC_ ; -- Begin function _Z39paged_attention_ll4mi_QKV_mfma16_kernelI14__hip_bfloat16S0_LN4vllm18Fp8KVCacheDataTypeE0EhLi16ELi64ELi256ELb0ELi14EEvPKT_PKT0_S8_ifPKiSA_SA_iPKfiiiPfSD_PS3_PT2_iSC_SC_
	.globl	_Z39paged_attention_ll4mi_QKV_mfma16_kernelI14__hip_bfloat16S0_LN4vllm18Fp8KVCacheDataTypeE0EhLi16ELi64ELi256ELb0ELi14EEvPKT_PKT0_S8_ifPKiSA_SA_iPKfiiiPfSD_PS3_PT2_iSC_SC_
	.p2align	8
	.type	_Z39paged_attention_ll4mi_QKV_mfma16_kernelI14__hip_bfloat16S0_LN4vllm18Fp8KVCacheDataTypeE0EhLi16ELi64ELi256ELb0ELi14EEvPKT_PKT0_S8_ifPKiSA_SA_iPKfiiiPfSD_PS3_PT2_iSC_SC_,@function
_Z39paged_attention_ll4mi_QKV_mfma16_kernelI14__hip_bfloat16S0_LN4vllm18Fp8KVCacheDataTypeE0EhLi16ELi64ELi256ELb0ELi14EEvPKT_PKT0_S8_ifPKiSA_SA_iPKfiiiPfSD_PS3_PT2_iSC_SC_: ; @_Z39paged_attention_ll4mi_QKV_mfma16_kernelI14__hip_bfloat16S0_LN4vllm18Fp8KVCacheDataTypeE0EhLi16ELi64ELi256ELb0ELi14EEvPKT_PKT0_S8_ifPKiSA_SA_iPKfiiiPfSD_PS3_PT2_iSC_SC_
; %bb.0:
	s_load_dwordx2 s[12:13], s[0:1], 0x30
	s_mov_b32 s28, s3
	s_mov_b64 s[6:7], 0
	s_waitcnt lgkmcnt(0)
	s_cmp_lg_u64 s[12:13], 0
	s_cselect_b64 s[14:15], -1, 0
	s_and_b64 vcc, exec, s[14:15]
	s_cbranch_vccz .LBB433_7
; %bb.1:
	s_add_i32 s8, s2, 1
	s_mov_b32 s9, 0
	s_lshl_b64 s[10:11], s[8:9], 2
	s_add_u32 s10, s12, s10
	s_mov_b32 s3, s9
	s_addc_u32 s11, s13, s11
	s_lshl_b64 s[8:9], s[2:3], 2
	s_add_u32 s8, s12, s8
	s_addc_u32 s9, s13, s9
	s_load_dword s5, s[10:11], 0x0
	s_load_dword s16, s[8:9], 0x0
	s_waitcnt lgkmcnt(0)
	s_sub_i32 s5, s5, s16
	s_cmp_eq_u32 s5, 1
	s_cselect_b64 s[8:9], -1, 0
	s_andn2_b64 vcc, exec, s[6:7]
	s_cbranch_vccnz .LBB433_3
.LBB433_2:
	s_mov_b32 s3, 0
	s_mov_b64 s[8:9], -1
.LBB433_3:
	s_andn2_b64 vcc, exec, s[8:9]
	s_cbranch_vccnz .LBB433_18
; %bb.4:
	s_load_dwordx2 s[6:7], s[0:1], 0x28
	s_lshl_b64 s[16:17], s[2:3], 2
	s_waitcnt lgkmcnt(0)
	s_add_u32 s6, s6, s16
	s_addc_u32 s7, s7, s17
	s_load_dword s33, s[6:7], 0x0
	s_lshl_b32 s18, s28, 8
	s_waitcnt lgkmcnt(0)
	s_cmp_ge_i32 s18, s33
	s_cbranch_scc1 .LBB433_18
; %bb.5:
	s_load_dwordx2 s[6:7], s[0:1], 0x20
	s_load_dword s5, s[0:1], 0x38
	s_add_i32 s8, s33, 15
	s_ashr_i32 s9, s8, 31
	v_and_b32_e32 v1, 0xcf, v0
	s_lshr_b32 s9, s9, 28
	v_add_u32_e32 v1, s18, v1
	s_add_i32 s8, s8, s9
	v_ashrrev_i32_e32 v2, 31, v1
	s_ashr_i32 s19, s8, 4
	v_lshrrev_b32_e32 v6, 28, v2
	s_add_i32 s19, s19, -1
	s_waitcnt lgkmcnt(0)
	s_mul_i32 s8, s2, s5
	s_mov_b32 s9, 0
	v_add_u32_e32 v2, v1, v6
	s_lshl_b64 s[8:9], s[8:9], 2
	v_ashrrev_i32_e32 v2, 4, v2
	v_mov_b32_e32 v7, s19
	v_cmp_gt_i32_e32 vcc, s33, v1
	s_add_u32 s6, s6, s8
	s_addc_u32 s7, s7, s9
	v_cndmask_b32_e32 v2, v7, v2, vcc
	v_ashrrev_i32_e32 v3, 31, v2
	v_lshl_add_u64 v[4:5], v[2:3], 2, s[6:7]
	v_or_b32_e32 v2, 16, v1
	v_add_u32_e32 v3, v2, v6
	v_ashrrev_i32_e32 v3, 4, v3
	v_cmp_gt_i32_e32 vcc, s33, v2
	s_load_dwordx4 s[8:11], s[0:1], 0x8
	s_nop 0
	v_cndmask_b32_e32 v2, v7, v3, vcc
	v_ashrrev_i32_e32 v3, 31, v2
	v_lshl_add_u64 v[8:9], v[2:3], 2, s[6:7]
	v_or_b32_e32 v2, 32, v1
	v_add_u32_e32 v3, v2, v6
	v_ashrrev_i32_e32 v3, 4, v3
	v_cmp_gt_i32_e32 vcc, s33, v2
	v_or_b32_e32 v1, 48, v1
	s_nop 0
	v_cndmask_b32_e32 v2, v7, v3, vcc
	v_ashrrev_i32_e32 v3, 31, v2
	v_lshl_add_u64 v[12:13], v[2:3], 2, s[6:7]
	v_add_u32_e32 v2, v1, v6
	v_ashrrev_i32_e32 v2, 4, v2
	v_cmp_gt_i32_e32 vcc, s33, v1
	s_nop 1
	v_cndmask_b32_e32 v2, v7, v2, vcc
	v_ashrrev_i32_e32 v3, 31, v2
	v_lshl_add_u64 v[14:15], v[2:3], 2, s[6:7]
	global_load_dword v2, v[4:5], off
	global_load_dword v6, v[8:9], off
	;; [unrolled: 1-line block ×4, first 2 shown]
	s_andn2_b64 vcc, exec, s[14:15]
	s_cbranch_vccnz .LBB433_8
; %bb.6:
	s_add_u32 s12, s12, s16
	s_addc_u32 s13, s13, s17
	s_load_dword s5, s[12:13], 0x0
	s_branch .LBB433_9
.LBB433_7:
	s_mov_b64 s[8:9], 0
	s_branch .LBB433_2
.LBB433_8:
	s_mov_b32 s5, s2
.LBB433_9:
	s_load_dwordx4 s[44:47], s[0:1], 0x48
	v_lshrrev_b32_e32 v37, 6, v0
	v_bfe_u32 v54, v0, 4, 2
	v_lshl_or_b32 v1, v37, 2, v54
	v_and_b32_e32 v36, 15, v0
	v_lshlrev_b32_e32 v3, 3, v36
	v_cmp_gt_u32_e32 vcc, 14, v1
	v_cmp_gt_u32_e64 s[30:31], 8, v36
	v_and_b32_e32 v55, 63, v0
	s_mul_i32 s42, s4, 14
	s_and_b64 s[14:15], s[30:31], vcc
	v_lshlrev_b32_e32 v34, 1, v3
	s_and_saveexec_b64 s[12:13], s[14:15]
	s_cbranch_execz .LBB433_11
; %bb.10:
	s_load_dwordx2 s[14:15], s[0:1], 0x0
	s_waitcnt lgkmcnt(0)
	s_ashr_i32 s16, s44, 31
	s_mul_hi_u32 s17, s5, s44
	s_mul_i32 s16, s5, s16
	s_add_i32 s17, s17, s16
	s_mul_i32 s16, s5, s44
	s_lshl_b64 s[16:17], s[16:17], 1
	s_add_u32 s14, s14, s16
	v_add_lshl_u32 v4, v1, s42, 6
	s_addc_u32 s15, s15, s17
	v_ashrrev_i32_e32 v5, 31, v4
	v_lshl_add_u64 v[4:5], v[4:5], 1, s[14:15]
	v_mov_b32_e32 v35, 0
	v_lshl_add_u64 v[4:5], v[4:5], 0, v[34:35]
	global_load_dwordx4 v[12:15], v[4:5], off
	v_and_b32_e32 v3, 3, v0
	v_lshlrev_b32_e32 v4, 9, v36
	v_lshlrev_b32_e32 v1, 5, v1
	;; [unrolled: 1-line block ×3, first 2 shown]
	v_and_b32_e32 v4, 0x1800, v4
	v_or3_b32 v1, v4, v3, v1
	s_waitcnt vmcnt(0)
	ds_write_b128 v1, v[12:15]
.LBB433_11:
	s_or_b64 exec, exec, s[12:13]
	s_waitcnt lgkmcnt(0)
	s_mul_i32 s4, s4, s46
	s_mov_b32 s5, 0
	s_lshl_b64 s[4:5], s[4:5], 1
	s_add_u32 s8, s8, s4
	v_lshlrev_b32_e32 v1, 4, v0
	s_addc_u32 s9, s9, s5
	v_and_b32_e32 v30, 0xf0, v1
	v_mov_b32_e32 v31, 0
	v_lshl_add_u64 v[18:19], s[8:9], 0, v[30:31]
	s_waitcnt vmcnt(3)
	v_mad_i64_i32 v[2:3], s[8:9], v2, s45, 0
	v_lshl_add_u64 v[2:3], v[2:3], 1, v[18:19]
	v_and_b32_e32 v30, 0x300, v1
	v_lshl_add_u64 v[14:15], v[2:3], 0, v[30:31]
	s_load_dword s29, s[0:1], 0x98
	s_load_dword s12, s[0:1], 0x1c
	s_waitcnt lgkmcnt(0)
	s_barrier
	global_load_dwordx4 v[2:5], v[14:15], off
	global_load_dwordx4 v[26:29], v[14:15], off offset:1024
	s_waitcnt vmcnt(3)
	v_mad_i64_i32 v[10:11], s[8:9], v10, s45, 0
	v_lshl_add_u64 v[10:11], v[10:11], 1, v[18:19]
	v_lshl_add_u64 v[38:39], v[10:11], 0, v[30:31]
	global_load_dwordx4 v[10:13], v[38:39], off
	global_load_dwordx4 v[56:59], v[38:39], off offset:1024
	v_mad_i64_i32 v[6:7], s[8:9], v6, s45, 0
	v_lshl_add_u64 v[6:7], v[6:7], 1, v[18:19]
	v_lshl_add_u64 v[32:33], v[6:7], 0, v[30:31]
	global_load_dwordx4 v[6:9], v[32:33], off
	global_load_dwordx4 v[46:49], v[32:33], off offset:1024
	s_waitcnt vmcnt(6)
	v_mad_i64_i32 v[16:17], s[8:9], v16, s45, 0
	v_lshl_add_u64 v[16:17], v[16:17], 1, v[18:19]
	v_lshl_add_u64 v[40:41], v[16:17], 0, v[30:31]
	global_load_dwordx4 v[18:21], v[40:41], off
	v_add_u32_e32 v16, -14, v36
	v_cmp_gt_u32_e32 vcc, 14, v36
	global_load_dwordx4 v[38:41], v[40:41], off offset:1024
	v_and_or_b32 v30, v0, 48, s18
	v_cndmask_b32_e32 v16, v16, v36, vcc
	v_lshlrev_b32_e32 v16, 5, v16
	v_lshl_add_u32 v16, v54, 9, v16
	ds_read_b128 v[22:25], v16
	v_mov_b32_e32 v68, s19
	v_cmp_gt_i32_e32 vcc, s33, v30
	v_or_b32_e32 v32, 64, v30
	ds_read_b128 v[14:17], v16 offset:2048
	v_lshlrev_b32_e32 v35, 5, v36
	s_add_u32 s4, s10, s4
	s_addc_u32 s5, s11, s5
	s_mov_b32 s43, 0xff7fffff
	s_waitcnt vmcnt(7) lgkmcnt(1)
	v_mfma_f32_16x16x16_bf16 v[42:45], v[2:3], v[22:23], 0
	v_ashrrev_i32_e32 v2, 4, v30
	v_cndmask_b32_e32 v2, v68, v2, vcc
	v_ashrrev_i32_e32 v3, 31, v2
	s_waitcnt vmcnt(5)
	v_mfma_f32_16x16x16_bf16 v[60:63], v[10:11], v[22:23], 0
	v_lshl_add_u64 v[10:11], v[2:3], 2, s[6:7]
	v_cmp_gt_i32_e32 vcc, s33, v32
	v_mfma_f32_16x16x16_bf16 v[2:5], v[4:5], v[24:25], v[42:45]
	s_nop 2
	global_load_dword v42, v[10:11], off
	s_waitcnt vmcnt(4)
	v_mfma_f32_16x16x16_bf16 v[50:53], v[6:7], v[22:23], 0
	v_ashrrev_i32_e32 v6, 4, v32
	v_cndmask_b32_e32 v6, v68, v6, vcc
	v_ashrrev_i32_e32 v7, 31, v6
	v_lshl_add_u64 v[10:11], v[6:7], 2, s[6:7]
	global_load_dword v43, v[10:11], off
	s_waitcnt vmcnt(3)
	v_mfma_f32_16x16x16_bf16 v[64:67], v[18:19], v[22:23], 0
	v_or_b32_e32 v22, 0x80, v30
	v_or_b32_e32 v23, 0xc0, v30
	v_ashrrev_i32_e32 v30, 4, v22
	v_cmp_gt_i32_e32 vcc, s33, v22
	v_ashrrev_i32_e32 v32, 4, v23
	v_mfma_f32_16x16x16_bf16 v[6:9], v[8:9], v[24:25], v[50:53]
	v_cndmask_b32_e32 v22, v68, v30, vcc
	v_cmp_gt_i32_e32 vcc, s33, v23
	v_ashrrev_i32_e32 v23, 31, v22
	v_mfma_f32_16x16x16_bf16 v[10:13], v[12:13], v[24:25], v[60:63]
	v_lshl_or_b32 v30, v37, 9, v35
	v_mfma_f32_16x16x16_bf16 v[18:21], v[20:21], v[24:25], v[64:67]
	v_cndmask_b32_e32 v24, v68, v32, vcc
	v_ashrrev_i32_e32 v25, 31, v24
	v_lshl_add_u64 v[32:33], v[24:25], 2, s[6:7]
	s_waitcnt lgkmcnt(0)
	v_mfma_f32_16x16x16_bf16 v[2:5], v[26:27], v[14:15], v[2:5]
	v_lshl_add_u64 v[26:27], v[22:23], 2, s[6:7]
	global_load_dword v60, v[26:27], off
	global_load_dword v61, v[32:33], off
	v_mfma_f32_16x16x16_bf16 v[6:9], v[46:47], v[14:15], v[6:9]
	v_mfma_f32_16x16x16_bf16 v[22:25], v[56:57], v[14:15], v[10:13]
	s_waitcnt vmcnt(4)
	v_mfma_f32_16x16x16_bf16 v[18:21], v[38:39], v[14:15], v[18:21]
	s_nop 0
	v_lshl_add_u64 v[10:11], s[4:5], 0, v[30:31]
	s_waitcnt vmcnt(3)
	v_mad_i64_i32 v[26:27], s[4:5], v42, s45, 0
	v_mfma_f32_16x16x16_bf16 v[12:15], v[28:29], v[16:17], v[2:5]
	v_lshl_add_u64 v[30:31], v[26:27], 1, v[10:11]
	s_waitcnt vmcnt(2)
	v_mad_i64_i32 v[32:33], s[4:5], v43, s45, 0
	v_mfma_f32_16x16x16_bf16 v[26:29], v[48:49], v[16:17], v[6:9]
	s_nop 2
	v_pk_mul_f32 v[50:51], s[12:13], v[14:15] op_sel_hi:[0,1]
	v_pk_mul_f32 v[12:13], s[12:13], v[12:13] op_sel_hi:[0,1]
	v_lshl_add_u64 v[56:57], v[32:33], 1, v[10:11]
	v_mfma_f32_16x16x16_bf16 v[22:25], v[58:59], v[16:17], v[22:25]
	global_load_dwordx4 v[6:9], v[30:31], off
	global_load_dwordx4 v[2:5], v[30:31], off offset:16
	v_pk_mul_f32 v[42:43], s[12:13], v[26:27] op_sel_hi:[0,1]
	v_pk_mul_f32 v[52:53], s[12:13], v[28:29] op_sel_hi:[0,1]
	v_mfma_f32_16x16x16_bf16 v[14:17], v[40:41], v[16:17], v[18:21]
	s_nop 1
	v_pk_mul_f32 v[46:47], s[12:13], v[22:23] op_sel_hi:[0,1]
	v_pk_mul_f32 v[48:49], s[12:13], v[24:25] op_sel_hi:[0,1]
	global_load_dwordx4 v[30:33], v[56:57], off
	global_load_dwordx4 v[26:29], v[56:57], off offset:16
	s_nop 0
	v_pk_mul_f32 v[44:45], s[12:13], v[14:15] op_sel_hi:[0,1]
	v_and_b32_e32 v14, 0xc0, v0
	v_add_u32_e32 v14, s18, v14
	v_lshl_or_b32 v14, v54, 2, v14
	v_pk_mul_f32 v[38:39], s[12:13], v[16:17] op_sel_hi:[0,1]
	v_or_b32_e32 v17, 1, v14
	v_mov_b32_e32 v15, 0xff7fffff
	v_cmp_gt_i32_e64 s[4:5], s33, v14
	v_cmp_gt_i32_e64 s[34:35], s33, v17
	v_or_b32_e32 v18, 3, v14
	v_cndmask_b32_e64 v16, v15, v12, s[4:5]
	v_cndmask_b32_e64 v17, v15, v13, s[34:35]
	v_max3_f32 v16, v16, s43, v17
	v_or_b32_e32 v17, 2, v14
	v_cmp_gt_i32_e64 s[36:37], s33, v17
	v_cmp_gt_i32_e64 s[38:39], s33, v18
	s_nop 0
	v_cndmask_b32_e64 v17, v15, v50, s[36:37]
	v_cndmask_b32_e64 v18, v15, v51, s[38:39]
	v_max3_f32 v16, v16, v17, v18
	v_or_b32_e32 v17, 16, v14
	v_or_b32_e32 v18, 17, v14
	v_cmp_gt_i32_e64 s[24:25], s33, v17
	v_cmp_gt_i32_e64 s[26:27], s33, v18
	s_nop 0
	v_cndmask_b32_e64 v17, v15, v42, s[24:25]
	v_cndmask_b32_e64 v18, v15, v43, s[26:27]
	v_max3_f32 v16, v16, v17, v18
	v_or_b32_e32 v17, 18, v14
	;; [unrolled: 8-line block ×6, first 2 shown]
	v_or_b32_e32 v14, 51, v14
	v_cmp_gt_i32_e32 vcc, s33, v17
	v_cmp_gt_i32_e64 s[6:7], s33, v14
	s_nop 0
	v_cndmask_b32_e32 v17, v15, v38, vcc
	v_cndmask_b32_e64 v14, v15, v39, s[6:7]
	v_max3_f32 v16, v16, v17, v14
	v_mbcnt_lo_u32_b32 v14, -1, 0
	v_mbcnt_hi_u32_b32 v17, -1, v14
	v_and_b32_e32 v14, 64, v17
	v_add_u32_e32 v18, 64, v14
	v_xor_b32_e32 v14, 32, v17
	v_cmp_lt_i32_e64 s[40:41], v14, v18
	s_nop 1
	v_cndmask_b32_e64 v14, v17, v14, s[40:41]
	v_lshlrev_b32_e32 v58, 2, v14
	ds_bpermute_b32 v19, v58, v16
	s_waitcnt vmcnt(5)
	v_mad_i64_i32 v[14:15], s[40:41], v60, s45, 0
	v_lshl_add_u64 v[14:15], v[14:15], 1, v[10:11]
	s_waitcnt lgkmcnt(0)
	v_max_f32_e32 v19, v19, v19
	v_max_f32_e32 v16, v16, v19
	v_xor_b32_e32 v19, 16, v17
	v_cmp_lt_i32_e64 s[40:41], v19, v18
	s_nop 1
	v_cndmask_b32_e64 v17, v17, v19, s[40:41]
	v_lshlrev_b32_e32 v57, 2, v17
	ds_bpermute_b32 v17, v57, v16
	global_load_dwordx4 v[22:25], v[14:15], off
	global_load_dwordx4 v[18:21], v[14:15], off offset:16
	s_waitcnt vmcnt(6)
	v_mad_i64_i32 v[14:15], s[40:41], v61, s45, 0
	v_lshl_add_u64 v[10:11], v[14:15], 1, v[10:11]
	s_waitcnt lgkmcnt(0)
	v_max_f32_e32 v14, v17, v17
	v_max_f32_e32 v56, v16, v14
	v_sub_f32_e32 v12, v12, v56
	v_mul_f32_e32 v12, 0x3fb8aa3b, v12
	v_exp_f32_e32 v40, v12
	v_sub_f32_e32 v12, v13, v56
	v_mul_f32_e32 v12, 0x3fb8aa3b, v12
	v_exp_f32_e32 v41, v12
	global_load_dwordx4 v[14:17], v[10:11], off
	s_nop 0
	global_load_dwordx4 v[10:13], v[10:11], off offset:16
	v_sub_f32_e32 v50, v50, v56
	v_mul_f32_e32 v50, 0x3fb8aa3b, v50
	v_sub_f32_e32 v51, v51, v56
	v_exp_f32_e32 v50, v50
	v_mul_f32_e32 v51, 0x3fb8aa3b, v51
	v_sub_f32_e32 v42, v42, v56
	v_exp_f32_e32 v51, v51
	v_mul_f32_e32 v42, 0x3fb8aa3b, v42
	v_sub_f32_e32 v43, v43, v56
	v_cndmask_b32_e64 v40, 0, v40, s[4:5]
	v_exp_f32_e32 v42, v42
	v_mul_f32_e32 v43, 0x3fb8aa3b, v43
	v_sub_f32_e32 v52, v52, v56
	v_add_f32_e32 v59, 0, v40
	v_cndmask_b32_e64 v41, 0, v41, s[34:35]
	v_exp_f32_e32 v43, v43
	v_mul_f32_e32 v52, 0x3fb8aa3b, v52
	v_sub_f32_e32 v53, v53, v56
	v_add_f32_e32 v59, v59, v41
	;; [unrolled: 5-line block ×10, first 2 shown]
	v_cndmask_b32_e64 v48, 0, v48, s[12:13]
	v_exp_f32_e32 v38, v38
	v_mul_f32_e32 v39, 0x3fb8aa3b, v39
	v_add_f32_e32 v59, v59, v48
	v_cndmask_b32_e64 v49, 0, v49, s[14:15]
	v_exp_f32_e32 v39, v39
	v_add_f32_e32 v59, v59, v49
	v_cndmask_b32_e64 v44, 0, v44, s[8:9]
	v_add_f32_e32 v59, v59, v44
	v_cndmask_b32_e64 v45, 0, v45, s[10:11]
	v_add_f32_e32 v59, v59, v45
	v_cndmask_b32_e32 v38, 0, v38, vcc
	v_add_f32_e32 v59, v59, v38
	v_cndmask_b32_e64 v39, 0, v39, s[6:7]
	v_add_f32_e32 v59, v59, v39
	ds_bpermute_b32 v58, v58, v59
	v_cmp_gt_u32_e32 vcc, 16, v55
	s_waitcnt lgkmcnt(0)
	s_barrier
	v_add_f32_e32 v58, v59, v58
	ds_bpermute_b32 v59, v57, v58
	v_lshlrev_b32_e32 v57, 2, v36
	s_and_saveexec_b64 s[4:5], vcc
	s_cbranch_execz .LBB433_13
; %bb.12:
	s_waitcnt lgkmcnt(0)
	v_add_f32_e32 v55, v58, v59
	v_lshl_or_b32 v58, v37, 6, v57
	ds_write2st64_b32 v58, v56, v55 offset1:1
.LBB433_13:
	s_or_b64 exec, exec, s[4:5]
	s_load_dword s6, s[0:1], 0x94
	s_waitcnt lgkmcnt(0)
	s_barrier
	ds_read2_b32 v[58:59], v57 offset1:16
	ds_read2_b32 v[60:61], v57 offset0:32 offset1:48
	ds_read2_b32 v[62:63], v57 offset0:64 offset1:80
	s_movk_i32 s8, 0x7fff
	s_mov_b32 s9, 0x7060302
	s_waitcnt lgkmcnt(2)
	v_max3_f32 v55, v58, s43, v59
	s_waitcnt lgkmcnt(1)
	v_max3_f32 v55, v55, v60, v61
	v_sub_f32_e32 v56, v58, v55
	v_mul_f32_e32 v56, 0x3fb8aa3b, v56
	v_exp_f32_e32 v64, v56
	v_sub_f32_e32 v56, v59, v55
	v_mul_f32_e32 v56, 0x3fb8aa3b, v56
	v_exp_f32_e32 v65, v56
	;; [unrolled: 3-line block ×3, first 2 shown]
	ds_read2_b32 v[58:59], v57 offset0:96 offset1:112
	v_sub_f32_e32 v56, v61, v55
	v_mul_f32_e32 v56, 0x3fb8aa3b, v56
	v_exp_f32_e32 v57, v56
	s_waitcnt lgkmcnt(1)
	v_fma_f32 v56, v64, v62, 0
	v_fmac_f32_e32 v56, v65, v63
	s_waitcnt lgkmcnt(0)
	v_fmac_f32_e32 v56, v60, v58
	v_fmac_f32_e32 v56, v57, v59
	v_add_f32_e32 v58, 0x358637bd, v56
	v_div_scale_f32 v59, s[4:5], v58, v58, 1.0
	v_rcp_f32_e32 v61, v59
	s_barrier
	v_fma_f32 v62, -v59, v61, 1.0
	v_fmac_f32_e32 v61, v62, v61
	v_div_scale_f32 v62, vcc, 1.0, v58, 1.0
	v_mul_f32_e32 v63, v62, v61
	v_fma_f32 v66, -v59, v63, v62
	v_fmac_f32_e32 v63, v66, v61
	v_fma_f32 v59, -v59, v63, v62
	v_div_fmas_f32 v59, v59, v61, v63
	v_cmp_eq_u32_e32 vcc, 1, v37
	v_div_fixup_f32 v58, v59, v58, 1.0
	s_mul_i32 s7, s29, 14
	v_cndmask_b32_e32 v59, v64, v65, vcc
	v_cmp_eq_u32_e32 vcc, 2, v37
	s_nop 1
	v_cndmask_b32_e32 v59, v59, v60, vcc
	v_cmp_eq_u32_e32 vcc, 3, v37
	v_lshlrev_b32_e32 v37, 11, v37
	s_nop 0
	v_cndmask_b32_e32 v57, v59, v57, vcc
	v_mul_f32_e32 v58, v57, v58
	v_pk_mul_f32 v[40:41], v[58:59], v[40:41] op_sel_hi:[0,1]
	v_pk_mul_f32 v[50:51], v[58:59], v[50:51] op_sel_hi:[0,1]
	v_bfe_u32 v57, v41, 16, 1
	v_bfe_u32 v59, v40, 16, 1
	v_add3_u32 v40, v40, v59, s8
	v_add3_u32 v41, v41, v57, s8
	v_perm_b32 v60, v41, v40, s9
	v_bfe_u32 v40, v51, 16, 1
	v_bfe_u32 v41, v50, 16, 1
	v_add3_u32 v41, v50, v41, s8
	v_add3_u32 v40, v51, v40, s8
	v_perm_b32 v61, v40, v41, s9
	v_lshlrev_b32_e32 v40, 3, v54
	v_pk_mul_f32 v[42:43], v[58:59], v[42:43] op_sel_hi:[0,1]
	v_or3_b32 v40, v37, v35, v40
	v_bfe_u32 v37, v43, 16, 1
	v_bfe_u32 v41, v42, 16, 1
	v_pk_mul_f32 v[50:51], v[58:59], v[52:53] op_sel_hi:[0,1]
	v_add3_u32 v41, v42, v41, s8
	v_add3_u32 v37, v43, v37, s8
	v_perm_b32 v42, v37, v41, s9
	v_bfe_u32 v37, v51, 16, 1
	v_bfe_u32 v41, v50, 16, 1
	v_add3_u32 v41, v50, v41, s8
	v_add3_u32 v37, v51, v37, s8
	v_pk_mul_f32 v[46:47], v[58:59], v[46:47] op_sel_hi:[0,1]
	v_perm_b32 v43, v37, v41, s9
	v_bfe_u32 v37, v47, 16, 1
	v_bfe_u32 v41, v46, 16, 1
	ds_write2st64_b64 v40, v[60:61], v[42:43] offset1:1
	v_pk_mul_f32 v[42:43], v[58:59], v[48:49] op_sel_hi:[0,1]
	v_add3_u32 v41, v46, v41, s8
	v_add3_u32 v37, v47, v37, s8
	v_perm_b32 v46, v37, v41, s9
	v_bfe_u32 v37, v43, 16, 1
	v_bfe_u32 v41, v42, 16, 1
	v_add3_u32 v41, v42, v41, s8
	v_add3_u32 v37, v43, v37, s8
	v_pk_mul_f32 v[42:43], v[58:59], v[44:45] op_sel_hi:[0,1]
	v_perm_b32 v47, v37, v41, s9
	v_bfe_u32 v37, v43, 16, 1
	v_bfe_u32 v41, v42, 16, 1
	v_pk_mul_f32 v[38:39], v[58:59], v[38:39] op_sel_hi:[0,1]
	v_add3_u32 v41, v42, v41, s8
	v_add3_u32 v37, v43, v37, s8
	v_perm_b32 v42, v37, v41, s9
	v_bfe_u32 v37, v39, 16, 1
	v_bfe_u32 v41, v38, 16, 1
	v_add3_u32 v38, v38, v41, s8
	v_add3_u32 v37, v39, v37, s8
	v_perm_b32 v43, v37, v38, s9
	v_cmp_gt_u32_e32 vcc, 14, v0
	ds_write2st64_b64 v40, v[46:47], v[42:43] offset0:2 offset1:3
	s_and_saveexec_b64 s[4:5], vcc
	s_cbranch_execz .LBB433_15
; %bb.14:
	s_mov_b32 s43, 0
	v_mov_b32_e32 v37, 0
	v_lshl_add_u64 v[38:39], s[42:43], 0, v[36:37]
	v_mov_b32_e32 v36, s7
	v_mad_u64_u32 v[38:39], s[10:11], s2, v36, v[38:39]
	v_mov_b32_e32 v36, s28
	s_load_dwordx4 s[12:15], s[0:1], 0x58
	s_mul_i32 s3, s3, s7
	v_mad_u64_u32 v[36:37], s[10:11], v38, s6, v[36:37]
	v_add_u32_e32 v39, s3, v39
	v_mov_b32_e32 v38, v37
	v_mad_u64_u32 v[38:39], s[10:11], v39, s6, v[38:39]
	v_mov_b32_e32 v37, v38
	v_lshlrev_b64 v[36:37], 2, v[36:37]
	s_waitcnt lgkmcnt(0)
	v_lshl_add_u64 v[38:39], s[14:15], 0, v[36:37]
	v_lshl_add_u64 v[36:37], s[12:13], 0, v[36:37]
	global_store_dword v[38:39], v55, off
	global_store_dword v[36:37], v56, off
.LBB433_15:
	s_or_b64 exec, exec, s[4:5]
	v_lshl_or_b32 v35, v54, 9, v35
	s_waitcnt lgkmcnt(0)
	s_barrier
	ds_read_b128 v[36:39], v35
	ds_read_b128 v[42:45], v35 offset:16
	s_waitcnt vmcnt(7) lgkmcnt(1)
	v_mfma_f32_16x16x16_bf16 v[46:49], v[6:7], v[36:37], 0
	v_cmp_gt_u32_e32 vcc, 64, v0
	s_mov_b32 s3, 0
	s_and_b64 s[4:5], vcc, s[30:31]
	v_mfma_f32_16x16x16_bf16 v[6:9], v[8:9], v[38:39], v[46:49]
	s_waitcnt vmcnt(6) lgkmcnt(0)
	v_mfma_f32_16x16x16_bf16 v[6:9], v[2:3], v[42:43], v[6:9]
	v_mfma_f32_16x16x16_bf16 v[2:5], v[4:5], v[44:45], v[6:9]
	s_nop 5
	ds_read_b128 v[6:9], v35 offset:2048
	ds_read_b128 v[36:39], v35 offset:2064
	s_waitcnt vmcnt(5) lgkmcnt(1)
	v_mfma_f32_16x16x16_bf16 v[2:5], v[30:31], v[6:7], v[2:5]
	v_mfma_f32_16x16x16_bf16 v[2:5], v[32:33], v[8:9], v[2:5]
	s_waitcnt vmcnt(4) lgkmcnt(0)
	v_mfma_f32_16x16x16_bf16 v[2:5], v[26:27], v[36:37], v[2:5]
	v_mfma_f32_16x16x16_bf16 v[2:5], v[28:29], v[38:39], v[2:5]
	ds_read_b128 v[6:9], v35 offset:4096
	ds_read_b128 v[26:29], v35 offset:4112
	s_waitcnt vmcnt(3) lgkmcnt(1)
	v_mfma_f32_16x16x16_bf16 v[2:5], v[22:23], v[6:7], v[2:5]
	v_mfma_f32_16x16x16_bf16 v[2:5], v[24:25], v[8:9], v[2:5]
	s_waitcnt vmcnt(2) lgkmcnt(0)
	v_mfma_f32_16x16x16_bf16 v[2:5], v[18:19], v[26:27], v[2:5]
	v_mfma_f32_16x16x16_bf16 v[2:5], v[20:21], v[28:29], v[2:5]
	ds_read_b128 v[6:9], v35 offset:6144
	ds_read_b128 v[18:21], v35 offset:6160
	v_mov_b32_e32 v35, 0
	s_waitcnt vmcnt(1) lgkmcnt(0)
	v_mfma_f32_16x16x16_bf16 v[2:5], v[14:15], v[6:7], v[2:5]
	s_barrier
	v_mfma_f32_16x16x16_bf16 v[2:5], v[16:17], v[8:9], v[2:5]
	s_waitcnt vmcnt(0)
	v_mfma_f32_16x16x16_bf16 v[2:5], v[10:11], v[18:19], v[2:5]
	v_mfma_f32_16x16x16_bf16 v[2:5], v[12:13], v[20:21], v[2:5]
	s_nop 6
	v_bfe_u32 v6, v3, 16, 1
	v_bfe_u32 v7, v2, 16, 1
	;; [unrolled: 1-line block ×4, first 2 shown]
	v_add3_u32 v2, v2, v7, s8
	v_add3_u32 v3, v3, v6, s8
	v_add3_u32 v4, v4, v9, s8
	v_add3_u32 v5, v5, v8, s8
	v_perm_b32 v2, v3, v2, s9
	v_perm_b32 v3, v5, v4, s9
	ds_write_b64 v40, v[2:3]
	s_waitcnt lgkmcnt(0)
	s_barrier
	s_and_saveexec_b64 s[8:9], s[4:5]
	s_cbranch_execz .LBB433_18
; %bb.16:
	s_load_dwordx2 s[4:5], s[0:1], 0x68
	s_lshl_b32 s0, s6, 6
	s_mul_i32 s1, s7, s2
	s_mul_hi_u32 s7, s1, s0
	s_mul_i32 s6, s1, s0
	v_lshlrev_b32_e32 v0, 10, v0
	s_lshl_b64 s[6:7], s[6:7], 1
	v_and_b32_e32 v0, 0x1800, v0
	v_lshlrev_b32_e32 v2, 5, v54
	v_and_b32_e32 v1, 16, v1
	s_waitcnt lgkmcnt(0)
	s_add_u32 s1, s4, s6
	v_or3_b32 v2, v0, v2, v1
	s_addc_u32 s4, s5, s7
	s_lshl_b32 s2, s28, 6
	ds_read_b128 v[4:7], v2 offset:256
	s_lshl_b64 s[2:3], s[2:3], 1
	ds_read_b128 v[8:11], v2 offset:128
	ds_read_b128 v[12:15], v2
	s_add_u32 s2, s1, s2
	s_addc_u32 s3, s4, s3
	v_add_u32_e32 v18, s42, v54
	v_lshl_add_u64 v[0:1], s[2:3], 0, v[34:35]
	v_mad_u64_u32 v[16:17], s[2:3], v18, s0, 0
	v_lshl_add_u64 v[16:17], v[16:17], 1, v[0:1]
	s_waitcnt lgkmcnt(0)
	global_store_dwordx4 v[16:17], v[12:15], off
	v_or_b32_e32 v3, 12, v54
	v_cmp_gt_u32_e32 vcc, 14, v3
	v_add_u32_e32 v12, 4, v18
	v_mad_u64_u32 v[12:13], s[2:3], v12, s0, 0
	v_lshl_add_u64 v[12:13], v[12:13], 1, v[0:1]
	global_store_dwordx4 v[12:13], v[8:11], off
	s_nop 1
	v_add_u32_e32 v8, 8, v18
	v_mad_u64_u32 v[8:9], s[2:3], v8, s0, 0
	v_lshl_add_u64 v[8:9], v[8:9], 1, v[0:1]
	global_store_dwordx4 v[8:9], v[4:7], off
	s_and_b64 exec, exec, vcc
	s_cbranch_execz .LBB433_18
; %bb.17:
	ds_read_b128 v[4:7], v2 offset:384
	v_add_u32_e32 v2, s42, v3
	v_mad_u64_u32 v[2:3], s[0:1], v2, s0, 0
	v_lshl_add_u64 v[0:1], v[2:3], 1, v[0:1]
	s_waitcnt lgkmcnt(0)
	global_store_dwordx4 v[0:1], v[4:7], off
.LBB433_18:
	s_endpgm
	.section	.rodata,"a",@progbits
	.p2align	6, 0x0
	.amdhsa_kernel _Z39paged_attention_ll4mi_QKV_mfma16_kernelI14__hip_bfloat16S0_LN4vllm18Fp8KVCacheDataTypeE0EhLi16ELi64ELi256ELb0ELi14EEvPKT_PKT0_S8_ifPKiSA_SA_iPKfiiiPfSD_PS3_PT2_iSC_SC_
		.amdhsa_group_segment_fixed_size 8192
		.amdhsa_private_segment_fixed_size 0
		.amdhsa_kernarg_size 400
		.amdhsa_user_sgpr_count 2
		.amdhsa_user_sgpr_dispatch_ptr 0
		.amdhsa_user_sgpr_queue_ptr 0
		.amdhsa_user_sgpr_kernarg_segment_ptr 1
		.amdhsa_user_sgpr_dispatch_id 0
		.amdhsa_user_sgpr_kernarg_preload_length 0
		.amdhsa_user_sgpr_kernarg_preload_offset 0
		.amdhsa_user_sgpr_private_segment_size 0
		.amdhsa_uses_dynamic_stack 0
		.amdhsa_enable_private_segment 0
		.amdhsa_system_sgpr_workgroup_id_x 1
		.amdhsa_system_sgpr_workgroup_id_y 1
		.amdhsa_system_sgpr_workgroup_id_z 1
		.amdhsa_system_sgpr_workgroup_info 0
		.amdhsa_system_vgpr_workitem_id 0
		.amdhsa_next_free_vgpr 69
		.amdhsa_next_free_sgpr 48
		.amdhsa_accum_offset 72
		.amdhsa_reserve_vcc 1
		.amdhsa_float_round_mode_32 0
		.amdhsa_float_round_mode_16_64 0
		.amdhsa_float_denorm_mode_32 3
		.amdhsa_float_denorm_mode_16_64 3
		.amdhsa_dx10_clamp 1
		.amdhsa_ieee_mode 1
		.amdhsa_fp16_overflow 0
		.amdhsa_tg_split 0
		.amdhsa_exception_fp_ieee_invalid_op 0
		.amdhsa_exception_fp_denorm_src 0
		.amdhsa_exception_fp_ieee_div_zero 0
		.amdhsa_exception_fp_ieee_overflow 0
		.amdhsa_exception_fp_ieee_underflow 0
		.amdhsa_exception_fp_ieee_inexact 0
		.amdhsa_exception_int_div_zero 0
	.end_amdhsa_kernel
	.section	.text._Z39paged_attention_ll4mi_QKV_mfma16_kernelI14__hip_bfloat16S0_LN4vllm18Fp8KVCacheDataTypeE0EhLi16ELi64ELi256ELb0ELi14EEvPKT_PKT0_S8_ifPKiSA_SA_iPKfiiiPfSD_PS3_PT2_iSC_SC_,"axG",@progbits,_Z39paged_attention_ll4mi_QKV_mfma16_kernelI14__hip_bfloat16S0_LN4vllm18Fp8KVCacheDataTypeE0EhLi16ELi64ELi256ELb0ELi14EEvPKT_PKT0_S8_ifPKiSA_SA_iPKfiiiPfSD_PS3_PT2_iSC_SC_,comdat
.Lfunc_end433:
	.size	_Z39paged_attention_ll4mi_QKV_mfma16_kernelI14__hip_bfloat16S0_LN4vllm18Fp8KVCacheDataTypeE0EhLi16ELi64ELi256ELb0ELi14EEvPKT_PKT0_S8_ifPKiSA_SA_iPKfiiiPfSD_PS3_PT2_iSC_SC_, .Lfunc_end433-_Z39paged_attention_ll4mi_QKV_mfma16_kernelI14__hip_bfloat16S0_LN4vllm18Fp8KVCacheDataTypeE0EhLi16ELi64ELi256ELb0ELi14EEvPKT_PKT0_S8_ifPKiSA_SA_iPKfiiiPfSD_PS3_PT2_iSC_SC_
                                        ; -- End function
	.section	.AMDGPU.csdata,"",@progbits
; Kernel info:
; codeLenInByte = 4108
; NumSgprs: 54
; NumVgprs: 69
; NumAgprs: 0
; TotalNumVgprs: 69
; ScratchSize: 0
; MemoryBound: 0
; FloatMode: 240
; IeeeMode: 1
; LDSByteSize: 8192 bytes/workgroup (compile time only)
; SGPRBlocks: 6
; VGPRBlocks: 8
; NumSGPRsForWavesPerEU: 54
; NumVGPRsForWavesPerEU: 69
; AccumOffset: 72
; Occupancy: 7
; WaveLimiterHint : 1
; COMPUTE_PGM_RSRC2:SCRATCH_EN: 0
; COMPUTE_PGM_RSRC2:USER_SGPR: 2
; COMPUTE_PGM_RSRC2:TRAP_HANDLER: 0
; COMPUTE_PGM_RSRC2:TGID_X_EN: 1
; COMPUTE_PGM_RSRC2:TGID_Y_EN: 1
; COMPUTE_PGM_RSRC2:TGID_Z_EN: 1
; COMPUTE_PGM_RSRC2:TIDIG_COMP_CNT: 0
; COMPUTE_PGM_RSRC3_GFX90A:ACCUM_OFFSET: 17
; COMPUTE_PGM_RSRC3_GFX90A:TG_SPLIT: 0
	.section	.text._Z39paged_attention_ll4mi_QKV_mfma16_kernelI14__hip_bfloat16S0_LN4vllm18Fp8KVCacheDataTypeE0EhLi16ELi64ELi256ELb0ELi15EEvPKT_PKT0_S8_ifPKiSA_SA_iPKfiiiPfSD_PS3_PT2_iSC_SC_,"axG",@progbits,_Z39paged_attention_ll4mi_QKV_mfma16_kernelI14__hip_bfloat16S0_LN4vllm18Fp8KVCacheDataTypeE0EhLi16ELi64ELi256ELb0ELi15EEvPKT_PKT0_S8_ifPKiSA_SA_iPKfiiiPfSD_PS3_PT2_iSC_SC_,comdat
	.protected	_Z39paged_attention_ll4mi_QKV_mfma16_kernelI14__hip_bfloat16S0_LN4vllm18Fp8KVCacheDataTypeE0EhLi16ELi64ELi256ELb0ELi15EEvPKT_PKT0_S8_ifPKiSA_SA_iPKfiiiPfSD_PS3_PT2_iSC_SC_ ; -- Begin function _Z39paged_attention_ll4mi_QKV_mfma16_kernelI14__hip_bfloat16S0_LN4vllm18Fp8KVCacheDataTypeE0EhLi16ELi64ELi256ELb0ELi15EEvPKT_PKT0_S8_ifPKiSA_SA_iPKfiiiPfSD_PS3_PT2_iSC_SC_
	.globl	_Z39paged_attention_ll4mi_QKV_mfma16_kernelI14__hip_bfloat16S0_LN4vllm18Fp8KVCacheDataTypeE0EhLi16ELi64ELi256ELb0ELi15EEvPKT_PKT0_S8_ifPKiSA_SA_iPKfiiiPfSD_PS3_PT2_iSC_SC_
	.p2align	8
	.type	_Z39paged_attention_ll4mi_QKV_mfma16_kernelI14__hip_bfloat16S0_LN4vllm18Fp8KVCacheDataTypeE0EhLi16ELi64ELi256ELb0ELi15EEvPKT_PKT0_S8_ifPKiSA_SA_iPKfiiiPfSD_PS3_PT2_iSC_SC_,@function
_Z39paged_attention_ll4mi_QKV_mfma16_kernelI14__hip_bfloat16S0_LN4vllm18Fp8KVCacheDataTypeE0EhLi16ELi64ELi256ELb0ELi15EEvPKT_PKT0_S8_ifPKiSA_SA_iPKfiiiPfSD_PS3_PT2_iSC_SC_: ; @_Z39paged_attention_ll4mi_QKV_mfma16_kernelI14__hip_bfloat16S0_LN4vllm18Fp8KVCacheDataTypeE0EhLi16ELi64ELi256ELb0ELi15EEvPKT_PKT0_S8_ifPKiSA_SA_iPKfiiiPfSD_PS3_PT2_iSC_SC_
; %bb.0:
	s_load_dwordx2 s[12:13], s[0:1], 0x30
	s_mov_b32 s28, s3
	s_mov_b64 s[6:7], 0
	s_waitcnt lgkmcnt(0)
	s_cmp_lg_u64 s[12:13], 0
	s_cselect_b64 s[14:15], -1, 0
	s_and_b64 vcc, exec, s[14:15]
	s_cbranch_vccz .LBB434_7
; %bb.1:
	s_add_i32 s8, s2, 1
	s_mov_b32 s9, 0
	s_lshl_b64 s[10:11], s[8:9], 2
	s_add_u32 s10, s12, s10
	s_mov_b32 s3, s9
	s_addc_u32 s11, s13, s11
	s_lshl_b64 s[8:9], s[2:3], 2
	s_add_u32 s8, s12, s8
	s_addc_u32 s9, s13, s9
	s_load_dword s5, s[10:11], 0x0
	s_load_dword s16, s[8:9], 0x0
	s_waitcnt lgkmcnt(0)
	s_sub_i32 s5, s5, s16
	s_cmp_eq_u32 s5, 1
	s_cselect_b64 s[8:9], -1, 0
	s_andn2_b64 vcc, exec, s[6:7]
	s_cbranch_vccnz .LBB434_3
.LBB434_2:
	s_mov_b32 s3, 0
	s_mov_b64 s[8:9], -1
.LBB434_3:
	s_andn2_b64 vcc, exec, s[8:9]
	s_cbranch_vccnz .LBB434_18
; %bb.4:
	s_load_dwordx2 s[6:7], s[0:1], 0x28
	s_lshl_b64 s[16:17], s[2:3], 2
	s_waitcnt lgkmcnt(0)
	s_add_u32 s6, s6, s16
	s_addc_u32 s7, s7, s17
	s_load_dword s33, s[6:7], 0x0
	s_lshl_b32 s18, s28, 8
	s_waitcnt lgkmcnt(0)
	s_cmp_ge_i32 s18, s33
	s_cbranch_scc1 .LBB434_18
; %bb.5:
	s_load_dwordx2 s[6:7], s[0:1], 0x20
	s_load_dword s5, s[0:1], 0x38
	s_add_i32 s8, s33, 15
	s_ashr_i32 s9, s8, 31
	v_and_b32_e32 v1, 0xcf, v0
	s_lshr_b32 s9, s9, 28
	v_add_u32_e32 v1, s18, v1
	s_add_i32 s8, s8, s9
	v_ashrrev_i32_e32 v2, 31, v1
	s_ashr_i32 s19, s8, 4
	v_lshrrev_b32_e32 v6, 28, v2
	s_add_i32 s19, s19, -1
	s_waitcnt lgkmcnt(0)
	s_mul_i32 s8, s2, s5
	s_mov_b32 s9, 0
	v_add_u32_e32 v2, v1, v6
	s_lshl_b64 s[8:9], s[8:9], 2
	v_ashrrev_i32_e32 v2, 4, v2
	v_mov_b32_e32 v7, s19
	v_cmp_gt_i32_e32 vcc, s33, v1
	s_add_u32 s6, s6, s8
	s_addc_u32 s7, s7, s9
	v_cndmask_b32_e32 v2, v7, v2, vcc
	v_ashrrev_i32_e32 v3, 31, v2
	v_lshl_add_u64 v[4:5], v[2:3], 2, s[6:7]
	v_or_b32_e32 v2, 16, v1
	v_add_u32_e32 v3, v2, v6
	v_ashrrev_i32_e32 v3, 4, v3
	v_cmp_gt_i32_e32 vcc, s33, v2
	s_load_dwordx4 s[8:11], s[0:1], 0x8
	s_nop 0
	v_cndmask_b32_e32 v2, v7, v3, vcc
	v_ashrrev_i32_e32 v3, 31, v2
	v_lshl_add_u64 v[8:9], v[2:3], 2, s[6:7]
	v_or_b32_e32 v2, 32, v1
	v_add_u32_e32 v3, v2, v6
	v_ashrrev_i32_e32 v3, 4, v3
	v_cmp_gt_i32_e32 vcc, s33, v2
	v_or_b32_e32 v1, 48, v1
	s_nop 0
	v_cndmask_b32_e32 v2, v7, v3, vcc
	v_ashrrev_i32_e32 v3, 31, v2
	v_lshl_add_u64 v[12:13], v[2:3], 2, s[6:7]
	v_add_u32_e32 v2, v1, v6
	v_ashrrev_i32_e32 v2, 4, v2
	v_cmp_gt_i32_e32 vcc, s33, v1
	s_nop 1
	v_cndmask_b32_e32 v2, v7, v2, vcc
	v_ashrrev_i32_e32 v3, 31, v2
	v_lshl_add_u64 v[14:15], v[2:3], 2, s[6:7]
	global_load_dword v2, v[4:5], off
	global_load_dword v6, v[8:9], off
	global_load_dword v10, v[12:13], off
	global_load_dword v16, v[14:15], off
	s_andn2_b64 vcc, exec, s[14:15]
	s_cbranch_vccnz .LBB434_8
; %bb.6:
	s_add_u32 s12, s12, s16
	s_addc_u32 s13, s13, s17
	s_load_dword s5, s[12:13], 0x0
	s_branch .LBB434_9
.LBB434_7:
	s_mov_b64 s[8:9], 0
	s_branch .LBB434_2
.LBB434_8:
	s_mov_b32 s5, s2
.LBB434_9:
	s_load_dwordx4 s[44:47], s[0:1], 0x48
	v_lshrrev_b32_e32 v37, 6, v0
	v_bfe_u32 v54, v0, 4, 2
	v_lshl_or_b32 v1, v37, 2, v54
	v_and_b32_e32 v36, 15, v0
	v_lshlrev_b32_e32 v3, 3, v36
	v_cmp_gt_u32_e32 vcc, 15, v1
	v_cmp_gt_u32_e64 s[30:31], 8, v36
	v_and_b32_e32 v55, 63, v0
	s_mul_i32 s42, s4, 15
	s_and_b64 s[14:15], s[30:31], vcc
	v_lshlrev_b32_e32 v34, 1, v3
	s_and_saveexec_b64 s[12:13], s[14:15]
	s_cbranch_execz .LBB434_11
; %bb.10:
	s_load_dwordx2 s[14:15], s[0:1], 0x0
	s_waitcnt lgkmcnt(0)
	s_ashr_i32 s16, s44, 31
	s_mul_hi_u32 s17, s5, s44
	s_mul_i32 s16, s5, s16
	s_add_i32 s17, s17, s16
	s_mul_i32 s16, s5, s44
	s_lshl_b64 s[16:17], s[16:17], 1
	s_add_u32 s14, s14, s16
	v_add_lshl_u32 v4, v1, s42, 6
	s_addc_u32 s15, s15, s17
	v_ashrrev_i32_e32 v5, 31, v4
	v_lshl_add_u64 v[4:5], v[4:5], 1, s[14:15]
	v_mov_b32_e32 v35, 0
	v_lshl_add_u64 v[4:5], v[4:5], 0, v[34:35]
	global_load_dwordx4 v[12:15], v[4:5], off
	v_and_b32_e32 v3, 3, v0
	v_lshlrev_b32_e32 v4, 9, v36
	v_lshlrev_b32_e32 v1, 5, v1
	v_lshlrev_b32_e32 v3, 9, v3
	v_and_b32_e32 v4, 0x1800, v4
	v_or3_b32 v1, v4, v3, v1
	s_waitcnt vmcnt(0)
	ds_write_b128 v1, v[12:15]
.LBB434_11:
	s_or_b64 exec, exec, s[12:13]
	s_waitcnt lgkmcnt(0)
	s_mov_b32 s5, 0
	s_mul_i32 s4, s4, s46
	s_lshl_b64 s[4:5], s[4:5], 1
	s_add_u32 s8, s8, s4
	v_lshlrev_b32_e32 v1, 4, v0
	v_mov_b32_e32 v31, 0
	s_addc_u32 s9, s9, s5
	v_and_b32_e32 v30, 0xf0, v1
	v_lshl_add_u64 v[18:19], s[8:9], 0, v[30:31]
	s_waitcnt vmcnt(3)
	v_mad_i64_i32 v[2:3], s[8:9], v2, s45, 0
	v_lshl_add_u64 v[2:3], v[2:3], 1, v[18:19]
	v_and_b32_e32 v30, 0x300, v1
	v_lshl_add_u64 v[14:15], v[2:3], 0, v[30:31]
	s_load_dword s29, s[0:1], 0x98
	s_load_dword s12, s[0:1], 0x1c
	s_waitcnt lgkmcnt(0)
	s_barrier
	global_load_dwordx4 v[2:5], v[14:15], off
	global_load_dwordx4 v[26:29], v[14:15], off offset:1024
	s_waitcnt vmcnt(3)
	v_mad_i64_i32 v[10:11], s[8:9], v10, s45, 0
	v_lshl_add_u64 v[10:11], v[10:11], 1, v[18:19]
	v_lshl_add_u64 v[38:39], v[10:11], 0, v[30:31]
	global_load_dwordx4 v[10:13], v[38:39], off
	global_load_dwordx4 v[56:59], v[38:39], off offset:1024
	v_mad_i64_i32 v[6:7], s[8:9], v6, s45, 0
	v_lshl_add_u64 v[6:7], v[6:7], 1, v[18:19]
	v_lshl_add_u64 v[32:33], v[6:7], 0, v[30:31]
	global_load_dwordx4 v[6:9], v[32:33], off
	global_load_dwordx4 v[46:49], v[32:33], off offset:1024
	s_waitcnt vmcnt(6)
	v_mad_i64_i32 v[16:17], s[8:9], v16, s45, 0
	v_lshl_add_u64 v[16:17], v[16:17], 1, v[18:19]
	v_lshl_add_u64 v[40:41], v[16:17], 0, v[30:31]
	global_load_dwordx4 v[18:21], v[40:41], off
	v_cmp_ne_u32_e32 vcc, 15, v36
	global_load_dwordx4 v[38:41], v[40:41], off offset:1024
	v_and_or_b32 v30, v0, 48, s18
	v_cndmask_b32_e32 v16, 0, v36, vcc
	v_lshlrev_b32_e32 v16, 5, v16
	v_lshl_or_b32 v16, v54, 9, v16
	ds_read_b128 v[22:25], v16
	v_mov_b32_e32 v68, s19
	v_cmp_gt_i32_e32 vcc, s33, v30
	v_or_b32_e32 v32, 64, v30
	ds_read_b128 v[14:17], v16 offset:2048
	v_lshlrev_b32_e32 v35, 5, v36
	s_add_u32 s4, s10, s4
	s_addc_u32 s5, s11, s5
	s_mov_b32 s43, 0xff7fffff
	s_waitcnt vmcnt(7) lgkmcnt(1)
	v_mfma_f32_16x16x16_bf16 v[42:45], v[2:3], v[22:23], 0
	v_ashrrev_i32_e32 v2, 4, v30
	v_cndmask_b32_e32 v2, v68, v2, vcc
	v_ashrrev_i32_e32 v3, 31, v2
	s_waitcnt vmcnt(5)
	v_mfma_f32_16x16x16_bf16 v[60:63], v[10:11], v[22:23], 0
	v_lshl_add_u64 v[10:11], v[2:3], 2, s[6:7]
	v_cmp_gt_i32_e32 vcc, s33, v32
	v_mfma_f32_16x16x16_bf16 v[2:5], v[4:5], v[24:25], v[42:45]
	s_nop 2
	global_load_dword v42, v[10:11], off
	s_waitcnt vmcnt(4)
	v_mfma_f32_16x16x16_bf16 v[50:53], v[6:7], v[22:23], 0
	v_ashrrev_i32_e32 v6, 4, v32
	v_cndmask_b32_e32 v6, v68, v6, vcc
	v_ashrrev_i32_e32 v7, 31, v6
	v_lshl_add_u64 v[10:11], v[6:7], 2, s[6:7]
	global_load_dword v43, v[10:11], off
	s_waitcnt vmcnt(3)
	v_mfma_f32_16x16x16_bf16 v[64:67], v[18:19], v[22:23], 0
	v_or_b32_e32 v22, 0x80, v30
	v_or_b32_e32 v23, 0xc0, v30
	v_ashrrev_i32_e32 v30, 4, v22
	v_cmp_gt_i32_e32 vcc, s33, v22
	v_ashrrev_i32_e32 v32, 4, v23
	v_mfma_f32_16x16x16_bf16 v[6:9], v[8:9], v[24:25], v[50:53]
	v_cndmask_b32_e32 v22, v68, v30, vcc
	v_cmp_gt_i32_e32 vcc, s33, v23
	v_ashrrev_i32_e32 v23, 31, v22
	v_mfma_f32_16x16x16_bf16 v[10:13], v[12:13], v[24:25], v[60:63]
	v_lshl_or_b32 v30, v37, 9, v35
	v_mfma_f32_16x16x16_bf16 v[18:21], v[20:21], v[24:25], v[64:67]
	v_cndmask_b32_e32 v24, v68, v32, vcc
	v_ashrrev_i32_e32 v25, 31, v24
	v_lshl_add_u64 v[32:33], v[24:25], 2, s[6:7]
	s_waitcnt lgkmcnt(0)
	v_mfma_f32_16x16x16_bf16 v[2:5], v[26:27], v[14:15], v[2:5]
	v_lshl_add_u64 v[26:27], v[22:23], 2, s[6:7]
	global_load_dword v60, v[26:27], off
	global_load_dword v61, v[32:33], off
	v_mfma_f32_16x16x16_bf16 v[6:9], v[46:47], v[14:15], v[6:9]
	v_mfma_f32_16x16x16_bf16 v[22:25], v[56:57], v[14:15], v[10:13]
	s_waitcnt vmcnt(4)
	v_mfma_f32_16x16x16_bf16 v[18:21], v[38:39], v[14:15], v[18:21]
	s_nop 0
	v_lshl_add_u64 v[10:11], s[4:5], 0, v[30:31]
	s_waitcnt vmcnt(3)
	v_mad_i64_i32 v[26:27], s[4:5], v42, s45, 0
	v_mfma_f32_16x16x16_bf16 v[12:15], v[28:29], v[16:17], v[2:5]
	v_lshl_add_u64 v[30:31], v[26:27], 1, v[10:11]
	s_waitcnt vmcnt(2)
	v_mad_i64_i32 v[32:33], s[4:5], v43, s45, 0
	v_mfma_f32_16x16x16_bf16 v[26:29], v[48:49], v[16:17], v[6:9]
	s_nop 2
	v_pk_mul_f32 v[50:51], s[12:13], v[14:15] op_sel_hi:[0,1]
	v_pk_mul_f32 v[12:13], s[12:13], v[12:13] op_sel_hi:[0,1]
	v_lshl_add_u64 v[56:57], v[32:33], 1, v[10:11]
	v_mfma_f32_16x16x16_bf16 v[22:25], v[58:59], v[16:17], v[22:25]
	global_load_dwordx4 v[6:9], v[30:31], off
	global_load_dwordx4 v[2:5], v[30:31], off offset:16
	v_pk_mul_f32 v[42:43], s[12:13], v[26:27] op_sel_hi:[0,1]
	v_pk_mul_f32 v[52:53], s[12:13], v[28:29] op_sel_hi:[0,1]
	v_mfma_f32_16x16x16_bf16 v[14:17], v[40:41], v[16:17], v[18:21]
	s_nop 1
	v_pk_mul_f32 v[46:47], s[12:13], v[22:23] op_sel_hi:[0,1]
	v_pk_mul_f32 v[48:49], s[12:13], v[24:25] op_sel_hi:[0,1]
	global_load_dwordx4 v[30:33], v[56:57], off
	global_load_dwordx4 v[26:29], v[56:57], off offset:16
	s_nop 0
	v_pk_mul_f32 v[44:45], s[12:13], v[14:15] op_sel_hi:[0,1]
	v_and_b32_e32 v14, 0xc0, v0
	v_add_u32_e32 v14, s18, v14
	v_lshl_or_b32 v14, v54, 2, v14
	v_pk_mul_f32 v[38:39], s[12:13], v[16:17] op_sel_hi:[0,1]
	v_or_b32_e32 v17, 1, v14
	v_mov_b32_e32 v15, 0xff7fffff
	v_cmp_gt_i32_e64 s[4:5], s33, v14
	v_cmp_gt_i32_e64 s[34:35], s33, v17
	v_or_b32_e32 v18, 3, v14
	v_cndmask_b32_e64 v16, v15, v12, s[4:5]
	v_cndmask_b32_e64 v17, v15, v13, s[34:35]
	v_max3_f32 v16, v16, s43, v17
	v_or_b32_e32 v17, 2, v14
	v_cmp_gt_i32_e64 s[36:37], s33, v17
	v_cmp_gt_i32_e64 s[38:39], s33, v18
	s_nop 0
	v_cndmask_b32_e64 v17, v15, v50, s[36:37]
	v_cndmask_b32_e64 v18, v15, v51, s[38:39]
	v_max3_f32 v16, v16, v17, v18
	v_or_b32_e32 v17, 16, v14
	v_or_b32_e32 v18, 17, v14
	v_cmp_gt_i32_e64 s[24:25], s33, v17
	v_cmp_gt_i32_e64 s[26:27], s33, v18
	s_nop 0
	v_cndmask_b32_e64 v17, v15, v42, s[24:25]
	v_cndmask_b32_e64 v18, v15, v43, s[26:27]
	v_max3_f32 v16, v16, v17, v18
	v_or_b32_e32 v17, 18, v14
	;; [unrolled: 8-line block ×6, first 2 shown]
	v_or_b32_e32 v14, 51, v14
	v_cmp_gt_i32_e32 vcc, s33, v17
	v_cmp_gt_i32_e64 s[6:7], s33, v14
	s_nop 0
	v_cndmask_b32_e32 v17, v15, v38, vcc
	v_cndmask_b32_e64 v14, v15, v39, s[6:7]
	v_max3_f32 v16, v16, v17, v14
	v_mbcnt_lo_u32_b32 v14, -1, 0
	v_mbcnt_hi_u32_b32 v17, -1, v14
	v_and_b32_e32 v14, 64, v17
	v_add_u32_e32 v18, 64, v14
	v_xor_b32_e32 v14, 32, v17
	v_cmp_lt_i32_e64 s[40:41], v14, v18
	s_nop 1
	v_cndmask_b32_e64 v14, v17, v14, s[40:41]
	v_lshlrev_b32_e32 v58, 2, v14
	ds_bpermute_b32 v19, v58, v16
	s_waitcnt vmcnt(5)
	v_mad_i64_i32 v[14:15], s[40:41], v60, s45, 0
	v_lshl_add_u64 v[14:15], v[14:15], 1, v[10:11]
	s_waitcnt lgkmcnt(0)
	v_max_f32_e32 v19, v19, v19
	v_max_f32_e32 v16, v16, v19
	v_xor_b32_e32 v19, 16, v17
	v_cmp_lt_i32_e64 s[40:41], v19, v18
	s_nop 1
	v_cndmask_b32_e64 v17, v17, v19, s[40:41]
	v_lshlrev_b32_e32 v57, 2, v17
	ds_bpermute_b32 v17, v57, v16
	global_load_dwordx4 v[22:25], v[14:15], off
	global_load_dwordx4 v[18:21], v[14:15], off offset:16
	s_waitcnt vmcnt(6)
	v_mad_i64_i32 v[14:15], s[40:41], v61, s45, 0
	v_lshl_add_u64 v[10:11], v[14:15], 1, v[10:11]
	s_waitcnt lgkmcnt(0)
	v_max_f32_e32 v14, v17, v17
	v_max_f32_e32 v56, v16, v14
	v_sub_f32_e32 v12, v12, v56
	v_mul_f32_e32 v12, 0x3fb8aa3b, v12
	v_exp_f32_e32 v40, v12
	v_sub_f32_e32 v12, v13, v56
	v_mul_f32_e32 v12, 0x3fb8aa3b, v12
	v_exp_f32_e32 v41, v12
	global_load_dwordx4 v[14:17], v[10:11], off
	s_nop 0
	global_load_dwordx4 v[10:13], v[10:11], off offset:16
	v_sub_f32_e32 v50, v50, v56
	v_mul_f32_e32 v50, 0x3fb8aa3b, v50
	v_sub_f32_e32 v51, v51, v56
	v_exp_f32_e32 v50, v50
	v_mul_f32_e32 v51, 0x3fb8aa3b, v51
	v_sub_f32_e32 v42, v42, v56
	v_exp_f32_e32 v51, v51
	v_mul_f32_e32 v42, 0x3fb8aa3b, v42
	v_sub_f32_e32 v43, v43, v56
	v_cndmask_b32_e64 v40, 0, v40, s[4:5]
	v_exp_f32_e32 v42, v42
	v_mul_f32_e32 v43, 0x3fb8aa3b, v43
	v_sub_f32_e32 v52, v52, v56
	v_add_f32_e32 v59, 0, v40
	v_cndmask_b32_e64 v41, 0, v41, s[34:35]
	v_exp_f32_e32 v43, v43
	v_mul_f32_e32 v52, 0x3fb8aa3b, v52
	v_sub_f32_e32 v53, v53, v56
	v_add_f32_e32 v59, v59, v41
	;; [unrolled: 5-line block ×10, first 2 shown]
	v_cndmask_b32_e64 v48, 0, v48, s[12:13]
	v_exp_f32_e32 v38, v38
	v_mul_f32_e32 v39, 0x3fb8aa3b, v39
	v_add_f32_e32 v59, v59, v48
	v_cndmask_b32_e64 v49, 0, v49, s[14:15]
	v_exp_f32_e32 v39, v39
	v_add_f32_e32 v59, v59, v49
	v_cndmask_b32_e64 v44, 0, v44, s[8:9]
	v_add_f32_e32 v59, v59, v44
	v_cndmask_b32_e64 v45, 0, v45, s[10:11]
	v_add_f32_e32 v59, v59, v45
	v_cndmask_b32_e32 v38, 0, v38, vcc
	v_add_f32_e32 v59, v59, v38
	v_cndmask_b32_e64 v39, 0, v39, s[6:7]
	v_add_f32_e32 v59, v59, v39
	ds_bpermute_b32 v58, v58, v59
	v_cmp_gt_u32_e32 vcc, 16, v55
	s_waitcnt lgkmcnt(0)
	s_barrier
	v_add_f32_e32 v58, v59, v58
	ds_bpermute_b32 v59, v57, v58
	v_lshlrev_b32_e32 v57, 2, v36
	s_and_saveexec_b64 s[4:5], vcc
	s_cbranch_execz .LBB434_13
; %bb.12:
	s_waitcnt lgkmcnt(0)
	v_add_f32_e32 v55, v58, v59
	v_lshl_or_b32 v58, v37, 6, v57
	ds_write2st64_b32 v58, v56, v55 offset1:1
.LBB434_13:
	s_or_b64 exec, exec, s[4:5]
	s_load_dword s6, s[0:1], 0x94
	s_waitcnt lgkmcnt(0)
	s_barrier
	ds_read2_b32 v[58:59], v57 offset1:16
	ds_read2_b32 v[60:61], v57 offset0:32 offset1:48
	ds_read2_b32 v[62:63], v57 offset0:64 offset1:80
	s_movk_i32 s8, 0x7fff
	s_mov_b32 s9, 0x7060302
	s_waitcnt lgkmcnt(2)
	v_max3_f32 v55, v58, s43, v59
	s_waitcnt lgkmcnt(1)
	v_max3_f32 v55, v55, v60, v61
	v_sub_f32_e32 v56, v58, v55
	v_mul_f32_e32 v56, 0x3fb8aa3b, v56
	v_exp_f32_e32 v64, v56
	v_sub_f32_e32 v56, v59, v55
	v_mul_f32_e32 v56, 0x3fb8aa3b, v56
	v_exp_f32_e32 v65, v56
	v_sub_f32_e32 v56, v60, v55
	v_mul_f32_e32 v56, 0x3fb8aa3b, v56
	v_exp_f32_e32 v60, v56
	ds_read2_b32 v[58:59], v57 offset0:96 offset1:112
	v_sub_f32_e32 v56, v61, v55
	v_mul_f32_e32 v56, 0x3fb8aa3b, v56
	v_exp_f32_e32 v57, v56
	s_waitcnt lgkmcnt(1)
	v_fma_f32 v56, v64, v62, 0
	v_fmac_f32_e32 v56, v65, v63
	s_waitcnt lgkmcnt(0)
	v_fmac_f32_e32 v56, v60, v58
	v_fmac_f32_e32 v56, v57, v59
	v_add_f32_e32 v58, 0x358637bd, v56
	v_div_scale_f32 v59, s[4:5], v58, v58, 1.0
	v_rcp_f32_e32 v61, v59
	s_barrier
	v_fma_f32 v62, -v59, v61, 1.0
	v_fmac_f32_e32 v61, v62, v61
	v_div_scale_f32 v62, vcc, 1.0, v58, 1.0
	v_mul_f32_e32 v63, v62, v61
	v_fma_f32 v66, -v59, v63, v62
	v_fmac_f32_e32 v63, v66, v61
	v_fma_f32 v59, -v59, v63, v62
	v_div_fmas_f32 v59, v59, v61, v63
	v_cmp_eq_u32_e32 vcc, 1, v37
	v_div_fixup_f32 v58, v59, v58, 1.0
	s_mul_i32 s7, s29, 15
	v_cndmask_b32_e32 v59, v64, v65, vcc
	v_cmp_eq_u32_e32 vcc, 2, v37
	s_nop 1
	v_cndmask_b32_e32 v59, v59, v60, vcc
	v_cmp_eq_u32_e32 vcc, 3, v37
	v_lshlrev_b32_e32 v37, 11, v37
	s_nop 0
	v_cndmask_b32_e32 v57, v59, v57, vcc
	v_mul_f32_e32 v58, v57, v58
	v_pk_mul_f32 v[40:41], v[58:59], v[40:41] op_sel_hi:[0,1]
	v_pk_mul_f32 v[50:51], v[58:59], v[50:51] op_sel_hi:[0,1]
	v_bfe_u32 v57, v41, 16, 1
	v_bfe_u32 v59, v40, 16, 1
	v_add3_u32 v40, v40, v59, s8
	v_add3_u32 v41, v41, v57, s8
	v_perm_b32 v60, v41, v40, s9
	v_bfe_u32 v40, v51, 16, 1
	v_bfe_u32 v41, v50, 16, 1
	v_add3_u32 v41, v50, v41, s8
	v_add3_u32 v40, v51, v40, s8
	v_perm_b32 v61, v40, v41, s9
	v_lshlrev_b32_e32 v40, 3, v54
	v_pk_mul_f32 v[42:43], v[58:59], v[42:43] op_sel_hi:[0,1]
	v_or3_b32 v40, v37, v35, v40
	v_bfe_u32 v37, v43, 16, 1
	v_bfe_u32 v41, v42, 16, 1
	v_pk_mul_f32 v[50:51], v[58:59], v[52:53] op_sel_hi:[0,1]
	v_add3_u32 v41, v42, v41, s8
	v_add3_u32 v37, v43, v37, s8
	v_perm_b32 v42, v37, v41, s9
	v_bfe_u32 v37, v51, 16, 1
	v_bfe_u32 v41, v50, 16, 1
	v_add3_u32 v41, v50, v41, s8
	v_add3_u32 v37, v51, v37, s8
	v_pk_mul_f32 v[46:47], v[58:59], v[46:47] op_sel_hi:[0,1]
	v_perm_b32 v43, v37, v41, s9
	v_bfe_u32 v37, v47, 16, 1
	v_bfe_u32 v41, v46, 16, 1
	ds_write2st64_b64 v40, v[60:61], v[42:43] offset1:1
	v_pk_mul_f32 v[42:43], v[58:59], v[48:49] op_sel_hi:[0,1]
	v_add3_u32 v41, v46, v41, s8
	v_add3_u32 v37, v47, v37, s8
	v_perm_b32 v46, v37, v41, s9
	v_bfe_u32 v37, v43, 16, 1
	v_bfe_u32 v41, v42, 16, 1
	v_add3_u32 v41, v42, v41, s8
	v_add3_u32 v37, v43, v37, s8
	v_pk_mul_f32 v[42:43], v[58:59], v[44:45] op_sel_hi:[0,1]
	v_perm_b32 v47, v37, v41, s9
	v_bfe_u32 v37, v43, 16, 1
	v_bfe_u32 v41, v42, 16, 1
	v_pk_mul_f32 v[38:39], v[58:59], v[38:39] op_sel_hi:[0,1]
	v_add3_u32 v41, v42, v41, s8
	v_add3_u32 v37, v43, v37, s8
	v_perm_b32 v42, v37, v41, s9
	v_bfe_u32 v37, v39, 16, 1
	v_bfe_u32 v41, v38, 16, 1
	v_add3_u32 v38, v38, v41, s8
	v_add3_u32 v37, v39, v37, s8
	v_perm_b32 v43, v37, v38, s9
	v_cmp_gt_u32_e32 vcc, 15, v0
	ds_write2st64_b64 v40, v[46:47], v[42:43] offset0:2 offset1:3
	s_and_saveexec_b64 s[4:5], vcc
	s_cbranch_execz .LBB434_15
; %bb.14:
	s_mov_b32 s43, 0
	v_mov_b32_e32 v37, 0
	v_lshl_add_u64 v[38:39], s[42:43], 0, v[36:37]
	v_mov_b32_e32 v36, s7
	v_mad_u64_u32 v[38:39], s[10:11], s2, v36, v[38:39]
	v_mov_b32_e32 v36, s28
	s_load_dwordx4 s[12:15], s[0:1], 0x58
	s_mul_i32 s3, s3, s7
	v_mad_u64_u32 v[36:37], s[10:11], v38, s6, v[36:37]
	v_add_u32_e32 v39, s3, v39
	v_mov_b32_e32 v38, v37
	v_mad_u64_u32 v[38:39], s[10:11], v39, s6, v[38:39]
	v_mov_b32_e32 v37, v38
	v_lshlrev_b64 v[36:37], 2, v[36:37]
	s_waitcnt lgkmcnt(0)
	v_lshl_add_u64 v[38:39], s[14:15], 0, v[36:37]
	v_lshl_add_u64 v[36:37], s[12:13], 0, v[36:37]
	global_store_dword v[38:39], v55, off
	global_store_dword v[36:37], v56, off
.LBB434_15:
	s_or_b64 exec, exec, s[4:5]
	v_lshl_or_b32 v35, v54, 9, v35
	s_waitcnt lgkmcnt(0)
	s_barrier
	ds_read_b128 v[36:39], v35
	ds_read_b128 v[42:45], v35 offset:16
	s_waitcnt vmcnt(7) lgkmcnt(1)
	v_mfma_f32_16x16x16_bf16 v[46:49], v[6:7], v[36:37], 0
	v_cmp_gt_u32_e32 vcc, 64, v0
	s_mov_b32 s3, 0
	s_and_b64 s[4:5], vcc, s[30:31]
	v_mfma_f32_16x16x16_bf16 v[6:9], v[8:9], v[38:39], v[46:49]
	s_waitcnt vmcnt(6) lgkmcnt(0)
	v_mfma_f32_16x16x16_bf16 v[6:9], v[2:3], v[42:43], v[6:9]
	v_mfma_f32_16x16x16_bf16 v[2:5], v[4:5], v[44:45], v[6:9]
	s_nop 5
	ds_read_b128 v[6:9], v35 offset:2048
	ds_read_b128 v[36:39], v35 offset:2064
	s_waitcnt vmcnt(5) lgkmcnt(1)
	v_mfma_f32_16x16x16_bf16 v[2:5], v[30:31], v[6:7], v[2:5]
	v_mfma_f32_16x16x16_bf16 v[2:5], v[32:33], v[8:9], v[2:5]
	s_waitcnt vmcnt(4) lgkmcnt(0)
	v_mfma_f32_16x16x16_bf16 v[2:5], v[26:27], v[36:37], v[2:5]
	v_mfma_f32_16x16x16_bf16 v[2:5], v[28:29], v[38:39], v[2:5]
	ds_read_b128 v[6:9], v35 offset:4096
	ds_read_b128 v[26:29], v35 offset:4112
	s_waitcnt vmcnt(3) lgkmcnt(1)
	v_mfma_f32_16x16x16_bf16 v[2:5], v[22:23], v[6:7], v[2:5]
	v_mfma_f32_16x16x16_bf16 v[2:5], v[24:25], v[8:9], v[2:5]
	s_waitcnt vmcnt(2) lgkmcnt(0)
	v_mfma_f32_16x16x16_bf16 v[2:5], v[18:19], v[26:27], v[2:5]
	v_mfma_f32_16x16x16_bf16 v[2:5], v[20:21], v[28:29], v[2:5]
	ds_read_b128 v[6:9], v35 offset:6144
	ds_read_b128 v[18:21], v35 offset:6160
	v_mov_b32_e32 v35, 0
	s_waitcnt vmcnt(1) lgkmcnt(0)
	v_mfma_f32_16x16x16_bf16 v[2:5], v[14:15], v[6:7], v[2:5]
	s_barrier
	v_mfma_f32_16x16x16_bf16 v[2:5], v[16:17], v[8:9], v[2:5]
	s_waitcnt vmcnt(0)
	v_mfma_f32_16x16x16_bf16 v[2:5], v[10:11], v[18:19], v[2:5]
	v_mfma_f32_16x16x16_bf16 v[2:5], v[12:13], v[20:21], v[2:5]
	s_nop 6
	v_bfe_u32 v6, v3, 16, 1
	v_bfe_u32 v7, v2, 16, 1
	;; [unrolled: 1-line block ×4, first 2 shown]
	v_add3_u32 v2, v2, v7, s8
	v_add3_u32 v3, v3, v6, s8
	v_add3_u32 v4, v4, v9, s8
	v_add3_u32 v5, v5, v8, s8
	v_perm_b32 v2, v3, v2, s9
	v_perm_b32 v3, v5, v4, s9
	ds_write_b64 v40, v[2:3]
	s_waitcnt lgkmcnt(0)
	s_barrier
	s_and_saveexec_b64 s[8:9], s[4:5]
	s_cbranch_execz .LBB434_18
; %bb.16:
	s_load_dwordx2 s[4:5], s[0:1], 0x68
	s_lshl_b32 s0, s6, 6
	s_mul_i32 s1, s7, s2
	s_mul_hi_u32 s7, s1, s0
	s_mul_i32 s6, s1, s0
	v_lshlrev_b32_e32 v0, 10, v0
	s_lshl_b64 s[6:7], s[6:7], 1
	v_and_b32_e32 v0, 0x1800, v0
	v_lshlrev_b32_e32 v2, 5, v54
	v_and_b32_e32 v1, 16, v1
	s_waitcnt lgkmcnt(0)
	s_add_u32 s1, s4, s6
	v_or3_b32 v2, v0, v2, v1
	s_addc_u32 s4, s5, s7
	s_lshl_b32 s2, s28, 6
	ds_read_b128 v[4:7], v2 offset:256
	s_lshl_b64 s[2:3], s[2:3], 1
	ds_read_b128 v[8:11], v2 offset:128
	ds_read_b128 v[12:15], v2
	s_add_u32 s2, s1, s2
	s_addc_u32 s3, s4, s3
	v_add_u32_e32 v3, s42, v54
	v_lshl_add_u64 v[0:1], s[2:3], 0, v[34:35]
	v_mad_u64_u32 v[16:17], s[2:3], v3, s0, 0
	v_lshl_add_u64 v[16:17], v[16:17], 1, v[0:1]
	s_waitcnt lgkmcnt(0)
	global_store_dwordx4 v[16:17], v[12:15], off
	v_cmp_ne_u32_e32 vcc, 3, v54
	s_nop 0
	v_add_u32_e32 v12, 4, v3
	v_mad_u64_u32 v[12:13], s[2:3], v12, s0, 0
	v_lshl_add_u64 v[12:13], v[12:13], 1, v[0:1]
	v_add_u32_e32 v3, 8, v3
	global_store_dwordx4 v[12:13], v[8:11], off
	s_nop 1
	v_mad_u64_u32 v[8:9], s[2:3], v3, s0, 0
	v_lshl_add_u64 v[8:9], v[8:9], 1, v[0:1]
	global_store_dwordx4 v[8:9], v[4:7], off
	s_and_b64 exec, exec, vcc
	s_cbranch_execz .LBB434_18
; %bb.17:
	ds_read_b128 v[2:5], v2 offset:384
	v_add3_u32 v6, s42, v54, 12
	v_mad_u64_u32 v[6:7], s[0:1], v6, s0, 0
	v_lshl_add_u64 v[0:1], v[6:7], 1, v[0:1]
	s_waitcnt lgkmcnt(0)
	global_store_dwordx4 v[0:1], v[2:5], off
.LBB434_18:
	s_endpgm
	.section	.rodata,"a",@progbits
	.p2align	6, 0x0
	.amdhsa_kernel _Z39paged_attention_ll4mi_QKV_mfma16_kernelI14__hip_bfloat16S0_LN4vllm18Fp8KVCacheDataTypeE0EhLi16ELi64ELi256ELb0ELi15EEvPKT_PKT0_S8_ifPKiSA_SA_iPKfiiiPfSD_PS3_PT2_iSC_SC_
		.amdhsa_group_segment_fixed_size 8192
		.amdhsa_private_segment_fixed_size 0
		.amdhsa_kernarg_size 400
		.amdhsa_user_sgpr_count 2
		.amdhsa_user_sgpr_dispatch_ptr 0
		.amdhsa_user_sgpr_queue_ptr 0
		.amdhsa_user_sgpr_kernarg_segment_ptr 1
		.amdhsa_user_sgpr_dispatch_id 0
		.amdhsa_user_sgpr_kernarg_preload_length 0
		.amdhsa_user_sgpr_kernarg_preload_offset 0
		.amdhsa_user_sgpr_private_segment_size 0
		.amdhsa_uses_dynamic_stack 0
		.amdhsa_enable_private_segment 0
		.amdhsa_system_sgpr_workgroup_id_x 1
		.amdhsa_system_sgpr_workgroup_id_y 1
		.amdhsa_system_sgpr_workgroup_id_z 1
		.amdhsa_system_sgpr_workgroup_info 0
		.amdhsa_system_vgpr_workitem_id 0
		.amdhsa_next_free_vgpr 69
		.amdhsa_next_free_sgpr 48
		.amdhsa_accum_offset 72
		.amdhsa_reserve_vcc 1
		.amdhsa_float_round_mode_32 0
		.amdhsa_float_round_mode_16_64 0
		.amdhsa_float_denorm_mode_32 3
		.amdhsa_float_denorm_mode_16_64 3
		.amdhsa_dx10_clamp 1
		.amdhsa_ieee_mode 1
		.amdhsa_fp16_overflow 0
		.amdhsa_tg_split 0
		.amdhsa_exception_fp_ieee_invalid_op 0
		.amdhsa_exception_fp_denorm_src 0
		.amdhsa_exception_fp_ieee_div_zero 0
		.amdhsa_exception_fp_ieee_overflow 0
		.amdhsa_exception_fp_ieee_underflow 0
		.amdhsa_exception_fp_ieee_inexact 0
		.amdhsa_exception_int_div_zero 0
	.end_amdhsa_kernel
	.section	.text._Z39paged_attention_ll4mi_QKV_mfma16_kernelI14__hip_bfloat16S0_LN4vllm18Fp8KVCacheDataTypeE0EhLi16ELi64ELi256ELb0ELi15EEvPKT_PKT0_S8_ifPKiSA_SA_iPKfiiiPfSD_PS3_PT2_iSC_SC_,"axG",@progbits,_Z39paged_attention_ll4mi_QKV_mfma16_kernelI14__hip_bfloat16S0_LN4vllm18Fp8KVCacheDataTypeE0EhLi16ELi64ELi256ELb0ELi15EEvPKT_PKT0_S8_ifPKiSA_SA_iPKfiiiPfSD_PS3_PT2_iSC_SC_,comdat
.Lfunc_end434:
	.size	_Z39paged_attention_ll4mi_QKV_mfma16_kernelI14__hip_bfloat16S0_LN4vllm18Fp8KVCacheDataTypeE0EhLi16ELi64ELi256ELb0ELi15EEvPKT_PKT0_S8_ifPKiSA_SA_iPKfiiiPfSD_PS3_PT2_iSC_SC_, .Lfunc_end434-_Z39paged_attention_ll4mi_QKV_mfma16_kernelI14__hip_bfloat16S0_LN4vllm18Fp8KVCacheDataTypeE0EhLi16ELi64ELi256ELb0ELi15EEvPKT_PKT0_S8_ifPKiSA_SA_iPKfiiiPfSD_PS3_PT2_iSC_SC_
                                        ; -- End function
	.section	.AMDGPU.csdata,"",@progbits
; Kernel info:
; codeLenInByte = 4108
; NumSgprs: 54
; NumVgprs: 69
; NumAgprs: 0
; TotalNumVgprs: 69
; ScratchSize: 0
; MemoryBound: 0
; FloatMode: 240
; IeeeMode: 1
; LDSByteSize: 8192 bytes/workgroup (compile time only)
; SGPRBlocks: 6
; VGPRBlocks: 8
; NumSGPRsForWavesPerEU: 54
; NumVGPRsForWavesPerEU: 69
; AccumOffset: 72
; Occupancy: 7
; WaveLimiterHint : 1
; COMPUTE_PGM_RSRC2:SCRATCH_EN: 0
; COMPUTE_PGM_RSRC2:USER_SGPR: 2
; COMPUTE_PGM_RSRC2:TRAP_HANDLER: 0
; COMPUTE_PGM_RSRC2:TGID_X_EN: 1
; COMPUTE_PGM_RSRC2:TGID_Y_EN: 1
; COMPUTE_PGM_RSRC2:TGID_Z_EN: 1
; COMPUTE_PGM_RSRC2:TIDIG_COMP_CNT: 0
; COMPUTE_PGM_RSRC3_GFX90A:ACCUM_OFFSET: 17
; COMPUTE_PGM_RSRC3_GFX90A:TG_SPLIT: 0
	.section	.text._Z39paged_attention_ll4mi_QKV_mfma16_kernelI14__hip_bfloat16S0_LN4vllm18Fp8KVCacheDataTypeE0EhLi16ELi64ELi256ELb0ELi16EEvPKT_PKT0_S8_ifPKiSA_SA_iPKfiiiPfSD_PS3_PT2_iSC_SC_,"axG",@progbits,_Z39paged_attention_ll4mi_QKV_mfma16_kernelI14__hip_bfloat16S0_LN4vllm18Fp8KVCacheDataTypeE0EhLi16ELi64ELi256ELb0ELi16EEvPKT_PKT0_S8_ifPKiSA_SA_iPKfiiiPfSD_PS3_PT2_iSC_SC_,comdat
	.protected	_Z39paged_attention_ll4mi_QKV_mfma16_kernelI14__hip_bfloat16S0_LN4vllm18Fp8KVCacheDataTypeE0EhLi16ELi64ELi256ELb0ELi16EEvPKT_PKT0_S8_ifPKiSA_SA_iPKfiiiPfSD_PS3_PT2_iSC_SC_ ; -- Begin function _Z39paged_attention_ll4mi_QKV_mfma16_kernelI14__hip_bfloat16S0_LN4vllm18Fp8KVCacheDataTypeE0EhLi16ELi64ELi256ELb0ELi16EEvPKT_PKT0_S8_ifPKiSA_SA_iPKfiiiPfSD_PS3_PT2_iSC_SC_
	.globl	_Z39paged_attention_ll4mi_QKV_mfma16_kernelI14__hip_bfloat16S0_LN4vllm18Fp8KVCacheDataTypeE0EhLi16ELi64ELi256ELb0ELi16EEvPKT_PKT0_S8_ifPKiSA_SA_iPKfiiiPfSD_PS3_PT2_iSC_SC_
	.p2align	8
	.type	_Z39paged_attention_ll4mi_QKV_mfma16_kernelI14__hip_bfloat16S0_LN4vllm18Fp8KVCacheDataTypeE0EhLi16ELi64ELi256ELb0ELi16EEvPKT_PKT0_S8_ifPKiSA_SA_iPKfiiiPfSD_PS3_PT2_iSC_SC_,@function
_Z39paged_attention_ll4mi_QKV_mfma16_kernelI14__hip_bfloat16S0_LN4vllm18Fp8KVCacheDataTypeE0EhLi16ELi64ELi256ELb0ELi16EEvPKT_PKT0_S8_ifPKiSA_SA_iPKfiiiPfSD_PS3_PT2_iSC_SC_: ; @_Z39paged_attention_ll4mi_QKV_mfma16_kernelI14__hip_bfloat16S0_LN4vllm18Fp8KVCacheDataTypeE0EhLi16ELi64ELi256ELb0ELi16EEvPKT_PKT0_S8_ifPKiSA_SA_iPKfiiiPfSD_PS3_PT2_iSC_SC_
; %bb.0:
	s_load_dwordx2 s[12:13], s[0:1], 0x30
	s_mov_b32 s28, s3
	s_mov_b64 s[6:7], 0
	s_waitcnt lgkmcnt(0)
	s_cmp_lg_u64 s[12:13], 0
	s_cselect_b64 s[14:15], -1, 0
	s_and_b64 vcc, exec, s[14:15]
	s_cbranch_vccz .LBB435_7
; %bb.1:
	s_add_i32 s8, s2, 1
	s_mov_b32 s9, 0
	s_lshl_b64 s[10:11], s[8:9], 2
	s_add_u32 s10, s12, s10
	s_mov_b32 s3, s9
	s_addc_u32 s11, s13, s11
	s_lshl_b64 s[8:9], s[2:3], 2
	s_add_u32 s8, s12, s8
	s_addc_u32 s9, s13, s9
	s_load_dword s5, s[10:11], 0x0
	s_load_dword s16, s[8:9], 0x0
	s_waitcnt lgkmcnt(0)
	s_sub_i32 s5, s5, s16
	s_cmp_eq_u32 s5, 1
	s_cselect_b64 s[8:9], -1, 0
	s_andn2_b64 vcc, exec, s[6:7]
	s_cbranch_vccnz .LBB435_3
.LBB435_2:
	s_mov_b32 s3, 0
	s_mov_b64 s[8:9], -1
.LBB435_3:
	s_andn2_b64 vcc, exec, s[8:9]
	s_cbranch_vccnz .LBB435_17
; %bb.4:
	s_load_dwordx2 s[6:7], s[0:1], 0x28
	s_lshl_b64 s[16:17], s[2:3], 2
	s_waitcnt lgkmcnt(0)
	s_add_u32 s6, s6, s16
	s_addc_u32 s7, s7, s17
	s_load_dword s40, s[6:7], 0x0
	s_lshl_b32 s18, s28, 8
	s_waitcnt lgkmcnt(0)
	s_cmp_ge_i32 s18, s40
	s_cbranch_scc1 .LBB435_17
; %bb.5:
	s_load_dwordx2 s[6:7], s[0:1], 0x20
	s_load_dword s5, s[0:1], 0x38
	s_add_i32 s8, s40, 15
	s_ashr_i32 s9, s8, 31
	v_and_b32_e32 v1, 0xcf, v0
	s_lshr_b32 s9, s9, 28
	v_add_u32_e32 v1, s18, v1
	s_add_i32 s8, s8, s9
	v_ashrrev_i32_e32 v2, 31, v1
	s_ashr_i32 s19, s8, 4
	v_lshrrev_b32_e32 v8, 28, v2
	s_add_i32 s19, s19, -1
	s_waitcnt lgkmcnt(0)
	s_mul_i32 s8, s2, s5
	s_mov_b32 s9, 0
	v_add_u32_e32 v2, v1, v8
	s_lshl_b64 s[8:9], s[8:9], 2
	v_ashrrev_i32_e32 v2, 4, v2
	v_mov_b32_e32 v9, s19
	v_cmp_gt_i32_e32 vcc, s40, v1
	s_add_u32 s6, s6, s8
	s_addc_u32 s7, s7, s9
	v_cndmask_b32_e32 v2, v9, v2, vcc
	v_ashrrev_i32_e32 v3, 31, v2
	v_lshl_add_u64 v[4:5], v[2:3], 2, s[6:7]
	v_or_b32_e32 v2, 16, v1
	v_add_u32_e32 v3, v2, v8
	v_ashrrev_i32_e32 v3, 4, v3
	v_cmp_gt_i32_e32 vcc, s40, v2
	s_load_dwordx4 s[8:11], s[0:1], 0x8
	s_nop 0
	v_cndmask_b32_e32 v2, v9, v3, vcc
	v_ashrrev_i32_e32 v3, 31, v2
	v_lshl_add_u64 v[6:7], v[2:3], 2, s[6:7]
	v_or_b32_e32 v2, 32, v1
	v_add_u32_e32 v3, v2, v8
	v_ashrrev_i32_e32 v3, 4, v3
	v_cmp_gt_i32_e32 vcc, s40, v2
	v_or_b32_e32 v1, 48, v1
	s_nop 0
	v_cndmask_b32_e32 v2, v9, v3, vcc
	v_ashrrev_i32_e32 v3, 31, v2
	v_lshl_add_u64 v[12:13], v[2:3], 2, s[6:7]
	v_add_u32_e32 v2, v1, v8
	v_ashrrev_i32_e32 v2, 4, v2
	v_cmp_gt_i32_e32 vcc, s40, v1
	s_nop 1
	v_cndmask_b32_e32 v2, v9, v2, vcc
	v_ashrrev_i32_e32 v3, 31, v2
	v_lshl_add_u64 v[14:15], v[2:3], 2, s[6:7]
	global_load_dword v2, v[4:5], off
	global_load_dword v10, v[6:7], off
	;; [unrolled: 1-line block ×4, first 2 shown]
	s_andn2_b64 vcc, exec, s[14:15]
	s_cbranch_vccnz .LBB435_8
; %bb.6:
	s_add_u32 s12, s12, s16
	s_addc_u32 s13, s13, s17
	s_load_dword s5, s[12:13], 0x0
	s_branch .LBB435_9
.LBB435_7:
	s_mov_b64 s[8:9], 0
	s_branch .LBB435_2
.LBB435_8:
	s_mov_b32 s5, s2
.LBB435_9:
	s_load_dwordx4 s[44:47], s[0:1], 0x48
	v_and_b32_e32 v55, 15, v0
	s_movk_i32 s12, 0x100
	v_lshlrev_b32_e32 v3, 3, v55
	v_cmp_gt_u32_e32 vcc, s12, v0
	v_cmp_gt_u32_e64 s[30:31], 8, v55
	v_lshrrev_b32_e32 v53, 6, v0
	v_and_b32_e32 v54, 63, v0
	v_bfe_u32 v1, v0, 4, 2
	s_lshl_b32 s29, s4, 4
	s_and_b64 s[14:15], vcc, s[30:31]
	v_lshlrev_b32_e32 v34, 1, v3
	s_and_saveexec_b64 s[12:13], s[14:15]
	s_cbranch_execz .LBB435_11
; %bb.10:
	s_load_dwordx2 s[14:15], s[0:1], 0x0
	s_waitcnt lgkmcnt(0)
	s_ashr_i32 s16, s44, 31
	s_mul_hi_u32 s17, s5, s44
	s_mul_i32 s16, s5, s16
	s_add_i32 s17, s17, s16
	s_mul_i32 s16, s5, s44
	v_lshl_or_b32 v3, v53, 2, v1
	s_lshl_b64 s[16:17], s[16:17], 1
	s_add_u32 s14, s14, s16
	v_add_lshl_u32 v4, v3, s29, 6
	s_addc_u32 s15, s15, s17
	v_ashrrev_i32_e32 v5, 31, v4
	v_lshl_add_u64 v[4:5], v[4:5], 1, s[14:15]
	v_mov_b32_e32 v35, 0
	v_lshl_add_u64 v[4:5], v[4:5], 0, v[34:35]
	global_load_dwordx4 v[4:7], v[4:5], off
	v_and_b32_e32 v11, 3, v0
	v_lshlrev_b32_e32 v12, 9, v55
	v_lshlrev_b32_e32 v3, 5, v3
	;; [unrolled: 1-line block ×3, first 2 shown]
	v_and_b32_e32 v12, 0x1800, v12
	v_or3_b32 v3, v12, v11, v3
	s_waitcnt vmcnt(0)
	ds_write_b128 v3, v[4:7]
.LBB435_11:
	s_or_b64 exec, exec, s[12:13]
	s_waitcnt lgkmcnt(0)
	s_mul_i32 s4, s4, s46
	s_mov_b32 s5, 0
	s_lshl_b64 s[4:5], s[4:5], 1
	s_add_u32 s8, s8, s4
	v_lshlrev_b32_e32 v52, 4, v0
	s_addc_u32 s9, s9, s5
	v_and_b32_e32 v6, 0xf0, v52
	v_mov_b32_e32 v7, 0
	v_lshl_add_u64 v[12:13], s[8:9], 0, v[6:7]
	s_waitcnt vmcnt(3)
	v_mad_i64_i32 v[2:3], s[8:9], v2, s45, 0
	v_lshl_add_u64 v[2:3], v[2:3], 1, v[12:13]
	v_and_b32_e32 v6, 0x300, v52
	s_waitcnt vmcnt(2)
	v_mad_i64_i32 v[20:21], s[8:9], v10, s45, 0
	s_waitcnt vmcnt(1)
	v_mad_i64_i32 v[24:25], s[8:9], v9, s45, 0
	v_lshl_add_u64 v[14:15], v[2:3], 0, v[6:7]
	v_lshlrev_b32_e32 v56, 5, v55
	v_lshl_add_u64 v[20:21], v[20:21], 1, v[12:13]
	v_lshl_add_u64 v[24:25], v[24:25], 1, v[12:13]
	s_load_dword s33, s[0:1], 0x98
	s_load_dword s12, s[0:1], 0x1c
	s_waitcnt lgkmcnt(0)
	s_barrier
	global_load_dwordx4 v[2:5], v[14:15], off
	s_waitcnt vmcnt(1)
	v_mad_i64_i32 v[26:27], s[8:9], v8, s45, 0
	v_lshl_or_b32 v35, v1, 9, v56
	v_lshl_add_u64 v[32:33], v[20:21], 0, v[6:7]
	v_lshl_add_u64 v[30:31], v[24:25], 0, v[6:7]
	ds_read_b128 v[16:19], v35
	ds_read_b128 v[8:11], v35 offset:2048
	global_load_dwordx4 v[20:23], v[32:33], off
	v_lshl_add_u64 v[12:13], v[26:27], 1, v[12:13]
	global_load_dwordx4 v[24:27], v[30:31], off
	v_lshl_add_u64 v[28:29], v[12:13], 0, v[6:7]
	global_load_dwordx4 v[12:15], v[14:15], off offset:1024
	s_nop 0
	global_load_dwordx4 v[40:43], v[28:29], off
	global_load_dwordx4 v[44:47], v[32:33], off offset:1024
	global_load_dwordx4 v[62:65], v[28:29], off offset:1024
	v_and_or_b32 v6, v0, 48, s18
	global_load_dwordx4 v[30:33], v[30:31], off offset:1024
	v_mov_b32_e32 v57, s19
	v_cmp_gt_i32_e32 vcc, s40, v6
	v_or_b32_e32 v28, 0x80, v6
	v_ashrrev_i32_e32 v29, 4, v28
	s_add_u32 s4, s10, s4
	s_addc_u32 s5, s11, s5
	s_mov_b32 s42, 0xff7fffff
	v_lshlrev_b32_e32 v55, 2, v55
	s_waitcnt vmcnt(3) lgkmcnt(1)
	v_mfma_f32_16x16x16_bf16 v[66:69], v[40:41], v[16:17], 0
	v_mfma_f32_16x16x16_bf16 v[36:39], v[2:3], v[16:17], 0
	v_ashrrev_i32_e32 v2, 4, v6
	v_mfma_f32_16x16x16_bf16 v[48:51], v[20:21], v[16:17], 0
	v_or_b32_e32 v20, 64, v6
	v_ashrrev_i32_e32 v21, 4, v20
	v_or_b32_e32 v6, 0xc0, v6
	v_mfma_f32_16x16x16_bf16 v[58:61], v[24:25], v[16:17], 0
	v_cndmask_b32_e32 v16, v57, v2, vcc
	v_ashrrev_i32_e32 v17, 31, v16
	v_lshl_add_u64 v[16:17], v[16:17], 2, s[6:7]
	v_mfma_f32_16x16x16_bf16 v[2:5], v[4:5], v[18:19], v[36:39]
	v_cmp_gt_i32_e32 vcc, s40, v20
	s_nop 1
	global_load_dword v36, v[16:17], off
	v_cndmask_b32_e32 v24, v57, v21, vcc
	v_ashrrev_i32_e32 v25, 31, v24
	v_lshl_add_u64 v[16:17], v[24:25], 2, s[6:7]
	global_load_dword v37, v[16:17], off
	v_cmp_gt_i32_e32 vcc, s40, v28
	v_ashrrev_i32_e32 v38, 4, v6
	s_waitcnt lgkmcnt(0)
	v_mfma_f32_16x16x16_bf16 v[2:5], v[12:13], v[8:9], v[2:5]
	v_cndmask_b32_e32 v12, v57, v29, vcc
	v_cmp_gt_i32_e32 vcc, s40, v6
	v_ashrrev_i32_e32 v13, 31, v12
	v_lshl_add_u64 v[12:13], v[12:13], 2, s[6:7]
	v_cndmask_b32_e32 v28, v57, v38, vcc
	v_ashrrev_i32_e32 v29, 31, v28
	v_mfma_f32_16x16x16_bf16 v[24:27], v[26:27], v[18:19], v[58:61]
	v_lshl_add_u64 v[28:29], v[28:29], 2, s[6:7]
	global_load_dword v57, v[12:13], off
	s_nop 0
	global_load_dword v58, v[28:29], off
	v_lshl_or_b32 v6, v53, 9, v56
	v_mfma_f32_16x16x16_bf16 v[20:23], v[22:23], v[18:19], v[48:51]
	v_lshl_add_u64 v[12:13], s[4:5], 0, v[6:7]
	v_mfma_f32_16x16x16_bf16 v[16:19], v[42:43], v[18:19], v[66:69]
	s_waitcnt vmcnt(5)
	v_mfma_f32_16x16x16_bf16 v[16:19], v[62:63], v[8:9], v[16:19]
	s_waitcnt vmcnt(4)
	v_mfma_f32_16x16x16_bf16 v[24:27], v[30:31], v[8:9], v[24:27]
	v_mfma_f32_16x16x16_bf16 v[28:31], v[14:15], v[10:11], v[2:5]
	;; [unrolled: 1-line block ×3, first 2 shown]
	s_waitcnt vmcnt(3)
	s_nop 0
	v_mad_i64_i32 v[2:3], s[4:5], v36, s45, 0
	v_lshl_add_u64 v[14:15], v[2:3], 1, v[12:13]
	global_load_dwordx4 v[6:9], v[14:15], off
	global_load_dwordx4 v[2:5], v[14:15], off offset:16
	v_mfma_f32_16x16x16_bf16 v[14:17], v[64:65], v[10:11], v[16:19]
	s_waitcnt vmcnt(4)
	v_mad_i64_i32 v[36:37], s[4:5], v37, s45, 0
	v_lshl_add_u64 v[38:39], v[36:37], 1, v[12:13]
	v_mfma_f32_16x16x16_bf16 v[20:23], v[46:47], v[10:11], v[20:23]
	v_pk_mul_f32 v[48:49], s[12:13], v[30:31] op_sel_hi:[0,1]
	s_nop 1
	v_pk_mul_f32 v[42:43], s[12:13], v[14:15] op_sel_hi:[0,1]
	v_and_b32_e32 v14, 0xc0, v0
	v_add_u32_e32 v14, s18, v14
	v_lshl_or_b32 v14, v1, 2, v14
	v_pk_mul_f32 v[36:37], s[12:13], v[16:17] op_sel_hi:[0,1]
	v_or_b32_e32 v17, 1, v14
	v_mfma_f32_16x16x16_bf16 v[24:27], v[32:33], v[10:11], v[24:27]
	v_pk_mul_f32 v[10:11], s[12:13], v[28:29] op_sel_hi:[0,1]
	v_mov_b32_e32 v15, 0xff7fffff
	v_cmp_gt_i32_e64 s[4:5], s40, v14
	v_cmp_gt_i32_e64 s[34:35], s40, v17
	v_or_b32_e32 v18, 3, v14
	v_cndmask_b32_e64 v16, v15, v10, s[4:5]
	v_cndmask_b32_e64 v17, v15, v11, s[34:35]
	v_max3_f32 v16, v16, s42, v17
	v_or_b32_e32 v17, 2, v14
	v_cmp_gt_i32_e64 s[36:37], s40, v17
	v_cmp_gt_i32_e64 s[38:39], s40, v18
	v_pk_mul_f32 v[40:41], s[12:13], v[20:21] op_sel_hi:[0,1]
	v_cndmask_b32_e64 v17, v15, v48, s[36:37]
	v_cndmask_b32_e64 v18, v15, v49, s[38:39]
	v_max3_f32 v16, v16, v17, v18
	v_or_b32_e32 v17, 16, v14
	v_or_b32_e32 v18, 17, v14
	v_cmp_gt_i32_e64 s[24:25], s40, v17
	v_cmp_gt_i32_e64 s[26:27], s40, v18
	v_pk_mul_f32 v[50:51], s[12:13], v[22:23] op_sel_hi:[0,1]
	v_cndmask_b32_e64 v17, v15, v40, s[24:25]
	v_cndmask_b32_e64 v18, v15, v41, s[26:27]
	v_max3_f32 v16, v16, v17, v18
	v_or_b32_e32 v17, 18, v14
	;; [unrolled: 8-line block ×4, first 2 shown]
	v_or_b32_e32 v18, 35, v14
	v_cmp_gt_i32_e64 s[12:13], s40, v17
	v_cmp_gt_i32_e64 s[14:15], s40, v18
	global_load_dwordx4 v[30:33], v[38:39], off
	global_load_dwordx4 v[26:29], v[38:39], off offset:16
	v_cndmask_b32_e64 v17, v15, v46, s[12:13]
	v_cndmask_b32_e64 v18, v15, v47, s[14:15]
	v_max3_f32 v16, v16, v17, v18
	v_or_b32_e32 v17, 48, v14
	v_or_b32_e32 v18, 49, v14
	v_cmp_gt_i32_e64 s[8:9], s40, v17
	v_cmp_gt_i32_e64 s[10:11], s40, v18
	s_nop 0
	v_cndmask_b32_e64 v17, v15, v42, s[8:9]
	v_cndmask_b32_e64 v18, v15, v43, s[10:11]
	v_max3_f32 v16, v16, v17, v18
	v_or_b32_e32 v17, 50, v14
	v_or_b32_e32 v14, 51, v14
	v_cmp_gt_i32_e32 vcc, s40, v17
	v_cmp_gt_i32_e64 s[6:7], s40, v14
	s_nop 0
	v_cndmask_b32_e32 v17, v15, v36, vcc
	v_cndmask_b32_e64 v14, v15, v37, s[6:7]
	v_max3_f32 v16, v16, v17, v14
	v_mbcnt_lo_u32_b32 v14, -1, 0
	v_mbcnt_hi_u32_b32 v17, -1, v14
	v_and_b32_e32 v14, 64, v17
	v_add_u32_e32 v18, 64, v14
	v_xor_b32_e32 v14, 32, v17
	v_cmp_lt_i32_e64 s[40:41], v14, v18
	s_nop 1
	v_cndmask_b32_e64 v14, v17, v14, s[40:41]
	v_lshlrev_b32_e32 v59, 2, v14
	ds_bpermute_b32 v19, v59, v16
	s_waitcnt vmcnt(5)
	v_mad_i64_i32 v[14:15], s[40:41], v57, s45, 0
	v_lshl_add_u64 v[14:15], v[14:15], 1, v[12:13]
	s_waitcnt lgkmcnt(0)
	v_max_f32_e32 v19, v19, v19
	v_max_f32_e32 v16, v16, v19
	v_xor_b32_e32 v19, 16, v17
	v_cmp_lt_i32_e64 s[40:41], v19, v18
	s_nop 1
	v_cndmask_b32_e64 v17, v17, v19, s[40:41]
	v_lshlrev_b32_e32 v60, 2, v17
	ds_bpermute_b32 v17, v60, v16
	global_load_dwordx4 v[22:25], v[14:15], off
	global_load_dwordx4 v[18:21], v[14:15], off offset:16
	s_waitcnt vmcnt(6)
	v_mad_i64_i32 v[14:15], s[40:41], v58, s45, 0
	v_lshl_add_u64 v[12:13], v[14:15], 1, v[12:13]
	s_waitcnt lgkmcnt(0)
	v_max_f32_e32 v14, v17, v17
	v_max_f32_e32 v57, v16, v14
	v_sub_f32_e32 v10, v10, v57
	v_mul_f32_e32 v10, 0x3fb8aa3b, v10
	v_exp_f32_e32 v38, v10
	v_sub_f32_e32 v10, v11, v57
	v_mul_f32_e32 v10, 0x3fb8aa3b, v10
	v_exp_f32_e32 v39, v10
	global_load_dwordx4 v[14:17], v[12:13], off
	s_nop 0
	global_load_dwordx4 v[10:13], v[12:13], off offset:16
	v_sub_f32_e32 v48, v48, v57
	v_mul_f32_e32 v48, 0x3fb8aa3b, v48
	v_sub_f32_e32 v49, v49, v57
	v_exp_f32_e32 v48, v48
	v_mul_f32_e32 v49, 0x3fb8aa3b, v49
	v_sub_f32_e32 v40, v40, v57
	v_exp_f32_e32 v49, v49
	v_mul_f32_e32 v40, 0x3fb8aa3b, v40
	v_sub_f32_e32 v41, v41, v57
	v_cndmask_b32_e64 v38, 0, v38, s[4:5]
	v_exp_f32_e32 v40, v40
	v_mul_f32_e32 v41, 0x3fb8aa3b, v41
	v_sub_f32_e32 v50, v50, v57
	v_add_f32_e32 v58, 0, v38
	v_cndmask_b32_e64 v39, 0, v39, s[34:35]
	v_exp_f32_e32 v41, v41
	v_mul_f32_e32 v50, 0x3fb8aa3b, v50
	v_sub_f32_e32 v51, v51, v57
	v_add_f32_e32 v58, v58, v39
	;; [unrolled: 5-line block ×10, first 2 shown]
	v_cndmask_b32_e64 v46, 0, v46, s[12:13]
	v_exp_f32_e32 v36, v36
	v_mul_f32_e32 v37, 0x3fb8aa3b, v37
	v_add_f32_e32 v58, v58, v46
	v_cndmask_b32_e64 v47, 0, v47, s[14:15]
	v_exp_f32_e32 v37, v37
	v_add_f32_e32 v58, v58, v47
	v_cndmask_b32_e64 v42, 0, v42, s[8:9]
	v_add_f32_e32 v58, v58, v42
	v_cndmask_b32_e64 v43, 0, v43, s[10:11]
	v_add_f32_e32 v58, v58, v43
	v_cndmask_b32_e32 v36, 0, v36, vcc
	v_add_f32_e32 v58, v58, v36
	v_cndmask_b32_e64 v37, 0, v37, s[6:7]
	v_add_f32_e32 v58, v58, v37
	ds_bpermute_b32 v59, v59, v58
	v_cmp_gt_u32_e32 vcc, 16, v54
	s_waitcnt lgkmcnt(0)
	s_barrier
	v_add_f32_e32 v58, v58, v59
	ds_bpermute_b32 v59, v60, v58
	s_and_saveexec_b64 s[4:5], vcc
	s_cbranch_execz .LBB435_13
; %bb.12:
	s_waitcnt lgkmcnt(0)
	v_add_f32_e32 v54, v58, v59
	v_lshl_or_b32 v58, v53, 6, v55
	ds_write2st64_b32 v58, v57, v54 offset1:1
.LBB435_13:
	s_or_b64 exec, exec, s[4:5]
	s_load_dword s6, s[0:1], 0x94
	s_waitcnt lgkmcnt(0)
	s_barrier
	ds_read2_b32 v[58:59], v55 offset1:16
	ds_read2_b32 v[60:61], v55 offset0:32 offset1:48
	ds_read2_b32 v[62:63], v55 offset0:64 offset1:80
	s_movk_i32 s8, 0x7fff
	s_mov_b32 s9, 0x7060302
	s_waitcnt lgkmcnt(2)
	v_max3_f32 v54, v58, s42, v59
	s_waitcnt lgkmcnt(1)
	v_max3_f32 v54, v54, v60, v61
	v_sub_f32_e32 v57, v58, v54
	v_sub_f32_e32 v58, v59, v54
	v_mul_f32_e32 v58, 0x3fb8aa3b, v58
	v_mul_f32_e32 v57, 0x3fb8aa3b, v57
	v_exp_f32_e32 v64, v58
	v_sub_f32_e32 v58, v60, v54
	v_exp_f32_e32 v57, v57
	v_mul_f32_e32 v58, 0x3fb8aa3b, v58
	v_exp_f32_e32 v60, v58
	ds_read2_b32 v[58:59], v55 offset0:96 offset1:112
	v_sub_f32_e32 v55, v61, v54
	v_mul_f32_e32 v55, 0x3fb8aa3b, v55
	v_exp_f32_e32 v61, v55
	s_waitcnt lgkmcnt(1)
	v_fma_f32 v55, v57, v62, 0
	v_fmac_f32_e32 v55, v64, v63
	s_waitcnt lgkmcnt(0)
	v_fmac_f32_e32 v55, v60, v58
	v_fmac_f32_e32 v55, v61, v59
	v_add_f32_e32 v58, 0x358637bd, v55
	v_div_scale_f32 v59, s[4:5], v58, v58, 1.0
	v_rcp_f32_e32 v62, v59
	s_barrier
	v_fma_f32 v63, -v59, v62, 1.0
	v_fmac_f32_e32 v62, v63, v62
	v_div_scale_f32 v63, vcc, 1.0, v58, 1.0
	v_mul_f32_e32 v65, v63, v62
	v_fma_f32 v66, -v59, v65, v63
	v_fmac_f32_e32 v65, v66, v62
	v_fma_f32 v59, -v59, v65, v63
	v_div_fmas_f32 v59, v59, v62, v65
	v_cmp_eq_u32_e32 vcc, 1, v53
	v_div_fixup_f32 v58, v59, v58, 1.0
	s_lshl_b32 s7, s33, 4
	v_cndmask_b32_e32 v57, v57, v64, vcc
	v_cmp_eq_u32_e32 vcc, 2, v53
	s_nop 1
	v_cndmask_b32_e32 v57, v57, v60, vcc
	v_cmp_eq_u32_e32 vcc, 3, v53
	s_nop 1
	v_cndmask_b32_e32 v57, v57, v61, vcc
	v_mul_f32_e32 v58, v57, v58
	v_pk_mul_f32 v[38:39], v[58:59], v[38:39] op_sel_hi:[0,1]
	v_pk_mul_f32 v[48:49], v[58:59], v[48:49] op_sel_hi:[0,1]
	v_bfe_u32 v57, v39, 16, 1
	v_bfe_u32 v59, v38, 16, 1
	v_add3_u32 v38, v38, v59, s8
	v_add3_u32 v39, v39, v57, s8
	v_perm_b32 v60, v39, v38, s9
	v_bfe_u32 v38, v49, 16, 1
	v_bfe_u32 v39, v48, 16, 1
	v_add3_u32 v39, v48, v39, s8
	v_add3_u32 v38, v49, v38, s8
	v_perm_b32 v61, v38, v39, s9
	v_lshlrev_b32_e32 v38, 3, v1
	v_lshlrev_b32_e32 v39, 11, v53
	v_pk_mul_f32 v[40:41], v[58:59], v[40:41] op_sel_hi:[0,1]
	v_or3_b32 v38, v39, v56, v38
	v_pk_mul_f32 v[48:49], v[58:59], v[50:51] op_sel_hi:[0,1]
	v_bfe_u32 v39, v41, 16, 1
	v_bfe_u32 v50, v40, 16, 1
	v_add3_u32 v40, v40, v50, s8
	v_add3_u32 v39, v41, v39, s8
	v_perm_b32 v40, v39, v40, s9
	v_bfe_u32 v39, v49, 16, 1
	v_bfe_u32 v41, v48, 16, 1
	v_add3_u32 v41, v48, v41, s8
	v_add3_u32 v39, v49, v39, s8
	v_perm_b32 v41, v39, v41, s9
	v_pk_mul_f32 v[44:45], v[58:59], v[44:45] op_sel_hi:[0,1]
	ds_write2st64_b64 v38, v[60:61], v[40:41] offset1:1
	v_pk_mul_f32 v[40:41], v[58:59], v[46:47] op_sel_hi:[0,1]
	v_bfe_u32 v39, v45, 16, 1
	v_bfe_u32 v46, v44, 16, 1
	v_add3_u32 v44, v44, v46, s8
	v_add3_u32 v39, v45, v39, s8
	v_perm_b32 v44, v39, v44, s9
	v_bfe_u32 v39, v41, 16, 1
	v_bfe_u32 v45, v40, 16, 1
	v_add3_u32 v40, v40, v45, s8
	v_add3_u32 v39, v41, v39, s8
	v_perm_b32 v45, v39, v40, s9
	v_pk_mul_f32 v[40:41], v[58:59], v[42:43] op_sel_hi:[0,1]
	v_bfe_u32 v39, v41, 16, 1
	v_bfe_u32 v42, v40, 16, 1
	v_pk_mul_f32 v[36:37], v[58:59], v[36:37] op_sel_hi:[0,1]
	v_add3_u32 v40, v40, v42, s8
	v_add3_u32 v39, v41, v39, s8
	v_perm_b32 v40, v39, v40, s9
	v_bfe_u32 v39, v37, 16, 1
	v_bfe_u32 v41, v36, 16, 1
	v_add3_u32 v36, v36, v41, s8
	v_add3_u32 v37, v37, v39, s8
	v_perm_b32 v41, v37, v36, s9
	v_cmp_gt_u32_e32 vcc, 16, v0
	ds_write2st64_b64 v38, v[44:45], v[40:41] offset0:2 offset1:3
	s_and_saveexec_b64 s[4:5], vcc
	s_cbranch_execz .LBB435_15
; %bb.14:
	v_or_b32_e32 v36, s29, v0
	v_mov_b32_e32 v37, 0
	v_mov_b32_e32 v39, s7
	v_mad_u64_u32 v[40:41], s[10:11], s2, v39, v[36:37]
	v_mov_b32_e32 v36, s28
	s_load_dwordx4 s[12:15], s[0:1], 0x58
	s_mul_i32 s3, s3, s7
	v_mad_u64_u32 v[36:37], s[10:11], v40, s6, v[36:37]
	v_add_u32_e32 v39, s3, v41
	v_mov_b32_e32 v40, v37
	v_mad_u64_u32 v[40:41], s[10:11], v39, s6, v[40:41]
	v_mov_b32_e32 v37, v40
	v_lshlrev_b64 v[36:37], 2, v[36:37]
	s_waitcnt lgkmcnt(0)
	v_lshl_add_u64 v[40:41], s[14:15], 0, v[36:37]
	v_lshl_add_u64 v[36:37], s[12:13], 0, v[36:37]
	global_store_dword v[40:41], v54, off
	global_store_dword v[36:37], v55, off
.LBB435_15:
	s_or_b64 exec, exec, s[4:5]
	s_waitcnt lgkmcnt(0)
	s_barrier
	ds_read_b128 v[40:43], v35
	ds_read_b128 v[44:47], v35 offset:16
	s_waitcnt vmcnt(7) lgkmcnt(1)
	v_mfma_f32_16x16x16_bf16 v[48:51], v[6:7], v[40:41], 0
	v_cmp_gt_u32_e32 vcc, 64, v0
	s_mov_b32 s3, 0
	s_and_b64 s[4:5], vcc, s[30:31]
	v_mfma_f32_16x16x16_bf16 v[6:9], v[8:9], v[42:43], v[48:51]
	s_waitcnt vmcnt(6) lgkmcnt(0)
	v_mfma_f32_16x16x16_bf16 v[6:9], v[2:3], v[44:45], v[6:9]
	v_mfma_f32_16x16x16_bf16 v[2:5], v[4:5], v[46:47], v[6:9]
	s_nop 5
	ds_read_b128 v[6:9], v35 offset:2048
	ds_read_b128 v[40:43], v35 offset:2064
	s_waitcnt vmcnt(5) lgkmcnt(1)
	v_mfma_f32_16x16x16_bf16 v[2:5], v[30:31], v[6:7], v[2:5]
	v_mfma_f32_16x16x16_bf16 v[2:5], v[32:33], v[8:9], v[2:5]
	s_waitcnt vmcnt(4) lgkmcnt(0)
	v_mfma_f32_16x16x16_bf16 v[2:5], v[26:27], v[40:41], v[2:5]
	v_mfma_f32_16x16x16_bf16 v[2:5], v[28:29], v[42:43], v[2:5]
	ds_read_b128 v[6:9], v35 offset:4096
	ds_read_b128 v[26:29], v35 offset:4112
	s_waitcnt vmcnt(3) lgkmcnt(1)
	v_mfma_f32_16x16x16_bf16 v[2:5], v[22:23], v[6:7], v[2:5]
	v_mfma_f32_16x16x16_bf16 v[2:5], v[24:25], v[8:9], v[2:5]
	s_waitcnt vmcnt(2) lgkmcnt(0)
	v_mfma_f32_16x16x16_bf16 v[2:5], v[18:19], v[26:27], v[2:5]
	v_mfma_f32_16x16x16_bf16 v[2:5], v[20:21], v[28:29], v[2:5]
	ds_read_b128 v[6:9], v35 offset:6144
	ds_read_b128 v[18:21], v35 offset:6160
	v_mov_b32_e32 v35, 0
	s_waitcnt vmcnt(1) lgkmcnt(0)
	v_mfma_f32_16x16x16_bf16 v[2:5], v[14:15], v[6:7], v[2:5]
	s_barrier
	v_mfma_f32_16x16x16_bf16 v[2:5], v[16:17], v[8:9], v[2:5]
	s_waitcnt vmcnt(0)
	v_mfma_f32_16x16x16_bf16 v[2:5], v[10:11], v[18:19], v[2:5]
	v_mfma_f32_16x16x16_bf16 v[2:5], v[12:13], v[20:21], v[2:5]
	s_nop 6
	v_bfe_u32 v6, v3, 16, 1
	v_bfe_u32 v7, v2, 16, 1
	;; [unrolled: 1-line block ×4, first 2 shown]
	v_add3_u32 v2, v2, v7, s8
	v_add3_u32 v3, v3, v6, s8
	;; [unrolled: 1-line block ×4, first 2 shown]
	v_perm_b32 v2, v3, v2, s9
	v_perm_b32 v3, v5, v4, s9
	ds_write_b64 v38, v[2:3]
	s_waitcnt lgkmcnt(0)
	s_barrier
	s_and_saveexec_b64 s[8:9], s[4:5]
	s_cbranch_execz .LBB435_17
; %bb.16:
	s_load_dwordx2 s[0:1], s[0:1], 0x68
	s_lshl_b32 s6, s6, 6
	s_mul_i32 s2, s7, s2
	s_mul_hi_u32 s5, s2, s6
	s_mul_i32 s4, s2, s6
	s_lshl_b64 s[4:5], s[4:5], 1
	s_waitcnt lgkmcnt(0)
	s_add_u32 s4, s0, s4
	s_addc_u32 s5, s1, s5
	s_lshl_b32 s2, s28, 6
	v_lshlrev_b32_e32 v0, 10, v0
	s_lshl_b64 s[0:1], s[2:3], 1
	v_and_b32_e32 v0, 0x1800, v0
	v_lshlrev_b32_e32 v2, 5, v1
	v_and_b32_e32 v3, 16, v52
	s_add_u32 s0, s4, s0
	v_or3_b32 v0, v0, v2, v3
	s_addc_u32 s1, s5, s1
	v_or_b32_e32 v20, s29, v1
	ds_read_b128 v[2:5], v0
	ds_read_b128 v[6:9], v0 offset:128
	ds_read_b128 v[10:13], v0 offset:256
	;; [unrolled: 1-line block ×3, first 2 shown]
	v_lshl_add_u64 v[18:19], s[0:1], 0, v[34:35]
	v_mad_u64_u32 v[0:1], s[0:1], v20, s6, 0
	v_lshl_add_u64 v[0:1], v[0:1], 1, v[18:19]
	s_waitcnt lgkmcnt(3)
	global_store_dwordx4 v[0:1], v[2:5], off
	v_or_b32_e32 v0, 4, v20
	v_mad_u64_u32 v[0:1], s[0:1], v0, s6, 0
	v_lshl_add_u64 v[0:1], v[0:1], 1, v[18:19]
	s_waitcnt lgkmcnt(2)
	global_store_dwordx4 v[0:1], v[6:9], off
	v_or_b32_e32 v0, 8, v20
	v_mad_u64_u32 v[0:1], s[0:1], v0, s6, 0
	v_lshl_add_u64 v[0:1], v[0:1], 1, v[18:19]
	s_waitcnt lgkmcnt(1)
	global_store_dwordx4 v[0:1], v[10:13], off
	v_or_b32_e32 v0, 12, v20
	v_mad_u64_u32 v[0:1], s[0:1], v0, s6, 0
	v_lshl_add_u64 v[0:1], v[0:1], 1, v[18:19]
	s_waitcnt lgkmcnt(0)
	global_store_dwordx4 v[0:1], v[14:17], off
.LBB435_17:
	s_endpgm
	.section	.rodata,"a",@progbits
	.p2align	6, 0x0
	.amdhsa_kernel _Z39paged_attention_ll4mi_QKV_mfma16_kernelI14__hip_bfloat16S0_LN4vllm18Fp8KVCacheDataTypeE0EhLi16ELi64ELi256ELb0ELi16EEvPKT_PKT0_S8_ifPKiSA_SA_iPKfiiiPfSD_PS3_PT2_iSC_SC_
		.amdhsa_group_segment_fixed_size 8192
		.amdhsa_private_segment_fixed_size 0
		.amdhsa_kernarg_size 400
		.amdhsa_user_sgpr_count 2
		.amdhsa_user_sgpr_dispatch_ptr 0
		.amdhsa_user_sgpr_queue_ptr 0
		.amdhsa_user_sgpr_kernarg_segment_ptr 1
		.amdhsa_user_sgpr_dispatch_id 0
		.amdhsa_user_sgpr_kernarg_preload_length 0
		.amdhsa_user_sgpr_kernarg_preload_offset 0
		.amdhsa_user_sgpr_private_segment_size 0
		.amdhsa_uses_dynamic_stack 0
		.amdhsa_enable_private_segment 0
		.amdhsa_system_sgpr_workgroup_id_x 1
		.amdhsa_system_sgpr_workgroup_id_y 1
		.amdhsa_system_sgpr_workgroup_id_z 1
		.amdhsa_system_sgpr_workgroup_info 0
		.amdhsa_system_vgpr_workitem_id 0
		.amdhsa_next_free_vgpr 70
		.amdhsa_next_free_sgpr 48
		.amdhsa_accum_offset 72
		.amdhsa_reserve_vcc 1
		.amdhsa_float_round_mode_32 0
		.amdhsa_float_round_mode_16_64 0
		.amdhsa_float_denorm_mode_32 3
		.amdhsa_float_denorm_mode_16_64 3
		.amdhsa_dx10_clamp 1
		.amdhsa_ieee_mode 1
		.amdhsa_fp16_overflow 0
		.amdhsa_tg_split 0
		.amdhsa_exception_fp_ieee_invalid_op 0
		.amdhsa_exception_fp_denorm_src 0
		.amdhsa_exception_fp_ieee_div_zero 0
		.amdhsa_exception_fp_ieee_overflow 0
		.amdhsa_exception_fp_ieee_underflow 0
		.amdhsa_exception_fp_ieee_inexact 0
		.amdhsa_exception_int_div_zero 0
	.end_amdhsa_kernel
	.section	.text._Z39paged_attention_ll4mi_QKV_mfma16_kernelI14__hip_bfloat16S0_LN4vllm18Fp8KVCacheDataTypeE0EhLi16ELi64ELi256ELb0ELi16EEvPKT_PKT0_S8_ifPKiSA_SA_iPKfiiiPfSD_PS3_PT2_iSC_SC_,"axG",@progbits,_Z39paged_attention_ll4mi_QKV_mfma16_kernelI14__hip_bfloat16S0_LN4vllm18Fp8KVCacheDataTypeE0EhLi16ELi64ELi256ELb0ELi16EEvPKT_PKT0_S8_ifPKiSA_SA_iPKfiiiPfSD_PS3_PT2_iSC_SC_,comdat
.Lfunc_end435:
	.size	_Z39paged_attention_ll4mi_QKV_mfma16_kernelI14__hip_bfloat16S0_LN4vllm18Fp8KVCacheDataTypeE0EhLi16ELi64ELi256ELb0ELi16EEvPKT_PKT0_S8_ifPKiSA_SA_iPKfiiiPfSD_PS3_PT2_iSC_SC_, .Lfunc_end435-_Z39paged_attention_ll4mi_QKV_mfma16_kernelI14__hip_bfloat16S0_LN4vllm18Fp8KVCacheDataTypeE0EhLi16ELi64ELi256ELb0ELi16EEvPKT_PKT0_S8_ifPKiSA_SA_iPKfiiiPfSD_PS3_PT2_iSC_SC_
                                        ; -- End function
	.section	.AMDGPU.csdata,"",@progbits
; Kernel info:
; codeLenInByte = 4044
; NumSgprs: 54
; NumVgprs: 70
; NumAgprs: 0
; TotalNumVgprs: 70
; ScratchSize: 0
; MemoryBound: 0
; FloatMode: 240
; IeeeMode: 1
; LDSByteSize: 8192 bytes/workgroup (compile time only)
; SGPRBlocks: 6
; VGPRBlocks: 8
; NumSGPRsForWavesPerEU: 54
; NumVGPRsForWavesPerEU: 70
; AccumOffset: 72
; Occupancy: 7
; WaveLimiterHint : 1
; COMPUTE_PGM_RSRC2:SCRATCH_EN: 0
; COMPUTE_PGM_RSRC2:USER_SGPR: 2
; COMPUTE_PGM_RSRC2:TRAP_HANDLER: 0
; COMPUTE_PGM_RSRC2:TGID_X_EN: 1
; COMPUTE_PGM_RSRC2:TGID_Y_EN: 1
; COMPUTE_PGM_RSRC2:TGID_Z_EN: 1
; COMPUTE_PGM_RSRC2:TIDIG_COMP_CNT: 0
; COMPUTE_PGM_RSRC3_GFX90A:ACCUM_OFFSET: 17
; COMPUTE_PGM_RSRC3_GFX90A:TG_SPLIT: 0
	.section	.text._Z39paged_attention_ll4mi_QKV_mfma16_kernelI14__hip_bfloat16S0_LN4vllm18Fp8KVCacheDataTypeE0EhLi16ELi64ELi256ELb0ELi1EEvPKT_PKT0_S8_ifPKiSA_SA_iPKfiiiPfSD_PS3_PT2_iSC_SC_,"axG",@progbits,_Z39paged_attention_ll4mi_QKV_mfma16_kernelI14__hip_bfloat16S0_LN4vllm18Fp8KVCacheDataTypeE0EhLi16ELi64ELi256ELb0ELi1EEvPKT_PKT0_S8_ifPKiSA_SA_iPKfiiiPfSD_PS3_PT2_iSC_SC_,comdat
	.protected	_Z39paged_attention_ll4mi_QKV_mfma16_kernelI14__hip_bfloat16S0_LN4vllm18Fp8KVCacheDataTypeE0EhLi16ELi64ELi256ELb0ELi1EEvPKT_PKT0_S8_ifPKiSA_SA_iPKfiiiPfSD_PS3_PT2_iSC_SC_ ; -- Begin function _Z39paged_attention_ll4mi_QKV_mfma16_kernelI14__hip_bfloat16S0_LN4vllm18Fp8KVCacheDataTypeE0EhLi16ELi64ELi256ELb0ELi1EEvPKT_PKT0_S8_ifPKiSA_SA_iPKfiiiPfSD_PS3_PT2_iSC_SC_
	.globl	_Z39paged_attention_ll4mi_QKV_mfma16_kernelI14__hip_bfloat16S0_LN4vllm18Fp8KVCacheDataTypeE0EhLi16ELi64ELi256ELb0ELi1EEvPKT_PKT0_S8_ifPKiSA_SA_iPKfiiiPfSD_PS3_PT2_iSC_SC_
	.p2align	8
	.type	_Z39paged_attention_ll4mi_QKV_mfma16_kernelI14__hip_bfloat16S0_LN4vllm18Fp8KVCacheDataTypeE0EhLi16ELi64ELi256ELb0ELi1EEvPKT_PKT0_S8_ifPKiSA_SA_iPKfiiiPfSD_PS3_PT2_iSC_SC_,@function
_Z39paged_attention_ll4mi_QKV_mfma16_kernelI14__hip_bfloat16S0_LN4vllm18Fp8KVCacheDataTypeE0EhLi16ELi64ELi256ELb0ELi1EEvPKT_PKT0_S8_ifPKiSA_SA_iPKfiiiPfSD_PS3_PT2_iSC_SC_: ; @_Z39paged_attention_ll4mi_QKV_mfma16_kernelI14__hip_bfloat16S0_LN4vllm18Fp8KVCacheDataTypeE0EhLi16ELi64ELi256ELb0ELi1EEvPKT_PKT0_S8_ifPKiSA_SA_iPKfiiiPfSD_PS3_PT2_iSC_SC_
; %bb.0:
	s_load_dwordx2 s[12:13], s[0:1], 0x30
	s_mov_b32 s5, s3
	s_mov_b64 s[6:7], 0
	s_waitcnt lgkmcnt(0)
	s_cmp_lg_u64 s[12:13], 0
	s_cselect_b64 s[14:15], -1, 0
	s_and_b64 vcc, exec, s[14:15]
	s_cbranch_vccz .LBB436_7
; %bb.1:
	s_add_i32 s8, s2, 1
	s_mov_b32 s9, 0
	s_lshl_b64 s[10:11], s[8:9], 2
	s_add_u32 s10, s12, s10
	s_mov_b32 s3, s9
	s_addc_u32 s11, s13, s11
	s_lshl_b64 s[8:9], s[2:3], 2
	s_add_u32 s8, s12, s8
	s_addc_u32 s9, s13, s9
	s_load_dword s16, s[10:11], 0x0
	s_load_dword s17, s[8:9], 0x0
	s_waitcnt lgkmcnt(0)
	s_sub_i32 s8, s16, s17
	s_cmp_eq_u32 s8, 1
	s_cselect_b64 s[8:9], -1, 0
	s_andn2_b64 vcc, exec, s[6:7]
	s_cbranch_vccnz .LBB436_3
.LBB436_2:
	s_mov_b32 s3, 0
	s_mov_b64 s[8:9], -1
.LBB436_3:
	s_andn2_b64 vcc, exec, s[8:9]
	s_cbranch_vccnz .LBB436_17
; %bb.4:
	s_load_dwordx2 s[6:7], s[0:1], 0x28
	s_lshl_b64 s[16:17], s[2:3], 2
	s_waitcnt lgkmcnt(0)
	s_add_u32 s6, s6, s16
	s_addc_u32 s7, s7, s17
	s_load_dword s33, s[6:7], 0x0
	s_lshl_b32 s18, s5, 8
	s_waitcnt lgkmcnt(0)
	s_cmp_ge_i32 s18, s33
	s_cbranch_scc1 .LBB436_17
; %bb.5:
	s_load_dwordx2 s[6:7], s[0:1], 0x20
	s_load_dword s8, s[0:1], 0x38
	s_add_i32 s9, s33, 15
	s_ashr_i32 s10, s9, 31
	v_and_b32_e32 v1, 0xcf, v0
	s_lshr_b32 s10, s10, 28
	v_add_u32_e32 v1, s18, v1
	s_add_i32 s9, s9, s10
	v_ashrrev_i32_e32 v2, 31, v1
	s_ashr_i32 s19, s9, 4
	v_lshrrev_b32_e32 v10, 28, v2
	s_add_i32 s19, s19, -1
	s_waitcnt lgkmcnt(0)
	s_mul_i32 s8, s2, s8
	s_mov_b32 s9, 0
	v_add_u32_e32 v2, v1, v10
	s_lshl_b64 s[8:9], s[8:9], 2
	v_ashrrev_i32_e32 v2, 4, v2
	v_mov_b32_e32 v11, s19
	v_cmp_gt_i32_e32 vcc, s33, v1
	s_add_u32 s6, s6, s8
	s_addc_u32 s7, s7, s9
	v_cndmask_b32_e32 v2, v11, v2, vcc
	v_ashrrev_i32_e32 v3, 31, v2
	v_lshl_add_u64 v[4:5], v[2:3], 2, s[6:7]
	v_or_b32_e32 v2, 16, v1
	v_add_u32_e32 v3, v2, v10
	v_ashrrev_i32_e32 v3, 4, v3
	v_cmp_gt_i32_e32 vcc, s33, v2
	s_load_dwordx4 s[8:11], s[0:1], 0x8
	s_nop 0
	v_cndmask_b32_e32 v2, v11, v3, vcc
	v_ashrrev_i32_e32 v3, 31, v2
	v_lshl_add_u64 v[6:7], v[2:3], 2, s[6:7]
	v_or_b32_e32 v2, 32, v1
	v_add_u32_e32 v3, v2, v10
	v_ashrrev_i32_e32 v3, 4, v3
	v_cmp_gt_i32_e32 vcc, s33, v2
	v_or_b32_e32 v1, 48, v1
	s_nop 0
	v_cndmask_b32_e32 v2, v11, v3, vcc
	v_ashrrev_i32_e32 v3, 31, v2
	v_lshl_add_u64 v[8:9], v[2:3], 2, s[6:7]
	v_add_u32_e32 v2, v1, v10
	v_ashrrev_i32_e32 v2, 4, v2
	v_cmp_gt_i32_e32 vcc, s33, v1
	s_nop 1
	v_cndmask_b32_e32 v2, v11, v2, vcc
	v_ashrrev_i32_e32 v3, 31, v2
	v_lshl_add_u64 v[14:15], v[2:3], 2, s[6:7]
	global_load_dword v3, v[4:5], off
	global_load_dword v2, v[6:7], off
	;; [unrolled: 1-line block ×4, first 2 shown]
	s_andn2_b64 vcc, exec, s[14:15]
	s_cbranch_vccnz .LBB436_8
; %bb.6:
	s_add_u32 s12, s12, s16
	s_addc_u32 s13, s13, s17
	s_load_dword s14, s[12:13], 0x0
	s_branch .LBB436_9
.LBB436_7:
	s_mov_b64 s[8:9], 0
	s_branch .LBB436_2
.LBB436_8:
	s_mov_b32 s14, s2
.LBB436_9:
	s_load_dwordx4 s[44:47], s[0:1], 0x48
	v_lshrrev_b32_e32 v54, 6, v0
	v_bfe_u32 v52, v0, 4, 2
	v_lshl_or_b32 v1, v54, 2, v52
	v_and_b32_e32 v56, 15, v0
	v_lshlrev_b32_e32 v4, 3, v56
	v_cmp_eq_u32_e32 vcc, 0, v1
	v_cmp_gt_u32_e64 s[28:29], 8, v56
	v_and_b32_e32 v55, 63, v0
	s_and_b64 s[16:17], s[28:29], vcc
	v_lshlrev_b32_e32 v1, 1, v4
	s_and_saveexec_b64 s[12:13], s[16:17]
	s_cbranch_execz .LBB436_11
; %bb.10:
	s_load_dwordx2 s[16:17], s[0:1], 0x0
	s_waitcnt lgkmcnt(0)
	s_ashr_i32 s15, s44, 31
	s_mul_hi_u32 s20, s14, s44
	s_mul_i32 s15, s14, s15
	s_add_i32 s15, s20, s15
	s_mul_i32 s14, s14, s44
	s_lshl_b64 s[14:15], s[14:15], 1
	s_add_u32 s16, s16, s14
	s_addc_u32 s17, s17, s15
	s_lshl_b32 s14, s4, 6
	s_ashr_i32 s15, s14, 31
	s_lshl_b64 s[14:15], s[14:15], 1
	s_add_u32 s14, s16, s14
	s_addc_u32 s15, s17, s15
	global_load_dwordx4 v[4:7], v1, s[14:15]
	v_and_b32_e32 v8, 3, v0
	v_lshlrev_b32_e32 v9, 9, v56
	v_lshlrev_b32_e32 v8, 9, v8
	s_movk_i32 s14, 0x1800
	v_and_or_b32 v8, v9, s14, v8
	s_waitcnt vmcnt(0)
	ds_write_b128 v8, v[4:7]
.LBB436_11:
	s_or_b64 exec, exec, s[12:13]
	s_waitcnt lgkmcnt(0)
	s_mul_i32 s12, s4, s46
	s_mov_b32 s13, 0
	s_lshl_b64 s[12:13], s[12:13], 1
	s_add_u32 s8, s8, s12
	v_lshlrev_b32_e32 v53, 4, v0
	s_addc_u32 s9, s9, s13
	v_and_b32_e32 v36, 0xf0, v53
	v_mov_b32_e32 v37, 0
	v_lshl_add_u64 v[14:15], s[8:9], 0, v[36:37]
	s_waitcnt vmcnt(3)
	v_mad_i64_i32 v[4:5], s[8:9], v3, s45, 0
	v_lshl_add_u64 v[4:5], v[4:5], 1, v[14:15]
	v_and_b32_e32 v36, 0x300, v53
	v_lshl_add_u64 v[16:17], v[4:5], 0, v[36:37]
	s_barrier
	s_waitcnt vmcnt(2)
	v_mad_i64_i32 v[6:7], s[8:9], v2, s45, 0
	global_load_dwordx4 v[2:5], v[16:17], off
	v_lshl_add_u64 v[6:7], v[6:7], 1, v[14:15]
	v_lshl_add_u64 v[20:21], v[6:7], 0, v[36:37]
	global_load_dwordx4 v[6:9], v[20:21], off
	s_waitcnt vmcnt(2)
	v_mad_i64_i32 v[12:13], s[8:9], v12, s45, 0
	v_lshl_add_u64 v[12:13], v[12:13], 1, v[14:15]
	v_lshl_add_u64 v[38:39], v[12:13], 0, v[36:37]
	global_load_dwordx4 v[28:31], v[38:39], off
	v_mad_i64_i32 v[10:11], s[8:9], v10, s45, 0
	v_lshl_add_u64 v[10:11], v[10:11], 1, v[14:15]
	v_lshl_add_u64 v[10:11], v[10:11], 0, v[36:37]
	global_load_dwordx4 v[24:27], v[10:11], off
	v_lshlrev_b32_e32 v12, 9, v52
	global_load_dwordx4 v[16:19], v[16:17], off offset:1024
	ds_read_b128 v[32:35], v12
	ds_read_b128 v[12:15], v12 offset:2048
	global_load_dwordx4 v[20:23], v[20:21], off offset:1024
	v_and_or_b32 v36, v0, 48, s18
	global_load_dwordx4 v[44:47], v[10:11], off offset:1024
	global_load_dwordx4 v[58:61], v[38:39], off offset:1024
	v_mov_b32_e32 v70, s19
	v_cmp_gt_i32_e32 vcc, s33, v36
	s_load_dword s8, s[0:1], 0x1c
	v_lshlrev_b32_e32 v57, 5, v56
	s_add_u32 s10, s10, s12
	s_addc_u32 s11, s11, s13
	s_mov_b32 s42, 0xff7fffff
	v_lshlrev_b32_e32 v56, 2, v56
	s_waitcnt vmcnt(7) lgkmcnt(0)
	v_mfma_f32_16x16x16_bf16 v[40:43], v[2:3], v[32:33], 0
	v_ashrrev_i32_e32 v2, 4, v36
	v_cndmask_b32_e32 v2, v70, v2, vcc
	v_ashrrev_i32_e32 v3, 31, v2
	v_lshl_add_u64 v[10:11], v[2:3], 2, s[6:7]
	global_load_dword v38, v[10:11], off
	s_waitcnt vmcnt(7)
	v_mfma_f32_16x16x16_bf16 v[48:51], v[6:7], v[32:33], 0
	v_or_b32_e32 v6, 64, v36
	v_ashrrev_i32_e32 v7, 4, v6
	v_cmp_gt_i32_e32 vcc, s33, v6
	s_waitcnt vmcnt(6)
	v_mfma_f32_16x16x16_bf16 v[66:69], v[28:29], v[32:33], 0
	v_cndmask_b32_e32 v6, v70, v7, vcc
	v_ashrrev_i32_e32 v7, 31, v6
	v_lshl_add_u64 v[10:11], v[6:7], 2, s[6:7]
	global_load_dword v39, v[10:11], off
	v_mfma_f32_16x16x16_bf16 v[2:5], v[4:5], v[34:35], v[40:43]
	v_or_b32_e32 v10, 0x80, v36
	v_or_b32_e32 v11, 0xc0, v36
	v_cmp_gt_i32_e32 vcc, s33, v10
	v_mfma_f32_16x16x16_bf16 v[6:9], v[8:9], v[34:35], v[48:51]
	v_lshl_or_b32 v36, v54, 9, v57
	s_waitcnt vmcnt(6)
	v_mfma_f32_16x16x16_bf16 v[62:65], v[24:25], v[32:33], 0
	v_ashrrev_i32_e32 v32, 4, v10
	v_ashrrev_i32_e32 v33, 4, v11
	v_mfma_f32_16x16x16_bf16 v[28:31], v[30:31], v[34:35], v[66:69]
	s_waitcnt vmcnt(5)
	v_mfma_f32_16x16x16_bf16 v[2:5], v[16:17], v[12:13], v[2:5]
	v_cndmask_b32_e32 v16, v70, v32, vcc
	v_cmp_gt_i32_e32 vcc, s33, v11
	v_ashrrev_i32_e32 v17, 31, v16
	s_waitcnt vmcnt(4)
	v_mfma_f32_16x16x16_bf16 v[8:11], v[20:21], v[12:13], v[6:9]
	v_cndmask_b32_e32 v32, v70, v33, vcc
	v_ashrrev_i32_e32 v33, 31, v32
	s_nop 0
	v_lshl_add_u64 v[6:7], v[16:17], 2, s[6:7]
	v_lshl_add_u64 v[16:17], v[32:33], 2, s[6:7]
	s_waitcnt vmcnt(2)
	v_mfma_f32_16x16x16_bf16 v[28:31], v[58:59], v[12:13], v[28:31]
	global_load_dword v58, v[6:7], off
	global_load_dword v59, v[16:17], off
	v_lshl_add_u64 v[6:7], s[10:11], 0, v[36:37]
	s_waitcnt vmcnt(2)
	v_mad_i64_i32 v[32:33], s[6:7], v39, s45, 0
	v_mfma_f32_16x16x16_bf16 v[24:27], v[26:27], v[34:35], v[62:65]
	v_mfma_f32_16x16x16_bf16 v[24:27], v[44:45], v[12:13], v[24:27]
	s_nop 1
	v_and_b32_e32 v62, 0xc0, v0
	v_mfma_f32_16x16x16_bf16 v[16:19], v[18:19], v[14:15], v[2:5]
	s_nop 2
	v_mad_i64_i32 v[2:3], s[6:7], v38, s45, 0
	v_mfma_f32_16x16x16_bf16 v[20:23], v[22:23], v[14:15], v[8:11]
	v_lshl_add_u64 v[38:39], v[32:33], 1, v[6:7]
	v_mfma_f32_16x16x16_bf16 v[24:27], v[46:47], v[14:15], v[24:27]
	s_nop 0
	v_lshl_add_u64 v[8:9], v[2:3], 1, v[6:7]
	global_load_dwordx4 v[10:13], v[8:9], off
	global_load_dwordx4 v[2:5], v[8:9], off offset:16
	v_pk_mul_f32 v[8:9], s[8:9], v[16:17] op_sel_hi:[0,1]
	v_mfma_f32_16x16x16_bf16 v[28:31], v[60:61], v[14:15], v[28:31]
	v_add_u32_e32 v14, s18, v62
	v_lshl_or_b32 v14, v52, 2, v14
	v_or_b32_e32 v17, 1, v14
	v_mov_b32_e32 v15, 0xff7fffff
	v_cmp_gt_i32_e64 s[30:31], s33, v14
	v_cmp_gt_i32_e64 s[34:35], s33, v17
	v_pk_mul_f32 v[46:47], s[8:9], v[18:19] op_sel_hi:[0,1]
	v_cndmask_b32_e64 v16, v15, v8, s[30:31]
	v_cndmask_b32_e64 v17, v15, v9, s[34:35]
	v_max3_f32 v16, v16, s42, v17
	v_or_b32_e32 v17, 2, v14
	v_or_b32_e32 v18, 3, v14
	v_cmp_gt_i32_e64 s[36:37], s33, v17
	v_cmp_gt_i32_e64 s[38:39], s33, v18
	v_pk_mul_f32 v[40:41], s[8:9], v[20:21] op_sel_hi:[0,1]
	v_cndmask_b32_e64 v17, v15, v46, s[36:37]
	v_cndmask_b32_e64 v18, v15, v47, s[38:39]
	v_max3_f32 v16, v16, v17, v18
	v_or_b32_e32 v17, 16, v14
	v_or_b32_e32 v18, 17, v14
	;; [unrolled: 8-line block ×6, first 2 shown]
	v_pk_mul_f32 v[42:43], s[8:9], v[28:29] op_sel_hi:[0,1]
	v_cmp_gt_i32_e64 s[8:9], s33, v17
	v_cmp_gt_i32_e64 s[10:11], s33, v18
	global_load_dwordx4 v[30:33], v[38:39], off
	global_load_dwordx4 v[26:29], v[38:39], off offset:16
	v_cndmask_b32_e64 v17, v15, v42, s[8:9]
	v_cndmask_b32_e64 v18, v15, v43, s[10:11]
	v_max3_f32 v16, v16, v17, v18
	v_or_b32_e32 v17, 50, v14
	v_or_b32_e32 v14, 51, v14
	v_cmp_gt_i32_e32 vcc, s33, v17
	v_cmp_gt_i32_e64 s[6:7], s33, v14
	s_nop 0
	v_cndmask_b32_e32 v17, v15, v34, vcc
	v_cndmask_b32_e64 v14, v15, v35, s[6:7]
	v_max3_f32 v16, v16, v17, v14
	v_mbcnt_lo_u32_b32 v14, -1, 0
	v_mbcnt_hi_u32_b32 v17, -1, v14
	v_and_b32_e32 v14, 64, v17
	v_add_u32_e32 v18, 64, v14
	v_xor_b32_e32 v14, 32, v17
	v_cmp_lt_i32_e64 s[40:41], v14, v18
	s_nop 1
	v_cndmask_b32_e64 v14, v17, v14, s[40:41]
	v_lshlrev_b32_e32 v60, 2, v14
	ds_bpermute_b32 v19, v60, v16
	s_waitcnt vmcnt(5)
	v_mad_i64_i32 v[14:15], s[40:41], v58, s45, 0
	v_lshl_add_u64 v[14:15], v[14:15], 1, v[6:7]
	s_waitcnt lgkmcnt(0)
	v_max_f32_e32 v19, v19, v19
	v_max_f32_e32 v16, v16, v19
	v_xor_b32_e32 v19, 16, v17
	v_cmp_lt_i32_e64 s[40:41], v19, v18
	s_nop 1
	v_cndmask_b32_e64 v17, v17, v19, s[40:41]
	v_lshlrev_b32_e32 v61, 2, v17
	ds_bpermute_b32 v17, v61, v16
	global_load_dwordx4 v[22:25], v[14:15], off
	global_load_dwordx4 v[18:21], v[14:15], off offset:16
	s_waitcnt vmcnt(6)
	v_mad_i64_i32 v[14:15], s[40:41], v59, s45, 0
	v_lshl_add_u64 v[6:7], v[14:15], 1, v[6:7]
	s_waitcnt lgkmcnt(0)
	v_max_f32_e32 v14, v17, v17
	v_max_f32_e32 v36, v16, v14
	v_sub_f32_e32 v8, v8, v36
	v_mul_f32_e32 v8, 0x3fb8aa3b, v8
	v_exp_f32_e32 v38, v8
	v_sub_f32_e32 v8, v9, v36
	v_mul_f32_e32 v8, 0x3fb8aa3b, v8
	v_exp_f32_e32 v39, v8
	global_load_dwordx4 v[14:17], v[6:7], off
	s_nop 0
	global_load_dwordx4 v[6:9], v[6:7], off offset:16
	v_sub_f32_e32 v46, v46, v36
	v_mul_f32_e32 v46, 0x3fb8aa3b, v46
	v_sub_f32_e32 v47, v47, v36
	v_exp_f32_e32 v46, v46
	v_mul_f32_e32 v47, 0x3fb8aa3b, v47
	v_sub_f32_e32 v40, v40, v36
	v_exp_f32_e32 v47, v47
	v_mul_f32_e32 v40, 0x3fb8aa3b, v40
	v_sub_f32_e32 v41, v41, v36
	v_cndmask_b32_e64 v38, 0, v38, s[30:31]
	v_exp_f32_e32 v40, v40
	v_mul_f32_e32 v41, 0x3fb8aa3b, v41
	v_sub_f32_e32 v50, v50, v36
	v_add_f32_e32 v58, 0, v38
	v_cndmask_b32_e64 v39, 0, v39, s[34:35]
	v_exp_f32_e32 v41, v41
	v_mul_f32_e32 v50, 0x3fb8aa3b, v50
	v_sub_f32_e32 v51, v51, v36
	v_add_f32_e32 v58, v58, v39
	;; [unrolled: 5-line block ×10, first 2 shown]
	v_cndmask_b32_e64 v48, 0, v48, s[12:13]
	v_exp_f32_e32 v34, v34
	v_mul_f32_e32 v35, 0x3fb8aa3b, v35
	v_add_f32_e32 v58, v58, v48
	v_cndmask_b32_e64 v49, 0, v49, s[14:15]
	v_exp_f32_e32 v35, v35
	v_add_f32_e32 v58, v58, v49
	v_cndmask_b32_e64 v42, 0, v42, s[8:9]
	v_add_f32_e32 v58, v58, v42
	v_cndmask_b32_e64 v43, 0, v43, s[10:11]
	v_add_f32_e32 v58, v58, v43
	v_cndmask_b32_e32 v34, 0, v34, vcc
	v_add_f32_e32 v58, v58, v34
	v_cndmask_b32_e64 v35, 0, v35, s[6:7]
	v_add_f32_e32 v58, v58, v35
	ds_bpermute_b32 v59, v60, v58
	v_cmp_gt_u32_e64 s[6:7], 16, v55
	s_waitcnt lgkmcnt(0)
	s_barrier
	v_add_f32_e32 v58, v58, v59
	ds_bpermute_b32 v59, v61, v58
	s_and_saveexec_b64 s[8:9], s[6:7]
	s_cbranch_execz .LBB436_13
; %bb.12:
	s_waitcnt lgkmcnt(0)
	v_add_f32_e32 v55, v58, v59
	v_lshl_or_b32 v58, v54, 6, v56
	ds_write2st64_b32 v58, v36, v55 offset1:1
.LBB436_13:
	s_or_b64 exec, exec, s[8:9]
	s_load_dwordx2 s[8:9], s[0:1], 0x94
	s_waitcnt lgkmcnt(0)
	s_barrier
	ds_read2_b32 v[58:59], v56 offset1:16
	ds_read2_b32 v[60:61], v56 offset0:32 offset1:48
	ds_read2_b32 v[62:63], v56 offset0:64 offset1:80
	s_movk_i32 s12, 0x7fff
	s_mov_b32 s13, 0x7060302
	s_waitcnt lgkmcnt(2)
	v_max3_f32 v36, v58, s42, v59
	s_waitcnt lgkmcnt(1)
	v_max3_f32 v55, v36, v60, v61
	v_sub_f32_e32 v36, v58, v55
	v_sub_f32_e32 v58, v59, v55
	v_mul_f32_e32 v58, 0x3fb8aa3b, v58
	v_mul_f32_e32 v36, 0x3fb8aa3b, v36
	v_exp_f32_e32 v64, v58
	v_sub_f32_e32 v58, v60, v55
	v_exp_f32_e32 v36, v36
	v_mul_f32_e32 v58, 0x3fb8aa3b, v58
	v_exp_f32_e32 v60, v58
	ds_read2_b32 v[58:59], v56 offset0:96 offset1:112
	v_sub_f32_e32 v56, v61, v55
	v_mul_f32_e32 v56, 0x3fb8aa3b, v56
	v_exp_f32_e32 v61, v56
	s_waitcnt lgkmcnt(1)
	v_fma_f32 v56, v36, v62, 0
	v_fmac_f32_e32 v56, v64, v63
	s_waitcnt lgkmcnt(0)
	v_fmac_f32_e32 v56, v60, v58
	v_fmac_f32_e32 v56, v61, v59
	v_add_f32_e32 v58, 0x358637bd, v56
	v_div_scale_f32 v59, s[10:11], v58, v58, 1.0
	v_rcp_f32_e32 v62, v59
	s_barrier
	v_fma_f32 v63, -v59, v62, 1.0
	v_fmac_f32_e32 v62, v63, v62
	v_div_scale_f32 v63, vcc, 1.0, v58, 1.0
	v_mul_f32_e32 v65, v63, v62
	v_fma_f32 v66, -v59, v65, v63
	v_fmac_f32_e32 v65, v66, v62
	v_fma_f32 v59, -v59, v65, v63
	v_div_fmas_f32 v59, v59, v62, v65
	v_cmp_eq_u32_e32 vcc, 1, v54
	v_div_fixup_f32 v58, v59, v58, 1.0
	s_nop 0
	v_cndmask_b32_e32 v36, v36, v64, vcc
	v_cmp_eq_u32_e32 vcc, 2, v54
	s_nop 1
	v_cndmask_b32_e32 v36, v36, v60, vcc
	v_cmp_eq_u32_e32 vcc, 3, v54
	s_nop 1
	v_cndmask_b32_e32 v36, v36, v61, vcc
	v_mul_f32_e32 v58, v36, v58
	v_pk_mul_f32 v[38:39], v[58:59], v[38:39] op_sel_hi:[0,1]
	v_pk_mul_f32 v[46:47], v[58:59], v[46:47] op_sel_hi:[0,1]
	v_bfe_u32 v36, v39, 16, 1
	v_bfe_u32 v59, v38, 16, 1
	v_add3_u32 v38, v38, v59, s12
	v_add3_u32 v36, v39, v36, s12
	v_perm_b32 v38, v36, v38, s13
	v_bfe_u32 v36, v47, 16, 1
	v_bfe_u32 v39, v46, 16, 1
	v_add3_u32 v39, v46, v39, s12
	v_add3_u32 v36, v47, v36, s12
	v_perm_b32 v39, v36, v39, s13
	v_lshlrev_b32_e32 v36, 3, v52
	v_lshlrev_b32_e32 v46, 11, v54
	v_pk_mul_f32 v[40:41], v[58:59], v[40:41] op_sel_hi:[0,1]
	v_or3_b32 v36, v46, v57, v36
	v_pk_mul_f32 v[46:47], v[58:59], v[50:51] op_sel_hi:[0,1]
	v_bfe_u32 v50, v41, 16, 1
	v_bfe_u32 v51, v40, 16, 1
	v_add3_u32 v40, v40, v51, s12
	v_add3_u32 v41, v41, v50, s12
	v_perm_b32 v40, v41, v40, s13
	v_bfe_u32 v41, v47, 16, 1
	v_bfe_u32 v50, v46, 16, 1
	v_add3_u32 v46, v46, v50, s12
	v_add3_u32 v41, v47, v41, s12
	v_perm_b32 v41, v41, v46, s13
	ds_write2st64_b64 v36, v[38:39], v[40:41] offset1:1
	v_pk_mul_f32 v[40:41], v[58:59], v[44:45] op_sel_hi:[0,1]
	v_bfe_u32 v44, v41, 16, 1
	v_bfe_u32 v45, v40, 16, 1
	v_pk_mul_f32 v[38:39], v[58:59], v[48:49] op_sel_hi:[0,1]
	v_add3_u32 v40, v40, v45, s12
	v_add3_u32 v41, v41, v44, s12
	v_perm_b32 v40, v41, v40, s13
	v_bfe_u32 v41, v39, 16, 1
	v_bfe_u32 v44, v38, 16, 1
	v_add3_u32 v38, v38, v44, s12
	v_add3_u32 v39, v39, v41, s12
	v_perm_b32 v41, v39, v38, s13
	v_pk_mul_f32 v[38:39], v[58:59], v[42:43] op_sel_hi:[0,1]
	v_bfe_u32 v42, v39, 16, 1
	v_bfe_u32 v43, v38, 16, 1
	v_pk_mul_f32 v[34:35], v[58:59], v[34:35] op_sel_hi:[0,1]
	v_add3_u32 v38, v38, v43, s12
	v_add3_u32 v39, v39, v42, s12
	v_perm_b32 v38, v39, v38, s13
	v_bfe_u32 v39, v35, 16, 1
	v_bfe_u32 v42, v34, 16, 1
	v_add3_u32 v34, v34, v42, s12
	v_add3_u32 v35, v35, v39, s12
	v_perm_b32 v39, v35, v34, s13
	v_cmp_eq_u32_e32 vcc, 0, v0
	ds_write2st64_b64 v36, v[40:41], v[38:39] offset0:2 offset1:3
	s_and_saveexec_b64 s[10:11], vcc
	s_cbranch_execz .LBB436_15
; %bb.14:
	s_mul_i32 s3, s3, s9
	s_mul_hi_u32 s14, s2, s9
	s_add_i32 s14, s14, s3
	s_mul_i32 s3, s2, s9
	s_add_u32 s3, s3, s4
	s_addc_u32 s14, s14, 0
	s_load_dwordx4 s[16:19], s[0:1], 0x58
	s_mul_i32 s14, s14, s8
	s_mul_hi_u32 s15, s3, s8
	s_add_i32 s15, s15, s14
	s_mul_i32 s3, s3, s8
	s_add_u32 s14, s3, s5
	s_addc_u32 s15, s15, 0
	s_lshl_b64 s[14:15], s[14:15], 2
	s_waitcnt lgkmcnt(0)
	s_add_u32 s18, s18, s14
	s_addc_u32 s19, s19, s15
	s_add_u32 s14, s16, s14
	s_addc_u32 s15, s17, s15
	global_store_dword v37, v55, s[18:19]
	global_store_dword v37, v56, s[14:15]
.LBB436_15:
	s_or_b64 exec, exec, s[10:11]
	v_lshl_or_b32 v34, v52, 9, v57
	s_waitcnt lgkmcnt(0)
	s_barrier
	ds_read_b128 v[38:41], v34
	ds_read_b128 v[42:45], v34 offset:16
	s_waitcnt vmcnt(7) lgkmcnt(1)
	v_mfma_f32_16x16x16_bf16 v[46:49], v[10:11], v[38:39], 0
	v_cmp_gt_u32_e32 vcc, 64, v0
	s_and_b64 s[10:11], s[28:29], vcc
	s_mov_b32 s3, 0
	v_mfma_f32_16x16x16_bf16 v[10:13], v[12:13], v[40:41], v[46:49]
	s_and_b64 s[6:7], s[10:11], s[6:7]
	s_waitcnt vmcnt(6) lgkmcnt(0)
	v_mfma_f32_16x16x16_bf16 v[10:13], v[2:3], v[42:43], v[10:13]
	v_mfma_f32_16x16x16_bf16 v[2:5], v[4:5], v[44:45], v[10:13]
	s_nop 5
	ds_read_b128 v[10:13], v34 offset:2048
	ds_read_b128 v[38:41], v34 offset:2064
	s_waitcnt vmcnt(5) lgkmcnt(1)
	v_mfma_f32_16x16x16_bf16 v[2:5], v[30:31], v[10:11], v[2:5]
	v_mfma_f32_16x16x16_bf16 v[2:5], v[32:33], v[12:13], v[2:5]
	s_waitcnt vmcnt(4) lgkmcnt(0)
	v_mfma_f32_16x16x16_bf16 v[2:5], v[26:27], v[38:39], v[2:5]
	v_mfma_f32_16x16x16_bf16 v[2:5], v[28:29], v[40:41], v[2:5]
	ds_read_b128 v[10:13], v34 offset:4096
	ds_read_b128 v[26:29], v34 offset:4112
	s_waitcnt vmcnt(3) lgkmcnt(1)
	v_mfma_f32_16x16x16_bf16 v[2:5], v[22:23], v[10:11], v[2:5]
	v_mfma_f32_16x16x16_bf16 v[2:5], v[24:25], v[12:13], v[2:5]
	s_waitcnt vmcnt(2) lgkmcnt(0)
	v_mfma_f32_16x16x16_bf16 v[2:5], v[18:19], v[26:27], v[2:5]
	v_mfma_f32_16x16x16_bf16 v[2:5], v[20:21], v[28:29], v[2:5]
	ds_read_b128 v[10:13], v34 offset:6144
	ds_read_b128 v[18:21], v34 offset:6160
	s_waitcnt lgkmcnt(0)
	s_barrier
	s_waitcnt vmcnt(1)
	v_mfma_f32_16x16x16_bf16 v[2:5], v[14:15], v[10:11], v[2:5]
	v_mfma_f32_16x16x16_bf16 v[2:5], v[16:17], v[12:13], v[2:5]
	s_waitcnt vmcnt(0)
	v_mfma_f32_16x16x16_bf16 v[2:5], v[6:7], v[18:19], v[2:5]
	v_mfma_f32_16x16x16_bf16 v[2:5], v[8:9], v[20:21], v[2:5]
	s_nop 6
	v_bfe_u32 v6, v3, 16, 1
	v_bfe_u32 v7, v2, 16, 1
	;; [unrolled: 1-line block ×4, first 2 shown]
	v_add3_u32 v2, v2, v7, s12
	v_add3_u32 v3, v3, v6, s12
	;; [unrolled: 1-line block ×4, first 2 shown]
	v_perm_b32 v2, v3, v2, s13
	v_perm_b32 v3, v5, v4, s13
	ds_write_b64 v36, v[2:3]
	s_waitcnt lgkmcnt(0)
	s_barrier
	s_and_saveexec_b64 s[10:11], s[6:7]
	s_cbranch_execz .LBB436_17
; %bb.16:
	s_load_dwordx2 s[0:1], s[0:1], 0x68
	s_mul_i32 s2, s9, s2
	s_lshl_b32 s8, s8, 6
	s_mul_hi_u32 s7, s2, s8
	s_mul_i32 s6, s2, s8
	s_lshl_b64 s[6:7], s[6:7], 1
	v_lshlrev_b32_e32 v0, 10, v0
	s_waitcnt lgkmcnt(0)
	s_add_u32 s6, s0, s6
	v_and_b32_e32 v0, 0x1800, v0
	v_lshlrev_b32_e32 v2, 5, v52
	v_and_b32_e32 v3, 16, v53
	s_addc_u32 s7, s1, s7
	s_lshl_b32 s2, s5, 6
	v_or3_b32 v0, v0, v2, v3
	s_lshl_b64 s[0:1], s[2:3], 1
	ds_read_b128 v[2:5], v0
	s_add_u32 s2, s6, s0
	s_addc_u32 s3, s7, s1
	s_mul_hi_u32 s1, s8, s4
	s_mul_i32 s0, s8, s4
	s_lshl_b64 s[0:1], s[0:1], 1
	s_add_u32 s0, s2, s0
	s_addc_u32 s1, s3, s1
	s_waitcnt lgkmcnt(0)
	global_store_dwordx4 v1, v[2:5], s[0:1]
.LBB436_17:
	s_endpgm
	.section	.rodata,"a",@progbits
	.p2align	6, 0x0
	.amdhsa_kernel _Z39paged_attention_ll4mi_QKV_mfma16_kernelI14__hip_bfloat16S0_LN4vllm18Fp8KVCacheDataTypeE0EhLi16ELi64ELi256ELb0ELi1EEvPKT_PKT0_S8_ifPKiSA_SA_iPKfiiiPfSD_PS3_PT2_iSC_SC_
		.amdhsa_group_segment_fixed_size 8192
		.amdhsa_private_segment_fixed_size 0
		.amdhsa_kernarg_size 400
		.amdhsa_user_sgpr_count 2
		.amdhsa_user_sgpr_dispatch_ptr 0
		.amdhsa_user_sgpr_queue_ptr 0
		.amdhsa_user_sgpr_kernarg_segment_ptr 1
		.amdhsa_user_sgpr_dispatch_id 0
		.amdhsa_user_sgpr_kernarg_preload_length 0
		.amdhsa_user_sgpr_kernarg_preload_offset 0
		.amdhsa_user_sgpr_private_segment_size 0
		.amdhsa_uses_dynamic_stack 0
		.amdhsa_enable_private_segment 0
		.amdhsa_system_sgpr_workgroup_id_x 1
		.amdhsa_system_sgpr_workgroup_id_y 1
		.amdhsa_system_sgpr_workgroup_id_z 1
		.amdhsa_system_sgpr_workgroup_info 0
		.amdhsa_system_vgpr_workitem_id 0
		.amdhsa_next_free_vgpr 71
		.amdhsa_next_free_sgpr 48
		.amdhsa_accum_offset 72
		.amdhsa_reserve_vcc 1
		.amdhsa_float_round_mode_32 0
		.amdhsa_float_round_mode_16_64 0
		.amdhsa_float_denorm_mode_32 3
		.amdhsa_float_denorm_mode_16_64 3
		.amdhsa_dx10_clamp 1
		.amdhsa_ieee_mode 1
		.amdhsa_fp16_overflow 0
		.amdhsa_tg_split 0
		.amdhsa_exception_fp_ieee_invalid_op 0
		.amdhsa_exception_fp_denorm_src 0
		.amdhsa_exception_fp_ieee_div_zero 0
		.amdhsa_exception_fp_ieee_overflow 0
		.amdhsa_exception_fp_ieee_underflow 0
		.amdhsa_exception_fp_ieee_inexact 0
		.amdhsa_exception_int_div_zero 0
	.end_amdhsa_kernel
	.section	.text._Z39paged_attention_ll4mi_QKV_mfma16_kernelI14__hip_bfloat16S0_LN4vllm18Fp8KVCacheDataTypeE0EhLi16ELi64ELi256ELb0ELi1EEvPKT_PKT0_S8_ifPKiSA_SA_iPKfiiiPfSD_PS3_PT2_iSC_SC_,"axG",@progbits,_Z39paged_attention_ll4mi_QKV_mfma16_kernelI14__hip_bfloat16S0_LN4vllm18Fp8KVCacheDataTypeE0EhLi16ELi64ELi256ELb0ELi1EEvPKT_PKT0_S8_ifPKiSA_SA_iPKfiiiPfSD_PS3_PT2_iSC_SC_,comdat
.Lfunc_end436:
	.size	_Z39paged_attention_ll4mi_QKV_mfma16_kernelI14__hip_bfloat16S0_LN4vllm18Fp8KVCacheDataTypeE0EhLi16ELi64ELi256ELb0ELi1EEvPKT_PKT0_S8_ifPKiSA_SA_iPKfiiiPfSD_PS3_PT2_iSC_SC_, .Lfunc_end436-_Z39paged_attention_ll4mi_QKV_mfma16_kernelI14__hip_bfloat16S0_LN4vllm18Fp8KVCacheDataTypeE0EhLi16ELi64ELi256ELb0ELi1EEvPKT_PKT0_S8_ifPKiSA_SA_iPKfiiiPfSD_PS3_PT2_iSC_SC_
                                        ; -- End function
	.section	.AMDGPU.csdata,"",@progbits
; Kernel info:
; codeLenInByte = 3872
; NumSgprs: 54
; NumVgprs: 71
; NumAgprs: 0
; TotalNumVgprs: 71
; ScratchSize: 0
; MemoryBound: 0
; FloatMode: 240
; IeeeMode: 1
; LDSByteSize: 8192 bytes/workgroup (compile time only)
; SGPRBlocks: 6
; VGPRBlocks: 8
; NumSGPRsForWavesPerEU: 54
; NumVGPRsForWavesPerEU: 71
; AccumOffset: 72
; Occupancy: 7
; WaveLimiterHint : 1
; COMPUTE_PGM_RSRC2:SCRATCH_EN: 0
; COMPUTE_PGM_RSRC2:USER_SGPR: 2
; COMPUTE_PGM_RSRC2:TRAP_HANDLER: 0
; COMPUTE_PGM_RSRC2:TGID_X_EN: 1
; COMPUTE_PGM_RSRC2:TGID_Y_EN: 1
; COMPUTE_PGM_RSRC2:TGID_Z_EN: 1
; COMPUTE_PGM_RSRC2:TIDIG_COMP_CNT: 0
; COMPUTE_PGM_RSRC3_GFX90A:ACCUM_OFFSET: 17
; COMPUTE_PGM_RSRC3_GFX90A:TG_SPLIT: 0
	.section	.text._Z39paged_attention_ll4mi_QKV_mfma16_kernelI14__hip_bfloat16S0_LN4vllm18Fp8KVCacheDataTypeE0EhLi16ELi64ELi256ELb0ELi2EEvPKT_PKT0_S8_ifPKiSA_SA_iPKfiiiPfSD_PS3_PT2_iSC_SC_,"axG",@progbits,_Z39paged_attention_ll4mi_QKV_mfma16_kernelI14__hip_bfloat16S0_LN4vllm18Fp8KVCacheDataTypeE0EhLi16ELi64ELi256ELb0ELi2EEvPKT_PKT0_S8_ifPKiSA_SA_iPKfiiiPfSD_PS3_PT2_iSC_SC_,comdat
	.protected	_Z39paged_attention_ll4mi_QKV_mfma16_kernelI14__hip_bfloat16S0_LN4vllm18Fp8KVCacheDataTypeE0EhLi16ELi64ELi256ELb0ELi2EEvPKT_PKT0_S8_ifPKiSA_SA_iPKfiiiPfSD_PS3_PT2_iSC_SC_ ; -- Begin function _Z39paged_attention_ll4mi_QKV_mfma16_kernelI14__hip_bfloat16S0_LN4vllm18Fp8KVCacheDataTypeE0EhLi16ELi64ELi256ELb0ELi2EEvPKT_PKT0_S8_ifPKiSA_SA_iPKfiiiPfSD_PS3_PT2_iSC_SC_
	.globl	_Z39paged_attention_ll4mi_QKV_mfma16_kernelI14__hip_bfloat16S0_LN4vllm18Fp8KVCacheDataTypeE0EhLi16ELi64ELi256ELb0ELi2EEvPKT_PKT0_S8_ifPKiSA_SA_iPKfiiiPfSD_PS3_PT2_iSC_SC_
	.p2align	8
	.type	_Z39paged_attention_ll4mi_QKV_mfma16_kernelI14__hip_bfloat16S0_LN4vllm18Fp8KVCacheDataTypeE0EhLi16ELi64ELi256ELb0ELi2EEvPKT_PKT0_S8_ifPKiSA_SA_iPKfiiiPfSD_PS3_PT2_iSC_SC_,@function
_Z39paged_attention_ll4mi_QKV_mfma16_kernelI14__hip_bfloat16S0_LN4vllm18Fp8KVCacheDataTypeE0EhLi16ELi64ELi256ELb0ELi2EEvPKT_PKT0_S8_ifPKiSA_SA_iPKfiiiPfSD_PS3_PT2_iSC_SC_: ; @_Z39paged_attention_ll4mi_QKV_mfma16_kernelI14__hip_bfloat16S0_LN4vllm18Fp8KVCacheDataTypeE0EhLi16ELi64ELi256ELb0ELi2EEvPKT_PKT0_S8_ifPKiSA_SA_iPKfiiiPfSD_PS3_PT2_iSC_SC_
; %bb.0:
	s_load_dwordx2 s[12:13], s[0:1], 0x30
	s_mov_b32 s28, s3
	s_mov_b64 s[6:7], 0
	s_waitcnt lgkmcnt(0)
	s_cmp_lg_u64 s[12:13], 0
	s_cselect_b64 s[14:15], -1, 0
	s_and_b64 vcc, exec, s[14:15]
	s_cbranch_vccz .LBB437_7
; %bb.1:
	s_add_i32 s8, s2, 1
	s_mov_b32 s9, 0
	s_lshl_b64 s[10:11], s[8:9], 2
	s_add_u32 s10, s12, s10
	s_mov_b32 s3, s9
	s_addc_u32 s11, s13, s11
	s_lshl_b64 s[8:9], s[2:3], 2
	s_add_u32 s8, s12, s8
	s_addc_u32 s9, s13, s9
	s_load_dword s5, s[10:11], 0x0
	s_load_dword s16, s[8:9], 0x0
	s_waitcnt lgkmcnt(0)
	s_sub_i32 s5, s5, s16
	s_cmp_eq_u32 s5, 1
	s_cselect_b64 s[8:9], -1, 0
	s_andn2_b64 vcc, exec, s[6:7]
	s_cbranch_vccnz .LBB437_3
.LBB437_2:
	s_mov_b32 s3, 0
	s_mov_b64 s[8:9], -1
.LBB437_3:
	s_andn2_b64 vcc, exec, s[8:9]
	s_cbranch_vccnz .LBB437_17
; %bb.4:
	s_load_dwordx2 s[6:7], s[0:1], 0x28
	s_lshl_b64 s[16:17], s[2:3], 2
	s_waitcnt lgkmcnt(0)
	s_add_u32 s6, s6, s16
	s_addc_u32 s7, s7, s17
	s_load_dword s40, s[6:7], 0x0
	s_lshl_b32 s18, s28, 8
	s_waitcnt lgkmcnt(0)
	s_cmp_ge_i32 s18, s40
	s_cbranch_scc1 .LBB437_17
; %bb.5:
	s_load_dwordx2 s[6:7], s[0:1], 0x20
	s_load_dword s5, s[0:1], 0x38
	s_add_i32 s8, s40, 15
	s_ashr_i32 s9, s8, 31
	v_and_b32_e32 v1, 0xcf, v0
	s_lshr_b32 s9, s9, 28
	v_add_u32_e32 v1, s18, v1
	s_add_i32 s8, s8, s9
	v_ashrrev_i32_e32 v2, 31, v1
	s_ashr_i32 s19, s8, 4
	v_lshrrev_b32_e32 v8, 28, v2
	s_add_i32 s19, s19, -1
	s_waitcnt lgkmcnt(0)
	s_mul_i32 s8, s2, s5
	s_mov_b32 s9, 0
	v_add_u32_e32 v2, v1, v8
	s_lshl_b64 s[8:9], s[8:9], 2
	v_ashrrev_i32_e32 v2, 4, v2
	v_mov_b32_e32 v9, s19
	v_cmp_gt_i32_e32 vcc, s40, v1
	s_add_u32 s6, s6, s8
	s_addc_u32 s7, s7, s9
	v_cndmask_b32_e32 v2, v9, v2, vcc
	v_ashrrev_i32_e32 v3, 31, v2
	v_lshl_add_u64 v[4:5], v[2:3], 2, s[6:7]
	v_or_b32_e32 v2, 16, v1
	v_add_u32_e32 v3, v2, v8
	v_ashrrev_i32_e32 v3, 4, v3
	v_cmp_gt_i32_e32 vcc, s40, v2
	s_load_dwordx4 s[8:11], s[0:1], 0x8
	s_nop 0
	v_cndmask_b32_e32 v2, v9, v3, vcc
	v_ashrrev_i32_e32 v3, 31, v2
	v_lshl_add_u64 v[6:7], v[2:3], 2, s[6:7]
	v_or_b32_e32 v2, 32, v1
	v_add_u32_e32 v3, v2, v8
	v_ashrrev_i32_e32 v3, 4, v3
	v_cmp_gt_i32_e32 vcc, s40, v2
	v_or_b32_e32 v1, 48, v1
	s_nop 0
	v_cndmask_b32_e32 v2, v9, v3, vcc
	v_ashrrev_i32_e32 v3, 31, v2
	v_lshl_add_u64 v[12:13], v[2:3], 2, s[6:7]
	v_add_u32_e32 v2, v1, v8
	v_ashrrev_i32_e32 v2, 4, v2
	v_cmp_gt_i32_e32 vcc, s40, v1
	s_nop 1
	v_cndmask_b32_e32 v2, v9, v2, vcc
	v_ashrrev_i32_e32 v3, 31, v2
	v_lshl_add_u64 v[14:15], v[2:3], 2, s[6:7]
	global_load_dword v2, v[4:5], off
	global_load_dword v10, v[6:7], off
	;; [unrolled: 1-line block ×4, first 2 shown]
	s_andn2_b64 vcc, exec, s[14:15]
	s_cbranch_vccnz .LBB437_8
; %bb.6:
	s_add_u32 s12, s12, s16
	s_addc_u32 s13, s13, s17
	s_load_dword s5, s[12:13], 0x0
	s_branch .LBB437_9
.LBB437_7:
	s_mov_b64 s[8:9], 0
	s_branch .LBB437_2
.LBB437_8:
	s_mov_b32 s5, s2
.LBB437_9:
	s_load_dwordx4 s[44:47], s[0:1], 0x48
	v_lshrrev_b32_e32 v54, 6, v0
	v_bfe_u32 v1, v0, 4, 2
	v_lshl_or_b32 v3, v54, 2, v1
	v_and_b32_e32 v55, 15, v0
	v_lshlrev_b32_e32 v4, 3, v55
	v_cmp_gt_u32_e32 vcc, 2, v3
	v_cmp_gt_u32_e64 s[30:31], 8, v55
	v_and_b32_e32 v52, 63, v0
	s_lshl_b32 s29, s4, 1
	s_and_b64 s[14:15], s[30:31], vcc
	v_lshlrev_b32_e32 v34, 1, v4
	s_and_saveexec_b64 s[12:13], s[14:15]
	s_cbranch_execz .LBB437_11
; %bb.10:
	s_load_dwordx2 s[14:15], s[0:1], 0x0
	s_waitcnt lgkmcnt(0)
	s_ashr_i32 s16, s44, 31
	s_mul_hi_u32 s17, s5, s44
	s_mul_i32 s16, s5, s16
	s_add_i32 s17, s17, s16
	s_mul_i32 s16, s5, s44
	s_lshl_b64 s[16:17], s[16:17], 1
	s_add_u32 s14, s14, s16
	v_add_lshl_u32 v4, v1, s29, 6
	s_addc_u32 s15, s15, s17
	v_ashrrev_i32_e32 v5, 31, v4
	v_lshl_add_u64 v[4:5], v[4:5], 1, s[14:15]
	v_mov_b32_e32 v35, 0
	v_lshl_add_u64 v[4:5], v[4:5], 0, v[34:35]
	global_load_dwordx4 v[4:7], v[4:5], off
	v_and_b32_e32 v11, 3, v0
	v_lshlrev_b32_e32 v12, 9, v55
	v_lshlrev_b32_e32 v3, 5, v3
	;; [unrolled: 1-line block ×3, first 2 shown]
	v_and_b32_e32 v12, 0x1800, v12
	v_or3_b32 v3, v12, v11, v3
	s_waitcnt vmcnt(0)
	ds_write_b128 v3, v[4:7]
.LBB437_11:
	s_or_b64 exec, exec, s[12:13]
	s_waitcnt lgkmcnt(0)
	s_mul_i32 s4, s4, s46
	s_mov_b32 s5, 0
	s_lshl_b64 s[4:5], s[4:5], 1
	s_add_u32 s8, s8, s4
	v_lshlrev_b32_e32 v53, 4, v0
	s_addc_u32 s9, s9, s5
	v_and_b32_e32 v6, 0xf0, v53
	v_mov_b32_e32 v7, 0
	v_lshl_add_u64 v[12:13], s[8:9], 0, v[6:7]
	s_waitcnt vmcnt(3)
	v_mad_i64_i32 v[2:3], s[8:9], v2, s45, 0
	v_lshl_add_u64 v[2:3], v[2:3], 1, v[12:13]
	v_and_b32_e32 v6, 0x300, v53
	v_and_b32_e32 v11, 1, v0
	s_waitcnt vmcnt(2)
	v_mad_i64_i32 v[20:21], s[8:9], v10, s45, 0
	s_waitcnt vmcnt(1)
	v_mad_i64_i32 v[24:25], s[8:9], v9, s45, 0
	v_lshl_add_u64 v[14:15], v[2:3], 0, v[6:7]
	s_waitcnt vmcnt(0)
	v_mad_i64_i32 v[26:27], s[8:9], v8, s45, 0
	v_lshlrev_b32_e32 v8, 5, v11
	v_lshl_add_u64 v[20:21], v[20:21], 1, v[12:13]
	v_lshl_add_u64 v[24:25], v[24:25], 1, v[12:13]
	s_load_dword s33, s[0:1], 0x98
	s_load_dword s12, s[0:1], 0x1c
	s_waitcnt lgkmcnt(0)
	s_barrier
	global_load_dwordx4 v[2:5], v[14:15], off
	v_lshl_or_b32 v8, v1, 9, v8
	v_lshl_add_u64 v[32:33], v[20:21], 0, v[6:7]
	v_lshl_add_u64 v[30:31], v[24:25], 0, v[6:7]
	ds_read_b128 v[16:19], v8
	ds_read_b128 v[8:11], v8 offset:2048
	global_load_dwordx4 v[20:23], v[32:33], off
	v_lshl_add_u64 v[12:13], v[26:27], 1, v[12:13]
	global_load_dwordx4 v[24:27], v[30:31], off
	v_lshl_add_u64 v[28:29], v[12:13], 0, v[6:7]
	global_load_dwordx4 v[12:15], v[14:15], off offset:1024
	s_nop 0
	global_load_dwordx4 v[40:43], v[28:29], off
	global_load_dwordx4 v[44:47], v[32:33], off offset:1024
	global_load_dwordx4 v[60:63], v[28:29], off offset:1024
	v_and_or_b32 v6, v0, 48, s18
	global_load_dwordx4 v[30:33], v[30:31], off offset:1024
	v_mov_b32_e32 v68, s19
	v_cmp_gt_i32_e32 vcc, s40, v6
	v_or_b32_e32 v28, 0x80, v6
	v_ashrrev_i32_e32 v29, 4, v28
	v_lshlrev_b32_e32 v35, 5, v55
	s_add_u32 s4, s10, s4
	s_addc_u32 s5, s11, s5
	s_mov_b32 s42, 0xff7fffff
	s_waitcnt vmcnt(3) lgkmcnt(1)
	v_mfma_f32_16x16x16_bf16 v[64:67], v[40:41], v[16:17], 0
	v_mfma_f32_16x16x16_bf16 v[36:39], v[2:3], v[16:17], 0
	v_ashrrev_i32_e32 v2, 4, v6
	v_mfma_f32_16x16x16_bf16 v[48:51], v[20:21], v[16:17], 0
	v_or_b32_e32 v20, 64, v6
	v_ashrrev_i32_e32 v21, 4, v20
	v_or_b32_e32 v6, 0xc0, v6
	v_mfma_f32_16x16x16_bf16 v[56:59], v[24:25], v[16:17], 0
	v_cndmask_b32_e32 v16, v68, v2, vcc
	v_ashrrev_i32_e32 v17, 31, v16
	v_lshl_add_u64 v[16:17], v[16:17], 2, s[6:7]
	v_mfma_f32_16x16x16_bf16 v[2:5], v[4:5], v[18:19], v[36:39]
	v_cmp_gt_i32_e32 vcc, s40, v20
	s_nop 1
	global_load_dword v36, v[16:17], off
	v_cndmask_b32_e32 v24, v68, v21, vcc
	v_ashrrev_i32_e32 v25, 31, v24
	v_lshl_add_u64 v[16:17], v[24:25], 2, s[6:7]
	global_load_dword v37, v[16:17], off
	v_cmp_gt_i32_e32 vcc, s40, v28
	v_ashrrev_i32_e32 v38, 4, v6
	s_waitcnt lgkmcnt(0)
	v_mfma_f32_16x16x16_bf16 v[2:5], v[12:13], v[8:9], v[2:5]
	v_cndmask_b32_e32 v12, v68, v29, vcc
	v_cmp_gt_i32_e32 vcc, s40, v6
	v_ashrrev_i32_e32 v13, 31, v12
	v_lshl_add_u64 v[12:13], v[12:13], 2, s[6:7]
	v_cndmask_b32_e32 v28, v68, v38, vcc
	v_ashrrev_i32_e32 v29, 31, v28
	v_mfma_f32_16x16x16_bf16 v[24:27], v[26:27], v[18:19], v[56:59]
	v_lshl_add_u64 v[28:29], v[28:29], 2, s[6:7]
	s_nop 1
	global_load_dword v56, v[12:13], off
	global_load_dword v57, v[28:29], off
	v_lshl_or_b32 v6, v54, 9, v35
	v_mfma_f32_16x16x16_bf16 v[20:23], v[22:23], v[18:19], v[48:51]
	v_lshl_add_u64 v[12:13], s[4:5], 0, v[6:7]
	v_mfma_f32_16x16x16_bf16 v[16:19], v[42:43], v[18:19], v[64:67]
	s_waitcnt vmcnt(5)
	v_mfma_f32_16x16x16_bf16 v[16:19], v[60:61], v[8:9], v[16:19]
	s_waitcnt vmcnt(4)
	v_mfma_f32_16x16x16_bf16 v[24:27], v[30:31], v[8:9], v[24:27]
	v_mfma_f32_16x16x16_bf16 v[28:31], v[14:15], v[10:11], v[2:5]
	v_mfma_f32_16x16x16_bf16 v[20:23], v[44:45], v[8:9], v[20:23]
	s_waitcnt vmcnt(3)
	s_nop 0
	v_mad_i64_i32 v[2:3], s[4:5], v36, s45, 0
	v_lshl_add_u64 v[14:15], v[2:3], 1, v[12:13]
	global_load_dwordx4 v[6:9], v[14:15], off
	global_load_dwordx4 v[2:5], v[14:15], off offset:16
	v_mfma_f32_16x16x16_bf16 v[14:17], v[62:63], v[10:11], v[16:19]
	s_waitcnt vmcnt(4)
	v_mad_i64_i32 v[36:37], s[4:5], v37, s45, 0
	v_lshl_add_u64 v[38:39], v[36:37], 1, v[12:13]
	v_mfma_f32_16x16x16_bf16 v[20:23], v[46:47], v[10:11], v[20:23]
	v_pk_mul_f32 v[48:49], s[12:13], v[30:31] op_sel_hi:[0,1]
	s_nop 1
	v_pk_mul_f32 v[42:43], s[12:13], v[14:15] op_sel_hi:[0,1]
	v_and_b32_e32 v14, 0xc0, v0
	v_add_u32_e32 v14, s18, v14
	v_lshl_or_b32 v14, v1, 2, v14
	v_pk_mul_f32 v[36:37], s[12:13], v[16:17] op_sel_hi:[0,1]
	v_or_b32_e32 v17, 1, v14
	v_mfma_f32_16x16x16_bf16 v[24:27], v[32:33], v[10:11], v[24:27]
	v_pk_mul_f32 v[10:11], s[12:13], v[28:29] op_sel_hi:[0,1]
	v_mov_b32_e32 v15, 0xff7fffff
	v_cmp_gt_i32_e64 s[4:5], s40, v14
	v_cmp_gt_i32_e64 s[34:35], s40, v17
	v_or_b32_e32 v18, 3, v14
	v_cndmask_b32_e64 v16, v15, v10, s[4:5]
	v_cndmask_b32_e64 v17, v15, v11, s[34:35]
	v_max3_f32 v16, v16, s42, v17
	v_or_b32_e32 v17, 2, v14
	v_cmp_gt_i32_e64 s[36:37], s40, v17
	v_cmp_gt_i32_e64 s[38:39], s40, v18
	v_pk_mul_f32 v[40:41], s[12:13], v[20:21] op_sel_hi:[0,1]
	v_cndmask_b32_e64 v17, v15, v48, s[36:37]
	v_cndmask_b32_e64 v18, v15, v49, s[38:39]
	v_max3_f32 v16, v16, v17, v18
	v_or_b32_e32 v17, 16, v14
	v_or_b32_e32 v18, 17, v14
	v_cmp_gt_i32_e64 s[24:25], s40, v17
	v_cmp_gt_i32_e64 s[26:27], s40, v18
	v_pk_mul_f32 v[50:51], s[12:13], v[22:23] op_sel_hi:[0,1]
	v_cndmask_b32_e64 v17, v15, v40, s[24:25]
	v_cndmask_b32_e64 v18, v15, v41, s[26:27]
	v_max3_f32 v16, v16, v17, v18
	v_or_b32_e32 v17, 18, v14
	v_or_b32_e32 v18, 19, v14
	v_cmp_gt_i32_e64 s[20:21], s40, v17
	v_cmp_gt_i32_e64 s[22:23], s40, v18
	v_pk_mul_f32 v[44:45], s[12:13], v[24:25] op_sel_hi:[0,1]
	v_cndmask_b32_e64 v17, v15, v50, s[20:21]
	v_cndmask_b32_e64 v18, v15, v51, s[22:23]
	v_max3_f32 v16, v16, v17, v18
	v_or_b32_e32 v17, 32, v14
	v_or_b32_e32 v18, 33, v14
	v_cmp_gt_i32_e64 s[16:17], s40, v17
	v_cmp_gt_i32_e64 s[18:19], s40, v18
	v_pk_mul_f32 v[46:47], s[12:13], v[26:27] op_sel_hi:[0,1]
	v_cndmask_b32_e64 v17, v15, v44, s[16:17]
	v_cndmask_b32_e64 v18, v15, v45, s[18:19]
	v_max3_f32 v16, v16, v17, v18
	v_or_b32_e32 v17, 34, v14
	v_or_b32_e32 v18, 35, v14
	v_cmp_gt_i32_e64 s[12:13], s40, v17
	v_cmp_gt_i32_e64 s[14:15], s40, v18
	global_load_dwordx4 v[30:33], v[38:39], off
	global_load_dwordx4 v[26:29], v[38:39], off offset:16
	v_cndmask_b32_e64 v17, v15, v46, s[12:13]
	v_cndmask_b32_e64 v18, v15, v47, s[14:15]
	v_max3_f32 v16, v16, v17, v18
	v_or_b32_e32 v17, 48, v14
	v_or_b32_e32 v18, 49, v14
	v_cmp_gt_i32_e64 s[8:9], s40, v17
	v_cmp_gt_i32_e64 s[10:11], s40, v18
	s_nop 0
	v_cndmask_b32_e64 v17, v15, v42, s[8:9]
	v_cndmask_b32_e64 v18, v15, v43, s[10:11]
	v_max3_f32 v16, v16, v17, v18
	v_or_b32_e32 v17, 50, v14
	v_or_b32_e32 v14, 51, v14
	v_cmp_gt_i32_e32 vcc, s40, v17
	v_cmp_gt_i32_e64 s[6:7], s40, v14
	s_nop 0
	v_cndmask_b32_e32 v17, v15, v36, vcc
	v_cndmask_b32_e64 v14, v15, v37, s[6:7]
	v_max3_f32 v16, v16, v17, v14
	v_mbcnt_lo_u32_b32 v14, -1, 0
	v_mbcnt_hi_u32_b32 v17, -1, v14
	v_and_b32_e32 v14, 64, v17
	v_add_u32_e32 v18, 64, v14
	v_xor_b32_e32 v14, 32, v17
	v_cmp_lt_i32_e64 s[40:41], v14, v18
	s_nop 1
	v_cndmask_b32_e64 v14, v17, v14, s[40:41]
	v_lshlrev_b32_e32 v58, 2, v14
	ds_bpermute_b32 v19, v58, v16
	s_waitcnt vmcnt(5)
	v_mad_i64_i32 v[14:15], s[40:41], v56, s45, 0
	v_lshl_add_u64 v[14:15], v[14:15], 1, v[12:13]
	s_waitcnt lgkmcnt(0)
	v_max_f32_e32 v19, v19, v19
	v_max_f32_e32 v16, v16, v19
	v_xor_b32_e32 v19, 16, v17
	v_cmp_lt_i32_e64 s[40:41], v19, v18
	s_nop 1
	v_cndmask_b32_e64 v17, v17, v19, s[40:41]
	v_lshlrev_b32_e32 v59, 2, v17
	ds_bpermute_b32 v17, v59, v16
	global_load_dwordx4 v[22:25], v[14:15], off
	global_load_dwordx4 v[18:21], v[14:15], off offset:16
	s_waitcnt vmcnt(6)
	v_mad_i64_i32 v[14:15], s[40:41], v57, s45, 0
	v_lshl_add_u64 v[12:13], v[14:15], 1, v[12:13]
	s_waitcnt lgkmcnt(0)
	v_max_f32_e32 v14, v17, v17
	v_max_f32_e32 v56, v16, v14
	v_sub_f32_e32 v10, v10, v56
	v_mul_f32_e32 v10, 0x3fb8aa3b, v10
	v_exp_f32_e32 v38, v10
	v_sub_f32_e32 v10, v11, v56
	v_mul_f32_e32 v10, 0x3fb8aa3b, v10
	v_exp_f32_e32 v39, v10
	global_load_dwordx4 v[14:17], v[12:13], off
	s_nop 0
	global_load_dwordx4 v[10:13], v[12:13], off offset:16
	v_sub_f32_e32 v48, v48, v56
	v_mul_f32_e32 v48, 0x3fb8aa3b, v48
	v_sub_f32_e32 v49, v49, v56
	v_exp_f32_e32 v48, v48
	v_mul_f32_e32 v49, 0x3fb8aa3b, v49
	v_sub_f32_e32 v40, v40, v56
	v_exp_f32_e32 v49, v49
	v_mul_f32_e32 v40, 0x3fb8aa3b, v40
	v_sub_f32_e32 v41, v41, v56
	v_cndmask_b32_e64 v38, 0, v38, s[4:5]
	v_exp_f32_e32 v40, v40
	v_mul_f32_e32 v41, 0x3fb8aa3b, v41
	v_sub_f32_e32 v50, v50, v56
	v_add_f32_e32 v57, 0, v38
	v_cndmask_b32_e64 v39, 0, v39, s[34:35]
	v_exp_f32_e32 v41, v41
	v_mul_f32_e32 v50, 0x3fb8aa3b, v50
	v_sub_f32_e32 v51, v51, v56
	v_add_f32_e32 v57, v57, v39
	;; [unrolled: 5-line block ×10, first 2 shown]
	v_cndmask_b32_e64 v46, 0, v46, s[12:13]
	v_exp_f32_e32 v36, v36
	v_mul_f32_e32 v37, 0x3fb8aa3b, v37
	v_add_f32_e32 v57, v57, v46
	v_cndmask_b32_e64 v47, 0, v47, s[14:15]
	v_exp_f32_e32 v37, v37
	v_add_f32_e32 v57, v57, v47
	v_cndmask_b32_e64 v42, 0, v42, s[8:9]
	v_add_f32_e32 v57, v57, v42
	v_cndmask_b32_e64 v43, 0, v43, s[10:11]
	v_add_f32_e32 v57, v57, v43
	v_cndmask_b32_e32 v36, 0, v36, vcc
	v_add_f32_e32 v57, v57, v36
	v_cndmask_b32_e64 v37, 0, v37, s[6:7]
	v_add_f32_e32 v57, v57, v37
	ds_bpermute_b32 v58, v58, v57
	v_cmp_gt_u32_e32 vcc, 16, v52
	s_waitcnt lgkmcnt(0)
	s_barrier
	v_add_f32_e32 v58, v57, v58
	ds_bpermute_b32 v59, v59, v58
	v_lshlrev_b32_e32 v57, 2, v55
	s_and_saveexec_b64 s[4:5], vcc
	s_cbranch_execz .LBB437_13
; %bb.12:
	s_waitcnt lgkmcnt(0)
	v_add_f32_e32 v55, v58, v59
	v_lshl_or_b32 v58, v54, 6, v57
	ds_write2st64_b32 v58, v56, v55 offset1:1
.LBB437_13:
	s_or_b64 exec, exec, s[4:5]
	s_load_dword s6, s[0:1], 0x94
	s_waitcnt lgkmcnt(0)
	s_barrier
	ds_read2_b32 v[58:59], v57 offset1:16
	ds_read2_b32 v[60:61], v57 offset0:32 offset1:48
	ds_read2_b32 v[62:63], v57 offset0:64 offset1:80
	s_movk_i32 s8, 0x7fff
	s_mov_b32 s9, 0x7060302
	s_waitcnt lgkmcnt(2)
	v_max3_f32 v55, v58, s42, v59
	s_waitcnt lgkmcnt(1)
	v_max3_f32 v55, v55, v60, v61
	v_sub_f32_e32 v56, v58, v55
	v_mul_f32_e32 v56, 0x3fb8aa3b, v56
	v_exp_f32_e32 v64, v56
	v_sub_f32_e32 v56, v59, v55
	v_mul_f32_e32 v56, 0x3fb8aa3b, v56
	v_exp_f32_e32 v65, v56
	;; [unrolled: 3-line block ×3, first 2 shown]
	ds_read2_b32 v[58:59], v57 offset0:96 offset1:112
	v_sub_f32_e32 v56, v61, v55
	v_mul_f32_e32 v56, 0x3fb8aa3b, v56
	v_exp_f32_e32 v57, v56
	s_waitcnt lgkmcnt(1)
	v_fma_f32 v56, v64, v62, 0
	v_fmac_f32_e32 v56, v65, v63
	s_waitcnt lgkmcnt(0)
	v_fmac_f32_e32 v56, v60, v58
	v_fmac_f32_e32 v56, v57, v59
	v_add_f32_e32 v58, 0x358637bd, v56
	v_div_scale_f32 v59, s[4:5], v58, v58, 1.0
	v_rcp_f32_e32 v61, v59
	s_barrier
	v_fma_f32 v62, -v59, v61, 1.0
	v_fmac_f32_e32 v61, v62, v61
	v_div_scale_f32 v62, vcc, 1.0, v58, 1.0
	v_mul_f32_e32 v63, v62, v61
	v_fma_f32 v66, -v59, v63, v62
	v_fmac_f32_e32 v63, v66, v61
	v_fma_f32 v59, -v59, v63, v62
	v_div_fmas_f32 v59, v59, v61, v63
	v_cmp_eq_u32_e32 vcc, 1, v54
	v_div_fixup_f32 v58, v59, v58, 1.0
	s_lshl_b32 s7, s33, 1
	v_cndmask_b32_e32 v59, v64, v65, vcc
	v_cmp_eq_u32_e32 vcc, 2, v54
	s_nop 1
	v_cndmask_b32_e32 v59, v59, v60, vcc
	v_cmp_eq_u32_e32 vcc, 3, v54
	s_nop 1
	v_cndmask_b32_e32 v57, v59, v57, vcc
	v_mul_f32_e32 v58, v57, v58
	v_pk_mul_f32 v[38:39], v[58:59], v[38:39] op_sel_hi:[0,1]
	v_pk_mul_f32 v[48:49], v[58:59], v[48:49] op_sel_hi:[0,1]
	v_bfe_u32 v57, v39, 16, 1
	v_bfe_u32 v59, v38, 16, 1
	v_add3_u32 v38, v38, v59, s8
	v_add3_u32 v39, v39, v57, s8
	v_perm_b32 v60, v39, v38, s9
	v_bfe_u32 v38, v49, 16, 1
	v_bfe_u32 v39, v48, 16, 1
	v_add3_u32 v39, v48, v39, s8
	v_add3_u32 v38, v49, v38, s8
	v_perm_b32 v61, v38, v39, s9
	v_lshlrev_b32_e32 v38, 3, v1
	v_lshlrev_b32_e32 v39, 11, v54
	v_pk_mul_f32 v[40:41], v[58:59], v[40:41] op_sel_hi:[0,1]
	v_or3_b32 v38, v39, v35, v38
	v_pk_mul_f32 v[48:49], v[58:59], v[50:51] op_sel_hi:[0,1]
	v_bfe_u32 v39, v41, 16, 1
	v_bfe_u32 v50, v40, 16, 1
	v_add3_u32 v40, v40, v50, s8
	v_add3_u32 v39, v41, v39, s8
	v_perm_b32 v40, v39, v40, s9
	v_bfe_u32 v39, v49, 16, 1
	v_bfe_u32 v41, v48, 16, 1
	v_add3_u32 v41, v48, v41, s8
	v_add3_u32 v39, v49, v39, s8
	v_perm_b32 v41, v39, v41, s9
	v_pk_mul_f32 v[44:45], v[58:59], v[44:45] op_sel_hi:[0,1]
	ds_write2st64_b64 v38, v[60:61], v[40:41] offset1:1
	v_pk_mul_f32 v[40:41], v[58:59], v[46:47] op_sel_hi:[0,1]
	v_bfe_u32 v39, v45, 16, 1
	v_bfe_u32 v46, v44, 16, 1
	v_add3_u32 v44, v44, v46, s8
	v_add3_u32 v39, v45, v39, s8
	v_perm_b32 v44, v39, v44, s9
	v_bfe_u32 v39, v41, 16, 1
	v_bfe_u32 v45, v40, 16, 1
	v_add3_u32 v40, v40, v45, s8
	v_add3_u32 v39, v41, v39, s8
	v_perm_b32 v45, v39, v40, s9
	v_pk_mul_f32 v[40:41], v[58:59], v[42:43] op_sel_hi:[0,1]
	v_bfe_u32 v39, v41, 16, 1
	v_bfe_u32 v42, v40, 16, 1
	v_pk_mul_f32 v[36:37], v[58:59], v[36:37] op_sel_hi:[0,1]
	v_add3_u32 v40, v40, v42, s8
	v_add3_u32 v39, v41, v39, s8
	v_perm_b32 v40, v39, v40, s9
	v_bfe_u32 v39, v37, 16, 1
	v_bfe_u32 v41, v36, 16, 1
	v_add3_u32 v36, v36, v41, s8
	v_add3_u32 v37, v37, v39, s8
	v_perm_b32 v41, v37, v36, s9
	v_cmp_gt_u32_e32 vcc, 2, v0
	ds_write2st64_b64 v38, v[44:45], v[40:41] offset0:2 offset1:3
	s_and_saveexec_b64 s[4:5], vcc
	s_cbranch_execz .LBB437_15
; %bb.14:
	v_or_b32_e32 v36, s29, v0
	v_mov_b32_e32 v37, 0
	v_mov_b32_e32 v39, s7
	v_mad_u64_u32 v[40:41], s[10:11], s2, v39, v[36:37]
	v_mov_b32_e32 v36, s28
	s_load_dwordx4 s[12:15], s[0:1], 0x58
	s_mul_i32 s3, s3, s7
	v_mad_u64_u32 v[36:37], s[10:11], v40, s6, v[36:37]
	v_add_u32_e32 v39, s3, v41
	v_mov_b32_e32 v40, v37
	v_mad_u64_u32 v[40:41], s[10:11], v39, s6, v[40:41]
	v_mov_b32_e32 v37, v40
	v_lshlrev_b64 v[36:37], 2, v[36:37]
	s_waitcnt lgkmcnt(0)
	v_lshl_add_u64 v[40:41], s[14:15], 0, v[36:37]
	v_lshl_add_u64 v[36:37], s[12:13], 0, v[36:37]
	global_store_dword v[40:41], v55, off
	global_store_dword v[36:37], v56, off
.LBB437_15:
	s_or_b64 exec, exec, s[4:5]
	v_lshl_or_b32 v35, v1, 9, v35
	s_waitcnt lgkmcnt(0)
	s_barrier
	ds_read_b128 v[40:43], v35
	ds_read_b128 v[44:47], v35 offset:16
	s_waitcnt vmcnt(7) lgkmcnt(1)
	v_mfma_f32_16x16x16_bf16 v[48:51], v[6:7], v[40:41], 0
	v_cmp_gt_u32_e32 vcc, 64, v0
	v_cmp_gt_u32_e64 s[4:5], 32, v52
	s_and_b64 s[4:5], s[4:5], vcc
	v_mfma_f32_16x16x16_bf16 v[6:9], v[8:9], v[42:43], v[48:51]
	s_mov_b32 s3, 0
	s_and_b64 s[4:5], s[4:5], s[30:31]
	s_waitcnt vmcnt(6) lgkmcnt(0)
	v_mfma_f32_16x16x16_bf16 v[6:9], v[2:3], v[44:45], v[6:9]
	v_mfma_f32_16x16x16_bf16 v[2:5], v[4:5], v[46:47], v[6:9]
	s_nop 5
	ds_read_b128 v[6:9], v35 offset:2048
	ds_read_b128 v[40:43], v35 offset:2064
	s_waitcnt vmcnt(5) lgkmcnt(1)
	v_mfma_f32_16x16x16_bf16 v[2:5], v[30:31], v[6:7], v[2:5]
	v_mfma_f32_16x16x16_bf16 v[2:5], v[32:33], v[8:9], v[2:5]
	s_waitcnt vmcnt(4) lgkmcnt(0)
	v_mfma_f32_16x16x16_bf16 v[2:5], v[26:27], v[40:41], v[2:5]
	v_mfma_f32_16x16x16_bf16 v[2:5], v[28:29], v[42:43], v[2:5]
	ds_read_b128 v[6:9], v35 offset:4096
	ds_read_b128 v[26:29], v35 offset:4112
	s_waitcnt vmcnt(3) lgkmcnt(1)
	v_mfma_f32_16x16x16_bf16 v[2:5], v[22:23], v[6:7], v[2:5]
	v_mfma_f32_16x16x16_bf16 v[2:5], v[24:25], v[8:9], v[2:5]
	s_waitcnt vmcnt(2) lgkmcnt(0)
	v_mfma_f32_16x16x16_bf16 v[2:5], v[18:19], v[26:27], v[2:5]
	v_mfma_f32_16x16x16_bf16 v[2:5], v[20:21], v[28:29], v[2:5]
	ds_read_b128 v[6:9], v35 offset:6144
	ds_read_b128 v[18:21], v35 offset:6160
	v_mov_b32_e32 v35, 0
	s_waitcnt vmcnt(1) lgkmcnt(0)
	v_mfma_f32_16x16x16_bf16 v[2:5], v[14:15], v[6:7], v[2:5]
	s_barrier
	v_mfma_f32_16x16x16_bf16 v[2:5], v[16:17], v[8:9], v[2:5]
	s_waitcnt vmcnt(0)
	v_mfma_f32_16x16x16_bf16 v[2:5], v[10:11], v[18:19], v[2:5]
	v_mfma_f32_16x16x16_bf16 v[2:5], v[12:13], v[20:21], v[2:5]
	s_nop 6
	v_bfe_u32 v6, v3, 16, 1
	v_bfe_u32 v7, v2, 16, 1
	;; [unrolled: 1-line block ×4, first 2 shown]
	v_add3_u32 v2, v2, v7, s8
	v_add3_u32 v3, v3, v6, s8
	;; [unrolled: 1-line block ×4, first 2 shown]
	v_perm_b32 v2, v3, v2, s9
	v_perm_b32 v3, v5, v4, s9
	ds_write_b64 v38, v[2:3]
	s_waitcnt lgkmcnt(0)
	s_barrier
	s_and_saveexec_b64 s[8:9], s[4:5]
	s_cbranch_execz .LBB437_17
; %bb.16:
	s_load_dwordx2 s[0:1], s[0:1], 0x68
	s_mul_i32 s2, s7, s2
	s_lshl_b32 s6, s6, 6
	s_mul_hi_u32 s5, s2, s6
	s_mul_i32 s4, s2, s6
	v_lshlrev_b32_e32 v0, 10, v0
	s_lshl_b64 s[4:5], s[4:5], 1
	v_and_b32_e32 v0, 0x1800, v0
	v_lshlrev_b32_e32 v2, 5, v1
	v_and_b32_e32 v3, 16, v53
	s_waitcnt lgkmcnt(0)
	s_add_u32 s4, s0, s4
	v_or3_b32 v0, v0, v2, v3
	s_addc_u32 s5, s1, s5
	s_lshl_b32 s2, s28, 6
	ds_read_b128 v[2:5], v0
	s_lshl_b64 s[0:1], s[2:3], 1
	s_add_u32 s0, s4, s0
	v_or_b32_e32 v0, s29, v1
	s_addc_u32 s1, s5, s1
	v_mad_u64_u32 v[0:1], s[2:3], s6, v0, 0
	v_lshl_add_u64 v[0:1], v[0:1], 1, s[0:1]
	v_lshl_add_u64 v[0:1], v[0:1], 0, v[34:35]
	s_waitcnt lgkmcnt(0)
	global_store_dwordx4 v[0:1], v[2:5], off
.LBB437_17:
	s_endpgm
	.section	.rodata,"a",@progbits
	.p2align	6, 0x0
	.amdhsa_kernel _Z39paged_attention_ll4mi_QKV_mfma16_kernelI14__hip_bfloat16S0_LN4vllm18Fp8KVCacheDataTypeE0EhLi16ELi64ELi256ELb0ELi2EEvPKT_PKT0_S8_ifPKiSA_SA_iPKfiiiPfSD_PS3_PT2_iSC_SC_
		.amdhsa_group_segment_fixed_size 8192
		.amdhsa_private_segment_fixed_size 0
		.amdhsa_kernarg_size 400
		.amdhsa_user_sgpr_count 2
		.amdhsa_user_sgpr_dispatch_ptr 0
		.amdhsa_user_sgpr_queue_ptr 0
		.amdhsa_user_sgpr_kernarg_segment_ptr 1
		.amdhsa_user_sgpr_dispatch_id 0
		.amdhsa_user_sgpr_kernarg_preload_length 0
		.amdhsa_user_sgpr_kernarg_preload_offset 0
		.amdhsa_user_sgpr_private_segment_size 0
		.amdhsa_uses_dynamic_stack 0
		.amdhsa_enable_private_segment 0
		.amdhsa_system_sgpr_workgroup_id_x 1
		.amdhsa_system_sgpr_workgroup_id_y 1
		.amdhsa_system_sgpr_workgroup_id_z 1
		.amdhsa_system_sgpr_workgroup_info 0
		.amdhsa_system_vgpr_workitem_id 0
		.amdhsa_next_free_vgpr 69
		.amdhsa_next_free_sgpr 48
		.amdhsa_accum_offset 72
		.amdhsa_reserve_vcc 1
		.amdhsa_float_round_mode_32 0
		.amdhsa_float_round_mode_16_64 0
		.amdhsa_float_denorm_mode_32 3
		.amdhsa_float_denorm_mode_16_64 3
		.amdhsa_dx10_clamp 1
		.amdhsa_ieee_mode 1
		.amdhsa_fp16_overflow 0
		.amdhsa_tg_split 0
		.amdhsa_exception_fp_ieee_invalid_op 0
		.amdhsa_exception_fp_denorm_src 0
		.amdhsa_exception_fp_ieee_div_zero 0
		.amdhsa_exception_fp_ieee_overflow 0
		.amdhsa_exception_fp_ieee_underflow 0
		.amdhsa_exception_fp_ieee_inexact 0
		.amdhsa_exception_int_div_zero 0
	.end_amdhsa_kernel
	.section	.text._Z39paged_attention_ll4mi_QKV_mfma16_kernelI14__hip_bfloat16S0_LN4vllm18Fp8KVCacheDataTypeE0EhLi16ELi64ELi256ELb0ELi2EEvPKT_PKT0_S8_ifPKiSA_SA_iPKfiiiPfSD_PS3_PT2_iSC_SC_,"axG",@progbits,_Z39paged_attention_ll4mi_QKV_mfma16_kernelI14__hip_bfloat16S0_LN4vllm18Fp8KVCacheDataTypeE0EhLi16ELi64ELi256ELb0ELi2EEvPKT_PKT0_S8_ifPKiSA_SA_iPKfiiiPfSD_PS3_PT2_iSC_SC_,comdat
.Lfunc_end437:
	.size	_Z39paged_attention_ll4mi_QKV_mfma16_kernelI14__hip_bfloat16S0_LN4vllm18Fp8KVCacheDataTypeE0EhLi16ELi64ELi256ELb0ELi2EEvPKT_PKT0_S8_ifPKiSA_SA_iPKfiiiPfSD_PS3_PT2_iSC_SC_, .Lfunc_end437-_Z39paged_attention_ll4mi_QKV_mfma16_kernelI14__hip_bfloat16S0_LN4vllm18Fp8KVCacheDataTypeE0EhLi16ELi64ELi256ELb0ELi2EEvPKT_PKT0_S8_ifPKiSA_SA_iPKfiiiPfSD_PS3_PT2_iSC_SC_
                                        ; -- End function
	.section	.AMDGPU.csdata,"",@progbits
; Kernel info:
; codeLenInByte = 3948
; NumSgprs: 54
; NumVgprs: 69
; NumAgprs: 0
; TotalNumVgprs: 69
; ScratchSize: 0
; MemoryBound: 0
; FloatMode: 240
; IeeeMode: 1
; LDSByteSize: 8192 bytes/workgroup (compile time only)
; SGPRBlocks: 6
; VGPRBlocks: 8
; NumSGPRsForWavesPerEU: 54
; NumVGPRsForWavesPerEU: 69
; AccumOffset: 72
; Occupancy: 7
; WaveLimiterHint : 1
; COMPUTE_PGM_RSRC2:SCRATCH_EN: 0
; COMPUTE_PGM_RSRC2:USER_SGPR: 2
; COMPUTE_PGM_RSRC2:TRAP_HANDLER: 0
; COMPUTE_PGM_RSRC2:TGID_X_EN: 1
; COMPUTE_PGM_RSRC2:TGID_Y_EN: 1
; COMPUTE_PGM_RSRC2:TGID_Z_EN: 1
; COMPUTE_PGM_RSRC2:TIDIG_COMP_CNT: 0
; COMPUTE_PGM_RSRC3_GFX90A:ACCUM_OFFSET: 17
; COMPUTE_PGM_RSRC3_GFX90A:TG_SPLIT: 0
	.section	.text._Z39paged_attention_ll4mi_QKV_mfma16_kernelI14__hip_bfloat16S0_LN4vllm18Fp8KVCacheDataTypeE0EhLi16ELi64ELi256ELb0ELi3EEvPKT_PKT0_S8_ifPKiSA_SA_iPKfiiiPfSD_PS3_PT2_iSC_SC_,"axG",@progbits,_Z39paged_attention_ll4mi_QKV_mfma16_kernelI14__hip_bfloat16S0_LN4vllm18Fp8KVCacheDataTypeE0EhLi16ELi64ELi256ELb0ELi3EEvPKT_PKT0_S8_ifPKiSA_SA_iPKfiiiPfSD_PS3_PT2_iSC_SC_,comdat
	.protected	_Z39paged_attention_ll4mi_QKV_mfma16_kernelI14__hip_bfloat16S0_LN4vllm18Fp8KVCacheDataTypeE0EhLi16ELi64ELi256ELb0ELi3EEvPKT_PKT0_S8_ifPKiSA_SA_iPKfiiiPfSD_PS3_PT2_iSC_SC_ ; -- Begin function _Z39paged_attention_ll4mi_QKV_mfma16_kernelI14__hip_bfloat16S0_LN4vllm18Fp8KVCacheDataTypeE0EhLi16ELi64ELi256ELb0ELi3EEvPKT_PKT0_S8_ifPKiSA_SA_iPKfiiiPfSD_PS3_PT2_iSC_SC_
	.globl	_Z39paged_attention_ll4mi_QKV_mfma16_kernelI14__hip_bfloat16S0_LN4vllm18Fp8KVCacheDataTypeE0EhLi16ELi64ELi256ELb0ELi3EEvPKT_PKT0_S8_ifPKiSA_SA_iPKfiiiPfSD_PS3_PT2_iSC_SC_
	.p2align	8
	.type	_Z39paged_attention_ll4mi_QKV_mfma16_kernelI14__hip_bfloat16S0_LN4vllm18Fp8KVCacheDataTypeE0EhLi16ELi64ELi256ELb0ELi3EEvPKT_PKT0_S8_ifPKiSA_SA_iPKfiiiPfSD_PS3_PT2_iSC_SC_,@function
_Z39paged_attention_ll4mi_QKV_mfma16_kernelI14__hip_bfloat16S0_LN4vllm18Fp8KVCacheDataTypeE0EhLi16ELi64ELi256ELb0ELi3EEvPKT_PKT0_S8_ifPKiSA_SA_iPKfiiiPfSD_PS3_PT2_iSC_SC_: ; @_Z39paged_attention_ll4mi_QKV_mfma16_kernelI14__hip_bfloat16S0_LN4vllm18Fp8KVCacheDataTypeE0EhLi16ELi64ELi256ELb0ELi3EEvPKT_PKT0_S8_ifPKiSA_SA_iPKfiiiPfSD_PS3_PT2_iSC_SC_
; %bb.0:
	s_load_dwordx2 s[12:13], s[0:1], 0x30
	s_mov_b32 s28, s3
	s_mov_b64 s[6:7], 0
	s_waitcnt lgkmcnt(0)
	s_cmp_lg_u64 s[12:13], 0
	s_cselect_b64 s[14:15], -1, 0
	s_and_b64 vcc, exec, s[14:15]
	s_cbranch_vccz .LBB438_7
; %bb.1:
	s_add_i32 s8, s2, 1
	s_mov_b32 s9, 0
	s_lshl_b64 s[10:11], s[8:9], 2
	s_add_u32 s10, s12, s10
	s_mov_b32 s3, s9
	s_addc_u32 s11, s13, s11
	s_lshl_b64 s[8:9], s[2:3], 2
	s_add_u32 s8, s12, s8
	s_addc_u32 s9, s13, s9
	s_load_dword s5, s[10:11], 0x0
	s_load_dword s16, s[8:9], 0x0
	s_waitcnt lgkmcnt(0)
	s_sub_i32 s5, s5, s16
	s_cmp_eq_u32 s5, 1
	s_cselect_b64 s[8:9], -1, 0
	s_andn2_b64 vcc, exec, s[6:7]
	s_cbranch_vccnz .LBB438_3
.LBB438_2:
	s_mov_b32 s3, 0
	s_mov_b64 s[8:9], -1
.LBB438_3:
	s_andn2_b64 vcc, exec, s[8:9]
	s_cbranch_vccnz .LBB438_17
; %bb.4:
	s_load_dwordx2 s[6:7], s[0:1], 0x28
	s_lshl_b64 s[16:17], s[2:3], 2
	s_waitcnt lgkmcnt(0)
	s_add_u32 s6, s6, s16
	s_addc_u32 s7, s7, s17
	s_load_dword s33, s[6:7], 0x0
	s_lshl_b32 s18, s28, 8
	s_waitcnt lgkmcnt(0)
	s_cmp_ge_i32 s18, s33
	s_cbranch_scc1 .LBB438_17
; %bb.5:
	s_load_dwordx2 s[6:7], s[0:1], 0x20
	s_load_dword s5, s[0:1], 0x38
	s_add_i32 s8, s33, 15
	s_ashr_i32 s9, s8, 31
	v_and_b32_e32 v1, 0xcf, v0
	s_lshr_b32 s9, s9, 28
	v_add_u32_e32 v1, s18, v1
	s_add_i32 s8, s8, s9
	v_ashrrev_i32_e32 v2, 31, v1
	s_ashr_i32 s19, s8, 4
	v_lshrrev_b32_e32 v10, 28, v2
	s_add_i32 s19, s19, -1
	s_waitcnt lgkmcnt(0)
	s_mul_i32 s8, s2, s5
	s_mov_b32 s9, 0
	v_add_u32_e32 v2, v1, v10
	s_lshl_b64 s[8:9], s[8:9], 2
	v_ashrrev_i32_e32 v2, 4, v2
	v_mov_b32_e32 v11, s19
	v_cmp_gt_i32_e32 vcc, s33, v1
	s_add_u32 s6, s6, s8
	s_addc_u32 s7, s7, s9
	v_cndmask_b32_e32 v2, v11, v2, vcc
	v_ashrrev_i32_e32 v3, 31, v2
	v_lshl_add_u64 v[4:5], v[2:3], 2, s[6:7]
	v_or_b32_e32 v2, 16, v1
	v_add_u32_e32 v3, v2, v10
	v_ashrrev_i32_e32 v3, 4, v3
	v_cmp_gt_i32_e32 vcc, s33, v2
	s_load_dwordx4 s[8:11], s[0:1], 0x8
	s_nop 0
	v_cndmask_b32_e32 v2, v11, v3, vcc
	v_ashrrev_i32_e32 v3, 31, v2
	v_lshl_add_u64 v[6:7], v[2:3], 2, s[6:7]
	v_or_b32_e32 v2, 32, v1
	v_add_u32_e32 v3, v2, v10
	v_ashrrev_i32_e32 v3, 4, v3
	v_cmp_gt_i32_e32 vcc, s33, v2
	v_or_b32_e32 v1, 48, v1
	s_nop 0
	v_cndmask_b32_e32 v2, v11, v3, vcc
	v_ashrrev_i32_e32 v3, 31, v2
	v_lshl_add_u64 v[8:9], v[2:3], 2, s[6:7]
	v_add_u32_e32 v2, v1, v10
	v_ashrrev_i32_e32 v2, 4, v2
	v_cmp_gt_i32_e32 vcc, s33, v1
	s_nop 1
	v_cndmask_b32_e32 v2, v11, v2, vcc
	v_ashrrev_i32_e32 v3, 31, v2
	v_lshl_add_u64 v[12:13], v[2:3], 2, s[6:7]
	global_load_dword v3, v[4:5], off
	global_load_dword v2, v[6:7], off
	;; [unrolled: 1-line block ×4, first 2 shown]
	s_andn2_b64 vcc, exec, s[14:15]
	s_cbranch_vccnz .LBB438_8
; %bb.6:
	s_add_u32 s12, s12, s16
	s_addc_u32 s13, s13, s17
	s_load_dword s5, s[12:13], 0x0
	s_branch .LBB438_9
.LBB438_7:
	s_mov_b64 s[8:9], 0
	s_branch .LBB438_2
.LBB438_8:
	s_mov_b32 s5, s2
.LBB438_9:
	s_load_dwordx4 s[44:47], s[0:1], 0x48
	v_lshrrev_b32_e32 v37, 6, v0
	v_bfe_u32 v54, v0, 4, 2
	v_lshl_or_b32 v4, v37, 2, v54
	v_and_b32_e32 v36, 15, v0
	s_mul_i32 s42, s4, 3
	v_lshlrev_b32_e32 v5, 3, v36
	v_cmp_gt_u32_e32 vcc, 3, v4
	v_cmp_gt_u32_e64 s[30:31], 8, v36
	v_and_b32_e32 v56, 63, v0
	v_add_u32_e32 v1, s42, v54
	s_and_b64 s[14:15], s[30:31], vcc
	v_lshlrev_b32_e32 v34, 1, v5
	s_and_saveexec_b64 s[12:13], s[14:15]
	s_cbranch_execz .LBB438_11
; %bb.10:
	s_load_dwordx2 s[14:15], s[0:1], 0x0
	s_waitcnt lgkmcnt(0)
	s_ashr_i32 s16, s44, 31
	s_mul_hi_u32 s17, s5, s44
	s_mul_i32 s16, s5, s16
	s_add_i32 s17, s17, s16
	s_mul_i32 s16, s5, s44
	s_lshl_b64 s[16:17], s[16:17], 1
	s_add_u32 s14, s14, s16
	v_lshlrev_b32_e32 v6, 6, v1
	s_addc_u32 s15, s15, s17
	v_ashrrev_i32_e32 v7, 31, v6
	v_lshl_add_u64 v[6:7], v[6:7], 1, s[14:15]
	v_mov_b32_e32 v35, 0
	v_lshl_add_u64 v[6:7], v[6:7], 0, v[34:35]
	global_load_dwordx4 v[6:9], v[6:7], off
	v_and_b32_e32 v5, 3, v0
	v_lshlrev_b32_e32 v11, 9, v36
	v_lshlrev_b32_e32 v4, 5, v4
	;; [unrolled: 1-line block ×3, first 2 shown]
	v_and_b32_e32 v11, 0x1800, v11
	v_or3_b32 v4, v11, v5, v4
	s_waitcnt vmcnt(0)
	ds_write_b128 v4, v[6:9]
.LBB438_11:
	s_or_b64 exec, exec, s[12:13]
	s_waitcnt lgkmcnt(0)
	s_mul_i32 s4, s4, s46
	s_mov_b32 s5, 0
	s_lshl_b64 s[4:5], s[4:5], 1
	s_add_u32 s8, s8, s4
	v_lshlrev_b32_e32 v55, 4, v0
	s_addc_u32 s9, s9, s5
	v_and_b32_e32 v30, 0xf0, v55
	v_mov_b32_e32 v31, 0
	v_lshl_add_u64 v[18:19], s[8:9], 0, v[30:31]
	s_waitcnt vmcnt(3)
	v_mad_i64_i32 v[4:5], s[8:9], v3, s45, 0
	v_lshl_add_u64 v[4:5], v[4:5], 1, v[18:19]
	v_and_b32_e32 v30, 0x300, v55
	s_waitcnt vmcnt(2)
	v_mad_i64_i32 v[2:3], s[8:9], v2, s45, 0
	v_lshl_add_u64 v[14:15], v[4:5], 0, v[30:31]
	v_lshl_add_u64 v[2:3], v[2:3], 1, v[18:19]
	s_load_dword s29, s[0:1], 0x98
	s_load_dword s12, s[0:1], 0x1c
	s_waitcnt lgkmcnt(0)
	s_barrier
	global_load_dwordx4 v[6:9], v[14:15], off
	global_load_dwordx4 v[26:29], v[14:15], off offset:1024
	v_lshl_add_u64 v[32:33], v[2:3], 0, v[30:31]
	global_load_dwordx4 v[2:5], v[32:33], off
	global_load_dwordx4 v[46:49], v[32:33], off offset:1024
	s_waitcnt vmcnt(5)
	v_mad_i64_i32 v[10:11], s[8:9], v10, s45, 0
	v_lshl_add_u64 v[10:11], v[10:11], 1, v[18:19]
	v_lshl_add_u64 v[38:39], v[10:11], 0, v[30:31]
	global_load_dwordx4 v[10:13], v[38:39], off
	global_load_dwordx4 v[58:61], v[38:39], off offset:1024
	s_waitcnt vmcnt(6)
	v_mad_i64_i32 v[16:17], s[8:9], v16, s45, 0
	v_lshl_add_u64 v[16:17], v[16:17], 1, v[18:19]
	v_lshl_add_u64 v[40:41], v[16:17], 0, v[30:31]
	global_load_dwordx4 v[18:21], v[40:41], off
	v_mul_lo_u16_e32 v16, 0x56, v36
	v_mov_b32_e32 v17, 3
	v_mul_lo_u16_sdwa v16, v16, v17 dst_sel:DWORD dst_unused:UNUSED_PAD src0_sel:BYTE_1 src1_sel:DWORD
	v_mov_b32_e32 v22, 5
	v_sub_u16_e32 v16, v36, v16
	v_lshlrev_b32_sdwa v16, v22, v16 dst_sel:DWORD dst_unused:UNUSED_PAD src0_sel:DWORD src1_sel:BYTE_0
	v_lshl_add_u32 v16, v54, 9, v16
	ds_read_b128 v[22:25], v16
	global_load_dwordx4 v[38:41], v[40:41], off offset:1024
	v_and_or_b32 v30, v0, 48, s18
	v_mov_b32_e32 v57, s19
	v_cmp_gt_i32_e32 vcc, s33, v30
	ds_read_b128 v[14:17], v16 offset:2048
	v_lshlrev_b32_e32 v35, 5, v36
	s_add_u32 s4, s10, s4
	s_addc_u32 s5, s11, s5
	s_mov_b32 s43, 0xff7fffff
	s_waitcnt vmcnt(7) lgkmcnt(1)
	v_mfma_f32_16x16x16_bf16 v[42:45], v[6:7], v[22:23], 0
	v_ashrrev_i32_e32 v6, 4, v30
	v_or_b32_e32 v7, 64, v30
	s_waitcnt vmcnt(5)
	v_mfma_f32_16x16x16_bf16 v[50:53], v[2:3], v[22:23], 0
	v_cndmask_b32_e32 v2, v57, v6, vcc
	v_ashrrev_i32_e32 v3, 31, v2
	v_ashrrev_i32_e32 v6, 4, v7
	v_cmp_gt_i32_e32 vcc, s33, v7
	v_lshl_add_u64 v[2:3], v[2:3], 2, s[6:7]
	s_waitcnt vmcnt(3)
	v_mfma_f32_16x16x16_bf16 v[62:65], v[10:11], v[22:23], 0
	v_cndmask_b32_e32 v10, v57, v6, vcc
	v_ashrrev_i32_e32 v11, 31, v10
	v_lshl_add_u64 v[10:11], v[10:11], 2, s[6:7]
	v_mfma_f32_16x16x16_bf16 v[6:9], v[8:9], v[24:25], v[42:45]
	s_nop 2
	global_load_dword v42, v[2:3], off
	global_load_dword v43, v[10:11], off
	s_waitcnt vmcnt(3)
	v_mfma_f32_16x16x16_bf16 v[66:69], v[18:19], v[22:23], 0
	v_or_b32_e32 v22, 0x80, v30
	v_or_b32_e32 v23, 0xc0, v30
	v_ashrrev_i32_e32 v30, 4, v22
	v_cmp_gt_i32_e32 vcc, s33, v22
	v_ashrrev_i32_e32 v32, 4, v23
	v_mfma_f32_16x16x16_bf16 v[2:5], v[4:5], v[24:25], v[50:53]
	v_cndmask_b32_e32 v22, v57, v30, vcc
	v_cmp_gt_i32_e32 vcc, s33, v23
	v_ashrrev_i32_e32 v23, 31, v22
	v_mfma_f32_16x16x16_bf16 v[10:13], v[12:13], v[24:25], v[62:65]
	v_lshl_or_b32 v30, v37, 9, v35
	v_mfma_f32_16x16x16_bf16 v[18:21], v[20:21], v[24:25], v[66:69]
	v_cndmask_b32_e32 v24, v57, v32, vcc
	v_ashrrev_i32_e32 v25, 31, v24
	v_lshl_add_u64 v[32:33], v[24:25], 2, s[6:7]
	s_waitcnt lgkmcnt(0)
	v_mfma_f32_16x16x16_bf16 v[6:9], v[26:27], v[14:15], v[6:9]
	v_lshl_add_u64 v[26:27], v[22:23], 2, s[6:7]
	global_load_dword v57, v[26:27], off
	global_load_dword v62, v[32:33], off
	v_mfma_f32_16x16x16_bf16 v[2:5], v[46:47], v[14:15], v[2:5]
	v_mfma_f32_16x16x16_bf16 v[22:25], v[58:59], v[14:15], v[10:13]
	s_waitcnt vmcnt(4)
	v_mfma_f32_16x16x16_bf16 v[18:21], v[38:39], v[14:15], v[18:21]
	s_nop 0
	v_lshl_add_u64 v[10:11], s[4:5], 0, v[30:31]
	s_waitcnt vmcnt(3)
	v_mad_i64_i32 v[26:27], s[4:5], v42, s45, 0
	v_mfma_f32_16x16x16_bf16 v[12:15], v[28:29], v[16:17], v[6:9]
	v_lshl_add_u64 v[30:31], v[26:27], 1, v[10:11]
	s_waitcnt vmcnt(2)
	v_mad_i64_i32 v[32:33], s[4:5], v43, s45, 0
	v_mfma_f32_16x16x16_bf16 v[26:29], v[48:49], v[16:17], v[2:5]
	v_lshl_add_u64 v[58:59], v[32:33], 1, v[10:11]
	s_nop 1
	v_pk_mul_f32 v[50:51], s[12:13], v[14:15] op_sel_hi:[0,1]
	v_pk_mul_f32 v[12:13], s[12:13], v[12:13] op_sel_hi:[0,1]
	v_mfma_f32_16x16x16_bf16 v[22:25], v[60:61], v[16:17], v[22:25]
	global_load_dwordx4 v[6:9], v[30:31], off
	global_load_dwordx4 v[2:5], v[30:31], off offset:16
	v_pk_mul_f32 v[42:43], s[12:13], v[26:27] op_sel_hi:[0,1]
	v_pk_mul_f32 v[52:53], s[12:13], v[28:29] op_sel_hi:[0,1]
	v_mfma_f32_16x16x16_bf16 v[14:17], v[40:41], v[16:17], v[18:21]
	s_nop 1
	v_pk_mul_f32 v[46:47], s[12:13], v[22:23] op_sel_hi:[0,1]
	v_pk_mul_f32 v[48:49], s[12:13], v[24:25] op_sel_hi:[0,1]
	global_load_dwordx4 v[30:33], v[58:59], off
	global_load_dwordx4 v[26:29], v[58:59], off offset:16
	s_nop 0
	v_pk_mul_f32 v[44:45], s[12:13], v[14:15] op_sel_hi:[0,1]
	v_and_b32_e32 v14, 0xc0, v0
	v_add_u32_e32 v14, s18, v14
	v_lshl_or_b32 v14, v54, 2, v14
	v_pk_mul_f32 v[38:39], s[12:13], v[16:17] op_sel_hi:[0,1]
	v_or_b32_e32 v17, 1, v14
	v_mov_b32_e32 v15, 0xff7fffff
	v_cmp_gt_i32_e64 s[4:5], s33, v14
	v_cmp_gt_i32_e64 s[34:35], s33, v17
	v_or_b32_e32 v18, 3, v14
	v_cndmask_b32_e64 v16, v15, v12, s[4:5]
	v_cndmask_b32_e64 v17, v15, v13, s[34:35]
	v_max3_f32 v16, v16, s43, v17
	v_or_b32_e32 v17, 2, v14
	v_cmp_gt_i32_e64 s[36:37], s33, v17
	v_cmp_gt_i32_e64 s[38:39], s33, v18
	s_nop 0
	v_cndmask_b32_e64 v17, v15, v50, s[36:37]
	v_cndmask_b32_e64 v18, v15, v51, s[38:39]
	v_max3_f32 v16, v16, v17, v18
	v_or_b32_e32 v17, 16, v14
	v_or_b32_e32 v18, 17, v14
	v_cmp_gt_i32_e64 s[24:25], s33, v17
	v_cmp_gt_i32_e64 s[26:27], s33, v18
	s_nop 0
	v_cndmask_b32_e64 v17, v15, v42, s[24:25]
	v_cndmask_b32_e64 v18, v15, v43, s[26:27]
	v_max3_f32 v16, v16, v17, v18
	v_or_b32_e32 v17, 18, v14
	v_or_b32_e32 v18, 19, v14
	v_cmp_gt_i32_e64 s[20:21], s33, v17
	v_cmp_gt_i32_e64 s[22:23], s33, v18
	s_nop 0
	v_cndmask_b32_e64 v17, v15, v52, s[20:21]
	v_cndmask_b32_e64 v18, v15, v53, s[22:23]
	v_max3_f32 v16, v16, v17, v18
	v_or_b32_e32 v17, 32, v14
	v_or_b32_e32 v18, 33, v14
	v_cmp_gt_i32_e64 s[16:17], s33, v17
	v_cmp_gt_i32_e64 s[18:19], s33, v18
	s_nop 0
	v_cndmask_b32_e64 v17, v15, v46, s[16:17]
	v_cndmask_b32_e64 v18, v15, v47, s[18:19]
	v_max3_f32 v16, v16, v17, v18
	v_or_b32_e32 v17, 34, v14
	v_or_b32_e32 v18, 35, v14
	v_cmp_gt_i32_e64 s[12:13], s33, v17
	v_cmp_gt_i32_e64 s[14:15], s33, v18
	s_nop 0
	v_cndmask_b32_e64 v17, v15, v48, s[12:13]
	v_cndmask_b32_e64 v18, v15, v49, s[14:15]
	v_max3_f32 v16, v16, v17, v18
	v_or_b32_e32 v17, 48, v14
	v_or_b32_e32 v18, 49, v14
	v_cmp_gt_i32_e64 s[8:9], s33, v17
	v_cmp_gt_i32_e64 s[10:11], s33, v18
	s_nop 0
	v_cndmask_b32_e64 v17, v15, v44, s[8:9]
	v_cndmask_b32_e64 v18, v15, v45, s[10:11]
	v_max3_f32 v16, v16, v17, v18
	v_or_b32_e32 v17, 50, v14
	v_or_b32_e32 v14, 51, v14
	v_cmp_gt_i32_e32 vcc, s33, v17
	v_cmp_gt_i32_e64 s[6:7], s33, v14
	s_nop 0
	v_cndmask_b32_e32 v17, v15, v38, vcc
	v_cndmask_b32_e64 v14, v15, v39, s[6:7]
	v_max3_f32 v16, v16, v17, v14
	v_mbcnt_lo_u32_b32 v14, -1, 0
	v_mbcnt_hi_u32_b32 v17, -1, v14
	v_and_b32_e32 v14, 64, v17
	v_add_u32_e32 v18, 64, v14
	v_xor_b32_e32 v14, 32, v17
	v_cmp_lt_i32_e64 s[40:41], v14, v18
	s_nop 1
	v_cndmask_b32_e64 v14, v17, v14, s[40:41]
	v_lshlrev_b32_e32 v60, 2, v14
	ds_bpermute_b32 v19, v60, v16
	s_waitcnt vmcnt(5)
	v_mad_i64_i32 v[14:15], s[40:41], v57, s45, 0
	v_lshl_add_u64 v[14:15], v[14:15], 1, v[10:11]
	s_waitcnt lgkmcnt(0)
	v_max_f32_e32 v19, v19, v19
	v_max_f32_e32 v16, v16, v19
	v_xor_b32_e32 v19, 16, v17
	v_cmp_lt_i32_e64 s[40:41], v19, v18
	s_nop 1
	v_cndmask_b32_e64 v17, v17, v19, s[40:41]
	v_lshlrev_b32_e32 v58, 2, v17
	ds_bpermute_b32 v17, v58, v16
	global_load_dwordx4 v[22:25], v[14:15], off
	global_load_dwordx4 v[18:21], v[14:15], off offset:16
	s_waitcnt vmcnt(6)
	v_mad_i64_i32 v[14:15], s[40:41], v62, s45, 0
	v_lshl_add_u64 v[10:11], v[14:15], 1, v[10:11]
	s_waitcnt lgkmcnt(0)
	v_max_f32_e32 v14, v17, v17
	v_max_f32_e32 v57, v16, v14
	v_sub_f32_e32 v12, v12, v57
	v_mul_f32_e32 v12, 0x3fb8aa3b, v12
	v_exp_f32_e32 v40, v12
	v_sub_f32_e32 v12, v13, v57
	v_mul_f32_e32 v12, 0x3fb8aa3b, v12
	v_exp_f32_e32 v41, v12
	global_load_dwordx4 v[14:17], v[10:11], off
	s_nop 0
	global_load_dwordx4 v[10:13], v[10:11], off offset:16
	v_sub_f32_e32 v50, v50, v57
	v_mul_f32_e32 v50, 0x3fb8aa3b, v50
	v_sub_f32_e32 v51, v51, v57
	v_exp_f32_e32 v50, v50
	v_mul_f32_e32 v51, 0x3fb8aa3b, v51
	v_sub_f32_e32 v42, v42, v57
	v_exp_f32_e32 v51, v51
	v_mul_f32_e32 v42, 0x3fb8aa3b, v42
	v_sub_f32_e32 v43, v43, v57
	v_cndmask_b32_e64 v40, 0, v40, s[4:5]
	v_exp_f32_e32 v42, v42
	v_mul_f32_e32 v43, 0x3fb8aa3b, v43
	v_sub_f32_e32 v52, v52, v57
	v_add_f32_e32 v59, 0, v40
	v_cndmask_b32_e64 v41, 0, v41, s[34:35]
	v_exp_f32_e32 v43, v43
	v_mul_f32_e32 v52, 0x3fb8aa3b, v52
	v_sub_f32_e32 v53, v53, v57
	v_add_f32_e32 v59, v59, v41
	;; [unrolled: 5-line block ×10, first 2 shown]
	v_cndmask_b32_e64 v48, 0, v48, s[12:13]
	v_exp_f32_e32 v38, v38
	v_mul_f32_e32 v39, 0x3fb8aa3b, v39
	v_add_f32_e32 v59, v59, v48
	v_cndmask_b32_e64 v49, 0, v49, s[14:15]
	v_exp_f32_e32 v39, v39
	v_add_f32_e32 v59, v59, v49
	v_cndmask_b32_e64 v44, 0, v44, s[8:9]
	v_add_f32_e32 v59, v59, v44
	v_cndmask_b32_e64 v45, 0, v45, s[10:11]
	v_add_f32_e32 v59, v59, v45
	v_cndmask_b32_e32 v38, 0, v38, vcc
	v_add_f32_e32 v59, v59, v38
	v_cndmask_b32_e64 v39, 0, v39, s[6:7]
	v_add_f32_e32 v59, v59, v39
	ds_bpermute_b32 v60, v60, v59
	v_cmp_gt_u32_e32 vcc, 16, v56
	s_waitcnt lgkmcnt(0)
	s_barrier
	v_add_f32_e32 v59, v59, v60
	ds_bpermute_b32 v60, v58, v59
	v_lshlrev_b32_e32 v58, 2, v36
	s_and_saveexec_b64 s[4:5], vcc
	s_cbranch_execz .LBB438_13
; %bb.12:
	s_waitcnt lgkmcnt(0)
	v_add_f32_e32 v56, v59, v60
	v_lshl_or_b32 v59, v37, 6, v58
	ds_write2st64_b32 v59, v57, v56 offset1:1
.LBB438_13:
	s_or_b64 exec, exec, s[4:5]
	s_load_dword s6, s[0:1], 0x94
	s_waitcnt lgkmcnt(0)
	s_barrier
	ds_read2_b32 v[60:61], v58 offset1:16
	ds_read2_b32 v[62:63], v58 offset0:32 offset1:48
	ds_read2_b32 v[64:65], v58 offset0:64 offset1:80
	;; [unrolled: 1-line block ×3, first 2 shown]
	s_movk_i32 s8, 0x7fff
	s_waitcnt lgkmcnt(3)
	v_max3_f32 v56, v60, s43, v61
	s_waitcnt lgkmcnt(2)
	v_max3_f32 v56, v56, v62, v63
	v_sub_f32_e32 v57, v60, v56
	v_mul_f32_e32 v57, 0x3fb8aa3b, v57
	v_exp_f32_e32 v60, v57
	v_sub_f32_e32 v57, v61, v56
	v_mul_f32_e32 v57, 0x3fb8aa3b, v57
	v_exp_f32_e32 v61, v57
	v_sub_f32_e32 v57, v62, v56
	v_mul_f32_e32 v57, 0x3fb8aa3b, v57
	v_exp_f32_e32 v62, v57
	v_sub_f32_e32 v57, v63, v56
	v_mul_f32_e32 v57, 0x3fb8aa3b, v57
	v_exp_f32_e32 v63, v57
	s_waitcnt lgkmcnt(1)
	v_fma_f32 v57, v60, v64, 0
	v_fmac_f32_e32 v57, v61, v65
	s_waitcnt lgkmcnt(0)
	v_fmac_f32_e32 v57, v62, v58
	v_fmac_f32_e32 v57, v63, v59
	v_add_f32_e32 v58, 0x358637bd, v57
	v_div_scale_f32 v59, s[4:5], v58, v58, 1.0
	v_rcp_f32_e32 v64, v59
	s_mov_b32 s9, 0x7060302
	s_barrier
	v_fma_f32 v65, -v59, v64, 1.0
	v_fmac_f32_e32 v64, v65, v64
	v_div_scale_f32 v65, vcc, 1.0, v58, 1.0
	v_mul_f32_e32 v66, v65, v64
	v_fma_f32 v67, -v59, v66, v65
	v_fmac_f32_e32 v66, v67, v64
	v_fma_f32 v59, -v59, v66, v65
	v_div_fmas_f32 v59, v59, v64, v66
	v_cmp_eq_u32_e32 vcc, 1, v37
	v_div_fixup_f32 v58, v59, v58, 1.0
	s_nop 0
	v_cndmask_b32_e32 v59, v60, v61, vcc
	v_cmp_eq_u32_e32 vcc, 2, v37
	s_mul_i32 s7, s29, 3
	s_nop 0
	v_cndmask_b32_e32 v59, v59, v62, vcc
	v_cmp_eq_u32_e32 vcc, 3, v37
	v_lshlrev_b32_e32 v37, 11, v37
	s_nop 0
	v_cndmask_b32_e32 v59, v59, v63, vcc
	v_mul_f32_e32 v58, v59, v58
	v_pk_mul_f32 v[40:41], v[58:59], v[40:41] op_sel_hi:[0,1]
	v_pk_mul_f32 v[50:51], v[58:59], v[50:51] op_sel_hi:[0,1]
	v_bfe_u32 v59, v41, 16, 1
	v_bfe_u32 v60, v40, 16, 1
	v_add3_u32 v40, v40, v60, s8
	v_add3_u32 v41, v41, v59, s8
	v_perm_b32 v60, v41, v40, s9
	v_bfe_u32 v40, v51, 16, 1
	v_bfe_u32 v41, v50, 16, 1
	v_add3_u32 v41, v50, v41, s8
	v_add3_u32 v40, v51, v40, s8
	v_perm_b32 v61, v40, v41, s9
	v_lshlrev_b32_e32 v40, 3, v54
	v_pk_mul_f32 v[42:43], v[58:59], v[42:43] op_sel_hi:[0,1]
	v_or3_b32 v40, v37, v35, v40
	v_bfe_u32 v37, v43, 16, 1
	v_bfe_u32 v41, v42, 16, 1
	v_pk_mul_f32 v[50:51], v[58:59], v[52:53] op_sel_hi:[0,1]
	v_add3_u32 v41, v42, v41, s8
	v_add3_u32 v37, v43, v37, s8
	v_perm_b32 v42, v37, v41, s9
	v_bfe_u32 v37, v51, 16, 1
	v_bfe_u32 v41, v50, 16, 1
	v_add3_u32 v41, v50, v41, s8
	v_add3_u32 v37, v51, v37, s8
	v_pk_mul_f32 v[46:47], v[58:59], v[46:47] op_sel_hi:[0,1]
	v_perm_b32 v43, v37, v41, s9
	v_bfe_u32 v37, v47, 16, 1
	v_bfe_u32 v41, v46, 16, 1
	ds_write2st64_b64 v40, v[60:61], v[42:43] offset1:1
	v_pk_mul_f32 v[42:43], v[58:59], v[48:49] op_sel_hi:[0,1]
	v_add3_u32 v41, v46, v41, s8
	v_add3_u32 v37, v47, v37, s8
	v_perm_b32 v46, v37, v41, s9
	v_bfe_u32 v37, v43, 16, 1
	v_bfe_u32 v41, v42, 16, 1
	v_add3_u32 v41, v42, v41, s8
	v_add3_u32 v37, v43, v37, s8
	v_pk_mul_f32 v[42:43], v[58:59], v[44:45] op_sel_hi:[0,1]
	v_perm_b32 v47, v37, v41, s9
	v_bfe_u32 v37, v43, 16, 1
	v_bfe_u32 v41, v42, 16, 1
	v_pk_mul_f32 v[38:39], v[58:59], v[38:39] op_sel_hi:[0,1]
	v_add3_u32 v41, v42, v41, s8
	v_add3_u32 v37, v43, v37, s8
	v_perm_b32 v42, v37, v41, s9
	v_bfe_u32 v37, v39, 16, 1
	v_bfe_u32 v41, v38, 16, 1
	v_add3_u32 v38, v38, v41, s8
	v_add3_u32 v37, v39, v37, s8
	v_perm_b32 v43, v37, v38, s9
	v_cmp_gt_u32_e32 vcc, 3, v0
	ds_write2st64_b64 v40, v[46:47], v[42:43] offset0:2 offset1:3
	s_and_saveexec_b64 s[4:5], vcc
	s_cbranch_execz .LBB438_15
; %bb.14:
	s_mov_b32 s43, 0
	v_mov_b32_e32 v37, 0
	v_lshl_add_u64 v[38:39], s[42:43], 0, v[36:37]
	v_mov_b32_e32 v36, s7
	v_mad_u64_u32 v[38:39], s[10:11], s2, v36, v[38:39]
	v_mov_b32_e32 v36, s28
	s_load_dwordx4 s[12:15], s[0:1], 0x58
	s_mul_i32 s3, s3, s7
	v_mad_u64_u32 v[36:37], s[10:11], v38, s6, v[36:37]
	v_add_u32_e32 v39, s3, v39
	v_mov_b32_e32 v38, v37
	v_mad_u64_u32 v[38:39], s[10:11], v39, s6, v[38:39]
	v_mov_b32_e32 v37, v38
	v_lshlrev_b64 v[36:37], 2, v[36:37]
	s_waitcnt lgkmcnt(0)
	v_lshl_add_u64 v[38:39], s[14:15], 0, v[36:37]
	v_lshl_add_u64 v[36:37], s[12:13], 0, v[36:37]
	global_store_dword v[38:39], v56, off
	global_store_dword v[36:37], v57, off
.LBB438_15:
	s_or_b64 exec, exec, s[4:5]
	v_lshl_or_b32 v35, v54, 9, v35
	s_waitcnt lgkmcnt(0)
	s_barrier
	ds_read_b128 v[36:39], v35
	ds_read_b128 v[42:45], v35 offset:16
	s_waitcnt vmcnt(7) lgkmcnt(1)
	v_mfma_f32_16x16x16_bf16 v[46:49], v[6:7], v[36:37], 0
	v_cmp_gt_u32_e32 vcc, 64, v0
	v_cmp_ne_u32_e64 s[4:5], 3, v54
	s_and_b64 s[4:5], s[4:5], vcc
	v_mfma_f32_16x16x16_bf16 v[6:9], v[8:9], v[38:39], v[46:49]
	s_mov_b32 s3, 0
	s_and_b64 s[4:5], s[4:5], s[30:31]
	s_waitcnt vmcnt(6) lgkmcnt(0)
	v_mfma_f32_16x16x16_bf16 v[6:9], v[2:3], v[42:43], v[6:9]
	v_mfma_f32_16x16x16_bf16 v[2:5], v[4:5], v[44:45], v[6:9]
	s_nop 5
	ds_read_b128 v[6:9], v35 offset:2048
	ds_read_b128 v[36:39], v35 offset:2064
	s_waitcnt vmcnt(5) lgkmcnt(1)
	v_mfma_f32_16x16x16_bf16 v[2:5], v[30:31], v[6:7], v[2:5]
	v_mfma_f32_16x16x16_bf16 v[2:5], v[32:33], v[8:9], v[2:5]
	s_waitcnt vmcnt(4) lgkmcnt(0)
	v_mfma_f32_16x16x16_bf16 v[2:5], v[26:27], v[36:37], v[2:5]
	v_mfma_f32_16x16x16_bf16 v[2:5], v[28:29], v[38:39], v[2:5]
	ds_read_b128 v[6:9], v35 offset:4096
	ds_read_b128 v[26:29], v35 offset:4112
	s_waitcnt vmcnt(3) lgkmcnt(1)
	v_mfma_f32_16x16x16_bf16 v[2:5], v[22:23], v[6:7], v[2:5]
	v_mfma_f32_16x16x16_bf16 v[2:5], v[24:25], v[8:9], v[2:5]
	s_waitcnt vmcnt(2) lgkmcnt(0)
	v_mfma_f32_16x16x16_bf16 v[2:5], v[18:19], v[26:27], v[2:5]
	v_mfma_f32_16x16x16_bf16 v[2:5], v[20:21], v[28:29], v[2:5]
	ds_read_b128 v[6:9], v35 offset:6144
	ds_read_b128 v[18:21], v35 offset:6160
	v_mov_b32_e32 v35, 0
	s_waitcnt vmcnt(1) lgkmcnt(0)
	v_mfma_f32_16x16x16_bf16 v[2:5], v[14:15], v[6:7], v[2:5]
	s_barrier
	v_mfma_f32_16x16x16_bf16 v[2:5], v[16:17], v[8:9], v[2:5]
	s_waitcnt vmcnt(0)
	v_mfma_f32_16x16x16_bf16 v[2:5], v[10:11], v[18:19], v[2:5]
	v_mfma_f32_16x16x16_bf16 v[2:5], v[12:13], v[20:21], v[2:5]
	s_nop 6
	v_bfe_u32 v6, v3, 16, 1
	v_bfe_u32 v7, v2, 16, 1
	;; [unrolled: 1-line block ×4, first 2 shown]
	v_add3_u32 v2, v2, v7, s8
	v_add3_u32 v3, v3, v6, s8
	;; [unrolled: 1-line block ×4, first 2 shown]
	v_perm_b32 v2, v3, v2, s9
	v_perm_b32 v3, v5, v4, s9
	ds_write_b64 v40, v[2:3]
	s_waitcnt lgkmcnt(0)
	s_barrier
	s_and_saveexec_b64 s[8:9], s[4:5]
	s_cbranch_execz .LBB438_17
; %bb.16:
	s_load_dwordx2 s[0:1], s[0:1], 0x68
	s_mul_i32 s2, s7, s2
	s_lshl_b32 s6, s6, 6
	s_mul_hi_u32 s5, s2, s6
	s_mul_i32 s4, s2, s6
	v_lshlrev_b32_e32 v0, 10, v0
	s_lshl_b64 s[4:5], s[4:5], 1
	v_and_b32_e32 v0, 0x1800, v0
	v_lshlrev_b32_e32 v2, 5, v54
	v_and_b32_e32 v3, 16, v55
	s_waitcnt lgkmcnt(0)
	s_add_u32 s4, s0, s4
	v_or3_b32 v0, v0, v2, v3
	s_addc_u32 s5, s1, s5
	s_lshl_b32 s2, s28, 6
	ds_read_b128 v[2:5], v0
	s_lshl_b64 s[0:1], s[2:3], 1
	s_add_u32 s0, s4, s0
	s_addc_u32 s1, s5, s1
	v_mad_u64_u32 v[0:1], s[2:3], s6, v1, 0
	v_lshl_add_u64 v[0:1], v[0:1], 1, s[0:1]
	v_lshl_add_u64 v[0:1], v[0:1], 0, v[34:35]
	s_waitcnt lgkmcnt(0)
	global_store_dwordx4 v[0:1], v[2:5], off
.LBB438_17:
	s_endpgm
	.section	.rodata,"a",@progbits
	.p2align	6, 0x0
	.amdhsa_kernel _Z39paged_attention_ll4mi_QKV_mfma16_kernelI14__hip_bfloat16S0_LN4vllm18Fp8KVCacheDataTypeE0EhLi16ELi64ELi256ELb0ELi3EEvPKT_PKT0_S8_ifPKiSA_SA_iPKfiiiPfSD_PS3_PT2_iSC_SC_
		.amdhsa_group_segment_fixed_size 8192
		.amdhsa_private_segment_fixed_size 0
		.amdhsa_kernarg_size 400
		.amdhsa_user_sgpr_count 2
		.amdhsa_user_sgpr_dispatch_ptr 0
		.amdhsa_user_sgpr_queue_ptr 0
		.amdhsa_user_sgpr_kernarg_segment_ptr 1
		.amdhsa_user_sgpr_dispatch_id 0
		.amdhsa_user_sgpr_kernarg_preload_length 0
		.amdhsa_user_sgpr_kernarg_preload_offset 0
		.amdhsa_user_sgpr_private_segment_size 0
		.amdhsa_uses_dynamic_stack 0
		.amdhsa_enable_private_segment 0
		.amdhsa_system_sgpr_workgroup_id_x 1
		.amdhsa_system_sgpr_workgroup_id_y 1
		.amdhsa_system_sgpr_workgroup_id_z 1
		.amdhsa_system_sgpr_workgroup_info 0
		.amdhsa_system_vgpr_workitem_id 0
		.amdhsa_next_free_vgpr 70
		.amdhsa_next_free_sgpr 48
		.amdhsa_accum_offset 72
		.amdhsa_reserve_vcc 1
		.amdhsa_float_round_mode_32 0
		.amdhsa_float_round_mode_16_64 0
		.amdhsa_float_denorm_mode_32 3
		.amdhsa_float_denorm_mode_16_64 3
		.amdhsa_dx10_clamp 1
		.amdhsa_ieee_mode 1
		.amdhsa_fp16_overflow 0
		.amdhsa_tg_split 0
		.amdhsa_exception_fp_ieee_invalid_op 0
		.amdhsa_exception_fp_denorm_src 0
		.amdhsa_exception_fp_ieee_div_zero 0
		.amdhsa_exception_fp_ieee_overflow 0
		.amdhsa_exception_fp_ieee_underflow 0
		.amdhsa_exception_fp_ieee_inexact 0
		.amdhsa_exception_int_div_zero 0
	.end_amdhsa_kernel
	.section	.text._Z39paged_attention_ll4mi_QKV_mfma16_kernelI14__hip_bfloat16S0_LN4vllm18Fp8KVCacheDataTypeE0EhLi16ELi64ELi256ELb0ELi3EEvPKT_PKT0_S8_ifPKiSA_SA_iPKfiiiPfSD_PS3_PT2_iSC_SC_,"axG",@progbits,_Z39paged_attention_ll4mi_QKV_mfma16_kernelI14__hip_bfloat16S0_LN4vllm18Fp8KVCacheDataTypeE0EhLi16ELi64ELi256ELb0ELi3EEvPKT_PKT0_S8_ifPKiSA_SA_iPKfiiiPfSD_PS3_PT2_iSC_SC_,comdat
.Lfunc_end438:
	.size	_Z39paged_attention_ll4mi_QKV_mfma16_kernelI14__hip_bfloat16S0_LN4vllm18Fp8KVCacheDataTypeE0EhLi16ELi64ELi256ELb0ELi3EEvPKT_PKT0_S8_ifPKiSA_SA_iPKfiiiPfSD_PS3_PT2_iSC_SC_, .Lfunc_end438-_Z39paged_attention_ll4mi_QKV_mfma16_kernelI14__hip_bfloat16S0_LN4vllm18Fp8KVCacheDataTypeE0EhLi16ELi64ELi256ELb0ELi3EEvPKT_PKT0_S8_ifPKiSA_SA_iPKfiiiPfSD_PS3_PT2_iSC_SC_
                                        ; -- End function
	.section	.AMDGPU.csdata,"",@progbits
; Kernel info:
; codeLenInByte = 4012
; NumSgprs: 54
; NumVgprs: 70
; NumAgprs: 0
; TotalNumVgprs: 70
; ScratchSize: 0
; MemoryBound: 0
; FloatMode: 240
; IeeeMode: 1
; LDSByteSize: 8192 bytes/workgroup (compile time only)
; SGPRBlocks: 6
; VGPRBlocks: 8
; NumSGPRsForWavesPerEU: 54
; NumVGPRsForWavesPerEU: 70
; AccumOffset: 72
; Occupancy: 7
; WaveLimiterHint : 1
; COMPUTE_PGM_RSRC2:SCRATCH_EN: 0
; COMPUTE_PGM_RSRC2:USER_SGPR: 2
; COMPUTE_PGM_RSRC2:TRAP_HANDLER: 0
; COMPUTE_PGM_RSRC2:TGID_X_EN: 1
; COMPUTE_PGM_RSRC2:TGID_Y_EN: 1
; COMPUTE_PGM_RSRC2:TGID_Z_EN: 1
; COMPUTE_PGM_RSRC2:TIDIG_COMP_CNT: 0
; COMPUTE_PGM_RSRC3_GFX90A:ACCUM_OFFSET: 17
; COMPUTE_PGM_RSRC3_GFX90A:TG_SPLIT: 0
	.section	.text._Z39paged_attention_ll4mi_QKV_mfma16_kernelI14__hip_bfloat16S0_LN4vllm18Fp8KVCacheDataTypeE0EhLi16ELi64ELi256ELb0ELi4EEvPKT_PKT0_S8_ifPKiSA_SA_iPKfiiiPfSD_PS3_PT2_iSC_SC_,"axG",@progbits,_Z39paged_attention_ll4mi_QKV_mfma16_kernelI14__hip_bfloat16S0_LN4vllm18Fp8KVCacheDataTypeE0EhLi16ELi64ELi256ELb0ELi4EEvPKT_PKT0_S8_ifPKiSA_SA_iPKfiiiPfSD_PS3_PT2_iSC_SC_,comdat
	.protected	_Z39paged_attention_ll4mi_QKV_mfma16_kernelI14__hip_bfloat16S0_LN4vllm18Fp8KVCacheDataTypeE0EhLi16ELi64ELi256ELb0ELi4EEvPKT_PKT0_S8_ifPKiSA_SA_iPKfiiiPfSD_PS3_PT2_iSC_SC_ ; -- Begin function _Z39paged_attention_ll4mi_QKV_mfma16_kernelI14__hip_bfloat16S0_LN4vllm18Fp8KVCacheDataTypeE0EhLi16ELi64ELi256ELb0ELi4EEvPKT_PKT0_S8_ifPKiSA_SA_iPKfiiiPfSD_PS3_PT2_iSC_SC_
	.globl	_Z39paged_attention_ll4mi_QKV_mfma16_kernelI14__hip_bfloat16S0_LN4vllm18Fp8KVCacheDataTypeE0EhLi16ELi64ELi256ELb0ELi4EEvPKT_PKT0_S8_ifPKiSA_SA_iPKfiiiPfSD_PS3_PT2_iSC_SC_
	.p2align	8
	.type	_Z39paged_attention_ll4mi_QKV_mfma16_kernelI14__hip_bfloat16S0_LN4vllm18Fp8KVCacheDataTypeE0EhLi16ELi64ELi256ELb0ELi4EEvPKT_PKT0_S8_ifPKiSA_SA_iPKfiiiPfSD_PS3_PT2_iSC_SC_,@function
_Z39paged_attention_ll4mi_QKV_mfma16_kernelI14__hip_bfloat16S0_LN4vllm18Fp8KVCacheDataTypeE0EhLi16ELi64ELi256ELb0ELi4EEvPKT_PKT0_S8_ifPKiSA_SA_iPKfiiiPfSD_PS3_PT2_iSC_SC_: ; @_Z39paged_attention_ll4mi_QKV_mfma16_kernelI14__hip_bfloat16S0_LN4vllm18Fp8KVCacheDataTypeE0EhLi16ELi64ELi256ELb0ELi4EEvPKT_PKT0_S8_ifPKiSA_SA_iPKfiiiPfSD_PS3_PT2_iSC_SC_
; %bb.0:
	s_load_dwordx2 s[6:7], s[0:1], 0x30
	s_mov_b32 s26, s3
	s_mov_b64 s[8:9], 0
	s_waitcnt lgkmcnt(0)
	s_cmp_lg_u64 s[6:7], 0
	s_cselect_b64 s[14:15], -1, 0
	s_and_b64 vcc, exec, s[14:15]
	s_cbranch_vccz .LBB439_7
; %bb.1:
	s_add_i32 s10, s2, 1
	s_mov_b32 s11, 0
	s_lshl_b64 s[12:13], s[10:11], 2
	s_add_u32 s12, s6, s12
	s_mov_b32 s3, s11
	s_addc_u32 s13, s7, s13
	s_lshl_b64 s[10:11], s[2:3], 2
	s_add_u32 s10, s6, s10
	s_addc_u32 s11, s7, s11
	s_load_dword s5, s[12:13], 0x0
	s_load_dword s16, s[10:11], 0x0
	s_waitcnt lgkmcnt(0)
	s_sub_i32 s5, s5, s16
	s_cmp_eq_u32 s5, 1
	s_cselect_b64 s[10:11], -1, 0
	s_andn2_b64 vcc, exec, s[8:9]
	s_cbranch_vccnz .LBB439_3
.LBB439_2:
	s_mov_b32 s3, 0
	s_mov_b64 s[10:11], -1
.LBB439_3:
	s_andn2_b64 vcc, exec, s[10:11]
	s_cbranch_vccnz .LBB439_17
; %bb.4:
	s_load_dwordx2 s[8:9], s[0:1], 0x28
	s_lshl_b64 s[16:17], s[2:3], 2
	s_waitcnt lgkmcnt(0)
	s_add_u32 s8, s8, s16
	s_addc_u32 s9, s9, s17
	s_load_dword s38, s[8:9], 0x0
	s_lshl_b32 s18, s26, 8
	s_waitcnt lgkmcnt(0)
	s_cmp_ge_i32 s18, s38
	s_cbranch_scc1 .LBB439_17
; %bb.5:
	s_load_dwordx2 s[8:9], s[0:1], 0x20
	s_load_dword s5, s[0:1], 0x38
	s_add_i32 s10, s38, 15
	s_ashr_i32 s11, s10, 31
	v_and_b32_e32 v1, 0xcf, v0
	s_lshr_b32 s11, s11, 28
	v_add_u32_e32 v1, s18, v1
	s_add_i32 s10, s10, s11
	v_ashrrev_i32_e32 v2, 31, v1
	s_ashr_i32 s19, s10, 4
	v_lshrrev_b32_e32 v8, 28, v2
	s_add_i32 s19, s19, -1
	s_waitcnt lgkmcnt(0)
	s_mul_i32 s10, s2, s5
	s_mov_b32 s11, 0
	v_add_u32_e32 v2, v1, v8
	s_lshl_b64 s[10:11], s[10:11], 2
	v_ashrrev_i32_e32 v2, 4, v2
	v_mov_b32_e32 v9, s19
	v_cmp_gt_i32_e32 vcc, s38, v1
	s_add_u32 s12, s8, s10
	s_addc_u32 s13, s9, s11
	v_cndmask_b32_e32 v2, v9, v2, vcc
	v_ashrrev_i32_e32 v3, 31, v2
	v_lshl_add_u64 v[4:5], v[2:3], 2, s[12:13]
	v_or_b32_e32 v2, 16, v1
	v_add_u32_e32 v3, v2, v8
	v_ashrrev_i32_e32 v3, 4, v3
	v_cmp_gt_i32_e32 vcc, s38, v2
	s_load_dwordx4 s[8:11], s[0:1], 0x8
	s_nop 0
	v_cndmask_b32_e32 v2, v9, v3, vcc
	v_ashrrev_i32_e32 v3, 31, v2
	v_lshl_add_u64 v[6:7], v[2:3], 2, s[12:13]
	v_or_b32_e32 v2, 32, v1
	v_add_u32_e32 v3, v2, v8
	v_ashrrev_i32_e32 v3, 4, v3
	v_cmp_gt_i32_e32 vcc, s38, v2
	v_or_b32_e32 v1, 48, v1
	s_nop 0
	v_cndmask_b32_e32 v2, v9, v3, vcc
	v_ashrrev_i32_e32 v3, 31, v2
	v_lshl_add_u64 v[12:13], v[2:3], 2, s[12:13]
	v_add_u32_e32 v2, v1, v8
	v_ashrrev_i32_e32 v2, 4, v2
	v_cmp_gt_i32_e32 vcc, s38, v1
	s_nop 1
	v_cndmask_b32_e32 v2, v9, v2, vcc
	v_ashrrev_i32_e32 v3, 31, v2
	v_lshl_add_u64 v[14:15], v[2:3], 2, s[12:13]
	global_load_dword v2, v[4:5], off
	global_load_dword v10, v[6:7], off
	;; [unrolled: 1-line block ×4, first 2 shown]
	s_andn2_b64 vcc, exec, s[14:15]
	s_cbranch_vccnz .LBB439_8
; %bb.6:
	s_add_u32 s6, s6, s16
	s_addc_u32 s7, s7, s17
	s_load_dword s5, s[6:7], 0x0
	s_branch .LBB439_9
.LBB439_7:
	s_mov_b64 s[10:11], 0
	s_branch .LBB439_2
.LBB439_8:
	s_mov_b32 s5, s2
.LBB439_9:
	s_load_dwordx4 s[40:43], s[0:1], 0x48
	v_and_b32_e32 v57, 15, v0
	v_bfe_u32 v54, v0, 4, 2
	s_lshl_b32 s27, s4, 2
	v_lshlrev_b32_e32 v3, 3, v57
	v_cmp_gt_u32_e32 vcc, 64, v0
	v_cmp_gt_u32_e64 s[6:7], 8, v57
	v_lshrrev_b32_e32 v55, 6, v0
	v_and_b32_e32 v56, 63, v0
	v_or_b32_e32 v1, s27, v54
	v_and_b32_e32 v11, 3, v0
	s_and_b64 s[44:45], vcc, s[6:7]
	v_lshlrev_b32_e32 v34, 1, v3
	v_lshlrev_b32_e32 v52, 5, v54
	s_and_saveexec_b64 s[6:7], s[44:45]
	s_cbranch_execz .LBB439_11
; %bb.10:
	s_load_dwordx2 s[14:15], s[0:1], 0x0
	s_waitcnt lgkmcnt(0)
	s_ashr_i32 s16, s40, 31
	s_mul_hi_u32 s17, s5, s40
	s_mul_i32 s16, s5, s16
	s_add_i32 s17, s17, s16
	s_mul_i32 s16, s5, s40
	s_lshl_b64 s[16:17], s[16:17], 1
	s_add_u32 s14, s14, s16
	v_lshlrev_b32_e32 v4, 6, v1
	s_addc_u32 s15, s15, s17
	v_ashrrev_i32_e32 v5, 31, v4
	v_lshl_add_u64 v[4:5], v[4:5], 1, s[14:15]
	v_mov_b32_e32 v35, 0
	v_lshl_add_u64 v[4:5], v[4:5], 0, v[34:35]
	global_load_dwordx4 v[4:7], v[4:5], off
	v_lshlrev_b32_e32 v13, 9, v57
	v_lshl_or_b32 v3, v55, 7, v52
	v_lshlrev_b32_e32 v12, 9, v11
	v_and_b32_e32 v13, 0x1800, v13
	v_or3_b32 v3, v13, v12, v3
	s_waitcnt vmcnt(0)
	ds_write_b128 v3, v[4:7]
.LBB439_11:
	s_or_b64 exec, exec, s[6:7]
	s_waitcnt lgkmcnt(0)
	s_mul_i32 s4, s4, s42
	s_mov_b32 s5, 0
	s_lshl_b64 s[4:5], s[4:5], 1
	s_add_u32 s8, s8, s4
	v_lshlrev_b32_e32 v53, 4, v0
	s_addc_u32 s9, s9, s5
	v_and_b32_e32 v6, 0xf0, v53
	v_mov_b32_e32 v7, 0
	v_lshl_add_u64 v[12:13], s[8:9], 0, v[6:7]
	s_waitcnt vmcnt(3)
	v_mad_i64_i32 v[2:3], s[8:9], v2, s41, 0
	v_lshl_add_u64 v[2:3], v[2:3], 1, v[12:13]
	v_and_b32_e32 v6, 0x300, v53
	s_waitcnt vmcnt(2)
	v_mad_i64_i32 v[20:21], s[8:9], v10, s41, 0
	s_waitcnt vmcnt(1)
	v_mad_i64_i32 v[24:25], s[8:9], v9, s41, 0
	v_lshl_add_u64 v[14:15], v[2:3], 0, v[6:7]
	v_lshlrev_b32_e32 v11, 5, v11
	v_lshl_add_u64 v[20:21], v[20:21], 1, v[12:13]
	v_lshl_add_u64 v[24:25], v[24:25], 1, v[12:13]
	s_load_dword s33, s[0:1], 0x98
	s_load_dword s6, s[0:1], 0x1c
	s_waitcnt lgkmcnt(0)
	s_barrier
	global_load_dwordx4 v[2:5], v[14:15], off
	s_waitcnt vmcnt(1)
	v_mad_i64_i32 v[26:27], s[8:9], v8, s41, 0
	v_lshl_or_b32 v8, v54, 9, v11
	v_lshl_add_u64 v[32:33], v[20:21], 0, v[6:7]
	v_lshl_add_u64 v[30:31], v[24:25], 0, v[6:7]
	ds_read_b128 v[16:19], v8
	ds_read_b128 v[8:11], v8 offset:2048
	global_load_dwordx4 v[20:23], v[32:33], off
	v_lshl_add_u64 v[12:13], v[26:27], 1, v[12:13]
	global_load_dwordx4 v[24:27], v[30:31], off
	v_lshl_add_u64 v[28:29], v[12:13], 0, v[6:7]
	global_load_dwordx4 v[12:15], v[14:15], off offset:1024
	s_nop 0
	global_load_dwordx4 v[40:43], v[28:29], off
	global_load_dwordx4 v[44:47], v[32:33], off offset:1024
	global_load_dwordx4 v[62:65], v[28:29], off offset:1024
	v_and_or_b32 v6, v0, 48, s18
	global_load_dwordx4 v[30:33], v[30:31], off offset:1024
	v_mov_b32_e32 v70, s19
	v_cmp_gt_i32_e32 vcc, s38, v6
	v_or_b32_e32 v28, 0x80, v6
	v_ashrrev_i32_e32 v29, 4, v28
	v_lshlrev_b32_e32 v35, 5, v57
	s_add_u32 s4, s10, s4
	s_addc_u32 s5, s11, s5
	s_mov_b32 s40, 0xff7fffff
	v_lshlrev_b32_e32 v57, 2, v57
	s_waitcnt vmcnt(3) lgkmcnt(1)
	v_mfma_f32_16x16x16_bf16 v[66:69], v[40:41], v[16:17], 0
	v_mfma_f32_16x16x16_bf16 v[36:39], v[2:3], v[16:17], 0
	v_ashrrev_i32_e32 v2, 4, v6
	v_mfma_f32_16x16x16_bf16 v[48:51], v[20:21], v[16:17], 0
	v_or_b32_e32 v20, 64, v6
	v_ashrrev_i32_e32 v21, 4, v20
	v_or_b32_e32 v6, 0xc0, v6
	v_mfma_f32_16x16x16_bf16 v[58:61], v[24:25], v[16:17], 0
	v_cndmask_b32_e32 v16, v70, v2, vcc
	v_ashrrev_i32_e32 v17, 31, v16
	v_lshl_add_u64 v[16:17], v[16:17], 2, s[12:13]
	v_mfma_f32_16x16x16_bf16 v[2:5], v[4:5], v[18:19], v[36:39]
	v_cmp_gt_i32_e32 vcc, s38, v20
	s_nop 1
	global_load_dword v36, v[16:17], off
	v_cndmask_b32_e32 v24, v70, v21, vcc
	v_ashrrev_i32_e32 v25, 31, v24
	v_lshl_add_u64 v[16:17], v[24:25], 2, s[12:13]
	global_load_dword v37, v[16:17], off
	v_cmp_gt_i32_e32 vcc, s38, v28
	v_ashrrev_i32_e32 v38, 4, v6
	s_waitcnt lgkmcnt(0)
	v_mfma_f32_16x16x16_bf16 v[2:5], v[12:13], v[8:9], v[2:5]
	v_cndmask_b32_e32 v12, v70, v29, vcc
	v_cmp_gt_i32_e32 vcc, s38, v6
	v_ashrrev_i32_e32 v13, 31, v12
	v_lshl_add_u64 v[12:13], v[12:13], 2, s[12:13]
	v_cndmask_b32_e32 v28, v70, v38, vcc
	v_ashrrev_i32_e32 v29, 31, v28
	v_mfma_f32_16x16x16_bf16 v[24:27], v[26:27], v[18:19], v[58:61]
	v_lshl_add_u64 v[28:29], v[28:29], 2, s[12:13]
	s_nop 1
	global_load_dword v58, v[12:13], off
	global_load_dword v59, v[28:29], off
	v_lshl_or_b32 v6, v55, 9, v35
	v_mfma_f32_16x16x16_bf16 v[20:23], v[22:23], v[18:19], v[48:51]
	v_lshl_add_u64 v[12:13], s[4:5], 0, v[6:7]
	v_mfma_f32_16x16x16_bf16 v[16:19], v[42:43], v[18:19], v[66:69]
	s_waitcnt vmcnt(5)
	v_mfma_f32_16x16x16_bf16 v[16:19], v[62:63], v[8:9], v[16:19]
	s_waitcnt vmcnt(4)
	v_mfma_f32_16x16x16_bf16 v[24:27], v[30:31], v[8:9], v[24:27]
	v_mfma_f32_16x16x16_bf16 v[28:31], v[14:15], v[10:11], v[2:5]
	;; [unrolled: 1-line block ×3, first 2 shown]
	s_waitcnt vmcnt(3)
	s_nop 0
	v_mad_i64_i32 v[2:3], s[4:5], v36, s41, 0
	v_lshl_add_u64 v[14:15], v[2:3], 1, v[12:13]
	global_load_dwordx4 v[6:9], v[14:15], off
	global_load_dwordx4 v[2:5], v[14:15], off offset:16
	v_mfma_f32_16x16x16_bf16 v[14:17], v[64:65], v[10:11], v[16:19]
	s_waitcnt vmcnt(4)
	v_mad_i64_i32 v[36:37], s[4:5], v37, s41, 0
	v_lshl_add_u64 v[38:39], v[36:37], 1, v[12:13]
	v_mfma_f32_16x16x16_bf16 v[20:23], v[46:47], v[10:11], v[20:23]
	v_pk_mul_f32 v[48:49], s[6:7], v[30:31] op_sel_hi:[0,1]
	s_nop 1
	v_pk_mul_f32 v[42:43], s[6:7], v[14:15] op_sel_hi:[0,1]
	v_and_b32_e32 v14, 0xc0, v0
	v_add_u32_e32 v14, s18, v14
	v_lshl_or_b32 v14, v54, 2, v14
	v_pk_mul_f32 v[36:37], s[6:7], v[16:17] op_sel_hi:[0,1]
	v_or_b32_e32 v17, 1, v14
	v_mfma_f32_16x16x16_bf16 v[24:27], v[32:33], v[10:11], v[24:27]
	v_pk_mul_f32 v[10:11], s[6:7], v[28:29] op_sel_hi:[0,1]
	v_mov_b32_e32 v15, 0xff7fffff
	v_cmp_gt_i32_e64 s[28:29], s38, v14
	v_cmp_gt_i32_e64 s[30:31], s38, v17
	v_or_b32_e32 v18, 3, v14
	v_cndmask_b32_e64 v16, v15, v10, s[28:29]
	v_cndmask_b32_e64 v17, v15, v11, s[30:31]
	v_max3_f32 v16, v16, s40, v17
	v_or_b32_e32 v17, 2, v14
	v_cmp_gt_i32_e64 s[34:35], s38, v17
	v_cmp_gt_i32_e64 s[36:37], s38, v18
	v_pk_mul_f32 v[40:41], s[6:7], v[20:21] op_sel_hi:[0,1]
	v_cndmask_b32_e64 v17, v15, v48, s[34:35]
	v_cndmask_b32_e64 v18, v15, v49, s[36:37]
	v_max3_f32 v16, v16, v17, v18
	v_or_b32_e32 v17, 16, v14
	v_or_b32_e32 v18, 17, v14
	v_cmp_gt_i32_e64 s[22:23], s38, v17
	v_cmp_gt_i32_e64 s[24:25], s38, v18
	v_pk_mul_f32 v[50:51], s[6:7], v[22:23] op_sel_hi:[0,1]
	v_cndmask_b32_e64 v17, v15, v40, s[22:23]
	v_cndmask_b32_e64 v18, v15, v41, s[24:25]
	v_max3_f32 v16, v16, v17, v18
	v_or_b32_e32 v17, 18, v14
	;; [unrolled: 8-line block ×4, first 2 shown]
	v_or_b32_e32 v18, 35, v14
	v_cmp_gt_i32_e64 s[10:11], s38, v17
	v_cmp_gt_i32_e64 s[12:13], s38, v18
	global_load_dwordx4 v[30:33], v[38:39], off
	global_load_dwordx4 v[26:29], v[38:39], off offset:16
	v_cndmask_b32_e64 v17, v15, v46, s[10:11]
	v_cndmask_b32_e64 v18, v15, v47, s[12:13]
	v_max3_f32 v16, v16, v17, v18
	v_or_b32_e32 v17, 48, v14
	v_or_b32_e32 v18, 49, v14
	v_cmp_gt_i32_e64 s[6:7], s38, v17
	v_cmp_gt_i32_e64 s[8:9], s38, v18
	s_nop 0
	v_cndmask_b32_e64 v17, v15, v42, s[6:7]
	v_cndmask_b32_e64 v18, v15, v43, s[8:9]
	v_max3_f32 v16, v16, v17, v18
	v_or_b32_e32 v17, 50, v14
	v_or_b32_e32 v14, 51, v14
	v_cmp_gt_i32_e32 vcc, s38, v17
	v_cmp_gt_i32_e64 s[4:5], s38, v14
	s_nop 0
	v_cndmask_b32_e32 v17, v15, v36, vcc
	v_cndmask_b32_e64 v14, v15, v37, s[4:5]
	v_max3_f32 v16, v16, v17, v14
	v_mbcnt_lo_u32_b32 v14, -1, 0
	v_mbcnt_hi_u32_b32 v17, -1, v14
	v_and_b32_e32 v14, 64, v17
	v_add_u32_e32 v18, 64, v14
	v_xor_b32_e32 v14, 32, v17
	v_cmp_lt_i32_e64 s[38:39], v14, v18
	s_nop 1
	v_cndmask_b32_e64 v14, v17, v14, s[38:39]
	v_lshlrev_b32_e32 v60, 2, v14
	ds_bpermute_b32 v19, v60, v16
	s_waitcnt vmcnt(5)
	v_mad_i64_i32 v[14:15], s[38:39], v58, s41, 0
	v_lshl_add_u64 v[14:15], v[14:15], 1, v[12:13]
	s_waitcnt lgkmcnt(0)
	v_max_f32_e32 v19, v19, v19
	v_max_f32_e32 v16, v16, v19
	v_xor_b32_e32 v19, 16, v17
	v_cmp_lt_i32_e64 s[38:39], v19, v18
	s_nop 1
	v_cndmask_b32_e64 v17, v17, v19, s[38:39]
	v_lshlrev_b32_e32 v61, 2, v17
	ds_bpermute_b32 v17, v61, v16
	global_load_dwordx4 v[22:25], v[14:15], off
	global_load_dwordx4 v[18:21], v[14:15], off offset:16
	s_waitcnt vmcnt(6)
	v_mad_i64_i32 v[14:15], s[38:39], v59, s41, 0
	v_lshl_add_u64 v[12:13], v[14:15], 1, v[12:13]
	s_waitcnt lgkmcnt(0)
	v_max_f32_e32 v14, v17, v17
	v_max_f32_e32 v58, v16, v14
	v_sub_f32_e32 v10, v10, v58
	v_mul_f32_e32 v10, 0x3fb8aa3b, v10
	v_exp_f32_e32 v38, v10
	v_sub_f32_e32 v10, v11, v58
	v_mul_f32_e32 v10, 0x3fb8aa3b, v10
	v_exp_f32_e32 v39, v10
	global_load_dwordx4 v[14:17], v[12:13], off
	s_nop 0
	global_load_dwordx4 v[10:13], v[12:13], off offset:16
	v_sub_f32_e32 v48, v48, v58
	v_mul_f32_e32 v48, 0x3fb8aa3b, v48
	v_sub_f32_e32 v49, v49, v58
	v_exp_f32_e32 v48, v48
	v_mul_f32_e32 v49, 0x3fb8aa3b, v49
	v_sub_f32_e32 v40, v40, v58
	v_exp_f32_e32 v49, v49
	v_mul_f32_e32 v40, 0x3fb8aa3b, v40
	v_sub_f32_e32 v41, v41, v58
	v_cndmask_b32_e64 v38, 0, v38, s[28:29]
	v_exp_f32_e32 v40, v40
	v_mul_f32_e32 v41, 0x3fb8aa3b, v41
	v_sub_f32_e32 v50, v50, v58
	v_add_f32_e32 v59, 0, v38
	v_cndmask_b32_e64 v39, 0, v39, s[30:31]
	v_exp_f32_e32 v41, v41
	v_mul_f32_e32 v50, 0x3fb8aa3b, v50
	v_sub_f32_e32 v51, v51, v58
	v_add_f32_e32 v59, v59, v39
	;; [unrolled: 5-line block ×10, first 2 shown]
	v_cndmask_b32_e64 v46, 0, v46, s[10:11]
	v_exp_f32_e32 v36, v36
	v_mul_f32_e32 v37, 0x3fb8aa3b, v37
	v_add_f32_e32 v59, v59, v46
	v_cndmask_b32_e64 v47, 0, v47, s[12:13]
	v_exp_f32_e32 v37, v37
	v_add_f32_e32 v59, v59, v47
	v_cndmask_b32_e64 v42, 0, v42, s[6:7]
	v_add_f32_e32 v59, v59, v42
	v_cndmask_b32_e64 v43, 0, v43, s[8:9]
	v_add_f32_e32 v59, v59, v43
	v_cndmask_b32_e32 v36, 0, v36, vcc
	v_add_f32_e32 v59, v59, v36
	v_cndmask_b32_e64 v37, 0, v37, s[4:5]
	v_add_f32_e32 v59, v59, v37
	ds_bpermute_b32 v60, v60, v59
	v_cmp_gt_u32_e32 vcc, 16, v56
	s_waitcnt lgkmcnt(0)
	s_barrier
	v_add_f32_e32 v59, v59, v60
	ds_bpermute_b32 v60, v61, v59
	s_and_saveexec_b64 s[4:5], vcc
	s_cbranch_execz .LBB439_13
; %bb.12:
	s_waitcnt lgkmcnt(0)
	v_add_f32_e32 v56, v59, v60
	v_lshl_or_b32 v59, v55, 6, v57
	ds_write2st64_b32 v59, v58, v56 offset1:1
.LBB439_13:
	s_or_b64 exec, exec, s[4:5]
	s_load_dword s6, s[0:1], 0x94
	s_waitcnt lgkmcnt(0)
	s_barrier
	ds_read2_b32 v[58:59], v57 offset1:16
	ds_read2_b32 v[60:61], v57 offset0:32 offset1:48
	ds_read2_b32 v[62:63], v57 offset0:64 offset1:80
	s_movk_i32 s8, 0x7fff
	s_mov_b32 s9, 0x7060302
	s_waitcnt lgkmcnt(2)
	v_max3_f32 v56, v58, s40, v59
	s_waitcnt lgkmcnt(1)
	v_max3_f32 v56, v56, v60, v61
	v_sub_f32_e32 v58, v58, v56
	v_mul_f32_e32 v58, 0x3fb8aa3b, v58
	v_exp_f32_e32 v64, v58
	v_sub_f32_e32 v58, v59, v56
	v_mul_f32_e32 v58, 0x3fb8aa3b, v58
	v_exp_f32_e32 v65, v58
	;; [unrolled: 3-line block ×3, first 2 shown]
	ds_read2_b32 v[58:59], v57 offset0:96 offset1:112
	v_sub_f32_e32 v57, v61, v56
	v_mul_f32_e32 v57, 0x3fb8aa3b, v57
	v_exp_f32_e32 v61, v57
	s_waitcnt lgkmcnt(1)
	v_fma_f32 v57, v64, v62, 0
	v_fmac_f32_e32 v57, v65, v63
	s_waitcnt lgkmcnt(0)
	v_fmac_f32_e32 v57, v60, v58
	v_fmac_f32_e32 v57, v61, v59
	v_add_f32_e32 v58, 0x358637bd, v57
	v_div_scale_f32 v59, s[4:5], v58, v58, 1.0
	v_rcp_f32_e32 v62, v59
	s_barrier
	v_fma_f32 v63, -v59, v62, 1.0
	v_fmac_f32_e32 v62, v63, v62
	v_div_scale_f32 v63, vcc, 1.0, v58, 1.0
	v_mul_f32_e32 v66, v63, v62
	v_fma_f32 v67, -v59, v66, v63
	v_fmac_f32_e32 v66, v67, v62
	v_fma_f32 v59, -v59, v66, v63
	v_div_fmas_f32 v59, v59, v62, v66
	v_cmp_eq_u32_e32 vcc, 1, v55
	v_div_fixup_f32 v58, v59, v58, 1.0
	s_lshl_b32 s7, s33, 2
	v_cndmask_b32_e32 v59, v64, v65, vcc
	v_cmp_eq_u32_e32 vcc, 2, v55
	s_nop 1
	v_cndmask_b32_e32 v59, v59, v60, vcc
	v_cmp_eq_u32_e32 vcc, 3, v55
	s_nop 1
	v_cndmask_b32_e32 v59, v59, v61, vcc
	v_mul_f32_e32 v58, v59, v58
	v_pk_mul_f32 v[38:39], v[58:59], v[38:39] op_sel_hi:[0,1]
	v_pk_mul_f32 v[48:49], v[58:59], v[48:49] op_sel_hi:[0,1]
	v_bfe_u32 v59, v39, 16, 1
	v_bfe_u32 v60, v38, 16, 1
	v_add3_u32 v38, v38, v60, s8
	v_add3_u32 v39, v39, v59, s8
	v_perm_b32 v60, v39, v38, s9
	v_bfe_u32 v38, v49, 16, 1
	v_bfe_u32 v39, v48, 16, 1
	v_add3_u32 v39, v48, v39, s8
	v_add3_u32 v38, v49, v38, s8
	v_perm_b32 v61, v38, v39, s9
	v_lshlrev_b32_e32 v38, 3, v54
	v_lshlrev_b32_e32 v39, 11, v55
	v_pk_mul_f32 v[40:41], v[58:59], v[40:41] op_sel_hi:[0,1]
	v_or3_b32 v38, v39, v35, v38
	v_pk_mul_f32 v[48:49], v[58:59], v[50:51] op_sel_hi:[0,1]
	v_bfe_u32 v39, v41, 16, 1
	v_bfe_u32 v50, v40, 16, 1
	v_add3_u32 v40, v40, v50, s8
	v_add3_u32 v39, v41, v39, s8
	v_perm_b32 v40, v39, v40, s9
	v_bfe_u32 v39, v49, 16, 1
	v_bfe_u32 v41, v48, 16, 1
	v_add3_u32 v41, v48, v41, s8
	v_add3_u32 v39, v49, v39, s8
	v_perm_b32 v41, v39, v41, s9
	v_pk_mul_f32 v[44:45], v[58:59], v[44:45] op_sel_hi:[0,1]
	ds_write2st64_b64 v38, v[60:61], v[40:41] offset1:1
	v_pk_mul_f32 v[40:41], v[58:59], v[46:47] op_sel_hi:[0,1]
	v_bfe_u32 v39, v45, 16, 1
	v_bfe_u32 v46, v44, 16, 1
	v_add3_u32 v44, v44, v46, s8
	v_add3_u32 v39, v45, v39, s8
	v_perm_b32 v44, v39, v44, s9
	v_bfe_u32 v39, v41, 16, 1
	v_bfe_u32 v45, v40, 16, 1
	v_add3_u32 v40, v40, v45, s8
	v_add3_u32 v39, v41, v39, s8
	v_perm_b32 v45, v39, v40, s9
	v_pk_mul_f32 v[40:41], v[58:59], v[42:43] op_sel_hi:[0,1]
	v_bfe_u32 v39, v41, 16, 1
	v_bfe_u32 v42, v40, 16, 1
	v_pk_mul_f32 v[36:37], v[58:59], v[36:37] op_sel_hi:[0,1]
	v_add3_u32 v40, v40, v42, s8
	v_add3_u32 v39, v41, v39, s8
	v_perm_b32 v40, v39, v40, s9
	v_bfe_u32 v39, v37, 16, 1
	v_bfe_u32 v41, v36, 16, 1
	v_add3_u32 v36, v36, v41, s8
	v_add3_u32 v37, v37, v39, s8
	v_perm_b32 v41, v37, v36, s9
	v_cmp_gt_u32_e32 vcc, 4, v0
	ds_write2st64_b64 v38, v[44:45], v[40:41] offset0:2 offset1:3
	s_and_saveexec_b64 s[4:5], vcc
	s_cbranch_execz .LBB439_15
; %bb.14:
	v_or_b32_e32 v36, s27, v0
	v_mov_b32_e32 v37, 0
	v_mov_b32_e32 v39, s7
	v_mad_u64_u32 v[40:41], s[10:11], s2, v39, v[36:37]
	v_mov_b32_e32 v36, s26
	s_load_dwordx4 s[12:15], s[0:1], 0x58
	s_mul_i32 s3, s3, s7
	v_mad_u64_u32 v[36:37], s[10:11], v40, s6, v[36:37]
	v_add_u32_e32 v39, s3, v41
	v_mov_b32_e32 v40, v37
	v_mad_u64_u32 v[40:41], s[10:11], v39, s6, v[40:41]
	v_mov_b32_e32 v37, v40
	v_lshlrev_b64 v[36:37], 2, v[36:37]
	s_waitcnt lgkmcnt(0)
	v_lshl_add_u64 v[40:41], s[14:15], 0, v[36:37]
	v_lshl_add_u64 v[36:37], s[12:13], 0, v[36:37]
	global_store_dword v[40:41], v56, off
	global_store_dword v[36:37], v57, off
.LBB439_15:
	s_or_b64 exec, exec, s[4:5]
	v_lshl_or_b32 v35, v54, 9, v35
	s_waitcnt lgkmcnt(0)
	s_barrier
	ds_read_b128 v[40:43], v35
	ds_read_b128 v[44:47], v35 offset:16
	s_waitcnt vmcnt(7) lgkmcnt(1)
	v_mfma_f32_16x16x16_bf16 v[48:51], v[6:7], v[40:41], 0
	s_mov_b32 s3, 0
	v_mfma_f32_16x16x16_bf16 v[6:9], v[8:9], v[42:43], v[48:51]
	s_waitcnt vmcnt(6) lgkmcnt(0)
	v_mfma_f32_16x16x16_bf16 v[6:9], v[2:3], v[44:45], v[6:9]
	v_mfma_f32_16x16x16_bf16 v[2:5], v[4:5], v[46:47], v[6:9]
	s_nop 5
	ds_read_b128 v[6:9], v35 offset:2048
	ds_read_b128 v[40:43], v35 offset:2064
	s_waitcnt vmcnt(5) lgkmcnt(1)
	v_mfma_f32_16x16x16_bf16 v[2:5], v[30:31], v[6:7], v[2:5]
	v_mfma_f32_16x16x16_bf16 v[2:5], v[32:33], v[8:9], v[2:5]
	s_waitcnt vmcnt(4) lgkmcnt(0)
	v_mfma_f32_16x16x16_bf16 v[2:5], v[26:27], v[40:41], v[2:5]
	v_mfma_f32_16x16x16_bf16 v[2:5], v[28:29], v[42:43], v[2:5]
	ds_read_b128 v[6:9], v35 offset:4096
	ds_read_b128 v[26:29], v35 offset:4112
	s_waitcnt vmcnt(3) lgkmcnt(1)
	v_mfma_f32_16x16x16_bf16 v[2:5], v[22:23], v[6:7], v[2:5]
	v_mfma_f32_16x16x16_bf16 v[2:5], v[24:25], v[8:9], v[2:5]
	s_waitcnt vmcnt(2) lgkmcnt(0)
	v_mfma_f32_16x16x16_bf16 v[2:5], v[18:19], v[26:27], v[2:5]
	v_mfma_f32_16x16x16_bf16 v[2:5], v[20:21], v[28:29], v[2:5]
	ds_read_b128 v[6:9], v35 offset:6144
	ds_read_b128 v[18:21], v35 offset:6160
	v_mov_b32_e32 v35, 0
	s_waitcnt vmcnt(1) lgkmcnt(0)
	v_mfma_f32_16x16x16_bf16 v[2:5], v[14:15], v[6:7], v[2:5]
	s_barrier
	v_mfma_f32_16x16x16_bf16 v[2:5], v[16:17], v[8:9], v[2:5]
	s_waitcnt vmcnt(0)
	v_mfma_f32_16x16x16_bf16 v[2:5], v[10:11], v[18:19], v[2:5]
	v_mfma_f32_16x16x16_bf16 v[2:5], v[12:13], v[20:21], v[2:5]
	s_nop 6
	v_bfe_u32 v6, v3, 16, 1
	v_bfe_u32 v7, v2, 16, 1
	;; [unrolled: 1-line block ×4, first 2 shown]
	v_add3_u32 v2, v2, v7, s8
	v_add3_u32 v3, v3, v6, s8
	;; [unrolled: 1-line block ×4, first 2 shown]
	v_perm_b32 v2, v3, v2, s9
	v_perm_b32 v3, v5, v4, s9
	ds_write_b64 v38, v[2:3]
	s_waitcnt lgkmcnt(0)
	s_barrier
	s_and_saveexec_b64 s[4:5], s[44:45]
	s_cbranch_execz .LBB439_17
; %bb.16:
	s_load_dwordx2 s[0:1], s[0:1], 0x68
	s_lshl_b32 s6, s6, 6
	s_mul_i32 s2, s7, s2
	s_mul_hi_u32 s5, s2, s6
	s_mul_i32 s4, s2, s6
	v_lshlrev_b32_e32 v0, 10, v0
	s_lshl_b64 s[4:5], s[4:5], 1
	v_and_b32_e32 v0, 0x1800, v0
	v_and_b32_e32 v2, 16, v53
	s_waitcnt lgkmcnt(0)
	s_add_u32 s4, s0, s4
	v_or3_b32 v0, v0, v52, v2
	s_addc_u32 s5, s1, s5
	s_lshl_b32 s2, s26, 6
	ds_read_b128 v[2:5], v0
	s_lshl_b64 s[0:1], s[2:3], 1
	s_add_u32 s0, s4, s0
	s_addc_u32 s1, s5, s1
	v_mad_u64_u32 v[0:1], s[2:3], s6, v1, 0
	v_lshl_add_u64 v[0:1], v[0:1], 1, s[0:1]
	v_lshl_add_u64 v[0:1], v[0:1], 0, v[34:35]
	s_waitcnt lgkmcnt(0)
	global_store_dwordx4 v[0:1], v[2:5], off
.LBB439_17:
	s_endpgm
	.section	.rodata,"a",@progbits
	.p2align	6, 0x0
	.amdhsa_kernel _Z39paged_attention_ll4mi_QKV_mfma16_kernelI14__hip_bfloat16S0_LN4vllm18Fp8KVCacheDataTypeE0EhLi16ELi64ELi256ELb0ELi4EEvPKT_PKT0_S8_ifPKiSA_SA_iPKfiiiPfSD_PS3_PT2_iSC_SC_
		.amdhsa_group_segment_fixed_size 8192
		.amdhsa_private_segment_fixed_size 0
		.amdhsa_kernarg_size 400
		.amdhsa_user_sgpr_count 2
		.amdhsa_user_sgpr_dispatch_ptr 0
		.amdhsa_user_sgpr_queue_ptr 0
		.amdhsa_user_sgpr_kernarg_segment_ptr 1
		.amdhsa_user_sgpr_dispatch_id 0
		.amdhsa_user_sgpr_kernarg_preload_length 0
		.amdhsa_user_sgpr_kernarg_preload_offset 0
		.amdhsa_user_sgpr_private_segment_size 0
		.amdhsa_uses_dynamic_stack 0
		.amdhsa_enable_private_segment 0
		.amdhsa_system_sgpr_workgroup_id_x 1
		.amdhsa_system_sgpr_workgroup_id_y 1
		.amdhsa_system_sgpr_workgroup_id_z 1
		.amdhsa_system_sgpr_workgroup_info 0
		.amdhsa_system_vgpr_workitem_id 0
		.amdhsa_next_free_vgpr 71
		.amdhsa_next_free_sgpr 46
		.amdhsa_accum_offset 72
		.amdhsa_reserve_vcc 1
		.amdhsa_float_round_mode_32 0
		.amdhsa_float_round_mode_16_64 0
		.amdhsa_float_denorm_mode_32 3
		.amdhsa_float_denorm_mode_16_64 3
		.amdhsa_dx10_clamp 1
		.amdhsa_ieee_mode 1
		.amdhsa_fp16_overflow 0
		.amdhsa_tg_split 0
		.amdhsa_exception_fp_ieee_invalid_op 0
		.amdhsa_exception_fp_denorm_src 0
		.amdhsa_exception_fp_ieee_div_zero 0
		.amdhsa_exception_fp_ieee_overflow 0
		.amdhsa_exception_fp_ieee_underflow 0
		.amdhsa_exception_fp_ieee_inexact 0
		.amdhsa_exception_int_div_zero 0
	.end_amdhsa_kernel
	.section	.text._Z39paged_attention_ll4mi_QKV_mfma16_kernelI14__hip_bfloat16S0_LN4vllm18Fp8KVCacheDataTypeE0EhLi16ELi64ELi256ELb0ELi4EEvPKT_PKT0_S8_ifPKiSA_SA_iPKfiiiPfSD_PS3_PT2_iSC_SC_,"axG",@progbits,_Z39paged_attention_ll4mi_QKV_mfma16_kernelI14__hip_bfloat16S0_LN4vllm18Fp8KVCacheDataTypeE0EhLi16ELi64ELi256ELb0ELi4EEvPKT_PKT0_S8_ifPKiSA_SA_iPKfiiiPfSD_PS3_PT2_iSC_SC_,comdat
.Lfunc_end439:
	.size	_Z39paged_attention_ll4mi_QKV_mfma16_kernelI14__hip_bfloat16S0_LN4vllm18Fp8KVCacheDataTypeE0EhLi16ELi64ELi256ELb0ELi4EEvPKT_PKT0_S8_ifPKiSA_SA_iPKfiiiPfSD_PS3_PT2_iSC_SC_, .Lfunc_end439-_Z39paged_attention_ll4mi_QKV_mfma16_kernelI14__hip_bfloat16S0_LN4vllm18Fp8KVCacheDataTypeE0EhLi16ELi64ELi256ELb0ELi4EEvPKT_PKT0_S8_ifPKiSA_SA_iPKfiiiPfSD_PS3_PT2_iSC_SC_
                                        ; -- End function
	.section	.AMDGPU.csdata,"",@progbits
; Kernel info:
; codeLenInByte = 3916
; NumSgprs: 52
; NumVgprs: 71
; NumAgprs: 0
; TotalNumVgprs: 71
; ScratchSize: 0
; MemoryBound: 0
; FloatMode: 240
; IeeeMode: 1
; LDSByteSize: 8192 bytes/workgroup (compile time only)
; SGPRBlocks: 6
; VGPRBlocks: 8
; NumSGPRsForWavesPerEU: 52
; NumVGPRsForWavesPerEU: 71
; AccumOffset: 72
; Occupancy: 7
; WaveLimiterHint : 1
; COMPUTE_PGM_RSRC2:SCRATCH_EN: 0
; COMPUTE_PGM_RSRC2:USER_SGPR: 2
; COMPUTE_PGM_RSRC2:TRAP_HANDLER: 0
; COMPUTE_PGM_RSRC2:TGID_X_EN: 1
; COMPUTE_PGM_RSRC2:TGID_Y_EN: 1
; COMPUTE_PGM_RSRC2:TGID_Z_EN: 1
; COMPUTE_PGM_RSRC2:TIDIG_COMP_CNT: 0
; COMPUTE_PGM_RSRC3_GFX90A:ACCUM_OFFSET: 17
; COMPUTE_PGM_RSRC3_GFX90A:TG_SPLIT: 0
	.section	.text._Z38paged_attention_ll4mi_QKV_mfma4_kernelI14__hip_bfloat16S0_LN4vllm18Fp8KVCacheDataTypeE0ES0_Li16ELi64ELi256ELb1ELi1EEvPKT_PKT0_S8_ifPKiSA_SA_iPKfiiiPfSD_PS3_PT2_iSC_SC_,"axG",@progbits,_Z38paged_attention_ll4mi_QKV_mfma4_kernelI14__hip_bfloat16S0_LN4vllm18Fp8KVCacheDataTypeE0ES0_Li16ELi64ELi256ELb1ELi1EEvPKT_PKT0_S8_ifPKiSA_SA_iPKfiiiPfSD_PS3_PT2_iSC_SC_,comdat
	.protected	_Z38paged_attention_ll4mi_QKV_mfma4_kernelI14__hip_bfloat16S0_LN4vllm18Fp8KVCacheDataTypeE0ES0_Li16ELi64ELi256ELb1ELi1EEvPKT_PKT0_S8_ifPKiSA_SA_iPKfiiiPfSD_PS3_PT2_iSC_SC_ ; -- Begin function _Z38paged_attention_ll4mi_QKV_mfma4_kernelI14__hip_bfloat16S0_LN4vllm18Fp8KVCacheDataTypeE0ES0_Li16ELi64ELi256ELb1ELi1EEvPKT_PKT0_S8_ifPKiSA_SA_iPKfiiiPfSD_PS3_PT2_iSC_SC_
	.globl	_Z38paged_attention_ll4mi_QKV_mfma4_kernelI14__hip_bfloat16S0_LN4vllm18Fp8KVCacheDataTypeE0ES0_Li16ELi64ELi256ELb1ELi1EEvPKT_PKT0_S8_ifPKiSA_SA_iPKfiiiPfSD_PS3_PT2_iSC_SC_
	.p2align	8
	.type	_Z38paged_attention_ll4mi_QKV_mfma4_kernelI14__hip_bfloat16S0_LN4vllm18Fp8KVCacheDataTypeE0ES0_Li16ELi64ELi256ELb1ELi1EEvPKT_PKT0_S8_ifPKiSA_SA_iPKfiiiPfSD_PS3_PT2_iSC_SC_,@function
_Z38paged_attention_ll4mi_QKV_mfma4_kernelI14__hip_bfloat16S0_LN4vllm18Fp8KVCacheDataTypeE0ES0_Li16ELi64ELi256ELb1ELi1EEvPKT_PKT0_S8_ifPKiSA_SA_iPKfiiiPfSD_PS3_PT2_iSC_SC_: ; @_Z38paged_attention_ll4mi_QKV_mfma4_kernelI14__hip_bfloat16S0_LN4vllm18Fp8KVCacheDataTypeE0ES0_Li16ELi64ELi256ELb1ELi1EEvPKT_PKT0_S8_ifPKiSA_SA_iPKfiiiPfSD_PS3_PT2_iSC_SC_
; %bb.0:
	s_load_dwordx2 s[8:9], s[0:1], 0x30
	s_mov_b32 s16, s3
	s_mov_b64 s[6:7], 0
	s_waitcnt lgkmcnt(0)
	s_cmp_lg_u64 s[8:9], 0
	s_cselect_b64 s[10:11], -1, 0
	s_and_b64 vcc, exec, s[10:11]
	s_cbranch_vccz .LBB440_10
; %bb.1:
	s_add_i32 s12, s2, 1
	s_mov_b32 s13, 0
	s_lshl_b64 s[14:15], s[12:13], 2
	s_add_u32 s14, s8, s14
	s_mov_b32 s3, s13
	s_addc_u32 s15, s9, s15
	s_lshl_b64 s[12:13], s[2:3], 2
	s_add_u32 s12, s8, s12
	s_addc_u32 s13, s9, s13
	s_load_dword s5, s[14:15], 0x0
	s_load_dword s17, s[12:13], 0x0
	s_waitcnt lgkmcnt(0)
	s_sub_i32 s5, s5, s17
	s_cmp_eq_u32 s5, 1
	s_cselect_b64 s[12:13], -1, 0
	s_andn2_b64 vcc, exec, s[6:7]
	s_cbranch_vccnz .LBB440_3
.LBB440_2:
	s_mov_b32 s3, 0
	s_mov_b64 s[12:13], -1
.LBB440_3:
	s_andn2_b64 vcc, exec, s[12:13]
	s_cbranch_vccnz .LBB440_25
; %bb.4:
	s_load_dword s5, s[0:1], 0x9c
	s_load_dwordx2 s[6:7], s[0:1], 0x28
	s_add_u32 s20, s0, 0x90
	s_addc_u32 s21, s1, 0
	s_lshl_b64 s[24:25], s[2:3], 2
	s_waitcnt lgkmcnt(0)
	s_and_b32 s5, s5, 0xffff
	s_add_u32 s6, s6, s24
	s_addc_u32 s7, s7, s25
	s_load_dword s3, s[6:7], 0x0
	s_mul_i32 s5, s16, s5
	s_waitcnt lgkmcnt(0)
	s_cmp_ge_i32 s5, s3
	s_cbranch_scc1 .LBB440_25
; %bb.5:
	v_and_b32_e32 v2, 0xc0, v0
	v_add_u32_e32 v2, s5, v2
	v_lshrrev_b32_e32 v1, 6, v0
	v_cmp_gt_i32_e64 s[6:7], s3, v2
	v_cmp_le_i32_e32 vcc, s3, v2
                                        ; implicit-def: $sgpr26
                                        ; implicit-def: $sgpr17
	s_and_saveexec_b64 s[12:13], vcc
	s_xor_b64 s[12:13], exec, s[12:13]
	s_cbranch_execz .LBB440_7
; %bb.6:
	v_mul_u32_u24_e32 v2, 20, v1
	v_or_b32_e32 v2, 0xa00, v2
	v_mov_b32_e32 v3, 0xa50
	v_mov_b32_e32 v4, 0xff7fffff
	v_mad_u32_u24 v3, v1, 20, v3
	ds_write2_b32 v2, v4, v4 offset1:1
	v_mov_b32_e32 v2, 0
	ds_write2_b32 v3, v2, v2 offset1:1
	v_mov_b32_e32 v3, 0xa08
	s_mov_b32 s17, 0xff7fffff
	s_mov_b32 s26, 0
	v_mad_u32_u24 v3, v1, 20, v3
	v_mov_b32_e32 v5, 0xa58
	v_mad_u32_u24 v5, v1, 20, v5
	ds_write2_b32 v3, v4, v4 offset1:1
	ds_write2_b32 v5, v2, v2 offset1:1
                                        ; implicit-def: $vgpr2
.LBB440_7:
	s_or_saveexec_b64 s[22:23], s[12:13]
	s_load_dwordx2 s[18:19], s[0:1], 0x68
	s_load_dwordx4 s[12:15], s[0:1], 0x58
	s_load_dword s33, s[20:21], 0x4
	v_and_b32_e32 v56, 63, v0
	v_and_b32_e32 v57, 3, v0
	v_mov_b32_e32 v37, s26
	v_mov_b32_e32 v40, s17
	;; [unrolled: 1-line block ×5, first 2 shown]
                                        ; implicit-def: $vgpr3
                                        ; implicit-def: $vgpr7
                                        ; implicit-def: $vgpr11
                                        ; implicit-def: $vgpr15
                                        ; implicit-def: $vgpr19
                                        ; implicit-def: $vgpr23
                                        ; implicit-def: $vgpr27
                                        ; implicit-def: $vgpr31
	s_xor_b64 exec, exec, s[22:23]
	s_cbranch_execz .LBB440_19
; %bb.8:
	s_add_i32 s28, s3, 15
	s_ashr_i32 s29, s28, 31
	s_lshr_b32 s29, s29, 28
	v_add_u32_e32 v58, s5, v0
	s_add_i32 s28, s28, s29
	v_ashrrev_i32_e32 v3, 31, v58
	s_load_dwordx2 s[26:27], s[0:1], 0x20
	s_load_dword s17, s[0:1], 0x38
	s_ashr_i32 s28, s28, 4
	v_lshrrev_b32_e32 v3, 28, v3
	s_add_i32 s30, s28, -1
	v_add_u32_e32 v3, v58, v3
	v_ashrrev_i32_e32 v3, 4, v3
	v_mov_b32_e32 v4, s30
	v_cmp_gt_i32_e32 vcc, s3, v58
	s_waitcnt lgkmcnt(0)
	s_mul_i32 s28, s2, s17
	s_mov_b32 s29, 0
	v_cndmask_b32_e32 v4, v4, v3, vcc
	v_ashrrev_i32_e32 v3, 31, v2
	v_lshrrev_b32_e32 v3, 28, v3
	v_add_u32_e32 v2, v2, v3
	s_lshl_b64 s[28:29], s[28:29], 2
	v_ashrrev_i32_e32 v10, 4, v2
	s_add_u32 s26, s26, s28
	v_min_i32_e32 v2, s30, v10
	s_addc_u32 s27, s27, s29
	v_ashrrev_i32_e32 v3, 31, v2
	v_lshl_add_u64 v[6:7], v[2:3], 2, s[26:27]
	v_add_u32_e32 v2, 1, v10
	v_min_i32_e32 v2, s30, v2
	v_ashrrev_i32_e32 v3, 31, v2
	v_lshl_add_u64 v[8:9], v[2:3], 2, s[26:27]
	v_add_u32_e32 v2, 2, v10
	v_min_i32_e32 v2, s30, v2
	v_ashrrev_i32_e32 v3, 31, v2
	v_lshl_add_u64 v[12:13], v[2:3], 2, s[26:27]
	v_add_u32_e32 v2, 3, v10
	v_ashrrev_i32_e32 v5, 31, v4
	v_min_i32_e32 v2, s30, v2
	v_lshl_add_u64 v[4:5], v[4:5], 2, s[26:27]
	v_ashrrev_i32_e32 v3, 31, v2
	v_lshl_add_u64 v[14:15], v[2:3], 2, s[26:27]
	global_load_dword v3, v[4:5], off
	global_load_dword v2, v[6:7], off
	;; [unrolled: 1-line block ×5, first 2 shown]
	s_load_dwordx2 s[28:29], s[0:1], 0x8
	s_andn2_b64 vcc, exec, s[10:11]
	s_cbranch_vccnz .LBB440_11
; %bb.9:
	s_add_u32 s8, s8, s24
	s_addc_u32 s9, s9, s25
	s_load_dword s5, s[8:9], 0x0
	s_branch .LBB440_12
.LBB440_10:
	s_mov_b64 s[12:13], 0
	s_branch .LBB440_2
.LBB440_11:
	s_mov_b32 s5, s2
.LBB440_12:
	s_load_dwordx2 s[24:25], s[0:1], 0x10
	s_load_dwordx4 s[8:11], s[0:1], 0x48
	v_cmp_eq_u32_e32 vcc, 0, v57
	s_mov_b32 s27, 0
	v_mov_b32_e32 v55, 0
	v_mov_b32_e32 v26, 0
	;; [unrolled: 1-line block ×5, first 2 shown]
	s_and_saveexec_b64 s[30:31], vcc
	s_cbranch_execz .LBB440_14
; %bb.13:
	s_load_dwordx2 s[34:35], s[0:1], 0x0
	s_waitcnt lgkmcnt(0)
	s_ashr_i32 s11, s8, 31
	s_mul_hi_u32 s17, s5, s8
	s_mul_i32 s11, s5, s11
	s_add_i32 s37, s17, s11
	s_mul_i32 s36, s5, s8
	s_lshl_b64 s[36:37], s[36:37], 1
	s_add_u32 s5, s34, s36
	s_addc_u32 s8, s35, s37
	s_lshl_b32 s26, s4, 6
	s_lshl_b64 s[34:35], s[26:27], 1
	s_add_u32 s34, s5, s34
	s_addc_u32 s35, s8, s35
	v_lshlrev_b32_e32 v4, 2, v56
	global_load_dwordx4 v[26:29], v4, s[34:35]
.LBB440_14:
	s_or_b64 exec, exec, s[30:31]
	s_waitcnt lgkmcnt(0)
	s_mul_i32 s26, s4, s10
	s_lshl_b64 s[10:11], s[26:27], 1
	s_add_u32 s28, s10, s28
	s_waitcnt vmcnt(4)
	v_mad_i64_i32 v[4:5], s[30:31], v3, s9, 0
	s_addc_u32 s29, s11, s29
	v_and_b32_e32 v3, 15, v0
	v_lshl_add_u64 v[4:5], v[4:5], 1, s[28:29]
	v_lshlrev_b32_e32 v54, 4, v3
	v_lshl_add_u64 v[4:5], v[4:5], 0, v[54:55]
	global_load_dwordx4 v[50:53], v[4:5], off
	global_load_dwordx4 v[46:49], v[4:5], off offset:256
	global_load_dwordx4 v[22:25], v[4:5], off offset:512
	global_load_dwordx4 v[18:21], v[4:5], off offset:768
	global_load_dwordx4 v[42:45], v[4:5], off offset:1024
	global_load_dwordx4 v[38:41], v[4:5], off offset:1280
	global_load_dwordx4 v[34:37], v[4:5], off offset:1536
	global_load_dwordx4 v[30:33], v[4:5], off offset:1792
	v_mov_b32_e32 v54, 0
	s_and_saveexec_b64 s[28:29], vcc
	s_cbranch_execz .LBB440_16
; %bb.15:
	s_load_dwordx2 s[30:31], s[0:1], 0x40
	s_mov_b32 s5, s27
	s_lshl_b64 s[26:27], s[4:5], 2
	v_mov_b32_e32 v55, 1.0
	s_waitcnt lgkmcnt(0)
	s_add_u32 s26, s30, s26
	s_addc_u32 s27, s31, s27
	s_load_dword s5, s[26:27], 0x0
	s_waitcnt lgkmcnt(0)
	v_mov_b32_e32 v54, s5
.LBB440_16:
	s_or_b64 exec, exec, s[28:29]
	s_waitcnt vmcnt(7)
	v_mfma_f32_4x4x4_16b_bf16 a[0:3], v[26:27], v[50:51], 0 cbsz:4
	s_add_u32 s10, s24, s10
	v_mul_hi_i32 v3, v2, s9
	v_mfma_f32_4x4x4_16b_bf16 a[0:3], v[28:29], v[52:53], a[0:3] cbsz:4
	s_addc_u32 s11, s25, s11
	v_lshlrev_b32_e32 v62, 5, v56
	s_waitcnt vmcnt(6)
	v_mfma_f32_4x4x4_16b_bf16 a[0:3], v[26:27], v[46:47], a[0:3] cbsz:4 abid:1
	v_mov_b32_e32 v63, 0
	v_ashrrev_i32_e32 v3, 31, v3
	v_mfma_f32_4x4x4_16b_bf16 a[0:3], v[28:29], v[48:49], a[0:3] cbsz:4 abid:1
	v_mul_hi_i32 v11, v10, s9
	v_lshl_add_u64 v[64:65], s[10:11], 0, v[62:63]
	s_waitcnt vmcnt(5)
	v_mfma_f32_4x4x4_16b_bf16 a[0:3], v[26:27], v[22:23], a[0:3] cbsz:4 abid:2
	v_lshrrev_b32_e32 v62, 29, v3
	v_ashrrev_i32_e32 v11, 31, v11
	v_mfma_f32_4x4x4_16b_bf16 a[0:3], v[28:29], v[24:25], a[0:3] cbsz:4 abid:2
	v_mul_hi_i32 v50, v60, s9
	v_mad_i64_i32 v[2:3], s[10:11], v2, s9, v[62:63]
	s_waitcnt vmcnt(4)
	v_mfma_f32_4x4x4_16b_bf16 a[0:3], v[26:27], v[18:19], a[0:3] cbsz:4 abid:3
	v_lshrrev_b32_e32 v62, 29, v11
	v_ashrrev_i32_e32 v50, 31, v50
	v_mfma_f32_4x4x4_16b_bf16 a[0:3], v[28:29], v[20:21], a[0:3] cbsz:4 abid:3
	v_mad_i64_i32 v[10:11], s[10:11], v10, s9, v[62:63]
	s_waitcnt vmcnt(3)
	v_mfma_f32_4x4x4_16b_bf16 a[0:3], v[26:27], v[42:43], a[0:3] cbsz:4 abid:4
	v_mul_hi_i32 v42, v59, s9
	v_lshrrev_b32_e32 v62, 29, v50
	v_mfma_f32_4x4x4_16b_bf16 a[0:3], v[28:29], v[44:45], a[0:3] cbsz:4 abid:4
	v_ashrrev_i32_e32 v42, 31, v42
	s_load_dword s0, s[0:1], 0x1c
	s_waitcnt vmcnt(2)
	v_mfma_f32_4x4x4_16b_bf16 a[0:3], v[26:27], v[38:39], a[0:3] cbsz:4 abid:5
	v_mad_i64_i32 v[46:47], s[10:11], v60, s9, v[62:63]
	s_nop 0
	v_mfma_f32_4x4x4_16b_bf16 a[0:3], v[28:29], v[40:41], a[0:3] cbsz:4 abid:5
	v_lshrrev_b32_e32 v62, 29, v42
	v_mad_i64_i32 v[38:39], s[8:9], v59, s9, v[62:63]
	s_waitcnt vmcnt(1)
	v_mfma_f32_4x4x4_16b_bf16 a[0:3], v[26:27], v[34:35], a[0:3] cbsz:4 abid:6
	v_lshlrev_b64 v[2:3], 1, v[2:3]
	v_lshlrev_b64 v[10:11], 1, v[10:11]
	v_mfma_f32_4x4x4_16b_bf16 a[0:3], v[28:29], v[36:37], a[0:3] cbsz:4 abid:6
	v_lshlrev_b64 v[22:23], 1, v[46:47]
	v_lshlrev_b64 v[34:35], 1, v[38:39]
	s_waitcnt vmcnt(0)
	v_mfma_f32_4x4x4_16b_bf16 a[0:3], v[26:27], v[30:31], a[0:3] cbsz:4 abid:7
	v_and_b32_e32 v2, -16, v2
	v_and_b32_e32 v10, -16, v10
	v_mfma_f32_4x4x4_16b_bf16 a[0:3], v[28:29], v[32:33], a[0:3] cbsz:4 abid:7
	v_and_b32_e32 v22, -16, v22
	v_and_b32_e32 v34, -16, v34
	v_lshl_add_u64 v[12:13], v[64:65], 0, v[2:3]
	v_lshl_add_u64 v[66:67], v[64:65], 0, v[10:11]
	;; [unrolled: 1-line block ×3, first 2 shown]
	v_accvgpr_read_b32 v27, a1
	v_lshl_add_u64 v[34:35], v[64:65], 0, v[34:35]
	v_accvgpr_read_b32 v26, a0
	global_load_dwordx4 v[2:5], v[12:13], off
	global_load_dwordx4 v[6:9], v[12:13], off offset:16
	s_nop 0
	global_load_dwordx4 v[10:13], v[66:67], off
	global_load_dwordx4 v[14:17], v[66:67], off offset:16
	global_load_dwordx4 v[18:21], v[46:47], off
	global_load_dwordx4 v[22:25], v[46:47], off offset:16
	s_waitcnt lgkmcnt(0)
	v_pk_mul_f32 v[36:37], s[0:1], v[26:27] op_sel_hi:[0,1]
	global_load_dwordx4 v[26:29], v[34:35], off
	global_load_dwordx4 v[30:33], v[34:35], off offset:16
	v_accvgpr_read_b32 v35, a3
	v_accvgpr_read_b32 v34, a2
	v_pk_mul_f32 v[34:35], s[0:1], v[34:35] op_sel_hi:[0,1]
	v_mfma_f32_4x4x1_16b_f32 a[0:3], v36, v55, 0
	v_cmp_eq_u32_e32 vcc, 1, v57
	v_mov_b32_e32 v41, 0xff7fffff
	s_nop 0
	v_cndmask_b32_e64 v36, 0, 1.0, vcc
	v_cmp_eq_u32_e32 vcc, 2, v57
	s_nop 0
	v_mfma_f32_4x4x1_16b_f32 a[0:3], v37, v36, a[0:3]
	v_cndmask_b32_e64 v36, 0, 1.0, vcc
	v_cmp_eq_u32_e32 vcc, 3, v57
	s_nop 0
	v_mfma_f32_4x4x1_16b_f32 a[0:3], v34, v36, a[0:3]
	v_cndmask_b32_e64 v34, 0, 1.0, vcc
	s_nop 1
	v_mfma_f32_4x4x1_16b_f32 a[0:3], v35, v34, a[0:3]
	v_and_b32_e32 v34, -4, v58
	v_subrev_u32_e32 v35, s3, v34
	v_add_u32_e32 v36, 1, v35
	v_cvt_f32_i32_e32 v36, v36
	v_add_u32_e32 v37, 2, v35
	v_cvt_f32_i32_e32 v37, v37
	v_accvgpr_read_b32 v38, a0
	v_fma_f32 v36, v54, v36, v38
	v_accvgpr_read_b32 v38, a1
	v_fma_f32 v37, v54, v37, v38
	v_add_u32_e32 v38, 3, v35
	v_cvt_f32_i32_e32 v38, v38
	v_add_u32_e32 v35, 4, v35
	v_max_f32_e32 v40, 0xff7fffff, v36
	v_cmp_gt_i32_e32 vcc, s3, v34
	v_cvt_f32_i32_e32 v35, v35
	v_accvgpr_read_b32 v39, a2
	v_cndmask_b32_e32 v40, v41, v40, vcc
	v_or_b32_e32 v41, 1, v34
	v_max_f32_e32 v42, v40, v37
	v_cmp_gt_i32_e64 s[0:1], s3, v41
	v_fma_f32 v38, v54, v38, v39
	v_or_b32_e32 v34, 2, v34
	v_cndmask_b32_e64 v40, v40, v42, s[0:1]
	v_accvgpr_read_b32 v39, a3
	v_max_f32_e32 v41, v40, v38
	v_cmp_gt_i32_e64 s[8:9], s3, v34
	v_fmac_f32_e32 v39, v54, v35
	v_lshlrev_b32_e32 v35, 2, v0
	v_cndmask_b32_e64 v34, v40, v41, s[8:9]
	v_or_b32_e32 v40, 3, v58
	v_max_f32_e32 v41, v34, v39
	v_cmp_gt_i32_e64 s[10:11], s3, v40
	v_and_or_b32 v35, v35, 48, v57
	s_nop 0
	v_cndmask_b32_e64 v34, v34, v41, s[10:11]
	;;#ASMSTART
	v_nop
 v_nop
 v_max_f32_dpp v34, v34, v34 row_ror:4
	;;#ASMEND
	v_lshlrev_b32_e32 v41, 2, v35
	;;#ASMSTART
	v_nop
 v_nop
 v_max_f32_dpp v34, v34, v34 row_ror:8
	;;#ASMEND
	ds_bpermute_b32 v34, v41, v34
	s_waitcnt lgkmcnt(0)
	;;#ASMSTART
	v_nop
 v_nop
 v_max_f32_dpp v34, v34, v34 row_ror:4
	;;#ASMEND
	s_nop 0
	;;#ASMSTART
	v_nop
 v_nop
 v_max_f32_dpp v40, v34, v34 row_ror:8
	;;#ASMEND
	s_nop 0
	v_sub_f32_e32 v34, v36, v40
	v_mul_f32_e32 v34, 0x3fb8aa3b, v34
	v_sub_f32_e32 v35, v37, v40
	v_exp_f32_e32 v34, v34
	v_mul_f32_e32 v35, 0x3fb8aa3b, v35
	v_sub_f32_e32 v37, v38, v40
	v_exp_f32_e32 v35, v35
	;; [unrolled: 3-line block ×3, first 2 shown]
	v_mul_f32_e32 v38, 0x3fb8aa3b, v38
	v_exp_f32_e32 v38, v38
	v_cndmask_b32_e32 v34, 0, v34, vcc
	v_add_f32_e32 v36, 0, v34
	v_cndmask_b32_e64 v35, 0, v35, s[0:1]
	v_add_f32_e32 v39, v36, v35
	v_cndmask_b32_e64 v36, 0, v37, s[8:9]
	;; [unrolled: 2-line block ×3, first 2 shown]
	v_add_f32_e32 v38, v39, v37
	;;#ASMSTART
	v_nop
 v_nop
 v_add_f32_dpp v38, v38, v38 row_ror:4
	;;#ASMEND
	v_cmp_gt_u32_e32 vcc, 4, v56
	;;#ASMSTART
	v_nop
 v_nop
 v_add_f32_dpp v38, v38, v38 row_ror:8
	;;#ASMEND
	ds_bpermute_b32 v38, v41, v38
	s_waitcnt lgkmcnt(0)
	;;#ASMSTART
	v_nop
 v_nop
 v_add_f32_dpp v38, v38, v38 row_ror:4
	;;#ASMEND
	s_nop 0
	;;#ASMSTART
	v_nop
 v_nop
 v_add_f32_dpp v38, v38, v38 row_ror:8
	;;#ASMEND
	s_and_saveexec_b64 s[0:1], vcc
	s_cbranch_execz .LBB440_18
; %bb.17:
	v_mul_u32_u24_e32 v39, 20, v1
	v_lshl_add_u32 v39, v57, 2, v39
	v_add_u32_e32 v39, 0x800, v39
	ds_write2_b32 v39, v40, v38 offset0:128 offset1:148
.LBB440_18:
	s_or_b64 exec, exec, s[0:1]
.LBB440_19:
	s_or_b64 exec, exec, s[22:23]
	s_waitcnt lgkmcnt(0)
	s_barrier
	s_load_dword s0, s[20:21], 0x8
	v_lshlrev_b32_e32 v38, 2, v57
	v_add_u32_e32 v46, 0x800, v38
	ds_read2_b32 v[38:39], v46 offset0:128 offset1:133
	ds_read2_b32 v[42:43], v46 offset0:138 offset1:143
	s_mul_i32 s1, s33, s2
	s_waitcnt lgkmcnt(0)
	s_mul_i32 s0, s1, s0
	s_mov_b32 s1, 0xff7fffff
	v_max3_f32 v41, v38, s1, v39
	v_max3_f32 v41, v41, v42, v43
	v_sub_f32_e32 v38, v38, v41
	ds_read2_b32 v[44:45], v46 offset0:148 offset1:153
	v_mul_f32_e32 v38, 0x3fb8aa3b, v38
	v_sub_f32_e32 v39, v39, v41
	v_sub_f32_e32 v42, v42, v41
	v_exp_f32_e32 v48, v38
	v_mul_f32_e32 v39, 0x3fb8aa3b, v39
	v_mul_f32_e32 v42, 0x3fb8aa3b, v42
	v_exp_f32_e32 v39, v39
	ds_read2_b32 v[46:47], v46 offset0:158 offset1:163
	v_exp_f32_e32 v49, v42
	v_sub_f32_e32 v42, v43, v41
	v_mul_f32_e32 v42, 0x3fb8aa3b, v42
	v_exp_f32_e32 v43, v42
	s_waitcnt lgkmcnt(1)
	v_fma_f32 v42, v48, v44, 0
	v_fmac_f32_e32 v42, v39, v45
	s_waitcnt lgkmcnt(0)
	v_fmac_f32_e32 v42, v49, v46
	v_mov_b32_e32 v38, 0
	v_fmac_f32_e32 v42, v43, v47
	s_mov_b32 s1, 0
	v_cmp_eq_u32_e32 vcc, 0, v57
	s_and_saveexec_b64 s[2:3], vcc
	s_cbranch_execz .LBB440_21
; %bb.20:
	s_lshl_b64 s[8:9], s[0:1], 2
	s_add_u32 s5, s12, s8
	s_mov_b32 s17, s1
	s_addc_u32 s12, s13, s9
	s_lshl_b64 s[10:11], s[16:17], 2
	s_add_u32 s5, s5, s10
	s_addc_u32 s12, s12, s11
	s_add_u32 s8, s14, s8
	s_addc_u32 s9, s15, s9
	s_add_u32 s13, s8, s10
	s_addc_u32 s14, s9, s11
	s_mul_i32 s8, s33, s4
	s_mov_b32 s9, s1
	s_lshl_b64 s[8:9], s[8:9], 2
	s_add_u32 s10, s5, s8
	s_addc_u32 s11, s12, s9
	s_add_u32 s8, s13, s8
	s_addc_u32 s9, s14, s9
	global_store_dword v38, v41, s[8:9]
	global_store_dword v38, v42, s[10:11]
.LBB440_21:
	s_or_b64 exec, exec, s[2:3]
	v_mov_b32_e32 v39, 0
	s_and_saveexec_b64 s[2:3], s[6:7]
	s_cbranch_execz .LBB440_23
; %bb.22:
	v_add_f32_e32 v38, 0x358637bd, v42
	v_div_scale_f32 v39, s[6:7], v38, v38, 1.0
	v_rcp_f32_e32 v42, v39
	v_div_scale_f32 v43, vcc, 1.0, v38, 1.0
	v_sub_f32_e32 v40, v40, v41
	v_fma_f32 v44, -v39, v42, 1.0
	v_fmac_f32_e32 v42, v44, v42
	v_mul_f32_e32 v44, v43, v42
	v_fma_f32 v45, -v39, v44, v43
	v_mul_f32_e32 v40, 0x3fb8aa3b, v40
	v_fmac_f32_e32 v44, v45, v42
	v_exp_f32_e32 v40, v40
	v_fma_f32 v39, -v39, v44, v43
	v_div_fmas_f32 v39, v39, v42, v44
	v_div_fixup_f32 v38, v39, v38, 1.0
	v_mul_f32_e32 v38, v40, v38
	v_pk_mul_f32 v[34:35], v[34:35], v[38:39] op_sel_hi:[1,0]
	v_pk_mul_f32 v[36:37], v[36:37], v[38:39] op_sel_hi:[1,0]
	v_bfe_u32 v38, v35, 16, 1
	v_bfe_u32 v39, v34, 16, 1
	s_movk_i32 s1, 0x7fff
	v_add3_u32 v34, v34, v39, s1
	v_add3_u32 v35, v35, v38, s1
	s_mov_b32 s5, 0x7060302
	v_perm_b32 v34, v35, v34, s5
	v_bfe_u32 v35, v37, 16, 1
	v_bfe_u32 v38, v36, 16, 1
	v_add3_u32 v36, v36, v38, s1
	v_add3_u32 v35, v37, v35, s1
	v_perm_b32 v35, v35, v36, s5
	s_waitcnt vmcnt(7)
	s_nop 0
	v_mfma_f32_4x4x4_16b_bf16 a[0:3], v[34:35], v[2:3], 0 cbsz:4
	s_nop 1
	v_mfma_f32_4x4x4_16b_bf16 a[0:3], v[34:35], v[4:5], a[0:3] cbsz:4 abid:1
	s_waitcnt vmcnt(6)
	s_nop 0
	v_mfma_f32_4x4x4_16b_bf16 a[0:3], v[34:35], v[6:7], a[0:3] cbsz:4 abid:2
	s_nop 1
	v_mfma_f32_4x4x4_16b_bf16 a[0:3], v[34:35], v[8:9], a[0:3] cbsz:4 abid:3
	s_waitcnt vmcnt(5)
	s_nop 0
	v_mfma_f32_4x4x4_16b_bf16 a[0:3], v[34:35], v[10:11], a[0:3] cbsz:4 abid:4
	;; [unrolled: 5-line block ×7, first 2 shown]
	s_nop 1
	v_mfma_f32_4x4x4_16b_bf16 a[0:3], v[34:35], v[32:33], a[0:3] cbsz:4 abid:15
	s_nop 4
	v_accvgpr_read_b32 v5, a1
	v_accvgpr_read_b32 v2, a2
	;; [unrolled: 1-line block ×4, first 2 shown]
	v_bfe_u32 v6, v5, 16, 1
	v_bfe_u32 v7, v4, 16, 1
	;; [unrolled: 1-line block ×3, first 2 shown]
	v_add3_u32 v5, v5, v6, s1
	v_bfe_u32 v6, v2, 16, 1
	v_add3_u32 v4, v4, v7, s1
	v_add3_u32 v2, v2, v6, s1
	;; [unrolled: 1-line block ×3, first 2 shown]
	v_perm_b32 v39, v3, v2, s5
	v_perm_b32 v38, v5, v4, s5
.LBB440_23:
	s_or_b64 exec, exec, s[2:3]
	v_lshlrev_b32_e32 v1, 3, v1
	v_mad_u32_u24 v1, v56, 40, v1
	v_cmp_gt_u32_e32 vcc, 64, v0
	ds_write_b64 v1, v[38:39]
	s_waitcnt lgkmcnt(0)
	s_barrier
	s_and_saveexec_b64 s[2:3], vcc
	s_cbranch_execz .LBB440_25
; %bb.24:
	s_waitcnt vmcnt(6)
	v_mul_u32_u24_e32 v6, 40, v56
	ds_read2_b64 v[2:5], v6 offset1:1
	ds_read2_b64 v[6:9], v6 offset0:2 offset1:3
	s_lshl_b32 s0, s0, 6
	s_mov_b32 s1, 0
	s_lshl_b64 s[2:3], s[0:1], 1
	s_waitcnt lgkmcnt(1)
	v_lshlrev_b32_e32 v2, 16, v2
	v_add_f32_e32 v2, 0, v2
	s_add_u32 s2, s18, s2
	v_and_b32_e32 v2, 0xffff0000, v2
	v_lshlrev_b32_e32 v3, 16, v4
	s_addc_u32 s3, s19, s3
	s_lshl_b32 s0, s16, 6
	v_add_f32_e32 v2, v2, v3
	s_lshl_b64 s[0:1], s[0:1], 1
	v_and_b32_e32 v2, 0xffff0000, v2
	s_waitcnt lgkmcnt(0)
	v_lshlrev_b32_e32 v3, 16, v6
	s_add_u32 s0, s2, s0
	s_mul_i32 s2, s4, s33
	v_add_f32_e32 v2, v2, v3
	s_addc_u32 s1, s3, s1
	v_lshl_or_b32 v0, s2, 6, v0
	v_mov_b32_e32 v1, 0
	v_and_b32_e32 v2, 0xffff0000, v2
	v_lshlrev_b32_e32 v3, 16, v8
	v_lshl_add_u64 v[0:1], v[0:1], 1, s[0:1]
	v_add_f32_e32 v2, v2, v3
	global_store_short_d16_hi v[0:1], v2, off
.LBB440_25:
	s_endpgm
	.section	.rodata,"a",@progbits
	.p2align	6, 0x0
	.amdhsa_kernel _Z38paged_attention_ll4mi_QKV_mfma4_kernelI14__hip_bfloat16S0_LN4vllm18Fp8KVCacheDataTypeE0ES0_Li16ELi64ELi256ELb1ELi1EEvPKT_PKT0_S8_ifPKiSA_SA_iPKfiiiPfSD_PS3_PT2_iSC_SC_
		.amdhsa_group_segment_fixed_size 2720
		.amdhsa_private_segment_fixed_size 0
		.amdhsa_kernarg_size 400
		.amdhsa_user_sgpr_count 2
		.amdhsa_user_sgpr_dispatch_ptr 0
		.amdhsa_user_sgpr_queue_ptr 0
		.amdhsa_user_sgpr_kernarg_segment_ptr 1
		.amdhsa_user_sgpr_dispatch_id 0
		.amdhsa_user_sgpr_kernarg_preload_length 0
		.amdhsa_user_sgpr_kernarg_preload_offset 0
		.amdhsa_user_sgpr_private_segment_size 0
		.amdhsa_uses_dynamic_stack 0
		.amdhsa_enable_private_segment 0
		.amdhsa_system_sgpr_workgroup_id_x 1
		.amdhsa_system_sgpr_workgroup_id_y 1
		.amdhsa_system_sgpr_workgroup_id_z 1
		.amdhsa_system_sgpr_workgroup_info 0
		.amdhsa_system_vgpr_workitem_id 0
		.amdhsa_next_free_vgpr 72
		.amdhsa_next_free_sgpr 38
		.amdhsa_accum_offset 68
		.amdhsa_reserve_vcc 1
		.amdhsa_float_round_mode_32 0
		.amdhsa_float_round_mode_16_64 0
		.amdhsa_float_denorm_mode_32 3
		.amdhsa_float_denorm_mode_16_64 3
		.amdhsa_dx10_clamp 1
		.amdhsa_ieee_mode 1
		.amdhsa_fp16_overflow 0
		.amdhsa_tg_split 0
		.amdhsa_exception_fp_ieee_invalid_op 0
		.amdhsa_exception_fp_denorm_src 0
		.amdhsa_exception_fp_ieee_div_zero 0
		.amdhsa_exception_fp_ieee_overflow 0
		.amdhsa_exception_fp_ieee_underflow 0
		.amdhsa_exception_fp_ieee_inexact 0
		.amdhsa_exception_int_div_zero 0
	.end_amdhsa_kernel
	.section	.text._Z38paged_attention_ll4mi_QKV_mfma4_kernelI14__hip_bfloat16S0_LN4vllm18Fp8KVCacheDataTypeE0ES0_Li16ELi64ELi256ELb1ELi1EEvPKT_PKT0_S8_ifPKiSA_SA_iPKfiiiPfSD_PS3_PT2_iSC_SC_,"axG",@progbits,_Z38paged_attention_ll4mi_QKV_mfma4_kernelI14__hip_bfloat16S0_LN4vllm18Fp8KVCacheDataTypeE0ES0_Li16ELi64ELi256ELb1ELi1EEvPKT_PKT0_S8_ifPKiSA_SA_iPKfiiiPfSD_PS3_PT2_iSC_SC_,comdat
.Lfunc_end440:
	.size	_Z38paged_attention_ll4mi_QKV_mfma4_kernelI14__hip_bfloat16S0_LN4vllm18Fp8KVCacheDataTypeE0ES0_Li16ELi64ELi256ELb1ELi1EEvPKT_PKT0_S8_ifPKiSA_SA_iPKfiiiPfSD_PS3_PT2_iSC_SC_, .Lfunc_end440-_Z38paged_attention_ll4mi_QKV_mfma4_kernelI14__hip_bfloat16S0_LN4vllm18Fp8KVCacheDataTypeE0ES0_Li16ELi64ELi256ELb1ELi1EEvPKT_PKT0_S8_ifPKiSA_SA_iPKfiiiPfSD_PS3_PT2_iSC_SC_
                                        ; -- End function
	.section	.AMDGPU.csdata,"",@progbits
; Kernel info:
; codeLenInByte = 3264
; NumSgprs: 44
; NumVgprs: 68
; NumAgprs: 4
; TotalNumVgprs: 72
; ScratchSize: 0
; MemoryBound: 0
; FloatMode: 240
; IeeeMode: 1
; LDSByteSize: 2720 bytes/workgroup (compile time only)
; SGPRBlocks: 5
; VGPRBlocks: 8
; NumSGPRsForWavesPerEU: 44
; NumVGPRsForWavesPerEU: 72
; AccumOffset: 68
; Occupancy: 7
; WaveLimiterHint : 1
; COMPUTE_PGM_RSRC2:SCRATCH_EN: 0
; COMPUTE_PGM_RSRC2:USER_SGPR: 2
; COMPUTE_PGM_RSRC2:TRAP_HANDLER: 0
; COMPUTE_PGM_RSRC2:TGID_X_EN: 1
; COMPUTE_PGM_RSRC2:TGID_Y_EN: 1
; COMPUTE_PGM_RSRC2:TGID_Z_EN: 1
; COMPUTE_PGM_RSRC2:TIDIG_COMP_CNT: 0
; COMPUTE_PGM_RSRC3_GFX90A:ACCUM_OFFSET: 16
; COMPUTE_PGM_RSRC3_GFX90A:TG_SPLIT: 0
	.section	.text._Z38paged_attention_ll4mi_QKV_mfma4_kernelI14__hip_bfloat16S0_LN4vllm18Fp8KVCacheDataTypeE0ES0_Li16ELi64ELi256ELb1ELi2EEvPKT_PKT0_S8_ifPKiSA_SA_iPKfiiiPfSD_PS3_PT2_iSC_SC_,"axG",@progbits,_Z38paged_attention_ll4mi_QKV_mfma4_kernelI14__hip_bfloat16S0_LN4vllm18Fp8KVCacheDataTypeE0ES0_Li16ELi64ELi256ELb1ELi2EEvPKT_PKT0_S8_ifPKiSA_SA_iPKfiiiPfSD_PS3_PT2_iSC_SC_,comdat
	.protected	_Z38paged_attention_ll4mi_QKV_mfma4_kernelI14__hip_bfloat16S0_LN4vllm18Fp8KVCacheDataTypeE0ES0_Li16ELi64ELi256ELb1ELi2EEvPKT_PKT0_S8_ifPKiSA_SA_iPKfiiiPfSD_PS3_PT2_iSC_SC_ ; -- Begin function _Z38paged_attention_ll4mi_QKV_mfma4_kernelI14__hip_bfloat16S0_LN4vllm18Fp8KVCacheDataTypeE0ES0_Li16ELi64ELi256ELb1ELi2EEvPKT_PKT0_S8_ifPKiSA_SA_iPKfiiiPfSD_PS3_PT2_iSC_SC_
	.globl	_Z38paged_attention_ll4mi_QKV_mfma4_kernelI14__hip_bfloat16S0_LN4vllm18Fp8KVCacheDataTypeE0ES0_Li16ELi64ELi256ELb1ELi2EEvPKT_PKT0_S8_ifPKiSA_SA_iPKfiiiPfSD_PS3_PT2_iSC_SC_
	.p2align	8
	.type	_Z38paged_attention_ll4mi_QKV_mfma4_kernelI14__hip_bfloat16S0_LN4vllm18Fp8KVCacheDataTypeE0ES0_Li16ELi64ELi256ELb1ELi2EEvPKT_PKT0_S8_ifPKiSA_SA_iPKfiiiPfSD_PS3_PT2_iSC_SC_,@function
_Z38paged_attention_ll4mi_QKV_mfma4_kernelI14__hip_bfloat16S0_LN4vllm18Fp8KVCacheDataTypeE0ES0_Li16ELi64ELi256ELb1ELi2EEvPKT_PKT0_S8_ifPKiSA_SA_iPKfiiiPfSD_PS3_PT2_iSC_SC_: ; @_Z38paged_attention_ll4mi_QKV_mfma4_kernelI14__hip_bfloat16S0_LN4vllm18Fp8KVCacheDataTypeE0ES0_Li16ELi64ELi256ELb1ELi2EEvPKT_PKT0_S8_ifPKiSA_SA_iPKfiiiPfSD_PS3_PT2_iSC_SC_
; %bb.0:
	s_load_dwordx2 s[8:9], s[0:1], 0x30
	s_mov_b32 s16, s3
	s_mov_b64 s[6:7], 0
	s_waitcnt lgkmcnt(0)
	s_cmp_lg_u64 s[8:9], 0
	s_cselect_b64 s[10:11], -1, 0
	s_and_b64 vcc, exec, s[10:11]
	s_cbranch_vccz .LBB441_10
; %bb.1:
	s_add_i32 s12, s2, 1
	s_mov_b32 s13, 0
	s_lshl_b64 s[14:15], s[12:13], 2
	s_add_u32 s14, s8, s14
	s_mov_b32 s3, s13
	s_addc_u32 s15, s9, s15
	s_lshl_b64 s[12:13], s[2:3], 2
	s_add_u32 s12, s8, s12
	s_addc_u32 s13, s9, s13
	s_load_dword s5, s[14:15], 0x0
	s_load_dword s17, s[12:13], 0x0
	s_waitcnt lgkmcnt(0)
	s_sub_i32 s5, s5, s17
	s_cmp_eq_u32 s5, 1
	s_cselect_b64 s[12:13], -1, 0
	s_andn2_b64 vcc, exec, s[6:7]
	s_cbranch_vccnz .LBB441_3
.LBB441_2:
	s_mov_b32 s3, 0
	s_mov_b64 s[12:13], -1
.LBB441_3:
	s_andn2_b64 vcc, exec, s[12:13]
	s_cbranch_vccnz .LBB441_25
; %bb.4:
	s_load_dword s5, s[0:1], 0x9c
	s_load_dwordx2 s[6:7], s[0:1], 0x28
	s_add_u32 s20, s0, 0x90
	s_addc_u32 s21, s1, 0
	s_lshl_b64 s[24:25], s[2:3], 2
	s_waitcnt lgkmcnt(0)
	s_and_b32 s5, s5, 0xffff
	s_add_u32 s6, s6, s24
	s_addc_u32 s7, s7, s25
	s_load_dword s3, s[6:7], 0x0
	s_mul_i32 s5, s16, s5
	s_waitcnt lgkmcnt(0)
	s_cmp_ge_i32 s5, s3
	s_cbranch_scc1 .LBB441_25
; %bb.5:
	v_and_b32_e32 v2, 0xc0, v0
	v_add_u32_e32 v2, s5, v2
	v_lshrrev_b32_e32 v1, 6, v0
	v_cmp_gt_i32_e64 s[6:7], s3, v2
	v_cmp_le_i32_e32 vcc, s3, v2
                                        ; implicit-def: $sgpr26
                                        ; implicit-def: $sgpr17
	s_and_saveexec_b64 s[12:13], vcc
	s_xor_b64 s[12:13], exec, s[12:13]
	s_cbranch_execz .LBB441_7
; %bb.6:
	v_mul_u32_u24_e32 v2, 20, v1
	v_or_b32_e32 v2, 0xa00, v2
	v_mov_b32_e32 v3, 0xa50
	v_mov_b32_e32 v4, 0xff7fffff
	v_mad_u32_u24 v3, v1, 20, v3
	ds_write2_b32 v2, v4, v4 offset1:1
	v_mov_b32_e32 v2, 0
	ds_write2_b32 v3, v2, v2 offset1:1
	v_mov_b32_e32 v3, 0xa08
	s_mov_b32 s17, 0xff7fffff
	s_mov_b32 s26, 0
	v_mad_u32_u24 v3, v1, 20, v3
	v_mov_b32_e32 v5, 0xa58
	v_mad_u32_u24 v5, v1, 20, v5
	ds_write2_b32 v3, v4, v4 offset1:1
	ds_write2_b32 v5, v2, v2 offset1:1
                                        ; implicit-def: $vgpr2
.LBB441_7:
	s_or_saveexec_b64 s[22:23], s[12:13]
	s_load_dwordx2 s[18:19], s[0:1], 0x68
	s_load_dwordx4 s[12:15], s[0:1], 0x58
	s_load_dword s34, s[20:21], 0x4
	v_and_b32_e32 v56, 63, v0
	v_and_b32_e32 v57, 3, v0
	s_lshl_b32 s33, s4, 1
	v_mov_b32_e32 v37, s26
	v_mov_b32_e32 v40, s17
	;; [unrolled: 1-line block ×5, first 2 shown]
                                        ; implicit-def: $vgpr3
                                        ; implicit-def: $vgpr7
                                        ; implicit-def: $vgpr11
                                        ; implicit-def: $vgpr15
                                        ; implicit-def: $vgpr19
                                        ; implicit-def: $vgpr23
                                        ; implicit-def: $vgpr27
                                        ; implicit-def: $vgpr31
	s_xor_b64 exec, exec, s[22:23]
	s_cbranch_execz .LBB441_19
; %bb.8:
	s_add_i32 s28, s3, 15
	s_load_dwordx2 s[26:27], s[0:1], 0x20
	s_load_dword s17, s[0:1], 0x38
	s_ashr_i32 s29, s28, 31
	s_lshr_b32 s29, s29, 28
	v_add_u32_e32 v58, s5, v0
	s_add_i32 s28, s28, s29
	v_ashrrev_i32_e32 v3, 31, v58
	s_ashr_i32 s28, s28, 4
	v_lshrrev_b32_e32 v3, 28, v3
	s_add_i32 s30, s28, -1
	v_add_u32_e32 v3, v58, v3
	s_waitcnt lgkmcnt(0)
	s_mul_i32 s28, s2, s17
	s_mov_b32 s29, 0
	v_ashrrev_i32_e32 v3, 4, v3
	v_mov_b32_e32 v4, s30
	v_cmp_gt_i32_e32 vcc, s3, v58
	s_lshl_b64 s[28:29], s[28:29], 2
	s_add_u32 s26, s26, s28
	v_cndmask_b32_e32 v4, v4, v3, vcc
	v_ashrrev_i32_e32 v3, 31, v2
	v_lshrrev_b32_e32 v3, 28, v3
	s_addc_u32 s27, s27, s29
	v_ashrrev_i32_e32 v5, 31, v4
	v_add_u32_e32 v2, v2, v3
	v_lshl_add_u64 v[6:7], v[4:5], 2, s[26:27]
	v_ashrrev_i32_e32 v4, 4, v2
	v_min_i32_e32 v2, s30, v4
	v_ashrrev_i32_e32 v3, 31, v2
	v_lshl_add_u64 v[8:9], v[2:3], 2, s[26:27]
	v_add_u32_e32 v2, 1, v4
	v_min_i32_e32 v2, s30, v2
	v_ashrrev_i32_e32 v3, 31, v2
	v_lshl_add_u64 v[12:13], v[2:3], 2, s[26:27]
	v_add_u32_e32 v2, 2, v4
	;; [unrolled: 4-line block ×3, first 2 shown]
	v_min_i32_e32 v2, s30, v2
	v_ashrrev_i32_e32 v3, 31, v2
	v_lshl_add_u64 v[16:17], v[2:3], 2, s[26:27]
	global_load_dword v2, v[6:7], off
	global_load_dword v4, v[8:9], off
	;; [unrolled: 1-line block ×5, first 2 shown]
	s_load_dwordx2 s[26:27], s[0:1], 0x8
	s_andn2_b64 vcc, exec, s[10:11]
	s_cbranch_vccnz .LBB441_11
; %bb.9:
	s_add_u32 s8, s8, s24
	s_addc_u32 s9, s9, s25
	s_load_dword s5, s[8:9], 0x0
	s_branch .LBB441_12
.LBB441_10:
	s_mov_b64 s[12:13], 0
	s_branch .LBB441_2
.LBB441_11:
	s_mov_b32 s5, s2
.LBB441_12:
	s_load_dwordx2 s[24:25], s[0:1], 0x10
	s_load_dwordx4 s[8:11], s[0:1], 0x48
	v_cmp_gt_u32_e32 vcc, 2, v57
	s_mov_b32 s29, 0
	v_mov_b32_e32 v3, 0
	v_mov_b32_e32 v32, 0
	;; [unrolled: 1-line block ×5, first 2 shown]
	s_and_saveexec_b64 s[30:31], vcc
	s_cbranch_execz .LBB441_14
; %bb.13:
	s_load_dwordx2 s[36:37], s[0:1], 0x0
	s_waitcnt lgkmcnt(0)
	s_ashr_i32 s11, s8, 31
	s_mul_hi_u32 s17, s5, s8
	s_mul_i32 s11, s5, s11
	s_add_i32 s39, s17, s11
	s_mul_i32 s38, s5, s8
	s_lshl_b64 s[38:39], s[38:39], 1
	s_add_u32 s5, s36, s38
	s_addc_u32 s8, s37, s39
	s_lshl_b32 s28, s4, 7
	s_lshl_b64 s[36:37], s[28:29], 1
	s_add_u32 s36, s5, s36
	v_lshlrev_b32_e32 v5, 3, v57
	v_lshrrev_b32_e32 v6, 2, v56
	s_addc_u32 s37, s8, s37
	v_add_lshl_u32 v5, v5, v6, 4
	global_load_dwordx4 v[32:35], v5, s[36:37]
.LBB441_14:
	s_or_b64 exec, exec, s[30:31]
	s_waitcnt lgkmcnt(0)
	s_mul_i32 s28, s4, s10
	s_lshl_b64 s[4:5], s[28:29], 1
	s_add_u32 s10, s4, s26
	s_waitcnt vmcnt(4)
	v_mad_i64_i32 v[6:7], s[30:31], v2, s9, 0
	s_addc_u32 s11, s5, s27
	v_and_b32_e32 v2, 15, v0
	v_lshl_add_u64 v[6:7], v[6:7], 1, s[10:11]
	v_lshlrev_b32_e32 v2, 4, v2
	v_lshl_add_u64 v[6:7], v[6:7], 0, v[2:3]
	global_load_dwordx4 v[52:55], v[6:7], off
	global_load_dwordx4 v[22:25], v[6:7], off offset:256
	global_load_dwordx4 v[18:21], v[6:7], off offset:512
	;; [unrolled: 1-line block ×7, first 2 shown]
	v_mov_b32_e32 v59, 0
	s_and_saveexec_b64 s[10:11], vcc
	s_cbranch_execz .LBB441_16
; %bb.15:
	s_load_dwordx2 s[26:27], s[0:1], 0x40
	v_or_b32_e32 v6, s33, v57
	v_mov_b32_e32 v7, 0
	s_waitcnt lgkmcnt(0)
	v_lshl_add_u64 v[6:7], v[6:7], 2, s[26:27]
	global_load_dword v59, v[6:7], off
.LBB441_16:
	s_or_b64 exec, exec, s[10:11]
	s_waitcnt vmcnt(7)
	v_mfma_f32_4x4x4_16b_bf16 a[0:3], v[32:33], v[52:53], 0 cbsz:4
	s_add_u32 s4, s24, s4
	s_addc_u32 s5, s25, s5
	v_mfma_f32_4x4x4_16b_bf16 a[0:3], v[34:35], v[54:55], a[0:3] cbsz:4
	v_lshlrev_b32_e32 v2, 5, v56
	v_lshl_add_u64 v[60:61], s[4:5], 0, v[2:3]
	s_waitcnt vmcnt(6)
	v_mfma_f32_4x4x4_16b_bf16 a[0:3], v[32:33], v[22:23], a[0:3] cbsz:4 abid:1
	v_mul_hi_i32 v2, v4, s9
	v_ashrrev_i32_e32 v2, 31, v2
	v_mfma_f32_4x4x4_16b_bf16 a[0:3], v[34:35], v[24:25], a[0:3] cbsz:4 abid:1
	v_mul_hi_i32 v11, v10, s9
	v_lshrrev_b32_e32 v62, 29, v2
	s_waitcnt vmcnt(5)
	v_mfma_f32_4x4x4_16b_bf16 a[0:3], v[32:33], v[18:19], a[0:3] cbsz:4 abid:2
	v_mov_b32_e32 v63, 0
	v_ashrrev_i32_e32 v11, 31, v11
	v_mfma_f32_4x4x4_16b_bf16 a[0:3], v[34:35], v[20:21], a[0:3] cbsz:4 abid:2
	v_mad_i64_i32 v[2:3], s[4:5], v4, s9, v[62:63]
	s_waitcnt vmcnt(4)
	v_mfma_f32_4x4x4_16b_bf16 a[0:3], v[32:33], v[48:49], a[0:3] cbsz:4 abid:3
	v_lshrrev_b32_e32 v62, 29, v11
	v_mad_i64_i32 v[10:11], s[4:5], v10, s9, v[62:63]
	v_mfma_f32_4x4x4_16b_bf16 a[0:3], v[34:35], v[50:51], a[0:3] cbsz:4 abid:3
	v_mul_hi_i32 v62, v31, s9
	v_ashrrev_i32_e32 v52, 31, v62
	s_waitcnt vmcnt(3)
	v_mfma_f32_4x4x4_16b_bf16 a[0:3], v[32:33], v[44:45], a[0:3] cbsz:4 abid:4
	v_lshrrev_b32_e32 v62, 29, v52
	v_mad_i64_i32 v[22:23], s[4:5], v31, s9, v[62:63]
	v_mfma_f32_4x4x4_16b_bf16 a[0:3], v[34:35], v[46:47], a[0:3] cbsz:4 abid:4
	v_mul_hi_i32 v31, v30, s9
	v_ashrrev_i32_e32 v31, 31, v31
	s_waitcnt vmcnt(2)
	v_mfma_f32_4x4x4_16b_bf16 a[0:3], v[32:33], v[40:41], a[0:3] cbsz:4 abid:5
	v_lshrrev_b32_e32 v62, 29, v31
	v_mad_i64_i32 v[30:31], s[4:5], v30, s9, v[62:63]
	v_mfma_f32_4x4x4_16b_bf16 a[0:3], v[34:35], v[42:43], a[0:3] cbsz:4 abid:5
	v_lshlrev_b64 v[2:3], 1, v[2:3]
	v_lshlrev_b64 v[10:11], 1, v[10:11]
	s_waitcnt vmcnt(1)
	v_mfma_f32_4x4x4_16b_bf16 a[0:3], v[32:33], v[26:27], a[0:3] cbsz:4 abid:6
	v_lshlrev_b64 v[22:23], 1, v[22:23]
	v_lshlrev_b64 v[30:31], 1, v[30:31]
	v_and_b32_e32 v2, -16, v2
	v_and_b32_e32 v10, -16, v10
	;; [unrolled: 1-line block ×4, first 2 shown]
	v_mfma_f32_4x4x4_16b_bf16 a[0:3], v[34:35], v[28:29], a[0:3] cbsz:4 abid:6
	v_lshl_add_u64 v[12:13], v[60:61], 0, v[2:3]
	v_lshl_add_u64 v[64:65], v[60:61], 0, v[10:11]
	v_lshl_add_u64 v[52:53], v[60:61], 0, v[22:23]
	v_lshl_add_u64 v[40:41], v[60:61], 0, v[30:31]
	global_load_dwordx4 v[2:5], v[12:13], off
	global_load_dwordx4 v[6:9], v[12:13], off offset:16
	s_nop 0
	global_load_dwordx4 v[10:13], v[64:65], off
	global_load_dwordx4 v[14:17], v[64:65], off offset:16
	global_load_dwordx4 v[18:21], v[52:53], off
	global_load_dwordx4 v[22:25], v[52:53], off offset:16
	s_waitcnt vmcnt(6)
	v_mfma_f32_4x4x4_16b_bf16 a[0:3], v[32:33], v[36:37], a[0:3] cbsz:4 abid:7
	global_load_dwordx4 v[26:29], v[40:41], off
	global_load_dwordx4 v[30:33], v[40:41], off offset:16
	s_load_dword s0, s[0:1], 0x1c
	v_mfma_f32_4x4x4_16b_bf16 a[0:3], v[34:35], v[38:39], a[0:3] cbsz:4 abid:7
	v_cmp_eq_u32_e32 vcc, 0, v57
	v_mov_b32_e32 v41, 0xff7fffff
	s_nop 0
	v_cndmask_b32_e64 v38, 0, 1.0, vcc
	v_cmp_eq_u32_e32 vcc, 1, v57
	v_accvgpr_read_b32 v37, a1
	v_accvgpr_read_b32 v36, a0
	s_waitcnt lgkmcnt(0)
	v_pk_mul_f32 v[36:37], s[0:1], v[36:37] op_sel_hi:[0,1]
	v_accvgpr_read_b32 v35, a3
	v_accvgpr_read_b32 v34, a2
	v_pk_mul_f32 v[34:35], s[0:1], v[34:35] op_sel_hi:[0,1]
	v_mfma_f32_4x4x1_16b_f32 a[0:3], v36, v38, 0
	v_cndmask_b32_e64 v36, 0, 1.0, vcc
	v_cmp_eq_u32_e32 vcc, 2, v57
	s_nop 0
	v_mfma_f32_4x4x1_16b_f32 a[0:3], v37, v36, a[0:3]
	v_cndmask_b32_e64 v36, 0, 1.0, vcc
	v_cmp_eq_u32_e32 vcc, 3, v57
	s_nop 0
	v_mfma_f32_4x4x1_16b_f32 a[0:3], v34, v36, a[0:3]
	v_cndmask_b32_e64 v34, 0, 1.0, vcc
	s_nop 1
	v_mfma_f32_4x4x1_16b_f32 a[0:3], v35, v34, a[0:3]
	v_and_b32_e32 v34, -4, v58
	v_subrev_u32_e32 v35, s3, v34
	v_add_u32_e32 v36, 1, v35
	v_cvt_f32_i32_e32 v36, v36
	v_add_u32_e32 v37, 2, v35
	v_cvt_f32_i32_e32 v37, v37
	v_accvgpr_read_b32 v38, a0
	v_fma_f32 v36, v59, v36, v38
	v_accvgpr_read_b32 v38, a1
	v_fma_f32 v37, v59, v37, v38
	v_add_u32_e32 v38, 3, v35
	v_cvt_f32_i32_e32 v38, v38
	v_add_u32_e32 v35, 4, v35
	v_max_f32_e32 v40, 0xff7fffff, v36
	v_cmp_gt_i32_e32 vcc, s3, v34
	v_cvt_f32_i32_e32 v35, v35
	v_accvgpr_read_b32 v39, a2
	v_cndmask_b32_e32 v40, v41, v40, vcc
	v_or_b32_e32 v41, 1, v34
	v_max_f32_e32 v42, v40, v37
	v_cmp_gt_i32_e64 s[0:1], s3, v41
	v_fma_f32 v38, v59, v38, v39
	v_or_b32_e32 v34, 2, v34
	v_cndmask_b32_e64 v40, v40, v42, s[0:1]
	v_accvgpr_read_b32 v39, a3
	v_max_f32_e32 v41, v40, v38
	v_cmp_gt_i32_e64 s[4:5], s3, v34
	v_fmac_f32_e32 v39, v59, v35
	v_lshlrev_b32_e32 v35, 2, v0
	v_cndmask_b32_e64 v34, v40, v41, s[4:5]
	v_or_b32_e32 v40, 3, v58
	v_max_f32_e32 v41, v34, v39
	v_cmp_gt_i32_e64 s[8:9], s3, v40
	v_and_or_b32 v35, v35, 48, v57
	s_nop 0
	v_cndmask_b32_e64 v34, v34, v41, s[8:9]
	;;#ASMSTART
	v_nop
 v_nop
 v_max_f32_dpp v34, v34, v34 row_ror:4
	;;#ASMEND
	v_lshlrev_b32_e32 v41, 2, v35
	;;#ASMSTART
	v_nop
 v_nop
 v_max_f32_dpp v34, v34, v34 row_ror:8
	;;#ASMEND
	ds_bpermute_b32 v34, v41, v34
	s_waitcnt lgkmcnt(0)
	;;#ASMSTART
	v_nop
 v_nop
 v_max_f32_dpp v34, v34, v34 row_ror:4
	;;#ASMEND
	s_nop 0
	;;#ASMSTART
	v_nop
 v_nop
 v_max_f32_dpp v40, v34, v34 row_ror:8
	;;#ASMEND
	s_nop 0
	v_sub_f32_e32 v34, v36, v40
	v_mul_f32_e32 v34, 0x3fb8aa3b, v34
	v_sub_f32_e32 v35, v37, v40
	v_exp_f32_e32 v34, v34
	v_mul_f32_e32 v35, 0x3fb8aa3b, v35
	v_sub_f32_e32 v37, v38, v40
	v_exp_f32_e32 v35, v35
	;; [unrolled: 3-line block ×3, first 2 shown]
	v_mul_f32_e32 v38, 0x3fb8aa3b, v38
	v_exp_f32_e32 v38, v38
	v_cndmask_b32_e32 v34, 0, v34, vcc
	v_add_f32_e32 v36, 0, v34
	v_cndmask_b32_e64 v35, 0, v35, s[0:1]
	v_add_f32_e32 v39, v36, v35
	v_cndmask_b32_e64 v36, 0, v37, s[4:5]
	;; [unrolled: 2-line block ×3, first 2 shown]
	v_add_f32_e32 v38, v39, v37
	;;#ASMSTART
	v_nop
 v_nop
 v_add_f32_dpp v38, v38, v38 row_ror:4
	;;#ASMEND
	v_cmp_gt_u32_e32 vcc, 4, v56
	;;#ASMSTART
	v_nop
 v_nop
 v_add_f32_dpp v38, v38, v38 row_ror:8
	;;#ASMEND
	ds_bpermute_b32 v38, v41, v38
	s_waitcnt lgkmcnt(0)
	;;#ASMSTART
	v_nop
 v_nop
 v_add_f32_dpp v38, v38, v38 row_ror:4
	;;#ASMEND
	s_nop 0
	;;#ASMSTART
	v_nop
 v_nop
 v_add_f32_dpp v38, v38, v38 row_ror:8
	;;#ASMEND
	s_and_saveexec_b64 s[0:1], vcc
	s_cbranch_execz .LBB441_18
; %bb.17:
	v_mul_u32_u24_e32 v39, 20, v1
	v_lshl_add_u32 v39, v57, 2, v39
	v_add_u32_e32 v39, 0x800, v39
	ds_write2_b32 v39, v40, v38 offset0:128 offset1:148
.LBB441_18:
	s_or_b64 exec, exec, s[0:1]
.LBB441_19:
	s_or_b64 exec, exec, s[22:23]
	s_waitcnt lgkmcnt(0)
	s_barrier
	s_load_dword s0, s[20:21], 0x8
	v_lshlrev_b32_e32 v38, 2, v57
	v_add_u32_e32 v46, 0x800, v38
	ds_read2_b32 v[38:39], v46 offset0:128 offset1:133
	ds_read2_b32 v[42:43], v46 offset0:138 offset1:143
	s_mul_i32 s1, s2, s34
	s_waitcnt lgkmcnt(0)
	s_mul_i32 s1, s1, s0
	s_lshl_b32 s0, s1, 1
	s_mov_b32 s1, 0xff7fffff
	v_max3_f32 v41, v38, s1, v39
	v_max3_f32 v41, v41, v42, v43
	v_sub_f32_e32 v38, v38, v41
	v_mul_f32_e32 v38, 0x3fb8aa3b, v38
	ds_read2_b32 v[44:45], v46 offset0:148 offset1:153
	v_exp_f32_e32 v47, v38
	v_sub_f32_e32 v38, v39, v41
	v_sub_f32_e32 v42, v42, v41
	v_mul_f32_e32 v38, 0x3fb8aa3b, v38
	v_mul_f32_e32 v42, 0x3fb8aa3b, v42
	v_exp_f32_e32 v48, v38
	ds_read2_b32 v[38:39], v46 offset0:158 offset1:163
	v_exp_f32_e32 v46, v42
	v_sub_f32_e32 v42, v43, v41
	v_mul_f32_e32 v42, 0x3fb8aa3b, v42
	v_exp_f32_e32 v43, v42
	s_waitcnt lgkmcnt(1)
	v_fma_f32 v42, v47, v44, 0
	v_fmac_f32_e32 v42, v48, v45
	s_waitcnt lgkmcnt(0)
	v_fmac_f32_e32 v42, v46, v38
	v_fmac_f32_e32 v42, v43, v39
	v_cmp_gt_u32_e32 vcc, 2, v57
	s_and_saveexec_b64 s[2:3], vcc
	s_cbranch_execz .LBB441_21
; %bb.20:
	s_mov_b32 s1, 0
	s_lshl_b64 s[4:5], s[0:1], 2
	s_add_u32 s10, s12, s4
	s_mov_b32 s17, s1
	s_addc_u32 s11, s13, s5
	s_lshl_b64 s[8:9], s[16:17], 2
	s_add_u32 s10, s10, s8
	s_addc_u32 s11, s11, s9
	s_add_u32 s1, s14, s4
	s_addc_u32 s5, s15, s5
	v_or_b32_e32 v38, s33, v57
	s_add_u32 s4, s1, s8
	v_mul_lo_u32 v38, s34, v38
	v_mov_b32_e32 v39, 0
	s_addc_u32 s5, s5, s9
	v_lshlrev_b64 v[38:39], 2, v[38:39]
	v_lshl_add_u64 v[44:45], s[10:11], 0, v[38:39]
	v_lshl_add_u64 v[38:39], s[4:5], 0, v[38:39]
	global_store_dword v[38:39], v41, off
	global_store_dword v[44:45], v42, off
.LBB441_21:
	s_or_b64 exec, exec, s[2:3]
	v_mov_b32_e32 v38, 0
	v_mov_b32_e32 v39, 0
	s_and_saveexec_b64 s[2:3], s[6:7]
	s_cbranch_execz .LBB441_23
; %bb.22:
	v_add_f32_e32 v38, 0x358637bd, v42
	v_div_scale_f32 v39, s[4:5], v38, v38, 1.0
	v_rcp_f32_e32 v42, v39
	v_div_scale_f32 v43, vcc, 1.0, v38, 1.0
	v_sub_f32_e32 v40, v40, v41
	v_fma_f32 v44, -v39, v42, 1.0
	v_fmac_f32_e32 v42, v44, v42
	v_mul_f32_e32 v44, v43, v42
	v_fma_f32 v45, -v39, v44, v43
	v_mul_f32_e32 v40, 0x3fb8aa3b, v40
	v_fmac_f32_e32 v44, v45, v42
	v_exp_f32_e32 v40, v40
	v_fma_f32 v39, -v39, v44, v43
	v_div_fmas_f32 v39, v39, v42, v44
	v_div_fixup_f32 v38, v39, v38, 1.0
	v_mul_f32_e32 v38, v40, v38
	v_pk_mul_f32 v[34:35], v[34:35], v[38:39] op_sel_hi:[1,0]
	v_pk_mul_f32 v[36:37], v[36:37], v[38:39] op_sel_hi:[1,0]
	v_bfe_u32 v38, v35, 16, 1
	v_bfe_u32 v39, v34, 16, 1
	s_movk_i32 s1, 0x7fff
	v_add3_u32 v34, v34, v39, s1
	v_add3_u32 v35, v35, v38, s1
	s_mov_b32 s4, 0x7060302
	v_perm_b32 v34, v35, v34, s4
	v_bfe_u32 v35, v37, 16, 1
	v_bfe_u32 v38, v36, 16, 1
	v_add3_u32 v36, v36, v38, s1
	v_add3_u32 v35, v37, v35, s1
	v_perm_b32 v35, v35, v36, s4
	s_waitcnt vmcnt(7)
	s_nop 0
	v_mfma_f32_4x4x4_16b_bf16 a[0:3], v[34:35], v[2:3], 0 cbsz:4
	s_nop 1
	v_mfma_f32_4x4x4_16b_bf16 a[0:3], v[34:35], v[4:5], a[0:3] cbsz:4 abid:1
	s_waitcnt vmcnt(6)
	s_nop 0
	v_mfma_f32_4x4x4_16b_bf16 a[0:3], v[34:35], v[6:7], a[0:3] cbsz:4 abid:2
	s_nop 1
	v_mfma_f32_4x4x4_16b_bf16 a[0:3], v[34:35], v[8:9], a[0:3] cbsz:4 abid:3
	s_waitcnt vmcnt(5)
	s_nop 0
	v_mfma_f32_4x4x4_16b_bf16 a[0:3], v[34:35], v[10:11], a[0:3] cbsz:4 abid:4
	;; [unrolled: 5-line block ×7, first 2 shown]
	s_nop 1
	v_mfma_f32_4x4x4_16b_bf16 a[0:3], v[34:35], v[32:33], a[0:3] cbsz:4 abid:15
	s_nop 4
	v_accvgpr_read_b32 v5, a1
	v_accvgpr_read_b32 v2, a2
	;; [unrolled: 1-line block ×4, first 2 shown]
	v_bfe_u32 v6, v5, 16, 1
	v_bfe_u32 v7, v4, 16, 1
	;; [unrolled: 1-line block ×3, first 2 shown]
	v_add3_u32 v5, v5, v6, s1
	v_bfe_u32 v6, v2, 16, 1
	v_add3_u32 v4, v4, v7, s1
	v_add3_u32 v2, v2, v6, s1
	;; [unrolled: 1-line block ×3, first 2 shown]
	v_perm_b32 v39, v3, v2, s4
	v_perm_b32 v38, v5, v4, s4
.LBB441_23:
	s_or_b64 exec, exec, s[2:3]
	v_lshlrev_b32_e32 v1, 3, v1
	v_mad_u32_u24 v1, v56, 40, v1
	v_cmp_gt_u32_e32 vcc, 64, v0
	ds_write_b64 v1, v[38:39]
	s_waitcnt lgkmcnt(0)
	s_barrier
	s_and_saveexec_b64 s[2:3], vcc
	s_cbranch_execz .LBB441_25
; %bb.24:
	v_mul_u32_u24_e32 v1, 40, v56
	s_waitcnt vmcnt(7)
	ds_read2_b64 v[2:5], v1 offset1:1
	s_waitcnt vmcnt(6)
	ds_read2_b64 v[6:9], v1 offset0:2 offset1:3
	s_mov_b32 s1, 0
	s_lshl_b32 s0, s0, 6
	s_lshl_b64 s[2:3], s[0:1], 1
	s_waitcnt lgkmcnt(1)
	v_and_b32_e32 v1, 0xffff0000, v2
	v_add_f32_e32 v1, 0, v1
	v_and_b32_e32 v3, 0xffff0000, v4
	v_and_b32_e32 v1, 0xffff0000, v1
	v_add_f32_e32 v1, v1, v3
	s_waitcnt lgkmcnt(0)
	v_and_b32_e32 v5, 0xffff0000, v6
	v_and_b32_e32 v1, 0xffff0000, v1
	v_add_f32_e32 v1, v1, v5
	v_and_b32_e32 v1, 0xffff0000, v1
	v_and_b32_e32 v3, 0xffff0000, v8
	v_add_f32_e32 v7, v1, v3
	v_lshlrev_b32_e32 v1, 16, v2
	s_add_u32 s2, s18, s2
	v_add_f32_e32 v1, 0, v1
	s_addc_u32 s3, s19, s3
	s_lshl_b32 s0, s16, 6
	v_and_b32_e32 v1, 0xffff0000, v1
	v_lshlrev_b32_e32 v2, 16, v4
	s_lshl_b64 s[0:1], s[0:1], 1
	v_add_f32_e32 v1, v1, v2
	s_add_u32 s0, s2, s0
	v_and_b32_e32 v1, 0xffff0000, v1
	v_lshlrev_b32_e32 v2, 16, v6
	s_addc_u32 s1, s3, s1
	s_lshl_b32 s2, s34, 6
	v_add_f32_e32 v1, v1, v2
	v_and_b32_e32 v1, 0xffff0000, v1
	v_lshlrev_b32_e32 v2, 16, v8
	s_mul_i32 s3, s2, s33
	v_add_f32_e32 v1, v1, v2
	v_or_b32_e32 v2, s3, v0
	v_mov_b32_e32 v3, 0
	s_add_i32 s3, s3, s2
	v_lshl_add_u64 v[4:5], v[2:3], 1, s[0:1]
	v_or_b32_e32 v2, s3, v0
	global_store_short_d16_hi v[4:5], v1, off
	v_lshl_add_u64 v[0:1], v[2:3], 1, s[0:1]
	global_store_short_d16_hi v[0:1], v7, off
.LBB441_25:
	s_endpgm
	.section	.rodata,"a",@progbits
	.p2align	6, 0x0
	.amdhsa_kernel _Z38paged_attention_ll4mi_QKV_mfma4_kernelI14__hip_bfloat16S0_LN4vllm18Fp8KVCacheDataTypeE0ES0_Li16ELi64ELi256ELb1ELi2EEvPKT_PKT0_S8_ifPKiSA_SA_iPKfiiiPfSD_PS3_PT2_iSC_SC_
		.amdhsa_group_segment_fixed_size 2720
		.amdhsa_private_segment_fixed_size 0
		.amdhsa_kernarg_size 400
		.amdhsa_user_sgpr_count 2
		.amdhsa_user_sgpr_dispatch_ptr 0
		.amdhsa_user_sgpr_queue_ptr 0
		.amdhsa_user_sgpr_kernarg_segment_ptr 1
		.amdhsa_user_sgpr_dispatch_id 0
		.amdhsa_user_sgpr_kernarg_preload_length 0
		.amdhsa_user_sgpr_kernarg_preload_offset 0
		.amdhsa_user_sgpr_private_segment_size 0
		.amdhsa_uses_dynamic_stack 0
		.amdhsa_enable_private_segment 0
		.amdhsa_system_sgpr_workgroup_id_x 1
		.amdhsa_system_sgpr_workgroup_id_y 1
		.amdhsa_system_sgpr_workgroup_id_z 1
		.amdhsa_system_sgpr_workgroup_info 0
		.amdhsa_system_vgpr_workitem_id 0
		.amdhsa_next_free_vgpr 72
		.amdhsa_next_free_sgpr 40
		.amdhsa_accum_offset 68
		.amdhsa_reserve_vcc 1
		.amdhsa_float_round_mode_32 0
		.amdhsa_float_round_mode_16_64 0
		.amdhsa_float_denorm_mode_32 3
		.amdhsa_float_denorm_mode_16_64 3
		.amdhsa_dx10_clamp 1
		.amdhsa_ieee_mode 1
		.amdhsa_fp16_overflow 0
		.amdhsa_tg_split 0
		.amdhsa_exception_fp_ieee_invalid_op 0
		.amdhsa_exception_fp_denorm_src 0
		.amdhsa_exception_fp_ieee_div_zero 0
		.amdhsa_exception_fp_ieee_overflow 0
		.amdhsa_exception_fp_ieee_underflow 0
		.amdhsa_exception_fp_ieee_inexact 0
		.amdhsa_exception_int_div_zero 0
	.end_amdhsa_kernel
	.section	.text._Z38paged_attention_ll4mi_QKV_mfma4_kernelI14__hip_bfloat16S0_LN4vllm18Fp8KVCacheDataTypeE0ES0_Li16ELi64ELi256ELb1ELi2EEvPKT_PKT0_S8_ifPKiSA_SA_iPKfiiiPfSD_PS3_PT2_iSC_SC_,"axG",@progbits,_Z38paged_attention_ll4mi_QKV_mfma4_kernelI14__hip_bfloat16S0_LN4vllm18Fp8KVCacheDataTypeE0ES0_Li16ELi64ELi256ELb1ELi2EEvPKT_PKT0_S8_ifPKiSA_SA_iPKfiiiPfSD_PS3_PT2_iSC_SC_,comdat
.Lfunc_end441:
	.size	_Z38paged_attention_ll4mi_QKV_mfma4_kernelI14__hip_bfloat16S0_LN4vllm18Fp8KVCacheDataTypeE0ES0_Li16ELi64ELi256ELb1ELi2EEvPKT_PKT0_S8_ifPKiSA_SA_iPKfiiiPfSD_PS3_PT2_iSC_SC_, .Lfunc_end441-_Z38paged_attention_ll4mi_QKV_mfma4_kernelI14__hip_bfloat16S0_LN4vllm18Fp8KVCacheDataTypeE0ES0_Li16ELi64ELi256ELb1ELi2EEvPKT_PKT0_S8_ifPKiSA_SA_iPKfiiiPfSD_PS3_PT2_iSC_SC_
                                        ; -- End function
	.section	.AMDGPU.csdata,"",@progbits
; Kernel info:
; codeLenInByte = 3392
; NumSgprs: 46
; NumVgprs: 66
; NumAgprs: 4
; TotalNumVgprs: 72
; ScratchSize: 0
; MemoryBound: 0
; FloatMode: 240
; IeeeMode: 1
; LDSByteSize: 2720 bytes/workgroup (compile time only)
; SGPRBlocks: 5
; VGPRBlocks: 8
; NumSGPRsForWavesPerEU: 46
; NumVGPRsForWavesPerEU: 72
; AccumOffset: 68
; Occupancy: 7
; WaveLimiterHint : 1
; COMPUTE_PGM_RSRC2:SCRATCH_EN: 0
; COMPUTE_PGM_RSRC2:USER_SGPR: 2
; COMPUTE_PGM_RSRC2:TRAP_HANDLER: 0
; COMPUTE_PGM_RSRC2:TGID_X_EN: 1
; COMPUTE_PGM_RSRC2:TGID_Y_EN: 1
; COMPUTE_PGM_RSRC2:TGID_Z_EN: 1
; COMPUTE_PGM_RSRC2:TIDIG_COMP_CNT: 0
; COMPUTE_PGM_RSRC3_GFX90A:ACCUM_OFFSET: 16
; COMPUTE_PGM_RSRC3_GFX90A:TG_SPLIT: 0
	.section	.text._Z38paged_attention_ll4mi_QKV_mfma4_kernelI14__hip_bfloat16S0_LN4vllm18Fp8KVCacheDataTypeE0ES0_Li16ELi64ELi256ELb1ELi3EEvPKT_PKT0_S8_ifPKiSA_SA_iPKfiiiPfSD_PS3_PT2_iSC_SC_,"axG",@progbits,_Z38paged_attention_ll4mi_QKV_mfma4_kernelI14__hip_bfloat16S0_LN4vllm18Fp8KVCacheDataTypeE0ES0_Li16ELi64ELi256ELb1ELi3EEvPKT_PKT0_S8_ifPKiSA_SA_iPKfiiiPfSD_PS3_PT2_iSC_SC_,comdat
	.protected	_Z38paged_attention_ll4mi_QKV_mfma4_kernelI14__hip_bfloat16S0_LN4vllm18Fp8KVCacheDataTypeE0ES0_Li16ELi64ELi256ELb1ELi3EEvPKT_PKT0_S8_ifPKiSA_SA_iPKfiiiPfSD_PS3_PT2_iSC_SC_ ; -- Begin function _Z38paged_attention_ll4mi_QKV_mfma4_kernelI14__hip_bfloat16S0_LN4vllm18Fp8KVCacheDataTypeE0ES0_Li16ELi64ELi256ELb1ELi3EEvPKT_PKT0_S8_ifPKiSA_SA_iPKfiiiPfSD_PS3_PT2_iSC_SC_
	.globl	_Z38paged_attention_ll4mi_QKV_mfma4_kernelI14__hip_bfloat16S0_LN4vllm18Fp8KVCacheDataTypeE0ES0_Li16ELi64ELi256ELb1ELi3EEvPKT_PKT0_S8_ifPKiSA_SA_iPKfiiiPfSD_PS3_PT2_iSC_SC_
	.p2align	8
	.type	_Z38paged_attention_ll4mi_QKV_mfma4_kernelI14__hip_bfloat16S0_LN4vllm18Fp8KVCacheDataTypeE0ES0_Li16ELi64ELi256ELb1ELi3EEvPKT_PKT0_S8_ifPKiSA_SA_iPKfiiiPfSD_PS3_PT2_iSC_SC_,@function
_Z38paged_attention_ll4mi_QKV_mfma4_kernelI14__hip_bfloat16S0_LN4vllm18Fp8KVCacheDataTypeE0ES0_Li16ELi64ELi256ELb1ELi3EEvPKT_PKT0_S8_ifPKiSA_SA_iPKfiiiPfSD_PS3_PT2_iSC_SC_: ; @_Z38paged_attention_ll4mi_QKV_mfma4_kernelI14__hip_bfloat16S0_LN4vllm18Fp8KVCacheDataTypeE0ES0_Li16ELi64ELi256ELb1ELi3EEvPKT_PKT0_S8_ifPKiSA_SA_iPKfiiiPfSD_PS3_PT2_iSC_SC_
; %bb.0:
	s_load_dwordx2 s[8:9], s[0:1], 0x30
	s_mov_b32 s16, s3
	s_mov_b64 s[6:7], 0
	s_waitcnt lgkmcnt(0)
	s_cmp_lg_u64 s[8:9], 0
	s_cselect_b64 s[10:11], -1, 0
	s_and_b64 vcc, exec, s[10:11]
	s_cbranch_vccz .LBB442_10
; %bb.1:
	s_add_i32 s12, s2, 1
	s_mov_b32 s13, 0
	s_lshl_b64 s[14:15], s[12:13], 2
	s_add_u32 s14, s8, s14
	s_mov_b32 s3, s13
	s_addc_u32 s15, s9, s15
	s_lshl_b64 s[12:13], s[2:3], 2
	s_add_u32 s12, s8, s12
	s_addc_u32 s13, s9, s13
	s_load_dword s5, s[14:15], 0x0
	s_load_dword s17, s[12:13], 0x0
	s_waitcnt lgkmcnt(0)
	s_sub_i32 s5, s5, s17
	s_cmp_eq_u32 s5, 1
	s_cselect_b64 s[12:13], -1, 0
	s_andn2_b64 vcc, exec, s[6:7]
	s_cbranch_vccnz .LBB442_3
.LBB442_2:
	s_mov_b32 s3, 0
	s_mov_b64 s[12:13], -1
.LBB442_3:
	s_andn2_b64 vcc, exec, s[12:13]
	s_cbranch_vccnz .LBB442_25
; %bb.4:
	s_load_dword s5, s[0:1], 0x9c
	s_load_dwordx2 s[6:7], s[0:1], 0x28
	s_add_u32 s20, s0, 0x90
	s_addc_u32 s21, s1, 0
	s_lshl_b64 s[24:25], s[2:3], 2
	s_waitcnt lgkmcnt(0)
	s_and_b32 s5, s5, 0xffff
	s_add_u32 s6, s6, s24
	s_addc_u32 s7, s7, s25
	s_load_dword s3, s[6:7], 0x0
	s_mul_i32 s5, s16, s5
	s_waitcnt lgkmcnt(0)
	s_cmp_ge_i32 s5, s3
	s_cbranch_scc1 .LBB442_25
; %bb.5:
	v_and_b32_e32 v2, 0xc0, v0
	v_add_u32_e32 v2, s5, v2
	v_lshrrev_b32_e32 v1, 6, v0
	v_cmp_gt_i32_e64 s[6:7], s3, v2
	v_cmp_le_i32_e32 vcc, s3, v2
                                        ; implicit-def: $sgpr26
                                        ; implicit-def: $sgpr17
	s_and_saveexec_b64 s[12:13], vcc
	s_xor_b64 s[12:13], exec, s[12:13]
	s_cbranch_execz .LBB442_7
; %bb.6:
	v_mul_u32_u24_e32 v2, 20, v1
	v_or_b32_e32 v2, 0xa00, v2
	v_mov_b32_e32 v3, 0xa50
	v_mov_b32_e32 v4, 0xff7fffff
	v_mad_u32_u24 v3, v1, 20, v3
	ds_write2_b32 v2, v4, v4 offset1:1
	v_mov_b32_e32 v2, 0
	ds_write2_b32 v3, v2, v2 offset1:1
	v_mov_b32_e32 v3, 0xa08
	s_mov_b32 s17, 0xff7fffff
	s_mov_b32 s26, 0
	v_mad_u32_u24 v3, v1, 20, v3
	v_mov_b32_e32 v5, 0xa58
	v_mad_u32_u24 v5, v1, 20, v5
	ds_write2_b32 v3, v4, v4 offset1:1
	ds_write2_b32 v5, v2, v2 offset1:1
                                        ; implicit-def: $vgpr2
.LBB442_7:
	s_or_saveexec_b64 s[22:23], s[12:13]
	s_load_dwordx2 s[18:19], s[0:1], 0x68
	s_load_dwordx4 s[12:15], s[0:1], 0x58
	s_load_dword s34, s[20:21], 0x4
	v_and_b32_e32 v56, 63, v0
	v_and_b32_e32 v57, 3, v0
	s_mul_i32 s33, s4, 3
	v_mov_b32_e32 v37, s26
	v_mov_b32_e32 v40, s17
	;; [unrolled: 1-line block ×5, first 2 shown]
                                        ; implicit-def: $vgpr3
                                        ; implicit-def: $vgpr7
                                        ; implicit-def: $vgpr11
                                        ; implicit-def: $vgpr15
                                        ; implicit-def: $vgpr19
                                        ; implicit-def: $vgpr23
                                        ; implicit-def: $vgpr27
                                        ; implicit-def: $vgpr31
	s_xor_b64 exec, exec, s[22:23]
	s_cbranch_execz .LBB442_19
; %bb.8:
	s_add_i32 s28, s3, 15
	s_load_dwordx2 s[26:27], s[0:1], 0x20
	s_load_dword s17, s[0:1], 0x38
	s_ashr_i32 s29, s28, 31
	s_lshr_b32 s29, s29, 28
	v_add_u32_e32 v58, s5, v0
	s_add_i32 s28, s28, s29
	v_ashrrev_i32_e32 v3, 31, v58
	s_ashr_i32 s28, s28, 4
	v_lshrrev_b32_e32 v3, 28, v3
	s_add_i32 s30, s28, -1
	v_add_u32_e32 v3, v58, v3
	s_waitcnt lgkmcnt(0)
	s_mul_i32 s28, s2, s17
	s_mov_b32 s29, 0
	v_ashrrev_i32_e32 v3, 4, v3
	v_mov_b32_e32 v4, s30
	v_cmp_gt_i32_e32 vcc, s3, v58
	s_lshl_b64 s[28:29], s[28:29], 2
	s_add_u32 s26, s26, s28
	v_cndmask_b32_e32 v4, v4, v3, vcc
	v_ashrrev_i32_e32 v3, 31, v2
	v_lshrrev_b32_e32 v3, 28, v3
	s_addc_u32 s27, s27, s29
	v_ashrrev_i32_e32 v5, 31, v4
	v_add_u32_e32 v2, v2, v3
	v_lshl_add_u64 v[6:7], v[4:5], 2, s[26:27]
	v_ashrrev_i32_e32 v4, 4, v2
	v_min_i32_e32 v2, s30, v4
	v_ashrrev_i32_e32 v3, 31, v2
	v_lshl_add_u64 v[8:9], v[2:3], 2, s[26:27]
	v_add_u32_e32 v2, 1, v4
	v_min_i32_e32 v2, s30, v2
	v_ashrrev_i32_e32 v3, 31, v2
	v_lshl_add_u64 v[12:13], v[2:3], 2, s[26:27]
	v_add_u32_e32 v2, 2, v4
	;; [unrolled: 4-line block ×3, first 2 shown]
	v_min_i32_e32 v2, s30, v2
	v_ashrrev_i32_e32 v3, 31, v2
	v_lshl_add_u64 v[16:17], v[2:3], 2, s[26:27]
	global_load_dword v2, v[6:7], off
	global_load_dword v4, v[8:9], off
	global_load_dword v10, v[12:13], off
	global_load_dword v60, v[14:15], off
	global_load_dword v59, v[16:17], off
	s_load_dwordx2 s[26:27], s[0:1], 0x8
	s_andn2_b64 vcc, exec, s[10:11]
	s_cbranch_vccnz .LBB442_11
; %bb.9:
	s_add_u32 s8, s8, s24
	s_addc_u32 s9, s9, s25
	s_load_dword s5, s[8:9], 0x0
	s_branch .LBB442_12
.LBB442_10:
	s_mov_b64 s[12:13], 0
	s_branch .LBB442_2
.LBB442_11:
	s_mov_b32 s5, s2
.LBB442_12:
	s_load_dwordx2 s[24:25], s[0:1], 0x10
	s_load_dwordx4 s[8:11], s[0:1], 0x48
	v_cmp_ne_u32_e32 vcc, 3, v57
	s_mov_b32 s29, 0
	v_mov_b32_e32 v3, 0
	v_mov_b32_e32 v26, 0
	;; [unrolled: 1-line block ×5, first 2 shown]
	s_and_saveexec_b64 s[30:31], vcc
	s_cbranch_execz .LBB442_14
; %bb.13:
	s_load_dwordx2 s[36:37], s[0:1], 0x0
	s_waitcnt lgkmcnt(0)
	s_ashr_i32 s11, s8, 31
	s_mul_hi_u32 s17, s5, s8
	s_mul_i32 s11, s5, s11
	s_add_i32 s39, s17, s11
	s_mul_i32 s38, s5, s8
	s_lshl_b64 s[38:39], s[38:39], 1
	s_add_u32 s5, s36, s38
	s_mul_i32 s28, s4, 0xc0
	s_addc_u32 s8, s37, s39
	s_lshl_b64 s[36:37], s[28:29], 1
	s_add_u32 s36, s5, s36
	v_lshlrev_b32_e32 v5, 3, v57
	v_lshrrev_b32_e32 v6, 2, v56
	s_addc_u32 s37, s8, s37
	v_add_lshl_u32 v5, v5, v6, 4
	global_load_dwordx4 v[26:29], v5, s[36:37]
.LBB442_14:
	s_or_b64 exec, exec, s[30:31]
	s_waitcnt lgkmcnt(0)
	s_mul_i32 s28, s4, s10
	s_lshl_b64 s[4:5], s[28:29], 1
	s_add_u32 s10, s4, s26
	s_waitcnt vmcnt(4)
	v_mad_i64_i32 v[6:7], s[30:31], v2, s9, 0
	s_addc_u32 s11, s5, s27
	v_and_b32_e32 v2, 15, v0
	v_lshl_add_u64 v[6:7], v[6:7], 1, s[10:11]
	v_lshlrev_b32_e32 v2, 4, v2
	v_lshl_add_u64 v[6:7], v[6:7], 0, v[2:3]
	global_load_dwordx4 v[50:53], v[6:7], off
	global_load_dwordx4 v[46:49], v[6:7], off offset:256
	global_load_dwordx4 v[22:25], v[6:7], off offset:512
	;; [unrolled: 1-line block ×7, first 2 shown]
	v_mov_b32_e32 v55, 1.0
	v_mov_b32_e32 v54, 0
	s_and_saveexec_b64 s[10:11], vcc
	s_cbranch_execz .LBB442_16
; %bb.15:
	s_load_dwordx2 s[26:27], s[0:1], 0x40
	v_add_u32_e32 v54, s33, v57
	v_mov_b32_e32 v55, 0
	s_waitcnt lgkmcnt(0)
	v_lshl_add_u64 v[6:7], v[54:55], 2, s[26:27]
	global_load_dword v54, v[6:7], off
.LBB442_16:
	s_or_b64 exec, exec, s[10:11]
	s_waitcnt vmcnt(7)
	v_mfma_f32_4x4x4_16b_bf16 a[0:3], v[26:27], v[50:51], 0 cbsz:4
	s_load_dword s0, s[0:1], 0x1c
	s_add_u32 s4, s24, s4
	v_mfma_f32_4x4x4_16b_bf16 a[0:3], v[28:29], v[52:53], a[0:3] cbsz:4
	s_addc_u32 s5, s25, s5
	v_lshlrev_b32_e32 v2, 5, v56
	s_waitcnt vmcnt(6)
	v_mfma_f32_4x4x4_16b_bf16 a[0:3], v[26:27], v[46:47], a[0:3] cbsz:4 abid:1
	v_lshl_add_u64 v[62:63], s[4:5], 0, v[2:3]
	v_mul_hi_i32 v2, v4, s9
	v_mfma_f32_4x4x4_16b_bf16 a[0:3], v[28:29], v[48:49], a[0:3] cbsz:4 abid:1
	v_ashrrev_i32_e32 v2, 31, v2
	v_mul_hi_i32 v11, v10, s9
	s_waitcnt vmcnt(5)
	v_mfma_f32_4x4x4_16b_bf16 a[0:3], v[26:27], v[22:23], a[0:3] cbsz:4 abid:2
	v_lshrrev_b32_e32 v64, 29, v2
	v_mov_b32_e32 v65, 0
	v_mfma_f32_4x4x4_16b_bf16 a[0:3], v[28:29], v[24:25], a[0:3] cbsz:4 abid:2
	v_ashrrev_i32_e32 v11, 31, v11
	v_mul_hi_i32 v50, v60, s9
	s_waitcnt vmcnt(4)
	v_mfma_f32_4x4x4_16b_bf16 a[0:3], v[26:27], v[18:19], a[0:3] cbsz:4 abid:3
	v_mad_i64_i32 v[2:3], s[4:5], v4, s9, v[64:65]
	s_nop 0
	v_mfma_f32_4x4x4_16b_bf16 a[0:3], v[28:29], v[20:21], a[0:3] cbsz:4 abid:3
	v_lshrrev_b32_e32 v64, 29, v11
	v_ashrrev_i32_e32 v50, 31, v50
	s_waitcnt vmcnt(3)
	v_mfma_f32_4x4x4_16b_bf16 a[0:3], v[26:27], v[42:43], a[0:3] cbsz:4 abid:4
	v_mul_hi_i32 v42, v59, s9
	v_mad_i64_i32 v[10:11], s[4:5], v10, s9, v[64:65]
	v_mfma_f32_4x4x4_16b_bf16 a[0:3], v[28:29], v[44:45], a[0:3] cbsz:4 abid:4
	v_lshrrev_b32_e32 v64, 29, v50
	v_ashrrev_i32_e32 v42, 31, v42
	s_waitcnt vmcnt(2)
	v_mfma_f32_4x4x4_16b_bf16 a[0:3], v[26:27], v[38:39], a[0:3] cbsz:4 abid:5
	v_cmp_eq_u32_e32 vcc, 0, v57
	v_mad_i64_i32 v[46:47], s[4:5], v60, s9, v[64:65]
	v_mfma_f32_4x4x4_16b_bf16 a[0:3], v[28:29], v[40:41], a[0:3] cbsz:4 abid:5
	v_lshrrev_b32_e32 v64, 29, v42
	v_mad_i64_i32 v[38:39], s[4:5], v59, s9, v[64:65]
	s_waitcnt vmcnt(1)
	v_mfma_f32_4x4x4_16b_bf16 a[0:3], v[26:27], v[34:35], a[0:3] cbsz:4 abid:6
	v_lshlrev_b64 v[2:3], 1, v[2:3]
	v_lshlrev_b64 v[10:11], 1, v[10:11]
	v_mfma_f32_4x4x4_16b_bf16 a[0:3], v[28:29], v[36:37], a[0:3] cbsz:4 abid:6
	v_lshlrev_b64 v[22:23], 1, v[46:47]
	v_lshlrev_b64 v[34:35], 1, v[38:39]
	s_waitcnt vmcnt(0)
	v_mfma_f32_4x4x4_16b_bf16 a[0:3], v[26:27], v[30:31], a[0:3] cbsz:4 abid:7
	v_and_b32_e32 v2, -16, v2
	v_and_b32_e32 v10, -16, v10
	v_mfma_f32_4x4x4_16b_bf16 a[0:3], v[28:29], v[32:33], a[0:3] cbsz:4 abid:7
	v_and_b32_e32 v22, -16, v22
	v_and_b32_e32 v34, -16, v34
	v_lshl_add_u64 v[12:13], v[62:63], 0, v[2:3]
	v_lshl_add_u64 v[66:67], v[62:63], 0, v[10:11]
	;; [unrolled: 1-line block ×3, first 2 shown]
	v_accvgpr_read_b32 v29, a1
	v_accvgpr_read_b32 v28, a0
	s_waitcnt lgkmcnt(0)
	v_pk_mul_f32 v[28:29], s[0:1], v[28:29] op_sel_hi:[0,1]
	v_accvgpr_read_b32 v27, a3
	v_accvgpr_read_b32 v26, a2
	v_pk_mul_f32 v[36:37], s[0:1], v[26:27] op_sel_hi:[0,1]
	v_cndmask_b32_e64 v26, 0, 1.0, vcc
	v_cmp_eq_u32_e32 vcc, 1, v57
	v_lshl_add_u64 v[34:35], v[62:63], 0, v[34:35]
	v_mfma_f32_4x4x1_16b_f32 a[0:3], v28, v26, 0
	v_cndmask_b32_e64 v26, 0, 1.0, vcc
	v_cmp_eq_u32_e32 vcc, 2, v57
	global_load_dwordx4 v[2:5], v[12:13], off
	global_load_dwordx4 v[6:9], v[12:13], off offset:16
	v_mfma_f32_4x4x1_16b_f32 a[0:3], v29, v26, a[0:3]
	v_cndmask_b32_e64 v26, 0, 1.0, vcc
	global_load_dwordx4 v[10:13], v[66:67], off
	global_load_dwordx4 v[14:17], v[66:67], off offset:16
	global_load_dwordx4 v[18:21], v[46:47], off
	global_load_dwordx4 v[22:25], v[46:47], off offset:16
	v_mfma_f32_4x4x1_16b_f32 a[0:3], v36, v26, a[0:3]
	global_load_dwordx4 v[26:29], v[34:35], off
	global_load_dwordx4 v[30:33], v[34:35], off offset:16
	v_and_b32_e32 v34, -4, v58
	v_subrev_u32_e32 v35, s3, v34
	v_add_u32_e32 v36, 1, v35
	v_mfma_f32_4x4x1_16b_f32 a[0:3], v37, v55, a[0:3]
	v_cvt_f32_i32_e32 v36, v36
	v_add_u32_e32 v37, 2, v35
	v_cvt_f32_i32_e32 v37, v37
	v_mov_b32_e32 v41, 0xff7fffff
	v_accvgpr_read_b32 v38, a0
	v_fma_f32 v36, v54, v36, v38
	v_accvgpr_read_b32 v38, a1
	v_fma_f32 v37, v54, v37, v38
	v_add_u32_e32 v38, 3, v35
	v_cvt_f32_i32_e32 v38, v38
	v_add_u32_e32 v35, 4, v35
	v_max_f32_e32 v40, 0xff7fffff, v36
	v_cmp_gt_i32_e32 vcc, s3, v34
	v_cvt_f32_i32_e32 v35, v35
	v_accvgpr_read_b32 v39, a2
	v_cndmask_b32_e32 v40, v41, v40, vcc
	v_or_b32_e32 v41, 1, v34
	v_max_f32_e32 v42, v40, v37
	v_cmp_gt_i32_e64 s[0:1], s3, v41
	v_fma_f32 v38, v54, v38, v39
	v_or_b32_e32 v34, 2, v34
	v_cndmask_b32_e64 v40, v40, v42, s[0:1]
	v_accvgpr_read_b32 v39, a3
	v_max_f32_e32 v41, v40, v38
	v_cmp_gt_i32_e64 s[4:5], s3, v34
	v_fmac_f32_e32 v39, v54, v35
	v_lshlrev_b32_e32 v35, 2, v0
	v_cndmask_b32_e64 v34, v40, v41, s[4:5]
	v_or_b32_e32 v40, 3, v58
	v_max_f32_e32 v41, v34, v39
	v_cmp_gt_i32_e64 s[8:9], s3, v40
	v_and_or_b32 v35, v35, 48, v57
	s_nop 0
	v_cndmask_b32_e64 v34, v34, v41, s[8:9]
	;;#ASMSTART
	v_nop
 v_nop
 v_max_f32_dpp v34, v34, v34 row_ror:4
	;;#ASMEND
	v_lshlrev_b32_e32 v41, 2, v35
	;;#ASMSTART
	v_nop
 v_nop
 v_max_f32_dpp v34, v34, v34 row_ror:8
	;;#ASMEND
	ds_bpermute_b32 v34, v41, v34
	s_waitcnt lgkmcnt(0)
	;;#ASMSTART
	v_nop
 v_nop
 v_max_f32_dpp v34, v34, v34 row_ror:4
	;;#ASMEND
	s_nop 0
	;;#ASMSTART
	v_nop
 v_nop
 v_max_f32_dpp v40, v34, v34 row_ror:8
	;;#ASMEND
	s_nop 0
	v_sub_f32_e32 v34, v36, v40
	v_mul_f32_e32 v34, 0x3fb8aa3b, v34
	v_sub_f32_e32 v35, v37, v40
	v_exp_f32_e32 v34, v34
	v_mul_f32_e32 v35, 0x3fb8aa3b, v35
	v_sub_f32_e32 v37, v38, v40
	v_exp_f32_e32 v35, v35
	;; [unrolled: 3-line block ×3, first 2 shown]
	v_mul_f32_e32 v38, 0x3fb8aa3b, v38
	v_exp_f32_e32 v38, v38
	v_cndmask_b32_e32 v34, 0, v34, vcc
	v_add_f32_e32 v36, 0, v34
	v_cndmask_b32_e64 v35, 0, v35, s[0:1]
	v_add_f32_e32 v39, v36, v35
	v_cndmask_b32_e64 v36, 0, v37, s[4:5]
	;; [unrolled: 2-line block ×3, first 2 shown]
	v_add_f32_e32 v38, v39, v37
	;;#ASMSTART
	v_nop
 v_nop
 v_add_f32_dpp v38, v38, v38 row_ror:4
	;;#ASMEND
	v_cmp_gt_u32_e32 vcc, 4, v56
	;;#ASMSTART
	v_nop
 v_nop
 v_add_f32_dpp v38, v38, v38 row_ror:8
	;;#ASMEND
	ds_bpermute_b32 v38, v41, v38
	s_waitcnt lgkmcnt(0)
	;;#ASMSTART
	v_nop
 v_nop
 v_add_f32_dpp v38, v38, v38 row_ror:4
	;;#ASMEND
	s_nop 0
	;;#ASMSTART
	v_nop
 v_nop
 v_add_f32_dpp v38, v38, v38 row_ror:8
	;;#ASMEND
	s_and_saveexec_b64 s[0:1], vcc
	s_cbranch_execz .LBB442_18
; %bb.17:
	v_mul_u32_u24_e32 v39, 20, v1
	v_lshl_add_u32 v39, v57, 2, v39
	v_add_u32_e32 v39, 0x800, v39
	ds_write2_b32 v39, v40, v38 offset0:128 offset1:148
.LBB442_18:
	s_or_b64 exec, exec, s[0:1]
.LBB442_19:
	s_or_b64 exec, exec, s[22:23]
	s_waitcnt lgkmcnt(0)
	s_barrier
	s_load_dword s0, s[20:21], 0x8
	v_lshlrev_b32_e32 v38, 2, v57
	v_add_u32_e32 v46, 0x800, v38
	ds_read2_b32 v[38:39], v46 offset0:128 offset1:133
	ds_read2_b32 v[42:43], v46 offset0:138 offset1:143
	s_mul_i32 s1, s2, s34
	s_waitcnt lgkmcnt(0)
	s_mul_i32 s0, s1, s0
	s_mov_b32 s1, 0xff7fffff
	v_max3_f32 v41, v38, s1, v39
	v_max3_f32 v41, v41, v42, v43
	v_sub_f32_e32 v38, v38, v41
	v_mul_f32_e32 v38, 0x3fb8aa3b, v38
	ds_read2_b32 v[44:45], v46 offset0:148 offset1:153
	v_exp_f32_e32 v47, v38
	v_sub_f32_e32 v38, v39, v41
	v_sub_f32_e32 v42, v42, v41
	v_mul_f32_e32 v38, 0x3fb8aa3b, v38
	v_mul_f32_e32 v42, 0x3fb8aa3b, v42
	v_exp_f32_e32 v48, v38
	ds_read2_b32 v[38:39], v46 offset0:158 offset1:163
	v_exp_f32_e32 v46, v42
	v_sub_f32_e32 v42, v43, v41
	v_mul_f32_e32 v42, 0x3fb8aa3b, v42
	v_exp_f32_e32 v43, v42
	s_waitcnt lgkmcnt(1)
	v_fma_f32 v42, v47, v44, 0
	v_fmac_f32_e32 v42, v48, v45
	s_waitcnt lgkmcnt(0)
	v_fmac_f32_e32 v42, v46, v38
	s_mul_i32 s0, s0, 3
	v_fmac_f32_e32 v42, v43, v39
	v_cmp_ne_u32_e32 vcc, 3, v57
	s_and_saveexec_b64 s[2:3], vcc
	s_cbranch_execz .LBB442_21
; %bb.20:
	s_mov_b32 s1, 0
	s_lshl_b64 s[4:5], s[0:1], 2
	s_add_u32 s10, s12, s4
	s_mov_b32 s17, s1
	s_addc_u32 s11, s13, s5
	s_lshl_b64 s[8:9], s[16:17], 2
	s_add_u32 s10, s10, s8
	s_addc_u32 s11, s11, s9
	s_add_u32 s1, s14, s4
	s_addc_u32 s5, s15, s5
	v_add_u32_e32 v38, s33, v57
	s_add_u32 s4, s1, s8
	v_mul_lo_u32 v38, s34, v38
	v_mov_b32_e32 v39, 0
	s_addc_u32 s5, s5, s9
	v_lshlrev_b64 v[38:39], 2, v[38:39]
	v_lshl_add_u64 v[44:45], s[10:11], 0, v[38:39]
	v_lshl_add_u64 v[38:39], s[4:5], 0, v[38:39]
	global_store_dword v[38:39], v41, off
	global_store_dword v[44:45], v42, off
.LBB442_21:
	s_or_b64 exec, exec, s[2:3]
	v_mov_b32_e32 v38, 0
	v_mov_b32_e32 v39, 0
	s_and_saveexec_b64 s[2:3], s[6:7]
	s_cbranch_execz .LBB442_23
; %bb.22:
	v_add_f32_e32 v38, 0x358637bd, v42
	v_div_scale_f32 v39, s[4:5], v38, v38, 1.0
	v_rcp_f32_e32 v42, v39
	v_div_scale_f32 v43, vcc, 1.0, v38, 1.0
	v_sub_f32_e32 v40, v40, v41
	v_fma_f32 v44, -v39, v42, 1.0
	v_fmac_f32_e32 v42, v44, v42
	v_mul_f32_e32 v44, v43, v42
	v_fma_f32 v45, -v39, v44, v43
	v_mul_f32_e32 v40, 0x3fb8aa3b, v40
	v_fmac_f32_e32 v44, v45, v42
	v_exp_f32_e32 v40, v40
	v_fma_f32 v39, -v39, v44, v43
	v_div_fmas_f32 v39, v39, v42, v44
	v_div_fixup_f32 v38, v39, v38, 1.0
	v_mul_f32_e32 v38, v40, v38
	v_pk_mul_f32 v[34:35], v[34:35], v[38:39] op_sel_hi:[1,0]
	v_pk_mul_f32 v[36:37], v[36:37], v[38:39] op_sel_hi:[1,0]
	v_bfe_u32 v38, v35, 16, 1
	v_bfe_u32 v39, v34, 16, 1
	s_movk_i32 s1, 0x7fff
	v_add3_u32 v34, v34, v39, s1
	v_add3_u32 v35, v35, v38, s1
	s_mov_b32 s4, 0x7060302
	v_perm_b32 v34, v35, v34, s4
	v_bfe_u32 v35, v37, 16, 1
	v_bfe_u32 v38, v36, 16, 1
	v_add3_u32 v36, v36, v38, s1
	v_add3_u32 v35, v37, v35, s1
	v_perm_b32 v35, v35, v36, s4
	s_waitcnt vmcnt(7)
	s_nop 0
	v_mfma_f32_4x4x4_16b_bf16 a[0:3], v[34:35], v[2:3], 0 cbsz:4
	s_nop 1
	v_mfma_f32_4x4x4_16b_bf16 a[0:3], v[34:35], v[4:5], a[0:3] cbsz:4 abid:1
	s_waitcnt vmcnt(6)
	s_nop 0
	v_mfma_f32_4x4x4_16b_bf16 a[0:3], v[34:35], v[6:7], a[0:3] cbsz:4 abid:2
	s_nop 1
	v_mfma_f32_4x4x4_16b_bf16 a[0:3], v[34:35], v[8:9], a[0:3] cbsz:4 abid:3
	s_waitcnt vmcnt(5)
	s_nop 0
	v_mfma_f32_4x4x4_16b_bf16 a[0:3], v[34:35], v[10:11], a[0:3] cbsz:4 abid:4
	;; [unrolled: 5-line block ×7, first 2 shown]
	s_nop 1
	v_mfma_f32_4x4x4_16b_bf16 a[0:3], v[34:35], v[32:33], a[0:3] cbsz:4 abid:15
	s_nop 4
	v_accvgpr_read_b32 v5, a1
	v_accvgpr_read_b32 v2, a2
	;; [unrolled: 1-line block ×4, first 2 shown]
	v_bfe_u32 v6, v5, 16, 1
	v_bfe_u32 v7, v4, 16, 1
	;; [unrolled: 1-line block ×3, first 2 shown]
	v_add3_u32 v5, v5, v6, s1
	v_bfe_u32 v6, v2, 16, 1
	v_add3_u32 v4, v4, v7, s1
	v_add3_u32 v2, v2, v6, s1
	;; [unrolled: 1-line block ×3, first 2 shown]
	v_perm_b32 v39, v3, v2, s4
	v_perm_b32 v38, v5, v4, s4
.LBB442_23:
	s_or_b64 exec, exec, s[2:3]
	v_lshlrev_b32_e32 v1, 3, v1
	v_mad_u32_u24 v1, v56, 40, v1
	v_cmp_gt_u32_e32 vcc, 64, v0
	ds_write_b64 v1, v[38:39]
	s_waitcnt lgkmcnt(0)
	s_barrier
	s_and_saveexec_b64 s[2:3], vcc
	s_cbranch_execz .LBB442_25
; %bb.24:
	v_mul_u32_u24_e32 v1, 40, v56
	s_waitcnt vmcnt(7)
	ds_read2_b64 v[2:5], v1 offset1:1
	s_waitcnt vmcnt(6)
	ds_read2_b64 v[6:9], v1 offset0:2 offset1:3
	s_mov_b32 s1, 0
	s_lshl_b32 s0, s0, 6
	s_lshl_b64 s[2:3], s[0:1], 1
	s_waitcnt lgkmcnt(1)
	v_and_b32_e32 v1, 0xffff0000, v2
	v_lshlrev_b32_e32 v3, 16, v3
	v_add_f32_e32 v1, 0, v1
	v_add_f32_e32 v3, 0, v3
	v_and_b32_e32 v1, 0xffff0000, v1
	s_waitcnt vmcnt(5)
	v_and_b32_e32 v10, 0xffff0000, v4
	v_and_b32_e32 v3, 0xffff0000, v3
	v_add_f32_e32 v1, v1, v10
	v_lshlrev_b32_e32 v5, 16, v5
	v_and_b32_e32 v1, 0xffff0000, v1
	v_add_f32_e32 v3, v3, v5
	s_waitcnt lgkmcnt(0)
	v_and_b32_e32 v5, 0xffff0000, v6
	v_and_b32_e32 v3, 0xffff0000, v3
	v_add_f32_e32 v1, v1, v5
	v_lshlrev_b32_e32 v5, 16, v7
	v_and_b32_e32 v1, 0xffff0000, v1
	v_add_f32_e32 v3, v3, v5
	v_and_b32_e32 v5, 0xffff0000, v8
	v_lshlrev_b32_e32 v2, 16, v2
	v_and_b32_e32 v3, 0xffff0000, v3
	v_add_f32_e32 v1, v1, v5
	v_lshlrev_b32_e32 v5, 16, v9
	s_add_u32 s2, s18, s2
	v_add_f32_e32 v2, 0, v2
	v_add_f32_e32 v7, v3, v5
	s_addc_u32 s3, s19, s3
	s_lshl_b32 s0, s16, 6
	v_and_b32_e32 v2, 0xffff0000, v2
	v_lshlrev_b32_e32 v3, 16, v4
	s_lshl_b64 s[0:1], s[0:1], 1
	v_add_f32_e32 v2, v2, v3
	s_add_u32 s0, s2, s0
	v_and_b32_e32 v2, 0xffff0000, v2
	v_lshlrev_b32_e32 v3, 16, v6
	s_addc_u32 s1, s3, s1
	s_lshl_b32 s2, s34, 6
	v_add_f32_e32 v2, v2, v3
	v_and_b32_e32 v2, 0xffff0000, v2
	v_lshlrev_b32_e32 v3, 16, v8
	s_mul_i32 s3, s2, s33
	v_add_f32_e32 v6, v2, v3
	v_or_b32_e32 v2, s3, v0
	v_mov_b32_e32 v3, 0
	s_add_i32 s3, s3, s2
	v_lshl_add_u64 v[4:5], v[2:3], 1, s[0:1]
	v_or_b32_e32 v2, s3, v0
	s_add_i32 s3, s3, s2
	global_store_short_d16_hi v[4:5], v6, off
	v_lshl_add_u64 v[4:5], v[2:3], 1, s[0:1]
	v_or_b32_e32 v2, s3, v0
	global_store_short_d16_hi v[4:5], v1, off
	v_lshl_add_u64 v[0:1], v[2:3], 1, s[0:1]
	global_store_short_d16_hi v[0:1], v7, off
.LBB442_25:
	s_endpgm
	.section	.rodata,"a",@progbits
	.p2align	6, 0x0
	.amdhsa_kernel _Z38paged_attention_ll4mi_QKV_mfma4_kernelI14__hip_bfloat16S0_LN4vllm18Fp8KVCacheDataTypeE0ES0_Li16ELi64ELi256ELb1ELi3EEvPKT_PKT0_S8_ifPKiSA_SA_iPKfiiiPfSD_PS3_PT2_iSC_SC_
		.amdhsa_group_segment_fixed_size 2720
		.amdhsa_private_segment_fixed_size 0
		.amdhsa_kernarg_size 400
		.amdhsa_user_sgpr_count 2
		.amdhsa_user_sgpr_dispatch_ptr 0
		.amdhsa_user_sgpr_queue_ptr 0
		.amdhsa_user_sgpr_kernarg_segment_ptr 1
		.amdhsa_user_sgpr_dispatch_id 0
		.amdhsa_user_sgpr_kernarg_preload_length 0
		.amdhsa_user_sgpr_kernarg_preload_offset 0
		.amdhsa_user_sgpr_private_segment_size 0
		.amdhsa_uses_dynamic_stack 0
		.amdhsa_enable_private_segment 0
		.amdhsa_system_sgpr_workgroup_id_x 1
		.amdhsa_system_sgpr_workgroup_id_y 1
		.amdhsa_system_sgpr_workgroup_id_z 1
		.amdhsa_system_sgpr_workgroup_info 0
		.amdhsa_system_vgpr_workitem_id 0
		.amdhsa_next_free_vgpr 72
		.amdhsa_next_free_sgpr 40
		.amdhsa_accum_offset 68
		.amdhsa_reserve_vcc 1
		.amdhsa_float_round_mode_32 0
		.amdhsa_float_round_mode_16_64 0
		.amdhsa_float_denorm_mode_32 3
		.amdhsa_float_denorm_mode_16_64 3
		.amdhsa_dx10_clamp 1
		.amdhsa_ieee_mode 1
		.amdhsa_fp16_overflow 0
		.amdhsa_tg_split 0
		.amdhsa_exception_fp_ieee_invalid_op 0
		.amdhsa_exception_fp_denorm_src 0
		.amdhsa_exception_fp_ieee_div_zero 0
		.amdhsa_exception_fp_ieee_overflow 0
		.amdhsa_exception_fp_ieee_underflow 0
		.amdhsa_exception_fp_ieee_inexact 0
		.amdhsa_exception_int_div_zero 0
	.end_amdhsa_kernel
	.section	.text._Z38paged_attention_ll4mi_QKV_mfma4_kernelI14__hip_bfloat16S0_LN4vllm18Fp8KVCacheDataTypeE0ES0_Li16ELi64ELi256ELb1ELi3EEvPKT_PKT0_S8_ifPKiSA_SA_iPKfiiiPfSD_PS3_PT2_iSC_SC_,"axG",@progbits,_Z38paged_attention_ll4mi_QKV_mfma4_kernelI14__hip_bfloat16S0_LN4vllm18Fp8KVCacheDataTypeE0ES0_Li16ELi64ELi256ELb1ELi3EEvPKT_PKT0_S8_ifPKiSA_SA_iPKfiiiPfSD_PS3_PT2_iSC_SC_,comdat
.Lfunc_end442:
	.size	_Z38paged_attention_ll4mi_QKV_mfma4_kernelI14__hip_bfloat16S0_LN4vllm18Fp8KVCacheDataTypeE0ES0_Li16ELi64ELi256ELb1ELi3EEvPKT_PKT0_S8_ifPKiSA_SA_iPKfiiiPfSD_PS3_PT2_iSC_SC_, .Lfunc_end442-_Z38paged_attention_ll4mi_QKV_mfma4_kernelI14__hip_bfloat16S0_LN4vllm18Fp8KVCacheDataTypeE0ES0_Li16ELi64ELi256ELb1ELi3EEvPKT_PKT0_S8_ifPKiSA_SA_iPKfiiiPfSD_PS3_PT2_iSC_SC_
                                        ; -- End function
	.section	.AMDGPU.csdata,"",@progbits
; Kernel info:
; codeLenInByte = 3456
; NumSgprs: 46
; NumVgprs: 68
; NumAgprs: 4
; TotalNumVgprs: 72
; ScratchSize: 0
; MemoryBound: 0
; FloatMode: 240
; IeeeMode: 1
; LDSByteSize: 2720 bytes/workgroup (compile time only)
; SGPRBlocks: 5
; VGPRBlocks: 8
; NumSGPRsForWavesPerEU: 46
; NumVGPRsForWavesPerEU: 72
; AccumOffset: 68
; Occupancy: 7
; WaveLimiterHint : 1
; COMPUTE_PGM_RSRC2:SCRATCH_EN: 0
; COMPUTE_PGM_RSRC2:USER_SGPR: 2
; COMPUTE_PGM_RSRC2:TRAP_HANDLER: 0
; COMPUTE_PGM_RSRC2:TGID_X_EN: 1
; COMPUTE_PGM_RSRC2:TGID_Y_EN: 1
; COMPUTE_PGM_RSRC2:TGID_Z_EN: 1
; COMPUTE_PGM_RSRC2:TIDIG_COMP_CNT: 0
; COMPUTE_PGM_RSRC3_GFX90A:ACCUM_OFFSET: 16
; COMPUTE_PGM_RSRC3_GFX90A:TG_SPLIT: 0
	.section	.text._Z38paged_attention_ll4mi_QKV_mfma4_kernelI14__hip_bfloat16S0_LN4vllm18Fp8KVCacheDataTypeE0ES0_Li16ELi64ELi256ELb1ELi4EEvPKT_PKT0_S8_ifPKiSA_SA_iPKfiiiPfSD_PS3_PT2_iSC_SC_,"axG",@progbits,_Z38paged_attention_ll4mi_QKV_mfma4_kernelI14__hip_bfloat16S0_LN4vllm18Fp8KVCacheDataTypeE0ES0_Li16ELi64ELi256ELb1ELi4EEvPKT_PKT0_S8_ifPKiSA_SA_iPKfiiiPfSD_PS3_PT2_iSC_SC_,comdat
	.protected	_Z38paged_attention_ll4mi_QKV_mfma4_kernelI14__hip_bfloat16S0_LN4vllm18Fp8KVCacheDataTypeE0ES0_Li16ELi64ELi256ELb1ELi4EEvPKT_PKT0_S8_ifPKiSA_SA_iPKfiiiPfSD_PS3_PT2_iSC_SC_ ; -- Begin function _Z38paged_attention_ll4mi_QKV_mfma4_kernelI14__hip_bfloat16S0_LN4vllm18Fp8KVCacheDataTypeE0ES0_Li16ELi64ELi256ELb1ELi4EEvPKT_PKT0_S8_ifPKiSA_SA_iPKfiiiPfSD_PS3_PT2_iSC_SC_
	.globl	_Z38paged_attention_ll4mi_QKV_mfma4_kernelI14__hip_bfloat16S0_LN4vllm18Fp8KVCacheDataTypeE0ES0_Li16ELi64ELi256ELb1ELi4EEvPKT_PKT0_S8_ifPKiSA_SA_iPKfiiiPfSD_PS3_PT2_iSC_SC_
	.p2align	8
	.type	_Z38paged_attention_ll4mi_QKV_mfma4_kernelI14__hip_bfloat16S0_LN4vllm18Fp8KVCacheDataTypeE0ES0_Li16ELi64ELi256ELb1ELi4EEvPKT_PKT0_S8_ifPKiSA_SA_iPKfiiiPfSD_PS3_PT2_iSC_SC_,@function
_Z38paged_attention_ll4mi_QKV_mfma4_kernelI14__hip_bfloat16S0_LN4vllm18Fp8KVCacheDataTypeE0ES0_Li16ELi64ELi256ELb1ELi4EEvPKT_PKT0_S8_ifPKiSA_SA_iPKfiiiPfSD_PS3_PT2_iSC_SC_: ; @_Z38paged_attention_ll4mi_QKV_mfma4_kernelI14__hip_bfloat16S0_LN4vllm18Fp8KVCacheDataTypeE0ES0_Li16ELi64ELi256ELb1ELi4EEvPKT_PKT0_S8_ifPKiSA_SA_iPKfiiiPfSD_PS3_PT2_iSC_SC_
; %bb.0:
	s_load_dwordx2 s[8:9], s[0:1], 0x30
	s_mov_b32 s20, s3
	s_mov_b64 s[6:7], 0
	s_waitcnt lgkmcnt(0)
	s_cmp_lg_u64 s[8:9], 0
	s_cselect_b64 s[10:11], -1, 0
	s_and_b64 vcc, exec, s[10:11]
	s_cbranch_vccz .LBB443_18
; %bb.1:
	s_add_i32 s12, s2, 1
	s_mov_b32 s13, 0
	s_lshl_b64 s[14:15], s[12:13], 2
	s_add_u32 s14, s8, s14
	s_mov_b32 s3, s13
	s_addc_u32 s15, s9, s15
	s_lshl_b64 s[12:13], s[2:3], 2
	s_add_u32 s12, s8, s12
	s_addc_u32 s13, s9, s13
	s_load_dword s5, s[14:15], 0x0
	s_load_dword s16, s[12:13], 0x0
	s_mov_b64 s[34:35], s[2:3]
	s_waitcnt lgkmcnt(0)
	s_sub_i32 s5, s5, s16
	s_cmp_eq_u32 s5, 1
	s_cselect_b64 s[12:13], -1, 0
	s_andn2_b64 vcc, exec, s[6:7]
	s_cbranch_vccnz .LBB443_3
.LBB443_2:
	s_mov_b32 s3, 0
	s_mov_b64 s[12:13], -1
	s_mov_b64 s[34:35], s[2:3]
.LBB443_3:
	s_andn2_b64 vcc, exec, s[12:13]
	s_cbranch_vccnz .LBB443_17
; %bb.4:
	s_load_dword s3, s[0:1], 0x9c
	s_load_dwordx2 s[6:7], s[0:1], 0x28
	s_add_u32 s24, s0, 0x90
	s_addc_u32 s25, s1, 0
	s_lshl_b64 s[36:37], s[34:35], 2
	s_waitcnt lgkmcnt(0)
	s_and_b32 s5, s3, 0xffff
	s_add_u32 s6, s6, s36
	s_addc_u32 s7, s7, s37
	s_load_dword s3, s[6:7], 0x0
	s_mul_i32 s5, s20, s5
	s_waitcnt lgkmcnt(0)
	s_cmp_ge_i32 s5, s3
	s_cbranch_scc1 .LBB443_17
; %bb.5:
	v_and_b32_e32 v2, 0xc0, v0
	v_and_b32_e32 v41, 3, v0
	s_lshl_b32 s33, s4, 2
	v_add_u32_e32 v4, s5, v2
	v_lshrrev_b32_e32 v1, 6, v0
	v_cmp_gt_i32_e64 s[6:7], s3, v4
	v_cmp_le_i32_e32 vcc, s3, v4
	v_or_b32_e32 v34, s33, v41
                                        ; implicit-def: $sgpr17
                                        ; implicit-def: $sgpr16
	s_and_saveexec_b64 s[12:13], vcc
	s_xor_b64 s[12:13], exec, s[12:13]
	s_cbranch_execz .LBB443_7
; %bb.6:
	v_mul_u32_u24_e32 v2, 20, v1
	v_or_b32_e32 v2, 0xa00, v2
	v_mov_b32_e32 v3, 0xa50
	v_mov_b32_e32 v4, 0xff7fffff
	v_mad_u32_u24 v3, v1, 20, v3
	ds_write2_b32 v2, v4, v4 offset1:1
	v_mov_b32_e32 v2, 0
	ds_write2_b32 v3, v2, v2 offset1:1
	v_mov_b32_e32 v3, 0xa08
	s_mov_b32 s16, 0xff7fffff
	s_mov_b32 s17, 0
	v_mad_u32_u24 v3, v1, 20, v3
	v_mov_b32_e32 v5, 0xa58
	v_or_b32_e32 v34, s33, v41
	v_mad_u32_u24 v5, v1, 20, v5
	ds_write2_b32 v3, v4, v4 offset1:1
	ds_write2_b32 v5, v2, v2 offset1:1
                                        ; implicit-def: $vgpr4
.LBB443_7:
	s_or_saveexec_b64 s[26:27], s[12:13]
	s_load_dwordx2 s[22:23], s[0:1], 0x68
	s_load_dwordx4 s[12:15], s[0:1], 0x58
	s_load_dword s40, s[24:25], 0x4
	v_and_b32_e32 v40, 63, v0
	v_mov_b32_e32 v39, s17
	v_mov_b32_e32 v42, s16
	;; [unrolled: 1-line block ×5, first 2 shown]
                                        ; implicit-def: $vgpr3
                                        ; implicit-def: $vgpr7
                                        ; implicit-def: $vgpr11
                                        ; implicit-def: $vgpr15
                                        ; implicit-def: $vgpr19
                                        ; implicit-def: $vgpr23
                                        ; implicit-def: $vgpr27
                                        ; implicit-def: $vgpr31
	s_xor_b64 exec, exec, s[26:27]
	s_cbranch_execz .LBB443_13
; %bb.8:
	s_add_i32 s19, s3, 15
	s_ashr_i32 s21, s19, 31
	s_lshr_b32 s21, s21, 28
	v_add_u32_e32 v2, s5, v0
	s_add_i32 s19, s19, s21
	v_ashrrev_i32_e32 v3, 31, v2
	s_load_dwordx2 s[16:17], s[0:1], 0x20
	s_load_dword s18, s[0:1], 0x38
	s_ashr_i32 s19, s19, 4
	v_lshrrev_b32_e32 v3, 28, v3
	s_add_i32 s21, s19, -1
	v_add_u32_e32 v3, v2, v3
	v_ashrrev_i32_e32 v3, 4, v3
	v_mov_b32_e32 v5, s21
	v_cmp_gt_i32_e32 vcc, s3, v2
	s_waitcnt lgkmcnt(0)
	s_mul_i32 s38, s2, s18
	s_mov_b32 s39, 0
	v_cndmask_b32_e32 v6, v5, v3, vcc
	v_ashrrev_i32_e32 v3, 31, v4
	v_lshrrev_b32_e32 v3, 28, v3
	v_add_u32_e32 v3, v4, v3
	s_lshl_b64 s[18:19], s[38:39], 2
	v_ashrrev_i32_e32 v3, 4, v3
	s_add_u32 s16, s16, s18
	v_min_i32_e32 v4, s21, v3
	s_addc_u32 s17, s17, s19
	v_ashrrev_i32_e32 v5, 31, v4
	v_lshl_add_u64 v[10:11], v[4:5], 2, s[16:17]
	v_add_u32_e32 v4, 1, v3
	v_min_i32_e32 v4, s21, v4
	v_ashrrev_i32_e32 v5, 31, v4
	v_lshl_add_u64 v[12:13], v[4:5], 2, s[16:17]
	v_add_u32_e32 v4, 2, v3
	v_min_i32_e32 v4, s21, v4
	v_ashrrev_i32_e32 v5, 31, v4
	v_add_u32_e32 v3, 3, v3
	v_ashrrev_i32_e32 v7, 31, v6
	v_lshl_add_u64 v[14:15], v[4:5], 2, s[16:17]
	v_min_i32_e32 v4, s21, v3
	v_lshl_add_u64 v[8:9], v[6:7], 2, s[16:17]
	v_ashrrev_i32_e32 v5, 31, v4
	v_lshl_add_u64 v[16:17], v[4:5], 2, s[16:17]
	global_load_dword v7, v[8:9], off
	global_load_dword v6, v[10:11], off
	;; [unrolled: 1-line block ×5, first 2 shown]
	s_load_dwordx2 s[30:31], s[0:1], 0x40
	s_load_dwordx4 s[16:19], s[0:1], 0x0
	s_load_dwordx2 s[28:29], s[0:1], 0x10
	s_andn2_b64 vcc, exec, s[10:11]
	s_cbranch_vccnz .LBB443_10
; %bb.9:
	s_add_u32 s8, s8, s36
	s_addc_u32 s9, s9, s37
	s_load_dword s38, s[8:9], 0x0
	s_waitcnt lgkmcnt(0)
	s_mov_b64 s[34:35], s[38:39]
.LBB443_10:
	s_load_dwordx4 s[8:11], s[0:1], 0x48
	v_lshrrev_b32_e32 v8, 2, v40
	v_lshlrev_b32_e32 v9, 3, v41
	v_add_lshl_u32 v8, v9, v8, 4
	v_mov_b32_e32 v33, 0
	s_waitcnt lgkmcnt(0)
	s_ashr_i32 s5, s8, 31
	s_mul_hi_u32 s11, s34, s8
	s_mul_i32 s5, s34, s5
	s_mul_i32 s21, s35, s8
	s_add_i32 s5, s11, s5
	s_mul_i32 s36, s34, s8
	s_add_i32 s37, s5, s21
	s_lshl_b64 s[34:35], s[36:37], 1
	s_add_u32 s5, s16, s34
	s_addc_u32 s8, s17, s35
	s_lshl_b32 s38, s4, 8
	s_lshl_b64 s[16:17], s[38:39], 1
	s_add_u32 s16, s5, s16
	s_addc_u32 s17, s8, s17
	global_load_dwordx4 v[36:39], v8, s[16:17]
	s_mul_i32 s38, s4, s10
	s_lshl_b64 s[4:5], s[38:39], 1
	s_add_u32 s10, s4, s18
	s_waitcnt vmcnt(5)
	v_mad_i64_i32 v[8:9], s[16:17], v7, s9, 0
	s_addc_u32 s11, s5, s19
	v_and_b32_e32 v7, 15, v0
	v_lshl_add_u64 v[8:9], v[8:9], 1, s[10:11]
	v_lshlrev_b32_e32 v32, 4, v7
	v_lshl_add_u64 v[46:47], v[8:9], 0, v[32:33]
	global_load_dwordx4 v[8:11], v[46:47], off
	global_load_dwordx4 v[12:15], v[46:47], off offset:256
	global_load_dwordx4 v[16:19], v[46:47], off offset:512
	;; [unrolled: 1-line block ×6, first 2 shown]
	v_mov_b32_e32 v35, v33
	global_load_dwordx4 v[46:49], v[46:47], off offset:1792
	v_lshl_add_u64 v[50:51], v[34:35], 2, s[30:31]
	global_load_dword v70, v[50:51], off
	v_and_b32_e32 v62, -4, v2
	v_lshlrev_b32_e32 v7, 2, v0
	v_or_b32_e32 v64, 3, v2
	s_waitcnt vmcnt(13)
	v_mul_hi_i32 v2, v6, s9
	s_waitcnt vmcnt(11)
	v_mul_hi_i32 v32, v4, s9
	s_add_u32 s4, s28, s4
	v_and_or_b32 v66, v7, 48, v41
	v_mul_hi_i32 v7, v5, s9
	s_waitcnt vmcnt(10)
	v_mul_hi_i32 v50, v3, s9
	v_ashrrev_i32_e32 v2, 31, v2
	v_ashrrev_i32_e32 v54, 31, v32
	s_addc_u32 s5, s29, s5
	v_lshlrev_b32_e32 v32, 5, v40
	v_ashrrev_i32_e32 v52, 31, v7
	v_ashrrev_i32_e32 v55, 31, v50
	v_lshl_add_u64 v[50:51], s[4:5], 0, v[32:33]
	v_lshrrev_b32_e32 v32, 29, v2
	v_mad_i64_i32 v[6:7], s[4:5], v6, s9, v[32:33]
	v_lshrrev_b32_e32 v32, 29, v52
	v_mad_i64_i32 v[52:53], s[4:5], v5, s9, v[32:33]
	v_lshrrev_b32_e32 v32, 29, v54
	v_lshlrev_b64 v[52:53], 1, v[52:53]
	v_mad_i64_i32 v[4:5], s[4:5], v4, s9, v[32:33]
	v_lshrrev_b32_e32 v32, 29, v55
	v_lshlrev_b64 v[6:7], 1, v[6:7]
	v_and_b32_e32 v52, -16, v52
	v_and_b32_e32 v6, -16, v6
	v_lshlrev_b64 v[56:57], 1, v[4:5]
	v_lshl_add_u64 v[54:55], v[50:51], 0, v[6:7]
	v_and_b32_e32 v56, -16, v56
	s_load_dword s0, s[0:1], 0x1c
	v_cmp_eq_u32_e32 vcc, 0, v41
	v_subrev_u32_e32 v65, s3, v62
	v_add_u32_e32 v35, 1, v65
	v_cndmask_b32_e64 v58, 0, 1.0, vcc
	v_cmp_eq_u32_e32 vcc, 1, v41
	v_cvt_f32_i32_e32 v35, v35
	v_add_u32_e32 v69, 2, v65
	v_cndmask_b32_e64 v59, 0, 1.0, vcc
	v_cmp_eq_u32_e32 vcc, 2, v41
	v_mov_b32_e32 v63, 0xff7fffff
	v_or_b32_e32 v67, 1, v62
	v_cndmask_b32_e64 v60, 0, 1.0, vcc
	v_cmp_eq_u32_e32 vcc, 3, v41
	v_or_b32_e32 v68, 2, v62
	s_waitcnt vmcnt(8)
	v_mfma_f32_4x4x4_16b_bf16 a[0:3], v[36:37], v[8:9], 0 cbsz:4
	v_cndmask_b32_e64 v61, 0, 1.0, vcc
	s_nop 0
	v_mfma_f32_4x4x4_16b_bf16 a[0:3], v[38:39], v[10:11], a[0:3] cbsz:4
	v_mad_i64_i32 v[10:11], s[4:5], v3, s9, v[32:33]
	s_waitcnt vmcnt(7)
	v_mfma_f32_4x4x4_16b_bf16 a[0:3], v[36:37], v[12:13], a[0:3] cbsz:4 abid:1
	v_lshl_add_u64 v[32:33], v[50:51], 0, v[52:53]
	v_lshlrev_b64 v[52:53], 1, v[10:11]
	v_mfma_f32_4x4x4_16b_bf16 a[0:3], v[38:39], v[14:15], a[0:3] cbsz:4 abid:1
	v_and_b32_e32 v52, -16, v52
	global_load_dwordx4 v[2:5], v[54:55], off
	global_load_dwordx4 v[6:9], v[54:55], off offset:16
	s_waitcnt vmcnt(8)
	v_mfma_f32_4x4x4_16b_bf16 a[0:3], v[36:37], v[16:17], a[0:3] cbsz:4 abid:2
	global_load_dwordx4 v[10:13], v[32:33], off
	global_load_dwordx4 v[14:17], v[32:33], off offset:16
	v_mfma_f32_4x4x4_16b_bf16 a[0:3], v[38:39], v[18:19], a[0:3] cbsz:4 abid:2
	v_lshl_add_u64 v[32:33], v[50:51], 0, v[56:57]
	v_lshl_add_u64 v[50:51], v[50:51], 0, v[52:53]
	s_waitcnt vmcnt(9)
	v_mfma_f32_4x4x4_16b_bf16 a[0:3], v[36:37], v[20:21], a[0:3] cbsz:4 abid:3
	v_cmp_gt_i32_e32 vcc, s3, v62
	v_cmp_gt_i32_e64 s[4:5], s3, v68
	v_mfma_f32_4x4x4_16b_bf16 a[0:3], v[38:39], v[22:23], a[0:3] cbsz:4 abid:3
	v_cmp_gt_i32_e64 s[8:9], s3, v64
	s_waitcnt vmcnt(8)
	v_mfma_f32_4x4x4_16b_bf16 a[0:3], v[36:37], v[24:25], a[0:3] cbsz:4 abid:4
	global_load_dwordx4 v[18:21], v[32:33], off
	global_load_dwordx4 v[22:25], v[32:33], off offset:16
	v_mfma_f32_4x4x4_16b_bf16 a[0:3], v[38:39], v[26:27], a[0:3] cbsz:4 abid:4
	s_waitcnt vmcnt(9)
	s_nop 0
	v_mfma_f32_4x4x4_16b_bf16 a[0:3], v[36:37], v[28:29], a[0:3] cbsz:4 abid:5
	s_nop 1
	v_mfma_f32_4x4x4_16b_bf16 a[0:3], v[38:39], v[30:31], a[0:3] cbsz:4 abid:5
	global_load_dwordx4 v[26:29], v[50:51], off
	global_load_dwordx4 v[30:33], v[50:51], off offset:16
	s_waitcnt vmcnt(10)
	v_mfma_f32_4x4x4_16b_bf16 a[0:3], v[36:37], v[42:43], a[0:3] cbsz:4 abid:6
	v_add_u32_e32 v43, 4, v65
	v_add_u32_e32 v42, 3, v65
	v_mfma_f32_4x4x4_16b_bf16 a[0:3], v[38:39], v[44:45], a[0:3] cbsz:4 abid:6
	s_waitcnt vmcnt(9)
	s_nop 0
	v_mfma_f32_4x4x4_16b_bf16 a[0:3], v[36:37], v[46:47], a[0:3] cbsz:4 abid:7
	s_nop 1
	v_mfma_f32_4x4x4_16b_bf16 a[0:3], v[38:39], v[48:49], a[0:3] cbsz:4 abid:7
	s_nop 4
	v_accvgpr_read_b32 v37, a1
	v_accvgpr_read_b32 v36, a0
	s_waitcnt lgkmcnt(0)
	v_pk_mul_f32 v[36:37], s[0:1], v[36:37] op_sel_hi:[0,1]
	v_accvgpr_read_b32 v39, a3
	v_accvgpr_read_b32 v38, a2
	v_pk_mul_f32 v[38:39], s[0:1], v[38:39] op_sel_hi:[0,1]
	v_mfma_f32_4x4x1_16b_f32 a[0:3], v36, v58, 0
	v_cvt_f32_i32_e32 v36, v69
	s_nop 0
	v_mfma_f32_4x4x1_16b_f32 a[0:3], v37, v59, a[0:3]
	v_cvt_f32_i32_e32 v37, v42
	v_cmp_gt_i32_e64 s[0:1], s3, v67
	v_mfma_f32_4x4x1_16b_f32 a[0:3], v38, v60, a[0:3]
	v_cvt_f32_i32_e32 v38, v43
	s_nop 0
	v_mfma_f32_4x4x1_16b_f32 a[0:3], v39, v61, a[0:3]
	s_nop 3
	v_accvgpr_read_b32 v39, a0
	v_accvgpr_read_b32 v44, a3
	s_waitcnt vmcnt(8)
	v_fma_f32 v35, v70, v35, v39
	v_accvgpr_read_b32 v42, a1
	v_fmac_f32_e32 v44, v70, v38
	v_max_f32_e32 v38, 0xff7fffff, v35
	v_fma_f32 v36, v70, v36, v42
	v_cndmask_b32_e32 v38, v63, v38, vcc
	v_accvgpr_read_b32 v43, a2
	v_max_f32_e32 v39, v38, v36
	v_fma_f32 v37, v70, v37, v43
	v_cndmask_b32_e64 v38, v38, v39, s[0:1]
	v_max_f32_e32 v39, v38, v37
	v_cndmask_b32_e64 v38, v38, v39, s[4:5]
	v_max_f32_e32 v39, v38, v44
	v_cndmask_b32_e64 v38, v38, v39, s[8:9]
	;;#ASMSTART
	v_nop
 v_nop
 v_max_f32_dpp v38, v38, v38 row_ror:4
	;;#ASMEND
	v_lshlrev_b32_e32 v43, 2, v66
	;;#ASMSTART
	v_nop
 v_nop
 v_max_f32_dpp v38, v38, v38 row_ror:8
	;;#ASMEND
	ds_bpermute_b32 v38, v43, v38
	s_waitcnt lgkmcnt(0)
	;;#ASMSTART
	v_nop
 v_nop
 v_max_f32_dpp v38, v38, v38 row_ror:4
	;;#ASMEND
	s_nop 0
	;;#ASMSTART
	v_nop
 v_nop
 v_max_f32_dpp v42, v38, v38 row_ror:8
	;;#ASMEND
	s_nop 0
	v_sub_f32_e32 v36, v36, v42
	v_mul_f32_e32 v36, 0x3fb8aa3b, v36
	v_exp_f32_e32 v38, v36
	v_sub_f32_e32 v35, v35, v42
	v_mul_f32_e32 v35, 0x3fb8aa3b, v35
	v_sub_f32_e32 v36, v37, v42
	v_exp_f32_e32 v35, v35
	v_mul_f32_e32 v39, 0x3fb8aa3b, v36
	v_cndmask_b32_e64 v37, 0, v38, s[0:1]
	v_exp_f32_e32 v38, v39
	v_sub_f32_e32 v39, v44, v42
	v_mul_f32_e32 v39, 0x3fb8aa3b, v39
	v_exp_f32_e32 v39, v39
	v_cndmask_b32_e32 v36, 0, v35, vcc
	v_add_f32_e32 v35, 0, v36
	v_add_f32_e32 v35, v35, v37
	v_cndmask_b32_e64 v38, 0, v38, s[4:5]
	v_add_f32_e32 v35, v35, v38
	v_cndmask_b32_e64 v39, 0, v39, s[8:9]
	v_add_f32_e32 v35, v35, v39
	;;#ASMSTART
	v_nop
 v_nop
 v_add_f32_dpp v35, v35, v35 row_ror:4
	;;#ASMEND
	v_cmp_gt_u32_e32 vcc, 4, v40
	;;#ASMSTART
	v_nop
 v_nop
 v_add_f32_dpp v35, v35, v35 row_ror:8
	;;#ASMEND
	ds_bpermute_b32 v35, v43, v35
	s_waitcnt lgkmcnt(0)
	;;#ASMSTART
	v_nop
 v_nop
 v_add_f32_dpp v35, v35, v35 row_ror:4
	;;#ASMEND
	s_nop 0
	;;#ASMSTART
	v_nop
 v_nop
 v_add_f32_dpp v35, v35, v35 row_ror:8
	;;#ASMEND
	s_and_saveexec_b64 s[0:1], vcc
	s_cbranch_execz .LBB443_12
; %bb.11:
	v_mul_u32_u24_e32 v43, 20, v1
	v_lshl_add_u32 v43, v41, 2, v43
	v_add_u32_e32 v43, 0x800, v43
	ds_write2_b32 v43, v42, v35 offset0:128 offset1:148
.LBB443_12:
	s_or_b64 exec, exec, s[0:1]
.LBB443_13:
	s_or_b64 exec, exec, s[26:27]
	v_lshlrev_b32_e32 v35, 2, v41
	v_add_u32_e32 v35, 0x800, v35
	s_waitcnt lgkmcnt(0)
	s_barrier
	s_load_dword s0, s[24:25], 0x8
	ds_read2_b32 v[44:45], v35 offset0:128 offset1:133
	ds_read2_b32 v[46:47], v35 offset0:138 offset1:143
	s_mov_b32 s4, 0xff7fffff
	s_mul_i32 s1, s2, s40
	ds_read2_b32 v[48:49], v35 offset0:148 offset1:153
	s_waitcnt lgkmcnt(0)
	v_max3_f32 v41, v44, s4, v45
	s_mul_i32 s1, s1, s0
	v_max3_f32 v41, v41, v46, v47
	s_lshl_b32 s0, s1, 2
	s_mov_b32 s1, 0
	v_sub_f32_e32 v43, v44, v41
	v_sub_f32_e32 v44, v45, v41
	s_lshl_b64 s[2:3], s[0:1], 2
	v_mul_f32_e32 v43, 0x3fb8aa3b, v43
	v_mul_f32_e32 v44, 0x3fb8aa3b, v44
	s_mov_b32 s21, s1
	s_add_u32 s1, s12, s2
	v_exp_f32_e32 v43, v43
	v_exp_f32_e32 v50, v44
	ds_read2_b32 v[44:45], v35 offset0:158 offset1:163
	v_sub_f32_e32 v35, v46, v41
	s_addc_u32 s8, s13, s3
	v_mul_f32_e32 v35, 0x3fb8aa3b, v35
	v_sub_f32_e32 v46, v47, v41
	s_add_u32 s4, s14, s2
	v_exp_f32_e32 v35, v35
	v_mul_f32_e32 v46, 0x3fb8aa3b, v46
	s_addc_u32 s5, s15, s3
	s_lshl_b64 s[2:3], s[20:21], 2
	v_exp_f32_e32 v46, v46
	s_add_u32 s4, s4, s2
	v_fma_f32 v43, v43, v48, 0
	s_addc_u32 s5, s5, s3
	v_fmac_f32_e32 v43, v50, v49
	s_waitcnt lgkmcnt(0)
	v_fmac_f32_e32 v43, v35, v44
	s_add_u32 s2, s1, s2
	v_mul_lo_u32 v34, s40, v34
	v_mov_b32_e32 v35, 0
	v_fmac_f32_e32 v43, v46, v45
	s_addc_u32 s3, s8, s3
	v_lshlrev_b64 v[44:45], 2, v[34:35]
	v_lshl_add_u64 v[46:47], s[4:5], 0, v[44:45]
	v_lshl_add_u64 v[44:45], s[2:3], 0, v[44:45]
	v_mov_b32_e32 v34, v35
	global_store_dword v[46:47], v41, off
	global_store_dword v[44:45], v43, off
	s_and_saveexec_b64 s[2:3], s[6:7]
	s_cbranch_execz .LBB443_15
; %bb.14:
	v_add_f32_e32 v34, 0x358637bd, v43
	v_div_scale_f32 v35, s[4:5], v34, v34, 1.0
	v_rcp_f32_e32 v43, v35
	v_div_scale_f32 v44, vcc, 1.0, v34, 1.0
	v_sub_f32_e32 v41, v42, v41
	v_fma_f32 v45, -v35, v43, 1.0
	v_fmac_f32_e32 v43, v45, v43
	v_mul_f32_e32 v45, v44, v43
	v_fma_f32 v46, -v35, v45, v44
	v_mul_f32_e32 v41, 0x3fb8aa3b, v41
	v_fmac_f32_e32 v45, v46, v43
	v_exp_f32_e32 v41, v41
	v_fma_f32 v35, -v35, v45, v44
	v_div_fmas_f32 v35, v35, v43, v45
	v_div_fixup_f32 v34, v35, v34, 1.0
	v_mul_f32_e32 v34, v41, v34
	v_pk_mul_f32 v[38:39], v[38:39], v[34:35] op_sel_hi:[1,0]
	v_pk_mul_f32 v[34:35], v[36:37], v[34:35] op_sel_hi:[1,0]
	s_movk_i32 s1, 0x7fff
	v_bfe_u32 v36, v35, 16, 1
	v_bfe_u32 v37, v34, 16, 1
	v_add3_u32 v34, v34, v37, s1
	v_add3_u32 v35, v35, v36, s1
	s_mov_b32 s4, 0x7060302
	v_perm_b32 v34, v35, v34, s4
	v_bfe_u32 v35, v39, 16, 1
	v_bfe_u32 v36, v38, 16, 1
	v_add3_u32 v36, v38, v36, s1
	v_add3_u32 v35, v39, v35, s1
	v_perm_b32 v35, v35, v36, s4
	s_waitcnt vmcnt(9)
	s_nop 0
	v_mfma_f32_4x4x4_16b_bf16 a[0:3], v[34:35], v[2:3], 0 cbsz:4
	s_nop 1
	v_mfma_f32_4x4x4_16b_bf16 a[0:3], v[34:35], v[4:5], a[0:3] cbsz:4 abid:1
	s_waitcnt vmcnt(8)
	s_nop 0
	v_mfma_f32_4x4x4_16b_bf16 a[0:3], v[34:35], v[6:7], a[0:3] cbsz:4 abid:2
	s_nop 1
	v_mfma_f32_4x4x4_16b_bf16 a[0:3], v[34:35], v[8:9], a[0:3] cbsz:4 abid:3
	s_waitcnt vmcnt(7)
	s_nop 0
	v_mfma_f32_4x4x4_16b_bf16 a[0:3], v[34:35], v[10:11], a[0:3] cbsz:4 abid:4
	;; [unrolled: 5-line block ×7, first 2 shown]
	s_nop 1
	v_mfma_f32_4x4x4_16b_bf16 a[0:3], v[34:35], v[32:33], a[0:3] cbsz:4 abid:15
	s_nop 4
	v_accvgpr_read_b32 v5, a1
	v_accvgpr_read_b32 v2, a2
	;; [unrolled: 1-line block ×4, first 2 shown]
	v_bfe_u32 v6, v5, 16, 1
	v_bfe_u32 v7, v4, 16, 1
	;; [unrolled: 1-line block ×3, first 2 shown]
	v_add3_u32 v5, v5, v6, s1
	v_bfe_u32 v6, v2, 16, 1
	v_add3_u32 v4, v4, v7, s1
	v_add3_u32 v2, v2, v6, s1
	;; [unrolled: 1-line block ×3, first 2 shown]
	v_perm_b32 v35, v3, v2, s4
	v_perm_b32 v34, v5, v4, s4
.LBB443_15:
	s_or_b64 exec, exec, s[2:3]
	v_lshlrev_b32_e32 v1, 3, v1
	v_mad_u32_u24 v1, v40, 40, v1
	v_cmp_gt_u32_e32 vcc, 64, v0
	ds_write_b64 v1, v[34:35]
	s_waitcnt lgkmcnt(0)
	s_barrier
	s_and_saveexec_b64 s[2:3], vcc
	s_cbranch_execz .LBB443_17
; %bb.16:
	v_mul_u32_u24_e32 v1, 40, v40
	s_waitcnt vmcnt(9)
	ds_read2_b64 v[2:5], v1 offset1:1
	s_waitcnt vmcnt(8)
	ds_read2_b64 v[6:9], v1 offset0:2 offset1:3
	s_mov_b32 s1, 0
	s_lshl_b32 s0, s0, 6
	s_lshl_b64 s[2:3], s[0:1], 1
	s_waitcnt lgkmcnt(1)
	v_lshlrev_b32_e32 v1, 16, v2
	v_and_b32_e32 v2, 0xffff0000, v2
	v_add_f32_e32 v1, 0, v1
	v_add_f32_e32 v2, 0, v2
	s_waitcnt vmcnt(7)
	v_lshlrev_b32_e32 v10, 16, v3
	v_and_b32_e32 v3, 0xffff0000, v3
	v_and_b32_e32 v1, 0xffff0000, v1
	v_and_b32_e32 v2, 0xffff0000, v2
	v_add_f32_e32 v3, 0, v3
	v_lshlrev_b32_e32 v11, 16, v4
	v_and_b32_e32 v4, 0xffff0000, v4
	v_add_f32_e32 v10, 0, v10
	v_and_b32_e32 v3, 0xffff0000, v3
	v_add_f32_e32 v1, v1, v11
	v_add_f32_e32 v2, v2, v4
	v_lshlrev_b32_e32 v4, 16, v5
	v_and_b32_e32 v5, 0xffff0000, v5
	v_and_b32_e32 v10, 0xffff0000, v10
	;; [unrolled: 1-line block ×3, first 2 shown]
	v_add_f32_e32 v3, v3, v5
	s_waitcnt lgkmcnt(0)
	v_lshlrev_b32_e32 v5, 16, v6
	v_and_b32_e32 v2, 0xffff0000, v2
	v_add_f32_e32 v4, v10, v4
	v_add_f32_e32 v1, v1, v5
	v_and_b32_e32 v5, 0xffff0000, v6
	v_and_b32_e32 v4, 0xffff0000, v4
	v_add_f32_e32 v2, v2, v5
	v_lshlrev_b32_e32 v5, 16, v7
	s_add_u32 s2, s22, s2
	v_and_b32_e32 v3, 0xffff0000, v3
	v_add_f32_e32 v4, v4, v5
	v_and_b32_e32 v5, 0xffff0000, v7
	s_addc_u32 s3, s23, s3
	s_lshl_b32 s0, s20, 6
	v_and_b32_e32 v1, 0xffff0000, v1
	v_add_f32_e32 v3, v3, v5
	v_lshlrev_b32_e32 v5, 16, v8
	s_lshl_b64 s[0:1], s[0:1], 1
	v_and_b32_e32 v2, 0xffff0000, v2
	v_add_f32_e32 v1, v1, v5
	v_and_b32_e32 v5, 0xffff0000, v8
	s_add_u32 s0, s2, s0
	v_and_b32_e32 v4, 0xffff0000, v4
	v_add_f32_e32 v6, v2, v5
	v_lshlrev_b32_e32 v2, 16, v9
	s_addc_u32 s1, s3, s1
	s_lshl_b32 s2, s40, 6
	v_and_b32_e32 v3, 0xffff0000, v3
	v_add_f32_e32 v7, v4, v2
	v_and_b32_e32 v2, 0xffff0000, v9
	s_mul_i32 s3, s2, s33
	v_add_f32_e32 v8, v3, v2
	v_or_b32_e32 v2, s3, v0
	v_mov_b32_e32 v3, 0
	s_add_i32 s3, s3, s2
	v_lshl_add_u64 v[4:5], v[2:3], 1, s[0:1]
	v_or_b32_e32 v2, s3, v0
	s_add_i32 s3, s3, s2
	global_store_short_d16_hi v[4:5], v1, off
	v_lshl_add_u64 v[4:5], v[2:3], 1, s[0:1]
	v_or_b32_e32 v2, s3, v0
	s_add_i32 s3, s3, s2
	global_store_short_d16_hi v[4:5], v6, off
	v_lshl_add_u64 v[4:5], v[2:3], 1, s[0:1]
	v_or_b32_e32 v2, s3, v0
	v_lshl_add_u64 v[0:1], v[2:3], 1, s[0:1]
	global_store_short_d16_hi v[4:5], v7, off
	global_store_short_d16_hi v[0:1], v8, off
.LBB443_17:
	s_endpgm
.LBB443_18:
	s_mov_b64 s[12:13], 0
                                        ; implicit-def: $sgpr34_sgpr35
	s_branch .LBB443_2
	.section	.rodata,"a",@progbits
	.p2align	6, 0x0
	.amdhsa_kernel _Z38paged_attention_ll4mi_QKV_mfma4_kernelI14__hip_bfloat16S0_LN4vllm18Fp8KVCacheDataTypeE0ES0_Li16ELi64ELi256ELb1ELi4EEvPKT_PKT0_S8_ifPKiSA_SA_iPKfiiiPfSD_PS3_PT2_iSC_SC_
		.amdhsa_group_segment_fixed_size 2720
		.amdhsa_private_segment_fixed_size 0
		.amdhsa_kernarg_size 400
		.amdhsa_user_sgpr_count 2
		.amdhsa_user_sgpr_dispatch_ptr 0
		.amdhsa_user_sgpr_queue_ptr 0
		.amdhsa_user_sgpr_kernarg_segment_ptr 1
		.amdhsa_user_sgpr_dispatch_id 0
		.amdhsa_user_sgpr_kernarg_preload_length 0
		.amdhsa_user_sgpr_kernarg_preload_offset 0
		.amdhsa_user_sgpr_private_segment_size 0
		.amdhsa_uses_dynamic_stack 0
		.amdhsa_enable_private_segment 0
		.amdhsa_system_sgpr_workgroup_id_x 1
		.amdhsa_system_sgpr_workgroup_id_y 1
		.amdhsa_system_sgpr_workgroup_id_z 1
		.amdhsa_system_sgpr_workgroup_info 0
		.amdhsa_system_vgpr_workitem_id 0
		.amdhsa_next_free_vgpr 76
		.amdhsa_next_free_sgpr 41
		.amdhsa_accum_offset 72
		.amdhsa_reserve_vcc 1
		.amdhsa_float_round_mode_32 0
		.amdhsa_float_round_mode_16_64 0
		.amdhsa_float_denorm_mode_32 3
		.amdhsa_float_denorm_mode_16_64 3
		.amdhsa_dx10_clamp 1
		.amdhsa_ieee_mode 1
		.amdhsa_fp16_overflow 0
		.amdhsa_tg_split 0
		.amdhsa_exception_fp_ieee_invalid_op 0
		.amdhsa_exception_fp_denorm_src 0
		.amdhsa_exception_fp_ieee_div_zero 0
		.amdhsa_exception_fp_ieee_overflow 0
		.amdhsa_exception_fp_ieee_underflow 0
		.amdhsa_exception_fp_ieee_inexact 0
		.amdhsa_exception_int_div_zero 0
	.end_amdhsa_kernel
	.section	.text._Z38paged_attention_ll4mi_QKV_mfma4_kernelI14__hip_bfloat16S0_LN4vllm18Fp8KVCacheDataTypeE0ES0_Li16ELi64ELi256ELb1ELi4EEvPKT_PKT0_S8_ifPKiSA_SA_iPKfiiiPfSD_PS3_PT2_iSC_SC_,"axG",@progbits,_Z38paged_attention_ll4mi_QKV_mfma4_kernelI14__hip_bfloat16S0_LN4vllm18Fp8KVCacheDataTypeE0ES0_Li16ELi64ELi256ELb1ELi4EEvPKT_PKT0_S8_ifPKiSA_SA_iPKfiiiPfSD_PS3_PT2_iSC_SC_,comdat
.Lfunc_end443:
	.size	_Z38paged_attention_ll4mi_QKV_mfma4_kernelI14__hip_bfloat16S0_LN4vllm18Fp8KVCacheDataTypeE0ES0_Li16ELi64ELi256ELb1ELi4EEvPKT_PKT0_S8_ifPKiSA_SA_iPKfiiiPfSD_PS3_PT2_iSC_SC_, .Lfunc_end443-_Z38paged_attention_ll4mi_QKV_mfma4_kernelI14__hip_bfloat16S0_LN4vllm18Fp8KVCacheDataTypeE0ES0_Li16ELi64ELi256ELb1ELi4EEvPKT_PKT0_S8_ifPKiSA_SA_iPKfiiiPfSD_PS3_PT2_iSC_SC_
                                        ; -- End function
	.section	.AMDGPU.csdata,"",@progbits
; Kernel info:
; codeLenInByte = 3520
; NumSgprs: 47
; NumVgprs: 71
; NumAgprs: 4
; TotalNumVgprs: 76
; ScratchSize: 0
; MemoryBound: 0
; FloatMode: 240
; IeeeMode: 1
; LDSByteSize: 2720 bytes/workgroup (compile time only)
; SGPRBlocks: 5
; VGPRBlocks: 9
; NumSGPRsForWavesPerEU: 47
; NumVGPRsForWavesPerEU: 76
; AccumOffset: 72
; Occupancy: 6
; WaveLimiterHint : 1
; COMPUTE_PGM_RSRC2:SCRATCH_EN: 0
; COMPUTE_PGM_RSRC2:USER_SGPR: 2
; COMPUTE_PGM_RSRC2:TRAP_HANDLER: 0
; COMPUTE_PGM_RSRC2:TGID_X_EN: 1
; COMPUTE_PGM_RSRC2:TGID_Y_EN: 1
; COMPUTE_PGM_RSRC2:TGID_Z_EN: 1
; COMPUTE_PGM_RSRC2:TIDIG_COMP_CNT: 0
; COMPUTE_PGM_RSRC3_GFX90A:ACCUM_OFFSET: 17
; COMPUTE_PGM_RSRC3_GFX90A:TG_SPLIT: 0
	.section	.text._Z39paged_attention_ll4mi_QKV_mfma16_kernelI14__hip_bfloat16S0_LN4vllm18Fp8KVCacheDataTypeE0ES0_Li16ELi64ELi256ELb1ELi5EEvPKT_PKT0_S8_ifPKiSA_SA_iPKfiiiPfSD_PS3_PT2_iSC_SC_,"axG",@progbits,_Z39paged_attention_ll4mi_QKV_mfma16_kernelI14__hip_bfloat16S0_LN4vllm18Fp8KVCacheDataTypeE0ES0_Li16ELi64ELi256ELb1ELi5EEvPKT_PKT0_S8_ifPKiSA_SA_iPKfiiiPfSD_PS3_PT2_iSC_SC_,comdat
	.protected	_Z39paged_attention_ll4mi_QKV_mfma16_kernelI14__hip_bfloat16S0_LN4vllm18Fp8KVCacheDataTypeE0ES0_Li16ELi64ELi256ELb1ELi5EEvPKT_PKT0_S8_ifPKiSA_SA_iPKfiiiPfSD_PS3_PT2_iSC_SC_ ; -- Begin function _Z39paged_attention_ll4mi_QKV_mfma16_kernelI14__hip_bfloat16S0_LN4vllm18Fp8KVCacheDataTypeE0ES0_Li16ELi64ELi256ELb1ELi5EEvPKT_PKT0_S8_ifPKiSA_SA_iPKfiiiPfSD_PS3_PT2_iSC_SC_
	.globl	_Z39paged_attention_ll4mi_QKV_mfma16_kernelI14__hip_bfloat16S0_LN4vllm18Fp8KVCacheDataTypeE0ES0_Li16ELi64ELi256ELb1ELi5EEvPKT_PKT0_S8_ifPKiSA_SA_iPKfiiiPfSD_PS3_PT2_iSC_SC_
	.p2align	8
	.type	_Z39paged_attention_ll4mi_QKV_mfma16_kernelI14__hip_bfloat16S0_LN4vllm18Fp8KVCacheDataTypeE0ES0_Li16ELi64ELi256ELb1ELi5EEvPKT_PKT0_S8_ifPKiSA_SA_iPKfiiiPfSD_PS3_PT2_iSC_SC_,@function
_Z39paged_attention_ll4mi_QKV_mfma16_kernelI14__hip_bfloat16S0_LN4vllm18Fp8KVCacheDataTypeE0ES0_Li16ELi64ELi256ELb1ELi5EEvPKT_PKT0_S8_ifPKiSA_SA_iPKfiiiPfSD_PS3_PT2_iSC_SC_: ; @_Z39paged_attention_ll4mi_QKV_mfma16_kernelI14__hip_bfloat16S0_LN4vllm18Fp8KVCacheDataTypeE0ES0_Li16ELi64ELi256ELb1ELi5EEvPKT_PKT0_S8_ifPKiSA_SA_iPKfiiiPfSD_PS3_PT2_iSC_SC_
; %bb.0:
	s_load_dwordx2 s[8:9], s[0:1], 0x30
	s_mov_b32 s28, s3
	s_mov_b64 s[6:7], 0
	s_waitcnt lgkmcnt(0)
	s_cmp_lg_u64 s[8:9], 0
	s_cselect_b64 s[10:11], -1, 0
	s_and_b64 vcc, exec, s[10:11]
	s_cbranch_vccz .LBB444_7
; %bb.1:
	s_add_i32 s12, s2, 1
	s_mov_b32 s13, 0
	s_lshl_b64 s[14:15], s[12:13], 2
	s_add_u32 s14, s8, s14
	s_mov_b32 s3, s13
	s_addc_u32 s15, s9, s15
	s_lshl_b64 s[12:13], s[2:3], 2
	s_add_u32 s12, s8, s12
	s_addc_u32 s13, s9, s13
	s_load_dword s5, s[14:15], 0x0
	s_load_dword s16, s[12:13], 0x0
	s_waitcnt lgkmcnt(0)
	s_sub_i32 s5, s5, s16
	s_cmp_eq_u32 s5, 1
	s_cselect_b64 s[12:13], -1, 0
	s_andn2_b64 vcc, exec, s[6:7]
	s_cbranch_vccnz .LBB444_3
.LBB444_2:
	s_mov_b32 s3, 0
	s_mov_b64 s[12:13], -1
.LBB444_3:
	s_andn2_b64 vcc, exec, s[12:13]
	s_cbranch_vccnz .LBB444_20
; %bb.4:
	s_load_dwordx2 s[6:7], s[0:1], 0x28
	s_lshl_b64 s[14:15], s[2:3], 2
	s_waitcnt lgkmcnt(0)
	s_add_u32 s6, s6, s14
	s_addc_u32 s7, s7, s15
	s_load_dword s29, s[6:7], 0x0
	s_lshl_b32 s16, s28, 8
	s_waitcnt lgkmcnt(0)
	s_cmp_ge_i32 s16, s29
	s_cbranch_scc1 .LBB444_20
; %bb.5:
	s_load_dwordx2 s[6:7], s[0:1], 0x20
	s_load_dword s5, s[0:1], 0x38
	s_add_i32 s12, s29, 15
	s_ashr_i32 s13, s12, 31
	v_and_b32_e32 v1, 0xcf, v0
	s_lshr_b32 s13, s13, 28
	v_add_u32_e32 v1, s16, v1
	s_add_i32 s12, s12, s13
	v_ashrrev_i32_e32 v2, 31, v1
	s_ashr_i32 s17, s12, 4
	v_lshrrev_b32_e32 v6, 28, v2
	s_add_i32 s17, s17, -1
	s_waitcnt lgkmcnt(0)
	s_mul_i32 s12, s2, s5
	s_mov_b32 s13, 0
	v_add_u32_e32 v2, v1, v6
	s_lshl_b64 s[12:13], s[12:13], 2
	v_ashrrev_i32_e32 v2, 4, v2
	v_mov_b32_e32 v7, s17
	v_cmp_gt_i32_e32 vcc, s29, v1
	s_add_u32 s6, s6, s12
	s_addc_u32 s7, s7, s13
	v_cndmask_b32_e32 v2, v7, v2, vcc
	v_ashrrev_i32_e32 v3, 31, v2
	v_lshl_add_u64 v[4:5], v[2:3], 2, s[6:7]
	v_or_b32_e32 v2, 16, v1
	v_add_u32_e32 v3, v2, v6
	v_ashrrev_i32_e32 v3, 4, v3
	v_cmp_gt_i32_e32 vcc, s29, v2
	s_load_dwordx2 s[12:13], s[0:1], 0x8
	s_nop 0
	v_cndmask_b32_e32 v2, v7, v3, vcc
	v_ashrrev_i32_e32 v3, 31, v2
	v_lshl_add_u64 v[8:9], v[2:3], 2, s[6:7]
	v_or_b32_e32 v2, 32, v1
	v_add_u32_e32 v3, v2, v6
	v_ashrrev_i32_e32 v3, 4, v3
	v_cmp_gt_i32_e32 vcc, s29, v2
	v_or_b32_e32 v1, 48, v1
	s_nop 0
	v_cndmask_b32_e32 v2, v7, v3, vcc
	v_ashrrev_i32_e32 v3, 31, v2
	v_lshl_add_u64 v[10:11], v[2:3], 2, s[6:7]
	v_add_u32_e32 v2, v1, v6
	v_ashrrev_i32_e32 v2, 4, v2
	v_cmp_gt_i32_e32 vcc, s29, v1
	s_nop 1
	v_cndmask_b32_e32 v2, v7, v2, vcc
	v_ashrrev_i32_e32 v3, 31, v2
	v_lshl_add_u64 v[12:13], v[2:3], 2, s[6:7]
	global_load_dword v3, v[4:5], off
	global_load_dword v2, v[8:9], off
	;; [unrolled: 1-line block ×4, first 2 shown]
	s_andn2_b64 vcc, exec, s[10:11]
	s_cbranch_vccnz .LBB444_8
; %bb.6:
	s_add_u32 s8, s8, s14
	s_addc_u32 s9, s9, s15
	s_load_dword s5, s[8:9], 0x0
	s_branch .LBB444_9
.LBB444_7:
	s_mov_b64 s[12:13], 0
	s_branch .LBB444_2
.LBB444_8:
	s_mov_b32 s5, s2
.LBB444_9:
	s_load_dwordx2 s[8:9], s[0:1], 0x10
	s_load_dwordx4 s[44:47], s[0:1], 0x48
	v_lshrrev_b32_e32 v45, 6, v0
	v_bfe_u32 v54, v0, 4, 2
	v_lshl_or_b32 v1, v45, 2, v54
	v_and_b32_e32 v44, 15, v0
	v_lshlrev_b32_e32 v4, 3, v44
	v_cmp_gt_u32_e32 vcc, 5, v1
	v_cmp_gt_u32_e64 s[30:31], 8, v44
	s_mul_i32 s42, s4, 5
	s_and_b64 s[14:15], s[30:31], vcc
	v_lshlrev_b32_e32 v42, 1, v4
	s_and_saveexec_b64 s[10:11], s[14:15]
	s_cbranch_execz .LBB444_11
; %bb.10:
	s_load_dwordx2 s[14:15], s[0:1], 0x0
	s_waitcnt lgkmcnt(0)
	s_ashr_i32 s18, s44, 31
	s_mul_hi_u32 s19, s5, s44
	s_mul_i32 s18, s5, s18
	s_add_i32 s19, s19, s18
	s_mul_i32 s18, s5, s44
	s_lshl_b64 s[18:19], s[18:19], 1
	s_add_u32 s14, s14, s18
	v_add_lshl_u32 v4, v1, s42, 6
	s_addc_u32 s15, s15, s19
	v_ashrrev_i32_e32 v5, 31, v4
	v_lshl_add_u64 v[4:5], v[4:5], 1, s[14:15]
	v_mov_b32_e32 v43, 0
	v_lshl_add_u64 v[4:5], v[4:5], 0, v[42:43]
	global_load_dwordx4 v[8:11], v[4:5], off
	v_and_b32_e32 v4, 3, v0
	v_lshlrev_b32_e32 v5, 9, v44
	v_lshlrev_b32_e32 v1, 5, v1
	;; [unrolled: 1-line block ×3, first 2 shown]
	v_and_b32_e32 v5, 0x1800, v5
	v_or3_b32 v1, v5, v4, v1
	s_waitcnt vmcnt(0)
	ds_write_b128 v1, v[8:11]
.LBB444_11:
	s_or_b64 exec, exec, s[10:11]
	s_waitcnt lgkmcnt(0)
	s_mul_i32 s4, s4, s46
	s_mov_b32 s5, 0
	s_lshl_b64 s[4:5], s[4:5], 1
	s_add_u32 s10, s12, s4
	v_lshlrev_b32_e32 v1, 4, v0
	s_addc_u32 s11, s13, s5
	v_and_b32_e32 v46, 0xf0, v1
	v_mov_b32_e32 v47, 0
	v_lshl_add_u64 v[16:17], s[10:11], 0, v[46:47]
	s_waitcnt vmcnt(3)
	v_mad_i64_i32 v[4:5], s[10:11], v3, s45, 0
	s_waitcnt vmcnt(2)
	v_mad_i64_i32 v[2:3], s[10:11], v2, s45, 0
	;; [unrolled: 2-line block ×3, first 2 shown]
	v_lshl_add_u64 v[4:5], v[4:5], 1, v[16:17]
	v_and_b32_e32 v46, 0x300, v1
	v_lshl_add_u64 v[2:3], v[2:3], 1, v[16:17]
	v_lshl_add_u64 v[6:7], v[6:7], 1, v[16:17]
	s_waitcnt vmcnt(0)
	v_mad_i64_i32 v[14:15], s[10:11], v14, s45, 0
	v_lshl_add_u64 v[4:5], v[4:5], 0, v[46:47]
	v_lshl_add_u64 v[8:9], v[2:3], 0, v[46:47]
	;; [unrolled: 1-line block ×4, first 2 shown]
	s_barrier
	global_load_dwordx4 v[30:33], v[4:5], off
	global_load_dwordx4 v[10:13], v[4:5], off offset:1024
	global_load_dwordx4 v[22:25], v[8:9], off
	s_nop 0
	global_load_dwordx4 v[2:5], v[8:9], off offset:1024
	global_load_dwordx4 v[26:29], v[18:19], off
	s_nop 0
	global_load_dwordx4 v[6:9], v[18:19], off offset:1024
	v_lshl_add_u64 v[18:19], v[14:15], 0, v[46:47]
	global_load_dwordx4 v[34:37], v[18:19], off
	global_load_dwordx4 v[14:17], v[18:19], off offset:1024
	v_mul_lo_u16_e32 v18, 52, v44
	v_mov_b32_e32 v19, 5
	v_mul_lo_u16_sdwa v18, v18, v19 dst_sel:DWORD dst_unused:UNUSED_PAD src0_sel:BYTE_1 src1_sel:DWORD
	v_sub_u16_e32 v18, v44, v18
	v_lshlrev_b32_sdwa v18, v19, v18 dst_sel:DWORD dst_unused:UNUSED_PAD src0_sel:DWORD src1_sel:BYTE_0
	v_lshl_add_u32 v18, v54, 9, v18
	ds_read_b128 v[38:41], v18
	ds_read_b128 v[18:21], v18 offset:2048
	v_and_b32_e32 v55, 63, v0
	v_cmp_gt_u32_e32 vcc, 5, v44
	v_mov_b32_e32 v56, 0
	s_and_saveexec_b64 s[10:11], vcc
	s_cbranch_execz .LBB444_13
; %bb.12:
	s_load_dwordx2 s[12:13], s[0:1], 0x40
	v_add_u32_e32 v48, s42, v44
	v_ashrrev_i32_e32 v49, 31, v48
	s_waitcnt lgkmcnt(0)
	v_lshl_add_u64 v[48:49], v[48:49], 2, s[12:13]
	global_load_dword v56, v[48:49], off
.LBB444_13:
	s_or_b64 exec, exec, s[10:11]
	v_and_or_b32 v46, v0, 48, s16
	v_ashrrev_i32_e32 v43, 4, v46
	v_mov_b32_e32 v57, s17
	v_cmp_gt_i32_e32 vcc, s29, v46
	s_waitcnt vmcnt(5) lgkmcnt(1)
	v_mfma_f32_16x16x16_bf16 v[58:61], v[22:23], v[38:39], 0
	s_load_dword s10, s[0:1], 0x1c
	v_cndmask_b32_e32 v48, v57, v43, vcc
	v_ashrrev_i32_e32 v49, 31, v48
	v_or_b32_e32 v43, 64, v46
	v_lshl_add_u64 v[52:53], v[48:49], 2, s[6:7]
	v_mfma_f32_16x16x16_bf16 v[48:51], v[30:31], v[38:39], 0
	v_ashrrev_i32_e32 v30, 4, v43
	v_cmp_gt_i32_e32 vcc, s29, v43
	global_load_dword v70, v[52:53], off
	s_waitcnt vmcnt(4)
	v_mfma_f32_16x16x16_bf16 v[62:65], v[26:27], v[38:39], 0
	v_cndmask_b32_e32 v30, v57, v30, vcc
	v_ashrrev_i32_e32 v31, 31, v30
	v_lshl_add_u64 v[22:23], v[30:31], 2, s[6:7]
	global_load_dword v71, v[22:23], off
	v_mfma_f32_16x16x16_bf16 v[22:25], v[24:25], v[40:41], v[58:61]
	v_and_b32_e32 v26, 0xc0, v0
	s_add_u32 s4, s8, s4
	v_lshlrev_b32_e32 v43, 5, v44
	v_mfma_f32_16x16x16_bf16 v[30:33], v[32:33], v[40:41], v[48:51]
	s_addc_u32 s5, s9, s5
	s_mov_b32 s33, 0xff7fffff
	s_waitcnt vmcnt(3)
	v_mfma_f32_16x16x16_bf16 v[66:69], v[34:35], v[38:39], 0
	v_or_b32_e32 v38, 0x80, v46
	v_add_u32_e32 v48, s16, v26
	v_or_b32_e32 v39, 0xc0, v46
	v_mfma_f32_16x16x16_bf16 v[26:29], v[28:29], v[40:41], v[62:65]
	v_ashrrev_i32_e32 v49, 4, v38
	v_cmp_gt_i32_e32 vcc, s29, v38
	v_ashrrev_i32_e32 v50, 4, v39
	s_waitcnt lgkmcnt(0)
	v_mfma_f32_16x16x16_bf16 v[22:25], v[2:3], v[18:19], v[22:25]
	v_cndmask_b32_e32 v38, v57, v49, vcc
	v_cmp_gt_i32_e32 vcc, s29, v39
	v_ashrrev_i32_e32 v39, 31, v38
	v_mfma_f32_16x16x16_bf16 v[30:33], v[10:11], v[18:19], v[30:33]
	v_cndmask_b32_e32 v10, v57, v50, vcc
	v_ashrrev_i32_e32 v11, 31, v10
	v_lshl_or_b32 v58, v54, 2, v48
	v_mfma_f32_16x16x16_bf16 v[26:29], v[6:7], v[18:19], v[26:29]
	v_lshl_add_u64 v[6:7], v[38:39], 2, s[6:7]
	v_lshl_add_u64 v[38:39], v[10:11], 2, s[6:7]
	v_or_b32_e32 v57, 1, v58
	v_mfma_f32_16x16x16_bf16 v[2:5], v[4:5], v[20:21], v[22:25]
	s_nop 2
	global_load_dword v22, v[6:7], off
	global_load_dword v61, v[38:39], off
	v_subrev_u32_e32 v59, s29, v57
	v_cvt_f32_i32_e32 v60, v59
	v_mfma_f32_16x16x16_bf16 v[34:37], v[36:37], v[40:41], v[66:69]
	v_pk_mul_f32 v[48:49], s[10:11], v[4:5] op_sel_hi:[0,1]
	v_lshl_or_b32 v46, v45, 9, v43
	v_lshl_add_u64 v[46:47], s[4:5], 0, v[46:47]
	s_waitcnt vmcnt(4)
	v_mfma_f32_16x16x16_bf16 v[34:37], v[14:15], v[18:19], v[34:37]
	v_add_u32_e32 v14, 1, v59
	v_add_u32_e32 v15, 2, v59
	v_cvt_f32_i32_e32 v23, v14
	v_cvt_f32_i32_e32 v24, v15
	v_mfma_f32_16x16x16_bf16 v[14:17], v[16:17], v[20:21], v[34:37]
	v_add_u32_e32 v18, 3, v59
	v_cvt_f32_i32_e32 v18, v18
	v_pk_mul_f32 v[50:51], s[10:11], v[2:3] op_sel_hi:[0,1]
	v_mfma_f32_16x16x16_bf16 v[10:13], v[12:13], v[20:21], v[30:33]
	v_cmp_gt_i32_e64 s[34:35], s29, v57
	s_nop 1
	v_pk_mul_f32 v[36:37], s[10:11], v[14:15] op_sel_hi:[0,1]
	v_add_u32_e32 v15, 19, v59
	v_add_u32_e32 v31, 18, v59
	v_cvt_f32_i32_e32 v14, v31
	v_cvt_f32_i32_e32 v15, v15
	v_mfma_f32_16x16x16_bf16 v[6:9], v[8:9], v[20:21], v[26:29]
	v_pk_mul_f32 v[34:35], s[10:11], v[16:17] op_sel_hi:[0,1]
	v_fma_f32 v48, v56, v14, v48
	v_add_u32_e32 v14, 32, v59
	v_fmac_f32_e32 v49, v56, v15
	v_cvt_f32_i32_e32 v14, v14
	v_add_u32_e32 v15, 33, v59
	v_add_u32_e32 v16, 34, v59
	v_cvt_f32_i32_e32 v15, v15
	v_cvt_f32_i32_e32 v16, v16
	v_add_u32_e32 v17, 35, v59
	v_cvt_f32_i32_e32 v17, v17
	v_pk_mul_f32 v[40:41], s[10:11], v[6:7] op_sel_hi:[0,1]
	v_pk_mul_f32 v[38:39], s[10:11], v[8:9] op_sel_hi:[0,1]
	v_fma_f32 v40, v56, v14, v40
	v_add_u32_e32 v14, 48, v59
	v_fmac_f32_e32 v41, v56, v15
	v_fma_f32 v38, v56, v16, v38
	v_cvt_f32_i32_e32 v14, v14
	v_add_u32_e32 v15, 49, v59
	v_add_u32_e32 v16, 50, v59
	v_fmac_f32_e32 v39, v56, v17
	v_cvt_f32_i32_e32 v15, v15
	v_cvt_f32_i32_e32 v16, v16
	v_add_u32_e32 v17, 51, v59
	v_cvt_f32_i32_e32 v17, v17
	v_pk_mul_f32 v[52:53], s[10:11], v[12:13] op_sel_hi:[0,1]
	v_pk_mul_f32 v[10:11], s[10:11], v[10:11] op_sel_hi:[0,1]
	s_waitcnt vmcnt(3)
	v_mad_i64_i32 v[2:3], s[4:5], v70, s45, 0
	s_waitcnt vmcnt(2)
	v_mad_i64_i32 v[12:13], s[4:5], v71, s45, 0
	v_fma_f32 v10, v56, v60, v10
	v_fmac_f32_e32 v11, v56, v23
	v_fma_f32 v36, v56, v14, v36
	v_mov_b32_e32 v14, 0xff7fffff
	v_cmp_gt_i32_e64 s[4:5], s29, v58
	v_add_u32_e32 v19, 16, v59
	v_add_u32_e32 v30, 17, v59
	v_fmac_f32_e32 v37, v56, v15
	v_fma_f32 v34, v56, v16, v34
	v_cndmask_b32_e64 v15, v14, v10, s[4:5]
	v_cndmask_b32_e64 v16, v14, v11, s[34:35]
	v_cvt_f32_i32_e32 v19, v19
	v_cvt_f32_i32_e32 v25, v30
	v_fmac_f32_e32 v35, v56, v17
	v_max3_f32 v15, v15, s33, v16
	v_or_b32_e32 v16, 2, v58
	v_or_b32_e32 v17, 3, v58
	v_fma_f32 v52, v56, v24, v52
	v_fmac_f32_e32 v53, v56, v18
	v_cmp_gt_i32_e64 s[36:37], s29, v16
	v_cmp_gt_i32_e64 s[38:39], s29, v17
	v_fma_f32 v50, v56, v19, v50
	v_cndmask_b32_e64 v16, v14, v52, s[36:37]
	v_cndmask_b32_e64 v17, v14, v53, s[38:39]
	v_max3_f32 v15, v15, v16, v17
	v_or_b32_e32 v16, 16, v58
	v_or_b32_e32 v17, 17, v58
	v_fmac_f32_e32 v51, v56, v25
	v_cmp_gt_i32_e64 s[24:25], s29, v16
	v_cmp_gt_i32_e64 s[26:27], s29, v17
	v_lshl_add_u64 v[2:3], v[2:3], 1, v[46:47]
	v_cndmask_b32_e64 v16, v14, v50, s[24:25]
	v_cndmask_b32_e64 v17, v14, v51, s[26:27]
	v_max3_f32 v15, v15, v16, v17
	v_or_b32_e32 v16, 18, v58
	v_or_b32_e32 v17, 19, v58
	v_cmp_gt_i32_e64 s[20:21], s29, v16
	v_cmp_gt_i32_e64 s[22:23], s29, v17
	v_lshl_add_u64 v[12:13], v[12:13], 1, v[46:47]
	v_cndmask_b32_e64 v16, v14, v48, s[20:21]
	v_cndmask_b32_e64 v17, v14, v49, s[22:23]
	v_max3_f32 v15, v15, v16, v17
	v_or_b32_e32 v16, 32, v58
	v_or_b32_e32 v17, 33, v58
	v_cmp_gt_i32_e64 s[16:17], s29, v16
	v_cmp_gt_i32_e64 s[18:19], s29, v17
	global_load_dwordx4 v[6:9], v[2:3], off
	s_nop 0
	global_load_dwordx4 v[2:5], v[2:3], off offset:16
	v_cndmask_b32_e64 v16, v14, v40, s[16:17]
	v_cndmask_b32_e64 v17, v14, v41, s[18:19]
	v_max3_f32 v15, v15, v16, v17
	v_or_b32_e32 v16, 34, v58
	v_or_b32_e32 v17, 35, v58
	v_cmp_gt_i32_e64 s[12:13], s29, v16
	v_cmp_gt_i32_e64 s[14:15], s29, v17
	global_load_dwordx4 v[30:33], v[12:13], off
	global_load_dwordx4 v[26:29], v[12:13], off offset:16
	v_cndmask_b32_e64 v16, v14, v38, s[12:13]
	v_cndmask_b32_e64 v17, v14, v39, s[14:15]
	v_max3_f32 v15, v15, v16, v17
	v_or_b32_e32 v16, 48, v58
	v_or_b32_e32 v17, 49, v58
	v_cmp_gt_i32_e64 s[8:9], s29, v16
	v_cmp_gt_i32_e64 s[10:11], s29, v17
	s_nop 0
	v_cndmask_b32_e64 v16, v14, v36, s[8:9]
	v_cndmask_b32_e64 v17, v14, v37, s[10:11]
	v_max3_f32 v15, v15, v16, v17
	v_or_b32_e32 v16, 50, v58
	v_or_b32_e32 v17, 51, v58
	v_cmp_gt_i32_e32 vcc, s29, v16
	v_cmp_gt_i32_e64 s[6:7], s29, v17
	s_nop 0
	v_cndmask_b32_e32 v16, v14, v34, vcc
	v_cndmask_b32_e64 v14, v14, v35, s[6:7]
	v_max3_f32 v14, v15, v16, v14
	v_mbcnt_lo_u32_b32 v15, -1, 0
	v_mbcnt_hi_u32_b32 v15, -1, v15
	v_and_b32_e32 v16, 64, v15
	v_add_u32_e32 v16, 64, v16
	v_xor_b32_e32 v17, 32, v15
	v_cmp_lt_i32_e64 s[40:41], v17, v16
	s_nop 1
	v_cndmask_b32_e64 v17, v15, v17, s[40:41]
	v_lshlrev_b32_e32 v57, 2, v17
	ds_bpermute_b32 v17, v57, v14
	s_waitcnt vmcnt(5)
	v_mad_i64_i32 v[12:13], s[40:41], v22, s45, 0
	v_lshl_add_u64 v[12:13], v[12:13], 1, v[46:47]
	global_load_dwordx4 v[22:25], v[12:13], off
	global_load_dwordx4 v[18:21], v[12:13], off offset:16
	s_waitcnt lgkmcnt(0)
	v_max_f32_e32 v17, v17, v17
	v_max_f32_e32 v14, v14, v17
	v_xor_b32_e32 v17, 16, v15
	v_cmp_lt_i32_e64 s[40:41], v17, v16
	s_nop 1
	v_cndmask_b32_e64 v15, v15, v17, s[40:41]
	v_lshlrev_b32_e32 v59, 2, v15
	ds_bpermute_b32 v15, v59, v14
	s_waitcnt vmcnt(6)
	v_mad_i64_i32 v[12:13], s[40:41], v61, s45, 0
	v_lshl_add_u64 v[12:13], v[12:13], 1, v[46:47]
	s_waitcnt lgkmcnt(0)
	v_max_f32_e32 v15, v15, v15
	v_max_f32_e32 v56, v14, v15
	v_sub_f32_e32 v10, v10, v56
	v_mul_f32_e32 v10, 0x3fb8aa3b, v10
	v_exp_f32_e32 v46, v10
	v_sub_f32_e32 v10, v11, v56
	v_mul_f32_e32 v10, 0x3fb8aa3b, v10
	v_exp_f32_e32 v47, v10
	global_load_dwordx4 v[14:17], v[12:13], off
	s_nop 0
	global_load_dwordx4 v[10:13], v[12:13], off offset:16
	v_sub_f32_e32 v52, v52, v56
	v_mul_f32_e32 v52, 0x3fb8aa3b, v52
	v_sub_f32_e32 v53, v53, v56
	v_exp_f32_e32 v52, v52
	v_mul_f32_e32 v53, 0x3fb8aa3b, v53
	v_sub_f32_e32 v50, v50, v56
	v_exp_f32_e32 v53, v53
	v_mul_f32_e32 v50, 0x3fb8aa3b, v50
	v_sub_f32_e32 v51, v51, v56
	v_cndmask_b32_e64 v46, 0, v46, s[4:5]
	v_exp_f32_e32 v50, v50
	v_mul_f32_e32 v51, 0x3fb8aa3b, v51
	v_sub_f32_e32 v48, v48, v56
	v_add_f32_e32 v58, 0, v46
	v_cndmask_b32_e64 v47, 0, v47, s[34:35]
	v_exp_f32_e32 v51, v51
	v_mul_f32_e32 v48, 0x3fb8aa3b, v48
	v_sub_f32_e32 v49, v49, v56
	v_add_f32_e32 v58, v58, v47
	;; [unrolled: 5-line block ×10, first 2 shown]
	v_cndmask_b32_e64 v38, 0, v38, s[12:13]
	v_exp_f32_e32 v34, v34
	v_mul_f32_e32 v35, 0x3fb8aa3b, v35
	v_add_f32_e32 v58, v58, v38
	v_cndmask_b32_e64 v39, 0, v39, s[14:15]
	v_exp_f32_e32 v35, v35
	v_add_f32_e32 v58, v58, v39
	v_cndmask_b32_e64 v36, 0, v36, s[8:9]
	v_add_f32_e32 v58, v58, v36
	v_cndmask_b32_e64 v37, 0, v37, s[10:11]
	v_add_f32_e32 v58, v58, v37
	v_cndmask_b32_e32 v34, 0, v34, vcc
	v_add_f32_e32 v58, v58, v34
	v_cndmask_b32_e64 v35, 0, v35, s[6:7]
	v_add_f32_e32 v58, v58, v35
	ds_bpermute_b32 v57, v57, v58
	s_load_dword s9, s[0:1], 0x98
	v_cmp_gt_u32_e64 s[6:7], 16, v55
	s_waitcnt lgkmcnt(0)
	s_barrier
	v_add_f32_e32 v58, v58, v57
	ds_bpermute_b32 v59, v59, v58
	v_lshlrev_b32_e32 v57, 2, v44
	s_waitcnt lgkmcnt(0)
	s_and_saveexec_b64 s[4:5], s[6:7]
	s_cbranch_execz .LBB444_15
; %bb.14:
	v_add_f32_e32 v55, v58, v59
	v_lshl_or_b32 v58, v45, 6, v57
	ds_write2st64_b32 v58, v56, v55 offset1:1
.LBB444_15:
	s_or_b64 exec, exec, s[4:5]
	s_load_dword s8, s[0:1], 0x94
	s_waitcnt lgkmcnt(0)
	s_barrier
	ds_read2_b32 v[58:59], v57 offset1:16
	ds_read2_b32 v[60:61], v57 offset0:32 offset1:48
	ds_read2_b32 v[62:63], v57 offset0:64 offset1:80
	s_movk_i32 s10, 0x7fff
	s_mov_b32 s11, 0x7060302
	s_waitcnt lgkmcnt(2)
	v_max3_f32 v55, v58, s33, v59
	s_waitcnt lgkmcnt(1)
	v_max3_f32 v55, v55, v60, v61
	v_sub_f32_e32 v56, v58, v55
	v_mul_f32_e32 v56, 0x3fb8aa3b, v56
	v_exp_f32_e32 v64, v56
	v_sub_f32_e32 v56, v59, v55
	v_mul_f32_e32 v56, 0x3fb8aa3b, v56
	v_exp_f32_e32 v65, v56
	;; [unrolled: 3-line block ×3, first 2 shown]
	ds_read2_b32 v[58:59], v57 offset0:96 offset1:112
	v_sub_f32_e32 v56, v61, v55
	v_mul_f32_e32 v56, 0x3fb8aa3b, v56
	v_exp_f32_e32 v57, v56
	s_waitcnt lgkmcnt(1)
	v_fma_f32 v56, v64, v62, 0
	v_fmac_f32_e32 v56, v65, v63
	s_waitcnt lgkmcnt(0)
	v_fmac_f32_e32 v56, v60, v58
	v_fmac_f32_e32 v56, v57, v59
	v_add_f32_e32 v58, 0x358637bd, v56
	v_div_scale_f32 v59, s[4:5], v58, v58, 1.0
	v_rcp_f32_e32 v61, v59
	s_mul_i32 s9, s9, 5
	s_barrier
	v_fma_f32 v62, -v59, v61, 1.0
	v_fmac_f32_e32 v61, v62, v61
	v_div_scale_f32 v62, vcc, 1.0, v58, 1.0
	v_mul_f32_e32 v63, v62, v61
	v_fma_f32 v66, -v59, v63, v62
	v_fmac_f32_e32 v63, v66, v61
	v_fma_f32 v59, -v59, v63, v62
	v_div_fmas_f32 v59, v59, v61, v63
	v_cmp_eq_u32_e32 vcc, 1, v45
	v_div_fixup_f32 v58, v59, v58, 1.0
	s_nop 0
	v_cndmask_b32_e32 v59, v64, v65, vcc
	v_cmp_eq_u32_e32 vcc, 2, v45
	s_nop 1
	v_cndmask_b32_e32 v59, v59, v60, vcc
	v_cmp_eq_u32_e32 vcc, 3, v45
	v_lshlrev_b32_e32 v45, 11, v45
	s_nop 0
	v_cndmask_b32_e32 v57, v59, v57, vcc
	v_mul_f32_e32 v58, v57, v58
	v_pk_mul_f32 v[46:47], v[58:59], v[46:47] op_sel_hi:[0,1]
	v_pk_mul_f32 v[52:53], v[58:59], v[52:53] op_sel_hi:[0,1]
	v_bfe_u32 v57, v47, 16, 1
	v_bfe_u32 v59, v46, 16, 1
	v_add3_u32 v46, v46, v59, s10
	v_add3_u32 v47, v47, v57, s10
	v_perm_b32 v60, v47, v46, s11
	v_bfe_u32 v46, v53, 16, 1
	v_bfe_u32 v47, v52, 16, 1
	v_add3_u32 v47, v52, v47, s10
	v_add3_u32 v46, v53, v46, s10
	v_perm_b32 v61, v46, v47, s11
	v_lshlrev_b32_e32 v46, 3, v54
	v_pk_mul_f32 v[50:51], v[58:59], v[50:51] op_sel_hi:[0,1]
	v_or3_b32 v46, v45, v43, v46
	v_bfe_u32 v45, v51, 16, 1
	v_bfe_u32 v47, v50, 16, 1
	v_pk_mul_f32 v[48:49], v[58:59], v[48:49] op_sel_hi:[0,1]
	v_add3_u32 v47, v50, v47, s10
	v_add3_u32 v45, v51, v45, s10
	v_perm_b32 v50, v45, v47, s11
	v_bfe_u32 v45, v49, 16, 1
	v_bfe_u32 v47, v48, 16, 1
	v_add3_u32 v47, v48, v47, s10
	v_add3_u32 v45, v49, v45, s10
	v_pk_mul_f32 v[40:41], v[58:59], v[40:41] op_sel_hi:[0,1]
	v_perm_b32 v51, v45, v47, s11
	v_bfe_u32 v45, v41, 16, 1
	v_bfe_u32 v47, v40, 16, 1
	v_pk_mul_f32 v[38:39], v[58:59], v[38:39] op_sel_hi:[0,1]
	v_add3_u32 v40, v40, v47, s10
	v_add3_u32 v41, v41, v45, s10
	v_perm_b32 v40, v41, v40, s11
	v_bfe_u32 v41, v39, 16, 1
	v_bfe_u32 v45, v38, 16, 1
	v_add3_u32 v38, v38, v45, s10
	v_add3_u32 v39, v39, v41, s10
	v_pk_mul_f32 v[36:37], v[58:59], v[36:37] op_sel_hi:[0,1]
	v_perm_b32 v41, v39, v38, s11
	v_bfe_u32 v38, v37, 16, 1
	v_bfe_u32 v39, v36, 16, 1
	v_pk_mul_f32 v[34:35], v[58:59], v[34:35] op_sel_hi:[0,1]
	v_add3_u32 v36, v36, v39, s10
	v_add3_u32 v37, v37, v38, s10
	v_perm_b32 v36, v37, v36, s11
	v_bfe_u32 v37, v35, 16, 1
	v_bfe_u32 v38, v34, 16, 1
	v_add3_u32 v34, v34, v38, s10
	v_add3_u32 v35, v35, v37, s10
	v_perm_b32 v37, v35, v34, s11
	v_cmp_gt_u32_e32 vcc, 5, v0
	ds_write2st64_b64 v46, v[60:61], v[50:51] offset1:1
	ds_write2st64_b64 v46, v[40:41], v[36:37] offset0:2 offset1:3
	s_and_saveexec_b64 s[4:5], vcc
	s_cbranch_execz .LBB444_17
; %bb.16:
	s_mov_b32 s43, 0
	v_mov_b32_e32 v45, 0
	v_lshl_add_u64 v[34:35], s[42:43], 0, v[44:45]
	v_mov_b32_e32 v36, s9
	v_mad_u64_u32 v[34:35], s[16:17], s2, v36, v[34:35]
	s_mul_i32 s3, s3, s9
	v_mov_b32_e32 v44, s28
	s_load_dwordx4 s[12:15], s[0:1], 0x58
	v_add_u32_e32 v37, s3, v35
	v_mad_u64_u32 v[34:35], s[16:17], v34, s8, v[44:45]
	v_mov_b32_e32 v36, v35
	v_mad_u64_u32 v[36:37], s[16:17], v37, s8, v[36:37]
	v_mov_b32_e32 v35, v36
	v_lshlrev_b64 v[34:35], 2, v[34:35]
	s_waitcnt lgkmcnt(0)
	v_lshl_add_u64 v[36:37], s[14:15], 0, v[34:35]
	v_lshl_add_u64 v[34:35], s[12:13], 0, v[34:35]
	global_store_dword v[36:37], v55, off
	global_store_dword v[34:35], v56, off
.LBB444_17:
	s_or_b64 exec, exec, s[4:5]
	v_lshl_or_b32 v43, v54, 9, v43
	s_waitcnt lgkmcnt(0)
	s_barrier
	ds_read_b128 v[34:37], v43
	ds_read_b128 v[38:41], v43 offset:16
	s_waitcnt vmcnt(7) lgkmcnt(1)
	v_mfma_f32_16x16x16_bf16 v[48:51], v[6:7], v[34:35], 0
	v_cmp_gt_u32_e32 vcc, 64, v0
	s_mov_b32 s3, 0
	s_and_b64 s[4:5], vcc, s[30:31]
	v_mfma_f32_16x16x16_bf16 v[6:9], v[8:9], v[36:37], v[48:51]
	s_waitcnt vmcnt(6) lgkmcnt(0)
	v_mfma_f32_16x16x16_bf16 v[6:9], v[2:3], v[38:39], v[6:9]
	v_mfma_f32_16x16x16_bf16 v[2:5], v[4:5], v[40:41], v[6:9]
	s_nop 5
	ds_read_b128 v[6:9], v43 offset:2048
	ds_read_b128 v[34:37], v43 offset:2064
	s_waitcnt vmcnt(5) lgkmcnt(1)
	v_mfma_f32_16x16x16_bf16 v[2:5], v[30:31], v[6:7], v[2:5]
	v_mfma_f32_16x16x16_bf16 v[2:5], v[32:33], v[8:9], v[2:5]
	s_waitcnt vmcnt(4) lgkmcnt(0)
	v_mfma_f32_16x16x16_bf16 v[2:5], v[26:27], v[34:35], v[2:5]
	v_mfma_f32_16x16x16_bf16 v[2:5], v[28:29], v[36:37], v[2:5]
	ds_read_b128 v[6:9], v43 offset:4096
	ds_read_b128 v[26:29], v43 offset:4112
	s_waitcnt vmcnt(3) lgkmcnt(1)
	v_mfma_f32_16x16x16_bf16 v[2:5], v[22:23], v[6:7], v[2:5]
	v_mfma_f32_16x16x16_bf16 v[2:5], v[24:25], v[8:9], v[2:5]
	s_waitcnt vmcnt(2) lgkmcnt(0)
	v_mfma_f32_16x16x16_bf16 v[2:5], v[18:19], v[26:27], v[2:5]
	v_mfma_f32_16x16x16_bf16 v[2:5], v[20:21], v[28:29], v[2:5]
	ds_read_b128 v[6:9], v43 offset:6144
	ds_read_b128 v[18:21], v43 offset:6160
	v_mov_b32_e32 v43, 0
	s_waitcnt vmcnt(1) lgkmcnt(0)
	v_mfma_f32_16x16x16_bf16 v[2:5], v[14:15], v[6:7], v[2:5]
	s_barrier
	v_mfma_f32_16x16x16_bf16 v[2:5], v[16:17], v[8:9], v[2:5]
	s_waitcnt vmcnt(0)
	v_mfma_f32_16x16x16_bf16 v[2:5], v[10:11], v[18:19], v[2:5]
	v_mfma_f32_16x16x16_bf16 v[2:5], v[12:13], v[20:21], v[2:5]
	s_nop 6
	v_bfe_u32 v6, v3, 16, 1
	v_bfe_u32 v7, v2, 16, 1
	;; [unrolled: 1-line block ×4, first 2 shown]
	v_add3_u32 v2, v2, v7, s10
	v_add3_u32 v3, v3, v6, s10
	;; [unrolled: 1-line block ×4, first 2 shown]
	v_perm_b32 v2, v3, v2, s11
	v_perm_b32 v3, v5, v4, s11
	ds_write_b64 v46, v[2:3]
	s_waitcnt lgkmcnt(0)
	s_barrier
	s_and_saveexec_b64 s[10:11], s[4:5]
	s_cbranch_execz .LBB444_20
; %bb.18:
	s_load_dwordx2 s[4:5], s[0:1], 0x68
	s_lshl_b32 s0, s8, 6
	s_mul_i32 s1, s9, s2
	s_mul_hi_u32 s9, s1, s0
	s_mul_i32 s8, s1, s0
	v_lshlrev_b32_e32 v0, 10, v0
	s_lshl_b64 s[8:9], s[8:9], 1
	v_and_b32_e32 v0, 0x1800, v0
	v_lshlrev_b32_e32 v2, 5, v54
	v_and_b32_e32 v1, 16, v1
	s_waitcnt lgkmcnt(0)
	s_add_u32 s1, s4, s8
	v_or3_b32 v2, v0, v2, v1
	s_addc_u32 s4, s5, s9
	s_lshl_b32 s2, s28, 6
	s_lshl_b64 s[2:3], s[2:3], 1
	ds_read_b128 v[4:7], v2
	s_add_u32 s2, s1, s2
	s_addc_u32 s3, s4, s3
	v_add_u32_e32 v3, s42, v54
	v_lshl_add_u64 v[0:1], s[2:3], 0, v[42:43]
	v_mad_u64_u32 v[8:9], s[2:3], v3, s0, 0
	v_lshl_add_u64 v[8:9], v[8:9], 1, v[0:1]
	s_waitcnt lgkmcnt(0)
	global_store_dwordx4 v[8:9], v[4:7], off
	s_and_b64 exec, exec, s[6:7]
	s_cbranch_execz .LBB444_20
; %bb.19:
	ds_read_b128 v[2:5], v2 offset:128
	v_add3_u32 v6, s42, v54, 4
	v_mad_u64_u32 v[6:7], s[0:1], v6, s0, 0
	v_lshl_add_u64 v[0:1], v[6:7], 1, v[0:1]
	s_waitcnt lgkmcnt(0)
	global_store_dwordx4 v[0:1], v[2:5], off
.LBB444_20:
	s_endpgm
	.section	.rodata,"a",@progbits
	.p2align	6, 0x0
	.amdhsa_kernel _Z39paged_attention_ll4mi_QKV_mfma16_kernelI14__hip_bfloat16S0_LN4vllm18Fp8KVCacheDataTypeE0ES0_Li16ELi64ELi256ELb1ELi5EEvPKT_PKT0_S8_ifPKiSA_SA_iPKfiiiPfSD_PS3_PT2_iSC_SC_
		.amdhsa_group_segment_fixed_size 8192
		.amdhsa_private_segment_fixed_size 0
		.amdhsa_kernarg_size 400
		.amdhsa_user_sgpr_count 2
		.amdhsa_user_sgpr_dispatch_ptr 0
		.amdhsa_user_sgpr_queue_ptr 0
		.amdhsa_user_sgpr_kernarg_segment_ptr 1
		.amdhsa_user_sgpr_dispatch_id 0
		.amdhsa_user_sgpr_kernarg_preload_length 0
		.amdhsa_user_sgpr_kernarg_preload_offset 0
		.amdhsa_user_sgpr_private_segment_size 0
		.amdhsa_uses_dynamic_stack 0
		.amdhsa_enable_private_segment 0
		.amdhsa_system_sgpr_workgroup_id_x 1
		.amdhsa_system_sgpr_workgroup_id_y 1
		.amdhsa_system_sgpr_workgroup_id_z 1
		.amdhsa_system_sgpr_workgroup_info 0
		.amdhsa_system_vgpr_workitem_id 0
		.amdhsa_next_free_vgpr 72
		.amdhsa_next_free_sgpr 48
		.amdhsa_accum_offset 72
		.amdhsa_reserve_vcc 1
		.amdhsa_float_round_mode_32 0
		.amdhsa_float_round_mode_16_64 0
		.amdhsa_float_denorm_mode_32 3
		.amdhsa_float_denorm_mode_16_64 3
		.amdhsa_dx10_clamp 1
		.amdhsa_ieee_mode 1
		.amdhsa_fp16_overflow 0
		.amdhsa_tg_split 0
		.amdhsa_exception_fp_ieee_invalid_op 0
		.amdhsa_exception_fp_denorm_src 0
		.amdhsa_exception_fp_ieee_div_zero 0
		.amdhsa_exception_fp_ieee_overflow 0
		.amdhsa_exception_fp_ieee_underflow 0
		.amdhsa_exception_fp_ieee_inexact 0
		.amdhsa_exception_int_div_zero 0
	.end_amdhsa_kernel
	.section	.text._Z39paged_attention_ll4mi_QKV_mfma16_kernelI14__hip_bfloat16S0_LN4vllm18Fp8KVCacheDataTypeE0ES0_Li16ELi64ELi256ELb1ELi5EEvPKT_PKT0_S8_ifPKiSA_SA_iPKfiiiPfSD_PS3_PT2_iSC_SC_,"axG",@progbits,_Z39paged_attention_ll4mi_QKV_mfma16_kernelI14__hip_bfloat16S0_LN4vllm18Fp8KVCacheDataTypeE0ES0_Li16ELi64ELi256ELb1ELi5EEvPKT_PKT0_S8_ifPKiSA_SA_iPKfiiiPfSD_PS3_PT2_iSC_SC_,comdat
.Lfunc_end444:
	.size	_Z39paged_attention_ll4mi_QKV_mfma16_kernelI14__hip_bfloat16S0_LN4vllm18Fp8KVCacheDataTypeE0ES0_Li16ELi64ELi256ELb1ELi5EEvPKT_PKT0_S8_ifPKiSA_SA_iPKfiiiPfSD_PS3_PT2_iSC_SC_, .Lfunc_end444-_Z39paged_attention_ll4mi_QKV_mfma16_kernelI14__hip_bfloat16S0_LN4vllm18Fp8KVCacheDataTypeE0ES0_Li16ELi64ELi256ELb1ELi5EEvPKT_PKT0_S8_ifPKiSA_SA_iPKfiiiPfSD_PS3_PT2_iSC_SC_
                                        ; -- End function
	.section	.AMDGPU.csdata,"",@progbits
; Kernel info:
; codeLenInByte = 4312
; NumSgprs: 54
; NumVgprs: 72
; NumAgprs: 0
; TotalNumVgprs: 72
; ScratchSize: 0
; MemoryBound: 0
; FloatMode: 240
; IeeeMode: 1
; LDSByteSize: 8192 bytes/workgroup (compile time only)
; SGPRBlocks: 6
; VGPRBlocks: 8
; NumSGPRsForWavesPerEU: 54
; NumVGPRsForWavesPerEU: 72
; AccumOffset: 72
; Occupancy: 7
; WaveLimiterHint : 1
; COMPUTE_PGM_RSRC2:SCRATCH_EN: 0
; COMPUTE_PGM_RSRC2:USER_SGPR: 2
; COMPUTE_PGM_RSRC2:TRAP_HANDLER: 0
; COMPUTE_PGM_RSRC2:TGID_X_EN: 1
; COMPUTE_PGM_RSRC2:TGID_Y_EN: 1
; COMPUTE_PGM_RSRC2:TGID_Z_EN: 1
; COMPUTE_PGM_RSRC2:TIDIG_COMP_CNT: 0
; COMPUTE_PGM_RSRC3_GFX90A:ACCUM_OFFSET: 17
; COMPUTE_PGM_RSRC3_GFX90A:TG_SPLIT: 0
	.section	.text._Z39paged_attention_ll4mi_QKV_mfma16_kernelI14__hip_bfloat16S0_LN4vllm18Fp8KVCacheDataTypeE0ES0_Li16ELi64ELi256ELb1ELi6EEvPKT_PKT0_S8_ifPKiSA_SA_iPKfiiiPfSD_PS3_PT2_iSC_SC_,"axG",@progbits,_Z39paged_attention_ll4mi_QKV_mfma16_kernelI14__hip_bfloat16S0_LN4vllm18Fp8KVCacheDataTypeE0ES0_Li16ELi64ELi256ELb1ELi6EEvPKT_PKT0_S8_ifPKiSA_SA_iPKfiiiPfSD_PS3_PT2_iSC_SC_,comdat
	.protected	_Z39paged_attention_ll4mi_QKV_mfma16_kernelI14__hip_bfloat16S0_LN4vllm18Fp8KVCacheDataTypeE0ES0_Li16ELi64ELi256ELb1ELi6EEvPKT_PKT0_S8_ifPKiSA_SA_iPKfiiiPfSD_PS3_PT2_iSC_SC_ ; -- Begin function _Z39paged_attention_ll4mi_QKV_mfma16_kernelI14__hip_bfloat16S0_LN4vllm18Fp8KVCacheDataTypeE0ES0_Li16ELi64ELi256ELb1ELi6EEvPKT_PKT0_S8_ifPKiSA_SA_iPKfiiiPfSD_PS3_PT2_iSC_SC_
	.globl	_Z39paged_attention_ll4mi_QKV_mfma16_kernelI14__hip_bfloat16S0_LN4vllm18Fp8KVCacheDataTypeE0ES0_Li16ELi64ELi256ELb1ELi6EEvPKT_PKT0_S8_ifPKiSA_SA_iPKfiiiPfSD_PS3_PT2_iSC_SC_
	.p2align	8
	.type	_Z39paged_attention_ll4mi_QKV_mfma16_kernelI14__hip_bfloat16S0_LN4vllm18Fp8KVCacheDataTypeE0ES0_Li16ELi64ELi256ELb1ELi6EEvPKT_PKT0_S8_ifPKiSA_SA_iPKfiiiPfSD_PS3_PT2_iSC_SC_,@function
_Z39paged_attention_ll4mi_QKV_mfma16_kernelI14__hip_bfloat16S0_LN4vllm18Fp8KVCacheDataTypeE0ES0_Li16ELi64ELi256ELb1ELi6EEvPKT_PKT0_S8_ifPKiSA_SA_iPKfiiiPfSD_PS3_PT2_iSC_SC_: ; @_Z39paged_attention_ll4mi_QKV_mfma16_kernelI14__hip_bfloat16S0_LN4vllm18Fp8KVCacheDataTypeE0ES0_Li16ELi64ELi256ELb1ELi6EEvPKT_PKT0_S8_ifPKiSA_SA_iPKfiiiPfSD_PS3_PT2_iSC_SC_
; %bb.0:
	s_load_dwordx2 s[8:9], s[0:1], 0x30
	s_mov_b32 s28, s3
	s_mov_b64 s[6:7], 0
	s_waitcnt lgkmcnt(0)
	s_cmp_lg_u64 s[8:9], 0
	s_cselect_b64 s[10:11], -1, 0
	s_and_b64 vcc, exec, s[10:11]
	s_cbranch_vccz .LBB445_7
; %bb.1:
	s_add_i32 s12, s2, 1
	s_mov_b32 s13, 0
	s_lshl_b64 s[14:15], s[12:13], 2
	s_add_u32 s14, s8, s14
	s_mov_b32 s3, s13
	s_addc_u32 s15, s9, s15
	s_lshl_b64 s[12:13], s[2:3], 2
	s_add_u32 s12, s8, s12
	s_addc_u32 s13, s9, s13
	s_load_dword s5, s[14:15], 0x0
	s_load_dword s16, s[12:13], 0x0
	s_waitcnt lgkmcnt(0)
	s_sub_i32 s5, s5, s16
	s_cmp_eq_u32 s5, 1
	s_cselect_b64 s[12:13], -1, 0
	s_andn2_b64 vcc, exec, s[6:7]
	s_cbranch_vccnz .LBB445_3
.LBB445_2:
	s_mov_b32 s3, 0
	s_mov_b64 s[12:13], -1
.LBB445_3:
	s_andn2_b64 vcc, exec, s[12:13]
	s_cbranch_vccnz .LBB445_20
; %bb.4:
	s_load_dwordx2 s[6:7], s[0:1], 0x28
	s_lshl_b64 s[14:15], s[2:3], 2
	s_waitcnt lgkmcnt(0)
	s_add_u32 s6, s6, s14
	s_addc_u32 s7, s7, s15
	s_load_dword s29, s[6:7], 0x0
	s_lshl_b32 s16, s28, 8
	s_waitcnt lgkmcnt(0)
	s_cmp_ge_i32 s16, s29
	s_cbranch_scc1 .LBB445_20
; %bb.5:
	s_load_dwordx2 s[6:7], s[0:1], 0x20
	s_load_dword s5, s[0:1], 0x38
	s_add_i32 s12, s29, 15
	s_ashr_i32 s13, s12, 31
	v_and_b32_e32 v1, 0xcf, v0
	s_lshr_b32 s13, s13, 28
	v_add_u32_e32 v1, s16, v1
	s_add_i32 s12, s12, s13
	v_ashrrev_i32_e32 v2, 31, v1
	s_ashr_i32 s17, s12, 4
	v_lshrrev_b32_e32 v6, 28, v2
	s_add_i32 s17, s17, -1
	s_waitcnt lgkmcnt(0)
	s_mul_i32 s12, s2, s5
	s_mov_b32 s13, 0
	v_add_u32_e32 v2, v1, v6
	s_lshl_b64 s[12:13], s[12:13], 2
	v_ashrrev_i32_e32 v2, 4, v2
	v_mov_b32_e32 v7, s17
	v_cmp_gt_i32_e32 vcc, s29, v1
	s_add_u32 s6, s6, s12
	s_addc_u32 s7, s7, s13
	v_cndmask_b32_e32 v2, v7, v2, vcc
	v_ashrrev_i32_e32 v3, 31, v2
	v_lshl_add_u64 v[4:5], v[2:3], 2, s[6:7]
	v_or_b32_e32 v2, 16, v1
	v_add_u32_e32 v3, v2, v6
	v_ashrrev_i32_e32 v3, 4, v3
	v_cmp_gt_i32_e32 vcc, s29, v2
	s_load_dwordx2 s[12:13], s[0:1], 0x8
	s_nop 0
	v_cndmask_b32_e32 v2, v7, v3, vcc
	v_ashrrev_i32_e32 v3, 31, v2
	v_lshl_add_u64 v[8:9], v[2:3], 2, s[6:7]
	v_or_b32_e32 v2, 32, v1
	v_add_u32_e32 v3, v2, v6
	v_ashrrev_i32_e32 v3, 4, v3
	v_cmp_gt_i32_e32 vcc, s29, v2
	v_or_b32_e32 v1, 48, v1
	s_nop 0
	v_cndmask_b32_e32 v2, v7, v3, vcc
	v_ashrrev_i32_e32 v3, 31, v2
	v_lshl_add_u64 v[10:11], v[2:3], 2, s[6:7]
	v_add_u32_e32 v2, v1, v6
	v_ashrrev_i32_e32 v2, 4, v2
	v_cmp_gt_i32_e32 vcc, s29, v1
	s_nop 1
	v_cndmask_b32_e32 v2, v7, v2, vcc
	v_ashrrev_i32_e32 v3, 31, v2
	v_lshl_add_u64 v[12:13], v[2:3], 2, s[6:7]
	global_load_dword v3, v[4:5], off
	global_load_dword v2, v[8:9], off
	;; [unrolled: 1-line block ×4, first 2 shown]
	s_andn2_b64 vcc, exec, s[10:11]
	s_cbranch_vccnz .LBB445_8
; %bb.6:
	s_add_u32 s8, s8, s14
	s_addc_u32 s9, s9, s15
	s_load_dword s5, s[8:9], 0x0
	s_branch .LBB445_9
.LBB445_7:
	s_mov_b64 s[12:13], 0
	s_branch .LBB445_2
.LBB445_8:
	s_mov_b32 s5, s2
.LBB445_9:
	s_load_dwordx2 s[8:9], s[0:1], 0x10
	s_load_dwordx4 s[44:47], s[0:1], 0x48
	v_lshrrev_b32_e32 v45, 6, v0
	v_bfe_u32 v54, v0, 4, 2
	v_lshl_or_b32 v1, v45, 2, v54
	v_and_b32_e32 v44, 15, v0
	v_lshlrev_b32_e32 v4, 3, v44
	v_cmp_gt_u32_e32 vcc, 6, v1
	v_cmp_gt_u32_e64 s[30:31], 8, v44
	s_mul_i32 s42, s4, 6
	s_and_b64 s[14:15], s[30:31], vcc
	v_lshlrev_b32_e32 v42, 1, v4
	s_and_saveexec_b64 s[10:11], s[14:15]
	s_cbranch_execz .LBB445_11
; %bb.10:
	s_load_dwordx2 s[14:15], s[0:1], 0x0
	s_waitcnt lgkmcnt(0)
	s_ashr_i32 s18, s44, 31
	s_mul_hi_u32 s19, s5, s44
	s_mul_i32 s18, s5, s18
	s_add_i32 s19, s19, s18
	s_mul_i32 s18, s5, s44
	s_lshl_b64 s[18:19], s[18:19], 1
	s_add_u32 s14, s14, s18
	v_add_lshl_u32 v4, v1, s42, 6
	s_addc_u32 s15, s15, s19
	v_ashrrev_i32_e32 v5, 31, v4
	v_lshl_add_u64 v[4:5], v[4:5], 1, s[14:15]
	v_mov_b32_e32 v43, 0
	v_lshl_add_u64 v[4:5], v[4:5], 0, v[42:43]
	global_load_dwordx4 v[8:11], v[4:5], off
	v_and_b32_e32 v4, 3, v0
	v_lshlrev_b32_e32 v5, 9, v44
	v_lshlrev_b32_e32 v1, 5, v1
	;; [unrolled: 1-line block ×3, first 2 shown]
	v_and_b32_e32 v5, 0x1800, v5
	v_or3_b32 v1, v5, v4, v1
	s_waitcnt vmcnt(0)
	ds_write_b128 v1, v[8:11]
.LBB445_11:
	s_or_b64 exec, exec, s[10:11]
	s_waitcnt lgkmcnt(0)
	s_mul_i32 s4, s4, s46
	s_mov_b32 s5, 0
	s_lshl_b64 s[4:5], s[4:5], 1
	s_add_u32 s10, s12, s4
	v_lshlrev_b32_e32 v1, 4, v0
	s_addc_u32 s11, s13, s5
	v_and_b32_e32 v46, 0xf0, v1
	v_mov_b32_e32 v47, 0
	v_lshl_add_u64 v[16:17], s[10:11], 0, v[46:47]
	s_waitcnt vmcnt(3)
	v_mad_i64_i32 v[4:5], s[10:11], v3, s45, 0
	s_waitcnt vmcnt(2)
	v_mad_i64_i32 v[2:3], s[10:11], v2, s45, 0
	s_waitcnt vmcnt(1)
	v_mad_i64_i32 v[6:7], s[10:11], v6, s45, 0
	v_lshl_add_u64 v[4:5], v[4:5], 1, v[16:17]
	v_and_b32_e32 v46, 0x300, v1
	v_lshl_add_u64 v[2:3], v[2:3], 1, v[16:17]
	v_lshl_add_u64 v[6:7], v[6:7], 1, v[16:17]
	s_waitcnt vmcnt(0)
	v_mad_i64_i32 v[14:15], s[10:11], v14, s45, 0
	v_lshl_add_u64 v[4:5], v[4:5], 0, v[46:47]
	v_lshl_add_u64 v[8:9], v[2:3], 0, v[46:47]
	;; [unrolled: 1-line block ×4, first 2 shown]
	s_barrier
	global_load_dwordx4 v[30:33], v[4:5], off
	global_load_dwordx4 v[10:13], v[4:5], off offset:1024
	global_load_dwordx4 v[22:25], v[8:9], off
	s_nop 0
	global_load_dwordx4 v[2:5], v[8:9], off offset:1024
	global_load_dwordx4 v[26:29], v[18:19], off
	s_nop 0
	global_load_dwordx4 v[6:9], v[18:19], off offset:1024
	v_lshl_add_u64 v[18:19], v[14:15], 0, v[46:47]
	global_load_dwordx4 v[34:37], v[18:19], off
	global_load_dwordx4 v[14:17], v[18:19], off offset:1024
	v_mul_lo_u16_e32 v18, 43, v44
	v_mov_b32_e32 v19, 6
	v_mul_lo_u16_sdwa v18, v18, v19 dst_sel:DWORD dst_unused:UNUSED_PAD src0_sel:BYTE_1 src1_sel:DWORD
	v_sub_u16_e32 v18, v44, v18
	v_mov_b32_e32 v19, 5
	v_lshlrev_b32_sdwa v18, v19, v18 dst_sel:DWORD dst_unused:UNUSED_PAD src0_sel:DWORD src1_sel:BYTE_0
	v_lshl_add_u32 v18, v54, 9, v18
	ds_read_b128 v[38:41], v18
	ds_read_b128 v[18:21], v18 offset:2048
	v_and_b32_e32 v55, 63, v0
	v_cmp_gt_u32_e32 vcc, 6, v44
	v_mov_b32_e32 v56, 0
	s_and_saveexec_b64 s[10:11], vcc
	s_cbranch_execz .LBB445_13
; %bb.12:
	s_load_dwordx2 s[12:13], s[0:1], 0x40
	v_add_u32_e32 v48, s42, v44
	v_ashrrev_i32_e32 v49, 31, v48
	s_waitcnt lgkmcnt(0)
	v_lshl_add_u64 v[48:49], v[48:49], 2, s[12:13]
	global_load_dword v56, v[48:49], off
.LBB445_13:
	s_or_b64 exec, exec, s[10:11]
	v_and_or_b32 v46, v0, 48, s16
	v_ashrrev_i32_e32 v43, 4, v46
	v_mov_b32_e32 v57, s17
	v_cmp_gt_i32_e32 vcc, s29, v46
	s_waitcnt vmcnt(5) lgkmcnt(1)
	v_mfma_f32_16x16x16_bf16 v[58:61], v[22:23], v[38:39], 0
	s_load_dword s10, s[0:1], 0x1c
	v_cndmask_b32_e32 v48, v57, v43, vcc
	v_ashrrev_i32_e32 v49, 31, v48
	v_or_b32_e32 v43, 64, v46
	v_lshl_add_u64 v[52:53], v[48:49], 2, s[6:7]
	v_mfma_f32_16x16x16_bf16 v[48:51], v[30:31], v[38:39], 0
	v_ashrrev_i32_e32 v30, 4, v43
	v_cmp_gt_i32_e32 vcc, s29, v43
	global_load_dword v70, v[52:53], off
	s_waitcnt vmcnt(4)
	v_mfma_f32_16x16x16_bf16 v[62:65], v[26:27], v[38:39], 0
	v_cndmask_b32_e32 v30, v57, v30, vcc
	v_ashrrev_i32_e32 v31, 31, v30
	v_lshl_add_u64 v[22:23], v[30:31], 2, s[6:7]
	global_load_dword v71, v[22:23], off
	v_mfma_f32_16x16x16_bf16 v[22:25], v[24:25], v[40:41], v[58:61]
	v_and_b32_e32 v26, 0xc0, v0
	s_add_u32 s4, s8, s4
	v_lshlrev_b32_e32 v43, 5, v44
	v_mfma_f32_16x16x16_bf16 v[30:33], v[32:33], v[40:41], v[48:51]
	s_addc_u32 s5, s9, s5
	s_mov_b32 s33, 0xff7fffff
	s_waitcnt vmcnt(3)
	v_mfma_f32_16x16x16_bf16 v[66:69], v[34:35], v[38:39], 0
	v_or_b32_e32 v38, 0x80, v46
	v_add_u32_e32 v48, s16, v26
	v_or_b32_e32 v39, 0xc0, v46
	v_mfma_f32_16x16x16_bf16 v[26:29], v[28:29], v[40:41], v[62:65]
	v_ashrrev_i32_e32 v49, 4, v38
	v_cmp_gt_i32_e32 vcc, s29, v38
	v_ashrrev_i32_e32 v50, 4, v39
	s_waitcnt lgkmcnt(0)
	v_mfma_f32_16x16x16_bf16 v[22:25], v[2:3], v[18:19], v[22:25]
	v_cndmask_b32_e32 v38, v57, v49, vcc
	v_cmp_gt_i32_e32 vcc, s29, v39
	v_ashrrev_i32_e32 v39, 31, v38
	v_mfma_f32_16x16x16_bf16 v[30:33], v[10:11], v[18:19], v[30:33]
	v_cndmask_b32_e32 v10, v57, v50, vcc
	v_ashrrev_i32_e32 v11, 31, v10
	v_lshl_or_b32 v58, v54, 2, v48
	v_mfma_f32_16x16x16_bf16 v[26:29], v[6:7], v[18:19], v[26:29]
	v_lshl_add_u64 v[6:7], v[38:39], 2, s[6:7]
	v_lshl_add_u64 v[38:39], v[10:11], 2, s[6:7]
	v_or_b32_e32 v57, 1, v58
	v_mfma_f32_16x16x16_bf16 v[2:5], v[4:5], v[20:21], v[22:25]
	s_nop 2
	global_load_dword v22, v[6:7], off
	global_load_dword v61, v[38:39], off
	v_subrev_u32_e32 v59, s29, v57
	v_cvt_f32_i32_e32 v60, v59
	v_mfma_f32_16x16x16_bf16 v[34:37], v[36:37], v[40:41], v[66:69]
	v_pk_mul_f32 v[48:49], s[10:11], v[4:5] op_sel_hi:[0,1]
	v_lshl_or_b32 v46, v45, 9, v43
	v_lshl_add_u64 v[46:47], s[4:5], 0, v[46:47]
	s_waitcnt vmcnt(4)
	v_mfma_f32_16x16x16_bf16 v[34:37], v[14:15], v[18:19], v[34:37]
	v_add_u32_e32 v14, 1, v59
	v_add_u32_e32 v15, 2, v59
	v_cvt_f32_i32_e32 v23, v14
	v_cvt_f32_i32_e32 v24, v15
	v_mfma_f32_16x16x16_bf16 v[14:17], v[16:17], v[20:21], v[34:37]
	v_add_u32_e32 v18, 3, v59
	v_cvt_f32_i32_e32 v18, v18
	v_pk_mul_f32 v[50:51], s[10:11], v[2:3] op_sel_hi:[0,1]
	v_mfma_f32_16x16x16_bf16 v[10:13], v[12:13], v[20:21], v[30:33]
	v_cmp_gt_i32_e64 s[34:35], s29, v57
	s_nop 1
	v_pk_mul_f32 v[36:37], s[10:11], v[14:15] op_sel_hi:[0,1]
	v_add_u32_e32 v15, 19, v59
	v_add_u32_e32 v31, 18, v59
	v_cvt_f32_i32_e32 v14, v31
	v_cvt_f32_i32_e32 v15, v15
	v_mfma_f32_16x16x16_bf16 v[6:9], v[8:9], v[20:21], v[26:29]
	v_pk_mul_f32 v[34:35], s[10:11], v[16:17] op_sel_hi:[0,1]
	v_fma_f32 v48, v56, v14, v48
	v_add_u32_e32 v14, 32, v59
	v_fmac_f32_e32 v49, v56, v15
	v_cvt_f32_i32_e32 v14, v14
	v_add_u32_e32 v15, 33, v59
	v_add_u32_e32 v16, 34, v59
	v_cvt_f32_i32_e32 v15, v15
	v_cvt_f32_i32_e32 v16, v16
	v_add_u32_e32 v17, 35, v59
	v_cvt_f32_i32_e32 v17, v17
	v_pk_mul_f32 v[40:41], s[10:11], v[6:7] op_sel_hi:[0,1]
	v_pk_mul_f32 v[38:39], s[10:11], v[8:9] op_sel_hi:[0,1]
	v_fma_f32 v40, v56, v14, v40
	v_add_u32_e32 v14, 48, v59
	v_fmac_f32_e32 v41, v56, v15
	v_fma_f32 v38, v56, v16, v38
	v_cvt_f32_i32_e32 v14, v14
	v_add_u32_e32 v15, 49, v59
	v_add_u32_e32 v16, 50, v59
	v_fmac_f32_e32 v39, v56, v17
	v_cvt_f32_i32_e32 v15, v15
	v_cvt_f32_i32_e32 v16, v16
	v_add_u32_e32 v17, 51, v59
	v_cvt_f32_i32_e32 v17, v17
	v_pk_mul_f32 v[52:53], s[10:11], v[12:13] op_sel_hi:[0,1]
	v_pk_mul_f32 v[10:11], s[10:11], v[10:11] op_sel_hi:[0,1]
	s_waitcnt vmcnt(3)
	v_mad_i64_i32 v[2:3], s[4:5], v70, s45, 0
	s_waitcnt vmcnt(2)
	v_mad_i64_i32 v[12:13], s[4:5], v71, s45, 0
	v_fma_f32 v10, v56, v60, v10
	v_fmac_f32_e32 v11, v56, v23
	v_fma_f32 v36, v56, v14, v36
	v_mov_b32_e32 v14, 0xff7fffff
	v_cmp_gt_i32_e64 s[4:5], s29, v58
	v_add_u32_e32 v19, 16, v59
	v_add_u32_e32 v30, 17, v59
	v_fmac_f32_e32 v37, v56, v15
	v_fma_f32 v34, v56, v16, v34
	v_cndmask_b32_e64 v15, v14, v10, s[4:5]
	v_cndmask_b32_e64 v16, v14, v11, s[34:35]
	v_cvt_f32_i32_e32 v19, v19
	v_cvt_f32_i32_e32 v25, v30
	v_fmac_f32_e32 v35, v56, v17
	v_max3_f32 v15, v15, s33, v16
	v_or_b32_e32 v16, 2, v58
	v_or_b32_e32 v17, 3, v58
	v_fma_f32 v52, v56, v24, v52
	v_fmac_f32_e32 v53, v56, v18
	v_cmp_gt_i32_e64 s[36:37], s29, v16
	v_cmp_gt_i32_e64 s[38:39], s29, v17
	v_fma_f32 v50, v56, v19, v50
	v_cndmask_b32_e64 v16, v14, v52, s[36:37]
	v_cndmask_b32_e64 v17, v14, v53, s[38:39]
	v_max3_f32 v15, v15, v16, v17
	v_or_b32_e32 v16, 16, v58
	v_or_b32_e32 v17, 17, v58
	v_fmac_f32_e32 v51, v56, v25
	v_cmp_gt_i32_e64 s[24:25], s29, v16
	v_cmp_gt_i32_e64 s[26:27], s29, v17
	v_lshl_add_u64 v[2:3], v[2:3], 1, v[46:47]
	v_cndmask_b32_e64 v16, v14, v50, s[24:25]
	v_cndmask_b32_e64 v17, v14, v51, s[26:27]
	v_max3_f32 v15, v15, v16, v17
	v_or_b32_e32 v16, 18, v58
	v_or_b32_e32 v17, 19, v58
	v_cmp_gt_i32_e64 s[20:21], s29, v16
	v_cmp_gt_i32_e64 s[22:23], s29, v17
	v_lshl_add_u64 v[12:13], v[12:13], 1, v[46:47]
	v_cndmask_b32_e64 v16, v14, v48, s[20:21]
	v_cndmask_b32_e64 v17, v14, v49, s[22:23]
	v_max3_f32 v15, v15, v16, v17
	v_or_b32_e32 v16, 32, v58
	v_or_b32_e32 v17, 33, v58
	v_cmp_gt_i32_e64 s[16:17], s29, v16
	v_cmp_gt_i32_e64 s[18:19], s29, v17
	global_load_dwordx4 v[6:9], v[2:3], off
	s_nop 0
	global_load_dwordx4 v[2:5], v[2:3], off offset:16
	v_cndmask_b32_e64 v16, v14, v40, s[16:17]
	v_cndmask_b32_e64 v17, v14, v41, s[18:19]
	v_max3_f32 v15, v15, v16, v17
	v_or_b32_e32 v16, 34, v58
	v_or_b32_e32 v17, 35, v58
	v_cmp_gt_i32_e64 s[12:13], s29, v16
	v_cmp_gt_i32_e64 s[14:15], s29, v17
	global_load_dwordx4 v[30:33], v[12:13], off
	global_load_dwordx4 v[26:29], v[12:13], off offset:16
	v_cndmask_b32_e64 v16, v14, v38, s[12:13]
	v_cndmask_b32_e64 v17, v14, v39, s[14:15]
	v_max3_f32 v15, v15, v16, v17
	v_or_b32_e32 v16, 48, v58
	v_or_b32_e32 v17, 49, v58
	v_cmp_gt_i32_e64 s[8:9], s29, v16
	v_cmp_gt_i32_e64 s[10:11], s29, v17
	s_nop 0
	v_cndmask_b32_e64 v16, v14, v36, s[8:9]
	v_cndmask_b32_e64 v17, v14, v37, s[10:11]
	v_max3_f32 v15, v15, v16, v17
	v_or_b32_e32 v16, 50, v58
	v_or_b32_e32 v17, 51, v58
	v_cmp_gt_i32_e32 vcc, s29, v16
	v_cmp_gt_i32_e64 s[6:7], s29, v17
	s_nop 0
	v_cndmask_b32_e32 v16, v14, v34, vcc
	v_cndmask_b32_e64 v14, v14, v35, s[6:7]
	v_max3_f32 v14, v15, v16, v14
	v_mbcnt_lo_u32_b32 v15, -1, 0
	v_mbcnt_hi_u32_b32 v15, -1, v15
	v_and_b32_e32 v16, 64, v15
	v_add_u32_e32 v16, 64, v16
	v_xor_b32_e32 v17, 32, v15
	v_cmp_lt_i32_e64 s[40:41], v17, v16
	s_nop 1
	v_cndmask_b32_e64 v17, v15, v17, s[40:41]
	v_lshlrev_b32_e32 v57, 2, v17
	ds_bpermute_b32 v17, v57, v14
	s_waitcnt vmcnt(5)
	v_mad_i64_i32 v[12:13], s[40:41], v22, s45, 0
	v_lshl_add_u64 v[12:13], v[12:13], 1, v[46:47]
	global_load_dwordx4 v[22:25], v[12:13], off
	global_load_dwordx4 v[18:21], v[12:13], off offset:16
	s_waitcnt lgkmcnt(0)
	v_max_f32_e32 v17, v17, v17
	v_max_f32_e32 v14, v14, v17
	v_xor_b32_e32 v17, 16, v15
	v_cmp_lt_i32_e64 s[40:41], v17, v16
	s_nop 1
	v_cndmask_b32_e64 v15, v15, v17, s[40:41]
	v_lshlrev_b32_e32 v59, 2, v15
	ds_bpermute_b32 v15, v59, v14
	s_waitcnt vmcnt(6)
	v_mad_i64_i32 v[12:13], s[40:41], v61, s45, 0
	v_lshl_add_u64 v[12:13], v[12:13], 1, v[46:47]
	s_waitcnt lgkmcnt(0)
	v_max_f32_e32 v15, v15, v15
	v_max_f32_e32 v56, v14, v15
	v_sub_f32_e32 v10, v10, v56
	v_mul_f32_e32 v10, 0x3fb8aa3b, v10
	v_exp_f32_e32 v46, v10
	v_sub_f32_e32 v10, v11, v56
	v_mul_f32_e32 v10, 0x3fb8aa3b, v10
	v_exp_f32_e32 v47, v10
	global_load_dwordx4 v[14:17], v[12:13], off
	s_nop 0
	global_load_dwordx4 v[10:13], v[12:13], off offset:16
	v_sub_f32_e32 v52, v52, v56
	v_mul_f32_e32 v52, 0x3fb8aa3b, v52
	v_sub_f32_e32 v53, v53, v56
	v_exp_f32_e32 v52, v52
	v_mul_f32_e32 v53, 0x3fb8aa3b, v53
	v_sub_f32_e32 v50, v50, v56
	v_exp_f32_e32 v53, v53
	v_mul_f32_e32 v50, 0x3fb8aa3b, v50
	v_sub_f32_e32 v51, v51, v56
	v_cndmask_b32_e64 v46, 0, v46, s[4:5]
	v_exp_f32_e32 v50, v50
	v_mul_f32_e32 v51, 0x3fb8aa3b, v51
	v_sub_f32_e32 v48, v48, v56
	v_add_f32_e32 v58, 0, v46
	v_cndmask_b32_e64 v47, 0, v47, s[34:35]
	v_exp_f32_e32 v51, v51
	v_mul_f32_e32 v48, 0x3fb8aa3b, v48
	v_sub_f32_e32 v49, v49, v56
	v_add_f32_e32 v58, v58, v47
	;; [unrolled: 5-line block ×10, first 2 shown]
	v_cndmask_b32_e64 v38, 0, v38, s[12:13]
	v_exp_f32_e32 v34, v34
	v_mul_f32_e32 v35, 0x3fb8aa3b, v35
	v_add_f32_e32 v58, v58, v38
	v_cndmask_b32_e64 v39, 0, v39, s[14:15]
	v_exp_f32_e32 v35, v35
	v_add_f32_e32 v58, v58, v39
	v_cndmask_b32_e64 v36, 0, v36, s[8:9]
	v_add_f32_e32 v58, v58, v36
	v_cndmask_b32_e64 v37, 0, v37, s[10:11]
	v_add_f32_e32 v58, v58, v37
	v_cndmask_b32_e32 v34, 0, v34, vcc
	v_add_f32_e32 v58, v58, v34
	v_cndmask_b32_e64 v35, 0, v35, s[6:7]
	v_add_f32_e32 v58, v58, v35
	ds_bpermute_b32 v57, v57, v58
	s_load_dword s7, s[0:1], 0x98
	v_cmp_gt_u32_e32 vcc, 16, v55
	s_waitcnt lgkmcnt(0)
	s_barrier
	v_add_f32_e32 v58, v58, v57
	ds_bpermute_b32 v59, v59, v58
	v_lshlrev_b32_e32 v57, 2, v44
	s_waitcnt lgkmcnt(0)
	s_and_saveexec_b64 s[4:5], vcc
	s_cbranch_execz .LBB445_15
; %bb.14:
	v_add_f32_e32 v55, v58, v59
	v_lshl_or_b32 v58, v45, 6, v57
	ds_write2st64_b32 v58, v56, v55 offset1:1
.LBB445_15:
	s_or_b64 exec, exec, s[4:5]
	s_load_dword s6, s[0:1], 0x94
	s_waitcnt lgkmcnt(0)
	s_barrier
	ds_read2_b32 v[58:59], v57 offset1:16
	ds_read2_b32 v[60:61], v57 offset0:32 offset1:48
	ds_read2_b32 v[62:63], v57 offset0:64 offset1:80
	s_movk_i32 s8, 0x7fff
	s_mov_b32 s9, 0x7060302
	s_waitcnt lgkmcnt(2)
	v_max3_f32 v55, v58, s33, v59
	s_waitcnt lgkmcnt(1)
	v_max3_f32 v55, v55, v60, v61
	v_sub_f32_e32 v56, v58, v55
	v_mul_f32_e32 v56, 0x3fb8aa3b, v56
	v_exp_f32_e32 v64, v56
	v_sub_f32_e32 v56, v59, v55
	v_mul_f32_e32 v56, 0x3fb8aa3b, v56
	v_exp_f32_e32 v65, v56
	;; [unrolled: 3-line block ×3, first 2 shown]
	ds_read2_b32 v[58:59], v57 offset0:96 offset1:112
	v_sub_f32_e32 v56, v61, v55
	v_mul_f32_e32 v56, 0x3fb8aa3b, v56
	v_exp_f32_e32 v57, v56
	s_waitcnt lgkmcnt(1)
	v_fma_f32 v56, v64, v62, 0
	v_fmac_f32_e32 v56, v65, v63
	s_waitcnt lgkmcnt(0)
	v_fmac_f32_e32 v56, v60, v58
	v_fmac_f32_e32 v56, v57, v59
	v_add_f32_e32 v58, 0x358637bd, v56
	v_div_scale_f32 v59, s[4:5], v58, v58, 1.0
	v_rcp_f32_e32 v61, v59
	s_mul_i32 s7, s7, 6
	s_barrier
	v_fma_f32 v62, -v59, v61, 1.0
	v_fmac_f32_e32 v61, v62, v61
	v_div_scale_f32 v62, vcc, 1.0, v58, 1.0
	v_mul_f32_e32 v63, v62, v61
	v_fma_f32 v66, -v59, v63, v62
	v_fmac_f32_e32 v63, v66, v61
	v_fma_f32 v59, -v59, v63, v62
	v_div_fmas_f32 v59, v59, v61, v63
	v_cmp_eq_u32_e32 vcc, 1, v45
	v_div_fixup_f32 v58, v59, v58, 1.0
	s_nop 0
	v_cndmask_b32_e32 v59, v64, v65, vcc
	v_cmp_eq_u32_e32 vcc, 2, v45
	s_nop 1
	v_cndmask_b32_e32 v59, v59, v60, vcc
	v_cmp_eq_u32_e32 vcc, 3, v45
	v_lshlrev_b32_e32 v45, 11, v45
	s_nop 0
	v_cndmask_b32_e32 v57, v59, v57, vcc
	v_mul_f32_e32 v58, v57, v58
	v_pk_mul_f32 v[46:47], v[58:59], v[46:47] op_sel_hi:[0,1]
	v_pk_mul_f32 v[52:53], v[58:59], v[52:53] op_sel_hi:[0,1]
	v_bfe_u32 v57, v47, 16, 1
	v_bfe_u32 v59, v46, 16, 1
	v_add3_u32 v46, v46, v59, s8
	v_add3_u32 v47, v47, v57, s8
	v_perm_b32 v60, v47, v46, s9
	v_bfe_u32 v46, v53, 16, 1
	v_bfe_u32 v47, v52, 16, 1
	v_add3_u32 v47, v52, v47, s8
	v_add3_u32 v46, v53, v46, s8
	v_perm_b32 v61, v46, v47, s9
	v_lshlrev_b32_e32 v46, 3, v54
	v_pk_mul_f32 v[50:51], v[58:59], v[50:51] op_sel_hi:[0,1]
	v_or3_b32 v46, v45, v43, v46
	v_bfe_u32 v45, v51, 16, 1
	v_bfe_u32 v47, v50, 16, 1
	v_pk_mul_f32 v[48:49], v[58:59], v[48:49] op_sel_hi:[0,1]
	v_add3_u32 v47, v50, v47, s8
	v_add3_u32 v45, v51, v45, s8
	v_perm_b32 v50, v45, v47, s9
	v_bfe_u32 v45, v49, 16, 1
	v_bfe_u32 v47, v48, 16, 1
	v_add3_u32 v47, v48, v47, s8
	v_add3_u32 v45, v49, v45, s8
	v_pk_mul_f32 v[40:41], v[58:59], v[40:41] op_sel_hi:[0,1]
	v_perm_b32 v51, v45, v47, s9
	v_bfe_u32 v45, v41, 16, 1
	v_bfe_u32 v47, v40, 16, 1
	v_pk_mul_f32 v[38:39], v[58:59], v[38:39] op_sel_hi:[0,1]
	v_add3_u32 v40, v40, v47, s8
	v_add3_u32 v41, v41, v45, s8
	v_perm_b32 v40, v41, v40, s9
	v_bfe_u32 v41, v39, 16, 1
	v_bfe_u32 v45, v38, 16, 1
	v_add3_u32 v38, v38, v45, s8
	v_add3_u32 v39, v39, v41, s8
	v_pk_mul_f32 v[36:37], v[58:59], v[36:37] op_sel_hi:[0,1]
	v_perm_b32 v41, v39, v38, s9
	v_bfe_u32 v38, v37, 16, 1
	v_bfe_u32 v39, v36, 16, 1
	v_pk_mul_f32 v[34:35], v[58:59], v[34:35] op_sel_hi:[0,1]
	v_add3_u32 v36, v36, v39, s8
	v_add3_u32 v37, v37, v38, s8
	v_perm_b32 v36, v37, v36, s9
	v_bfe_u32 v37, v35, 16, 1
	v_bfe_u32 v38, v34, 16, 1
	v_add3_u32 v34, v34, v38, s8
	v_add3_u32 v35, v35, v37, s8
	v_perm_b32 v37, v35, v34, s9
	v_cmp_gt_u32_e32 vcc, 6, v0
	ds_write2st64_b64 v46, v[60:61], v[50:51] offset1:1
	ds_write2st64_b64 v46, v[40:41], v[36:37] offset0:2 offset1:3
	s_and_saveexec_b64 s[4:5], vcc
	s_cbranch_execz .LBB445_17
; %bb.16:
	s_mov_b32 s43, 0
	v_mov_b32_e32 v45, 0
	v_lshl_add_u64 v[34:35], s[42:43], 0, v[44:45]
	v_mov_b32_e32 v36, s7
	v_mad_u64_u32 v[34:35], s[10:11], s2, v36, v[34:35]
	s_mul_i32 s3, s3, s7
	v_mov_b32_e32 v44, s28
	s_load_dwordx4 s[12:15], s[0:1], 0x58
	v_add_u32_e32 v37, s3, v35
	v_mad_u64_u32 v[34:35], s[10:11], v34, s6, v[44:45]
	v_mov_b32_e32 v36, v35
	v_mad_u64_u32 v[36:37], s[10:11], v37, s6, v[36:37]
	v_mov_b32_e32 v35, v36
	v_lshlrev_b64 v[34:35], 2, v[34:35]
	s_waitcnt lgkmcnt(0)
	v_lshl_add_u64 v[36:37], s[14:15], 0, v[34:35]
	v_lshl_add_u64 v[34:35], s[12:13], 0, v[34:35]
	global_store_dword v[36:37], v55, off
	global_store_dword v[34:35], v56, off
.LBB445_17:
	s_or_b64 exec, exec, s[4:5]
	v_lshl_or_b32 v43, v54, 9, v43
	s_waitcnt lgkmcnt(0)
	s_barrier
	ds_read_b128 v[34:37], v43
	ds_read_b128 v[38:41], v43 offset:16
	s_waitcnt vmcnt(7) lgkmcnt(1)
	v_mfma_f32_16x16x16_bf16 v[48:51], v[6:7], v[34:35], 0
	v_cmp_gt_u32_e32 vcc, 64, v0
	s_mov_b32 s3, 0
	s_and_b64 s[4:5], vcc, s[30:31]
	v_mfma_f32_16x16x16_bf16 v[6:9], v[8:9], v[36:37], v[48:51]
	s_waitcnt vmcnt(6) lgkmcnt(0)
	v_mfma_f32_16x16x16_bf16 v[6:9], v[2:3], v[38:39], v[6:9]
	v_mfma_f32_16x16x16_bf16 v[2:5], v[4:5], v[40:41], v[6:9]
	s_nop 5
	ds_read_b128 v[6:9], v43 offset:2048
	ds_read_b128 v[34:37], v43 offset:2064
	s_waitcnt vmcnt(5) lgkmcnt(1)
	v_mfma_f32_16x16x16_bf16 v[2:5], v[30:31], v[6:7], v[2:5]
	v_mfma_f32_16x16x16_bf16 v[2:5], v[32:33], v[8:9], v[2:5]
	s_waitcnt vmcnt(4) lgkmcnt(0)
	v_mfma_f32_16x16x16_bf16 v[2:5], v[26:27], v[34:35], v[2:5]
	v_mfma_f32_16x16x16_bf16 v[2:5], v[28:29], v[36:37], v[2:5]
	ds_read_b128 v[6:9], v43 offset:4096
	ds_read_b128 v[26:29], v43 offset:4112
	s_waitcnt vmcnt(3) lgkmcnt(1)
	v_mfma_f32_16x16x16_bf16 v[2:5], v[22:23], v[6:7], v[2:5]
	v_mfma_f32_16x16x16_bf16 v[2:5], v[24:25], v[8:9], v[2:5]
	s_waitcnt vmcnt(2) lgkmcnt(0)
	v_mfma_f32_16x16x16_bf16 v[2:5], v[18:19], v[26:27], v[2:5]
	v_mfma_f32_16x16x16_bf16 v[2:5], v[20:21], v[28:29], v[2:5]
	ds_read_b128 v[6:9], v43 offset:6144
	ds_read_b128 v[18:21], v43 offset:6160
	v_mov_b32_e32 v43, 0
	s_waitcnt vmcnt(1) lgkmcnt(0)
	v_mfma_f32_16x16x16_bf16 v[2:5], v[14:15], v[6:7], v[2:5]
	s_barrier
	v_mfma_f32_16x16x16_bf16 v[2:5], v[16:17], v[8:9], v[2:5]
	s_waitcnt vmcnt(0)
	v_mfma_f32_16x16x16_bf16 v[2:5], v[10:11], v[18:19], v[2:5]
	v_mfma_f32_16x16x16_bf16 v[2:5], v[12:13], v[20:21], v[2:5]
	s_nop 6
	v_bfe_u32 v6, v3, 16, 1
	v_bfe_u32 v7, v2, 16, 1
	;; [unrolled: 1-line block ×4, first 2 shown]
	v_add3_u32 v2, v2, v7, s8
	v_add3_u32 v3, v3, v6, s8
	;; [unrolled: 1-line block ×4, first 2 shown]
	v_perm_b32 v2, v3, v2, s9
	v_perm_b32 v3, v5, v4, s9
	ds_write_b64 v46, v[2:3]
	s_waitcnt lgkmcnt(0)
	s_barrier
	s_and_saveexec_b64 s[8:9], s[4:5]
	s_cbranch_execz .LBB445_20
; %bb.18:
	s_load_dwordx2 s[4:5], s[0:1], 0x68
	s_lshl_b32 s0, s6, 6
	s_mul_i32 s1, s7, s2
	s_mul_hi_u32 s7, s1, s0
	s_mul_i32 s6, s1, s0
	v_lshlrev_b32_e32 v0, 10, v0
	s_lshl_b64 s[6:7], s[6:7], 1
	v_and_b32_e32 v0, 0x1800, v0
	v_lshlrev_b32_e32 v3, 5, v54
	v_and_b32_e32 v1, 16, v1
	s_waitcnt lgkmcnt(0)
	s_add_u32 s1, s4, s6
	v_or3_b32 v3, v0, v3, v1
	s_addc_u32 s4, s5, s7
	s_lshl_b32 s2, s28, 6
	s_lshl_b64 s[2:3], s[2:3], 1
	ds_read_b128 v[4:7], v3
	s_add_u32 s2, s1, s2
	s_addc_u32 s3, s4, s3
	v_add_u32_e32 v8, s42, v54
	v_or_b32_e32 v2, 4, v54
	v_lshl_add_u64 v[0:1], s[2:3], 0, v[42:43]
	v_mad_u64_u32 v[8:9], s[2:3], v8, s0, 0
	v_lshl_add_u64 v[8:9], v[8:9], 1, v[0:1]
	v_cmp_gt_u32_e32 vcc, 6, v2
	s_waitcnt lgkmcnt(0)
	global_store_dwordx4 v[8:9], v[4:7], off
	s_and_b64 exec, exec, vcc
	s_cbranch_execz .LBB445_20
; %bb.19:
	ds_read_b128 v[4:7], v3 offset:128
	v_add_u32_e32 v2, s42, v2
	v_mad_u64_u32 v[2:3], s[0:1], v2, s0, 0
	v_lshl_add_u64 v[0:1], v[2:3], 1, v[0:1]
	s_waitcnt lgkmcnt(0)
	global_store_dwordx4 v[0:1], v[4:7], off
.LBB445_20:
	s_endpgm
	.section	.rodata,"a",@progbits
	.p2align	6, 0x0
	.amdhsa_kernel _Z39paged_attention_ll4mi_QKV_mfma16_kernelI14__hip_bfloat16S0_LN4vllm18Fp8KVCacheDataTypeE0ES0_Li16ELi64ELi256ELb1ELi6EEvPKT_PKT0_S8_ifPKiSA_SA_iPKfiiiPfSD_PS3_PT2_iSC_SC_
		.amdhsa_group_segment_fixed_size 8192
		.amdhsa_private_segment_fixed_size 0
		.amdhsa_kernarg_size 400
		.amdhsa_user_sgpr_count 2
		.amdhsa_user_sgpr_dispatch_ptr 0
		.amdhsa_user_sgpr_queue_ptr 0
		.amdhsa_user_sgpr_kernarg_segment_ptr 1
		.amdhsa_user_sgpr_dispatch_id 0
		.amdhsa_user_sgpr_kernarg_preload_length 0
		.amdhsa_user_sgpr_kernarg_preload_offset 0
		.amdhsa_user_sgpr_private_segment_size 0
		.amdhsa_uses_dynamic_stack 0
		.amdhsa_enable_private_segment 0
		.amdhsa_system_sgpr_workgroup_id_x 1
		.amdhsa_system_sgpr_workgroup_id_y 1
		.amdhsa_system_sgpr_workgroup_id_z 1
		.amdhsa_system_sgpr_workgroup_info 0
		.amdhsa_system_vgpr_workitem_id 0
		.amdhsa_next_free_vgpr 72
		.amdhsa_next_free_sgpr 48
		.amdhsa_accum_offset 72
		.amdhsa_reserve_vcc 1
		.amdhsa_float_round_mode_32 0
		.amdhsa_float_round_mode_16_64 0
		.amdhsa_float_denorm_mode_32 3
		.amdhsa_float_denorm_mode_16_64 3
		.amdhsa_dx10_clamp 1
		.amdhsa_ieee_mode 1
		.amdhsa_fp16_overflow 0
		.amdhsa_tg_split 0
		.amdhsa_exception_fp_ieee_invalid_op 0
		.amdhsa_exception_fp_denorm_src 0
		.amdhsa_exception_fp_ieee_div_zero 0
		.amdhsa_exception_fp_ieee_overflow 0
		.amdhsa_exception_fp_ieee_underflow 0
		.amdhsa_exception_fp_ieee_inexact 0
		.amdhsa_exception_int_div_zero 0
	.end_amdhsa_kernel
	.section	.text._Z39paged_attention_ll4mi_QKV_mfma16_kernelI14__hip_bfloat16S0_LN4vllm18Fp8KVCacheDataTypeE0ES0_Li16ELi64ELi256ELb1ELi6EEvPKT_PKT0_S8_ifPKiSA_SA_iPKfiiiPfSD_PS3_PT2_iSC_SC_,"axG",@progbits,_Z39paged_attention_ll4mi_QKV_mfma16_kernelI14__hip_bfloat16S0_LN4vllm18Fp8KVCacheDataTypeE0ES0_Li16ELi64ELi256ELb1ELi6EEvPKT_PKT0_S8_ifPKiSA_SA_iPKfiiiPfSD_PS3_PT2_iSC_SC_,comdat
.Lfunc_end445:
	.size	_Z39paged_attention_ll4mi_QKV_mfma16_kernelI14__hip_bfloat16S0_LN4vllm18Fp8KVCacheDataTypeE0ES0_Li16ELi64ELi256ELb1ELi6EEvPKT_PKT0_S8_ifPKiSA_SA_iPKfiiiPfSD_PS3_PT2_iSC_SC_, .Lfunc_end445-_Z39paged_attention_ll4mi_QKV_mfma16_kernelI14__hip_bfloat16S0_LN4vllm18Fp8KVCacheDataTypeE0ES0_Li16ELi64ELi256ELb1ELi6EEvPKT_PKT0_S8_ifPKiSA_SA_iPKfiiiPfSD_PS3_PT2_iSC_SC_
                                        ; -- End function
	.section	.AMDGPU.csdata,"",@progbits
; Kernel info:
; codeLenInByte = 4316
; NumSgprs: 54
; NumVgprs: 72
; NumAgprs: 0
; TotalNumVgprs: 72
; ScratchSize: 0
; MemoryBound: 0
; FloatMode: 240
; IeeeMode: 1
; LDSByteSize: 8192 bytes/workgroup (compile time only)
; SGPRBlocks: 6
; VGPRBlocks: 8
; NumSGPRsForWavesPerEU: 54
; NumVGPRsForWavesPerEU: 72
; AccumOffset: 72
; Occupancy: 7
; WaveLimiterHint : 1
; COMPUTE_PGM_RSRC2:SCRATCH_EN: 0
; COMPUTE_PGM_RSRC2:USER_SGPR: 2
; COMPUTE_PGM_RSRC2:TRAP_HANDLER: 0
; COMPUTE_PGM_RSRC2:TGID_X_EN: 1
; COMPUTE_PGM_RSRC2:TGID_Y_EN: 1
; COMPUTE_PGM_RSRC2:TGID_Z_EN: 1
; COMPUTE_PGM_RSRC2:TIDIG_COMP_CNT: 0
; COMPUTE_PGM_RSRC3_GFX90A:ACCUM_OFFSET: 17
; COMPUTE_PGM_RSRC3_GFX90A:TG_SPLIT: 0
	.section	.text._Z39paged_attention_ll4mi_QKV_mfma16_kernelI14__hip_bfloat16S0_LN4vllm18Fp8KVCacheDataTypeE0ES0_Li16ELi64ELi256ELb1ELi7EEvPKT_PKT0_S8_ifPKiSA_SA_iPKfiiiPfSD_PS3_PT2_iSC_SC_,"axG",@progbits,_Z39paged_attention_ll4mi_QKV_mfma16_kernelI14__hip_bfloat16S0_LN4vllm18Fp8KVCacheDataTypeE0ES0_Li16ELi64ELi256ELb1ELi7EEvPKT_PKT0_S8_ifPKiSA_SA_iPKfiiiPfSD_PS3_PT2_iSC_SC_,comdat
	.protected	_Z39paged_attention_ll4mi_QKV_mfma16_kernelI14__hip_bfloat16S0_LN4vllm18Fp8KVCacheDataTypeE0ES0_Li16ELi64ELi256ELb1ELi7EEvPKT_PKT0_S8_ifPKiSA_SA_iPKfiiiPfSD_PS3_PT2_iSC_SC_ ; -- Begin function _Z39paged_attention_ll4mi_QKV_mfma16_kernelI14__hip_bfloat16S0_LN4vllm18Fp8KVCacheDataTypeE0ES0_Li16ELi64ELi256ELb1ELi7EEvPKT_PKT0_S8_ifPKiSA_SA_iPKfiiiPfSD_PS3_PT2_iSC_SC_
	.globl	_Z39paged_attention_ll4mi_QKV_mfma16_kernelI14__hip_bfloat16S0_LN4vllm18Fp8KVCacheDataTypeE0ES0_Li16ELi64ELi256ELb1ELi7EEvPKT_PKT0_S8_ifPKiSA_SA_iPKfiiiPfSD_PS3_PT2_iSC_SC_
	.p2align	8
	.type	_Z39paged_attention_ll4mi_QKV_mfma16_kernelI14__hip_bfloat16S0_LN4vllm18Fp8KVCacheDataTypeE0ES0_Li16ELi64ELi256ELb1ELi7EEvPKT_PKT0_S8_ifPKiSA_SA_iPKfiiiPfSD_PS3_PT2_iSC_SC_,@function
_Z39paged_attention_ll4mi_QKV_mfma16_kernelI14__hip_bfloat16S0_LN4vllm18Fp8KVCacheDataTypeE0ES0_Li16ELi64ELi256ELb1ELi7EEvPKT_PKT0_S8_ifPKiSA_SA_iPKfiiiPfSD_PS3_PT2_iSC_SC_: ; @_Z39paged_attention_ll4mi_QKV_mfma16_kernelI14__hip_bfloat16S0_LN4vllm18Fp8KVCacheDataTypeE0ES0_Li16ELi64ELi256ELb1ELi7EEvPKT_PKT0_S8_ifPKiSA_SA_iPKfiiiPfSD_PS3_PT2_iSC_SC_
; %bb.0:
	s_load_dwordx2 s[8:9], s[0:1], 0x30
	s_mov_b32 s28, s3
	s_mov_b64 s[6:7], 0
	s_waitcnt lgkmcnt(0)
	s_cmp_lg_u64 s[8:9], 0
	s_cselect_b64 s[10:11], -1, 0
	s_and_b64 vcc, exec, s[10:11]
	s_cbranch_vccz .LBB446_7
; %bb.1:
	s_add_i32 s12, s2, 1
	s_mov_b32 s13, 0
	s_lshl_b64 s[14:15], s[12:13], 2
	s_add_u32 s14, s8, s14
	s_mov_b32 s3, s13
	s_addc_u32 s15, s9, s15
	s_lshl_b64 s[12:13], s[2:3], 2
	s_add_u32 s12, s8, s12
	s_addc_u32 s13, s9, s13
	s_load_dword s5, s[14:15], 0x0
	s_load_dword s16, s[12:13], 0x0
	s_waitcnt lgkmcnt(0)
	s_sub_i32 s5, s5, s16
	s_cmp_eq_u32 s5, 1
	s_cselect_b64 s[12:13], -1, 0
	s_andn2_b64 vcc, exec, s[6:7]
	s_cbranch_vccnz .LBB446_3
.LBB446_2:
	s_mov_b32 s3, 0
	s_mov_b64 s[12:13], -1
.LBB446_3:
	s_andn2_b64 vcc, exec, s[12:13]
	s_cbranch_vccnz .LBB446_20
; %bb.4:
	s_load_dwordx2 s[6:7], s[0:1], 0x28
	s_lshl_b64 s[14:15], s[2:3], 2
	s_waitcnt lgkmcnt(0)
	s_add_u32 s6, s6, s14
	s_addc_u32 s7, s7, s15
	s_load_dword s29, s[6:7], 0x0
	s_lshl_b32 s16, s28, 8
	s_waitcnt lgkmcnt(0)
	s_cmp_ge_i32 s16, s29
	s_cbranch_scc1 .LBB446_20
; %bb.5:
	s_load_dwordx2 s[6:7], s[0:1], 0x20
	s_load_dword s5, s[0:1], 0x38
	s_add_i32 s12, s29, 15
	s_ashr_i32 s13, s12, 31
	v_and_b32_e32 v1, 0xcf, v0
	s_lshr_b32 s13, s13, 28
	v_add_u32_e32 v1, s16, v1
	s_add_i32 s12, s12, s13
	v_ashrrev_i32_e32 v2, 31, v1
	s_ashr_i32 s17, s12, 4
	v_lshrrev_b32_e32 v6, 28, v2
	s_add_i32 s17, s17, -1
	s_waitcnt lgkmcnt(0)
	s_mul_i32 s12, s2, s5
	s_mov_b32 s13, 0
	v_add_u32_e32 v2, v1, v6
	s_lshl_b64 s[12:13], s[12:13], 2
	v_ashrrev_i32_e32 v2, 4, v2
	v_mov_b32_e32 v7, s17
	v_cmp_gt_i32_e32 vcc, s29, v1
	s_add_u32 s6, s6, s12
	s_addc_u32 s7, s7, s13
	v_cndmask_b32_e32 v2, v7, v2, vcc
	v_ashrrev_i32_e32 v3, 31, v2
	v_lshl_add_u64 v[4:5], v[2:3], 2, s[6:7]
	v_or_b32_e32 v2, 16, v1
	v_add_u32_e32 v3, v2, v6
	v_ashrrev_i32_e32 v3, 4, v3
	v_cmp_gt_i32_e32 vcc, s29, v2
	s_load_dwordx2 s[12:13], s[0:1], 0x8
	s_nop 0
	v_cndmask_b32_e32 v2, v7, v3, vcc
	v_ashrrev_i32_e32 v3, 31, v2
	v_lshl_add_u64 v[8:9], v[2:3], 2, s[6:7]
	v_or_b32_e32 v2, 32, v1
	v_add_u32_e32 v3, v2, v6
	v_ashrrev_i32_e32 v3, 4, v3
	v_cmp_gt_i32_e32 vcc, s29, v2
	v_or_b32_e32 v1, 48, v1
	s_nop 0
	v_cndmask_b32_e32 v2, v7, v3, vcc
	v_ashrrev_i32_e32 v3, 31, v2
	v_lshl_add_u64 v[10:11], v[2:3], 2, s[6:7]
	v_add_u32_e32 v2, v1, v6
	v_ashrrev_i32_e32 v2, 4, v2
	v_cmp_gt_i32_e32 vcc, s29, v1
	s_nop 1
	v_cndmask_b32_e32 v2, v7, v2, vcc
	v_ashrrev_i32_e32 v3, 31, v2
	v_lshl_add_u64 v[12:13], v[2:3], 2, s[6:7]
	global_load_dword v3, v[4:5], off
	global_load_dword v2, v[8:9], off
	;; [unrolled: 1-line block ×4, first 2 shown]
	s_andn2_b64 vcc, exec, s[10:11]
	s_cbranch_vccnz .LBB446_8
; %bb.6:
	s_add_u32 s8, s8, s14
	s_addc_u32 s9, s9, s15
	s_load_dword s5, s[8:9], 0x0
	s_branch .LBB446_9
.LBB446_7:
	s_mov_b64 s[12:13], 0
	s_branch .LBB446_2
.LBB446_8:
	s_mov_b32 s5, s2
.LBB446_9:
	s_load_dwordx2 s[8:9], s[0:1], 0x10
	s_load_dwordx4 s[44:47], s[0:1], 0x48
	v_lshrrev_b32_e32 v45, 6, v0
	v_bfe_u32 v54, v0, 4, 2
	v_lshl_or_b32 v1, v45, 2, v54
	v_and_b32_e32 v44, 15, v0
	v_lshlrev_b32_e32 v4, 3, v44
	v_cmp_gt_u32_e32 vcc, 7, v1
	v_cmp_gt_u32_e64 s[30:31], 8, v44
	s_mul_i32 s42, s4, 7
	s_and_b64 s[14:15], s[30:31], vcc
	v_lshlrev_b32_e32 v42, 1, v4
	s_and_saveexec_b64 s[10:11], s[14:15]
	s_cbranch_execz .LBB446_11
; %bb.10:
	s_load_dwordx2 s[14:15], s[0:1], 0x0
	s_waitcnt lgkmcnt(0)
	s_ashr_i32 s18, s44, 31
	s_mul_hi_u32 s19, s5, s44
	s_mul_i32 s18, s5, s18
	s_add_i32 s19, s19, s18
	s_mul_i32 s18, s5, s44
	s_lshl_b64 s[18:19], s[18:19], 1
	s_add_u32 s14, s14, s18
	v_add_lshl_u32 v4, v1, s42, 6
	s_addc_u32 s15, s15, s19
	v_ashrrev_i32_e32 v5, 31, v4
	v_lshl_add_u64 v[4:5], v[4:5], 1, s[14:15]
	v_mov_b32_e32 v43, 0
	v_lshl_add_u64 v[4:5], v[4:5], 0, v[42:43]
	global_load_dwordx4 v[8:11], v[4:5], off
	v_and_b32_e32 v4, 3, v0
	v_lshlrev_b32_e32 v5, 9, v44
	v_lshlrev_b32_e32 v1, 5, v1
	;; [unrolled: 1-line block ×3, first 2 shown]
	v_and_b32_e32 v5, 0x1800, v5
	v_or3_b32 v1, v5, v4, v1
	s_waitcnt vmcnt(0)
	ds_write_b128 v1, v[8:11]
.LBB446_11:
	s_or_b64 exec, exec, s[10:11]
	s_waitcnt lgkmcnt(0)
	s_mul_i32 s4, s4, s46
	s_mov_b32 s5, 0
	s_lshl_b64 s[4:5], s[4:5], 1
	s_add_u32 s10, s12, s4
	v_lshlrev_b32_e32 v1, 4, v0
	s_addc_u32 s11, s13, s5
	v_and_b32_e32 v46, 0xf0, v1
	v_mov_b32_e32 v47, 0
	v_lshl_add_u64 v[16:17], s[10:11], 0, v[46:47]
	s_waitcnt vmcnt(3)
	v_mad_i64_i32 v[4:5], s[10:11], v3, s45, 0
	s_waitcnt vmcnt(2)
	v_mad_i64_i32 v[2:3], s[10:11], v2, s45, 0
	;; [unrolled: 2-line block ×3, first 2 shown]
	v_lshl_add_u64 v[4:5], v[4:5], 1, v[16:17]
	v_and_b32_e32 v46, 0x300, v1
	v_lshl_add_u64 v[2:3], v[2:3], 1, v[16:17]
	v_lshl_add_u64 v[6:7], v[6:7], 1, v[16:17]
	s_waitcnt vmcnt(0)
	v_mad_i64_i32 v[14:15], s[10:11], v14, s45, 0
	v_lshl_add_u64 v[4:5], v[4:5], 0, v[46:47]
	v_lshl_add_u64 v[8:9], v[2:3], 0, v[46:47]
	;; [unrolled: 1-line block ×4, first 2 shown]
	s_barrier
	global_load_dwordx4 v[30:33], v[4:5], off
	global_load_dwordx4 v[10:13], v[4:5], off offset:1024
	global_load_dwordx4 v[22:25], v[8:9], off
	s_nop 0
	global_load_dwordx4 v[2:5], v[8:9], off offset:1024
	global_load_dwordx4 v[26:29], v[18:19], off
	s_nop 0
	global_load_dwordx4 v[6:9], v[18:19], off offset:1024
	v_lshl_add_u64 v[18:19], v[14:15], 0, v[46:47]
	global_load_dwordx4 v[34:37], v[18:19], off
	global_load_dwordx4 v[14:17], v[18:19], off offset:1024
	v_mul_lo_u16_e32 v18, 37, v44
	v_mov_b32_e32 v19, 7
	v_mul_lo_u16_sdwa v18, v18, v19 dst_sel:DWORD dst_unused:UNUSED_PAD src0_sel:BYTE_1 src1_sel:DWORD
	v_sub_u16_e32 v18, v44, v18
	v_mov_b32_e32 v19, 5
	v_lshlrev_b32_sdwa v18, v19, v18 dst_sel:DWORD dst_unused:UNUSED_PAD src0_sel:DWORD src1_sel:BYTE_0
	v_lshl_add_u32 v18, v54, 9, v18
	ds_read_b128 v[38:41], v18
	ds_read_b128 v[18:21], v18 offset:2048
	v_and_b32_e32 v55, 63, v0
	v_cmp_gt_u32_e32 vcc, 7, v44
	v_mov_b32_e32 v56, 0
	s_and_saveexec_b64 s[10:11], vcc
	s_cbranch_execz .LBB446_13
; %bb.12:
	s_load_dwordx2 s[12:13], s[0:1], 0x40
	v_add_u32_e32 v48, s42, v44
	v_ashrrev_i32_e32 v49, 31, v48
	s_waitcnt lgkmcnt(0)
	v_lshl_add_u64 v[48:49], v[48:49], 2, s[12:13]
	global_load_dword v56, v[48:49], off
.LBB446_13:
	s_or_b64 exec, exec, s[10:11]
	v_and_or_b32 v46, v0, 48, s16
	v_ashrrev_i32_e32 v43, 4, v46
	v_mov_b32_e32 v57, s17
	v_cmp_gt_i32_e32 vcc, s29, v46
	s_waitcnt vmcnt(5) lgkmcnt(1)
	v_mfma_f32_16x16x16_bf16 v[58:61], v[22:23], v[38:39], 0
	s_load_dword s10, s[0:1], 0x1c
	v_cndmask_b32_e32 v48, v57, v43, vcc
	v_ashrrev_i32_e32 v49, 31, v48
	v_or_b32_e32 v43, 64, v46
	v_lshl_add_u64 v[52:53], v[48:49], 2, s[6:7]
	v_mfma_f32_16x16x16_bf16 v[48:51], v[30:31], v[38:39], 0
	v_ashrrev_i32_e32 v30, 4, v43
	v_cmp_gt_i32_e32 vcc, s29, v43
	global_load_dword v70, v[52:53], off
	s_waitcnt vmcnt(4)
	v_mfma_f32_16x16x16_bf16 v[62:65], v[26:27], v[38:39], 0
	v_cndmask_b32_e32 v30, v57, v30, vcc
	v_ashrrev_i32_e32 v31, 31, v30
	v_lshl_add_u64 v[22:23], v[30:31], 2, s[6:7]
	global_load_dword v71, v[22:23], off
	v_mfma_f32_16x16x16_bf16 v[22:25], v[24:25], v[40:41], v[58:61]
	v_and_b32_e32 v26, 0xc0, v0
	s_add_u32 s4, s8, s4
	v_lshlrev_b32_e32 v43, 5, v44
	v_mfma_f32_16x16x16_bf16 v[30:33], v[32:33], v[40:41], v[48:51]
	s_addc_u32 s5, s9, s5
	s_mov_b32 s33, 0xff7fffff
	s_waitcnt vmcnt(3)
	v_mfma_f32_16x16x16_bf16 v[66:69], v[34:35], v[38:39], 0
	v_or_b32_e32 v38, 0x80, v46
	v_add_u32_e32 v48, s16, v26
	v_or_b32_e32 v39, 0xc0, v46
	v_mfma_f32_16x16x16_bf16 v[26:29], v[28:29], v[40:41], v[62:65]
	v_ashrrev_i32_e32 v49, 4, v38
	v_cmp_gt_i32_e32 vcc, s29, v38
	v_ashrrev_i32_e32 v50, 4, v39
	s_waitcnt lgkmcnt(0)
	v_mfma_f32_16x16x16_bf16 v[22:25], v[2:3], v[18:19], v[22:25]
	v_cndmask_b32_e32 v38, v57, v49, vcc
	v_cmp_gt_i32_e32 vcc, s29, v39
	v_ashrrev_i32_e32 v39, 31, v38
	v_mfma_f32_16x16x16_bf16 v[30:33], v[10:11], v[18:19], v[30:33]
	v_cndmask_b32_e32 v10, v57, v50, vcc
	v_ashrrev_i32_e32 v11, 31, v10
	v_lshl_or_b32 v58, v54, 2, v48
	v_mfma_f32_16x16x16_bf16 v[26:29], v[6:7], v[18:19], v[26:29]
	v_lshl_add_u64 v[6:7], v[38:39], 2, s[6:7]
	v_lshl_add_u64 v[38:39], v[10:11], 2, s[6:7]
	v_or_b32_e32 v57, 1, v58
	v_mfma_f32_16x16x16_bf16 v[2:5], v[4:5], v[20:21], v[22:25]
	s_nop 2
	global_load_dword v22, v[6:7], off
	global_load_dword v61, v[38:39], off
	v_subrev_u32_e32 v59, s29, v57
	v_cvt_f32_i32_e32 v60, v59
	v_mfma_f32_16x16x16_bf16 v[34:37], v[36:37], v[40:41], v[66:69]
	v_pk_mul_f32 v[48:49], s[10:11], v[4:5] op_sel_hi:[0,1]
	v_lshl_or_b32 v46, v45, 9, v43
	v_lshl_add_u64 v[46:47], s[4:5], 0, v[46:47]
	s_waitcnt vmcnt(4)
	v_mfma_f32_16x16x16_bf16 v[34:37], v[14:15], v[18:19], v[34:37]
	v_add_u32_e32 v14, 1, v59
	v_add_u32_e32 v15, 2, v59
	v_cvt_f32_i32_e32 v23, v14
	v_cvt_f32_i32_e32 v24, v15
	v_mfma_f32_16x16x16_bf16 v[14:17], v[16:17], v[20:21], v[34:37]
	v_add_u32_e32 v18, 3, v59
	v_cvt_f32_i32_e32 v18, v18
	v_pk_mul_f32 v[50:51], s[10:11], v[2:3] op_sel_hi:[0,1]
	v_mfma_f32_16x16x16_bf16 v[10:13], v[12:13], v[20:21], v[30:33]
	v_cmp_gt_i32_e64 s[34:35], s29, v57
	s_nop 1
	v_pk_mul_f32 v[36:37], s[10:11], v[14:15] op_sel_hi:[0,1]
	v_add_u32_e32 v15, 19, v59
	v_add_u32_e32 v31, 18, v59
	v_cvt_f32_i32_e32 v14, v31
	v_cvt_f32_i32_e32 v15, v15
	v_mfma_f32_16x16x16_bf16 v[6:9], v[8:9], v[20:21], v[26:29]
	v_pk_mul_f32 v[34:35], s[10:11], v[16:17] op_sel_hi:[0,1]
	v_fma_f32 v48, v56, v14, v48
	v_add_u32_e32 v14, 32, v59
	v_fmac_f32_e32 v49, v56, v15
	v_cvt_f32_i32_e32 v14, v14
	v_add_u32_e32 v15, 33, v59
	v_add_u32_e32 v16, 34, v59
	v_cvt_f32_i32_e32 v15, v15
	v_cvt_f32_i32_e32 v16, v16
	v_add_u32_e32 v17, 35, v59
	v_cvt_f32_i32_e32 v17, v17
	v_pk_mul_f32 v[40:41], s[10:11], v[6:7] op_sel_hi:[0,1]
	v_pk_mul_f32 v[38:39], s[10:11], v[8:9] op_sel_hi:[0,1]
	v_fma_f32 v40, v56, v14, v40
	v_add_u32_e32 v14, 48, v59
	v_fmac_f32_e32 v41, v56, v15
	v_fma_f32 v38, v56, v16, v38
	v_cvt_f32_i32_e32 v14, v14
	v_add_u32_e32 v15, 49, v59
	v_add_u32_e32 v16, 50, v59
	v_fmac_f32_e32 v39, v56, v17
	v_cvt_f32_i32_e32 v15, v15
	v_cvt_f32_i32_e32 v16, v16
	v_add_u32_e32 v17, 51, v59
	v_cvt_f32_i32_e32 v17, v17
	v_pk_mul_f32 v[52:53], s[10:11], v[12:13] op_sel_hi:[0,1]
	v_pk_mul_f32 v[10:11], s[10:11], v[10:11] op_sel_hi:[0,1]
	s_waitcnt vmcnt(3)
	v_mad_i64_i32 v[2:3], s[4:5], v70, s45, 0
	s_waitcnt vmcnt(2)
	v_mad_i64_i32 v[12:13], s[4:5], v71, s45, 0
	v_fma_f32 v10, v56, v60, v10
	v_fmac_f32_e32 v11, v56, v23
	v_fma_f32 v36, v56, v14, v36
	v_mov_b32_e32 v14, 0xff7fffff
	v_cmp_gt_i32_e64 s[4:5], s29, v58
	v_add_u32_e32 v19, 16, v59
	v_add_u32_e32 v30, 17, v59
	v_fmac_f32_e32 v37, v56, v15
	v_fma_f32 v34, v56, v16, v34
	v_cndmask_b32_e64 v15, v14, v10, s[4:5]
	v_cndmask_b32_e64 v16, v14, v11, s[34:35]
	v_cvt_f32_i32_e32 v19, v19
	v_cvt_f32_i32_e32 v25, v30
	v_fmac_f32_e32 v35, v56, v17
	v_max3_f32 v15, v15, s33, v16
	v_or_b32_e32 v16, 2, v58
	v_or_b32_e32 v17, 3, v58
	v_fma_f32 v52, v56, v24, v52
	v_fmac_f32_e32 v53, v56, v18
	v_cmp_gt_i32_e64 s[36:37], s29, v16
	v_cmp_gt_i32_e64 s[38:39], s29, v17
	v_fma_f32 v50, v56, v19, v50
	v_cndmask_b32_e64 v16, v14, v52, s[36:37]
	v_cndmask_b32_e64 v17, v14, v53, s[38:39]
	v_max3_f32 v15, v15, v16, v17
	v_or_b32_e32 v16, 16, v58
	v_or_b32_e32 v17, 17, v58
	v_fmac_f32_e32 v51, v56, v25
	v_cmp_gt_i32_e64 s[24:25], s29, v16
	v_cmp_gt_i32_e64 s[26:27], s29, v17
	v_lshl_add_u64 v[2:3], v[2:3], 1, v[46:47]
	v_cndmask_b32_e64 v16, v14, v50, s[24:25]
	v_cndmask_b32_e64 v17, v14, v51, s[26:27]
	v_max3_f32 v15, v15, v16, v17
	v_or_b32_e32 v16, 18, v58
	v_or_b32_e32 v17, 19, v58
	v_cmp_gt_i32_e64 s[20:21], s29, v16
	v_cmp_gt_i32_e64 s[22:23], s29, v17
	v_lshl_add_u64 v[12:13], v[12:13], 1, v[46:47]
	v_cndmask_b32_e64 v16, v14, v48, s[20:21]
	v_cndmask_b32_e64 v17, v14, v49, s[22:23]
	v_max3_f32 v15, v15, v16, v17
	v_or_b32_e32 v16, 32, v58
	v_or_b32_e32 v17, 33, v58
	v_cmp_gt_i32_e64 s[16:17], s29, v16
	v_cmp_gt_i32_e64 s[18:19], s29, v17
	global_load_dwordx4 v[6:9], v[2:3], off
	s_nop 0
	global_load_dwordx4 v[2:5], v[2:3], off offset:16
	v_cndmask_b32_e64 v16, v14, v40, s[16:17]
	v_cndmask_b32_e64 v17, v14, v41, s[18:19]
	v_max3_f32 v15, v15, v16, v17
	v_or_b32_e32 v16, 34, v58
	v_or_b32_e32 v17, 35, v58
	v_cmp_gt_i32_e64 s[12:13], s29, v16
	v_cmp_gt_i32_e64 s[14:15], s29, v17
	global_load_dwordx4 v[30:33], v[12:13], off
	global_load_dwordx4 v[26:29], v[12:13], off offset:16
	v_cndmask_b32_e64 v16, v14, v38, s[12:13]
	v_cndmask_b32_e64 v17, v14, v39, s[14:15]
	v_max3_f32 v15, v15, v16, v17
	v_or_b32_e32 v16, 48, v58
	v_or_b32_e32 v17, 49, v58
	v_cmp_gt_i32_e64 s[8:9], s29, v16
	v_cmp_gt_i32_e64 s[10:11], s29, v17
	s_nop 0
	v_cndmask_b32_e64 v16, v14, v36, s[8:9]
	v_cndmask_b32_e64 v17, v14, v37, s[10:11]
	v_max3_f32 v15, v15, v16, v17
	v_or_b32_e32 v16, 50, v58
	v_or_b32_e32 v17, 51, v58
	v_cmp_gt_i32_e32 vcc, s29, v16
	v_cmp_gt_i32_e64 s[6:7], s29, v17
	s_nop 0
	v_cndmask_b32_e32 v16, v14, v34, vcc
	v_cndmask_b32_e64 v14, v14, v35, s[6:7]
	v_max3_f32 v14, v15, v16, v14
	v_mbcnt_lo_u32_b32 v15, -1, 0
	v_mbcnt_hi_u32_b32 v15, -1, v15
	v_and_b32_e32 v16, 64, v15
	v_add_u32_e32 v16, 64, v16
	v_xor_b32_e32 v17, 32, v15
	v_cmp_lt_i32_e64 s[40:41], v17, v16
	s_nop 1
	v_cndmask_b32_e64 v17, v15, v17, s[40:41]
	v_lshlrev_b32_e32 v57, 2, v17
	ds_bpermute_b32 v17, v57, v14
	s_waitcnt vmcnt(5)
	v_mad_i64_i32 v[12:13], s[40:41], v22, s45, 0
	v_lshl_add_u64 v[12:13], v[12:13], 1, v[46:47]
	global_load_dwordx4 v[22:25], v[12:13], off
	global_load_dwordx4 v[18:21], v[12:13], off offset:16
	s_waitcnt lgkmcnt(0)
	v_max_f32_e32 v17, v17, v17
	v_max_f32_e32 v14, v14, v17
	v_xor_b32_e32 v17, 16, v15
	v_cmp_lt_i32_e64 s[40:41], v17, v16
	s_nop 1
	v_cndmask_b32_e64 v15, v15, v17, s[40:41]
	v_lshlrev_b32_e32 v59, 2, v15
	ds_bpermute_b32 v15, v59, v14
	s_waitcnt vmcnt(6)
	v_mad_i64_i32 v[12:13], s[40:41], v61, s45, 0
	v_lshl_add_u64 v[12:13], v[12:13], 1, v[46:47]
	s_waitcnt lgkmcnt(0)
	v_max_f32_e32 v15, v15, v15
	v_max_f32_e32 v56, v14, v15
	v_sub_f32_e32 v10, v10, v56
	v_mul_f32_e32 v10, 0x3fb8aa3b, v10
	v_exp_f32_e32 v46, v10
	v_sub_f32_e32 v10, v11, v56
	v_mul_f32_e32 v10, 0x3fb8aa3b, v10
	v_exp_f32_e32 v47, v10
	global_load_dwordx4 v[14:17], v[12:13], off
	s_nop 0
	global_load_dwordx4 v[10:13], v[12:13], off offset:16
	v_sub_f32_e32 v52, v52, v56
	v_mul_f32_e32 v52, 0x3fb8aa3b, v52
	v_sub_f32_e32 v53, v53, v56
	v_exp_f32_e32 v52, v52
	v_mul_f32_e32 v53, 0x3fb8aa3b, v53
	v_sub_f32_e32 v50, v50, v56
	v_exp_f32_e32 v53, v53
	v_mul_f32_e32 v50, 0x3fb8aa3b, v50
	v_sub_f32_e32 v51, v51, v56
	v_cndmask_b32_e64 v46, 0, v46, s[4:5]
	v_exp_f32_e32 v50, v50
	v_mul_f32_e32 v51, 0x3fb8aa3b, v51
	v_sub_f32_e32 v48, v48, v56
	v_add_f32_e32 v58, 0, v46
	v_cndmask_b32_e64 v47, 0, v47, s[34:35]
	v_exp_f32_e32 v51, v51
	v_mul_f32_e32 v48, 0x3fb8aa3b, v48
	v_sub_f32_e32 v49, v49, v56
	v_add_f32_e32 v58, v58, v47
	;; [unrolled: 5-line block ×10, first 2 shown]
	v_cndmask_b32_e64 v38, 0, v38, s[12:13]
	v_exp_f32_e32 v34, v34
	v_mul_f32_e32 v35, 0x3fb8aa3b, v35
	v_add_f32_e32 v58, v58, v38
	v_cndmask_b32_e64 v39, 0, v39, s[14:15]
	v_exp_f32_e32 v35, v35
	v_add_f32_e32 v58, v58, v39
	v_cndmask_b32_e64 v36, 0, v36, s[8:9]
	v_add_f32_e32 v58, v58, v36
	v_cndmask_b32_e64 v37, 0, v37, s[10:11]
	v_add_f32_e32 v58, v58, v37
	v_cndmask_b32_e32 v34, 0, v34, vcc
	v_add_f32_e32 v58, v58, v34
	v_cndmask_b32_e64 v35, 0, v35, s[6:7]
	v_add_f32_e32 v58, v58, v35
	ds_bpermute_b32 v57, v57, v58
	s_load_dword s7, s[0:1], 0x98
	v_cmp_gt_u32_e32 vcc, 16, v55
	s_waitcnt lgkmcnt(0)
	s_barrier
	v_add_f32_e32 v58, v58, v57
	ds_bpermute_b32 v59, v59, v58
	v_lshlrev_b32_e32 v57, 2, v44
	s_waitcnt lgkmcnt(0)
	s_and_saveexec_b64 s[4:5], vcc
	s_cbranch_execz .LBB446_15
; %bb.14:
	v_add_f32_e32 v55, v58, v59
	v_lshl_or_b32 v58, v45, 6, v57
	ds_write2st64_b32 v58, v56, v55 offset1:1
.LBB446_15:
	s_or_b64 exec, exec, s[4:5]
	s_load_dword s6, s[0:1], 0x94
	s_waitcnt lgkmcnt(0)
	s_barrier
	ds_read2_b32 v[58:59], v57 offset1:16
	ds_read2_b32 v[60:61], v57 offset0:32 offset1:48
	ds_read2_b32 v[62:63], v57 offset0:64 offset1:80
	s_movk_i32 s8, 0x7fff
	s_mov_b32 s9, 0x7060302
	s_waitcnt lgkmcnt(2)
	v_max3_f32 v55, v58, s33, v59
	s_waitcnt lgkmcnt(1)
	v_max3_f32 v55, v55, v60, v61
	v_sub_f32_e32 v56, v58, v55
	v_mul_f32_e32 v56, 0x3fb8aa3b, v56
	v_exp_f32_e32 v64, v56
	v_sub_f32_e32 v56, v59, v55
	v_mul_f32_e32 v56, 0x3fb8aa3b, v56
	v_exp_f32_e32 v65, v56
	;; [unrolled: 3-line block ×3, first 2 shown]
	ds_read2_b32 v[58:59], v57 offset0:96 offset1:112
	v_sub_f32_e32 v56, v61, v55
	v_mul_f32_e32 v56, 0x3fb8aa3b, v56
	v_exp_f32_e32 v57, v56
	s_waitcnt lgkmcnt(1)
	v_fma_f32 v56, v64, v62, 0
	v_fmac_f32_e32 v56, v65, v63
	s_waitcnt lgkmcnt(0)
	v_fmac_f32_e32 v56, v60, v58
	v_fmac_f32_e32 v56, v57, v59
	v_add_f32_e32 v58, 0x358637bd, v56
	v_div_scale_f32 v59, s[4:5], v58, v58, 1.0
	v_rcp_f32_e32 v61, v59
	s_mul_i32 s7, s7, 7
	s_barrier
	v_fma_f32 v62, -v59, v61, 1.0
	v_fmac_f32_e32 v61, v62, v61
	v_div_scale_f32 v62, vcc, 1.0, v58, 1.0
	v_mul_f32_e32 v63, v62, v61
	v_fma_f32 v66, -v59, v63, v62
	v_fmac_f32_e32 v63, v66, v61
	v_fma_f32 v59, -v59, v63, v62
	v_div_fmas_f32 v59, v59, v61, v63
	v_cmp_eq_u32_e32 vcc, 1, v45
	v_div_fixup_f32 v58, v59, v58, 1.0
	s_nop 0
	v_cndmask_b32_e32 v59, v64, v65, vcc
	v_cmp_eq_u32_e32 vcc, 2, v45
	s_nop 1
	v_cndmask_b32_e32 v59, v59, v60, vcc
	v_cmp_eq_u32_e32 vcc, 3, v45
	v_lshlrev_b32_e32 v45, 11, v45
	s_nop 0
	v_cndmask_b32_e32 v57, v59, v57, vcc
	v_mul_f32_e32 v58, v57, v58
	v_pk_mul_f32 v[46:47], v[58:59], v[46:47] op_sel_hi:[0,1]
	v_pk_mul_f32 v[52:53], v[58:59], v[52:53] op_sel_hi:[0,1]
	v_bfe_u32 v57, v47, 16, 1
	v_bfe_u32 v59, v46, 16, 1
	v_add3_u32 v46, v46, v59, s8
	v_add3_u32 v47, v47, v57, s8
	v_perm_b32 v60, v47, v46, s9
	v_bfe_u32 v46, v53, 16, 1
	v_bfe_u32 v47, v52, 16, 1
	v_add3_u32 v47, v52, v47, s8
	v_add3_u32 v46, v53, v46, s8
	v_perm_b32 v61, v46, v47, s9
	v_lshlrev_b32_e32 v46, 3, v54
	v_pk_mul_f32 v[50:51], v[58:59], v[50:51] op_sel_hi:[0,1]
	v_or3_b32 v46, v45, v43, v46
	v_bfe_u32 v45, v51, 16, 1
	v_bfe_u32 v47, v50, 16, 1
	v_pk_mul_f32 v[48:49], v[58:59], v[48:49] op_sel_hi:[0,1]
	v_add3_u32 v47, v50, v47, s8
	v_add3_u32 v45, v51, v45, s8
	v_perm_b32 v50, v45, v47, s9
	v_bfe_u32 v45, v49, 16, 1
	v_bfe_u32 v47, v48, 16, 1
	v_add3_u32 v47, v48, v47, s8
	v_add3_u32 v45, v49, v45, s8
	v_pk_mul_f32 v[40:41], v[58:59], v[40:41] op_sel_hi:[0,1]
	v_perm_b32 v51, v45, v47, s9
	v_bfe_u32 v45, v41, 16, 1
	v_bfe_u32 v47, v40, 16, 1
	v_pk_mul_f32 v[38:39], v[58:59], v[38:39] op_sel_hi:[0,1]
	v_add3_u32 v40, v40, v47, s8
	v_add3_u32 v41, v41, v45, s8
	v_perm_b32 v40, v41, v40, s9
	v_bfe_u32 v41, v39, 16, 1
	v_bfe_u32 v45, v38, 16, 1
	v_add3_u32 v38, v38, v45, s8
	v_add3_u32 v39, v39, v41, s8
	v_pk_mul_f32 v[36:37], v[58:59], v[36:37] op_sel_hi:[0,1]
	v_perm_b32 v41, v39, v38, s9
	v_bfe_u32 v38, v37, 16, 1
	v_bfe_u32 v39, v36, 16, 1
	v_pk_mul_f32 v[34:35], v[58:59], v[34:35] op_sel_hi:[0,1]
	v_add3_u32 v36, v36, v39, s8
	v_add3_u32 v37, v37, v38, s8
	v_perm_b32 v36, v37, v36, s9
	v_bfe_u32 v37, v35, 16, 1
	v_bfe_u32 v38, v34, 16, 1
	v_add3_u32 v34, v34, v38, s8
	v_add3_u32 v35, v35, v37, s8
	v_perm_b32 v37, v35, v34, s9
	v_cmp_gt_u32_e32 vcc, 7, v0
	ds_write2st64_b64 v46, v[60:61], v[50:51] offset1:1
	ds_write2st64_b64 v46, v[40:41], v[36:37] offset0:2 offset1:3
	s_and_saveexec_b64 s[4:5], vcc
	s_cbranch_execz .LBB446_17
; %bb.16:
	s_mov_b32 s43, 0
	v_mov_b32_e32 v45, 0
	v_lshl_add_u64 v[34:35], s[42:43], 0, v[44:45]
	v_mov_b32_e32 v36, s7
	v_mad_u64_u32 v[34:35], s[10:11], s2, v36, v[34:35]
	s_mul_i32 s3, s3, s7
	v_mov_b32_e32 v44, s28
	s_load_dwordx4 s[12:15], s[0:1], 0x58
	v_add_u32_e32 v37, s3, v35
	v_mad_u64_u32 v[34:35], s[10:11], v34, s6, v[44:45]
	v_mov_b32_e32 v36, v35
	v_mad_u64_u32 v[36:37], s[10:11], v37, s6, v[36:37]
	v_mov_b32_e32 v35, v36
	v_lshlrev_b64 v[34:35], 2, v[34:35]
	s_waitcnt lgkmcnt(0)
	v_lshl_add_u64 v[36:37], s[14:15], 0, v[34:35]
	v_lshl_add_u64 v[34:35], s[12:13], 0, v[34:35]
	global_store_dword v[36:37], v55, off
	global_store_dword v[34:35], v56, off
.LBB446_17:
	s_or_b64 exec, exec, s[4:5]
	v_lshl_or_b32 v43, v54, 9, v43
	s_waitcnt lgkmcnt(0)
	s_barrier
	ds_read_b128 v[34:37], v43
	ds_read_b128 v[38:41], v43 offset:16
	s_waitcnt vmcnt(7) lgkmcnt(1)
	v_mfma_f32_16x16x16_bf16 v[48:51], v[6:7], v[34:35], 0
	v_cmp_gt_u32_e32 vcc, 64, v0
	s_mov_b32 s3, 0
	s_and_b64 s[4:5], vcc, s[30:31]
	v_mfma_f32_16x16x16_bf16 v[6:9], v[8:9], v[36:37], v[48:51]
	s_waitcnt vmcnt(6) lgkmcnt(0)
	v_mfma_f32_16x16x16_bf16 v[6:9], v[2:3], v[38:39], v[6:9]
	v_mfma_f32_16x16x16_bf16 v[2:5], v[4:5], v[40:41], v[6:9]
	s_nop 5
	ds_read_b128 v[6:9], v43 offset:2048
	ds_read_b128 v[34:37], v43 offset:2064
	s_waitcnt vmcnt(5) lgkmcnt(1)
	v_mfma_f32_16x16x16_bf16 v[2:5], v[30:31], v[6:7], v[2:5]
	v_mfma_f32_16x16x16_bf16 v[2:5], v[32:33], v[8:9], v[2:5]
	s_waitcnt vmcnt(4) lgkmcnt(0)
	v_mfma_f32_16x16x16_bf16 v[2:5], v[26:27], v[34:35], v[2:5]
	v_mfma_f32_16x16x16_bf16 v[2:5], v[28:29], v[36:37], v[2:5]
	ds_read_b128 v[6:9], v43 offset:4096
	ds_read_b128 v[26:29], v43 offset:4112
	s_waitcnt vmcnt(3) lgkmcnt(1)
	v_mfma_f32_16x16x16_bf16 v[2:5], v[22:23], v[6:7], v[2:5]
	v_mfma_f32_16x16x16_bf16 v[2:5], v[24:25], v[8:9], v[2:5]
	s_waitcnt vmcnt(2) lgkmcnt(0)
	v_mfma_f32_16x16x16_bf16 v[2:5], v[18:19], v[26:27], v[2:5]
	v_mfma_f32_16x16x16_bf16 v[2:5], v[20:21], v[28:29], v[2:5]
	ds_read_b128 v[6:9], v43 offset:6144
	ds_read_b128 v[18:21], v43 offset:6160
	v_mov_b32_e32 v43, 0
	s_waitcnt vmcnt(1) lgkmcnt(0)
	v_mfma_f32_16x16x16_bf16 v[2:5], v[14:15], v[6:7], v[2:5]
	s_barrier
	v_mfma_f32_16x16x16_bf16 v[2:5], v[16:17], v[8:9], v[2:5]
	s_waitcnt vmcnt(0)
	v_mfma_f32_16x16x16_bf16 v[2:5], v[10:11], v[18:19], v[2:5]
	v_mfma_f32_16x16x16_bf16 v[2:5], v[12:13], v[20:21], v[2:5]
	s_nop 6
	v_bfe_u32 v6, v3, 16, 1
	v_bfe_u32 v7, v2, 16, 1
	;; [unrolled: 1-line block ×4, first 2 shown]
	v_add3_u32 v2, v2, v7, s8
	v_add3_u32 v3, v3, v6, s8
	;; [unrolled: 1-line block ×4, first 2 shown]
	v_perm_b32 v2, v3, v2, s9
	v_perm_b32 v3, v5, v4, s9
	ds_write_b64 v46, v[2:3]
	s_waitcnt lgkmcnt(0)
	s_barrier
	s_and_saveexec_b64 s[8:9], s[4:5]
	s_cbranch_execz .LBB446_20
; %bb.18:
	s_load_dwordx2 s[4:5], s[0:1], 0x68
	s_lshl_b32 s0, s6, 6
	s_mul_i32 s1, s7, s2
	s_mul_hi_u32 s7, s1, s0
	s_mul_i32 s6, s1, s0
	v_lshlrev_b32_e32 v0, 10, v0
	s_lshl_b64 s[6:7], s[6:7], 1
	v_and_b32_e32 v0, 0x1800, v0
	v_lshlrev_b32_e32 v2, 5, v54
	v_and_b32_e32 v1, 16, v1
	s_waitcnt lgkmcnt(0)
	s_add_u32 s1, s4, s6
	v_or3_b32 v2, v0, v2, v1
	s_addc_u32 s4, s5, s7
	s_lshl_b32 s2, s28, 6
	s_lshl_b64 s[2:3], s[2:3], 1
	ds_read_b128 v[4:7], v2
	s_add_u32 s2, s1, s2
	s_addc_u32 s3, s4, s3
	v_add_u32_e32 v3, s42, v54
	v_lshl_add_u64 v[0:1], s[2:3], 0, v[42:43]
	v_mad_u64_u32 v[8:9], s[2:3], v3, s0, 0
	v_lshl_add_u64 v[8:9], v[8:9], 1, v[0:1]
	v_cmp_ne_u32_e32 vcc, 3, v54
	s_waitcnt lgkmcnt(0)
	global_store_dwordx4 v[8:9], v[4:7], off
	s_and_b64 exec, exec, vcc
	s_cbranch_execz .LBB446_20
; %bb.19:
	ds_read_b128 v[2:5], v2 offset:128
	v_add3_u32 v6, s42, v54, 4
	v_mad_u64_u32 v[6:7], s[0:1], v6, s0, 0
	v_lshl_add_u64 v[0:1], v[6:7], 1, v[0:1]
	s_waitcnt lgkmcnt(0)
	global_store_dwordx4 v[0:1], v[2:5], off
.LBB446_20:
	s_endpgm
	.section	.rodata,"a",@progbits
	.p2align	6, 0x0
	.amdhsa_kernel _Z39paged_attention_ll4mi_QKV_mfma16_kernelI14__hip_bfloat16S0_LN4vllm18Fp8KVCacheDataTypeE0ES0_Li16ELi64ELi256ELb1ELi7EEvPKT_PKT0_S8_ifPKiSA_SA_iPKfiiiPfSD_PS3_PT2_iSC_SC_
		.amdhsa_group_segment_fixed_size 8192
		.amdhsa_private_segment_fixed_size 0
		.amdhsa_kernarg_size 400
		.amdhsa_user_sgpr_count 2
		.amdhsa_user_sgpr_dispatch_ptr 0
		.amdhsa_user_sgpr_queue_ptr 0
		.amdhsa_user_sgpr_kernarg_segment_ptr 1
		.amdhsa_user_sgpr_dispatch_id 0
		.amdhsa_user_sgpr_kernarg_preload_length 0
		.amdhsa_user_sgpr_kernarg_preload_offset 0
		.amdhsa_user_sgpr_private_segment_size 0
		.amdhsa_uses_dynamic_stack 0
		.amdhsa_enable_private_segment 0
		.amdhsa_system_sgpr_workgroup_id_x 1
		.amdhsa_system_sgpr_workgroup_id_y 1
		.amdhsa_system_sgpr_workgroup_id_z 1
		.amdhsa_system_sgpr_workgroup_info 0
		.amdhsa_system_vgpr_workitem_id 0
		.amdhsa_next_free_vgpr 72
		.amdhsa_next_free_sgpr 48
		.amdhsa_accum_offset 72
		.amdhsa_reserve_vcc 1
		.amdhsa_float_round_mode_32 0
		.amdhsa_float_round_mode_16_64 0
		.amdhsa_float_denorm_mode_32 3
		.amdhsa_float_denorm_mode_16_64 3
		.amdhsa_dx10_clamp 1
		.amdhsa_ieee_mode 1
		.amdhsa_fp16_overflow 0
		.amdhsa_tg_split 0
		.amdhsa_exception_fp_ieee_invalid_op 0
		.amdhsa_exception_fp_denorm_src 0
		.amdhsa_exception_fp_ieee_div_zero 0
		.amdhsa_exception_fp_ieee_overflow 0
		.amdhsa_exception_fp_ieee_underflow 0
		.amdhsa_exception_fp_ieee_inexact 0
		.amdhsa_exception_int_div_zero 0
	.end_amdhsa_kernel
	.section	.text._Z39paged_attention_ll4mi_QKV_mfma16_kernelI14__hip_bfloat16S0_LN4vllm18Fp8KVCacheDataTypeE0ES0_Li16ELi64ELi256ELb1ELi7EEvPKT_PKT0_S8_ifPKiSA_SA_iPKfiiiPfSD_PS3_PT2_iSC_SC_,"axG",@progbits,_Z39paged_attention_ll4mi_QKV_mfma16_kernelI14__hip_bfloat16S0_LN4vllm18Fp8KVCacheDataTypeE0ES0_Li16ELi64ELi256ELb1ELi7EEvPKT_PKT0_S8_ifPKiSA_SA_iPKfiiiPfSD_PS3_PT2_iSC_SC_,comdat
.Lfunc_end446:
	.size	_Z39paged_attention_ll4mi_QKV_mfma16_kernelI14__hip_bfloat16S0_LN4vllm18Fp8KVCacheDataTypeE0ES0_Li16ELi64ELi256ELb1ELi7EEvPKT_PKT0_S8_ifPKiSA_SA_iPKfiiiPfSD_PS3_PT2_iSC_SC_, .Lfunc_end446-_Z39paged_attention_ll4mi_QKV_mfma16_kernelI14__hip_bfloat16S0_LN4vllm18Fp8KVCacheDataTypeE0ES0_Li16ELi64ELi256ELb1ELi7EEvPKT_PKT0_S8_ifPKiSA_SA_iPKfiiiPfSD_PS3_PT2_iSC_SC_
                                        ; -- End function
	.section	.AMDGPU.csdata,"",@progbits
; Kernel info:
; codeLenInByte = 4316
; NumSgprs: 54
; NumVgprs: 72
; NumAgprs: 0
; TotalNumVgprs: 72
; ScratchSize: 0
; MemoryBound: 0
; FloatMode: 240
; IeeeMode: 1
; LDSByteSize: 8192 bytes/workgroup (compile time only)
; SGPRBlocks: 6
; VGPRBlocks: 8
; NumSGPRsForWavesPerEU: 54
; NumVGPRsForWavesPerEU: 72
; AccumOffset: 72
; Occupancy: 7
; WaveLimiterHint : 1
; COMPUTE_PGM_RSRC2:SCRATCH_EN: 0
; COMPUTE_PGM_RSRC2:USER_SGPR: 2
; COMPUTE_PGM_RSRC2:TRAP_HANDLER: 0
; COMPUTE_PGM_RSRC2:TGID_X_EN: 1
; COMPUTE_PGM_RSRC2:TGID_Y_EN: 1
; COMPUTE_PGM_RSRC2:TGID_Z_EN: 1
; COMPUTE_PGM_RSRC2:TIDIG_COMP_CNT: 0
; COMPUTE_PGM_RSRC3_GFX90A:ACCUM_OFFSET: 17
; COMPUTE_PGM_RSRC3_GFX90A:TG_SPLIT: 0
	.section	.text._Z39paged_attention_ll4mi_QKV_mfma16_kernelI14__hip_bfloat16S0_LN4vllm18Fp8KVCacheDataTypeE0ES0_Li16ELi64ELi256ELb1ELi8EEvPKT_PKT0_S8_ifPKiSA_SA_iPKfiiiPfSD_PS3_PT2_iSC_SC_,"axG",@progbits,_Z39paged_attention_ll4mi_QKV_mfma16_kernelI14__hip_bfloat16S0_LN4vllm18Fp8KVCacheDataTypeE0ES0_Li16ELi64ELi256ELb1ELi8EEvPKT_PKT0_S8_ifPKiSA_SA_iPKfiiiPfSD_PS3_PT2_iSC_SC_,comdat
	.protected	_Z39paged_attention_ll4mi_QKV_mfma16_kernelI14__hip_bfloat16S0_LN4vllm18Fp8KVCacheDataTypeE0ES0_Li16ELi64ELi256ELb1ELi8EEvPKT_PKT0_S8_ifPKiSA_SA_iPKfiiiPfSD_PS3_PT2_iSC_SC_ ; -- Begin function _Z39paged_attention_ll4mi_QKV_mfma16_kernelI14__hip_bfloat16S0_LN4vllm18Fp8KVCacheDataTypeE0ES0_Li16ELi64ELi256ELb1ELi8EEvPKT_PKT0_S8_ifPKiSA_SA_iPKfiiiPfSD_PS3_PT2_iSC_SC_
	.globl	_Z39paged_attention_ll4mi_QKV_mfma16_kernelI14__hip_bfloat16S0_LN4vllm18Fp8KVCacheDataTypeE0ES0_Li16ELi64ELi256ELb1ELi8EEvPKT_PKT0_S8_ifPKiSA_SA_iPKfiiiPfSD_PS3_PT2_iSC_SC_
	.p2align	8
	.type	_Z39paged_attention_ll4mi_QKV_mfma16_kernelI14__hip_bfloat16S0_LN4vllm18Fp8KVCacheDataTypeE0ES0_Li16ELi64ELi256ELb1ELi8EEvPKT_PKT0_S8_ifPKiSA_SA_iPKfiiiPfSD_PS3_PT2_iSC_SC_,@function
_Z39paged_attention_ll4mi_QKV_mfma16_kernelI14__hip_bfloat16S0_LN4vllm18Fp8KVCacheDataTypeE0ES0_Li16ELi64ELi256ELb1ELi8EEvPKT_PKT0_S8_ifPKiSA_SA_iPKfiiiPfSD_PS3_PT2_iSC_SC_: ; @_Z39paged_attention_ll4mi_QKV_mfma16_kernelI14__hip_bfloat16S0_LN4vllm18Fp8KVCacheDataTypeE0ES0_Li16ELi64ELi256ELb1ELi8EEvPKT_PKT0_S8_ifPKiSA_SA_iPKfiiiPfSD_PS3_PT2_iSC_SC_
; %bb.0:
	s_load_dwordx2 s[8:9], s[0:1], 0x30
	s_mov_b32 s28, s3
	s_mov_b64 s[6:7], 0
	s_waitcnt lgkmcnt(0)
	s_cmp_lg_u64 s[8:9], 0
	s_cselect_b64 s[10:11], -1, 0
	s_and_b64 vcc, exec, s[10:11]
	s_cbranch_vccz .LBB447_7
; %bb.1:
	s_add_i32 s12, s2, 1
	s_mov_b32 s13, 0
	s_lshl_b64 s[14:15], s[12:13], 2
	s_add_u32 s14, s8, s14
	s_mov_b32 s3, s13
	s_addc_u32 s15, s9, s15
	s_lshl_b64 s[12:13], s[2:3], 2
	s_add_u32 s12, s8, s12
	s_addc_u32 s13, s9, s13
	s_load_dword s5, s[14:15], 0x0
	s_load_dword s16, s[12:13], 0x0
	s_waitcnt lgkmcnt(0)
	s_sub_i32 s5, s5, s16
	s_cmp_eq_u32 s5, 1
	s_cselect_b64 s[12:13], -1, 0
	s_andn2_b64 vcc, exec, s[6:7]
	s_cbranch_vccnz .LBB447_3
.LBB447_2:
	s_mov_b32 s3, 0
	s_mov_b64 s[12:13], -1
.LBB447_3:
	s_andn2_b64 vcc, exec, s[12:13]
	s_cbranch_vccnz .LBB447_19
; %bb.4:
	s_load_dwordx2 s[6:7], s[0:1], 0x28
	s_lshl_b64 s[12:13], s[2:3], 2
	s_waitcnt lgkmcnt(0)
	s_add_u32 s6, s6, s12
	s_addc_u32 s7, s7, s13
	s_load_dword s33, s[6:7], 0x0
	s_lshl_b32 s16, s28, 8
	s_waitcnt lgkmcnt(0)
	s_cmp_ge_i32 s16, s33
	s_cbranch_scc1 .LBB447_19
; %bb.5:
	s_load_dwordx2 s[6:7], s[0:1], 0x20
	s_load_dword s5, s[0:1], 0x38
	s_add_i32 s14, s33, 15
	s_ashr_i32 s15, s14, 31
	v_and_b32_e32 v1, 0xcf, v0
	s_lshr_b32 s15, s15, 28
	v_add_u32_e32 v1, s16, v1
	s_add_i32 s14, s14, s15
	v_ashrrev_i32_e32 v2, 31, v1
	s_ashr_i32 s17, s14, 4
	v_lshrrev_b32_e32 v6, 28, v2
	s_add_i32 s17, s17, -1
	s_waitcnt lgkmcnt(0)
	s_mul_i32 s14, s2, s5
	s_mov_b32 s15, 0
	v_add_u32_e32 v2, v1, v6
	s_lshl_b64 s[14:15], s[14:15], 2
	v_ashrrev_i32_e32 v2, 4, v2
	v_mov_b32_e32 v7, s17
	v_cmp_gt_i32_e32 vcc, s33, v1
	s_add_u32 s6, s6, s14
	s_addc_u32 s7, s7, s15
	v_cndmask_b32_e32 v2, v7, v2, vcc
	v_ashrrev_i32_e32 v3, 31, v2
	v_lshl_add_u64 v[4:5], v[2:3], 2, s[6:7]
	v_or_b32_e32 v2, 16, v1
	v_add_u32_e32 v3, v2, v6
	v_ashrrev_i32_e32 v3, 4, v3
	v_cmp_gt_i32_e32 vcc, s33, v2
	s_load_dwordx2 s[14:15], s[0:1], 0x8
	s_nop 0
	v_cndmask_b32_e32 v2, v7, v3, vcc
	v_ashrrev_i32_e32 v3, 31, v2
	v_lshl_add_u64 v[8:9], v[2:3], 2, s[6:7]
	v_or_b32_e32 v2, 32, v1
	v_add_u32_e32 v3, v2, v6
	v_ashrrev_i32_e32 v3, 4, v3
	v_cmp_gt_i32_e32 vcc, s33, v2
	v_or_b32_e32 v1, 48, v1
	s_nop 0
	v_cndmask_b32_e32 v2, v7, v3, vcc
	v_ashrrev_i32_e32 v3, 31, v2
	v_lshl_add_u64 v[10:11], v[2:3], 2, s[6:7]
	v_add_u32_e32 v2, v1, v6
	v_ashrrev_i32_e32 v2, 4, v2
	v_cmp_gt_i32_e32 vcc, s33, v1
	s_nop 1
	v_cndmask_b32_e32 v2, v7, v2, vcc
	v_ashrrev_i32_e32 v3, 31, v2
	v_lshl_add_u64 v[12:13], v[2:3], 2, s[6:7]
	global_load_dword v3, v[4:5], off
	global_load_dword v2, v[8:9], off
	;; [unrolled: 1-line block ×4, first 2 shown]
	s_andn2_b64 vcc, exec, s[10:11]
	s_cbranch_vccnz .LBB447_8
; %bb.6:
	s_add_u32 s8, s8, s12
	s_addc_u32 s9, s9, s13
	s_load_dword s5, s[8:9], 0x0
	s_branch .LBB447_9
.LBB447_7:
	s_mov_b64 s[12:13], 0
	s_branch .LBB447_2
.LBB447_8:
	s_mov_b32 s5, s2
.LBB447_9:
	s_load_dwordx2 s[8:9], s[0:1], 0x10
	s_load_dwordx4 s[44:47], s[0:1], 0x48
	v_and_b32_e32 v54, 15, v0
	s_movk_i32 s10, 0x80
	v_lshlrev_b32_e32 v4, 3, v54
	v_cmp_gt_u32_e32 vcc, s10, v0
	v_cmp_gt_u32_e64 s[30:31], 8, v54
	v_lshrrev_b32_e32 v53, 6, v0
	v_bfe_u32 v1, v0, 4, 2
	s_lshl_b32 s29, s4, 3
	s_and_b64 s[12:13], vcc, s[30:31]
	v_lshlrev_b32_e32 v42, 1, v4
	s_and_saveexec_b64 s[10:11], s[12:13]
	s_cbranch_execz .LBB447_11
; %bb.10:
	s_load_dwordx2 s[12:13], s[0:1], 0x0
	s_waitcnt lgkmcnt(0)
	s_ashr_i32 s18, s44, 31
	s_mul_hi_u32 s19, s5, s44
	s_mul_i32 s18, s5, s18
	s_add_i32 s19, s19, s18
	s_mul_i32 s18, s5, s44
	v_lshl_or_b32 v7, v53, 2, v1
	s_lshl_b64 s[18:19], s[18:19], 1
	s_add_u32 s12, s12, s18
	v_add_lshl_u32 v4, v7, s29, 6
	s_addc_u32 s13, s13, s19
	v_ashrrev_i32_e32 v5, 31, v4
	v_lshl_add_u64 v[4:5], v[4:5], 1, s[12:13]
	v_mov_b32_e32 v43, 0
	v_lshl_add_u64 v[4:5], v[4:5], 0, v[42:43]
	global_load_dwordx4 v[8:11], v[4:5], off
	v_and_b32_e32 v4, 3, v0
	v_lshlrev_b32_e32 v5, 5, v7
	v_lshlrev_b32_e32 v7, 9, v54
	;; [unrolled: 1-line block ×3, first 2 shown]
	v_and_b32_e32 v7, 0x1800, v7
	v_or3_b32 v4, v7, v4, v5
	s_waitcnt vmcnt(0)
	ds_write_b128 v4, v[8:11]
.LBB447_11:
	s_or_b64 exec, exec, s[10:11]
	s_waitcnt lgkmcnt(0)
	s_mul_i32 s4, s4, s46
	s_mov_b32 s5, 0
	s_lshl_b64 s[4:5], s[4:5], 1
	s_add_u32 s10, s14, s4
	v_lshlrev_b32_e32 v52, 4, v0
	s_addc_u32 s11, s15, s5
	v_and_b32_e32 v44, 0xf0, v52
	v_mov_b32_e32 v45, 0
	v_lshl_add_u64 v[16:17], s[10:11], 0, v[44:45]
	s_waitcnt vmcnt(3)
	v_mad_i64_i32 v[4:5], s[10:11], v3, s45, 0
	s_waitcnt vmcnt(2)
	v_mad_i64_i32 v[2:3], s[10:11], v2, s45, 0
	;; [unrolled: 2-line block ×3, first 2 shown]
	v_lshl_add_u64 v[4:5], v[4:5], 1, v[16:17]
	v_and_b32_e32 v44, 0x300, v52
	v_lshl_add_u64 v[2:3], v[2:3], 1, v[16:17]
	v_lshl_add_u64 v[6:7], v[6:7], 1, v[16:17]
	s_waitcnt vmcnt(0)
	v_mad_i64_i32 v[14:15], s[10:11], v14, s45, 0
	v_lshl_add_u64 v[4:5], v[4:5], 0, v[44:45]
	v_lshl_add_u64 v[8:9], v[2:3], 0, v[44:45]
	;; [unrolled: 1-line block ×4, first 2 shown]
	s_barrier
	global_load_dwordx4 v[30:33], v[4:5], off
	global_load_dwordx4 v[10:13], v[4:5], off offset:1024
	global_load_dwordx4 v[22:25], v[8:9], off
	s_nop 0
	global_load_dwordx4 v[2:5], v[8:9], off offset:1024
	global_load_dwordx4 v[26:29], v[18:19], off
	s_nop 0
	global_load_dwordx4 v[6:9], v[18:19], off offset:1024
	v_lshl_add_u64 v[18:19], v[14:15], 0, v[44:45]
	global_load_dwordx4 v[34:37], v[18:19], off
	global_load_dwordx4 v[14:17], v[18:19], off offset:1024
	v_and_b32_e32 v18, 7, v0
	v_lshlrev_b32_e32 v18, 5, v18
	v_lshl_or_b32 v18, v1, 9, v18
	ds_read_b128 v[38:41], v18
	ds_read_b128 v[18:21], v18 offset:2048
	v_and_b32_e32 v55, 63, v0
	v_mov_b32_e32 v56, 0
	s_and_saveexec_b64 s[10:11], s[30:31]
	s_cbranch_execz .LBB447_13
; %bb.12:
	s_load_dwordx2 s[12:13], s[0:1], 0x40
	v_or_b32_e32 v46, s29, v54
	v_ashrrev_i32_e32 v47, 31, v46
	s_waitcnt lgkmcnt(0)
	v_lshl_add_u64 v[46:47], v[46:47], 2, s[12:13]
	global_load_dword v56, v[46:47], off
.LBB447_13:
	s_or_b64 exec, exec, s[10:11]
	v_and_or_b32 v44, v0, 48, s16
	v_ashrrev_i32_e32 v43, 4, v44
	v_mov_b32_e32 v57, s17
	v_cmp_gt_i32_e32 vcc, s33, v44
	s_waitcnt vmcnt(5) lgkmcnt(1)
	v_mfma_f32_16x16x16_bf16 v[58:61], v[22:23], v[38:39], 0
	s_load_dword s10, s[0:1], 0x1c
	v_cndmask_b32_e32 v46, v57, v43, vcc
	v_ashrrev_i32_e32 v47, 31, v46
	v_or_b32_e32 v43, 64, v44
	v_lshl_add_u64 v[50:51], v[46:47], 2, s[6:7]
	v_mfma_f32_16x16x16_bf16 v[46:49], v[30:31], v[38:39], 0
	v_ashrrev_i32_e32 v30, 4, v43
	v_cmp_gt_i32_e32 vcc, s33, v43
	global_load_dword v70, v[50:51], off
	s_waitcnt vmcnt(4)
	v_mfma_f32_16x16x16_bf16 v[62:65], v[26:27], v[38:39], 0
	v_cndmask_b32_e32 v30, v57, v30, vcc
	v_ashrrev_i32_e32 v31, 31, v30
	v_lshl_add_u64 v[22:23], v[30:31], 2, s[6:7]
	global_load_dword v71, v[22:23], off
	v_mfma_f32_16x16x16_bf16 v[22:25], v[24:25], v[40:41], v[58:61]
	v_and_b32_e32 v26, 0xc0, v0
	s_add_u32 s4, s8, s4
	v_lshlrev_b32_e32 v43, 5, v54
	v_mfma_f32_16x16x16_bf16 v[30:33], v[32:33], v[40:41], v[46:49]
	s_addc_u32 s5, s9, s5
	s_mov_b32 s42, 0xff7fffff
	s_waitcnt vmcnt(3)
	v_mfma_f32_16x16x16_bf16 v[66:69], v[34:35], v[38:39], 0
	v_or_b32_e32 v38, 0x80, v44
	v_add_u32_e32 v46, s16, v26
	v_or_b32_e32 v39, 0xc0, v44
	v_mfma_f32_16x16x16_bf16 v[26:29], v[28:29], v[40:41], v[62:65]
	v_ashrrev_i32_e32 v47, 4, v38
	v_cmp_gt_i32_e32 vcc, s33, v38
	v_ashrrev_i32_e32 v48, 4, v39
	s_waitcnt lgkmcnt(0)
	v_mfma_f32_16x16x16_bf16 v[22:25], v[2:3], v[18:19], v[22:25]
	v_cndmask_b32_e32 v38, v57, v47, vcc
	v_cmp_gt_i32_e32 vcc, s33, v39
	v_ashrrev_i32_e32 v39, 31, v38
	v_mfma_f32_16x16x16_bf16 v[30:33], v[10:11], v[18:19], v[30:33]
	v_cndmask_b32_e32 v10, v57, v48, vcc
	v_ashrrev_i32_e32 v11, 31, v10
	v_lshl_or_b32 v58, v1, 2, v46
	v_mfma_f32_16x16x16_bf16 v[26:29], v[6:7], v[18:19], v[26:29]
	v_lshl_add_u64 v[6:7], v[38:39], 2, s[6:7]
	v_lshl_add_u64 v[38:39], v[10:11], 2, s[6:7]
	v_or_b32_e32 v57, 1, v58
	v_mfma_f32_16x16x16_bf16 v[2:5], v[4:5], v[20:21], v[22:25]
	s_nop 2
	global_load_dword v22, v[6:7], off
	global_load_dword v61, v[38:39], off
	v_subrev_u32_e32 v59, s33, v57
	v_cvt_f32_i32_e32 v60, v59
	v_mfma_f32_16x16x16_bf16 v[34:37], v[36:37], v[40:41], v[66:69]
	v_pk_mul_f32 v[46:47], s[10:11], v[4:5] op_sel_hi:[0,1]
	v_lshl_or_b32 v44, v53, 9, v43
	v_lshl_add_u64 v[44:45], s[4:5], 0, v[44:45]
	s_waitcnt vmcnt(4)
	v_mfma_f32_16x16x16_bf16 v[34:37], v[14:15], v[18:19], v[34:37]
	v_add_u32_e32 v14, 1, v59
	v_add_u32_e32 v15, 2, v59
	v_cvt_f32_i32_e32 v23, v14
	v_cvt_f32_i32_e32 v24, v15
	v_mfma_f32_16x16x16_bf16 v[14:17], v[16:17], v[20:21], v[34:37]
	v_add_u32_e32 v18, 3, v59
	v_cvt_f32_i32_e32 v18, v18
	v_pk_mul_f32 v[48:49], s[10:11], v[2:3] op_sel_hi:[0,1]
	v_mfma_f32_16x16x16_bf16 v[10:13], v[12:13], v[20:21], v[30:33]
	v_cmp_gt_i32_e64 s[34:35], s33, v57
	s_nop 1
	v_pk_mul_f32 v[36:37], s[10:11], v[14:15] op_sel_hi:[0,1]
	v_add_u32_e32 v15, 19, v59
	v_add_u32_e32 v31, 18, v59
	v_cvt_f32_i32_e32 v14, v31
	v_cvt_f32_i32_e32 v15, v15
	v_mfma_f32_16x16x16_bf16 v[6:9], v[8:9], v[20:21], v[26:29]
	v_pk_mul_f32 v[34:35], s[10:11], v[16:17] op_sel_hi:[0,1]
	v_fma_f32 v46, v56, v14, v46
	v_add_u32_e32 v14, 32, v59
	v_fmac_f32_e32 v47, v56, v15
	v_cvt_f32_i32_e32 v14, v14
	v_add_u32_e32 v15, 33, v59
	v_add_u32_e32 v16, 34, v59
	v_cvt_f32_i32_e32 v15, v15
	v_cvt_f32_i32_e32 v16, v16
	v_add_u32_e32 v17, 35, v59
	v_cvt_f32_i32_e32 v17, v17
	v_pk_mul_f32 v[40:41], s[10:11], v[6:7] op_sel_hi:[0,1]
	v_pk_mul_f32 v[38:39], s[10:11], v[8:9] op_sel_hi:[0,1]
	v_fma_f32 v40, v56, v14, v40
	v_add_u32_e32 v14, 48, v59
	v_fmac_f32_e32 v41, v56, v15
	v_fma_f32 v38, v56, v16, v38
	v_cvt_f32_i32_e32 v14, v14
	v_add_u32_e32 v15, 49, v59
	v_add_u32_e32 v16, 50, v59
	v_fmac_f32_e32 v39, v56, v17
	v_cvt_f32_i32_e32 v15, v15
	v_cvt_f32_i32_e32 v16, v16
	v_add_u32_e32 v17, 51, v59
	v_cvt_f32_i32_e32 v17, v17
	v_pk_mul_f32 v[50:51], s[10:11], v[12:13] op_sel_hi:[0,1]
	v_pk_mul_f32 v[10:11], s[10:11], v[10:11] op_sel_hi:[0,1]
	s_waitcnt vmcnt(3)
	v_mad_i64_i32 v[2:3], s[4:5], v70, s45, 0
	s_waitcnt vmcnt(2)
	v_mad_i64_i32 v[12:13], s[4:5], v71, s45, 0
	v_fma_f32 v10, v56, v60, v10
	v_fmac_f32_e32 v11, v56, v23
	v_fma_f32 v36, v56, v14, v36
	v_mov_b32_e32 v14, 0xff7fffff
	v_cmp_gt_i32_e64 s[4:5], s33, v58
	v_add_u32_e32 v19, 16, v59
	v_add_u32_e32 v30, 17, v59
	v_fmac_f32_e32 v37, v56, v15
	v_fma_f32 v34, v56, v16, v34
	v_cndmask_b32_e64 v15, v14, v10, s[4:5]
	v_cndmask_b32_e64 v16, v14, v11, s[34:35]
	v_cvt_f32_i32_e32 v19, v19
	v_cvt_f32_i32_e32 v25, v30
	v_fmac_f32_e32 v35, v56, v17
	v_max3_f32 v15, v15, s42, v16
	v_or_b32_e32 v16, 2, v58
	v_or_b32_e32 v17, 3, v58
	v_fma_f32 v50, v56, v24, v50
	v_fmac_f32_e32 v51, v56, v18
	v_cmp_gt_i32_e64 s[36:37], s33, v16
	v_cmp_gt_i32_e64 s[38:39], s33, v17
	v_fma_f32 v48, v56, v19, v48
	v_cndmask_b32_e64 v16, v14, v50, s[36:37]
	v_cndmask_b32_e64 v17, v14, v51, s[38:39]
	v_max3_f32 v15, v15, v16, v17
	v_or_b32_e32 v16, 16, v58
	v_or_b32_e32 v17, 17, v58
	v_fmac_f32_e32 v49, v56, v25
	v_cmp_gt_i32_e64 s[24:25], s33, v16
	v_cmp_gt_i32_e64 s[26:27], s33, v17
	v_lshl_add_u64 v[2:3], v[2:3], 1, v[44:45]
	v_cndmask_b32_e64 v16, v14, v48, s[24:25]
	v_cndmask_b32_e64 v17, v14, v49, s[26:27]
	v_max3_f32 v15, v15, v16, v17
	v_or_b32_e32 v16, 18, v58
	v_or_b32_e32 v17, 19, v58
	v_cmp_gt_i32_e64 s[20:21], s33, v16
	v_cmp_gt_i32_e64 s[22:23], s33, v17
	v_lshl_add_u64 v[12:13], v[12:13], 1, v[44:45]
	v_cndmask_b32_e64 v16, v14, v46, s[20:21]
	v_cndmask_b32_e64 v17, v14, v47, s[22:23]
	v_max3_f32 v15, v15, v16, v17
	v_or_b32_e32 v16, 32, v58
	v_or_b32_e32 v17, 33, v58
	v_cmp_gt_i32_e64 s[16:17], s33, v16
	v_cmp_gt_i32_e64 s[18:19], s33, v17
	global_load_dwordx4 v[6:9], v[2:3], off
	s_nop 0
	global_load_dwordx4 v[2:5], v[2:3], off offset:16
	v_cndmask_b32_e64 v16, v14, v40, s[16:17]
	v_cndmask_b32_e64 v17, v14, v41, s[18:19]
	v_max3_f32 v15, v15, v16, v17
	v_or_b32_e32 v16, 34, v58
	v_or_b32_e32 v17, 35, v58
	v_cmp_gt_i32_e64 s[12:13], s33, v16
	v_cmp_gt_i32_e64 s[14:15], s33, v17
	global_load_dwordx4 v[30:33], v[12:13], off
	global_load_dwordx4 v[26:29], v[12:13], off offset:16
	v_cndmask_b32_e64 v16, v14, v38, s[12:13]
	v_cndmask_b32_e64 v17, v14, v39, s[14:15]
	v_max3_f32 v15, v15, v16, v17
	v_or_b32_e32 v16, 48, v58
	v_or_b32_e32 v17, 49, v58
	v_cmp_gt_i32_e64 s[8:9], s33, v16
	v_cmp_gt_i32_e64 s[10:11], s33, v17
	s_nop 0
	v_cndmask_b32_e64 v16, v14, v36, s[8:9]
	v_cndmask_b32_e64 v17, v14, v37, s[10:11]
	v_max3_f32 v15, v15, v16, v17
	v_or_b32_e32 v16, 50, v58
	v_or_b32_e32 v17, 51, v58
	v_cmp_gt_i32_e32 vcc, s33, v16
	v_cmp_gt_i32_e64 s[6:7], s33, v17
	s_nop 0
	v_cndmask_b32_e32 v16, v14, v34, vcc
	v_cndmask_b32_e64 v14, v14, v35, s[6:7]
	v_max3_f32 v14, v15, v16, v14
	v_mbcnt_lo_u32_b32 v15, -1, 0
	v_mbcnt_hi_u32_b32 v15, -1, v15
	v_and_b32_e32 v16, 64, v15
	v_add_u32_e32 v16, 64, v16
	v_xor_b32_e32 v17, 32, v15
	v_cmp_lt_i32_e64 s[40:41], v17, v16
	s_nop 1
	v_cndmask_b32_e64 v17, v15, v17, s[40:41]
	v_lshlrev_b32_e32 v57, 2, v17
	ds_bpermute_b32 v17, v57, v14
	s_waitcnt vmcnt(5)
	v_mad_i64_i32 v[12:13], s[40:41], v22, s45, 0
	v_lshl_add_u64 v[12:13], v[12:13], 1, v[44:45]
	global_load_dwordx4 v[22:25], v[12:13], off
	global_load_dwordx4 v[18:21], v[12:13], off offset:16
	s_waitcnt lgkmcnt(0)
	v_max_f32_e32 v17, v17, v17
	v_max_f32_e32 v14, v14, v17
	v_xor_b32_e32 v17, 16, v15
	v_cmp_lt_i32_e64 s[40:41], v17, v16
	s_nop 1
	v_cndmask_b32_e64 v15, v15, v17, s[40:41]
	v_lshlrev_b32_e32 v58, 2, v15
	ds_bpermute_b32 v15, v58, v14
	s_waitcnt vmcnt(6)
	v_mad_i64_i32 v[12:13], s[40:41], v61, s45, 0
	v_lshl_add_u64 v[12:13], v[12:13], 1, v[44:45]
	s_waitcnt lgkmcnt(0)
	v_max_f32_e32 v15, v15, v15
	v_max_f32_e32 v56, v14, v15
	v_sub_f32_e32 v10, v10, v56
	v_mul_f32_e32 v10, 0x3fb8aa3b, v10
	v_exp_f32_e32 v44, v10
	v_sub_f32_e32 v10, v11, v56
	v_mul_f32_e32 v10, 0x3fb8aa3b, v10
	v_exp_f32_e32 v45, v10
	global_load_dwordx4 v[14:17], v[12:13], off
	s_nop 0
	global_load_dwordx4 v[10:13], v[12:13], off offset:16
	v_sub_f32_e32 v50, v50, v56
	v_mul_f32_e32 v50, 0x3fb8aa3b, v50
	v_sub_f32_e32 v51, v51, v56
	v_exp_f32_e32 v50, v50
	v_mul_f32_e32 v51, 0x3fb8aa3b, v51
	v_sub_f32_e32 v48, v48, v56
	v_exp_f32_e32 v51, v51
	v_mul_f32_e32 v48, 0x3fb8aa3b, v48
	v_sub_f32_e32 v49, v49, v56
	v_cndmask_b32_e64 v44, 0, v44, s[4:5]
	v_exp_f32_e32 v48, v48
	v_mul_f32_e32 v49, 0x3fb8aa3b, v49
	v_sub_f32_e32 v46, v46, v56
	v_add_f32_e32 v59, 0, v44
	v_cndmask_b32_e64 v45, 0, v45, s[34:35]
	v_exp_f32_e32 v49, v49
	v_mul_f32_e32 v46, 0x3fb8aa3b, v46
	v_sub_f32_e32 v47, v47, v56
	v_add_f32_e32 v59, v59, v45
	;; [unrolled: 5-line block ×10, first 2 shown]
	v_cndmask_b32_e64 v38, 0, v38, s[12:13]
	v_exp_f32_e32 v34, v34
	v_mul_f32_e32 v35, 0x3fb8aa3b, v35
	v_add_f32_e32 v59, v59, v38
	v_cndmask_b32_e64 v39, 0, v39, s[14:15]
	v_exp_f32_e32 v35, v35
	v_add_f32_e32 v59, v59, v39
	v_cndmask_b32_e64 v36, 0, v36, s[8:9]
	v_add_f32_e32 v59, v59, v36
	v_cndmask_b32_e64 v37, 0, v37, s[10:11]
	v_add_f32_e32 v59, v59, v37
	v_cndmask_b32_e32 v34, 0, v34, vcc
	v_add_f32_e32 v59, v59, v34
	v_cndmask_b32_e64 v35, 0, v35, s[6:7]
	v_add_f32_e32 v59, v59, v35
	ds_bpermute_b32 v57, v57, v59
	s_load_dword s7, s[0:1], 0x98
	v_cmp_gt_u32_e32 vcc, 16, v55
	v_lshlrev_b32_e32 v55, 2, v54
	s_waitcnt lgkmcnt(0)
	v_add_f32_e32 v57, v59, v57
	ds_bpermute_b32 v58, v58, v57
	s_barrier
	s_waitcnt lgkmcnt(0)
	s_and_saveexec_b64 s[4:5], vcc
	s_cbranch_execz .LBB447_15
; %bb.14:
	v_add_f32_e32 v54, v57, v58
	v_lshl_or_b32 v57, v53, 6, v55
	ds_write2st64_b32 v57, v56, v54 offset1:1
.LBB447_15:
	s_or_b64 exec, exec, s[4:5]
	s_load_dword s6, s[0:1], 0x94
	s_waitcnt lgkmcnt(0)
	s_barrier
	ds_read2_b32 v[56:57], v55 offset1:16
	ds_read2_b32 v[58:59], v55 offset0:32 offset1:48
	ds_read2_b32 v[60:61], v55 offset0:64 offset1:80
	s_movk_i32 s8, 0x7fff
	s_mov_b32 s9, 0x7060302
	s_waitcnt lgkmcnt(2)
	v_max3_f32 v54, v56, s42, v57
	s_waitcnt lgkmcnt(1)
	v_max3_f32 v54, v54, v58, v59
	v_sub_f32_e32 v56, v56, v54
	v_mul_f32_e32 v56, 0x3fb8aa3b, v56
	v_exp_f32_e32 v62, v56
	v_sub_f32_e32 v56, v57, v54
	v_mul_f32_e32 v56, 0x3fb8aa3b, v56
	v_exp_f32_e32 v63, v56
	;; [unrolled: 3-line block ×3, first 2 shown]
	ds_read2_b32 v[56:57], v55 offset0:96 offset1:112
	v_sub_f32_e32 v55, v59, v54
	v_mul_f32_e32 v55, 0x3fb8aa3b, v55
	v_exp_f32_e32 v59, v55
	s_waitcnt lgkmcnt(1)
	v_fma_f32 v55, v62, v60, 0
	v_fmac_f32_e32 v55, v63, v61
	s_waitcnt lgkmcnt(0)
	v_fmac_f32_e32 v55, v58, v56
	v_fmac_f32_e32 v55, v59, v57
	v_add_f32_e32 v56, 0x358637bd, v55
	v_div_scale_f32 v57, s[4:5], v56, v56, 1.0
	v_rcp_f32_e32 v60, v57
	s_lshl_b32 s7, s7, 3
	s_barrier
	v_fma_f32 v61, -v57, v60, 1.0
	v_fmac_f32_e32 v60, v61, v60
	v_div_scale_f32 v61, vcc, 1.0, v56, 1.0
	v_mul_f32_e32 v64, v61, v60
	v_fma_f32 v65, -v57, v64, v61
	v_fmac_f32_e32 v64, v65, v60
	v_fma_f32 v57, -v57, v64, v61
	v_div_fmas_f32 v57, v57, v60, v64
	v_cmp_eq_u32_e32 vcc, 1, v53
	v_div_fixup_f32 v56, v57, v56, 1.0
	s_nop 0
	v_cndmask_b32_e32 v57, v62, v63, vcc
	v_cmp_eq_u32_e32 vcc, 2, v53
	s_nop 1
	v_cndmask_b32_e32 v57, v57, v58, vcc
	v_cmp_eq_u32_e32 vcc, 3, v53
	s_nop 1
	v_cndmask_b32_e32 v57, v57, v59, vcc
	v_mul_f32_e32 v56, v57, v56
	v_pk_mul_f32 v[44:45], v[56:57], v[44:45] op_sel_hi:[0,1]
	v_pk_mul_f32 v[50:51], v[56:57], v[50:51] op_sel_hi:[0,1]
	v_bfe_u32 v57, v45, 16, 1
	v_bfe_u32 v58, v44, 16, 1
	v_add3_u32 v44, v44, v58, s8
	v_add3_u32 v45, v45, v57, s8
	v_perm_b32 v58, v45, v44, s9
	v_bfe_u32 v44, v51, 16, 1
	v_bfe_u32 v45, v50, 16, 1
	v_add3_u32 v45, v50, v45, s8
	v_add3_u32 v44, v51, v44, s8
	v_perm_b32 v59, v44, v45, s9
	v_lshlrev_b32_e32 v44, 3, v1
	v_lshlrev_b32_e32 v45, 11, v53
	v_pk_mul_f32 v[48:49], v[56:57], v[48:49] op_sel_hi:[0,1]
	v_or3_b32 v44, v45, v43, v44
	v_bfe_u32 v45, v49, 16, 1
	v_bfe_u32 v50, v48, 16, 1
	v_pk_mul_f32 v[46:47], v[56:57], v[46:47] op_sel_hi:[0,1]
	v_add3_u32 v48, v48, v50, s8
	v_add3_u32 v45, v49, v45, s8
	v_perm_b32 v48, v45, v48, s9
	v_bfe_u32 v45, v47, 16, 1
	v_bfe_u32 v49, v46, 16, 1
	v_add3_u32 v46, v46, v49, s8
	v_add3_u32 v45, v47, v45, s8
	v_pk_mul_f32 v[40:41], v[56:57], v[40:41] op_sel_hi:[0,1]
	v_perm_b32 v49, v45, v46, s9
	v_bfe_u32 v45, v41, 16, 1
	v_bfe_u32 v46, v40, 16, 1
	v_pk_mul_f32 v[38:39], v[56:57], v[38:39] op_sel_hi:[0,1]
	v_add3_u32 v40, v40, v46, s8
	v_add3_u32 v41, v41, v45, s8
	v_perm_b32 v40, v41, v40, s9
	v_bfe_u32 v41, v39, 16, 1
	v_bfe_u32 v45, v38, 16, 1
	v_add3_u32 v38, v38, v45, s8
	v_add3_u32 v39, v39, v41, s8
	v_pk_mul_f32 v[36:37], v[56:57], v[36:37] op_sel_hi:[0,1]
	v_perm_b32 v41, v39, v38, s9
	v_bfe_u32 v38, v37, 16, 1
	v_bfe_u32 v39, v36, 16, 1
	v_pk_mul_f32 v[34:35], v[56:57], v[34:35] op_sel_hi:[0,1]
	v_add3_u32 v36, v36, v39, s8
	v_add3_u32 v37, v37, v38, s8
	v_perm_b32 v36, v37, v36, s9
	v_bfe_u32 v37, v35, 16, 1
	v_bfe_u32 v38, v34, 16, 1
	v_add3_u32 v34, v34, v38, s8
	v_add3_u32 v35, v35, v37, s8
	v_perm_b32 v37, v35, v34, s9
	v_cmp_gt_u32_e32 vcc, 8, v0
	ds_write2st64_b64 v44, v[58:59], v[48:49] offset1:1
	ds_write2st64_b64 v44, v[40:41], v[36:37] offset0:2 offset1:3
	s_and_saveexec_b64 s[4:5], vcc
	s_cbranch_execz .LBB447_17
; %bb.16:
	v_or_b32_e32 v34, s29, v0
	v_mov_b32_e32 v35, 0
	v_mov_b32_e32 v36, s7
	v_mad_u64_u32 v[36:37], s[10:11], s2, v36, v[34:35]
	v_mov_b32_e32 v34, s28
	s_load_dwordx4 s[12:15], s[0:1], 0x58
	s_mul_i32 s3, s3, s7
	v_mad_u64_u32 v[34:35], s[10:11], v36, s6, v[34:35]
	v_add_u32_e32 v37, s3, v37
	v_mov_b32_e32 v36, v35
	v_mad_u64_u32 v[36:37], s[10:11], v37, s6, v[36:37]
	v_mov_b32_e32 v35, v36
	v_lshlrev_b64 v[34:35], 2, v[34:35]
	s_waitcnt lgkmcnt(0)
	v_lshl_add_u64 v[36:37], s[14:15], 0, v[34:35]
	v_lshl_add_u64 v[34:35], s[12:13], 0, v[34:35]
	global_store_dword v[36:37], v54, off
	global_store_dword v[34:35], v55, off
.LBB447_17:
	s_or_b64 exec, exec, s[4:5]
	v_lshl_or_b32 v43, v1, 9, v43
	s_waitcnt lgkmcnt(0)
	s_barrier
	ds_read_b128 v[34:37], v43
	ds_read_b128 v[38:41], v43 offset:16
	s_waitcnt vmcnt(7) lgkmcnt(1)
	v_mfma_f32_16x16x16_bf16 v[46:49], v[6:7], v[34:35], 0
	v_cmp_gt_u32_e32 vcc, 64, v0
	s_mov_b32 s3, 0
	s_and_b64 s[4:5], vcc, s[30:31]
	v_mfma_f32_16x16x16_bf16 v[6:9], v[8:9], v[36:37], v[46:49]
	s_waitcnt vmcnt(6) lgkmcnt(0)
	v_mfma_f32_16x16x16_bf16 v[6:9], v[2:3], v[38:39], v[6:9]
	v_mfma_f32_16x16x16_bf16 v[2:5], v[4:5], v[40:41], v[6:9]
	s_nop 5
	ds_read_b128 v[6:9], v43 offset:2048
	ds_read_b128 v[34:37], v43 offset:2064
	s_waitcnt vmcnt(5) lgkmcnt(1)
	v_mfma_f32_16x16x16_bf16 v[2:5], v[30:31], v[6:7], v[2:5]
	v_mfma_f32_16x16x16_bf16 v[2:5], v[32:33], v[8:9], v[2:5]
	s_waitcnt vmcnt(4) lgkmcnt(0)
	v_mfma_f32_16x16x16_bf16 v[2:5], v[26:27], v[34:35], v[2:5]
	v_mfma_f32_16x16x16_bf16 v[2:5], v[28:29], v[36:37], v[2:5]
	ds_read_b128 v[6:9], v43 offset:4096
	ds_read_b128 v[26:29], v43 offset:4112
	s_waitcnt vmcnt(3) lgkmcnt(1)
	v_mfma_f32_16x16x16_bf16 v[2:5], v[22:23], v[6:7], v[2:5]
	v_mfma_f32_16x16x16_bf16 v[2:5], v[24:25], v[8:9], v[2:5]
	s_waitcnt vmcnt(2) lgkmcnt(0)
	v_mfma_f32_16x16x16_bf16 v[2:5], v[18:19], v[26:27], v[2:5]
	v_mfma_f32_16x16x16_bf16 v[2:5], v[20:21], v[28:29], v[2:5]
	ds_read_b128 v[6:9], v43 offset:6144
	ds_read_b128 v[18:21], v43 offset:6160
	v_mov_b32_e32 v43, 0
	s_waitcnt vmcnt(1) lgkmcnt(0)
	v_mfma_f32_16x16x16_bf16 v[2:5], v[14:15], v[6:7], v[2:5]
	s_barrier
	v_mfma_f32_16x16x16_bf16 v[2:5], v[16:17], v[8:9], v[2:5]
	s_waitcnt vmcnt(0)
	v_mfma_f32_16x16x16_bf16 v[2:5], v[10:11], v[18:19], v[2:5]
	v_mfma_f32_16x16x16_bf16 v[2:5], v[12:13], v[20:21], v[2:5]
	s_nop 6
	v_bfe_u32 v6, v3, 16, 1
	v_bfe_u32 v7, v2, 16, 1
	;; [unrolled: 1-line block ×4, first 2 shown]
	v_add3_u32 v2, v2, v7, s8
	v_add3_u32 v3, v3, v6, s8
	;; [unrolled: 1-line block ×4, first 2 shown]
	v_perm_b32 v2, v3, v2, s9
	v_perm_b32 v3, v5, v4, s9
	ds_write_b64 v44, v[2:3]
	s_waitcnt lgkmcnt(0)
	s_barrier
	s_and_saveexec_b64 s[8:9], s[4:5]
	s_cbranch_execz .LBB447_19
; %bb.18:
	s_load_dwordx2 s[0:1], s[0:1], 0x68
	s_lshl_b32 s6, s6, 6
	s_mul_i32 s2, s7, s2
	s_mul_hi_u32 s5, s2, s6
	s_mul_i32 s4, s2, s6
	s_lshl_b64 s[4:5], s[4:5], 1
	v_lshlrev_b32_e32 v0, 10, v0
	s_waitcnt lgkmcnt(0)
	s_add_u32 s4, s0, s4
	v_and_b32_e32 v0, 0x1800, v0
	v_lshlrev_b32_e32 v2, 5, v1
	v_and_b32_e32 v3, 16, v52
	s_addc_u32 s5, s1, s5
	s_lshl_b32 s2, s28, 6
	v_or3_b32 v0, v0, v2, v3
	s_lshl_b64 s[0:1], s[2:3], 1
	ds_read_b128 v[2:5], v0
	ds_read_b128 v[6:9], v0 offset:128
	s_add_u32 s0, s4, s0
	s_addc_u32 s1, s5, s1
	v_or_b32_e32 v12, s29, v1
	v_lshl_add_u64 v[10:11], s[0:1], 0, v[42:43]
	v_mad_u64_u32 v[0:1], s[0:1], v12, s6, 0
	v_lshl_add_u64 v[0:1], v[0:1], 1, v[10:11]
	s_waitcnt lgkmcnt(1)
	global_store_dwordx4 v[0:1], v[2:5], off
	v_or_b32_e32 v0, 4, v12
	v_mad_u64_u32 v[0:1], s[0:1], v0, s6, 0
	v_lshl_add_u64 v[0:1], v[0:1], 1, v[10:11]
	s_waitcnt lgkmcnt(0)
	global_store_dwordx4 v[0:1], v[6:9], off
.LBB447_19:
	s_endpgm
	.section	.rodata,"a",@progbits
	.p2align	6, 0x0
	.amdhsa_kernel _Z39paged_attention_ll4mi_QKV_mfma16_kernelI14__hip_bfloat16S0_LN4vllm18Fp8KVCacheDataTypeE0ES0_Li16ELi64ELi256ELb1ELi8EEvPKT_PKT0_S8_ifPKiSA_SA_iPKfiiiPfSD_PS3_PT2_iSC_SC_
		.amdhsa_group_segment_fixed_size 8192
		.amdhsa_private_segment_fixed_size 0
		.amdhsa_kernarg_size 400
		.amdhsa_user_sgpr_count 2
		.amdhsa_user_sgpr_dispatch_ptr 0
		.amdhsa_user_sgpr_queue_ptr 0
		.amdhsa_user_sgpr_kernarg_segment_ptr 1
		.amdhsa_user_sgpr_dispatch_id 0
		.amdhsa_user_sgpr_kernarg_preload_length 0
		.amdhsa_user_sgpr_kernarg_preload_offset 0
		.amdhsa_user_sgpr_private_segment_size 0
		.amdhsa_uses_dynamic_stack 0
		.amdhsa_enable_private_segment 0
		.amdhsa_system_sgpr_workgroup_id_x 1
		.amdhsa_system_sgpr_workgroup_id_y 1
		.amdhsa_system_sgpr_workgroup_id_z 1
		.amdhsa_system_sgpr_workgroup_info 0
		.amdhsa_system_vgpr_workitem_id 0
		.amdhsa_next_free_vgpr 72
		.amdhsa_next_free_sgpr 48
		.amdhsa_accum_offset 72
		.amdhsa_reserve_vcc 1
		.amdhsa_float_round_mode_32 0
		.amdhsa_float_round_mode_16_64 0
		.amdhsa_float_denorm_mode_32 3
		.amdhsa_float_denorm_mode_16_64 3
		.amdhsa_dx10_clamp 1
		.amdhsa_ieee_mode 1
		.amdhsa_fp16_overflow 0
		.amdhsa_tg_split 0
		.amdhsa_exception_fp_ieee_invalid_op 0
		.amdhsa_exception_fp_denorm_src 0
		.amdhsa_exception_fp_ieee_div_zero 0
		.amdhsa_exception_fp_ieee_overflow 0
		.amdhsa_exception_fp_ieee_underflow 0
		.amdhsa_exception_fp_ieee_inexact 0
		.amdhsa_exception_int_div_zero 0
	.end_amdhsa_kernel
	.section	.text._Z39paged_attention_ll4mi_QKV_mfma16_kernelI14__hip_bfloat16S0_LN4vllm18Fp8KVCacheDataTypeE0ES0_Li16ELi64ELi256ELb1ELi8EEvPKT_PKT0_S8_ifPKiSA_SA_iPKfiiiPfSD_PS3_PT2_iSC_SC_,"axG",@progbits,_Z39paged_attention_ll4mi_QKV_mfma16_kernelI14__hip_bfloat16S0_LN4vllm18Fp8KVCacheDataTypeE0ES0_Li16ELi64ELi256ELb1ELi8EEvPKT_PKT0_S8_ifPKiSA_SA_iPKfiiiPfSD_PS3_PT2_iSC_SC_,comdat
.Lfunc_end447:
	.size	_Z39paged_attention_ll4mi_QKV_mfma16_kernelI14__hip_bfloat16S0_LN4vllm18Fp8KVCacheDataTypeE0ES0_Li16ELi64ELi256ELb1ELi8EEvPKT_PKT0_S8_ifPKiSA_SA_iPKfiiiPfSD_PS3_PT2_iSC_SC_, .Lfunc_end447-_Z39paged_attention_ll4mi_QKV_mfma16_kernelI14__hip_bfloat16S0_LN4vllm18Fp8KVCacheDataTypeE0ES0_Li16ELi64ELi256ELb1ELi8EEvPKT_PKT0_S8_ifPKiSA_SA_iPKfiiiPfSD_PS3_PT2_iSC_SC_
                                        ; -- End function
	.section	.AMDGPU.csdata,"",@progbits
; Kernel info:
; codeLenInByte = 4268
; NumSgprs: 54
; NumVgprs: 72
; NumAgprs: 0
; TotalNumVgprs: 72
; ScratchSize: 0
; MemoryBound: 0
; FloatMode: 240
; IeeeMode: 1
; LDSByteSize: 8192 bytes/workgroup (compile time only)
; SGPRBlocks: 6
; VGPRBlocks: 8
; NumSGPRsForWavesPerEU: 54
; NumVGPRsForWavesPerEU: 72
; AccumOffset: 72
; Occupancy: 7
; WaveLimiterHint : 1
; COMPUTE_PGM_RSRC2:SCRATCH_EN: 0
; COMPUTE_PGM_RSRC2:USER_SGPR: 2
; COMPUTE_PGM_RSRC2:TRAP_HANDLER: 0
; COMPUTE_PGM_RSRC2:TGID_X_EN: 1
; COMPUTE_PGM_RSRC2:TGID_Y_EN: 1
; COMPUTE_PGM_RSRC2:TGID_Z_EN: 1
; COMPUTE_PGM_RSRC2:TIDIG_COMP_CNT: 0
; COMPUTE_PGM_RSRC3_GFX90A:ACCUM_OFFSET: 17
; COMPUTE_PGM_RSRC3_GFX90A:TG_SPLIT: 0
	.section	.text._Z39paged_attention_ll4mi_QKV_mfma16_kernelI14__hip_bfloat16S0_LN4vllm18Fp8KVCacheDataTypeE0ES0_Li16ELi64ELi256ELb1ELi9EEvPKT_PKT0_S8_ifPKiSA_SA_iPKfiiiPfSD_PS3_PT2_iSC_SC_,"axG",@progbits,_Z39paged_attention_ll4mi_QKV_mfma16_kernelI14__hip_bfloat16S0_LN4vllm18Fp8KVCacheDataTypeE0ES0_Li16ELi64ELi256ELb1ELi9EEvPKT_PKT0_S8_ifPKiSA_SA_iPKfiiiPfSD_PS3_PT2_iSC_SC_,comdat
	.protected	_Z39paged_attention_ll4mi_QKV_mfma16_kernelI14__hip_bfloat16S0_LN4vllm18Fp8KVCacheDataTypeE0ES0_Li16ELi64ELi256ELb1ELi9EEvPKT_PKT0_S8_ifPKiSA_SA_iPKfiiiPfSD_PS3_PT2_iSC_SC_ ; -- Begin function _Z39paged_attention_ll4mi_QKV_mfma16_kernelI14__hip_bfloat16S0_LN4vllm18Fp8KVCacheDataTypeE0ES0_Li16ELi64ELi256ELb1ELi9EEvPKT_PKT0_S8_ifPKiSA_SA_iPKfiiiPfSD_PS3_PT2_iSC_SC_
	.globl	_Z39paged_attention_ll4mi_QKV_mfma16_kernelI14__hip_bfloat16S0_LN4vllm18Fp8KVCacheDataTypeE0ES0_Li16ELi64ELi256ELb1ELi9EEvPKT_PKT0_S8_ifPKiSA_SA_iPKfiiiPfSD_PS3_PT2_iSC_SC_
	.p2align	8
	.type	_Z39paged_attention_ll4mi_QKV_mfma16_kernelI14__hip_bfloat16S0_LN4vllm18Fp8KVCacheDataTypeE0ES0_Li16ELi64ELi256ELb1ELi9EEvPKT_PKT0_S8_ifPKiSA_SA_iPKfiiiPfSD_PS3_PT2_iSC_SC_,@function
_Z39paged_attention_ll4mi_QKV_mfma16_kernelI14__hip_bfloat16S0_LN4vllm18Fp8KVCacheDataTypeE0ES0_Li16ELi64ELi256ELb1ELi9EEvPKT_PKT0_S8_ifPKiSA_SA_iPKfiiiPfSD_PS3_PT2_iSC_SC_: ; @_Z39paged_attention_ll4mi_QKV_mfma16_kernelI14__hip_bfloat16S0_LN4vllm18Fp8KVCacheDataTypeE0ES0_Li16ELi64ELi256ELb1ELi9EEvPKT_PKT0_S8_ifPKiSA_SA_iPKfiiiPfSD_PS3_PT2_iSC_SC_
; %bb.0:
	s_load_dwordx2 s[8:9], s[0:1], 0x30
	s_mov_b32 s28, s3
	s_mov_b64 s[6:7], 0
	s_waitcnt lgkmcnt(0)
	s_cmp_lg_u64 s[8:9], 0
	s_cselect_b64 s[10:11], -1, 0
	s_and_b64 vcc, exec, s[10:11]
	s_cbranch_vccz .LBB448_7
; %bb.1:
	s_add_i32 s12, s2, 1
	s_mov_b32 s13, 0
	s_lshl_b64 s[14:15], s[12:13], 2
	s_add_u32 s14, s8, s14
	s_mov_b32 s3, s13
	s_addc_u32 s15, s9, s15
	s_lshl_b64 s[12:13], s[2:3], 2
	s_add_u32 s12, s8, s12
	s_addc_u32 s13, s9, s13
	s_load_dword s5, s[14:15], 0x0
	s_load_dword s16, s[12:13], 0x0
	s_waitcnt lgkmcnt(0)
	s_sub_i32 s5, s5, s16
	s_cmp_eq_u32 s5, 1
	s_cselect_b64 s[12:13], -1, 0
	s_andn2_b64 vcc, exec, s[6:7]
	s_cbranch_vccnz .LBB448_3
.LBB448_2:
	s_mov_b32 s3, 0
	s_mov_b64 s[12:13], -1
.LBB448_3:
	s_andn2_b64 vcc, exec, s[12:13]
	s_cbranch_vccnz .LBB448_20
; %bb.4:
	s_load_dwordx2 s[6:7], s[0:1], 0x28
	s_lshl_b64 s[12:13], s[2:3], 2
	s_waitcnt lgkmcnt(0)
	s_add_u32 s6, s6, s12
	s_addc_u32 s7, s7, s13
	s_load_dword s29, s[6:7], 0x0
	s_lshl_b32 s16, s28, 8
	s_waitcnt lgkmcnt(0)
	s_cmp_ge_i32 s16, s29
	s_cbranch_scc1 .LBB448_20
; %bb.5:
	s_load_dwordx2 s[6:7], s[0:1], 0x20
	s_load_dword s5, s[0:1], 0x38
	s_add_i32 s14, s29, 15
	s_ashr_i32 s15, s14, 31
	v_and_b32_e32 v1, 0xcf, v0
	s_lshr_b32 s15, s15, 28
	v_add_u32_e32 v1, s16, v1
	s_add_i32 s14, s14, s15
	v_ashrrev_i32_e32 v2, 31, v1
	s_ashr_i32 s17, s14, 4
	v_lshrrev_b32_e32 v6, 28, v2
	s_add_i32 s17, s17, -1
	s_waitcnt lgkmcnt(0)
	s_mul_i32 s14, s2, s5
	s_mov_b32 s15, 0
	v_add_u32_e32 v2, v1, v6
	s_lshl_b64 s[14:15], s[14:15], 2
	v_ashrrev_i32_e32 v2, 4, v2
	v_mov_b32_e32 v7, s17
	v_cmp_gt_i32_e32 vcc, s29, v1
	s_add_u32 s6, s6, s14
	s_addc_u32 s7, s7, s15
	v_cndmask_b32_e32 v2, v7, v2, vcc
	v_ashrrev_i32_e32 v3, 31, v2
	v_lshl_add_u64 v[4:5], v[2:3], 2, s[6:7]
	v_or_b32_e32 v2, 16, v1
	v_add_u32_e32 v3, v2, v6
	v_ashrrev_i32_e32 v3, 4, v3
	v_cmp_gt_i32_e32 vcc, s29, v2
	s_load_dwordx2 s[14:15], s[0:1], 0x8
	s_nop 0
	v_cndmask_b32_e32 v2, v7, v3, vcc
	v_ashrrev_i32_e32 v3, 31, v2
	v_lshl_add_u64 v[8:9], v[2:3], 2, s[6:7]
	v_or_b32_e32 v2, 32, v1
	v_add_u32_e32 v3, v2, v6
	v_ashrrev_i32_e32 v3, 4, v3
	v_cmp_gt_i32_e32 vcc, s29, v2
	v_or_b32_e32 v1, 48, v1
	s_nop 0
	v_cndmask_b32_e32 v2, v7, v3, vcc
	v_ashrrev_i32_e32 v3, 31, v2
	v_lshl_add_u64 v[10:11], v[2:3], 2, s[6:7]
	v_add_u32_e32 v2, v1, v6
	v_ashrrev_i32_e32 v2, 4, v2
	v_cmp_gt_i32_e32 vcc, s29, v1
	s_nop 1
	v_cndmask_b32_e32 v2, v7, v2, vcc
	v_ashrrev_i32_e32 v3, 31, v2
	v_lshl_add_u64 v[12:13], v[2:3], 2, s[6:7]
	global_load_dword v3, v[4:5], off
	global_load_dword v2, v[8:9], off
	;; [unrolled: 1-line block ×4, first 2 shown]
	s_andn2_b64 vcc, exec, s[10:11]
	s_cbranch_vccnz .LBB448_8
; %bb.6:
	s_add_u32 s8, s8, s12
	s_addc_u32 s9, s9, s13
	s_load_dword s5, s[8:9], 0x0
	s_branch .LBB448_9
.LBB448_7:
	s_mov_b64 s[12:13], 0
	s_branch .LBB448_2
.LBB448_8:
	s_mov_b32 s5, s2
.LBB448_9:
	s_load_dwordx2 s[8:9], s[0:1], 0x10
	s_load_dwordx4 s[44:47], s[0:1], 0x48
	v_lshrrev_b32_e32 v45, 6, v0
	v_bfe_u32 v54, v0, 4, 2
	v_lshl_or_b32 v1, v45, 2, v54
	v_and_b32_e32 v44, 15, v0
	v_lshlrev_b32_e32 v4, 3, v44
	v_cmp_gt_u32_e32 vcc, 9, v1
	v_cmp_gt_u32_e64 s[30:31], 8, v44
	s_mul_i32 s42, s4, 9
	s_and_b64 s[12:13], s[30:31], vcc
	v_lshlrev_b32_e32 v42, 1, v4
	s_and_saveexec_b64 s[10:11], s[12:13]
	s_cbranch_execz .LBB448_11
; %bb.10:
	s_load_dwordx2 s[12:13], s[0:1], 0x0
	s_waitcnt lgkmcnt(0)
	s_ashr_i32 s18, s44, 31
	s_mul_hi_u32 s19, s5, s44
	s_mul_i32 s18, s5, s18
	s_add_i32 s19, s19, s18
	s_mul_i32 s18, s5, s44
	s_lshl_b64 s[18:19], s[18:19], 1
	s_add_u32 s12, s12, s18
	v_add_lshl_u32 v4, v1, s42, 6
	s_addc_u32 s13, s13, s19
	v_ashrrev_i32_e32 v5, 31, v4
	v_lshl_add_u64 v[4:5], v[4:5], 1, s[12:13]
	v_mov_b32_e32 v43, 0
	v_lshl_add_u64 v[4:5], v[4:5], 0, v[42:43]
	global_load_dwordx4 v[8:11], v[4:5], off
	v_and_b32_e32 v4, 3, v0
	v_lshlrev_b32_e32 v5, 9, v44
	v_lshlrev_b32_e32 v1, 5, v1
	;; [unrolled: 1-line block ×3, first 2 shown]
	v_and_b32_e32 v5, 0x1800, v5
	v_or3_b32 v1, v5, v4, v1
	s_waitcnt vmcnt(0)
	ds_write_b128 v1, v[8:11]
.LBB448_11:
	s_or_b64 exec, exec, s[10:11]
	s_waitcnt lgkmcnt(0)
	s_mul_i32 s4, s4, s46
	s_mov_b32 s5, 0
	s_lshl_b64 s[4:5], s[4:5], 1
	s_add_u32 s10, s14, s4
	v_lshlrev_b32_e32 v1, 4, v0
	s_addc_u32 s11, s15, s5
	v_and_b32_e32 v46, 0xf0, v1
	v_mov_b32_e32 v47, 0
	v_lshl_add_u64 v[16:17], s[10:11], 0, v[46:47]
	s_waitcnt vmcnt(3)
	v_mad_i64_i32 v[4:5], s[10:11], v3, s45, 0
	s_waitcnt vmcnt(2)
	v_mad_i64_i32 v[2:3], s[10:11], v2, s45, 0
	;; [unrolled: 2-line block ×3, first 2 shown]
	v_lshl_add_u64 v[4:5], v[4:5], 1, v[16:17]
	v_and_b32_e32 v46, 0x300, v1
	v_lshl_add_u64 v[2:3], v[2:3], 1, v[16:17]
	v_lshl_add_u64 v[6:7], v[6:7], 1, v[16:17]
	s_waitcnt vmcnt(0)
	v_mad_i64_i32 v[14:15], s[10:11], v14, s45, 0
	v_lshl_add_u64 v[4:5], v[4:5], 0, v[46:47]
	v_lshl_add_u64 v[8:9], v[2:3], 0, v[46:47]
	;; [unrolled: 1-line block ×4, first 2 shown]
	s_barrier
	global_load_dwordx4 v[30:33], v[4:5], off
	global_load_dwordx4 v[10:13], v[4:5], off offset:1024
	global_load_dwordx4 v[22:25], v[8:9], off
	s_nop 0
	global_load_dwordx4 v[2:5], v[8:9], off offset:1024
	global_load_dwordx4 v[26:29], v[18:19], off
	s_nop 0
	global_load_dwordx4 v[6:9], v[18:19], off offset:1024
	v_lshl_add_u64 v[18:19], v[14:15], 0, v[46:47]
	global_load_dwordx4 v[34:37], v[18:19], off
	global_load_dwordx4 v[14:17], v[18:19], off offset:1024
	v_add_u32_e32 v18, -9, v44
	v_cmp_gt_u32_e32 vcc, 9, v44
	v_and_b32_e32 v55, 63, v0
	v_mov_b32_e32 v56, 0
	v_cndmask_b32_e32 v18, v18, v44, vcc
	v_lshlrev_b32_e32 v18, 5, v18
	v_lshl_add_u32 v18, v54, 9, v18
	ds_read_b128 v[38:41], v18
	ds_read_b128 v[18:21], v18 offset:2048
	s_and_saveexec_b64 s[10:11], vcc
	s_cbranch_execz .LBB448_13
; %bb.12:
	s_load_dwordx2 s[12:13], s[0:1], 0x40
	v_add_u32_e32 v48, s42, v44
	v_ashrrev_i32_e32 v49, 31, v48
	s_waitcnt lgkmcnt(0)
	v_lshl_add_u64 v[48:49], v[48:49], 2, s[12:13]
	global_load_dword v56, v[48:49], off
.LBB448_13:
	s_or_b64 exec, exec, s[10:11]
	v_and_or_b32 v46, v0, 48, s16
	v_ashrrev_i32_e32 v43, 4, v46
	v_mov_b32_e32 v57, s17
	v_cmp_gt_i32_e32 vcc, s29, v46
	s_waitcnt vmcnt(5) lgkmcnt(1)
	v_mfma_f32_16x16x16_bf16 v[58:61], v[22:23], v[38:39], 0
	s_load_dword s10, s[0:1], 0x1c
	v_cndmask_b32_e32 v48, v57, v43, vcc
	v_ashrrev_i32_e32 v49, 31, v48
	v_or_b32_e32 v43, 64, v46
	v_lshl_add_u64 v[52:53], v[48:49], 2, s[6:7]
	v_mfma_f32_16x16x16_bf16 v[48:51], v[30:31], v[38:39], 0
	v_ashrrev_i32_e32 v30, 4, v43
	v_cmp_gt_i32_e32 vcc, s29, v43
	global_load_dword v70, v[52:53], off
	s_waitcnt vmcnt(4)
	v_mfma_f32_16x16x16_bf16 v[62:65], v[26:27], v[38:39], 0
	v_cndmask_b32_e32 v30, v57, v30, vcc
	v_ashrrev_i32_e32 v31, 31, v30
	v_lshl_add_u64 v[22:23], v[30:31], 2, s[6:7]
	global_load_dword v71, v[22:23], off
	v_mfma_f32_16x16x16_bf16 v[22:25], v[24:25], v[40:41], v[58:61]
	v_and_b32_e32 v26, 0xc0, v0
	s_add_u32 s4, s8, s4
	v_lshlrev_b32_e32 v43, 5, v44
	v_mfma_f32_16x16x16_bf16 v[30:33], v[32:33], v[40:41], v[48:51]
	s_addc_u32 s5, s9, s5
	s_mov_b32 s33, 0xff7fffff
	s_waitcnt vmcnt(3)
	v_mfma_f32_16x16x16_bf16 v[66:69], v[34:35], v[38:39], 0
	v_or_b32_e32 v38, 0x80, v46
	v_add_u32_e32 v48, s16, v26
	v_or_b32_e32 v39, 0xc0, v46
	v_mfma_f32_16x16x16_bf16 v[26:29], v[28:29], v[40:41], v[62:65]
	v_ashrrev_i32_e32 v49, 4, v38
	v_cmp_gt_i32_e32 vcc, s29, v38
	v_ashrrev_i32_e32 v50, 4, v39
	s_waitcnt lgkmcnt(0)
	v_mfma_f32_16x16x16_bf16 v[22:25], v[2:3], v[18:19], v[22:25]
	v_cndmask_b32_e32 v38, v57, v49, vcc
	v_cmp_gt_i32_e32 vcc, s29, v39
	v_ashrrev_i32_e32 v39, 31, v38
	v_mfma_f32_16x16x16_bf16 v[30:33], v[10:11], v[18:19], v[30:33]
	v_cndmask_b32_e32 v10, v57, v50, vcc
	v_ashrrev_i32_e32 v11, 31, v10
	v_lshl_or_b32 v58, v54, 2, v48
	v_mfma_f32_16x16x16_bf16 v[26:29], v[6:7], v[18:19], v[26:29]
	v_lshl_add_u64 v[6:7], v[38:39], 2, s[6:7]
	v_lshl_add_u64 v[38:39], v[10:11], 2, s[6:7]
	v_or_b32_e32 v57, 1, v58
	v_mfma_f32_16x16x16_bf16 v[2:5], v[4:5], v[20:21], v[22:25]
	s_nop 2
	global_load_dword v22, v[6:7], off
	global_load_dword v61, v[38:39], off
	v_subrev_u32_e32 v59, s29, v57
	v_cvt_f32_i32_e32 v60, v59
	v_mfma_f32_16x16x16_bf16 v[34:37], v[36:37], v[40:41], v[66:69]
	v_pk_mul_f32 v[48:49], s[10:11], v[4:5] op_sel_hi:[0,1]
	v_lshl_or_b32 v46, v45, 9, v43
	v_lshl_add_u64 v[46:47], s[4:5], 0, v[46:47]
	s_waitcnt vmcnt(4)
	v_mfma_f32_16x16x16_bf16 v[34:37], v[14:15], v[18:19], v[34:37]
	v_add_u32_e32 v14, 1, v59
	v_add_u32_e32 v15, 2, v59
	v_cvt_f32_i32_e32 v23, v14
	v_cvt_f32_i32_e32 v24, v15
	v_mfma_f32_16x16x16_bf16 v[14:17], v[16:17], v[20:21], v[34:37]
	v_add_u32_e32 v18, 3, v59
	v_cvt_f32_i32_e32 v18, v18
	v_pk_mul_f32 v[50:51], s[10:11], v[2:3] op_sel_hi:[0,1]
	v_mfma_f32_16x16x16_bf16 v[10:13], v[12:13], v[20:21], v[30:33]
	v_cmp_gt_i32_e64 s[34:35], s29, v57
	s_nop 1
	v_pk_mul_f32 v[36:37], s[10:11], v[14:15] op_sel_hi:[0,1]
	v_add_u32_e32 v15, 19, v59
	v_add_u32_e32 v31, 18, v59
	v_cvt_f32_i32_e32 v14, v31
	v_cvt_f32_i32_e32 v15, v15
	v_mfma_f32_16x16x16_bf16 v[6:9], v[8:9], v[20:21], v[26:29]
	v_pk_mul_f32 v[34:35], s[10:11], v[16:17] op_sel_hi:[0,1]
	v_fma_f32 v48, v56, v14, v48
	v_add_u32_e32 v14, 32, v59
	v_fmac_f32_e32 v49, v56, v15
	v_cvt_f32_i32_e32 v14, v14
	v_add_u32_e32 v15, 33, v59
	v_add_u32_e32 v16, 34, v59
	v_cvt_f32_i32_e32 v15, v15
	v_cvt_f32_i32_e32 v16, v16
	v_add_u32_e32 v17, 35, v59
	v_cvt_f32_i32_e32 v17, v17
	v_pk_mul_f32 v[40:41], s[10:11], v[6:7] op_sel_hi:[0,1]
	v_pk_mul_f32 v[38:39], s[10:11], v[8:9] op_sel_hi:[0,1]
	v_fma_f32 v40, v56, v14, v40
	v_add_u32_e32 v14, 48, v59
	v_fmac_f32_e32 v41, v56, v15
	v_fma_f32 v38, v56, v16, v38
	v_cvt_f32_i32_e32 v14, v14
	v_add_u32_e32 v15, 49, v59
	v_add_u32_e32 v16, 50, v59
	v_fmac_f32_e32 v39, v56, v17
	v_cvt_f32_i32_e32 v15, v15
	v_cvt_f32_i32_e32 v16, v16
	v_add_u32_e32 v17, 51, v59
	v_cvt_f32_i32_e32 v17, v17
	v_pk_mul_f32 v[52:53], s[10:11], v[12:13] op_sel_hi:[0,1]
	v_pk_mul_f32 v[10:11], s[10:11], v[10:11] op_sel_hi:[0,1]
	s_waitcnt vmcnt(3)
	v_mad_i64_i32 v[2:3], s[4:5], v70, s45, 0
	s_waitcnt vmcnt(2)
	v_mad_i64_i32 v[12:13], s[4:5], v71, s45, 0
	v_fma_f32 v10, v56, v60, v10
	v_fmac_f32_e32 v11, v56, v23
	v_fma_f32 v36, v56, v14, v36
	v_mov_b32_e32 v14, 0xff7fffff
	v_cmp_gt_i32_e64 s[4:5], s29, v58
	v_add_u32_e32 v19, 16, v59
	v_add_u32_e32 v30, 17, v59
	v_fmac_f32_e32 v37, v56, v15
	v_fma_f32 v34, v56, v16, v34
	v_cndmask_b32_e64 v15, v14, v10, s[4:5]
	v_cndmask_b32_e64 v16, v14, v11, s[34:35]
	v_cvt_f32_i32_e32 v19, v19
	v_cvt_f32_i32_e32 v25, v30
	v_fmac_f32_e32 v35, v56, v17
	v_max3_f32 v15, v15, s33, v16
	v_or_b32_e32 v16, 2, v58
	v_or_b32_e32 v17, 3, v58
	v_fma_f32 v52, v56, v24, v52
	v_fmac_f32_e32 v53, v56, v18
	v_cmp_gt_i32_e64 s[36:37], s29, v16
	v_cmp_gt_i32_e64 s[38:39], s29, v17
	v_fma_f32 v50, v56, v19, v50
	v_cndmask_b32_e64 v16, v14, v52, s[36:37]
	v_cndmask_b32_e64 v17, v14, v53, s[38:39]
	v_max3_f32 v15, v15, v16, v17
	v_or_b32_e32 v16, 16, v58
	v_or_b32_e32 v17, 17, v58
	v_fmac_f32_e32 v51, v56, v25
	v_cmp_gt_i32_e64 s[24:25], s29, v16
	v_cmp_gt_i32_e64 s[26:27], s29, v17
	v_lshl_add_u64 v[2:3], v[2:3], 1, v[46:47]
	v_cndmask_b32_e64 v16, v14, v50, s[24:25]
	v_cndmask_b32_e64 v17, v14, v51, s[26:27]
	v_max3_f32 v15, v15, v16, v17
	v_or_b32_e32 v16, 18, v58
	v_or_b32_e32 v17, 19, v58
	v_cmp_gt_i32_e64 s[20:21], s29, v16
	v_cmp_gt_i32_e64 s[22:23], s29, v17
	v_lshl_add_u64 v[12:13], v[12:13], 1, v[46:47]
	v_cndmask_b32_e64 v16, v14, v48, s[20:21]
	v_cndmask_b32_e64 v17, v14, v49, s[22:23]
	v_max3_f32 v15, v15, v16, v17
	v_or_b32_e32 v16, 32, v58
	v_or_b32_e32 v17, 33, v58
	v_cmp_gt_i32_e64 s[16:17], s29, v16
	v_cmp_gt_i32_e64 s[18:19], s29, v17
	global_load_dwordx4 v[6:9], v[2:3], off
	s_nop 0
	global_load_dwordx4 v[2:5], v[2:3], off offset:16
	v_cndmask_b32_e64 v16, v14, v40, s[16:17]
	v_cndmask_b32_e64 v17, v14, v41, s[18:19]
	v_max3_f32 v15, v15, v16, v17
	v_or_b32_e32 v16, 34, v58
	v_or_b32_e32 v17, 35, v58
	v_cmp_gt_i32_e64 s[12:13], s29, v16
	v_cmp_gt_i32_e64 s[14:15], s29, v17
	global_load_dwordx4 v[30:33], v[12:13], off
	global_load_dwordx4 v[26:29], v[12:13], off offset:16
	v_cndmask_b32_e64 v16, v14, v38, s[12:13]
	v_cndmask_b32_e64 v17, v14, v39, s[14:15]
	v_max3_f32 v15, v15, v16, v17
	v_or_b32_e32 v16, 48, v58
	v_or_b32_e32 v17, 49, v58
	v_cmp_gt_i32_e64 s[8:9], s29, v16
	v_cmp_gt_i32_e64 s[10:11], s29, v17
	s_nop 0
	v_cndmask_b32_e64 v16, v14, v36, s[8:9]
	v_cndmask_b32_e64 v17, v14, v37, s[10:11]
	v_max3_f32 v15, v15, v16, v17
	v_or_b32_e32 v16, 50, v58
	v_or_b32_e32 v17, 51, v58
	v_cmp_gt_i32_e32 vcc, s29, v16
	v_cmp_gt_i32_e64 s[6:7], s29, v17
	s_nop 0
	v_cndmask_b32_e32 v16, v14, v34, vcc
	v_cndmask_b32_e64 v14, v14, v35, s[6:7]
	v_max3_f32 v14, v15, v16, v14
	v_mbcnt_lo_u32_b32 v15, -1, 0
	v_mbcnt_hi_u32_b32 v15, -1, v15
	v_and_b32_e32 v16, 64, v15
	v_add_u32_e32 v16, 64, v16
	v_xor_b32_e32 v17, 32, v15
	v_cmp_lt_i32_e64 s[40:41], v17, v16
	s_nop 1
	v_cndmask_b32_e64 v17, v15, v17, s[40:41]
	v_lshlrev_b32_e32 v57, 2, v17
	ds_bpermute_b32 v17, v57, v14
	s_waitcnt vmcnt(5)
	v_mad_i64_i32 v[12:13], s[40:41], v22, s45, 0
	v_lshl_add_u64 v[12:13], v[12:13], 1, v[46:47]
	global_load_dwordx4 v[22:25], v[12:13], off
	global_load_dwordx4 v[18:21], v[12:13], off offset:16
	s_waitcnt lgkmcnt(0)
	v_max_f32_e32 v17, v17, v17
	v_max_f32_e32 v14, v14, v17
	v_xor_b32_e32 v17, 16, v15
	v_cmp_lt_i32_e64 s[40:41], v17, v16
	s_nop 1
	v_cndmask_b32_e64 v15, v15, v17, s[40:41]
	v_lshlrev_b32_e32 v59, 2, v15
	ds_bpermute_b32 v15, v59, v14
	s_waitcnt vmcnt(6)
	v_mad_i64_i32 v[12:13], s[40:41], v61, s45, 0
	v_lshl_add_u64 v[12:13], v[12:13], 1, v[46:47]
	s_waitcnt lgkmcnt(0)
	v_max_f32_e32 v15, v15, v15
	v_max_f32_e32 v56, v14, v15
	v_sub_f32_e32 v10, v10, v56
	v_mul_f32_e32 v10, 0x3fb8aa3b, v10
	v_exp_f32_e32 v46, v10
	v_sub_f32_e32 v10, v11, v56
	v_mul_f32_e32 v10, 0x3fb8aa3b, v10
	v_exp_f32_e32 v47, v10
	global_load_dwordx4 v[14:17], v[12:13], off
	s_nop 0
	global_load_dwordx4 v[10:13], v[12:13], off offset:16
	v_sub_f32_e32 v52, v52, v56
	v_mul_f32_e32 v52, 0x3fb8aa3b, v52
	v_sub_f32_e32 v53, v53, v56
	v_exp_f32_e32 v52, v52
	v_mul_f32_e32 v53, 0x3fb8aa3b, v53
	v_sub_f32_e32 v50, v50, v56
	v_exp_f32_e32 v53, v53
	v_mul_f32_e32 v50, 0x3fb8aa3b, v50
	v_sub_f32_e32 v51, v51, v56
	v_cndmask_b32_e64 v46, 0, v46, s[4:5]
	v_exp_f32_e32 v50, v50
	v_mul_f32_e32 v51, 0x3fb8aa3b, v51
	v_sub_f32_e32 v48, v48, v56
	v_add_f32_e32 v58, 0, v46
	v_cndmask_b32_e64 v47, 0, v47, s[34:35]
	v_exp_f32_e32 v51, v51
	v_mul_f32_e32 v48, 0x3fb8aa3b, v48
	v_sub_f32_e32 v49, v49, v56
	v_add_f32_e32 v58, v58, v47
	;; [unrolled: 5-line block ×10, first 2 shown]
	v_cndmask_b32_e64 v38, 0, v38, s[12:13]
	v_exp_f32_e32 v34, v34
	v_mul_f32_e32 v35, 0x3fb8aa3b, v35
	v_add_f32_e32 v58, v58, v38
	v_cndmask_b32_e64 v39, 0, v39, s[14:15]
	v_exp_f32_e32 v35, v35
	v_add_f32_e32 v58, v58, v39
	v_cndmask_b32_e64 v36, 0, v36, s[8:9]
	v_add_f32_e32 v58, v58, v36
	v_cndmask_b32_e64 v37, 0, v37, s[10:11]
	v_add_f32_e32 v58, v58, v37
	v_cndmask_b32_e32 v34, 0, v34, vcc
	v_add_f32_e32 v58, v58, v34
	v_cndmask_b32_e64 v35, 0, v35, s[6:7]
	v_add_f32_e32 v58, v58, v35
	ds_bpermute_b32 v57, v57, v58
	s_load_dword s9, s[0:1], 0x98
	v_cmp_gt_u32_e64 s[6:7], 16, v55
	s_waitcnt lgkmcnt(0)
	s_barrier
	v_add_f32_e32 v58, v58, v57
	ds_bpermute_b32 v59, v59, v58
	v_lshlrev_b32_e32 v57, 2, v44
	s_waitcnt lgkmcnt(0)
	s_and_saveexec_b64 s[4:5], s[6:7]
	s_cbranch_execz .LBB448_15
; %bb.14:
	v_add_f32_e32 v55, v58, v59
	v_lshl_or_b32 v58, v45, 6, v57
	ds_write2st64_b32 v58, v56, v55 offset1:1
.LBB448_15:
	s_or_b64 exec, exec, s[4:5]
	s_load_dword s8, s[0:1], 0x94
	s_waitcnt lgkmcnt(0)
	s_barrier
	ds_read2_b32 v[58:59], v57 offset1:16
	ds_read2_b32 v[60:61], v57 offset0:32 offset1:48
	ds_read2_b32 v[62:63], v57 offset0:64 offset1:80
	s_movk_i32 s10, 0x7fff
	s_mov_b32 s11, 0x7060302
	s_waitcnt lgkmcnt(2)
	v_max3_f32 v55, v58, s33, v59
	s_waitcnt lgkmcnt(1)
	v_max3_f32 v55, v55, v60, v61
	v_sub_f32_e32 v56, v58, v55
	v_mul_f32_e32 v56, 0x3fb8aa3b, v56
	v_exp_f32_e32 v64, v56
	v_sub_f32_e32 v56, v59, v55
	v_mul_f32_e32 v56, 0x3fb8aa3b, v56
	v_exp_f32_e32 v65, v56
	;; [unrolled: 3-line block ×3, first 2 shown]
	ds_read2_b32 v[58:59], v57 offset0:96 offset1:112
	v_sub_f32_e32 v56, v61, v55
	v_mul_f32_e32 v56, 0x3fb8aa3b, v56
	v_exp_f32_e32 v57, v56
	s_waitcnt lgkmcnt(1)
	v_fma_f32 v56, v64, v62, 0
	v_fmac_f32_e32 v56, v65, v63
	s_waitcnt lgkmcnt(0)
	v_fmac_f32_e32 v56, v60, v58
	v_fmac_f32_e32 v56, v57, v59
	v_add_f32_e32 v58, 0x358637bd, v56
	v_div_scale_f32 v59, s[4:5], v58, v58, 1.0
	v_rcp_f32_e32 v61, v59
	s_mul_i32 s9, s9, 9
	s_barrier
	v_fma_f32 v62, -v59, v61, 1.0
	v_fmac_f32_e32 v61, v62, v61
	v_div_scale_f32 v62, vcc, 1.0, v58, 1.0
	v_mul_f32_e32 v63, v62, v61
	v_fma_f32 v66, -v59, v63, v62
	v_fmac_f32_e32 v63, v66, v61
	v_fma_f32 v59, -v59, v63, v62
	v_div_fmas_f32 v59, v59, v61, v63
	v_cmp_eq_u32_e32 vcc, 1, v45
	v_div_fixup_f32 v58, v59, v58, 1.0
	s_nop 0
	v_cndmask_b32_e32 v59, v64, v65, vcc
	v_cmp_eq_u32_e32 vcc, 2, v45
	s_nop 1
	v_cndmask_b32_e32 v59, v59, v60, vcc
	v_cmp_eq_u32_e32 vcc, 3, v45
	v_lshlrev_b32_e32 v45, 11, v45
	s_nop 0
	v_cndmask_b32_e32 v57, v59, v57, vcc
	v_mul_f32_e32 v58, v57, v58
	v_pk_mul_f32 v[46:47], v[58:59], v[46:47] op_sel_hi:[0,1]
	v_pk_mul_f32 v[52:53], v[58:59], v[52:53] op_sel_hi:[0,1]
	v_bfe_u32 v57, v47, 16, 1
	v_bfe_u32 v59, v46, 16, 1
	v_add3_u32 v46, v46, v59, s10
	v_add3_u32 v47, v47, v57, s10
	v_perm_b32 v60, v47, v46, s11
	v_bfe_u32 v46, v53, 16, 1
	v_bfe_u32 v47, v52, 16, 1
	v_add3_u32 v47, v52, v47, s10
	v_add3_u32 v46, v53, v46, s10
	v_perm_b32 v61, v46, v47, s11
	v_lshlrev_b32_e32 v46, 3, v54
	v_pk_mul_f32 v[50:51], v[58:59], v[50:51] op_sel_hi:[0,1]
	v_or3_b32 v46, v45, v43, v46
	v_bfe_u32 v45, v51, 16, 1
	v_bfe_u32 v47, v50, 16, 1
	v_pk_mul_f32 v[48:49], v[58:59], v[48:49] op_sel_hi:[0,1]
	v_add3_u32 v47, v50, v47, s10
	v_add3_u32 v45, v51, v45, s10
	v_perm_b32 v50, v45, v47, s11
	v_bfe_u32 v45, v49, 16, 1
	v_bfe_u32 v47, v48, 16, 1
	v_add3_u32 v47, v48, v47, s10
	v_add3_u32 v45, v49, v45, s10
	v_pk_mul_f32 v[40:41], v[58:59], v[40:41] op_sel_hi:[0,1]
	v_perm_b32 v51, v45, v47, s11
	v_bfe_u32 v45, v41, 16, 1
	v_bfe_u32 v47, v40, 16, 1
	v_pk_mul_f32 v[38:39], v[58:59], v[38:39] op_sel_hi:[0,1]
	v_add3_u32 v40, v40, v47, s10
	v_add3_u32 v41, v41, v45, s10
	v_perm_b32 v40, v41, v40, s11
	v_bfe_u32 v41, v39, 16, 1
	v_bfe_u32 v45, v38, 16, 1
	v_add3_u32 v38, v38, v45, s10
	v_add3_u32 v39, v39, v41, s10
	v_pk_mul_f32 v[36:37], v[58:59], v[36:37] op_sel_hi:[0,1]
	v_perm_b32 v41, v39, v38, s11
	v_bfe_u32 v38, v37, 16, 1
	v_bfe_u32 v39, v36, 16, 1
	v_pk_mul_f32 v[34:35], v[58:59], v[34:35] op_sel_hi:[0,1]
	v_add3_u32 v36, v36, v39, s10
	v_add3_u32 v37, v37, v38, s10
	v_perm_b32 v36, v37, v36, s11
	v_bfe_u32 v37, v35, 16, 1
	v_bfe_u32 v38, v34, 16, 1
	v_add3_u32 v34, v34, v38, s10
	v_add3_u32 v35, v35, v37, s10
	v_perm_b32 v37, v35, v34, s11
	v_cmp_gt_u32_e32 vcc, 9, v0
	ds_write2st64_b64 v46, v[60:61], v[50:51] offset1:1
	ds_write2st64_b64 v46, v[40:41], v[36:37] offset0:2 offset1:3
	s_and_saveexec_b64 s[4:5], vcc
	s_cbranch_execz .LBB448_17
; %bb.16:
	s_mov_b32 s43, 0
	v_mov_b32_e32 v45, 0
	v_lshl_add_u64 v[34:35], s[42:43], 0, v[44:45]
	v_mov_b32_e32 v36, s9
	v_mad_u64_u32 v[34:35], s[16:17], s2, v36, v[34:35]
	s_mul_i32 s3, s3, s9
	v_mov_b32_e32 v44, s28
	s_load_dwordx4 s[12:15], s[0:1], 0x58
	v_add_u32_e32 v37, s3, v35
	v_mad_u64_u32 v[34:35], s[16:17], v34, s8, v[44:45]
	v_mov_b32_e32 v36, v35
	v_mad_u64_u32 v[36:37], s[16:17], v37, s8, v[36:37]
	v_mov_b32_e32 v35, v36
	v_lshlrev_b64 v[34:35], 2, v[34:35]
	s_waitcnt lgkmcnt(0)
	v_lshl_add_u64 v[36:37], s[14:15], 0, v[34:35]
	v_lshl_add_u64 v[34:35], s[12:13], 0, v[34:35]
	global_store_dword v[36:37], v55, off
	global_store_dword v[34:35], v56, off
.LBB448_17:
	s_or_b64 exec, exec, s[4:5]
	v_lshl_or_b32 v43, v54, 9, v43
	s_waitcnt lgkmcnt(0)
	s_barrier
	ds_read_b128 v[34:37], v43
	ds_read_b128 v[38:41], v43 offset:16
	s_waitcnt vmcnt(7) lgkmcnt(1)
	v_mfma_f32_16x16x16_bf16 v[48:51], v[6:7], v[34:35], 0
	v_cmp_gt_u32_e32 vcc, 64, v0
	s_mov_b32 s3, 0
	s_and_b64 s[4:5], vcc, s[30:31]
	v_mfma_f32_16x16x16_bf16 v[6:9], v[8:9], v[36:37], v[48:51]
	s_waitcnt vmcnt(6) lgkmcnt(0)
	v_mfma_f32_16x16x16_bf16 v[6:9], v[2:3], v[38:39], v[6:9]
	v_mfma_f32_16x16x16_bf16 v[2:5], v[4:5], v[40:41], v[6:9]
	s_nop 5
	ds_read_b128 v[6:9], v43 offset:2048
	ds_read_b128 v[34:37], v43 offset:2064
	s_waitcnt vmcnt(5) lgkmcnt(1)
	v_mfma_f32_16x16x16_bf16 v[2:5], v[30:31], v[6:7], v[2:5]
	v_mfma_f32_16x16x16_bf16 v[2:5], v[32:33], v[8:9], v[2:5]
	s_waitcnt vmcnt(4) lgkmcnt(0)
	v_mfma_f32_16x16x16_bf16 v[2:5], v[26:27], v[34:35], v[2:5]
	v_mfma_f32_16x16x16_bf16 v[2:5], v[28:29], v[36:37], v[2:5]
	ds_read_b128 v[6:9], v43 offset:4096
	ds_read_b128 v[26:29], v43 offset:4112
	s_waitcnt vmcnt(3) lgkmcnt(1)
	v_mfma_f32_16x16x16_bf16 v[2:5], v[22:23], v[6:7], v[2:5]
	v_mfma_f32_16x16x16_bf16 v[2:5], v[24:25], v[8:9], v[2:5]
	s_waitcnt vmcnt(2) lgkmcnt(0)
	v_mfma_f32_16x16x16_bf16 v[2:5], v[18:19], v[26:27], v[2:5]
	v_mfma_f32_16x16x16_bf16 v[2:5], v[20:21], v[28:29], v[2:5]
	ds_read_b128 v[6:9], v43 offset:6144
	ds_read_b128 v[18:21], v43 offset:6160
	v_mov_b32_e32 v43, 0
	s_waitcnt vmcnt(1) lgkmcnt(0)
	v_mfma_f32_16x16x16_bf16 v[2:5], v[14:15], v[6:7], v[2:5]
	s_barrier
	v_mfma_f32_16x16x16_bf16 v[2:5], v[16:17], v[8:9], v[2:5]
	s_waitcnt vmcnt(0)
	v_mfma_f32_16x16x16_bf16 v[2:5], v[10:11], v[18:19], v[2:5]
	v_mfma_f32_16x16x16_bf16 v[2:5], v[12:13], v[20:21], v[2:5]
	s_nop 6
	v_bfe_u32 v6, v3, 16, 1
	v_bfe_u32 v7, v2, 16, 1
	;; [unrolled: 1-line block ×4, first 2 shown]
	v_add3_u32 v2, v2, v7, s10
	v_add3_u32 v3, v3, v6, s10
	;; [unrolled: 1-line block ×4, first 2 shown]
	v_perm_b32 v2, v3, v2, s11
	v_perm_b32 v3, v5, v4, s11
	ds_write_b64 v46, v[2:3]
	s_waitcnt lgkmcnt(0)
	s_barrier
	s_and_saveexec_b64 s[10:11], s[4:5]
	s_cbranch_execz .LBB448_20
; %bb.18:
	s_load_dwordx2 s[4:5], s[0:1], 0x68
	s_lshl_b32 s0, s8, 6
	s_mul_i32 s1, s9, s2
	s_mul_hi_u32 s9, s1, s0
	s_mul_i32 s8, s1, s0
	v_lshlrev_b32_e32 v0, 10, v0
	s_lshl_b64 s[8:9], s[8:9], 1
	v_and_b32_e32 v0, 0x1800, v0
	v_lshlrev_b32_e32 v2, 5, v54
	v_and_b32_e32 v1, 16, v1
	s_waitcnt lgkmcnt(0)
	s_add_u32 s1, s4, s8
	v_or3_b32 v2, v0, v2, v1
	s_addc_u32 s4, s5, s9
	s_lshl_b32 s2, s28, 6
	s_lshl_b64 s[2:3], s[2:3], 1
	ds_read_b128 v[4:7], v2 offset:128
	ds_read_b128 v[8:11], v2
	s_add_u32 s2, s1, s2
	s_addc_u32 s3, s4, s3
	v_add_u32_e32 v3, s42, v54
	v_lshl_add_u64 v[0:1], s[2:3], 0, v[42:43]
	v_mad_u64_u32 v[12:13], s[2:3], v3, s0, 0
	v_lshl_add_u64 v[12:13], v[12:13], 1, v[0:1]
	v_add_u32_e32 v3, 4, v3
	s_waitcnt lgkmcnt(0)
	global_store_dwordx4 v[12:13], v[8:11], off
	s_nop 1
	v_mad_u64_u32 v[8:9], s[2:3], v3, s0, 0
	v_lshl_add_u64 v[8:9], v[8:9], 1, v[0:1]
	global_store_dwordx4 v[8:9], v[4:7], off
	s_and_b64 exec, exec, s[6:7]
	s_cbranch_execz .LBB448_20
; %bb.19:
	ds_read_b128 v[2:5], v2 offset:256
	v_add3_u32 v6, s42, v54, 8
	v_mad_u64_u32 v[6:7], s[0:1], v6, s0, 0
	v_lshl_add_u64 v[0:1], v[6:7], 1, v[0:1]
	s_waitcnt lgkmcnt(0)
	global_store_dwordx4 v[0:1], v[2:5], off
.LBB448_20:
	s_endpgm
	.section	.rodata,"a",@progbits
	.p2align	6, 0x0
	.amdhsa_kernel _Z39paged_attention_ll4mi_QKV_mfma16_kernelI14__hip_bfloat16S0_LN4vllm18Fp8KVCacheDataTypeE0ES0_Li16ELi64ELi256ELb1ELi9EEvPKT_PKT0_S8_ifPKiSA_SA_iPKfiiiPfSD_PS3_PT2_iSC_SC_
		.amdhsa_group_segment_fixed_size 8192
		.amdhsa_private_segment_fixed_size 0
		.amdhsa_kernarg_size 400
		.amdhsa_user_sgpr_count 2
		.amdhsa_user_sgpr_dispatch_ptr 0
		.amdhsa_user_sgpr_queue_ptr 0
		.amdhsa_user_sgpr_kernarg_segment_ptr 1
		.amdhsa_user_sgpr_dispatch_id 0
		.amdhsa_user_sgpr_kernarg_preload_length 0
		.amdhsa_user_sgpr_kernarg_preload_offset 0
		.amdhsa_user_sgpr_private_segment_size 0
		.amdhsa_uses_dynamic_stack 0
		.amdhsa_enable_private_segment 0
		.amdhsa_system_sgpr_workgroup_id_x 1
		.amdhsa_system_sgpr_workgroup_id_y 1
		.amdhsa_system_sgpr_workgroup_id_z 1
		.amdhsa_system_sgpr_workgroup_info 0
		.amdhsa_system_vgpr_workitem_id 0
		.amdhsa_next_free_vgpr 72
		.amdhsa_next_free_sgpr 48
		.amdhsa_accum_offset 72
		.amdhsa_reserve_vcc 1
		.amdhsa_float_round_mode_32 0
		.amdhsa_float_round_mode_16_64 0
		.amdhsa_float_denorm_mode_32 3
		.amdhsa_float_denorm_mode_16_64 3
		.amdhsa_dx10_clamp 1
		.amdhsa_ieee_mode 1
		.amdhsa_fp16_overflow 0
		.amdhsa_tg_split 0
		.amdhsa_exception_fp_ieee_invalid_op 0
		.amdhsa_exception_fp_denorm_src 0
		.amdhsa_exception_fp_ieee_div_zero 0
		.amdhsa_exception_fp_ieee_overflow 0
		.amdhsa_exception_fp_ieee_underflow 0
		.amdhsa_exception_fp_ieee_inexact 0
		.amdhsa_exception_int_div_zero 0
	.end_amdhsa_kernel
	.section	.text._Z39paged_attention_ll4mi_QKV_mfma16_kernelI14__hip_bfloat16S0_LN4vllm18Fp8KVCacheDataTypeE0ES0_Li16ELi64ELi256ELb1ELi9EEvPKT_PKT0_S8_ifPKiSA_SA_iPKfiiiPfSD_PS3_PT2_iSC_SC_,"axG",@progbits,_Z39paged_attention_ll4mi_QKV_mfma16_kernelI14__hip_bfloat16S0_LN4vllm18Fp8KVCacheDataTypeE0ES0_Li16ELi64ELi256ELb1ELi9EEvPKT_PKT0_S8_ifPKiSA_SA_iPKfiiiPfSD_PS3_PT2_iSC_SC_,comdat
.Lfunc_end448:
	.size	_Z39paged_attention_ll4mi_QKV_mfma16_kernelI14__hip_bfloat16S0_LN4vllm18Fp8KVCacheDataTypeE0ES0_Li16ELi64ELi256ELb1ELi9EEvPKT_PKT0_S8_ifPKiSA_SA_iPKfiiiPfSD_PS3_PT2_iSC_SC_, .Lfunc_end448-_Z39paged_attention_ll4mi_QKV_mfma16_kernelI14__hip_bfloat16S0_LN4vllm18Fp8KVCacheDataTypeE0ES0_Li16ELi64ELi256ELb1ELi9EEvPKT_PKT0_S8_ifPKiSA_SA_iPKfiiiPfSD_PS3_PT2_iSC_SC_
                                        ; -- End function
	.section	.AMDGPU.csdata,"",@progbits
; Kernel info:
; codeLenInByte = 4336
; NumSgprs: 54
; NumVgprs: 72
; NumAgprs: 0
; TotalNumVgprs: 72
; ScratchSize: 0
; MemoryBound: 0
; FloatMode: 240
; IeeeMode: 1
; LDSByteSize: 8192 bytes/workgroup (compile time only)
; SGPRBlocks: 6
; VGPRBlocks: 8
; NumSGPRsForWavesPerEU: 54
; NumVGPRsForWavesPerEU: 72
; AccumOffset: 72
; Occupancy: 7
; WaveLimiterHint : 1
; COMPUTE_PGM_RSRC2:SCRATCH_EN: 0
; COMPUTE_PGM_RSRC2:USER_SGPR: 2
; COMPUTE_PGM_RSRC2:TRAP_HANDLER: 0
; COMPUTE_PGM_RSRC2:TGID_X_EN: 1
; COMPUTE_PGM_RSRC2:TGID_Y_EN: 1
; COMPUTE_PGM_RSRC2:TGID_Z_EN: 1
; COMPUTE_PGM_RSRC2:TIDIG_COMP_CNT: 0
; COMPUTE_PGM_RSRC3_GFX90A:ACCUM_OFFSET: 17
; COMPUTE_PGM_RSRC3_GFX90A:TG_SPLIT: 0
	.section	.text._Z39paged_attention_ll4mi_QKV_mfma16_kernelI14__hip_bfloat16S0_LN4vllm18Fp8KVCacheDataTypeE0ES0_Li16ELi64ELi256ELb1ELi10EEvPKT_PKT0_S8_ifPKiSA_SA_iPKfiiiPfSD_PS3_PT2_iSC_SC_,"axG",@progbits,_Z39paged_attention_ll4mi_QKV_mfma16_kernelI14__hip_bfloat16S0_LN4vllm18Fp8KVCacheDataTypeE0ES0_Li16ELi64ELi256ELb1ELi10EEvPKT_PKT0_S8_ifPKiSA_SA_iPKfiiiPfSD_PS3_PT2_iSC_SC_,comdat
	.protected	_Z39paged_attention_ll4mi_QKV_mfma16_kernelI14__hip_bfloat16S0_LN4vllm18Fp8KVCacheDataTypeE0ES0_Li16ELi64ELi256ELb1ELi10EEvPKT_PKT0_S8_ifPKiSA_SA_iPKfiiiPfSD_PS3_PT2_iSC_SC_ ; -- Begin function _Z39paged_attention_ll4mi_QKV_mfma16_kernelI14__hip_bfloat16S0_LN4vllm18Fp8KVCacheDataTypeE0ES0_Li16ELi64ELi256ELb1ELi10EEvPKT_PKT0_S8_ifPKiSA_SA_iPKfiiiPfSD_PS3_PT2_iSC_SC_
	.globl	_Z39paged_attention_ll4mi_QKV_mfma16_kernelI14__hip_bfloat16S0_LN4vllm18Fp8KVCacheDataTypeE0ES0_Li16ELi64ELi256ELb1ELi10EEvPKT_PKT0_S8_ifPKiSA_SA_iPKfiiiPfSD_PS3_PT2_iSC_SC_
	.p2align	8
	.type	_Z39paged_attention_ll4mi_QKV_mfma16_kernelI14__hip_bfloat16S0_LN4vllm18Fp8KVCacheDataTypeE0ES0_Li16ELi64ELi256ELb1ELi10EEvPKT_PKT0_S8_ifPKiSA_SA_iPKfiiiPfSD_PS3_PT2_iSC_SC_,@function
_Z39paged_attention_ll4mi_QKV_mfma16_kernelI14__hip_bfloat16S0_LN4vllm18Fp8KVCacheDataTypeE0ES0_Li16ELi64ELi256ELb1ELi10EEvPKT_PKT0_S8_ifPKiSA_SA_iPKfiiiPfSD_PS3_PT2_iSC_SC_: ; @_Z39paged_attention_ll4mi_QKV_mfma16_kernelI14__hip_bfloat16S0_LN4vllm18Fp8KVCacheDataTypeE0ES0_Li16ELi64ELi256ELb1ELi10EEvPKT_PKT0_S8_ifPKiSA_SA_iPKfiiiPfSD_PS3_PT2_iSC_SC_
; %bb.0:
	s_load_dwordx2 s[8:9], s[0:1], 0x30
	s_mov_b32 s28, s3
	s_mov_b64 s[6:7], 0
	s_waitcnt lgkmcnt(0)
	s_cmp_lg_u64 s[8:9], 0
	s_cselect_b64 s[10:11], -1, 0
	s_and_b64 vcc, exec, s[10:11]
	s_cbranch_vccz .LBB449_7
; %bb.1:
	s_add_i32 s12, s2, 1
	s_mov_b32 s13, 0
	s_lshl_b64 s[14:15], s[12:13], 2
	s_add_u32 s14, s8, s14
	s_mov_b32 s3, s13
	s_addc_u32 s15, s9, s15
	s_lshl_b64 s[12:13], s[2:3], 2
	s_add_u32 s12, s8, s12
	s_addc_u32 s13, s9, s13
	s_load_dword s5, s[14:15], 0x0
	s_load_dword s16, s[12:13], 0x0
	s_waitcnt lgkmcnt(0)
	s_sub_i32 s5, s5, s16
	s_cmp_eq_u32 s5, 1
	s_cselect_b64 s[12:13], -1, 0
	s_andn2_b64 vcc, exec, s[6:7]
	s_cbranch_vccnz .LBB449_3
.LBB449_2:
	s_mov_b32 s3, 0
	s_mov_b64 s[12:13], -1
.LBB449_3:
	s_andn2_b64 vcc, exec, s[12:13]
	s_cbranch_vccnz .LBB449_20
; %bb.4:
	s_load_dwordx2 s[6:7], s[0:1], 0x28
	s_lshl_b64 s[12:13], s[2:3], 2
	s_waitcnt lgkmcnt(0)
	s_add_u32 s6, s6, s12
	s_addc_u32 s7, s7, s13
	s_load_dword s29, s[6:7], 0x0
	s_lshl_b32 s16, s28, 8
	s_waitcnt lgkmcnt(0)
	s_cmp_ge_i32 s16, s29
	s_cbranch_scc1 .LBB449_20
; %bb.5:
	s_load_dwordx2 s[6:7], s[0:1], 0x20
	s_load_dword s5, s[0:1], 0x38
	s_add_i32 s14, s29, 15
	s_ashr_i32 s15, s14, 31
	v_and_b32_e32 v1, 0xcf, v0
	s_lshr_b32 s15, s15, 28
	v_add_u32_e32 v1, s16, v1
	s_add_i32 s14, s14, s15
	v_ashrrev_i32_e32 v2, 31, v1
	s_ashr_i32 s17, s14, 4
	v_lshrrev_b32_e32 v6, 28, v2
	s_add_i32 s17, s17, -1
	s_waitcnt lgkmcnt(0)
	s_mul_i32 s14, s2, s5
	s_mov_b32 s15, 0
	v_add_u32_e32 v2, v1, v6
	s_lshl_b64 s[14:15], s[14:15], 2
	v_ashrrev_i32_e32 v2, 4, v2
	v_mov_b32_e32 v7, s17
	v_cmp_gt_i32_e32 vcc, s29, v1
	s_add_u32 s6, s6, s14
	s_addc_u32 s7, s7, s15
	v_cndmask_b32_e32 v2, v7, v2, vcc
	v_ashrrev_i32_e32 v3, 31, v2
	v_lshl_add_u64 v[4:5], v[2:3], 2, s[6:7]
	v_or_b32_e32 v2, 16, v1
	v_add_u32_e32 v3, v2, v6
	v_ashrrev_i32_e32 v3, 4, v3
	v_cmp_gt_i32_e32 vcc, s29, v2
	s_load_dwordx2 s[14:15], s[0:1], 0x8
	s_nop 0
	v_cndmask_b32_e32 v2, v7, v3, vcc
	v_ashrrev_i32_e32 v3, 31, v2
	v_lshl_add_u64 v[8:9], v[2:3], 2, s[6:7]
	v_or_b32_e32 v2, 32, v1
	v_add_u32_e32 v3, v2, v6
	v_ashrrev_i32_e32 v3, 4, v3
	v_cmp_gt_i32_e32 vcc, s29, v2
	v_or_b32_e32 v1, 48, v1
	s_nop 0
	v_cndmask_b32_e32 v2, v7, v3, vcc
	v_ashrrev_i32_e32 v3, 31, v2
	v_lshl_add_u64 v[10:11], v[2:3], 2, s[6:7]
	v_add_u32_e32 v2, v1, v6
	v_ashrrev_i32_e32 v2, 4, v2
	v_cmp_gt_i32_e32 vcc, s29, v1
	s_nop 1
	v_cndmask_b32_e32 v2, v7, v2, vcc
	v_ashrrev_i32_e32 v3, 31, v2
	v_lshl_add_u64 v[12:13], v[2:3], 2, s[6:7]
	global_load_dword v3, v[4:5], off
	global_load_dword v2, v[8:9], off
	;; [unrolled: 1-line block ×4, first 2 shown]
	s_andn2_b64 vcc, exec, s[10:11]
	s_cbranch_vccnz .LBB449_8
; %bb.6:
	s_add_u32 s8, s8, s12
	s_addc_u32 s9, s9, s13
	s_load_dword s5, s[8:9], 0x0
	s_branch .LBB449_9
.LBB449_7:
	s_mov_b64 s[12:13], 0
	s_branch .LBB449_2
.LBB449_8:
	s_mov_b32 s5, s2
.LBB449_9:
	s_load_dwordx2 s[8:9], s[0:1], 0x10
	s_load_dwordx4 s[44:47], s[0:1], 0x48
	v_lshrrev_b32_e32 v45, 6, v0
	v_bfe_u32 v54, v0, 4, 2
	v_lshl_or_b32 v1, v45, 2, v54
	v_and_b32_e32 v44, 15, v0
	v_lshlrev_b32_e32 v4, 3, v44
	v_cmp_gt_u32_e32 vcc, 10, v1
	v_cmp_gt_u32_e64 s[30:31], 8, v44
	s_mul_i32 s42, s4, 10
	s_and_b64 s[12:13], s[30:31], vcc
	v_lshlrev_b32_e32 v42, 1, v4
	s_and_saveexec_b64 s[10:11], s[12:13]
	s_cbranch_execz .LBB449_11
; %bb.10:
	s_load_dwordx2 s[12:13], s[0:1], 0x0
	s_waitcnt lgkmcnt(0)
	s_ashr_i32 s18, s44, 31
	s_mul_hi_u32 s19, s5, s44
	s_mul_i32 s18, s5, s18
	s_add_i32 s19, s19, s18
	s_mul_i32 s18, s5, s44
	s_lshl_b64 s[18:19], s[18:19], 1
	s_add_u32 s12, s12, s18
	v_add_lshl_u32 v4, v1, s42, 6
	s_addc_u32 s13, s13, s19
	v_ashrrev_i32_e32 v5, 31, v4
	v_lshl_add_u64 v[4:5], v[4:5], 1, s[12:13]
	v_mov_b32_e32 v43, 0
	v_lshl_add_u64 v[4:5], v[4:5], 0, v[42:43]
	global_load_dwordx4 v[8:11], v[4:5], off
	v_and_b32_e32 v4, 3, v0
	v_lshlrev_b32_e32 v5, 9, v44
	v_lshlrev_b32_e32 v1, 5, v1
	;; [unrolled: 1-line block ×3, first 2 shown]
	v_and_b32_e32 v5, 0x1800, v5
	v_or3_b32 v1, v5, v4, v1
	s_waitcnt vmcnt(0)
	ds_write_b128 v1, v[8:11]
.LBB449_11:
	s_or_b64 exec, exec, s[10:11]
	s_waitcnt lgkmcnt(0)
	s_mul_i32 s4, s4, s46
	s_mov_b32 s5, 0
	s_lshl_b64 s[4:5], s[4:5], 1
	s_add_u32 s10, s14, s4
	v_lshlrev_b32_e32 v1, 4, v0
	s_addc_u32 s11, s15, s5
	v_and_b32_e32 v46, 0xf0, v1
	v_mov_b32_e32 v47, 0
	v_lshl_add_u64 v[16:17], s[10:11], 0, v[46:47]
	s_waitcnt vmcnt(3)
	v_mad_i64_i32 v[4:5], s[10:11], v3, s45, 0
	s_waitcnt vmcnt(2)
	v_mad_i64_i32 v[2:3], s[10:11], v2, s45, 0
	;; [unrolled: 2-line block ×3, first 2 shown]
	v_lshl_add_u64 v[4:5], v[4:5], 1, v[16:17]
	v_and_b32_e32 v46, 0x300, v1
	v_lshl_add_u64 v[2:3], v[2:3], 1, v[16:17]
	v_lshl_add_u64 v[6:7], v[6:7], 1, v[16:17]
	s_waitcnt vmcnt(0)
	v_mad_i64_i32 v[14:15], s[10:11], v14, s45, 0
	v_lshl_add_u64 v[4:5], v[4:5], 0, v[46:47]
	v_lshl_add_u64 v[8:9], v[2:3], 0, v[46:47]
	;; [unrolled: 1-line block ×4, first 2 shown]
	s_barrier
	global_load_dwordx4 v[30:33], v[4:5], off
	global_load_dwordx4 v[10:13], v[4:5], off offset:1024
	global_load_dwordx4 v[22:25], v[8:9], off
	s_nop 0
	global_load_dwordx4 v[2:5], v[8:9], off offset:1024
	global_load_dwordx4 v[26:29], v[18:19], off
	s_nop 0
	global_load_dwordx4 v[6:9], v[18:19], off offset:1024
	v_lshl_add_u64 v[18:19], v[14:15], 0, v[46:47]
	global_load_dwordx4 v[34:37], v[18:19], off
	global_load_dwordx4 v[14:17], v[18:19], off offset:1024
	v_add_u32_e32 v18, -10, v44
	v_cmp_gt_u32_e32 vcc, 10, v44
	v_and_b32_e32 v55, 63, v0
	v_mov_b32_e32 v56, 0
	v_cndmask_b32_e32 v18, v18, v44, vcc
	v_lshlrev_b32_e32 v18, 5, v18
	v_lshl_add_u32 v18, v54, 9, v18
	ds_read_b128 v[38:41], v18
	ds_read_b128 v[18:21], v18 offset:2048
	s_and_saveexec_b64 s[10:11], vcc
	s_cbranch_execz .LBB449_13
; %bb.12:
	s_load_dwordx2 s[12:13], s[0:1], 0x40
	v_add_u32_e32 v48, s42, v44
	v_ashrrev_i32_e32 v49, 31, v48
	s_waitcnt lgkmcnt(0)
	v_lshl_add_u64 v[48:49], v[48:49], 2, s[12:13]
	global_load_dword v56, v[48:49], off
.LBB449_13:
	s_or_b64 exec, exec, s[10:11]
	v_and_or_b32 v46, v0, 48, s16
	v_ashrrev_i32_e32 v43, 4, v46
	v_mov_b32_e32 v57, s17
	v_cmp_gt_i32_e32 vcc, s29, v46
	s_waitcnt vmcnt(5) lgkmcnt(1)
	v_mfma_f32_16x16x16_bf16 v[58:61], v[22:23], v[38:39], 0
	s_load_dword s10, s[0:1], 0x1c
	v_cndmask_b32_e32 v48, v57, v43, vcc
	v_ashrrev_i32_e32 v49, 31, v48
	v_or_b32_e32 v43, 64, v46
	v_lshl_add_u64 v[52:53], v[48:49], 2, s[6:7]
	v_mfma_f32_16x16x16_bf16 v[48:51], v[30:31], v[38:39], 0
	v_ashrrev_i32_e32 v30, 4, v43
	v_cmp_gt_i32_e32 vcc, s29, v43
	global_load_dword v70, v[52:53], off
	s_waitcnt vmcnt(4)
	v_mfma_f32_16x16x16_bf16 v[62:65], v[26:27], v[38:39], 0
	v_cndmask_b32_e32 v30, v57, v30, vcc
	v_ashrrev_i32_e32 v31, 31, v30
	v_lshl_add_u64 v[22:23], v[30:31], 2, s[6:7]
	global_load_dword v71, v[22:23], off
	v_mfma_f32_16x16x16_bf16 v[22:25], v[24:25], v[40:41], v[58:61]
	v_and_b32_e32 v26, 0xc0, v0
	s_add_u32 s4, s8, s4
	v_lshlrev_b32_e32 v43, 5, v44
	v_mfma_f32_16x16x16_bf16 v[30:33], v[32:33], v[40:41], v[48:51]
	s_addc_u32 s5, s9, s5
	s_mov_b32 s33, 0xff7fffff
	s_waitcnt vmcnt(3)
	v_mfma_f32_16x16x16_bf16 v[66:69], v[34:35], v[38:39], 0
	v_or_b32_e32 v38, 0x80, v46
	v_add_u32_e32 v48, s16, v26
	v_or_b32_e32 v39, 0xc0, v46
	v_mfma_f32_16x16x16_bf16 v[26:29], v[28:29], v[40:41], v[62:65]
	v_ashrrev_i32_e32 v49, 4, v38
	v_cmp_gt_i32_e32 vcc, s29, v38
	v_ashrrev_i32_e32 v50, 4, v39
	s_waitcnt lgkmcnt(0)
	v_mfma_f32_16x16x16_bf16 v[22:25], v[2:3], v[18:19], v[22:25]
	v_cndmask_b32_e32 v38, v57, v49, vcc
	v_cmp_gt_i32_e32 vcc, s29, v39
	v_ashrrev_i32_e32 v39, 31, v38
	v_mfma_f32_16x16x16_bf16 v[30:33], v[10:11], v[18:19], v[30:33]
	v_cndmask_b32_e32 v10, v57, v50, vcc
	v_ashrrev_i32_e32 v11, 31, v10
	v_lshl_or_b32 v58, v54, 2, v48
	v_mfma_f32_16x16x16_bf16 v[26:29], v[6:7], v[18:19], v[26:29]
	v_lshl_add_u64 v[6:7], v[38:39], 2, s[6:7]
	v_lshl_add_u64 v[38:39], v[10:11], 2, s[6:7]
	v_or_b32_e32 v57, 1, v58
	v_mfma_f32_16x16x16_bf16 v[2:5], v[4:5], v[20:21], v[22:25]
	s_nop 2
	global_load_dword v22, v[6:7], off
	global_load_dword v61, v[38:39], off
	v_subrev_u32_e32 v59, s29, v57
	v_cvt_f32_i32_e32 v60, v59
	v_mfma_f32_16x16x16_bf16 v[34:37], v[36:37], v[40:41], v[66:69]
	v_pk_mul_f32 v[48:49], s[10:11], v[4:5] op_sel_hi:[0,1]
	v_lshl_or_b32 v46, v45, 9, v43
	v_lshl_add_u64 v[46:47], s[4:5], 0, v[46:47]
	s_waitcnt vmcnt(4)
	v_mfma_f32_16x16x16_bf16 v[34:37], v[14:15], v[18:19], v[34:37]
	v_add_u32_e32 v14, 1, v59
	v_add_u32_e32 v15, 2, v59
	v_cvt_f32_i32_e32 v23, v14
	v_cvt_f32_i32_e32 v24, v15
	v_mfma_f32_16x16x16_bf16 v[14:17], v[16:17], v[20:21], v[34:37]
	v_add_u32_e32 v18, 3, v59
	v_cvt_f32_i32_e32 v18, v18
	v_pk_mul_f32 v[50:51], s[10:11], v[2:3] op_sel_hi:[0,1]
	v_mfma_f32_16x16x16_bf16 v[10:13], v[12:13], v[20:21], v[30:33]
	v_cmp_gt_i32_e64 s[34:35], s29, v57
	s_nop 1
	v_pk_mul_f32 v[36:37], s[10:11], v[14:15] op_sel_hi:[0,1]
	v_add_u32_e32 v15, 19, v59
	v_add_u32_e32 v31, 18, v59
	v_cvt_f32_i32_e32 v14, v31
	v_cvt_f32_i32_e32 v15, v15
	v_mfma_f32_16x16x16_bf16 v[6:9], v[8:9], v[20:21], v[26:29]
	v_pk_mul_f32 v[34:35], s[10:11], v[16:17] op_sel_hi:[0,1]
	v_fma_f32 v48, v56, v14, v48
	v_add_u32_e32 v14, 32, v59
	v_fmac_f32_e32 v49, v56, v15
	v_cvt_f32_i32_e32 v14, v14
	v_add_u32_e32 v15, 33, v59
	v_add_u32_e32 v16, 34, v59
	v_cvt_f32_i32_e32 v15, v15
	v_cvt_f32_i32_e32 v16, v16
	v_add_u32_e32 v17, 35, v59
	v_cvt_f32_i32_e32 v17, v17
	v_pk_mul_f32 v[40:41], s[10:11], v[6:7] op_sel_hi:[0,1]
	v_pk_mul_f32 v[38:39], s[10:11], v[8:9] op_sel_hi:[0,1]
	v_fma_f32 v40, v56, v14, v40
	v_add_u32_e32 v14, 48, v59
	v_fmac_f32_e32 v41, v56, v15
	v_fma_f32 v38, v56, v16, v38
	v_cvt_f32_i32_e32 v14, v14
	v_add_u32_e32 v15, 49, v59
	v_add_u32_e32 v16, 50, v59
	v_fmac_f32_e32 v39, v56, v17
	v_cvt_f32_i32_e32 v15, v15
	v_cvt_f32_i32_e32 v16, v16
	v_add_u32_e32 v17, 51, v59
	v_cvt_f32_i32_e32 v17, v17
	v_pk_mul_f32 v[52:53], s[10:11], v[12:13] op_sel_hi:[0,1]
	v_pk_mul_f32 v[10:11], s[10:11], v[10:11] op_sel_hi:[0,1]
	s_waitcnt vmcnt(3)
	v_mad_i64_i32 v[2:3], s[4:5], v70, s45, 0
	s_waitcnt vmcnt(2)
	v_mad_i64_i32 v[12:13], s[4:5], v71, s45, 0
	v_fma_f32 v10, v56, v60, v10
	v_fmac_f32_e32 v11, v56, v23
	v_fma_f32 v36, v56, v14, v36
	v_mov_b32_e32 v14, 0xff7fffff
	v_cmp_gt_i32_e64 s[4:5], s29, v58
	v_add_u32_e32 v19, 16, v59
	v_add_u32_e32 v30, 17, v59
	v_fmac_f32_e32 v37, v56, v15
	v_fma_f32 v34, v56, v16, v34
	v_cndmask_b32_e64 v15, v14, v10, s[4:5]
	v_cndmask_b32_e64 v16, v14, v11, s[34:35]
	v_cvt_f32_i32_e32 v19, v19
	v_cvt_f32_i32_e32 v25, v30
	v_fmac_f32_e32 v35, v56, v17
	v_max3_f32 v15, v15, s33, v16
	v_or_b32_e32 v16, 2, v58
	v_or_b32_e32 v17, 3, v58
	v_fma_f32 v52, v56, v24, v52
	v_fmac_f32_e32 v53, v56, v18
	v_cmp_gt_i32_e64 s[36:37], s29, v16
	v_cmp_gt_i32_e64 s[38:39], s29, v17
	v_fma_f32 v50, v56, v19, v50
	v_cndmask_b32_e64 v16, v14, v52, s[36:37]
	v_cndmask_b32_e64 v17, v14, v53, s[38:39]
	v_max3_f32 v15, v15, v16, v17
	v_or_b32_e32 v16, 16, v58
	v_or_b32_e32 v17, 17, v58
	v_fmac_f32_e32 v51, v56, v25
	v_cmp_gt_i32_e64 s[24:25], s29, v16
	v_cmp_gt_i32_e64 s[26:27], s29, v17
	v_lshl_add_u64 v[2:3], v[2:3], 1, v[46:47]
	v_cndmask_b32_e64 v16, v14, v50, s[24:25]
	v_cndmask_b32_e64 v17, v14, v51, s[26:27]
	v_max3_f32 v15, v15, v16, v17
	v_or_b32_e32 v16, 18, v58
	v_or_b32_e32 v17, 19, v58
	v_cmp_gt_i32_e64 s[20:21], s29, v16
	v_cmp_gt_i32_e64 s[22:23], s29, v17
	v_lshl_add_u64 v[12:13], v[12:13], 1, v[46:47]
	v_cndmask_b32_e64 v16, v14, v48, s[20:21]
	v_cndmask_b32_e64 v17, v14, v49, s[22:23]
	v_max3_f32 v15, v15, v16, v17
	v_or_b32_e32 v16, 32, v58
	v_or_b32_e32 v17, 33, v58
	v_cmp_gt_i32_e64 s[16:17], s29, v16
	v_cmp_gt_i32_e64 s[18:19], s29, v17
	global_load_dwordx4 v[6:9], v[2:3], off
	s_nop 0
	global_load_dwordx4 v[2:5], v[2:3], off offset:16
	v_cndmask_b32_e64 v16, v14, v40, s[16:17]
	v_cndmask_b32_e64 v17, v14, v41, s[18:19]
	v_max3_f32 v15, v15, v16, v17
	v_or_b32_e32 v16, 34, v58
	v_or_b32_e32 v17, 35, v58
	v_cmp_gt_i32_e64 s[12:13], s29, v16
	v_cmp_gt_i32_e64 s[14:15], s29, v17
	global_load_dwordx4 v[30:33], v[12:13], off
	global_load_dwordx4 v[26:29], v[12:13], off offset:16
	v_cndmask_b32_e64 v16, v14, v38, s[12:13]
	v_cndmask_b32_e64 v17, v14, v39, s[14:15]
	v_max3_f32 v15, v15, v16, v17
	v_or_b32_e32 v16, 48, v58
	v_or_b32_e32 v17, 49, v58
	v_cmp_gt_i32_e64 s[8:9], s29, v16
	v_cmp_gt_i32_e64 s[10:11], s29, v17
	s_nop 0
	v_cndmask_b32_e64 v16, v14, v36, s[8:9]
	v_cndmask_b32_e64 v17, v14, v37, s[10:11]
	v_max3_f32 v15, v15, v16, v17
	v_or_b32_e32 v16, 50, v58
	v_or_b32_e32 v17, 51, v58
	v_cmp_gt_i32_e32 vcc, s29, v16
	v_cmp_gt_i32_e64 s[6:7], s29, v17
	s_nop 0
	v_cndmask_b32_e32 v16, v14, v34, vcc
	v_cndmask_b32_e64 v14, v14, v35, s[6:7]
	v_max3_f32 v14, v15, v16, v14
	v_mbcnt_lo_u32_b32 v15, -1, 0
	v_mbcnt_hi_u32_b32 v15, -1, v15
	v_and_b32_e32 v16, 64, v15
	v_add_u32_e32 v16, 64, v16
	v_xor_b32_e32 v17, 32, v15
	v_cmp_lt_i32_e64 s[40:41], v17, v16
	s_nop 1
	v_cndmask_b32_e64 v17, v15, v17, s[40:41]
	v_lshlrev_b32_e32 v57, 2, v17
	ds_bpermute_b32 v17, v57, v14
	s_waitcnt vmcnt(5)
	v_mad_i64_i32 v[12:13], s[40:41], v22, s45, 0
	v_lshl_add_u64 v[12:13], v[12:13], 1, v[46:47]
	global_load_dwordx4 v[22:25], v[12:13], off
	global_load_dwordx4 v[18:21], v[12:13], off offset:16
	s_waitcnt lgkmcnt(0)
	v_max_f32_e32 v17, v17, v17
	v_max_f32_e32 v14, v14, v17
	v_xor_b32_e32 v17, 16, v15
	v_cmp_lt_i32_e64 s[40:41], v17, v16
	s_nop 1
	v_cndmask_b32_e64 v15, v15, v17, s[40:41]
	v_lshlrev_b32_e32 v59, 2, v15
	ds_bpermute_b32 v15, v59, v14
	s_waitcnt vmcnt(6)
	v_mad_i64_i32 v[12:13], s[40:41], v61, s45, 0
	v_lshl_add_u64 v[12:13], v[12:13], 1, v[46:47]
	s_waitcnt lgkmcnt(0)
	v_max_f32_e32 v15, v15, v15
	v_max_f32_e32 v56, v14, v15
	v_sub_f32_e32 v10, v10, v56
	v_mul_f32_e32 v10, 0x3fb8aa3b, v10
	v_exp_f32_e32 v46, v10
	v_sub_f32_e32 v10, v11, v56
	v_mul_f32_e32 v10, 0x3fb8aa3b, v10
	v_exp_f32_e32 v47, v10
	global_load_dwordx4 v[14:17], v[12:13], off
	s_nop 0
	global_load_dwordx4 v[10:13], v[12:13], off offset:16
	v_sub_f32_e32 v52, v52, v56
	v_mul_f32_e32 v52, 0x3fb8aa3b, v52
	v_sub_f32_e32 v53, v53, v56
	v_exp_f32_e32 v52, v52
	v_mul_f32_e32 v53, 0x3fb8aa3b, v53
	v_sub_f32_e32 v50, v50, v56
	v_exp_f32_e32 v53, v53
	v_mul_f32_e32 v50, 0x3fb8aa3b, v50
	v_sub_f32_e32 v51, v51, v56
	v_cndmask_b32_e64 v46, 0, v46, s[4:5]
	v_exp_f32_e32 v50, v50
	v_mul_f32_e32 v51, 0x3fb8aa3b, v51
	v_sub_f32_e32 v48, v48, v56
	v_add_f32_e32 v58, 0, v46
	v_cndmask_b32_e64 v47, 0, v47, s[34:35]
	v_exp_f32_e32 v51, v51
	v_mul_f32_e32 v48, 0x3fb8aa3b, v48
	v_sub_f32_e32 v49, v49, v56
	v_add_f32_e32 v58, v58, v47
	;; [unrolled: 5-line block ×10, first 2 shown]
	v_cndmask_b32_e64 v38, 0, v38, s[12:13]
	v_exp_f32_e32 v34, v34
	v_mul_f32_e32 v35, 0x3fb8aa3b, v35
	v_add_f32_e32 v58, v58, v38
	v_cndmask_b32_e64 v39, 0, v39, s[14:15]
	v_exp_f32_e32 v35, v35
	v_add_f32_e32 v58, v58, v39
	v_cndmask_b32_e64 v36, 0, v36, s[8:9]
	v_add_f32_e32 v58, v58, v36
	v_cndmask_b32_e64 v37, 0, v37, s[10:11]
	v_add_f32_e32 v58, v58, v37
	v_cndmask_b32_e32 v34, 0, v34, vcc
	v_add_f32_e32 v58, v58, v34
	v_cndmask_b32_e64 v35, 0, v35, s[6:7]
	v_add_f32_e32 v58, v58, v35
	ds_bpermute_b32 v57, v57, v58
	s_load_dword s7, s[0:1], 0x98
	v_cmp_gt_u32_e32 vcc, 16, v55
	s_waitcnt lgkmcnt(0)
	s_barrier
	v_add_f32_e32 v58, v58, v57
	ds_bpermute_b32 v59, v59, v58
	v_lshlrev_b32_e32 v57, 2, v44
	s_waitcnt lgkmcnt(0)
	s_and_saveexec_b64 s[4:5], vcc
	s_cbranch_execz .LBB449_15
; %bb.14:
	v_add_f32_e32 v55, v58, v59
	v_lshl_or_b32 v58, v45, 6, v57
	ds_write2st64_b32 v58, v56, v55 offset1:1
.LBB449_15:
	s_or_b64 exec, exec, s[4:5]
	s_load_dword s6, s[0:1], 0x94
	s_waitcnt lgkmcnt(0)
	s_barrier
	ds_read2_b32 v[58:59], v57 offset1:16
	ds_read2_b32 v[60:61], v57 offset0:32 offset1:48
	ds_read2_b32 v[62:63], v57 offset0:64 offset1:80
	s_movk_i32 s8, 0x7fff
	s_mov_b32 s9, 0x7060302
	s_waitcnt lgkmcnt(2)
	v_max3_f32 v55, v58, s33, v59
	s_waitcnt lgkmcnt(1)
	v_max3_f32 v55, v55, v60, v61
	v_sub_f32_e32 v56, v58, v55
	v_mul_f32_e32 v56, 0x3fb8aa3b, v56
	v_exp_f32_e32 v64, v56
	v_sub_f32_e32 v56, v59, v55
	v_mul_f32_e32 v56, 0x3fb8aa3b, v56
	v_exp_f32_e32 v65, v56
	;; [unrolled: 3-line block ×3, first 2 shown]
	ds_read2_b32 v[58:59], v57 offset0:96 offset1:112
	v_sub_f32_e32 v56, v61, v55
	v_mul_f32_e32 v56, 0x3fb8aa3b, v56
	v_exp_f32_e32 v57, v56
	s_waitcnt lgkmcnt(1)
	v_fma_f32 v56, v64, v62, 0
	v_fmac_f32_e32 v56, v65, v63
	s_waitcnt lgkmcnt(0)
	v_fmac_f32_e32 v56, v60, v58
	v_fmac_f32_e32 v56, v57, v59
	v_add_f32_e32 v58, 0x358637bd, v56
	v_div_scale_f32 v59, s[4:5], v58, v58, 1.0
	v_rcp_f32_e32 v61, v59
	s_mul_i32 s7, s7, 10
	s_barrier
	v_fma_f32 v62, -v59, v61, 1.0
	v_fmac_f32_e32 v61, v62, v61
	v_div_scale_f32 v62, vcc, 1.0, v58, 1.0
	v_mul_f32_e32 v63, v62, v61
	v_fma_f32 v66, -v59, v63, v62
	v_fmac_f32_e32 v63, v66, v61
	v_fma_f32 v59, -v59, v63, v62
	v_div_fmas_f32 v59, v59, v61, v63
	v_cmp_eq_u32_e32 vcc, 1, v45
	v_div_fixup_f32 v58, v59, v58, 1.0
	s_nop 0
	v_cndmask_b32_e32 v59, v64, v65, vcc
	v_cmp_eq_u32_e32 vcc, 2, v45
	s_nop 1
	v_cndmask_b32_e32 v59, v59, v60, vcc
	v_cmp_eq_u32_e32 vcc, 3, v45
	v_lshlrev_b32_e32 v45, 11, v45
	s_nop 0
	v_cndmask_b32_e32 v57, v59, v57, vcc
	v_mul_f32_e32 v58, v57, v58
	v_pk_mul_f32 v[46:47], v[58:59], v[46:47] op_sel_hi:[0,1]
	v_pk_mul_f32 v[52:53], v[58:59], v[52:53] op_sel_hi:[0,1]
	v_bfe_u32 v57, v47, 16, 1
	v_bfe_u32 v59, v46, 16, 1
	v_add3_u32 v46, v46, v59, s8
	v_add3_u32 v47, v47, v57, s8
	v_perm_b32 v60, v47, v46, s9
	v_bfe_u32 v46, v53, 16, 1
	v_bfe_u32 v47, v52, 16, 1
	v_add3_u32 v47, v52, v47, s8
	v_add3_u32 v46, v53, v46, s8
	v_perm_b32 v61, v46, v47, s9
	v_lshlrev_b32_e32 v46, 3, v54
	v_pk_mul_f32 v[50:51], v[58:59], v[50:51] op_sel_hi:[0,1]
	v_or3_b32 v46, v45, v43, v46
	v_bfe_u32 v45, v51, 16, 1
	v_bfe_u32 v47, v50, 16, 1
	v_pk_mul_f32 v[48:49], v[58:59], v[48:49] op_sel_hi:[0,1]
	v_add3_u32 v47, v50, v47, s8
	v_add3_u32 v45, v51, v45, s8
	v_perm_b32 v50, v45, v47, s9
	v_bfe_u32 v45, v49, 16, 1
	v_bfe_u32 v47, v48, 16, 1
	v_add3_u32 v47, v48, v47, s8
	v_add3_u32 v45, v49, v45, s8
	v_pk_mul_f32 v[40:41], v[58:59], v[40:41] op_sel_hi:[0,1]
	v_perm_b32 v51, v45, v47, s9
	v_bfe_u32 v45, v41, 16, 1
	v_bfe_u32 v47, v40, 16, 1
	v_pk_mul_f32 v[38:39], v[58:59], v[38:39] op_sel_hi:[0,1]
	v_add3_u32 v40, v40, v47, s8
	v_add3_u32 v41, v41, v45, s8
	v_perm_b32 v40, v41, v40, s9
	v_bfe_u32 v41, v39, 16, 1
	v_bfe_u32 v45, v38, 16, 1
	v_add3_u32 v38, v38, v45, s8
	v_add3_u32 v39, v39, v41, s8
	v_pk_mul_f32 v[36:37], v[58:59], v[36:37] op_sel_hi:[0,1]
	v_perm_b32 v41, v39, v38, s9
	v_bfe_u32 v38, v37, 16, 1
	v_bfe_u32 v39, v36, 16, 1
	v_pk_mul_f32 v[34:35], v[58:59], v[34:35] op_sel_hi:[0,1]
	v_add3_u32 v36, v36, v39, s8
	v_add3_u32 v37, v37, v38, s8
	v_perm_b32 v36, v37, v36, s9
	v_bfe_u32 v37, v35, 16, 1
	v_bfe_u32 v38, v34, 16, 1
	v_add3_u32 v34, v34, v38, s8
	v_add3_u32 v35, v35, v37, s8
	v_perm_b32 v37, v35, v34, s9
	v_cmp_gt_u32_e32 vcc, 10, v0
	ds_write2st64_b64 v46, v[60:61], v[50:51] offset1:1
	ds_write2st64_b64 v46, v[40:41], v[36:37] offset0:2 offset1:3
	s_and_saveexec_b64 s[4:5], vcc
	s_cbranch_execz .LBB449_17
; %bb.16:
	s_mov_b32 s43, 0
	v_mov_b32_e32 v45, 0
	v_lshl_add_u64 v[34:35], s[42:43], 0, v[44:45]
	v_mov_b32_e32 v36, s7
	v_mad_u64_u32 v[34:35], s[10:11], s2, v36, v[34:35]
	s_mul_i32 s3, s3, s7
	v_mov_b32_e32 v44, s28
	s_load_dwordx4 s[12:15], s[0:1], 0x58
	v_add_u32_e32 v37, s3, v35
	v_mad_u64_u32 v[34:35], s[10:11], v34, s6, v[44:45]
	v_mov_b32_e32 v36, v35
	v_mad_u64_u32 v[36:37], s[10:11], v37, s6, v[36:37]
	v_mov_b32_e32 v35, v36
	v_lshlrev_b64 v[34:35], 2, v[34:35]
	s_waitcnt lgkmcnt(0)
	v_lshl_add_u64 v[36:37], s[14:15], 0, v[34:35]
	v_lshl_add_u64 v[34:35], s[12:13], 0, v[34:35]
	global_store_dword v[36:37], v55, off
	global_store_dword v[34:35], v56, off
.LBB449_17:
	s_or_b64 exec, exec, s[4:5]
	v_lshl_or_b32 v43, v54, 9, v43
	s_waitcnt lgkmcnt(0)
	s_barrier
	ds_read_b128 v[34:37], v43
	ds_read_b128 v[38:41], v43 offset:16
	s_waitcnt vmcnt(7) lgkmcnt(1)
	v_mfma_f32_16x16x16_bf16 v[48:51], v[6:7], v[34:35], 0
	v_cmp_gt_u32_e32 vcc, 64, v0
	s_mov_b32 s3, 0
	s_and_b64 s[4:5], vcc, s[30:31]
	v_mfma_f32_16x16x16_bf16 v[6:9], v[8:9], v[36:37], v[48:51]
	s_waitcnt vmcnt(6) lgkmcnt(0)
	v_mfma_f32_16x16x16_bf16 v[6:9], v[2:3], v[38:39], v[6:9]
	v_mfma_f32_16x16x16_bf16 v[2:5], v[4:5], v[40:41], v[6:9]
	s_nop 5
	ds_read_b128 v[6:9], v43 offset:2048
	ds_read_b128 v[34:37], v43 offset:2064
	s_waitcnt vmcnt(5) lgkmcnt(1)
	v_mfma_f32_16x16x16_bf16 v[2:5], v[30:31], v[6:7], v[2:5]
	v_mfma_f32_16x16x16_bf16 v[2:5], v[32:33], v[8:9], v[2:5]
	s_waitcnt vmcnt(4) lgkmcnt(0)
	v_mfma_f32_16x16x16_bf16 v[2:5], v[26:27], v[34:35], v[2:5]
	v_mfma_f32_16x16x16_bf16 v[2:5], v[28:29], v[36:37], v[2:5]
	ds_read_b128 v[6:9], v43 offset:4096
	ds_read_b128 v[26:29], v43 offset:4112
	s_waitcnt vmcnt(3) lgkmcnt(1)
	v_mfma_f32_16x16x16_bf16 v[2:5], v[22:23], v[6:7], v[2:5]
	v_mfma_f32_16x16x16_bf16 v[2:5], v[24:25], v[8:9], v[2:5]
	s_waitcnt vmcnt(2) lgkmcnt(0)
	v_mfma_f32_16x16x16_bf16 v[2:5], v[18:19], v[26:27], v[2:5]
	v_mfma_f32_16x16x16_bf16 v[2:5], v[20:21], v[28:29], v[2:5]
	ds_read_b128 v[6:9], v43 offset:6144
	ds_read_b128 v[18:21], v43 offset:6160
	v_mov_b32_e32 v43, 0
	s_waitcnt vmcnt(1) lgkmcnt(0)
	v_mfma_f32_16x16x16_bf16 v[2:5], v[14:15], v[6:7], v[2:5]
	s_barrier
	v_mfma_f32_16x16x16_bf16 v[2:5], v[16:17], v[8:9], v[2:5]
	s_waitcnt vmcnt(0)
	v_mfma_f32_16x16x16_bf16 v[2:5], v[10:11], v[18:19], v[2:5]
	v_mfma_f32_16x16x16_bf16 v[2:5], v[12:13], v[20:21], v[2:5]
	s_nop 6
	v_bfe_u32 v6, v3, 16, 1
	v_bfe_u32 v7, v2, 16, 1
	;; [unrolled: 1-line block ×4, first 2 shown]
	v_add3_u32 v2, v2, v7, s8
	v_add3_u32 v3, v3, v6, s8
	;; [unrolled: 1-line block ×4, first 2 shown]
	v_perm_b32 v2, v3, v2, s9
	v_perm_b32 v3, v5, v4, s9
	ds_write_b64 v46, v[2:3]
	s_waitcnt lgkmcnt(0)
	s_barrier
	s_and_saveexec_b64 s[8:9], s[4:5]
	s_cbranch_execz .LBB449_20
; %bb.18:
	s_load_dwordx2 s[4:5], s[0:1], 0x68
	s_lshl_b32 s0, s6, 6
	s_mul_i32 s1, s7, s2
	s_mul_hi_u32 s7, s1, s0
	s_mul_i32 s6, s1, s0
	v_lshlrev_b32_e32 v0, 10, v0
	s_lshl_b64 s[6:7], s[6:7], 1
	v_and_b32_e32 v0, 0x1800, v0
	v_lshlrev_b32_e32 v2, 5, v54
	v_and_b32_e32 v1, 16, v1
	s_waitcnt lgkmcnt(0)
	s_add_u32 s1, s4, s6
	v_or3_b32 v2, v0, v2, v1
	s_addc_u32 s4, s5, s7
	s_lshl_b32 s2, s28, 6
	s_lshl_b64 s[2:3], s[2:3], 1
	ds_read_b128 v[4:7], v2 offset:128
	ds_read_b128 v[8:11], v2
	s_add_u32 s2, s1, s2
	s_addc_u32 s3, s4, s3
	v_add_u32_e32 v14, s42, v54
	v_lshl_add_u64 v[0:1], s[2:3], 0, v[42:43]
	v_mad_u64_u32 v[12:13], s[2:3], v14, s0, 0
	v_lshl_add_u64 v[12:13], v[12:13], 1, v[0:1]
	s_waitcnt lgkmcnt(0)
	global_store_dwordx4 v[12:13], v[8:11], off
	v_or_b32_e32 v3, 8, v54
	v_cmp_gt_u32_e32 vcc, 10, v3
	v_add_u32_e32 v8, 4, v14
	v_mad_u64_u32 v[8:9], s[2:3], v8, s0, 0
	v_lshl_add_u64 v[8:9], v[8:9], 1, v[0:1]
	global_store_dwordx4 v[8:9], v[4:7], off
	s_and_b64 exec, exec, vcc
	s_cbranch_execz .LBB449_20
; %bb.19:
	ds_read_b128 v[4:7], v2 offset:256
	v_add_u32_e32 v2, s42, v3
	v_mad_u64_u32 v[2:3], s[0:1], v2, s0, 0
	v_lshl_add_u64 v[0:1], v[2:3], 1, v[0:1]
	s_waitcnt lgkmcnt(0)
	global_store_dwordx4 v[0:1], v[4:7], off
.LBB449_20:
	s_endpgm
	.section	.rodata,"a",@progbits
	.p2align	6, 0x0
	.amdhsa_kernel _Z39paged_attention_ll4mi_QKV_mfma16_kernelI14__hip_bfloat16S0_LN4vllm18Fp8KVCacheDataTypeE0ES0_Li16ELi64ELi256ELb1ELi10EEvPKT_PKT0_S8_ifPKiSA_SA_iPKfiiiPfSD_PS3_PT2_iSC_SC_
		.amdhsa_group_segment_fixed_size 8192
		.amdhsa_private_segment_fixed_size 0
		.amdhsa_kernarg_size 400
		.amdhsa_user_sgpr_count 2
		.amdhsa_user_sgpr_dispatch_ptr 0
		.amdhsa_user_sgpr_queue_ptr 0
		.amdhsa_user_sgpr_kernarg_segment_ptr 1
		.amdhsa_user_sgpr_dispatch_id 0
		.amdhsa_user_sgpr_kernarg_preload_length 0
		.amdhsa_user_sgpr_kernarg_preload_offset 0
		.amdhsa_user_sgpr_private_segment_size 0
		.amdhsa_uses_dynamic_stack 0
		.amdhsa_enable_private_segment 0
		.amdhsa_system_sgpr_workgroup_id_x 1
		.amdhsa_system_sgpr_workgroup_id_y 1
		.amdhsa_system_sgpr_workgroup_id_z 1
		.amdhsa_system_sgpr_workgroup_info 0
		.amdhsa_system_vgpr_workitem_id 0
		.amdhsa_next_free_vgpr 72
		.amdhsa_next_free_sgpr 48
		.amdhsa_accum_offset 72
		.amdhsa_reserve_vcc 1
		.amdhsa_float_round_mode_32 0
		.amdhsa_float_round_mode_16_64 0
		.amdhsa_float_denorm_mode_32 3
		.amdhsa_float_denorm_mode_16_64 3
		.amdhsa_dx10_clamp 1
		.amdhsa_ieee_mode 1
		.amdhsa_fp16_overflow 0
		.amdhsa_tg_split 0
		.amdhsa_exception_fp_ieee_invalid_op 0
		.amdhsa_exception_fp_denorm_src 0
		.amdhsa_exception_fp_ieee_div_zero 0
		.amdhsa_exception_fp_ieee_overflow 0
		.amdhsa_exception_fp_ieee_underflow 0
		.amdhsa_exception_fp_ieee_inexact 0
		.amdhsa_exception_int_div_zero 0
	.end_amdhsa_kernel
	.section	.text._Z39paged_attention_ll4mi_QKV_mfma16_kernelI14__hip_bfloat16S0_LN4vllm18Fp8KVCacheDataTypeE0ES0_Li16ELi64ELi256ELb1ELi10EEvPKT_PKT0_S8_ifPKiSA_SA_iPKfiiiPfSD_PS3_PT2_iSC_SC_,"axG",@progbits,_Z39paged_attention_ll4mi_QKV_mfma16_kernelI14__hip_bfloat16S0_LN4vllm18Fp8KVCacheDataTypeE0ES0_Li16ELi64ELi256ELb1ELi10EEvPKT_PKT0_S8_ifPKiSA_SA_iPKfiiiPfSD_PS3_PT2_iSC_SC_,comdat
.Lfunc_end449:
	.size	_Z39paged_attention_ll4mi_QKV_mfma16_kernelI14__hip_bfloat16S0_LN4vllm18Fp8KVCacheDataTypeE0ES0_Li16ELi64ELi256ELb1ELi10EEvPKT_PKT0_S8_ifPKiSA_SA_iPKfiiiPfSD_PS3_PT2_iSC_SC_, .Lfunc_end449-_Z39paged_attention_ll4mi_QKV_mfma16_kernelI14__hip_bfloat16S0_LN4vllm18Fp8KVCacheDataTypeE0ES0_Li16ELi64ELi256ELb1ELi10EEvPKT_PKT0_S8_ifPKiSA_SA_iPKfiiiPfSD_PS3_PT2_iSC_SC_
                                        ; -- End function
	.section	.AMDGPU.csdata,"",@progbits
; Kernel info:
; codeLenInByte = 4332
; NumSgprs: 54
; NumVgprs: 72
; NumAgprs: 0
; TotalNumVgprs: 72
; ScratchSize: 0
; MemoryBound: 0
; FloatMode: 240
; IeeeMode: 1
; LDSByteSize: 8192 bytes/workgroup (compile time only)
; SGPRBlocks: 6
; VGPRBlocks: 8
; NumSGPRsForWavesPerEU: 54
; NumVGPRsForWavesPerEU: 72
; AccumOffset: 72
; Occupancy: 7
; WaveLimiterHint : 1
; COMPUTE_PGM_RSRC2:SCRATCH_EN: 0
; COMPUTE_PGM_RSRC2:USER_SGPR: 2
; COMPUTE_PGM_RSRC2:TRAP_HANDLER: 0
; COMPUTE_PGM_RSRC2:TGID_X_EN: 1
; COMPUTE_PGM_RSRC2:TGID_Y_EN: 1
; COMPUTE_PGM_RSRC2:TGID_Z_EN: 1
; COMPUTE_PGM_RSRC2:TIDIG_COMP_CNT: 0
; COMPUTE_PGM_RSRC3_GFX90A:ACCUM_OFFSET: 17
; COMPUTE_PGM_RSRC3_GFX90A:TG_SPLIT: 0
	.section	.text._Z39paged_attention_ll4mi_QKV_mfma16_kernelI14__hip_bfloat16S0_LN4vllm18Fp8KVCacheDataTypeE0ES0_Li16ELi64ELi256ELb1ELi11EEvPKT_PKT0_S8_ifPKiSA_SA_iPKfiiiPfSD_PS3_PT2_iSC_SC_,"axG",@progbits,_Z39paged_attention_ll4mi_QKV_mfma16_kernelI14__hip_bfloat16S0_LN4vllm18Fp8KVCacheDataTypeE0ES0_Li16ELi64ELi256ELb1ELi11EEvPKT_PKT0_S8_ifPKiSA_SA_iPKfiiiPfSD_PS3_PT2_iSC_SC_,comdat
	.protected	_Z39paged_attention_ll4mi_QKV_mfma16_kernelI14__hip_bfloat16S0_LN4vllm18Fp8KVCacheDataTypeE0ES0_Li16ELi64ELi256ELb1ELi11EEvPKT_PKT0_S8_ifPKiSA_SA_iPKfiiiPfSD_PS3_PT2_iSC_SC_ ; -- Begin function _Z39paged_attention_ll4mi_QKV_mfma16_kernelI14__hip_bfloat16S0_LN4vllm18Fp8KVCacheDataTypeE0ES0_Li16ELi64ELi256ELb1ELi11EEvPKT_PKT0_S8_ifPKiSA_SA_iPKfiiiPfSD_PS3_PT2_iSC_SC_
	.globl	_Z39paged_attention_ll4mi_QKV_mfma16_kernelI14__hip_bfloat16S0_LN4vllm18Fp8KVCacheDataTypeE0ES0_Li16ELi64ELi256ELb1ELi11EEvPKT_PKT0_S8_ifPKiSA_SA_iPKfiiiPfSD_PS3_PT2_iSC_SC_
	.p2align	8
	.type	_Z39paged_attention_ll4mi_QKV_mfma16_kernelI14__hip_bfloat16S0_LN4vllm18Fp8KVCacheDataTypeE0ES0_Li16ELi64ELi256ELb1ELi11EEvPKT_PKT0_S8_ifPKiSA_SA_iPKfiiiPfSD_PS3_PT2_iSC_SC_,@function
_Z39paged_attention_ll4mi_QKV_mfma16_kernelI14__hip_bfloat16S0_LN4vllm18Fp8KVCacheDataTypeE0ES0_Li16ELi64ELi256ELb1ELi11EEvPKT_PKT0_S8_ifPKiSA_SA_iPKfiiiPfSD_PS3_PT2_iSC_SC_: ; @_Z39paged_attention_ll4mi_QKV_mfma16_kernelI14__hip_bfloat16S0_LN4vllm18Fp8KVCacheDataTypeE0ES0_Li16ELi64ELi256ELb1ELi11EEvPKT_PKT0_S8_ifPKiSA_SA_iPKfiiiPfSD_PS3_PT2_iSC_SC_
; %bb.0:
	s_load_dwordx2 s[8:9], s[0:1], 0x30
	s_mov_b32 s28, s3
	s_mov_b64 s[6:7], 0
	s_waitcnt lgkmcnt(0)
	s_cmp_lg_u64 s[8:9], 0
	s_cselect_b64 s[10:11], -1, 0
	s_and_b64 vcc, exec, s[10:11]
	s_cbranch_vccz .LBB450_7
; %bb.1:
	s_add_i32 s12, s2, 1
	s_mov_b32 s13, 0
	s_lshl_b64 s[14:15], s[12:13], 2
	s_add_u32 s14, s8, s14
	s_mov_b32 s3, s13
	s_addc_u32 s15, s9, s15
	s_lshl_b64 s[12:13], s[2:3], 2
	s_add_u32 s12, s8, s12
	s_addc_u32 s13, s9, s13
	s_load_dword s5, s[14:15], 0x0
	s_load_dword s16, s[12:13], 0x0
	s_waitcnt lgkmcnt(0)
	s_sub_i32 s5, s5, s16
	s_cmp_eq_u32 s5, 1
	s_cselect_b64 s[12:13], -1, 0
	s_andn2_b64 vcc, exec, s[6:7]
	s_cbranch_vccnz .LBB450_3
.LBB450_2:
	s_mov_b32 s3, 0
	s_mov_b64 s[12:13], -1
.LBB450_3:
	s_andn2_b64 vcc, exec, s[12:13]
	s_cbranch_vccnz .LBB450_20
; %bb.4:
	s_load_dwordx2 s[6:7], s[0:1], 0x28
	s_lshl_b64 s[12:13], s[2:3], 2
	s_waitcnt lgkmcnt(0)
	s_add_u32 s6, s6, s12
	s_addc_u32 s7, s7, s13
	s_load_dword s29, s[6:7], 0x0
	s_lshl_b32 s16, s28, 8
	s_waitcnt lgkmcnt(0)
	s_cmp_ge_i32 s16, s29
	s_cbranch_scc1 .LBB450_20
; %bb.5:
	s_load_dwordx2 s[6:7], s[0:1], 0x20
	s_load_dword s5, s[0:1], 0x38
	s_add_i32 s14, s29, 15
	s_ashr_i32 s15, s14, 31
	v_and_b32_e32 v1, 0xcf, v0
	s_lshr_b32 s15, s15, 28
	v_add_u32_e32 v1, s16, v1
	s_add_i32 s14, s14, s15
	v_ashrrev_i32_e32 v2, 31, v1
	s_ashr_i32 s17, s14, 4
	v_lshrrev_b32_e32 v6, 28, v2
	s_add_i32 s17, s17, -1
	s_waitcnt lgkmcnt(0)
	s_mul_i32 s14, s2, s5
	s_mov_b32 s15, 0
	v_add_u32_e32 v2, v1, v6
	s_lshl_b64 s[14:15], s[14:15], 2
	v_ashrrev_i32_e32 v2, 4, v2
	v_mov_b32_e32 v7, s17
	v_cmp_gt_i32_e32 vcc, s29, v1
	s_add_u32 s6, s6, s14
	s_addc_u32 s7, s7, s15
	v_cndmask_b32_e32 v2, v7, v2, vcc
	v_ashrrev_i32_e32 v3, 31, v2
	v_lshl_add_u64 v[4:5], v[2:3], 2, s[6:7]
	v_or_b32_e32 v2, 16, v1
	v_add_u32_e32 v3, v2, v6
	v_ashrrev_i32_e32 v3, 4, v3
	v_cmp_gt_i32_e32 vcc, s29, v2
	s_load_dwordx2 s[14:15], s[0:1], 0x8
	s_nop 0
	v_cndmask_b32_e32 v2, v7, v3, vcc
	v_ashrrev_i32_e32 v3, 31, v2
	v_lshl_add_u64 v[8:9], v[2:3], 2, s[6:7]
	v_or_b32_e32 v2, 32, v1
	v_add_u32_e32 v3, v2, v6
	v_ashrrev_i32_e32 v3, 4, v3
	v_cmp_gt_i32_e32 vcc, s29, v2
	v_or_b32_e32 v1, 48, v1
	s_nop 0
	v_cndmask_b32_e32 v2, v7, v3, vcc
	v_ashrrev_i32_e32 v3, 31, v2
	v_lshl_add_u64 v[10:11], v[2:3], 2, s[6:7]
	v_add_u32_e32 v2, v1, v6
	v_ashrrev_i32_e32 v2, 4, v2
	v_cmp_gt_i32_e32 vcc, s29, v1
	s_nop 1
	v_cndmask_b32_e32 v2, v7, v2, vcc
	v_ashrrev_i32_e32 v3, 31, v2
	v_lshl_add_u64 v[12:13], v[2:3], 2, s[6:7]
	global_load_dword v3, v[4:5], off
	global_load_dword v2, v[8:9], off
	;; [unrolled: 1-line block ×4, first 2 shown]
	s_andn2_b64 vcc, exec, s[10:11]
	s_cbranch_vccnz .LBB450_8
; %bb.6:
	s_add_u32 s8, s8, s12
	s_addc_u32 s9, s9, s13
	s_load_dword s5, s[8:9], 0x0
	s_branch .LBB450_9
.LBB450_7:
	s_mov_b64 s[12:13], 0
	s_branch .LBB450_2
.LBB450_8:
	s_mov_b32 s5, s2
.LBB450_9:
	s_load_dwordx2 s[8:9], s[0:1], 0x10
	s_load_dwordx4 s[44:47], s[0:1], 0x48
	v_lshrrev_b32_e32 v45, 6, v0
	v_bfe_u32 v54, v0, 4, 2
	v_lshl_or_b32 v1, v45, 2, v54
	v_and_b32_e32 v44, 15, v0
	v_lshlrev_b32_e32 v4, 3, v44
	v_cmp_gt_u32_e32 vcc, 11, v1
	v_cmp_gt_u32_e64 s[30:31], 8, v44
	s_mul_i32 s42, s4, 11
	s_and_b64 s[12:13], s[30:31], vcc
	v_lshlrev_b32_e32 v42, 1, v4
	s_and_saveexec_b64 s[10:11], s[12:13]
	s_cbranch_execz .LBB450_11
; %bb.10:
	s_load_dwordx2 s[12:13], s[0:1], 0x0
	s_waitcnt lgkmcnt(0)
	s_ashr_i32 s18, s44, 31
	s_mul_hi_u32 s19, s5, s44
	s_mul_i32 s18, s5, s18
	s_add_i32 s19, s19, s18
	s_mul_i32 s18, s5, s44
	s_lshl_b64 s[18:19], s[18:19], 1
	s_add_u32 s12, s12, s18
	v_add_lshl_u32 v4, v1, s42, 6
	s_addc_u32 s13, s13, s19
	v_ashrrev_i32_e32 v5, 31, v4
	v_lshl_add_u64 v[4:5], v[4:5], 1, s[12:13]
	v_mov_b32_e32 v43, 0
	v_lshl_add_u64 v[4:5], v[4:5], 0, v[42:43]
	global_load_dwordx4 v[8:11], v[4:5], off
	v_and_b32_e32 v4, 3, v0
	v_lshlrev_b32_e32 v5, 9, v44
	v_lshlrev_b32_e32 v1, 5, v1
	;; [unrolled: 1-line block ×3, first 2 shown]
	v_and_b32_e32 v5, 0x1800, v5
	v_or3_b32 v1, v5, v4, v1
	s_waitcnt vmcnt(0)
	ds_write_b128 v1, v[8:11]
.LBB450_11:
	s_or_b64 exec, exec, s[10:11]
	s_waitcnt lgkmcnt(0)
	s_mul_i32 s4, s4, s46
	s_mov_b32 s5, 0
	s_lshl_b64 s[4:5], s[4:5], 1
	s_add_u32 s10, s14, s4
	v_lshlrev_b32_e32 v1, 4, v0
	s_addc_u32 s11, s15, s5
	v_and_b32_e32 v46, 0xf0, v1
	v_mov_b32_e32 v47, 0
	v_lshl_add_u64 v[16:17], s[10:11], 0, v[46:47]
	s_waitcnt vmcnt(3)
	v_mad_i64_i32 v[4:5], s[10:11], v3, s45, 0
	s_waitcnt vmcnt(2)
	v_mad_i64_i32 v[2:3], s[10:11], v2, s45, 0
	s_waitcnt vmcnt(1)
	v_mad_i64_i32 v[6:7], s[10:11], v6, s45, 0
	v_lshl_add_u64 v[4:5], v[4:5], 1, v[16:17]
	v_and_b32_e32 v46, 0x300, v1
	v_lshl_add_u64 v[2:3], v[2:3], 1, v[16:17]
	v_lshl_add_u64 v[6:7], v[6:7], 1, v[16:17]
	s_waitcnt vmcnt(0)
	v_mad_i64_i32 v[14:15], s[10:11], v14, s45, 0
	v_lshl_add_u64 v[4:5], v[4:5], 0, v[46:47]
	v_lshl_add_u64 v[8:9], v[2:3], 0, v[46:47]
	;; [unrolled: 1-line block ×4, first 2 shown]
	s_barrier
	global_load_dwordx4 v[30:33], v[4:5], off
	global_load_dwordx4 v[10:13], v[4:5], off offset:1024
	global_load_dwordx4 v[22:25], v[8:9], off
	s_nop 0
	global_load_dwordx4 v[2:5], v[8:9], off offset:1024
	global_load_dwordx4 v[26:29], v[18:19], off
	s_nop 0
	global_load_dwordx4 v[6:9], v[18:19], off offset:1024
	v_lshl_add_u64 v[18:19], v[14:15], 0, v[46:47]
	global_load_dwordx4 v[34:37], v[18:19], off
	global_load_dwordx4 v[14:17], v[18:19], off offset:1024
	v_add_u32_e32 v18, -11, v44
	v_cmp_gt_u32_e32 vcc, 11, v44
	v_and_b32_e32 v55, 63, v0
	v_mov_b32_e32 v56, 0
	v_cndmask_b32_e32 v18, v18, v44, vcc
	v_lshlrev_b32_e32 v18, 5, v18
	v_lshl_add_u32 v18, v54, 9, v18
	ds_read_b128 v[38:41], v18
	ds_read_b128 v[18:21], v18 offset:2048
	s_and_saveexec_b64 s[10:11], vcc
	s_cbranch_execz .LBB450_13
; %bb.12:
	s_load_dwordx2 s[12:13], s[0:1], 0x40
	v_add_u32_e32 v48, s42, v44
	v_ashrrev_i32_e32 v49, 31, v48
	s_waitcnt lgkmcnt(0)
	v_lshl_add_u64 v[48:49], v[48:49], 2, s[12:13]
	global_load_dword v56, v[48:49], off
.LBB450_13:
	s_or_b64 exec, exec, s[10:11]
	v_and_or_b32 v46, v0, 48, s16
	v_ashrrev_i32_e32 v43, 4, v46
	v_mov_b32_e32 v57, s17
	v_cmp_gt_i32_e32 vcc, s29, v46
	s_waitcnt vmcnt(5) lgkmcnt(1)
	v_mfma_f32_16x16x16_bf16 v[58:61], v[22:23], v[38:39], 0
	s_load_dword s10, s[0:1], 0x1c
	v_cndmask_b32_e32 v48, v57, v43, vcc
	v_ashrrev_i32_e32 v49, 31, v48
	v_or_b32_e32 v43, 64, v46
	v_lshl_add_u64 v[52:53], v[48:49], 2, s[6:7]
	v_mfma_f32_16x16x16_bf16 v[48:51], v[30:31], v[38:39], 0
	v_ashrrev_i32_e32 v30, 4, v43
	v_cmp_gt_i32_e32 vcc, s29, v43
	global_load_dword v70, v[52:53], off
	s_waitcnt vmcnt(4)
	v_mfma_f32_16x16x16_bf16 v[62:65], v[26:27], v[38:39], 0
	v_cndmask_b32_e32 v30, v57, v30, vcc
	v_ashrrev_i32_e32 v31, 31, v30
	v_lshl_add_u64 v[22:23], v[30:31], 2, s[6:7]
	global_load_dword v71, v[22:23], off
	v_mfma_f32_16x16x16_bf16 v[22:25], v[24:25], v[40:41], v[58:61]
	v_and_b32_e32 v26, 0xc0, v0
	s_add_u32 s4, s8, s4
	v_lshlrev_b32_e32 v43, 5, v44
	v_mfma_f32_16x16x16_bf16 v[30:33], v[32:33], v[40:41], v[48:51]
	s_addc_u32 s5, s9, s5
	s_mov_b32 s33, 0xff7fffff
	s_waitcnt vmcnt(3)
	v_mfma_f32_16x16x16_bf16 v[66:69], v[34:35], v[38:39], 0
	v_or_b32_e32 v38, 0x80, v46
	v_add_u32_e32 v48, s16, v26
	v_or_b32_e32 v39, 0xc0, v46
	v_mfma_f32_16x16x16_bf16 v[26:29], v[28:29], v[40:41], v[62:65]
	v_ashrrev_i32_e32 v49, 4, v38
	v_cmp_gt_i32_e32 vcc, s29, v38
	v_ashrrev_i32_e32 v50, 4, v39
	s_waitcnt lgkmcnt(0)
	v_mfma_f32_16x16x16_bf16 v[22:25], v[2:3], v[18:19], v[22:25]
	v_cndmask_b32_e32 v38, v57, v49, vcc
	v_cmp_gt_i32_e32 vcc, s29, v39
	v_ashrrev_i32_e32 v39, 31, v38
	v_mfma_f32_16x16x16_bf16 v[30:33], v[10:11], v[18:19], v[30:33]
	v_cndmask_b32_e32 v10, v57, v50, vcc
	v_ashrrev_i32_e32 v11, 31, v10
	v_lshl_or_b32 v58, v54, 2, v48
	v_mfma_f32_16x16x16_bf16 v[26:29], v[6:7], v[18:19], v[26:29]
	v_lshl_add_u64 v[6:7], v[38:39], 2, s[6:7]
	v_lshl_add_u64 v[38:39], v[10:11], 2, s[6:7]
	v_or_b32_e32 v57, 1, v58
	v_mfma_f32_16x16x16_bf16 v[2:5], v[4:5], v[20:21], v[22:25]
	s_nop 2
	global_load_dword v22, v[6:7], off
	global_load_dword v61, v[38:39], off
	v_subrev_u32_e32 v59, s29, v57
	v_cvt_f32_i32_e32 v60, v59
	v_mfma_f32_16x16x16_bf16 v[34:37], v[36:37], v[40:41], v[66:69]
	v_pk_mul_f32 v[48:49], s[10:11], v[4:5] op_sel_hi:[0,1]
	v_lshl_or_b32 v46, v45, 9, v43
	v_lshl_add_u64 v[46:47], s[4:5], 0, v[46:47]
	s_waitcnt vmcnt(4)
	v_mfma_f32_16x16x16_bf16 v[34:37], v[14:15], v[18:19], v[34:37]
	v_add_u32_e32 v14, 1, v59
	v_add_u32_e32 v15, 2, v59
	v_cvt_f32_i32_e32 v23, v14
	v_cvt_f32_i32_e32 v24, v15
	v_mfma_f32_16x16x16_bf16 v[14:17], v[16:17], v[20:21], v[34:37]
	v_add_u32_e32 v18, 3, v59
	v_cvt_f32_i32_e32 v18, v18
	v_pk_mul_f32 v[50:51], s[10:11], v[2:3] op_sel_hi:[0,1]
	v_mfma_f32_16x16x16_bf16 v[10:13], v[12:13], v[20:21], v[30:33]
	v_cmp_gt_i32_e64 s[34:35], s29, v57
	s_nop 1
	v_pk_mul_f32 v[36:37], s[10:11], v[14:15] op_sel_hi:[0,1]
	v_add_u32_e32 v15, 19, v59
	v_add_u32_e32 v31, 18, v59
	v_cvt_f32_i32_e32 v14, v31
	v_cvt_f32_i32_e32 v15, v15
	v_mfma_f32_16x16x16_bf16 v[6:9], v[8:9], v[20:21], v[26:29]
	v_pk_mul_f32 v[34:35], s[10:11], v[16:17] op_sel_hi:[0,1]
	v_fma_f32 v48, v56, v14, v48
	v_add_u32_e32 v14, 32, v59
	v_fmac_f32_e32 v49, v56, v15
	v_cvt_f32_i32_e32 v14, v14
	v_add_u32_e32 v15, 33, v59
	v_add_u32_e32 v16, 34, v59
	v_cvt_f32_i32_e32 v15, v15
	v_cvt_f32_i32_e32 v16, v16
	v_add_u32_e32 v17, 35, v59
	v_cvt_f32_i32_e32 v17, v17
	v_pk_mul_f32 v[40:41], s[10:11], v[6:7] op_sel_hi:[0,1]
	v_pk_mul_f32 v[38:39], s[10:11], v[8:9] op_sel_hi:[0,1]
	v_fma_f32 v40, v56, v14, v40
	v_add_u32_e32 v14, 48, v59
	v_fmac_f32_e32 v41, v56, v15
	v_fma_f32 v38, v56, v16, v38
	v_cvt_f32_i32_e32 v14, v14
	v_add_u32_e32 v15, 49, v59
	v_add_u32_e32 v16, 50, v59
	v_fmac_f32_e32 v39, v56, v17
	v_cvt_f32_i32_e32 v15, v15
	v_cvt_f32_i32_e32 v16, v16
	v_add_u32_e32 v17, 51, v59
	v_cvt_f32_i32_e32 v17, v17
	v_pk_mul_f32 v[52:53], s[10:11], v[12:13] op_sel_hi:[0,1]
	v_pk_mul_f32 v[10:11], s[10:11], v[10:11] op_sel_hi:[0,1]
	s_waitcnt vmcnt(3)
	v_mad_i64_i32 v[2:3], s[4:5], v70, s45, 0
	s_waitcnt vmcnt(2)
	v_mad_i64_i32 v[12:13], s[4:5], v71, s45, 0
	v_fma_f32 v10, v56, v60, v10
	v_fmac_f32_e32 v11, v56, v23
	v_fma_f32 v36, v56, v14, v36
	v_mov_b32_e32 v14, 0xff7fffff
	v_cmp_gt_i32_e64 s[4:5], s29, v58
	v_add_u32_e32 v19, 16, v59
	v_add_u32_e32 v30, 17, v59
	v_fmac_f32_e32 v37, v56, v15
	v_fma_f32 v34, v56, v16, v34
	v_cndmask_b32_e64 v15, v14, v10, s[4:5]
	v_cndmask_b32_e64 v16, v14, v11, s[34:35]
	v_cvt_f32_i32_e32 v19, v19
	v_cvt_f32_i32_e32 v25, v30
	v_fmac_f32_e32 v35, v56, v17
	v_max3_f32 v15, v15, s33, v16
	v_or_b32_e32 v16, 2, v58
	v_or_b32_e32 v17, 3, v58
	v_fma_f32 v52, v56, v24, v52
	v_fmac_f32_e32 v53, v56, v18
	v_cmp_gt_i32_e64 s[36:37], s29, v16
	v_cmp_gt_i32_e64 s[38:39], s29, v17
	v_fma_f32 v50, v56, v19, v50
	v_cndmask_b32_e64 v16, v14, v52, s[36:37]
	v_cndmask_b32_e64 v17, v14, v53, s[38:39]
	v_max3_f32 v15, v15, v16, v17
	v_or_b32_e32 v16, 16, v58
	v_or_b32_e32 v17, 17, v58
	v_fmac_f32_e32 v51, v56, v25
	v_cmp_gt_i32_e64 s[24:25], s29, v16
	v_cmp_gt_i32_e64 s[26:27], s29, v17
	v_lshl_add_u64 v[2:3], v[2:3], 1, v[46:47]
	v_cndmask_b32_e64 v16, v14, v50, s[24:25]
	v_cndmask_b32_e64 v17, v14, v51, s[26:27]
	v_max3_f32 v15, v15, v16, v17
	v_or_b32_e32 v16, 18, v58
	v_or_b32_e32 v17, 19, v58
	v_cmp_gt_i32_e64 s[20:21], s29, v16
	v_cmp_gt_i32_e64 s[22:23], s29, v17
	v_lshl_add_u64 v[12:13], v[12:13], 1, v[46:47]
	v_cndmask_b32_e64 v16, v14, v48, s[20:21]
	v_cndmask_b32_e64 v17, v14, v49, s[22:23]
	v_max3_f32 v15, v15, v16, v17
	v_or_b32_e32 v16, 32, v58
	v_or_b32_e32 v17, 33, v58
	v_cmp_gt_i32_e64 s[16:17], s29, v16
	v_cmp_gt_i32_e64 s[18:19], s29, v17
	global_load_dwordx4 v[6:9], v[2:3], off
	s_nop 0
	global_load_dwordx4 v[2:5], v[2:3], off offset:16
	v_cndmask_b32_e64 v16, v14, v40, s[16:17]
	v_cndmask_b32_e64 v17, v14, v41, s[18:19]
	v_max3_f32 v15, v15, v16, v17
	v_or_b32_e32 v16, 34, v58
	v_or_b32_e32 v17, 35, v58
	v_cmp_gt_i32_e64 s[12:13], s29, v16
	v_cmp_gt_i32_e64 s[14:15], s29, v17
	global_load_dwordx4 v[30:33], v[12:13], off
	global_load_dwordx4 v[26:29], v[12:13], off offset:16
	v_cndmask_b32_e64 v16, v14, v38, s[12:13]
	v_cndmask_b32_e64 v17, v14, v39, s[14:15]
	v_max3_f32 v15, v15, v16, v17
	v_or_b32_e32 v16, 48, v58
	v_or_b32_e32 v17, 49, v58
	v_cmp_gt_i32_e64 s[8:9], s29, v16
	v_cmp_gt_i32_e64 s[10:11], s29, v17
	s_nop 0
	v_cndmask_b32_e64 v16, v14, v36, s[8:9]
	v_cndmask_b32_e64 v17, v14, v37, s[10:11]
	v_max3_f32 v15, v15, v16, v17
	v_or_b32_e32 v16, 50, v58
	v_or_b32_e32 v17, 51, v58
	v_cmp_gt_i32_e32 vcc, s29, v16
	v_cmp_gt_i32_e64 s[6:7], s29, v17
	s_nop 0
	v_cndmask_b32_e32 v16, v14, v34, vcc
	v_cndmask_b32_e64 v14, v14, v35, s[6:7]
	v_max3_f32 v14, v15, v16, v14
	v_mbcnt_lo_u32_b32 v15, -1, 0
	v_mbcnt_hi_u32_b32 v15, -1, v15
	v_and_b32_e32 v16, 64, v15
	v_add_u32_e32 v16, 64, v16
	v_xor_b32_e32 v17, 32, v15
	v_cmp_lt_i32_e64 s[40:41], v17, v16
	s_nop 1
	v_cndmask_b32_e64 v17, v15, v17, s[40:41]
	v_lshlrev_b32_e32 v57, 2, v17
	ds_bpermute_b32 v17, v57, v14
	s_waitcnt vmcnt(5)
	v_mad_i64_i32 v[12:13], s[40:41], v22, s45, 0
	v_lshl_add_u64 v[12:13], v[12:13], 1, v[46:47]
	global_load_dwordx4 v[22:25], v[12:13], off
	global_load_dwordx4 v[18:21], v[12:13], off offset:16
	s_waitcnt lgkmcnt(0)
	v_max_f32_e32 v17, v17, v17
	v_max_f32_e32 v14, v14, v17
	v_xor_b32_e32 v17, 16, v15
	v_cmp_lt_i32_e64 s[40:41], v17, v16
	s_nop 1
	v_cndmask_b32_e64 v15, v15, v17, s[40:41]
	v_lshlrev_b32_e32 v59, 2, v15
	ds_bpermute_b32 v15, v59, v14
	s_waitcnt vmcnt(6)
	v_mad_i64_i32 v[12:13], s[40:41], v61, s45, 0
	v_lshl_add_u64 v[12:13], v[12:13], 1, v[46:47]
	s_waitcnt lgkmcnt(0)
	v_max_f32_e32 v15, v15, v15
	v_max_f32_e32 v56, v14, v15
	v_sub_f32_e32 v10, v10, v56
	v_mul_f32_e32 v10, 0x3fb8aa3b, v10
	v_exp_f32_e32 v46, v10
	v_sub_f32_e32 v10, v11, v56
	v_mul_f32_e32 v10, 0x3fb8aa3b, v10
	v_exp_f32_e32 v47, v10
	global_load_dwordx4 v[14:17], v[12:13], off
	s_nop 0
	global_load_dwordx4 v[10:13], v[12:13], off offset:16
	v_sub_f32_e32 v52, v52, v56
	v_mul_f32_e32 v52, 0x3fb8aa3b, v52
	v_sub_f32_e32 v53, v53, v56
	v_exp_f32_e32 v52, v52
	v_mul_f32_e32 v53, 0x3fb8aa3b, v53
	v_sub_f32_e32 v50, v50, v56
	v_exp_f32_e32 v53, v53
	v_mul_f32_e32 v50, 0x3fb8aa3b, v50
	v_sub_f32_e32 v51, v51, v56
	v_cndmask_b32_e64 v46, 0, v46, s[4:5]
	v_exp_f32_e32 v50, v50
	v_mul_f32_e32 v51, 0x3fb8aa3b, v51
	v_sub_f32_e32 v48, v48, v56
	v_add_f32_e32 v58, 0, v46
	v_cndmask_b32_e64 v47, 0, v47, s[34:35]
	v_exp_f32_e32 v51, v51
	v_mul_f32_e32 v48, 0x3fb8aa3b, v48
	v_sub_f32_e32 v49, v49, v56
	v_add_f32_e32 v58, v58, v47
	;; [unrolled: 5-line block ×10, first 2 shown]
	v_cndmask_b32_e64 v38, 0, v38, s[12:13]
	v_exp_f32_e32 v34, v34
	v_mul_f32_e32 v35, 0x3fb8aa3b, v35
	v_add_f32_e32 v58, v58, v38
	v_cndmask_b32_e64 v39, 0, v39, s[14:15]
	v_exp_f32_e32 v35, v35
	v_add_f32_e32 v58, v58, v39
	v_cndmask_b32_e64 v36, 0, v36, s[8:9]
	v_add_f32_e32 v58, v58, v36
	v_cndmask_b32_e64 v37, 0, v37, s[10:11]
	v_add_f32_e32 v58, v58, v37
	v_cndmask_b32_e32 v34, 0, v34, vcc
	v_add_f32_e32 v58, v58, v34
	v_cndmask_b32_e64 v35, 0, v35, s[6:7]
	v_add_f32_e32 v58, v58, v35
	ds_bpermute_b32 v57, v57, v58
	s_load_dword s7, s[0:1], 0x98
	v_cmp_gt_u32_e32 vcc, 16, v55
	s_waitcnt lgkmcnt(0)
	s_barrier
	v_add_f32_e32 v58, v58, v57
	ds_bpermute_b32 v59, v59, v58
	v_lshlrev_b32_e32 v57, 2, v44
	s_waitcnt lgkmcnt(0)
	s_and_saveexec_b64 s[4:5], vcc
	s_cbranch_execz .LBB450_15
; %bb.14:
	v_add_f32_e32 v55, v58, v59
	v_lshl_or_b32 v58, v45, 6, v57
	ds_write2st64_b32 v58, v56, v55 offset1:1
.LBB450_15:
	s_or_b64 exec, exec, s[4:5]
	s_load_dword s6, s[0:1], 0x94
	s_waitcnt lgkmcnt(0)
	s_barrier
	ds_read2_b32 v[58:59], v57 offset1:16
	ds_read2_b32 v[60:61], v57 offset0:32 offset1:48
	ds_read2_b32 v[62:63], v57 offset0:64 offset1:80
	s_movk_i32 s8, 0x7fff
	s_mov_b32 s9, 0x7060302
	s_waitcnt lgkmcnt(2)
	v_max3_f32 v55, v58, s33, v59
	s_waitcnt lgkmcnt(1)
	v_max3_f32 v55, v55, v60, v61
	v_sub_f32_e32 v56, v58, v55
	v_mul_f32_e32 v56, 0x3fb8aa3b, v56
	v_exp_f32_e32 v64, v56
	v_sub_f32_e32 v56, v59, v55
	v_mul_f32_e32 v56, 0x3fb8aa3b, v56
	v_exp_f32_e32 v65, v56
	;; [unrolled: 3-line block ×3, first 2 shown]
	ds_read2_b32 v[58:59], v57 offset0:96 offset1:112
	v_sub_f32_e32 v56, v61, v55
	v_mul_f32_e32 v56, 0x3fb8aa3b, v56
	v_exp_f32_e32 v57, v56
	s_waitcnt lgkmcnt(1)
	v_fma_f32 v56, v64, v62, 0
	v_fmac_f32_e32 v56, v65, v63
	s_waitcnt lgkmcnt(0)
	v_fmac_f32_e32 v56, v60, v58
	v_fmac_f32_e32 v56, v57, v59
	v_add_f32_e32 v58, 0x358637bd, v56
	v_div_scale_f32 v59, s[4:5], v58, v58, 1.0
	v_rcp_f32_e32 v61, v59
	s_mul_i32 s7, s7, 11
	s_barrier
	v_fma_f32 v62, -v59, v61, 1.0
	v_fmac_f32_e32 v61, v62, v61
	v_div_scale_f32 v62, vcc, 1.0, v58, 1.0
	v_mul_f32_e32 v63, v62, v61
	v_fma_f32 v66, -v59, v63, v62
	v_fmac_f32_e32 v63, v66, v61
	v_fma_f32 v59, -v59, v63, v62
	v_div_fmas_f32 v59, v59, v61, v63
	v_cmp_eq_u32_e32 vcc, 1, v45
	v_div_fixup_f32 v58, v59, v58, 1.0
	s_nop 0
	v_cndmask_b32_e32 v59, v64, v65, vcc
	v_cmp_eq_u32_e32 vcc, 2, v45
	s_nop 1
	v_cndmask_b32_e32 v59, v59, v60, vcc
	v_cmp_eq_u32_e32 vcc, 3, v45
	v_lshlrev_b32_e32 v45, 11, v45
	s_nop 0
	v_cndmask_b32_e32 v57, v59, v57, vcc
	v_mul_f32_e32 v58, v57, v58
	v_pk_mul_f32 v[46:47], v[58:59], v[46:47] op_sel_hi:[0,1]
	v_pk_mul_f32 v[52:53], v[58:59], v[52:53] op_sel_hi:[0,1]
	v_bfe_u32 v57, v47, 16, 1
	v_bfe_u32 v59, v46, 16, 1
	v_add3_u32 v46, v46, v59, s8
	v_add3_u32 v47, v47, v57, s8
	v_perm_b32 v60, v47, v46, s9
	v_bfe_u32 v46, v53, 16, 1
	v_bfe_u32 v47, v52, 16, 1
	v_add3_u32 v47, v52, v47, s8
	v_add3_u32 v46, v53, v46, s8
	v_perm_b32 v61, v46, v47, s9
	v_lshlrev_b32_e32 v46, 3, v54
	v_pk_mul_f32 v[50:51], v[58:59], v[50:51] op_sel_hi:[0,1]
	v_or3_b32 v46, v45, v43, v46
	v_bfe_u32 v45, v51, 16, 1
	v_bfe_u32 v47, v50, 16, 1
	v_pk_mul_f32 v[48:49], v[58:59], v[48:49] op_sel_hi:[0,1]
	v_add3_u32 v47, v50, v47, s8
	v_add3_u32 v45, v51, v45, s8
	v_perm_b32 v50, v45, v47, s9
	v_bfe_u32 v45, v49, 16, 1
	v_bfe_u32 v47, v48, 16, 1
	v_add3_u32 v47, v48, v47, s8
	v_add3_u32 v45, v49, v45, s8
	v_pk_mul_f32 v[40:41], v[58:59], v[40:41] op_sel_hi:[0,1]
	v_perm_b32 v51, v45, v47, s9
	v_bfe_u32 v45, v41, 16, 1
	v_bfe_u32 v47, v40, 16, 1
	v_pk_mul_f32 v[38:39], v[58:59], v[38:39] op_sel_hi:[0,1]
	v_add3_u32 v40, v40, v47, s8
	v_add3_u32 v41, v41, v45, s8
	v_perm_b32 v40, v41, v40, s9
	v_bfe_u32 v41, v39, 16, 1
	v_bfe_u32 v45, v38, 16, 1
	v_add3_u32 v38, v38, v45, s8
	v_add3_u32 v39, v39, v41, s8
	v_pk_mul_f32 v[36:37], v[58:59], v[36:37] op_sel_hi:[0,1]
	v_perm_b32 v41, v39, v38, s9
	v_bfe_u32 v38, v37, 16, 1
	v_bfe_u32 v39, v36, 16, 1
	v_pk_mul_f32 v[34:35], v[58:59], v[34:35] op_sel_hi:[0,1]
	v_add3_u32 v36, v36, v39, s8
	v_add3_u32 v37, v37, v38, s8
	v_perm_b32 v36, v37, v36, s9
	v_bfe_u32 v37, v35, 16, 1
	v_bfe_u32 v38, v34, 16, 1
	v_add3_u32 v34, v34, v38, s8
	v_add3_u32 v35, v35, v37, s8
	v_perm_b32 v37, v35, v34, s9
	v_cmp_gt_u32_e32 vcc, 11, v0
	ds_write2st64_b64 v46, v[60:61], v[50:51] offset1:1
	ds_write2st64_b64 v46, v[40:41], v[36:37] offset0:2 offset1:3
	s_and_saveexec_b64 s[4:5], vcc
	s_cbranch_execz .LBB450_17
; %bb.16:
	s_mov_b32 s43, 0
	v_mov_b32_e32 v45, 0
	v_lshl_add_u64 v[34:35], s[42:43], 0, v[44:45]
	v_mov_b32_e32 v36, s7
	v_mad_u64_u32 v[34:35], s[10:11], s2, v36, v[34:35]
	s_mul_i32 s3, s3, s7
	v_mov_b32_e32 v44, s28
	s_load_dwordx4 s[12:15], s[0:1], 0x58
	v_add_u32_e32 v37, s3, v35
	v_mad_u64_u32 v[34:35], s[10:11], v34, s6, v[44:45]
	v_mov_b32_e32 v36, v35
	v_mad_u64_u32 v[36:37], s[10:11], v37, s6, v[36:37]
	v_mov_b32_e32 v35, v36
	v_lshlrev_b64 v[34:35], 2, v[34:35]
	s_waitcnt lgkmcnt(0)
	v_lshl_add_u64 v[36:37], s[14:15], 0, v[34:35]
	v_lshl_add_u64 v[34:35], s[12:13], 0, v[34:35]
	global_store_dword v[36:37], v55, off
	global_store_dword v[34:35], v56, off
.LBB450_17:
	s_or_b64 exec, exec, s[4:5]
	v_lshl_or_b32 v43, v54, 9, v43
	s_waitcnt lgkmcnt(0)
	s_barrier
	ds_read_b128 v[34:37], v43
	ds_read_b128 v[38:41], v43 offset:16
	s_waitcnt vmcnt(7) lgkmcnt(1)
	v_mfma_f32_16x16x16_bf16 v[48:51], v[6:7], v[34:35], 0
	v_cmp_gt_u32_e32 vcc, 64, v0
	s_mov_b32 s3, 0
	s_and_b64 s[4:5], vcc, s[30:31]
	v_mfma_f32_16x16x16_bf16 v[6:9], v[8:9], v[36:37], v[48:51]
	s_waitcnt vmcnt(6) lgkmcnt(0)
	v_mfma_f32_16x16x16_bf16 v[6:9], v[2:3], v[38:39], v[6:9]
	v_mfma_f32_16x16x16_bf16 v[2:5], v[4:5], v[40:41], v[6:9]
	s_nop 5
	ds_read_b128 v[6:9], v43 offset:2048
	ds_read_b128 v[34:37], v43 offset:2064
	s_waitcnt vmcnt(5) lgkmcnt(1)
	v_mfma_f32_16x16x16_bf16 v[2:5], v[30:31], v[6:7], v[2:5]
	v_mfma_f32_16x16x16_bf16 v[2:5], v[32:33], v[8:9], v[2:5]
	s_waitcnt vmcnt(4) lgkmcnt(0)
	v_mfma_f32_16x16x16_bf16 v[2:5], v[26:27], v[34:35], v[2:5]
	v_mfma_f32_16x16x16_bf16 v[2:5], v[28:29], v[36:37], v[2:5]
	ds_read_b128 v[6:9], v43 offset:4096
	ds_read_b128 v[26:29], v43 offset:4112
	s_waitcnt vmcnt(3) lgkmcnt(1)
	v_mfma_f32_16x16x16_bf16 v[2:5], v[22:23], v[6:7], v[2:5]
	v_mfma_f32_16x16x16_bf16 v[2:5], v[24:25], v[8:9], v[2:5]
	s_waitcnt vmcnt(2) lgkmcnt(0)
	v_mfma_f32_16x16x16_bf16 v[2:5], v[18:19], v[26:27], v[2:5]
	v_mfma_f32_16x16x16_bf16 v[2:5], v[20:21], v[28:29], v[2:5]
	ds_read_b128 v[6:9], v43 offset:6144
	ds_read_b128 v[18:21], v43 offset:6160
	v_mov_b32_e32 v43, 0
	s_waitcnt vmcnt(1) lgkmcnt(0)
	v_mfma_f32_16x16x16_bf16 v[2:5], v[14:15], v[6:7], v[2:5]
	s_barrier
	v_mfma_f32_16x16x16_bf16 v[2:5], v[16:17], v[8:9], v[2:5]
	s_waitcnt vmcnt(0)
	v_mfma_f32_16x16x16_bf16 v[2:5], v[10:11], v[18:19], v[2:5]
	v_mfma_f32_16x16x16_bf16 v[2:5], v[12:13], v[20:21], v[2:5]
	s_nop 6
	v_bfe_u32 v6, v3, 16, 1
	v_bfe_u32 v7, v2, 16, 1
	;; [unrolled: 1-line block ×4, first 2 shown]
	v_add3_u32 v2, v2, v7, s8
	v_add3_u32 v3, v3, v6, s8
	;; [unrolled: 1-line block ×4, first 2 shown]
	v_perm_b32 v2, v3, v2, s9
	v_perm_b32 v3, v5, v4, s9
	ds_write_b64 v46, v[2:3]
	s_waitcnt lgkmcnt(0)
	s_barrier
	s_and_saveexec_b64 s[8:9], s[4:5]
	s_cbranch_execz .LBB450_20
; %bb.18:
	s_load_dwordx2 s[4:5], s[0:1], 0x68
	s_lshl_b32 s0, s6, 6
	s_mul_i32 s1, s7, s2
	s_mul_hi_u32 s7, s1, s0
	s_mul_i32 s6, s1, s0
	v_lshlrev_b32_e32 v0, 10, v0
	s_lshl_b64 s[6:7], s[6:7], 1
	v_and_b32_e32 v0, 0x1800, v0
	v_lshlrev_b32_e32 v2, 5, v54
	v_and_b32_e32 v1, 16, v1
	s_waitcnt lgkmcnt(0)
	s_add_u32 s1, s4, s6
	v_or3_b32 v2, v0, v2, v1
	s_addc_u32 s4, s5, s7
	s_lshl_b32 s2, s28, 6
	s_lshl_b64 s[2:3], s[2:3], 1
	ds_read_b128 v[4:7], v2 offset:128
	ds_read_b128 v[8:11], v2
	s_add_u32 s2, s1, s2
	s_addc_u32 s3, s4, s3
	v_add_u32_e32 v3, s42, v54
	v_lshl_add_u64 v[0:1], s[2:3], 0, v[42:43]
	v_mad_u64_u32 v[12:13], s[2:3], v3, s0, 0
	v_lshl_add_u64 v[12:13], v[12:13], 1, v[0:1]
	v_add_u32_e32 v3, 4, v3
	s_waitcnt lgkmcnt(0)
	global_store_dwordx4 v[12:13], v[8:11], off
	v_cmp_ne_u32_e32 vcc, 3, v54
	s_nop 0
	v_mad_u64_u32 v[8:9], s[2:3], v3, s0, 0
	v_lshl_add_u64 v[8:9], v[8:9], 1, v[0:1]
	global_store_dwordx4 v[8:9], v[4:7], off
	s_and_b64 exec, exec, vcc
	s_cbranch_execz .LBB450_20
; %bb.19:
	ds_read_b128 v[2:5], v2 offset:256
	v_add3_u32 v6, s42, v54, 8
	v_mad_u64_u32 v[6:7], s[0:1], v6, s0, 0
	v_lshl_add_u64 v[0:1], v[6:7], 1, v[0:1]
	s_waitcnt lgkmcnt(0)
	global_store_dwordx4 v[0:1], v[2:5], off
.LBB450_20:
	s_endpgm
	.section	.rodata,"a",@progbits
	.p2align	6, 0x0
	.amdhsa_kernel _Z39paged_attention_ll4mi_QKV_mfma16_kernelI14__hip_bfloat16S0_LN4vllm18Fp8KVCacheDataTypeE0ES0_Li16ELi64ELi256ELb1ELi11EEvPKT_PKT0_S8_ifPKiSA_SA_iPKfiiiPfSD_PS3_PT2_iSC_SC_
		.amdhsa_group_segment_fixed_size 8192
		.amdhsa_private_segment_fixed_size 0
		.amdhsa_kernarg_size 400
		.amdhsa_user_sgpr_count 2
		.amdhsa_user_sgpr_dispatch_ptr 0
		.amdhsa_user_sgpr_queue_ptr 0
		.amdhsa_user_sgpr_kernarg_segment_ptr 1
		.amdhsa_user_sgpr_dispatch_id 0
		.amdhsa_user_sgpr_kernarg_preload_length 0
		.amdhsa_user_sgpr_kernarg_preload_offset 0
		.amdhsa_user_sgpr_private_segment_size 0
		.amdhsa_uses_dynamic_stack 0
		.amdhsa_enable_private_segment 0
		.amdhsa_system_sgpr_workgroup_id_x 1
		.amdhsa_system_sgpr_workgroup_id_y 1
		.amdhsa_system_sgpr_workgroup_id_z 1
		.amdhsa_system_sgpr_workgroup_info 0
		.amdhsa_system_vgpr_workitem_id 0
		.amdhsa_next_free_vgpr 72
		.amdhsa_next_free_sgpr 48
		.amdhsa_accum_offset 72
		.amdhsa_reserve_vcc 1
		.amdhsa_float_round_mode_32 0
		.amdhsa_float_round_mode_16_64 0
		.amdhsa_float_denorm_mode_32 3
		.amdhsa_float_denorm_mode_16_64 3
		.amdhsa_dx10_clamp 1
		.amdhsa_ieee_mode 1
		.amdhsa_fp16_overflow 0
		.amdhsa_tg_split 0
		.amdhsa_exception_fp_ieee_invalid_op 0
		.amdhsa_exception_fp_denorm_src 0
		.amdhsa_exception_fp_ieee_div_zero 0
		.amdhsa_exception_fp_ieee_overflow 0
		.amdhsa_exception_fp_ieee_underflow 0
		.amdhsa_exception_fp_ieee_inexact 0
		.amdhsa_exception_int_div_zero 0
	.end_amdhsa_kernel
	.section	.text._Z39paged_attention_ll4mi_QKV_mfma16_kernelI14__hip_bfloat16S0_LN4vllm18Fp8KVCacheDataTypeE0ES0_Li16ELi64ELi256ELb1ELi11EEvPKT_PKT0_S8_ifPKiSA_SA_iPKfiiiPfSD_PS3_PT2_iSC_SC_,"axG",@progbits,_Z39paged_attention_ll4mi_QKV_mfma16_kernelI14__hip_bfloat16S0_LN4vllm18Fp8KVCacheDataTypeE0ES0_Li16ELi64ELi256ELb1ELi11EEvPKT_PKT0_S8_ifPKiSA_SA_iPKfiiiPfSD_PS3_PT2_iSC_SC_,comdat
.Lfunc_end450:
	.size	_Z39paged_attention_ll4mi_QKV_mfma16_kernelI14__hip_bfloat16S0_LN4vllm18Fp8KVCacheDataTypeE0ES0_Li16ELi64ELi256ELb1ELi11EEvPKT_PKT0_S8_ifPKiSA_SA_iPKfiiiPfSD_PS3_PT2_iSC_SC_, .Lfunc_end450-_Z39paged_attention_ll4mi_QKV_mfma16_kernelI14__hip_bfloat16S0_LN4vllm18Fp8KVCacheDataTypeE0ES0_Li16ELi64ELi256ELb1ELi11EEvPKT_PKT0_S8_ifPKiSA_SA_iPKfiiiPfSD_PS3_PT2_iSC_SC_
                                        ; -- End function
	.section	.AMDGPU.csdata,"",@progbits
; Kernel info:
; codeLenInByte = 4336
; NumSgprs: 54
; NumVgprs: 72
; NumAgprs: 0
; TotalNumVgprs: 72
; ScratchSize: 0
; MemoryBound: 0
; FloatMode: 240
; IeeeMode: 1
; LDSByteSize: 8192 bytes/workgroup (compile time only)
; SGPRBlocks: 6
; VGPRBlocks: 8
; NumSGPRsForWavesPerEU: 54
; NumVGPRsForWavesPerEU: 72
; AccumOffset: 72
; Occupancy: 7
; WaveLimiterHint : 1
; COMPUTE_PGM_RSRC2:SCRATCH_EN: 0
; COMPUTE_PGM_RSRC2:USER_SGPR: 2
; COMPUTE_PGM_RSRC2:TRAP_HANDLER: 0
; COMPUTE_PGM_RSRC2:TGID_X_EN: 1
; COMPUTE_PGM_RSRC2:TGID_Y_EN: 1
; COMPUTE_PGM_RSRC2:TGID_Z_EN: 1
; COMPUTE_PGM_RSRC2:TIDIG_COMP_CNT: 0
; COMPUTE_PGM_RSRC3_GFX90A:ACCUM_OFFSET: 17
; COMPUTE_PGM_RSRC3_GFX90A:TG_SPLIT: 0
	.section	.text._Z39paged_attention_ll4mi_QKV_mfma16_kernelI14__hip_bfloat16S0_LN4vllm18Fp8KVCacheDataTypeE0ES0_Li16ELi64ELi256ELb1ELi12EEvPKT_PKT0_S8_ifPKiSA_SA_iPKfiiiPfSD_PS3_PT2_iSC_SC_,"axG",@progbits,_Z39paged_attention_ll4mi_QKV_mfma16_kernelI14__hip_bfloat16S0_LN4vllm18Fp8KVCacheDataTypeE0ES0_Li16ELi64ELi256ELb1ELi12EEvPKT_PKT0_S8_ifPKiSA_SA_iPKfiiiPfSD_PS3_PT2_iSC_SC_,comdat
	.protected	_Z39paged_attention_ll4mi_QKV_mfma16_kernelI14__hip_bfloat16S0_LN4vllm18Fp8KVCacheDataTypeE0ES0_Li16ELi64ELi256ELb1ELi12EEvPKT_PKT0_S8_ifPKiSA_SA_iPKfiiiPfSD_PS3_PT2_iSC_SC_ ; -- Begin function _Z39paged_attention_ll4mi_QKV_mfma16_kernelI14__hip_bfloat16S0_LN4vllm18Fp8KVCacheDataTypeE0ES0_Li16ELi64ELi256ELb1ELi12EEvPKT_PKT0_S8_ifPKiSA_SA_iPKfiiiPfSD_PS3_PT2_iSC_SC_
	.globl	_Z39paged_attention_ll4mi_QKV_mfma16_kernelI14__hip_bfloat16S0_LN4vllm18Fp8KVCacheDataTypeE0ES0_Li16ELi64ELi256ELb1ELi12EEvPKT_PKT0_S8_ifPKiSA_SA_iPKfiiiPfSD_PS3_PT2_iSC_SC_
	.p2align	8
	.type	_Z39paged_attention_ll4mi_QKV_mfma16_kernelI14__hip_bfloat16S0_LN4vllm18Fp8KVCacheDataTypeE0ES0_Li16ELi64ELi256ELb1ELi12EEvPKT_PKT0_S8_ifPKiSA_SA_iPKfiiiPfSD_PS3_PT2_iSC_SC_,@function
_Z39paged_attention_ll4mi_QKV_mfma16_kernelI14__hip_bfloat16S0_LN4vllm18Fp8KVCacheDataTypeE0ES0_Li16ELi64ELi256ELb1ELi12EEvPKT_PKT0_S8_ifPKiSA_SA_iPKfiiiPfSD_PS3_PT2_iSC_SC_: ; @_Z39paged_attention_ll4mi_QKV_mfma16_kernelI14__hip_bfloat16S0_LN4vllm18Fp8KVCacheDataTypeE0ES0_Li16ELi64ELi256ELb1ELi12EEvPKT_PKT0_S8_ifPKiSA_SA_iPKfiiiPfSD_PS3_PT2_iSC_SC_
; %bb.0:
	s_load_dwordx2 s[8:9], s[0:1], 0x30
	s_mov_b32 s28, s3
	s_mov_b64 s[6:7], 0
	s_waitcnt lgkmcnt(0)
	s_cmp_lg_u64 s[8:9], 0
	s_cselect_b64 s[10:11], -1, 0
	s_and_b64 vcc, exec, s[10:11]
	s_cbranch_vccz .LBB451_7
; %bb.1:
	s_add_i32 s12, s2, 1
	s_mov_b32 s13, 0
	s_lshl_b64 s[14:15], s[12:13], 2
	s_add_u32 s14, s8, s14
	s_mov_b32 s3, s13
	s_addc_u32 s15, s9, s15
	s_lshl_b64 s[12:13], s[2:3], 2
	s_add_u32 s12, s8, s12
	s_addc_u32 s13, s9, s13
	s_load_dword s5, s[14:15], 0x0
	s_load_dword s16, s[12:13], 0x0
	s_waitcnt lgkmcnt(0)
	s_sub_i32 s5, s5, s16
	s_cmp_eq_u32 s5, 1
	s_cselect_b64 s[12:13], -1, 0
	s_andn2_b64 vcc, exec, s[6:7]
	s_cbranch_vccnz .LBB451_3
.LBB451_2:
	s_mov_b32 s3, 0
	s_mov_b64 s[12:13], -1
.LBB451_3:
	s_andn2_b64 vcc, exec, s[12:13]
	s_cbranch_vccnz .LBB451_19
; %bb.4:
	s_load_dwordx2 s[6:7], s[0:1], 0x28
	s_lshl_b64 s[14:15], s[2:3], 2
	s_waitcnt lgkmcnt(0)
	s_add_u32 s6, s6, s14
	s_addc_u32 s7, s7, s15
	s_load_dword s29, s[6:7], 0x0
	s_lshl_b32 s16, s28, 8
	s_waitcnt lgkmcnt(0)
	s_cmp_ge_i32 s16, s29
	s_cbranch_scc1 .LBB451_19
; %bb.5:
	s_load_dwordx2 s[6:7], s[0:1], 0x20
	s_load_dword s5, s[0:1], 0x38
	s_add_i32 s12, s29, 15
	s_ashr_i32 s13, s12, 31
	v_and_b32_e32 v1, 0xcf, v0
	s_lshr_b32 s13, s13, 28
	v_add_u32_e32 v1, s16, v1
	s_add_i32 s12, s12, s13
	v_ashrrev_i32_e32 v2, 31, v1
	s_ashr_i32 s17, s12, 4
	v_lshrrev_b32_e32 v6, 28, v2
	s_add_i32 s17, s17, -1
	s_waitcnt lgkmcnt(0)
	s_mul_i32 s12, s2, s5
	s_mov_b32 s13, 0
	v_add_u32_e32 v2, v1, v6
	s_lshl_b64 s[12:13], s[12:13], 2
	v_ashrrev_i32_e32 v2, 4, v2
	v_mov_b32_e32 v7, s17
	v_cmp_gt_i32_e32 vcc, s29, v1
	s_add_u32 s6, s6, s12
	s_addc_u32 s7, s7, s13
	v_cndmask_b32_e32 v2, v7, v2, vcc
	v_ashrrev_i32_e32 v3, 31, v2
	v_lshl_add_u64 v[4:5], v[2:3], 2, s[6:7]
	v_or_b32_e32 v2, 16, v1
	v_add_u32_e32 v3, v2, v6
	v_ashrrev_i32_e32 v3, 4, v3
	v_cmp_gt_i32_e32 vcc, s29, v2
	s_load_dwordx2 s[12:13], s[0:1], 0x8
	s_nop 0
	v_cndmask_b32_e32 v2, v7, v3, vcc
	v_ashrrev_i32_e32 v3, 31, v2
	v_lshl_add_u64 v[8:9], v[2:3], 2, s[6:7]
	v_or_b32_e32 v2, 32, v1
	v_add_u32_e32 v3, v2, v6
	v_ashrrev_i32_e32 v3, 4, v3
	v_cmp_gt_i32_e32 vcc, s29, v2
	v_or_b32_e32 v1, 48, v1
	s_nop 0
	v_cndmask_b32_e32 v2, v7, v3, vcc
	v_ashrrev_i32_e32 v3, 31, v2
	v_lshl_add_u64 v[10:11], v[2:3], 2, s[6:7]
	v_add_u32_e32 v2, v1, v6
	v_ashrrev_i32_e32 v2, 4, v2
	v_cmp_gt_i32_e32 vcc, s29, v1
	s_nop 1
	v_cndmask_b32_e32 v2, v7, v2, vcc
	v_ashrrev_i32_e32 v3, 31, v2
	v_lshl_add_u64 v[12:13], v[2:3], 2, s[6:7]
	global_load_dword v3, v[4:5], off
	global_load_dword v2, v[8:9], off
	;; [unrolled: 1-line block ×4, first 2 shown]
	s_andn2_b64 vcc, exec, s[10:11]
	s_cbranch_vccnz .LBB451_8
; %bb.6:
	s_add_u32 s8, s8, s14
	s_addc_u32 s9, s9, s15
	s_load_dword s5, s[8:9], 0x0
	s_branch .LBB451_9
.LBB451_7:
	s_mov_b64 s[12:13], 0
	s_branch .LBB451_2
.LBB451_8:
	s_mov_b32 s5, s2
.LBB451_9:
	s_load_dwordx2 s[8:9], s[0:1], 0x10
	s_load_dwordx4 s[44:47], s[0:1], 0x48
	v_and_b32_e32 v44, 15, v0
	s_movk_i32 s10, 0xc0
	v_lshlrev_b32_e32 v4, 3, v44
	v_cmp_gt_u32_e32 vcc, s10, v0
	v_cmp_gt_u32_e64 s[30:31], 8, v44
	v_lshrrev_b32_e32 v45, 6, v0
	v_bfe_u32 v1, v0, 4, 2
	s_mul_i32 s42, s4, 12
	s_and_b64 s[14:15], vcc, s[30:31]
	v_lshlrev_b32_e32 v42, 1, v4
	s_and_saveexec_b64 s[10:11], s[14:15]
	s_cbranch_execz .LBB451_11
; %bb.10:
	s_load_dwordx2 s[14:15], s[0:1], 0x0
	s_waitcnt lgkmcnt(0)
	s_ashr_i32 s18, s44, 31
	s_mul_hi_u32 s19, s5, s44
	s_mul_i32 s18, s5, s18
	s_add_i32 s19, s19, s18
	s_mul_i32 s18, s5, s44
	v_lshl_or_b32 v7, v45, 2, v1
	s_lshl_b64 s[18:19], s[18:19], 1
	s_add_u32 s14, s14, s18
	v_add_lshl_u32 v4, v7, s42, 6
	s_addc_u32 s15, s15, s19
	v_ashrrev_i32_e32 v5, 31, v4
	v_lshl_add_u64 v[4:5], v[4:5], 1, s[14:15]
	v_mov_b32_e32 v43, 0
	v_lshl_add_u64 v[4:5], v[4:5], 0, v[42:43]
	global_load_dwordx4 v[8:11], v[4:5], off
	v_and_b32_e32 v4, 3, v0
	v_lshlrev_b32_e32 v5, 5, v7
	v_lshlrev_b32_e32 v7, 9, v44
	;; [unrolled: 1-line block ×3, first 2 shown]
	v_and_b32_e32 v7, 0x1800, v7
	v_or3_b32 v4, v7, v4, v5
	s_waitcnt vmcnt(0)
	ds_write_b128 v4, v[8:11]
.LBB451_11:
	s_or_b64 exec, exec, s[10:11]
	s_waitcnt lgkmcnt(0)
	s_mul_i32 s4, s4, s46
	s_mov_b32 s5, 0
	s_lshl_b64 s[4:5], s[4:5], 1
	s_add_u32 s10, s12, s4
	v_lshlrev_b32_e32 v54, 4, v0
	s_addc_u32 s11, s13, s5
	v_and_b32_e32 v46, 0xf0, v54
	v_mov_b32_e32 v47, 0
	v_lshl_add_u64 v[16:17], s[10:11], 0, v[46:47]
	s_waitcnt vmcnt(3)
	v_mad_i64_i32 v[4:5], s[10:11], v3, s45, 0
	s_waitcnt vmcnt(2)
	v_mad_i64_i32 v[2:3], s[10:11], v2, s45, 0
	;; [unrolled: 2-line block ×3, first 2 shown]
	v_lshl_add_u64 v[4:5], v[4:5], 1, v[16:17]
	v_and_b32_e32 v46, 0x300, v54
	v_lshl_add_u64 v[2:3], v[2:3], 1, v[16:17]
	v_lshl_add_u64 v[6:7], v[6:7], 1, v[16:17]
	s_waitcnt vmcnt(0)
	v_mad_i64_i32 v[14:15], s[10:11], v14, s45, 0
	v_lshl_add_u64 v[4:5], v[4:5], 0, v[46:47]
	v_lshl_add_u64 v[8:9], v[2:3], 0, v[46:47]
	;; [unrolled: 1-line block ×4, first 2 shown]
	s_barrier
	global_load_dwordx4 v[30:33], v[4:5], off
	global_load_dwordx4 v[10:13], v[4:5], off offset:1024
	global_load_dwordx4 v[22:25], v[8:9], off
	s_nop 0
	global_load_dwordx4 v[2:5], v[8:9], off offset:1024
	global_load_dwordx4 v[26:29], v[18:19], off
	s_nop 0
	global_load_dwordx4 v[6:9], v[18:19], off offset:1024
	v_lshl_add_u64 v[18:19], v[14:15], 0, v[46:47]
	global_load_dwordx4 v[34:37], v[18:19], off
	global_load_dwordx4 v[14:17], v[18:19], off offset:1024
	v_add_u32_e32 v18, -12, v44
	v_cmp_gt_u32_e32 vcc, 12, v44
	v_and_b32_e32 v55, 63, v0
	v_mov_b32_e32 v56, 0
	v_cndmask_b32_e32 v18, v18, v44, vcc
	v_lshlrev_b32_e32 v18, 5, v18
	v_lshl_add_u32 v18, v1, 9, v18
	ds_read_b128 v[38:41], v18
	ds_read_b128 v[18:21], v18 offset:2048
	s_and_saveexec_b64 s[10:11], vcc
	s_cbranch_execz .LBB451_13
; %bb.12:
	s_load_dwordx2 s[12:13], s[0:1], 0x40
	v_add_u32_e32 v48, s42, v44
	v_ashrrev_i32_e32 v49, 31, v48
	s_waitcnt lgkmcnt(0)
	v_lshl_add_u64 v[48:49], v[48:49], 2, s[12:13]
	global_load_dword v56, v[48:49], off
.LBB451_13:
	s_or_b64 exec, exec, s[10:11]
	v_and_or_b32 v46, v0, 48, s16
	v_ashrrev_i32_e32 v43, 4, v46
	v_mov_b32_e32 v57, s17
	v_cmp_gt_i32_e32 vcc, s29, v46
	s_waitcnt vmcnt(5) lgkmcnt(1)
	v_mfma_f32_16x16x16_bf16 v[58:61], v[22:23], v[38:39], 0
	s_load_dword s10, s[0:1], 0x1c
	v_cndmask_b32_e32 v48, v57, v43, vcc
	v_ashrrev_i32_e32 v49, 31, v48
	v_or_b32_e32 v43, 64, v46
	v_lshl_add_u64 v[52:53], v[48:49], 2, s[6:7]
	v_mfma_f32_16x16x16_bf16 v[48:51], v[30:31], v[38:39], 0
	v_ashrrev_i32_e32 v30, 4, v43
	v_cmp_gt_i32_e32 vcc, s29, v43
	global_load_dword v70, v[52:53], off
	s_waitcnt vmcnt(4)
	v_mfma_f32_16x16x16_bf16 v[62:65], v[26:27], v[38:39], 0
	v_cndmask_b32_e32 v30, v57, v30, vcc
	v_ashrrev_i32_e32 v31, 31, v30
	v_lshl_add_u64 v[22:23], v[30:31], 2, s[6:7]
	global_load_dword v71, v[22:23], off
	v_mfma_f32_16x16x16_bf16 v[22:25], v[24:25], v[40:41], v[58:61]
	v_and_b32_e32 v26, 0xc0, v0
	s_add_u32 s4, s8, s4
	v_lshlrev_b32_e32 v43, 5, v44
	v_mfma_f32_16x16x16_bf16 v[30:33], v[32:33], v[40:41], v[48:51]
	s_addc_u32 s5, s9, s5
	s_mov_b32 s33, 0xff7fffff
	s_waitcnt vmcnt(3)
	v_mfma_f32_16x16x16_bf16 v[66:69], v[34:35], v[38:39], 0
	v_or_b32_e32 v38, 0x80, v46
	v_add_u32_e32 v48, s16, v26
	v_or_b32_e32 v39, 0xc0, v46
	v_mfma_f32_16x16x16_bf16 v[26:29], v[28:29], v[40:41], v[62:65]
	v_ashrrev_i32_e32 v49, 4, v38
	v_cmp_gt_i32_e32 vcc, s29, v38
	v_ashrrev_i32_e32 v50, 4, v39
	s_waitcnt lgkmcnt(0)
	v_mfma_f32_16x16x16_bf16 v[22:25], v[2:3], v[18:19], v[22:25]
	v_cndmask_b32_e32 v38, v57, v49, vcc
	v_cmp_gt_i32_e32 vcc, s29, v39
	v_ashrrev_i32_e32 v39, 31, v38
	v_mfma_f32_16x16x16_bf16 v[30:33], v[10:11], v[18:19], v[30:33]
	v_cndmask_b32_e32 v10, v57, v50, vcc
	v_ashrrev_i32_e32 v11, 31, v10
	v_lshl_or_b32 v58, v1, 2, v48
	v_mfma_f32_16x16x16_bf16 v[26:29], v[6:7], v[18:19], v[26:29]
	v_lshl_add_u64 v[6:7], v[38:39], 2, s[6:7]
	v_lshl_add_u64 v[38:39], v[10:11], 2, s[6:7]
	v_or_b32_e32 v57, 1, v58
	v_mfma_f32_16x16x16_bf16 v[2:5], v[4:5], v[20:21], v[22:25]
	s_nop 2
	global_load_dword v22, v[6:7], off
	global_load_dword v61, v[38:39], off
	v_subrev_u32_e32 v59, s29, v57
	v_cvt_f32_i32_e32 v60, v59
	v_mfma_f32_16x16x16_bf16 v[34:37], v[36:37], v[40:41], v[66:69]
	v_pk_mul_f32 v[48:49], s[10:11], v[4:5] op_sel_hi:[0,1]
	v_lshl_or_b32 v46, v45, 9, v43
	v_lshl_add_u64 v[46:47], s[4:5], 0, v[46:47]
	s_waitcnt vmcnt(4)
	v_mfma_f32_16x16x16_bf16 v[34:37], v[14:15], v[18:19], v[34:37]
	v_add_u32_e32 v14, 1, v59
	v_add_u32_e32 v15, 2, v59
	v_cvt_f32_i32_e32 v23, v14
	v_cvt_f32_i32_e32 v24, v15
	v_mfma_f32_16x16x16_bf16 v[14:17], v[16:17], v[20:21], v[34:37]
	v_add_u32_e32 v18, 3, v59
	v_cvt_f32_i32_e32 v18, v18
	v_pk_mul_f32 v[50:51], s[10:11], v[2:3] op_sel_hi:[0,1]
	v_mfma_f32_16x16x16_bf16 v[10:13], v[12:13], v[20:21], v[30:33]
	v_cmp_gt_i32_e64 s[34:35], s29, v57
	s_nop 1
	v_pk_mul_f32 v[36:37], s[10:11], v[14:15] op_sel_hi:[0,1]
	v_add_u32_e32 v15, 19, v59
	v_add_u32_e32 v31, 18, v59
	v_cvt_f32_i32_e32 v14, v31
	v_cvt_f32_i32_e32 v15, v15
	v_mfma_f32_16x16x16_bf16 v[6:9], v[8:9], v[20:21], v[26:29]
	v_pk_mul_f32 v[34:35], s[10:11], v[16:17] op_sel_hi:[0,1]
	v_fma_f32 v48, v56, v14, v48
	v_add_u32_e32 v14, 32, v59
	v_fmac_f32_e32 v49, v56, v15
	v_cvt_f32_i32_e32 v14, v14
	v_add_u32_e32 v15, 33, v59
	v_add_u32_e32 v16, 34, v59
	v_cvt_f32_i32_e32 v15, v15
	v_cvt_f32_i32_e32 v16, v16
	v_add_u32_e32 v17, 35, v59
	v_cvt_f32_i32_e32 v17, v17
	v_pk_mul_f32 v[40:41], s[10:11], v[6:7] op_sel_hi:[0,1]
	v_pk_mul_f32 v[38:39], s[10:11], v[8:9] op_sel_hi:[0,1]
	v_fma_f32 v40, v56, v14, v40
	v_add_u32_e32 v14, 48, v59
	v_fmac_f32_e32 v41, v56, v15
	v_fma_f32 v38, v56, v16, v38
	v_cvt_f32_i32_e32 v14, v14
	v_add_u32_e32 v15, 49, v59
	v_add_u32_e32 v16, 50, v59
	v_fmac_f32_e32 v39, v56, v17
	v_cvt_f32_i32_e32 v15, v15
	v_cvt_f32_i32_e32 v16, v16
	v_add_u32_e32 v17, 51, v59
	v_cvt_f32_i32_e32 v17, v17
	v_pk_mul_f32 v[52:53], s[10:11], v[12:13] op_sel_hi:[0,1]
	v_pk_mul_f32 v[10:11], s[10:11], v[10:11] op_sel_hi:[0,1]
	s_waitcnt vmcnt(3)
	v_mad_i64_i32 v[2:3], s[4:5], v70, s45, 0
	s_waitcnt vmcnt(2)
	v_mad_i64_i32 v[12:13], s[4:5], v71, s45, 0
	v_fma_f32 v10, v56, v60, v10
	v_fmac_f32_e32 v11, v56, v23
	v_fma_f32 v36, v56, v14, v36
	v_mov_b32_e32 v14, 0xff7fffff
	v_cmp_gt_i32_e64 s[4:5], s29, v58
	v_add_u32_e32 v19, 16, v59
	v_add_u32_e32 v30, 17, v59
	v_fmac_f32_e32 v37, v56, v15
	v_fma_f32 v34, v56, v16, v34
	v_cndmask_b32_e64 v15, v14, v10, s[4:5]
	v_cndmask_b32_e64 v16, v14, v11, s[34:35]
	v_cvt_f32_i32_e32 v19, v19
	v_cvt_f32_i32_e32 v25, v30
	v_fmac_f32_e32 v35, v56, v17
	v_max3_f32 v15, v15, s33, v16
	v_or_b32_e32 v16, 2, v58
	v_or_b32_e32 v17, 3, v58
	v_fma_f32 v52, v56, v24, v52
	v_fmac_f32_e32 v53, v56, v18
	v_cmp_gt_i32_e64 s[36:37], s29, v16
	v_cmp_gt_i32_e64 s[38:39], s29, v17
	v_fma_f32 v50, v56, v19, v50
	v_cndmask_b32_e64 v16, v14, v52, s[36:37]
	v_cndmask_b32_e64 v17, v14, v53, s[38:39]
	v_max3_f32 v15, v15, v16, v17
	v_or_b32_e32 v16, 16, v58
	v_or_b32_e32 v17, 17, v58
	v_fmac_f32_e32 v51, v56, v25
	v_cmp_gt_i32_e64 s[24:25], s29, v16
	v_cmp_gt_i32_e64 s[26:27], s29, v17
	v_lshl_add_u64 v[2:3], v[2:3], 1, v[46:47]
	v_cndmask_b32_e64 v16, v14, v50, s[24:25]
	v_cndmask_b32_e64 v17, v14, v51, s[26:27]
	v_max3_f32 v15, v15, v16, v17
	v_or_b32_e32 v16, 18, v58
	v_or_b32_e32 v17, 19, v58
	v_cmp_gt_i32_e64 s[20:21], s29, v16
	v_cmp_gt_i32_e64 s[22:23], s29, v17
	v_lshl_add_u64 v[12:13], v[12:13], 1, v[46:47]
	v_cndmask_b32_e64 v16, v14, v48, s[20:21]
	v_cndmask_b32_e64 v17, v14, v49, s[22:23]
	v_max3_f32 v15, v15, v16, v17
	v_or_b32_e32 v16, 32, v58
	v_or_b32_e32 v17, 33, v58
	v_cmp_gt_i32_e64 s[16:17], s29, v16
	v_cmp_gt_i32_e64 s[18:19], s29, v17
	global_load_dwordx4 v[6:9], v[2:3], off
	s_nop 0
	global_load_dwordx4 v[2:5], v[2:3], off offset:16
	v_cndmask_b32_e64 v16, v14, v40, s[16:17]
	v_cndmask_b32_e64 v17, v14, v41, s[18:19]
	v_max3_f32 v15, v15, v16, v17
	v_or_b32_e32 v16, 34, v58
	v_or_b32_e32 v17, 35, v58
	v_cmp_gt_i32_e64 s[12:13], s29, v16
	v_cmp_gt_i32_e64 s[14:15], s29, v17
	global_load_dwordx4 v[30:33], v[12:13], off
	global_load_dwordx4 v[26:29], v[12:13], off offset:16
	v_cndmask_b32_e64 v16, v14, v38, s[12:13]
	v_cndmask_b32_e64 v17, v14, v39, s[14:15]
	v_max3_f32 v15, v15, v16, v17
	v_or_b32_e32 v16, 48, v58
	v_or_b32_e32 v17, 49, v58
	v_cmp_gt_i32_e64 s[8:9], s29, v16
	v_cmp_gt_i32_e64 s[10:11], s29, v17
	s_nop 0
	v_cndmask_b32_e64 v16, v14, v36, s[8:9]
	v_cndmask_b32_e64 v17, v14, v37, s[10:11]
	v_max3_f32 v15, v15, v16, v17
	v_or_b32_e32 v16, 50, v58
	v_or_b32_e32 v17, 51, v58
	v_cmp_gt_i32_e32 vcc, s29, v16
	v_cmp_gt_i32_e64 s[6:7], s29, v17
	s_nop 0
	v_cndmask_b32_e32 v16, v14, v34, vcc
	v_cndmask_b32_e64 v14, v14, v35, s[6:7]
	v_max3_f32 v14, v15, v16, v14
	v_mbcnt_lo_u32_b32 v15, -1, 0
	v_mbcnt_hi_u32_b32 v15, -1, v15
	v_and_b32_e32 v16, 64, v15
	v_add_u32_e32 v16, 64, v16
	v_xor_b32_e32 v17, 32, v15
	v_cmp_lt_i32_e64 s[40:41], v17, v16
	s_nop 1
	v_cndmask_b32_e64 v17, v15, v17, s[40:41]
	v_lshlrev_b32_e32 v57, 2, v17
	ds_bpermute_b32 v17, v57, v14
	s_waitcnt vmcnt(5)
	v_mad_i64_i32 v[12:13], s[40:41], v22, s45, 0
	v_lshl_add_u64 v[12:13], v[12:13], 1, v[46:47]
	global_load_dwordx4 v[22:25], v[12:13], off
	global_load_dwordx4 v[18:21], v[12:13], off offset:16
	s_waitcnt lgkmcnt(0)
	v_max_f32_e32 v17, v17, v17
	v_max_f32_e32 v14, v14, v17
	v_xor_b32_e32 v17, 16, v15
	v_cmp_lt_i32_e64 s[40:41], v17, v16
	s_nop 1
	v_cndmask_b32_e64 v15, v15, v17, s[40:41]
	v_lshlrev_b32_e32 v59, 2, v15
	ds_bpermute_b32 v15, v59, v14
	s_waitcnt vmcnt(6)
	v_mad_i64_i32 v[12:13], s[40:41], v61, s45, 0
	v_lshl_add_u64 v[12:13], v[12:13], 1, v[46:47]
	s_waitcnt lgkmcnt(0)
	v_max_f32_e32 v15, v15, v15
	v_max_f32_e32 v56, v14, v15
	v_sub_f32_e32 v10, v10, v56
	v_mul_f32_e32 v10, 0x3fb8aa3b, v10
	v_exp_f32_e32 v46, v10
	v_sub_f32_e32 v10, v11, v56
	v_mul_f32_e32 v10, 0x3fb8aa3b, v10
	v_exp_f32_e32 v47, v10
	global_load_dwordx4 v[14:17], v[12:13], off
	s_nop 0
	global_load_dwordx4 v[10:13], v[12:13], off offset:16
	v_sub_f32_e32 v52, v52, v56
	v_mul_f32_e32 v52, 0x3fb8aa3b, v52
	v_sub_f32_e32 v53, v53, v56
	v_exp_f32_e32 v52, v52
	v_mul_f32_e32 v53, 0x3fb8aa3b, v53
	v_sub_f32_e32 v50, v50, v56
	v_exp_f32_e32 v53, v53
	v_mul_f32_e32 v50, 0x3fb8aa3b, v50
	v_sub_f32_e32 v51, v51, v56
	v_cndmask_b32_e64 v46, 0, v46, s[4:5]
	v_exp_f32_e32 v50, v50
	v_mul_f32_e32 v51, 0x3fb8aa3b, v51
	v_sub_f32_e32 v48, v48, v56
	v_add_f32_e32 v58, 0, v46
	v_cndmask_b32_e64 v47, 0, v47, s[34:35]
	v_exp_f32_e32 v51, v51
	v_mul_f32_e32 v48, 0x3fb8aa3b, v48
	v_sub_f32_e32 v49, v49, v56
	v_add_f32_e32 v58, v58, v47
	;; [unrolled: 5-line block ×10, first 2 shown]
	v_cndmask_b32_e64 v38, 0, v38, s[12:13]
	v_exp_f32_e32 v34, v34
	v_mul_f32_e32 v35, 0x3fb8aa3b, v35
	v_add_f32_e32 v58, v58, v38
	v_cndmask_b32_e64 v39, 0, v39, s[14:15]
	v_exp_f32_e32 v35, v35
	v_add_f32_e32 v58, v58, v39
	v_cndmask_b32_e64 v36, 0, v36, s[8:9]
	v_add_f32_e32 v58, v58, v36
	v_cndmask_b32_e64 v37, 0, v37, s[10:11]
	v_add_f32_e32 v58, v58, v37
	v_cndmask_b32_e32 v34, 0, v34, vcc
	v_add_f32_e32 v58, v58, v34
	v_cndmask_b32_e64 v35, 0, v35, s[6:7]
	v_add_f32_e32 v58, v58, v35
	ds_bpermute_b32 v57, v57, v58
	s_load_dword s7, s[0:1], 0x98
	v_cmp_gt_u32_e32 vcc, 16, v55
	s_waitcnt lgkmcnt(0)
	s_barrier
	v_add_f32_e32 v58, v58, v57
	ds_bpermute_b32 v59, v59, v58
	v_lshlrev_b32_e32 v57, 2, v44
	s_waitcnt lgkmcnt(0)
	s_and_saveexec_b64 s[4:5], vcc
	s_cbranch_execz .LBB451_15
; %bb.14:
	v_add_f32_e32 v55, v58, v59
	v_lshl_or_b32 v58, v45, 6, v57
	ds_write2st64_b32 v58, v56, v55 offset1:1
.LBB451_15:
	s_or_b64 exec, exec, s[4:5]
	s_load_dword s6, s[0:1], 0x94
	s_waitcnt lgkmcnt(0)
	s_barrier
	ds_read2_b32 v[58:59], v57 offset1:16
	ds_read2_b32 v[60:61], v57 offset0:32 offset1:48
	ds_read2_b32 v[62:63], v57 offset0:64 offset1:80
	s_movk_i32 s8, 0x7fff
	s_mov_b32 s9, 0x7060302
	s_waitcnt lgkmcnt(2)
	v_max3_f32 v55, v58, s33, v59
	s_waitcnt lgkmcnt(1)
	v_max3_f32 v55, v55, v60, v61
	v_sub_f32_e32 v56, v58, v55
	v_mul_f32_e32 v56, 0x3fb8aa3b, v56
	v_exp_f32_e32 v64, v56
	v_sub_f32_e32 v56, v59, v55
	v_mul_f32_e32 v56, 0x3fb8aa3b, v56
	v_exp_f32_e32 v65, v56
	;; [unrolled: 3-line block ×3, first 2 shown]
	ds_read2_b32 v[58:59], v57 offset0:96 offset1:112
	v_sub_f32_e32 v56, v61, v55
	v_mul_f32_e32 v56, 0x3fb8aa3b, v56
	v_exp_f32_e32 v57, v56
	s_waitcnt lgkmcnt(1)
	v_fma_f32 v56, v64, v62, 0
	v_fmac_f32_e32 v56, v65, v63
	s_waitcnt lgkmcnt(0)
	v_fmac_f32_e32 v56, v60, v58
	v_fmac_f32_e32 v56, v57, v59
	v_add_f32_e32 v58, 0x358637bd, v56
	v_div_scale_f32 v59, s[4:5], v58, v58, 1.0
	v_rcp_f32_e32 v61, v59
	s_mul_i32 s7, s7, 12
	s_barrier
	v_fma_f32 v62, -v59, v61, 1.0
	v_fmac_f32_e32 v61, v62, v61
	v_div_scale_f32 v62, vcc, 1.0, v58, 1.0
	v_mul_f32_e32 v63, v62, v61
	v_fma_f32 v66, -v59, v63, v62
	v_fmac_f32_e32 v63, v66, v61
	v_fma_f32 v59, -v59, v63, v62
	v_div_fmas_f32 v59, v59, v61, v63
	v_cmp_eq_u32_e32 vcc, 1, v45
	v_div_fixup_f32 v58, v59, v58, 1.0
	s_nop 0
	v_cndmask_b32_e32 v59, v64, v65, vcc
	v_cmp_eq_u32_e32 vcc, 2, v45
	s_nop 1
	v_cndmask_b32_e32 v59, v59, v60, vcc
	v_cmp_eq_u32_e32 vcc, 3, v45
	v_lshlrev_b32_e32 v45, 11, v45
	s_nop 0
	v_cndmask_b32_e32 v57, v59, v57, vcc
	v_mul_f32_e32 v58, v57, v58
	v_pk_mul_f32 v[46:47], v[58:59], v[46:47] op_sel_hi:[0,1]
	v_pk_mul_f32 v[52:53], v[58:59], v[52:53] op_sel_hi:[0,1]
	v_bfe_u32 v57, v47, 16, 1
	v_bfe_u32 v59, v46, 16, 1
	v_add3_u32 v46, v46, v59, s8
	v_add3_u32 v47, v47, v57, s8
	v_perm_b32 v60, v47, v46, s9
	v_bfe_u32 v46, v53, 16, 1
	v_bfe_u32 v47, v52, 16, 1
	v_add3_u32 v47, v52, v47, s8
	v_add3_u32 v46, v53, v46, s8
	v_perm_b32 v61, v46, v47, s9
	v_lshlrev_b32_e32 v46, 3, v1
	v_pk_mul_f32 v[50:51], v[58:59], v[50:51] op_sel_hi:[0,1]
	v_or3_b32 v46, v45, v43, v46
	v_bfe_u32 v45, v51, 16, 1
	v_bfe_u32 v47, v50, 16, 1
	v_pk_mul_f32 v[48:49], v[58:59], v[48:49] op_sel_hi:[0,1]
	v_add3_u32 v47, v50, v47, s8
	v_add3_u32 v45, v51, v45, s8
	v_perm_b32 v50, v45, v47, s9
	v_bfe_u32 v45, v49, 16, 1
	v_bfe_u32 v47, v48, 16, 1
	v_add3_u32 v47, v48, v47, s8
	v_add3_u32 v45, v49, v45, s8
	v_pk_mul_f32 v[40:41], v[58:59], v[40:41] op_sel_hi:[0,1]
	v_perm_b32 v51, v45, v47, s9
	v_bfe_u32 v45, v41, 16, 1
	v_bfe_u32 v47, v40, 16, 1
	v_pk_mul_f32 v[38:39], v[58:59], v[38:39] op_sel_hi:[0,1]
	v_add3_u32 v40, v40, v47, s8
	v_add3_u32 v41, v41, v45, s8
	v_perm_b32 v40, v41, v40, s9
	v_bfe_u32 v41, v39, 16, 1
	v_bfe_u32 v45, v38, 16, 1
	v_add3_u32 v38, v38, v45, s8
	v_add3_u32 v39, v39, v41, s8
	v_pk_mul_f32 v[36:37], v[58:59], v[36:37] op_sel_hi:[0,1]
	v_perm_b32 v41, v39, v38, s9
	v_bfe_u32 v38, v37, 16, 1
	v_bfe_u32 v39, v36, 16, 1
	v_pk_mul_f32 v[34:35], v[58:59], v[34:35] op_sel_hi:[0,1]
	v_add3_u32 v36, v36, v39, s8
	v_add3_u32 v37, v37, v38, s8
	v_perm_b32 v36, v37, v36, s9
	v_bfe_u32 v37, v35, 16, 1
	v_bfe_u32 v38, v34, 16, 1
	v_add3_u32 v34, v34, v38, s8
	v_add3_u32 v35, v35, v37, s8
	v_perm_b32 v37, v35, v34, s9
	v_cmp_gt_u32_e32 vcc, 12, v0
	ds_write2st64_b64 v46, v[60:61], v[50:51] offset1:1
	ds_write2st64_b64 v46, v[40:41], v[36:37] offset0:2 offset1:3
	s_and_saveexec_b64 s[4:5], vcc
	s_cbranch_execz .LBB451_17
; %bb.16:
	s_mov_b32 s43, 0
	v_mov_b32_e32 v45, 0
	v_lshl_add_u64 v[34:35], s[42:43], 0, v[44:45]
	v_mov_b32_e32 v36, s7
	v_mad_u64_u32 v[34:35], s[10:11], s2, v36, v[34:35]
	s_mul_i32 s3, s3, s7
	v_mov_b32_e32 v44, s28
	s_load_dwordx4 s[12:15], s[0:1], 0x58
	v_add_u32_e32 v37, s3, v35
	v_mad_u64_u32 v[34:35], s[10:11], v34, s6, v[44:45]
	v_mov_b32_e32 v36, v35
	v_mad_u64_u32 v[36:37], s[10:11], v37, s6, v[36:37]
	v_mov_b32_e32 v35, v36
	v_lshlrev_b64 v[34:35], 2, v[34:35]
	s_waitcnt lgkmcnt(0)
	v_lshl_add_u64 v[36:37], s[14:15], 0, v[34:35]
	v_lshl_add_u64 v[34:35], s[12:13], 0, v[34:35]
	global_store_dword v[36:37], v55, off
	global_store_dword v[34:35], v56, off
.LBB451_17:
	s_or_b64 exec, exec, s[4:5]
	v_lshl_or_b32 v43, v1, 9, v43
	s_waitcnt lgkmcnt(0)
	s_barrier
	ds_read_b128 v[34:37], v43
	ds_read_b128 v[38:41], v43 offset:16
	s_waitcnt vmcnt(7) lgkmcnt(1)
	v_mfma_f32_16x16x16_bf16 v[48:51], v[6:7], v[34:35], 0
	v_cmp_gt_u32_e32 vcc, 64, v0
	s_mov_b32 s3, 0
	s_and_b64 s[4:5], vcc, s[30:31]
	v_mfma_f32_16x16x16_bf16 v[6:9], v[8:9], v[36:37], v[48:51]
	s_waitcnt vmcnt(6) lgkmcnt(0)
	v_mfma_f32_16x16x16_bf16 v[6:9], v[2:3], v[38:39], v[6:9]
	v_mfma_f32_16x16x16_bf16 v[2:5], v[4:5], v[40:41], v[6:9]
	s_nop 5
	ds_read_b128 v[6:9], v43 offset:2048
	ds_read_b128 v[34:37], v43 offset:2064
	s_waitcnt vmcnt(5) lgkmcnt(1)
	v_mfma_f32_16x16x16_bf16 v[2:5], v[30:31], v[6:7], v[2:5]
	v_mfma_f32_16x16x16_bf16 v[2:5], v[32:33], v[8:9], v[2:5]
	s_waitcnt vmcnt(4) lgkmcnt(0)
	v_mfma_f32_16x16x16_bf16 v[2:5], v[26:27], v[34:35], v[2:5]
	v_mfma_f32_16x16x16_bf16 v[2:5], v[28:29], v[36:37], v[2:5]
	ds_read_b128 v[6:9], v43 offset:4096
	ds_read_b128 v[26:29], v43 offset:4112
	s_waitcnt vmcnt(3) lgkmcnt(1)
	v_mfma_f32_16x16x16_bf16 v[2:5], v[22:23], v[6:7], v[2:5]
	v_mfma_f32_16x16x16_bf16 v[2:5], v[24:25], v[8:9], v[2:5]
	s_waitcnt vmcnt(2) lgkmcnt(0)
	v_mfma_f32_16x16x16_bf16 v[2:5], v[18:19], v[26:27], v[2:5]
	v_mfma_f32_16x16x16_bf16 v[2:5], v[20:21], v[28:29], v[2:5]
	ds_read_b128 v[6:9], v43 offset:6144
	ds_read_b128 v[18:21], v43 offset:6160
	v_mov_b32_e32 v43, 0
	s_waitcnt vmcnt(1) lgkmcnt(0)
	v_mfma_f32_16x16x16_bf16 v[2:5], v[14:15], v[6:7], v[2:5]
	s_barrier
	v_mfma_f32_16x16x16_bf16 v[2:5], v[16:17], v[8:9], v[2:5]
	s_waitcnt vmcnt(0)
	v_mfma_f32_16x16x16_bf16 v[2:5], v[10:11], v[18:19], v[2:5]
	v_mfma_f32_16x16x16_bf16 v[2:5], v[12:13], v[20:21], v[2:5]
	s_nop 6
	v_bfe_u32 v6, v3, 16, 1
	v_bfe_u32 v7, v2, 16, 1
	;; [unrolled: 1-line block ×4, first 2 shown]
	v_add3_u32 v2, v2, v7, s8
	v_add3_u32 v3, v3, v6, s8
	;; [unrolled: 1-line block ×4, first 2 shown]
	v_perm_b32 v2, v3, v2, s9
	v_perm_b32 v3, v5, v4, s9
	ds_write_b64 v46, v[2:3]
	s_waitcnt lgkmcnt(0)
	s_barrier
	s_and_saveexec_b64 s[8:9], s[4:5]
	s_cbranch_execz .LBB451_19
; %bb.18:
	s_load_dwordx2 s[0:1], s[0:1], 0x68
	s_lshl_b32 s6, s6, 6
	s_mul_i32 s2, s7, s2
	s_mul_hi_u32 s5, s2, s6
	s_mul_i32 s4, s2, s6
	s_lshl_b64 s[4:5], s[4:5], 1
	s_waitcnt lgkmcnt(0)
	s_add_u32 s4, s0, s4
	v_lshlrev_b32_e32 v0, 10, v0
	s_addc_u32 s5, s1, s5
	s_lshl_b32 s2, s28, 6
	v_and_b32_e32 v0, 0x1800, v0
	v_lshlrev_b32_e32 v2, 5, v1
	v_and_b32_e32 v3, 16, v54
	s_lshl_b64 s[0:1], s[2:3], 1
	v_or3_b32 v0, v0, v2, v3
	s_add_u32 s0, s4, s0
	ds_read_b128 v[2:5], v0
	ds_read_b128 v[6:9], v0 offset:128
	ds_read_b128 v[10:13], v0 offset:256
	s_addc_u32 s1, s5, s1
	v_or_b32_e32 v16, s42, v1
	v_lshl_add_u64 v[0:1], s[0:1], 0, v[42:43]
	v_mad_u64_u32 v[14:15], s[0:1], v16, s6, 0
	v_lshl_add_u64 v[14:15], v[14:15], 1, v[0:1]
	s_waitcnt lgkmcnt(2)
	global_store_dwordx4 v[14:15], v[2:5], off
	s_nop 1
	v_add_u32_e32 v2, 4, v16
	v_mad_u64_u32 v[2:3], s[0:1], v2, s6, 0
	v_lshl_add_u64 v[2:3], v[2:3], 1, v[0:1]
	s_waitcnt lgkmcnt(1)
	global_store_dwordx4 v[2:3], v[6:9], off
	v_add_u32_e32 v2, 8, v16
	v_mad_u64_u32 v[2:3], s[0:1], v2, s6, 0
	v_lshl_add_u64 v[0:1], v[2:3], 1, v[0:1]
	s_waitcnt lgkmcnt(0)
	global_store_dwordx4 v[0:1], v[10:13], off
.LBB451_19:
	s_endpgm
	.section	.rodata,"a",@progbits
	.p2align	6, 0x0
	.amdhsa_kernel _Z39paged_attention_ll4mi_QKV_mfma16_kernelI14__hip_bfloat16S0_LN4vllm18Fp8KVCacheDataTypeE0ES0_Li16ELi64ELi256ELb1ELi12EEvPKT_PKT0_S8_ifPKiSA_SA_iPKfiiiPfSD_PS3_PT2_iSC_SC_
		.amdhsa_group_segment_fixed_size 8192
		.amdhsa_private_segment_fixed_size 0
		.amdhsa_kernarg_size 400
		.amdhsa_user_sgpr_count 2
		.amdhsa_user_sgpr_dispatch_ptr 0
		.amdhsa_user_sgpr_queue_ptr 0
		.amdhsa_user_sgpr_kernarg_segment_ptr 1
		.amdhsa_user_sgpr_dispatch_id 0
		.amdhsa_user_sgpr_kernarg_preload_length 0
		.amdhsa_user_sgpr_kernarg_preload_offset 0
		.amdhsa_user_sgpr_private_segment_size 0
		.amdhsa_uses_dynamic_stack 0
		.amdhsa_enable_private_segment 0
		.amdhsa_system_sgpr_workgroup_id_x 1
		.amdhsa_system_sgpr_workgroup_id_y 1
		.amdhsa_system_sgpr_workgroup_id_z 1
		.amdhsa_system_sgpr_workgroup_info 0
		.amdhsa_system_vgpr_workitem_id 0
		.amdhsa_next_free_vgpr 72
		.amdhsa_next_free_sgpr 48
		.amdhsa_accum_offset 72
		.amdhsa_reserve_vcc 1
		.amdhsa_float_round_mode_32 0
		.amdhsa_float_round_mode_16_64 0
		.amdhsa_float_denorm_mode_32 3
		.amdhsa_float_denorm_mode_16_64 3
		.amdhsa_dx10_clamp 1
		.amdhsa_ieee_mode 1
		.amdhsa_fp16_overflow 0
		.amdhsa_tg_split 0
		.amdhsa_exception_fp_ieee_invalid_op 0
		.amdhsa_exception_fp_denorm_src 0
		.amdhsa_exception_fp_ieee_div_zero 0
		.amdhsa_exception_fp_ieee_overflow 0
		.amdhsa_exception_fp_ieee_underflow 0
		.amdhsa_exception_fp_ieee_inexact 0
		.amdhsa_exception_int_div_zero 0
	.end_amdhsa_kernel
	.section	.text._Z39paged_attention_ll4mi_QKV_mfma16_kernelI14__hip_bfloat16S0_LN4vllm18Fp8KVCacheDataTypeE0ES0_Li16ELi64ELi256ELb1ELi12EEvPKT_PKT0_S8_ifPKiSA_SA_iPKfiiiPfSD_PS3_PT2_iSC_SC_,"axG",@progbits,_Z39paged_attention_ll4mi_QKV_mfma16_kernelI14__hip_bfloat16S0_LN4vllm18Fp8KVCacheDataTypeE0ES0_Li16ELi64ELi256ELb1ELi12EEvPKT_PKT0_S8_ifPKiSA_SA_iPKfiiiPfSD_PS3_PT2_iSC_SC_,comdat
.Lfunc_end451:
	.size	_Z39paged_attention_ll4mi_QKV_mfma16_kernelI14__hip_bfloat16S0_LN4vllm18Fp8KVCacheDataTypeE0ES0_Li16ELi64ELi256ELb1ELi12EEvPKT_PKT0_S8_ifPKiSA_SA_iPKfiiiPfSD_PS3_PT2_iSC_SC_, .Lfunc_end451-_Z39paged_attention_ll4mi_QKV_mfma16_kernelI14__hip_bfloat16S0_LN4vllm18Fp8KVCacheDataTypeE0ES0_Li16ELi64ELi256ELb1ELi12EEvPKT_PKT0_S8_ifPKiSA_SA_iPKfiiiPfSD_PS3_PT2_iSC_SC_
                                        ; -- End function
	.section	.AMDGPU.csdata,"",@progbits
; Kernel info:
; codeLenInByte = 4328
; NumSgprs: 54
; NumVgprs: 72
; NumAgprs: 0
; TotalNumVgprs: 72
; ScratchSize: 0
; MemoryBound: 0
; FloatMode: 240
; IeeeMode: 1
; LDSByteSize: 8192 bytes/workgroup (compile time only)
; SGPRBlocks: 6
; VGPRBlocks: 8
; NumSGPRsForWavesPerEU: 54
; NumVGPRsForWavesPerEU: 72
; AccumOffset: 72
; Occupancy: 7
; WaveLimiterHint : 1
; COMPUTE_PGM_RSRC2:SCRATCH_EN: 0
; COMPUTE_PGM_RSRC2:USER_SGPR: 2
; COMPUTE_PGM_RSRC2:TRAP_HANDLER: 0
; COMPUTE_PGM_RSRC2:TGID_X_EN: 1
; COMPUTE_PGM_RSRC2:TGID_Y_EN: 1
; COMPUTE_PGM_RSRC2:TGID_Z_EN: 1
; COMPUTE_PGM_RSRC2:TIDIG_COMP_CNT: 0
; COMPUTE_PGM_RSRC3_GFX90A:ACCUM_OFFSET: 17
; COMPUTE_PGM_RSRC3_GFX90A:TG_SPLIT: 0
	.section	.text._Z39paged_attention_ll4mi_QKV_mfma16_kernelI14__hip_bfloat16S0_LN4vllm18Fp8KVCacheDataTypeE0ES0_Li16ELi64ELi256ELb1ELi13EEvPKT_PKT0_S8_ifPKiSA_SA_iPKfiiiPfSD_PS3_PT2_iSC_SC_,"axG",@progbits,_Z39paged_attention_ll4mi_QKV_mfma16_kernelI14__hip_bfloat16S0_LN4vllm18Fp8KVCacheDataTypeE0ES0_Li16ELi64ELi256ELb1ELi13EEvPKT_PKT0_S8_ifPKiSA_SA_iPKfiiiPfSD_PS3_PT2_iSC_SC_,comdat
	.protected	_Z39paged_attention_ll4mi_QKV_mfma16_kernelI14__hip_bfloat16S0_LN4vllm18Fp8KVCacheDataTypeE0ES0_Li16ELi64ELi256ELb1ELi13EEvPKT_PKT0_S8_ifPKiSA_SA_iPKfiiiPfSD_PS3_PT2_iSC_SC_ ; -- Begin function _Z39paged_attention_ll4mi_QKV_mfma16_kernelI14__hip_bfloat16S0_LN4vllm18Fp8KVCacheDataTypeE0ES0_Li16ELi64ELi256ELb1ELi13EEvPKT_PKT0_S8_ifPKiSA_SA_iPKfiiiPfSD_PS3_PT2_iSC_SC_
	.globl	_Z39paged_attention_ll4mi_QKV_mfma16_kernelI14__hip_bfloat16S0_LN4vllm18Fp8KVCacheDataTypeE0ES0_Li16ELi64ELi256ELb1ELi13EEvPKT_PKT0_S8_ifPKiSA_SA_iPKfiiiPfSD_PS3_PT2_iSC_SC_
	.p2align	8
	.type	_Z39paged_attention_ll4mi_QKV_mfma16_kernelI14__hip_bfloat16S0_LN4vllm18Fp8KVCacheDataTypeE0ES0_Li16ELi64ELi256ELb1ELi13EEvPKT_PKT0_S8_ifPKiSA_SA_iPKfiiiPfSD_PS3_PT2_iSC_SC_,@function
_Z39paged_attention_ll4mi_QKV_mfma16_kernelI14__hip_bfloat16S0_LN4vllm18Fp8KVCacheDataTypeE0ES0_Li16ELi64ELi256ELb1ELi13EEvPKT_PKT0_S8_ifPKiSA_SA_iPKfiiiPfSD_PS3_PT2_iSC_SC_: ; @_Z39paged_attention_ll4mi_QKV_mfma16_kernelI14__hip_bfloat16S0_LN4vllm18Fp8KVCacheDataTypeE0ES0_Li16ELi64ELi256ELb1ELi13EEvPKT_PKT0_S8_ifPKiSA_SA_iPKfiiiPfSD_PS3_PT2_iSC_SC_
; %bb.0:
	s_load_dwordx2 s[8:9], s[0:1], 0x30
	s_mov_b32 s28, s3
	s_mov_b64 s[6:7], 0
	s_waitcnt lgkmcnt(0)
	s_cmp_lg_u64 s[8:9], 0
	s_cselect_b64 s[10:11], -1, 0
	s_and_b64 vcc, exec, s[10:11]
	s_cbranch_vccz .LBB452_7
; %bb.1:
	s_add_i32 s12, s2, 1
	s_mov_b32 s13, 0
	s_lshl_b64 s[14:15], s[12:13], 2
	s_add_u32 s14, s8, s14
	s_mov_b32 s3, s13
	s_addc_u32 s15, s9, s15
	s_lshl_b64 s[12:13], s[2:3], 2
	s_add_u32 s12, s8, s12
	s_addc_u32 s13, s9, s13
	s_load_dword s5, s[14:15], 0x0
	s_load_dword s16, s[12:13], 0x0
	s_waitcnt lgkmcnt(0)
	s_sub_i32 s5, s5, s16
	s_cmp_eq_u32 s5, 1
	s_cselect_b64 s[12:13], -1, 0
	s_andn2_b64 vcc, exec, s[6:7]
	s_cbranch_vccnz .LBB452_3
.LBB452_2:
	s_mov_b32 s3, 0
	s_mov_b64 s[12:13], -1
.LBB452_3:
	s_andn2_b64 vcc, exec, s[12:13]
	s_cbranch_vccnz .LBB452_20
; %bb.4:
	s_load_dwordx2 s[6:7], s[0:1], 0x28
	s_lshl_b64 s[12:13], s[2:3], 2
	s_waitcnt lgkmcnt(0)
	s_add_u32 s6, s6, s12
	s_addc_u32 s7, s7, s13
	s_load_dword s29, s[6:7], 0x0
	s_lshl_b32 s16, s28, 8
	s_waitcnt lgkmcnt(0)
	s_cmp_ge_i32 s16, s29
	s_cbranch_scc1 .LBB452_20
; %bb.5:
	s_load_dwordx2 s[6:7], s[0:1], 0x20
	s_load_dword s5, s[0:1], 0x38
	s_add_i32 s14, s29, 15
	s_ashr_i32 s15, s14, 31
	v_and_b32_e32 v1, 0xcf, v0
	s_lshr_b32 s15, s15, 28
	v_add_u32_e32 v1, s16, v1
	s_add_i32 s14, s14, s15
	v_ashrrev_i32_e32 v2, 31, v1
	s_ashr_i32 s17, s14, 4
	v_lshrrev_b32_e32 v6, 28, v2
	s_add_i32 s17, s17, -1
	s_waitcnt lgkmcnt(0)
	s_mul_i32 s14, s2, s5
	s_mov_b32 s15, 0
	v_add_u32_e32 v2, v1, v6
	s_lshl_b64 s[14:15], s[14:15], 2
	v_ashrrev_i32_e32 v2, 4, v2
	v_mov_b32_e32 v7, s17
	v_cmp_gt_i32_e32 vcc, s29, v1
	s_add_u32 s6, s6, s14
	s_addc_u32 s7, s7, s15
	v_cndmask_b32_e32 v2, v7, v2, vcc
	v_ashrrev_i32_e32 v3, 31, v2
	v_lshl_add_u64 v[4:5], v[2:3], 2, s[6:7]
	v_or_b32_e32 v2, 16, v1
	v_add_u32_e32 v3, v2, v6
	v_ashrrev_i32_e32 v3, 4, v3
	v_cmp_gt_i32_e32 vcc, s29, v2
	s_load_dwordx2 s[14:15], s[0:1], 0x8
	s_nop 0
	v_cndmask_b32_e32 v2, v7, v3, vcc
	v_ashrrev_i32_e32 v3, 31, v2
	v_lshl_add_u64 v[8:9], v[2:3], 2, s[6:7]
	v_or_b32_e32 v2, 32, v1
	v_add_u32_e32 v3, v2, v6
	v_ashrrev_i32_e32 v3, 4, v3
	v_cmp_gt_i32_e32 vcc, s29, v2
	v_or_b32_e32 v1, 48, v1
	s_nop 0
	v_cndmask_b32_e32 v2, v7, v3, vcc
	v_ashrrev_i32_e32 v3, 31, v2
	v_lshl_add_u64 v[10:11], v[2:3], 2, s[6:7]
	v_add_u32_e32 v2, v1, v6
	v_ashrrev_i32_e32 v2, 4, v2
	v_cmp_gt_i32_e32 vcc, s29, v1
	s_nop 1
	v_cndmask_b32_e32 v2, v7, v2, vcc
	v_ashrrev_i32_e32 v3, 31, v2
	v_lshl_add_u64 v[12:13], v[2:3], 2, s[6:7]
	global_load_dword v3, v[4:5], off
	global_load_dword v2, v[8:9], off
	;; [unrolled: 1-line block ×4, first 2 shown]
	s_andn2_b64 vcc, exec, s[10:11]
	s_cbranch_vccnz .LBB452_8
; %bb.6:
	s_add_u32 s8, s8, s12
	s_addc_u32 s9, s9, s13
	s_load_dword s5, s[8:9], 0x0
	s_branch .LBB452_9
.LBB452_7:
	s_mov_b64 s[12:13], 0
	s_branch .LBB452_2
.LBB452_8:
	s_mov_b32 s5, s2
.LBB452_9:
	s_load_dwordx2 s[8:9], s[0:1], 0x10
	s_load_dwordx4 s[44:47], s[0:1], 0x48
	v_lshrrev_b32_e32 v45, 6, v0
	v_bfe_u32 v54, v0, 4, 2
	v_lshl_or_b32 v1, v45, 2, v54
	v_and_b32_e32 v44, 15, v0
	v_lshlrev_b32_e32 v4, 3, v44
	v_cmp_gt_u32_e32 vcc, 13, v1
	v_cmp_gt_u32_e64 s[30:31], 8, v44
	s_mul_i32 s42, s4, 13
	s_and_b64 s[12:13], s[30:31], vcc
	v_lshlrev_b32_e32 v42, 1, v4
	s_and_saveexec_b64 s[10:11], s[12:13]
	s_cbranch_execz .LBB452_11
; %bb.10:
	s_load_dwordx2 s[12:13], s[0:1], 0x0
	s_waitcnt lgkmcnt(0)
	s_ashr_i32 s18, s44, 31
	s_mul_hi_u32 s19, s5, s44
	s_mul_i32 s18, s5, s18
	s_add_i32 s19, s19, s18
	s_mul_i32 s18, s5, s44
	s_lshl_b64 s[18:19], s[18:19], 1
	s_add_u32 s12, s12, s18
	v_add_lshl_u32 v4, v1, s42, 6
	s_addc_u32 s13, s13, s19
	v_ashrrev_i32_e32 v5, 31, v4
	v_lshl_add_u64 v[4:5], v[4:5], 1, s[12:13]
	v_mov_b32_e32 v43, 0
	v_lshl_add_u64 v[4:5], v[4:5], 0, v[42:43]
	global_load_dwordx4 v[8:11], v[4:5], off
	v_and_b32_e32 v4, 3, v0
	v_lshlrev_b32_e32 v5, 9, v44
	v_lshlrev_b32_e32 v1, 5, v1
	;; [unrolled: 1-line block ×3, first 2 shown]
	v_and_b32_e32 v5, 0x1800, v5
	v_or3_b32 v1, v5, v4, v1
	s_waitcnt vmcnt(0)
	ds_write_b128 v1, v[8:11]
.LBB452_11:
	s_or_b64 exec, exec, s[10:11]
	s_waitcnt lgkmcnt(0)
	s_mul_i32 s4, s4, s46
	s_mov_b32 s5, 0
	s_lshl_b64 s[4:5], s[4:5], 1
	s_add_u32 s10, s14, s4
	v_lshlrev_b32_e32 v1, 4, v0
	s_addc_u32 s11, s15, s5
	v_and_b32_e32 v46, 0xf0, v1
	v_mov_b32_e32 v47, 0
	v_lshl_add_u64 v[16:17], s[10:11], 0, v[46:47]
	s_waitcnt vmcnt(3)
	v_mad_i64_i32 v[4:5], s[10:11], v3, s45, 0
	s_waitcnt vmcnt(2)
	v_mad_i64_i32 v[2:3], s[10:11], v2, s45, 0
	;; [unrolled: 2-line block ×3, first 2 shown]
	v_lshl_add_u64 v[4:5], v[4:5], 1, v[16:17]
	v_and_b32_e32 v46, 0x300, v1
	v_lshl_add_u64 v[2:3], v[2:3], 1, v[16:17]
	v_lshl_add_u64 v[6:7], v[6:7], 1, v[16:17]
	s_waitcnt vmcnt(0)
	v_mad_i64_i32 v[14:15], s[10:11], v14, s45, 0
	v_lshl_add_u64 v[4:5], v[4:5], 0, v[46:47]
	v_lshl_add_u64 v[8:9], v[2:3], 0, v[46:47]
	;; [unrolled: 1-line block ×4, first 2 shown]
	s_barrier
	global_load_dwordx4 v[30:33], v[4:5], off
	global_load_dwordx4 v[10:13], v[4:5], off offset:1024
	global_load_dwordx4 v[22:25], v[8:9], off
	s_nop 0
	global_load_dwordx4 v[2:5], v[8:9], off offset:1024
	global_load_dwordx4 v[26:29], v[18:19], off
	s_nop 0
	global_load_dwordx4 v[6:9], v[18:19], off offset:1024
	v_lshl_add_u64 v[18:19], v[14:15], 0, v[46:47]
	global_load_dwordx4 v[34:37], v[18:19], off
	global_load_dwordx4 v[14:17], v[18:19], off offset:1024
	v_add_u32_e32 v18, -13, v44
	v_cmp_gt_u32_e32 vcc, 13, v44
	v_and_b32_e32 v55, 63, v0
	v_mov_b32_e32 v56, 0
	v_cndmask_b32_e32 v18, v18, v44, vcc
	v_lshlrev_b32_e32 v18, 5, v18
	v_lshl_add_u32 v18, v54, 9, v18
	ds_read_b128 v[38:41], v18
	ds_read_b128 v[18:21], v18 offset:2048
	s_and_saveexec_b64 s[10:11], vcc
	s_cbranch_execz .LBB452_13
; %bb.12:
	s_load_dwordx2 s[12:13], s[0:1], 0x40
	v_add_u32_e32 v48, s42, v44
	v_ashrrev_i32_e32 v49, 31, v48
	s_waitcnt lgkmcnt(0)
	v_lshl_add_u64 v[48:49], v[48:49], 2, s[12:13]
	global_load_dword v56, v[48:49], off
.LBB452_13:
	s_or_b64 exec, exec, s[10:11]
	v_and_or_b32 v46, v0, 48, s16
	v_ashrrev_i32_e32 v43, 4, v46
	v_mov_b32_e32 v57, s17
	v_cmp_gt_i32_e32 vcc, s29, v46
	s_waitcnt vmcnt(5) lgkmcnt(1)
	v_mfma_f32_16x16x16_bf16 v[58:61], v[22:23], v[38:39], 0
	s_load_dword s10, s[0:1], 0x1c
	v_cndmask_b32_e32 v48, v57, v43, vcc
	v_ashrrev_i32_e32 v49, 31, v48
	v_or_b32_e32 v43, 64, v46
	v_lshl_add_u64 v[52:53], v[48:49], 2, s[6:7]
	v_mfma_f32_16x16x16_bf16 v[48:51], v[30:31], v[38:39], 0
	v_ashrrev_i32_e32 v30, 4, v43
	v_cmp_gt_i32_e32 vcc, s29, v43
	global_load_dword v70, v[52:53], off
	s_waitcnt vmcnt(4)
	v_mfma_f32_16x16x16_bf16 v[62:65], v[26:27], v[38:39], 0
	v_cndmask_b32_e32 v30, v57, v30, vcc
	v_ashrrev_i32_e32 v31, 31, v30
	v_lshl_add_u64 v[22:23], v[30:31], 2, s[6:7]
	global_load_dword v71, v[22:23], off
	v_mfma_f32_16x16x16_bf16 v[22:25], v[24:25], v[40:41], v[58:61]
	v_and_b32_e32 v26, 0xc0, v0
	s_add_u32 s4, s8, s4
	v_lshlrev_b32_e32 v43, 5, v44
	v_mfma_f32_16x16x16_bf16 v[30:33], v[32:33], v[40:41], v[48:51]
	s_addc_u32 s5, s9, s5
	s_mov_b32 s33, 0xff7fffff
	s_waitcnt vmcnt(3)
	v_mfma_f32_16x16x16_bf16 v[66:69], v[34:35], v[38:39], 0
	v_or_b32_e32 v38, 0x80, v46
	v_add_u32_e32 v48, s16, v26
	v_or_b32_e32 v39, 0xc0, v46
	v_mfma_f32_16x16x16_bf16 v[26:29], v[28:29], v[40:41], v[62:65]
	v_ashrrev_i32_e32 v49, 4, v38
	v_cmp_gt_i32_e32 vcc, s29, v38
	v_ashrrev_i32_e32 v50, 4, v39
	s_waitcnt lgkmcnt(0)
	v_mfma_f32_16x16x16_bf16 v[22:25], v[2:3], v[18:19], v[22:25]
	v_cndmask_b32_e32 v38, v57, v49, vcc
	v_cmp_gt_i32_e32 vcc, s29, v39
	v_ashrrev_i32_e32 v39, 31, v38
	v_mfma_f32_16x16x16_bf16 v[30:33], v[10:11], v[18:19], v[30:33]
	v_cndmask_b32_e32 v10, v57, v50, vcc
	v_ashrrev_i32_e32 v11, 31, v10
	v_lshl_or_b32 v58, v54, 2, v48
	v_mfma_f32_16x16x16_bf16 v[26:29], v[6:7], v[18:19], v[26:29]
	v_lshl_add_u64 v[6:7], v[38:39], 2, s[6:7]
	v_lshl_add_u64 v[38:39], v[10:11], 2, s[6:7]
	v_or_b32_e32 v57, 1, v58
	v_mfma_f32_16x16x16_bf16 v[2:5], v[4:5], v[20:21], v[22:25]
	s_nop 2
	global_load_dword v22, v[6:7], off
	global_load_dword v61, v[38:39], off
	v_subrev_u32_e32 v59, s29, v57
	v_cvt_f32_i32_e32 v60, v59
	v_mfma_f32_16x16x16_bf16 v[34:37], v[36:37], v[40:41], v[66:69]
	v_pk_mul_f32 v[48:49], s[10:11], v[4:5] op_sel_hi:[0,1]
	v_lshl_or_b32 v46, v45, 9, v43
	v_lshl_add_u64 v[46:47], s[4:5], 0, v[46:47]
	s_waitcnt vmcnt(4)
	v_mfma_f32_16x16x16_bf16 v[34:37], v[14:15], v[18:19], v[34:37]
	v_add_u32_e32 v14, 1, v59
	v_add_u32_e32 v15, 2, v59
	v_cvt_f32_i32_e32 v23, v14
	v_cvt_f32_i32_e32 v24, v15
	v_mfma_f32_16x16x16_bf16 v[14:17], v[16:17], v[20:21], v[34:37]
	v_add_u32_e32 v18, 3, v59
	v_cvt_f32_i32_e32 v18, v18
	v_pk_mul_f32 v[50:51], s[10:11], v[2:3] op_sel_hi:[0,1]
	v_mfma_f32_16x16x16_bf16 v[10:13], v[12:13], v[20:21], v[30:33]
	v_cmp_gt_i32_e64 s[34:35], s29, v57
	s_nop 1
	v_pk_mul_f32 v[36:37], s[10:11], v[14:15] op_sel_hi:[0,1]
	v_add_u32_e32 v15, 19, v59
	v_add_u32_e32 v31, 18, v59
	v_cvt_f32_i32_e32 v14, v31
	v_cvt_f32_i32_e32 v15, v15
	v_mfma_f32_16x16x16_bf16 v[6:9], v[8:9], v[20:21], v[26:29]
	v_pk_mul_f32 v[34:35], s[10:11], v[16:17] op_sel_hi:[0,1]
	v_fma_f32 v48, v56, v14, v48
	v_add_u32_e32 v14, 32, v59
	v_fmac_f32_e32 v49, v56, v15
	v_cvt_f32_i32_e32 v14, v14
	v_add_u32_e32 v15, 33, v59
	v_add_u32_e32 v16, 34, v59
	v_cvt_f32_i32_e32 v15, v15
	v_cvt_f32_i32_e32 v16, v16
	v_add_u32_e32 v17, 35, v59
	v_cvt_f32_i32_e32 v17, v17
	v_pk_mul_f32 v[40:41], s[10:11], v[6:7] op_sel_hi:[0,1]
	v_pk_mul_f32 v[38:39], s[10:11], v[8:9] op_sel_hi:[0,1]
	v_fma_f32 v40, v56, v14, v40
	v_add_u32_e32 v14, 48, v59
	v_fmac_f32_e32 v41, v56, v15
	v_fma_f32 v38, v56, v16, v38
	v_cvt_f32_i32_e32 v14, v14
	v_add_u32_e32 v15, 49, v59
	v_add_u32_e32 v16, 50, v59
	v_fmac_f32_e32 v39, v56, v17
	v_cvt_f32_i32_e32 v15, v15
	v_cvt_f32_i32_e32 v16, v16
	v_add_u32_e32 v17, 51, v59
	v_cvt_f32_i32_e32 v17, v17
	v_pk_mul_f32 v[52:53], s[10:11], v[12:13] op_sel_hi:[0,1]
	v_pk_mul_f32 v[10:11], s[10:11], v[10:11] op_sel_hi:[0,1]
	s_waitcnt vmcnt(3)
	v_mad_i64_i32 v[2:3], s[4:5], v70, s45, 0
	s_waitcnt vmcnt(2)
	v_mad_i64_i32 v[12:13], s[4:5], v71, s45, 0
	v_fma_f32 v10, v56, v60, v10
	v_fmac_f32_e32 v11, v56, v23
	v_fma_f32 v36, v56, v14, v36
	v_mov_b32_e32 v14, 0xff7fffff
	v_cmp_gt_i32_e64 s[4:5], s29, v58
	v_add_u32_e32 v19, 16, v59
	v_add_u32_e32 v30, 17, v59
	v_fmac_f32_e32 v37, v56, v15
	v_fma_f32 v34, v56, v16, v34
	v_cndmask_b32_e64 v15, v14, v10, s[4:5]
	v_cndmask_b32_e64 v16, v14, v11, s[34:35]
	v_cvt_f32_i32_e32 v19, v19
	v_cvt_f32_i32_e32 v25, v30
	v_fmac_f32_e32 v35, v56, v17
	v_max3_f32 v15, v15, s33, v16
	v_or_b32_e32 v16, 2, v58
	v_or_b32_e32 v17, 3, v58
	v_fma_f32 v52, v56, v24, v52
	v_fmac_f32_e32 v53, v56, v18
	v_cmp_gt_i32_e64 s[36:37], s29, v16
	v_cmp_gt_i32_e64 s[38:39], s29, v17
	v_fma_f32 v50, v56, v19, v50
	v_cndmask_b32_e64 v16, v14, v52, s[36:37]
	v_cndmask_b32_e64 v17, v14, v53, s[38:39]
	v_max3_f32 v15, v15, v16, v17
	v_or_b32_e32 v16, 16, v58
	v_or_b32_e32 v17, 17, v58
	v_fmac_f32_e32 v51, v56, v25
	v_cmp_gt_i32_e64 s[24:25], s29, v16
	v_cmp_gt_i32_e64 s[26:27], s29, v17
	v_lshl_add_u64 v[2:3], v[2:3], 1, v[46:47]
	v_cndmask_b32_e64 v16, v14, v50, s[24:25]
	v_cndmask_b32_e64 v17, v14, v51, s[26:27]
	v_max3_f32 v15, v15, v16, v17
	v_or_b32_e32 v16, 18, v58
	v_or_b32_e32 v17, 19, v58
	v_cmp_gt_i32_e64 s[20:21], s29, v16
	v_cmp_gt_i32_e64 s[22:23], s29, v17
	v_lshl_add_u64 v[12:13], v[12:13], 1, v[46:47]
	v_cndmask_b32_e64 v16, v14, v48, s[20:21]
	v_cndmask_b32_e64 v17, v14, v49, s[22:23]
	v_max3_f32 v15, v15, v16, v17
	v_or_b32_e32 v16, 32, v58
	v_or_b32_e32 v17, 33, v58
	v_cmp_gt_i32_e64 s[16:17], s29, v16
	v_cmp_gt_i32_e64 s[18:19], s29, v17
	global_load_dwordx4 v[6:9], v[2:3], off
	s_nop 0
	global_load_dwordx4 v[2:5], v[2:3], off offset:16
	v_cndmask_b32_e64 v16, v14, v40, s[16:17]
	v_cndmask_b32_e64 v17, v14, v41, s[18:19]
	v_max3_f32 v15, v15, v16, v17
	v_or_b32_e32 v16, 34, v58
	v_or_b32_e32 v17, 35, v58
	v_cmp_gt_i32_e64 s[12:13], s29, v16
	v_cmp_gt_i32_e64 s[14:15], s29, v17
	global_load_dwordx4 v[30:33], v[12:13], off
	global_load_dwordx4 v[26:29], v[12:13], off offset:16
	v_cndmask_b32_e64 v16, v14, v38, s[12:13]
	v_cndmask_b32_e64 v17, v14, v39, s[14:15]
	v_max3_f32 v15, v15, v16, v17
	v_or_b32_e32 v16, 48, v58
	v_or_b32_e32 v17, 49, v58
	v_cmp_gt_i32_e64 s[8:9], s29, v16
	v_cmp_gt_i32_e64 s[10:11], s29, v17
	s_nop 0
	v_cndmask_b32_e64 v16, v14, v36, s[8:9]
	v_cndmask_b32_e64 v17, v14, v37, s[10:11]
	v_max3_f32 v15, v15, v16, v17
	v_or_b32_e32 v16, 50, v58
	v_or_b32_e32 v17, 51, v58
	v_cmp_gt_i32_e32 vcc, s29, v16
	v_cmp_gt_i32_e64 s[6:7], s29, v17
	s_nop 0
	v_cndmask_b32_e32 v16, v14, v34, vcc
	v_cndmask_b32_e64 v14, v14, v35, s[6:7]
	v_max3_f32 v14, v15, v16, v14
	v_mbcnt_lo_u32_b32 v15, -1, 0
	v_mbcnt_hi_u32_b32 v15, -1, v15
	v_and_b32_e32 v16, 64, v15
	v_add_u32_e32 v16, 64, v16
	v_xor_b32_e32 v17, 32, v15
	v_cmp_lt_i32_e64 s[40:41], v17, v16
	s_nop 1
	v_cndmask_b32_e64 v17, v15, v17, s[40:41]
	v_lshlrev_b32_e32 v57, 2, v17
	ds_bpermute_b32 v17, v57, v14
	s_waitcnt vmcnt(5)
	v_mad_i64_i32 v[12:13], s[40:41], v22, s45, 0
	v_lshl_add_u64 v[12:13], v[12:13], 1, v[46:47]
	global_load_dwordx4 v[22:25], v[12:13], off
	global_load_dwordx4 v[18:21], v[12:13], off offset:16
	s_waitcnt lgkmcnt(0)
	v_max_f32_e32 v17, v17, v17
	v_max_f32_e32 v14, v14, v17
	v_xor_b32_e32 v17, 16, v15
	v_cmp_lt_i32_e64 s[40:41], v17, v16
	s_nop 1
	v_cndmask_b32_e64 v15, v15, v17, s[40:41]
	v_lshlrev_b32_e32 v59, 2, v15
	ds_bpermute_b32 v15, v59, v14
	s_waitcnt vmcnt(6)
	v_mad_i64_i32 v[12:13], s[40:41], v61, s45, 0
	v_lshl_add_u64 v[12:13], v[12:13], 1, v[46:47]
	s_waitcnt lgkmcnt(0)
	v_max_f32_e32 v15, v15, v15
	v_max_f32_e32 v56, v14, v15
	v_sub_f32_e32 v10, v10, v56
	v_mul_f32_e32 v10, 0x3fb8aa3b, v10
	v_exp_f32_e32 v46, v10
	v_sub_f32_e32 v10, v11, v56
	v_mul_f32_e32 v10, 0x3fb8aa3b, v10
	v_exp_f32_e32 v47, v10
	global_load_dwordx4 v[14:17], v[12:13], off
	s_nop 0
	global_load_dwordx4 v[10:13], v[12:13], off offset:16
	v_sub_f32_e32 v52, v52, v56
	v_mul_f32_e32 v52, 0x3fb8aa3b, v52
	v_sub_f32_e32 v53, v53, v56
	v_exp_f32_e32 v52, v52
	v_mul_f32_e32 v53, 0x3fb8aa3b, v53
	v_sub_f32_e32 v50, v50, v56
	v_exp_f32_e32 v53, v53
	v_mul_f32_e32 v50, 0x3fb8aa3b, v50
	v_sub_f32_e32 v51, v51, v56
	v_cndmask_b32_e64 v46, 0, v46, s[4:5]
	v_exp_f32_e32 v50, v50
	v_mul_f32_e32 v51, 0x3fb8aa3b, v51
	v_sub_f32_e32 v48, v48, v56
	v_add_f32_e32 v58, 0, v46
	v_cndmask_b32_e64 v47, 0, v47, s[34:35]
	v_exp_f32_e32 v51, v51
	v_mul_f32_e32 v48, 0x3fb8aa3b, v48
	v_sub_f32_e32 v49, v49, v56
	v_add_f32_e32 v58, v58, v47
	;; [unrolled: 5-line block ×10, first 2 shown]
	v_cndmask_b32_e64 v38, 0, v38, s[12:13]
	v_exp_f32_e32 v34, v34
	v_mul_f32_e32 v35, 0x3fb8aa3b, v35
	v_add_f32_e32 v58, v58, v38
	v_cndmask_b32_e64 v39, 0, v39, s[14:15]
	v_exp_f32_e32 v35, v35
	v_add_f32_e32 v58, v58, v39
	v_cndmask_b32_e64 v36, 0, v36, s[8:9]
	v_add_f32_e32 v58, v58, v36
	v_cndmask_b32_e64 v37, 0, v37, s[10:11]
	v_add_f32_e32 v58, v58, v37
	v_cndmask_b32_e32 v34, 0, v34, vcc
	v_add_f32_e32 v58, v58, v34
	v_cndmask_b32_e64 v35, 0, v35, s[6:7]
	v_add_f32_e32 v58, v58, v35
	ds_bpermute_b32 v57, v57, v58
	s_load_dword s9, s[0:1], 0x98
	v_cmp_gt_u32_e64 s[6:7], 16, v55
	s_waitcnt lgkmcnt(0)
	s_barrier
	v_add_f32_e32 v58, v58, v57
	ds_bpermute_b32 v59, v59, v58
	v_lshlrev_b32_e32 v57, 2, v44
	s_waitcnt lgkmcnt(0)
	s_and_saveexec_b64 s[4:5], s[6:7]
	s_cbranch_execz .LBB452_15
; %bb.14:
	v_add_f32_e32 v55, v58, v59
	v_lshl_or_b32 v58, v45, 6, v57
	ds_write2st64_b32 v58, v56, v55 offset1:1
.LBB452_15:
	s_or_b64 exec, exec, s[4:5]
	s_load_dword s8, s[0:1], 0x94
	s_waitcnt lgkmcnt(0)
	s_barrier
	ds_read2_b32 v[58:59], v57 offset1:16
	ds_read2_b32 v[60:61], v57 offset0:32 offset1:48
	ds_read2_b32 v[62:63], v57 offset0:64 offset1:80
	s_movk_i32 s10, 0x7fff
	s_mov_b32 s11, 0x7060302
	s_waitcnt lgkmcnt(2)
	v_max3_f32 v55, v58, s33, v59
	s_waitcnt lgkmcnt(1)
	v_max3_f32 v55, v55, v60, v61
	v_sub_f32_e32 v56, v58, v55
	v_mul_f32_e32 v56, 0x3fb8aa3b, v56
	v_exp_f32_e32 v64, v56
	v_sub_f32_e32 v56, v59, v55
	v_mul_f32_e32 v56, 0x3fb8aa3b, v56
	v_exp_f32_e32 v65, v56
	;; [unrolled: 3-line block ×3, first 2 shown]
	ds_read2_b32 v[58:59], v57 offset0:96 offset1:112
	v_sub_f32_e32 v56, v61, v55
	v_mul_f32_e32 v56, 0x3fb8aa3b, v56
	v_exp_f32_e32 v57, v56
	s_waitcnt lgkmcnt(1)
	v_fma_f32 v56, v64, v62, 0
	v_fmac_f32_e32 v56, v65, v63
	s_waitcnt lgkmcnt(0)
	v_fmac_f32_e32 v56, v60, v58
	v_fmac_f32_e32 v56, v57, v59
	v_add_f32_e32 v58, 0x358637bd, v56
	v_div_scale_f32 v59, s[4:5], v58, v58, 1.0
	v_rcp_f32_e32 v61, v59
	s_mul_i32 s9, s9, 13
	s_barrier
	v_fma_f32 v62, -v59, v61, 1.0
	v_fmac_f32_e32 v61, v62, v61
	v_div_scale_f32 v62, vcc, 1.0, v58, 1.0
	v_mul_f32_e32 v63, v62, v61
	v_fma_f32 v66, -v59, v63, v62
	v_fmac_f32_e32 v63, v66, v61
	v_fma_f32 v59, -v59, v63, v62
	v_div_fmas_f32 v59, v59, v61, v63
	v_cmp_eq_u32_e32 vcc, 1, v45
	v_div_fixup_f32 v58, v59, v58, 1.0
	s_nop 0
	v_cndmask_b32_e32 v59, v64, v65, vcc
	v_cmp_eq_u32_e32 vcc, 2, v45
	s_nop 1
	v_cndmask_b32_e32 v59, v59, v60, vcc
	v_cmp_eq_u32_e32 vcc, 3, v45
	v_lshlrev_b32_e32 v45, 11, v45
	s_nop 0
	v_cndmask_b32_e32 v57, v59, v57, vcc
	v_mul_f32_e32 v58, v57, v58
	v_pk_mul_f32 v[46:47], v[58:59], v[46:47] op_sel_hi:[0,1]
	v_pk_mul_f32 v[52:53], v[58:59], v[52:53] op_sel_hi:[0,1]
	v_bfe_u32 v57, v47, 16, 1
	v_bfe_u32 v59, v46, 16, 1
	v_add3_u32 v46, v46, v59, s10
	v_add3_u32 v47, v47, v57, s10
	v_perm_b32 v60, v47, v46, s11
	v_bfe_u32 v46, v53, 16, 1
	v_bfe_u32 v47, v52, 16, 1
	v_add3_u32 v47, v52, v47, s10
	v_add3_u32 v46, v53, v46, s10
	v_perm_b32 v61, v46, v47, s11
	v_lshlrev_b32_e32 v46, 3, v54
	v_pk_mul_f32 v[50:51], v[58:59], v[50:51] op_sel_hi:[0,1]
	v_or3_b32 v46, v45, v43, v46
	v_bfe_u32 v45, v51, 16, 1
	v_bfe_u32 v47, v50, 16, 1
	v_pk_mul_f32 v[48:49], v[58:59], v[48:49] op_sel_hi:[0,1]
	v_add3_u32 v47, v50, v47, s10
	v_add3_u32 v45, v51, v45, s10
	v_perm_b32 v50, v45, v47, s11
	v_bfe_u32 v45, v49, 16, 1
	v_bfe_u32 v47, v48, 16, 1
	v_add3_u32 v47, v48, v47, s10
	v_add3_u32 v45, v49, v45, s10
	v_pk_mul_f32 v[40:41], v[58:59], v[40:41] op_sel_hi:[0,1]
	v_perm_b32 v51, v45, v47, s11
	v_bfe_u32 v45, v41, 16, 1
	v_bfe_u32 v47, v40, 16, 1
	v_pk_mul_f32 v[38:39], v[58:59], v[38:39] op_sel_hi:[0,1]
	v_add3_u32 v40, v40, v47, s10
	v_add3_u32 v41, v41, v45, s10
	v_perm_b32 v40, v41, v40, s11
	v_bfe_u32 v41, v39, 16, 1
	v_bfe_u32 v45, v38, 16, 1
	v_add3_u32 v38, v38, v45, s10
	v_add3_u32 v39, v39, v41, s10
	v_pk_mul_f32 v[36:37], v[58:59], v[36:37] op_sel_hi:[0,1]
	v_perm_b32 v41, v39, v38, s11
	v_bfe_u32 v38, v37, 16, 1
	v_bfe_u32 v39, v36, 16, 1
	v_pk_mul_f32 v[34:35], v[58:59], v[34:35] op_sel_hi:[0,1]
	v_add3_u32 v36, v36, v39, s10
	v_add3_u32 v37, v37, v38, s10
	v_perm_b32 v36, v37, v36, s11
	v_bfe_u32 v37, v35, 16, 1
	v_bfe_u32 v38, v34, 16, 1
	v_add3_u32 v34, v34, v38, s10
	v_add3_u32 v35, v35, v37, s10
	v_perm_b32 v37, v35, v34, s11
	v_cmp_gt_u32_e32 vcc, 13, v0
	ds_write2st64_b64 v46, v[60:61], v[50:51] offset1:1
	ds_write2st64_b64 v46, v[40:41], v[36:37] offset0:2 offset1:3
	s_and_saveexec_b64 s[4:5], vcc
	s_cbranch_execz .LBB452_17
; %bb.16:
	s_mov_b32 s43, 0
	v_mov_b32_e32 v45, 0
	v_lshl_add_u64 v[34:35], s[42:43], 0, v[44:45]
	v_mov_b32_e32 v36, s9
	v_mad_u64_u32 v[34:35], s[16:17], s2, v36, v[34:35]
	s_mul_i32 s3, s3, s9
	v_mov_b32_e32 v44, s28
	s_load_dwordx4 s[12:15], s[0:1], 0x58
	v_add_u32_e32 v37, s3, v35
	v_mad_u64_u32 v[34:35], s[16:17], v34, s8, v[44:45]
	v_mov_b32_e32 v36, v35
	v_mad_u64_u32 v[36:37], s[16:17], v37, s8, v[36:37]
	v_mov_b32_e32 v35, v36
	v_lshlrev_b64 v[34:35], 2, v[34:35]
	s_waitcnt lgkmcnt(0)
	v_lshl_add_u64 v[36:37], s[14:15], 0, v[34:35]
	v_lshl_add_u64 v[34:35], s[12:13], 0, v[34:35]
	global_store_dword v[36:37], v55, off
	global_store_dword v[34:35], v56, off
.LBB452_17:
	s_or_b64 exec, exec, s[4:5]
	v_lshl_or_b32 v43, v54, 9, v43
	s_waitcnt lgkmcnt(0)
	s_barrier
	ds_read_b128 v[34:37], v43
	ds_read_b128 v[38:41], v43 offset:16
	s_waitcnt vmcnt(7) lgkmcnt(1)
	v_mfma_f32_16x16x16_bf16 v[48:51], v[6:7], v[34:35], 0
	v_cmp_gt_u32_e32 vcc, 64, v0
	s_mov_b32 s3, 0
	s_and_b64 s[4:5], vcc, s[30:31]
	v_mfma_f32_16x16x16_bf16 v[6:9], v[8:9], v[36:37], v[48:51]
	s_waitcnt vmcnt(6) lgkmcnt(0)
	v_mfma_f32_16x16x16_bf16 v[6:9], v[2:3], v[38:39], v[6:9]
	v_mfma_f32_16x16x16_bf16 v[2:5], v[4:5], v[40:41], v[6:9]
	s_nop 5
	ds_read_b128 v[6:9], v43 offset:2048
	ds_read_b128 v[34:37], v43 offset:2064
	s_waitcnt vmcnt(5) lgkmcnt(1)
	v_mfma_f32_16x16x16_bf16 v[2:5], v[30:31], v[6:7], v[2:5]
	v_mfma_f32_16x16x16_bf16 v[2:5], v[32:33], v[8:9], v[2:5]
	s_waitcnt vmcnt(4) lgkmcnt(0)
	v_mfma_f32_16x16x16_bf16 v[2:5], v[26:27], v[34:35], v[2:5]
	v_mfma_f32_16x16x16_bf16 v[2:5], v[28:29], v[36:37], v[2:5]
	ds_read_b128 v[6:9], v43 offset:4096
	ds_read_b128 v[26:29], v43 offset:4112
	s_waitcnt vmcnt(3) lgkmcnt(1)
	v_mfma_f32_16x16x16_bf16 v[2:5], v[22:23], v[6:7], v[2:5]
	v_mfma_f32_16x16x16_bf16 v[2:5], v[24:25], v[8:9], v[2:5]
	s_waitcnt vmcnt(2) lgkmcnt(0)
	v_mfma_f32_16x16x16_bf16 v[2:5], v[18:19], v[26:27], v[2:5]
	v_mfma_f32_16x16x16_bf16 v[2:5], v[20:21], v[28:29], v[2:5]
	ds_read_b128 v[6:9], v43 offset:6144
	ds_read_b128 v[18:21], v43 offset:6160
	v_mov_b32_e32 v43, 0
	s_waitcnt vmcnt(1) lgkmcnt(0)
	v_mfma_f32_16x16x16_bf16 v[2:5], v[14:15], v[6:7], v[2:5]
	s_barrier
	v_mfma_f32_16x16x16_bf16 v[2:5], v[16:17], v[8:9], v[2:5]
	s_waitcnt vmcnt(0)
	v_mfma_f32_16x16x16_bf16 v[2:5], v[10:11], v[18:19], v[2:5]
	v_mfma_f32_16x16x16_bf16 v[2:5], v[12:13], v[20:21], v[2:5]
	s_nop 6
	v_bfe_u32 v6, v3, 16, 1
	v_bfe_u32 v7, v2, 16, 1
	;; [unrolled: 1-line block ×4, first 2 shown]
	v_add3_u32 v2, v2, v7, s10
	v_add3_u32 v3, v3, v6, s10
	;; [unrolled: 1-line block ×4, first 2 shown]
	v_perm_b32 v2, v3, v2, s11
	v_perm_b32 v3, v5, v4, s11
	ds_write_b64 v46, v[2:3]
	s_waitcnt lgkmcnt(0)
	s_barrier
	s_and_saveexec_b64 s[10:11], s[4:5]
	s_cbranch_execz .LBB452_20
; %bb.18:
	s_load_dwordx2 s[4:5], s[0:1], 0x68
	s_lshl_b32 s0, s8, 6
	s_mul_i32 s1, s9, s2
	s_mul_hi_u32 s9, s1, s0
	s_mul_i32 s8, s1, s0
	v_lshlrev_b32_e32 v0, 10, v0
	s_lshl_b64 s[8:9], s[8:9], 1
	v_and_b32_e32 v0, 0x1800, v0
	v_lshlrev_b32_e32 v2, 5, v54
	v_and_b32_e32 v1, 16, v1
	s_waitcnt lgkmcnt(0)
	s_add_u32 s1, s4, s8
	v_or3_b32 v2, v0, v2, v1
	s_addc_u32 s4, s5, s9
	s_lshl_b32 s2, s28, 6
	ds_read_b128 v[4:7], v2 offset:256
	s_lshl_b64 s[2:3], s[2:3], 1
	ds_read_b128 v[8:11], v2 offset:128
	ds_read_b128 v[12:15], v2
	s_add_u32 s2, s1, s2
	s_addc_u32 s3, s4, s3
	v_add_u32_e32 v3, s42, v54
	v_lshl_add_u64 v[0:1], s[2:3], 0, v[42:43]
	v_mad_u64_u32 v[16:17], s[2:3], v3, s0, 0
	v_lshl_add_u64 v[16:17], v[16:17], 1, v[0:1]
	s_waitcnt lgkmcnt(0)
	global_store_dwordx4 v[16:17], v[12:15], off
	s_nop 1
	v_add_u32_e32 v12, 4, v3
	v_mad_u64_u32 v[12:13], s[2:3], v12, s0, 0
	v_lshl_add_u64 v[12:13], v[12:13], 1, v[0:1]
	v_add_u32_e32 v3, 8, v3
	global_store_dwordx4 v[12:13], v[8:11], off
	s_nop 1
	v_mad_u64_u32 v[8:9], s[2:3], v3, s0, 0
	v_lshl_add_u64 v[8:9], v[8:9], 1, v[0:1]
	global_store_dwordx4 v[8:9], v[4:7], off
	s_and_b64 exec, exec, s[6:7]
	s_cbranch_execz .LBB452_20
; %bb.19:
	ds_read_b128 v[2:5], v2 offset:384
	v_add3_u32 v6, s42, v54, 12
	v_mad_u64_u32 v[6:7], s[0:1], v6, s0, 0
	v_lshl_add_u64 v[0:1], v[6:7], 1, v[0:1]
	s_waitcnt lgkmcnt(0)
	global_store_dwordx4 v[0:1], v[2:5], off
.LBB452_20:
	s_endpgm
	.section	.rodata,"a",@progbits
	.p2align	6, 0x0
	.amdhsa_kernel _Z39paged_attention_ll4mi_QKV_mfma16_kernelI14__hip_bfloat16S0_LN4vllm18Fp8KVCacheDataTypeE0ES0_Li16ELi64ELi256ELb1ELi13EEvPKT_PKT0_S8_ifPKiSA_SA_iPKfiiiPfSD_PS3_PT2_iSC_SC_
		.amdhsa_group_segment_fixed_size 8192
		.amdhsa_private_segment_fixed_size 0
		.amdhsa_kernarg_size 400
		.amdhsa_user_sgpr_count 2
		.amdhsa_user_sgpr_dispatch_ptr 0
		.amdhsa_user_sgpr_queue_ptr 0
		.amdhsa_user_sgpr_kernarg_segment_ptr 1
		.amdhsa_user_sgpr_dispatch_id 0
		.amdhsa_user_sgpr_kernarg_preload_length 0
		.amdhsa_user_sgpr_kernarg_preload_offset 0
		.amdhsa_user_sgpr_private_segment_size 0
		.amdhsa_uses_dynamic_stack 0
		.amdhsa_enable_private_segment 0
		.amdhsa_system_sgpr_workgroup_id_x 1
		.amdhsa_system_sgpr_workgroup_id_y 1
		.amdhsa_system_sgpr_workgroup_id_z 1
		.amdhsa_system_sgpr_workgroup_info 0
		.amdhsa_system_vgpr_workitem_id 0
		.amdhsa_next_free_vgpr 72
		.amdhsa_next_free_sgpr 48
		.amdhsa_accum_offset 72
		.amdhsa_reserve_vcc 1
		.amdhsa_float_round_mode_32 0
		.amdhsa_float_round_mode_16_64 0
		.amdhsa_float_denorm_mode_32 3
		.amdhsa_float_denorm_mode_16_64 3
		.amdhsa_dx10_clamp 1
		.amdhsa_ieee_mode 1
		.amdhsa_fp16_overflow 0
		.amdhsa_tg_split 0
		.amdhsa_exception_fp_ieee_invalid_op 0
		.amdhsa_exception_fp_denorm_src 0
		.amdhsa_exception_fp_ieee_div_zero 0
		.amdhsa_exception_fp_ieee_overflow 0
		.amdhsa_exception_fp_ieee_underflow 0
		.amdhsa_exception_fp_ieee_inexact 0
		.amdhsa_exception_int_div_zero 0
	.end_amdhsa_kernel
	.section	.text._Z39paged_attention_ll4mi_QKV_mfma16_kernelI14__hip_bfloat16S0_LN4vllm18Fp8KVCacheDataTypeE0ES0_Li16ELi64ELi256ELb1ELi13EEvPKT_PKT0_S8_ifPKiSA_SA_iPKfiiiPfSD_PS3_PT2_iSC_SC_,"axG",@progbits,_Z39paged_attention_ll4mi_QKV_mfma16_kernelI14__hip_bfloat16S0_LN4vllm18Fp8KVCacheDataTypeE0ES0_Li16ELi64ELi256ELb1ELi13EEvPKT_PKT0_S8_ifPKiSA_SA_iPKfiiiPfSD_PS3_PT2_iSC_SC_,comdat
.Lfunc_end452:
	.size	_Z39paged_attention_ll4mi_QKV_mfma16_kernelI14__hip_bfloat16S0_LN4vllm18Fp8KVCacheDataTypeE0ES0_Li16ELi64ELi256ELb1ELi13EEvPKT_PKT0_S8_ifPKiSA_SA_iPKfiiiPfSD_PS3_PT2_iSC_SC_, .Lfunc_end452-_Z39paged_attention_ll4mi_QKV_mfma16_kernelI14__hip_bfloat16S0_LN4vllm18Fp8KVCacheDataTypeE0ES0_Li16ELi64ELi256ELb1ELi13EEvPKT_PKT0_S8_ifPKiSA_SA_iPKfiiiPfSD_PS3_PT2_iSC_SC_
                                        ; -- End function
	.section	.AMDGPU.csdata,"",@progbits
; Kernel info:
; codeLenInByte = 4376
; NumSgprs: 54
; NumVgprs: 72
; NumAgprs: 0
; TotalNumVgprs: 72
; ScratchSize: 0
; MemoryBound: 0
; FloatMode: 240
; IeeeMode: 1
; LDSByteSize: 8192 bytes/workgroup (compile time only)
; SGPRBlocks: 6
; VGPRBlocks: 8
; NumSGPRsForWavesPerEU: 54
; NumVGPRsForWavesPerEU: 72
; AccumOffset: 72
; Occupancy: 7
; WaveLimiterHint : 1
; COMPUTE_PGM_RSRC2:SCRATCH_EN: 0
; COMPUTE_PGM_RSRC2:USER_SGPR: 2
; COMPUTE_PGM_RSRC2:TRAP_HANDLER: 0
; COMPUTE_PGM_RSRC2:TGID_X_EN: 1
; COMPUTE_PGM_RSRC2:TGID_Y_EN: 1
; COMPUTE_PGM_RSRC2:TGID_Z_EN: 1
; COMPUTE_PGM_RSRC2:TIDIG_COMP_CNT: 0
; COMPUTE_PGM_RSRC3_GFX90A:ACCUM_OFFSET: 17
; COMPUTE_PGM_RSRC3_GFX90A:TG_SPLIT: 0
	.section	.text._Z39paged_attention_ll4mi_QKV_mfma16_kernelI14__hip_bfloat16S0_LN4vllm18Fp8KVCacheDataTypeE0ES0_Li16ELi64ELi256ELb1ELi14EEvPKT_PKT0_S8_ifPKiSA_SA_iPKfiiiPfSD_PS3_PT2_iSC_SC_,"axG",@progbits,_Z39paged_attention_ll4mi_QKV_mfma16_kernelI14__hip_bfloat16S0_LN4vllm18Fp8KVCacheDataTypeE0ES0_Li16ELi64ELi256ELb1ELi14EEvPKT_PKT0_S8_ifPKiSA_SA_iPKfiiiPfSD_PS3_PT2_iSC_SC_,comdat
	.protected	_Z39paged_attention_ll4mi_QKV_mfma16_kernelI14__hip_bfloat16S0_LN4vllm18Fp8KVCacheDataTypeE0ES0_Li16ELi64ELi256ELb1ELi14EEvPKT_PKT0_S8_ifPKiSA_SA_iPKfiiiPfSD_PS3_PT2_iSC_SC_ ; -- Begin function _Z39paged_attention_ll4mi_QKV_mfma16_kernelI14__hip_bfloat16S0_LN4vllm18Fp8KVCacheDataTypeE0ES0_Li16ELi64ELi256ELb1ELi14EEvPKT_PKT0_S8_ifPKiSA_SA_iPKfiiiPfSD_PS3_PT2_iSC_SC_
	.globl	_Z39paged_attention_ll4mi_QKV_mfma16_kernelI14__hip_bfloat16S0_LN4vllm18Fp8KVCacheDataTypeE0ES0_Li16ELi64ELi256ELb1ELi14EEvPKT_PKT0_S8_ifPKiSA_SA_iPKfiiiPfSD_PS3_PT2_iSC_SC_
	.p2align	8
	.type	_Z39paged_attention_ll4mi_QKV_mfma16_kernelI14__hip_bfloat16S0_LN4vllm18Fp8KVCacheDataTypeE0ES0_Li16ELi64ELi256ELb1ELi14EEvPKT_PKT0_S8_ifPKiSA_SA_iPKfiiiPfSD_PS3_PT2_iSC_SC_,@function
_Z39paged_attention_ll4mi_QKV_mfma16_kernelI14__hip_bfloat16S0_LN4vllm18Fp8KVCacheDataTypeE0ES0_Li16ELi64ELi256ELb1ELi14EEvPKT_PKT0_S8_ifPKiSA_SA_iPKfiiiPfSD_PS3_PT2_iSC_SC_: ; @_Z39paged_attention_ll4mi_QKV_mfma16_kernelI14__hip_bfloat16S0_LN4vllm18Fp8KVCacheDataTypeE0ES0_Li16ELi64ELi256ELb1ELi14EEvPKT_PKT0_S8_ifPKiSA_SA_iPKfiiiPfSD_PS3_PT2_iSC_SC_
; %bb.0:
	s_load_dwordx2 s[8:9], s[0:1], 0x30
	s_mov_b32 s28, s3
	s_mov_b64 s[6:7], 0
	s_waitcnt lgkmcnt(0)
	s_cmp_lg_u64 s[8:9], 0
	s_cselect_b64 s[10:11], -1, 0
	s_and_b64 vcc, exec, s[10:11]
	s_cbranch_vccz .LBB453_7
; %bb.1:
	s_add_i32 s12, s2, 1
	s_mov_b32 s13, 0
	s_lshl_b64 s[14:15], s[12:13], 2
	s_add_u32 s14, s8, s14
	s_mov_b32 s3, s13
	s_addc_u32 s15, s9, s15
	s_lshl_b64 s[12:13], s[2:3], 2
	s_add_u32 s12, s8, s12
	s_addc_u32 s13, s9, s13
	s_load_dword s5, s[14:15], 0x0
	s_load_dword s16, s[12:13], 0x0
	s_waitcnt lgkmcnt(0)
	s_sub_i32 s5, s5, s16
	s_cmp_eq_u32 s5, 1
	s_cselect_b64 s[12:13], -1, 0
	s_andn2_b64 vcc, exec, s[6:7]
	s_cbranch_vccnz .LBB453_3
.LBB453_2:
	s_mov_b32 s3, 0
	s_mov_b64 s[12:13], -1
.LBB453_3:
	s_andn2_b64 vcc, exec, s[12:13]
	s_cbranch_vccnz .LBB453_20
; %bb.4:
	s_load_dwordx2 s[6:7], s[0:1], 0x28
	s_lshl_b64 s[12:13], s[2:3], 2
	s_waitcnt lgkmcnt(0)
	s_add_u32 s6, s6, s12
	s_addc_u32 s7, s7, s13
	s_load_dword s29, s[6:7], 0x0
	s_lshl_b32 s16, s28, 8
	s_waitcnt lgkmcnt(0)
	s_cmp_ge_i32 s16, s29
	s_cbranch_scc1 .LBB453_20
; %bb.5:
	s_load_dwordx2 s[6:7], s[0:1], 0x20
	s_load_dword s5, s[0:1], 0x38
	s_add_i32 s14, s29, 15
	s_ashr_i32 s15, s14, 31
	v_and_b32_e32 v1, 0xcf, v0
	s_lshr_b32 s15, s15, 28
	v_add_u32_e32 v1, s16, v1
	s_add_i32 s14, s14, s15
	v_ashrrev_i32_e32 v2, 31, v1
	s_ashr_i32 s17, s14, 4
	v_lshrrev_b32_e32 v6, 28, v2
	s_add_i32 s17, s17, -1
	s_waitcnt lgkmcnt(0)
	s_mul_i32 s14, s2, s5
	s_mov_b32 s15, 0
	v_add_u32_e32 v2, v1, v6
	s_lshl_b64 s[14:15], s[14:15], 2
	v_ashrrev_i32_e32 v2, 4, v2
	v_mov_b32_e32 v7, s17
	v_cmp_gt_i32_e32 vcc, s29, v1
	s_add_u32 s6, s6, s14
	s_addc_u32 s7, s7, s15
	v_cndmask_b32_e32 v2, v7, v2, vcc
	v_ashrrev_i32_e32 v3, 31, v2
	v_lshl_add_u64 v[4:5], v[2:3], 2, s[6:7]
	v_or_b32_e32 v2, 16, v1
	v_add_u32_e32 v3, v2, v6
	v_ashrrev_i32_e32 v3, 4, v3
	v_cmp_gt_i32_e32 vcc, s29, v2
	s_load_dwordx2 s[14:15], s[0:1], 0x8
	s_nop 0
	v_cndmask_b32_e32 v2, v7, v3, vcc
	v_ashrrev_i32_e32 v3, 31, v2
	v_lshl_add_u64 v[8:9], v[2:3], 2, s[6:7]
	v_or_b32_e32 v2, 32, v1
	v_add_u32_e32 v3, v2, v6
	v_ashrrev_i32_e32 v3, 4, v3
	v_cmp_gt_i32_e32 vcc, s29, v2
	v_or_b32_e32 v1, 48, v1
	s_nop 0
	v_cndmask_b32_e32 v2, v7, v3, vcc
	v_ashrrev_i32_e32 v3, 31, v2
	v_lshl_add_u64 v[10:11], v[2:3], 2, s[6:7]
	v_add_u32_e32 v2, v1, v6
	v_ashrrev_i32_e32 v2, 4, v2
	v_cmp_gt_i32_e32 vcc, s29, v1
	s_nop 1
	v_cndmask_b32_e32 v2, v7, v2, vcc
	v_ashrrev_i32_e32 v3, 31, v2
	v_lshl_add_u64 v[12:13], v[2:3], 2, s[6:7]
	global_load_dword v3, v[4:5], off
	global_load_dword v2, v[8:9], off
	;; [unrolled: 1-line block ×4, first 2 shown]
	s_andn2_b64 vcc, exec, s[10:11]
	s_cbranch_vccnz .LBB453_8
; %bb.6:
	s_add_u32 s8, s8, s12
	s_addc_u32 s9, s9, s13
	s_load_dword s5, s[8:9], 0x0
	s_branch .LBB453_9
.LBB453_7:
	s_mov_b64 s[12:13], 0
	s_branch .LBB453_2
.LBB453_8:
	s_mov_b32 s5, s2
.LBB453_9:
	s_load_dwordx2 s[8:9], s[0:1], 0x10
	s_load_dwordx4 s[44:47], s[0:1], 0x48
	v_lshrrev_b32_e32 v45, 6, v0
	v_bfe_u32 v54, v0, 4, 2
	v_lshl_or_b32 v1, v45, 2, v54
	v_and_b32_e32 v44, 15, v0
	v_lshlrev_b32_e32 v4, 3, v44
	v_cmp_gt_u32_e32 vcc, 14, v1
	v_cmp_gt_u32_e64 s[30:31], 8, v44
	s_mul_i32 s42, s4, 14
	s_and_b64 s[12:13], s[30:31], vcc
	v_lshlrev_b32_e32 v42, 1, v4
	s_and_saveexec_b64 s[10:11], s[12:13]
	s_cbranch_execz .LBB453_11
; %bb.10:
	s_load_dwordx2 s[12:13], s[0:1], 0x0
	s_waitcnt lgkmcnt(0)
	s_ashr_i32 s18, s44, 31
	s_mul_hi_u32 s19, s5, s44
	s_mul_i32 s18, s5, s18
	s_add_i32 s19, s19, s18
	s_mul_i32 s18, s5, s44
	s_lshl_b64 s[18:19], s[18:19], 1
	s_add_u32 s12, s12, s18
	v_add_lshl_u32 v4, v1, s42, 6
	s_addc_u32 s13, s13, s19
	v_ashrrev_i32_e32 v5, 31, v4
	v_lshl_add_u64 v[4:5], v[4:5], 1, s[12:13]
	v_mov_b32_e32 v43, 0
	v_lshl_add_u64 v[4:5], v[4:5], 0, v[42:43]
	global_load_dwordx4 v[8:11], v[4:5], off
	v_and_b32_e32 v4, 3, v0
	v_lshlrev_b32_e32 v5, 9, v44
	v_lshlrev_b32_e32 v1, 5, v1
	;; [unrolled: 1-line block ×3, first 2 shown]
	v_and_b32_e32 v5, 0x1800, v5
	v_or3_b32 v1, v5, v4, v1
	s_waitcnt vmcnt(0)
	ds_write_b128 v1, v[8:11]
.LBB453_11:
	s_or_b64 exec, exec, s[10:11]
	s_waitcnt lgkmcnt(0)
	s_mul_i32 s4, s4, s46
	s_mov_b32 s5, 0
	s_lshl_b64 s[4:5], s[4:5], 1
	s_add_u32 s10, s14, s4
	v_lshlrev_b32_e32 v1, 4, v0
	s_addc_u32 s11, s15, s5
	v_and_b32_e32 v46, 0xf0, v1
	v_mov_b32_e32 v47, 0
	v_lshl_add_u64 v[16:17], s[10:11], 0, v[46:47]
	s_waitcnt vmcnt(3)
	v_mad_i64_i32 v[4:5], s[10:11], v3, s45, 0
	s_waitcnt vmcnt(2)
	v_mad_i64_i32 v[2:3], s[10:11], v2, s45, 0
	;; [unrolled: 2-line block ×3, first 2 shown]
	v_lshl_add_u64 v[4:5], v[4:5], 1, v[16:17]
	v_and_b32_e32 v46, 0x300, v1
	v_lshl_add_u64 v[2:3], v[2:3], 1, v[16:17]
	v_lshl_add_u64 v[6:7], v[6:7], 1, v[16:17]
	s_waitcnt vmcnt(0)
	v_mad_i64_i32 v[14:15], s[10:11], v14, s45, 0
	v_lshl_add_u64 v[4:5], v[4:5], 0, v[46:47]
	v_lshl_add_u64 v[8:9], v[2:3], 0, v[46:47]
	;; [unrolled: 1-line block ×4, first 2 shown]
	s_barrier
	global_load_dwordx4 v[30:33], v[4:5], off
	global_load_dwordx4 v[10:13], v[4:5], off offset:1024
	global_load_dwordx4 v[22:25], v[8:9], off
	s_nop 0
	global_load_dwordx4 v[2:5], v[8:9], off offset:1024
	global_load_dwordx4 v[26:29], v[18:19], off
	s_nop 0
	global_load_dwordx4 v[6:9], v[18:19], off offset:1024
	v_lshl_add_u64 v[18:19], v[14:15], 0, v[46:47]
	global_load_dwordx4 v[34:37], v[18:19], off
	global_load_dwordx4 v[14:17], v[18:19], off offset:1024
	v_add_u32_e32 v18, -14, v44
	v_cmp_gt_u32_e32 vcc, 14, v44
	v_and_b32_e32 v55, 63, v0
	v_mov_b32_e32 v56, 0
	v_cndmask_b32_e32 v18, v18, v44, vcc
	v_lshlrev_b32_e32 v18, 5, v18
	v_lshl_add_u32 v18, v54, 9, v18
	ds_read_b128 v[38:41], v18
	ds_read_b128 v[18:21], v18 offset:2048
	s_and_saveexec_b64 s[10:11], vcc
	s_cbranch_execz .LBB453_13
; %bb.12:
	s_load_dwordx2 s[12:13], s[0:1], 0x40
	v_add_u32_e32 v48, s42, v44
	v_ashrrev_i32_e32 v49, 31, v48
	s_waitcnt lgkmcnt(0)
	v_lshl_add_u64 v[48:49], v[48:49], 2, s[12:13]
	global_load_dword v56, v[48:49], off
.LBB453_13:
	s_or_b64 exec, exec, s[10:11]
	v_and_or_b32 v46, v0, 48, s16
	v_ashrrev_i32_e32 v43, 4, v46
	v_mov_b32_e32 v57, s17
	v_cmp_gt_i32_e32 vcc, s29, v46
	s_waitcnt vmcnt(5) lgkmcnt(1)
	v_mfma_f32_16x16x16_bf16 v[58:61], v[22:23], v[38:39], 0
	s_load_dword s10, s[0:1], 0x1c
	v_cndmask_b32_e32 v48, v57, v43, vcc
	v_ashrrev_i32_e32 v49, 31, v48
	v_or_b32_e32 v43, 64, v46
	v_lshl_add_u64 v[52:53], v[48:49], 2, s[6:7]
	v_mfma_f32_16x16x16_bf16 v[48:51], v[30:31], v[38:39], 0
	v_ashrrev_i32_e32 v30, 4, v43
	v_cmp_gt_i32_e32 vcc, s29, v43
	global_load_dword v70, v[52:53], off
	s_waitcnt vmcnt(4)
	v_mfma_f32_16x16x16_bf16 v[62:65], v[26:27], v[38:39], 0
	v_cndmask_b32_e32 v30, v57, v30, vcc
	v_ashrrev_i32_e32 v31, 31, v30
	v_lshl_add_u64 v[22:23], v[30:31], 2, s[6:7]
	global_load_dword v71, v[22:23], off
	v_mfma_f32_16x16x16_bf16 v[22:25], v[24:25], v[40:41], v[58:61]
	v_and_b32_e32 v26, 0xc0, v0
	s_add_u32 s4, s8, s4
	v_lshlrev_b32_e32 v43, 5, v44
	v_mfma_f32_16x16x16_bf16 v[30:33], v[32:33], v[40:41], v[48:51]
	s_addc_u32 s5, s9, s5
	s_mov_b32 s33, 0xff7fffff
	s_waitcnt vmcnt(3)
	v_mfma_f32_16x16x16_bf16 v[66:69], v[34:35], v[38:39], 0
	v_or_b32_e32 v38, 0x80, v46
	v_add_u32_e32 v48, s16, v26
	v_or_b32_e32 v39, 0xc0, v46
	v_mfma_f32_16x16x16_bf16 v[26:29], v[28:29], v[40:41], v[62:65]
	v_ashrrev_i32_e32 v49, 4, v38
	v_cmp_gt_i32_e32 vcc, s29, v38
	v_ashrrev_i32_e32 v50, 4, v39
	s_waitcnt lgkmcnt(0)
	v_mfma_f32_16x16x16_bf16 v[22:25], v[2:3], v[18:19], v[22:25]
	v_cndmask_b32_e32 v38, v57, v49, vcc
	v_cmp_gt_i32_e32 vcc, s29, v39
	v_ashrrev_i32_e32 v39, 31, v38
	v_mfma_f32_16x16x16_bf16 v[30:33], v[10:11], v[18:19], v[30:33]
	v_cndmask_b32_e32 v10, v57, v50, vcc
	v_ashrrev_i32_e32 v11, 31, v10
	v_lshl_or_b32 v58, v54, 2, v48
	v_mfma_f32_16x16x16_bf16 v[26:29], v[6:7], v[18:19], v[26:29]
	v_lshl_add_u64 v[6:7], v[38:39], 2, s[6:7]
	v_lshl_add_u64 v[38:39], v[10:11], 2, s[6:7]
	v_or_b32_e32 v57, 1, v58
	v_mfma_f32_16x16x16_bf16 v[2:5], v[4:5], v[20:21], v[22:25]
	s_nop 2
	global_load_dword v22, v[6:7], off
	global_load_dword v61, v[38:39], off
	v_subrev_u32_e32 v59, s29, v57
	v_cvt_f32_i32_e32 v60, v59
	v_mfma_f32_16x16x16_bf16 v[34:37], v[36:37], v[40:41], v[66:69]
	v_pk_mul_f32 v[48:49], s[10:11], v[4:5] op_sel_hi:[0,1]
	v_lshl_or_b32 v46, v45, 9, v43
	v_lshl_add_u64 v[46:47], s[4:5], 0, v[46:47]
	s_waitcnt vmcnt(4)
	v_mfma_f32_16x16x16_bf16 v[34:37], v[14:15], v[18:19], v[34:37]
	v_add_u32_e32 v14, 1, v59
	v_add_u32_e32 v15, 2, v59
	v_cvt_f32_i32_e32 v23, v14
	v_cvt_f32_i32_e32 v24, v15
	v_mfma_f32_16x16x16_bf16 v[14:17], v[16:17], v[20:21], v[34:37]
	v_add_u32_e32 v18, 3, v59
	v_cvt_f32_i32_e32 v18, v18
	v_pk_mul_f32 v[50:51], s[10:11], v[2:3] op_sel_hi:[0,1]
	v_mfma_f32_16x16x16_bf16 v[10:13], v[12:13], v[20:21], v[30:33]
	v_cmp_gt_i32_e64 s[34:35], s29, v57
	s_nop 1
	v_pk_mul_f32 v[36:37], s[10:11], v[14:15] op_sel_hi:[0,1]
	v_add_u32_e32 v15, 19, v59
	v_add_u32_e32 v31, 18, v59
	v_cvt_f32_i32_e32 v14, v31
	v_cvt_f32_i32_e32 v15, v15
	v_mfma_f32_16x16x16_bf16 v[6:9], v[8:9], v[20:21], v[26:29]
	v_pk_mul_f32 v[34:35], s[10:11], v[16:17] op_sel_hi:[0,1]
	v_fma_f32 v48, v56, v14, v48
	v_add_u32_e32 v14, 32, v59
	v_fmac_f32_e32 v49, v56, v15
	v_cvt_f32_i32_e32 v14, v14
	v_add_u32_e32 v15, 33, v59
	v_add_u32_e32 v16, 34, v59
	v_cvt_f32_i32_e32 v15, v15
	v_cvt_f32_i32_e32 v16, v16
	v_add_u32_e32 v17, 35, v59
	v_cvt_f32_i32_e32 v17, v17
	v_pk_mul_f32 v[40:41], s[10:11], v[6:7] op_sel_hi:[0,1]
	v_pk_mul_f32 v[38:39], s[10:11], v[8:9] op_sel_hi:[0,1]
	v_fma_f32 v40, v56, v14, v40
	v_add_u32_e32 v14, 48, v59
	v_fmac_f32_e32 v41, v56, v15
	v_fma_f32 v38, v56, v16, v38
	v_cvt_f32_i32_e32 v14, v14
	v_add_u32_e32 v15, 49, v59
	v_add_u32_e32 v16, 50, v59
	v_fmac_f32_e32 v39, v56, v17
	v_cvt_f32_i32_e32 v15, v15
	v_cvt_f32_i32_e32 v16, v16
	v_add_u32_e32 v17, 51, v59
	v_cvt_f32_i32_e32 v17, v17
	v_pk_mul_f32 v[52:53], s[10:11], v[12:13] op_sel_hi:[0,1]
	v_pk_mul_f32 v[10:11], s[10:11], v[10:11] op_sel_hi:[0,1]
	s_waitcnt vmcnt(3)
	v_mad_i64_i32 v[2:3], s[4:5], v70, s45, 0
	s_waitcnt vmcnt(2)
	v_mad_i64_i32 v[12:13], s[4:5], v71, s45, 0
	v_fma_f32 v10, v56, v60, v10
	v_fmac_f32_e32 v11, v56, v23
	v_fma_f32 v36, v56, v14, v36
	v_mov_b32_e32 v14, 0xff7fffff
	v_cmp_gt_i32_e64 s[4:5], s29, v58
	v_add_u32_e32 v19, 16, v59
	v_add_u32_e32 v30, 17, v59
	v_fmac_f32_e32 v37, v56, v15
	v_fma_f32 v34, v56, v16, v34
	v_cndmask_b32_e64 v15, v14, v10, s[4:5]
	v_cndmask_b32_e64 v16, v14, v11, s[34:35]
	v_cvt_f32_i32_e32 v19, v19
	v_cvt_f32_i32_e32 v25, v30
	v_fmac_f32_e32 v35, v56, v17
	v_max3_f32 v15, v15, s33, v16
	v_or_b32_e32 v16, 2, v58
	v_or_b32_e32 v17, 3, v58
	v_fma_f32 v52, v56, v24, v52
	v_fmac_f32_e32 v53, v56, v18
	v_cmp_gt_i32_e64 s[36:37], s29, v16
	v_cmp_gt_i32_e64 s[38:39], s29, v17
	v_fma_f32 v50, v56, v19, v50
	v_cndmask_b32_e64 v16, v14, v52, s[36:37]
	v_cndmask_b32_e64 v17, v14, v53, s[38:39]
	v_max3_f32 v15, v15, v16, v17
	v_or_b32_e32 v16, 16, v58
	v_or_b32_e32 v17, 17, v58
	v_fmac_f32_e32 v51, v56, v25
	v_cmp_gt_i32_e64 s[24:25], s29, v16
	v_cmp_gt_i32_e64 s[26:27], s29, v17
	v_lshl_add_u64 v[2:3], v[2:3], 1, v[46:47]
	v_cndmask_b32_e64 v16, v14, v50, s[24:25]
	v_cndmask_b32_e64 v17, v14, v51, s[26:27]
	v_max3_f32 v15, v15, v16, v17
	v_or_b32_e32 v16, 18, v58
	v_or_b32_e32 v17, 19, v58
	v_cmp_gt_i32_e64 s[20:21], s29, v16
	v_cmp_gt_i32_e64 s[22:23], s29, v17
	v_lshl_add_u64 v[12:13], v[12:13], 1, v[46:47]
	v_cndmask_b32_e64 v16, v14, v48, s[20:21]
	v_cndmask_b32_e64 v17, v14, v49, s[22:23]
	v_max3_f32 v15, v15, v16, v17
	v_or_b32_e32 v16, 32, v58
	v_or_b32_e32 v17, 33, v58
	v_cmp_gt_i32_e64 s[16:17], s29, v16
	v_cmp_gt_i32_e64 s[18:19], s29, v17
	global_load_dwordx4 v[6:9], v[2:3], off
	s_nop 0
	global_load_dwordx4 v[2:5], v[2:3], off offset:16
	v_cndmask_b32_e64 v16, v14, v40, s[16:17]
	v_cndmask_b32_e64 v17, v14, v41, s[18:19]
	v_max3_f32 v15, v15, v16, v17
	v_or_b32_e32 v16, 34, v58
	v_or_b32_e32 v17, 35, v58
	v_cmp_gt_i32_e64 s[12:13], s29, v16
	v_cmp_gt_i32_e64 s[14:15], s29, v17
	global_load_dwordx4 v[30:33], v[12:13], off
	global_load_dwordx4 v[26:29], v[12:13], off offset:16
	v_cndmask_b32_e64 v16, v14, v38, s[12:13]
	v_cndmask_b32_e64 v17, v14, v39, s[14:15]
	v_max3_f32 v15, v15, v16, v17
	v_or_b32_e32 v16, 48, v58
	v_or_b32_e32 v17, 49, v58
	v_cmp_gt_i32_e64 s[8:9], s29, v16
	v_cmp_gt_i32_e64 s[10:11], s29, v17
	s_nop 0
	v_cndmask_b32_e64 v16, v14, v36, s[8:9]
	v_cndmask_b32_e64 v17, v14, v37, s[10:11]
	v_max3_f32 v15, v15, v16, v17
	v_or_b32_e32 v16, 50, v58
	v_or_b32_e32 v17, 51, v58
	v_cmp_gt_i32_e32 vcc, s29, v16
	v_cmp_gt_i32_e64 s[6:7], s29, v17
	s_nop 0
	v_cndmask_b32_e32 v16, v14, v34, vcc
	v_cndmask_b32_e64 v14, v14, v35, s[6:7]
	v_max3_f32 v14, v15, v16, v14
	v_mbcnt_lo_u32_b32 v15, -1, 0
	v_mbcnt_hi_u32_b32 v15, -1, v15
	v_and_b32_e32 v16, 64, v15
	v_add_u32_e32 v16, 64, v16
	v_xor_b32_e32 v17, 32, v15
	v_cmp_lt_i32_e64 s[40:41], v17, v16
	s_nop 1
	v_cndmask_b32_e64 v17, v15, v17, s[40:41]
	v_lshlrev_b32_e32 v57, 2, v17
	ds_bpermute_b32 v17, v57, v14
	s_waitcnt vmcnt(5)
	v_mad_i64_i32 v[12:13], s[40:41], v22, s45, 0
	v_lshl_add_u64 v[12:13], v[12:13], 1, v[46:47]
	global_load_dwordx4 v[22:25], v[12:13], off
	global_load_dwordx4 v[18:21], v[12:13], off offset:16
	s_waitcnt lgkmcnt(0)
	v_max_f32_e32 v17, v17, v17
	v_max_f32_e32 v14, v14, v17
	v_xor_b32_e32 v17, 16, v15
	v_cmp_lt_i32_e64 s[40:41], v17, v16
	s_nop 1
	v_cndmask_b32_e64 v15, v15, v17, s[40:41]
	v_lshlrev_b32_e32 v59, 2, v15
	ds_bpermute_b32 v15, v59, v14
	s_waitcnt vmcnt(6)
	v_mad_i64_i32 v[12:13], s[40:41], v61, s45, 0
	v_lshl_add_u64 v[12:13], v[12:13], 1, v[46:47]
	s_waitcnt lgkmcnt(0)
	v_max_f32_e32 v15, v15, v15
	v_max_f32_e32 v56, v14, v15
	v_sub_f32_e32 v10, v10, v56
	v_mul_f32_e32 v10, 0x3fb8aa3b, v10
	v_exp_f32_e32 v46, v10
	v_sub_f32_e32 v10, v11, v56
	v_mul_f32_e32 v10, 0x3fb8aa3b, v10
	v_exp_f32_e32 v47, v10
	global_load_dwordx4 v[14:17], v[12:13], off
	s_nop 0
	global_load_dwordx4 v[10:13], v[12:13], off offset:16
	v_sub_f32_e32 v52, v52, v56
	v_mul_f32_e32 v52, 0x3fb8aa3b, v52
	v_sub_f32_e32 v53, v53, v56
	v_exp_f32_e32 v52, v52
	v_mul_f32_e32 v53, 0x3fb8aa3b, v53
	v_sub_f32_e32 v50, v50, v56
	v_exp_f32_e32 v53, v53
	v_mul_f32_e32 v50, 0x3fb8aa3b, v50
	v_sub_f32_e32 v51, v51, v56
	v_cndmask_b32_e64 v46, 0, v46, s[4:5]
	v_exp_f32_e32 v50, v50
	v_mul_f32_e32 v51, 0x3fb8aa3b, v51
	v_sub_f32_e32 v48, v48, v56
	v_add_f32_e32 v58, 0, v46
	v_cndmask_b32_e64 v47, 0, v47, s[34:35]
	v_exp_f32_e32 v51, v51
	v_mul_f32_e32 v48, 0x3fb8aa3b, v48
	v_sub_f32_e32 v49, v49, v56
	v_add_f32_e32 v58, v58, v47
	;; [unrolled: 5-line block ×10, first 2 shown]
	v_cndmask_b32_e64 v38, 0, v38, s[12:13]
	v_exp_f32_e32 v34, v34
	v_mul_f32_e32 v35, 0x3fb8aa3b, v35
	v_add_f32_e32 v58, v58, v38
	v_cndmask_b32_e64 v39, 0, v39, s[14:15]
	v_exp_f32_e32 v35, v35
	v_add_f32_e32 v58, v58, v39
	v_cndmask_b32_e64 v36, 0, v36, s[8:9]
	v_add_f32_e32 v58, v58, v36
	v_cndmask_b32_e64 v37, 0, v37, s[10:11]
	v_add_f32_e32 v58, v58, v37
	v_cndmask_b32_e32 v34, 0, v34, vcc
	v_add_f32_e32 v58, v58, v34
	v_cndmask_b32_e64 v35, 0, v35, s[6:7]
	v_add_f32_e32 v58, v58, v35
	ds_bpermute_b32 v57, v57, v58
	s_load_dword s7, s[0:1], 0x98
	v_cmp_gt_u32_e32 vcc, 16, v55
	s_waitcnt lgkmcnt(0)
	s_barrier
	v_add_f32_e32 v58, v58, v57
	ds_bpermute_b32 v59, v59, v58
	v_lshlrev_b32_e32 v57, 2, v44
	s_waitcnt lgkmcnt(0)
	s_and_saveexec_b64 s[4:5], vcc
	s_cbranch_execz .LBB453_15
; %bb.14:
	v_add_f32_e32 v55, v58, v59
	v_lshl_or_b32 v58, v45, 6, v57
	ds_write2st64_b32 v58, v56, v55 offset1:1
.LBB453_15:
	s_or_b64 exec, exec, s[4:5]
	s_load_dword s6, s[0:1], 0x94
	s_waitcnt lgkmcnt(0)
	s_barrier
	ds_read2_b32 v[58:59], v57 offset1:16
	ds_read2_b32 v[60:61], v57 offset0:32 offset1:48
	ds_read2_b32 v[62:63], v57 offset0:64 offset1:80
	s_movk_i32 s8, 0x7fff
	s_mov_b32 s9, 0x7060302
	s_waitcnt lgkmcnt(2)
	v_max3_f32 v55, v58, s33, v59
	s_waitcnt lgkmcnt(1)
	v_max3_f32 v55, v55, v60, v61
	v_sub_f32_e32 v56, v58, v55
	v_mul_f32_e32 v56, 0x3fb8aa3b, v56
	v_exp_f32_e32 v64, v56
	v_sub_f32_e32 v56, v59, v55
	v_mul_f32_e32 v56, 0x3fb8aa3b, v56
	v_exp_f32_e32 v65, v56
	;; [unrolled: 3-line block ×3, first 2 shown]
	ds_read2_b32 v[58:59], v57 offset0:96 offset1:112
	v_sub_f32_e32 v56, v61, v55
	v_mul_f32_e32 v56, 0x3fb8aa3b, v56
	v_exp_f32_e32 v57, v56
	s_waitcnt lgkmcnt(1)
	v_fma_f32 v56, v64, v62, 0
	v_fmac_f32_e32 v56, v65, v63
	s_waitcnt lgkmcnt(0)
	v_fmac_f32_e32 v56, v60, v58
	v_fmac_f32_e32 v56, v57, v59
	v_add_f32_e32 v58, 0x358637bd, v56
	v_div_scale_f32 v59, s[4:5], v58, v58, 1.0
	v_rcp_f32_e32 v61, v59
	s_mul_i32 s7, s7, 14
	s_barrier
	v_fma_f32 v62, -v59, v61, 1.0
	v_fmac_f32_e32 v61, v62, v61
	v_div_scale_f32 v62, vcc, 1.0, v58, 1.0
	v_mul_f32_e32 v63, v62, v61
	v_fma_f32 v66, -v59, v63, v62
	v_fmac_f32_e32 v63, v66, v61
	v_fma_f32 v59, -v59, v63, v62
	v_div_fmas_f32 v59, v59, v61, v63
	v_cmp_eq_u32_e32 vcc, 1, v45
	v_div_fixup_f32 v58, v59, v58, 1.0
	s_nop 0
	v_cndmask_b32_e32 v59, v64, v65, vcc
	v_cmp_eq_u32_e32 vcc, 2, v45
	s_nop 1
	v_cndmask_b32_e32 v59, v59, v60, vcc
	v_cmp_eq_u32_e32 vcc, 3, v45
	v_lshlrev_b32_e32 v45, 11, v45
	s_nop 0
	v_cndmask_b32_e32 v57, v59, v57, vcc
	v_mul_f32_e32 v58, v57, v58
	v_pk_mul_f32 v[46:47], v[58:59], v[46:47] op_sel_hi:[0,1]
	v_pk_mul_f32 v[52:53], v[58:59], v[52:53] op_sel_hi:[0,1]
	v_bfe_u32 v57, v47, 16, 1
	v_bfe_u32 v59, v46, 16, 1
	v_add3_u32 v46, v46, v59, s8
	v_add3_u32 v47, v47, v57, s8
	v_perm_b32 v60, v47, v46, s9
	v_bfe_u32 v46, v53, 16, 1
	v_bfe_u32 v47, v52, 16, 1
	v_add3_u32 v47, v52, v47, s8
	v_add3_u32 v46, v53, v46, s8
	v_perm_b32 v61, v46, v47, s9
	v_lshlrev_b32_e32 v46, 3, v54
	v_pk_mul_f32 v[50:51], v[58:59], v[50:51] op_sel_hi:[0,1]
	v_or3_b32 v46, v45, v43, v46
	v_bfe_u32 v45, v51, 16, 1
	v_bfe_u32 v47, v50, 16, 1
	v_pk_mul_f32 v[48:49], v[58:59], v[48:49] op_sel_hi:[0,1]
	v_add3_u32 v47, v50, v47, s8
	v_add3_u32 v45, v51, v45, s8
	v_perm_b32 v50, v45, v47, s9
	v_bfe_u32 v45, v49, 16, 1
	v_bfe_u32 v47, v48, 16, 1
	v_add3_u32 v47, v48, v47, s8
	v_add3_u32 v45, v49, v45, s8
	v_pk_mul_f32 v[40:41], v[58:59], v[40:41] op_sel_hi:[0,1]
	v_perm_b32 v51, v45, v47, s9
	v_bfe_u32 v45, v41, 16, 1
	v_bfe_u32 v47, v40, 16, 1
	v_pk_mul_f32 v[38:39], v[58:59], v[38:39] op_sel_hi:[0,1]
	v_add3_u32 v40, v40, v47, s8
	v_add3_u32 v41, v41, v45, s8
	v_perm_b32 v40, v41, v40, s9
	v_bfe_u32 v41, v39, 16, 1
	v_bfe_u32 v45, v38, 16, 1
	v_add3_u32 v38, v38, v45, s8
	v_add3_u32 v39, v39, v41, s8
	v_pk_mul_f32 v[36:37], v[58:59], v[36:37] op_sel_hi:[0,1]
	v_perm_b32 v41, v39, v38, s9
	v_bfe_u32 v38, v37, 16, 1
	v_bfe_u32 v39, v36, 16, 1
	v_pk_mul_f32 v[34:35], v[58:59], v[34:35] op_sel_hi:[0,1]
	v_add3_u32 v36, v36, v39, s8
	v_add3_u32 v37, v37, v38, s8
	v_perm_b32 v36, v37, v36, s9
	v_bfe_u32 v37, v35, 16, 1
	v_bfe_u32 v38, v34, 16, 1
	v_add3_u32 v34, v34, v38, s8
	v_add3_u32 v35, v35, v37, s8
	v_perm_b32 v37, v35, v34, s9
	v_cmp_gt_u32_e32 vcc, 14, v0
	ds_write2st64_b64 v46, v[60:61], v[50:51] offset1:1
	ds_write2st64_b64 v46, v[40:41], v[36:37] offset0:2 offset1:3
	s_and_saveexec_b64 s[4:5], vcc
	s_cbranch_execz .LBB453_17
; %bb.16:
	s_mov_b32 s43, 0
	v_mov_b32_e32 v45, 0
	v_lshl_add_u64 v[34:35], s[42:43], 0, v[44:45]
	v_mov_b32_e32 v36, s7
	v_mad_u64_u32 v[34:35], s[10:11], s2, v36, v[34:35]
	s_mul_i32 s3, s3, s7
	v_mov_b32_e32 v44, s28
	s_load_dwordx4 s[12:15], s[0:1], 0x58
	v_add_u32_e32 v37, s3, v35
	v_mad_u64_u32 v[34:35], s[10:11], v34, s6, v[44:45]
	v_mov_b32_e32 v36, v35
	v_mad_u64_u32 v[36:37], s[10:11], v37, s6, v[36:37]
	v_mov_b32_e32 v35, v36
	v_lshlrev_b64 v[34:35], 2, v[34:35]
	s_waitcnt lgkmcnt(0)
	v_lshl_add_u64 v[36:37], s[14:15], 0, v[34:35]
	v_lshl_add_u64 v[34:35], s[12:13], 0, v[34:35]
	global_store_dword v[36:37], v55, off
	global_store_dword v[34:35], v56, off
.LBB453_17:
	s_or_b64 exec, exec, s[4:5]
	v_lshl_or_b32 v43, v54, 9, v43
	s_waitcnt lgkmcnt(0)
	s_barrier
	ds_read_b128 v[34:37], v43
	ds_read_b128 v[38:41], v43 offset:16
	s_waitcnt vmcnt(7) lgkmcnt(1)
	v_mfma_f32_16x16x16_bf16 v[48:51], v[6:7], v[34:35], 0
	v_cmp_gt_u32_e32 vcc, 64, v0
	s_mov_b32 s3, 0
	s_and_b64 s[4:5], vcc, s[30:31]
	v_mfma_f32_16x16x16_bf16 v[6:9], v[8:9], v[36:37], v[48:51]
	s_waitcnt vmcnt(6) lgkmcnt(0)
	v_mfma_f32_16x16x16_bf16 v[6:9], v[2:3], v[38:39], v[6:9]
	v_mfma_f32_16x16x16_bf16 v[2:5], v[4:5], v[40:41], v[6:9]
	s_nop 5
	ds_read_b128 v[6:9], v43 offset:2048
	ds_read_b128 v[34:37], v43 offset:2064
	s_waitcnt vmcnt(5) lgkmcnt(1)
	v_mfma_f32_16x16x16_bf16 v[2:5], v[30:31], v[6:7], v[2:5]
	v_mfma_f32_16x16x16_bf16 v[2:5], v[32:33], v[8:9], v[2:5]
	s_waitcnt vmcnt(4) lgkmcnt(0)
	v_mfma_f32_16x16x16_bf16 v[2:5], v[26:27], v[34:35], v[2:5]
	v_mfma_f32_16x16x16_bf16 v[2:5], v[28:29], v[36:37], v[2:5]
	ds_read_b128 v[6:9], v43 offset:4096
	ds_read_b128 v[26:29], v43 offset:4112
	s_waitcnt vmcnt(3) lgkmcnt(1)
	v_mfma_f32_16x16x16_bf16 v[2:5], v[22:23], v[6:7], v[2:5]
	v_mfma_f32_16x16x16_bf16 v[2:5], v[24:25], v[8:9], v[2:5]
	s_waitcnt vmcnt(2) lgkmcnt(0)
	v_mfma_f32_16x16x16_bf16 v[2:5], v[18:19], v[26:27], v[2:5]
	v_mfma_f32_16x16x16_bf16 v[2:5], v[20:21], v[28:29], v[2:5]
	ds_read_b128 v[6:9], v43 offset:6144
	ds_read_b128 v[18:21], v43 offset:6160
	v_mov_b32_e32 v43, 0
	s_waitcnt vmcnt(1) lgkmcnt(0)
	v_mfma_f32_16x16x16_bf16 v[2:5], v[14:15], v[6:7], v[2:5]
	s_barrier
	v_mfma_f32_16x16x16_bf16 v[2:5], v[16:17], v[8:9], v[2:5]
	s_waitcnt vmcnt(0)
	v_mfma_f32_16x16x16_bf16 v[2:5], v[10:11], v[18:19], v[2:5]
	v_mfma_f32_16x16x16_bf16 v[2:5], v[12:13], v[20:21], v[2:5]
	s_nop 6
	v_bfe_u32 v6, v3, 16, 1
	v_bfe_u32 v7, v2, 16, 1
	;; [unrolled: 1-line block ×4, first 2 shown]
	v_add3_u32 v2, v2, v7, s8
	v_add3_u32 v3, v3, v6, s8
	;; [unrolled: 1-line block ×4, first 2 shown]
	v_perm_b32 v2, v3, v2, s9
	v_perm_b32 v3, v5, v4, s9
	ds_write_b64 v46, v[2:3]
	s_waitcnt lgkmcnt(0)
	s_barrier
	s_and_saveexec_b64 s[8:9], s[4:5]
	s_cbranch_execz .LBB453_20
; %bb.18:
	s_load_dwordx2 s[4:5], s[0:1], 0x68
	s_lshl_b32 s0, s6, 6
	s_mul_i32 s1, s7, s2
	s_mul_hi_u32 s7, s1, s0
	s_mul_i32 s6, s1, s0
	v_lshlrev_b32_e32 v0, 10, v0
	s_lshl_b64 s[6:7], s[6:7], 1
	v_and_b32_e32 v0, 0x1800, v0
	v_lshlrev_b32_e32 v2, 5, v54
	v_and_b32_e32 v1, 16, v1
	s_waitcnt lgkmcnt(0)
	s_add_u32 s1, s4, s6
	v_or3_b32 v2, v0, v2, v1
	s_addc_u32 s4, s5, s7
	s_lshl_b32 s2, s28, 6
	ds_read_b128 v[4:7], v2 offset:256
	s_lshl_b64 s[2:3], s[2:3], 1
	ds_read_b128 v[8:11], v2 offset:128
	ds_read_b128 v[12:15], v2
	s_add_u32 s2, s1, s2
	s_addc_u32 s3, s4, s3
	v_add_u32_e32 v18, s42, v54
	v_lshl_add_u64 v[0:1], s[2:3], 0, v[42:43]
	v_mad_u64_u32 v[16:17], s[2:3], v18, s0, 0
	v_lshl_add_u64 v[16:17], v[16:17], 1, v[0:1]
	s_waitcnt lgkmcnt(0)
	global_store_dwordx4 v[16:17], v[12:15], off
	v_or_b32_e32 v3, 12, v54
	v_cmp_gt_u32_e32 vcc, 14, v3
	v_add_u32_e32 v12, 4, v18
	v_mad_u64_u32 v[12:13], s[2:3], v12, s0, 0
	v_lshl_add_u64 v[12:13], v[12:13], 1, v[0:1]
	global_store_dwordx4 v[12:13], v[8:11], off
	s_nop 1
	v_add_u32_e32 v8, 8, v18
	v_mad_u64_u32 v[8:9], s[2:3], v8, s0, 0
	v_lshl_add_u64 v[8:9], v[8:9], 1, v[0:1]
	global_store_dwordx4 v[8:9], v[4:7], off
	s_and_b64 exec, exec, vcc
	s_cbranch_execz .LBB453_20
; %bb.19:
	ds_read_b128 v[4:7], v2 offset:384
	v_add_u32_e32 v2, s42, v3
	v_mad_u64_u32 v[2:3], s[0:1], v2, s0, 0
	v_lshl_add_u64 v[0:1], v[2:3], 1, v[0:1]
	s_waitcnt lgkmcnt(0)
	global_store_dwordx4 v[0:1], v[4:7], off
.LBB453_20:
	s_endpgm
	.section	.rodata,"a",@progbits
	.p2align	6, 0x0
	.amdhsa_kernel _Z39paged_attention_ll4mi_QKV_mfma16_kernelI14__hip_bfloat16S0_LN4vllm18Fp8KVCacheDataTypeE0ES0_Li16ELi64ELi256ELb1ELi14EEvPKT_PKT0_S8_ifPKiSA_SA_iPKfiiiPfSD_PS3_PT2_iSC_SC_
		.amdhsa_group_segment_fixed_size 8192
		.amdhsa_private_segment_fixed_size 0
		.amdhsa_kernarg_size 400
		.amdhsa_user_sgpr_count 2
		.amdhsa_user_sgpr_dispatch_ptr 0
		.amdhsa_user_sgpr_queue_ptr 0
		.amdhsa_user_sgpr_kernarg_segment_ptr 1
		.amdhsa_user_sgpr_dispatch_id 0
		.amdhsa_user_sgpr_kernarg_preload_length 0
		.amdhsa_user_sgpr_kernarg_preload_offset 0
		.amdhsa_user_sgpr_private_segment_size 0
		.amdhsa_uses_dynamic_stack 0
		.amdhsa_enable_private_segment 0
		.amdhsa_system_sgpr_workgroup_id_x 1
		.amdhsa_system_sgpr_workgroup_id_y 1
		.amdhsa_system_sgpr_workgroup_id_z 1
		.amdhsa_system_sgpr_workgroup_info 0
		.amdhsa_system_vgpr_workitem_id 0
		.amdhsa_next_free_vgpr 72
		.amdhsa_next_free_sgpr 48
		.amdhsa_accum_offset 72
		.amdhsa_reserve_vcc 1
		.amdhsa_float_round_mode_32 0
		.amdhsa_float_round_mode_16_64 0
		.amdhsa_float_denorm_mode_32 3
		.amdhsa_float_denorm_mode_16_64 3
		.amdhsa_dx10_clamp 1
		.amdhsa_ieee_mode 1
		.amdhsa_fp16_overflow 0
		.amdhsa_tg_split 0
		.amdhsa_exception_fp_ieee_invalid_op 0
		.amdhsa_exception_fp_denorm_src 0
		.amdhsa_exception_fp_ieee_div_zero 0
		.amdhsa_exception_fp_ieee_overflow 0
		.amdhsa_exception_fp_ieee_underflow 0
		.amdhsa_exception_fp_ieee_inexact 0
		.amdhsa_exception_int_div_zero 0
	.end_amdhsa_kernel
	.section	.text._Z39paged_attention_ll4mi_QKV_mfma16_kernelI14__hip_bfloat16S0_LN4vllm18Fp8KVCacheDataTypeE0ES0_Li16ELi64ELi256ELb1ELi14EEvPKT_PKT0_S8_ifPKiSA_SA_iPKfiiiPfSD_PS3_PT2_iSC_SC_,"axG",@progbits,_Z39paged_attention_ll4mi_QKV_mfma16_kernelI14__hip_bfloat16S0_LN4vllm18Fp8KVCacheDataTypeE0ES0_Li16ELi64ELi256ELb1ELi14EEvPKT_PKT0_S8_ifPKiSA_SA_iPKfiiiPfSD_PS3_PT2_iSC_SC_,comdat
.Lfunc_end453:
	.size	_Z39paged_attention_ll4mi_QKV_mfma16_kernelI14__hip_bfloat16S0_LN4vllm18Fp8KVCacheDataTypeE0ES0_Li16ELi64ELi256ELb1ELi14EEvPKT_PKT0_S8_ifPKiSA_SA_iPKfiiiPfSD_PS3_PT2_iSC_SC_, .Lfunc_end453-_Z39paged_attention_ll4mi_QKV_mfma16_kernelI14__hip_bfloat16S0_LN4vllm18Fp8KVCacheDataTypeE0ES0_Li16ELi64ELi256ELb1ELi14EEvPKT_PKT0_S8_ifPKiSA_SA_iPKfiiiPfSD_PS3_PT2_iSC_SC_
                                        ; -- End function
	.section	.AMDGPU.csdata,"",@progbits
; Kernel info:
; codeLenInByte = 4372
; NumSgprs: 54
; NumVgprs: 72
; NumAgprs: 0
; TotalNumVgprs: 72
; ScratchSize: 0
; MemoryBound: 0
; FloatMode: 240
; IeeeMode: 1
; LDSByteSize: 8192 bytes/workgroup (compile time only)
; SGPRBlocks: 6
; VGPRBlocks: 8
; NumSGPRsForWavesPerEU: 54
; NumVGPRsForWavesPerEU: 72
; AccumOffset: 72
; Occupancy: 7
; WaveLimiterHint : 1
; COMPUTE_PGM_RSRC2:SCRATCH_EN: 0
; COMPUTE_PGM_RSRC2:USER_SGPR: 2
; COMPUTE_PGM_RSRC2:TRAP_HANDLER: 0
; COMPUTE_PGM_RSRC2:TGID_X_EN: 1
; COMPUTE_PGM_RSRC2:TGID_Y_EN: 1
; COMPUTE_PGM_RSRC2:TGID_Z_EN: 1
; COMPUTE_PGM_RSRC2:TIDIG_COMP_CNT: 0
; COMPUTE_PGM_RSRC3_GFX90A:ACCUM_OFFSET: 17
; COMPUTE_PGM_RSRC3_GFX90A:TG_SPLIT: 0
	.section	.text._Z39paged_attention_ll4mi_QKV_mfma16_kernelI14__hip_bfloat16S0_LN4vllm18Fp8KVCacheDataTypeE0ES0_Li16ELi64ELi256ELb1ELi15EEvPKT_PKT0_S8_ifPKiSA_SA_iPKfiiiPfSD_PS3_PT2_iSC_SC_,"axG",@progbits,_Z39paged_attention_ll4mi_QKV_mfma16_kernelI14__hip_bfloat16S0_LN4vllm18Fp8KVCacheDataTypeE0ES0_Li16ELi64ELi256ELb1ELi15EEvPKT_PKT0_S8_ifPKiSA_SA_iPKfiiiPfSD_PS3_PT2_iSC_SC_,comdat
	.protected	_Z39paged_attention_ll4mi_QKV_mfma16_kernelI14__hip_bfloat16S0_LN4vllm18Fp8KVCacheDataTypeE0ES0_Li16ELi64ELi256ELb1ELi15EEvPKT_PKT0_S8_ifPKiSA_SA_iPKfiiiPfSD_PS3_PT2_iSC_SC_ ; -- Begin function _Z39paged_attention_ll4mi_QKV_mfma16_kernelI14__hip_bfloat16S0_LN4vllm18Fp8KVCacheDataTypeE0ES0_Li16ELi64ELi256ELb1ELi15EEvPKT_PKT0_S8_ifPKiSA_SA_iPKfiiiPfSD_PS3_PT2_iSC_SC_
	.globl	_Z39paged_attention_ll4mi_QKV_mfma16_kernelI14__hip_bfloat16S0_LN4vllm18Fp8KVCacheDataTypeE0ES0_Li16ELi64ELi256ELb1ELi15EEvPKT_PKT0_S8_ifPKiSA_SA_iPKfiiiPfSD_PS3_PT2_iSC_SC_
	.p2align	8
	.type	_Z39paged_attention_ll4mi_QKV_mfma16_kernelI14__hip_bfloat16S0_LN4vllm18Fp8KVCacheDataTypeE0ES0_Li16ELi64ELi256ELb1ELi15EEvPKT_PKT0_S8_ifPKiSA_SA_iPKfiiiPfSD_PS3_PT2_iSC_SC_,@function
_Z39paged_attention_ll4mi_QKV_mfma16_kernelI14__hip_bfloat16S0_LN4vllm18Fp8KVCacheDataTypeE0ES0_Li16ELi64ELi256ELb1ELi15EEvPKT_PKT0_S8_ifPKiSA_SA_iPKfiiiPfSD_PS3_PT2_iSC_SC_: ; @_Z39paged_attention_ll4mi_QKV_mfma16_kernelI14__hip_bfloat16S0_LN4vllm18Fp8KVCacheDataTypeE0ES0_Li16ELi64ELi256ELb1ELi15EEvPKT_PKT0_S8_ifPKiSA_SA_iPKfiiiPfSD_PS3_PT2_iSC_SC_
; %bb.0:
	s_load_dwordx2 s[8:9], s[0:1], 0x30
	s_mov_b32 s28, s3
	s_mov_b64 s[6:7], 0
	s_waitcnt lgkmcnt(0)
	s_cmp_lg_u64 s[8:9], 0
	s_cselect_b64 s[10:11], -1, 0
	s_and_b64 vcc, exec, s[10:11]
	s_cbranch_vccz .LBB454_7
; %bb.1:
	s_add_i32 s12, s2, 1
	s_mov_b32 s13, 0
	s_lshl_b64 s[14:15], s[12:13], 2
	s_add_u32 s14, s8, s14
	s_mov_b32 s3, s13
	s_addc_u32 s15, s9, s15
	s_lshl_b64 s[12:13], s[2:3], 2
	s_add_u32 s12, s8, s12
	s_addc_u32 s13, s9, s13
	s_load_dword s5, s[14:15], 0x0
	s_load_dword s16, s[12:13], 0x0
	s_waitcnt lgkmcnt(0)
	s_sub_i32 s5, s5, s16
	s_cmp_eq_u32 s5, 1
	s_cselect_b64 s[12:13], -1, 0
	s_andn2_b64 vcc, exec, s[6:7]
	s_cbranch_vccnz .LBB454_3
.LBB454_2:
	s_mov_b32 s3, 0
	s_mov_b64 s[12:13], -1
.LBB454_3:
	s_andn2_b64 vcc, exec, s[12:13]
	s_cbranch_vccnz .LBB454_20
; %bb.4:
	s_load_dwordx2 s[6:7], s[0:1], 0x28
	s_lshl_b64 s[12:13], s[2:3], 2
	s_waitcnt lgkmcnt(0)
	s_add_u32 s6, s6, s12
	s_addc_u32 s7, s7, s13
	s_load_dword s29, s[6:7], 0x0
	s_lshl_b32 s16, s28, 8
	s_waitcnt lgkmcnt(0)
	s_cmp_ge_i32 s16, s29
	s_cbranch_scc1 .LBB454_20
; %bb.5:
	s_load_dwordx2 s[6:7], s[0:1], 0x20
	s_load_dword s5, s[0:1], 0x38
	s_add_i32 s14, s29, 15
	s_ashr_i32 s15, s14, 31
	v_and_b32_e32 v1, 0xcf, v0
	s_lshr_b32 s15, s15, 28
	v_add_u32_e32 v1, s16, v1
	s_add_i32 s14, s14, s15
	v_ashrrev_i32_e32 v2, 31, v1
	s_ashr_i32 s17, s14, 4
	v_lshrrev_b32_e32 v6, 28, v2
	s_add_i32 s17, s17, -1
	s_waitcnt lgkmcnt(0)
	s_mul_i32 s14, s2, s5
	s_mov_b32 s15, 0
	v_add_u32_e32 v2, v1, v6
	s_lshl_b64 s[14:15], s[14:15], 2
	v_ashrrev_i32_e32 v2, 4, v2
	v_mov_b32_e32 v7, s17
	v_cmp_gt_i32_e32 vcc, s29, v1
	s_add_u32 s6, s6, s14
	s_addc_u32 s7, s7, s15
	v_cndmask_b32_e32 v2, v7, v2, vcc
	v_ashrrev_i32_e32 v3, 31, v2
	v_lshl_add_u64 v[4:5], v[2:3], 2, s[6:7]
	v_or_b32_e32 v2, 16, v1
	v_add_u32_e32 v3, v2, v6
	v_ashrrev_i32_e32 v3, 4, v3
	v_cmp_gt_i32_e32 vcc, s29, v2
	s_load_dwordx2 s[14:15], s[0:1], 0x8
	s_nop 0
	v_cndmask_b32_e32 v2, v7, v3, vcc
	v_ashrrev_i32_e32 v3, 31, v2
	v_lshl_add_u64 v[8:9], v[2:3], 2, s[6:7]
	v_or_b32_e32 v2, 32, v1
	v_add_u32_e32 v3, v2, v6
	v_ashrrev_i32_e32 v3, 4, v3
	v_cmp_gt_i32_e32 vcc, s29, v2
	v_or_b32_e32 v1, 48, v1
	s_nop 0
	v_cndmask_b32_e32 v2, v7, v3, vcc
	v_ashrrev_i32_e32 v3, 31, v2
	v_lshl_add_u64 v[10:11], v[2:3], 2, s[6:7]
	v_add_u32_e32 v2, v1, v6
	v_ashrrev_i32_e32 v2, 4, v2
	v_cmp_gt_i32_e32 vcc, s29, v1
	s_nop 1
	v_cndmask_b32_e32 v2, v7, v2, vcc
	v_ashrrev_i32_e32 v3, 31, v2
	v_lshl_add_u64 v[12:13], v[2:3], 2, s[6:7]
	global_load_dword v3, v[4:5], off
	global_load_dword v2, v[8:9], off
	;; [unrolled: 1-line block ×4, first 2 shown]
	s_andn2_b64 vcc, exec, s[10:11]
	s_cbranch_vccnz .LBB454_8
; %bb.6:
	s_add_u32 s8, s8, s12
	s_addc_u32 s9, s9, s13
	s_load_dword s5, s[8:9], 0x0
	s_branch .LBB454_9
.LBB454_7:
	s_mov_b64 s[12:13], 0
	s_branch .LBB454_2
.LBB454_8:
	s_mov_b32 s5, s2
.LBB454_9:
	s_load_dwordx2 s[8:9], s[0:1], 0x10
	s_load_dwordx4 s[44:47], s[0:1], 0x48
	v_lshrrev_b32_e32 v45, 6, v0
	v_bfe_u32 v54, v0, 4, 2
	v_lshl_or_b32 v1, v45, 2, v54
	v_and_b32_e32 v44, 15, v0
	v_lshlrev_b32_e32 v4, 3, v44
	v_cmp_gt_u32_e32 vcc, 15, v1
	v_cmp_gt_u32_e64 s[30:31], 8, v44
	s_mul_i32 s42, s4, 15
	s_and_b64 s[12:13], s[30:31], vcc
	v_lshlrev_b32_e32 v42, 1, v4
	s_and_saveexec_b64 s[10:11], s[12:13]
	s_cbranch_execz .LBB454_11
; %bb.10:
	s_load_dwordx2 s[12:13], s[0:1], 0x0
	s_waitcnt lgkmcnt(0)
	s_ashr_i32 s18, s44, 31
	s_mul_hi_u32 s19, s5, s44
	s_mul_i32 s18, s5, s18
	s_add_i32 s19, s19, s18
	s_mul_i32 s18, s5, s44
	s_lshl_b64 s[18:19], s[18:19], 1
	s_add_u32 s12, s12, s18
	v_add_lshl_u32 v4, v1, s42, 6
	s_addc_u32 s13, s13, s19
	v_ashrrev_i32_e32 v5, 31, v4
	v_lshl_add_u64 v[4:5], v[4:5], 1, s[12:13]
	v_mov_b32_e32 v43, 0
	v_lshl_add_u64 v[4:5], v[4:5], 0, v[42:43]
	global_load_dwordx4 v[8:11], v[4:5], off
	v_and_b32_e32 v4, 3, v0
	v_lshlrev_b32_e32 v5, 9, v44
	v_lshlrev_b32_e32 v1, 5, v1
	;; [unrolled: 1-line block ×3, first 2 shown]
	v_and_b32_e32 v5, 0x1800, v5
	v_or3_b32 v1, v5, v4, v1
	s_waitcnt vmcnt(0)
	ds_write_b128 v1, v[8:11]
.LBB454_11:
	s_or_b64 exec, exec, s[10:11]
	s_waitcnt lgkmcnt(0)
	s_mov_b32 s5, 0
	s_mul_i32 s4, s4, s46
	s_lshl_b64 s[4:5], s[4:5], 1
	s_add_u32 s10, s14, s4
	v_lshlrev_b32_e32 v1, 4, v0
	v_mov_b32_e32 v47, 0
	s_addc_u32 s11, s15, s5
	v_and_b32_e32 v46, 0xf0, v1
	v_lshl_add_u64 v[16:17], s[10:11], 0, v[46:47]
	s_waitcnt vmcnt(3)
	v_mad_i64_i32 v[4:5], s[10:11], v3, s45, 0
	s_waitcnt vmcnt(2)
	v_mad_i64_i32 v[2:3], s[10:11], v2, s45, 0
	;; [unrolled: 2-line block ×3, first 2 shown]
	v_lshl_add_u64 v[4:5], v[4:5], 1, v[16:17]
	v_and_b32_e32 v46, 0x300, v1
	v_lshl_add_u64 v[2:3], v[2:3], 1, v[16:17]
	v_lshl_add_u64 v[6:7], v[6:7], 1, v[16:17]
	s_waitcnt vmcnt(0)
	v_mad_i64_i32 v[14:15], s[10:11], v14, s45, 0
	v_lshl_add_u64 v[4:5], v[4:5], 0, v[46:47]
	v_lshl_add_u64 v[8:9], v[2:3], 0, v[46:47]
	;; [unrolled: 1-line block ×4, first 2 shown]
	s_barrier
	global_load_dwordx4 v[30:33], v[4:5], off
	global_load_dwordx4 v[10:13], v[4:5], off offset:1024
	global_load_dwordx4 v[22:25], v[8:9], off
	s_nop 0
	global_load_dwordx4 v[2:5], v[8:9], off offset:1024
	global_load_dwordx4 v[26:29], v[18:19], off
	s_nop 0
	global_load_dwordx4 v[6:9], v[18:19], off offset:1024
	v_lshl_add_u64 v[18:19], v[14:15], 0, v[46:47]
	global_load_dwordx4 v[34:37], v[18:19], off
	global_load_dwordx4 v[14:17], v[18:19], off offset:1024
	v_cmp_ne_u32_e32 vcc, 15, v44
	v_and_b32_e32 v55, 63, v0
	v_mov_b32_e32 v56, 0
	v_cndmask_b32_e32 v18, 0, v44, vcc
	v_lshlrev_b32_e32 v18, 5, v18
	v_lshl_or_b32 v18, v54, 9, v18
	ds_read_b128 v[38:41], v18
	ds_read_b128 v[18:21], v18 offset:2048
	s_and_saveexec_b64 s[10:11], vcc
	s_cbranch_execz .LBB454_13
; %bb.12:
	s_load_dwordx2 s[12:13], s[0:1], 0x40
	v_add_u32_e32 v48, s42, v44
	v_ashrrev_i32_e32 v49, 31, v48
	s_waitcnt lgkmcnt(0)
	v_lshl_add_u64 v[48:49], v[48:49], 2, s[12:13]
	global_load_dword v56, v[48:49], off
.LBB454_13:
	s_or_b64 exec, exec, s[10:11]
	v_and_or_b32 v46, v0, 48, s16
	v_ashrrev_i32_e32 v43, 4, v46
	v_mov_b32_e32 v57, s17
	v_cmp_gt_i32_e32 vcc, s29, v46
	s_waitcnt vmcnt(5) lgkmcnt(1)
	v_mfma_f32_16x16x16_bf16 v[58:61], v[22:23], v[38:39], 0
	s_load_dword s10, s[0:1], 0x1c
	v_cndmask_b32_e32 v48, v57, v43, vcc
	v_ashrrev_i32_e32 v49, 31, v48
	v_or_b32_e32 v43, 64, v46
	v_lshl_add_u64 v[52:53], v[48:49], 2, s[6:7]
	v_mfma_f32_16x16x16_bf16 v[48:51], v[30:31], v[38:39], 0
	v_ashrrev_i32_e32 v30, 4, v43
	v_cmp_gt_i32_e32 vcc, s29, v43
	global_load_dword v70, v[52:53], off
	s_waitcnt vmcnt(4)
	v_mfma_f32_16x16x16_bf16 v[62:65], v[26:27], v[38:39], 0
	v_cndmask_b32_e32 v30, v57, v30, vcc
	v_ashrrev_i32_e32 v31, 31, v30
	v_lshl_add_u64 v[22:23], v[30:31], 2, s[6:7]
	global_load_dword v71, v[22:23], off
	v_mfma_f32_16x16x16_bf16 v[22:25], v[24:25], v[40:41], v[58:61]
	v_and_b32_e32 v26, 0xc0, v0
	s_add_u32 s4, s8, s4
	v_lshlrev_b32_e32 v43, 5, v44
	v_mfma_f32_16x16x16_bf16 v[30:33], v[32:33], v[40:41], v[48:51]
	s_addc_u32 s5, s9, s5
	s_mov_b32 s33, 0xff7fffff
	s_waitcnt vmcnt(3)
	v_mfma_f32_16x16x16_bf16 v[66:69], v[34:35], v[38:39], 0
	v_or_b32_e32 v38, 0x80, v46
	v_add_u32_e32 v48, s16, v26
	v_or_b32_e32 v39, 0xc0, v46
	v_mfma_f32_16x16x16_bf16 v[26:29], v[28:29], v[40:41], v[62:65]
	v_ashrrev_i32_e32 v49, 4, v38
	v_cmp_gt_i32_e32 vcc, s29, v38
	v_ashrrev_i32_e32 v50, 4, v39
	s_waitcnt lgkmcnt(0)
	v_mfma_f32_16x16x16_bf16 v[22:25], v[2:3], v[18:19], v[22:25]
	v_cndmask_b32_e32 v38, v57, v49, vcc
	v_cmp_gt_i32_e32 vcc, s29, v39
	v_ashrrev_i32_e32 v39, 31, v38
	v_mfma_f32_16x16x16_bf16 v[30:33], v[10:11], v[18:19], v[30:33]
	v_cndmask_b32_e32 v10, v57, v50, vcc
	v_ashrrev_i32_e32 v11, 31, v10
	v_lshl_or_b32 v58, v54, 2, v48
	v_mfma_f32_16x16x16_bf16 v[26:29], v[6:7], v[18:19], v[26:29]
	v_lshl_add_u64 v[6:7], v[38:39], 2, s[6:7]
	v_lshl_add_u64 v[38:39], v[10:11], 2, s[6:7]
	v_or_b32_e32 v57, 1, v58
	v_mfma_f32_16x16x16_bf16 v[2:5], v[4:5], v[20:21], v[22:25]
	s_nop 2
	global_load_dword v22, v[6:7], off
	global_load_dword v61, v[38:39], off
	v_subrev_u32_e32 v59, s29, v57
	v_cvt_f32_i32_e32 v60, v59
	v_mfma_f32_16x16x16_bf16 v[34:37], v[36:37], v[40:41], v[66:69]
	v_pk_mul_f32 v[48:49], s[10:11], v[4:5] op_sel_hi:[0,1]
	v_lshl_or_b32 v46, v45, 9, v43
	v_lshl_add_u64 v[46:47], s[4:5], 0, v[46:47]
	s_waitcnt vmcnt(4)
	v_mfma_f32_16x16x16_bf16 v[34:37], v[14:15], v[18:19], v[34:37]
	v_add_u32_e32 v14, 1, v59
	v_add_u32_e32 v15, 2, v59
	v_cvt_f32_i32_e32 v23, v14
	v_cvt_f32_i32_e32 v24, v15
	v_mfma_f32_16x16x16_bf16 v[14:17], v[16:17], v[20:21], v[34:37]
	v_add_u32_e32 v18, 3, v59
	v_cvt_f32_i32_e32 v18, v18
	v_pk_mul_f32 v[50:51], s[10:11], v[2:3] op_sel_hi:[0,1]
	v_mfma_f32_16x16x16_bf16 v[10:13], v[12:13], v[20:21], v[30:33]
	v_cmp_gt_i32_e64 s[34:35], s29, v57
	s_nop 1
	v_pk_mul_f32 v[36:37], s[10:11], v[14:15] op_sel_hi:[0,1]
	v_add_u32_e32 v15, 19, v59
	v_add_u32_e32 v31, 18, v59
	v_cvt_f32_i32_e32 v14, v31
	v_cvt_f32_i32_e32 v15, v15
	v_mfma_f32_16x16x16_bf16 v[6:9], v[8:9], v[20:21], v[26:29]
	v_pk_mul_f32 v[34:35], s[10:11], v[16:17] op_sel_hi:[0,1]
	v_fma_f32 v48, v56, v14, v48
	v_add_u32_e32 v14, 32, v59
	v_fmac_f32_e32 v49, v56, v15
	v_cvt_f32_i32_e32 v14, v14
	v_add_u32_e32 v15, 33, v59
	v_add_u32_e32 v16, 34, v59
	v_cvt_f32_i32_e32 v15, v15
	v_cvt_f32_i32_e32 v16, v16
	v_add_u32_e32 v17, 35, v59
	v_cvt_f32_i32_e32 v17, v17
	v_pk_mul_f32 v[40:41], s[10:11], v[6:7] op_sel_hi:[0,1]
	v_pk_mul_f32 v[38:39], s[10:11], v[8:9] op_sel_hi:[0,1]
	v_fma_f32 v40, v56, v14, v40
	v_add_u32_e32 v14, 48, v59
	v_fmac_f32_e32 v41, v56, v15
	v_fma_f32 v38, v56, v16, v38
	v_cvt_f32_i32_e32 v14, v14
	v_add_u32_e32 v15, 49, v59
	v_add_u32_e32 v16, 50, v59
	v_fmac_f32_e32 v39, v56, v17
	v_cvt_f32_i32_e32 v15, v15
	v_cvt_f32_i32_e32 v16, v16
	v_add_u32_e32 v17, 51, v59
	v_cvt_f32_i32_e32 v17, v17
	v_pk_mul_f32 v[52:53], s[10:11], v[12:13] op_sel_hi:[0,1]
	v_pk_mul_f32 v[10:11], s[10:11], v[10:11] op_sel_hi:[0,1]
	s_waitcnt vmcnt(3)
	v_mad_i64_i32 v[2:3], s[4:5], v70, s45, 0
	s_waitcnt vmcnt(2)
	v_mad_i64_i32 v[12:13], s[4:5], v71, s45, 0
	v_fma_f32 v10, v56, v60, v10
	v_fmac_f32_e32 v11, v56, v23
	v_fma_f32 v36, v56, v14, v36
	v_mov_b32_e32 v14, 0xff7fffff
	v_cmp_gt_i32_e64 s[4:5], s29, v58
	v_add_u32_e32 v19, 16, v59
	v_add_u32_e32 v30, 17, v59
	v_fmac_f32_e32 v37, v56, v15
	v_fma_f32 v34, v56, v16, v34
	v_cndmask_b32_e64 v15, v14, v10, s[4:5]
	v_cndmask_b32_e64 v16, v14, v11, s[34:35]
	v_cvt_f32_i32_e32 v19, v19
	v_cvt_f32_i32_e32 v25, v30
	v_fmac_f32_e32 v35, v56, v17
	v_max3_f32 v15, v15, s33, v16
	v_or_b32_e32 v16, 2, v58
	v_or_b32_e32 v17, 3, v58
	v_fma_f32 v52, v56, v24, v52
	v_fmac_f32_e32 v53, v56, v18
	v_cmp_gt_i32_e64 s[36:37], s29, v16
	v_cmp_gt_i32_e64 s[38:39], s29, v17
	v_fma_f32 v50, v56, v19, v50
	v_cndmask_b32_e64 v16, v14, v52, s[36:37]
	v_cndmask_b32_e64 v17, v14, v53, s[38:39]
	v_max3_f32 v15, v15, v16, v17
	v_or_b32_e32 v16, 16, v58
	v_or_b32_e32 v17, 17, v58
	v_fmac_f32_e32 v51, v56, v25
	v_cmp_gt_i32_e64 s[24:25], s29, v16
	v_cmp_gt_i32_e64 s[26:27], s29, v17
	v_lshl_add_u64 v[2:3], v[2:3], 1, v[46:47]
	v_cndmask_b32_e64 v16, v14, v50, s[24:25]
	v_cndmask_b32_e64 v17, v14, v51, s[26:27]
	v_max3_f32 v15, v15, v16, v17
	v_or_b32_e32 v16, 18, v58
	v_or_b32_e32 v17, 19, v58
	v_cmp_gt_i32_e64 s[20:21], s29, v16
	v_cmp_gt_i32_e64 s[22:23], s29, v17
	v_lshl_add_u64 v[12:13], v[12:13], 1, v[46:47]
	v_cndmask_b32_e64 v16, v14, v48, s[20:21]
	v_cndmask_b32_e64 v17, v14, v49, s[22:23]
	v_max3_f32 v15, v15, v16, v17
	v_or_b32_e32 v16, 32, v58
	v_or_b32_e32 v17, 33, v58
	v_cmp_gt_i32_e64 s[16:17], s29, v16
	v_cmp_gt_i32_e64 s[18:19], s29, v17
	global_load_dwordx4 v[6:9], v[2:3], off
	s_nop 0
	global_load_dwordx4 v[2:5], v[2:3], off offset:16
	v_cndmask_b32_e64 v16, v14, v40, s[16:17]
	v_cndmask_b32_e64 v17, v14, v41, s[18:19]
	v_max3_f32 v15, v15, v16, v17
	v_or_b32_e32 v16, 34, v58
	v_or_b32_e32 v17, 35, v58
	v_cmp_gt_i32_e64 s[12:13], s29, v16
	v_cmp_gt_i32_e64 s[14:15], s29, v17
	global_load_dwordx4 v[30:33], v[12:13], off
	global_load_dwordx4 v[26:29], v[12:13], off offset:16
	v_cndmask_b32_e64 v16, v14, v38, s[12:13]
	v_cndmask_b32_e64 v17, v14, v39, s[14:15]
	v_max3_f32 v15, v15, v16, v17
	v_or_b32_e32 v16, 48, v58
	v_or_b32_e32 v17, 49, v58
	v_cmp_gt_i32_e64 s[8:9], s29, v16
	v_cmp_gt_i32_e64 s[10:11], s29, v17
	s_nop 0
	v_cndmask_b32_e64 v16, v14, v36, s[8:9]
	v_cndmask_b32_e64 v17, v14, v37, s[10:11]
	v_max3_f32 v15, v15, v16, v17
	v_or_b32_e32 v16, 50, v58
	v_or_b32_e32 v17, 51, v58
	v_cmp_gt_i32_e32 vcc, s29, v16
	v_cmp_gt_i32_e64 s[6:7], s29, v17
	s_nop 0
	v_cndmask_b32_e32 v16, v14, v34, vcc
	v_cndmask_b32_e64 v14, v14, v35, s[6:7]
	v_max3_f32 v14, v15, v16, v14
	v_mbcnt_lo_u32_b32 v15, -1, 0
	v_mbcnt_hi_u32_b32 v15, -1, v15
	v_and_b32_e32 v16, 64, v15
	v_add_u32_e32 v16, 64, v16
	v_xor_b32_e32 v17, 32, v15
	v_cmp_lt_i32_e64 s[40:41], v17, v16
	s_nop 1
	v_cndmask_b32_e64 v17, v15, v17, s[40:41]
	v_lshlrev_b32_e32 v57, 2, v17
	ds_bpermute_b32 v17, v57, v14
	s_waitcnt vmcnt(5)
	v_mad_i64_i32 v[12:13], s[40:41], v22, s45, 0
	v_lshl_add_u64 v[12:13], v[12:13], 1, v[46:47]
	global_load_dwordx4 v[22:25], v[12:13], off
	global_load_dwordx4 v[18:21], v[12:13], off offset:16
	s_waitcnt lgkmcnt(0)
	v_max_f32_e32 v17, v17, v17
	v_max_f32_e32 v14, v14, v17
	v_xor_b32_e32 v17, 16, v15
	v_cmp_lt_i32_e64 s[40:41], v17, v16
	s_nop 1
	v_cndmask_b32_e64 v15, v15, v17, s[40:41]
	v_lshlrev_b32_e32 v59, 2, v15
	ds_bpermute_b32 v15, v59, v14
	s_waitcnt vmcnt(6)
	v_mad_i64_i32 v[12:13], s[40:41], v61, s45, 0
	v_lshl_add_u64 v[12:13], v[12:13], 1, v[46:47]
	s_waitcnt lgkmcnt(0)
	v_max_f32_e32 v15, v15, v15
	v_max_f32_e32 v56, v14, v15
	v_sub_f32_e32 v10, v10, v56
	v_mul_f32_e32 v10, 0x3fb8aa3b, v10
	v_exp_f32_e32 v46, v10
	v_sub_f32_e32 v10, v11, v56
	v_mul_f32_e32 v10, 0x3fb8aa3b, v10
	v_exp_f32_e32 v47, v10
	global_load_dwordx4 v[14:17], v[12:13], off
	s_nop 0
	global_load_dwordx4 v[10:13], v[12:13], off offset:16
	v_sub_f32_e32 v52, v52, v56
	v_mul_f32_e32 v52, 0x3fb8aa3b, v52
	v_sub_f32_e32 v53, v53, v56
	v_exp_f32_e32 v52, v52
	v_mul_f32_e32 v53, 0x3fb8aa3b, v53
	v_sub_f32_e32 v50, v50, v56
	v_exp_f32_e32 v53, v53
	v_mul_f32_e32 v50, 0x3fb8aa3b, v50
	v_sub_f32_e32 v51, v51, v56
	v_cndmask_b32_e64 v46, 0, v46, s[4:5]
	v_exp_f32_e32 v50, v50
	v_mul_f32_e32 v51, 0x3fb8aa3b, v51
	v_sub_f32_e32 v48, v48, v56
	v_add_f32_e32 v58, 0, v46
	v_cndmask_b32_e64 v47, 0, v47, s[34:35]
	v_exp_f32_e32 v51, v51
	v_mul_f32_e32 v48, 0x3fb8aa3b, v48
	v_sub_f32_e32 v49, v49, v56
	v_add_f32_e32 v58, v58, v47
	;; [unrolled: 5-line block ×10, first 2 shown]
	v_cndmask_b32_e64 v38, 0, v38, s[12:13]
	v_exp_f32_e32 v34, v34
	v_mul_f32_e32 v35, 0x3fb8aa3b, v35
	v_add_f32_e32 v58, v58, v38
	v_cndmask_b32_e64 v39, 0, v39, s[14:15]
	v_exp_f32_e32 v35, v35
	v_add_f32_e32 v58, v58, v39
	v_cndmask_b32_e64 v36, 0, v36, s[8:9]
	v_add_f32_e32 v58, v58, v36
	v_cndmask_b32_e64 v37, 0, v37, s[10:11]
	v_add_f32_e32 v58, v58, v37
	v_cndmask_b32_e32 v34, 0, v34, vcc
	v_add_f32_e32 v58, v58, v34
	v_cndmask_b32_e64 v35, 0, v35, s[6:7]
	v_add_f32_e32 v58, v58, v35
	ds_bpermute_b32 v57, v57, v58
	s_load_dword s7, s[0:1], 0x98
	v_cmp_gt_u32_e32 vcc, 16, v55
	s_waitcnt lgkmcnt(0)
	s_barrier
	v_add_f32_e32 v58, v58, v57
	ds_bpermute_b32 v59, v59, v58
	v_lshlrev_b32_e32 v57, 2, v44
	s_waitcnt lgkmcnt(0)
	s_and_saveexec_b64 s[4:5], vcc
	s_cbranch_execz .LBB454_15
; %bb.14:
	v_add_f32_e32 v55, v58, v59
	v_lshl_or_b32 v58, v45, 6, v57
	ds_write2st64_b32 v58, v56, v55 offset1:1
.LBB454_15:
	s_or_b64 exec, exec, s[4:5]
	s_load_dword s6, s[0:1], 0x94
	s_waitcnt lgkmcnt(0)
	s_barrier
	ds_read2_b32 v[58:59], v57 offset1:16
	ds_read2_b32 v[60:61], v57 offset0:32 offset1:48
	ds_read2_b32 v[62:63], v57 offset0:64 offset1:80
	s_movk_i32 s8, 0x7fff
	s_mov_b32 s9, 0x7060302
	s_waitcnt lgkmcnt(2)
	v_max3_f32 v55, v58, s33, v59
	s_waitcnt lgkmcnt(1)
	v_max3_f32 v55, v55, v60, v61
	v_sub_f32_e32 v56, v58, v55
	v_mul_f32_e32 v56, 0x3fb8aa3b, v56
	v_exp_f32_e32 v64, v56
	v_sub_f32_e32 v56, v59, v55
	v_mul_f32_e32 v56, 0x3fb8aa3b, v56
	v_exp_f32_e32 v65, v56
	;; [unrolled: 3-line block ×3, first 2 shown]
	ds_read2_b32 v[58:59], v57 offset0:96 offset1:112
	v_sub_f32_e32 v56, v61, v55
	v_mul_f32_e32 v56, 0x3fb8aa3b, v56
	v_exp_f32_e32 v57, v56
	s_waitcnt lgkmcnt(1)
	v_fma_f32 v56, v64, v62, 0
	v_fmac_f32_e32 v56, v65, v63
	s_waitcnt lgkmcnt(0)
	v_fmac_f32_e32 v56, v60, v58
	v_fmac_f32_e32 v56, v57, v59
	v_add_f32_e32 v58, 0x358637bd, v56
	v_div_scale_f32 v59, s[4:5], v58, v58, 1.0
	v_rcp_f32_e32 v61, v59
	s_mul_i32 s7, s7, 15
	s_barrier
	v_fma_f32 v62, -v59, v61, 1.0
	v_fmac_f32_e32 v61, v62, v61
	v_div_scale_f32 v62, vcc, 1.0, v58, 1.0
	v_mul_f32_e32 v63, v62, v61
	v_fma_f32 v66, -v59, v63, v62
	v_fmac_f32_e32 v63, v66, v61
	v_fma_f32 v59, -v59, v63, v62
	v_div_fmas_f32 v59, v59, v61, v63
	v_cmp_eq_u32_e32 vcc, 1, v45
	v_div_fixup_f32 v58, v59, v58, 1.0
	s_nop 0
	v_cndmask_b32_e32 v59, v64, v65, vcc
	v_cmp_eq_u32_e32 vcc, 2, v45
	s_nop 1
	v_cndmask_b32_e32 v59, v59, v60, vcc
	v_cmp_eq_u32_e32 vcc, 3, v45
	v_lshlrev_b32_e32 v45, 11, v45
	s_nop 0
	v_cndmask_b32_e32 v57, v59, v57, vcc
	v_mul_f32_e32 v58, v57, v58
	v_pk_mul_f32 v[46:47], v[58:59], v[46:47] op_sel_hi:[0,1]
	v_pk_mul_f32 v[52:53], v[58:59], v[52:53] op_sel_hi:[0,1]
	v_bfe_u32 v57, v47, 16, 1
	v_bfe_u32 v59, v46, 16, 1
	v_add3_u32 v46, v46, v59, s8
	v_add3_u32 v47, v47, v57, s8
	v_perm_b32 v60, v47, v46, s9
	v_bfe_u32 v46, v53, 16, 1
	v_bfe_u32 v47, v52, 16, 1
	v_add3_u32 v47, v52, v47, s8
	v_add3_u32 v46, v53, v46, s8
	v_perm_b32 v61, v46, v47, s9
	v_lshlrev_b32_e32 v46, 3, v54
	v_pk_mul_f32 v[50:51], v[58:59], v[50:51] op_sel_hi:[0,1]
	v_or3_b32 v46, v45, v43, v46
	v_bfe_u32 v45, v51, 16, 1
	v_bfe_u32 v47, v50, 16, 1
	v_pk_mul_f32 v[48:49], v[58:59], v[48:49] op_sel_hi:[0,1]
	v_add3_u32 v47, v50, v47, s8
	v_add3_u32 v45, v51, v45, s8
	v_perm_b32 v50, v45, v47, s9
	v_bfe_u32 v45, v49, 16, 1
	v_bfe_u32 v47, v48, 16, 1
	v_add3_u32 v47, v48, v47, s8
	v_add3_u32 v45, v49, v45, s8
	v_pk_mul_f32 v[40:41], v[58:59], v[40:41] op_sel_hi:[0,1]
	v_perm_b32 v51, v45, v47, s9
	v_bfe_u32 v45, v41, 16, 1
	v_bfe_u32 v47, v40, 16, 1
	v_pk_mul_f32 v[38:39], v[58:59], v[38:39] op_sel_hi:[0,1]
	v_add3_u32 v40, v40, v47, s8
	v_add3_u32 v41, v41, v45, s8
	v_perm_b32 v40, v41, v40, s9
	v_bfe_u32 v41, v39, 16, 1
	v_bfe_u32 v45, v38, 16, 1
	v_add3_u32 v38, v38, v45, s8
	v_add3_u32 v39, v39, v41, s8
	v_pk_mul_f32 v[36:37], v[58:59], v[36:37] op_sel_hi:[0,1]
	v_perm_b32 v41, v39, v38, s9
	v_bfe_u32 v38, v37, 16, 1
	v_bfe_u32 v39, v36, 16, 1
	v_pk_mul_f32 v[34:35], v[58:59], v[34:35] op_sel_hi:[0,1]
	v_add3_u32 v36, v36, v39, s8
	v_add3_u32 v37, v37, v38, s8
	v_perm_b32 v36, v37, v36, s9
	v_bfe_u32 v37, v35, 16, 1
	v_bfe_u32 v38, v34, 16, 1
	v_add3_u32 v34, v34, v38, s8
	v_add3_u32 v35, v35, v37, s8
	v_perm_b32 v37, v35, v34, s9
	v_cmp_gt_u32_e32 vcc, 15, v0
	ds_write2st64_b64 v46, v[60:61], v[50:51] offset1:1
	ds_write2st64_b64 v46, v[40:41], v[36:37] offset0:2 offset1:3
	s_and_saveexec_b64 s[4:5], vcc
	s_cbranch_execz .LBB454_17
; %bb.16:
	s_mov_b32 s43, 0
	v_mov_b32_e32 v45, 0
	v_lshl_add_u64 v[34:35], s[42:43], 0, v[44:45]
	v_mov_b32_e32 v36, s7
	v_mad_u64_u32 v[34:35], s[10:11], s2, v36, v[34:35]
	s_mul_i32 s3, s3, s7
	v_mov_b32_e32 v44, s28
	s_load_dwordx4 s[12:15], s[0:1], 0x58
	v_add_u32_e32 v37, s3, v35
	v_mad_u64_u32 v[34:35], s[10:11], v34, s6, v[44:45]
	v_mov_b32_e32 v36, v35
	v_mad_u64_u32 v[36:37], s[10:11], v37, s6, v[36:37]
	v_mov_b32_e32 v35, v36
	v_lshlrev_b64 v[34:35], 2, v[34:35]
	s_waitcnt lgkmcnt(0)
	v_lshl_add_u64 v[36:37], s[14:15], 0, v[34:35]
	v_lshl_add_u64 v[34:35], s[12:13], 0, v[34:35]
	global_store_dword v[36:37], v55, off
	global_store_dword v[34:35], v56, off
.LBB454_17:
	s_or_b64 exec, exec, s[4:5]
	v_lshl_or_b32 v43, v54, 9, v43
	s_waitcnt lgkmcnt(0)
	s_barrier
	ds_read_b128 v[34:37], v43
	ds_read_b128 v[38:41], v43 offset:16
	s_waitcnt vmcnt(7) lgkmcnt(1)
	v_mfma_f32_16x16x16_bf16 v[48:51], v[6:7], v[34:35], 0
	v_cmp_gt_u32_e32 vcc, 64, v0
	s_mov_b32 s3, 0
	s_and_b64 s[4:5], vcc, s[30:31]
	v_mfma_f32_16x16x16_bf16 v[6:9], v[8:9], v[36:37], v[48:51]
	s_waitcnt vmcnt(6) lgkmcnt(0)
	v_mfma_f32_16x16x16_bf16 v[6:9], v[2:3], v[38:39], v[6:9]
	v_mfma_f32_16x16x16_bf16 v[2:5], v[4:5], v[40:41], v[6:9]
	s_nop 5
	ds_read_b128 v[6:9], v43 offset:2048
	ds_read_b128 v[34:37], v43 offset:2064
	s_waitcnt vmcnt(5) lgkmcnt(1)
	v_mfma_f32_16x16x16_bf16 v[2:5], v[30:31], v[6:7], v[2:5]
	v_mfma_f32_16x16x16_bf16 v[2:5], v[32:33], v[8:9], v[2:5]
	s_waitcnt vmcnt(4) lgkmcnt(0)
	v_mfma_f32_16x16x16_bf16 v[2:5], v[26:27], v[34:35], v[2:5]
	v_mfma_f32_16x16x16_bf16 v[2:5], v[28:29], v[36:37], v[2:5]
	ds_read_b128 v[6:9], v43 offset:4096
	ds_read_b128 v[26:29], v43 offset:4112
	s_waitcnt vmcnt(3) lgkmcnt(1)
	v_mfma_f32_16x16x16_bf16 v[2:5], v[22:23], v[6:7], v[2:5]
	v_mfma_f32_16x16x16_bf16 v[2:5], v[24:25], v[8:9], v[2:5]
	s_waitcnt vmcnt(2) lgkmcnt(0)
	v_mfma_f32_16x16x16_bf16 v[2:5], v[18:19], v[26:27], v[2:5]
	v_mfma_f32_16x16x16_bf16 v[2:5], v[20:21], v[28:29], v[2:5]
	ds_read_b128 v[6:9], v43 offset:6144
	ds_read_b128 v[18:21], v43 offset:6160
	v_mov_b32_e32 v43, 0
	s_waitcnt vmcnt(1) lgkmcnt(0)
	v_mfma_f32_16x16x16_bf16 v[2:5], v[14:15], v[6:7], v[2:5]
	s_barrier
	v_mfma_f32_16x16x16_bf16 v[2:5], v[16:17], v[8:9], v[2:5]
	s_waitcnt vmcnt(0)
	v_mfma_f32_16x16x16_bf16 v[2:5], v[10:11], v[18:19], v[2:5]
	v_mfma_f32_16x16x16_bf16 v[2:5], v[12:13], v[20:21], v[2:5]
	s_nop 6
	v_bfe_u32 v6, v3, 16, 1
	v_bfe_u32 v7, v2, 16, 1
	;; [unrolled: 1-line block ×4, first 2 shown]
	v_add3_u32 v2, v2, v7, s8
	v_add3_u32 v3, v3, v6, s8
	;; [unrolled: 1-line block ×4, first 2 shown]
	v_perm_b32 v2, v3, v2, s9
	v_perm_b32 v3, v5, v4, s9
	ds_write_b64 v46, v[2:3]
	s_waitcnt lgkmcnt(0)
	s_barrier
	s_and_saveexec_b64 s[8:9], s[4:5]
	s_cbranch_execz .LBB454_20
; %bb.18:
	s_load_dwordx2 s[4:5], s[0:1], 0x68
	s_lshl_b32 s0, s6, 6
	s_mul_i32 s1, s7, s2
	s_mul_hi_u32 s7, s1, s0
	s_mul_i32 s6, s1, s0
	v_lshlrev_b32_e32 v0, 10, v0
	s_lshl_b64 s[6:7], s[6:7], 1
	v_and_b32_e32 v0, 0x1800, v0
	v_lshlrev_b32_e32 v2, 5, v54
	v_and_b32_e32 v1, 16, v1
	s_waitcnt lgkmcnt(0)
	s_add_u32 s1, s4, s6
	v_or3_b32 v2, v0, v2, v1
	s_addc_u32 s4, s5, s7
	s_lshl_b32 s2, s28, 6
	ds_read_b128 v[4:7], v2 offset:256
	s_lshl_b64 s[2:3], s[2:3], 1
	ds_read_b128 v[8:11], v2 offset:128
	ds_read_b128 v[12:15], v2
	s_add_u32 s2, s1, s2
	s_addc_u32 s3, s4, s3
	v_add_u32_e32 v3, s42, v54
	v_lshl_add_u64 v[0:1], s[2:3], 0, v[42:43]
	v_mad_u64_u32 v[16:17], s[2:3], v3, s0, 0
	v_lshl_add_u64 v[16:17], v[16:17], 1, v[0:1]
	s_waitcnt lgkmcnt(0)
	global_store_dwordx4 v[16:17], v[12:15], off
	v_cmp_ne_u32_e32 vcc, 3, v54
	s_nop 0
	v_add_u32_e32 v12, 4, v3
	v_mad_u64_u32 v[12:13], s[2:3], v12, s0, 0
	v_lshl_add_u64 v[12:13], v[12:13], 1, v[0:1]
	v_add_u32_e32 v3, 8, v3
	global_store_dwordx4 v[12:13], v[8:11], off
	s_nop 1
	v_mad_u64_u32 v[8:9], s[2:3], v3, s0, 0
	v_lshl_add_u64 v[8:9], v[8:9], 1, v[0:1]
	global_store_dwordx4 v[8:9], v[4:7], off
	s_and_b64 exec, exec, vcc
	s_cbranch_execz .LBB454_20
; %bb.19:
	ds_read_b128 v[2:5], v2 offset:384
	v_add3_u32 v6, s42, v54, 12
	v_mad_u64_u32 v[6:7], s[0:1], v6, s0, 0
	v_lshl_add_u64 v[0:1], v[6:7], 1, v[0:1]
	s_waitcnt lgkmcnt(0)
	global_store_dwordx4 v[0:1], v[2:5], off
.LBB454_20:
	s_endpgm
	.section	.rodata,"a",@progbits
	.p2align	6, 0x0
	.amdhsa_kernel _Z39paged_attention_ll4mi_QKV_mfma16_kernelI14__hip_bfloat16S0_LN4vllm18Fp8KVCacheDataTypeE0ES0_Li16ELi64ELi256ELb1ELi15EEvPKT_PKT0_S8_ifPKiSA_SA_iPKfiiiPfSD_PS3_PT2_iSC_SC_
		.amdhsa_group_segment_fixed_size 8192
		.amdhsa_private_segment_fixed_size 0
		.amdhsa_kernarg_size 400
		.amdhsa_user_sgpr_count 2
		.amdhsa_user_sgpr_dispatch_ptr 0
		.amdhsa_user_sgpr_queue_ptr 0
		.amdhsa_user_sgpr_kernarg_segment_ptr 1
		.amdhsa_user_sgpr_dispatch_id 0
		.amdhsa_user_sgpr_kernarg_preload_length 0
		.amdhsa_user_sgpr_kernarg_preload_offset 0
		.amdhsa_user_sgpr_private_segment_size 0
		.amdhsa_uses_dynamic_stack 0
		.amdhsa_enable_private_segment 0
		.amdhsa_system_sgpr_workgroup_id_x 1
		.amdhsa_system_sgpr_workgroup_id_y 1
		.amdhsa_system_sgpr_workgroup_id_z 1
		.amdhsa_system_sgpr_workgroup_info 0
		.amdhsa_system_vgpr_workitem_id 0
		.amdhsa_next_free_vgpr 72
		.amdhsa_next_free_sgpr 48
		.amdhsa_accum_offset 72
		.amdhsa_reserve_vcc 1
		.amdhsa_float_round_mode_32 0
		.amdhsa_float_round_mode_16_64 0
		.amdhsa_float_denorm_mode_32 3
		.amdhsa_float_denorm_mode_16_64 3
		.amdhsa_dx10_clamp 1
		.amdhsa_ieee_mode 1
		.amdhsa_fp16_overflow 0
		.amdhsa_tg_split 0
		.amdhsa_exception_fp_ieee_invalid_op 0
		.amdhsa_exception_fp_denorm_src 0
		.amdhsa_exception_fp_ieee_div_zero 0
		.amdhsa_exception_fp_ieee_overflow 0
		.amdhsa_exception_fp_ieee_underflow 0
		.amdhsa_exception_fp_ieee_inexact 0
		.amdhsa_exception_int_div_zero 0
	.end_amdhsa_kernel
	.section	.text._Z39paged_attention_ll4mi_QKV_mfma16_kernelI14__hip_bfloat16S0_LN4vllm18Fp8KVCacheDataTypeE0ES0_Li16ELi64ELi256ELb1ELi15EEvPKT_PKT0_S8_ifPKiSA_SA_iPKfiiiPfSD_PS3_PT2_iSC_SC_,"axG",@progbits,_Z39paged_attention_ll4mi_QKV_mfma16_kernelI14__hip_bfloat16S0_LN4vllm18Fp8KVCacheDataTypeE0ES0_Li16ELi64ELi256ELb1ELi15EEvPKT_PKT0_S8_ifPKiSA_SA_iPKfiiiPfSD_PS3_PT2_iSC_SC_,comdat
.Lfunc_end454:
	.size	_Z39paged_attention_ll4mi_QKV_mfma16_kernelI14__hip_bfloat16S0_LN4vllm18Fp8KVCacheDataTypeE0ES0_Li16ELi64ELi256ELb1ELi15EEvPKT_PKT0_S8_ifPKiSA_SA_iPKfiiiPfSD_PS3_PT2_iSC_SC_, .Lfunc_end454-_Z39paged_attention_ll4mi_QKV_mfma16_kernelI14__hip_bfloat16S0_LN4vllm18Fp8KVCacheDataTypeE0ES0_Li16ELi64ELi256ELb1ELi15EEvPKT_PKT0_S8_ifPKiSA_SA_iPKfiiiPfSD_PS3_PT2_iSC_SC_
                                        ; -- End function
	.section	.AMDGPU.csdata,"",@progbits
; Kernel info:
; codeLenInByte = 4372
; NumSgprs: 54
; NumVgprs: 72
; NumAgprs: 0
; TotalNumVgprs: 72
; ScratchSize: 0
; MemoryBound: 0
; FloatMode: 240
; IeeeMode: 1
; LDSByteSize: 8192 bytes/workgroup (compile time only)
; SGPRBlocks: 6
; VGPRBlocks: 8
; NumSGPRsForWavesPerEU: 54
; NumVGPRsForWavesPerEU: 72
; AccumOffset: 72
; Occupancy: 7
; WaveLimiterHint : 1
; COMPUTE_PGM_RSRC2:SCRATCH_EN: 0
; COMPUTE_PGM_RSRC2:USER_SGPR: 2
; COMPUTE_PGM_RSRC2:TRAP_HANDLER: 0
; COMPUTE_PGM_RSRC2:TGID_X_EN: 1
; COMPUTE_PGM_RSRC2:TGID_Y_EN: 1
; COMPUTE_PGM_RSRC2:TGID_Z_EN: 1
; COMPUTE_PGM_RSRC2:TIDIG_COMP_CNT: 0
; COMPUTE_PGM_RSRC3_GFX90A:ACCUM_OFFSET: 17
; COMPUTE_PGM_RSRC3_GFX90A:TG_SPLIT: 0
	.section	.text._Z39paged_attention_ll4mi_QKV_mfma16_kernelI14__hip_bfloat16S0_LN4vllm18Fp8KVCacheDataTypeE0ES0_Li16ELi64ELi256ELb1ELi16EEvPKT_PKT0_S8_ifPKiSA_SA_iPKfiiiPfSD_PS3_PT2_iSC_SC_,"axG",@progbits,_Z39paged_attention_ll4mi_QKV_mfma16_kernelI14__hip_bfloat16S0_LN4vllm18Fp8KVCacheDataTypeE0ES0_Li16ELi64ELi256ELb1ELi16EEvPKT_PKT0_S8_ifPKiSA_SA_iPKfiiiPfSD_PS3_PT2_iSC_SC_,comdat
	.protected	_Z39paged_attention_ll4mi_QKV_mfma16_kernelI14__hip_bfloat16S0_LN4vllm18Fp8KVCacheDataTypeE0ES0_Li16ELi64ELi256ELb1ELi16EEvPKT_PKT0_S8_ifPKiSA_SA_iPKfiiiPfSD_PS3_PT2_iSC_SC_ ; -- Begin function _Z39paged_attention_ll4mi_QKV_mfma16_kernelI14__hip_bfloat16S0_LN4vllm18Fp8KVCacheDataTypeE0ES0_Li16ELi64ELi256ELb1ELi16EEvPKT_PKT0_S8_ifPKiSA_SA_iPKfiiiPfSD_PS3_PT2_iSC_SC_
	.globl	_Z39paged_attention_ll4mi_QKV_mfma16_kernelI14__hip_bfloat16S0_LN4vllm18Fp8KVCacheDataTypeE0ES0_Li16ELi64ELi256ELb1ELi16EEvPKT_PKT0_S8_ifPKiSA_SA_iPKfiiiPfSD_PS3_PT2_iSC_SC_
	.p2align	8
	.type	_Z39paged_attention_ll4mi_QKV_mfma16_kernelI14__hip_bfloat16S0_LN4vllm18Fp8KVCacheDataTypeE0ES0_Li16ELi64ELi256ELb1ELi16EEvPKT_PKT0_S8_ifPKiSA_SA_iPKfiiiPfSD_PS3_PT2_iSC_SC_,@function
_Z39paged_attention_ll4mi_QKV_mfma16_kernelI14__hip_bfloat16S0_LN4vllm18Fp8KVCacheDataTypeE0ES0_Li16ELi64ELi256ELb1ELi16EEvPKT_PKT0_S8_ifPKiSA_SA_iPKfiiiPfSD_PS3_PT2_iSC_SC_: ; @_Z39paged_attention_ll4mi_QKV_mfma16_kernelI14__hip_bfloat16S0_LN4vllm18Fp8KVCacheDataTypeE0ES0_Li16ELi64ELi256ELb1ELi16EEvPKT_PKT0_S8_ifPKiSA_SA_iPKfiiiPfSD_PS3_PT2_iSC_SC_
; %bb.0:
	s_load_dwordx2 s[14:15], s[0:1], 0x30
	s_mov_b32 s28, s3
	s_mov_b64 s[6:7], 0
	s_waitcnt lgkmcnt(0)
	s_cmp_lg_u64 s[14:15], 0
	s_cselect_b64 s[16:17], -1, 0
	s_and_b64 vcc, exec, s[16:17]
	s_cbranch_vccz .LBB455_7
; %bb.1:
	s_add_i32 s8, s2, 1
	s_mov_b32 s9, 0
	s_lshl_b64 s[10:11], s[8:9], 2
	s_add_u32 s10, s14, s10
	s_mov_b32 s3, s9
	s_addc_u32 s11, s15, s11
	s_lshl_b64 s[8:9], s[2:3], 2
	s_add_u32 s8, s14, s8
	s_addc_u32 s9, s15, s9
	s_load_dword s5, s[10:11], 0x0
	s_load_dword s12, s[8:9], 0x0
	s_waitcnt lgkmcnt(0)
	s_sub_i32 s5, s5, s12
	s_cmp_eq_u32 s5, 1
	s_cselect_b64 s[8:9], -1, 0
	s_andn2_b64 vcc, exec, s[6:7]
	s_cbranch_vccnz .LBB455_3
.LBB455_2:
	s_mov_b32 s3, 0
	s_mov_b64 s[8:9], -1
.LBB455_3:
	s_andn2_b64 vcc, exec, s[8:9]
	s_cbranch_vccnz .LBB455_17
; %bb.4:
	s_load_dwordx2 s[6:7], s[0:1], 0x28
	s_lshl_b64 s[18:19], s[2:3], 2
	s_waitcnt lgkmcnt(0)
	s_add_u32 s6, s6, s18
	s_addc_u32 s7, s7, s19
	s_load_dword s40, s[6:7], 0x0
	s_lshl_b32 s20, s28, 8
	s_waitcnt lgkmcnt(0)
	s_cmp_ge_i32 s20, s40
	s_cbranch_scc1 .LBB455_17
; %bb.5:
	s_load_dwordx2 s[6:7], s[0:1], 0x20
	s_load_dword s5, s[0:1], 0x38
	s_add_i32 s8, s40, 15
	s_ashr_i32 s9, s8, 31
	v_and_b32_e32 v1, 0xcf, v0
	s_lshr_b32 s9, s9, 28
	v_add_u32_e32 v1, s20, v1
	s_add_i32 s8, s8, s9
	v_ashrrev_i32_e32 v2, 31, v1
	s_ashr_i32 s21, s8, 4
	v_lshrrev_b32_e32 v10, 28, v2
	s_add_i32 s21, s21, -1
	s_waitcnt lgkmcnt(0)
	s_mul_i32 s8, s2, s5
	s_mov_b32 s9, 0
	v_add_u32_e32 v2, v1, v10
	s_lshl_b64 s[8:9], s[8:9], 2
	v_ashrrev_i32_e32 v2, 4, v2
	v_mov_b32_e32 v11, s21
	v_cmp_gt_i32_e32 vcc, s40, v1
	s_add_u32 s6, s6, s8
	s_addc_u32 s7, s7, s9
	v_cndmask_b32_e32 v2, v11, v2, vcc
	v_ashrrev_i32_e32 v3, 31, v2
	v_lshl_add_u64 v[4:5], v[2:3], 2, s[6:7]
	v_or_b32_e32 v2, 16, v1
	v_add_u32_e32 v3, v2, v10
	v_ashrrev_i32_e32 v3, 4, v3
	v_cmp_gt_i32_e32 vcc, s40, v2
	s_nop 1
	v_cndmask_b32_e32 v2, v11, v3, vcc
	v_ashrrev_i32_e32 v3, 31, v2
	v_lshl_add_u64 v[6:7], v[2:3], 2, s[6:7]
	v_or_b32_e32 v2, 32, v1
	v_add_u32_e32 v3, v2, v10
	v_ashrrev_i32_e32 v3, 4, v3
	v_cmp_gt_i32_e32 vcc, s40, v2
	v_or_b32_e32 v1, 48, v1
	s_nop 0
	v_cndmask_b32_e32 v2, v11, v3, vcc
	v_ashrrev_i32_e32 v3, 31, v2
	v_lshl_add_u64 v[8:9], v[2:3], 2, s[6:7]
	v_add_u32_e32 v2, v1, v10
	v_ashrrev_i32_e32 v2, 4, v2
	v_cmp_gt_i32_e32 vcc, s40, v1
	s_nop 1
	v_cndmask_b32_e32 v2, v11, v2, vcc
	v_ashrrev_i32_e32 v3, 31, v2
	v_lshl_add_u64 v[12:13], v[2:3], 2, s[6:7]
	global_load_dword v3, v[4:5], off
	global_load_dword v2, v[6:7], off
	;; [unrolled: 1-line block ×4, first 2 shown]
	s_load_dwordx2 s[12:13], s[0:1], 0x40
	s_load_dwordx4 s[8:11], s[0:1], 0x8
	s_andn2_b64 vcc, exec, s[16:17]
	s_cbranch_vccnz .LBB455_8
; %bb.6:
	s_add_u32 s14, s14, s18
	s_addc_u32 s15, s15, s19
	s_load_dword s5, s[14:15], 0x0
	s_branch .LBB455_9
.LBB455_7:
	s_mov_b64 s[8:9], 0
	s_branch .LBB455_2
.LBB455_8:
	s_mov_b32 s5, s2
.LBB455_9:
	s_load_dwordx4 s[44:47], s[0:1], 0x48
	v_and_b32_e32 v57, 15, v0
	s_movk_i32 s14, 0x100
	v_lshlrev_b32_e32 v4, 3, v57
	v_cmp_gt_u32_e32 vcc, s14, v0
	v_cmp_gt_u32_e64 s[30:31], 8, v57
	v_lshrrev_b32_e32 v55, 6, v0
	v_and_b32_e32 v56, 63, v0
	v_bfe_u32 v1, v0, 4, 2
	s_lshl_b32 s29, s4, 4
	s_and_b64 s[16:17], vcc, s[30:31]
	v_lshlrev_b32_e32 v38, 1, v4
	s_and_saveexec_b64 s[14:15], s[16:17]
	s_cbranch_execz .LBB455_11
; %bb.10:
	s_load_dwordx2 s[16:17], s[0:1], 0x0
	s_waitcnt lgkmcnt(0)
	s_ashr_i32 s18, s44, 31
	s_mul_hi_u32 s19, s5, s44
	s_mul_i32 s18, s5, s18
	s_add_i32 s19, s19, s18
	s_mul_i32 s18, s5, s44
	v_lshl_or_b32 v8, v55, 2, v1
	s_lshl_b64 s[18:19], s[18:19], 1
	s_add_u32 s16, s16, s18
	v_add_lshl_u32 v4, v8, s29, 6
	s_addc_u32 s17, s17, s19
	v_ashrrev_i32_e32 v5, 31, v4
	v_lshl_add_u64 v[4:5], v[4:5], 1, s[16:17]
	v_mov_b32_e32 v39, 0
	v_lshl_add_u64 v[4:5], v[4:5], 0, v[38:39]
	global_load_dwordx4 v[4:7], v[4:5], off
	v_and_b32_e32 v9, 3, v0
	v_lshlrev_b32_e32 v11, 9, v57
	v_lshlrev_b32_e32 v8, 5, v8
	;; [unrolled: 1-line block ×3, first 2 shown]
	v_and_b32_e32 v11, 0x1800, v11
	v_or3_b32 v8, v11, v9, v8
	s_waitcnt vmcnt(0)
	ds_write_b128 v8, v[4:7]
.LBB455_11:
	s_or_b64 exec, exec, s[14:15]
	s_waitcnt lgkmcnt(0)
	s_mul_i32 s4, s4, s46
	s_mov_b32 s5, 0
	s_lshl_b64 s[4:5], s[4:5], 1
	s_add_u32 s8, s8, s4
	v_lshlrev_b32_e32 v54, 4, v0
	s_addc_u32 s9, s9, s5
	v_and_b32_e32 v40, 0xf0, v54
	v_mov_b32_e32 v41, 0
	v_lshl_add_u64 v[16:17], s[8:9], 0, v[40:41]
	s_waitcnt vmcnt(3)
	v_mad_i64_i32 v[4:5], s[8:9], v3, s45, 0
	v_lshl_add_u64 v[4:5], v[4:5], 1, v[16:17]
	v_and_b32_e32 v40, 0x300, v54
	s_waitcnt vmcnt(2)
	v_mad_i64_i32 v[2:3], s[8:9], v2, s45, 0
	v_lshl_add_u64 v[18:19], v[4:5], 0, v[40:41]
	v_lshl_add_u64 v[2:3], v[2:3], 1, v[16:17]
	s_waitcnt vmcnt(1)
	v_mad_i64_i32 v[10:11], s[8:9], v10, s45, 0
	s_waitcnt vmcnt(0)
	v_mad_i64_i32 v[14:15], s[8:9], v14, s45, 0
	s_load_dword s33, s[0:1], 0x98
	s_load_dword s14, s[0:1], 0x1c
	s_waitcnt lgkmcnt(0)
	s_barrier
	global_load_dwordx4 v[6:9], v[18:19], off
	global_load_dwordx4 v[22:25], v[18:19], off offset:1024
	v_lshl_add_u64 v[20:21], v[2:3], 0, v[40:41]
	v_lshl_add_u64 v[10:11], v[10:11], 1, v[16:17]
	;; [unrolled: 1-line block ×3, first 2 shown]
	global_load_dwordx4 v[2:5], v[20:21], off
	global_load_dwordx4 v[30:33], v[20:21], off offset:1024
	v_lshl_add_u64 v[26:27], v[10:11], 0, v[40:41]
	v_lshl_add_u64 v[42:43], v[14:15], 0, v[40:41]
	global_load_dwordx4 v[10:13], v[26:27], off
	global_load_dwordx4 v[14:17], v[42:43], off
	v_lshlrev_b32_e32 v58, 5, v57
	v_lshl_or_b32 v39, v1, 9, v58
	ds_read_b128 v[34:37], v39
	ds_read_b128 v[18:21], v39 offset:2048
	global_load_dwordx4 v[26:29], v[26:27], off offset:1024
	v_and_or_b32 v40, v0, 48, s20
	global_load_dwordx4 v[50:53], v[42:43], off offset:1024
	v_mov_b32_e32 v59, s21
	v_ashrrev_i32_e32 v44, 4, v40
	v_cmp_gt_i32_e32 vcc, s40, v40
	v_or_b32_e32 v64, 64, v40
	v_or_b32_e32 v42, 0x80, v40
	v_cndmask_b32_e32 v48, v59, v44, vcc
	v_ashrrev_i32_e32 v49, 31, v48
	v_cmp_gt_i32_e32 vcc, s40, v64
	v_or_b32_e32 v40, 0xc0, v40
	v_ashrrev_i32_e32 v43, 4, v42
	s_add_u32 s4, s10, s4
	s_addc_u32 s5, s11, s5
	s_mov_b32 s42, 0xff7fffff
	s_waitcnt vmcnt(7) lgkmcnt(1)
	v_mfma_f32_16x16x16_bf16 v[44:47], v[6:7], v[34:35], 0
	v_ashrrev_i32_e32 v6, 4, v64
	s_waitcnt vmcnt(5)
	v_mfma_f32_16x16x16_bf16 v[60:63], v[2:3], v[34:35], 0
	v_cndmask_b32_e32 v2, v59, v6, vcc
	v_lshl_add_u64 v[6:7], v[48:49], 2, s[6:7]
	global_load_dword v48, v[6:7], off
	s_waitcnt vmcnt(4)
	v_mfma_f32_16x16x16_bf16 v[64:67], v[10:11], v[34:35], 0
	v_ashrrev_i32_e32 v3, 31, v2
	v_lshl_add_u64 v[2:3], v[2:3], 2, s[6:7]
	global_load_dword v49, v[2:3], off
	s_waitcnt vmcnt(4)
	v_mfma_f32_16x16x16_bf16 v[68:71], v[14:15], v[34:35], 0
	v_or_b32_e32 v34, s29, v57
	v_ashrrev_i32_e32 v35, 31, v34
	v_lshl_add_u64 v[10:11], v[34:35], 2, s[12:13]
	global_load_dword v35, v[10:11], off
	v_mfma_f32_16x16x16_bf16 v[6:9], v[8:9], v[36:37], v[44:47]
	v_cmp_gt_i32_e32 vcc, s40, v42
	v_lshlrev_b32_e32 v57, 2, v57
	v_mfma_f32_16x16x16_bf16 v[2:5], v[4:5], v[36:37], v[60:63]
	v_ashrrev_i32_e32 v44, 4, v40
	v_mfma_f32_16x16x16_bf16 v[10:13], v[12:13], v[36:37], v[64:67]
	v_mfma_f32_16x16x16_bf16 v[14:17], v[16:17], v[36:37], v[68:71]
	v_cndmask_b32_e32 v36, v59, v43, vcc
	v_cmp_gt_i32_e32 vcc, s40, v40
	v_ashrrev_i32_e32 v37, 31, v36
	s_waitcnt lgkmcnt(0)
	v_mfma_f32_16x16x16_bf16 v[6:9], v[22:23], v[18:19], v[6:9]
	v_cndmask_b32_e32 v42, v59, v44, vcc
	v_ashrrev_i32_e32 v43, 31, v42
	v_lshl_add_u64 v[22:23], v[36:37], 2, s[6:7]
	v_mfma_f32_16x16x16_bf16 v[2:5], v[30:31], v[18:19], v[2:5]
	v_lshl_add_u64 v[30:31], v[42:43], 2, s[6:7]
	global_load_dword v59, v[22:23], off
	global_load_dword v60, v[30:31], off
	v_lshl_or_b32 v40, v55, 9, v58
	s_waitcnt vmcnt(6)
	v_mfma_f32_16x16x16_bf16 v[42:45], v[26:27], v[18:19], v[10:13]
	s_waitcnt vmcnt(5)
	v_mfma_f32_16x16x16_bf16 v[16:19], v[50:51], v[18:19], v[14:17]
	s_nop 0
	v_lshl_add_u64 v[10:11], s[4:5], 0, v[40:41]
	s_waitcnt vmcnt(4)
	v_mad_i64_i32 v[12:13], s[4:5], v48, s45, 0
	v_mfma_f32_16x16x16_bf16 v[16:19], v[52:53], v[20:21], v[16:19]
	v_lshl_add_u64 v[12:13], v[12:13], 1, v[10:11]
	s_waitcnt vmcnt(3)
	v_mad_i64_i32 v[14:15], s[4:5], v49, s45, 0
	v_mfma_f32_16x16x16_bf16 v[22:25], v[24:25], v[20:21], v[6:9]
	v_lshl_add_u64 v[14:15], v[14:15], 1, v[10:11]
	s_nop 1
	v_pk_mul_f32 v[40:41], s[14:15], v[16:17] op_sel_hi:[0,1]
	v_and_b32_e32 v16, 0xc0, v0
	v_add_u32_e32 v16, s20, v16
	v_lshl_or_b32 v16, v1, 2, v16
	v_or_b32_e32 v17, 1, v16
	v_pk_mul_f32 v[36:37], s[14:15], v[18:19] op_sel_hi:[0,1]
	v_subrev_u32_e32 v18, s40, v17
	v_mfma_f32_16x16x16_bf16 v[30:33], v[32:33], v[20:21], v[2:5]
	v_cvt_f32_i32_e32 v19, v18
	global_load_dwordx4 v[6:9], v[12:13], off
	s_nop 0
	global_load_dwordx4 v[2:5], v[12:13], off offset:16
	v_pk_mul_f32 v[50:51], s[14:15], v[24:25] op_sel_hi:[0,1]
	v_mfma_f32_16x16x16_bf16 v[26:29], v[28:29], v[20:21], v[42:45]
	v_add_u32_e32 v20, 1, v18
	v_add_u32_e32 v21, 2, v18
	v_cvt_f32_i32_e32 v20, v20
	v_cvt_f32_i32_e32 v21, v21
	v_pk_mul_f32 v[12:13], s[14:15], v[22:23] op_sel_hi:[0,1]
	v_add_u32_e32 v22, 3, v18
	s_waitcnt vmcnt(4)
	v_fma_f32 v12, v35, v19, v12
	v_fmac_f32_e32 v13, v35, v20
	v_fma_f32 v50, v35, v21, v50
	v_add_u32_e32 v19, 16, v18
	v_add_u32_e32 v20, 17, v18
	;; [unrolled: 1-line block ×3, first 2 shown]
	v_cvt_f32_i32_e32 v22, v22
	v_cvt_f32_i32_e32 v19, v19
	;; [unrolled: 1-line block ×4, first 2 shown]
	v_pk_mul_f32 v[46:47], s[14:15], v[32:33] op_sel_hi:[0,1]
	v_pk_mul_f32 v[48:49], s[14:15], v[30:31] op_sel_hi:[0,1]
	v_fmac_f32_e32 v51, v35, v22
	v_add_u32_e32 v22, 19, v18
	v_fma_f32 v48, v35, v19, v48
	v_fmac_f32_e32 v49, v35, v20
	v_fma_f32 v46, v35, v21, v46
	v_add_u32_e32 v19, 32, v18
	v_add_u32_e32 v20, 33, v18
	;; [unrolled: 1-line block ×3, first 2 shown]
	v_cvt_f32_i32_e32 v22, v22
	v_cvt_f32_i32_e32 v19, v19
	;; [unrolled: 1-line block ×4, first 2 shown]
	v_pk_mul_f32 v[42:43], s[14:15], v[28:29] op_sel_hi:[0,1]
	v_pk_mul_f32 v[44:45], s[14:15], v[26:27] op_sel_hi:[0,1]
	v_fmac_f32_e32 v47, v35, v22
	v_add_u32_e32 v22, 35, v18
	v_fma_f32 v44, v35, v19, v44
	v_fmac_f32_e32 v45, v35, v20
	v_fma_f32 v42, v35, v21, v42
	v_add_u32_e32 v19, 48, v18
	v_add_u32_e32 v20, 49, v18
	;; [unrolled: 1-line block ×4, first 2 shown]
	v_cvt_f32_i32_e32 v18, v18
	v_cvt_f32_i32_e32 v19, v19
	;; [unrolled: 1-line block ×3, first 2 shown]
	v_cmp_gt_i32_e64 s[4:5], s40, v16
	v_fmac_f32_e32 v37, v35, v18
	v_mov_b32_e32 v18, 0xff7fffff
	v_cmp_gt_i32_e64 s[34:35], s40, v17
	v_fma_f32 v40, v35, v19, v40
	v_cndmask_b32_e64 v19, v18, v12, s[4:5]
	v_cndmask_b32_e64 v17, v18, v13, s[34:35]
	v_fmac_f32_e32 v41, v35, v20
	v_max3_f32 v17, v19, s42, v17
	v_or_b32_e32 v19, 2, v16
	v_or_b32_e32 v20, 3, v16
	v_cmp_gt_i32_e64 s[36:37], s40, v19
	v_cmp_gt_i32_e64 s[38:39], s40, v20
	v_cvt_f32_i32_e32 v22, v22
	v_cndmask_b32_e64 v19, v18, v50, s[36:37]
	v_cndmask_b32_e64 v20, v18, v51, s[38:39]
	v_max3_f32 v17, v17, v19, v20
	v_or_b32_e32 v19, 16, v16
	v_or_b32_e32 v20, 17, v16
	v_cmp_gt_i32_e64 s[24:25], s40, v19
	v_cmp_gt_i32_e64 s[26:27], s40, v20
	v_fmac_f32_e32 v43, v35, v22
	v_cndmask_b32_e64 v19, v18, v48, s[24:25]
	v_cndmask_b32_e64 v20, v18, v49, s[26:27]
	v_max3_f32 v17, v17, v19, v20
	v_or_b32_e32 v19, 18, v16
	v_or_b32_e32 v20, 19, v16
	v_cmp_gt_i32_e64 s[20:21], s40, v19
	v_cmp_gt_i32_e64 s[22:23], s40, v20
	v_cvt_f32_i32_e32 v21, v21
	v_cndmask_b32_e64 v19, v18, v46, s[20:21]
	v_cndmask_b32_e64 v20, v18, v47, s[22:23]
	v_max3_f32 v17, v17, v19, v20
	v_or_b32_e32 v19, 32, v16
	v_or_b32_e32 v20, 33, v16
	v_cmp_gt_i32_e64 s[16:17], s40, v19
	v_cmp_gt_i32_e64 s[18:19], s40, v20
	v_fma_f32 v36, v35, v21, v36
	v_cndmask_b32_e64 v19, v18, v44, s[16:17]
	v_cndmask_b32_e64 v20, v18, v45, s[18:19]
	v_max3_f32 v17, v17, v19, v20
	v_or_b32_e32 v19, 34, v16
	v_or_b32_e32 v20, 35, v16
	v_cmp_gt_i32_e64 s[12:13], s40, v19
	v_cmp_gt_i32_e64 s[14:15], s40, v20
	global_load_dwordx4 v[30:33], v[14:15], off
	global_load_dwordx4 v[26:29], v[14:15], off offset:16
	v_cndmask_b32_e64 v19, v18, v42, s[12:13]
	v_cndmask_b32_e64 v20, v18, v43, s[14:15]
	v_max3_f32 v17, v17, v19, v20
	v_or_b32_e32 v19, 48, v16
	v_or_b32_e32 v20, 49, v16
	v_cmp_gt_i32_e64 s[8:9], s40, v19
	v_cmp_gt_i32_e64 s[10:11], s40, v20
	s_nop 0
	v_cndmask_b32_e64 v19, v18, v40, s[8:9]
	v_cndmask_b32_e64 v20, v18, v41, s[10:11]
	v_max3_f32 v17, v17, v19, v20
	v_or_b32_e32 v19, 50, v16
	v_or_b32_e32 v16, 51, v16
	v_cmp_gt_i32_e32 vcc, s40, v19
	v_cmp_gt_i32_e64 s[6:7], s40, v16
	s_nop 0
	v_cndmask_b32_e32 v19, v18, v36, vcc
	v_cndmask_b32_e64 v16, v18, v37, s[6:7]
	v_max3_f32 v16, v17, v19, v16
	v_mbcnt_lo_u32_b32 v17, -1, 0
	v_mbcnt_hi_u32_b32 v17, -1, v17
	v_and_b32_e32 v18, 64, v17
	v_add_u32_e32 v18, 64, v18
	v_xor_b32_e32 v19, 32, v17
	v_cmp_lt_i32_e64 s[40:41], v19, v18
	s_nop 1
	v_cndmask_b32_e64 v19, v17, v19, s[40:41]
	v_lshlrev_b32_e32 v61, 2, v19
	ds_bpermute_b32 v19, v61, v16
	s_waitcnt vmcnt(5)
	v_mad_i64_i32 v[14:15], s[40:41], v59, s45, 0
	v_lshl_add_u64 v[14:15], v[14:15], 1, v[10:11]
	s_waitcnt lgkmcnt(0)
	v_max_f32_e32 v19, v19, v19
	v_max_f32_e32 v16, v16, v19
	v_xor_b32_e32 v19, 16, v17
	v_cmp_lt_i32_e64 s[40:41], v19, v18
	s_nop 1
	v_cndmask_b32_e64 v17, v17, v19, s[40:41]
	v_lshlrev_b32_e32 v62, 2, v17
	ds_bpermute_b32 v17, v62, v16
	global_load_dwordx4 v[22:25], v[14:15], off
	global_load_dwordx4 v[18:21], v[14:15], off offset:16
	s_waitcnt vmcnt(6)
	v_mad_i64_i32 v[14:15], s[40:41], v60, s45, 0
	v_lshl_add_u64 v[10:11], v[14:15], 1, v[10:11]
	s_waitcnt lgkmcnt(0)
	v_max_f32_e32 v14, v17, v17
	v_max_f32_e32 v35, v16, v14
	v_sub_f32_e32 v12, v12, v35
	v_mul_f32_e32 v12, 0x3fb8aa3b, v12
	v_exp_f32_e32 v52, v12
	v_sub_f32_e32 v12, v13, v35
	v_mul_f32_e32 v12, 0x3fb8aa3b, v12
	v_exp_f32_e32 v53, v12
	global_load_dwordx4 v[14:17], v[10:11], off
	s_nop 0
	global_load_dwordx4 v[10:13], v[10:11], off offset:16
	v_sub_f32_e32 v50, v50, v35
	v_mul_f32_e32 v50, 0x3fb8aa3b, v50
	v_sub_f32_e32 v51, v51, v35
	v_exp_f32_e32 v50, v50
	v_mul_f32_e32 v51, 0x3fb8aa3b, v51
	v_sub_f32_e32 v48, v48, v35
	v_exp_f32_e32 v51, v51
	v_mul_f32_e32 v48, 0x3fb8aa3b, v48
	v_sub_f32_e32 v49, v49, v35
	v_cndmask_b32_e64 v52, 0, v52, s[4:5]
	v_exp_f32_e32 v48, v48
	v_mul_f32_e32 v49, 0x3fb8aa3b, v49
	v_sub_f32_e32 v46, v46, v35
	v_add_f32_e32 v59, 0, v52
	v_cndmask_b32_e64 v53, 0, v53, s[34:35]
	v_exp_f32_e32 v49, v49
	v_mul_f32_e32 v46, 0x3fb8aa3b, v46
	v_sub_f32_e32 v47, v47, v35
	v_add_f32_e32 v59, v59, v53
	;; [unrolled: 5-line block ×10, first 2 shown]
	v_cndmask_b32_e64 v42, 0, v42, s[12:13]
	v_exp_f32_e32 v36, v36
	v_mul_f32_e32 v37, 0x3fb8aa3b, v37
	v_add_f32_e32 v59, v59, v42
	v_cndmask_b32_e64 v43, 0, v43, s[14:15]
	v_exp_f32_e32 v37, v37
	v_add_f32_e32 v59, v59, v43
	v_cndmask_b32_e64 v40, 0, v40, s[8:9]
	v_add_f32_e32 v59, v59, v40
	v_cndmask_b32_e64 v41, 0, v41, s[10:11]
	v_add_f32_e32 v59, v59, v41
	v_cndmask_b32_e32 v36, 0, v36, vcc
	v_add_f32_e32 v59, v59, v36
	v_cndmask_b32_e64 v37, 0, v37, s[6:7]
	v_add_f32_e32 v59, v59, v37
	ds_bpermute_b32 v60, v61, v59
	v_cmp_gt_u32_e32 vcc, 16, v56
	s_waitcnt lgkmcnt(0)
	s_barrier
	v_add_f32_e32 v59, v59, v60
	ds_bpermute_b32 v60, v62, v59
	s_and_saveexec_b64 s[4:5], vcc
	s_cbranch_execz .LBB455_13
; %bb.12:
	s_waitcnt lgkmcnt(0)
	v_add_f32_e32 v56, v59, v60
	v_lshl_or_b32 v59, v55, 6, v57
	ds_write2st64_b32 v59, v35, v56 offset1:1
.LBB455_13:
	s_or_b64 exec, exec, s[4:5]
	s_load_dword s6, s[0:1], 0x94
	s_waitcnt lgkmcnt(0)
	s_barrier
	ds_read2_b32 v[60:61], v57 offset1:16
	ds_read2_b32 v[62:63], v57 offset0:32 offset1:48
	ds_read2_b32 v[64:65], v57 offset0:64 offset1:80
	s_movk_i32 s8, 0x7fff
	s_mov_b32 s9, 0x7060302
	s_waitcnt lgkmcnt(2)
	v_max3_f32 v35, v60, s42, v61
	s_waitcnt lgkmcnt(1)
	v_max3_f32 v56, v35, v62, v63
	v_sub_f32_e32 v35, v60, v56
	v_mul_f32_e32 v35, 0x3fb8aa3b, v35
	v_sub_f32_e32 v59, v61, v56
	v_sub_f32_e32 v60, v62, v56
	v_exp_f32_e32 v35, v35
	v_mul_f32_e32 v59, 0x3fb8aa3b, v59
	v_mul_f32_e32 v60, 0x3fb8aa3b, v60
	v_exp_f32_e32 v59, v59
	v_exp_f32_e32 v62, v60
	ds_read2_b32 v[60:61], v57 offset0:96 offset1:112
	v_sub_f32_e32 v57, v63, v56
	v_mul_f32_e32 v57, 0x3fb8aa3b, v57
	v_exp_f32_e32 v63, v57
	s_waitcnt lgkmcnt(1)
	v_fma_f32 v57, v35, v64, 0
	v_fmac_f32_e32 v57, v59, v65
	s_waitcnt lgkmcnt(0)
	v_fmac_f32_e32 v57, v62, v60
	v_fmac_f32_e32 v57, v63, v61
	v_add_f32_e32 v60, 0x358637bd, v57
	v_div_scale_f32 v61, s[4:5], v60, v60, 1.0
	v_rcp_f32_e32 v64, v61
	s_lshl_b32 s7, s33, 4
	s_barrier
	v_fma_f32 v65, -v61, v64, 1.0
	v_fmac_f32_e32 v64, v65, v64
	v_div_scale_f32 v65, vcc, 1.0, v60, 1.0
	v_mul_f32_e32 v66, v65, v64
	v_fma_f32 v67, -v61, v66, v65
	v_fmac_f32_e32 v66, v67, v64
	v_fma_f32 v61, -v61, v66, v65
	v_div_fmas_f32 v61, v61, v64, v66
	v_cmp_eq_u32_e32 vcc, 1, v55
	v_div_fixup_f32 v60, v61, v60, 1.0
	s_nop 0
	v_cndmask_b32_e32 v35, v35, v59, vcc
	v_cmp_eq_u32_e32 vcc, 2, v55
	s_nop 1
	v_cndmask_b32_e32 v35, v35, v62, vcc
	v_cmp_eq_u32_e32 vcc, 3, v55
	s_nop 1
	v_cndmask_b32_e32 v35, v35, v63, vcc
	v_mul_f32_e32 v60, v35, v60
	v_pk_mul_f32 v[52:53], v[60:61], v[52:53] op_sel_hi:[0,1]
	v_bfe_u32 v35, v53, 16, 1
	v_bfe_u32 v59, v52, 16, 1
	v_pk_mul_f32 v[50:51], v[60:61], v[50:51] op_sel_hi:[0,1]
	v_add3_u32 v52, v52, v59, s8
	v_add3_u32 v35, v53, v35, s8
	v_perm_b32 v52, v35, v52, s9
	v_bfe_u32 v35, v51, 16, 1
	v_bfe_u32 v53, v50, 16, 1
	v_add3_u32 v50, v50, v53, s8
	v_add3_u32 v35, v51, v35, s8
	v_perm_b32 v53, v35, v50, s9
	v_lshlrev_b32_e32 v35, 3, v1
	v_lshlrev_b32_e32 v50, 11, v55
	v_pk_mul_f32 v[48:49], v[60:61], v[48:49] op_sel_hi:[0,1]
	v_or3_b32 v50, v50, v58, v35
	v_bfe_u32 v35, v49, 16, 1
	v_bfe_u32 v51, v48, 16, 1
	v_pk_mul_f32 v[46:47], v[60:61], v[46:47] op_sel_hi:[0,1]
	v_add3_u32 v48, v48, v51, s8
	v_add3_u32 v35, v49, v35, s8
	v_perm_b32 v48, v35, v48, s9
	v_bfe_u32 v35, v47, 16, 1
	v_bfe_u32 v49, v46, 16, 1
	v_add3_u32 v46, v46, v49, s8
	v_add3_u32 v35, v47, v35, s8
	v_pk_mul_f32 v[44:45], v[60:61], v[44:45] op_sel_hi:[0,1]
	v_perm_b32 v49, v35, v46, s9
	v_bfe_u32 v35, v45, 16, 1
	v_bfe_u32 v46, v44, 16, 1
	v_pk_mul_f32 v[42:43], v[60:61], v[42:43] op_sel_hi:[0,1]
	v_add3_u32 v44, v44, v46, s8
	v_add3_u32 v35, v45, v35, s8
	v_perm_b32 v44, v35, v44, s9
	v_bfe_u32 v35, v43, 16, 1
	v_bfe_u32 v45, v42, 16, 1
	v_add3_u32 v42, v42, v45, s8
	v_add3_u32 v35, v43, v35, s8
	v_pk_mul_f32 v[40:41], v[60:61], v[40:41] op_sel_hi:[0,1]
	v_perm_b32 v45, v35, v42, s9
	v_bfe_u32 v35, v41, 16, 1
	v_bfe_u32 v42, v40, 16, 1
	v_pk_mul_f32 v[36:37], v[60:61], v[36:37] op_sel_hi:[0,1]
	v_add3_u32 v40, v40, v42, s8
	v_add3_u32 v35, v41, v35, s8
	v_perm_b32 v40, v35, v40, s9
	v_bfe_u32 v35, v37, 16, 1
	v_bfe_u32 v41, v36, 16, 1
	v_add3_u32 v36, v36, v41, s8
	v_add3_u32 v35, v37, v35, s8
	v_perm_b32 v41, v35, v36, s9
	v_cmp_gt_u32_e32 vcc, 16, v0
	ds_write2st64_b64 v50, v[52:53], v[48:49] offset1:1
	ds_write2st64_b64 v50, v[44:45], v[40:41] offset0:2 offset1:3
	s_and_saveexec_b64 s[4:5], vcc
	s_cbranch_execz .LBB455_15
; %bb.14:
	v_mov_b32_e32 v35, 0
	v_mov_b32_e32 v36, s7
	v_mad_u64_u32 v[36:37], s[10:11], s2, v36, v[34:35]
	v_mov_b32_e32 v34, s28
	s_load_dwordx4 s[12:15], s[0:1], 0x58
	s_mul_i32 s3, s3, s7
	v_mad_u64_u32 v[34:35], s[10:11], v36, s6, v[34:35]
	v_add_u32_e32 v37, s3, v37
	v_mov_b32_e32 v36, v35
	v_mad_u64_u32 v[36:37], s[10:11], v37, s6, v[36:37]
	v_mov_b32_e32 v35, v36
	v_lshlrev_b64 v[34:35], 2, v[34:35]
	s_waitcnt lgkmcnt(0)
	v_lshl_add_u64 v[36:37], s[14:15], 0, v[34:35]
	v_lshl_add_u64 v[34:35], s[12:13], 0, v[34:35]
	global_store_dword v[36:37], v56, off
	global_store_dword v[34:35], v57, off
.LBB455_15:
	s_or_b64 exec, exec, s[4:5]
	s_waitcnt lgkmcnt(0)
	s_barrier
	ds_read_b128 v[34:37], v39
	ds_read_b128 v[40:43], v39 offset:16
	s_waitcnt vmcnt(7) lgkmcnt(1)
	v_mfma_f32_16x16x16_bf16 v[44:47], v[6:7], v[34:35], 0
	v_cmp_gt_u32_e32 vcc, 64, v0
	s_mov_b32 s3, 0
	s_and_b64 s[4:5], vcc, s[30:31]
	v_mfma_f32_16x16x16_bf16 v[6:9], v[8:9], v[36:37], v[44:47]
	s_waitcnt vmcnt(6) lgkmcnt(0)
	v_mfma_f32_16x16x16_bf16 v[6:9], v[2:3], v[40:41], v[6:9]
	v_mfma_f32_16x16x16_bf16 v[2:5], v[4:5], v[42:43], v[6:9]
	s_nop 5
	ds_read_b128 v[6:9], v39 offset:2048
	ds_read_b128 v[34:37], v39 offset:2064
	s_waitcnt vmcnt(5) lgkmcnt(1)
	v_mfma_f32_16x16x16_bf16 v[2:5], v[30:31], v[6:7], v[2:5]
	v_mfma_f32_16x16x16_bf16 v[2:5], v[32:33], v[8:9], v[2:5]
	s_waitcnt vmcnt(4) lgkmcnt(0)
	v_mfma_f32_16x16x16_bf16 v[2:5], v[26:27], v[34:35], v[2:5]
	v_mfma_f32_16x16x16_bf16 v[2:5], v[28:29], v[36:37], v[2:5]
	ds_read_b128 v[6:9], v39 offset:4096
	ds_read_b128 v[26:29], v39 offset:4112
	s_waitcnt vmcnt(3) lgkmcnt(1)
	v_mfma_f32_16x16x16_bf16 v[2:5], v[22:23], v[6:7], v[2:5]
	v_mfma_f32_16x16x16_bf16 v[2:5], v[24:25], v[8:9], v[2:5]
	s_waitcnt vmcnt(2) lgkmcnt(0)
	v_mfma_f32_16x16x16_bf16 v[2:5], v[18:19], v[26:27], v[2:5]
	v_mfma_f32_16x16x16_bf16 v[2:5], v[20:21], v[28:29], v[2:5]
	ds_read_b128 v[6:9], v39 offset:6144
	ds_read_b128 v[18:21], v39 offset:6160
	v_mov_b32_e32 v39, 0
	s_waitcnt vmcnt(1) lgkmcnt(0)
	v_mfma_f32_16x16x16_bf16 v[2:5], v[14:15], v[6:7], v[2:5]
	s_barrier
	v_mfma_f32_16x16x16_bf16 v[2:5], v[16:17], v[8:9], v[2:5]
	s_waitcnt vmcnt(0)
	v_mfma_f32_16x16x16_bf16 v[2:5], v[10:11], v[18:19], v[2:5]
	v_mfma_f32_16x16x16_bf16 v[2:5], v[12:13], v[20:21], v[2:5]
	s_nop 6
	v_bfe_u32 v6, v3, 16, 1
	v_bfe_u32 v7, v2, 16, 1
	;; [unrolled: 1-line block ×4, first 2 shown]
	v_add3_u32 v2, v2, v7, s8
	v_add3_u32 v3, v3, v6, s8
	;; [unrolled: 1-line block ×4, first 2 shown]
	v_perm_b32 v2, v3, v2, s9
	v_perm_b32 v3, v5, v4, s9
	ds_write_b64 v50, v[2:3]
	s_waitcnt lgkmcnt(0)
	s_barrier
	s_and_saveexec_b64 s[8:9], s[4:5]
	s_cbranch_execz .LBB455_17
; %bb.16:
	s_load_dwordx2 s[0:1], s[0:1], 0x68
	s_lshl_b32 s6, s6, 6
	s_mul_i32 s2, s7, s2
	s_mul_hi_u32 s5, s2, s6
	s_mul_i32 s4, s2, s6
	s_lshl_b64 s[4:5], s[4:5], 1
	s_waitcnt lgkmcnt(0)
	s_add_u32 s4, s0, s4
	s_addc_u32 s5, s1, s5
	s_lshl_b32 s2, s28, 6
	v_lshlrev_b32_e32 v0, 10, v0
	s_lshl_b64 s[0:1], s[2:3], 1
	v_and_b32_e32 v0, 0x1800, v0
	v_lshlrev_b32_e32 v2, 5, v1
	v_and_b32_e32 v3, 16, v54
	s_add_u32 s0, s4, s0
	v_or3_b32 v0, v0, v2, v3
	s_addc_u32 s1, s5, s1
	v_or_b32_e32 v20, s29, v1
	ds_read_b128 v[2:5], v0
	ds_read_b128 v[6:9], v0 offset:128
	ds_read_b128 v[10:13], v0 offset:256
	;; [unrolled: 1-line block ×3, first 2 shown]
	v_lshl_add_u64 v[18:19], s[0:1], 0, v[38:39]
	v_mad_u64_u32 v[0:1], s[0:1], v20, s6, 0
	v_lshl_add_u64 v[0:1], v[0:1], 1, v[18:19]
	s_waitcnt lgkmcnt(3)
	global_store_dwordx4 v[0:1], v[2:5], off
	v_or_b32_e32 v0, 4, v20
	v_mad_u64_u32 v[0:1], s[0:1], v0, s6, 0
	v_lshl_add_u64 v[0:1], v[0:1], 1, v[18:19]
	s_waitcnt lgkmcnt(2)
	global_store_dwordx4 v[0:1], v[6:9], off
	v_or_b32_e32 v0, 8, v20
	v_mad_u64_u32 v[0:1], s[0:1], v0, s6, 0
	v_lshl_add_u64 v[0:1], v[0:1], 1, v[18:19]
	s_waitcnt lgkmcnt(1)
	global_store_dwordx4 v[0:1], v[10:13], off
	v_or_b32_e32 v0, 12, v20
	v_mad_u64_u32 v[0:1], s[0:1], v0, s6, 0
	v_lshl_add_u64 v[0:1], v[0:1], 1, v[18:19]
	s_waitcnt lgkmcnt(0)
	global_store_dwordx4 v[0:1], v[14:17], off
.LBB455_17:
	s_endpgm
	.section	.rodata,"a",@progbits
	.p2align	6, 0x0
	.amdhsa_kernel _Z39paged_attention_ll4mi_QKV_mfma16_kernelI14__hip_bfloat16S0_LN4vllm18Fp8KVCacheDataTypeE0ES0_Li16ELi64ELi256ELb1ELi16EEvPKT_PKT0_S8_ifPKiSA_SA_iPKfiiiPfSD_PS3_PT2_iSC_SC_
		.amdhsa_group_segment_fixed_size 8192
		.amdhsa_private_segment_fixed_size 0
		.amdhsa_kernarg_size 400
		.amdhsa_user_sgpr_count 2
		.amdhsa_user_sgpr_dispatch_ptr 0
		.amdhsa_user_sgpr_queue_ptr 0
		.amdhsa_user_sgpr_kernarg_segment_ptr 1
		.amdhsa_user_sgpr_dispatch_id 0
		.amdhsa_user_sgpr_kernarg_preload_length 0
		.amdhsa_user_sgpr_kernarg_preload_offset 0
		.amdhsa_user_sgpr_private_segment_size 0
		.amdhsa_uses_dynamic_stack 0
		.amdhsa_enable_private_segment 0
		.amdhsa_system_sgpr_workgroup_id_x 1
		.amdhsa_system_sgpr_workgroup_id_y 1
		.amdhsa_system_sgpr_workgroup_id_z 1
		.amdhsa_system_sgpr_workgroup_info 0
		.amdhsa_system_vgpr_workitem_id 0
		.amdhsa_next_free_vgpr 72
		.amdhsa_next_free_sgpr 48
		.amdhsa_accum_offset 72
		.amdhsa_reserve_vcc 1
		.amdhsa_float_round_mode_32 0
		.amdhsa_float_round_mode_16_64 0
		.amdhsa_float_denorm_mode_32 3
		.amdhsa_float_denorm_mode_16_64 3
		.amdhsa_dx10_clamp 1
		.amdhsa_ieee_mode 1
		.amdhsa_fp16_overflow 0
		.amdhsa_tg_split 0
		.amdhsa_exception_fp_ieee_invalid_op 0
		.amdhsa_exception_fp_denorm_src 0
		.amdhsa_exception_fp_ieee_div_zero 0
		.amdhsa_exception_fp_ieee_overflow 0
		.amdhsa_exception_fp_ieee_underflow 0
		.amdhsa_exception_fp_ieee_inexact 0
		.amdhsa_exception_int_div_zero 0
	.end_amdhsa_kernel
	.section	.text._Z39paged_attention_ll4mi_QKV_mfma16_kernelI14__hip_bfloat16S0_LN4vllm18Fp8KVCacheDataTypeE0ES0_Li16ELi64ELi256ELb1ELi16EEvPKT_PKT0_S8_ifPKiSA_SA_iPKfiiiPfSD_PS3_PT2_iSC_SC_,"axG",@progbits,_Z39paged_attention_ll4mi_QKV_mfma16_kernelI14__hip_bfloat16S0_LN4vllm18Fp8KVCacheDataTypeE0ES0_Li16ELi64ELi256ELb1ELi16EEvPKT_PKT0_S8_ifPKiSA_SA_iPKfiiiPfSD_PS3_PT2_iSC_SC_,comdat
.Lfunc_end455:
	.size	_Z39paged_attention_ll4mi_QKV_mfma16_kernelI14__hip_bfloat16S0_LN4vllm18Fp8KVCacheDataTypeE0ES0_Li16ELi64ELi256ELb1ELi16EEvPKT_PKT0_S8_ifPKiSA_SA_iPKfiiiPfSD_PS3_PT2_iSC_SC_, .Lfunc_end455-_Z39paged_attention_ll4mi_QKV_mfma16_kernelI14__hip_bfloat16S0_LN4vllm18Fp8KVCacheDataTypeE0ES0_Li16ELi64ELi256ELb1ELi16EEvPKT_PKT0_S8_ifPKiSA_SA_iPKfiiiPfSD_PS3_PT2_iSC_SC_
                                        ; -- End function
	.section	.AMDGPU.csdata,"",@progbits
; Kernel info:
; codeLenInByte = 4308
; NumSgprs: 54
; NumVgprs: 72
; NumAgprs: 0
; TotalNumVgprs: 72
; ScratchSize: 0
; MemoryBound: 0
; FloatMode: 240
; IeeeMode: 1
; LDSByteSize: 8192 bytes/workgroup (compile time only)
; SGPRBlocks: 6
; VGPRBlocks: 8
; NumSGPRsForWavesPerEU: 54
; NumVGPRsForWavesPerEU: 72
; AccumOffset: 72
; Occupancy: 7
; WaveLimiterHint : 1
; COMPUTE_PGM_RSRC2:SCRATCH_EN: 0
; COMPUTE_PGM_RSRC2:USER_SGPR: 2
; COMPUTE_PGM_RSRC2:TRAP_HANDLER: 0
; COMPUTE_PGM_RSRC2:TGID_X_EN: 1
; COMPUTE_PGM_RSRC2:TGID_Y_EN: 1
; COMPUTE_PGM_RSRC2:TGID_Z_EN: 1
; COMPUTE_PGM_RSRC2:TIDIG_COMP_CNT: 0
; COMPUTE_PGM_RSRC3_GFX90A:ACCUM_OFFSET: 17
; COMPUTE_PGM_RSRC3_GFX90A:TG_SPLIT: 0
	.section	.text._Z35paged_attention_ll4mi_reduce_kernelI14__hip_bfloat16S0_Li64ELi64ELi256ELi1EEvPT0_PKfS4_PKT_PKiS9_iS4_,"axG",@progbits,_Z35paged_attention_ll4mi_reduce_kernelI14__hip_bfloat16S0_Li64ELi64ELi256ELi1EEvPT0_PKfS4_PKT_PKiS9_iS4_,comdat
	.protected	_Z35paged_attention_ll4mi_reduce_kernelI14__hip_bfloat16S0_Li64ELi64ELi256ELi1EEvPT0_PKfS4_PKT_PKiS9_iS4_ ; -- Begin function _Z35paged_attention_ll4mi_reduce_kernelI14__hip_bfloat16S0_Li64ELi64ELi256ELi1EEvPT0_PKfS4_PKT_PKiS9_iS4_
	.globl	_Z35paged_attention_ll4mi_reduce_kernelI14__hip_bfloat16S0_Li64ELi64ELi256ELi1EEvPT0_PKfS4_PKT_PKiS9_iS4_
	.p2align	8
	.type	_Z35paged_attention_ll4mi_reduce_kernelI14__hip_bfloat16S0_Li64ELi64ELi256ELi1EEvPT0_PKfS4_PKT_PKiS9_iS4_,@function
_Z35paged_attention_ll4mi_reduce_kernelI14__hip_bfloat16S0_Li64ELi64ELi256ELi1EEvPT0_PKfS4_PKT_PKiS9_iS4_: ; @_Z35paged_attention_ll4mi_reduce_kernelI14__hip_bfloat16S0_Li64ELi64ELi256ELi1EEvPT0_PKfS4_PKT_PKiS9_iS4_
; %bb.0:
	s_load_dwordx2 s[14:15], s[0:1], 0x28
	s_mov_b32 s12, s3
	s_mov_b64 s[4:5], 0
	s_waitcnt lgkmcnt(0)
	s_cmp_lg_u64 s[14:15], 0
	s_cselect_b64 s[16:17], -1, 0
	s_and_b64 vcc, exec, s[16:17]
	s_cbranch_vccz .LBB456_23
; %bb.1:
	s_add_i32 s6, s12, 1
	s_mov_b32 s7, 0
	s_lshl_b64 s[8:9], s[6:7], 2
	s_add_u32 s8, s14, s8
	s_mov_b32 s13, s7
	s_addc_u32 s9, s15, s9
	s_lshl_b64 s[6:7], s[12:13], 2
	s_add_u32 s6, s14, s6
	s_addc_u32 s7, s15, s7
	s_load_dword s3, s[8:9], 0x0
	s_load_dword s10, s[6:7], 0x0
	s_waitcnt lgkmcnt(0)
	s_sub_i32 s3, s3, s10
	s_cmp_eq_u32 s3, 1
	s_cselect_b64 s[6:7], -1, 0
	s_andn2_b64 vcc, exec, s[4:5]
	s_cbranch_vccnz .LBB456_3
.LBB456_2:
	s_mov_b32 s13, 0
	s_mov_b64 s[6:7], -1
.LBB456_3:
	s_andn2_b64 vcc, exec, s[6:7]
	s_cbranch_vccz .LBB456_5
; %bb.4:
	s_endpgm
.LBB456_5:
	s_load_dwordx4 s[8:11], s[0:1], 0x18
	s_load_dword s20, s[0:1], 0x30
	s_lshl_b64 s[18:19], s[12:13], 2
	v_cmp_lt_u32_e32 vcc, 63, v0
	s_waitcnt lgkmcnt(0)
	s_add_u32 s4, s10, s18
	s_addc_u32 s5, s11, s19
	s_load_dword s24, s[4:5], 0x0
	s_load_dword s3, s[0:1], 0x40
	s_mul_i32 s10, s2, s20
	s_mul_i32 s6, s12, s20
	s_waitcnt lgkmcnt(0)
	s_add_i32 s7, s24, 0xff
	s_ashr_i32 s4, s7, 31
	s_lshr_b32 s4, s4, 24
	s_add_i32 s7, s7, s4
	s_and_saveexec_b64 s[4:5], vcc
	s_xor_b64 s[4:5], exec, s[4:5]
	s_or_saveexec_b64 s[20:21], s[4:5]
	s_ashr_i32 s25, s7, 8
	v_mov_b32_e32 v1, s10
	s_mul_i32 s22, s6, s3
	s_xor_b64 exec, exec, s[20:21]
	s_cbranch_execz .LBB456_9
; %bb.6:
	s_load_dwordx4 s[4:7], s[0:1], 0x8
	s_mov_b32 s23, 0
	s_lshl_b64 s[26:27], s[22:23], 2
	s_mov_b32 s11, s23
	v_cmp_gt_u32_e32 vcc, s25, v0
	s_waitcnt lgkmcnt(0)
	s_add_u32 s23, s6, s26
	s_addc_u32 s29, s7, s27
	s_lshl_b64 s[6:7], s[10:11], 2
	s_add_u32 s28, s23, s6
	s_addc_u32 s29, s29, s7
	s_add_i32 s11, s25, -1
	v_mov_b32_e32 v1, s11
	v_cndmask_b32_e32 v2, v1, v0, vcc
	v_ashrrev_i32_e32 v3, 31, v2
	v_lshlrev_b64 v[2:3], 2, v[2:3]
	v_lshl_add_u64 v[4:5], s[28:29], 0, v[2:3]
	global_load_dword v1, v[4:5], off
	s_add_u32 s4, s4, s26
	s_addc_u32 s5, s5, s27
	s_add_u32 s4, s4, s6
	s_addc_u32 s5, s5, s7
	v_lshl_add_u64 v[2:3], s[4:5], 0, v[2:3]
	global_load_dword v2, v[2:3], off
	v_mbcnt_lo_u32_b32 v3, -1, 0
	v_mbcnt_hi_u32_b32 v3, -1, v3
	v_and_b32_e32 v4, 64, v3
	v_xor_b32_e32 v5, 32, v3
	v_add_u32_e32 v4, 64, v4
	v_cmp_lt_i32_e64 s[4:5], v5, v4
	v_xor_b32_e32 v6, 16, v3
	v_xor_b32_e32 v9, 8, v3
	v_cndmask_b32_e64 v5, v3, v5, s[4:5]
	v_lshlrev_b32_e32 v5, 2, v5
	v_cmp_lt_i32_e64 s[4:5], v6, v4
	v_xor_b32_e32 v10, 4, v3
	v_xor_b32_e32 v11, 2, v3
	v_cndmask_b32_e64 v6, v3, v6, s[4:5]
	v_lshlrev_b32_e32 v6, 2, v6
	v_cmp_lt_i32_e64 s[4:5], v9, v4
	v_xor_b32_e32 v12, 1, v3
	s_mov_b32 s6, 0x42b17218
	v_cndmask_b32_e64 v9, v3, v9, s[4:5]
	v_lshlrev_b32_e32 v9, 2, v9
	v_cmp_lt_i32_e64 s[4:5], v10, v4
	s_waitcnt vmcnt(1)
	ds_bpermute_b32 v7, v5, v1
	v_max_f32_e32 v8, v1, v1
	v_cndmask_b32_e64 v10, v3, v10, s[4:5]
	v_lshlrev_b32_e32 v10, 2, v10
	v_cmp_lt_i32_e64 s[4:5], v11, v4
	s_waitcnt lgkmcnt(0)
	v_max_f32_e32 v7, v7, v7
	v_max_f32_e32 v7, v8, v7
	ds_bpermute_b32 v8, v6, v7
	v_cndmask_b32_e64 v11, v3, v11, s[4:5]
	v_lshlrev_b32_e32 v11, 2, v11
	v_cmp_lt_i32_e64 s[4:5], v12, v4
	s_waitcnt lgkmcnt(0)
	v_max_f32_e32 v8, v8, v8
	v_max_f32_e32 v7, v7, v8
	ds_bpermute_b32 v8, v9, v7
	v_cndmask_b32_e64 v3, v3, v12, s[4:5]
	v_lshlrev_b32_e32 v3, 2, v3
	s_mov_b32 s4, 0x3fb8aa3b
	s_waitcnt lgkmcnt(0)
	v_max_f32_e32 v8, v8, v8
	v_max_f32_e32 v7, v7, v8
	ds_bpermute_b32 v8, v10, v7
	s_waitcnt lgkmcnt(0)
	v_max_f32_e32 v8, v8, v8
	v_max_f32_e32 v7, v7, v8
	ds_bpermute_b32 v8, v11, v7
	;; [unrolled: 4-line block ×3, first 2 shown]
	s_waitcnt lgkmcnt(0)
	v_max_f32_e32 v7, v7, v7
	v_max_f32_e32 v4, v4, v7
	v_sub_f32_e32 v1, v1, v4
	v_mul_f32_e32 v4, 0x3fb8aa3b, v1
	v_fma_f32 v7, v1, s4, -v4
	v_rndne_f32_e32 v8, v4
	v_fmamk_f32 v7, v1, 0x32a5705f, v7
	v_sub_f32_e32 v4, v4, v8
	v_add_f32_e32 v4, v4, v7
	v_cvt_i32_f32_e32 v8, v8
	v_exp_f32_e32 v4, v4
	s_mov_b32 s4, 0xc2ce8ed0
	v_cmp_ngt_f32_e64 s[4:5], s4, v1
	v_mov_b32_e32 v7, 0x7f800000
	v_ldexp_f32 v4, v4, v8
	v_cndmask_b32_e64 v4, 0, v4, s[4:5]
	v_cmp_nlt_f32_e64 s[4:5], s6, v1
	s_nop 1
	v_cndmask_b32_e64 v1, v7, v4, s[4:5]
	v_cndmask_b32_e32 v1, 0, v1, vcc
	s_waitcnt vmcnt(0)
	v_mul_f32_e32 v4, v1, v2
	ds_bpermute_b32 v1, v5, v4
	v_cmp_eq_u32_e32 vcc, 0, v0
	s_waitcnt lgkmcnt(0)
	v_add_f32_e32 v1, v4, v1
	ds_bpermute_b32 v2, v6, v1
	s_waitcnt lgkmcnt(0)
	v_add_f32_e32 v1, v1, v2
	ds_bpermute_b32 v2, v9, v1
	;; [unrolled: 3-line block ×5, first 2 shown]
	v_lshlrev_b32_e32 v3, 2, v0
	ds_write_b32 v3, v4
	s_and_saveexec_b64 s[4:5], vcc
	s_cbranch_execz .LBB456_8
; %bb.7:
	s_waitcnt lgkmcnt(1)
	v_add_f32_e32 v1, v1, v2
	v_mov_b32_e32 v2, 0
	ds_write_b32 v2, v1 offset:256
.LBB456_8:
	s_or_b64 exec, exec, s[4:5]
	v_mov_b32_e32 v1, s10
.LBB456_9:
	s_or_b64 exec, exec, s[20:21]
	s_lshl_b32 s4, s22, 6
	s_mov_b32 s5, 0
	s_lshl_b64 s[4:5], s[4:5], 1
	s_add_u32 s4, s8, s4
	s_waitcnt lgkmcnt(1)
	v_lshlrev_b32_e32 v2, 6, v1
	v_mov_b32_e32 v3, 0
	s_addc_u32 s5, s9, s5
	v_lshl_add_u64 v[4:5], v[2:3], 1, s[4:5]
	s_lshl_b32 s4, s25, 6
	s_sub_i32 s6, s4, 64
	s_cmp_lt_i32 s24, 1
	s_cselect_b32 s4, s6, 0
	v_lshlrev_b32_e32 v2, 1, v0
	s_ashr_i32 s5, s4, 31
	v_lshl_add_u64 v[0:1], v[4:5], 0, v[2:3]
	s_cmpk_lt_i32 s24, 0x101
	v_lshl_add_u64 v[4:5], s[4:5], 1, v[0:1]
	s_cselect_b32 s4, s6, 64
	s_ashr_i32 s5, s4, 31
	s_cmpk_lt_i32 s24, 0x201
	v_lshl_add_u64 v[6:7], s[4:5], 1, v[0:1]
	s_cselect_b32 s4, s6, 0x80
	s_ashr_i32 s5, s4, 31
	;; [unrolled: 4-line block ×8, first 2 shown]
	s_cmpk_lt_i32 s24, 0x901
	global_load_ushort v23, v[4:5], off
	global_load_ushort v22, v[6:7], off
	;; [unrolled: 1-line block ×8, first 2 shown]
	v_lshl_add_u64 v[4:5], s[4:5], 1, v[0:1]
	s_cselect_b32 s4, s6, 0x240
	s_ashr_i32 s5, s4, 31
	s_cmpk_lt_i32 s24, 0xa01
	v_lshl_add_u64 v[6:7], s[4:5], 1, v[0:1]
	s_cselect_b32 s4, s6, 0x280
	s_ashr_i32 s5, s4, 31
	s_cmpk_lt_i32 s24, 0xb01
	;; [unrolled: 4-line block ×6, first 2 shown]
	v_lshl_add_u64 v[32:33], s[4:5], 1, v[0:1]
	s_cselect_b32 s4, s6, 0x3c0
	s_ashr_i32 s5, s4, 31
	v_lshl_add_u64 v[34:35], s[4:5], 1, v[0:1]
	global_load_ushort v30, v[4:5], off
	global_load_ushort v31, v[6:7], off
	;; [unrolled: 1-line block ×8, first 2 shown]
	s_cmpk_gt_i32 s24, 0x1000
	s_cselect_b64 s[4:5], -1, 0
	s_cmpk_lt_i32 s24, 0x1001
	v_mov_b32_e32 v40, 0
	v_mov_b32_e32 v41, 0
	v_mov_b32_e32 v42, 0
	v_mov_b32_e32 v43, 0
	v_mov_b32_e32 v44, 0
	v_mov_b32_e32 v45, 0
	v_mov_b32_e32 v46, 0
	v_mov_b32_e32 v47, 0
	v_mov_b32_e32 v32, 0
	v_mov_b32_e32 v33, 0
	v_mov_b32_e32 v34, 0
	v_mov_b32_e32 v35, 0
	v_mov_b32_e32 v36, 0
	v_mov_b32_e32 v37, 0
	v_mov_b32_e32 v38, 0
	v_mov_b32_e32 v39, 0
	v_mov_b32_e32 v4, 0
	v_mov_b32_e32 v5, 0
	v_mov_b32_e32 v6, 0
	v_mov_b32_e32 v7, 0
	v_mov_b32_e32 v8, 0
	v_mov_b32_e32 v9, 0
	v_mov_b32_e32 v10, 0
	v_mov_b32_e32 v11, 0
	v_mov_b32_e32 v12, 0
	v_mov_b32_e32 v13, 0
	v_mov_b32_e32 v14, 0
	v_mov_b32_e32 v15, 0
	v_mov_b32_e32 v48, 0
	v_mov_b32_e32 v50, 0
	v_mov_b32_e32 v49, 0
	v_mov_b32_e32 v51, 0
	v_mov_b32_e32 v52, 0
	v_mov_b32_e32 v54, 0
	v_mov_b32_e32 v53, 0
	v_mov_b32_e32 v56, 0
	v_mov_b32_e32 v55, 0
	v_mov_b32_e32 v58, 0
	v_mov_b32_e32 v57, 0
	v_mov_b32_e32 v60, 0
	v_mov_b32_e32 v59, 0
	v_mov_b32_e32 v62, 0
	v_mov_b32_e32 v61, 0
	v_mov_b32_e32 v64, 0
	v_mov_b32_e32 v63, 0
	v_mov_b32_e32 v66, 0
	v_mov_b32_e32 v65, 0
	v_mov_b32_e32 v67, 0
	s_waitcnt lgkmcnt(0)
	; wave barrier
	s_waitcnt lgkmcnt(0)
	s_cbranch_scc1 .LBB456_12
; %bb.10:
	s_cmpk_lt_u32 s24, 0x1101
	s_cselect_b32 s8, s6, 0x440
	s_ashr_i32 s9, s8, 31
	s_cmpk_lt_u32 s24, 0x1201
	v_lshl_add_u64 v[4:5], s[8:9], 1, v[0:1]
	s_cselect_b32 s8, s6, 0x480
	s_ashr_i32 s9, s8, 31
	s_cmpk_lt_u32 s24, 0x1301
	v_lshl_add_u64 v[6:7], s[8:9], 1, v[0:1]
	;; [unrolled: 4-line block ×7, first 2 shown]
	s_cselect_b32 s8, s6, 0x600
	s_ashr_i32 s9, s8, 31
	s_cmpk_lt_u32 s24, 0x1901
	global_load_ushort v39, v[0:1], off offset:2048
	global_load_ushort v38, v[4:5], off
	global_load_ushort v37, v[6:7], off
	;; [unrolled: 1-line block ×7, first 2 shown]
	v_lshl_add_u64 v[4:5], s[8:9], 1, v[0:1]
	s_cselect_b32 s8, s6, 0x640
	s_ashr_i32 s9, s8, 31
	s_cmpk_lt_u32 s24, 0x1a01
	v_lshl_add_u64 v[6:7], s[8:9], 1, v[0:1]
	s_cselect_b32 s8, s6, 0x680
	s_ashr_i32 s9, s8, 31
	s_cmpk_lt_u32 s24, 0x1b01
	;; [unrolled: 4-line block ×6, first 2 shown]
	v_lshl_add_u64 v[48:49], s[8:9], 1, v[0:1]
	s_cselect_b32 s8, s6, 0x7c0
	s_ashr_i32 s9, s8, 31
	v_lshl_add_u64 v[50:51], s[8:9], 1, v[0:1]
	global_load_ushort v47, v[4:5], off
	global_load_ushort v46, v[6:7], off
	global_load_ushort v45, v[8:9], off
	global_load_ushort v44, v[10:11], off
	global_load_ushort v43, v[12:13], off
	global_load_ushort v42, v[14:15], off
	global_load_ushort v41, v[48:49], off
	global_load_ushort v40, v[50:51], off
	s_cmpk_lt_u32 s24, 0x2001
	v_mov_b32_e32 v67, 0
	v_mov_b32_e32 v65, 0
	v_mov_b32_e32 v66, 0
	v_mov_b32_e32 v63, 0
	v_mov_b32_e32 v64, 0
	v_mov_b32_e32 v61, 0
	v_mov_b32_e32 v62, 0
	v_mov_b32_e32 v59, 0
	v_mov_b32_e32 v60, 0
	v_mov_b32_e32 v57, 0
	v_mov_b32_e32 v58, 0
	v_mov_b32_e32 v55, 0
	v_mov_b32_e32 v56, 0
	v_mov_b32_e32 v53, 0
	v_mov_b32_e32 v54, 0
	v_mov_b32_e32 v52, 0
	v_mov_b32_e32 v51, 0
	v_mov_b32_e32 v49, 0
	v_mov_b32_e32 v50, 0
	v_mov_b32_e32 v48, 0
	v_mov_b32_e32 v15, 0
	v_mov_b32_e32 v14, 0
	v_mov_b32_e32 v13, 0
	v_mov_b32_e32 v12, 0
	v_mov_b32_e32 v11, 0
	v_mov_b32_e32 v10, 0
	v_mov_b32_e32 v9, 0
	v_mov_b32_e32 v8, 0
	v_mov_b32_e32 v7, 0
	v_mov_b32_e32 v6, 0
	v_mov_b32_e32 v5, 0
	v_mov_b32_e32 v4, 0
	s_cbranch_scc1 .LBB456_12
; %bb.11:
	s_cmpk_lt_u32 s24, 0x2101
	s_cselect_b32 s8, s6, 0x840
	s_ashr_i32 s9, s8, 31
	s_cmpk_lt_u32 s24, 0x2201
	v_lshl_add_u64 v[4:5], s[8:9], 1, v[0:1]
	s_cselect_b32 s8, s6, 0x880
	s_ashr_i32 s9, s8, 31
	s_cmpk_lt_u32 s24, 0x2301
	v_lshl_add_u64 v[6:7], s[8:9], 1, v[0:1]
	s_cselect_b32 s8, s6, 0x8c0
	s_ashr_i32 s9, s8, 31
	s_cmpk_lt_u32 s24, 0x2401
	v_lshl_add_u64 v[8:9], s[8:9], 1, v[0:1]
	s_cselect_b32 s8, s6, 0x900
	s_ashr_i32 s9, s8, 31
	s_cmpk_lt_u32 s24, 0x2501
	v_lshl_add_u64 v[10:11], s[8:9], 1, v[0:1]
	s_cselect_b32 s8, s6, 0x940
	s_ashr_i32 s9, s8, 31
	s_cmpk_lt_u32 s24, 0x2601
	v_lshl_add_u64 v[12:13], s[8:9], 1, v[0:1]
	s_cselect_b32 s8, s6, 0x980
	s_ashr_i32 s9, s8, 31
	s_cmpk_lt_u32 s24, 0x2701
	v_lshl_add_u64 v[14:15], s[8:9], 1, v[0:1]
	s_cselect_b32 s8, s6, 0x9c0
	s_ashr_i32 s9, s8, 31
	s_cmpk_lt_u32 s24, 0x2801
	v_lshl_add_u64 v[48:49], s[8:9], 1, v[0:1]
	s_cselect_b32 s8, s6, 0xa00
	s_ashr_i32 s9, s8, 31
	s_cmpk_lt_u32 s24, 0x2901
	v_lshl_add_u64 v[50:51], s[8:9], 1, v[0:1]
	s_cselect_b32 s8, s6, 0xa40
	s_ashr_i32 s9, s8, 31
	s_cmpk_lt_u32 s24, 0x2a01
	v_lshl_add_u64 v[52:53], s[8:9], 1, v[0:1]
	s_cselect_b32 s8, s6, 0xa80
	s_ashr_i32 s9, s8, 31
	s_cmpk_lt_u32 s24, 0x2b01
	v_lshl_add_u64 v[54:55], s[8:9], 1, v[0:1]
	s_cselect_b32 s8, s6, 0xac0
	s_ashr_i32 s9, s8, 31
	s_cmpk_lt_u32 s24, 0x2c01
	v_lshl_add_u64 v[56:57], s[8:9], 1, v[0:1]
	s_cselect_b32 s8, s6, 0xb00
	s_ashr_i32 s9, s8, 31
	s_cmpk_lt_u32 s24, 0x2d01
	v_lshl_add_u64 v[58:59], s[8:9], 1, v[0:1]
	s_cselect_b32 s8, s6, 0xb40
	s_ashr_i32 s9, s8, 31
	s_cmpk_lt_u32 s24, 0x2e01
	v_lshl_add_u64 v[60:61], s[8:9], 1, v[0:1]
	s_cselect_b32 s8, s6, 0xb80
	s_ashr_i32 s9, s8, 31
	s_cmpk_lt_u32 s24, 0x2f01
	v_lshl_add_u64 v[62:63], s[8:9], 1, v[0:1]
	s_cselect_b32 s8, s6, 0xbc0
	s_ashr_i32 s9, s8, 31
	s_cmpk_lt_u32 s24, 0x3001
	v_lshl_add_u64 v[64:65], s[8:9], 1, v[0:1]
	s_cselect_b32 s8, s6, 0xc00
	s_ashr_i32 s9, s8, 31
	s_cmpk_lt_u32 s24, 0x3101
	v_lshl_add_u64 v[66:67], s[8:9], 1, v[0:1]
	s_cselect_b32 s8, s6, 0xc40
	s_ashr_i32 s9, s8, 31
	s_cmpk_lt_u32 s24, 0x3201
	v_lshl_add_u64 v[68:69], s[8:9], 1, v[0:1]
	s_cselect_b32 s8, s6, 0xc80
	s_ashr_i32 s9, s8, 31
	s_cmpk_lt_u32 s24, 0x3301
	v_lshl_add_u64 v[70:71], s[8:9], 1, v[0:1]
	s_cselect_b32 s8, s6, 0xcc0
	s_ashr_i32 s9, s8, 31
	s_cmpk_lt_u32 s24, 0x3401
	v_lshl_add_u64 v[72:73], s[8:9], 1, v[0:1]
	s_cselect_b32 s8, s6, 0xd00
	s_ashr_i32 s9, s8, 31
	s_cmpk_lt_u32 s24, 0x3501
	v_lshl_add_u64 v[74:75], s[8:9], 1, v[0:1]
	s_cselect_b32 s8, s6, 0xd40
	s_ashr_i32 s9, s8, 31
	s_cmpk_lt_u32 s24, 0x3601
	v_lshl_add_u64 v[76:77], s[8:9], 1, v[0:1]
	s_cselect_b32 s8, s6, 0xd80
	s_ashr_i32 s9, s8, 31
	s_cmpk_lt_u32 s24, 0x3701
	v_lshl_add_u64 v[78:79], s[8:9], 1, v[0:1]
	s_cselect_b32 s8, s6, 0xdc0
	s_ashr_i32 s9, s8, 31
	s_cmpk_lt_u32 s24, 0x3801
	v_lshl_add_u64 v[80:81], s[8:9], 1, v[0:1]
	s_cselect_b32 s8, s6, 0xe00
	s_ashr_i32 s9, s8, 31
	s_cmpk_lt_u32 s24, 0x3901
	v_lshl_add_u64 v[82:83], s[8:9], 1, v[0:1]
	s_cselect_b32 s8, s6, 0xe40
	s_ashr_i32 s9, s8, 31
	s_cmpk_lt_u32 s24, 0x3a01
	v_lshl_add_u64 v[84:85], s[8:9], 1, v[0:1]
	s_cselect_b32 s8, s6, 0xe80
	s_ashr_i32 s9, s8, 31
	s_cmpk_lt_u32 s24, 0x3b01
	v_lshl_add_u64 v[86:87], s[8:9], 1, v[0:1]
	s_cselect_b32 s8, s6, 0xec0
	s_ashr_i32 s9, s8, 31
	s_cmpk_lt_u32 s24, 0x3c01
	v_lshl_add_u64 v[88:89], s[8:9], 1, v[0:1]
	s_cselect_b32 s8, s6, 0xf00
	s_ashr_i32 s9, s8, 31
	s_cmpk_lt_u32 s24, 0x3d01
	v_lshl_add_u64 v[90:91], s[8:9], 1, v[0:1]
	s_cselect_b32 s8, s6, 0xf40
	s_ashr_i32 s9, s8, 31
	s_cmpk_lt_u32 s24, 0x3e01
	v_lshl_add_u64 v[92:93], s[8:9], 1, v[0:1]
	s_cselect_b32 s8, s6, 0xf80
	s_ashr_i32 s9, s8, 31
	s_cmpk_lt_u32 s24, 0x3f01
	s_movk_i32 s7, 0x1000
	s_cselect_b32 s6, s6, 0xfc0
	v_add_co_u32_e32 v96, vcc, s7, v0
	s_ashr_i32 s7, s6, 31
	v_lshl_add_u64 v[94:95], s[8:9], 1, v[0:1]
	v_addc_co_u32_e32 v97, vcc, 0, v1, vcc
	v_lshl_add_u64 v[0:1], s[6:7], 1, v[0:1]
	global_load_ushort v98, v[96:97], off
	global_load_ushort v99, v[4:5], off
	;; [unrolled: 1-line block ×15, first 2 shown]
                                        ; kill: killed $vgpr4_vgpr5
                                        ; kill: killed $vgpr58_vgpr59
                                        ; kill: killed $vgpr10_vgpr11
                                        ; kill: killed $vgpr48_vgpr49
                                        ; kill: killed $vgpr54_vgpr55
                                        ; kill: killed $vgpr6_vgpr7
                                        ; kill: killed $vgpr60_vgpr61
                                        ; kill: killed $vgpr12_vgpr13
                                        ; kill: killed $vgpr50_vgpr51
                                        ; kill: killed $vgpr56_vgpr57
                                        ; kill: killed $vgpr8_vgpr9
                                        ; kill: killed $vgpr62_vgpr63
                                        ; kill: killed $vgpr14_vgpr15
                                        ; kill: killed $vgpr96 killed $vgpr97
                                        ; kill: killed $vgpr52_vgpr53
	global_load_ushort v4, v[64:65], off
	global_load_ushort v5, v[66:67], off
	;; [unrolled: 1-line block ×15, first 2 shown]
                                        ; kill: killed $vgpr68_vgpr69
                                        ; kill: killed $vgpr90_vgpr91
                                        ; kill: killed $vgpr74_vgpr75
                                        ; kill: killed $vgpr80_vgpr81
                                        ; kill: killed $vgpr64_vgpr65
                                        ; kill: killed $vgpr70_vgpr71
                                        ; kill: killed $vgpr92_vgpr93
                                        ; kill: killed $vgpr76_vgpr77
                                        ; kill: killed $vgpr82_vgpr83
                                        ; kill: killed $vgpr66_vgpr67
                                        ; kill: killed $vgpr88_vgpr89
                                        ; kill: killed $vgpr72_vgpr73
                                        ; kill: killed $vgpr94_vgpr95
                                        ; kill: killed $vgpr78_vgpr79
                                        ; kill: killed $vgpr84_vgpr85
	global_load_ushort v68, v[86:87], off
	s_waitcnt vmcnt(30)
	v_lshlrev_b32_e32 v67, 16, v98
	global_load_ushort v0, v[0:1], off
	s_waitcnt vmcnt(30)
	v_lshlrev_b32_e32 v65, 16, v99
	s_waitcnt vmcnt(28)
	v_lshlrev_b32_e32 v63, 16, v101
	v_lshlrev_b32_e32 v66, 16, v100
	s_waitcnt vmcnt(26)
	v_lshlrev_b32_e32 v61, 16, v103
	;; [unrolled: 3-line block ×7, first 2 shown]
	s_waitcnt vmcnt(16)
	v_lshlrev_b32_e32 v52, 16, v4
	s_waitcnt vmcnt(15)
	v_lshlrev_b32_e32 v51, 16, v5
	s_waitcnt vmcnt(14)
	v_lshlrev_b32_e32 v49, 16, v6
	s_waitcnt vmcnt(13)
	v_lshlrev_b32_e32 v50, 16, v7
	s_waitcnt vmcnt(12)
	v_lshlrev_b32_e32 v48, 16, v8
	s_waitcnt vmcnt(8)
	v_lshlrev_b32_e32 v15, 16, v12
	s_waitcnt vmcnt(7)
	v_lshlrev_b32_e32 v14, 16, v13
	v_lshlrev_b32_e32 v12, 16, v11
	v_lshlrev_b32_e32 v13, 16, v10
	v_lshlrev_b32_e32 v10, 16, v9
	s_waitcnt vmcnt(6)
	v_lshlrev_b32_e32 v11, 16, v96
	s_waitcnt vmcnt(2)
	v_lshlrev_b32_e32 v9, 16, v115
	v_lshlrev_b32_e32 v6, 16, v114
	;; [unrolled: 1-line block ×4, first 2 shown]
	s_waitcnt vmcnt(1)
	v_lshlrev_b32_e32 v8, 16, v68
	s_waitcnt vmcnt(0)
	v_lshlrev_b32_e32 v5, 16, v0
.LBB456_12:
	ds_read_b128 v[68:71], v3
	s_waitcnt vmcnt(15)
	v_lshlrev_b32_e32 v0, 16, v23
	ds_read_b128 v[72:75], v3 offset:16
	ds_read_b128 v[76:79], v3 offset:32
	;; [unrolled: 1-line block ×3, first 2 shown]
	s_waitcnt vmcnt(10)
	v_lshlrev_b32_e32 v1, 16, v19
	s_load_dwordx2 s[6:7], s[0:1], 0x38
	s_waitcnt lgkmcnt(0)
	v_fma_f32 v23, v68, v0, 0
	v_lshlrev_b32_e32 v0, 16, v22
	v_fmac_f32_e32 v23, v69, v0
	v_lshlrev_b32_e32 v0, 16, v21
	v_fmac_f32_e32 v23, v70, v0
	;; [unrolled: 2-line block ×3, first 2 shown]
	v_lshlrev_b32_e32 v0, 16, v18
	v_pk_mul_f32 v[0:1], v[72:73], v[0:1]
	s_andn2_b64 vcc, exec, s[4:5]
	v_add_f32_e32 v0, v23, v0
	v_add_f32_e32 v18, v0, v1
	s_waitcnt vmcnt(8)
	v_lshlrev_b32_e32 v1, 16, v17
	v_lshlrev_b32_e32 v0, 16, v16
	v_pk_mul_f32 v[0:1], v[74:75], v[0:1]
	s_nop 0
	v_add_f32_e32 v0, v18, v0
	v_add_f32_e32 v16, v0, v1
	s_waitcnt vmcnt(6)
	v_lshlrev_b32_e32 v1, 16, v31
	v_lshlrev_b32_e32 v0, 16, v30
	v_pk_mul_f32 v[0:1], v[76:77], v[0:1]
	s_nop 0
	;; [unrolled: 7-line block ×5, first 2 shown]
	v_add_f32_e32 v0, v16, v0
	v_add_f32_e32 v0, v0, v1
	s_cbranch_vccnz .LBB456_15
; %bb.13:
	ds_read_b128 v[16:19], v3 offset:64
	v_lshlrev_b32_e32 v1, 16, v39
	ds_read_b128 v[20:23], v3 offset:80
	ds_read_b128 v[24:27], v3 offset:96
	;; [unrolled: 1-line block ×3, first 2 shown]
	s_cmpk_lt_u32 s24, 0x2001
	s_waitcnt lgkmcnt(3)
	v_fmac_f32_e32 v0, v16, v1
	v_lshlrev_b32_e32 v1, 16, v38
	v_fmac_f32_e32 v0, v17, v1
	v_lshlrev_b32_e32 v1, 16, v37
	v_fmac_f32_e32 v0, v18, v1
	v_lshlrev_b32_e32 v1, 16, v36
	v_fmac_f32_e32 v0, v19, v1
	v_lshlrev_b32_e32 v1, 16, v35
	s_waitcnt lgkmcnt(2)
	v_fmac_f32_e32 v0, v20, v1
	v_lshlrev_b32_e32 v1, 16, v34
	v_fmac_f32_e32 v0, v21, v1
	v_lshlrev_b32_e32 v1, 16, v33
	v_fmac_f32_e32 v0, v22, v1
	v_lshlrev_b32_e32 v1, 16, v32
	v_fmac_f32_e32 v0, v23, v1
	v_lshlrev_b32_e32 v1, 16, v47
	;; [unrolled: 9-line block ×3, first 2 shown]
	s_waitcnt lgkmcnt(0)
	v_fmac_f32_e32 v0, v28, v1
	v_lshlrev_b32_e32 v1, 16, v42
	v_fmac_f32_e32 v0, v29, v1
	v_lshlrev_b32_e32 v1, 16, v41
	;; [unrolled: 2-line block ×3, first 2 shown]
	v_fmac_f32_e32 v0, v31, v1
	s_cbranch_scc1 .LBB456_15
; %bb.14:
	v_mov_b32_e32 v32, 0
	ds_read_b128 v[16:19], v32 offset:128
	ds_read_b128 v[20:23], v32 offset:144
	;; [unrolled: 1-line block ×4, first 2 shown]
	s_waitcnt lgkmcnt(3)
	v_fmac_f32_e32 v0, v16, v67
	v_fmac_f32_e32 v0, v17, v65
	v_fmac_f32_e32 v0, v18, v66
	v_fmac_f32_e32 v0, v19, v63
	s_waitcnt lgkmcnt(2)
	v_fmac_f32_e32 v0, v20, v64
	v_fmac_f32_e32 v0, v21, v61
	v_fmac_f32_e32 v0, v22, v62
	v_fmac_f32_e32 v0, v23, v59
	s_waitcnt lgkmcnt(1)
	v_fmac_f32_e32 v0, v24, v60
	v_fmac_f32_e32 v0, v25, v57
	v_fmac_f32_e32 v0, v26, v58
	v_fmac_f32_e32 v0, v27, v55
	ds_read_b128 v[16:19], v32 offset:192
	ds_read_b128 v[20:23], v32 offset:208
	s_waitcnt lgkmcnt(2)
	v_fmac_f32_e32 v0, v28, v56
	v_fmac_f32_e32 v0, v29, v53
	;; [unrolled: 1-line block ×4, first 2 shown]
	s_waitcnt lgkmcnt(1)
	v_fmac_f32_e32 v0, v16, v51
	v_fmac_f32_e32 v0, v17, v49
	;; [unrolled: 1-line block ×4, first 2 shown]
	s_waitcnt lgkmcnt(0)
	v_pk_mul_f32 v[14:15], v[20:21], v[14:15]
	s_nop 0
	v_add_f32_e32 v0, v0, v14
	v_add_f32_e32 v18, v0, v15
	ds_read_b128 v[14:17], v32 offset:224
	v_pk_mul_f32 v[0:1], v[22:23], v[12:13]
	s_nop 0
	v_add_f32_e32 v0, v18, v0
	ds_read_b128 v[18:21], v32 offset:240
	v_add_f32_e32 v12, v0, v1
	s_waitcnt lgkmcnt(1)
	v_pk_mul_f32 v[0:1], v[14:15], v[10:11]
	s_nop 0
	v_add_f32_e32 v0, v12, v0
	v_add_f32_e32 v10, v0, v1
	v_pk_mul_f32 v[0:1], v[16:17], v[8:9]
	s_nop 0
	v_add_f32_e32 v0, v10, v0
	v_add_f32_e32 v8, v0, v1
	s_waitcnt lgkmcnt(0)
	v_pk_mul_f32 v[0:1], v[18:19], v[6:7]
	s_nop 0
	v_add_f32_e32 v0, v8, v0
	v_add_f32_e32 v6, v0, v1
	v_pk_mul_f32 v[0:1], v[20:21], v[4:5]
	s_nop 0
	v_add_f32_e32 v0, v6, v0
	v_add_f32_e32 v0, v0, v1
.LBB456_15:
	ds_read_b32 v1, v3 offset:256
	s_cmp_eq_u64 s[6:7], 0
	s_cbranch_scc1 .LBB456_24
; %bb.16:
	s_load_dword s6, s[6:7], 0x0
	s_waitcnt lgkmcnt(0)
	v_div_scale_f32 v3, s[4:5], s6, s6, 1.0
	v_rcp_f32_e32 v4, v3
	v_div_scale_f32 v5, vcc, 1.0, s6, 1.0
	v_fma_f32 v6, -v3, v4, 1.0
	v_fmac_f32_e32 v4, v6, v4
	v_mul_f32_e32 v6, v5, v4
	v_fma_f32 v7, -v3, v6, v5
	v_fmac_f32_e32 v6, v7, v4
	v_fma_f32 v3, -v3, v6, v5
	v_div_fmas_f32 v3, v3, v4, v6
	v_div_fixup_f32 v3, v3, s6, 1.0
	s_andn2_b64 vcc, exec, s[16:17]
	s_cbranch_vccnz .LBB456_18
.LBB456_17:
	s_add_u32 s4, s14, s18
	s_addc_u32 s5, s15, s19
	s_load_dword s12, s[4:5], 0x0
	s_mov_b32 s13, 0
.LBB456_18:
	s_waitcnt lgkmcnt(0)
	v_add_f32_e32 v1, 0x358637bd, v1
	v_div_scale_f32 v4, s[4:5], v1, v1, 1.0
	v_rcp_f32_e32 v5, v4
	s_load_dwordx2 s[0:1], s[0:1], 0x0
	s_mov_b32 s4, 0x7f800000
	v_fma_f32 v6, -v4, v5, 1.0
	v_fmac_f32_e32 v5, v6, v5
	v_div_scale_f32 v6, vcc, 1.0, v1, 1.0
	v_mul_f32_e32 v7, v6, v5
	v_fma_f32 v8, -v4, v7, v6
	v_fmac_f32_e32 v7, v8, v5
	v_fma_f32 v4, -v4, v7, v6
	v_div_fmas_f32 v4, v4, v5, v7
	v_div_fixup_f32 v1, v4, v1, 1.0
	v_mul_f32_e32 v0, v0, v1
	v_mul_f32_e32 v1, v0, v3
	v_and_b32_e32 v0, 0x7f800000, v1
	v_cmp_ne_u32_e32 vcc, s4, v0
                                        ; implicit-def: $vgpr0
	s_and_saveexec_b64 s[4:5], vcc
	s_xor_b64 s[4:5], exec, s[4:5]
; %bb.19:
	v_bfe_u32 v0, v1, 16, 1
	s_movk_i32 s6, 0x7fff
	v_add3_u32 v0, v1, v0, s6
                                        ; implicit-def: $vgpr1
; %bb.20:
	s_andn2_saveexec_b64 s[4:5], s[4:5]
; %bb.21:
	v_mov_b32_e32 v0, 0
	v_or_b32_e32 v3, 0x10000, v1
	v_cmp_eq_u32_sdwa vcc, v1, v0 src0_sel:WORD_0 src1_sel:DWORD
	s_nop 1
	v_cndmask_b32_e32 v0, v3, v1, vcc
; %bb.22:
	s_or_b64 exec, exec, s[4:5]
	s_mul_i32 s4, s3, s13
	s_mul_hi_u32 s5, s3, s12
	s_add_i32 s5, s5, s4
	s_mul_i32 s4, s3, s12
	s_lshl_b64 s[4:5], s[4:5], 7
	s_waitcnt lgkmcnt(0)
	s_add_u32 s4, s0, s4
	s_mov_b32 s3, 0
	s_addc_u32 s5, s1, s5
	s_lshl_b64 s[0:1], s[2:3], 7
	s_add_u32 s0, s4, s0
	s_addc_u32 s1, s5, s1
	global_store_short_d16_hi v2, v0, s[0:1]
	s_endpgm
.LBB456_23:
	s_mov_b64 s[6:7], 0
	s_branch .LBB456_2
.LBB456_24:
	v_mov_b32_e32 v3, 1.0
	s_andn2_b64 vcc, exec, s[16:17]
	s_cbranch_vccz .LBB456_17
	s_branch .LBB456_18
	.section	.rodata,"a",@progbits
	.p2align	6, 0x0
	.amdhsa_kernel _Z35paged_attention_ll4mi_reduce_kernelI14__hip_bfloat16S0_Li64ELi64ELi256ELi1EEvPT0_PKfS4_PKT_PKiS9_iS4_
		.amdhsa_group_segment_fixed_size 260
		.amdhsa_private_segment_fixed_size 0
		.amdhsa_kernarg_size 320
		.amdhsa_user_sgpr_count 2
		.amdhsa_user_sgpr_dispatch_ptr 0
		.amdhsa_user_sgpr_queue_ptr 0
		.amdhsa_user_sgpr_kernarg_segment_ptr 1
		.amdhsa_user_sgpr_dispatch_id 0
		.amdhsa_user_sgpr_kernarg_preload_length 0
		.amdhsa_user_sgpr_kernarg_preload_offset 0
		.amdhsa_user_sgpr_private_segment_size 0
		.amdhsa_uses_dynamic_stack 0
		.amdhsa_enable_private_segment 0
		.amdhsa_system_sgpr_workgroup_id_x 1
		.amdhsa_system_sgpr_workgroup_id_y 1
		.amdhsa_system_sgpr_workgroup_id_z 0
		.amdhsa_system_sgpr_workgroup_info 0
		.amdhsa_system_vgpr_workitem_id 0
		.amdhsa_next_free_vgpr 116
		.amdhsa_next_free_sgpr 30
		.amdhsa_accum_offset 116
		.amdhsa_reserve_vcc 1
		.amdhsa_float_round_mode_32 0
		.amdhsa_float_round_mode_16_64 0
		.amdhsa_float_denorm_mode_32 3
		.amdhsa_float_denorm_mode_16_64 3
		.amdhsa_dx10_clamp 1
		.amdhsa_ieee_mode 1
		.amdhsa_fp16_overflow 0
		.amdhsa_tg_split 0
		.amdhsa_exception_fp_ieee_invalid_op 0
		.amdhsa_exception_fp_denorm_src 0
		.amdhsa_exception_fp_ieee_div_zero 0
		.amdhsa_exception_fp_ieee_overflow 0
		.amdhsa_exception_fp_ieee_underflow 0
		.amdhsa_exception_fp_ieee_inexact 0
		.amdhsa_exception_int_div_zero 0
	.end_amdhsa_kernel
	.section	.text._Z35paged_attention_ll4mi_reduce_kernelI14__hip_bfloat16S0_Li64ELi64ELi256ELi1EEvPT0_PKfS4_PKT_PKiS9_iS4_,"axG",@progbits,_Z35paged_attention_ll4mi_reduce_kernelI14__hip_bfloat16S0_Li64ELi64ELi256ELi1EEvPT0_PKfS4_PKT_PKiS9_iS4_,comdat
.Lfunc_end456:
	.size	_Z35paged_attention_ll4mi_reduce_kernelI14__hip_bfloat16S0_Li64ELi64ELi256ELi1EEvPT0_PKfS4_PKT_PKiS9_iS4_, .Lfunc_end456-_Z35paged_attention_ll4mi_reduce_kernelI14__hip_bfloat16S0_Li64ELi64ELi256ELi1EEvPT0_PKfS4_PKT_PKiS9_iS4_
                                        ; -- End function
	.section	.AMDGPU.csdata,"",@progbits
; Kernel info:
; codeLenInByte = 4728
; NumSgprs: 36
; NumVgprs: 116
; NumAgprs: 0
; TotalNumVgprs: 116
; ScratchSize: 0
; MemoryBound: 0
; FloatMode: 240
; IeeeMode: 1
; LDSByteSize: 260 bytes/workgroup (compile time only)
; SGPRBlocks: 4
; VGPRBlocks: 14
; NumSGPRsForWavesPerEU: 36
; NumVGPRsForWavesPerEU: 116
; AccumOffset: 116
; Occupancy: 4
; WaveLimiterHint : 1
; COMPUTE_PGM_RSRC2:SCRATCH_EN: 0
; COMPUTE_PGM_RSRC2:USER_SGPR: 2
; COMPUTE_PGM_RSRC2:TRAP_HANDLER: 0
; COMPUTE_PGM_RSRC2:TGID_X_EN: 1
; COMPUTE_PGM_RSRC2:TGID_Y_EN: 1
; COMPUTE_PGM_RSRC2:TGID_Z_EN: 0
; COMPUTE_PGM_RSRC2:TIDIG_COMP_CNT: 0
; COMPUTE_PGM_RSRC3_GFX90A:ACCUM_OFFSET: 28
; COMPUTE_PGM_RSRC3_GFX90A:TG_SPLIT: 0
	.section	.text._Z35paged_attention_ll4mi_reduce_kernelI14__hip_bfloat16S0_Li64ELi64ELi256ELi2EEvPT0_PKfS4_PKT_PKiS9_iS4_,"axG",@progbits,_Z35paged_attention_ll4mi_reduce_kernelI14__hip_bfloat16S0_Li64ELi64ELi256ELi2EEvPT0_PKfS4_PKT_PKiS9_iS4_,comdat
	.protected	_Z35paged_attention_ll4mi_reduce_kernelI14__hip_bfloat16S0_Li64ELi64ELi256ELi2EEvPT0_PKfS4_PKT_PKiS9_iS4_ ; -- Begin function _Z35paged_attention_ll4mi_reduce_kernelI14__hip_bfloat16S0_Li64ELi64ELi256ELi2EEvPT0_PKfS4_PKT_PKiS9_iS4_
	.globl	_Z35paged_attention_ll4mi_reduce_kernelI14__hip_bfloat16S0_Li64ELi64ELi256ELi2EEvPT0_PKfS4_PKT_PKiS9_iS4_
	.p2align	8
	.type	_Z35paged_attention_ll4mi_reduce_kernelI14__hip_bfloat16S0_Li64ELi64ELi256ELi2EEvPT0_PKfS4_PKT_PKiS9_iS4_,@function
_Z35paged_attention_ll4mi_reduce_kernelI14__hip_bfloat16S0_Li64ELi64ELi256ELi2EEvPT0_PKfS4_PKT_PKiS9_iS4_: ; @_Z35paged_attention_ll4mi_reduce_kernelI14__hip_bfloat16S0_Li64ELi64ELi256ELi2EEvPT0_PKfS4_PKT_PKiS9_iS4_
; %bb.0:
	s_load_dwordx2 s[18:19], s[0:1], 0x28
	s_mov_b32 s16, s3
	s_mov_b64 s[4:5], 0
	s_waitcnt lgkmcnt(0)
	s_cmp_lg_u64 s[18:19], 0
	s_cselect_b64 s[20:21], -1, 0
	s_and_b64 vcc, exec, s[20:21]
	s_cbranch_vccz .LBB457_25
; %bb.1:
	s_add_i32 s6, s16, 1
	s_mov_b32 s7, 0
	s_lshl_b64 s[8:9], s[6:7], 2
	s_add_u32 s8, s18, s8
	s_mov_b32 s17, s7
	s_addc_u32 s9, s19, s9
	s_lshl_b64 s[6:7], s[16:17], 2
	s_add_u32 s6, s18, s6
	s_addc_u32 s7, s19, s7
	s_load_dword s3, s[8:9], 0x0
	s_load_dword s10, s[6:7], 0x0
	s_waitcnt lgkmcnt(0)
	s_sub_i32 s3, s3, s10
	s_cmp_eq_u32 s3, 1
	s_cselect_b64 s[6:7], -1, 0
	s_andn2_b64 vcc, exec, s[4:5]
	s_cbranch_vccnz .LBB457_3
.LBB457_2:
	s_mov_b32 s17, 0
	s_mov_b64 s[6:7], -1
.LBB457_3:
	s_andn2_b64 vcc, exec, s[6:7]
	s_cbranch_vccz .LBB457_5
; %bb.4:
	s_endpgm
.LBB457_5:
	s_load_dwordx4 s[8:11], s[0:1], 0x18
	s_load_dword s12, s[0:1], 0x30
	s_lshl_b64 s[22:23], s[16:17], 2
	v_cmp_lt_u32_e32 vcc, 63, v0
	s_waitcnt lgkmcnt(0)
	s_add_u32 s4, s10, s22
	s_addc_u32 s5, s11, s23
	s_load_dword s28, s[4:5], 0x0
	s_load_dword s3, s[0:1], 0x40
	s_mul_i32 s10, s2, s12
	s_mul_i32 s6, s16, s12
	s_waitcnt lgkmcnt(0)
	s_add_i32 s7, s28, 0xff
	s_ashr_i32 s4, s7, 31
	s_lshr_b32 s4, s4, 24
	s_add_i32 s7, s7, s4
	s_and_saveexec_b64 s[4:5], vcc
	s_xor_b64 s[4:5], exec, s[4:5]
	s_or_saveexec_b64 s[24:25], s[4:5]
	s_ashr_i32 s29, s7, 8
	v_mov_b32_e32 v1, s10
	s_mul_i32 s26, s6, s3
	s_xor_b64 exec, exec, s[24:25]
	s_cbranch_execz .LBB457_9
; %bb.6:
	s_load_dwordx4 s[12:15], s[0:1], 0x8
	s_mov_b32 s27, 0
	s_add_i32 s4, s29, -1
	v_or_b32_e32 v3, 64, v0
	s_lshl_b64 s[30:31], s[26:27], 2
	s_mov_b32 s11, s27
	v_mov_b32_e32 v1, s4
	v_cmp_gt_u32_e64 s[4:5], s29, v3
	s_waitcnt lgkmcnt(0)
	s_add_u32 s6, s14, s30
	v_cmp_gt_u32_e32 vcc, s29, v0
	v_cndmask_b32_e64 v4, v1, v3, s[4:5]
	s_addc_u32 s7, s15, s31
	s_lshl_b64 s[14:15], s[10:11], 2
	v_cndmask_b32_e32 v2, v1, v0, vcc
	s_add_u32 s6, s6, s14
	v_ashrrev_i32_e32 v5, 31, v4
	s_addc_u32 s7, s7, s15
	v_ashrrev_i32_e32 v3, 31, v2
	v_lshlrev_b64 v[4:5], 2, v[4:5]
	v_lshlrev_b64 v[2:3], 2, v[2:3]
	v_lshl_add_u64 v[8:9], s[6:7], 0, v[4:5]
	v_lshl_add_u64 v[6:7], s[6:7], 0, v[2:3]
	global_load_dword v1, v[8:9], off
	global_load_dword v10, v[6:7], off
	v_mbcnt_lo_u32_b32 v6, -1, 0
	v_mbcnt_hi_u32_b32 v6, -1, v6
	v_and_b32_e32 v7, 64, v6
	v_xor_b32_e32 v8, 32, v6
	v_add_u32_e32 v7, 64, v7
	v_cmp_lt_i32_e64 s[6:7], v8, v7
	v_xor_b32_e32 v12, 4, v6
	v_xor_b32_e32 v13, 2, v6
	v_cndmask_b32_e64 v8, v6, v8, s[6:7]
	s_add_u32 s6, s12, s30
	s_addc_u32 s7, s13, s31
	s_add_u32 s6, s6, s14
	s_addc_u32 s7, s7, s15
	v_lshl_add_u64 v[2:3], s[6:7], 0, v[2:3]
	v_lshl_add_u64 v[4:5], s[6:7], 0, v[4:5]
	global_load_dword v9, v[2:3], off
	global_load_dword v11, v[4:5], off
	v_lshlrev_b32_e32 v2, 2, v8
	v_xor_b32_e32 v5, 16, v6
	v_cmp_lt_i32_e64 s[6:7], v5, v7
	v_xor_b32_e32 v8, 8, v6
	v_xor_b32_e32 v14, 1, v6
	v_cndmask_b32_e64 v5, v6, v5, s[6:7]
	v_lshlrev_b32_e32 v5, 2, v5
	v_cmp_lt_i32_e64 s[6:7], v8, v7
	s_mov_b32 s11, 0xc2ce8ed0
	s_mov_b32 s12, 0x42b17218
	v_cndmask_b32_e64 v8, v6, v8, s[6:7]
	v_lshlrev_b32_e32 v8, 2, v8
	v_cmp_lt_i32_e64 s[6:7], v12, v7
	s_waitcnt vmcnt(3)
	v_max_f32_e32 v3, v1, v1
	s_waitcnt vmcnt(2)
	v_max_f32_e32 v4, v10, v10
	v_max_f32_e32 v3, v4, v3
	ds_bpermute_b32 v4, v2, v3
	v_cndmask_b32_e64 v12, v6, v12, s[6:7]
	v_lshlrev_b32_e32 v12, 2, v12
	v_cmp_lt_i32_e64 s[6:7], v13, v7
	s_waitcnt lgkmcnt(0)
	v_max_f32_e32 v4, v4, v4
	v_max_f32_e32 v3, v3, v4
	ds_bpermute_b32 v4, v5, v3
	v_cndmask_b32_e64 v13, v6, v13, s[6:7]
	v_lshlrev_b32_e32 v13, 2, v13
	v_cmp_lt_i32_e64 s[6:7], v14, v7
	s_waitcnt lgkmcnt(0)
	v_max_f32_e32 v4, v4, v4
	v_max_f32_e32 v3, v3, v4
	ds_bpermute_b32 v4, v8, v3
	v_cndmask_b32_e64 v6, v6, v14, s[6:7]
	v_lshlrev_b32_e32 v6, 2, v6
	s_mov_b32 s6, 0x3fb8aa3b
	s_waitcnt lgkmcnt(0)
	v_max_f32_e32 v4, v4, v4
	v_max_f32_e32 v3, v3, v4
	ds_bpermute_b32 v4, v12, v3
	s_waitcnt lgkmcnt(0)
	v_max_f32_e32 v4, v4, v4
	v_max_f32_e32 v3, v3, v4
	ds_bpermute_b32 v4, v13, v3
	;; [unrolled: 4-line block ×3, first 2 shown]
	s_waitcnt lgkmcnt(0)
	v_max_f32_e32 v4, v4, v4
	v_max_f32_e32 v3, v3, v4
	v_sub_f32_e32 v4, v10, v3
	v_sub_f32_e32 v1, v1, v3
	v_mul_f32_e32 v3, 0x3fb8aa3b, v4
	v_mul_f32_e32 v7, 0x3fb8aa3b, v1
	v_fma_f32 v10, v4, s6, -v3
	v_rndne_f32_e32 v14, v3
	v_fma_f32 v15, v1, s6, -v7
	v_rndne_f32_e32 v16, v7
	v_fmac_f32_e32 v10, 0x32a5705f, v4
	v_sub_f32_e32 v3, v3, v14
	v_fmac_f32_e32 v15, 0x32a5705f, v1
	v_sub_f32_e32 v7, v7, v16
	v_add_f32_e32 v3, v3, v10
	v_cvt_i32_f32_e32 v14, v14
	v_add_f32_e32 v7, v7, v15
	v_exp_f32_e32 v3, v3
	v_cvt_i32_f32_e32 v16, v16
	v_exp_f32_e32 v7, v7
	v_cmp_ngt_f32_e64 s[6:7], s11, v4
	v_ldexp_f32 v3, v3, v14
	v_mov_b32_e32 v10, 0x7f800000
	v_ldexp_f32 v7, v7, v16
	v_cndmask_b32_e64 v3, 0, v3, s[6:7]
	v_cmp_ngt_f32_e64 s[6:7], s11, v1
	v_lshlrev_b32_e32 v15, 2, v0
	s_nop 0
	v_cndmask_b32_e64 v7, 0, v7, s[6:7]
	v_cmp_nlt_f32_e64 s[6:7], s12, v4
	s_nop 1
	v_cndmask_b32_e64 v3, v10, v3, s[6:7]
	v_cmp_nlt_f32_e64 s[6:7], s12, v1
	v_cndmask_b32_e32 v3, 0, v3, vcc
	s_waitcnt vmcnt(1)
	v_mul_f32_e32 v3, v9, v3
	v_cndmask_b32_e64 v1, v10, v7, s[6:7]
	v_cndmask_b32_e64 v1, 0, v1, s[4:5]
	s_waitcnt vmcnt(0)
	v_mul_f32_e32 v4, v11, v1
	ds_write2st64_b32 v15, v3, v4 offset1:1
	v_fmac_f32_e32 v3, v11, v1
	ds_bpermute_b32 v1, v2, v3
	v_cmp_eq_u32_e32 vcc, 0, v0
	s_waitcnt lgkmcnt(0)
	v_add_f32_e32 v1, v3, v1
	ds_bpermute_b32 v2, v5, v1
	s_waitcnt lgkmcnt(0)
	v_add_f32_e32 v1, v1, v2
	ds_bpermute_b32 v2, v8, v1
	s_waitcnt lgkmcnt(0)
	v_add_f32_e32 v1, v1, v2
	ds_bpermute_b32 v2, v12, v1
	s_waitcnt lgkmcnt(0)
	v_add_f32_e32 v1, v1, v2
	ds_bpermute_b32 v2, v13, v1
	s_waitcnt lgkmcnt(0)
	v_add_f32_e32 v1, v1, v2
	ds_bpermute_b32 v2, v6, v1
	s_and_saveexec_b64 s[4:5], vcc
	s_cbranch_execz .LBB457_8
; %bb.7:
	s_waitcnt lgkmcnt(0)
	v_add_f32_e32 v1, v1, v2
	v_mov_b32_e32 v2, 0
	ds_write_b32 v2, v1 offset:512
.LBB457_8:
	s_or_b64 exec, exec, s[4:5]
	v_mov_b32_e32 v1, s10
.LBB457_9:
	s_or_b64 exec, exec, s[24:25]
	s_lshl_b32 s4, s26, 6
	s_mov_b32 s5, 0
	s_lshl_b64 s[4:5], s[4:5], 1
	s_add_u32 s4, s8, s4
	s_waitcnt lgkmcnt(0)
	v_lshlrev_b32_e32 v2, 6, v1
	v_mov_b32_e32 v3, 0
	s_addc_u32 s5, s9, s5
	v_lshl_add_u64 v[4:5], v[2:3], 1, s[4:5]
	s_lshl_b32 s4, s29, 6
	s_sub_i32 s6, s4, 64
	s_cmp_lt_i32 s28, 1
	s_cselect_b32 s4, s6, 0
	v_lshlrev_b32_e32 v2, 1, v0
	s_ashr_i32 s5, s4, 31
	v_lshl_add_u64 v[0:1], v[4:5], 0, v[2:3]
	s_cmpk_lt_i32 s28, 0x101
	v_lshl_add_u64 v[4:5], s[4:5], 1, v[0:1]
	s_cselect_b32 s4, s6, 64
	s_ashr_i32 s5, s4, 31
	s_cmpk_lt_i32 s28, 0x201
	v_lshl_add_u64 v[6:7], s[4:5], 1, v[0:1]
	s_cselect_b32 s4, s6, 0x80
	s_ashr_i32 s5, s4, 31
	;; [unrolled: 4-line block ×8, first 2 shown]
	s_cmpk_lt_i32 s28, 0x901
	global_load_ushort v23, v[4:5], off
	global_load_ushort v22, v[6:7], off
	;; [unrolled: 1-line block ×8, first 2 shown]
	v_lshl_add_u64 v[4:5], s[4:5], 1, v[0:1]
	s_cselect_b32 s4, s6, 0x240
	s_ashr_i32 s5, s4, 31
	s_cmpk_lt_i32 s28, 0xa01
	v_lshl_add_u64 v[6:7], s[4:5], 1, v[0:1]
	s_cselect_b32 s4, s6, 0x280
	s_ashr_i32 s5, s4, 31
	s_cmpk_lt_i32 s28, 0xb01
	;; [unrolled: 4-line block ×6, first 2 shown]
	v_lshl_add_u64 v[32:33], s[4:5], 1, v[0:1]
	s_cselect_b32 s4, s6, 0x3c0
	s_ashr_i32 s5, s4, 31
	v_lshl_add_u64 v[34:35], s[4:5], 1, v[0:1]
	global_load_ushort v30, v[4:5], off
	global_load_ushort v31, v[6:7], off
	;; [unrolled: 1-line block ×8, first 2 shown]
	s_cmpk_gt_i32 s28, 0x1000
	s_cselect_b64 s[4:5], -1, 0
	s_cmpk_lt_i32 s28, 0x1001
	v_mov_b32_e32 v40, 0
	v_mov_b32_e32 v41, 0
	;; [unrolled: 1-line block ×48, first 2 shown]
	s_waitcnt lgkmcnt(0)
	; wave barrier
	s_cbranch_scc1 .LBB457_12
; %bb.10:
	s_cmpk_lt_u32 s28, 0x1101
	s_cselect_b32 s8, s6, 0x440
	s_ashr_i32 s9, s8, 31
	s_cmpk_lt_u32 s28, 0x1201
	v_lshl_add_u64 v[4:5], s[8:9], 1, v[0:1]
	s_cselect_b32 s8, s6, 0x480
	s_ashr_i32 s9, s8, 31
	s_cmpk_lt_u32 s28, 0x1301
	v_lshl_add_u64 v[6:7], s[8:9], 1, v[0:1]
	;; [unrolled: 4-line block ×7, first 2 shown]
	s_cselect_b32 s8, s6, 0x600
	s_ashr_i32 s9, s8, 31
	s_cmpk_lt_u32 s28, 0x1901
	global_load_ushort v39, v[0:1], off offset:2048
	global_load_ushort v38, v[4:5], off
	global_load_ushort v37, v[6:7], off
	;; [unrolled: 1-line block ×7, first 2 shown]
	v_lshl_add_u64 v[4:5], s[8:9], 1, v[0:1]
	s_cselect_b32 s8, s6, 0x640
	s_ashr_i32 s9, s8, 31
	s_cmpk_lt_u32 s28, 0x1a01
	v_lshl_add_u64 v[6:7], s[8:9], 1, v[0:1]
	s_cselect_b32 s8, s6, 0x680
	s_ashr_i32 s9, s8, 31
	s_cmpk_lt_u32 s28, 0x1b01
	;; [unrolled: 4-line block ×6, first 2 shown]
	v_lshl_add_u64 v[48:49], s[8:9], 1, v[0:1]
	s_cselect_b32 s8, s6, 0x7c0
	s_ashr_i32 s9, s8, 31
	v_lshl_add_u64 v[50:51], s[8:9], 1, v[0:1]
	global_load_ushort v47, v[4:5], off
	global_load_ushort v46, v[6:7], off
	;; [unrolled: 1-line block ×8, first 2 shown]
	s_cmpk_lt_u32 s28, 0x2001
	v_mov_b32_e32 v67, 0
	v_mov_b32_e32 v65, 0
	;; [unrolled: 1-line block ×32, first 2 shown]
	s_cbranch_scc1 .LBB457_12
; %bb.11:
	s_cmpk_lt_u32 s28, 0x2101
	s_cselect_b32 s8, s6, 0x840
	s_ashr_i32 s9, s8, 31
	s_cmpk_lt_u32 s28, 0x2201
	v_lshl_add_u64 v[4:5], s[8:9], 1, v[0:1]
	s_cselect_b32 s8, s6, 0x880
	s_ashr_i32 s9, s8, 31
	s_cmpk_lt_u32 s28, 0x2301
	v_lshl_add_u64 v[6:7], s[8:9], 1, v[0:1]
	;; [unrolled: 4-line block ×29, first 2 shown]
	s_cselect_b32 s8, s6, 0xf80
	s_ashr_i32 s9, s8, 31
	s_movk_i32 s7, 0x1000
	s_cmpk_lt_u32 s28, 0x3f01
	v_lshl_add_u64 v[94:95], s[8:9], 1, v[0:1]
	v_add_co_u32_e32 v96, vcc, s7, v0
	s_cselect_b32 s8, s6, 0xfc0
	s_nop 0
	v_addc_co_u32_e32 v97, vcc, 0, v1, vcc
	s_ashr_i32 s9, s8, 31
	global_load_ushort v98, v[96:97], off
	global_load_ushort v99, v[4:5], off
	;; [unrolled: 1-line block ×15, first 2 shown]
                                        ; kill: killed $vgpr56_vgpr57
                                        ; kill: killed $vgpr8_vgpr9
                                        ; kill: killed $vgpr62_vgpr63
                                        ; kill: killed $vgpr14_vgpr15
                                        ; kill: killed $vgpr96 killed $vgpr97
                                        ; kill: killed $vgpr52_vgpr53
                                        ; kill: killed $vgpr4_vgpr5
                                        ; kill: killed $vgpr58_vgpr59
                                        ; kill: killed $vgpr10_vgpr11
                                        ; kill: killed $vgpr48_vgpr49
                                        ; kill: killed $vgpr54_vgpr55
                                        ; kill: killed $vgpr6_vgpr7
                                        ; kill: killed $vgpr60_vgpr61
                                        ; kill: killed $vgpr12_vgpr13
                                        ; kill: killed $vgpr50_vgpr51
	global_load_ushort v6, v[64:65], off
	global_load_ushort v7, v[66:67], off
	global_load_ushort v8, v[68:69], off
	global_load_ushort v9, v[70:71], off
	global_load_ushort v10, v[72:73], off
	global_load_ushort v11, v[82:83], off
	global_load_ushort v13, v[80:81], off
	global_load_ushort v12, v[78:79], off
	global_load_ushort v15, v[76:77], off
	global_load_ushort v14, v[74:75], off
	global_load_ushort v96, v[84:85], off
	global_load_ushort v97, v[94:95], off
	global_load_ushort v113, v[92:93], off
	global_load_ushort v114, v[90:91], off
	global_load_ushort v115, v[88:89], off
                                        ; kill: killed $vgpr88_vgpr89
                                        ; kill: killed $vgpr72_vgpr73
                                        ; kill: killed $vgpr94_vgpr95
                                        ; kill: killed $vgpr78_vgpr79
                                        ; kill: killed $vgpr84_vgpr85
                                        ; kill: killed $vgpr68_vgpr69
                                        ; kill: killed $vgpr90_vgpr91
                                        ; kill: killed $vgpr74_vgpr75
                                        ; kill: killed $vgpr80_vgpr81
                                        ; kill: killed $vgpr64_vgpr65
                                        ; kill: killed $vgpr70_vgpr71
                                        ; kill: killed $vgpr92_vgpr93
                                        ; kill: killed $vgpr76_vgpr77
                                        ; kill: killed $vgpr82_vgpr83
                                        ; kill: killed $vgpr66_vgpr67
	global_load_ushort v68, v[86:87], off
	v_lshl_add_u64 v[4:5], s[8:9], 1, v[0:1]
	global_load_ushort v5, v[4:5], off
	s_waitcnt vmcnt(31)
	v_lshlrev_b32_e32 v67, 16, v98
	s_waitcnt vmcnt(30)
	v_lshlrev_b32_e32 v65, 16, v99
	;; [unrolled: 2-line block ×32, first 2 shown]
.LBB457_12:
	ds_read_b128 v[68:71], v3
	s_waitcnt vmcnt(15)
	v_lshlrev_b32_e32 v23, 16, v23
	ds_read_b128 v[72:75], v3 offset:16
	ds_read_b128 v[76:79], v3 offset:32
	;; [unrolled: 1-line block ×3, first 2 shown]
	s_waitcnt vmcnt(14)
	v_lshlrev_b32_e32 v22, 16, v22
	s_waitcnt vmcnt(13)
	v_lshlrev_b32_e32 v21, 16, v21
	s_waitcnt lgkmcnt(3)
	v_fma_f32 v23, v68, v23, 0
	v_fmac_f32_e32 v23, v69, v22
	v_fmac_f32_e32 v23, v70, v21
	s_waitcnt vmcnt(12)
	v_lshlrev_b32_e32 v20, 16, v20
	s_waitcnt vmcnt(10)
	v_lshlrev_b32_e32 v19, 16, v19
	v_lshlrev_b32_e32 v18, 16, v18
	v_fmac_f32_e32 v23, v71, v20
	s_waitcnt lgkmcnt(2)
	v_pk_mul_f32 v[18:19], v[72:73], v[18:19]
	s_waitcnt vmcnt(8)
	v_lshlrev_b32_e32 v17, 16, v17
	v_add_f32_e32 v18, v23, v18
	v_lshlrev_b32_e32 v16, 16, v16
	v_add_f32_e32 v18, v18, v19
	v_pk_mul_f32 v[16:17], v[74:75], v[16:17]
	s_andn2_b64 vcc, exec, s[4:5]
	v_add_f32_e32 v16, v18, v16
	v_add_f32_e32 v18, v16, v17
	s_waitcnt vmcnt(6)
	v_lshlrev_b32_e32 v17, 16, v31
	v_lshlrev_b32_e32 v16, 16, v30
	s_waitcnt lgkmcnt(1)
	v_pk_mul_f32 v[16:17], v[76:77], v[16:17]
	s_nop 0
	v_add_f32_e32 v16, v18, v16
	v_add_f32_e32 v18, v16, v17
	s_waitcnt vmcnt(4)
	v_lshlrev_b32_e32 v17, 16, v29
	v_lshlrev_b32_e32 v16, 16, v28
	v_pk_mul_f32 v[16:17], v[78:79], v[16:17]
	s_nop 0
	v_add_f32_e32 v16, v18, v16
	v_add_f32_e32 v18, v16, v17
	s_waitcnt vmcnt(2)
	v_lshlrev_b32_e32 v17, 16, v27
	v_lshlrev_b32_e32 v16, 16, v26
	s_waitcnt lgkmcnt(0)
	v_pk_mul_f32 v[16:17], v[80:81], v[16:17]
	s_nop 0
	v_add_f32_e32 v16, v18, v16
	v_add_f32_e32 v18, v16, v17
	s_waitcnt vmcnt(0)
	v_lshlrev_b32_e32 v17, 16, v25
	v_lshlrev_b32_e32 v16, 16, v24
	v_pk_mul_f32 v[16:17], v[82:83], v[16:17]
	s_nop 0
	v_add_f32_e32 v16, v18, v16
	v_add_f32_e32 v108, v16, v17
	s_cbranch_vccnz .LBB457_15
; %bb.13:
	ds_read_b128 v[16:19], v3 offset:64
	v_lshlrev_b32_e32 v39, 16, v39
	ds_read_b128 v[20:23], v3 offset:80
	ds_read_b128 v[24:27], v3 offset:96
	;; [unrolled: 1-line block ×3, first 2 shown]
	v_lshlrev_b32_e32 v3, 16, v38
	s_cmpk_lt_u32 s28, 0x2001
	s_waitcnt lgkmcnt(3)
	v_fmac_f32_e32 v108, v16, v39
	v_fmac_f32_e32 v108, v17, v3
	v_lshlrev_b32_e32 v3, 16, v37
	v_fmac_f32_e32 v108, v18, v3
	v_lshlrev_b32_e32 v3, 16, v36
	v_fmac_f32_e32 v108, v19, v3
	v_lshlrev_b32_e32 v3, 16, v35
	s_waitcnt lgkmcnt(2)
	v_fmac_f32_e32 v108, v20, v3
	v_lshlrev_b32_e32 v3, 16, v34
	v_fmac_f32_e32 v108, v21, v3
	v_lshlrev_b32_e32 v3, 16, v33
	v_fmac_f32_e32 v108, v22, v3
	v_lshlrev_b32_e32 v3, 16, v32
	v_fmac_f32_e32 v108, v23, v3
	v_lshlrev_b32_e32 v3, 16, v47
	s_waitcnt lgkmcnt(1)
	v_fmac_f32_e32 v108, v24, v3
	v_lshlrev_b32_e32 v3, 16, v46
	v_fmac_f32_e32 v108, v25, v3
	v_lshlrev_b32_e32 v3, 16, v45
	v_fmac_f32_e32 v108, v26, v3
	v_lshlrev_b32_e32 v3, 16, v44
	v_fmac_f32_e32 v108, v27, v3
	v_lshlrev_b32_e32 v3, 16, v43
	s_waitcnt lgkmcnt(0)
	v_fmac_f32_e32 v108, v28, v3
	v_lshlrev_b32_e32 v3, 16, v42
	v_fmac_f32_e32 v108, v29, v3
	v_lshlrev_b32_e32 v3, 16, v41
	v_fmac_f32_e32 v108, v30, v3
	v_lshlrev_b32_e32 v3, 16, v40
	v_fmac_f32_e32 v108, v31, v3
	s_cbranch_scc1 .LBB457_15
; %bb.14:
	v_mov_b32_e32 v3, 0
	ds_read_b128 v[16:19], v3 offset:128
	ds_read_b128 v[20:23], v3 offset:144
	;; [unrolled: 1-line block ×4, first 2 shown]
	s_waitcnt lgkmcnt(3)
	v_fmac_f32_e32 v108, v16, v67
	v_fmac_f32_e32 v108, v17, v65
	v_fmac_f32_e32 v108, v18, v66
	v_fmac_f32_e32 v108, v19, v63
	s_waitcnt lgkmcnt(2)
	v_fmac_f32_e32 v108, v20, v64
	v_fmac_f32_e32 v108, v21, v61
	v_fmac_f32_e32 v108, v22, v62
	v_fmac_f32_e32 v108, v23, v59
	s_waitcnt lgkmcnt(1)
	v_fmac_f32_e32 v108, v24, v60
	v_fmac_f32_e32 v108, v25, v57
	v_fmac_f32_e32 v108, v26, v58
	v_fmac_f32_e32 v108, v27, v55
	ds_read_b128 v[16:19], v3 offset:192
	ds_read_b128 v[20:23], v3 offset:208
	s_waitcnt lgkmcnt(2)
	v_fmac_f32_e32 v108, v28, v56
	v_fmac_f32_e32 v108, v29, v53
	;; [unrolled: 1-line block ×4, first 2 shown]
	s_waitcnt lgkmcnt(1)
	v_fmac_f32_e32 v108, v16, v51
	v_fmac_f32_e32 v108, v17, v49
	v_fmac_f32_e32 v108, v18, v50
	v_fmac_f32_e32 v108, v19, v48
	s_waitcnt lgkmcnt(0)
	v_pk_mul_f32 v[14:15], v[20:21], v[14:15]
	v_pk_mul_f32 v[12:13], v[22:23], v[12:13]
	v_add_f32_e32 v14, v108, v14
	v_add_f32_e32 v18, v14, v15
	ds_read_b128 v[14:17], v3 offset:224
	v_add_f32_e32 v12, v18, v12
	ds_read_b128 v[18:21], v3 offset:240
	v_add_f32_e32 v12, v12, v13
	s_waitcnt lgkmcnt(1)
	v_pk_mul_f32 v[10:11], v[14:15], v[10:11]
	s_nop 0
	v_add_f32_e32 v3, v12, v10
	v_add_f32_e32 v3, v3, v11
	v_pk_mul_f32 v[8:9], v[16:17], v[8:9]
	s_waitcnt lgkmcnt(0)
	v_pk_mul_f32 v[6:7], v[18:19], v[6:7]
	v_add_f32_e32 v3, v3, v8
	v_add_f32_e32 v3, v3, v9
	;; [unrolled: 1-line block ×4, first 2 shown]
	v_pk_mul_f32 v[4:5], v[20:21], v[4:5]
	s_nop 0
	v_add_f32_e32 v3, v3, v4
	v_add_f32_e32 v108, v3, v5
.LBB457_15:
	s_load_dwordx2 s[4:5], s[0:1], 0x38
	s_cmpk_lt_i32 s28, 0x4001
	s_cbranch_scc1 .LBB457_17
; %bb.16:
	s_cmpk_lt_u32 s28, 0x4101
	s_cselect_b32 s8, s6, 0x1040
	s_ashr_i32 s9, s8, 31
	s_cmpk_lt_u32 s28, 0x4201
	v_lshl_add_u64 v[106:107], s[8:9], 1, v[0:1]
	s_cselect_b32 s8, s6, 0x1080
	s_ashr_i32 s9, s8, 31
	s_cmpk_lt_u32 s28, 0x4301
	v_lshl_add_u64 v[92:93], s[8:9], 1, v[0:1]
	;; [unrolled: 4-line block ×35, first 2 shown]
	s_cselect_b32 s8, s6, 0x1900
	s_ashr_i32 s9, s8, 31
	s_movk_i32 s7, 0x2000
	s_cmpk_lt_u32 s28, 0x6501
	v_add_co_u32_e32 v70, vcc, s7, v0
	v_lshl_add_u64 v[42:43], s[8:9], 1, v[0:1]
	s_cselect_b32 s8, s6, 0x1940
	v_addc_co_u32_e32 v71, vcc, 0, v1, vcc
	s_ashr_i32 s9, s8, 31
	global_load_ushort v3, v[70:71], off
	global_load_ushort v114, v[76:77], off
	s_cmpk_lt_u32 s28, 0x6601
	v_lshl_add_u64 v[44:45], s[8:9], 1, v[0:1]
	s_cselect_b32 s8, s6, 0x1980
	s_ashr_i32 s9, s8, 31
	s_cmpk_lt_u32 s28, 0x6701
	v_lshl_add_u64 v[46:47], s[8:9], 1, v[0:1]
	s_cselect_b32 s8, s6, 0x19c0
	global_load_ushort v106, v[106:107], off
	s_ashr_i32 s9, s8, 31
	global_load_ushort v110, v[102:103], off
	global_load_ushort v107, v[92:93], off
	global_load_ushort v109, v[94:95], off
	global_load_ushort v111, v[96:97], off
	s_cmpk_lt_u32 s28, 0x6801
	global_load_ushort v98, v[98:99], off
	v_lshl_add_u64 v[48:49], s[8:9], 1, v[0:1]
	global_load_ushort v104, v[104:105], off
	s_cselect_b32 s8, s6, 0x1a00
	global_load_ushort v105, v[100:101], off
	s_ashr_i32 s9, s8, 31
	s_cmpk_lt_u32 s28, 0x6901
	v_lshl_add_u64 v[50:51], s[8:9], 1, v[0:1]
	s_cselect_b32 s8, s6, 0x1a40
	s_ashr_i32 s9, s8, 31
	s_cmpk_lt_u32 s28, 0x6a01
	global_load_ushort v99, v[90:91], off
	v_lshl_add_u64 v[52:53], s[8:9], 1, v[0:1]
	s_cselect_b32 s8, s6, 0x1a80
	global_load_ushort v112, v[86:87], off
	s_ashr_i32 s9, s8, 31
	global_load_ushort v88, v[88:89], off
	s_cmpk_lt_u32 s28, 0x6b01
	global_load_ushort v89, v[82:83], off
	v_lshl_add_u64 v[54:55], s[8:9], 1, v[0:1]
	global_load_ushort v84, v[84:85], off
	s_cselect_b32 s8, s6, 0x1ac0
	s_ashr_i32 s9, s8, 31
	global_load_ushort v85, v[80:81], off
	global_load_ushort v113, v[78:79], off
	s_cmpk_lt_u32 s28, 0x6c01
	v_lshl_add_u64 v[56:57], s[8:9], 1, v[0:1]
	s_cselect_b32 s8, s6, 0x1b00
	s_ashr_i32 s9, s8, 31
	s_cmpk_lt_u32 s28, 0x6d01
	v_lshl_add_u64 v[58:59], s[8:9], 1, v[0:1]
	s_cselect_b32 s8, s6, 0x1b40
	s_ashr_i32 s9, s8, 31
	;; [unrolled: 4-line block ×19, first 2 shown]
	s_cmpk_lt_u32 s28, 0x7f01
	s_cselect_b32 s6, s6, 0x1fc0
	s_ashr_i32 s7, s6, 31
	v_lshl_add_u64 v[78:79], s[8:9], 1, v[0:1]
	v_lshl_add_u64 v[0:1], s[6:7], 1, v[0:1]
	global_load_ushort v115, v[4:5], off
	global_load_ushort v116, v[6:7], off
	;; [unrolled: 1-line block ×10, first 2 shown]
	s_waitcnt vmcnt(26)
	v_lshlrev_b32_e32 v0, 16, v3
	v_mov_b32_e32 v3, 0
	global_load_ushort v1, v[8:9], off
	ds_read_b128 v[4:7], v3 offset:256
	ds_read_b128 v[76:79], v3 offset:272
	global_load_ushort v80, v[10:11], off
	global_load_ushort v81, v[14:15], off
	ds_read_b128 v[8:11], v3 offset:288
	ds_read_b128 v[12:15], v3 offset:304
	global_load_ushort v16, v[16:17], off
	s_waitcnt lgkmcnt(0)
	v_fmac_f32_e32 v108, v4, v0
	s_waitcnt vmcnt(28)
	v_lshlrev_b32_e32 v0, 16, v106
	v_fmac_f32_e32 v108, v5, v0
	global_load_ushort v0, v[18:19], off
	s_waitcnt vmcnt(27)
	v_lshlrev_b32_e32 v4, 16, v107
	v_fmac_f32_e32 v108, v6, v4
	s_waitcnt vmcnt(26)
	v_lshlrev_b32_e32 v4, 16, v109
	v_fmac_f32_e32 v108, v7, v4
	;; [unrolled: 3-line block ×4, first 2 shown]
	v_lshlrev_b32_e32 v4, 16, v110
	v_fmac_f32_e32 v108, v78, v4
	v_lshlrev_b32_e32 v4, 16, v111
	v_fmac_f32_e32 v108, v79, v4
	;; [unrolled: 2-line block ×3, first 2 shown]
	s_waitcnt vmcnt(21)
	v_lshlrev_b32_e32 v4, 16, v99
	v_fmac_f32_e32 v108, v9, v4
	s_waitcnt vmcnt(20)
	v_lshlrev_b32_e32 v4, 16, v112
	v_fmac_f32_e32 v108, v10, v4
	s_waitcnt vmcnt(19)
	v_lshlrev_b32_e32 v4, 16, v88
	v_fmac_f32_e32 v108, v11, v4
	s_waitcnt vmcnt(18)
	v_lshlrev_b32_e32 v4, 16, v89
	v_fmac_f32_e32 v108, v12, v4
	global_load_ushort v12, v[52:53], off
	s_waitcnt vmcnt(18)
	v_lshlrev_b32_e32 v4, 16, v84
	v_fmac_f32_e32 v108, v13, v4
	s_waitcnt vmcnt(17)
	v_lshlrev_b32_e32 v4, 16, v85
	v_fmac_f32_e32 v108, v14, v4
	;; [unrolled: 3-line block ×3, first 2 shown]
	global_load_ushort v15, v[64:65], off
	global_load_ushort v17, v[20:21], off
	;; [unrolled: 1-line block ×6, first 2 shown]
	ds_read_b128 v[4:7], v3 offset:320
	ds_read_b128 v[8:11], v3 offset:336
	global_load_ushort v20, v[26:27], off
	global_load_ushort v21, v[28:29], off
	;; [unrolled: 1-line block ×17, first 2 shown]
	v_lshlrev_b32_e32 v36, 16, v114
	s_waitcnt lgkmcnt(1)
	v_fmac_f32_e32 v108, v4, v36
	global_load_ushort v36, v[68:69], off
	global_load_ushort v38, v[72:73], off
	;; [unrolled: 1-line block ×8, first 2 shown]
	s_waitcnt vmcnt(46)
	v_lshlrev_b32_e32 v4, 16, v115
	v_fmac_f32_e32 v108, v5, v4
	s_waitcnt vmcnt(45)
	v_lshlrev_b32_e32 v4, 16, v116
	v_fmac_f32_e32 v108, v6, v4
	s_waitcnt vmcnt(37)
	v_lshlrev_b32_e32 v4, 16, v124
	v_fmac_f32_e32 v108, v7, v4
	ds_read_b128 v[4:7], v3 offset:352
	s_waitcnt vmcnt(36)
	v_lshlrev_b32_e32 v1, 16, v1
	s_waitcnt lgkmcnt(1)
	v_fmac_f32_e32 v108, v8, v1
	s_waitcnt vmcnt(35)
	v_lshlrev_b32_e32 v1, 16, v80
	v_fmac_f32_e32 v108, v9, v1
	s_waitcnt vmcnt(34)
	v_lshlrev_b32_e32 v1, 16, v81
	v_fmac_f32_e32 v108, v10, v1
	s_waitcnt vmcnt(33)
	v_lshlrev_b32_e32 v1, 16, v16
	v_fmac_f32_e32 v108, v11, v1
	ds_read_b128 v[8:11], v3 offset:368
	s_waitcnt vmcnt(32)
	v_lshlrev_b32_e32 v0, 16, v0
	s_waitcnt lgkmcnt(1)
	v_fmac_f32_e32 v108, v4, v0
	;; [unrolled: 14-line block ×4, first 2 shown]
	s_waitcnt vmcnt(19)
	v_lshlrev_b32_e32 v0, 16, v25
	v_fmac_f32_e32 v108, v5, v0
	s_waitcnt vmcnt(18)
	v_lshlrev_b32_e32 v0, 16, v26
	v_fmac_f32_e32 v108, v6, v0
	;; [unrolled: 3-line block ×3, first 2 shown]
	s_waitcnt vmcnt(16)
	v_lshlrev_b32_e32 v0, 16, v28
	ds_read_b128 v[4:7], v3 offset:416
	s_waitcnt lgkmcnt(1)
	v_fmac_f32_e32 v108, v8, v0
	s_waitcnt vmcnt(15)
	v_lshlrev_b32_e32 v0, 16, v29
	v_fmac_f32_e32 v108, v9, v0
	s_waitcnt vmcnt(14)
	v_lshlrev_b32_e32 v0, 16, v30
	;; [unrolled: 3-line block ×3, first 2 shown]
	v_fmac_f32_e32 v108, v11, v0
	ds_read_b128 v[8:11], v3 offset:432
	s_waitcnt vmcnt(12)
	v_lshlrev_b32_e32 v0, 16, v32
	s_waitcnt lgkmcnt(1)
	v_fmac_f32_e32 v108, v4, v0
	v_lshlrev_b32_e32 v0, 16, v12
	v_fmac_f32_e32 v108, v5, v0
	s_waitcnt vmcnt(11)
	v_lshlrev_b32_e32 v0, 16, v33
	v_fmac_f32_e32 v108, v6, v0
	v_lshlrev_b32_e32 v0, 16, v13
	v_fmac_f32_e32 v108, v7, v0
	s_waitcnt vmcnt(10)
	v_lshlrev_b32_e32 v0, 16, v34
	ds_read_b128 v[4:7], v3 offset:448
	s_waitcnt lgkmcnt(1)
	v_fmac_f32_e32 v108, v8, v0
	v_lshlrev_b32_e32 v0, 16, v14
	v_fmac_f32_e32 v108, v9, v0
	s_waitcnt vmcnt(9)
	v_lshlrev_b32_e32 v0, 16, v35
	v_fmac_f32_e32 v108, v10, v0
	v_lshlrev_b32_e32 v0, 16, v15
	v_fmac_f32_e32 v108, v11, v0
	ds_read_b128 v[8:11], v3 offset:464
	s_waitcnt vmcnt(8)
	v_lshlrev_b32_e32 v0, 16, v37
	s_waitcnt lgkmcnt(1)
	v_fmac_f32_e32 v108, v4, v0
	s_waitcnt vmcnt(7)
	v_lshlrev_b32_e32 v0, 16, v36
	v_fmac_f32_e32 v108, v5, v0
	s_waitcnt vmcnt(6)
	v_lshlrev_b32_e32 v0, 16, v38
	;; [unrolled: 3-line block ×4, first 2 shown]
	v_lshlrev_b32_e32 v0, 16, v40
	s_waitcnt lgkmcnt(0)
	v_pk_mul_f32 v[0:1], v[8:9], v[0:1]
	s_nop 0
	v_add_f32_e32 v0, v108, v0
	v_add_f32_e32 v4, v0, v1
	s_waitcnt vmcnt(1)
	v_lshlrev_b32_e32 v1, 16, v43
	v_lshlrev_b32_e32 v0, 16, v42
	v_pk_mul_f32 v[0:1], v[10:11], v[0:1]
	ds_read_b128 v[8:11], v3 offset:496
	v_add_f32_e32 v0, v4, v0
	ds_read_b128 v[4:7], v3 offset:480
	v_add_f32_e32 v12, v0, v1
	v_lshlrev_b32_e32 v1, 16, v117
	s_waitcnt vmcnt(0)
	v_lshlrev_b32_e32 v0, 16, v44
	s_waitcnt lgkmcnt(0)
	v_pk_mul_f32 v[0:1], v[4:5], v[0:1]
	s_nop 0
	v_add_f32_e32 v0, v12, v0
	v_add_f32_e32 v3, v0, v1
	v_lshlrev_b32_e32 v1, 16, v119
	v_lshlrev_b32_e32 v0, 16, v118
	v_pk_mul_f32 v[0:1], v[6:7], v[0:1]
	s_nop 0
	v_add_f32_e32 v0, v3, v0
	v_add_f32_e32 v3, v0, v1
	v_lshlrev_b32_e32 v1, 16, v121
	v_lshlrev_b32_e32 v0, 16, v120
	;; [unrolled: 6-line block ×3, first 2 shown]
	v_pk_mul_f32 v[0:1], v[10:11], v[0:1]
	s_nop 0
	v_add_f32_e32 v0, v3, v0
	v_add_f32_e32 v108, v0, v1
.LBB457_17:
	v_mov_b32_e32 v0, 0
	ds_read_b32 v0, v0 offset:512
	s_waitcnt lgkmcnt(0)
	s_cmp_eq_u64 s[4:5], 0
	s_cbranch_scc1 .LBB457_26
; %bb.18:
	s_load_dword s6, s[4:5], 0x0
	s_waitcnt lgkmcnt(0)
	v_div_scale_f32 v1, s[4:5], s6, s6, 1.0
	v_rcp_f32_e32 v3, v1
	v_div_scale_f32 v4, vcc, 1.0, s6, 1.0
	v_fma_f32 v5, -v1, v3, 1.0
	v_fmac_f32_e32 v3, v5, v3
	v_mul_f32_e32 v5, v4, v3
	v_fma_f32 v6, -v1, v5, v4
	v_fmac_f32_e32 v5, v6, v3
	v_fma_f32 v1, -v1, v5, v4
	v_div_fmas_f32 v1, v1, v3, v5
	v_div_fixup_f32 v1, v1, s6, 1.0
	s_andn2_b64 vcc, exec, s[20:21]
	s_cbranch_vccnz .LBB457_20
.LBB457_19:
	s_add_u32 s4, s18, s22
	s_addc_u32 s5, s19, s23
	s_load_dword s16, s[4:5], 0x0
	s_mov_b32 s17, 0
.LBB457_20:
	v_add_f32_e32 v0, 0x358637bd, v0
	v_div_scale_f32 v3, s[4:5], v0, v0, 1.0
	v_rcp_f32_e32 v4, v3
	s_load_dwordx2 s[0:1], s[0:1], 0x0
	s_mov_b32 s4, 0x7f800000
	v_fma_f32 v5, -v3, v4, 1.0
	v_fmac_f32_e32 v4, v5, v4
	v_div_scale_f32 v5, vcc, 1.0, v0, 1.0
	v_mul_f32_e32 v6, v5, v4
	v_fma_f32 v7, -v3, v6, v5
	v_fmac_f32_e32 v6, v7, v4
	v_fma_f32 v3, -v3, v6, v5
	v_div_fmas_f32 v3, v3, v4, v6
	v_div_fixup_f32 v0, v3, v0, 1.0
	v_mul_f32_e32 v0, v108, v0
	v_mul_f32_e32 v1, v0, v1
	v_and_b32_e32 v0, 0x7f800000, v1
	v_cmp_ne_u32_e32 vcc, s4, v0
                                        ; implicit-def: $vgpr0
	s_and_saveexec_b64 s[4:5], vcc
	s_xor_b64 s[4:5], exec, s[4:5]
; %bb.21:
	v_bfe_u32 v0, v1, 16, 1
	s_movk_i32 s6, 0x7fff
	v_add3_u32 v0, v1, v0, s6
                                        ; implicit-def: $vgpr1
; %bb.22:
	s_andn2_saveexec_b64 s[4:5], s[4:5]
; %bb.23:
	v_mov_b32_e32 v0, 0
	v_or_b32_e32 v3, 0x10000, v1
	v_cmp_eq_u32_sdwa vcc, v1, v0 src0_sel:WORD_0 src1_sel:DWORD
	s_nop 1
	v_cndmask_b32_e32 v0, v3, v1, vcc
; %bb.24:
	s_or_b64 exec, exec, s[4:5]
	s_mul_i32 s4, s3, s17
	s_waitcnt lgkmcnt(0)
	s_mul_hi_u32 s5, s3, s16
	s_add_i32 s5, s5, s4
	s_mul_i32 s4, s3, s16
	s_lshl_b64 s[4:5], s[4:5], 7
	s_add_u32 s4, s0, s4
	s_mov_b32 s3, 0
	s_addc_u32 s5, s1, s5
	s_lshl_b64 s[0:1], s[2:3], 7
	s_add_u32 s0, s4, s0
	s_addc_u32 s1, s5, s1
	global_store_short_d16_hi v2, v0, s[0:1]
	s_endpgm
.LBB457_25:
	s_mov_b64 s[6:7], 0
	s_branch .LBB457_2
.LBB457_26:
	v_mov_b32_e32 v1, 1.0
	s_andn2_b64 vcc, exec, s[20:21]
	s_cbranch_vccz .LBB457_19
	s_branch .LBB457_20
	.section	.rodata,"a",@progbits
	.p2align	6, 0x0
	.amdhsa_kernel _Z35paged_attention_ll4mi_reduce_kernelI14__hip_bfloat16S0_Li64ELi64ELi256ELi2EEvPT0_PKfS4_PKT_PKiS9_iS4_
		.amdhsa_group_segment_fixed_size 516
		.amdhsa_private_segment_fixed_size 0
		.amdhsa_kernarg_size 320
		.amdhsa_user_sgpr_count 2
		.amdhsa_user_sgpr_dispatch_ptr 0
		.amdhsa_user_sgpr_queue_ptr 0
		.amdhsa_user_sgpr_kernarg_segment_ptr 1
		.amdhsa_user_sgpr_dispatch_id 0
		.amdhsa_user_sgpr_kernarg_preload_length 0
		.amdhsa_user_sgpr_kernarg_preload_offset 0
		.amdhsa_user_sgpr_private_segment_size 0
		.amdhsa_uses_dynamic_stack 0
		.amdhsa_enable_private_segment 0
		.amdhsa_system_sgpr_workgroup_id_x 1
		.amdhsa_system_sgpr_workgroup_id_y 1
		.amdhsa_system_sgpr_workgroup_id_z 0
		.amdhsa_system_sgpr_workgroup_info 0
		.amdhsa_system_vgpr_workitem_id 0
		.amdhsa_next_free_vgpr 125
		.amdhsa_next_free_sgpr 32
		.amdhsa_accum_offset 128
		.amdhsa_reserve_vcc 1
		.amdhsa_float_round_mode_32 0
		.amdhsa_float_round_mode_16_64 0
		.amdhsa_float_denorm_mode_32 3
		.amdhsa_float_denorm_mode_16_64 3
		.amdhsa_dx10_clamp 1
		.amdhsa_ieee_mode 1
		.amdhsa_fp16_overflow 0
		.amdhsa_tg_split 0
		.amdhsa_exception_fp_ieee_invalid_op 0
		.amdhsa_exception_fp_denorm_src 0
		.amdhsa_exception_fp_ieee_div_zero 0
		.amdhsa_exception_fp_ieee_overflow 0
		.amdhsa_exception_fp_ieee_underflow 0
		.amdhsa_exception_fp_ieee_inexact 0
		.amdhsa_exception_int_div_zero 0
	.end_amdhsa_kernel
	.section	.text._Z35paged_attention_ll4mi_reduce_kernelI14__hip_bfloat16S0_Li64ELi64ELi256ELi2EEvPT0_PKfS4_PKT_PKiS9_iS4_,"axG",@progbits,_Z35paged_attention_ll4mi_reduce_kernelI14__hip_bfloat16S0_Li64ELi64ELi256ELi2EEvPT0_PKfS4_PKT_PKiS9_iS4_,comdat
.Lfunc_end457:
	.size	_Z35paged_attention_ll4mi_reduce_kernelI14__hip_bfloat16S0_Li64ELi64ELi256ELi2EEvPT0_PKfS4_PKT_PKiS9_iS4_, .Lfunc_end457-_Z35paged_attention_ll4mi_reduce_kernelI14__hip_bfloat16S0_Li64ELi64ELi256ELi2EEvPT0_PKfS4_PKT_PKiS9_iS4_
                                        ; -- End function
	.section	.AMDGPU.csdata,"",@progbits
; Kernel info:
; codeLenInByte = 7964
; NumSgprs: 38
; NumVgprs: 125
; NumAgprs: 0
; TotalNumVgprs: 125
; ScratchSize: 0
; MemoryBound: 0
; FloatMode: 240
; IeeeMode: 1
; LDSByteSize: 516 bytes/workgroup (compile time only)
; SGPRBlocks: 4
; VGPRBlocks: 15
; NumSGPRsForWavesPerEU: 38
; NumVGPRsForWavesPerEU: 125
; AccumOffset: 128
; Occupancy: 4
; WaveLimiterHint : 1
; COMPUTE_PGM_RSRC2:SCRATCH_EN: 0
; COMPUTE_PGM_RSRC2:USER_SGPR: 2
; COMPUTE_PGM_RSRC2:TRAP_HANDLER: 0
; COMPUTE_PGM_RSRC2:TGID_X_EN: 1
; COMPUTE_PGM_RSRC2:TGID_Y_EN: 1
; COMPUTE_PGM_RSRC2:TGID_Z_EN: 0
; COMPUTE_PGM_RSRC2:TIDIG_COMP_CNT: 0
; COMPUTE_PGM_RSRC3_GFX90A:ACCUM_OFFSET: 31
; COMPUTE_PGM_RSRC3_GFX90A:TG_SPLIT: 0
	.section	.text._Z35paged_attention_ll4mi_reduce_kernelI14__hip_bfloat16S0_Li64ELi64ELi256ELi3EEvPT0_PKfS4_PKT_PKiS9_iS4_,"axG",@progbits,_Z35paged_attention_ll4mi_reduce_kernelI14__hip_bfloat16S0_Li64ELi64ELi256ELi3EEvPT0_PKfS4_PKT_PKiS9_iS4_,comdat
	.protected	_Z35paged_attention_ll4mi_reduce_kernelI14__hip_bfloat16S0_Li64ELi64ELi256ELi3EEvPT0_PKfS4_PKT_PKiS9_iS4_ ; -- Begin function _Z35paged_attention_ll4mi_reduce_kernelI14__hip_bfloat16S0_Li64ELi64ELi256ELi3EEvPT0_PKfS4_PKT_PKiS9_iS4_
	.globl	_Z35paged_attention_ll4mi_reduce_kernelI14__hip_bfloat16S0_Li64ELi64ELi256ELi3EEvPT0_PKfS4_PKT_PKiS9_iS4_
	.p2align	8
	.type	_Z35paged_attention_ll4mi_reduce_kernelI14__hip_bfloat16S0_Li64ELi64ELi256ELi3EEvPT0_PKfS4_PKT_PKiS9_iS4_,@function
_Z35paged_attention_ll4mi_reduce_kernelI14__hip_bfloat16S0_Li64ELi64ELi256ELi3EEvPT0_PKfS4_PKT_PKiS9_iS4_: ; @_Z35paged_attention_ll4mi_reduce_kernelI14__hip_bfloat16S0_Li64ELi64ELi256ELi3EEvPT0_PKfS4_PKT_PKiS9_iS4_
; %bb.0:
	s_load_dwordx2 s[20:21], s[0:1], 0x28
	s_mov_b32 s10, s3
	s_mov_b64 s[4:5], 0
	s_waitcnt lgkmcnt(0)
	s_cmp_lg_u64 s[20:21], 0
	s_cselect_b64 s[22:23], -1, 0
	s_and_b64 vcc, exec, s[22:23]
	s_cbranch_vccz .LBB458_25
; %bb.1:
	s_add_i32 s6, s10, 1
	s_mov_b32 s7, 0
	s_lshl_b64 s[8:9], s[6:7], 2
	s_add_u32 s8, s20, s8
	s_mov_b32 s11, s7
	s_addc_u32 s9, s21, s9
	s_lshl_b64 s[6:7], s[10:11], 2
	s_add_u32 s6, s20, s6
	s_addc_u32 s7, s21, s7
	s_load_dword s3, s[8:9], 0x0
	s_load_dword s12, s[6:7], 0x0
	s_waitcnt lgkmcnt(0)
	s_sub_i32 s3, s3, s12
	s_cmp_eq_u32 s3, 1
	s_cselect_b64 s[6:7], -1, 0
	s_andn2_b64 vcc, exec, s[4:5]
	s_cbranch_vccnz .LBB458_3
.LBB458_2:
	s_mov_b32 s11, 0
	s_mov_b64 s[6:7], -1
.LBB458_3:
	s_andn2_b64 vcc, exec, s[6:7]
	s_cbranch_vccz .LBB458_5
; %bb.4:
	s_endpgm
.LBB458_5:
	s_load_dwordx4 s[12:15], s[0:1], 0x18
	s_load_dword s8, s[0:1], 0x30
	s_lshl_b64 s[24:25], s[10:11], 2
	v_cmp_lt_u32_e32 vcc, 63, v0
	s_waitcnt lgkmcnt(0)
	s_add_u32 s4, s14, s24
	s_addc_u32 s5, s15, s25
	s_load_dword s30, s[4:5], 0x0
	s_load_dword s3, s[0:1], 0x40
	s_mul_i32 s14, s2, s8
	s_mul_i32 s6, s10, s8
	s_waitcnt lgkmcnt(0)
	s_add_i32 s7, s30, 0xff
	s_ashr_i32 s4, s7, 31
	s_lshr_b32 s4, s4, 24
	s_add_i32 s7, s7, s4
	s_and_saveexec_b64 s[4:5], vcc
	s_xor_b64 s[4:5], exec, s[4:5]
	s_or_saveexec_b64 s[26:27], s[4:5]
	s_ashr_i32 s31, s7, 8
	v_mov_b32_e32 v1, s14
	s_mul_i32 s28, s6, s3
	s_xor_b64 exec, exec, s[26:27]
	s_cbranch_execz .LBB458_9
; %bb.6:
	s_load_dwordx4 s[16:19], s[0:1], 0x8
	s_mov_b32 s29, 0
	s_add_i32 s4, s31, -1
	v_or_b32_e32 v3, 64, v0
	v_mov_b32_e32 v1, s4
	v_cmp_gt_u32_e64 s[4:5], s31, v3
	s_lshl_b64 s[34:35], s[28:29], 2
	s_mov_b32 s15, s29
	v_cmp_gt_u32_e32 vcc, s31, v0
	v_cndmask_b32_e64 v4, v1, v3, s[4:5]
	v_or_b32_e32 v3, 0x80, v0
	s_waitcnt lgkmcnt(0)
	s_add_u32 s8, s18, s34
	v_cndmask_b32_e32 v2, v1, v0, vcc
	v_cmp_gt_u32_e64 s[6:7], s31, v3
	s_addc_u32 s9, s19, s35
	s_lshl_b64 s[18:19], s[14:15], 2
	v_cndmask_b32_e64 v6, v1, v3, s[6:7]
	s_add_u32 s8, s8, s18
	v_ashrrev_i32_e32 v3, 31, v2
	s_addc_u32 s9, s9, s19
	v_lshlrev_b64 v[2:3], 2, v[2:3]
	v_ashrrev_i32_e32 v5, 31, v4
	v_ashrrev_i32_e32 v7, 31, v6
	v_lshl_add_u64 v[8:9], s[8:9], 0, v[2:3]
	v_lshlrev_b64 v[4:5], 2, v[4:5]
	v_lshlrev_b64 v[6:7], 2, v[6:7]
	v_lshl_add_u64 v[10:11], s[8:9], 0, v[4:5]
	v_lshl_add_u64 v[12:13], s[8:9], 0, v[6:7]
	global_load_dword v1, v[8:9], off
	global_load_dword v14, v[10:11], off
	;; [unrolled: 1-line block ×3, first 2 shown]
	v_mbcnt_lo_u32_b32 v8, -1, 0
	v_mbcnt_hi_u32_b32 v8, -1, v8
	v_and_b32_e32 v9, 64, v8
	v_xor_b32_e32 v10, 32, v8
	v_add_u32_e32 v9, 64, v9
	v_xor_b32_e32 v11, 16, v8
	v_cmp_lt_i32_e64 s[8:9], v10, v9
	v_xor_b32_e32 v12, 8, v8
	s_mov_b32 s15, 0xc2ce8ed0
	v_cndmask_b32_e64 v10, v8, v10, s[8:9]
	v_cmp_lt_i32_e64 s[8:9], v11, v9
	v_lshlrev_b32_e32 v10, 2, v10
	s_waitcnt vmcnt(0)
	v_max3_f32 v13, v1, v14, v15
	v_cndmask_b32_e64 v11, v8, v11, s[8:9]
	v_cmp_lt_i32_e64 s[8:9], v12, v9
	ds_bpermute_b32 v16, v10, v13
	v_lshlrev_b32_e32 v11, 2, v11
	v_cndmask_b32_e64 v12, v8, v12, s[8:9]
	s_add_u32 s8, s16, s34
	s_addc_u32 s9, s17, s35
	s_add_u32 s8, s8, s18
	s_addc_u32 s9, s9, s19
	v_lshl_add_u64 v[2:3], s[8:9], 0, v[2:3]
	v_lshl_add_u64 v[4:5], s[8:9], 0, v[4:5]
	global_load_dword v17, v[2:3], off
	global_load_dword v18, v[4:5], off
	v_lshl_add_u64 v[2:3], s[8:9], 0, v[6:7]
	global_load_dword v3, v[2:3], off
	s_waitcnt lgkmcnt(0)
	v_max_f32_e32 v16, v16, v16
	v_max_f32_e32 v13, v13, v16
	ds_bpermute_b32 v16, v11, v13
	v_lshlrev_b32_e32 v12, 2, v12
	v_xor_b32_e32 v5, 4, v8
	v_cmp_lt_i32_e64 s[8:9], v5, v9
	v_xor_b32_e32 v6, 2, v8
	s_waitcnt lgkmcnt(0)
	v_max_f32_e32 v2, v16, v16
	v_max_f32_e32 v2, v13, v2
	ds_bpermute_b32 v4, v12, v2
	v_cndmask_b32_e64 v5, v8, v5, s[8:9]
	v_lshlrev_b32_e32 v5, 2, v5
	v_cmp_lt_i32_e64 s[8:9], v6, v9
	v_xor_b32_e32 v7, 1, v8
	s_waitcnt lgkmcnt(0)
	v_max_f32_e32 v4, v4, v4
	v_max_f32_e32 v2, v2, v4
	ds_bpermute_b32 v4, v5, v2
	v_cndmask_b32_e64 v6, v8, v6, s[8:9]
	v_lshlrev_b32_e32 v6, 2, v6
	v_cmp_lt_i32_e64 s[8:9], v7, v9
	s_mov_b32 s16, 0x42b17218
	s_waitcnt lgkmcnt(0)
	v_max_f32_e32 v4, v4, v4
	v_max_f32_e32 v2, v2, v4
	ds_bpermute_b32 v4, v6, v2
	v_cndmask_b32_e64 v7, v8, v7, s[8:9]
	v_lshlrev_b32_e32 v7, 2, v7
	s_mov_b32 s8, 0x3fb8aa3b
	v_mov_b32_e32 v8, 0x7f800000
	s_waitcnt lgkmcnt(0)
	v_max_f32_e32 v4, v4, v4
	v_max_f32_e32 v2, v2, v4
	ds_bpermute_b32 v4, v7, v2
	s_waitcnt lgkmcnt(0)
	v_max_f32_e32 v4, v4, v4
	v_max_f32_e32 v2, v2, v4
	v_sub_f32_e32 v1, v1, v2
	v_sub_f32_e32 v4, v14, v2
	v_mul_f32_e32 v9, 0x3fb8aa3b, v1
	v_sub_f32_e32 v2, v15, v2
	v_mul_f32_e32 v13, 0x3fb8aa3b, v4
	v_fma_f32 v15, v1, s8, -v9
	v_rndne_f32_e32 v16, v9
	v_mul_f32_e32 v14, 0x3fb8aa3b, v2
	v_fma_f32 v19, v4, s8, -v13
	v_rndne_f32_e32 v20, v13
	v_fmac_f32_e32 v15, 0x32a5705f, v1
	v_sub_f32_e32 v9, v9, v16
	v_fma_f32 v21, v2, s8, -v14
	v_rndne_f32_e32 v22, v14
	v_fmac_f32_e32 v19, 0x32a5705f, v4
	v_sub_f32_e32 v13, v13, v20
	v_add_f32_e32 v9, v9, v15
	v_cvt_i32_f32_e32 v16, v16
	v_fmac_f32_e32 v21, 0x32a5705f, v2
	v_sub_f32_e32 v14, v14, v22
	v_add_f32_e32 v13, v13, v19
	v_exp_f32_e32 v9, v9
	v_cvt_i32_f32_e32 v20, v20
	v_add_f32_e32 v14, v14, v21
	v_exp_f32_e32 v13, v13
	v_cvt_i32_f32_e32 v22, v22
	v_exp_f32_e32 v14, v14
	v_ldexp_f32 v9, v9, v16
	v_cmp_ngt_f32_e64 s[8:9], s15, v1
	v_ldexp_f32 v13, v13, v20
	v_ldexp_f32 v14, v14, v22
	v_cndmask_b32_e64 v9, 0, v9, s[8:9]
	v_cmp_ngt_f32_e64 s[8:9], s15, v4
	v_lshlrev_b32_e32 v15, 2, v0
	s_nop 0
	v_cndmask_b32_e64 v13, 0, v13, s[8:9]
	v_cmp_ngt_f32_e64 s[8:9], s15, v2
	s_nop 1
	v_cndmask_b32_e64 v14, 0, v14, s[8:9]
	v_cmp_nlt_f32_e64 s[8:9], s16, v1
	s_nop 1
	v_cndmask_b32_e64 v1, v8, v9, s[8:9]
	v_cmp_nlt_f32_e64 s[8:9], s16, v4
	v_cndmask_b32_e32 v1, 0, v1, vcc
	s_waitcnt vmcnt(2)
	v_mul_f32_e32 v1, v17, v1
	v_cndmask_b32_e64 v4, v8, v13, s[8:9]
	v_cmp_nlt_f32_e64 s[8:9], s16, v2
	v_cndmask_b32_e64 v4, 0, v4, s[4:5]
	v_cmp_eq_u32_e32 vcc, 0, v0
	v_cndmask_b32_e64 v2, v8, v14, s[8:9]
	v_cndmask_b32_e64 v8, 0, v2, s[6:7]
	s_waitcnt vmcnt(1)
	v_mul_f32_e32 v2, v18, v4
	ds_write2st64_b32 v15, v1, v2 offset1:1
	v_fmac_f32_e32 v1, v18, v4
	s_waitcnt vmcnt(0)
	v_fmac_f32_e32 v1, v3, v8
	ds_bpermute_b32 v2, v10, v1
	v_mul_f32_e32 v3, v3, v8
	ds_write_b32 v15, v3 offset:512
	s_waitcnt lgkmcnt(1)
	v_add_f32_e32 v1, v1, v2
	ds_bpermute_b32 v2, v11, v1
	s_waitcnt lgkmcnt(0)
	v_add_f32_e32 v1, v1, v2
	ds_bpermute_b32 v2, v12, v1
	;; [unrolled: 3-line block ×5, first 2 shown]
	s_and_saveexec_b64 s[4:5], vcc
	s_cbranch_execz .LBB458_8
; %bb.7:
	s_waitcnt lgkmcnt(0)
	v_add_f32_e32 v1, v1, v2
	v_mov_b32_e32 v2, 0
	ds_write_b32 v2, v1 offset:768
.LBB458_8:
	s_or_b64 exec, exec, s[4:5]
	v_mov_b32_e32 v1, s14
.LBB458_9:
	s_or_b64 exec, exec, s[26:27]
	s_lshl_b32 s4, s28, 6
	s_mov_b32 s5, 0
	s_lshl_b64 s[4:5], s[4:5], 1
	s_add_u32 s4, s12, s4
	s_waitcnt lgkmcnt(0)
	v_lshlrev_b32_e32 v2, 6, v1
	v_mov_b32_e32 v3, 0
	s_addc_u32 s5, s13, s5
	v_lshl_add_u64 v[4:5], v[2:3], 1, s[4:5]
	s_lshl_b32 s4, s31, 6
	s_sub_i32 s6, s4, 64
	s_cmp_lt_i32 s30, 1
	s_cselect_b32 s4, s6, 0
	v_lshlrev_b32_e32 v2, 1, v0
	s_ashr_i32 s5, s4, 31
	v_lshl_add_u64 v[0:1], v[4:5], 0, v[2:3]
	s_cmpk_lt_i32 s30, 0x101
	v_lshl_add_u64 v[4:5], s[4:5], 1, v[0:1]
	s_cselect_b32 s4, s6, 64
	s_ashr_i32 s5, s4, 31
	s_cmpk_lt_i32 s30, 0x201
	v_lshl_add_u64 v[6:7], s[4:5], 1, v[0:1]
	s_cselect_b32 s4, s6, 0x80
	s_ashr_i32 s5, s4, 31
	;; [unrolled: 4-line block ×8, first 2 shown]
	s_cmpk_lt_i32 s30, 0x901
	global_load_ushort v23, v[4:5], off
	global_load_ushort v22, v[6:7], off
	;; [unrolled: 1-line block ×8, first 2 shown]
	v_lshl_add_u64 v[4:5], s[4:5], 1, v[0:1]
	s_cselect_b32 s4, s6, 0x240
	s_ashr_i32 s5, s4, 31
	s_cmpk_lt_i32 s30, 0xa01
	v_lshl_add_u64 v[6:7], s[4:5], 1, v[0:1]
	s_cselect_b32 s4, s6, 0x280
	s_ashr_i32 s5, s4, 31
	s_cmpk_lt_i32 s30, 0xb01
	;; [unrolled: 4-line block ×6, first 2 shown]
	v_lshl_add_u64 v[32:33], s[4:5], 1, v[0:1]
	s_cselect_b32 s4, s6, 0x3c0
	s_ashr_i32 s5, s4, 31
	v_lshl_add_u64 v[34:35], s[4:5], 1, v[0:1]
	global_load_ushort v30, v[4:5], off
	global_load_ushort v31, v[6:7], off
	;; [unrolled: 1-line block ×8, first 2 shown]
	s_cmpk_gt_i32 s30, 0x1000
	s_cselect_b64 s[4:5], -1, 0
	s_cmpk_lt_i32 s30, 0x1001
	v_mov_b32_e32 v40, 0
	v_mov_b32_e32 v41, 0
	;; [unrolled: 1-line block ×48, first 2 shown]
	s_waitcnt lgkmcnt(0)
	; wave barrier
	s_cbranch_scc1 .LBB458_12
; %bb.10:
	s_cmpk_lt_u32 s30, 0x1101
	s_cselect_b32 s8, s6, 0x440
	s_ashr_i32 s9, s8, 31
	s_cmpk_lt_u32 s30, 0x1201
	v_lshl_add_u64 v[4:5], s[8:9], 1, v[0:1]
	s_cselect_b32 s8, s6, 0x480
	s_ashr_i32 s9, s8, 31
	s_cmpk_lt_u32 s30, 0x1301
	v_lshl_add_u64 v[6:7], s[8:9], 1, v[0:1]
	;; [unrolled: 4-line block ×7, first 2 shown]
	s_cselect_b32 s8, s6, 0x600
	s_ashr_i32 s9, s8, 31
	s_cmpk_lt_u32 s30, 0x1901
	global_load_ushort v39, v[0:1], off offset:2048
	global_load_ushort v38, v[4:5], off
	global_load_ushort v37, v[6:7], off
	;; [unrolled: 1-line block ×7, first 2 shown]
	v_lshl_add_u64 v[4:5], s[8:9], 1, v[0:1]
	s_cselect_b32 s8, s6, 0x640
	s_ashr_i32 s9, s8, 31
	s_cmpk_lt_u32 s30, 0x1a01
	v_lshl_add_u64 v[6:7], s[8:9], 1, v[0:1]
	s_cselect_b32 s8, s6, 0x680
	s_ashr_i32 s9, s8, 31
	s_cmpk_lt_u32 s30, 0x1b01
	;; [unrolled: 4-line block ×6, first 2 shown]
	v_lshl_add_u64 v[48:49], s[8:9], 1, v[0:1]
	s_cselect_b32 s8, s6, 0x7c0
	s_ashr_i32 s9, s8, 31
	v_lshl_add_u64 v[50:51], s[8:9], 1, v[0:1]
	global_load_ushort v47, v[4:5], off
	global_load_ushort v46, v[6:7], off
	;; [unrolled: 1-line block ×8, first 2 shown]
	s_cmpk_lt_u32 s30, 0x2001
	v_mov_b32_e32 v67, 0
	v_mov_b32_e32 v65, 0
	;; [unrolled: 1-line block ×32, first 2 shown]
	s_cbranch_scc1 .LBB458_12
; %bb.11:
	s_cmpk_lt_u32 s30, 0x2101
	s_cselect_b32 s8, s6, 0x840
	s_ashr_i32 s9, s8, 31
	s_cmpk_lt_u32 s30, 0x2201
	v_lshl_add_u64 v[4:5], s[8:9], 1, v[0:1]
	s_cselect_b32 s8, s6, 0x880
	s_ashr_i32 s9, s8, 31
	s_cmpk_lt_u32 s30, 0x2301
	v_lshl_add_u64 v[6:7], s[8:9], 1, v[0:1]
	;; [unrolled: 4-line block ×29, first 2 shown]
	s_cselect_b32 s8, s6, 0xf80
	s_ashr_i32 s9, s8, 31
	s_movk_i32 s7, 0x1000
	s_cmpk_lt_u32 s30, 0x3f01
	v_lshl_add_u64 v[94:95], s[8:9], 1, v[0:1]
	v_add_co_u32_e32 v96, vcc, s7, v0
	s_cselect_b32 s8, s6, 0xfc0
	s_nop 0
	v_addc_co_u32_e32 v97, vcc, 0, v1, vcc
	s_ashr_i32 s9, s8, 31
	global_load_ushort v98, v[96:97], off
	global_load_ushort v99, v[4:5], off
	;; [unrolled: 1-line block ×15, first 2 shown]
                                        ; kill: killed $vgpr60_vgpr61
                                        ; kill: killed $vgpr12_vgpr13
                                        ; kill: killed $vgpr50_vgpr51
                                        ; kill: killed $vgpr56_vgpr57
                                        ; kill: killed $vgpr8_vgpr9
                                        ; kill: killed $vgpr62_vgpr63
                                        ; kill: killed $vgpr14_vgpr15
                                        ; kill: killed $vgpr96 killed $vgpr97
                                        ; kill: killed $vgpr52_vgpr53
                                        ; kill: killed $vgpr4_vgpr5
                                        ; kill: killed $vgpr58_vgpr59
                                        ; kill: killed $vgpr10_vgpr11
                                        ; kill: killed $vgpr48_vgpr49
                                        ; kill: killed $vgpr54_vgpr55
                                        ; kill: killed $vgpr6_vgpr7
	global_load_ushort v6, v[64:65], off
	global_load_ushort v7, v[66:67], off
	;; [unrolled: 1-line block ×15, first 2 shown]
                                        ; kill: killed $vgpr92_vgpr93
                                        ; kill: killed $vgpr76_vgpr77
                                        ; kill: killed $vgpr82_vgpr83
                                        ; kill: killed $vgpr66_vgpr67
                                        ; kill: killed $vgpr88_vgpr89
                                        ; kill: killed $vgpr72_vgpr73
                                        ; kill: killed $vgpr94_vgpr95
                                        ; kill: killed $vgpr78_vgpr79
                                        ; kill: killed $vgpr84_vgpr85
                                        ; kill: killed $vgpr68_vgpr69
                                        ; kill: killed $vgpr90_vgpr91
                                        ; kill: killed $vgpr74_vgpr75
                                        ; kill: killed $vgpr80_vgpr81
                                        ; kill: killed $vgpr64_vgpr65
                                        ; kill: killed $vgpr70_vgpr71
	global_load_ushort v68, v[86:87], off
	v_lshl_add_u64 v[4:5], s[8:9], 1, v[0:1]
	global_load_ushort v5, v[4:5], off
	s_waitcnt vmcnt(31)
	v_lshlrev_b32_e32 v67, 16, v98
	s_waitcnt vmcnt(30)
	v_lshlrev_b32_e32 v65, 16, v99
	;; [unrolled: 2-line block ×32, first 2 shown]
.LBB458_12:
	ds_read_b128 v[68:71], v3
	s_waitcnt vmcnt(15)
	v_lshlrev_b32_e32 v23, 16, v23
	ds_read_b128 v[72:75], v3 offset:16
	ds_read_b128 v[76:79], v3 offset:32
	;; [unrolled: 1-line block ×3, first 2 shown]
	s_waitcnt vmcnt(14)
	v_lshlrev_b32_e32 v22, 16, v22
	s_waitcnt vmcnt(13)
	v_lshlrev_b32_e32 v21, 16, v21
	s_waitcnt lgkmcnt(3)
	v_fma_f32 v23, v68, v23, 0
	v_fmac_f32_e32 v23, v69, v22
	v_fmac_f32_e32 v23, v70, v21
	s_waitcnt vmcnt(12)
	v_lshlrev_b32_e32 v20, 16, v20
	s_waitcnt vmcnt(10)
	v_lshlrev_b32_e32 v19, 16, v19
	v_lshlrev_b32_e32 v18, 16, v18
	v_fmac_f32_e32 v23, v71, v20
	s_waitcnt lgkmcnt(2)
	v_pk_mul_f32 v[18:19], v[72:73], v[18:19]
	s_waitcnt vmcnt(8)
	v_lshlrev_b32_e32 v17, 16, v17
	v_add_f32_e32 v18, v23, v18
	v_lshlrev_b32_e32 v16, 16, v16
	v_add_f32_e32 v18, v18, v19
	v_pk_mul_f32 v[16:17], v[74:75], v[16:17]
	s_andn2_b64 vcc, exec, s[4:5]
	v_add_f32_e32 v16, v18, v16
	v_add_f32_e32 v18, v16, v17
	s_waitcnt vmcnt(6)
	v_lshlrev_b32_e32 v17, 16, v31
	v_lshlrev_b32_e32 v16, 16, v30
	s_waitcnt lgkmcnt(1)
	v_pk_mul_f32 v[16:17], v[76:77], v[16:17]
	s_nop 0
	v_add_f32_e32 v16, v18, v16
	v_add_f32_e32 v18, v16, v17
	s_waitcnt vmcnt(4)
	v_lshlrev_b32_e32 v17, 16, v29
	v_lshlrev_b32_e32 v16, 16, v28
	v_pk_mul_f32 v[16:17], v[78:79], v[16:17]
	s_nop 0
	v_add_f32_e32 v16, v18, v16
	v_add_f32_e32 v18, v16, v17
	s_waitcnt vmcnt(2)
	v_lshlrev_b32_e32 v17, 16, v27
	v_lshlrev_b32_e32 v16, 16, v26
	s_waitcnt lgkmcnt(0)
	v_pk_mul_f32 v[16:17], v[80:81], v[16:17]
	s_nop 0
	v_add_f32_e32 v16, v18, v16
	v_add_f32_e32 v18, v16, v17
	s_waitcnt vmcnt(0)
	v_lshlrev_b32_e32 v17, 16, v25
	v_lshlrev_b32_e32 v16, 16, v24
	v_pk_mul_f32 v[16:17], v[82:83], v[16:17]
	s_nop 0
	v_add_f32_e32 v16, v18, v16
	v_add_f32_e32 v108, v16, v17
	s_cbranch_vccnz .LBB458_15
; %bb.13:
	ds_read_b128 v[16:19], v3 offset:64
	v_lshlrev_b32_e32 v39, 16, v39
	ds_read_b128 v[20:23], v3 offset:80
	ds_read_b128 v[24:27], v3 offset:96
	;; [unrolled: 1-line block ×3, first 2 shown]
	v_lshlrev_b32_e32 v3, 16, v38
	s_cmpk_lt_u32 s30, 0x2001
	s_waitcnt lgkmcnt(3)
	v_fmac_f32_e32 v108, v16, v39
	v_fmac_f32_e32 v108, v17, v3
	v_lshlrev_b32_e32 v3, 16, v37
	v_fmac_f32_e32 v108, v18, v3
	v_lshlrev_b32_e32 v3, 16, v36
	v_fmac_f32_e32 v108, v19, v3
	v_lshlrev_b32_e32 v3, 16, v35
	s_waitcnt lgkmcnt(2)
	v_fmac_f32_e32 v108, v20, v3
	v_lshlrev_b32_e32 v3, 16, v34
	v_fmac_f32_e32 v108, v21, v3
	v_lshlrev_b32_e32 v3, 16, v33
	v_fmac_f32_e32 v108, v22, v3
	v_lshlrev_b32_e32 v3, 16, v32
	v_fmac_f32_e32 v108, v23, v3
	v_lshlrev_b32_e32 v3, 16, v47
	s_waitcnt lgkmcnt(1)
	v_fmac_f32_e32 v108, v24, v3
	v_lshlrev_b32_e32 v3, 16, v46
	;; [unrolled: 9-line block ×3, first 2 shown]
	v_fmac_f32_e32 v108, v29, v3
	v_lshlrev_b32_e32 v3, 16, v41
	v_fmac_f32_e32 v108, v30, v3
	v_lshlrev_b32_e32 v3, 16, v40
	v_fmac_f32_e32 v108, v31, v3
	s_cbranch_scc1 .LBB458_15
; %bb.14:
	v_mov_b32_e32 v3, 0
	ds_read_b128 v[16:19], v3 offset:128
	ds_read_b128 v[20:23], v3 offset:144
	;; [unrolled: 1-line block ×4, first 2 shown]
	s_waitcnt lgkmcnt(3)
	v_fmac_f32_e32 v108, v16, v67
	v_fmac_f32_e32 v108, v17, v65
	v_fmac_f32_e32 v108, v18, v66
	v_fmac_f32_e32 v108, v19, v63
	s_waitcnt lgkmcnt(2)
	v_fmac_f32_e32 v108, v20, v64
	v_fmac_f32_e32 v108, v21, v61
	v_fmac_f32_e32 v108, v22, v62
	v_fmac_f32_e32 v108, v23, v59
	;; [unrolled: 5-line block ×3, first 2 shown]
	ds_read_b128 v[16:19], v3 offset:192
	ds_read_b128 v[20:23], v3 offset:208
	s_waitcnt lgkmcnt(2)
	v_fmac_f32_e32 v108, v28, v56
	v_fmac_f32_e32 v108, v29, v53
	;; [unrolled: 1-line block ×4, first 2 shown]
	s_waitcnt lgkmcnt(1)
	v_fmac_f32_e32 v108, v16, v51
	v_fmac_f32_e32 v108, v17, v49
	;; [unrolled: 1-line block ×4, first 2 shown]
	s_waitcnt lgkmcnt(0)
	v_pk_mul_f32 v[14:15], v[20:21], v[14:15]
	v_pk_mul_f32 v[12:13], v[22:23], v[12:13]
	v_add_f32_e32 v14, v108, v14
	v_add_f32_e32 v18, v14, v15
	ds_read_b128 v[14:17], v3 offset:224
	v_add_f32_e32 v12, v18, v12
	ds_read_b128 v[18:21], v3 offset:240
	v_add_f32_e32 v12, v12, v13
	s_waitcnt lgkmcnt(1)
	v_pk_mul_f32 v[10:11], v[14:15], v[10:11]
	s_nop 0
	v_add_f32_e32 v3, v12, v10
	v_add_f32_e32 v3, v3, v11
	v_pk_mul_f32 v[8:9], v[16:17], v[8:9]
	s_waitcnt lgkmcnt(0)
	v_pk_mul_f32 v[6:7], v[18:19], v[6:7]
	v_add_f32_e32 v3, v3, v8
	v_add_f32_e32 v3, v3, v9
	;; [unrolled: 1-line block ×4, first 2 shown]
	v_pk_mul_f32 v[4:5], v[20:21], v[4:5]
	s_nop 0
	v_add_f32_e32 v3, v3, v4
	v_add_f32_e32 v108, v3, v5
.LBB458_15:
	s_cmpk_lt_i32 s30, 0x4001
	s_cbranch_scc0 .LBB458_26
; %bb.16:
	s_load_dwordx2 s[4:5], s[0:1], 0x38
	s_cmp_lt_i32 s30, 0x8001
	s_cbranch_scc0 .LBB458_27
.LBB458_17:
	v_mov_b32_e32 v0, 0
	ds_read_b32 v0, v0 offset:768
	s_waitcnt lgkmcnt(0)
	s_cmp_eq_u64 s[4:5], 0
	s_cbranch_scc1 .LBB458_28
.LBB458_18:
	s_load_dword s6, s[4:5], 0x0
	s_waitcnt lgkmcnt(0)
	v_div_scale_f32 v1, s[4:5], s6, s6, 1.0
	v_rcp_f32_e32 v3, v1
	v_div_scale_f32 v4, vcc, 1.0, s6, 1.0
	v_fma_f32 v5, -v1, v3, 1.0
	v_fmac_f32_e32 v3, v5, v3
	v_mul_f32_e32 v5, v4, v3
	v_fma_f32 v6, -v1, v5, v4
	v_fmac_f32_e32 v5, v6, v3
	v_fma_f32 v1, -v1, v5, v4
	v_div_fmas_f32 v1, v1, v3, v5
	v_div_fixup_f32 v1, v1, s6, 1.0
	s_andn2_b64 vcc, exec, s[22:23]
	s_cbranch_vccnz .LBB458_20
.LBB458_19:
	s_add_u32 s4, s20, s24
	s_addc_u32 s5, s21, s25
	s_load_dword s10, s[4:5], 0x0
	s_mov_b32 s11, 0
.LBB458_20:
	s_waitcnt lgkmcnt(0)
	v_add_f32_e32 v0, 0x358637bd, v0
	v_div_scale_f32 v3, s[4:5], v0, v0, 1.0
	v_rcp_f32_e32 v4, v3
	s_load_dwordx2 s[0:1], s[0:1], 0x0
	s_mov_b32 s4, 0x7f800000
	v_fma_f32 v5, -v3, v4, 1.0
	v_fmac_f32_e32 v4, v5, v4
	v_div_scale_f32 v5, vcc, 1.0, v0, 1.0
	v_mul_f32_e32 v6, v5, v4
	v_fma_f32 v7, -v3, v6, v5
	v_fmac_f32_e32 v6, v7, v4
	v_fma_f32 v3, -v3, v6, v5
	v_div_fmas_f32 v3, v3, v4, v6
	v_div_fixup_f32 v0, v3, v0, 1.0
	v_mul_f32_e32 v0, v108, v0
	v_mul_f32_e32 v1, v0, v1
	v_and_b32_e32 v0, 0x7f800000, v1
	v_cmp_ne_u32_e32 vcc, s4, v0
                                        ; implicit-def: $vgpr0
	s_and_saveexec_b64 s[4:5], vcc
	s_xor_b64 s[4:5], exec, s[4:5]
; %bb.21:
	v_bfe_u32 v0, v1, 16, 1
	s_movk_i32 s6, 0x7fff
	v_add3_u32 v0, v1, v0, s6
                                        ; implicit-def: $vgpr1
; %bb.22:
	s_andn2_saveexec_b64 s[4:5], s[4:5]
; %bb.23:
	v_mov_b32_e32 v0, 0
	v_or_b32_e32 v3, 0x10000, v1
	v_cmp_eq_u32_sdwa vcc, v1, v0 src0_sel:WORD_0 src1_sel:DWORD
	s_nop 1
	v_cndmask_b32_e32 v0, v3, v1, vcc
; %bb.24:
	s_or_b64 exec, exec, s[4:5]
	s_mul_i32 s4, s3, s11
	s_mul_hi_u32 s5, s3, s10
	s_add_i32 s5, s5, s4
	s_mul_i32 s4, s3, s10
	s_lshl_b64 s[4:5], s[4:5], 7
	s_waitcnt lgkmcnt(0)
	s_add_u32 s4, s0, s4
	s_mov_b32 s3, 0
	s_addc_u32 s5, s1, s5
	s_lshl_b64 s[0:1], s[2:3], 7
	s_add_u32 s0, s4, s0
	s_addc_u32 s1, s5, s1
	global_store_short_d16_hi v2, v0, s[0:1]
	s_endpgm
.LBB458_25:
	s_mov_b64 s[6:7], 0
	s_branch .LBB458_2
.LBB458_26:
	s_cmpk_lt_i32 s30, 0x4101
	s_cselect_b32 s4, s6, 0x1040
	s_ashr_i32 s5, s4, 31
	s_cmpk_lt_i32 s30, 0x4201
	v_lshl_add_u64 v[94:95], s[4:5], 1, v[0:1]
	s_cselect_b32 s4, s6, 0x1080
	s_ashr_i32 s5, s4, 31
	s_cmpk_lt_i32 s30, 0x4301
	v_lshl_add_u64 v[90:91], s[4:5], 1, v[0:1]
	;; [unrolled: 4-line block ×36, first 2 shown]
	s_cselect_b32 s4, s6, 0x1940
	s_ashr_i32 s5, s4, 31
	s_movk_i32 s7, 0x2000
	s_cmpk_lt_i32 s30, 0x6601
	v_add_co_u32_e32 v70, vcc, s7, v0
	v_lshl_add_u64 v[44:45], s[4:5], 1, v[0:1]
	s_cselect_b32 s4, s6, 0x1980
	v_addc_co_u32_e32 v71, vcc, 0, v1, vcc
	s_ashr_i32 s5, s4, 31
	global_load_ushort v3, v[70:71], off
	global_load_ushort v114, v[76:77], off
	s_cmpk_lt_i32 s30, 0x6701
	global_load_ushort v109, v[94:95], off
	global_load_ushort v111, v[96:97], off
	v_lshl_add_u64 v[46:47], s[4:5], 1, v[0:1]
	s_cselect_b32 s4, s6, 0x19c0
	global_load_ushort v110, v[90:91], off
	s_ashr_i32 s5, s4, 31
	global_load_ushort v106, v[106:107], off
	s_cmpk_lt_i32 s30, 0x6801
	global_load_ushort v104, v[104:105], off
	v_lshl_add_u64 v[48:49], s[4:5], 1, v[0:1]
	s_cselect_b32 s4, s6, 0x1a00
	global_load_ushort v105, v[100:101], off
	global_load_ushort v107, v[102:103], off
	s_ashr_i32 s5, s4, 31
	s_cmpk_lt_i32 s30, 0x6901
	v_lshl_add_u64 v[50:51], s[4:5], 1, v[0:1]
	s_cselect_b32 s4, s6, 0x1a40
	global_load_ushort v98, v[98:99], off
	s_ashr_i32 s5, s4, 31
	global_load_ushort v99, v[92:93], off
	s_cmpk_lt_i32 s30, 0x6a01
	global_load_ushort v112, v[86:87], off
	v_lshl_add_u64 v[52:53], s[4:5], 1, v[0:1]
	global_load_ushort v88, v[88:89], off
	s_cselect_b32 s4, s6, 0x1a80
	s_ashr_i32 s5, s4, 31
	global_load_ushort v89, v[82:83], off
	s_cmpk_lt_i32 s30, 0x6b01
	global_load_ushort v84, v[84:85], off
	v_lshl_add_u64 v[54:55], s[4:5], 1, v[0:1]
	s_cselect_b32 s4, s6, 0x1ac0
	global_load_ushort v85, v[80:81], off
	global_load_ushort v113, v[78:79], off
	s_ashr_i32 s5, s4, 31
	s_cmpk_lt_i32 s30, 0x6c01
	v_lshl_add_u64 v[56:57], s[4:5], 1, v[0:1]
	s_cselect_b32 s4, s6, 0x1b00
	s_ashr_i32 s5, s4, 31
	s_cmpk_lt_i32 s30, 0x6d01
	v_lshl_add_u64 v[58:59], s[4:5], 1, v[0:1]
	s_cselect_b32 s4, s6, 0x1b40
	;; [unrolled: 4-line block ×20, first 2 shown]
	s_ashr_i32 s5, s4, 31
	v_lshl_add_u64 v[76:77], s[4:5], 1, v[0:1]
	global_load_ushort v115, v[4:5], off
	global_load_ushort v116, v[6:7], off
	;; [unrolled: 1-line block ×10, first 2 shown]
	v_mov_b32_e32 v80, 0
	global_load_ushort v81, v[8:9], off
	ds_read_b128 v[4:7], v80 offset:256
	ds_read_b128 v[76:79], v80 offset:272
	s_waitcnt vmcnt(27)
	v_lshlrev_b32_e32 v3, 16, v3
	global_load_ushort v82, v[10:11], off
	global_load_ushort v83, v[14:15], off
	ds_read_b128 v[8:11], v80 offset:288
	ds_read_b128 v[12:15], v80 offset:304
	s_waitcnt lgkmcnt(3)
	v_fmac_f32_e32 v108, v4, v3
	s_waitcnt vmcnt(27)
	v_lshlrev_b32_e32 v3, 16, v109
	v_fmac_f32_e32 v108, v5, v3
	s_waitcnt vmcnt(25)
	v_lshlrev_b32_e32 v4, 16, v110
	;; [unrolled: 3-line block ×4, first 2 shown]
	s_waitcnt lgkmcnt(2)
	v_fmac_f32_e32 v108, v76, v4
	s_waitcnt vmcnt(22)
	v_lshlrev_b32_e32 v4, 16, v105
	v_fmac_f32_e32 v108, v77, v4
	s_waitcnt vmcnt(21)
	v_lshlrev_b32_e32 v4, 16, v107
	v_fmac_f32_e32 v108, v78, v4
	v_lshlrev_b32_e32 v4, 16, v111
	v_fmac_f32_e32 v108, v79, v4
	s_waitcnt vmcnt(20)
	v_lshlrev_b32_e32 v4, 16, v98
	s_waitcnt lgkmcnt(1)
	v_fmac_f32_e32 v108, v8, v4
	s_waitcnt vmcnt(19)
	v_lshlrev_b32_e32 v4, 16, v99
	v_fmac_f32_e32 v108, v9, v4
	s_waitcnt vmcnt(18)
	v_lshlrev_b32_e32 v4, 16, v112
	;; [unrolled: 3-line block ×4, first 2 shown]
	s_waitcnt lgkmcnt(0)
	v_fmac_f32_e32 v108, v12, v4
	s_waitcnt vmcnt(15)
	v_lshlrev_b32_e32 v4, 16, v84
	global_load_ushort v16, v[16:17], off
	v_fmac_f32_e32 v108, v13, v4
	global_load_ushort v3, v[18:19], off
	global_load_ushort v12, v[52:53], off
	s_waitcnt vmcnt(17)
	v_lshlrev_b32_e32 v4, 16, v85
	v_fmac_f32_e32 v108, v14, v4
	s_waitcnt vmcnt(16)
	v_lshlrev_b32_e32 v4, 16, v113
	v_fmac_f32_e32 v108, v15, v4
	global_load_ushort v15, v[64:65], off
	global_load_ushort v17, v[20:21], off
	;; [unrolled: 1-line block ×6, first 2 shown]
	ds_read_b128 v[4:7], v80 offset:320
	ds_read_b128 v[8:11], v80 offset:336
	global_load_ushort v20, v[26:27], off
	global_load_ushort v21, v[28:29], off
	;; [unrolled: 1-line block ×17, first 2 shown]
	v_lshlrev_b32_e32 v36, 16, v114
	s_waitcnt lgkmcnt(1)
	v_fmac_f32_e32 v108, v4, v36
	global_load_ushort v36, v[68:69], off
	global_load_ushort v38, v[72:73], off
	;; [unrolled: 1-line block ×8, first 2 shown]
	s_waitcnt vmcnt(46)
	v_lshlrev_b32_e32 v4, 16, v115
	v_fmac_f32_e32 v108, v5, v4
	s_waitcnt vmcnt(45)
	v_lshlrev_b32_e32 v4, 16, v116
	v_fmac_f32_e32 v108, v6, v4
	;; [unrolled: 3-line block ×3, first 2 shown]
	s_waitcnt vmcnt(36)
	v_lshlrev_b32_e32 v4, 16, v81
	s_waitcnt lgkmcnt(0)
	v_fmac_f32_e32 v108, v8, v4
	s_waitcnt vmcnt(35)
	v_lshlrev_b32_e32 v4, 16, v82
	v_fmac_f32_e32 v108, v9, v4
	s_waitcnt vmcnt(34)
	v_lshlrev_b32_e32 v4, 16, v83
	v_fmac_f32_e32 v108, v10, v4
	ds_read_b128 v[4:7], v80 offset:352
	s_waitcnt vmcnt(33)
	v_lshlrev_b32_e32 v8, 16, v16
	v_fmac_f32_e32 v108, v11, v8
	ds_read_b128 v[8:11], v80 offset:368
	s_waitcnt vmcnt(32)
	v_lshlrev_b32_e32 v3, 16, v3
	s_waitcnt lgkmcnt(1)
	v_fmac_f32_e32 v108, v4, v3
	s_waitcnt vmcnt(29)
	v_lshlrev_b32_e32 v3, 16, v17
	v_fmac_f32_e32 v108, v5, v3
	s_waitcnt vmcnt(28)
	v_lshlrev_b32_e32 v3, 16, v18
	v_fmac_f32_e32 v108, v6, v3
	s_waitcnt vmcnt(27)
	v_lshlrev_b32_e32 v3, 16, v19
	v_fmac_f32_e32 v108, v7, v3
	ds_read_b128 v[4:7], v80 offset:384
	s_waitcnt vmcnt(24)
	v_lshlrev_b32_e32 v3, 16, v20
	s_waitcnt lgkmcnt(1)
	v_fmac_f32_e32 v108, v8, v3
	s_waitcnt vmcnt(23)
	v_lshlrev_b32_e32 v3, 16, v21
	v_fmac_f32_e32 v108, v9, v3
	s_waitcnt vmcnt(22)
	v_lshlrev_b32_e32 v3, 16, v22
	v_fmac_f32_e32 v108, v10, v3
	;; [unrolled: 14-line block ×3, first 2 shown]
	s_waitcnt vmcnt(17)
	v_lshlrev_b32_e32 v3, 16, v27
	v_fmac_f32_e32 v108, v7, v3
	s_waitcnt vmcnt(16)
	v_lshlrev_b32_e32 v3, 16, v28
	ds_read_b128 v[4:7], v80 offset:416
	s_waitcnt lgkmcnt(1)
	v_fmac_f32_e32 v108, v8, v3
	s_waitcnt vmcnt(15)
	v_lshlrev_b32_e32 v3, 16, v29
	v_fmac_f32_e32 v108, v9, v3
	s_waitcnt vmcnt(14)
	v_lshlrev_b32_e32 v3, 16, v30
	;; [unrolled: 3-line block ×3, first 2 shown]
	v_fmac_f32_e32 v108, v11, v3
	ds_read_b128 v[8:11], v80 offset:432
	s_waitcnt vmcnt(12)
	v_lshlrev_b32_e32 v3, 16, v32
	s_waitcnt lgkmcnt(1)
	v_fmac_f32_e32 v108, v4, v3
	v_lshlrev_b32_e32 v3, 16, v12
	v_fmac_f32_e32 v108, v5, v3
	s_waitcnt vmcnt(11)
	v_lshlrev_b32_e32 v3, 16, v33
	v_fmac_f32_e32 v108, v6, v3
	v_lshlrev_b32_e32 v3, 16, v13
	v_fmac_f32_e32 v108, v7, v3
	s_waitcnt vmcnt(10)
	v_lshlrev_b32_e32 v3, 16, v34
	s_waitcnt lgkmcnt(0)
	v_fmac_f32_e32 v108, v8, v3
	v_lshlrev_b32_e32 v3, 16, v14
	ds_read_b128 v[4:7], v80 offset:448
	v_fmac_f32_e32 v108, v9, v3
	s_waitcnt vmcnt(9)
	v_lshlrev_b32_e32 v3, 16, v35
	v_fmac_f32_e32 v108, v10, v3
	v_lshlrev_b32_e32 v3, 16, v15
	v_fmac_f32_e32 v108, v11, v3
	ds_read_b128 v[8:11], v80 offset:464
	s_waitcnt vmcnt(8)
	v_lshlrev_b32_e32 v3, 16, v37
	s_waitcnt lgkmcnt(1)
	v_fmac_f32_e32 v108, v4, v3
	s_waitcnt vmcnt(7)
	v_lshlrev_b32_e32 v3, 16, v36
	v_fmac_f32_e32 v108, v5, v3
	s_waitcnt vmcnt(6)
	v_lshlrev_b32_e32 v3, 16, v38
	;; [unrolled: 3-line block ×3, first 2 shown]
	s_waitcnt vmcnt(3)
	v_lshlrev_b32_e32 v5, 16, v41
	v_lshlrev_b32_e32 v4, 16, v40
	v_fmac_f32_e32 v108, v7, v3
	s_waitcnt lgkmcnt(0)
	v_pk_mul_f32 v[4:5], v[8:9], v[4:5]
	v_lshlrev_b32_e32 v13, 16, v117
	v_add_f32_e32 v3, v108, v4
	v_add_f32_e32 v3, v3, v5
	s_waitcnt vmcnt(1)
	v_lshlrev_b32_e32 v5, 16, v43
	v_lshlrev_b32_e32 v4, 16, v42
	v_pk_mul_f32 v[8:9], v[10:11], v[4:5]
	ds_read_b128 v[4:7], v80 offset:480
	v_add_f32_e32 v3, v3, v8
	s_waitcnt vmcnt(0)
	v_lshlrev_b32_e32 v12, 16, v44
	v_add_f32_e32 v3, v3, v9
	ds_read_b128 v[8:11], v80 offset:496
	s_waitcnt lgkmcnt(1)
	v_pk_mul_f32 v[4:5], v[4:5], v[12:13]
	s_nop 0
	v_add_f32_e32 v3, v3, v4
	v_add_f32_e32 v3, v3, v5
	v_lshlrev_b32_e32 v5, 16, v119
	v_lshlrev_b32_e32 v4, 16, v118
	v_pk_mul_f32 v[4:5], v[6:7], v[4:5]
	s_nop 0
	v_add_f32_e32 v3, v3, v4
	v_add_f32_e32 v3, v3, v5
	v_lshlrev_b32_e32 v5, 16, v121
	v_lshlrev_b32_e32 v4, 16, v120
	s_waitcnt lgkmcnt(0)
	v_pk_mul_f32 v[4:5], v[8:9], v[4:5]
	s_nop 0
	v_add_f32_e32 v3, v3, v4
	v_add_f32_e32 v3, v3, v5
	v_lshlrev_b32_e32 v5, 16, v123
	v_lshlrev_b32_e32 v4, 16, v122
	v_pk_mul_f32 v[4:5], v[10:11], v[4:5]
	s_nop 0
	v_add_f32_e32 v3, v3, v4
	v_add_f32_e32 v108, v3, v5
	s_load_dwordx2 s[4:5], s[0:1], 0x38
	s_cmp_lt_i32 s30, 0x8001
	s_cbranch_scc1 .LBB458_17
.LBB458_27:
	s_cmp_lt_i32 s30, 0x8101
	s_cselect_b32 s8, s6, 0x2040
	s_ashr_i32 s9, s8, 31
	s_cmp_lt_i32 s30, 0x8201
	v_lshl_add_u64 v[106:107], s[8:9], 1, v[0:1]
	s_cselect_b32 s8, s6, 0x2080
	s_ashr_i32 s9, s8, 31
	s_cmp_lt_i32 s30, 0x8301
	v_lshl_add_u64 v[86:87], s[8:9], 1, v[0:1]
	;; [unrolled: 4-line block ×35, first 2 shown]
	s_cselect_b32 s8, s6, 0x2900
	s_ashr_i32 s9, s8, 31
	s_movk_i32 s7, 0x4000
	s_cmp_lt_i32 s30, 0xa501
	v_add_co_u32_e32 v70, vcc, s7, v0
	v_lshl_add_u64 v[42:43], s[8:9], 1, v[0:1]
	s_cselect_b32 s8, s6, 0x2940
	v_addc_co_u32_e32 v71, vcc, 0, v1, vcc
	s_ashr_i32 s9, s8, 31
	global_load_ushort v3, v[70:71], off
	global_load_ushort v114, v[76:77], off
	s_cmp_lt_i32 s30, 0xa601
	v_lshl_add_u64 v[44:45], s[8:9], 1, v[0:1]
	s_cselect_b32 s8, s6, 0x2980
	s_ashr_i32 s9, s8, 31
	s_cmp_lt_i32 s30, 0xa701
	v_lshl_add_u64 v[46:47], s[8:9], 1, v[0:1]
	s_cselect_b32 s8, s6, 0x29c0
	global_load_ushort v106, v[106:107], off
	s_ashr_i32 s9, s8, 31
	global_load_ushort v110, v[102:103], off
	global_load_ushort v107, v[86:87], off
	global_load_ushort v112, v[88:89], off
	s_cmp_lt_i32 s30, 0xa801
	global_load_ushort v104, v[104:105], off
	v_lshl_add_u64 v[48:49], s[8:9], 1, v[0:1]
	global_load_ushort v105, v[100:101], off
	global_load_ushort v109, v[94:95], off
	;; [unrolled: 1-line block ×3, first 2 shown]
	s_cselect_b32 s8, s6, 0x2a00
	global_load_ushort v98, v[98:99], off
	s_ashr_i32 s9, s8, 31
	s_cmp_lt_i32 s30, 0xa901
	v_lshl_add_u64 v[50:51], s[8:9], 1, v[0:1]
	s_cselect_b32 s8, s6, 0x2a40
	s_ashr_i32 s9, s8, 31
	s_cmp_lt_i32 s30, 0xaa01
	global_load_ushort v99, v[92:93], off
	v_lshl_add_u64 v[52:53], s[8:9], 1, v[0:1]
	global_load_ushort v90, v[90:91], off
	s_cselect_b32 s8, s6, 0x2a80
	s_ashr_i32 s9, s8, 31
	s_cmp_lt_i32 s30, 0xab01
	global_load_ushort v91, v[82:83], off
	v_lshl_add_u64 v[54:55], s[8:9], 1, v[0:1]
	global_load_ushort v84, v[84:85], off
	s_cselect_b32 s8, s6, 0x2ac0
	s_ashr_i32 s9, s8, 31
	global_load_ushort v85, v[80:81], off
	global_load_ushort v113, v[78:79], off
	s_cmp_lt_i32 s30, 0xac01
	v_lshl_add_u64 v[56:57], s[8:9], 1, v[0:1]
	s_cselect_b32 s8, s6, 0x2b00
	s_ashr_i32 s9, s8, 31
	s_cmp_lt_i32 s30, 0xad01
	v_lshl_add_u64 v[58:59], s[8:9], 1, v[0:1]
	s_cselect_b32 s8, s6, 0x2b40
	s_ashr_i32 s9, s8, 31
	;; [unrolled: 4-line block ×19, first 2 shown]
	s_cmp_lt_i32 s30, 0xbf01
	s_cselect_b32 s6, s6, 0x2fc0
	s_ashr_i32 s7, s6, 31
	v_lshl_add_u64 v[78:79], s[8:9], 1, v[0:1]
	v_lshl_add_u64 v[0:1], s[6:7], 1, v[0:1]
	global_load_ushort v115, v[4:5], off
	global_load_ushort v116, v[6:7], off
	;; [unrolled: 1-line block ×10, first 2 shown]
	s_waitcnt vmcnt(26)
	v_lshlrev_b32_e32 v0, 16, v3
	v_mov_b32_e32 v3, 0
	global_load_ushort v1, v[8:9], off
	ds_read_b128 v[4:7], v3 offset:512
	ds_read_b128 v[76:79], v3 offset:528
	global_load_ushort v80, v[10:11], off
	global_load_ushort v81, v[14:15], off
	ds_read_b128 v[8:11], v3 offset:544
	ds_read_b128 v[12:15], v3 offset:560
	global_load_ushort v16, v[16:17], off
	s_waitcnt lgkmcnt(0)
	v_fmac_f32_e32 v108, v4, v0
	s_waitcnt vmcnt(28)
	v_lshlrev_b32_e32 v0, 16, v106
	v_fmac_f32_e32 v108, v5, v0
	global_load_ushort v0, v[18:19], off
	s_waitcnt vmcnt(27)
	v_lshlrev_b32_e32 v4, 16, v107
	v_fmac_f32_e32 v108, v6, v4
	s_waitcnt vmcnt(23)
	v_lshlrev_b32_e32 v4, 16, v109
	v_fmac_f32_e32 v108, v7, v4
	v_lshlrev_b32_e32 v4, 16, v104
	v_fmac_f32_e32 v108, v76, v4
	;; [unrolled: 2-line block ×4, first 2 shown]
	s_waitcnt vmcnt(22)
	v_lshlrev_b32_e32 v4, 16, v111
	v_fmac_f32_e32 v108, v79, v4
	s_waitcnt vmcnt(21)
	v_lshlrev_b32_e32 v4, 16, v98
	v_fmac_f32_e32 v108, v8, v4
	;; [unrolled: 3-line block ×3, first 2 shown]
	v_lshlrev_b32_e32 v4, 16, v112
	v_fmac_f32_e32 v108, v10, v4
	s_waitcnt vmcnt(19)
	v_lshlrev_b32_e32 v4, 16, v90
	v_fmac_f32_e32 v108, v11, v4
	s_waitcnt vmcnt(18)
	v_lshlrev_b32_e32 v4, 16, v91
	v_fmac_f32_e32 v108, v12, v4
	global_load_ushort v12, v[52:53], off
	s_waitcnt vmcnt(18)
	v_lshlrev_b32_e32 v4, 16, v84
	v_fmac_f32_e32 v108, v13, v4
	s_waitcnt vmcnt(17)
	v_lshlrev_b32_e32 v4, 16, v85
	v_fmac_f32_e32 v108, v14, v4
	;; [unrolled: 3-line block ×3, first 2 shown]
	global_load_ushort v15, v[64:65], off
	global_load_ushort v17, v[20:21], off
	;; [unrolled: 1-line block ×6, first 2 shown]
	ds_read_b128 v[4:7], v3 offset:576
	ds_read_b128 v[8:11], v3 offset:592
	global_load_ushort v20, v[26:27], off
	global_load_ushort v21, v[28:29], off
	;; [unrolled: 1-line block ×17, first 2 shown]
	v_lshlrev_b32_e32 v36, 16, v114
	s_waitcnt lgkmcnt(1)
	v_fmac_f32_e32 v108, v4, v36
	global_load_ushort v36, v[68:69], off
	global_load_ushort v38, v[72:73], off
	;; [unrolled: 1-line block ×8, first 2 shown]
	s_waitcnt vmcnt(46)
	v_lshlrev_b32_e32 v4, 16, v115
	v_fmac_f32_e32 v108, v5, v4
	s_waitcnt vmcnt(45)
	v_lshlrev_b32_e32 v4, 16, v116
	v_fmac_f32_e32 v108, v6, v4
	s_waitcnt vmcnt(37)
	v_lshlrev_b32_e32 v4, 16, v124
	v_fmac_f32_e32 v108, v7, v4
	ds_read_b128 v[4:7], v3 offset:608
	s_waitcnt vmcnt(36)
	v_lshlrev_b32_e32 v1, 16, v1
	s_waitcnt lgkmcnt(1)
	v_fmac_f32_e32 v108, v8, v1
	s_waitcnt vmcnt(35)
	v_lshlrev_b32_e32 v1, 16, v80
	v_fmac_f32_e32 v108, v9, v1
	s_waitcnt vmcnt(34)
	v_lshlrev_b32_e32 v1, 16, v81
	v_fmac_f32_e32 v108, v10, v1
	s_waitcnt vmcnt(33)
	v_lshlrev_b32_e32 v1, 16, v16
	v_fmac_f32_e32 v108, v11, v1
	ds_read_b128 v[8:11], v3 offset:624
	s_waitcnt vmcnt(32)
	v_lshlrev_b32_e32 v0, 16, v0
	s_waitcnt lgkmcnt(1)
	v_fmac_f32_e32 v108, v4, v0
	s_waitcnt vmcnt(29)
	v_lshlrev_b32_e32 v0, 16, v17
	v_fmac_f32_e32 v108, v5, v0
	s_waitcnt vmcnt(28)
	v_lshlrev_b32_e32 v0, 16, v18
	v_fmac_f32_e32 v108, v6, v0
	s_waitcnt vmcnt(27)
	v_lshlrev_b32_e32 v0, 16, v19
	v_fmac_f32_e32 v108, v7, v0
	ds_read_b128 v[4:7], v3 offset:640
	s_waitcnt vmcnt(24)
	v_lshlrev_b32_e32 v0, 16, v20
	s_waitcnt lgkmcnt(1)
	v_fmac_f32_e32 v108, v8, v0
	s_waitcnt vmcnt(23)
	v_lshlrev_b32_e32 v0, 16, v21
	v_fmac_f32_e32 v108, v9, v0
	s_waitcnt vmcnt(22)
	v_lshlrev_b32_e32 v0, 16, v22
	v_fmac_f32_e32 v108, v10, v0
	s_waitcnt vmcnt(21)
	v_lshlrev_b32_e32 v0, 16, v23
	v_fmac_f32_e32 v108, v11, v0
	ds_read_b128 v[8:11], v3 offset:656
	s_waitcnt vmcnt(20)
	v_lshlrev_b32_e32 v0, 16, v24
	s_waitcnt lgkmcnt(1)
	v_fmac_f32_e32 v108, v4, v0
	s_waitcnt vmcnt(19)
	v_lshlrev_b32_e32 v0, 16, v25
	v_fmac_f32_e32 v108, v5, v0
	s_waitcnt vmcnt(18)
	v_lshlrev_b32_e32 v0, 16, v26
	v_fmac_f32_e32 v108, v6, v0
	;; [unrolled: 3-line block ×3, first 2 shown]
	s_waitcnt vmcnt(16)
	v_lshlrev_b32_e32 v0, 16, v28
	ds_read_b128 v[4:7], v3 offset:672
	s_waitcnt lgkmcnt(1)
	v_fmac_f32_e32 v108, v8, v0
	s_waitcnt vmcnt(15)
	v_lshlrev_b32_e32 v0, 16, v29
	v_fmac_f32_e32 v108, v9, v0
	s_waitcnt vmcnt(14)
	v_lshlrev_b32_e32 v0, 16, v30
	;; [unrolled: 3-line block ×3, first 2 shown]
	v_fmac_f32_e32 v108, v11, v0
	ds_read_b128 v[8:11], v3 offset:688
	s_waitcnt vmcnt(12)
	v_lshlrev_b32_e32 v0, 16, v32
	s_waitcnt lgkmcnt(1)
	v_fmac_f32_e32 v108, v4, v0
	v_lshlrev_b32_e32 v0, 16, v12
	v_fmac_f32_e32 v108, v5, v0
	s_waitcnt vmcnt(11)
	v_lshlrev_b32_e32 v0, 16, v33
	v_fmac_f32_e32 v108, v6, v0
	v_lshlrev_b32_e32 v0, 16, v13
	v_fmac_f32_e32 v108, v7, v0
	s_waitcnt vmcnt(10)
	v_lshlrev_b32_e32 v0, 16, v34
	ds_read_b128 v[4:7], v3 offset:704
	s_waitcnt lgkmcnt(1)
	v_fmac_f32_e32 v108, v8, v0
	v_lshlrev_b32_e32 v0, 16, v14
	v_fmac_f32_e32 v108, v9, v0
	s_waitcnt vmcnt(9)
	v_lshlrev_b32_e32 v0, 16, v35
	v_fmac_f32_e32 v108, v10, v0
	v_lshlrev_b32_e32 v0, 16, v15
	v_fmac_f32_e32 v108, v11, v0
	ds_read_b128 v[8:11], v3 offset:720
	s_waitcnt vmcnt(8)
	v_lshlrev_b32_e32 v0, 16, v37
	s_waitcnt lgkmcnt(1)
	v_fmac_f32_e32 v108, v4, v0
	s_waitcnt vmcnt(7)
	v_lshlrev_b32_e32 v0, 16, v36
	v_fmac_f32_e32 v108, v5, v0
	s_waitcnt vmcnt(6)
	v_lshlrev_b32_e32 v0, 16, v38
	;; [unrolled: 3-line block ×4, first 2 shown]
	v_lshlrev_b32_e32 v0, 16, v40
	s_waitcnt lgkmcnt(0)
	v_pk_mul_f32 v[0:1], v[8:9], v[0:1]
	s_nop 0
	v_add_f32_e32 v0, v108, v0
	v_add_f32_e32 v4, v0, v1
	s_waitcnt vmcnt(1)
	v_lshlrev_b32_e32 v1, 16, v43
	v_lshlrev_b32_e32 v0, 16, v42
	v_pk_mul_f32 v[0:1], v[10:11], v[0:1]
	ds_read_b128 v[8:11], v3 offset:752
	v_add_f32_e32 v0, v4, v0
	ds_read_b128 v[4:7], v3 offset:736
	v_add_f32_e32 v12, v0, v1
	v_lshlrev_b32_e32 v1, 16, v117
	s_waitcnt vmcnt(0)
	v_lshlrev_b32_e32 v0, 16, v44
	s_waitcnt lgkmcnt(0)
	v_pk_mul_f32 v[0:1], v[4:5], v[0:1]
	s_nop 0
	v_add_f32_e32 v0, v12, v0
	v_add_f32_e32 v3, v0, v1
	v_lshlrev_b32_e32 v1, 16, v119
	v_lshlrev_b32_e32 v0, 16, v118
	v_pk_mul_f32 v[0:1], v[6:7], v[0:1]
	s_nop 0
	v_add_f32_e32 v0, v3, v0
	v_add_f32_e32 v3, v0, v1
	v_lshlrev_b32_e32 v1, 16, v121
	v_lshlrev_b32_e32 v0, 16, v120
	;; [unrolled: 6-line block ×3, first 2 shown]
	v_pk_mul_f32 v[0:1], v[10:11], v[0:1]
	s_nop 0
	v_add_f32_e32 v0, v3, v0
	v_add_f32_e32 v108, v0, v1
	v_mov_b32_e32 v0, 0
	ds_read_b32 v0, v0 offset:768
	s_cmp_eq_u64 s[4:5], 0
	s_cbranch_scc0 .LBB458_18
.LBB458_28:
	v_mov_b32_e32 v1, 1.0
	s_andn2_b64 vcc, exec, s[22:23]
	s_cbranch_vccz .LBB458_19
	s_branch .LBB458_20
	.section	.rodata,"a",@progbits
	.p2align	6, 0x0
	.amdhsa_kernel _Z35paged_attention_ll4mi_reduce_kernelI14__hip_bfloat16S0_Li64ELi64ELi256ELi3EEvPT0_PKfS4_PKT_PKiS9_iS4_
		.amdhsa_group_segment_fixed_size 772
		.amdhsa_private_segment_fixed_size 0
		.amdhsa_kernarg_size 320
		.amdhsa_user_sgpr_count 2
		.amdhsa_user_sgpr_dispatch_ptr 0
		.amdhsa_user_sgpr_queue_ptr 0
		.amdhsa_user_sgpr_kernarg_segment_ptr 1
		.amdhsa_user_sgpr_dispatch_id 0
		.amdhsa_user_sgpr_kernarg_preload_length 0
		.amdhsa_user_sgpr_kernarg_preload_offset 0
		.amdhsa_user_sgpr_private_segment_size 0
		.amdhsa_uses_dynamic_stack 0
		.amdhsa_enable_private_segment 0
		.amdhsa_system_sgpr_workgroup_id_x 1
		.amdhsa_system_sgpr_workgroup_id_y 1
		.amdhsa_system_sgpr_workgroup_id_z 0
		.amdhsa_system_sgpr_workgroup_info 0
		.amdhsa_system_vgpr_workitem_id 0
		.amdhsa_next_free_vgpr 125
		.amdhsa_next_free_sgpr 36
		.amdhsa_accum_offset 128
		.amdhsa_reserve_vcc 1
		.amdhsa_float_round_mode_32 0
		.amdhsa_float_round_mode_16_64 0
		.amdhsa_float_denorm_mode_32 3
		.amdhsa_float_denorm_mode_16_64 3
		.amdhsa_dx10_clamp 1
		.amdhsa_ieee_mode 1
		.amdhsa_fp16_overflow 0
		.amdhsa_tg_split 0
		.amdhsa_exception_fp_ieee_invalid_op 0
		.amdhsa_exception_fp_denorm_src 0
		.amdhsa_exception_fp_ieee_div_zero 0
		.amdhsa_exception_fp_ieee_overflow 0
		.amdhsa_exception_fp_ieee_underflow 0
		.amdhsa_exception_fp_ieee_inexact 0
		.amdhsa_exception_int_div_zero 0
	.end_amdhsa_kernel
	.section	.text._Z35paged_attention_ll4mi_reduce_kernelI14__hip_bfloat16S0_Li64ELi64ELi256ELi3EEvPT0_PKfS4_PKT_PKiS9_iS4_,"axG",@progbits,_Z35paged_attention_ll4mi_reduce_kernelI14__hip_bfloat16S0_Li64ELi64ELi256ELi3EEvPT0_PKfS4_PKT_PKiS9_iS4_,comdat
.Lfunc_end458:
	.size	_Z35paged_attention_ll4mi_reduce_kernelI14__hip_bfloat16S0_Li64ELi64ELi256ELi3EEvPT0_PKfS4_PKT_PKiS9_iS4_, .Lfunc_end458-_Z35paged_attention_ll4mi_reduce_kernelI14__hip_bfloat16S0_Li64ELi64ELi256ELi3EEvPT0_PKfS4_PKT_PKiS9_iS4_
                                        ; -- End function
	.section	.AMDGPU.csdata,"",@progbits
; Kernel info:
; codeLenInByte = 11452
; NumSgprs: 42
; NumVgprs: 125
; NumAgprs: 0
; TotalNumVgprs: 125
; ScratchSize: 0
; MemoryBound: 0
; FloatMode: 240
; IeeeMode: 1
; LDSByteSize: 772 bytes/workgroup (compile time only)
; SGPRBlocks: 5
; VGPRBlocks: 15
; NumSGPRsForWavesPerEU: 42
; NumVGPRsForWavesPerEU: 125
; AccumOffset: 128
; Occupancy: 4
; WaveLimiterHint : 1
; COMPUTE_PGM_RSRC2:SCRATCH_EN: 0
; COMPUTE_PGM_RSRC2:USER_SGPR: 2
; COMPUTE_PGM_RSRC2:TRAP_HANDLER: 0
; COMPUTE_PGM_RSRC2:TGID_X_EN: 1
; COMPUTE_PGM_RSRC2:TGID_Y_EN: 1
; COMPUTE_PGM_RSRC2:TGID_Z_EN: 0
; COMPUTE_PGM_RSRC2:TIDIG_COMP_CNT: 0
; COMPUTE_PGM_RSRC3_GFX90A:ACCUM_OFFSET: 31
; COMPUTE_PGM_RSRC3_GFX90A:TG_SPLIT: 0
	.section	.text._Z35paged_attention_ll4mi_reduce_kernelI14__hip_bfloat16S0_Li64ELi64ELi256ELi4EEvPT0_PKfS4_PKT_PKiS9_iS4_,"axG",@progbits,_Z35paged_attention_ll4mi_reduce_kernelI14__hip_bfloat16S0_Li64ELi64ELi256ELi4EEvPT0_PKfS4_PKT_PKiS9_iS4_,comdat
	.protected	_Z35paged_attention_ll4mi_reduce_kernelI14__hip_bfloat16S0_Li64ELi64ELi256ELi4EEvPT0_PKfS4_PKT_PKiS9_iS4_ ; -- Begin function _Z35paged_attention_ll4mi_reduce_kernelI14__hip_bfloat16S0_Li64ELi64ELi256ELi4EEvPT0_PKfS4_PKT_PKiS9_iS4_
	.globl	_Z35paged_attention_ll4mi_reduce_kernelI14__hip_bfloat16S0_Li64ELi64ELi256ELi4EEvPT0_PKfS4_PKT_PKiS9_iS4_
	.p2align	8
	.type	_Z35paged_attention_ll4mi_reduce_kernelI14__hip_bfloat16S0_Li64ELi64ELi256ELi4EEvPT0_PKfS4_PKT_PKiS9_iS4_,@function
_Z35paged_attention_ll4mi_reduce_kernelI14__hip_bfloat16S0_Li64ELi64ELi256ELi4EEvPT0_PKfS4_PKT_PKiS9_iS4_: ; @_Z35paged_attention_ll4mi_reduce_kernelI14__hip_bfloat16S0_Li64ELi64ELi256ELi4EEvPT0_PKfS4_PKT_PKiS9_iS4_
; %bb.0:
	s_load_dwordx2 s[22:23], s[0:1], 0x28
	s_mov_b32 s20, s3
	s_mov_b64 s[4:5], 0
	s_waitcnt lgkmcnt(0)
	s_cmp_lg_u64 s[22:23], 0
	s_cselect_b64 s[24:25], -1, 0
	s_and_b64 vcc, exec, s[24:25]
	s_cbranch_vccz .LBB459_27
; %bb.1:
	s_add_i32 s6, s20, 1
	s_mov_b32 s7, 0
	s_lshl_b64 s[8:9], s[6:7], 2
	s_add_u32 s8, s22, s8
	s_mov_b32 s21, s7
	s_addc_u32 s9, s23, s9
	s_lshl_b64 s[6:7], s[20:21], 2
	s_add_u32 s6, s22, s6
	s_addc_u32 s7, s23, s7
	s_load_dword s3, s[8:9], 0x0
	s_load_dword s10, s[6:7], 0x0
	s_waitcnt lgkmcnt(0)
	s_sub_i32 s3, s3, s10
	s_cmp_eq_u32 s3, 1
	s_cselect_b64 s[6:7], -1, 0
	s_andn2_b64 vcc, exec, s[4:5]
	s_cbranch_vccnz .LBB459_3
.LBB459_2:
	s_mov_b32 s21, 0
	s_mov_b64 s[6:7], -1
.LBB459_3:
	s_andn2_b64 vcc, exec, s[6:7]
	s_cbranch_vccz .LBB459_5
; %bb.4:
	s_endpgm
.LBB459_5:
	s_load_dwordx4 s[12:15], s[0:1], 0x18
	s_load_dword s8, s[0:1], 0x30
	s_lshl_b64 s[26:27], s[20:21], 2
	v_cmp_lt_u32_e32 vcc, 63, v0
	s_waitcnt lgkmcnt(0)
	s_add_u32 s4, s14, s26
	s_addc_u32 s5, s15, s27
	s_load_dword s34, s[4:5], 0x0
	s_load_dword s3, s[0:1], 0x40
	s_mul_i32 s14, s2, s8
	s_mul_i32 s6, s20, s8
	s_waitcnt lgkmcnt(0)
	s_add_i32 s7, s34, 0xff
	s_ashr_i32 s4, s7, 31
	s_lshr_b32 s4, s4, 24
	s_add_i32 s7, s7, s4
	s_and_saveexec_b64 s[4:5], vcc
	s_xor_b64 s[4:5], exec, s[4:5]
	s_or_saveexec_b64 s[28:29], s[4:5]
	s_ashr_i32 s33, s7, 8
	v_mov_b32_e32 v1, s14
	s_mul_i32 s30, s6, s3
	s_xor_b64 exec, exec, s[28:29]
	s_cbranch_execz .LBB459_9
; %bb.6:
	s_load_dwordx4 s[16:19], s[0:1], 0x8
	s_add_i32 s4, s33, -1
	v_or_b32_e32 v3, 64, v0
	v_mov_b32_e32 v1, s4
	v_cmp_gt_u32_e64 s[8:9], s33, v3
	s_mov_b32 s31, 0
	s_lshl_b64 s[36:37], s[30:31], 2
	v_cndmask_b32_e64 v4, v1, v3, s[8:9]
	v_or_b32_e32 v3, 0x80, v0
	v_cmp_gt_u32_e64 s[4:5], s33, v3
	s_mov_b32 s15, s31
	v_cmp_gt_u32_e64 s[6:7], s33, v0
	v_cndmask_b32_e64 v6, v1, v3, s[4:5]
	v_or_b32_e32 v3, 0xc0, v0
	s_waitcnt lgkmcnt(0)
	s_add_u32 s10, s18, s36
	v_cndmask_b32_e64 v2, v1, v0, s[6:7]
	v_cmp_gt_u32_e32 vcc, s33, v3
	s_addc_u32 s11, s19, s37
	s_lshl_b64 s[18:19], s[14:15], 2
	v_cndmask_b32_e32 v8, v1, v3, vcc
	s_add_u32 s10, s10, s18
	v_ashrrev_i32_e32 v3, 31, v2
	s_addc_u32 s11, s11, s19
	v_lshlrev_b64 v[2:3], 2, v[2:3]
	v_ashrrev_i32_e32 v5, 31, v4
	v_lshl_add_u64 v[10:11], s[10:11], 0, v[2:3]
	v_lshlrev_b64 v[4:5], 2, v[4:5]
	v_ashrrev_i32_e32 v7, 31, v6
	v_lshl_add_u64 v[12:13], s[10:11], 0, v[4:5]
	v_lshlrev_b64 v[6:7], 2, v[6:7]
	v_ashrrev_i32_e32 v9, 31, v8
	global_load_dword v1, v[10:11], off
	global_load_dword v16, v[12:13], off
	v_lshl_add_u64 v[14:15], s[10:11], 0, v[6:7]
	v_lshlrev_b64 v[8:9], 2, v[8:9]
	v_lshl_add_u64 v[10:11], s[10:11], 0, v[8:9]
	global_load_dword v12, v[14:15], off
	global_load_dword v13, v[10:11], off
	v_mbcnt_lo_u32_b32 v10, -1, 0
	v_mbcnt_hi_u32_b32 v10, -1, v10
	v_and_b32_e32 v11, 64, v10
	v_xor_b32_e32 v14, 32, v10
	v_add_u32_e32 v11, 64, v11
	v_cmp_lt_i32_e64 s[10:11], v14, v11
	v_xor_b32_e32 v15, 16, v10
	v_xor_b32_e32 v17, 8, v10
	v_cndmask_b32_e64 v14, v10, v14, s[10:11]
	v_cmp_lt_i32_e64 s[10:11], v15, v11
	v_lshlrev_b32_e32 v14, 2, v14
	v_xor_b32_e32 v18, 4, v10
	v_cndmask_b32_e64 v15, v10, v15, s[10:11]
	s_add_u32 s10, s16, s36
	s_addc_u32 s11, s17, s37
	s_add_u32 s16, s10, s18
	s_addc_u32 s17, s11, s19
	v_lshl_add_u64 v[2:3], s[16:17], 0, v[2:3]
	v_lshl_add_u64 v[4:5], s[16:17], 0, v[4:5]
	global_load_dword v22, v[2:3], off
	global_load_dword v23, v[4:5], off
	v_lshlrev_b32_e32 v15, 2, v15
	v_cmp_lt_i32_e64 s[10:11], v17, v11
	v_xor_b32_e32 v19, 2, v10
	s_mov_b32 s15, 0x3fb8aa3b
	v_cndmask_b32_e64 v4, v10, v17, s[10:11]
	v_lshlrev_b32_e32 v17, 2, v4
	v_cmp_lt_i32_e64 s[10:11], v18, v11
	s_waitcnt vmcnt(5)
	v_max_f32_e32 v21, v1, v1
	s_waitcnt vmcnt(4)
	v_max_f32_e32 v20, v16, v16
	v_max_f32_e32 v20, v21, v20
	v_cndmask_b32_e64 v5, v10, v18, s[10:11]
	v_cmp_lt_i32_e64 s[10:11], v19, v11
	s_waitcnt vmcnt(2)
	v_max3_f32 v20, v20, v12, v13
	ds_bpermute_b32 v21, v14, v20
	v_cndmask_b32_e64 v4, v10, v19, s[10:11]
	v_lshlrev_b32_e32 v18, 2, v5
	v_lshlrev_b32_e32 v19, 2, v4
	v_lshl_add_u64 v[4:5], s[16:17], 0, v[8:9]
	s_waitcnt lgkmcnt(0)
	v_max_f32_e32 v2, v21, v21
	v_max_f32_e32 v2, v20, v2
	ds_bpermute_b32 v3, v15, v2
	s_waitcnt lgkmcnt(0)
	v_max_f32_e32 v3, v3, v3
	v_max_f32_e32 v2, v2, v3
	ds_bpermute_b32 v3, v17, v2
	s_waitcnt lgkmcnt(0)
	v_max_f32_e32 v3, v3, v3
	v_max_f32_e32 v20, v2, v3
	v_lshl_add_u64 v[2:3], s[16:17], 0, v[6:7]
	global_load_dword v6, v[2:3], off
	global_load_dword v7, v[4:5], off
	ds_bpermute_b32 v21, v18, v20
	v_xor_b32_e32 v4, 1, v10
	v_cmp_lt_i32_e64 s[10:11], v4, v11
	s_mov_b32 s16, 0xc2ce8ed0
	s_mov_b32 s17, 0x42b17218
	s_waitcnt lgkmcnt(0)
	v_max_f32_e32 v2, v21, v21
	v_max_f32_e32 v2, v20, v2
	ds_bpermute_b32 v3, v19, v2
	v_cndmask_b32_e64 v4, v10, v4, s[10:11]
	v_lshlrev_b32_e32 v4, 2, v4
	v_mov_b32_e32 v5, 0x7f800000
	s_waitcnt lgkmcnt(0)
	v_max_f32_e32 v3, v3, v3
	v_max_f32_e32 v2, v2, v3
	ds_bpermute_b32 v3, v4, v2
	s_waitcnt lgkmcnt(0)
	v_max_f32_e32 v3, v3, v3
	v_max_f32_e32 v2, v2, v3
	v_sub_f32_e32 v1, v1, v2
	v_sub_f32_e32 v3, v16, v2
	v_mul_f32_e32 v9, 0x3fb8aa3b, v1
	v_sub_f32_e32 v8, v12, v2
	v_mul_f32_e32 v10, 0x3fb8aa3b, v3
	v_fma_f32 v12, v1, s15, -v9
	v_rndne_f32_e32 v16, v9
	v_mul_f32_e32 v11, 0x3fb8aa3b, v8
	v_fma_f32 v20, v3, s15, -v10
	v_rndne_f32_e32 v21, v10
	v_fmac_f32_e32 v12, 0x32a5705f, v1
	v_sub_f32_e32 v9, v9, v16
	v_fma_f32 v24, v8, s15, -v11
	v_rndne_f32_e32 v25, v11
	v_fmac_f32_e32 v20, 0x32a5705f, v3
	v_sub_f32_e32 v10, v10, v21
	v_add_f32_e32 v9, v9, v12
	v_cvt_i32_f32_e32 v16, v16
	v_fmac_f32_e32 v24, 0x32a5705f, v8
	v_sub_f32_e32 v11, v11, v25
	v_add_f32_e32 v10, v10, v20
	v_exp_f32_e32 v9, v9
	v_cvt_i32_f32_e32 v21, v21
	v_add_f32_e32 v11, v11, v24
	v_exp_f32_e32 v10, v10
	v_cvt_i32_f32_e32 v25, v25
	v_exp_f32_e32 v11, v11
	v_ldexp_f32 v9, v9, v16
	v_cmp_ngt_f32_e64 s[10:11], s16, v1
	v_ldexp_f32 v10, v10, v21
	v_ldexp_f32 v11, v11, v25
	v_cndmask_b32_e64 v9, 0, v9, s[10:11]
	v_cmp_ngt_f32_e64 s[10:11], s16, v3
	v_sub_f32_e32 v2, v13, v2
	s_nop 0
	v_cndmask_b32_e64 v10, 0, v10, s[10:11]
	v_cmp_ngt_f32_e64 s[10:11], s16, v8
	s_nop 1
	v_cndmask_b32_e64 v11, 0, v11, s[10:11]
	v_cmp_nlt_f32_e64 s[10:11], s17, v1
	s_nop 1
	v_cndmask_b32_e64 v1, v5, v9, s[10:11]
	v_cmp_nlt_f32_e64 s[10:11], s17, v3
	v_cndmask_b32_e64 v1, 0, v1, s[6:7]
	v_cmp_nlt_f32_e64 s[6:7], s17, v8
	v_cndmask_b32_e64 v3, v5, v10, s[10:11]
	v_mul_f32_e32 v10, 0x3fb8aa3b, v2
	v_fma_f32 v12, v2, s15, -v10
	v_rndne_f32_e32 v13, v10
	v_fmac_f32_e32 v12, 0x32a5705f, v2
	v_sub_f32_e32 v10, v10, v13
	v_add_f32_e32 v10, v10, v12
	v_exp_f32_e32 v10, v10
	v_cvt_i32_f32_e32 v12, v13
	v_cndmask_b32_e64 v8, v5, v11, s[6:7]
	v_cndmask_b32_e64 v8, 0, v8, s[4:5]
	v_cmp_ngt_f32_e64 s[4:5], s16, v2
	v_ldexp_f32 v10, v10, v12
	v_cndmask_b32_e64 v3, 0, v3, s[8:9]
	v_cndmask_b32_e64 v10, 0, v10, s[4:5]
	v_cmp_nlt_f32_e64 s[4:5], s17, v2
	s_waitcnt vmcnt(3)
	v_mul_f32_e32 v1, v22, v1
	s_waitcnt vmcnt(2)
	v_mul_f32_e32 v9, v23, v3
	v_cndmask_b32_e64 v2, v5, v10, s[4:5]
	v_lshlrev_b32_e32 v10, 2, v0
	ds_write2st64_b32 v10, v1, v9 offset1:1
	v_fmac_f32_e32 v1, v23, v3
	v_cndmask_b32_e32 v5, 0, v2, vcc
	s_waitcnt vmcnt(1)
	v_fmac_f32_e32 v1, v6, v8
	s_waitcnt vmcnt(0)
	v_fmac_f32_e32 v1, v7, v5
	ds_bpermute_b32 v2, v14, v1
	v_mul_f32_e32 v3, v6, v8
	v_cmp_eq_u32_e32 vcc, 0, v0
	s_waitcnt lgkmcnt(0)
	v_add_f32_e32 v1, v1, v2
	ds_bpermute_b32 v2, v15, v1
	s_waitcnt lgkmcnt(0)
	v_add_f32_e32 v1, v1, v2
	ds_bpermute_b32 v2, v17, v1
	;; [unrolled: 3-line block ×5, first 2 shown]
	v_mul_f32_e32 v4, v7, v5
	ds_write2st64_b32 v10, v3, v4 offset0:2 offset1:3
	s_and_saveexec_b64 s[4:5], vcc
	s_cbranch_execz .LBB459_8
; %bb.7:
	s_waitcnt lgkmcnt(1)
	v_add_f32_e32 v1, v1, v2
	v_mov_b32_e32 v2, 0
	ds_write_b32 v2, v1 offset:1024
.LBB459_8:
	s_or_b64 exec, exec, s[4:5]
	v_mov_b32_e32 v1, s14
.LBB459_9:
	s_or_b64 exec, exec, s[28:29]
	s_lshl_b32 s4, s30, 6
	s_mov_b32 s5, 0
	s_lshl_b64 s[4:5], s[4:5], 1
	s_add_u32 s4, s12, s4
	s_addc_u32 s5, s13, s5
	s_lshl_b32 s10, s33, 6
	s_sub_i32 s11, s10, 64
	s_waitcnt lgkmcnt(1)
	v_lshlrev_b32_e32 v2, 6, v1
	v_mov_b32_e32 v3, 0
	s_cmp_lt_i32 s34, 1
	v_lshl_add_u64 v[4:5], v[2:3], 1, s[4:5]
	s_cselect_b32 s4, s11, 0
	v_lshlrev_b32_e32 v2, 1, v0
	s_ashr_i32 s5, s4, 31
	v_lshl_add_u64 v[0:1], v[4:5], 0, v[2:3]
	s_cmpk_lt_i32 s34, 0x101
	v_lshl_add_u64 v[4:5], s[4:5], 1, v[0:1]
	s_cselect_b32 s4, s11, 64
	s_ashr_i32 s5, s4, 31
	s_cmpk_lt_i32 s34, 0x201
	v_lshl_add_u64 v[6:7], s[4:5], 1, v[0:1]
	s_cselect_b32 s4, s11, 0x80
	s_ashr_i32 s5, s4, 31
	;; [unrolled: 4-line block ×8, first 2 shown]
	s_cmpk_lt_i32 s34, 0x901
	global_load_ushort v23, v[4:5], off
	global_load_ushort v22, v[6:7], off
	;; [unrolled: 1-line block ×8, first 2 shown]
	v_lshl_add_u64 v[4:5], s[4:5], 1, v[0:1]
	s_cselect_b32 s4, s11, 0x240
	s_ashr_i32 s5, s4, 31
	s_cmpk_lt_i32 s34, 0xa01
	v_lshl_add_u64 v[6:7], s[4:5], 1, v[0:1]
	s_cselect_b32 s4, s11, 0x280
	s_ashr_i32 s5, s4, 31
	s_cmpk_lt_i32 s34, 0xb01
	;; [unrolled: 4-line block ×6, first 2 shown]
	v_lshl_add_u64 v[32:33], s[4:5], 1, v[0:1]
	s_cselect_b32 s4, s11, 0x3c0
	s_ashr_i32 s5, s4, 31
	v_lshl_add_u64 v[34:35], s[4:5], 1, v[0:1]
	global_load_ushort v30, v[4:5], off
	global_load_ushort v31, v[6:7], off
	;; [unrolled: 1-line block ×8, first 2 shown]
	s_cmpk_gt_i32 s34, 0x1000
	s_cselect_b64 s[8:9], -1, 0
	s_cmpk_lt_i32 s34, 0x1001
	v_mov_b32_e32 v40, 0
	v_mov_b32_e32 v41, 0
	;; [unrolled: 1-line block ×48, first 2 shown]
	s_waitcnt lgkmcnt(0)
	; wave barrier
	s_waitcnt lgkmcnt(0)
	s_cbranch_scc1 .LBB459_12
; %bb.10:
	s_cmpk_lt_u32 s34, 0x1101
	s_cselect_b32 s4, s11, 0x440
	s_ashr_i32 s5, s4, 31
	s_cmpk_lt_u32 s34, 0x1201
	v_lshl_add_u64 v[4:5], s[4:5], 1, v[0:1]
	s_cselect_b32 s4, s11, 0x480
	s_ashr_i32 s5, s4, 31
	s_cmpk_lt_u32 s34, 0x1301
	v_lshl_add_u64 v[6:7], s[4:5], 1, v[0:1]
	;; [unrolled: 4-line block ×7, first 2 shown]
	s_cselect_b32 s4, s11, 0x600
	s_ashr_i32 s5, s4, 31
	s_cmpk_lt_u32 s34, 0x1901
	global_load_ushort v39, v[0:1], off offset:2048
	global_load_ushort v38, v[4:5], off
	global_load_ushort v37, v[6:7], off
	;; [unrolled: 1-line block ×7, first 2 shown]
	v_lshl_add_u64 v[4:5], s[4:5], 1, v[0:1]
	s_cselect_b32 s4, s11, 0x640
	s_ashr_i32 s5, s4, 31
	s_cmpk_lt_u32 s34, 0x1a01
	v_lshl_add_u64 v[6:7], s[4:5], 1, v[0:1]
	s_cselect_b32 s4, s11, 0x680
	s_ashr_i32 s5, s4, 31
	s_cmpk_lt_u32 s34, 0x1b01
	v_lshl_add_u64 v[8:9], s[4:5], 1, v[0:1]
	s_cselect_b32 s4, s11, 0x6c0
	s_ashr_i32 s5, s4, 31
	s_cmpk_lt_u32 s34, 0x1c01
	v_lshl_add_u64 v[10:11], s[4:5], 1, v[0:1]
	s_cselect_b32 s4, s11, 0x700
	s_ashr_i32 s5, s4, 31
	s_cmpk_lt_u32 s34, 0x1d01
	v_lshl_add_u64 v[12:13], s[4:5], 1, v[0:1]
	s_cselect_b32 s4, s11, 0x740
	s_ashr_i32 s5, s4, 31
	s_cmpk_lt_u32 s34, 0x1e01
	v_lshl_add_u64 v[14:15], s[4:5], 1, v[0:1]
	s_cselect_b32 s4, s11, 0x780
	s_ashr_i32 s5, s4, 31
	s_cmpk_lt_u32 s34, 0x1f01
	v_lshl_add_u64 v[48:49], s[4:5], 1, v[0:1]
	s_cselect_b32 s4, s11, 0x7c0
	s_ashr_i32 s5, s4, 31
	v_lshl_add_u64 v[50:51], s[4:5], 1, v[0:1]
	global_load_ushort v47, v[4:5], off
	global_load_ushort v46, v[6:7], off
	;; [unrolled: 1-line block ×8, first 2 shown]
	s_cmpk_lt_u32 s34, 0x2001
	v_mov_b32_e32 v67, 0
	v_mov_b32_e32 v65, 0
	;; [unrolled: 1-line block ×32, first 2 shown]
	s_cbranch_scc1 .LBB459_12
; %bb.11:
	s_cmpk_lt_u32 s34, 0x2101
	s_cselect_b32 s4, s11, 0x840
	s_ashr_i32 s5, s4, 31
	s_cmpk_lt_u32 s34, 0x2201
	v_lshl_add_u64 v[4:5], s[4:5], 1, v[0:1]
	s_cselect_b32 s4, s11, 0x880
	s_ashr_i32 s5, s4, 31
	s_cmpk_lt_u32 s34, 0x2301
	v_lshl_add_u64 v[6:7], s[4:5], 1, v[0:1]
	;; [unrolled: 4-line block ×29, first 2 shown]
	s_cselect_b32 s4, s11, 0xf80
	s_ashr_i32 s5, s4, 31
	v_lshl_add_u64 v[94:95], s[4:5], 1, v[0:1]
	s_movk_i32 s4, 0x1000
	s_cmpk_lt_u32 s34, 0x3f01
	v_add_co_u32_e32 v96, vcc, s4, v0
	s_cselect_b32 s4, s11, 0xfc0
	s_nop 0
	v_addc_co_u32_e32 v97, vcc, 0, v1, vcc
	s_ashr_i32 s5, s4, 31
	global_load_ushort v98, v[96:97], off
	global_load_ushort v99, v[4:5], off
	;; [unrolled: 1-line block ×15, first 2 shown]
                                        ; kill: killed $vgpr52_vgpr53
                                        ; kill: killed $vgpr4_vgpr5
                                        ; kill: killed $vgpr58_vgpr59
                                        ; kill: killed $vgpr10_vgpr11
                                        ; kill: killed $vgpr48_vgpr49
                                        ; kill: killed $vgpr54_vgpr55
                                        ; kill: killed $vgpr6_vgpr7
                                        ; kill: killed $vgpr60_vgpr61
                                        ; kill: killed $vgpr12_vgpr13
                                        ; kill: killed $vgpr50_vgpr51
                                        ; kill: killed $vgpr56_vgpr57
                                        ; kill: killed $vgpr8_vgpr9
                                        ; kill: killed $vgpr62_vgpr63
                                        ; kill: killed $vgpr14_vgpr15
                                        ; kill: killed $vgpr96 killed $vgpr97
	global_load_ushort v6, v[64:65], off
	global_load_ushort v7, v[66:67], off
	;; [unrolled: 1-line block ×15, first 2 shown]
                                        ; kill: killed $vgpr84_vgpr85
                                        ; kill: killed $vgpr68_vgpr69
                                        ; kill: killed $vgpr90_vgpr91
                                        ; kill: killed $vgpr74_vgpr75
                                        ; kill: killed $vgpr80_vgpr81
                                        ; kill: killed $vgpr64_vgpr65
                                        ; kill: killed $vgpr70_vgpr71
                                        ; kill: killed $vgpr92_vgpr93
                                        ; kill: killed $vgpr76_vgpr77
                                        ; kill: killed $vgpr82_vgpr83
                                        ; kill: killed $vgpr66_vgpr67
                                        ; kill: killed $vgpr88_vgpr89
                                        ; kill: killed $vgpr72_vgpr73
                                        ; kill: killed $vgpr94_vgpr95
                                        ; kill: killed $vgpr78_vgpr79
	global_load_ushort v68, v[86:87], off
	v_lshl_add_u64 v[4:5], s[4:5], 1, v[0:1]
	global_load_ushort v5, v[4:5], off
	s_waitcnt vmcnt(31)
	v_lshlrev_b32_e32 v67, 16, v98
	s_waitcnt vmcnt(30)
	v_lshlrev_b32_e32 v65, 16, v99
	;; [unrolled: 2-line block ×32, first 2 shown]
.LBB459_12:
	s_load_dwordx2 s[4:5], s[0:1], 0x0
	s_load_dwordx2 s[6:7], s[0:1], 0x38
	ds_read_b128 v[68:71], v3
	s_waitcnt vmcnt(15)
	v_lshlrev_b32_e32 v23, 16, v23
	ds_read_b128 v[72:75], v3 offset:16
	ds_read_b128 v[76:79], v3 offset:32
	;; [unrolled: 1-line block ×3, first 2 shown]
	s_waitcnt vmcnt(14)
	v_lshlrev_b32_e32 v22, 16, v22
	s_waitcnt vmcnt(13)
	v_lshlrev_b32_e32 v21, 16, v21
	s_waitcnt lgkmcnt(0)
	v_fma_f32 v23, v68, v23, 0
	v_fmac_f32_e32 v23, v69, v22
	v_fmac_f32_e32 v23, v70, v21
	s_waitcnt vmcnt(12)
	v_lshlrev_b32_e32 v20, 16, v20
	s_waitcnt vmcnt(10)
	v_lshlrev_b32_e32 v19, 16, v19
	v_lshlrev_b32_e32 v18, 16, v18
	v_fmac_f32_e32 v23, v71, v20
	v_pk_mul_f32 v[18:19], v[72:73], v[18:19]
	s_waitcnt vmcnt(8)
	v_lshlrev_b32_e32 v17, 16, v17
	v_add_f32_e32 v18, v23, v18
	v_lshlrev_b32_e32 v16, 16, v16
	v_add_f32_e32 v18, v18, v19
	v_pk_mul_f32 v[16:17], v[74:75], v[16:17]
	s_and_b64 vcc, exec, s[8:9]
	v_add_f32_e32 v16, v18, v16
	v_add_f32_e32 v18, v16, v17
	s_waitcnt vmcnt(6)
	v_lshlrev_b32_e32 v17, 16, v31
	v_lshlrev_b32_e32 v16, 16, v30
	v_pk_mul_f32 v[16:17], v[76:77], v[16:17]
	s_nop 0
	v_add_f32_e32 v16, v18, v16
	v_add_f32_e32 v18, v16, v17
	s_waitcnt vmcnt(4)
	v_lshlrev_b32_e32 v17, 16, v29
	v_lshlrev_b32_e32 v16, 16, v28
	v_pk_mul_f32 v[16:17], v[78:79], v[16:17]
	s_nop 0
	;; [unrolled: 7-line block ×4, first 2 shown]
	v_add_f32_e32 v16, v18, v16
	v_add_f32_e32 v110, v16, v17
	s_cbranch_vccz .LBB459_15
; %bb.13:
	ds_read_b128 v[16:19], v3 offset:64
	v_lshlrev_b32_e32 v39, 16, v39
	ds_read_b128 v[20:23], v3 offset:80
	ds_read_b128 v[24:27], v3 offset:96
	;; [unrolled: 1-line block ×3, first 2 shown]
	v_lshlrev_b32_e32 v3, 16, v38
	s_cmpk_lt_u32 s34, 0x2001
	s_waitcnt lgkmcnt(3)
	v_fmac_f32_e32 v110, v16, v39
	v_fmac_f32_e32 v110, v17, v3
	v_lshlrev_b32_e32 v3, 16, v37
	v_fmac_f32_e32 v110, v18, v3
	v_lshlrev_b32_e32 v3, 16, v36
	v_fmac_f32_e32 v110, v19, v3
	v_lshlrev_b32_e32 v3, 16, v35
	s_waitcnt lgkmcnt(2)
	v_fmac_f32_e32 v110, v20, v3
	v_lshlrev_b32_e32 v3, 16, v34
	v_fmac_f32_e32 v110, v21, v3
	v_lshlrev_b32_e32 v3, 16, v33
	v_fmac_f32_e32 v110, v22, v3
	v_lshlrev_b32_e32 v3, 16, v32
	v_fmac_f32_e32 v110, v23, v3
	v_lshlrev_b32_e32 v3, 16, v47
	s_waitcnt lgkmcnt(1)
	v_fmac_f32_e32 v110, v24, v3
	v_lshlrev_b32_e32 v3, 16, v46
	;; [unrolled: 9-line block ×3, first 2 shown]
	v_fmac_f32_e32 v110, v29, v3
	v_lshlrev_b32_e32 v3, 16, v41
	v_fmac_f32_e32 v110, v30, v3
	v_lshlrev_b32_e32 v3, 16, v40
	v_fmac_f32_e32 v110, v31, v3
	s_cbranch_scc1 .LBB459_15
; %bb.14:
	v_mov_b32_e32 v3, 0
	ds_read_b128 v[16:19], v3 offset:128
	ds_read_b128 v[20:23], v3 offset:144
	ds_read_b128 v[24:27], v3 offset:160
	ds_read_b128 v[28:31], v3 offset:176
	s_waitcnt lgkmcnt(3)
	v_fmac_f32_e32 v110, v16, v67
	v_fmac_f32_e32 v110, v17, v65
	v_fmac_f32_e32 v110, v18, v66
	v_fmac_f32_e32 v110, v19, v63
	s_waitcnt lgkmcnt(2)
	v_fmac_f32_e32 v110, v20, v64
	v_fmac_f32_e32 v110, v21, v61
	v_fmac_f32_e32 v110, v22, v62
	v_fmac_f32_e32 v110, v23, v59
	;; [unrolled: 5-line block ×3, first 2 shown]
	ds_read_b128 v[16:19], v3 offset:192
	ds_read_b128 v[20:23], v3 offset:208
	s_waitcnt lgkmcnt(2)
	v_fmac_f32_e32 v110, v28, v56
	v_fmac_f32_e32 v110, v29, v53
	;; [unrolled: 1-line block ×4, first 2 shown]
	s_waitcnt lgkmcnt(1)
	v_fmac_f32_e32 v110, v16, v51
	v_fmac_f32_e32 v110, v17, v49
	;; [unrolled: 1-line block ×4, first 2 shown]
	s_waitcnt lgkmcnt(0)
	v_pk_mul_f32 v[14:15], v[20:21], v[14:15]
	v_pk_mul_f32 v[12:13], v[22:23], v[12:13]
	v_add_f32_e32 v14, v110, v14
	v_add_f32_e32 v18, v14, v15
	ds_read_b128 v[14:17], v3 offset:224
	v_add_f32_e32 v12, v18, v12
	ds_read_b128 v[18:21], v3 offset:240
	v_add_f32_e32 v12, v12, v13
	s_waitcnt lgkmcnt(1)
	v_pk_mul_f32 v[10:11], v[14:15], v[10:11]
	s_nop 0
	v_add_f32_e32 v3, v12, v10
	v_add_f32_e32 v3, v3, v11
	v_pk_mul_f32 v[8:9], v[16:17], v[8:9]
	s_waitcnt lgkmcnt(0)
	v_pk_mul_f32 v[6:7], v[18:19], v[6:7]
	v_add_f32_e32 v3, v3, v8
	v_add_f32_e32 v3, v3, v9
	;; [unrolled: 1-line block ×4, first 2 shown]
	v_pk_mul_f32 v[4:5], v[20:21], v[4:5]
	s_nop 0
	v_add_f32_e32 v3, v3, v4
	v_add_f32_e32 v110, v3, v5
.LBB459_15:
	s_movk_i32 s0, 0x1fc0
	s_movk_i32 s1, 0x100
	s_mov_b32 s8, 64
	s_branch .LBB459_17
.LBB459_16:                             ;   in Loop: Header=BB459_17 Depth=1
	s_addk_i32 s0, 0x1000
	s_addk_i32 s1, 0x100
	s_add_i32 s8, s8, 64
	s_cmpk_eq_i32 s0, 0x4fc0
	s_cbranch_scc1 .LBB459_19
.LBB459_17:                             ; =>This Inner Loop Header: Depth=1
	s_cmp_le_i32 s33, s8
	s_cbranch_scc1 .LBB459_16
; %bb.18:                               ;   in Loop: Header=BB459_17 Depth=1
	s_add_i32 s9, s0, 0xfffff040
	s_cmp_lt_i32 s9, s10
	s_cselect_b32 s12, s9, s11
	s_ashr_i32 s13, s12, 31
	s_add_i32 s9, s0, 0xfffff080
	s_cmp_lt_i32 s9, s10
	v_lshl_add_u64 v[44:45], s[12:13], 1, v[0:1]
	s_cselect_b32 s12, s9, s11
	s_ashr_i32 s13, s12, 31
	s_add_i32 s9, s0, 0xfffff0c0
	s_cmp_lt_i32 s9, s10
	v_lshl_add_u64 v[4:5], s[12:13], 1, v[0:1]
	;; [unrolled: 5-line block ×14, first 2 shown]
	s_cselect_b32 s12, s9, s11
	s_ashr_i32 s13, s12, 31
	s_add_i32 s9, s0, 0xfffff400
	s_cmp_lt_i32 s9, s10
	global_load_ushort v3, v[44:45], off
	global_load_ushort v120, v[46:47], off
	v_lshl_add_u64 v[60:61], s[12:13], 1, v[0:1]
	s_cselect_b32 s12, s9, s11
	global_load_ushort v111, v[4:5], off
	global_load_ushort v112, v[6:7], off
	;; [unrolled: 1-line block ×7, first 2 shown]
	s_ashr_i32 s13, s12, 31
	s_add_i32 s9, s0, 0xfffff440
	s_cmp_lt_i32 s9, s10
	v_lshl_add_u64 v[66:67], s[12:13], 1, v[0:1]
	s_cselect_b32 s12, s9, s11
	s_ashr_i32 s13, s12, 31
	s_add_i32 s9, s0, 0xfffff480
	s_cmp_lt_i32 s9, s10
	v_lshl_add_u64 v[62:63], s[12:13], 1, v[0:1]
	s_cselect_b32 s12, s9, s11
	;; [unrolled: 5-line block ×14, first 2 shown]
	s_ashr_i32 s13, s12, 31
	s_add_i32 s9, s0, 0xfffff7c0
	global_load_ushort v118, v[28:29], off
	global_load_ushort v119, v[30:31], off
	s_cmp_lt_i32 s9, s10
	v_lshl_add_u64 v[26:27], s[12:13], 1, v[0:1]
	s_cselect_b32 s12, s9, s11
	s_ashr_i32 s13, s12, 31
	s_add_i32 s9, s0, 0xfffff800
	s_cmp_lt_i32 s9, s10
	v_lshl_add_u64 v[52:53], s[12:13], 1, v[0:1]
	s_cselect_b32 s12, s9, s11
	global_load_ushort v121, v[54:55], off
	global_load_ushort v122, v[56:57], off
	s_ashr_i32 s13, s12, 31
	global_load_ushort v58, v[58:59], off
	s_add_i32 s9, s0, 0xfffff840
	s_cmp_lt_i32 s9, s10
	v_lshl_add_u64 v[64:65], s[12:13], 1, v[0:1]
	s_cselect_b32 s12, s9, s11
	global_load_ushort v59, v[60:61], off
	s_ashr_i32 s13, s12, 31
	s_add_i32 s9, s0, 0xfffff880
	global_load_ushort v60, v[66:67], off
	global_load_ushort v61, v[62:63], off
	s_cmp_lt_i32 s9, s10
	v_lshl_add_u64 v[68:69], s[12:13], 1, v[0:1]
	s_cselect_b32 s12, s9, s11
	s_ashr_i32 s13, s12, 31
	s_add_i32 s9, s0, 0xfffff8c0
	s_cmp_lt_i32 s9, s10
	v_lshl_add_u64 v[70:71], s[12:13], 1, v[0:1]
	s_cselect_b32 s12, s9, s11
	s_ashr_i32 s13, s12, 31
	s_add_i32 s9, s0, 0xfffff900
	;; [unrolled: 5-line block ×3, first 2 shown]
	s_cmp_lt_i32 s9, s10
	v_lshl_add_u64 v[74:75], s[12:13], 1, v[0:1]
	s_cselect_b32 s12, s9, s11
	global_load_ushort v62, v[22:23], off
	s_ashr_i32 s13, s12, 31
	s_add_i32 s9, s0, 0xfffff980
	global_load_ushort v66, v[32:33], off
	global_load_ushort v123, v[34:35], off
	;; [unrolled: 1-line block ×4, first 2 shown]
	s_cmp_lt_i32 s9, s10
	v_lshl_add_u64 v[76:77], s[12:13], 1, v[0:1]
	s_cselect_b32 s12, s9, s11
	global_load_ushort v67, v[48:49], off
	s_ashr_i32 s13, s12, 31
	s_add_i32 s9, s0, 0xfffff9c0
	s_cmp_lt_i32 s9, s10
	v_lshl_add_u64 v[78:79], s[12:13], 1, v[0:1]
	s_cselect_b32 s12, s9, s11
	s_ashr_i32 s13, s12, 31
	s_add_i32 s9, s0, 0xfffffa00
	s_cmp_lt_i32 s9, s10
	v_lshl_add_u64 v[80:81], s[12:13], 1, v[0:1]
	s_cselect_b32 s12, s9, s11
	s_ashr_i32 s13, s12, 31
	s_add_i32 s9, s0, 0xfffffa40
	s_cmp_lt_i32 s9, s10
	v_mov_b32_e32 v124, s1
	v_lshl_add_u64 v[82:83], s[12:13], 1, v[0:1]
	s_cselect_b32 s12, s9, s11
	ds_read_b128 v[30:33], v124
	ds_read_b128 v[34:37], v124 offset:16
	global_load_ushort v50, v[50:51], off
	s_ashr_i32 s13, s12, 31
	s_add_i32 s9, s0, 0xfffffa80
	s_cmp_lt_i32 s9, s10
	v_lshl_add_u64 v[84:85], s[12:13], 1, v[0:1]
	s_cselect_b32 s12, s9, s11
	ds_read_b128 v[46:49], v124 offset:32
	ds_read_b128 v[54:57], v124 offset:48
	global_load_ushort v38, v[38:39], off
	s_ashr_i32 s13, s12, 31
	s_waitcnt vmcnt(24)
	v_lshlrev_b32_e32 v3, 16, v3
	v_lshl_add_u64 v[86:87], s[12:13], 1, v[0:1]
	global_load_ushort v51, v[86:87], off
	s_waitcnt lgkmcnt(3)
	v_fmac_f32_e32 v110, v30, v3
	s_waitcnt vmcnt(23)
	v_lshlrev_b32_e32 v3, 16, v111
	v_fmac_f32_e32 v110, v31, v3
	s_waitcnt vmcnt(22)
	v_lshlrev_b32_e32 v3, 16, v112
	global_load_ushort v39, v[18:19], off
	v_fmac_f32_e32 v110, v32, v3
	s_waitcnt vmcnt(22)
	v_lshlrev_b32_e32 v3, 16, v113
	v_fmac_f32_e32 v110, v33, v3
	s_waitcnt vmcnt(21)
	v_lshlrev_b32_e32 v3, 16, v114
	s_waitcnt lgkmcnt(2)
	v_fmac_f32_e32 v110, v34, v3
	global_load_ushort v3, v[20:21], off
	global_load_ushort v34, v[40:41], off
	s_add_i32 s9, s0, 0xfffffac0
	global_load_ushort v26, v[26:27], off
	s_waitcnt vmcnt(23)
	v_lshlrev_b32_e32 v18, 16, v115
	v_fmac_f32_e32 v110, v35, v18
	global_load_ushort v35, v[42:43], off
	global_load_ushort v27, v[52:53], off
	s_cmp_lt_i32 s9, s10
	s_cselect_b32 s12, s9, s11
	s_ashr_i32 s13, s12, 31
	s_add_i32 s9, s0, 0xfffffb00
	s_cmp_lt_i32 s9, s10
	v_lshl_add_u64 v[88:89], s[12:13], 1, v[0:1]
	s_cselect_b32 s12, s9, s11
	s_ashr_i32 s13, s12, 31
	s_add_i32 s9, s0, 0xfffffb40
	s_cmp_lt_i32 s9, s10
	v_lshl_add_u64 v[90:91], s[12:13], 1, v[0:1]
	s_cselect_b32 s12, s9, s11
	s_ashr_i32 s13, s12, 31
	s_add_i32 s9, s0, 0xfffffb80
	s_cmp_lt_i32 s9, s10
	v_lshl_add_u64 v[92:93], s[12:13], 1, v[0:1]
	s_cselect_b32 s12, s9, s11
	s_ashr_i32 s13, s12, 31
	s_add_i32 s9, s0, 0xfffffbc0
	s_cmp_lt_i32 s9, s10
	v_lshl_add_u64 v[94:95], s[12:13], 1, v[0:1]
	s_cselect_b32 s12, s9, s11
	s_ashr_i32 s13, s12, 31
	s_add_i32 s9, s0, 0xfffffc00
	s_cmp_lt_i32 s9, s10
	v_lshl_add_u64 v[96:97], s[12:13], 1, v[0:1]
	s_cselect_b32 s12, s9, s11
	s_ashr_i32 s13, s12, 31
	s_add_i32 s9, s0, 0xfffffc40
	s_cmp_lt_i32 s9, s10
	v_lshl_add_u64 v[100:101], s[12:13], 1, v[0:1]
	s_cselect_b32 s12, s9, s11
	s_ashr_i32 s13, s12, 31
	s_add_i32 s9, s0, 0xfffffc80
	s_waitcnt vmcnt(24)
	v_lshlrev_b32_e32 v18, 16, v116
	s_cmp_lt_i32 s9, s10
	v_fmac_f32_e32 v110, v36, v18
	global_load_ushort v36, v[64:65], off
	s_waitcnt vmcnt(24)
	v_lshlrev_b32_e32 v18, 16, v117
	v_lshl_add_u64 v[102:103], s[12:13], 1, v[0:1]
	s_cselect_b32 s12, s9, s11
	v_fmac_f32_e32 v110, v37, v18
	global_load_ushort v37, v[68:69], off
	global_load_ushort v40, v[70:71], off
	;; [unrolled: 1-line block ×3, first 2 shown]
	s_waitcnt vmcnt(26)
	v_lshlrev_b32_e32 v18, 16, v118
	s_ashr_i32 s13, s12, 31
	s_add_i32 s9, s0, 0xfffffcc0
	s_waitcnt lgkmcnt(1)
	v_fmac_f32_e32 v110, v46, v18
	global_load_ushort v46, v[78:79], off
	s_waitcnt vmcnt(26)
	v_lshlrev_b32_e32 v18, 16, v119
	s_cmp_lt_i32 s9, s10
	v_fmac_f32_e32 v110, v47, v18
	v_lshlrev_b32_e32 v18, 16, v120
	v_lshl_add_u64 v[104:105], s[12:13], 1, v[0:1]
	s_cselect_b32 s12, s9, s11
	v_fmac_f32_e32 v110, v48, v18
	global_load_ushort v48, v[82:83], off
	global_load_ushort v42, v[74:75], off
	;; [unrolled: 1-line block ×4, first 2 shown]
	s_ashr_i32 s13, s12, 31
	s_add_i32 s9, s0, 0xfffffd00
	s_cmp_lt_i32 s9, s10
	s_waitcnt vmcnt(29)
	v_lshlrev_b32_e32 v18, 16, v121
	v_lshl_add_u64 v[106:107], s[12:13], 1, v[0:1]
	s_cselect_b32 s12, s9, s11
	v_fmac_f32_e32 v110, v49, v18
	global_load_ushort v49, v[84:85], off
	global_load_ushort v53, v[88:89], off
	s_waitcnt vmcnt(30)
	v_lshlrev_b32_e32 v18, 16, v122
	s_ashr_i32 s13, s12, 31
	s_add_i32 s9, s0, 0xfffffd40
	s_waitcnt lgkmcnt(0)
	v_fmac_f32_e32 v110, v54, v18
	global_load_ushort v54, v[90:91], off
	s_waitcnt vmcnt(30)
	v_lshlrev_b32_e32 v18, 16, v58
	s_cmp_lt_i32 s9, s10
	v_fmac_f32_e32 v110, v55, v18
	s_waitcnt vmcnt(29)
	v_lshlrev_b32_e32 v18, 16, v59
	v_lshl_add_u64 v[98:99], s[12:13], 1, v[0:1]
	s_cselect_b32 s12, s9, s11
	v_fmac_f32_e32 v110, v56, v18
	s_waitcnt vmcnt(28)
	v_lshlrev_b32_e32 v18, 16, v60
	s_ashr_i32 s13, s12, 31
	s_add_i32 s9, s0, 0xfffffd80
	v_fmac_f32_e32 v110, v57, v18
	ds_read_b128 v[18:21], v124 offset:64
	ds_read_b128 v[30:33], v124 offset:80
	s_cmp_lt_i32 s9, s10
	v_lshl_add_u64 v[44:45], s[12:13], 1, v[0:1]
	s_cselect_b32 s12, s9, s11
	s_ashr_i32 s13, s12, 31
	s_add_i32 s9, s0, 0xfffffdc0
	s_cmp_lt_i32 s9, s10
	s_waitcnt vmcnt(27)
	v_lshlrev_b32_e32 v52, 16, v61
	v_lshl_add_u64 v[108:109], s[12:13], 1, v[0:1]
	s_cselect_b32 s12, s9, s11
	s_waitcnt lgkmcnt(1)
	v_fmac_f32_e32 v110, v18, v52
	global_load_ushort v52, v[92:93], off
	global_load_ushort v55, v[94:95], off
	s_ashr_i32 s13, s12, 31
	s_add_i32 s9, s0, 0xfffffe00
	s_cmp_lt_i32 s9, s10
	global_load_ushort v56, v[96:97], off
	global_load_ushort v57, v[100:101], off
	;; [unrolled: 1-line block ×4, first 2 shown]
	v_lshl_add_u64 v[4:5], s[12:13], 1, v[0:1]
	s_cselect_b32 s12, s9, s11
	s_ashr_i32 s13, s12, 31
	s_add_i32 s9, s0, 0xfffffe40
	s_cmp_lt_i32 s9, s10
	s_waitcnt vmcnt(32)
	v_lshlrev_b32_e32 v18, 16, v62
	v_lshl_add_u64 v[6:7], s[12:13], 1, v[0:1]
	s_cselect_b32 s12, s9, s11
	v_fmac_f32_e32 v110, v19, v18
	s_waitcnt vmcnt(28)
	v_lshlrev_b32_e32 v18, 16, v63
	s_ashr_i32 s13, s12, 31
	s_add_i32 s9, s0, 0xfffffe80
	v_fmac_f32_e32 v110, v20, v18
	v_lshlrev_b32_e32 v18, 16, v66
	s_cmp_lt_i32 s9, s10
	v_fmac_f32_e32 v110, v21, v18
	s_waitcnt vmcnt(27)
	v_lshlrev_b32_e32 v18, 16, v67
	v_lshl_add_u64 v[8:9], s[12:13], 1, v[0:1]
	s_cselect_b32 s12, s9, s11
	s_waitcnt lgkmcnt(0)
	v_fmac_f32_e32 v110, v30, v18
	global_load_ushort v30, v[106:107], off
	s_ashr_i32 s13, s12, 31
	s_add_i32 s9, s0, 0xfffffec0
	s_cmp_lt_i32 s9, s10
	global_load_ushort v60, v[98:99], off
	global_load_ushort v61, v[44:45], off
	;; [unrolled: 1-line block ×3, first 2 shown]
	v_lshl_add_u64 v[12:13], s[12:13], 1, v[0:1]
	s_cselect_b32 s12, s9, s11
	v_lshlrev_b32_e32 v18, 16, v123
	s_ashr_i32 s13, s12, 31
	s_add_i32 s9, s0, 0xffffff00
	v_fmac_f32_e32 v110, v31, v18
	v_lshlrev_b32_e32 v18, 16, v125
	s_cmp_lt_i32 s9, s10
	v_fmac_f32_e32 v110, v32, v18
	global_load_ushort v31, v[4:5], off
	global_load_ushort v32, v[6:7], off
	v_lshl_add_u64 v[10:11], s[12:13], 1, v[0:1]
	s_cselect_b32 s12, s9, s11
	s_ashr_i32 s13, s12, 31
	s_add_i32 s9, s0, 0xffffff40
	s_cmp_lt_i32 s9, s10
	s_waitcnt vmcnt(32)
	v_lshlrev_b32_e32 v4, 16, v50
	v_lshl_add_u64 v[16:17], s[12:13], 1, v[0:1]
	s_cselect_b32 s12, s9, s11
	v_fmac_f32_e32 v110, v33, v4
	ds_read_b128 v[4:7], v124 offset:96
	s_ashr_i32 s13, s12, 31
	s_add_i32 s9, s0, 0xffffff80
	s_cmp_lt_i32 s9, s10
	s_waitcnt vmcnt(31)
	v_lshlrev_b32_e32 v33, 16, v38
	global_load_ushort v38, v[8:9], off
	global_load_ushort v44, v[12:13], off
	v_lshl_add_u64 v[14:15], s[12:13], 1, v[0:1]
	s_cselect_b32 s12, s9, s11
	s_ashr_i32 s13, s12, 31
	s_sub_i32 s9, s0, 64
	s_cmp_lt_i32 s9, s10
	ds_read_b128 v[18:21], v124 offset:112
	s_waitcnt lgkmcnt(1)
	v_fmac_f32_e32 v110, v4, v33
	s_waitcnt vmcnt(31)
	v_lshlrev_b32_e32 v4, 16, v39
	global_load_ushort v33, v[10:11], off
	global_load_ushort v39, v[16:17], off
	v_lshl_add_u64 v[28:29], s[12:13], 1, v[0:1]
	s_cselect_b32 s12, s9, s11
	s_ashr_i32 s13, s12, 31
	s_cmp_lt_i32 s0, s10
	v_fmac_f32_e32 v110, v5, v4
	s_waitcnt vmcnt(32)
	v_lshlrev_b32_e32 v3, 16, v3
	global_load_ushort v16, v[14:15], off
	global_load_ushort v17, v[28:29], off
	v_lshl_add_u64 v[22:23], s[12:13], 1, v[0:1]
	s_cselect_b32 s12, s0, s11
	v_fmac_f32_e32 v110, v6, v3
	s_waitcnt vmcnt(33)
	v_lshlrev_b32_e32 v3, 16, v34
	s_ashr_i32 s13, s12, 31
	v_fmac_f32_e32 v110, v7, v3
	s_waitcnt vmcnt(31)
	v_lshlrev_b32_e32 v3, 16, v35
	v_lshl_add_u64 v[24:25], s[12:13], 1, v[0:1]
	s_waitcnt lgkmcnt(0)
	v_fmac_f32_e32 v110, v18, v3
	global_load_ushort v3, v[22:23], off
	global_load_ushort v14, v[24:25], off
	v_lshlrev_b32_e32 v4, 16, v26
	v_fmac_f32_e32 v110, v19, v4
	s_waitcnt vmcnt(32)
	v_lshlrev_b32_e32 v4, 16, v27
	v_fmac_f32_e32 v110, v20, v4
	ds_read_b128 v[4:7], v124 offset:128
	s_waitcnt vmcnt(31)
	v_lshlrev_b32_e32 v8, 16, v36
	v_fmac_f32_e32 v110, v21, v8
	ds_read_b128 v[8:11], v124 offset:144
	s_waitcnt vmcnt(30)
	v_lshlrev_b32_e32 v12, 16, v37
	s_waitcnt lgkmcnt(1)
	v_fmac_f32_e32 v110, v4, v12
	s_waitcnt vmcnt(29)
	v_lshlrev_b32_e32 v4, 16, v40
	v_fmac_f32_e32 v110, v5, v4
	s_waitcnt vmcnt(28)
	v_lshlrev_b32_e32 v4, 16, v41
	;; [unrolled: 3-line block ×4, first 2 shown]
	s_waitcnt lgkmcnt(0)
	v_fmac_f32_e32 v110, v8, v4
	v_lshlrev_b32_e32 v4, 16, v46
	v_fmac_f32_e32 v110, v9, v4
	s_waitcnt vmcnt(23)
	v_lshlrev_b32_e32 v4, 16, v47
	v_fmac_f32_e32 v110, v10, v4
	ds_read_b128 v[4:7], v124 offset:160
	v_lshlrev_b32_e32 v8, 16, v48
	v_fmac_f32_e32 v110, v11, v8
	ds_read_b128 v[8:11], v124 offset:176
	s_waitcnt vmcnt(22)
	v_lshlrev_b32_e32 v12, 16, v49
	s_waitcnt lgkmcnt(1)
	v_fmac_f32_e32 v110, v4, v12
	v_lshlrev_b32_e32 v4, 16, v51
	v_fmac_f32_e32 v110, v5, v4
	s_waitcnt vmcnt(21)
	v_lshlrev_b32_e32 v4, 16, v53
	v_fmac_f32_e32 v110, v6, v4
	s_waitcnt vmcnt(20)
	;; [unrolled: 3-line block ×3, first 2 shown]
	v_lshlrev_b32_e32 v4, 16, v52
	s_waitcnt lgkmcnt(0)
	v_fmac_f32_e32 v110, v8, v4
	s_waitcnt vmcnt(18)
	v_lshlrev_b32_e32 v4, 16, v55
	v_fmac_f32_e32 v110, v9, v4
	s_waitcnt vmcnt(17)
	v_lshlrev_b32_e32 v4, 16, v56
	v_fmac_f32_e32 v110, v10, v4
	ds_read_b128 v[4:7], v124 offset:192
	s_waitcnt vmcnt(16)
	v_lshlrev_b32_e32 v8, 16, v57
	v_fmac_f32_e32 v110, v11, v8
	ds_read_b128 v[8:11], v124 offset:208
	s_waitcnt vmcnt(15)
	v_lshlrev_b32_e32 v12, 16, v58
	s_waitcnt lgkmcnt(1)
	v_fmac_f32_e32 v110, v4, v12
	s_waitcnt vmcnt(14)
	v_lshlrev_b32_e32 v4, 16, v59
	v_fmac_f32_e32 v110, v5, v4
	s_waitcnt vmcnt(13)
	v_lshlrev_b32_e32 v4, 16, v30
	;; [unrolled: 3-line block ×4, first 2 shown]
	v_lshlrev_b32_e32 v4, 16, v61
	s_waitcnt lgkmcnt(0)
	v_pk_mul_f32 v[4:5], v[8:9], v[4:5]
	s_waitcnt vmcnt(6)
	v_lshlrev_b32_e32 v13, 16, v44
	v_add_f32_e32 v4, v110, v4
	v_add_f32_e32 v6, v4, v5
	v_lshlrev_b32_e32 v5, 16, v32
	v_lshlrev_b32_e32 v4, 16, v31
	v_pk_mul_f32 v[8:9], v[10:11], v[4:5]
	v_lshlrev_b32_e32 v12, 16, v38
	v_add_f32_e32 v8, v6, v8
	ds_read_b128 v[4:7], v124 offset:224
	v_add_f32_e32 v15, v8, v9
	ds_read_b128 v[8:11], v124 offset:240
	s_waitcnt lgkmcnt(1)
	v_pk_mul_f32 v[4:5], v[4:5], v[12:13]
	s_nop 0
	v_add_f32_e32 v4, v15, v4
	v_add_f32_e32 v12, v4, v5
	s_waitcnt vmcnt(4)
	v_lshlrev_b32_e32 v5, 16, v39
	v_lshlrev_b32_e32 v4, 16, v33
	v_pk_mul_f32 v[4:5], v[6:7], v[4:5]
	s_nop 0
	v_add_f32_e32 v4, v12, v4
	v_add_f32_e32 v6, v4, v5
	s_waitcnt vmcnt(2)
	v_lshlrev_b32_e32 v5, 16, v17
	v_lshlrev_b32_e32 v4, 16, v16
	s_waitcnt lgkmcnt(0)
	v_pk_mul_f32 v[4:5], v[8:9], v[4:5]
	s_nop 0
	v_add_f32_e32 v4, v6, v4
	v_add_f32_e32 v6, v4, v5
	s_waitcnt vmcnt(0)
	v_lshlrev_b32_e32 v5, 16, v14
	v_lshlrev_b32_e32 v4, 16, v3
	v_pk_mul_f32 v[4:5], v[10:11], v[4:5]
	s_nop 0
	v_add_f32_e32 v3, v6, v4
	v_add_f32_e32 v110, v3, v5
	s_branch .LBB459_16
.LBB459_19:
	v_mov_b32_e32 v0, 0
	ds_read_b32 v0, v0 offset:1024
	s_cmp_lg_u64 s[6:7], 0
	s_cbranch_scc0 .LBB459_28
; %bb.20:
	s_load_dword s6, s[6:7], 0x0
	s_waitcnt lgkmcnt(0)
	v_div_scale_f32 v1, s[0:1], s6, s6, 1.0
	v_rcp_f32_e32 v3, v1
	v_div_scale_f32 v4, vcc, 1.0, s6, 1.0
	v_fma_f32 v5, -v1, v3, 1.0
	v_fmac_f32_e32 v3, v5, v3
	v_mul_f32_e32 v5, v4, v3
	v_fma_f32 v6, -v1, v5, v4
	v_fmac_f32_e32 v5, v6, v3
	v_fma_f32 v1, -v1, v5, v4
	v_div_fmas_f32 v1, v1, v3, v5
	v_div_fixup_f32 v1, v1, s6, 1.0
	s_andn2_b64 vcc, exec, s[24:25]
	s_cbranch_vccnz .LBB459_22
.LBB459_21:
	s_add_u32 s0, s22, s26
	s_addc_u32 s1, s23, s27
	s_load_dword s20, s[0:1], 0x0
	s_mov_b32 s21, 0
.LBB459_22:
	s_waitcnt lgkmcnt(0)
	v_add_f32_e32 v0, 0x358637bd, v0
	v_div_scale_f32 v3, s[0:1], v0, v0, 1.0
	v_rcp_f32_e32 v4, v3
	v_div_scale_f32 v5, vcc, 1.0, v0, 1.0
	s_mov_b32 s0, 0x7f800000
	v_fma_f32 v6, -v3, v4, 1.0
	v_fmac_f32_e32 v4, v6, v4
	v_mul_f32_e32 v6, v5, v4
	v_fma_f32 v7, -v3, v6, v5
	v_fmac_f32_e32 v6, v7, v4
	v_fma_f32 v3, -v3, v6, v5
	v_div_fmas_f32 v3, v3, v4, v6
	v_div_fixup_f32 v0, v3, v0, 1.0
	v_mul_f32_e32 v0, v110, v0
	v_mul_f32_e32 v1, v0, v1
	v_and_b32_e32 v0, 0x7f800000, v1
	v_cmp_ne_u32_e32 vcc, s0, v0
                                        ; implicit-def: $vgpr0
	s_and_saveexec_b64 s[0:1], vcc
	s_xor_b64 s[0:1], exec, s[0:1]
; %bb.23:
	v_bfe_u32 v0, v1, 16, 1
	s_movk_i32 s6, 0x7fff
	v_add3_u32 v0, v1, v0, s6
                                        ; implicit-def: $vgpr1
; %bb.24:
	s_andn2_saveexec_b64 s[0:1], s[0:1]
; %bb.25:
	v_mov_b32_e32 v0, 0
	v_or_b32_e32 v3, 0x10000, v1
	v_cmp_eq_u32_sdwa vcc, v1, v0 src0_sel:WORD_0 src1_sel:DWORD
	s_nop 1
	v_cndmask_b32_e32 v0, v3, v1, vcc
; %bb.26:
	s_or_b64 exec, exec, s[0:1]
	s_mul_i32 s0, s3, s21
	s_mul_hi_u32 s1, s3, s20
	s_add_i32 s1, s1, s0
	s_mul_i32 s0, s3, s20
	s_lshl_b64 s[0:1], s[0:1], 7
	s_add_u32 s4, s4, s0
	s_mov_b32 s3, 0
	s_addc_u32 s5, s5, s1
	s_lshl_b64 s[0:1], s[2:3], 7
	s_add_u32 s0, s4, s0
	s_addc_u32 s1, s5, s1
	global_store_short_d16_hi v2, v0, s[0:1]
	s_endpgm
.LBB459_27:
	s_mov_b64 s[6:7], 0
	s_branch .LBB459_2
.LBB459_28:
	v_mov_b32_e32 v1, 1.0
	s_andn2_b64 vcc, exec, s[24:25]
	s_cbranch_vccz .LBB459_21
	s_branch .LBB459_22
	.section	.rodata,"a",@progbits
	.p2align	6, 0x0
	.amdhsa_kernel _Z35paged_attention_ll4mi_reduce_kernelI14__hip_bfloat16S0_Li64ELi64ELi256ELi4EEvPT0_PKfS4_PKT_PKiS9_iS4_
		.amdhsa_group_segment_fixed_size 1028
		.amdhsa_private_segment_fixed_size 0
		.amdhsa_kernarg_size 320
		.amdhsa_user_sgpr_count 2
		.amdhsa_user_sgpr_dispatch_ptr 0
		.amdhsa_user_sgpr_queue_ptr 0
		.amdhsa_user_sgpr_kernarg_segment_ptr 1
		.amdhsa_user_sgpr_dispatch_id 0
		.amdhsa_user_sgpr_kernarg_preload_length 0
		.amdhsa_user_sgpr_kernarg_preload_offset 0
		.amdhsa_user_sgpr_private_segment_size 0
		.amdhsa_uses_dynamic_stack 0
		.amdhsa_enable_private_segment 0
		.amdhsa_system_sgpr_workgroup_id_x 1
		.amdhsa_system_sgpr_workgroup_id_y 1
		.amdhsa_system_sgpr_workgroup_id_z 0
		.amdhsa_system_sgpr_workgroup_info 0
		.amdhsa_system_vgpr_workitem_id 0
		.amdhsa_next_free_vgpr 126
		.amdhsa_next_free_sgpr 38
		.amdhsa_accum_offset 128
		.amdhsa_reserve_vcc 1
		.amdhsa_float_round_mode_32 0
		.amdhsa_float_round_mode_16_64 0
		.amdhsa_float_denorm_mode_32 3
		.amdhsa_float_denorm_mode_16_64 3
		.amdhsa_dx10_clamp 1
		.amdhsa_ieee_mode 1
		.amdhsa_fp16_overflow 0
		.amdhsa_tg_split 0
		.amdhsa_exception_fp_ieee_invalid_op 0
		.amdhsa_exception_fp_denorm_src 0
		.amdhsa_exception_fp_ieee_div_zero 0
		.amdhsa_exception_fp_ieee_overflow 0
		.amdhsa_exception_fp_ieee_underflow 0
		.amdhsa_exception_fp_ieee_inexact 0
		.amdhsa_exception_int_div_zero 0
	.end_amdhsa_kernel
	.section	.text._Z35paged_attention_ll4mi_reduce_kernelI14__hip_bfloat16S0_Li64ELi64ELi256ELi4EEvPT0_PKfS4_PKT_PKiS9_iS4_,"axG",@progbits,_Z35paged_attention_ll4mi_reduce_kernelI14__hip_bfloat16S0_Li64ELi64ELi256ELi4EEvPT0_PKfS4_PKT_PKiS9_iS4_,comdat
.Lfunc_end459:
	.size	_Z35paged_attention_ll4mi_reduce_kernelI14__hip_bfloat16S0_Li64ELi64ELi256ELi4EEvPT0_PKfS4_PKT_PKiS9_iS4_, .Lfunc_end459-_Z35paged_attention_ll4mi_reduce_kernelI14__hip_bfloat16S0_Li64ELi64ELi256ELi4EEvPT0_PKfS4_PKT_PKiS9_iS4_
                                        ; -- End function
	.section	.AMDGPU.csdata,"",@progbits
; Kernel info:
; codeLenInByte = 8644
; NumSgprs: 44
; NumVgprs: 126
; NumAgprs: 0
; TotalNumVgprs: 126
; ScratchSize: 0
; MemoryBound: 0
; FloatMode: 240
; IeeeMode: 1
; LDSByteSize: 1028 bytes/workgroup (compile time only)
; SGPRBlocks: 5
; VGPRBlocks: 15
; NumSGPRsForWavesPerEU: 44
; NumVGPRsForWavesPerEU: 126
; AccumOffset: 128
; Occupancy: 4
; WaveLimiterHint : 1
; COMPUTE_PGM_RSRC2:SCRATCH_EN: 0
; COMPUTE_PGM_RSRC2:USER_SGPR: 2
; COMPUTE_PGM_RSRC2:TRAP_HANDLER: 0
; COMPUTE_PGM_RSRC2:TGID_X_EN: 1
; COMPUTE_PGM_RSRC2:TGID_Y_EN: 1
; COMPUTE_PGM_RSRC2:TGID_Z_EN: 0
; COMPUTE_PGM_RSRC2:TIDIG_COMP_CNT: 0
; COMPUTE_PGM_RSRC3_GFX90A:ACCUM_OFFSET: 31
; COMPUTE_PGM_RSRC3_GFX90A:TG_SPLIT: 0
	.section	.text._Z35paged_attention_ll4mi_reduce_kernelI14__hip_bfloat16S0_Li64ELi64ELi256ELi5EEvPT0_PKfS4_PKT_PKiS9_iS4_,"axG",@progbits,_Z35paged_attention_ll4mi_reduce_kernelI14__hip_bfloat16S0_Li64ELi64ELi256ELi5EEvPT0_PKfS4_PKT_PKiS9_iS4_,comdat
	.protected	_Z35paged_attention_ll4mi_reduce_kernelI14__hip_bfloat16S0_Li64ELi64ELi256ELi5EEvPT0_PKfS4_PKT_PKiS9_iS4_ ; -- Begin function _Z35paged_attention_ll4mi_reduce_kernelI14__hip_bfloat16S0_Li64ELi64ELi256ELi5EEvPT0_PKfS4_PKT_PKiS9_iS4_
	.globl	_Z35paged_attention_ll4mi_reduce_kernelI14__hip_bfloat16S0_Li64ELi64ELi256ELi5EEvPT0_PKfS4_PKT_PKiS9_iS4_
	.p2align	8
	.type	_Z35paged_attention_ll4mi_reduce_kernelI14__hip_bfloat16S0_Li64ELi64ELi256ELi5EEvPT0_PKfS4_PKT_PKiS9_iS4_,@function
_Z35paged_attention_ll4mi_reduce_kernelI14__hip_bfloat16S0_Li64ELi64ELi256ELi5EEvPT0_PKfS4_PKT_PKiS9_iS4_: ; @_Z35paged_attention_ll4mi_reduce_kernelI14__hip_bfloat16S0_Li64ELi64ELi256ELi5EEvPT0_PKfS4_PKT_PKiS9_iS4_
; %bb.0:
	s_load_dwordx2 s[24:25], s[0:1], 0x28
	s_mov_b32 s14, s3
	s_mov_b64 s[4:5], 0
	s_waitcnt lgkmcnt(0)
	s_cmp_lg_u64 s[24:25], 0
	s_cselect_b64 s[26:27], -1, 0
	s_and_b64 vcc, exec, s[26:27]
	s_cbranch_vccz .LBB460_27
; %bb.1:
	s_add_i32 s6, s14, 1
	s_mov_b32 s7, 0
	s_lshl_b64 s[8:9], s[6:7], 2
	s_add_u32 s8, s24, s8
	s_mov_b32 s15, s7
	s_addc_u32 s9, s25, s9
	s_lshl_b64 s[6:7], s[14:15], 2
	s_add_u32 s6, s24, s6
	s_addc_u32 s7, s25, s7
	s_load_dword s3, s[8:9], 0x0
	s_load_dword s10, s[6:7], 0x0
	s_waitcnt lgkmcnt(0)
	s_sub_i32 s3, s3, s10
	s_cmp_eq_u32 s3, 1
	s_cselect_b64 s[6:7], -1, 0
	s_andn2_b64 vcc, exec, s[4:5]
	s_cbranch_vccnz .LBB460_3
.LBB460_2:
	s_mov_b32 s15, 0
	s_mov_b64 s[6:7], -1
.LBB460_3:
	s_andn2_b64 vcc, exec, s[6:7]
	s_cbranch_vccz .LBB460_5
; %bb.4:
	s_endpgm
.LBB460_5:
	s_load_dwordx4 s[16:19], s[0:1], 0x18
	s_load_dword s8, s[0:1], 0x30
	s_lshl_b64 s[28:29], s[14:15], 2
	v_cmp_lt_u32_e32 vcc, 63, v0
	s_waitcnt lgkmcnt(0)
	s_add_u32 s4, s18, s28
	s_addc_u32 s5, s19, s29
	s_load_dword s38, s[4:5], 0x0
	s_load_dword s3, s[0:1], 0x40
	s_mul_i32 s18, s2, s8
	s_mul_i32 s6, s14, s8
	s_waitcnt lgkmcnt(0)
	s_add_i32 s7, s38, 0xff
	s_ashr_i32 s4, s7, 31
	s_lshr_b32 s4, s4, 24
	s_add_i32 s7, s7, s4
	s_and_saveexec_b64 s[4:5], vcc
	s_xor_b64 s[4:5], exec, s[4:5]
	s_or_saveexec_b64 s[30:31], s[4:5]
	s_ashr_i32 s33, s7, 8
	v_mov_b32_e32 v1, s18
	s_mul_i32 s34, s6, s3
	s_xor_b64 exec, exec, s[30:31]
	s_cbranch_execz .LBB460_9
; %bb.6:
	s_add_i32 s4, s33, -1
	v_or_b32_e32 v3, 64, v0
	s_load_dwordx4 s[20:23], s[0:1], 0x8
	v_mov_b32_e32 v1, s4
	v_cmp_gt_u32_e64 s[8:9], s33, v3
	s_mov_b32 s35, 0
	s_lshl_b64 s[36:37], s[34:35], 2
	v_cndmask_b32_e64 v4, v1, v3, s[8:9]
	v_or_b32_e32 v3, 0x80, v0
	v_cmp_gt_u32_e64 s[6:7], s33, v3
	s_mov_b32 s19, s35
	v_cmp_gt_u32_e64 s[10:11], s33, v0
	v_cndmask_b32_e64 v6, v1, v3, s[6:7]
	v_or_b32_e32 v3, 0xc0, v0
	v_cmp_gt_u32_e64 s[4:5], s33, v3
	s_waitcnt lgkmcnt(0)
	s_add_u32 s12, s22, s36
	v_cndmask_b32_e64 v2, v1, v0, s[10:11]
	v_cndmask_b32_e64 v8, v1, v3, s[4:5]
	v_or_b32_e32 v3, 0x100, v0
	v_cmp_gt_u32_e32 vcc, s33, v3
	s_addc_u32 s13, s23, s37
	s_lshl_b64 s[22:23], s[18:19], 2
	v_cndmask_b32_e32 v10, v1, v3, vcc
	s_add_u32 s12, s12, s22
	v_ashrrev_i32_e32 v3, 31, v2
	s_addc_u32 s13, s13, s23
	v_lshlrev_b64 v[2:3], 2, v[2:3]
	v_ashrrev_i32_e32 v5, 31, v4
	v_ashrrev_i32_e32 v7, 31, v6
	v_ashrrev_i32_e32 v9, 31, v8
	v_ashrrev_i32_e32 v11, 31, v10
	v_lshl_add_u64 v[12:13], s[12:13], 0, v[2:3]
	v_lshlrev_b64 v[4:5], 2, v[4:5]
	v_lshlrev_b64 v[6:7], 2, v[6:7]
	;; [unrolled: 1-line block ×4, first 2 shown]
	v_lshl_add_u64 v[14:15], s[12:13], 0, v[4:5]
	v_lshl_add_u64 v[16:17], s[12:13], 0, v[6:7]
	;; [unrolled: 1-line block ×4, first 2 shown]
	global_load_dword v1, v[12:13], off
	global_load_dword v22, v[14:15], off
	;; [unrolled: 1-line block ×5, first 2 shown]
	v_mbcnt_lo_u32_b32 v12, -1, 0
	v_mbcnt_hi_u32_b32 v12, -1, v12
	v_and_b32_e32 v14, 64, v12
	v_xor_b32_e32 v15, 32, v12
	v_add_u32_e32 v14, 64, v14
	v_cmp_lt_i32_e64 s[12:13], v15, v14
	v_xor_b32_e32 v16, 16, v12
	v_xor_b32_e32 v17, 8, v12
	v_cndmask_b32_e64 v15, v12, v15, s[12:13]
	s_add_u32 s12, s20, s36
	s_addc_u32 s13, s21, s37
	s_add_u32 s20, s12, s22
	s_addc_u32 s21, s13, s23
	v_lshl_add_u64 v[2:3], s[20:21], 0, v[2:3]
	global_load_dword v18, v[2:3], off
	v_lshlrev_b32_e32 v15, 2, v15
	v_cmp_lt_i32_e64 s[12:13], v16, v14
	s_mov_b32 s19, 0x3fb8aa3b
	s_mov_b32 s35, 0xc2ce8ed0
	v_cndmask_b32_e64 v16, v12, v16, s[12:13]
	v_lshlrev_b32_e32 v16, 2, v16
	v_cmp_lt_i32_e64 s[12:13], v17, v14
	s_mov_b32 s39, 0x42b17218
	v_mov_b32_e32 v13, 0x7f800000
	s_waitcnt vmcnt(3)
	v_max3_f32 v2, v1, v22, v23
	s_waitcnt vmcnt(1)
	v_max3_f32 v19, v2, v24, v25
	ds_bpermute_b32 v20, v15, v19
	v_lshl_add_u64 v[2:3], s[20:21], 0, v[4:5]
	global_load_dword v21, v[2:3], off
	v_cndmask_b32_e64 v5, v12, v17, s[12:13]
	v_lshlrev_b32_e32 v17, 2, v5
	s_waitcnt lgkmcnt(0)
	v_max_f32_e32 v2, v20, v20
	v_max_f32_e32 v2, v19, v2
	ds_bpermute_b32 v3, v16, v2
	v_xor_b32_e32 v4, 4, v12
	v_cmp_lt_i32_e64 s[12:13], v4, v14
	v_xor_b32_e32 v5, 2, v12
	s_waitcnt lgkmcnt(0)
	v_max_f32_e32 v3, v3, v3
	v_max_f32_e32 v2, v2, v3
	ds_bpermute_b32 v3, v17, v2
	v_cndmask_b32_e64 v4, v12, v4, s[12:13]
	v_lshlrev_b32_e32 v19, 2, v4
	v_cmp_lt_i32_e64 s[12:13], v5, v14
	v_xor_b32_e32 v4, 1, v12
	s_waitcnt lgkmcnt(0)
	v_max_f32_e32 v3, v3, v3
	v_max_f32_e32 v2, v2, v3
	ds_bpermute_b32 v3, v19, v2
	v_cndmask_b32_e64 v5, v12, v5, s[12:13]
	v_lshlrev_b32_e32 v20, 2, v5
	v_cmp_lt_i32_e64 s[12:13], v4, v14
	s_waitcnt lgkmcnt(0)
	v_max_f32_e32 v3, v3, v3
	v_max_f32_e32 v26, v2, v3
	ds_bpermute_b32 v27, v20, v26
	v_cndmask_b32_e64 v2, v12, v4, s[12:13]
	v_lshlrev_b32_e32 v12, 2, v2
	v_lshl_add_u64 v[2:3], s[20:21], 0, v[6:7]
	v_lshl_add_u64 v[4:5], s[20:21], 0, v[8:9]
	s_waitcnt lgkmcnt(0)
	v_max_f32_e32 v6, v27, v27
	v_max_f32_e32 v8, v26, v6
	v_lshl_add_u64 v[6:7], s[20:21], 0, v[10:11]
	global_load_dword v10, v[2:3], off
	global_load_dword v11, v[4:5], off
	;; [unrolled: 1-line block ×3, first 2 shown]
	ds_bpermute_b32 v9, v12, v8
	s_waitcnt lgkmcnt(0)
	v_max_f32_e32 v2, v9, v9
	v_max_f32_e32 v2, v8, v2
	v_sub_f32_e32 v1, v1, v2
	v_sub_f32_e32 v3, v22, v2
	v_mul_f32_e32 v5, 0x3fb8aa3b, v1
	v_mul_f32_e32 v6, 0x3fb8aa3b, v3
	v_fma_f32 v8, v1, s19, -v5
	v_rndne_f32_e32 v9, v5
	v_sub_f32_e32 v4, v23, v2
	v_fma_f32 v22, v3, s19, -v6
	v_rndne_f32_e32 v23, v6
	v_fmac_f32_e32 v8, 0x32a5705f, v1
	v_sub_f32_e32 v5, v5, v9
	v_fmac_f32_e32 v22, 0x32a5705f, v3
	v_sub_f32_e32 v6, v6, v23
	v_add_f32_e32 v5, v5, v8
	v_cvt_i32_f32_e32 v9, v9
	v_add_f32_e32 v6, v6, v22
	v_exp_f32_e32 v5, v5
	v_mul_f32_e32 v7, 0x3fb8aa3b, v4
	v_cvt_i32_f32_e32 v23, v23
	v_exp_f32_e32 v6, v6
	v_fma_f32 v26, v4, s19, -v7
	v_rndne_f32_e32 v27, v7
	v_fmac_f32_e32 v26, 0x32a5705f, v4
	v_sub_f32_e32 v7, v7, v27
	v_add_f32_e32 v7, v7, v26
	v_ldexp_f32 v5, v5, v9
	v_cmp_ngt_f32_e64 s[12:13], s35, v1
	v_cvt_i32_f32_e32 v27, v27
	v_exp_f32_e32 v7, v7
	v_ldexp_f32 v6, v6, v23
	v_cndmask_b32_e64 v5, 0, v5, s[12:13]
	v_cmp_ngt_f32_e64 s[12:13], s35, v3
	s_nop 1
	v_cndmask_b32_e64 v6, 0, v6, s[12:13]
	v_cmp_nlt_f32_e64 s[12:13], s39, v1
	s_nop 1
	v_cndmask_b32_e64 v1, v13, v5, s[12:13]
	v_cndmask_b32_e64 v1, 0, v1, s[10:11]
	v_cmp_nlt_f32_e64 s[10:11], s39, v3
	s_waitcnt vmcnt(4)
	v_mul_f32_e32 v1, v18, v1
	v_cndmask_b32_e64 v3, v13, v6, s[10:11]
	v_ldexp_f32 v6, v7, v27
	v_sub_f32_e32 v7, v24, v2
	v_mul_f32_e32 v8, 0x3fb8aa3b, v7
	v_fma_f32 v9, v7, s19, -v8
	v_rndne_f32_e32 v18, v8
	v_fmac_f32_e32 v9, 0x32a5705f, v7
	v_sub_f32_e32 v8, v8, v18
	v_add_f32_e32 v8, v8, v9
	v_exp_f32_e32 v8, v8
	v_cvt_i32_f32_e32 v9, v18
	v_cndmask_b32_e64 v3, 0, v3, s[8:9]
	v_cmp_ngt_f32_e64 s[8:9], s35, v4
	v_sub_f32_e32 v2, v25, v2
	s_waitcnt vmcnt(3)
	v_mul_f32_e32 v5, v21, v3
	v_cndmask_b32_e64 v6, 0, v6, s[8:9]
	v_cmp_nlt_f32_e64 s[8:9], s39, v4
	s_nop 1
	v_cndmask_b32_e64 v4, v13, v6, s[8:9]
	v_ldexp_f32 v6, v8, v9
	v_mul_f32_e32 v8, 0x3fb8aa3b, v2
	v_fma_f32 v9, v2, s19, -v8
	v_rndne_f32_e32 v18, v8
	v_fmac_f32_e32 v9, 0x32a5705f, v2
	v_sub_f32_e32 v8, v8, v18
	v_add_f32_e32 v8, v8, v9
	v_exp_f32_e32 v8, v8
	v_cvt_i32_f32_e32 v9, v18
	v_cndmask_b32_e64 v4, 0, v4, s[6:7]
	v_cmp_ngt_f32_e64 s[6:7], s35, v7
	s_nop 1
	v_cndmask_b32_e64 v6, 0, v6, s[6:7]
	v_cmp_nlt_f32_e64 s[6:7], s39, v7
	v_ldexp_f32 v7, v8, v9
	v_lshlrev_b32_e32 v8, 2, v0
	v_cndmask_b32_e64 v6, v13, v6, s[6:7]
	v_cndmask_b32_e64 v6, 0, v6, s[4:5]
	v_cmp_ngt_f32_e64 s[4:5], s35, v2
	ds_write2st64_b32 v8, v1, v5 offset1:1
	v_fmac_f32_e32 v1, v21, v3
	v_cndmask_b32_e64 v7, 0, v7, s[4:5]
	v_cmp_nlt_f32_e64 s[4:5], s39, v2
	s_waitcnt vmcnt(2)
	v_fmac_f32_e32 v1, v10, v4
	s_waitcnt vmcnt(1)
	v_fmac_f32_e32 v1, v11, v6
	v_cndmask_b32_e64 v2, v13, v7, s[4:5]
	v_cndmask_b32_e32 v7, 0, v2, vcc
	s_waitcnt vmcnt(0)
	v_fmac_f32_e32 v1, v14, v7
	ds_bpermute_b32 v2, v15, v1
	v_mul_f32_e32 v3, v10, v4
	v_mul_f32_e32 v4, v11, v6
	v_cmp_eq_u32_e32 vcc, 0, v0
	v_mul_f32_e32 v5, v14, v7
	s_waitcnt lgkmcnt(0)
	v_add_f32_e32 v1, v1, v2
	ds_bpermute_b32 v2, v16, v1
	ds_write2st64_b32 v8, v3, v4 offset0:2 offset1:3
	ds_write_b32 v8, v5 offset:1024
	s_waitcnt lgkmcnt(2)
	v_add_f32_e32 v1, v1, v2
	ds_bpermute_b32 v2, v17, v1
	s_waitcnt lgkmcnt(0)
	v_add_f32_e32 v1, v1, v2
	ds_bpermute_b32 v2, v19, v1
	s_waitcnt lgkmcnt(0)
	v_add_f32_e32 v1, v1, v2
	ds_bpermute_b32 v2, v20, v1
	s_waitcnt lgkmcnt(0)
	v_add_f32_e32 v1, v1, v2
	ds_bpermute_b32 v2, v12, v1
	s_and_saveexec_b64 s[4:5], vcc
	s_cbranch_execz .LBB460_8
; %bb.7:
	s_waitcnt lgkmcnt(0)
	v_add_f32_e32 v1, v1, v2
	v_mov_b32_e32 v2, 0
	ds_write_b32 v2, v1 offset:1280
.LBB460_8:
	s_or_b64 exec, exec, s[4:5]
	v_mov_b32_e32 v1, s18
.LBB460_9:
	s_or_b64 exec, exec, s[30:31]
	s_lshl_b32 s4, s34, 6
	s_mov_b32 s5, 0
	s_lshl_b64 s[4:5], s[4:5], 1
	s_add_u32 s4, s16, s4
	s_addc_u32 s5, s17, s5
	s_lshl_b32 s10, s33, 6
	s_sub_i32 s11, s10, 64
	s_waitcnt lgkmcnt(0)
	v_lshlrev_b32_e32 v2, 6, v1
	v_mov_b32_e32 v3, 0
	s_cmp_lt_i32 s38, 1
	v_lshl_add_u64 v[4:5], v[2:3], 1, s[4:5]
	s_cselect_b32 s4, s11, 0
	v_lshlrev_b32_e32 v2, 1, v0
	s_ashr_i32 s5, s4, 31
	v_lshl_add_u64 v[0:1], v[4:5], 0, v[2:3]
	s_cmpk_lt_i32 s38, 0x101
	v_lshl_add_u64 v[4:5], s[4:5], 1, v[0:1]
	s_cselect_b32 s4, s11, 64
	s_ashr_i32 s5, s4, 31
	s_cmpk_lt_i32 s38, 0x201
	v_lshl_add_u64 v[6:7], s[4:5], 1, v[0:1]
	s_cselect_b32 s4, s11, 0x80
	s_ashr_i32 s5, s4, 31
	;; [unrolled: 4-line block ×8, first 2 shown]
	s_cmpk_lt_i32 s38, 0x901
	global_load_ushort v23, v[4:5], off
	global_load_ushort v22, v[6:7], off
	;; [unrolled: 1-line block ×8, first 2 shown]
	v_lshl_add_u64 v[4:5], s[4:5], 1, v[0:1]
	s_cselect_b32 s4, s11, 0x240
	s_ashr_i32 s5, s4, 31
	s_cmpk_lt_i32 s38, 0xa01
	v_lshl_add_u64 v[6:7], s[4:5], 1, v[0:1]
	s_cselect_b32 s4, s11, 0x280
	s_ashr_i32 s5, s4, 31
	s_cmpk_lt_i32 s38, 0xb01
	;; [unrolled: 4-line block ×6, first 2 shown]
	v_lshl_add_u64 v[32:33], s[4:5], 1, v[0:1]
	s_cselect_b32 s4, s11, 0x3c0
	s_ashr_i32 s5, s4, 31
	v_lshl_add_u64 v[34:35], s[4:5], 1, v[0:1]
	global_load_ushort v30, v[4:5], off
	global_load_ushort v31, v[6:7], off
	;; [unrolled: 1-line block ×8, first 2 shown]
	s_cmpk_gt_i32 s38, 0x1000
	s_cselect_b64 s[8:9], -1, 0
	s_cmpk_lt_i32 s38, 0x1001
	v_mov_b32_e32 v40, 0
	v_mov_b32_e32 v41, 0
	;; [unrolled: 1-line block ×48, first 2 shown]
	s_waitcnt lgkmcnt(0)
	; wave barrier
	s_cbranch_scc1 .LBB460_12
; %bb.10:
	s_cmpk_lt_u32 s38, 0x1101
	s_cselect_b32 s4, s11, 0x440
	s_ashr_i32 s5, s4, 31
	s_cmpk_lt_u32 s38, 0x1201
	v_lshl_add_u64 v[4:5], s[4:5], 1, v[0:1]
	s_cselect_b32 s4, s11, 0x480
	s_ashr_i32 s5, s4, 31
	s_cmpk_lt_u32 s38, 0x1301
	v_lshl_add_u64 v[6:7], s[4:5], 1, v[0:1]
	;; [unrolled: 4-line block ×7, first 2 shown]
	s_cselect_b32 s4, s11, 0x600
	s_ashr_i32 s5, s4, 31
	s_cmpk_lt_u32 s38, 0x1901
	global_load_ushort v39, v[0:1], off offset:2048
	global_load_ushort v38, v[4:5], off
	global_load_ushort v37, v[6:7], off
	;; [unrolled: 1-line block ×7, first 2 shown]
	v_lshl_add_u64 v[4:5], s[4:5], 1, v[0:1]
	s_cselect_b32 s4, s11, 0x640
	s_ashr_i32 s5, s4, 31
	s_cmpk_lt_u32 s38, 0x1a01
	v_lshl_add_u64 v[6:7], s[4:5], 1, v[0:1]
	s_cselect_b32 s4, s11, 0x680
	s_ashr_i32 s5, s4, 31
	s_cmpk_lt_u32 s38, 0x1b01
	;; [unrolled: 4-line block ×6, first 2 shown]
	v_lshl_add_u64 v[48:49], s[4:5], 1, v[0:1]
	s_cselect_b32 s4, s11, 0x7c0
	s_ashr_i32 s5, s4, 31
	v_lshl_add_u64 v[50:51], s[4:5], 1, v[0:1]
	global_load_ushort v47, v[4:5], off
	global_load_ushort v46, v[6:7], off
	;; [unrolled: 1-line block ×8, first 2 shown]
	s_cmpk_lt_u32 s38, 0x2001
	v_mov_b32_e32 v67, 0
	v_mov_b32_e32 v65, 0
	;; [unrolled: 1-line block ×32, first 2 shown]
	s_cbranch_scc1 .LBB460_12
; %bb.11:
	s_cmpk_lt_u32 s38, 0x2101
	s_cselect_b32 s4, s11, 0x840
	s_ashr_i32 s5, s4, 31
	s_cmpk_lt_u32 s38, 0x2201
	v_lshl_add_u64 v[4:5], s[4:5], 1, v[0:1]
	s_cselect_b32 s4, s11, 0x880
	s_ashr_i32 s5, s4, 31
	s_cmpk_lt_u32 s38, 0x2301
	v_lshl_add_u64 v[6:7], s[4:5], 1, v[0:1]
	;; [unrolled: 4-line block ×29, first 2 shown]
	s_cselect_b32 s4, s11, 0xf80
	s_ashr_i32 s5, s4, 31
	v_lshl_add_u64 v[94:95], s[4:5], 1, v[0:1]
	s_movk_i32 s4, 0x1000
	s_cmpk_lt_u32 s38, 0x3f01
	v_add_co_u32_e32 v96, vcc, s4, v0
	s_cselect_b32 s4, s11, 0xfc0
	s_nop 0
	v_addc_co_u32_e32 v97, vcc, 0, v1, vcc
	s_ashr_i32 s5, s4, 31
	global_load_ushort v98, v[96:97], off
	global_load_ushort v99, v[4:5], off
	;; [unrolled: 1-line block ×15, first 2 shown]
                                        ; kill: killed $vgpr52_vgpr53
                                        ; kill: killed $vgpr4_vgpr5
                                        ; kill: killed $vgpr58_vgpr59
                                        ; kill: killed $vgpr10_vgpr11
                                        ; kill: killed $vgpr48_vgpr49
                                        ; kill: killed $vgpr54_vgpr55
                                        ; kill: killed $vgpr6_vgpr7
                                        ; kill: killed $vgpr60_vgpr61
                                        ; kill: killed $vgpr12_vgpr13
                                        ; kill: killed $vgpr50_vgpr51
                                        ; kill: killed $vgpr56_vgpr57
                                        ; kill: killed $vgpr8_vgpr9
                                        ; kill: killed $vgpr62_vgpr63
                                        ; kill: killed $vgpr14_vgpr15
                                        ; kill: killed $vgpr96 killed $vgpr97
	global_load_ushort v6, v[64:65], off
	global_load_ushort v7, v[66:67], off
	;; [unrolled: 1-line block ×15, first 2 shown]
                                        ; kill: killed $vgpr84_vgpr85
                                        ; kill: killed $vgpr68_vgpr69
                                        ; kill: killed $vgpr90_vgpr91
                                        ; kill: killed $vgpr74_vgpr75
                                        ; kill: killed $vgpr80_vgpr81
                                        ; kill: killed $vgpr64_vgpr65
                                        ; kill: killed $vgpr70_vgpr71
                                        ; kill: killed $vgpr92_vgpr93
                                        ; kill: killed $vgpr76_vgpr77
                                        ; kill: killed $vgpr82_vgpr83
                                        ; kill: killed $vgpr66_vgpr67
                                        ; kill: killed $vgpr88_vgpr89
                                        ; kill: killed $vgpr72_vgpr73
                                        ; kill: killed $vgpr94_vgpr95
                                        ; kill: killed $vgpr78_vgpr79
	global_load_ushort v68, v[86:87], off
	v_lshl_add_u64 v[4:5], s[4:5], 1, v[0:1]
	global_load_ushort v5, v[4:5], off
	s_waitcnt vmcnt(31)
	v_lshlrev_b32_e32 v67, 16, v98
	s_waitcnt vmcnt(30)
	v_lshlrev_b32_e32 v65, 16, v99
	;; [unrolled: 2-line block ×32, first 2 shown]
.LBB460_12:
	s_load_dwordx2 s[4:5], s[0:1], 0x0
	s_load_dwordx2 s[6:7], s[0:1], 0x38
	ds_read_b128 v[68:71], v3
	s_waitcnt vmcnt(15)
	v_lshlrev_b32_e32 v23, 16, v23
	ds_read_b128 v[72:75], v3 offset:16
	ds_read_b128 v[76:79], v3 offset:32
	;; [unrolled: 1-line block ×3, first 2 shown]
	s_waitcnt vmcnt(14)
	v_lshlrev_b32_e32 v22, 16, v22
	s_waitcnt vmcnt(13)
	v_lshlrev_b32_e32 v21, 16, v21
	s_waitcnt lgkmcnt(0)
	v_fma_f32 v23, v68, v23, 0
	v_fmac_f32_e32 v23, v69, v22
	v_fmac_f32_e32 v23, v70, v21
	s_waitcnt vmcnt(12)
	v_lshlrev_b32_e32 v20, 16, v20
	s_waitcnt vmcnt(10)
	v_lshlrev_b32_e32 v19, 16, v19
	v_lshlrev_b32_e32 v18, 16, v18
	v_fmac_f32_e32 v23, v71, v20
	v_pk_mul_f32 v[18:19], v[72:73], v[18:19]
	s_waitcnt vmcnt(8)
	v_lshlrev_b32_e32 v17, 16, v17
	v_add_f32_e32 v18, v23, v18
	v_lshlrev_b32_e32 v16, 16, v16
	v_add_f32_e32 v18, v18, v19
	v_pk_mul_f32 v[16:17], v[74:75], v[16:17]
	s_and_b64 vcc, exec, s[8:9]
	v_add_f32_e32 v16, v18, v16
	v_add_f32_e32 v18, v16, v17
	s_waitcnt vmcnt(6)
	v_lshlrev_b32_e32 v17, 16, v31
	v_lshlrev_b32_e32 v16, 16, v30
	v_pk_mul_f32 v[16:17], v[76:77], v[16:17]
	s_nop 0
	v_add_f32_e32 v16, v18, v16
	v_add_f32_e32 v18, v16, v17
	s_waitcnt vmcnt(4)
	v_lshlrev_b32_e32 v17, 16, v29
	v_lshlrev_b32_e32 v16, 16, v28
	v_pk_mul_f32 v[16:17], v[78:79], v[16:17]
	s_nop 0
	;; [unrolled: 7-line block ×4, first 2 shown]
	v_add_f32_e32 v16, v18, v16
	v_add_f32_e32 v110, v16, v17
	s_cbranch_vccz .LBB460_15
; %bb.13:
	ds_read_b128 v[16:19], v3 offset:64
	v_lshlrev_b32_e32 v39, 16, v39
	ds_read_b128 v[20:23], v3 offset:80
	ds_read_b128 v[24:27], v3 offset:96
	;; [unrolled: 1-line block ×3, first 2 shown]
	v_lshlrev_b32_e32 v3, 16, v38
	s_cmpk_lt_u32 s38, 0x2001
	s_waitcnt lgkmcnt(3)
	v_fmac_f32_e32 v110, v16, v39
	v_fmac_f32_e32 v110, v17, v3
	v_lshlrev_b32_e32 v3, 16, v37
	v_fmac_f32_e32 v110, v18, v3
	v_lshlrev_b32_e32 v3, 16, v36
	v_fmac_f32_e32 v110, v19, v3
	v_lshlrev_b32_e32 v3, 16, v35
	s_waitcnt lgkmcnt(2)
	v_fmac_f32_e32 v110, v20, v3
	v_lshlrev_b32_e32 v3, 16, v34
	v_fmac_f32_e32 v110, v21, v3
	v_lshlrev_b32_e32 v3, 16, v33
	v_fmac_f32_e32 v110, v22, v3
	v_lshlrev_b32_e32 v3, 16, v32
	v_fmac_f32_e32 v110, v23, v3
	v_lshlrev_b32_e32 v3, 16, v47
	s_waitcnt lgkmcnt(1)
	v_fmac_f32_e32 v110, v24, v3
	v_lshlrev_b32_e32 v3, 16, v46
	;; [unrolled: 9-line block ×3, first 2 shown]
	v_fmac_f32_e32 v110, v29, v3
	v_lshlrev_b32_e32 v3, 16, v41
	v_fmac_f32_e32 v110, v30, v3
	v_lshlrev_b32_e32 v3, 16, v40
	v_fmac_f32_e32 v110, v31, v3
	s_cbranch_scc1 .LBB460_15
; %bb.14:
	v_mov_b32_e32 v3, 0
	ds_read_b128 v[16:19], v3 offset:128
	ds_read_b128 v[20:23], v3 offset:144
	;; [unrolled: 1-line block ×4, first 2 shown]
	s_waitcnt lgkmcnt(3)
	v_fmac_f32_e32 v110, v16, v67
	v_fmac_f32_e32 v110, v17, v65
	v_fmac_f32_e32 v110, v18, v66
	v_fmac_f32_e32 v110, v19, v63
	s_waitcnt lgkmcnt(2)
	v_fmac_f32_e32 v110, v20, v64
	v_fmac_f32_e32 v110, v21, v61
	v_fmac_f32_e32 v110, v22, v62
	v_fmac_f32_e32 v110, v23, v59
	;; [unrolled: 5-line block ×3, first 2 shown]
	ds_read_b128 v[16:19], v3 offset:192
	ds_read_b128 v[20:23], v3 offset:208
	s_waitcnt lgkmcnt(2)
	v_fmac_f32_e32 v110, v28, v56
	v_fmac_f32_e32 v110, v29, v53
	;; [unrolled: 1-line block ×4, first 2 shown]
	s_waitcnt lgkmcnt(1)
	v_fmac_f32_e32 v110, v16, v51
	v_fmac_f32_e32 v110, v17, v49
	;; [unrolled: 1-line block ×4, first 2 shown]
	s_waitcnt lgkmcnt(0)
	v_pk_mul_f32 v[14:15], v[20:21], v[14:15]
	v_pk_mul_f32 v[12:13], v[22:23], v[12:13]
	v_add_f32_e32 v14, v110, v14
	v_add_f32_e32 v18, v14, v15
	ds_read_b128 v[14:17], v3 offset:224
	v_add_f32_e32 v12, v18, v12
	ds_read_b128 v[18:21], v3 offset:240
	v_add_f32_e32 v12, v12, v13
	s_waitcnt lgkmcnt(1)
	v_pk_mul_f32 v[10:11], v[14:15], v[10:11]
	s_nop 0
	v_add_f32_e32 v3, v12, v10
	v_add_f32_e32 v3, v3, v11
	v_pk_mul_f32 v[8:9], v[16:17], v[8:9]
	s_waitcnt lgkmcnt(0)
	v_pk_mul_f32 v[6:7], v[18:19], v[6:7]
	v_add_f32_e32 v3, v3, v8
	v_add_f32_e32 v3, v3, v9
	;; [unrolled: 1-line block ×4, first 2 shown]
	v_pk_mul_f32 v[4:5], v[20:21], v[4:5]
	s_nop 0
	v_add_f32_e32 v3, v3, v4
	v_add_f32_e32 v110, v3, v5
.LBB460_15:
	s_movk_i32 s0, 0x1fc0
	s_movk_i32 s1, 0x100
	s_mov_b32 s8, 64
	s_branch .LBB460_17
.LBB460_16:                             ;   in Loop: Header=BB460_17 Depth=1
	s_addk_i32 s0, 0x1000
	s_addk_i32 s1, 0x100
	s_add_i32 s8, s8, 64
	s_cmpk_eq_i32 s0, 0x5fc0
	s_cbranch_scc1 .LBB460_19
.LBB460_17:                             ; =>This Inner Loop Header: Depth=1
	s_cmp_le_i32 s33, s8
	s_cbranch_scc1 .LBB460_16
; %bb.18:                               ;   in Loop: Header=BB460_17 Depth=1
	s_add_i32 s9, s0, 0xfffff040
	s_cmp_lt_i32 s9, s10
	s_cselect_b32 s12, s9, s11
	s_ashr_i32 s13, s12, 31
	s_add_i32 s9, s0, 0xfffff080
	s_cmp_lt_i32 s9, s10
	v_lshl_add_u64 v[44:45], s[12:13], 1, v[0:1]
	s_cselect_b32 s12, s9, s11
	s_ashr_i32 s13, s12, 31
	s_add_i32 s9, s0, 0xfffff0c0
	s_cmp_lt_i32 s9, s10
	v_lshl_add_u64 v[4:5], s[12:13], 1, v[0:1]
	;; [unrolled: 5-line block ×14, first 2 shown]
	s_cselect_b32 s12, s9, s11
	s_ashr_i32 s13, s12, 31
	s_add_i32 s9, s0, 0xfffff400
	s_cmp_lt_i32 s9, s10
	global_load_ushort v3, v[44:45], off
	global_load_ushort v120, v[46:47], off
	v_lshl_add_u64 v[60:61], s[12:13], 1, v[0:1]
	s_cselect_b32 s12, s9, s11
	global_load_ushort v111, v[4:5], off
	global_load_ushort v112, v[6:7], off
	global_load_ushort v113, v[8:9], off
	global_load_ushort v114, v[10:11], off
	global_load_ushort v115, v[12:13], off
	global_load_ushort v116, v[14:15], off
	global_load_ushort v117, v[16:17], off
	s_ashr_i32 s13, s12, 31
	s_add_i32 s9, s0, 0xfffff440
	s_cmp_lt_i32 s9, s10
	v_lshl_add_u64 v[66:67], s[12:13], 1, v[0:1]
	s_cselect_b32 s12, s9, s11
	s_ashr_i32 s13, s12, 31
	s_add_i32 s9, s0, 0xfffff480
	s_cmp_lt_i32 s9, s10
	v_lshl_add_u64 v[62:63], s[12:13], 1, v[0:1]
	s_cselect_b32 s12, s9, s11
	;; [unrolled: 5-line block ×14, first 2 shown]
	s_ashr_i32 s13, s12, 31
	s_add_i32 s9, s0, 0xfffff7c0
	global_load_ushort v118, v[28:29], off
	global_load_ushort v119, v[30:31], off
	s_cmp_lt_i32 s9, s10
	v_lshl_add_u64 v[26:27], s[12:13], 1, v[0:1]
	s_cselect_b32 s12, s9, s11
	s_ashr_i32 s13, s12, 31
	s_add_i32 s9, s0, 0xfffff800
	s_cmp_lt_i32 s9, s10
	v_lshl_add_u64 v[52:53], s[12:13], 1, v[0:1]
	s_cselect_b32 s12, s9, s11
	global_load_ushort v121, v[54:55], off
	global_load_ushort v122, v[56:57], off
	s_ashr_i32 s13, s12, 31
	global_load_ushort v58, v[58:59], off
	s_add_i32 s9, s0, 0xfffff840
	s_cmp_lt_i32 s9, s10
	v_lshl_add_u64 v[64:65], s[12:13], 1, v[0:1]
	s_cselect_b32 s12, s9, s11
	global_load_ushort v59, v[60:61], off
	s_ashr_i32 s13, s12, 31
	s_add_i32 s9, s0, 0xfffff880
	global_load_ushort v60, v[66:67], off
	global_load_ushort v61, v[62:63], off
	s_cmp_lt_i32 s9, s10
	v_lshl_add_u64 v[68:69], s[12:13], 1, v[0:1]
	s_cselect_b32 s12, s9, s11
	s_ashr_i32 s13, s12, 31
	s_add_i32 s9, s0, 0xfffff8c0
	s_cmp_lt_i32 s9, s10
	v_lshl_add_u64 v[70:71], s[12:13], 1, v[0:1]
	s_cselect_b32 s12, s9, s11
	s_ashr_i32 s13, s12, 31
	s_add_i32 s9, s0, 0xfffff900
	;; [unrolled: 5-line block ×3, first 2 shown]
	s_cmp_lt_i32 s9, s10
	v_lshl_add_u64 v[74:75], s[12:13], 1, v[0:1]
	s_cselect_b32 s12, s9, s11
	global_load_ushort v62, v[22:23], off
	s_ashr_i32 s13, s12, 31
	s_add_i32 s9, s0, 0xfffff980
	global_load_ushort v66, v[32:33], off
	global_load_ushort v123, v[34:35], off
	;; [unrolled: 1-line block ×4, first 2 shown]
	s_cmp_lt_i32 s9, s10
	v_lshl_add_u64 v[76:77], s[12:13], 1, v[0:1]
	s_cselect_b32 s12, s9, s11
	global_load_ushort v67, v[48:49], off
	s_ashr_i32 s13, s12, 31
	s_add_i32 s9, s0, 0xfffff9c0
	s_cmp_lt_i32 s9, s10
	v_lshl_add_u64 v[78:79], s[12:13], 1, v[0:1]
	s_cselect_b32 s12, s9, s11
	s_ashr_i32 s13, s12, 31
	s_add_i32 s9, s0, 0xfffffa00
	s_cmp_lt_i32 s9, s10
	v_lshl_add_u64 v[80:81], s[12:13], 1, v[0:1]
	s_cselect_b32 s12, s9, s11
	s_ashr_i32 s13, s12, 31
	s_add_i32 s9, s0, 0xfffffa40
	s_cmp_lt_i32 s9, s10
	v_mov_b32_e32 v124, s1
	v_lshl_add_u64 v[82:83], s[12:13], 1, v[0:1]
	s_cselect_b32 s12, s9, s11
	ds_read_b128 v[30:33], v124
	ds_read_b128 v[34:37], v124 offset:16
	global_load_ushort v50, v[50:51], off
	s_ashr_i32 s13, s12, 31
	s_add_i32 s9, s0, 0xfffffa80
	s_cmp_lt_i32 s9, s10
	v_lshl_add_u64 v[84:85], s[12:13], 1, v[0:1]
	s_cselect_b32 s12, s9, s11
	ds_read_b128 v[46:49], v124 offset:32
	ds_read_b128 v[54:57], v124 offset:48
	global_load_ushort v38, v[38:39], off
	s_ashr_i32 s13, s12, 31
	s_waitcnt vmcnt(24)
	v_lshlrev_b32_e32 v3, 16, v3
	v_lshl_add_u64 v[86:87], s[12:13], 1, v[0:1]
	global_load_ushort v51, v[86:87], off
	s_waitcnt lgkmcnt(3)
	v_fmac_f32_e32 v110, v30, v3
	s_waitcnt vmcnt(23)
	v_lshlrev_b32_e32 v3, 16, v111
	v_fmac_f32_e32 v110, v31, v3
	s_waitcnt vmcnt(22)
	v_lshlrev_b32_e32 v3, 16, v112
	global_load_ushort v39, v[18:19], off
	v_fmac_f32_e32 v110, v32, v3
	s_waitcnt vmcnt(22)
	v_lshlrev_b32_e32 v3, 16, v113
	v_fmac_f32_e32 v110, v33, v3
	s_waitcnt vmcnt(21)
	v_lshlrev_b32_e32 v3, 16, v114
	s_waitcnt lgkmcnt(2)
	v_fmac_f32_e32 v110, v34, v3
	global_load_ushort v3, v[20:21], off
	global_load_ushort v34, v[40:41], off
	s_add_i32 s9, s0, 0xfffffac0
	global_load_ushort v26, v[26:27], off
	s_waitcnt vmcnt(23)
	v_lshlrev_b32_e32 v18, 16, v115
	v_fmac_f32_e32 v110, v35, v18
	global_load_ushort v35, v[42:43], off
	global_load_ushort v27, v[52:53], off
	s_cmp_lt_i32 s9, s10
	s_cselect_b32 s12, s9, s11
	s_ashr_i32 s13, s12, 31
	s_add_i32 s9, s0, 0xfffffb00
	s_cmp_lt_i32 s9, s10
	v_lshl_add_u64 v[88:89], s[12:13], 1, v[0:1]
	s_cselect_b32 s12, s9, s11
	s_ashr_i32 s13, s12, 31
	s_add_i32 s9, s0, 0xfffffb40
	s_cmp_lt_i32 s9, s10
	v_lshl_add_u64 v[90:91], s[12:13], 1, v[0:1]
	;; [unrolled: 5-line block ×6, first 2 shown]
	s_cselect_b32 s12, s9, s11
	s_ashr_i32 s13, s12, 31
	s_add_i32 s9, s0, 0xfffffc80
	s_waitcnt vmcnt(24)
	v_lshlrev_b32_e32 v18, 16, v116
	s_cmp_lt_i32 s9, s10
	v_fmac_f32_e32 v110, v36, v18
	global_load_ushort v36, v[64:65], off
	s_waitcnt vmcnt(24)
	v_lshlrev_b32_e32 v18, 16, v117
	v_lshl_add_u64 v[102:103], s[12:13], 1, v[0:1]
	s_cselect_b32 s12, s9, s11
	v_fmac_f32_e32 v110, v37, v18
	global_load_ushort v37, v[68:69], off
	global_load_ushort v40, v[70:71], off
	;; [unrolled: 1-line block ×3, first 2 shown]
	s_waitcnt vmcnt(26)
	v_lshlrev_b32_e32 v18, 16, v118
	s_ashr_i32 s13, s12, 31
	s_add_i32 s9, s0, 0xfffffcc0
	s_waitcnt lgkmcnt(1)
	v_fmac_f32_e32 v110, v46, v18
	global_load_ushort v46, v[78:79], off
	s_waitcnt vmcnt(26)
	v_lshlrev_b32_e32 v18, 16, v119
	s_cmp_lt_i32 s9, s10
	v_fmac_f32_e32 v110, v47, v18
	v_lshlrev_b32_e32 v18, 16, v120
	v_lshl_add_u64 v[104:105], s[12:13], 1, v[0:1]
	s_cselect_b32 s12, s9, s11
	v_fmac_f32_e32 v110, v48, v18
	global_load_ushort v48, v[82:83], off
	global_load_ushort v42, v[74:75], off
	;; [unrolled: 1-line block ×4, first 2 shown]
	s_ashr_i32 s13, s12, 31
	s_add_i32 s9, s0, 0xfffffd00
	s_cmp_lt_i32 s9, s10
	s_waitcnt vmcnt(29)
	v_lshlrev_b32_e32 v18, 16, v121
	v_lshl_add_u64 v[106:107], s[12:13], 1, v[0:1]
	s_cselect_b32 s12, s9, s11
	v_fmac_f32_e32 v110, v49, v18
	global_load_ushort v49, v[84:85], off
	global_load_ushort v53, v[88:89], off
	s_waitcnt vmcnt(30)
	v_lshlrev_b32_e32 v18, 16, v122
	s_ashr_i32 s13, s12, 31
	s_add_i32 s9, s0, 0xfffffd40
	s_waitcnt lgkmcnt(0)
	v_fmac_f32_e32 v110, v54, v18
	global_load_ushort v54, v[90:91], off
	s_waitcnt vmcnt(30)
	v_lshlrev_b32_e32 v18, 16, v58
	s_cmp_lt_i32 s9, s10
	v_fmac_f32_e32 v110, v55, v18
	s_waitcnt vmcnt(29)
	v_lshlrev_b32_e32 v18, 16, v59
	v_lshl_add_u64 v[98:99], s[12:13], 1, v[0:1]
	s_cselect_b32 s12, s9, s11
	v_fmac_f32_e32 v110, v56, v18
	s_waitcnt vmcnt(28)
	v_lshlrev_b32_e32 v18, 16, v60
	s_ashr_i32 s13, s12, 31
	s_add_i32 s9, s0, 0xfffffd80
	v_fmac_f32_e32 v110, v57, v18
	ds_read_b128 v[18:21], v124 offset:64
	ds_read_b128 v[30:33], v124 offset:80
	s_cmp_lt_i32 s9, s10
	v_lshl_add_u64 v[44:45], s[12:13], 1, v[0:1]
	s_cselect_b32 s12, s9, s11
	s_ashr_i32 s13, s12, 31
	s_add_i32 s9, s0, 0xfffffdc0
	s_cmp_lt_i32 s9, s10
	s_waitcnt vmcnt(27)
	v_lshlrev_b32_e32 v52, 16, v61
	v_lshl_add_u64 v[108:109], s[12:13], 1, v[0:1]
	s_cselect_b32 s12, s9, s11
	s_waitcnt lgkmcnt(1)
	v_fmac_f32_e32 v110, v18, v52
	global_load_ushort v52, v[92:93], off
	global_load_ushort v55, v[94:95], off
	s_ashr_i32 s13, s12, 31
	s_add_i32 s9, s0, 0xfffffe00
	s_cmp_lt_i32 s9, s10
	global_load_ushort v56, v[96:97], off
	global_load_ushort v57, v[100:101], off
	;; [unrolled: 1-line block ×4, first 2 shown]
	v_lshl_add_u64 v[4:5], s[12:13], 1, v[0:1]
	s_cselect_b32 s12, s9, s11
	s_ashr_i32 s13, s12, 31
	s_add_i32 s9, s0, 0xfffffe40
	s_cmp_lt_i32 s9, s10
	s_waitcnt vmcnt(32)
	v_lshlrev_b32_e32 v18, 16, v62
	v_lshl_add_u64 v[6:7], s[12:13], 1, v[0:1]
	s_cselect_b32 s12, s9, s11
	v_fmac_f32_e32 v110, v19, v18
	s_waitcnt vmcnt(28)
	v_lshlrev_b32_e32 v18, 16, v63
	s_ashr_i32 s13, s12, 31
	s_add_i32 s9, s0, 0xfffffe80
	v_fmac_f32_e32 v110, v20, v18
	v_lshlrev_b32_e32 v18, 16, v66
	s_cmp_lt_i32 s9, s10
	v_fmac_f32_e32 v110, v21, v18
	s_waitcnt vmcnt(27)
	v_lshlrev_b32_e32 v18, 16, v67
	v_lshl_add_u64 v[8:9], s[12:13], 1, v[0:1]
	s_cselect_b32 s12, s9, s11
	s_waitcnt lgkmcnt(0)
	v_fmac_f32_e32 v110, v30, v18
	global_load_ushort v30, v[106:107], off
	s_ashr_i32 s13, s12, 31
	s_add_i32 s9, s0, 0xfffffec0
	s_cmp_lt_i32 s9, s10
	global_load_ushort v60, v[98:99], off
	global_load_ushort v61, v[44:45], off
	;; [unrolled: 1-line block ×3, first 2 shown]
	v_lshl_add_u64 v[12:13], s[12:13], 1, v[0:1]
	s_cselect_b32 s12, s9, s11
	v_lshlrev_b32_e32 v18, 16, v123
	s_ashr_i32 s13, s12, 31
	s_add_i32 s9, s0, 0xffffff00
	v_fmac_f32_e32 v110, v31, v18
	v_lshlrev_b32_e32 v18, 16, v125
	s_cmp_lt_i32 s9, s10
	v_fmac_f32_e32 v110, v32, v18
	global_load_ushort v31, v[4:5], off
	global_load_ushort v32, v[6:7], off
	v_lshl_add_u64 v[10:11], s[12:13], 1, v[0:1]
	s_cselect_b32 s12, s9, s11
	s_ashr_i32 s13, s12, 31
	s_add_i32 s9, s0, 0xffffff40
	s_cmp_lt_i32 s9, s10
	s_waitcnt vmcnt(32)
	v_lshlrev_b32_e32 v4, 16, v50
	v_lshl_add_u64 v[16:17], s[12:13], 1, v[0:1]
	s_cselect_b32 s12, s9, s11
	v_fmac_f32_e32 v110, v33, v4
	ds_read_b128 v[4:7], v124 offset:96
	s_ashr_i32 s13, s12, 31
	s_add_i32 s9, s0, 0xffffff80
	s_cmp_lt_i32 s9, s10
	s_waitcnt vmcnt(31)
	v_lshlrev_b32_e32 v33, 16, v38
	global_load_ushort v38, v[8:9], off
	global_load_ushort v44, v[12:13], off
	v_lshl_add_u64 v[14:15], s[12:13], 1, v[0:1]
	s_cselect_b32 s12, s9, s11
	s_ashr_i32 s13, s12, 31
	s_sub_i32 s9, s0, 64
	s_cmp_lt_i32 s9, s10
	ds_read_b128 v[18:21], v124 offset:112
	s_waitcnt lgkmcnt(1)
	v_fmac_f32_e32 v110, v4, v33
	s_waitcnt vmcnt(31)
	v_lshlrev_b32_e32 v4, 16, v39
	global_load_ushort v33, v[10:11], off
	global_load_ushort v39, v[16:17], off
	v_lshl_add_u64 v[28:29], s[12:13], 1, v[0:1]
	s_cselect_b32 s12, s9, s11
	s_ashr_i32 s13, s12, 31
	s_cmp_lt_i32 s0, s10
	v_fmac_f32_e32 v110, v5, v4
	s_waitcnt vmcnt(32)
	v_lshlrev_b32_e32 v3, 16, v3
	global_load_ushort v16, v[14:15], off
	global_load_ushort v17, v[28:29], off
	v_lshl_add_u64 v[22:23], s[12:13], 1, v[0:1]
	s_cselect_b32 s12, s0, s11
	v_fmac_f32_e32 v110, v6, v3
	s_waitcnt vmcnt(33)
	v_lshlrev_b32_e32 v3, 16, v34
	s_ashr_i32 s13, s12, 31
	v_fmac_f32_e32 v110, v7, v3
	s_waitcnt vmcnt(31)
	v_lshlrev_b32_e32 v3, 16, v35
	v_lshl_add_u64 v[24:25], s[12:13], 1, v[0:1]
	s_waitcnt lgkmcnt(0)
	v_fmac_f32_e32 v110, v18, v3
	global_load_ushort v3, v[22:23], off
	global_load_ushort v14, v[24:25], off
	v_lshlrev_b32_e32 v4, 16, v26
	v_fmac_f32_e32 v110, v19, v4
	s_waitcnt vmcnt(32)
	v_lshlrev_b32_e32 v4, 16, v27
	v_fmac_f32_e32 v110, v20, v4
	ds_read_b128 v[4:7], v124 offset:128
	s_waitcnt vmcnt(31)
	v_lshlrev_b32_e32 v8, 16, v36
	v_fmac_f32_e32 v110, v21, v8
	ds_read_b128 v[8:11], v124 offset:144
	s_waitcnt vmcnt(30)
	v_lshlrev_b32_e32 v12, 16, v37
	s_waitcnt lgkmcnt(1)
	v_fmac_f32_e32 v110, v4, v12
	s_waitcnt vmcnt(29)
	v_lshlrev_b32_e32 v4, 16, v40
	v_fmac_f32_e32 v110, v5, v4
	s_waitcnt vmcnt(28)
	v_lshlrev_b32_e32 v4, 16, v41
	;; [unrolled: 3-line block ×4, first 2 shown]
	s_waitcnt lgkmcnt(0)
	v_fmac_f32_e32 v110, v8, v4
	v_lshlrev_b32_e32 v4, 16, v46
	v_fmac_f32_e32 v110, v9, v4
	s_waitcnt vmcnt(23)
	v_lshlrev_b32_e32 v4, 16, v47
	v_fmac_f32_e32 v110, v10, v4
	ds_read_b128 v[4:7], v124 offset:160
	v_lshlrev_b32_e32 v8, 16, v48
	v_fmac_f32_e32 v110, v11, v8
	ds_read_b128 v[8:11], v124 offset:176
	s_waitcnt vmcnt(22)
	v_lshlrev_b32_e32 v12, 16, v49
	s_waitcnt lgkmcnt(1)
	v_fmac_f32_e32 v110, v4, v12
	v_lshlrev_b32_e32 v4, 16, v51
	v_fmac_f32_e32 v110, v5, v4
	s_waitcnt vmcnt(21)
	v_lshlrev_b32_e32 v4, 16, v53
	v_fmac_f32_e32 v110, v6, v4
	s_waitcnt vmcnt(20)
	;; [unrolled: 3-line block ×3, first 2 shown]
	v_lshlrev_b32_e32 v4, 16, v52
	s_waitcnt lgkmcnt(0)
	v_fmac_f32_e32 v110, v8, v4
	s_waitcnt vmcnt(18)
	v_lshlrev_b32_e32 v4, 16, v55
	v_fmac_f32_e32 v110, v9, v4
	s_waitcnt vmcnt(17)
	v_lshlrev_b32_e32 v4, 16, v56
	v_fmac_f32_e32 v110, v10, v4
	ds_read_b128 v[4:7], v124 offset:192
	s_waitcnt vmcnt(16)
	v_lshlrev_b32_e32 v8, 16, v57
	v_fmac_f32_e32 v110, v11, v8
	ds_read_b128 v[8:11], v124 offset:208
	s_waitcnt vmcnt(15)
	v_lshlrev_b32_e32 v12, 16, v58
	s_waitcnt lgkmcnt(1)
	v_fmac_f32_e32 v110, v4, v12
	s_waitcnt vmcnt(14)
	v_lshlrev_b32_e32 v4, 16, v59
	v_fmac_f32_e32 v110, v5, v4
	s_waitcnt vmcnt(13)
	v_lshlrev_b32_e32 v4, 16, v30
	;; [unrolled: 3-line block ×4, first 2 shown]
	v_lshlrev_b32_e32 v4, 16, v61
	s_waitcnt lgkmcnt(0)
	v_pk_mul_f32 v[4:5], v[8:9], v[4:5]
	s_waitcnt vmcnt(6)
	v_lshlrev_b32_e32 v13, 16, v44
	v_add_f32_e32 v4, v110, v4
	v_add_f32_e32 v6, v4, v5
	v_lshlrev_b32_e32 v5, 16, v32
	v_lshlrev_b32_e32 v4, 16, v31
	v_pk_mul_f32 v[8:9], v[10:11], v[4:5]
	v_lshlrev_b32_e32 v12, 16, v38
	v_add_f32_e32 v8, v6, v8
	ds_read_b128 v[4:7], v124 offset:224
	v_add_f32_e32 v15, v8, v9
	ds_read_b128 v[8:11], v124 offset:240
	s_waitcnt lgkmcnt(1)
	v_pk_mul_f32 v[4:5], v[4:5], v[12:13]
	s_nop 0
	v_add_f32_e32 v4, v15, v4
	v_add_f32_e32 v12, v4, v5
	s_waitcnt vmcnt(4)
	v_lshlrev_b32_e32 v5, 16, v39
	v_lshlrev_b32_e32 v4, 16, v33
	v_pk_mul_f32 v[4:5], v[6:7], v[4:5]
	s_nop 0
	v_add_f32_e32 v4, v12, v4
	v_add_f32_e32 v6, v4, v5
	s_waitcnt vmcnt(2)
	v_lshlrev_b32_e32 v5, 16, v17
	v_lshlrev_b32_e32 v4, 16, v16
	s_waitcnt lgkmcnt(0)
	v_pk_mul_f32 v[4:5], v[8:9], v[4:5]
	s_nop 0
	v_add_f32_e32 v4, v6, v4
	v_add_f32_e32 v6, v4, v5
	s_waitcnt vmcnt(0)
	v_lshlrev_b32_e32 v5, 16, v14
	v_lshlrev_b32_e32 v4, 16, v3
	v_pk_mul_f32 v[4:5], v[10:11], v[4:5]
	s_nop 0
	v_add_f32_e32 v3, v6, v4
	v_add_f32_e32 v110, v3, v5
	s_branch .LBB460_16
.LBB460_19:
	v_mov_b32_e32 v0, 0
	ds_read_b32 v0, v0 offset:1280
	s_cmp_lg_u64 s[6:7], 0
	s_cbranch_scc0 .LBB460_28
; %bb.20:
	s_load_dword s6, s[6:7], 0x0
	s_waitcnt lgkmcnt(0)
	v_div_scale_f32 v1, s[0:1], s6, s6, 1.0
	v_rcp_f32_e32 v3, v1
	v_div_scale_f32 v4, vcc, 1.0, s6, 1.0
	v_fma_f32 v5, -v1, v3, 1.0
	v_fmac_f32_e32 v3, v5, v3
	v_mul_f32_e32 v5, v4, v3
	v_fma_f32 v6, -v1, v5, v4
	v_fmac_f32_e32 v5, v6, v3
	v_fma_f32 v1, -v1, v5, v4
	v_div_fmas_f32 v1, v1, v3, v5
	v_div_fixup_f32 v1, v1, s6, 1.0
	s_andn2_b64 vcc, exec, s[26:27]
	s_cbranch_vccnz .LBB460_22
.LBB460_21:
	s_add_u32 s0, s24, s28
	s_addc_u32 s1, s25, s29
	s_load_dword s14, s[0:1], 0x0
	s_mov_b32 s15, 0
.LBB460_22:
	s_waitcnt lgkmcnt(0)
	v_add_f32_e32 v0, 0x358637bd, v0
	v_div_scale_f32 v3, s[0:1], v0, v0, 1.0
	v_rcp_f32_e32 v4, v3
	v_div_scale_f32 v5, vcc, 1.0, v0, 1.0
	s_mov_b32 s0, 0x7f800000
	v_fma_f32 v6, -v3, v4, 1.0
	v_fmac_f32_e32 v4, v6, v4
	v_mul_f32_e32 v6, v5, v4
	v_fma_f32 v7, -v3, v6, v5
	v_fmac_f32_e32 v6, v7, v4
	v_fma_f32 v3, -v3, v6, v5
	v_div_fmas_f32 v3, v3, v4, v6
	v_div_fixup_f32 v0, v3, v0, 1.0
	v_mul_f32_e32 v0, v110, v0
	v_mul_f32_e32 v1, v0, v1
	v_and_b32_e32 v0, 0x7f800000, v1
	v_cmp_ne_u32_e32 vcc, s0, v0
                                        ; implicit-def: $vgpr0
	s_and_saveexec_b64 s[0:1], vcc
	s_xor_b64 s[0:1], exec, s[0:1]
; %bb.23:
	v_bfe_u32 v0, v1, 16, 1
	s_movk_i32 s6, 0x7fff
	v_add3_u32 v0, v1, v0, s6
                                        ; implicit-def: $vgpr1
; %bb.24:
	s_andn2_saveexec_b64 s[0:1], s[0:1]
; %bb.25:
	v_mov_b32_e32 v0, 0
	v_or_b32_e32 v3, 0x10000, v1
	v_cmp_eq_u32_sdwa vcc, v1, v0 src0_sel:WORD_0 src1_sel:DWORD
	s_nop 1
	v_cndmask_b32_e32 v0, v3, v1, vcc
; %bb.26:
	s_or_b64 exec, exec, s[0:1]
	s_mul_i32 s0, s3, s15
	s_mul_hi_u32 s1, s3, s14
	s_add_i32 s1, s1, s0
	s_mul_i32 s0, s3, s14
	s_lshl_b64 s[0:1], s[0:1], 7
	s_add_u32 s4, s4, s0
	s_mov_b32 s3, 0
	s_addc_u32 s5, s5, s1
	s_lshl_b64 s[0:1], s[2:3], 7
	s_add_u32 s0, s4, s0
	s_addc_u32 s1, s5, s1
	global_store_short_d16_hi v2, v0, s[0:1]
	s_endpgm
.LBB460_27:
	s_mov_b64 s[6:7], 0
	s_branch .LBB460_2
.LBB460_28:
	v_mov_b32_e32 v1, 1.0
	s_andn2_b64 vcc, exec, s[26:27]
	s_cbranch_vccz .LBB460_21
	s_branch .LBB460_22
	.section	.rodata,"a",@progbits
	.p2align	6, 0x0
	.amdhsa_kernel _Z35paged_attention_ll4mi_reduce_kernelI14__hip_bfloat16S0_Li64ELi64ELi256ELi5EEvPT0_PKfS4_PKT_PKiS9_iS4_
		.amdhsa_group_segment_fixed_size 1284
		.amdhsa_private_segment_fixed_size 0
		.amdhsa_kernarg_size 320
		.amdhsa_user_sgpr_count 2
		.amdhsa_user_sgpr_dispatch_ptr 0
		.amdhsa_user_sgpr_queue_ptr 0
		.amdhsa_user_sgpr_kernarg_segment_ptr 1
		.amdhsa_user_sgpr_dispatch_id 0
		.amdhsa_user_sgpr_kernarg_preload_length 0
		.amdhsa_user_sgpr_kernarg_preload_offset 0
		.amdhsa_user_sgpr_private_segment_size 0
		.amdhsa_uses_dynamic_stack 0
		.amdhsa_enable_private_segment 0
		.amdhsa_system_sgpr_workgroup_id_x 1
		.amdhsa_system_sgpr_workgroup_id_y 1
		.amdhsa_system_sgpr_workgroup_id_z 0
		.amdhsa_system_sgpr_workgroup_info 0
		.amdhsa_system_vgpr_workitem_id 0
		.amdhsa_next_free_vgpr 126
		.amdhsa_next_free_sgpr 40
		.amdhsa_accum_offset 128
		.amdhsa_reserve_vcc 1
		.amdhsa_float_round_mode_32 0
		.amdhsa_float_round_mode_16_64 0
		.amdhsa_float_denorm_mode_32 3
		.amdhsa_float_denorm_mode_16_64 3
		.amdhsa_dx10_clamp 1
		.amdhsa_ieee_mode 1
		.amdhsa_fp16_overflow 0
		.amdhsa_tg_split 0
		.amdhsa_exception_fp_ieee_invalid_op 0
		.amdhsa_exception_fp_denorm_src 0
		.amdhsa_exception_fp_ieee_div_zero 0
		.amdhsa_exception_fp_ieee_overflow 0
		.amdhsa_exception_fp_ieee_underflow 0
		.amdhsa_exception_fp_ieee_inexact 0
		.amdhsa_exception_int_div_zero 0
	.end_amdhsa_kernel
	.section	.text._Z35paged_attention_ll4mi_reduce_kernelI14__hip_bfloat16S0_Li64ELi64ELi256ELi5EEvPT0_PKfS4_PKT_PKiS9_iS4_,"axG",@progbits,_Z35paged_attention_ll4mi_reduce_kernelI14__hip_bfloat16S0_Li64ELi64ELi256ELi5EEvPT0_PKfS4_PKT_PKiS9_iS4_,comdat
.Lfunc_end460:
	.size	_Z35paged_attention_ll4mi_reduce_kernelI14__hip_bfloat16S0_Li64ELi64ELi256ELi5EEvPT0_PKfS4_PKT_PKiS9_iS4_, .Lfunc_end460-_Z35paged_attention_ll4mi_reduce_kernelI14__hip_bfloat16S0_Li64ELi64ELi256ELi5EEvPT0_PKfS4_PKT_PKiS9_iS4_
                                        ; -- End function
	.section	.AMDGPU.csdata,"",@progbits
; Kernel info:
; codeLenInByte = 8820
; NumSgprs: 46
; NumVgprs: 126
; NumAgprs: 0
; TotalNumVgprs: 126
; ScratchSize: 0
; MemoryBound: 0
; FloatMode: 240
; IeeeMode: 1
; LDSByteSize: 1284 bytes/workgroup (compile time only)
; SGPRBlocks: 5
; VGPRBlocks: 15
; NumSGPRsForWavesPerEU: 46
; NumVGPRsForWavesPerEU: 126
; AccumOffset: 128
; Occupancy: 4
; WaveLimiterHint : 1
; COMPUTE_PGM_RSRC2:SCRATCH_EN: 0
; COMPUTE_PGM_RSRC2:USER_SGPR: 2
; COMPUTE_PGM_RSRC2:TRAP_HANDLER: 0
; COMPUTE_PGM_RSRC2:TGID_X_EN: 1
; COMPUTE_PGM_RSRC2:TGID_Y_EN: 1
; COMPUTE_PGM_RSRC2:TGID_Z_EN: 0
; COMPUTE_PGM_RSRC2:TIDIG_COMP_CNT: 0
; COMPUTE_PGM_RSRC3_GFX90A:ACCUM_OFFSET: 31
; COMPUTE_PGM_RSRC3_GFX90A:TG_SPLIT: 0
	.section	.text._Z35paged_attention_ll4mi_reduce_kernelI14__hip_bfloat16S0_Li64ELi64ELi256ELi6EEvPT0_PKfS4_PKT_PKiS9_iS4_,"axG",@progbits,_Z35paged_attention_ll4mi_reduce_kernelI14__hip_bfloat16S0_Li64ELi64ELi256ELi6EEvPT0_PKfS4_PKT_PKiS9_iS4_,comdat
	.protected	_Z35paged_attention_ll4mi_reduce_kernelI14__hip_bfloat16S0_Li64ELi64ELi256ELi6EEvPT0_PKfS4_PKT_PKiS9_iS4_ ; -- Begin function _Z35paged_attention_ll4mi_reduce_kernelI14__hip_bfloat16S0_Li64ELi64ELi256ELi6EEvPT0_PKfS4_PKT_PKiS9_iS4_
	.globl	_Z35paged_attention_ll4mi_reduce_kernelI14__hip_bfloat16S0_Li64ELi64ELi256ELi6EEvPT0_PKfS4_PKT_PKiS9_iS4_
	.p2align	8
	.type	_Z35paged_attention_ll4mi_reduce_kernelI14__hip_bfloat16S0_Li64ELi64ELi256ELi6EEvPT0_PKfS4_PKT_PKiS9_iS4_,@function
_Z35paged_attention_ll4mi_reduce_kernelI14__hip_bfloat16S0_Li64ELi64ELi256ELi6EEvPT0_PKfS4_PKT_PKiS9_iS4_: ; @_Z35paged_attention_ll4mi_reduce_kernelI14__hip_bfloat16S0_Li64ELi64ELi256ELi6EEvPT0_PKfS4_PKT_PKiS9_iS4_
; %bb.0:
	s_load_dwordx2 s[26:27], s[0:1], 0x28
	s_mov_b32 s24, s3
	s_mov_b64 s[4:5], 0
	s_waitcnt lgkmcnt(0)
	s_cmp_lg_u64 s[26:27], 0
	s_cselect_b64 s[28:29], -1, 0
	s_and_b64 vcc, exec, s[28:29]
	s_cbranch_vccz .LBB461_27
; %bb.1:
	s_add_i32 s6, s24, 1
	s_mov_b32 s7, 0
	s_lshl_b64 s[8:9], s[6:7], 2
	s_add_u32 s8, s26, s8
	s_mov_b32 s25, s7
	s_addc_u32 s9, s27, s9
	s_lshl_b64 s[6:7], s[24:25], 2
	s_add_u32 s6, s26, s6
	s_addc_u32 s7, s27, s7
	s_load_dword s3, s[8:9], 0x0
	s_load_dword s10, s[6:7], 0x0
	s_waitcnt lgkmcnt(0)
	s_sub_i32 s3, s3, s10
	s_cmp_eq_u32 s3, 1
	s_cselect_b64 s[6:7], -1, 0
	s_andn2_b64 vcc, exec, s[4:5]
	s_cbranch_vccnz .LBB461_3
.LBB461_2:
	s_mov_b32 s25, 0
	s_mov_b64 s[6:7], -1
.LBB461_3:
	s_andn2_b64 vcc, exec, s[6:7]
	s_cbranch_vccz .LBB461_5
; %bb.4:
	s_endpgm
.LBB461_5:
	s_load_dwordx4 s[16:19], s[0:1], 0x18
	s_load_dword s8, s[0:1], 0x30
	s_lshl_b64 s[30:31], s[24:25], 2
	v_cmp_lt_u32_e32 vcc, 63, v0
	s_waitcnt lgkmcnt(0)
	s_add_u32 s4, s18, s30
	s_addc_u32 s5, s19, s31
	s_load_dword s38, s[4:5], 0x0
	s_load_dword s3, s[0:1], 0x40
	s_mul_i32 s18, s2, s8
	s_mul_i32 s6, s24, s8
	s_waitcnt lgkmcnt(0)
	s_add_i32 s7, s38, 0xff
	s_ashr_i32 s4, s7, 31
	s_lshr_b32 s4, s4, 24
	s_add_i32 s7, s7, s4
	s_and_saveexec_b64 s[4:5], vcc
	s_xor_b64 s[4:5], exec, s[4:5]
	s_or_saveexec_b64 s[34:35], s[4:5]
	s_ashr_i32 s33, s7, 8
	v_mov_b32_e32 v1, s18
	s_mul_i32 s36, s6, s3
	s_xor_b64 exec, exec, s[34:35]
	s_cbranch_execz .LBB461_9
; %bb.6:
	s_add_i32 s4, s33, -1
	v_or_b32_e32 v3, 64, v0
	v_mov_b32_e32 v1, s4
	v_cmp_gt_u32_e64 s[10:11], s33, v3
	s_load_dwordx4 s[20:23], s[0:1], 0x8
	s_mov_b32 s37, 0
	v_cndmask_b32_e64 v4, v1, v3, s[10:11]
	v_or_b32_e32 v3, 0x80, v0
	v_cmp_gt_u32_e64 s[8:9], s33, v3
	s_lshl_b64 s[14:15], s[36:37], 2
	s_mov_b32 s19, s37
	v_cndmask_b32_e64 v6, v1, v3, s[8:9]
	v_or_b32_e32 v3, 0xc0, v0
	v_cmp_gt_u32_e64 s[6:7], s33, v3
	v_cmp_gt_u32_e64 s[12:13], s33, v0
	s_waitcnt lgkmcnt(0)
	s_add_u32 s37, s22, s14
	v_cndmask_b32_e64 v8, v1, v3, s[6:7]
	v_or_b32_e32 v3, 0x100, v0
	v_cmp_gt_u32_e64 s[4:5], s33, v3
	v_cndmask_b32_e64 v2, v1, v0, s[12:13]
	s_addc_u32 s39, s23, s15
	v_cndmask_b32_e64 v10, v1, v3, s[4:5]
	v_or_b32_e32 v3, 0x140, v0
	v_cmp_gt_u32_e32 vcc, s33, v3
	s_lshl_b64 s[22:23], s[18:19], 2
	s_add_u32 s40, s37, s22
	v_cndmask_b32_e32 v12, v1, v3, vcc
	v_ashrrev_i32_e32 v3, 31, v2
	s_addc_u32 s41, s39, s23
	v_lshlrev_b64 v[2:3], 2, v[2:3]
	v_ashrrev_i32_e32 v5, 31, v4
	v_ashrrev_i32_e32 v7, 31, v6
	;; [unrolled: 1-line block ×5, first 2 shown]
	v_lshl_add_u64 v[14:15], s[40:41], 0, v[2:3]
	v_lshlrev_b64 v[4:5], 2, v[4:5]
	v_lshlrev_b64 v[6:7], 2, v[6:7]
	;; [unrolled: 1-line block ×5, first 2 shown]
	v_lshl_add_u64 v[16:17], s[40:41], 0, v[4:5]
	v_lshl_add_u64 v[18:19], s[40:41], 0, v[6:7]
	;; [unrolled: 1-line block ×5, first 2 shown]
	global_load_dword v1, v[14:15], off
	global_load_dword v26, v[16:17], off
	;; [unrolled: 1-line block ×6, first 2 shown]
	v_mbcnt_lo_u32_b32 v14, -1, 0
	s_add_u32 s14, s20, s14
	v_mbcnt_hi_u32_b32 v14, -1, v14
	s_addc_u32 s15, s21, s15
	v_and_b32_e32 v15, 64, v14
	s_add_u32 s20, s14, s22
	v_xor_b32_e32 v16, 32, v14
	v_add_u32_e32 v15, 64, v15
	s_addc_u32 s21, s15, s23
	v_lshl_add_u64 v[2:3], s[20:21], 0, v[2:3]
	v_cmp_lt_i32_e64 s[14:15], v16, v15
	global_load_dword v20, v[2:3], off
	v_xor_b32_e32 v17, 16, v14
	v_cndmask_b32_e64 v2, v14, v16, s[14:15]
	v_lshlrev_b32_e32 v16, 2, v2
	v_cmp_lt_i32_e64 s[14:15], v17, v15
	v_xor_b32_e32 v18, 8, v14
	v_xor_b32_e32 v19, 4, v14
	s_mov_b32 s19, 0x3fb8aa3b
	s_mov_b32 s37, 0xc2ce8ed0
	s_waitcnt vmcnt(6)
	v_max_f32_e32 v3, v1, v1
	s_waitcnt vmcnt(5)
	v_max_f32_e32 v2, v26, v26
	v_max_f32_e32 v2, v3, v2
	s_waitcnt vmcnt(3)
	v_max3_f32 v2, v2, v27, v28
	s_waitcnt vmcnt(1)
	v_max3_f32 v21, v2, v29, v30
	ds_bpermute_b32 v22, v16, v21
	v_cndmask_b32_e64 v2, v14, v17, s[14:15]
	v_lshlrev_b32_e32 v17, 2, v2
	v_lshl_add_u64 v[2:3], s[20:21], 0, v[4:5]
	global_load_dword v23, v[2:3], off
	s_waitcnt lgkmcnt(0)
	v_max_f32_e32 v2, v22, v22
	v_max_f32_e32 v2, v21, v2
	ds_bpermute_b32 v3, v17, v2
	v_cmp_lt_i32_e64 s[14:15], v18, v15
	v_xor_b32_e32 v4, 2, v14
	s_waitcnt lgkmcnt(0)
	v_max_f32_e32 v3, v3, v3
	v_cndmask_b32_e64 v5, v14, v18, s[14:15]
	v_lshlrev_b32_e32 v18, 2, v5
	v_max_f32_e32 v5, v2, v3
	ds_bpermute_b32 v21, v18, v5
	v_cmp_lt_i32_e64 s[14:15], v19, v15
	s_nop 1
	v_cndmask_b32_e64 v2, v14, v19, s[14:15]
	v_lshlrev_b32_e32 v19, 2, v2
	v_lshl_add_u64 v[2:3], s[20:21], 0, v[6:7]
	global_load_dword v6, v[2:3], off
	s_waitcnt lgkmcnt(0)
	v_max_f32_e32 v2, v21, v21
	v_max_f32_e32 v2, v5, v2
	ds_bpermute_b32 v3, v19, v2
	v_xor_b32_e32 v5, 1, v14
	v_cmp_lt_i32_e64 s[14:15], v4, v15
	s_waitcnt lgkmcnt(0)
	v_max_f32_e32 v3, v3, v3
	v_cndmask_b32_e64 v4, v14, v4, s[14:15]
	v_cmp_lt_i32_e64 s[14:15], v5, v15
	v_max_f32_e32 v21, v2, v3
	v_lshlrev_b32_e32 v7, 2, v4
	v_cndmask_b32_e64 v2, v14, v5, s[14:15]
	v_lshlrev_b32_e32 v14, 2, v2
	v_lshl_add_u64 v[2:3], s[20:21], 0, v[8:9]
	v_lshl_add_u64 v[4:5], s[20:21], 0, v[10:11]
	global_load_dword v10, v[2:3], off
	v_lshl_add_u64 v[2:3], s[20:21], 0, v[12:13]
	global_load_dword v11, v[4:5], off
	global_load_dword v12, v[2:3], off
	ds_bpermute_b32 v22, v7, v21
	s_mov_b32 s20, 0x42b17218
	s_waitcnt lgkmcnt(0)
	v_max_f32_e32 v8, v22, v22
	v_max_f32_e32 v8, v21, v8
	ds_bpermute_b32 v9, v14, v8
	s_waitcnt lgkmcnt(0)
	v_max_f32_e32 v2, v9, v9
	v_max_f32_e32 v2, v8, v2
	v_sub_f32_e32 v1, v1, v2
	v_mul_f32_e32 v4, 0x3fb8aa3b, v1
	v_fma_f32 v8, v1, s19, -v4
	v_rndne_f32_e32 v9, v4
	v_sub_f32_e32 v3, v26, v2
	v_fmac_f32_e32 v8, 0x32a5705f, v1
	v_sub_f32_e32 v4, v4, v9
	v_mul_f32_e32 v5, 0x3fb8aa3b, v3
	v_add_f32_e32 v4, v4, v8
	v_fma_f32 v13, v3, s19, -v5
	v_rndne_f32_e32 v15, v5
	v_cvt_i32_f32_e32 v9, v9
	v_exp_f32_e32 v4, v4
	v_fmac_f32_e32 v13, 0x32a5705f, v3
	v_sub_f32_e32 v5, v5, v15
	v_add_f32_e32 v5, v5, v13
	v_cvt_i32_f32_e32 v15, v15
	v_exp_f32_e32 v5, v5
	v_ldexp_f32 v4, v4, v9
	v_cmp_ngt_f32_e64 s[14:15], s37, v1
	v_mov_b32_e32 v8, 0x7f800000
	v_ldexp_f32 v5, v5, v15
	v_cndmask_b32_e64 v4, 0, v4, s[14:15]
	v_cmp_nlt_f32_e64 s[14:15], s20, v1
	s_nop 1
	v_cndmask_b32_e64 v1, v8, v4, s[14:15]
	v_cndmask_b32_e64 v1, 0, v1, s[12:13]
	v_cmp_ngt_f32_e64 s[12:13], s37, v3
	s_waitcnt vmcnt(5)
	v_mul_f32_e32 v4, v20, v1
	v_cndmask_b32_e64 v1, 0, v5, s[12:13]
	v_sub_f32_e32 v5, v27, v2
	v_mul_f32_e32 v9, 0x3fb8aa3b, v5
	v_fma_f32 v13, v5, s19, -v9
	v_rndne_f32_e32 v15, v9
	v_fmac_f32_e32 v13, 0x32a5705f, v5
	v_sub_f32_e32 v9, v9, v15
	v_add_f32_e32 v9, v9, v13
	v_exp_f32_e32 v9, v9
	v_cvt_i32_f32_e32 v13, v15
	v_cmp_nlt_f32_e64 s[12:13], s20, v3
	s_nop 1
	v_cndmask_b32_e64 v1, v8, v1, s[12:13]
	v_cndmask_b32_e64 v1, 0, v1, s[10:11]
	s_waitcnt vmcnt(4)
	v_mul_f32_e32 v3, v23, v1
	v_ldexp_f32 v1, v9, v13
	v_sub_f32_e32 v9, v28, v2
	v_mul_f32_e32 v13, 0x3fb8aa3b, v9
	v_fma_f32 v15, v9, s19, -v13
	v_rndne_f32_e32 v20, v13
	v_fmac_f32_e32 v15, 0x32a5705f, v9
	v_sub_f32_e32 v13, v13, v20
	v_cmp_ngt_f32_e64 s[10:11], s37, v5
	v_add_f32_e32 v13, v13, v15
	v_exp_f32_e32 v13, v13
	v_cndmask_b32_e64 v1, 0, v1, s[10:11]
	v_cvt_i32_f32_e32 v15, v20
	v_cmp_nlt_f32_e64 s[10:11], s20, v5
	s_nop 1
	v_cndmask_b32_e64 v1, v8, v1, s[10:11]
	v_cndmask_b32_e64 v1, 0, v1, s[8:9]
	s_waitcnt vmcnt(3)
	v_mul_f32_e32 v5, v6, v1
	v_sub_f32_e32 v6, v29, v2
	v_ldexp_f32 v1, v13, v15
	v_mul_f32_e32 v13, 0x3fb8aa3b, v6
	v_fma_f32 v15, v6, s19, -v13
	v_rndne_f32_e32 v20, v13
	v_fmac_f32_e32 v15, 0x32a5705f, v6
	v_sub_f32_e32 v13, v13, v20
	v_cmp_ngt_f32_e64 s[8:9], s37, v9
	v_add_f32_e32 v13, v13, v15
	v_exp_f32_e32 v13, v13
	v_cndmask_b32_e64 v1, 0, v1, s[8:9]
	v_cvt_i32_f32_e32 v15, v20
	v_cmp_nlt_f32_e64 s[8:9], s20, v9
	v_sub_f32_e32 v2, v30, v2
	s_nop 0
	v_cndmask_b32_e64 v1, v8, v1, s[8:9]
	v_cndmask_b32_e64 v1, 0, v1, s[6:7]
	s_waitcnt vmcnt(2)
	v_mul_f32_e32 v9, v10, v1
	v_mul_f32_e32 v10, 0x3fb8aa3b, v2
	v_ldexp_f32 v1, v13, v15
	v_fma_f32 v13, v2, s19, -v10
	v_rndne_f32_e32 v15, v10
	v_fmac_f32_e32 v13, 0x32a5705f, v2
	v_sub_f32_e32 v10, v10, v15
	v_add_f32_e32 v10, v10, v13
	v_cmp_ngt_f32_e64 s[6:7], s37, v6
	v_exp_f32_e32 v10, v10
	v_cvt_i32_f32_e32 v13, v15
	v_cndmask_b32_e64 v1, 0, v1, s[6:7]
	v_cmp_nlt_f32_e64 s[6:7], s20, v6
	s_nop 1
	v_cndmask_b32_e64 v1, v8, v1, s[6:7]
	v_cndmask_b32_e64 v1, 0, v1, s[4:5]
	s_waitcnt vmcnt(1)
	v_mul_f32_e32 v6, v11, v1
	v_ldexp_f32 v1, v10, v13
	v_cmp_ngt_f32_e64 s[4:5], s37, v2
	s_nop 1
	v_cndmask_b32_e64 v1, 0, v1, s[4:5]
	v_cmp_nlt_f32_e64 s[4:5], s20, v2
	s_nop 1
	v_cndmask_b32_e64 v1, v8, v1, s[4:5]
	v_cndmask_b32_e32 v1, 0, v1, vcc
	s_waitcnt vmcnt(0)
	v_mul_f32_e32 v8, v12, v1
	v_add_f32_e32 v1, v4, v3
	v_add_f32_e32 v1, v1, v5
	;; [unrolled: 1-line block ×5, first 2 shown]
	ds_bpermute_b32 v2, v16, v1
	v_cmp_eq_u32_e32 vcc, 0, v0
	s_waitcnt lgkmcnt(0)
	v_add_f32_e32 v1, v1, v2
	ds_bpermute_b32 v2, v17, v1
	s_waitcnt lgkmcnt(0)
	v_add_f32_e32 v1, v1, v2
	ds_bpermute_b32 v2, v18, v1
	;; [unrolled: 3-line block ×4, first 2 shown]
	v_lshlrev_b32_e32 v7, 2, v0
	ds_write2st64_b32 v7, v4, v3 offset1:1
	ds_write2st64_b32 v7, v5, v9 offset0:2 offset1:3
	ds_write2st64_b32 v7, v6, v8 offset0:4 offset1:5
	s_waitcnt lgkmcnt(3)
	v_add_f32_e32 v1, v1, v2
	ds_bpermute_b32 v2, v14, v1
	s_and_saveexec_b64 s[4:5], vcc
	s_cbranch_execz .LBB461_8
; %bb.7:
	s_waitcnt lgkmcnt(0)
	v_add_f32_e32 v1, v1, v2
	v_mov_b32_e32 v2, 0
	ds_write_b32 v2, v1 offset:1536
.LBB461_8:
	s_or_b64 exec, exec, s[4:5]
	v_mov_b32_e32 v1, s18
.LBB461_9:
	s_or_b64 exec, exec, s[34:35]
	s_lshl_b32 s4, s36, 6
	s_mov_b32 s5, 0
	s_lshl_b64 s[4:5], s[4:5], 1
	s_add_u32 s4, s16, s4
	s_addc_u32 s5, s17, s5
	s_lshl_b32 s10, s33, 6
	s_sub_i32 s11, s10, 64
	s_waitcnt lgkmcnt(0)
	v_lshlrev_b32_e32 v2, 6, v1
	v_mov_b32_e32 v3, 0
	s_cmp_lt_i32 s38, 1
	v_lshl_add_u64 v[4:5], v[2:3], 1, s[4:5]
	s_cselect_b32 s4, s11, 0
	v_lshlrev_b32_e32 v2, 1, v0
	s_ashr_i32 s5, s4, 31
	v_lshl_add_u64 v[0:1], v[4:5], 0, v[2:3]
	s_cmpk_lt_i32 s38, 0x101
	v_lshl_add_u64 v[4:5], s[4:5], 1, v[0:1]
	s_cselect_b32 s4, s11, 64
	s_ashr_i32 s5, s4, 31
	s_cmpk_lt_i32 s38, 0x201
	v_lshl_add_u64 v[6:7], s[4:5], 1, v[0:1]
	s_cselect_b32 s4, s11, 0x80
	s_ashr_i32 s5, s4, 31
	;; [unrolled: 4-line block ×8, first 2 shown]
	s_cmpk_lt_i32 s38, 0x901
	global_load_ushort v23, v[4:5], off
	global_load_ushort v22, v[6:7], off
	;; [unrolled: 1-line block ×8, first 2 shown]
	v_lshl_add_u64 v[4:5], s[4:5], 1, v[0:1]
	s_cselect_b32 s4, s11, 0x240
	s_ashr_i32 s5, s4, 31
	s_cmpk_lt_i32 s38, 0xa01
	v_lshl_add_u64 v[6:7], s[4:5], 1, v[0:1]
	s_cselect_b32 s4, s11, 0x280
	s_ashr_i32 s5, s4, 31
	s_cmpk_lt_i32 s38, 0xb01
	;; [unrolled: 4-line block ×6, first 2 shown]
	v_lshl_add_u64 v[32:33], s[4:5], 1, v[0:1]
	s_cselect_b32 s4, s11, 0x3c0
	s_ashr_i32 s5, s4, 31
	v_lshl_add_u64 v[34:35], s[4:5], 1, v[0:1]
	global_load_ushort v30, v[4:5], off
	global_load_ushort v31, v[6:7], off
	;; [unrolled: 1-line block ×8, first 2 shown]
	s_cmpk_gt_i32 s38, 0x1000
	s_cselect_b64 s[8:9], -1, 0
	s_cmpk_lt_i32 s38, 0x1001
	v_mov_b32_e32 v40, 0
	v_mov_b32_e32 v41, 0
	;; [unrolled: 1-line block ×48, first 2 shown]
	s_waitcnt lgkmcnt(0)
	; wave barrier
	s_cbranch_scc1 .LBB461_12
; %bb.10:
	s_cmpk_lt_u32 s38, 0x1101
	s_cselect_b32 s4, s11, 0x440
	s_ashr_i32 s5, s4, 31
	s_cmpk_lt_u32 s38, 0x1201
	v_lshl_add_u64 v[4:5], s[4:5], 1, v[0:1]
	s_cselect_b32 s4, s11, 0x480
	s_ashr_i32 s5, s4, 31
	s_cmpk_lt_u32 s38, 0x1301
	v_lshl_add_u64 v[6:7], s[4:5], 1, v[0:1]
	s_cselect_b32 s4, s11, 0x4c0
	s_ashr_i32 s5, s4, 31
	s_cmpk_lt_u32 s38, 0x1401
	v_lshl_add_u64 v[8:9], s[4:5], 1, v[0:1]
	s_cselect_b32 s4, s11, 0x500
	s_ashr_i32 s5, s4, 31
	s_cmpk_lt_u32 s38, 0x1501
	v_lshl_add_u64 v[10:11], s[4:5], 1, v[0:1]
	s_cselect_b32 s4, s11, 0x540
	s_ashr_i32 s5, s4, 31
	s_cmpk_lt_u32 s38, 0x1601
	v_lshl_add_u64 v[12:13], s[4:5], 1, v[0:1]
	s_cselect_b32 s4, s11, 0x580
	s_ashr_i32 s5, s4, 31
	s_cmpk_lt_u32 s38, 0x1701
	v_lshl_add_u64 v[14:15], s[4:5], 1, v[0:1]
	s_cselect_b32 s4, s11, 0x5c0
	s_ashr_i32 s5, s4, 31
	s_cmpk_lt_u32 s38, 0x1801
	v_lshl_add_u64 v[40:41], s[4:5], 1, v[0:1]
	s_cselect_b32 s4, s11, 0x600
	s_ashr_i32 s5, s4, 31
	s_cmpk_lt_u32 s38, 0x1901
	global_load_ushort v39, v[0:1], off offset:2048
	global_load_ushort v38, v[4:5], off
	global_load_ushort v37, v[6:7], off
	global_load_ushort v36, v[8:9], off
	global_load_ushort v35, v[10:11], off
	global_load_ushort v34, v[12:13], off
	global_load_ushort v33, v[14:15], off
	global_load_ushort v32, v[40:41], off
	v_lshl_add_u64 v[4:5], s[4:5], 1, v[0:1]
	s_cselect_b32 s4, s11, 0x640
	s_ashr_i32 s5, s4, 31
	s_cmpk_lt_u32 s38, 0x1a01
	v_lshl_add_u64 v[6:7], s[4:5], 1, v[0:1]
	s_cselect_b32 s4, s11, 0x680
	s_ashr_i32 s5, s4, 31
	s_cmpk_lt_u32 s38, 0x1b01
	;; [unrolled: 4-line block ×6, first 2 shown]
	v_lshl_add_u64 v[48:49], s[4:5], 1, v[0:1]
	s_cselect_b32 s4, s11, 0x7c0
	s_ashr_i32 s5, s4, 31
	v_lshl_add_u64 v[50:51], s[4:5], 1, v[0:1]
	global_load_ushort v47, v[4:5], off
	global_load_ushort v46, v[6:7], off
	;; [unrolled: 1-line block ×8, first 2 shown]
	s_cmpk_lt_u32 s38, 0x2001
	v_mov_b32_e32 v67, 0
	v_mov_b32_e32 v65, 0
	;; [unrolled: 1-line block ×32, first 2 shown]
	s_cbranch_scc1 .LBB461_12
; %bb.11:
	s_cmpk_lt_u32 s38, 0x2101
	s_cselect_b32 s4, s11, 0x840
	s_ashr_i32 s5, s4, 31
	s_cmpk_lt_u32 s38, 0x2201
	v_lshl_add_u64 v[4:5], s[4:5], 1, v[0:1]
	s_cselect_b32 s4, s11, 0x880
	s_ashr_i32 s5, s4, 31
	s_cmpk_lt_u32 s38, 0x2301
	v_lshl_add_u64 v[6:7], s[4:5], 1, v[0:1]
	;; [unrolled: 4-line block ×29, first 2 shown]
	s_cselect_b32 s4, s11, 0xf80
	s_ashr_i32 s5, s4, 31
	v_lshl_add_u64 v[94:95], s[4:5], 1, v[0:1]
	s_movk_i32 s4, 0x1000
	s_cmpk_lt_u32 s38, 0x3f01
	v_add_co_u32_e32 v96, vcc, s4, v0
	s_cselect_b32 s4, s11, 0xfc0
	s_nop 0
	v_addc_co_u32_e32 v97, vcc, 0, v1, vcc
	s_ashr_i32 s5, s4, 31
	global_load_ushort v98, v[96:97], off
	global_load_ushort v99, v[4:5], off
	;; [unrolled: 1-line block ×15, first 2 shown]
                                        ; kill: killed $vgpr62_vgpr63
                                        ; kill: killed $vgpr14_vgpr15
                                        ; kill: killed $vgpr96 killed $vgpr97
                                        ; kill: killed $vgpr52_vgpr53
                                        ; kill: killed $vgpr4_vgpr5
                                        ; kill: killed $vgpr58_vgpr59
                                        ; kill: killed $vgpr10_vgpr11
                                        ; kill: killed $vgpr48_vgpr49
                                        ; kill: killed $vgpr54_vgpr55
                                        ; kill: killed $vgpr6_vgpr7
                                        ; kill: killed $vgpr60_vgpr61
                                        ; kill: killed $vgpr12_vgpr13
                                        ; kill: killed $vgpr50_vgpr51
                                        ; kill: killed $vgpr56_vgpr57
                                        ; kill: killed $vgpr8_vgpr9
	global_load_ushort v6, v[64:65], off
	global_load_ushort v7, v[66:67], off
	;; [unrolled: 1-line block ×15, first 2 shown]
                                        ; kill: killed $vgpr94_vgpr95
                                        ; kill: killed $vgpr78_vgpr79
                                        ; kill: killed $vgpr84_vgpr85
                                        ; kill: killed $vgpr68_vgpr69
                                        ; kill: killed $vgpr90_vgpr91
                                        ; kill: killed $vgpr74_vgpr75
                                        ; kill: killed $vgpr80_vgpr81
                                        ; kill: killed $vgpr64_vgpr65
                                        ; kill: killed $vgpr70_vgpr71
                                        ; kill: killed $vgpr92_vgpr93
                                        ; kill: killed $vgpr76_vgpr77
                                        ; kill: killed $vgpr82_vgpr83
                                        ; kill: killed $vgpr66_vgpr67
                                        ; kill: killed $vgpr88_vgpr89
                                        ; kill: killed $vgpr72_vgpr73
	global_load_ushort v68, v[86:87], off
	v_lshl_add_u64 v[4:5], s[4:5], 1, v[0:1]
	global_load_ushort v5, v[4:5], off
	s_waitcnt vmcnt(31)
	v_lshlrev_b32_e32 v67, 16, v98
	s_waitcnt vmcnt(30)
	v_lshlrev_b32_e32 v65, 16, v99
	;; [unrolled: 2-line block ×32, first 2 shown]
.LBB461_12:
	s_load_dwordx2 s[4:5], s[0:1], 0x0
	s_load_dwordx2 s[6:7], s[0:1], 0x38
	ds_read_b128 v[68:71], v3
	s_waitcnt vmcnt(15)
	v_lshlrev_b32_e32 v23, 16, v23
	ds_read_b128 v[72:75], v3 offset:16
	ds_read_b128 v[76:79], v3 offset:32
	;; [unrolled: 1-line block ×3, first 2 shown]
	s_waitcnt vmcnt(14)
	v_lshlrev_b32_e32 v22, 16, v22
	s_waitcnt vmcnt(13)
	v_lshlrev_b32_e32 v21, 16, v21
	s_waitcnt lgkmcnt(0)
	v_fma_f32 v23, v68, v23, 0
	v_fmac_f32_e32 v23, v69, v22
	v_fmac_f32_e32 v23, v70, v21
	s_waitcnt vmcnt(12)
	v_lshlrev_b32_e32 v20, 16, v20
	s_waitcnt vmcnt(10)
	v_lshlrev_b32_e32 v19, 16, v19
	v_lshlrev_b32_e32 v18, 16, v18
	v_fmac_f32_e32 v23, v71, v20
	v_pk_mul_f32 v[18:19], v[72:73], v[18:19]
	s_waitcnt vmcnt(8)
	v_lshlrev_b32_e32 v17, 16, v17
	v_add_f32_e32 v18, v23, v18
	v_lshlrev_b32_e32 v16, 16, v16
	v_add_f32_e32 v18, v18, v19
	v_pk_mul_f32 v[16:17], v[74:75], v[16:17]
	s_and_b64 vcc, exec, s[8:9]
	v_add_f32_e32 v16, v18, v16
	v_add_f32_e32 v18, v16, v17
	s_waitcnt vmcnt(6)
	v_lshlrev_b32_e32 v17, 16, v31
	v_lshlrev_b32_e32 v16, 16, v30
	v_pk_mul_f32 v[16:17], v[76:77], v[16:17]
	s_nop 0
	v_add_f32_e32 v16, v18, v16
	v_add_f32_e32 v18, v16, v17
	s_waitcnt vmcnt(4)
	v_lshlrev_b32_e32 v17, 16, v29
	v_lshlrev_b32_e32 v16, 16, v28
	v_pk_mul_f32 v[16:17], v[78:79], v[16:17]
	s_nop 0
	;; [unrolled: 7-line block ×4, first 2 shown]
	v_add_f32_e32 v16, v18, v16
	v_add_f32_e32 v110, v16, v17
	s_cbranch_vccz .LBB461_15
; %bb.13:
	ds_read_b128 v[16:19], v3 offset:64
	v_lshlrev_b32_e32 v39, 16, v39
	ds_read_b128 v[20:23], v3 offset:80
	ds_read_b128 v[24:27], v3 offset:96
	;; [unrolled: 1-line block ×3, first 2 shown]
	v_lshlrev_b32_e32 v3, 16, v38
	s_cmpk_lt_u32 s38, 0x2001
	s_waitcnt lgkmcnt(3)
	v_fmac_f32_e32 v110, v16, v39
	v_fmac_f32_e32 v110, v17, v3
	v_lshlrev_b32_e32 v3, 16, v37
	v_fmac_f32_e32 v110, v18, v3
	v_lshlrev_b32_e32 v3, 16, v36
	v_fmac_f32_e32 v110, v19, v3
	v_lshlrev_b32_e32 v3, 16, v35
	s_waitcnt lgkmcnt(2)
	v_fmac_f32_e32 v110, v20, v3
	v_lshlrev_b32_e32 v3, 16, v34
	v_fmac_f32_e32 v110, v21, v3
	v_lshlrev_b32_e32 v3, 16, v33
	v_fmac_f32_e32 v110, v22, v3
	v_lshlrev_b32_e32 v3, 16, v32
	v_fmac_f32_e32 v110, v23, v3
	v_lshlrev_b32_e32 v3, 16, v47
	s_waitcnt lgkmcnt(1)
	v_fmac_f32_e32 v110, v24, v3
	v_lshlrev_b32_e32 v3, 16, v46
	;; [unrolled: 9-line block ×3, first 2 shown]
	v_fmac_f32_e32 v110, v29, v3
	v_lshlrev_b32_e32 v3, 16, v41
	v_fmac_f32_e32 v110, v30, v3
	v_lshlrev_b32_e32 v3, 16, v40
	v_fmac_f32_e32 v110, v31, v3
	s_cbranch_scc1 .LBB461_15
; %bb.14:
	v_mov_b32_e32 v3, 0
	ds_read_b128 v[16:19], v3 offset:128
	ds_read_b128 v[20:23], v3 offset:144
	ds_read_b128 v[24:27], v3 offset:160
	ds_read_b128 v[28:31], v3 offset:176
	s_waitcnt lgkmcnt(3)
	v_fmac_f32_e32 v110, v16, v67
	v_fmac_f32_e32 v110, v17, v65
	v_fmac_f32_e32 v110, v18, v66
	v_fmac_f32_e32 v110, v19, v63
	s_waitcnt lgkmcnt(2)
	v_fmac_f32_e32 v110, v20, v64
	v_fmac_f32_e32 v110, v21, v61
	v_fmac_f32_e32 v110, v22, v62
	v_fmac_f32_e32 v110, v23, v59
	;; [unrolled: 5-line block ×3, first 2 shown]
	ds_read_b128 v[16:19], v3 offset:192
	ds_read_b128 v[20:23], v3 offset:208
	s_waitcnt lgkmcnt(2)
	v_fmac_f32_e32 v110, v28, v56
	v_fmac_f32_e32 v110, v29, v53
	;; [unrolled: 1-line block ×4, first 2 shown]
	s_waitcnt lgkmcnt(1)
	v_fmac_f32_e32 v110, v16, v51
	v_fmac_f32_e32 v110, v17, v49
	;; [unrolled: 1-line block ×4, first 2 shown]
	s_waitcnt lgkmcnt(0)
	v_pk_mul_f32 v[14:15], v[20:21], v[14:15]
	v_pk_mul_f32 v[12:13], v[22:23], v[12:13]
	v_add_f32_e32 v14, v110, v14
	v_add_f32_e32 v18, v14, v15
	ds_read_b128 v[14:17], v3 offset:224
	v_add_f32_e32 v12, v18, v12
	ds_read_b128 v[18:21], v3 offset:240
	v_add_f32_e32 v12, v12, v13
	s_waitcnt lgkmcnt(1)
	v_pk_mul_f32 v[10:11], v[14:15], v[10:11]
	s_nop 0
	v_add_f32_e32 v3, v12, v10
	v_add_f32_e32 v3, v3, v11
	v_pk_mul_f32 v[8:9], v[16:17], v[8:9]
	s_waitcnt lgkmcnt(0)
	v_pk_mul_f32 v[6:7], v[18:19], v[6:7]
	v_add_f32_e32 v3, v3, v8
	v_add_f32_e32 v3, v3, v9
	;; [unrolled: 1-line block ×4, first 2 shown]
	v_pk_mul_f32 v[4:5], v[20:21], v[4:5]
	s_nop 0
	v_add_f32_e32 v3, v3, v4
	v_add_f32_e32 v110, v3, v5
.LBB461_15:
	s_movk_i32 s0, 0x1fc0
	s_movk_i32 s1, 0x100
	s_mov_b32 s8, 64
	s_branch .LBB461_17
.LBB461_16:                             ;   in Loop: Header=BB461_17 Depth=1
	s_addk_i32 s0, 0x1000
	s_addk_i32 s1, 0x100
	s_add_i32 s8, s8, 64
	s_cmpk_eq_i32 s0, 0x6fc0
	s_cbranch_scc1 .LBB461_19
.LBB461_17:                             ; =>This Inner Loop Header: Depth=1
	s_cmp_le_i32 s33, s8
	s_cbranch_scc1 .LBB461_16
; %bb.18:                               ;   in Loop: Header=BB461_17 Depth=1
	s_add_i32 s9, s0, 0xfffff040
	s_cmp_lt_i32 s9, s10
	s_cselect_b32 s12, s9, s11
	s_ashr_i32 s13, s12, 31
	s_add_i32 s9, s0, 0xfffff080
	s_cmp_lt_i32 s9, s10
	v_lshl_add_u64 v[44:45], s[12:13], 1, v[0:1]
	s_cselect_b32 s12, s9, s11
	s_ashr_i32 s13, s12, 31
	s_add_i32 s9, s0, 0xfffff0c0
	s_cmp_lt_i32 s9, s10
	v_lshl_add_u64 v[4:5], s[12:13], 1, v[0:1]
	;; [unrolled: 5-line block ×14, first 2 shown]
	s_cselect_b32 s12, s9, s11
	s_ashr_i32 s13, s12, 31
	s_add_i32 s9, s0, 0xfffff400
	s_cmp_lt_i32 s9, s10
	global_load_ushort v3, v[44:45], off
	global_load_ushort v120, v[46:47], off
	v_lshl_add_u64 v[60:61], s[12:13], 1, v[0:1]
	s_cselect_b32 s12, s9, s11
	global_load_ushort v111, v[4:5], off
	global_load_ushort v112, v[6:7], off
	;; [unrolled: 1-line block ×7, first 2 shown]
	s_ashr_i32 s13, s12, 31
	s_add_i32 s9, s0, 0xfffff440
	s_cmp_lt_i32 s9, s10
	v_lshl_add_u64 v[66:67], s[12:13], 1, v[0:1]
	s_cselect_b32 s12, s9, s11
	s_ashr_i32 s13, s12, 31
	s_add_i32 s9, s0, 0xfffff480
	s_cmp_lt_i32 s9, s10
	v_lshl_add_u64 v[62:63], s[12:13], 1, v[0:1]
	s_cselect_b32 s12, s9, s11
	;; [unrolled: 5-line block ×14, first 2 shown]
	s_ashr_i32 s13, s12, 31
	s_add_i32 s9, s0, 0xfffff7c0
	global_load_ushort v118, v[28:29], off
	global_load_ushort v119, v[30:31], off
	s_cmp_lt_i32 s9, s10
	v_lshl_add_u64 v[26:27], s[12:13], 1, v[0:1]
	s_cselect_b32 s12, s9, s11
	s_ashr_i32 s13, s12, 31
	s_add_i32 s9, s0, 0xfffff800
	s_cmp_lt_i32 s9, s10
	v_lshl_add_u64 v[52:53], s[12:13], 1, v[0:1]
	s_cselect_b32 s12, s9, s11
	global_load_ushort v121, v[54:55], off
	global_load_ushort v122, v[56:57], off
	s_ashr_i32 s13, s12, 31
	global_load_ushort v58, v[58:59], off
	s_add_i32 s9, s0, 0xfffff840
	s_cmp_lt_i32 s9, s10
	v_lshl_add_u64 v[64:65], s[12:13], 1, v[0:1]
	s_cselect_b32 s12, s9, s11
	global_load_ushort v59, v[60:61], off
	s_ashr_i32 s13, s12, 31
	s_add_i32 s9, s0, 0xfffff880
	global_load_ushort v60, v[66:67], off
	global_load_ushort v61, v[62:63], off
	s_cmp_lt_i32 s9, s10
	v_lshl_add_u64 v[68:69], s[12:13], 1, v[0:1]
	s_cselect_b32 s12, s9, s11
	s_ashr_i32 s13, s12, 31
	s_add_i32 s9, s0, 0xfffff8c0
	s_cmp_lt_i32 s9, s10
	v_lshl_add_u64 v[70:71], s[12:13], 1, v[0:1]
	s_cselect_b32 s12, s9, s11
	s_ashr_i32 s13, s12, 31
	s_add_i32 s9, s0, 0xfffff900
	;; [unrolled: 5-line block ×3, first 2 shown]
	s_cmp_lt_i32 s9, s10
	v_lshl_add_u64 v[74:75], s[12:13], 1, v[0:1]
	s_cselect_b32 s12, s9, s11
	global_load_ushort v62, v[22:23], off
	s_ashr_i32 s13, s12, 31
	s_add_i32 s9, s0, 0xfffff980
	global_load_ushort v66, v[32:33], off
	global_load_ushort v123, v[34:35], off
	;; [unrolled: 1-line block ×4, first 2 shown]
	s_cmp_lt_i32 s9, s10
	v_lshl_add_u64 v[76:77], s[12:13], 1, v[0:1]
	s_cselect_b32 s12, s9, s11
	global_load_ushort v67, v[48:49], off
	s_ashr_i32 s13, s12, 31
	s_add_i32 s9, s0, 0xfffff9c0
	s_cmp_lt_i32 s9, s10
	v_lshl_add_u64 v[78:79], s[12:13], 1, v[0:1]
	s_cselect_b32 s12, s9, s11
	s_ashr_i32 s13, s12, 31
	s_add_i32 s9, s0, 0xfffffa00
	s_cmp_lt_i32 s9, s10
	v_lshl_add_u64 v[80:81], s[12:13], 1, v[0:1]
	s_cselect_b32 s12, s9, s11
	s_ashr_i32 s13, s12, 31
	s_add_i32 s9, s0, 0xfffffa40
	s_cmp_lt_i32 s9, s10
	v_mov_b32_e32 v124, s1
	v_lshl_add_u64 v[82:83], s[12:13], 1, v[0:1]
	s_cselect_b32 s12, s9, s11
	ds_read_b128 v[30:33], v124
	ds_read_b128 v[34:37], v124 offset:16
	global_load_ushort v50, v[50:51], off
	s_ashr_i32 s13, s12, 31
	s_add_i32 s9, s0, 0xfffffa80
	s_cmp_lt_i32 s9, s10
	v_lshl_add_u64 v[84:85], s[12:13], 1, v[0:1]
	s_cselect_b32 s12, s9, s11
	ds_read_b128 v[46:49], v124 offset:32
	ds_read_b128 v[54:57], v124 offset:48
	global_load_ushort v38, v[38:39], off
	s_ashr_i32 s13, s12, 31
	s_waitcnt vmcnt(24)
	v_lshlrev_b32_e32 v3, 16, v3
	v_lshl_add_u64 v[86:87], s[12:13], 1, v[0:1]
	global_load_ushort v51, v[86:87], off
	s_waitcnt lgkmcnt(3)
	v_fmac_f32_e32 v110, v30, v3
	s_waitcnt vmcnt(23)
	v_lshlrev_b32_e32 v3, 16, v111
	v_fmac_f32_e32 v110, v31, v3
	s_waitcnt vmcnt(22)
	v_lshlrev_b32_e32 v3, 16, v112
	global_load_ushort v39, v[18:19], off
	v_fmac_f32_e32 v110, v32, v3
	s_waitcnt vmcnt(22)
	v_lshlrev_b32_e32 v3, 16, v113
	v_fmac_f32_e32 v110, v33, v3
	s_waitcnt vmcnt(21)
	v_lshlrev_b32_e32 v3, 16, v114
	s_waitcnt lgkmcnt(2)
	v_fmac_f32_e32 v110, v34, v3
	global_load_ushort v3, v[20:21], off
	global_load_ushort v34, v[40:41], off
	s_add_i32 s9, s0, 0xfffffac0
	global_load_ushort v26, v[26:27], off
	s_waitcnt vmcnt(23)
	v_lshlrev_b32_e32 v18, 16, v115
	v_fmac_f32_e32 v110, v35, v18
	global_load_ushort v35, v[42:43], off
	global_load_ushort v27, v[52:53], off
	s_cmp_lt_i32 s9, s10
	s_cselect_b32 s12, s9, s11
	s_ashr_i32 s13, s12, 31
	s_add_i32 s9, s0, 0xfffffb00
	s_cmp_lt_i32 s9, s10
	v_lshl_add_u64 v[88:89], s[12:13], 1, v[0:1]
	s_cselect_b32 s12, s9, s11
	s_ashr_i32 s13, s12, 31
	s_add_i32 s9, s0, 0xfffffb40
	s_cmp_lt_i32 s9, s10
	v_lshl_add_u64 v[90:91], s[12:13], 1, v[0:1]
	;; [unrolled: 5-line block ×6, first 2 shown]
	s_cselect_b32 s12, s9, s11
	s_ashr_i32 s13, s12, 31
	s_add_i32 s9, s0, 0xfffffc80
	s_waitcnt vmcnt(24)
	v_lshlrev_b32_e32 v18, 16, v116
	s_cmp_lt_i32 s9, s10
	v_fmac_f32_e32 v110, v36, v18
	global_load_ushort v36, v[64:65], off
	s_waitcnt vmcnt(24)
	v_lshlrev_b32_e32 v18, 16, v117
	v_lshl_add_u64 v[102:103], s[12:13], 1, v[0:1]
	s_cselect_b32 s12, s9, s11
	v_fmac_f32_e32 v110, v37, v18
	global_load_ushort v37, v[68:69], off
	global_load_ushort v40, v[70:71], off
	;; [unrolled: 1-line block ×3, first 2 shown]
	s_waitcnt vmcnt(26)
	v_lshlrev_b32_e32 v18, 16, v118
	s_ashr_i32 s13, s12, 31
	s_add_i32 s9, s0, 0xfffffcc0
	s_waitcnt lgkmcnt(1)
	v_fmac_f32_e32 v110, v46, v18
	global_load_ushort v46, v[78:79], off
	s_waitcnt vmcnt(26)
	v_lshlrev_b32_e32 v18, 16, v119
	s_cmp_lt_i32 s9, s10
	v_fmac_f32_e32 v110, v47, v18
	v_lshlrev_b32_e32 v18, 16, v120
	v_lshl_add_u64 v[104:105], s[12:13], 1, v[0:1]
	s_cselect_b32 s12, s9, s11
	v_fmac_f32_e32 v110, v48, v18
	global_load_ushort v48, v[82:83], off
	global_load_ushort v42, v[74:75], off
	;; [unrolled: 1-line block ×4, first 2 shown]
	s_ashr_i32 s13, s12, 31
	s_add_i32 s9, s0, 0xfffffd00
	s_cmp_lt_i32 s9, s10
	s_waitcnt vmcnt(29)
	v_lshlrev_b32_e32 v18, 16, v121
	v_lshl_add_u64 v[106:107], s[12:13], 1, v[0:1]
	s_cselect_b32 s12, s9, s11
	v_fmac_f32_e32 v110, v49, v18
	global_load_ushort v49, v[84:85], off
	global_load_ushort v53, v[88:89], off
	s_waitcnt vmcnt(30)
	v_lshlrev_b32_e32 v18, 16, v122
	s_ashr_i32 s13, s12, 31
	s_add_i32 s9, s0, 0xfffffd40
	s_waitcnt lgkmcnt(0)
	v_fmac_f32_e32 v110, v54, v18
	global_load_ushort v54, v[90:91], off
	s_waitcnt vmcnt(30)
	v_lshlrev_b32_e32 v18, 16, v58
	s_cmp_lt_i32 s9, s10
	v_fmac_f32_e32 v110, v55, v18
	s_waitcnt vmcnt(29)
	v_lshlrev_b32_e32 v18, 16, v59
	v_lshl_add_u64 v[98:99], s[12:13], 1, v[0:1]
	s_cselect_b32 s12, s9, s11
	v_fmac_f32_e32 v110, v56, v18
	s_waitcnt vmcnt(28)
	v_lshlrev_b32_e32 v18, 16, v60
	s_ashr_i32 s13, s12, 31
	s_add_i32 s9, s0, 0xfffffd80
	v_fmac_f32_e32 v110, v57, v18
	ds_read_b128 v[18:21], v124 offset:64
	ds_read_b128 v[30:33], v124 offset:80
	s_cmp_lt_i32 s9, s10
	v_lshl_add_u64 v[44:45], s[12:13], 1, v[0:1]
	s_cselect_b32 s12, s9, s11
	s_ashr_i32 s13, s12, 31
	s_add_i32 s9, s0, 0xfffffdc0
	s_cmp_lt_i32 s9, s10
	s_waitcnt vmcnt(27)
	v_lshlrev_b32_e32 v52, 16, v61
	v_lshl_add_u64 v[108:109], s[12:13], 1, v[0:1]
	s_cselect_b32 s12, s9, s11
	s_waitcnt lgkmcnt(1)
	v_fmac_f32_e32 v110, v18, v52
	global_load_ushort v52, v[92:93], off
	global_load_ushort v55, v[94:95], off
	s_ashr_i32 s13, s12, 31
	s_add_i32 s9, s0, 0xfffffe00
	s_cmp_lt_i32 s9, s10
	global_load_ushort v56, v[96:97], off
	global_load_ushort v57, v[100:101], off
	;; [unrolled: 1-line block ×4, first 2 shown]
	v_lshl_add_u64 v[4:5], s[12:13], 1, v[0:1]
	s_cselect_b32 s12, s9, s11
	s_ashr_i32 s13, s12, 31
	s_add_i32 s9, s0, 0xfffffe40
	s_cmp_lt_i32 s9, s10
	s_waitcnt vmcnt(32)
	v_lshlrev_b32_e32 v18, 16, v62
	v_lshl_add_u64 v[6:7], s[12:13], 1, v[0:1]
	s_cselect_b32 s12, s9, s11
	v_fmac_f32_e32 v110, v19, v18
	s_waitcnt vmcnt(28)
	v_lshlrev_b32_e32 v18, 16, v63
	s_ashr_i32 s13, s12, 31
	s_add_i32 s9, s0, 0xfffffe80
	v_fmac_f32_e32 v110, v20, v18
	v_lshlrev_b32_e32 v18, 16, v66
	s_cmp_lt_i32 s9, s10
	v_fmac_f32_e32 v110, v21, v18
	s_waitcnt vmcnt(27)
	v_lshlrev_b32_e32 v18, 16, v67
	v_lshl_add_u64 v[8:9], s[12:13], 1, v[0:1]
	s_cselect_b32 s12, s9, s11
	s_waitcnt lgkmcnt(0)
	v_fmac_f32_e32 v110, v30, v18
	global_load_ushort v30, v[106:107], off
	s_ashr_i32 s13, s12, 31
	s_add_i32 s9, s0, 0xfffffec0
	s_cmp_lt_i32 s9, s10
	global_load_ushort v60, v[98:99], off
	global_load_ushort v61, v[44:45], off
	;; [unrolled: 1-line block ×3, first 2 shown]
	v_lshl_add_u64 v[12:13], s[12:13], 1, v[0:1]
	s_cselect_b32 s12, s9, s11
	v_lshlrev_b32_e32 v18, 16, v123
	s_ashr_i32 s13, s12, 31
	s_add_i32 s9, s0, 0xffffff00
	v_fmac_f32_e32 v110, v31, v18
	v_lshlrev_b32_e32 v18, 16, v125
	s_cmp_lt_i32 s9, s10
	v_fmac_f32_e32 v110, v32, v18
	global_load_ushort v31, v[4:5], off
	global_load_ushort v32, v[6:7], off
	v_lshl_add_u64 v[10:11], s[12:13], 1, v[0:1]
	s_cselect_b32 s12, s9, s11
	s_ashr_i32 s13, s12, 31
	s_add_i32 s9, s0, 0xffffff40
	s_cmp_lt_i32 s9, s10
	s_waitcnt vmcnt(32)
	v_lshlrev_b32_e32 v4, 16, v50
	v_lshl_add_u64 v[16:17], s[12:13], 1, v[0:1]
	s_cselect_b32 s12, s9, s11
	v_fmac_f32_e32 v110, v33, v4
	ds_read_b128 v[4:7], v124 offset:96
	s_ashr_i32 s13, s12, 31
	s_add_i32 s9, s0, 0xffffff80
	s_cmp_lt_i32 s9, s10
	s_waitcnt vmcnt(31)
	v_lshlrev_b32_e32 v33, 16, v38
	global_load_ushort v38, v[8:9], off
	global_load_ushort v44, v[12:13], off
	v_lshl_add_u64 v[14:15], s[12:13], 1, v[0:1]
	s_cselect_b32 s12, s9, s11
	s_ashr_i32 s13, s12, 31
	s_sub_i32 s9, s0, 64
	s_cmp_lt_i32 s9, s10
	ds_read_b128 v[18:21], v124 offset:112
	s_waitcnt lgkmcnt(1)
	v_fmac_f32_e32 v110, v4, v33
	s_waitcnt vmcnt(31)
	v_lshlrev_b32_e32 v4, 16, v39
	global_load_ushort v33, v[10:11], off
	global_load_ushort v39, v[16:17], off
	v_lshl_add_u64 v[28:29], s[12:13], 1, v[0:1]
	s_cselect_b32 s12, s9, s11
	s_ashr_i32 s13, s12, 31
	s_cmp_lt_i32 s0, s10
	v_fmac_f32_e32 v110, v5, v4
	s_waitcnt vmcnt(32)
	v_lshlrev_b32_e32 v3, 16, v3
	global_load_ushort v16, v[14:15], off
	global_load_ushort v17, v[28:29], off
	v_lshl_add_u64 v[22:23], s[12:13], 1, v[0:1]
	s_cselect_b32 s12, s0, s11
	v_fmac_f32_e32 v110, v6, v3
	s_waitcnt vmcnt(33)
	v_lshlrev_b32_e32 v3, 16, v34
	s_ashr_i32 s13, s12, 31
	v_fmac_f32_e32 v110, v7, v3
	s_waitcnt vmcnt(31)
	v_lshlrev_b32_e32 v3, 16, v35
	v_lshl_add_u64 v[24:25], s[12:13], 1, v[0:1]
	s_waitcnt lgkmcnt(0)
	v_fmac_f32_e32 v110, v18, v3
	global_load_ushort v3, v[22:23], off
	global_load_ushort v14, v[24:25], off
	v_lshlrev_b32_e32 v4, 16, v26
	v_fmac_f32_e32 v110, v19, v4
	s_waitcnt vmcnt(32)
	v_lshlrev_b32_e32 v4, 16, v27
	v_fmac_f32_e32 v110, v20, v4
	ds_read_b128 v[4:7], v124 offset:128
	s_waitcnt vmcnt(31)
	v_lshlrev_b32_e32 v8, 16, v36
	v_fmac_f32_e32 v110, v21, v8
	ds_read_b128 v[8:11], v124 offset:144
	s_waitcnt vmcnt(30)
	v_lshlrev_b32_e32 v12, 16, v37
	s_waitcnt lgkmcnt(1)
	v_fmac_f32_e32 v110, v4, v12
	s_waitcnt vmcnt(29)
	v_lshlrev_b32_e32 v4, 16, v40
	v_fmac_f32_e32 v110, v5, v4
	s_waitcnt vmcnt(28)
	v_lshlrev_b32_e32 v4, 16, v41
	;; [unrolled: 3-line block ×4, first 2 shown]
	s_waitcnt lgkmcnt(0)
	v_fmac_f32_e32 v110, v8, v4
	v_lshlrev_b32_e32 v4, 16, v46
	v_fmac_f32_e32 v110, v9, v4
	s_waitcnt vmcnt(23)
	v_lshlrev_b32_e32 v4, 16, v47
	v_fmac_f32_e32 v110, v10, v4
	ds_read_b128 v[4:7], v124 offset:160
	v_lshlrev_b32_e32 v8, 16, v48
	v_fmac_f32_e32 v110, v11, v8
	ds_read_b128 v[8:11], v124 offset:176
	s_waitcnt vmcnt(22)
	v_lshlrev_b32_e32 v12, 16, v49
	s_waitcnt lgkmcnt(1)
	v_fmac_f32_e32 v110, v4, v12
	v_lshlrev_b32_e32 v4, 16, v51
	v_fmac_f32_e32 v110, v5, v4
	s_waitcnt vmcnt(21)
	v_lshlrev_b32_e32 v4, 16, v53
	v_fmac_f32_e32 v110, v6, v4
	s_waitcnt vmcnt(20)
	;; [unrolled: 3-line block ×3, first 2 shown]
	v_lshlrev_b32_e32 v4, 16, v52
	s_waitcnt lgkmcnt(0)
	v_fmac_f32_e32 v110, v8, v4
	s_waitcnt vmcnt(18)
	v_lshlrev_b32_e32 v4, 16, v55
	v_fmac_f32_e32 v110, v9, v4
	s_waitcnt vmcnt(17)
	v_lshlrev_b32_e32 v4, 16, v56
	v_fmac_f32_e32 v110, v10, v4
	ds_read_b128 v[4:7], v124 offset:192
	s_waitcnt vmcnt(16)
	v_lshlrev_b32_e32 v8, 16, v57
	v_fmac_f32_e32 v110, v11, v8
	ds_read_b128 v[8:11], v124 offset:208
	s_waitcnt vmcnt(15)
	v_lshlrev_b32_e32 v12, 16, v58
	s_waitcnt lgkmcnt(1)
	v_fmac_f32_e32 v110, v4, v12
	s_waitcnt vmcnt(14)
	v_lshlrev_b32_e32 v4, 16, v59
	v_fmac_f32_e32 v110, v5, v4
	s_waitcnt vmcnt(13)
	v_lshlrev_b32_e32 v4, 16, v30
	v_fmac_f32_e32 v110, v6, v4
	s_waitcnt vmcnt(12)
	v_lshlrev_b32_e32 v4, 16, v60
	v_fmac_f32_e32 v110, v7, v4
	s_waitcnt vmcnt(10)
	v_lshlrev_b32_e32 v5, 16, v62
	v_lshlrev_b32_e32 v4, 16, v61
	s_waitcnt lgkmcnt(0)
	v_pk_mul_f32 v[4:5], v[8:9], v[4:5]
	s_waitcnt vmcnt(6)
	v_lshlrev_b32_e32 v13, 16, v44
	v_add_f32_e32 v4, v110, v4
	v_add_f32_e32 v6, v4, v5
	v_lshlrev_b32_e32 v5, 16, v32
	v_lshlrev_b32_e32 v4, 16, v31
	v_pk_mul_f32 v[8:9], v[10:11], v[4:5]
	v_lshlrev_b32_e32 v12, 16, v38
	v_add_f32_e32 v8, v6, v8
	ds_read_b128 v[4:7], v124 offset:224
	v_add_f32_e32 v15, v8, v9
	ds_read_b128 v[8:11], v124 offset:240
	s_waitcnt lgkmcnt(1)
	v_pk_mul_f32 v[4:5], v[4:5], v[12:13]
	s_nop 0
	v_add_f32_e32 v4, v15, v4
	v_add_f32_e32 v12, v4, v5
	s_waitcnt vmcnt(4)
	v_lshlrev_b32_e32 v5, 16, v39
	v_lshlrev_b32_e32 v4, 16, v33
	v_pk_mul_f32 v[4:5], v[6:7], v[4:5]
	s_nop 0
	v_add_f32_e32 v4, v12, v4
	v_add_f32_e32 v6, v4, v5
	s_waitcnt vmcnt(2)
	v_lshlrev_b32_e32 v5, 16, v17
	v_lshlrev_b32_e32 v4, 16, v16
	s_waitcnt lgkmcnt(0)
	v_pk_mul_f32 v[4:5], v[8:9], v[4:5]
	s_nop 0
	v_add_f32_e32 v4, v6, v4
	v_add_f32_e32 v6, v4, v5
	s_waitcnt vmcnt(0)
	v_lshlrev_b32_e32 v5, 16, v14
	v_lshlrev_b32_e32 v4, 16, v3
	v_pk_mul_f32 v[4:5], v[10:11], v[4:5]
	s_nop 0
	v_add_f32_e32 v3, v6, v4
	v_add_f32_e32 v110, v3, v5
	s_branch .LBB461_16
.LBB461_19:
	v_mov_b32_e32 v0, 0
	ds_read_b32 v0, v0 offset:1536
	s_cmp_lg_u64 s[6:7], 0
	s_cbranch_scc0 .LBB461_28
; %bb.20:
	s_load_dword s6, s[6:7], 0x0
	s_waitcnt lgkmcnt(0)
	v_div_scale_f32 v1, s[0:1], s6, s6, 1.0
	v_rcp_f32_e32 v3, v1
	v_div_scale_f32 v4, vcc, 1.0, s6, 1.0
	v_fma_f32 v5, -v1, v3, 1.0
	v_fmac_f32_e32 v3, v5, v3
	v_mul_f32_e32 v5, v4, v3
	v_fma_f32 v6, -v1, v5, v4
	v_fmac_f32_e32 v5, v6, v3
	v_fma_f32 v1, -v1, v5, v4
	v_div_fmas_f32 v1, v1, v3, v5
	v_div_fixup_f32 v1, v1, s6, 1.0
	s_andn2_b64 vcc, exec, s[28:29]
	s_cbranch_vccnz .LBB461_22
.LBB461_21:
	s_add_u32 s0, s26, s30
	s_addc_u32 s1, s27, s31
	s_load_dword s24, s[0:1], 0x0
	s_mov_b32 s25, 0
.LBB461_22:
	s_waitcnt lgkmcnt(0)
	v_add_f32_e32 v0, 0x358637bd, v0
	v_div_scale_f32 v3, s[0:1], v0, v0, 1.0
	v_rcp_f32_e32 v4, v3
	v_div_scale_f32 v5, vcc, 1.0, v0, 1.0
	s_mov_b32 s0, 0x7f800000
	v_fma_f32 v6, -v3, v4, 1.0
	v_fmac_f32_e32 v4, v6, v4
	v_mul_f32_e32 v6, v5, v4
	v_fma_f32 v7, -v3, v6, v5
	v_fmac_f32_e32 v6, v7, v4
	v_fma_f32 v3, -v3, v6, v5
	v_div_fmas_f32 v3, v3, v4, v6
	v_div_fixup_f32 v0, v3, v0, 1.0
	v_mul_f32_e32 v0, v110, v0
	v_mul_f32_e32 v1, v0, v1
	v_and_b32_e32 v0, 0x7f800000, v1
	v_cmp_ne_u32_e32 vcc, s0, v0
                                        ; implicit-def: $vgpr0
	s_and_saveexec_b64 s[0:1], vcc
	s_xor_b64 s[0:1], exec, s[0:1]
; %bb.23:
	v_bfe_u32 v0, v1, 16, 1
	s_movk_i32 s6, 0x7fff
	v_add3_u32 v0, v1, v0, s6
                                        ; implicit-def: $vgpr1
; %bb.24:
	s_andn2_saveexec_b64 s[0:1], s[0:1]
; %bb.25:
	v_mov_b32_e32 v0, 0
	v_or_b32_e32 v3, 0x10000, v1
	v_cmp_eq_u32_sdwa vcc, v1, v0 src0_sel:WORD_0 src1_sel:DWORD
	s_nop 1
	v_cndmask_b32_e32 v0, v3, v1, vcc
; %bb.26:
	s_or_b64 exec, exec, s[0:1]
	s_mul_i32 s0, s3, s25
	s_mul_hi_u32 s1, s3, s24
	s_add_i32 s1, s1, s0
	s_mul_i32 s0, s3, s24
	s_lshl_b64 s[0:1], s[0:1], 7
	s_add_u32 s4, s4, s0
	s_mov_b32 s3, 0
	s_addc_u32 s5, s5, s1
	s_lshl_b64 s[0:1], s[2:3], 7
	s_add_u32 s0, s4, s0
	s_addc_u32 s1, s5, s1
	global_store_short_d16_hi v2, v0, s[0:1]
	s_endpgm
.LBB461_27:
	s_mov_b64 s[6:7], 0
	s_branch .LBB461_2
.LBB461_28:
	v_mov_b32_e32 v1, 1.0
	s_andn2_b64 vcc, exec, s[28:29]
	s_cbranch_vccz .LBB461_21
	s_branch .LBB461_22
	.section	.rodata,"a",@progbits
	.p2align	6, 0x0
	.amdhsa_kernel _Z35paged_attention_ll4mi_reduce_kernelI14__hip_bfloat16S0_Li64ELi64ELi256ELi6EEvPT0_PKfS4_PKT_PKiS9_iS4_
		.amdhsa_group_segment_fixed_size 1540
		.amdhsa_private_segment_fixed_size 0
		.amdhsa_kernarg_size 320
		.amdhsa_user_sgpr_count 2
		.amdhsa_user_sgpr_dispatch_ptr 0
		.amdhsa_user_sgpr_queue_ptr 0
		.amdhsa_user_sgpr_kernarg_segment_ptr 1
		.amdhsa_user_sgpr_dispatch_id 0
		.amdhsa_user_sgpr_kernarg_preload_length 0
		.amdhsa_user_sgpr_kernarg_preload_offset 0
		.amdhsa_user_sgpr_private_segment_size 0
		.amdhsa_uses_dynamic_stack 0
		.amdhsa_enable_private_segment 0
		.amdhsa_system_sgpr_workgroup_id_x 1
		.amdhsa_system_sgpr_workgroup_id_y 1
		.amdhsa_system_sgpr_workgroup_id_z 0
		.amdhsa_system_sgpr_workgroup_info 0
		.amdhsa_system_vgpr_workitem_id 0
		.amdhsa_next_free_vgpr 126
		.amdhsa_next_free_sgpr 42
		.amdhsa_accum_offset 128
		.amdhsa_reserve_vcc 1
		.amdhsa_float_round_mode_32 0
		.amdhsa_float_round_mode_16_64 0
		.amdhsa_float_denorm_mode_32 3
		.amdhsa_float_denorm_mode_16_64 3
		.amdhsa_dx10_clamp 1
		.amdhsa_ieee_mode 1
		.amdhsa_fp16_overflow 0
		.amdhsa_tg_split 0
		.amdhsa_exception_fp_ieee_invalid_op 0
		.amdhsa_exception_fp_denorm_src 0
		.amdhsa_exception_fp_ieee_div_zero 0
		.amdhsa_exception_fp_ieee_overflow 0
		.amdhsa_exception_fp_ieee_underflow 0
		.amdhsa_exception_fp_ieee_inexact 0
		.amdhsa_exception_int_div_zero 0
	.end_amdhsa_kernel
	.section	.text._Z35paged_attention_ll4mi_reduce_kernelI14__hip_bfloat16S0_Li64ELi64ELi256ELi6EEvPT0_PKfS4_PKT_PKiS9_iS4_,"axG",@progbits,_Z35paged_attention_ll4mi_reduce_kernelI14__hip_bfloat16S0_Li64ELi64ELi256ELi6EEvPT0_PKfS4_PKT_PKiS9_iS4_,comdat
.Lfunc_end461:
	.size	_Z35paged_attention_ll4mi_reduce_kernelI14__hip_bfloat16S0_Li64ELi64ELi256ELi6EEvPT0_PKfS4_PKT_PKiS9_iS4_, .Lfunc_end461-_Z35paged_attention_ll4mi_reduce_kernelI14__hip_bfloat16S0_Li64ELi64ELi256ELi6EEvPT0_PKfS4_PKT_PKiS9_iS4_
                                        ; -- End function
	.section	.AMDGPU.csdata,"",@progbits
; Kernel info:
; codeLenInByte = 9032
; NumSgprs: 48
; NumVgprs: 126
; NumAgprs: 0
; TotalNumVgprs: 126
; ScratchSize: 0
; MemoryBound: 0
; FloatMode: 240
; IeeeMode: 1
; LDSByteSize: 1540 bytes/workgroup (compile time only)
; SGPRBlocks: 5
; VGPRBlocks: 15
; NumSGPRsForWavesPerEU: 48
; NumVGPRsForWavesPerEU: 126
; AccumOffset: 128
; Occupancy: 4
; WaveLimiterHint : 1
; COMPUTE_PGM_RSRC2:SCRATCH_EN: 0
; COMPUTE_PGM_RSRC2:USER_SGPR: 2
; COMPUTE_PGM_RSRC2:TRAP_HANDLER: 0
; COMPUTE_PGM_RSRC2:TGID_X_EN: 1
; COMPUTE_PGM_RSRC2:TGID_Y_EN: 1
; COMPUTE_PGM_RSRC2:TGID_Z_EN: 0
; COMPUTE_PGM_RSRC2:TIDIG_COMP_CNT: 0
; COMPUTE_PGM_RSRC3_GFX90A:ACCUM_OFFSET: 31
; COMPUTE_PGM_RSRC3_GFX90A:TG_SPLIT: 0
	.section	.text._Z35paged_attention_ll4mi_reduce_kernelI14__hip_bfloat16S0_Li64ELi64ELi256ELi7EEvPT0_PKfS4_PKT_PKiS9_iS4_,"axG",@progbits,_Z35paged_attention_ll4mi_reduce_kernelI14__hip_bfloat16S0_Li64ELi64ELi256ELi7EEvPT0_PKfS4_PKT_PKiS9_iS4_,comdat
	.protected	_Z35paged_attention_ll4mi_reduce_kernelI14__hip_bfloat16S0_Li64ELi64ELi256ELi7EEvPT0_PKfS4_PKT_PKiS9_iS4_ ; -- Begin function _Z35paged_attention_ll4mi_reduce_kernelI14__hip_bfloat16S0_Li64ELi64ELi256ELi7EEvPT0_PKfS4_PKT_PKiS9_iS4_
	.globl	_Z35paged_attention_ll4mi_reduce_kernelI14__hip_bfloat16S0_Li64ELi64ELi256ELi7EEvPT0_PKfS4_PKT_PKiS9_iS4_
	.p2align	8
	.type	_Z35paged_attention_ll4mi_reduce_kernelI14__hip_bfloat16S0_Li64ELi64ELi256ELi7EEvPT0_PKfS4_PKT_PKiS9_iS4_,@function
_Z35paged_attention_ll4mi_reduce_kernelI14__hip_bfloat16S0_Li64ELi64ELi256ELi7EEvPT0_PKfS4_PKT_PKiS9_iS4_: ; @_Z35paged_attention_ll4mi_reduce_kernelI14__hip_bfloat16S0_Li64ELi64ELi256ELi7EEvPT0_PKfS4_PKT_PKiS9_iS4_
; %bb.0:
	s_load_dwordx2 s[26:27], s[0:1], 0x28
	s_mov_b32 s24, s3
	s_mov_b64 s[4:5], 0
	s_waitcnt lgkmcnt(0)
	s_cmp_lg_u64 s[26:27], 0
	s_cselect_b64 s[28:29], -1, 0
	s_and_b64 vcc, exec, s[28:29]
	s_cbranch_vccz .LBB462_27
; %bb.1:
	s_add_i32 s6, s24, 1
	s_mov_b32 s7, 0
	s_lshl_b64 s[8:9], s[6:7], 2
	s_add_u32 s8, s26, s8
	s_mov_b32 s25, s7
	s_addc_u32 s9, s27, s9
	s_lshl_b64 s[6:7], s[24:25], 2
	s_add_u32 s6, s26, s6
	s_addc_u32 s7, s27, s7
	s_load_dword s3, s[8:9], 0x0
	s_load_dword s10, s[6:7], 0x0
	s_waitcnt lgkmcnt(0)
	s_sub_i32 s3, s3, s10
	s_cmp_eq_u32 s3, 1
	s_cselect_b64 s[6:7], -1, 0
	s_andn2_b64 vcc, exec, s[4:5]
	s_cbranch_vccnz .LBB462_3
.LBB462_2:
	s_mov_b32 s25, 0
	s_mov_b64 s[6:7], -1
.LBB462_3:
	s_andn2_b64 vcc, exec, s[6:7]
	s_cbranch_vccz .LBB462_5
; %bb.4:
	s_endpgm
.LBB462_5:
	s_load_dwordx4 s[20:23], s[0:1], 0x18
	s_load_dword s8, s[0:1], 0x30
	s_lshl_b64 s[30:31], s[24:25], 2
	v_cmp_lt_u32_e32 vcc, 63, v0
	s_waitcnt lgkmcnt(0)
	s_add_u32 s4, s22, s30
	s_addc_u32 s5, s23, s31
	s_load_dword s40, s[4:5], 0x0
	s_load_dword s3, s[0:1], 0x40
	s_mul_i32 s22, s2, s8
	s_mul_i32 s6, s24, s8
	s_waitcnt lgkmcnt(0)
	s_add_i32 s7, s40, 0xff
	s_ashr_i32 s4, s7, 31
	s_lshr_b32 s4, s4, 24
	s_add_i32 s7, s7, s4
	s_and_saveexec_b64 s[4:5], vcc
	s_xor_b64 s[4:5], exec, s[4:5]
	s_or_saveexec_b64 s[34:35], s[4:5]
	s_ashr_i32 s33, s7, 8
	v_mov_b32_e32 v1, s22
	s_mul_i32 s36, s6, s3
	s_xor_b64 exec, exec, s[34:35]
	s_cbranch_execz .LBB462_9
; %bb.6:
	s_add_i32 s4, s33, -1
	v_or_b32_e32 v3, 64, v0
	v_mov_b32_e32 v1, s4
	v_cmp_gt_u32_e64 s[12:13], s33, v3
	s_load_dwordx4 s[16:19], s[0:1], 0x8
	s_mov_b32 s37, 0
	v_cndmask_b32_e64 v4, v1, v3, s[12:13]
	v_or_b32_e32 v3, 0x80, v0
	v_cmp_gt_u32_e64 s[10:11], s33, v3
	s_lshl_b64 s[38:39], s[36:37], 2
	s_mov_b32 s23, s37
	v_cndmask_b32_e64 v6, v1, v3, s[10:11]
	v_or_b32_e32 v3, 0xc0, v0
	v_cmp_gt_u32_e64 s[8:9], s33, v3
	v_cmp_gt_u32_e64 s[14:15], s33, v0
	s_waitcnt lgkmcnt(0)
	s_add_u32 s37, s18, s38
	v_cndmask_b32_e64 v8, v1, v3, s[8:9]
	v_or_b32_e32 v3, 0x100, v0
	v_cmp_gt_u32_e64 s[6:7], s33, v3
	v_cndmask_b32_e64 v2, v1, v0, s[14:15]
	s_addc_u32 s41, s19, s39
	v_cndmask_b32_e64 v10, v1, v3, s[6:7]
	v_or_b32_e32 v3, 0x140, v0
	v_cmp_gt_u32_e64 s[4:5], s33, v3
	s_lshl_b64 s[18:19], s[22:23], 2
	s_add_u32 s42, s37, s18
	v_cndmask_b32_e64 v12, v1, v3, s[4:5]
	v_or_b32_e32 v3, 0x180, v0
	v_cmp_gt_u32_e32 vcc, s33, v3
	s_addc_u32 s43, s41, s19
	v_ashrrev_i32_e32 v5, 31, v4
	v_cndmask_b32_e32 v14, v1, v3, vcc
	v_ashrrev_i32_e32 v3, 31, v2
	v_lshlrev_b64 v[2:3], 2, v[2:3]
	v_ashrrev_i32_e32 v7, 31, v6
	v_ashrrev_i32_e32 v9, 31, v8
	v_ashrrev_i32_e32 v11, 31, v10
	v_ashrrev_i32_e32 v13, 31, v12
	v_ashrrev_i32_e32 v15, 31, v14
	v_lshl_add_u64 v[16:17], s[42:43], 0, v[2:3]
	v_lshlrev_b64 v[4:5], 2, v[4:5]
	v_lshlrev_b64 v[6:7], 2, v[6:7]
	;; [unrolled: 1-line block ×6, first 2 shown]
	v_lshl_add_u64 v[18:19], s[42:43], 0, v[4:5]
	v_lshl_add_u64 v[20:21], s[42:43], 0, v[6:7]
	;; [unrolled: 1-line block ×6, first 2 shown]
	global_load_dword v1, v[16:17], off
	global_load_dword v30, v[18:19], off
	;; [unrolled: 1-line block ×7, first 2 shown]
	v_mbcnt_lo_u32_b32 v16, -1, 0
	s_add_u32 s16, s16, s38
	v_mbcnt_hi_u32_b32 v16, -1, v16
	s_addc_u32 s17, s17, s39
	v_and_b32_e32 v18, 64, v16
	s_add_u32 s18, s16, s18
	v_xor_b32_e32 v19, 32, v16
	s_addc_u32 s19, s17, s19
	v_add_u32_e32 v18, 64, v18
	v_lshl_add_u64 v[2:3], s[18:19], 0, v[2:3]
	v_cmp_lt_i32_e64 s[16:17], v19, v18
	global_load_dword v22, v[2:3], off
	v_xor_b32_e32 v20, 16, v16
	v_cndmask_b32_e64 v2, v16, v19, s[16:17]
	v_lshlrev_b32_e32 v19, 2, v2
	v_cmp_lt_i32_e64 s[16:17], v20, v18
	v_xor_b32_e32 v21, 8, v16
	v_xor_b32_e32 v23, 4, v16
	;; [unrolled: 1-line block ×3, first 2 shown]
	s_mov_b32 s41, 0x3fb8aa3b
	s_mov_b32 s23, 0xc2ce8ed0
	;; [unrolled: 1-line block ×3, first 2 shown]
	v_mov_b32_e32 v17, 0x7f800000
	s_waitcnt vmcnt(5)
	v_max3_f32 v2, v1, v30, v31
	s_waitcnt vmcnt(3)
	v_max3_f32 v2, v2, v32, v33
	;; [unrolled: 2-line block ×3, first 2 shown]
	ds_bpermute_b32 v26, v19, v25
	v_cndmask_b32_e64 v2, v16, v20, s[16:17]
	v_lshlrev_b32_e32 v20, 2, v2
	v_lshl_add_u64 v[2:3], s[18:19], 0, v[4:5]
	global_load_dword v27, v[2:3], off
	s_waitcnt lgkmcnt(0)
	v_max_f32_e32 v2, v26, v26
	v_max_f32_e32 v2, v25, v2
	ds_bpermute_b32 v3, v20, v2
	v_cmp_lt_i32_e64 s[16:17], v21, v18
	v_xor_b32_e32 v4, 1, v16
	s_waitcnt lgkmcnt(0)
	v_max_f32_e32 v3, v3, v3
	v_cndmask_b32_e64 v5, v16, v21, s[16:17]
	v_lshlrev_b32_e32 v21, 2, v5
	v_max_f32_e32 v5, v2, v3
	ds_bpermute_b32 v25, v21, v5
	v_cmp_lt_i32_e64 s[16:17], v23, v18
	s_nop 1
	v_cndmask_b32_e64 v2, v16, v23, s[16:17]
	v_lshlrev_b32_e32 v23, 2, v2
	v_lshl_add_u64 v[2:3], s[18:19], 0, v[6:7]
	global_load_dword v26, v[2:3], off
	s_waitcnt lgkmcnt(0)
	v_max_f32_e32 v2, v25, v25
	v_max_f32_e32 v2, v5, v2
	ds_bpermute_b32 v3, v23, v2
	v_cmp_lt_i32_e64 s[16:17], v24, v18
	v_lshl_add_u64 v[6:7], s[18:19], 0, v[12:13]
	s_waitcnt lgkmcnt(0)
	v_max_f32_e32 v3, v3, v3
	v_cndmask_b32_e64 v5, v16, v24, s[16:17]
	v_cmp_lt_i32_e64 s[16:17], v4, v18
	v_max_f32_e32 v18, v2, v3
	v_lshl_add_u64 v[2:3], s[18:19], 0, v[8:9]
	global_load_dword v9, v[2:3], off
	v_cndmask_b32_e64 v4, v16, v4, s[16:17]
	v_lshlrev_b32_e32 v16, 2, v5
	v_lshlrev_b32_e32 v25, 2, v4
	v_lshl_add_u64 v[4:5], s[18:19], 0, v[10:11]
	v_lshl_add_u64 v[2:3], s[18:19], 0, v[14:15]
	global_load_dword v11, v[4:5], off
	global_load_dword v12, v[6:7], off
	global_load_dword v13, v[2:3], off
	ds_bpermute_b32 v24, v16, v18
	s_waitcnt lgkmcnt(0)
	v_max_f32_e32 v8, v24, v24
	v_max_f32_e32 v8, v18, v8
	ds_bpermute_b32 v10, v25, v8
	s_waitcnt lgkmcnt(0)
	v_max_f32_e32 v2, v10, v10
	v_max_f32_e32 v2, v8, v2
	v_sub_f32_e32 v1, v1, v2
	v_mul_f32_e32 v4, 0x3fb8aa3b, v1
	v_fma_f32 v5, v1, s41, -v4
	v_rndne_f32_e32 v6, v4
	v_fmac_f32_e32 v5, 0x32a5705f, v1
	v_sub_f32_e32 v4, v4, v6
	v_add_f32_e32 v4, v4, v5
	v_cvt_i32_f32_e32 v6, v6
	v_exp_f32_e32 v4, v4
	v_sub_f32_e32 v3, v30, v2
	v_mul_f32_e32 v5, 0x3fb8aa3b, v3
	v_fma_f32 v7, v3, s41, -v5
	v_ldexp_f32 v4, v4, v6
	v_rndne_f32_e32 v6, v5
	v_fmac_f32_e32 v7, 0x32a5705f, v3
	v_sub_f32_e32 v5, v5, v6
	v_add_f32_e32 v5, v5, v7
	v_exp_f32_e32 v5, v5
	v_cvt_i32_f32_e32 v6, v6
	v_cmp_ngt_f32_e64 s[16:17], s23, v1
	s_nop 1
	v_cndmask_b32_e64 v4, 0, v4, s[16:17]
	v_cmp_nlt_f32_e64 s[16:17], s37, v1
	s_nop 1
	v_cndmask_b32_e64 v1, v17, v4, s[16:17]
	v_ldexp_f32 v4, v5, v6
	v_sub_f32_e32 v5, v31, v2
	v_mul_f32_e32 v6, 0x3fb8aa3b, v5
	v_fma_f32 v7, v5, s41, -v6
	v_rndne_f32_e32 v8, v6
	v_fmac_f32_e32 v7, 0x32a5705f, v5
	v_sub_f32_e32 v6, v6, v8
	v_add_f32_e32 v6, v6, v7
	v_exp_f32_e32 v6, v6
	v_cvt_i32_f32_e32 v7, v8
	v_cndmask_b32_e64 v1, 0, v1, s[14:15]
	v_cmp_ngt_f32_e64 s[14:15], s23, v3
	s_waitcnt vmcnt(6)
	v_mul_f32_e32 v1, v22, v1
	v_cndmask_b32_e64 v4, 0, v4, s[14:15]
	v_cmp_nlt_f32_e64 s[14:15], s37, v3
	s_nop 1
	v_cndmask_b32_e64 v3, v17, v4, s[14:15]
	v_ldexp_f32 v4, v6, v7
	v_sub_f32_e32 v6, v32, v2
	v_mul_f32_e32 v7, 0x3fb8aa3b, v6
	v_fma_f32 v8, v6, s41, -v7
	v_rndne_f32_e32 v10, v7
	v_fmac_f32_e32 v8, 0x32a5705f, v6
	v_sub_f32_e32 v7, v7, v10
	v_add_f32_e32 v7, v7, v8
	v_exp_f32_e32 v7, v7
	v_cvt_i32_f32_e32 v8, v10
	v_cndmask_b32_e64 v3, 0, v3, s[12:13]
	v_cmp_ngt_f32_e64 s[12:13], s23, v5
	s_waitcnt vmcnt(5)
	v_mul_f32_e32 v3, v27, v3
	v_cndmask_b32_e64 v4, 0, v4, s[12:13]
	v_cmp_nlt_f32_e64 s[12:13], s37, v5
	v_ldexp_f32 v5, v7, v8
	v_sub_f32_e32 v7, v33, v2
	v_mul_f32_e32 v8, 0x3fb8aa3b, v7
	v_fma_f32 v10, v7, s41, -v8
	v_rndne_f32_e32 v14, v8
	v_fmac_f32_e32 v10, 0x32a5705f, v7
	v_sub_f32_e32 v8, v8, v14
	v_add_f32_e32 v8, v8, v10
	v_cndmask_b32_e64 v4, v17, v4, s[12:13]
	v_exp_f32_e32 v8, v8
	v_cvt_i32_f32_e32 v10, v14
	v_cndmask_b32_e64 v4, 0, v4, s[10:11]
	v_cmp_ngt_f32_e64 s[10:11], s23, v6
	s_waitcnt vmcnt(4)
	v_mul_f32_e32 v4, v26, v4
	v_cndmask_b32_e64 v5, 0, v5, s[10:11]
	v_cmp_nlt_f32_e64 s[10:11], s37, v6
	v_ldexp_f32 v6, v8, v10
	v_sub_f32_e32 v8, v34, v2
	v_cndmask_b32_e64 v5, v17, v5, s[10:11]
	v_cndmask_b32_e64 v5, 0, v5, s[8:9]
	s_waitcnt vmcnt(3)
	v_mul_f32_e32 v5, v9, v5
	v_mul_f32_e32 v9, 0x3fb8aa3b, v8
	v_fma_f32 v10, v8, s41, -v9
	v_rndne_f32_e32 v14, v9
	v_fmac_f32_e32 v10, 0x32a5705f, v8
	v_sub_f32_e32 v9, v9, v14
	v_add_f32_e32 v9, v9, v10
	v_exp_f32_e32 v9, v9
	v_cvt_i32_f32_e32 v10, v14
	v_cmp_ngt_f32_e64 s[8:9], s23, v7
	v_sub_f32_e32 v2, v35, v2
	s_nop 0
	v_cndmask_b32_e64 v6, 0, v6, s[8:9]
	v_cmp_nlt_f32_e64 s[8:9], s37, v7
	v_ldexp_f32 v7, v9, v10
	v_mul_f32_e32 v9, 0x3fb8aa3b, v2
	v_cndmask_b32_e64 v6, v17, v6, s[8:9]
	v_cndmask_b32_e64 v6, 0, v6, s[6:7]
	s_waitcnt vmcnt(2)
	v_mul_f32_e32 v6, v11, v6
	v_fma_f32 v10, v2, s41, -v9
	v_rndne_f32_e32 v11, v9
	v_fmac_f32_e32 v10, 0x32a5705f, v2
	v_sub_f32_e32 v9, v9, v11
	v_add_f32_e32 v9, v9, v10
	v_exp_f32_e32 v9, v9
	v_cvt_i32_f32_e32 v10, v11
	v_cmp_ngt_f32_e64 s[6:7], s23, v8
	v_lshlrev_b32_e32 v11, 2, v0
	ds_write2st64_b32 v11, v1, v3 offset1:1
	v_cndmask_b32_e64 v7, 0, v7, s[6:7]
	v_cmp_nlt_f32_e64 s[6:7], s37, v8
	v_ldexp_f32 v8, v9, v10
	s_nop 0
	v_cndmask_b32_e64 v7, v17, v7, s[6:7]
	v_cndmask_b32_e64 v7, 0, v7, s[4:5]
	v_cmp_ngt_f32_e64 s[4:5], s23, v2
	s_waitcnt vmcnt(1)
	v_mul_f32_e32 v7, v12, v7
	v_cndmask_b32_e64 v8, 0, v8, s[4:5]
	v_cmp_nlt_f32_e64 s[4:5], s37, v2
	s_nop 1
	v_cndmask_b32_e64 v2, v17, v8, s[4:5]
	v_add_f32_e32 v8, v1, v3
	v_add_f32_e32 v8, v8, v4
	;; [unrolled: 1-line block ×4, first 2 shown]
	v_cndmask_b32_e32 v2, 0, v2, vcc
	v_add_f32_e32 v8, v8, v7
	s_waitcnt vmcnt(0)
	v_fmac_f32_e32 v8, v13, v2
	ds_bpermute_b32 v9, v19, v8
	v_mul_f32_e32 v10, v13, v2
	v_cmp_eq_u32_e32 vcc, 0, v0
	ds_write2st64_b32 v11, v4, v5 offset0:2 offset1:3
	ds_write2st64_b32 v11, v6, v7 offset0:4 offset1:5
	ds_write_b32 v11, v10 offset:1536
	s_waitcnt lgkmcnt(3)
	v_add_f32_e32 v8, v8, v9
	ds_bpermute_b32 v9, v20, v8
	s_waitcnt lgkmcnt(0)
	v_add_f32_e32 v8, v8, v9
	ds_bpermute_b32 v9, v21, v8
	;; [unrolled: 3-line block ×5, first 2 shown]
	s_and_saveexec_b64 s[4:5], vcc
	s_cbranch_execz .LBB462_8
; %bb.7:
	s_waitcnt lgkmcnt(0)
	v_add_f32_e32 v1, v1, v2
	v_mov_b32_e32 v2, 0
	ds_write_b32 v2, v1 offset:1792
.LBB462_8:
	s_or_b64 exec, exec, s[4:5]
	v_mov_b32_e32 v1, s22
.LBB462_9:
	s_or_b64 exec, exec, s[34:35]
	s_lshl_b32 s4, s36, 6
	s_mov_b32 s5, 0
	s_lshl_b64 s[4:5], s[4:5], 1
	s_add_u32 s4, s20, s4
	s_addc_u32 s5, s21, s5
	s_lshl_b32 s10, s33, 6
	s_sub_i32 s11, s10, 64
	s_waitcnt lgkmcnt(0)
	v_lshlrev_b32_e32 v2, 6, v1
	v_mov_b32_e32 v3, 0
	s_cmp_lt_i32 s40, 1
	v_lshl_add_u64 v[4:5], v[2:3], 1, s[4:5]
	s_cselect_b32 s4, s11, 0
	v_lshlrev_b32_e32 v2, 1, v0
	s_ashr_i32 s5, s4, 31
	v_lshl_add_u64 v[0:1], v[4:5], 0, v[2:3]
	s_cmpk_lt_i32 s40, 0x101
	v_lshl_add_u64 v[4:5], s[4:5], 1, v[0:1]
	s_cselect_b32 s4, s11, 64
	s_ashr_i32 s5, s4, 31
	s_cmpk_lt_i32 s40, 0x201
	v_lshl_add_u64 v[6:7], s[4:5], 1, v[0:1]
	s_cselect_b32 s4, s11, 0x80
	s_ashr_i32 s5, s4, 31
	s_cmpk_lt_i32 s40, 0x301
	v_lshl_add_u64 v[8:9], s[4:5], 1, v[0:1]
	s_cselect_b32 s4, s11, 0xc0
	s_ashr_i32 s5, s4, 31
	s_cmpk_lt_i32 s40, 0x401
	v_lshl_add_u64 v[10:11], s[4:5], 1, v[0:1]
	s_cselect_b32 s4, s11, 0x100
	s_ashr_i32 s5, s4, 31
	s_cmpk_lt_i32 s40, 0x501
	v_lshl_add_u64 v[12:13], s[4:5], 1, v[0:1]
	s_cselect_b32 s4, s11, 0x140
	s_ashr_i32 s5, s4, 31
	s_cmpk_lt_i32 s40, 0x601
	v_lshl_add_u64 v[14:15], s[4:5], 1, v[0:1]
	s_cselect_b32 s4, s11, 0x180
	s_ashr_i32 s5, s4, 31
	s_cmpk_lt_i32 s40, 0x701
	v_lshl_add_u64 v[24:25], s[4:5], 1, v[0:1]
	s_cselect_b32 s4, s11, 0x1c0
	s_ashr_i32 s5, s4, 31
	s_cmpk_lt_i32 s40, 0x801
	v_lshl_add_u64 v[26:27], s[4:5], 1, v[0:1]
	s_cselect_b32 s4, s11, 0x200
	s_ashr_i32 s5, s4, 31
	s_cmpk_lt_i32 s40, 0x901
	global_load_ushort v23, v[4:5], off
	global_load_ushort v22, v[6:7], off
	;; [unrolled: 1-line block ×8, first 2 shown]
	v_lshl_add_u64 v[4:5], s[4:5], 1, v[0:1]
	s_cselect_b32 s4, s11, 0x240
	s_ashr_i32 s5, s4, 31
	s_cmpk_lt_i32 s40, 0xa01
	v_lshl_add_u64 v[6:7], s[4:5], 1, v[0:1]
	s_cselect_b32 s4, s11, 0x280
	s_ashr_i32 s5, s4, 31
	s_cmpk_lt_i32 s40, 0xb01
	;; [unrolled: 4-line block ×6, first 2 shown]
	v_lshl_add_u64 v[32:33], s[4:5], 1, v[0:1]
	s_cselect_b32 s4, s11, 0x3c0
	s_ashr_i32 s5, s4, 31
	v_lshl_add_u64 v[34:35], s[4:5], 1, v[0:1]
	global_load_ushort v30, v[4:5], off
	global_load_ushort v31, v[6:7], off
	;; [unrolled: 1-line block ×8, first 2 shown]
	s_cmpk_gt_i32 s40, 0x1000
	s_cselect_b64 s[8:9], -1, 0
	s_cmpk_lt_i32 s40, 0x1001
	v_mov_b32_e32 v40, 0
	v_mov_b32_e32 v41, 0
	;; [unrolled: 1-line block ×48, first 2 shown]
	s_waitcnt lgkmcnt(0)
	; wave barrier
	s_cbranch_scc1 .LBB462_12
; %bb.10:
	s_cmpk_lt_u32 s40, 0x1101
	s_cselect_b32 s4, s11, 0x440
	s_ashr_i32 s5, s4, 31
	s_cmpk_lt_u32 s40, 0x1201
	v_lshl_add_u64 v[4:5], s[4:5], 1, v[0:1]
	s_cselect_b32 s4, s11, 0x480
	s_ashr_i32 s5, s4, 31
	s_cmpk_lt_u32 s40, 0x1301
	v_lshl_add_u64 v[6:7], s[4:5], 1, v[0:1]
	;; [unrolled: 4-line block ×7, first 2 shown]
	s_cselect_b32 s4, s11, 0x600
	s_ashr_i32 s5, s4, 31
	s_cmpk_lt_u32 s40, 0x1901
	global_load_ushort v39, v[0:1], off offset:2048
	global_load_ushort v38, v[4:5], off
	global_load_ushort v37, v[6:7], off
	;; [unrolled: 1-line block ×7, first 2 shown]
	v_lshl_add_u64 v[4:5], s[4:5], 1, v[0:1]
	s_cselect_b32 s4, s11, 0x640
	s_ashr_i32 s5, s4, 31
	s_cmpk_lt_u32 s40, 0x1a01
	v_lshl_add_u64 v[6:7], s[4:5], 1, v[0:1]
	s_cselect_b32 s4, s11, 0x680
	s_ashr_i32 s5, s4, 31
	s_cmpk_lt_u32 s40, 0x1b01
	;; [unrolled: 4-line block ×6, first 2 shown]
	v_lshl_add_u64 v[48:49], s[4:5], 1, v[0:1]
	s_cselect_b32 s4, s11, 0x7c0
	s_ashr_i32 s5, s4, 31
	v_lshl_add_u64 v[50:51], s[4:5], 1, v[0:1]
	global_load_ushort v47, v[4:5], off
	global_load_ushort v46, v[6:7], off
	;; [unrolled: 1-line block ×8, first 2 shown]
	s_cmpk_lt_u32 s40, 0x2001
	v_mov_b32_e32 v67, 0
	v_mov_b32_e32 v65, 0
	;; [unrolled: 1-line block ×32, first 2 shown]
	s_cbranch_scc1 .LBB462_12
; %bb.11:
	s_cmpk_lt_u32 s40, 0x2101
	s_cselect_b32 s4, s11, 0x840
	s_ashr_i32 s5, s4, 31
	s_cmpk_lt_u32 s40, 0x2201
	v_lshl_add_u64 v[4:5], s[4:5], 1, v[0:1]
	s_cselect_b32 s4, s11, 0x880
	s_ashr_i32 s5, s4, 31
	s_cmpk_lt_u32 s40, 0x2301
	v_lshl_add_u64 v[6:7], s[4:5], 1, v[0:1]
	;; [unrolled: 4-line block ×29, first 2 shown]
	s_cselect_b32 s4, s11, 0xf80
	s_ashr_i32 s5, s4, 31
	v_lshl_add_u64 v[94:95], s[4:5], 1, v[0:1]
	s_movk_i32 s4, 0x1000
	s_cmpk_lt_u32 s40, 0x3f01
	v_add_co_u32_e32 v96, vcc, s4, v0
	s_cselect_b32 s4, s11, 0xfc0
	s_nop 0
	v_addc_co_u32_e32 v97, vcc, 0, v1, vcc
	s_ashr_i32 s5, s4, 31
	global_load_ushort v98, v[96:97], off
	global_load_ushort v99, v[4:5], off
	;; [unrolled: 1-line block ×15, first 2 shown]
                                        ; kill: killed $vgpr52_vgpr53
                                        ; kill: killed $vgpr4_vgpr5
                                        ; kill: killed $vgpr58_vgpr59
                                        ; kill: killed $vgpr10_vgpr11
                                        ; kill: killed $vgpr48_vgpr49
                                        ; kill: killed $vgpr54_vgpr55
                                        ; kill: killed $vgpr6_vgpr7
                                        ; kill: killed $vgpr60_vgpr61
                                        ; kill: killed $vgpr12_vgpr13
                                        ; kill: killed $vgpr50_vgpr51
                                        ; kill: killed $vgpr56_vgpr57
                                        ; kill: killed $vgpr8_vgpr9
                                        ; kill: killed $vgpr62_vgpr63
                                        ; kill: killed $vgpr14_vgpr15
                                        ; kill: killed $vgpr96 killed $vgpr97
	global_load_ushort v6, v[64:65], off
	global_load_ushort v7, v[66:67], off
	;; [unrolled: 1-line block ×15, first 2 shown]
                                        ; kill: killed $vgpr84_vgpr85
                                        ; kill: killed $vgpr68_vgpr69
                                        ; kill: killed $vgpr90_vgpr91
                                        ; kill: killed $vgpr74_vgpr75
                                        ; kill: killed $vgpr80_vgpr81
                                        ; kill: killed $vgpr64_vgpr65
                                        ; kill: killed $vgpr70_vgpr71
                                        ; kill: killed $vgpr92_vgpr93
                                        ; kill: killed $vgpr76_vgpr77
                                        ; kill: killed $vgpr82_vgpr83
                                        ; kill: killed $vgpr66_vgpr67
                                        ; kill: killed $vgpr88_vgpr89
                                        ; kill: killed $vgpr72_vgpr73
                                        ; kill: killed $vgpr94_vgpr95
                                        ; kill: killed $vgpr78_vgpr79
	global_load_ushort v68, v[86:87], off
	v_lshl_add_u64 v[4:5], s[4:5], 1, v[0:1]
	global_load_ushort v5, v[4:5], off
	s_waitcnt vmcnt(31)
	v_lshlrev_b32_e32 v67, 16, v98
	s_waitcnt vmcnt(30)
	v_lshlrev_b32_e32 v65, 16, v99
	;; [unrolled: 2-line block ×32, first 2 shown]
.LBB462_12:
	s_load_dwordx2 s[4:5], s[0:1], 0x0
	s_load_dwordx2 s[6:7], s[0:1], 0x38
	ds_read_b128 v[68:71], v3
	s_waitcnt vmcnt(15)
	v_lshlrev_b32_e32 v23, 16, v23
	ds_read_b128 v[72:75], v3 offset:16
	ds_read_b128 v[76:79], v3 offset:32
	;; [unrolled: 1-line block ×3, first 2 shown]
	s_waitcnt vmcnt(14)
	v_lshlrev_b32_e32 v22, 16, v22
	s_waitcnt vmcnt(13)
	v_lshlrev_b32_e32 v21, 16, v21
	s_waitcnt lgkmcnt(0)
	v_fma_f32 v23, v68, v23, 0
	v_fmac_f32_e32 v23, v69, v22
	v_fmac_f32_e32 v23, v70, v21
	s_waitcnt vmcnt(12)
	v_lshlrev_b32_e32 v20, 16, v20
	s_waitcnt vmcnt(10)
	v_lshlrev_b32_e32 v19, 16, v19
	v_lshlrev_b32_e32 v18, 16, v18
	v_fmac_f32_e32 v23, v71, v20
	v_pk_mul_f32 v[18:19], v[72:73], v[18:19]
	s_waitcnt vmcnt(8)
	v_lshlrev_b32_e32 v17, 16, v17
	v_add_f32_e32 v18, v23, v18
	v_lshlrev_b32_e32 v16, 16, v16
	v_add_f32_e32 v18, v18, v19
	v_pk_mul_f32 v[16:17], v[74:75], v[16:17]
	s_and_b64 vcc, exec, s[8:9]
	v_add_f32_e32 v16, v18, v16
	v_add_f32_e32 v18, v16, v17
	s_waitcnt vmcnt(6)
	v_lshlrev_b32_e32 v17, 16, v31
	v_lshlrev_b32_e32 v16, 16, v30
	v_pk_mul_f32 v[16:17], v[76:77], v[16:17]
	s_nop 0
	v_add_f32_e32 v16, v18, v16
	v_add_f32_e32 v18, v16, v17
	s_waitcnt vmcnt(4)
	v_lshlrev_b32_e32 v17, 16, v29
	v_lshlrev_b32_e32 v16, 16, v28
	v_pk_mul_f32 v[16:17], v[78:79], v[16:17]
	s_nop 0
	;; [unrolled: 7-line block ×4, first 2 shown]
	v_add_f32_e32 v16, v18, v16
	v_add_f32_e32 v110, v16, v17
	s_cbranch_vccz .LBB462_15
; %bb.13:
	ds_read_b128 v[16:19], v3 offset:64
	v_lshlrev_b32_e32 v39, 16, v39
	ds_read_b128 v[20:23], v3 offset:80
	ds_read_b128 v[24:27], v3 offset:96
	;; [unrolled: 1-line block ×3, first 2 shown]
	v_lshlrev_b32_e32 v3, 16, v38
	s_cmpk_lt_u32 s40, 0x2001
	s_waitcnt lgkmcnt(3)
	v_fmac_f32_e32 v110, v16, v39
	v_fmac_f32_e32 v110, v17, v3
	v_lshlrev_b32_e32 v3, 16, v37
	v_fmac_f32_e32 v110, v18, v3
	v_lshlrev_b32_e32 v3, 16, v36
	v_fmac_f32_e32 v110, v19, v3
	v_lshlrev_b32_e32 v3, 16, v35
	s_waitcnt lgkmcnt(2)
	v_fmac_f32_e32 v110, v20, v3
	v_lshlrev_b32_e32 v3, 16, v34
	v_fmac_f32_e32 v110, v21, v3
	v_lshlrev_b32_e32 v3, 16, v33
	v_fmac_f32_e32 v110, v22, v3
	v_lshlrev_b32_e32 v3, 16, v32
	v_fmac_f32_e32 v110, v23, v3
	v_lshlrev_b32_e32 v3, 16, v47
	s_waitcnt lgkmcnt(1)
	v_fmac_f32_e32 v110, v24, v3
	v_lshlrev_b32_e32 v3, 16, v46
	;; [unrolled: 9-line block ×3, first 2 shown]
	v_fmac_f32_e32 v110, v29, v3
	v_lshlrev_b32_e32 v3, 16, v41
	v_fmac_f32_e32 v110, v30, v3
	v_lshlrev_b32_e32 v3, 16, v40
	v_fmac_f32_e32 v110, v31, v3
	s_cbranch_scc1 .LBB462_15
; %bb.14:
	v_mov_b32_e32 v3, 0
	ds_read_b128 v[16:19], v3 offset:128
	ds_read_b128 v[20:23], v3 offset:144
	;; [unrolled: 1-line block ×4, first 2 shown]
	s_waitcnt lgkmcnt(3)
	v_fmac_f32_e32 v110, v16, v67
	v_fmac_f32_e32 v110, v17, v65
	v_fmac_f32_e32 v110, v18, v66
	v_fmac_f32_e32 v110, v19, v63
	s_waitcnt lgkmcnt(2)
	v_fmac_f32_e32 v110, v20, v64
	v_fmac_f32_e32 v110, v21, v61
	v_fmac_f32_e32 v110, v22, v62
	v_fmac_f32_e32 v110, v23, v59
	;; [unrolled: 5-line block ×3, first 2 shown]
	ds_read_b128 v[16:19], v3 offset:192
	ds_read_b128 v[20:23], v3 offset:208
	s_waitcnt lgkmcnt(2)
	v_fmac_f32_e32 v110, v28, v56
	v_fmac_f32_e32 v110, v29, v53
	;; [unrolled: 1-line block ×4, first 2 shown]
	s_waitcnt lgkmcnt(1)
	v_fmac_f32_e32 v110, v16, v51
	v_fmac_f32_e32 v110, v17, v49
	;; [unrolled: 1-line block ×4, first 2 shown]
	s_waitcnt lgkmcnt(0)
	v_pk_mul_f32 v[14:15], v[20:21], v[14:15]
	v_pk_mul_f32 v[12:13], v[22:23], v[12:13]
	v_add_f32_e32 v14, v110, v14
	v_add_f32_e32 v18, v14, v15
	ds_read_b128 v[14:17], v3 offset:224
	v_add_f32_e32 v12, v18, v12
	ds_read_b128 v[18:21], v3 offset:240
	v_add_f32_e32 v12, v12, v13
	s_waitcnt lgkmcnt(1)
	v_pk_mul_f32 v[10:11], v[14:15], v[10:11]
	s_nop 0
	v_add_f32_e32 v3, v12, v10
	v_add_f32_e32 v3, v3, v11
	v_pk_mul_f32 v[8:9], v[16:17], v[8:9]
	s_waitcnt lgkmcnt(0)
	v_pk_mul_f32 v[6:7], v[18:19], v[6:7]
	v_add_f32_e32 v3, v3, v8
	v_add_f32_e32 v3, v3, v9
	;; [unrolled: 1-line block ×4, first 2 shown]
	v_pk_mul_f32 v[4:5], v[20:21], v[4:5]
	s_nop 0
	v_add_f32_e32 v3, v3, v4
	v_add_f32_e32 v110, v3, v5
.LBB462_15:
	s_movk_i32 s0, 0x1fc0
	s_movk_i32 s1, 0x100
	s_mov_b32 s8, 64
	s_branch .LBB462_17
.LBB462_16:                             ;   in Loop: Header=BB462_17 Depth=1
	s_addk_i32 s0, 0x1000
	s_addk_i32 s1, 0x100
	s_add_i32 s8, s8, 64
	s_cmpk_eq_i32 s0, 0x7fc0
	s_cbranch_scc1 .LBB462_19
.LBB462_17:                             ; =>This Inner Loop Header: Depth=1
	s_cmp_le_i32 s33, s8
	s_cbranch_scc1 .LBB462_16
; %bb.18:                               ;   in Loop: Header=BB462_17 Depth=1
	s_add_i32 s9, s0, 0xfffff040
	s_cmp_lt_i32 s9, s10
	s_cselect_b32 s12, s9, s11
	s_ashr_i32 s13, s12, 31
	s_add_i32 s9, s0, 0xfffff080
	s_cmp_lt_i32 s9, s10
	v_lshl_add_u64 v[44:45], s[12:13], 1, v[0:1]
	s_cselect_b32 s12, s9, s11
	s_ashr_i32 s13, s12, 31
	s_add_i32 s9, s0, 0xfffff0c0
	s_cmp_lt_i32 s9, s10
	v_lshl_add_u64 v[4:5], s[12:13], 1, v[0:1]
	;; [unrolled: 5-line block ×14, first 2 shown]
	s_cselect_b32 s12, s9, s11
	s_ashr_i32 s13, s12, 31
	s_add_i32 s9, s0, 0xfffff400
	s_cmp_lt_i32 s9, s10
	global_load_ushort v3, v[44:45], off
	global_load_ushort v120, v[46:47], off
	v_lshl_add_u64 v[60:61], s[12:13], 1, v[0:1]
	s_cselect_b32 s12, s9, s11
	global_load_ushort v111, v[4:5], off
	global_load_ushort v112, v[6:7], off
	;; [unrolled: 1-line block ×7, first 2 shown]
	s_ashr_i32 s13, s12, 31
	s_add_i32 s9, s0, 0xfffff440
	s_cmp_lt_i32 s9, s10
	v_lshl_add_u64 v[66:67], s[12:13], 1, v[0:1]
	s_cselect_b32 s12, s9, s11
	s_ashr_i32 s13, s12, 31
	s_add_i32 s9, s0, 0xfffff480
	s_cmp_lt_i32 s9, s10
	v_lshl_add_u64 v[62:63], s[12:13], 1, v[0:1]
	s_cselect_b32 s12, s9, s11
	s_ashr_i32 s13, s12, 31
	s_add_i32 s9, s0, 0xfffff4c0
	s_cmp_lt_i32 s9, s10
	v_lshl_add_u64 v[22:23], s[12:13], 1, v[0:1]
	s_cselect_b32 s12, s9, s11
	s_ashr_i32 s13, s12, 31
	s_add_i32 s9, s0, 0xfffff500
	s_cmp_lt_i32 s9, s10
	v_lshl_add_u64 v[24:25], s[12:13], 1, v[0:1]
	s_cselect_b32 s12, s9, s11
	s_ashr_i32 s13, s12, 31
	s_add_i32 s9, s0, 0xfffff540
	s_cmp_lt_i32 s9, s10
	v_lshl_add_u64 v[32:33], s[12:13], 1, v[0:1]
	s_cselect_b32 s12, s9, s11
	s_ashr_i32 s13, s12, 31
	s_add_i32 s9, s0, 0xfffff580
	s_cmp_lt_i32 s9, s10
	v_lshl_add_u64 v[48:49], s[12:13], 1, v[0:1]
	s_cselect_b32 s12, s9, s11
	s_ashr_i32 s13, s12, 31
	s_add_i32 s9, s0, 0xfffff5c0
	s_cmp_lt_i32 s9, s10
	v_lshl_add_u64 v[34:35], s[12:13], 1, v[0:1]
	s_cselect_b32 s12, s9, s11
	s_ashr_i32 s13, s12, 31
	s_add_i32 s9, s0, 0xfffff600
	s_cmp_lt_i32 s9, s10
	v_lshl_add_u64 v[36:37], s[12:13], 1, v[0:1]
	s_cselect_b32 s12, s9, s11
	s_ashr_i32 s13, s12, 31
	s_add_i32 s9, s0, 0xfffff640
	s_cmp_lt_i32 s9, s10
	v_lshl_add_u64 v[50:51], s[12:13], 1, v[0:1]
	s_cselect_b32 s12, s9, s11
	s_ashr_i32 s13, s12, 31
	s_add_i32 s9, s0, 0xfffff680
	s_cmp_lt_i32 s9, s10
	v_lshl_add_u64 v[38:39], s[12:13], 1, v[0:1]
	s_cselect_b32 s12, s9, s11
	s_ashr_i32 s13, s12, 31
	s_add_i32 s9, s0, 0xfffff6c0
	s_cmp_lt_i32 s9, s10
	v_lshl_add_u64 v[18:19], s[12:13], 1, v[0:1]
	s_cselect_b32 s12, s9, s11
	s_ashr_i32 s13, s12, 31
	s_add_i32 s9, s0, 0xfffff700
	s_cmp_lt_i32 s9, s10
	v_lshl_add_u64 v[20:21], s[12:13], 1, v[0:1]
	s_cselect_b32 s12, s9, s11
	s_ashr_i32 s13, s12, 31
	s_add_i32 s9, s0, 0xfffff740
	s_cmp_lt_i32 s9, s10
	v_lshl_add_u64 v[40:41], s[12:13], 1, v[0:1]
	s_cselect_b32 s12, s9, s11
	s_ashr_i32 s13, s12, 31
	s_add_i32 s9, s0, 0xfffff780
	s_cmp_lt_i32 s9, s10
	v_lshl_add_u64 v[42:43], s[12:13], 1, v[0:1]
	s_cselect_b32 s12, s9, s11
	s_ashr_i32 s13, s12, 31
	s_add_i32 s9, s0, 0xfffff7c0
	global_load_ushort v118, v[28:29], off
	global_load_ushort v119, v[30:31], off
	s_cmp_lt_i32 s9, s10
	v_lshl_add_u64 v[26:27], s[12:13], 1, v[0:1]
	s_cselect_b32 s12, s9, s11
	s_ashr_i32 s13, s12, 31
	s_add_i32 s9, s0, 0xfffff800
	s_cmp_lt_i32 s9, s10
	v_lshl_add_u64 v[52:53], s[12:13], 1, v[0:1]
	s_cselect_b32 s12, s9, s11
	global_load_ushort v121, v[54:55], off
	global_load_ushort v122, v[56:57], off
	s_ashr_i32 s13, s12, 31
	global_load_ushort v58, v[58:59], off
	s_add_i32 s9, s0, 0xfffff840
	s_cmp_lt_i32 s9, s10
	v_lshl_add_u64 v[64:65], s[12:13], 1, v[0:1]
	s_cselect_b32 s12, s9, s11
	global_load_ushort v59, v[60:61], off
	s_ashr_i32 s13, s12, 31
	s_add_i32 s9, s0, 0xfffff880
	global_load_ushort v60, v[66:67], off
	global_load_ushort v61, v[62:63], off
	s_cmp_lt_i32 s9, s10
	v_lshl_add_u64 v[68:69], s[12:13], 1, v[0:1]
	s_cselect_b32 s12, s9, s11
	s_ashr_i32 s13, s12, 31
	s_add_i32 s9, s0, 0xfffff8c0
	s_cmp_lt_i32 s9, s10
	v_lshl_add_u64 v[70:71], s[12:13], 1, v[0:1]
	s_cselect_b32 s12, s9, s11
	s_ashr_i32 s13, s12, 31
	s_add_i32 s9, s0, 0xfffff900
	;; [unrolled: 5-line block ×3, first 2 shown]
	s_cmp_lt_i32 s9, s10
	v_lshl_add_u64 v[74:75], s[12:13], 1, v[0:1]
	s_cselect_b32 s12, s9, s11
	global_load_ushort v62, v[22:23], off
	s_ashr_i32 s13, s12, 31
	s_add_i32 s9, s0, 0xfffff980
	global_load_ushort v66, v[32:33], off
	global_load_ushort v123, v[34:35], off
	;; [unrolled: 1-line block ×4, first 2 shown]
	s_cmp_lt_i32 s9, s10
	v_lshl_add_u64 v[76:77], s[12:13], 1, v[0:1]
	s_cselect_b32 s12, s9, s11
	global_load_ushort v67, v[48:49], off
	s_ashr_i32 s13, s12, 31
	s_add_i32 s9, s0, 0xfffff9c0
	s_cmp_lt_i32 s9, s10
	v_lshl_add_u64 v[78:79], s[12:13], 1, v[0:1]
	s_cselect_b32 s12, s9, s11
	s_ashr_i32 s13, s12, 31
	s_add_i32 s9, s0, 0xfffffa00
	s_cmp_lt_i32 s9, s10
	v_lshl_add_u64 v[80:81], s[12:13], 1, v[0:1]
	s_cselect_b32 s12, s9, s11
	s_ashr_i32 s13, s12, 31
	s_add_i32 s9, s0, 0xfffffa40
	s_cmp_lt_i32 s9, s10
	v_mov_b32_e32 v124, s1
	v_lshl_add_u64 v[82:83], s[12:13], 1, v[0:1]
	s_cselect_b32 s12, s9, s11
	ds_read_b128 v[30:33], v124
	ds_read_b128 v[34:37], v124 offset:16
	global_load_ushort v50, v[50:51], off
	s_ashr_i32 s13, s12, 31
	s_add_i32 s9, s0, 0xfffffa80
	s_cmp_lt_i32 s9, s10
	v_lshl_add_u64 v[84:85], s[12:13], 1, v[0:1]
	s_cselect_b32 s12, s9, s11
	ds_read_b128 v[46:49], v124 offset:32
	ds_read_b128 v[54:57], v124 offset:48
	global_load_ushort v38, v[38:39], off
	s_ashr_i32 s13, s12, 31
	s_waitcnt vmcnt(24)
	v_lshlrev_b32_e32 v3, 16, v3
	v_lshl_add_u64 v[86:87], s[12:13], 1, v[0:1]
	global_load_ushort v51, v[86:87], off
	s_waitcnt lgkmcnt(3)
	v_fmac_f32_e32 v110, v30, v3
	s_waitcnt vmcnt(23)
	v_lshlrev_b32_e32 v3, 16, v111
	v_fmac_f32_e32 v110, v31, v3
	s_waitcnt vmcnt(22)
	v_lshlrev_b32_e32 v3, 16, v112
	global_load_ushort v39, v[18:19], off
	v_fmac_f32_e32 v110, v32, v3
	s_waitcnt vmcnt(22)
	v_lshlrev_b32_e32 v3, 16, v113
	v_fmac_f32_e32 v110, v33, v3
	s_waitcnt vmcnt(21)
	v_lshlrev_b32_e32 v3, 16, v114
	s_waitcnt lgkmcnt(2)
	v_fmac_f32_e32 v110, v34, v3
	global_load_ushort v3, v[20:21], off
	global_load_ushort v34, v[40:41], off
	s_add_i32 s9, s0, 0xfffffac0
	global_load_ushort v26, v[26:27], off
	s_waitcnt vmcnt(23)
	v_lshlrev_b32_e32 v18, 16, v115
	v_fmac_f32_e32 v110, v35, v18
	global_load_ushort v35, v[42:43], off
	global_load_ushort v27, v[52:53], off
	s_cmp_lt_i32 s9, s10
	s_cselect_b32 s12, s9, s11
	s_ashr_i32 s13, s12, 31
	s_add_i32 s9, s0, 0xfffffb00
	s_cmp_lt_i32 s9, s10
	v_lshl_add_u64 v[88:89], s[12:13], 1, v[0:1]
	s_cselect_b32 s12, s9, s11
	s_ashr_i32 s13, s12, 31
	s_add_i32 s9, s0, 0xfffffb40
	s_cmp_lt_i32 s9, s10
	v_lshl_add_u64 v[90:91], s[12:13], 1, v[0:1]
	;; [unrolled: 5-line block ×6, first 2 shown]
	s_cselect_b32 s12, s9, s11
	s_ashr_i32 s13, s12, 31
	s_add_i32 s9, s0, 0xfffffc80
	s_waitcnt vmcnt(24)
	v_lshlrev_b32_e32 v18, 16, v116
	s_cmp_lt_i32 s9, s10
	v_fmac_f32_e32 v110, v36, v18
	global_load_ushort v36, v[64:65], off
	s_waitcnt vmcnt(24)
	v_lshlrev_b32_e32 v18, 16, v117
	v_lshl_add_u64 v[102:103], s[12:13], 1, v[0:1]
	s_cselect_b32 s12, s9, s11
	v_fmac_f32_e32 v110, v37, v18
	global_load_ushort v37, v[68:69], off
	global_load_ushort v40, v[70:71], off
	;; [unrolled: 1-line block ×3, first 2 shown]
	s_waitcnt vmcnt(26)
	v_lshlrev_b32_e32 v18, 16, v118
	s_ashr_i32 s13, s12, 31
	s_add_i32 s9, s0, 0xfffffcc0
	s_waitcnt lgkmcnt(1)
	v_fmac_f32_e32 v110, v46, v18
	global_load_ushort v46, v[78:79], off
	s_waitcnt vmcnt(26)
	v_lshlrev_b32_e32 v18, 16, v119
	s_cmp_lt_i32 s9, s10
	v_fmac_f32_e32 v110, v47, v18
	v_lshlrev_b32_e32 v18, 16, v120
	v_lshl_add_u64 v[104:105], s[12:13], 1, v[0:1]
	s_cselect_b32 s12, s9, s11
	v_fmac_f32_e32 v110, v48, v18
	global_load_ushort v48, v[82:83], off
	global_load_ushort v42, v[74:75], off
	;; [unrolled: 1-line block ×4, first 2 shown]
	s_ashr_i32 s13, s12, 31
	s_add_i32 s9, s0, 0xfffffd00
	s_cmp_lt_i32 s9, s10
	s_waitcnt vmcnt(29)
	v_lshlrev_b32_e32 v18, 16, v121
	v_lshl_add_u64 v[106:107], s[12:13], 1, v[0:1]
	s_cselect_b32 s12, s9, s11
	v_fmac_f32_e32 v110, v49, v18
	global_load_ushort v49, v[84:85], off
	global_load_ushort v53, v[88:89], off
	s_waitcnt vmcnt(30)
	v_lshlrev_b32_e32 v18, 16, v122
	s_ashr_i32 s13, s12, 31
	s_add_i32 s9, s0, 0xfffffd40
	s_waitcnt lgkmcnt(0)
	v_fmac_f32_e32 v110, v54, v18
	global_load_ushort v54, v[90:91], off
	s_waitcnt vmcnt(30)
	v_lshlrev_b32_e32 v18, 16, v58
	s_cmp_lt_i32 s9, s10
	v_fmac_f32_e32 v110, v55, v18
	s_waitcnt vmcnt(29)
	v_lshlrev_b32_e32 v18, 16, v59
	v_lshl_add_u64 v[98:99], s[12:13], 1, v[0:1]
	s_cselect_b32 s12, s9, s11
	v_fmac_f32_e32 v110, v56, v18
	s_waitcnt vmcnt(28)
	v_lshlrev_b32_e32 v18, 16, v60
	s_ashr_i32 s13, s12, 31
	s_add_i32 s9, s0, 0xfffffd80
	v_fmac_f32_e32 v110, v57, v18
	ds_read_b128 v[18:21], v124 offset:64
	ds_read_b128 v[30:33], v124 offset:80
	s_cmp_lt_i32 s9, s10
	v_lshl_add_u64 v[44:45], s[12:13], 1, v[0:1]
	s_cselect_b32 s12, s9, s11
	s_ashr_i32 s13, s12, 31
	s_add_i32 s9, s0, 0xfffffdc0
	s_cmp_lt_i32 s9, s10
	s_waitcnt vmcnt(27)
	v_lshlrev_b32_e32 v52, 16, v61
	v_lshl_add_u64 v[108:109], s[12:13], 1, v[0:1]
	s_cselect_b32 s12, s9, s11
	s_waitcnt lgkmcnt(1)
	v_fmac_f32_e32 v110, v18, v52
	global_load_ushort v52, v[92:93], off
	global_load_ushort v55, v[94:95], off
	s_ashr_i32 s13, s12, 31
	s_add_i32 s9, s0, 0xfffffe00
	s_cmp_lt_i32 s9, s10
	global_load_ushort v56, v[96:97], off
	global_load_ushort v57, v[100:101], off
	global_load_ushort v58, v[102:103], off
	global_load_ushort v59, v[104:105], off
	v_lshl_add_u64 v[4:5], s[12:13], 1, v[0:1]
	s_cselect_b32 s12, s9, s11
	s_ashr_i32 s13, s12, 31
	s_add_i32 s9, s0, 0xfffffe40
	s_cmp_lt_i32 s9, s10
	s_waitcnt vmcnt(32)
	v_lshlrev_b32_e32 v18, 16, v62
	v_lshl_add_u64 v[6:7], s[12:13], 1, v[0:1]
	s_cselect_b32 s12, s9, s11
	v_fmac_f32_e32 v110, v19, v18
	s_waitcnt vmcnt(28)
	v_lshlrev_b32_e32 v18, 16, v63
	s_ashr_i32 s13, s12, 31
	s_add_i32 s9, s0, 0xfffffe80
	v_fmac_f32_e32 v110, v20, v18
	v_lshlrev_b32_e32 v18, 16, v66
	s_cmp_lt_i32 s9, s10
	v_fmac_f32_e32 v110, v21, v18
	s_waitcnt vmcnt(27)
	v_lshlrev_b32_e32 v18, 16, v67
	v_lshl_add_u64 v[8:9], s[12:13], 1, v[0:1]
	s_cselect_b32 s12, s9, s11
	s_waitcnt lgkmcnt(0)
	v_fmac_f32_e32 v110, v30, v18
	global_load_ushort v30, v[106:107], off
	s_ashr_i32 s13, s12, 31
	s_add_i32 s9, s0, 0xfffffec0
	s_cmp_lt_i32 s9, s10
	global_load_ushort v60, v[98:99], off
	global_load_ushort v61, v[44:45], off
	;; [unrolled: 1-line block ×3, first 2 shown]
	v_lshl_add_u64 v[12:13], s[12:13], 1, v[0:1]
	s_cselect_b32 s12, s9, s11
	v_lshlrev_b32_e32 v18, 16, v123
	s_ashr_i32 s13, s12, 31
	s_add_i32 s9, s0, 0xffffff00
	v_fmac_f32_e32 v110, v31, v18
	v_lshlrev_b32_e32 v18, 16, v125
	s_cmp_lt_i32 s9, s10
	v_fmac_f32_e32 v110, v32, v18
	global_load_ushort v31, v[4:5], off
	global_load_ushort v32, v[6:7], off
	v_lshl_add_u64 v[10:11], s[12:13], 1, v[0:1]
	s_cselect_b32 s12, s9, s11
	s_ashr_i32 s13, s12, 31
	s_add_i32 s9, s0, 0xffffff40
	s_cmp_lt_i32 s9, s10
	s_waitcnt vmcnt(32)
	v_lshlrev_b32_e32 v4, 16, v50
	v_lshl_add_u64 v[16:17], s[12:13], 1, v[0:1]
	s_cselect_b32 s12, s9, s11
	v_fmac_f32_e32 v110, v33, v4
	ds_read_b128 v[4:7], v124 offset:96
	s_ashr_i32 s13, s12, 31
	s_add_i32 s9, s0, 0xffffff80
	s_cmp_lt_i32 s9, s10
	s_waitcnt vmcnt(31)
	v_lshlrev_b32_e32 v33, 16, v38
	global_load_ushort v38, v[8:9], off
	global_load_ushort v44, v[12:13], off
	v_lshl_add_u64 v[14:15], s[12:13], 1, v[0:1]
	s_cselect_b32 s12, s9, s11
	s_ashr_i32 s13, s12, 31
	s_sub_i32 s9, s0, 64
	s_cmp_lt_i32 s9, s10
	ds_read_b128 v[18:21], v124 offset:112
	s_waitcnt lgkmcnt(1)
	v_fmac_f32_e32 v110, v4, v33
	s_waitcnt vmcnt(31)
	v_lshlrev_b32_e32 v4, 16, v39
	global_load_ushort v33, v[10:11], off
	global_load_ushort v39, v[16:17], off
	v_lshl_add_u64 v[28:29], s[12:13], 1, v[0:1]
	s_cselect_b32 s12, s9, s11
	s_ashr_i32 s13, s12, 31
	s_cmp_lt_i32 s0, s10
	v_fmac_f32_e32 v110, v5, v4
	s_waitcnt vmcnt(32)
	v_lshlrev_b32_e32 v3, 16, v3
	global_load_ushort v16, v[14:15], off
	global_load_ushort v17, v[28:29], off
	v_lshl_add_u64 v[22:23], s[12:13], 1, v[0:1]
	s_cselect_b32 s12, s0, s11
	v_fmac_f32_e32 v110, v6, v3
	s_waitcnt vmcnt(33)
	v_lshlrev_b32_e32 v3, 16, v34
	s_ashr_i32 s13, s12, 31
	v_fmac_f32_e32 v110, v7, v3
	s_waitcnt vmcnt(31)
	v_lshlrev_b32_e32 v3, 16, v35
	v_lshl_add_u64 v[24:25], s[12:13], 1, v[0:1]
	s_waitcnt lgkmcnt(0)
	v_fmac_f32_e32 v110, v18, v3
	global_load_ushort v3, v[22:23], off
	global_load_ushort v14, v[24:25], off
	v_lshlrev_b32_e32 v4, 16, v26
	v_fmac_f32_e32 v110, v19, v4
	s_waitcnt vmcnt(32)
	v_lshlrev_b32_e32 v4, 16, v27
	v_fmac_f32_e32 v110, v20, v4
	ds_read_b128 v[4:7], v124 offset:128
	s_waitcnt vmcnt(31)
	v_lshlrev_b32_e32 v8, 16, v36
	v_fmac_f32_e32 v110, v21, v8
	ds_read_b128 v[8:11], v124 offset:144
	s_waitcnt vmcnt(30)
	v_lshlrev_b32_e32 v12, 16, v37
	s_waitcnt lgkmcnt(1)
	v_fmac_f32_e32 v110, v4, v12
	s_waitcnt vmcnt(29)
	v_lshlrev_b32_e32 v4, 16, v40
	v_fmac_f32_e32 v110, v5, v4
	s_waitcnt vmcnt(28)
	v_lshlrev_b32_e32 v4, 16, v41
	;; [unrolled: 3-line block ×4, first 2 shown]
	s_waitcnt lgkmcnt(0)
	v_fmac_f32_e32 v110, v8, v4
	v_lshlrev_b32_e32 v4, 16, v46
	v_fmac_f32_e32 v110, v9, v4
	s_waitcnt vmcnt(23)
	v_lshlrev_b32_e32 v4, 16, v47
	v_fmac_f32_e32 v110, v10, v4
	ds_read_b128 v[4:7], v124 offset:160
	v_lshlrev_b32_e32 v8, 16, v48
	v_fmac_f32_e32 v110, v11, v8
	ds_read_b128 v[8:11], v124 offset:176
	s_waitcnt vmcnt(22)
	v_lshlrev_b32_e32 v12, 16, v49
	s_waitcnt lgkmcnt(1)
	v_fmac_f32_e32 v110, v4, v12
	v_lshlrev_b32_e32 v4, 16, v51
	v_fmac_f32_e32 v110, v5, v4
	s_waitcnt vmcnt(21)
	v_lshlrev_b32_e32 v4, 16, v53
	v_fmac_f32_e32 v110, v6, v4
	s_waitcnt vmcnt(20)
	;; [unrolled: 3-line block ×3, first 2 shown]
	v_lshlrev_b32_e32 v4, 16, v52
	s_waitcnt lgkmcnt(0)
	v_fmac_f32_e32 v110, v8, v4
	s_waitcnt vmcnt(18)
	v_lshlrev_b32_e32 v4, 16, v55
	v_fmac_f32_e32 v110, v9, v4
	s_waitcnt vmcnt(17)
	v_lshlrev_b32_e32 v4, 16, v56
	v_fmac_f32_e32 v110, v10, v4
	ds_read_b128 v[4:7], v124 offset:192
	s_waitcnt vmcnt(16)
	v_lshlrev_b32_e32 v8, 16, v57
	v_fmac_f32_e32 v110, v11, v8
	ds_read_b128 v[8:11], v124 offset:208
	s_waitcnt vmcnt(15)
	v_lshlrev_b32_e32 v12, 16, v58
	s_waitcnt lgkmcnt(1)
	v_fmac_f32_e32 v110, v4, v12
	s_waitcnt vmcnt(14)
	v_lshlrev_b32_e32 v4, 16, v59
	v_fmac_f32_e32 v110, v5, v4
	s_waitcnt vmcnt(13)
	v_lshlrev_b32_e32 v4, 16, v30
	;; [unrolled: 3-line block ×4, first 2 shown]
	v_lshlrev_b32_e32 v4, 16, v61
	s_waitcnt lgkmcnt(0)
	v_pk_mul_f32 v[4:5], v[8:9], v[4:5]
	s_waitcnt vmcnt(6)
	v_lshlrev_b32_e32 v13, 16, v44
	v_add_f32_e32 v4, v110, v4
	v_add_f32_e32 v6, v4, v5
	v_lshlrev_b32_e32 v5, 16, v32
	v_lshlrev_b32_e32 v4, 16, v31
	v_pk_mul_f32 v[8:9], v[10:11], v[4:5]
	v_lshlrev_b32_e32 v12, 16, v38
	v_add_f32_e32 v8, v6, v8
	ds_read_b128 v[4:7], v124 offset:224
	v_add_f32_e32 v15, v8, v9
	ds_read_b128 v[8:11], v124 offset:240
	s_waitcnt lgkmcnt(1)
	v_pk_mul_f32 v[4:5], v[4:5], v[12:13]
	s_nop 0
	v_add_f32_e32 v4, v15, v4
	v_add_f32_e32 v12, v4, v5
	s_waitcnt vmcnt(4)
	v_lshlrev_b32_e32 v5, 16, v39
	v_lshlrev_b32_e32 v4, 16, v33
	v_pk_mul_f32 v[4:5], v[6:7], v[4:5]
	s_nop 0
	v_add_f32_e32 v4, v12, v4
	v_add_f32_e32 v6, v4, v5
	s_waitcnt vmcnt(2)
	v_lshlrev_b32_e32 v5, 16, v17
	v_lshlrev_b32_e32 v4, 16, v16
	s_waitcnt lgkmcnt(0)
	v_pk_mul_f32 v[4:5], v[8:9], v[4:5]
	s_nop 0
	v_add_f32_e32 v4, v6, v4
	v_add_f32_e32 v6, v4, v5
	s_waitcnt vmcnt(0)
	v_lshlrev_b32_e32 v5, 16, v14
	v_lshlrev_b32_e32 v4, 16, v3
	v_pk_mul_f32 v[4:5], v[10:11], v[4:5]
	s_nop 0
	v_add_f32_e32 v3, v6, v4
	v_add_f32_e32 v110, v3, v5
	s_branch .LBB462_16
.LBB462_19:
	v_mov_b32_e32 v0, 0
	ds_read_b32 v0, v0 offset:1792
	s_cmp_lg_u64 s[6:7], 0
	s_cbranch_scc0 .LBB462_28
; %bb.20:
	s_load_dword s6, s[6:7], 0x0
	s_waitcnt lgkmcnt(0)
	v_div_scale_f32 v1, s[0:1], s6, s6, 1.0
	v_rcp_f32_e32 v3, v1
	v_div_scale_f32 v4, vcc, 1.0, s6, 1.0
	v_fma_f32 v5, -v1, v3, 1.0
	v_fmac_f32_e32 v3, v5, v3
	v_mul_f32_e32 v5, v4, v3
	v_fma_f32 v6, -v1, v5, v4
	v_fmac_f32_e32 v5, v6, v3
	v_fma_f32 v1, -v1, v5, v4
	v_div_fmas_f32 v1, v1, v3, v5
	v_div_fixup_f32 v1, v1, s6, 1.0
	s_andn2_b64 vcc, exec, s[28:29]
	s_cbranch_vccnz .LBB462_22
.LBB462_21:
	s_add_u32 s0, s26, s30
	s_addc_u32 s1, s27, s31
	s_load_dword s24, s[0:1], 0x0
	s_mov_b32 s25, 0
.LBB462_22:
	s_waitcnt lgkmcnt(0)
	v_add_f32_e32 v0, 0x358637bd, v0
	v_div_scale_f32 v3, s[0:1], v0, v0, 1.0
	v_rcp_f32_e32 v4, v3
	v_div_scale_f32 v5, vcc, 1.0, v0, 1.0
	s_mov_b32 s0, 0x7f800000
	v_fma_f32 v6, -v3, v4, 1.0
	v_fmac_f32_e32 v4, v6, v4
	v_mul_f32_e32 v6, v5, v4
	v_fma_f32 v7, -v3, v6, v5
	v_fmac_f32_e32 v6, v7, v4
	v_fma_f32 v3, -v3, v6, v5
	v_div_fmas_f32 v3, v3, v4, v6
	v_div_fixup_f32 v0, v3, v0, 1.0
	v_mul_f32_e32 v0, v110, v0
	v_mul_f32_e32 v1, v0, v1
	v_and_b32_e32 v0, 0x7f800000, v1
	v_cmp_ne_u32_e32 vcc, s0, v0
                                        ; implicit-def: $vgpr0
	s_and_saveexec_b64 s[0:1], vcc
	s_xor_b64 s[0:1], exec, s[0:1]
; %bb.23:
	v_bfe_u32 v0, v1, 16, 1
	s_movk_i32 s6, 0x7fff
	v_add3_u32 v0, v1, v0, s6
                                        ; implicit-def: $vgpr1
; %bb.24:
	s_andn2_saveexec_b64 s[0:1], s[0:1]
; %bb.25:
	v_mov_b32_e32 v0, 0
	v_or_b32_e32 v3, 0x10000, v1
	v_cmp_eq_u32_sdwa vcc, v1, v0 src0_sel:WORD_0 src1_sel:DWORD
	s_nop 1
	v_cndmask_b32_e32 v0, v3, v1, vcc
; %bb.26:
	s_or_b64 exec, exec, s[0:1]
	s_mul_i32 s0, s3, s25
	s_mul_hi_u32 s1, s3, s24
	s_add_i32 s1, s1, s0
	s_mul_i32 s0, s3, s24
	s_lshl_b64 s[0:1], s[0:1], 7
	s_add_u32 s4, s4, s0
	s_mov_b32 s3, 0
	s_addc_u32 s5, s5, s1
	s_lshl_b64 s[0:1], s[2:3], 7
	s_add_u32 s0, s4, s0
	s_addc_u32 s1, s5, s1
	global_store_short_d16_hi v2, v0, s[0:1]
	s_endpgm
.LBB462_27:
	s_mov_b64 s[6:7], 0
	s_branch .LBB462_2
.LBB462_28:
	v_mov_b32_e32 v1, 1.0
	s_andn2_b64 vcc, exec, s[28:29]
	s_cbranch_vccz .LBB462_21
	s_branch .LBB462_22
	.section	.rodata,"a",@progbits
	.p2align	6, 0x0
	.amdhsa_kernel _Z35paged_attention_ll4mi_reduce_kernelI14__hip_bfloat16S0_Li64ELi64ELi256ELi7EEvPT0_PKfS4_PKT_PKiS9_iS4_
		.amdhsa_group_segment_fixed_size 1796
		.amdhsa_private_segment_fixed_size 0
		.amdhsa_kernarg_size 320
		.amdhsa_user_sgpr_count 2
		.amdhsa_user_sgpr_dispatch_ptr 0
		.amdhsa_user_sgpr_queue_ptr 0
		.amdhsa_user_sgpr_kernarg_segment_ptr 1
		.amdhsa_user_sgpr_dispatch_id 0
		.amdhsa_user_sgpr_kernarg_preload_length 0
		.amdhsa_user_sgpr_kernarg_preload_offset 0
		.amdhsa_user_sgpr_private_segment_size 0
		.amdhsa_uses_dynamic_stack 0
		.amdhsa_enable_private_segment 0
		.amdhsa_system_sgpr_workgroup_id_x 1
		.amdhsa_system_sgpr_workgroup_id_y 1
		.amdhsa_system_sgpr_workgroup_id_z 0
		.amdhsa_system_sgpr_workgroup_info 0
		.amdhsa_system_vgpr_workitem_id 0
		.amdhsa_next_free_vgpr 126
		.amdhsa_next_free_sgpr 44
		.amdhsa_accum_offset 128
		.amdhsa_reserve_vcc 1
		.amdhsa_float_round_mode_32 0
		.amdhsa_float_round_mode_16_64 0
		.amdhsa_float_denorm_mode_32 3
		.amdhsa_float_denorm_mode_16_64 3
		.amdhsa_dx10_clamp 1
		.amdhsa_ieee_mode 1
		.amdhsa_fp16_overflow 0
		.amdhsa_tg_split 0
		.amdhsa_exception_fp_ieee_invalid_op 0
		.amdhsa_exception_fp_denorm_src 0
		.amdhsa_exception_fp_ieee_div_zero 0
		.amdhsa_exception_fp_ieee_overflow 0
		.amdhsa_exception_fp_ieee_underflow 0
		.amdhsa_exception_fp_ieee_inexact 0
		.amdhsa_exception_int_div_zero 0
	.end_amdhsa_kernel
	.section	.text._Z35paged_attention_ll4mi_reduce_kernelI14__hip_bfloat16S0_Li64ELi64ELi256ELi7EEvPT0_PKfS4_PKT_PKiS9_iS4_,"axG",@progbits,_Z35paged_attention_ll4mi_reduce_kernelI14__hip_bfloat16S0_Li64ELi64ELi256ELi7EEvPT0_PKfS4_PKT_PKiS9_iS4_,comdat
.Lfunc_end462:
	.size	_Z35paged_attention_ll4mi_reduce_kernelI14__hip_bfloat16S0_Li64ELi64ELi256ELi7EEvPT0_PKfS4_PKT_PKiS9_iS4_, .Lfunc_end462-_Z35paged_attention_ll4mi_reduce_kernelI14__hip_bfloat16S0_Li64ELi64ELi256ELi7EEvPT0_PKfS4_PKT_PKiS9_iS4_
                                        ; -- End function
	.section	.AMDGPU.csdata,"",@progbits
; Kernel info:
; codeLenInByte = 9204
; NumSgprs: 50
; NumVgprs: 126
; NumAgprs: 0
; TotalNumVgprs: 126
; ScratchSize: 0
; MemoryBound: 0
; FloatMode: 240
; IeeeMode: 1
; LDSByteSize: 1796 bytes/workgroup (compile time only)
; SGPRBlocks: 6
; VGPRBlocks: 15
; NumSGPRsForWavesPerEU: 50
; NumVGPRsForWavesPerEU: 126
; AccumOffset: 128
; Occupancy: 4
; WaveLimiterHint : 1
; COMPUTE_PGM_RSRC2:SCRATCH_EN: 0
; COMPUTE_PGM_RSRC2:USER_SGPR: 2
; COMPUTE_PGM_RSRC2:TRAP_HANDLER: 0
; COMPUTE_PGM_RSRC2:TGID_X_EN: 1
; COMPUTE_PGM_RSRC2:TGID_Y_EN: 1
; COMPUTE_PGM_RSRC2:TGID_Z_EN: 0
; COMPUTE_PGM_RSRC2:TIDIG_COMP_CNT: 0
; COMPUTE_PGM_RSRC3_GFX90A:ACCUM_OFFSET: 31
; COMPUTE_PGM_RSRC3_GFX90A:TG_SPLIT: 0
	.section	.text._Z35paged_attention_ll4mi_reduce_kernelI14__hip_bfloat16S0_Li64ELi64ELi256ELi8EEvPT0_PKfS4_PKT_PKiS9_iS4_,"axG",@progbits,_Z35paged_attention_ll4mi_reduce_kernelI14__hip_bfloat16S0_Li64ELi64ELi256ELi8EEvPT0_PKfS4_PKT_PKiS9_iS4_,comdat
	.protected	_Z35paged_attention_ll4mi_reduce_kernelI14__hip_bfloat16S0_Li64ELi64ELi256ELi8EEvPT0_PKfS4_PKT_PKiS9_iS4_ ; -- Begin function _Z35paged_attention_ll4mi_reduce_kernelI14__hip_bfloat16S0_Li64ELi64ELi256ELi8EEvPT0_PKfS4_PKT_PKiS9_iS4_
	.globl	_Z35paged_attention_ll4mi_reduce_kernelI14__hip_bfloat16S0_Li64ELi64ELi256ELi8EEvPT0_PKfS4_PKT_PKiS9_iS4_
	.p2align	8
	.type	_Z35paged_attention_ll4mi_reduce_kernelI14__hip_bfloat16S0_Li64ELi64ELi256ELi8EEvPT0_PKfS4_PKT_PKiS9_iS4_,@function
_Z35paged_attention_ll4mi_reduce_kernelI14__hip_bfloat16S0_Li64ELi64ELi256ELi8EEvPT0_PKfS4_PKT_PKiS9_iS4_: ; @_Z35paged_attention_ll4mi_reduce_kernelI14__hip_bfloat16S0_Li64ELi64ELi256ELi8EEvPT0_PKfS4_PKT_PKiS9_iS4_
; %bb.0:
	s_load_dwordx2 s[30:31], s[0:1], 0x28
	s_mov_b32 s28, s3
	s_mov_b64 s[4:5], 0
	s_waitcnt lgkmcnt(0)
	s_cmp_lg_u64 s[30:31], 0
	s_cselect_b64 s[34:35], -1, 0
	s_and_b64 vcc, exec, s[34:35]
	s_cbranch_vccz .LBB463_27
; %bb.1:
	s_add_i32 s6, s28, 1
	s_mov_b32 s7, 0
	s_lshl_b64 s[8:9], s[6:7], 2
	s_add_u32 s8, s30, s8
	s_mov_b32 s29, s7
	s_addc_u32 s9, s31, s9
	s_lshl_b64 s[6:7], s[28:29], 2
	s_add_u32 s6, s30, s6
	s_addc_u32 s7, s31, s7
	s_load_dword s3, s[8:9], 0x0
	s_load_dword s10, s[6:7], 0x0
	s_waitcnt lgkmcnt(0)
	s_sub_i32 s3, s3, s10
	s_cmp_eq_u32 s3, 1
	s_cselect_b64 s[6:7], -1, 0
	s_andn2_b64 vcc, exec, s[4:5]
	s_cbranch_vccnz .LBB463_3
.LBB463_2:
	s_mov_b32 s29, 0
	s_mov_b64 s[6:7], -1
.LBB463_3:
	s_andn2_b64 vcc, exec, s[6:7]
	s_cbranch_vccz .LBB463_5
; %bb.4:
	s_endpgm
.LBB463_5:
	s_load_dwordx4 s[20:23], s[0:1], 0x18
	s_load_dword s8, s[0:1], 0x30
	s_lshl_b64 s[36:37], s[28:29], 2
	v_cmp_lt_u32_e32 vcc, 63, v0
	s_waitcnt lgkmcnt(0)
	s_add_u32 s4, s22, s36
	s_addc_u32 s5, s23, s37
	s_load_dword s44, s[4:5], 0x0
	s_load_dword s3, s[0:1], 0x40
	s_mul_i32 s22, s2, s8
	s_mul_i32 s6, s28, s8
	s_waitcnt lgkmcnt(0)
	s_add_i32 s7, s44, 0xff
	s_ashr_i32 s4, s7, 31
	s_lshr_b32 s4, s4, 24
	s_add_i32 s7, s7, s4
	s_and_saveexec_b64 s[4:5], vcc
	s_xor_b64 s[4:5], exec, s[4:5]
	s_or_saveexec_b64 s[38:39], s[4:5]
	s_ashr_i32 s33, s7, 8
	v_mov_b32_e32 v1, s22
	s_mul_i32 s40, s6, s3
	s_xor_b64 exec, exec, s[38:39]
	s_cbranch_execz .LBB463_9
; %bb.6:
	s_add_i32 s4, s33, -1
	v_or_b32_e32 v3, 64, v0
	v_mov_b32_e32 v1, s4
	v_cmp_gt_u32_e64 s[14:15], s33, v3
	s_load_dwordx4 s[24:27], s[0:1], 0x8
	s_mov_b32 s41, 0
	v_cndmask_b32_e64 v4, v1, v3, s[14:15]
	v_or_b32_e32 v3, 0x80, v0
	v_cmp_gt_u32_e64 s[12:13], s33, v3
	s_lshl_b64 s[42:43], s[40:41], 2
	s_mov_b32 s23, s41
	v_cndmask_b32_e64 v6, v1, v3, s[12:13]
	v_or_b32_e32 v3, 0xc0, v0
	v_cmp_gt_u32_e64 s[10:11], s33, v3
	v_cmp_gt_u32_e64 s[16:17], s33, v0
	s_waitcnt lgkmcnt(0)
	s_add_u32 s18, s26, s42
	v_cndmask_b32_e64 v8, v1, v3, s[10:11]
	v_or_b32_e32 v3, 0x100, v0
	v_cmp_gt_u32_e64 s[8:9], s33, v3
	v_cndmask_b32_e64 v2, v1, v0, s[16:17]
	s_addc_u32 s19, s27, s43
	v_cndmask_b32_e64 v10, v1, v3, s[8:9]
	v_or_b32_e32 v3, 0x140, v0
	v_cmp_gt_u32_e64 s[6:7], s33, v3
	s_lshl_b64 s[26:27], s[22:23], 2
	s_add_u32 s18, s18, s26
	v_cndmask_b32_e64 v12, v1, v3, s[6:7]
	v_or_b32_e32 v3, 0x180, v0
	v_cmp_gt_u32_e64 s[4:5], s33, v3
	s_addc_u32 s19, s19, s27
	v_ashrrev_i32_e32 v5, 31, v4
	v_cndmask_b32_e64 v14, v1, v3, s[4:5]
	v_or_b32_e32 v3, 0x1c0, v0
	v_cmp_gt_u32_e32 vcc, s33, v3
	v_ashrrev_i32_e32 v7, 31, v6
	v_ashrrev_i32_e32 v9, 31, v8
	v_cndmask_b32_e32 v16, v1, v3, vcc
	v_ashrrev_i32_e32 v3, 31, v2
	v_lshlrev_b64 v[2:3], 2, v[2:3]
	v_ashrrev_i32_e32 v11, 31, v10
	v_ashrrev_i32_e32 v13, 31, v12
	v_ashrrev_i32_e32 v15, 31, v14
	v_ashrrev_i32_e32 v17, 31, v16
	v_lshl_add_u64 v[18:19], s[18:19], 0, v[2:3]
	v_lshlrev_b64 v[4:5], 2, v[4:5]
	v_lshlrev_b64 v[6:7], 2, v[6:7]
	;; [unrolled: 1-line block ×7, first 2 shown]
	v_lshl_add_u64 v[20:21], s[18:19], 0, v[4:5]
	v_lshl_add_u64 v[22:23], s[18:19], 0, v[6:7]
	;; [unrolled: 1-line block ×7, first 2 shown]
	global_load_dword v1, v[18:19], off
	global_load_dword v34, v[20:21], off
	;; [unrolled: 1-line block ×8, first 2 shown]
	v_mbcnt_lo_u32_b32 v18, -1, 0
	v_mbcnt_hi_u32_b32 v18, -1, v18
	v_and_b32_e32 v19, 64, v18
	v_xor_b32_e32 v20, 32, v18
	v_add_u32_e32 v19, 64, v19
	v_cmp_lt_i32_e64 s[18:19], v20, v19
	v_xor_b32_e32 v21, 16, v18
	v_xor_b32_e32 v22, 8, v18
	v_cndmask_b32_e64 v20, v18, v20, s[18:19]
	s_add_u32 s18, s24, s42
	s_addc_u32 s19, s25, s43
	s_add_u32 s24, s18, s26
	s_addc_u32 s25, s19, s27
	v_lshl_add_u64 v[2:3], s[24:25], 0, v[2:3]
	global_load_dword v24, v[2:3], off
	v_lshlrev_b32_e32 v20, 2, v20
	v_cmp_lt_i32_e64 s[18:19], v21, v19
	v_xor_b32_e32 v23, 4, v18
	v_xor_b32_e32 v25, 2, v18
	v_cndmask_b32_e64 v21, v18, v21, s[18:19]
	v_lshlrev_b32_e32 v21, 2, v21
	v_cmp_lt_i32_e64 s[18:19], v22, v19
	s_mov_b32 s23, 0x3fb8aa3b
	s_waitcnt vmcnt(8)
	v_max_f32_e32 v3, v1, v1
	s_waitcnt vmcnt(7)
	v_max_f32_e32 v2, v34, v34
	v_max_f32_e32 v2, v3, v2
	s_waitcnt vmcnt(5)
	v_max3_f32 v2, v2, v35, v36
	s_waitcnt vmcnt(3)
	v_max3_f32 v2, v2, v37, v38
	;; [unrolled: 2-line block ×3, first 2 shown]
	ds_bpermute_b32 v3, v20, v2
	s_waitcnt lgkmcnt(0)
	v_max_f32_e32 v3, v3, v3
	v_max_f32_e32 v26, v2, v3
	ds_bpermute_b32 v27, v21, v26
	v_cndmask_b32_e64 v2, v18, v22, s[18:19]
	v_lshlrev_b32_e32 v22, 2, v2
	v_lshl_add_u64 v[2:3], s[24:25], 0, v[4:5]
	global_load_dword v28, v[2:3], off
	s_waitcnt lgkmcnt(0)
	v_max_f32_e32 v2, v27, v27
	v_max_f32_e32 v2, v26, v2
	ds_bpermute_b32 v3, v22, v2
	v_cmp_lt_i32_e64 s[18:19], v23, v19
	v_xor_b32_e32 v4, 1, v18
	s_waitcnt lgkmcnt(0)
	v_max_f32_e32 v3, v3, v3
	v_cndmask_b32_e64 v5, v18, v23, s[18:19]
	v_lshlrev_b32_e32 v23, 2, v5
	v_max_f32_e32 v5, v2, v3
	ds_bpermute_b32 v26, v23, v5
	v_cmp_lt_i32_e64 s[18:19], v25, v19
	s_nop 1
	v_cndmask_b32_e64 v2, v18, v25, s[18:19]
	v_lshlrev_b32_e32 v25, 2, v2
	v_lshl_add_u64 v[2:3], s[24:25], 0, v[6:7]
	global_load_dword v27, v[2:3], off
	s_waitcnt lgkmcnt(0)
	v_max_f32_e32 v2, v26, v26
	v_max_f32_e32 v5, v5, v2
	ds_bpermute_b32 v6, v25, v5
	v_cmp_lt_i32_e64 s[18:19], v4, v19
	s_nop 1
	v_cndmask_b32_e64 v2, v18, v4, s[18:19]
	s_waitcnt lgkmcnt(0)
	v_max_f32_e32 v4, v6, v6
	v_lshlrev_b32_e32 v18, 2, v2
	v_lshl_add_u64 v[2:3], s[24:25], 0, v[8:9]
	v_max_f32_e32 v19, v5, v4
	ds_bpermute_b32 v26, v18, v19
	global_load_dword v2, v[2:3], off
	v_lshl_add_u64 v[6:7], s[24:25], 0, v[12:13]
	v_lshl_add_u64 v[8:9], s[24:25], 0, v[14:15]
	;; [unrolled: 1-line block ×3, first 2 shown]
	s_waitcnt lgkmcnt(0)
	v_max_f32_e32 v12, v26, v26
	v_max_f32_e32 v12, v19, v12
	v_sub_f32_e32 v1, v1, v12
	v_mul_f32_e32 v3, 0x3fb8aa3b, v1
	v_fma_f32 v13, v1, s23, -v3
	v_rndne_f32_e32 v14, v3
	v_fmac_f32_e32 v13, 0x32a5705f, v1
	v_sub_f32_e32 v3, v3, v14
	v_lshl_add_u64 v[10:11], s[24:25], 0, v[16:17]
	v_add_f32_e32 v3, v3, v13
	v_cvt_i32_f32_e32 v13, v14
	global_load_dword v14, v[4:5], off
	global_load_dword v15, v[6:7], off
	;; [unrolled: 1-line block ×4, first 2 shown]
	v_sub_f32_e32 v5, v34, v12
	v_mul_f32_e32 v6, 0x3fb8aa3b, v5
	v_fma_f32 v7, v5, s23, -v6
	v_rndne_f32_e32 v8, v6
	v_exp_f32_e32 v3, v3
	v_fmac_f32_e32 v7, 0x32a5705f, v5
	v_sub_f32_e32 v6, v6, v8
	v_add_f32_e32 v6, v6, v7
	v_exp_f32_e32 v6, v6
	v_cvt_i32_f32_e32 v7, v8
	s_mov_b32 s24, 0xc2ce8ed0
	v_ldexp_f32 v3, v3, v13
	v_cmp_ngt_f32_e64 s[18:19], s24, v1
	s_mov_b32 s25, 0x42b17218
	v_mov_b32_e32 v4, 0x7f800000
	v_cndmask_b32_e64 v3, 0, v3, s[18:19]
	v_cmp_nlt_f32_e64 s[18:19], s25, v1
	s_nop 1
	v_cndmask_b32_e64 v1, v4, v3, s[18:19]
	v_ldexp_f32 v3, v6, v7
	v_sub_f32_e32 v6, v35, v12
	v_mul_f32_e32 v7, 0x3fb8aa3b, v6
	v_fma_f32 v8, v6, s23, -v7
	v_rndne_f32_e32 v9, v7
	v_fmac_f32_e32 v8, 0x32a5705f, v6
	v_sub_f32_e32 v7, v7, v9
	v_add_f32_e32 v7, v7, v8
	v_exp_f32_e32 v7, v7
	v_cvt_i32_f32_e32 v8, v9
	v_cndmask_b32_e64 v1, 0, v1, s[16:17]
	v_cmp_ngt_f32_e64 s[16:17], s24, v5
	s_waitcnt vmcnt(7)
	v_mul_f32_e32 v1, v24, v1
	v_cndmask_b32_e64 v3, 0, v3, s[16:17]
	v_cmp_nlt_f32_e64 s[16:17], s25, v5
	v_ldexp_f32 v5, v7, v8
	v_sub_f32_e32 v7, v36, v12
	v_mul_f32_e32 v8, 0x3fb8aa3b, v7
	v_fma_f32 v9, v7, s23, -v8
	v_rndne_f32_e32 v10, v8
	v_fmac_f32_e32 v9, 0x32a5705f, v7
	v_sub_f32_e32 v8, v8, v10
	v_add_f32_e32 v8, v8, v9
	v_exp_f32_e32 v8, v8
	v_cvt_i32_f32_e32 v9, v10
	v_cndmask_b32_e64 v3, v4, v3, s[16:17]
	v_cndmask_b32_e64 v3, 0, v3, s[14:15]
	v_cmp_ngt_f32_e64 s[14:15], s24, v6
	s_waitcnt vmcnt(6)
	v_mul_f32_e32 v3, v28, v3
	v_cndmask_b32_e64 v5, 0, v5, s[14:15]
	v_cmp_nlt_f32_e64 s[14:15], s25, v6
	v_ldexp_f32 v6, v8, v9
	v_sub_f32_e32 v8, v37, v12
	v_mul_f32_e32 v9, 0x3fb8aa3b, v8
	v_fma_f32 v10, v8, s23, -v9
	v_rndne_f32_e32 v11, v9
	v_fmac_f32_e32 v10, 0x32a5705f, v8
	v_sub_f32_e32 v9, v9, v11
	v_cndmask_b32_e64 v5, v4, v5, s[14:15]
	v_add_f32_e32 v9, v9, v10
	v_cndmask_b32_e64 v5, 0, v5, s[12:13]
	v_cmp_ngt_f32_e64 s[12:13], s24, v7
	v_exp_f32_e32 v9, v9
	v_cvt_i32_f32_e32 v10, v11
	v_cndmask_b32_e64 v6, 0, v6, s[12:13]
	v_cmp_nlt_f32_e64 s[12:13], s25, v7
	v_sub_f32_e32 v7, v38, v12
	s_waitcnt vmcnt(5)
	v_mul_f32_e32 v5, v27, v5
	v_cndmask_b32_e64 v6, v4, v6, s[12:13]
	v_cndmask_b32_e64 v6, 0, v6, s[10:11]
	s_waitcnt vmcnt(4)
	v_mul_f32_e32 v6, v2, v6
	v_ldexp_f32 v2, v9, v10
	v_mul_f32_e32 v9, 0x3fb8aa3b, v7
	v_fma_f32 v10, v7, s23, -v9
	v_rndne_f32_e32 v11, v9
	v_fmac_f32_e32 v10, 0x32a5705f, v7
	v_sub_f32_e32 v9, v9, v11
	v_add_f32_e32 v9, v9, v10
	v_cmp_ngt_f32_e64 s[10:11], s24, v8
	v_exp_f32_e32 v9, v9
	v_cvt_i32_f32_e32 v10, v11
	v_cndmask_b32_e64 v2, 0, v2, s[10:11]
	v_cmp_nlt_f32_e64 s[10:11], s25, v8
	s_nop 1
	v_cndmask_b32_e64 v2, v4, v2, s[10:11]
	v_cndmask_b32_e64 v2, 0, v2, s[8:9]
	s_waitcnt vmcnt(3)
	v_mul_f32_e32 v8, v14, v2
	v_ldexp_f32 v2, v9, v10
	v_sub_f32_e32 v9, v39, v12
	v_mul_f32_e32 v10, 0x3fb8aa3b, v9
	v_fma_f32 v11, v9, s23, -v10
	v_rndne_f32_e32 v13, v10
	v_fmac_f32_e32 v11, 0x32a5705f, v9
	v_sub_f32_e32 v10, v10, v13
	v_add_f32_e32 v10, v10, v11
	v_cmp_ngt_f32_e64 s[8:9], s24, v7
	v_exp_f32_e32 v10, v10
	v_cvt_i32_f32_e32 v11, v13
	v_cndmask_b32_e64 v2, 0, v2, s[8:9]
	v_cmp_nlt_f32_e64 s[8:9], s25, v7
	s_nop 1
	v_cndmask_b32_e64 v2, v4, v2, s[8:9]
	v_cndmask_b32_e64 v2, 0, v2, s[6:7]
	s_waitcnt vmcnt(2)
	v_mul_f32_e32 v7, v15, v2
	v_ldexp_f32 v2, v10, v11
	v_sub_f32_e32 v10, v40, v12
	v_mul_f32_e32 v11, 0x3fb8aa3b, v10
	v_fma_f32 v12, v10, s23, -v11
	v_rndne_f32_e32 v13, v11
	v_fmac_f32_e32 v12, 0x32a5705f, v10
	v_sub_f32_e32 v11, v11, v13
	v_add_f32_e32 v11, v11, v12
	v_exp_f32_e32 v11, v11
	v_cvt_i32_f32_e32 v12, v13
	v_cmp_ngt_f32_e64 s[6:7], s24, v9
	s_nop 1
	v_cndmask_b32_e64 v2, 0, v2, s[6:7]
	v_cmp_nlt_f32_e64 s[6:7], s25, v9
	v_ldexp_f32 v9, v11, v12
	v_lshlrev_b32_e32 v12, 2, v0
	v_cndmask_b32_e64 v2, v4, v2, s[6:7]
	v_cndmask_b32_e64 v2, 0, v2, s[4:5]
	v_cmp_ngt_f32_e64 s[4:5], s24, v10
	ds_write2st64_b32 v12, v1, v3 offset1:1
	s_waitcnt vmcnt(1)
	v_mul_f32_e32 v11, v16, v2
	v_cndmask_b32_e64 v9, 0, v9, s[4:5]
	v_cmp_nlt_f32_e64 s[4:5], s25, v10
	s_nop 1
	v_cndmask_b32_e64 v4, v4, v9, s[4:5]
	v_add_f32_e32 v9, v1, v3
	v_add_f32_e32 v9, v9, v5
	;; [unrolled: 1-line block ×5, first 2 shown]
	v_cndmask_b32_e32 v4, 0, v4, vcc
	v_fmac_f32_e32 v9, v16, v2
	s_waitcnt vmcnt(0)
	v_fmac_f32_e32 v9, v17, v4
	ds_bpermute_b32 v10, v20, v9
	v_cmp_eq_u32_e32 vcc, 0, v0
	v_mul_f32_e32 v4, v17, v4
	ds_write2st64_b32 v12, v5, v6 offset0:2 offset1:3
	ds_write2st64_b32 v12, v8, v7 offset0:4 offset1:5
	;; [unrolled: 1-line block ×3, first 2 shown]
	s_waitcnt lgkmcnt(3)
	v_add_f32_e32 v9, v9, v10
	ds_bpermute_b32 v10, v21, v9
	s_waitcnt lgkmcnt(0)
	v_add_f32_e32 v9, v9, v10
	ds_bpermute_b32 v10, v22, v9
	;; [unrolled: 3-line block ×5, first 2 shown]
	s_and_saveexec_b64 s[4:5], vcc
	s_cbranch_execz .LBB463_8
; %bb.7:
	s_waitcnt lgkmcnt(0)
	v_add_f32_e32 v1, v1, v2
	v_mov_b32_e32 v2, 0
	ds_write_b32 v2, v1 offset:2048
.LBB463_8:
	s_or_b64 exec, exec, s[4:5]
	v_mov_b32_e32 v1, s22
.LBB463_9:
	s_or_b64 exec, exec, s[38:39]
	s_lshl_b32 s4, s40, 6
	s_mov_b32 s5, 0
	s_lshl_b64 s[4:5], s[4:5], 1
	s_add_u32 s4, s20, s4
	s_addc_u32 s5, s21, s5
	s_lshl_b32 s10, s33, 6
	s_sub_i32 s11, s10, 64
	s_waitcnt lgkmcnt(0)
	v_lshlrev_b32_e32 v2, 6, v1
	v_mov_b32_e32 v3, 0
	s_cmp_lt_i32 s44, 1
	v_lshl_add_u64 v[4:5], v[2:3], 1, s[4:5]
	s_cselect_b32 s4, s11, 0
	v_lshlrev_b32_e32 v2, 1, v0
	s_ashr_i32 s5, s4, 31
	v_lshl_add_u64 v[0:1], v[4:5], 0, v[2:3]
	s_cmpk_lt_i32 s44, 0x101
	v_lshl_add_u64 v[4:5], s[4:5], 1, v[0:1]
	s_cselect_b32 s4, s11, 64
	s_ashr_i32 s5, s4, 31
	s_cmpk_lt_i32 s44, 0x201
	v_lshl_add_u64 v[6:7], s[4:5], 1, v[0:1]
	s_cselect_b32 s4, s11, 0x80
	s_ashr_i32 s5, s4, 31
	;; [unrolled: 4-line block ×8, first 2 shown]
	s_cmpk_lt_i32 s44, 0x901
	global_load_ushort v23, v[4:5], off
	global_load_ushort v22, v[6:7], off
	;; [unrolled: 1-line block ×8, first 2 shown]
	v_lshl_add_u64 v[4:5], s[4:5], 1, v[0:1]
	s_cselect_b32 s4, s11, 0x240
	s_ashr_i32 s5, s4, 31
	s_cmpk_lt_i32 s44, 0xa01
	v_lshl_add_u64 v[6:7], s[4:5], 1, v[0:1]
	s_cselect_b32 s4, s11, 0x280
	s_ashr_i32 s5, s4, 31
	s_cmpk_lt_i32 s44, 0xb01
	;; [unrolled: 4-line block ×6, first 2 shown]
	v_lshl_add_u64 v[32:33], s[4:5], 1, v[0:1]
	s_cselect_b32 s4, s11, 0x3c0
	s_ashr_i32 s5, s4, 31
	v_lshl_add_u64 v[34:35], s[4:5], 1, v[0:1]
	global_load_ushort v30, v[4:5], off
	global_load_ushort v31, v[6:7], off
	;; [unrolled: 1-line block ×8, first 2 shown]
	s_cmpk_gt_i32 s44, 0x1000
	s_cselect_b64 s[8:9], -1, 0
	s_cmpk_lt_i32 s44, 0x1001
	v_mov_b32_e32 v40, 0
	v_mov_b32_e32 v41, 0
	;; [unrolled: 1-line block ×48, first 2 shown]
	s_waitcnt lgkmcnt(0)
	; wave barrier
	s_cbranch_scc1 .LBB463_12
; %bb.10:
	s_cmpk_lt_u32 s44, 0x1101
	s_cselect_b32 s4, s11, 0x440
	s_ashr_i32 s5, s4, 31
	s_cmpk_lt_u32 s44, 0x1201
	v_lshl_add_u64 v[4:5], s[4:5], 1, v[0:1]
	s_cselect_b32 s4, s11, 0x480
	s_ashr_i32 s5, s4, 31
	s_cmpk_lt_u32 s44, 0x1301
	v_lshl_add_u64 v[6:7], s[4:5], 1, v[0:1]
	;; [unrolled: 4-line block ×7, first 2 shown]
	s_cselect_b32 s4, s11, 0x600
	s_ashr_i32 s5, s4, 31
	s_cmpk_lt_u32 s44, 0x1901
	global_load_ushort v39, v[0:1], off offset:2048
	global_load_ushort v38, v[4:5], off
	global_load_ushort v37, v[6:7], off
	;; [unrolled: 1-line block ×7, first 2 shown]
	v_lshl_add_u64 v[4:5], s[4:5], 1, v[0:1]
	s_cselect_b32 s4, s11, 0x640
	s_ashr_i32 s5, s4, 31
	s_cmpk_lt_u32 s44, 0x1a01
	v_lshl_add_u64 v[6:7], s[4:5], 1, v[0:1]
	s_cselect_b32 s4, s11, 0x680
	s_ashr_i32 s5, s4, 31
	s_cmpk_lt_u32 s44, 0x1b01
	;; [unrolled: 4-line block ×6, first 2 shown]
	v_lshl_add_u64 v[48:49], s[4:5], 1, v[0:1]
	s_cselect_b32 s4, s11, 0x7c0
	s_ashr_i32 s5, s4, 31
	v_lshl_add_u64 v[50:51], s[4:5], 1, v[0:1]
	global_load_ushort v47, v[4:5], off
	global_load_ushort v46, v[6:7], off
	;; [unrolled: 1-line block ×8, first 2 shown]
	s_cmpk_lt_u32 s44, 0x2001
	v_mov_b32_e32 v67, 0
	v_mov_b32_e32 v65, 0
	;; [unrolled: 1-line block ×32, first 2 shown]
	s_cbranch_scc1 .LBB463_12
; %bb.11:
	s_cmpk_lt_u32 s44, 0x2101
	s_cselect_b32 s4, s11, 0x840
	s_ashr_i32 s5, s4, 31
	s_cmpk_lt_u32 s44, 0x2201
	v_lshl_add_u64 v[4:5], s[4:5], 1, v[0:1]
	s_cselect_b32 s4, s11, 0x880
	s_ashr_i32 s5, s4, 31
	s_cmpk_lt_u32 s44, 0x2301
	v_lshl_add_u64 v[6:7], s[4:5], 1, v[0:1]
	;; [unrolled: 4-line block ×29, first 2 shown]
	s_cselect_b32 s4, s11, 0xf80
	s_ashr_i32 s5, s4, 31
	v_lshl_add_u64 v[94:95], s[4:5], 1, v[0:1]
	s_movk_i32 s4, 0x1000
	s_cmpk_lt_u32 s44, 0x3f01
	v_add_co_u32_e32 v96, vcc, s4, v0
	s_cselect_b32 s4, s11, 0xfc0
	s_nop 0
	v_addc_co_u32_e32 v97, vcc, 0, v1, vcc
	s_ashr_i32 s5, s4, 31
	global_load_ushort v98, v[96:97], off
	global_load_ushort v99, v[4:5], off
	;; [unrolled: 1-line block ×15, first 2 shown]
                                        ; kill: killed $vgpr96 killed $vgpr97
                                        ; kill: killed $vgpr52_vgpr53
                                        ; kill: killed $vgpr4_vgpr5
                                        ; kill: killed $vgpr58_vgpr59
                                        ; kill: killed $vgpr10_vgpr11
                                        ; kill: killed $vgpr48_vgpr49
                                        ; kill: killed $vgpr54_vgpr55
                                        ; kill: killed $vgpr6_vgpr7
                                        ; kill: killed $vgpr60_vgpr61
                                        ; kill: killed $vgpr12_vgpr13
                                        ; kill: killed $vgpr50_vgpr51
                                        ; kill: killed $vgpr56_vgpr57
                                        ; kill: killed $vgpr8_vgpr9
                                        ; kill: killed $vgpr62_vgpr63
                                        ; kill: killed $vgpr14_vgpr15
	global_load_ushort v6, v[64:65], off
	global_load_ushort v7, v[66:67], off
	;; [unrolled: 1-line block ×15, first 2 shown]
                                        ; kill: killed $vgpr84_vgpr85
                                        ; kill: killed $vgpr68_vgpr69
                                        ; kill: killed $vgpr90_vgpr91
                                        ; kill: killed $vgpr74_vgpr75
                                        ; kill: killed $vgpr80_vgpr81
                                        ; kill: killed $vgpr64_vgpr65
                                        ; kill: killed $vgpr70_vgpr71
                                        ; kill: killed $vgpr92_vgpr93
                                        ; kill: killed $vgpr76_vgpr77
                                        ; kill: killed $vgpr82_vgpr83
                                        ; kill: killed $vgpr66_vgpr67
                                        ; kill: killed $vgpr88_vgpr89
                                        ; kill: killed $vgpr72_vgpr73
                                        ; kill: killed $vgpr94_vgpr95
                                        ; kill: killed $vgpr78_vgpr79
	global_load_ushort v68, v[86:87], off
	v_lshl_add_u64 v[4:5], s[4:5], 1, v[0:1]
	global_load_ushort v5, v[4:5], off
	s_waitcnt vmcnt(31)
	v_lshlrev_b32_e32 v67, 16, v98
	s_waitcnt vmcnt(30)
	v_lshlrev_b32_e32 v65, 16, v99
	;; [unrolled: 2-line block ×32, first 2 shown]
.LBB463_12:
	s_load_dwordx2 s[4:5], s[0:1], 0x0
	s_load_dwordx2 s[6:7], s[0:1], 0x38
	ds_read_b128 v[68:71], v3
	s_waitcnt vmcnt(15)
	v_lshlrev_b32_e32 v23, 16, v23
	ds_read_b128 v[72:75], v3 offset:16
	ds_read_b128 v[76:79], v3 offset:32
	;; [unrolled: 1-line block ×3, first 2 shown]
	s_waitcnt vmcnt(14)
	v_lshlrev_b32_e32 v22, 16, v22
	s_waitcnt vmcnt(13)
	v_lshlrev_b32_e32 v21, 16, v21
	s_waitcnt lgkmcnt(0)
	v_fma_f32 v23, v68, v23, 0
	v_fmac_f32_e32 v23, v69, v22
	v_fmac_f32_e32 v23, v70, v21
	s_waitcnt vmcnt(12)
	v_lshlrev_b32_e32 v20, 16, v20
	s_waitcnt vmcnt(10)
	v_lshlrev_b32_e32 v19, 16, v19
	v_lshlrev_b32_e32 v18, 16, v18
	v_fmac_f32_e32 v23, v71, v20
	v_pk_mul_f32 v[18:19], v[72:73], v[18:19]
	s_waitcnt vmcnt(8)
	v_lshlrev_b32_e32 v17, 16, v17
	v_add_f32_e32 v18, v23, v18
	v_lshlrev_b32_e32 v16, 16, v16
	v_add_f32_e32 v18, v18, v19
	v_pk_mul_f32 v[16:17], v[74:75], v[16:17]
	s_and_b64 vcc, exec, s[8:9]
	v_add_f32_e32 v16, v18, v16
	v_add_f32_e32 v18, v16, v17
	s_waitcnt vmcnt(6)
	v_lshlrev_b32_e32 v17, 16, v31
	v_lshlrev_b32_e32 v16, 16, v30
	v_pk_mul_f32 v[16:17], v[76:77], v[16:17]
	s_nop 0
	v_add_f32_e32 v16, v18, v16
	v_add_f32_e32 v18, v16, v17
	s_waitcnt vmcnt(4)
	v_lshlrev_b32_e32 v17, 16, v29
	v_lshlrev_b32_e32 v16, 16, v28
	v_pk_mul_f32 v[16:17], v[78:79], v[16:17]
	s_nop 0
	;; [unrolled: 7-line block ×4, first 2 shown]
	v_add_f32_e32 v16, v18, v16
	v_add_f32_e32 v110, v16, v17
	s_cbranch_vccz .LBB463_15
; %bb.13:
	ds_read_b128 v[16:19], v3 offset:64
	v_lshlrev_b32_e32 v39, 16, v39
	ds_read_b128 v[20:23], v3 offset:80
	ds_read_b128 v[24:27], v3 offset:96
	;; [unrolled: 1-line block ×3, first 2 shown]
	v_lshlrev_b32_e32 v3, 16, v38
	s_cmpk_lt_u32 s44, 0x2001
	s_waitcnt lgkmcnt(3)
	v_fmac_f32_e32 v110, v16, v39
	v_fmac_f32_e32 v110, v17, v3
	v_lshlrev_b32_e32 v3, 16, v37
	v_fmac_f32_e32 v110, v18, v3
	v_lshlrev_b32_e32 v3, 16, v36
	v_fmac_f32_e32 v110, v19, v3
	v_lshlrev_b32_e32 v3, 16, v35
	s_waitcnt lgkmcnt(2)
	v_fmac_f32_e32 v110, v20, v3
	v_lshlrev_b32_e32 v3, 16, v34
	v_fmac_f32_e32 v110, v21, v3
	v_lshlrev_b32_e32 v3, 16, v33
	v_fmac_f32_e32 v110, v22, v3
	v_lshlrev_b32_e32 v3, 16, v32
	v_fmac_f32_e32 v110, v23, v3
	v_lshlrev_b32_e32 v3, 16, v47
	s_waitcnt lgkmcnt(1)
	v_fmac_f32_e32 v110, v24, v3
	v_lshlrev_b32_e32 v3, 16, v46
	;; [unrolled: 9-line block ×3, first 2 shown]
	v_fmac_f32_e32 v110, v29, v3
	v_lshlrev_b32_e32 v3, 16, v41
	v_fmac_f32_e32 v110, v30, v3
	v_lshlrev_b32_e32 v3, 16, v40
	v_fmac_f32_e32 v110, v31, v3
	s_cbranch_scc1 .LBB463_15
; %bb.14:
	v_mov_b32_e32 v3, 0
	ds_read_b128 v[16:19], v3 offset:128
	ds_read_b128 v[20:23], v3 offset:144
	;; [unrolled: 1-line block ×4, first 2 shown]
	s_waitcnt lgkmcnt(3)
	v_fmac_f32_e32 v110, v16, v67
	v_fmac_f32_e32 v110, v17, v65
	v_fmac_f32_e32 v110, v18, v66
	v_fmac_f32_e32 v110, v19, v63
	s_waitcnt lgkmcnt(2)
	v_fmac_f32_e32 v110, v20, v64
	v_fmac_f32_e32 v110, v21, v61
	v_fmac_f32_e32 v110, v22, v62
	v_fmac_f32_e32 v110, v23, v59
	;; [unrolled: 5-line block ×3, first 2 shown]
	ds_read_b128 v[16:19], v3 offset:192
	ds_read_b128 v[20:23], v3 offset:208
	s_waitcnt lgkmcnt(2)
	v_fmac_f32_e32 v110, v28, v56
	v_fmac_f32_e32 v110, v29, v53
	;; [unrolled: 1-line block ×4, first 2 shown]
	s_waitcnt lgkmcnt(1)
	v_fmac_f32_e32 v110, v16, v51
	v_fmac_f32_e32 v110, v17, v49
	;; [unrolled: 1-line block ×4, first 2 shown]
	s_waitcnt lgkmcnt(0)
	v_pk_mul_f32 v[14:15], v[20:21], v[14:15]
	v_pk_mul_f32 v[12:13], v[22:23], v[12:13]
	v_add_f32_e32 v14, v110, v14
	v_add_f32_e32 v18, v14, v15
	ds_read_b128 v[14:17], v3 offset:224
	v_add_f32_e32 v12, v18, v12
	ds_read_b128 v[18:21], v3 offset:240
	v_add_f32_e32 v12, v12, v13
	s_waitcnt lgkmcnt(1)
	v_pk_mul_f32 v[10:11], v[14:15], v[10:11]
	s_nop 0
	v_add_f32_e32 v3, v12, v10
	v_add_f32_e32 v3, v3, v11
	v_pk_mul_f32 v[8:9], v[16:17], v[8:9]
	s_waitcnt lgkmcnt(0)
	v_pk_mul_f32 v[6:7], v[18:19], v[6:7]
	v_add_f32_e32 v3, v3, v8
	v_add_f32_e32 v3, v3, v9
	;; [unrolled: 1-line block ×4, first 2 shown]
	v_pk_mul_f32 v[4:5], v[20:21], v[4:5]
	s_nop 0
	v_add_f32_e32 v3, v3, v4
	v_add_f32_e32 v110, v3, v5
.LBB463_15:
	s_movk_i32 s0, 0x1fc0
	s_movk_i32 s1, 0x100
	s_mov_b32 s8, 64
	s_branch .LBB463_17
.LBB463_16:                             ;   in Loop: Header=BB463_17 Depth=1
	s_addk_i32 s0, 0x1000
	s_addk_i32 s1, 0x100
	s_add_i32 s8, s8, 64
	s_cmpk_eq_u32 s0, 0x8fc0
	s_cbranch_scc1 .LBB463_19
.LBB463_17:                             ; =>This Inner Loop Header: Depth=1
	s_cmp_le_i32 s33, s8
	s_cbranch_scc1 .LBB463_16
; %bb.18:                               ;   in Loop: Header=BB463_17 Depth=1
	s_add_i32 s9, s0, 0xfffff040
	s_cmp_lt_i32 s9, s10
	s_cselect_b32 s12, s9, s11
	s_ashr_i32 s13, s12, 31
	s_add_i32 s9, s0, 0xfffff080
	s_cmp_lt_i32 s9, s10
	v_lshl_add_u64 v[44:45], s[12:13], 1, v[0:1]
	s_cselect_b32 s12, s9, s11
	s_ashr_i32 s13, s12, 31
	s_add_i32 s9, s0, 0xfffff0c0
	s_cmp_lt_i32 s9, s10
	v_lshl_add_u64 v[4:5], s[12:13], 1, v[0:1]
	;; [unrolled: 5-line block ×14, first 2 shown]
	s_cselect_b32 s12, s9, s11
	s_ashr_i32 s13, s12, 31
	s_add_i32 s9, s0, 0xfffff400
	s_cmp_lt_i32 s9, s10
	global_load_ushort v3, v[44:45], off
	global_load_ushort v120, v[46:47], off
	v_lshl_add_u64 v[60:61], s[12:13], 1, v[0:1]
	s_cselect_b32 s12, s9, s11
	global_load_ushort v111, v[4:5], off
	global_load_ushort v112, v[6:7], off
	global_load_ushort v113, v[8:9], off
	global_load_ushort v114, v[10:11], off
	global_load_ushort v115, v[12:13], off
	global_load_ushort v116, v[14:15], off
	global_load_ushort v117, v[16:17], off
	s_ashr_i32 s13, s12, 31
	s_add_i32 s9, s0, 0xfffff440
	s_cmp_lt_i32 s9, s10
	v_lshl_add_u64 v[66:67], s[12:13], 1, v[0:1]
	s_cselect_b32 s12, s9, s11
	s_ashr_i32 s13, s12, 31
	s_add_i32 s9, s0, 0xfffff480
	s_cmp_lt_i32 s9, s10
	v_lshl_add_u64 v[62:63], s[12:13], 1, v[0:1]
	s_cselect_b32 s12, s9, s11
	;; [unrolled: 5-line block ×14, first 2 shown]
	s_ashr_i32 s13, s12, 31
	s_add_i32 s9, s0, 0xfffff7c0
	global_load_ushort v118, v[28:29], off
	global_load_ushort v119, v[30:31], off
	s_cmp_lt_i32 s9, s10
	v_lshl_add_u64 v[26:27], s[12:13], 1, v[0:1]
	s_cselect_b32 s12, s9, s11
	s_ashr_i32 s13, s12, 31
	s_add_i32 s9, s0, 0xfffff800
	s_cmp_lt_i32 s9, s10
	v_lshl_add_u64 v[52:53], s[12:13], 1, v[0:1]
	s_cselect_b32 s12, s9, s11
	global_load_ushort v121, v[54:55], off
	global_load_ushort v122, v[56:57], off
	s_ashr_i32 s13, s12, 31
	global_load_ushort v58, v[58:59], off
	s_add_i32 s9, s0, 0xfffff840
	s_cmp_lt_i32 s9, s10
	v_lshl_add_u64 v[64:65], s[12:13], 1, v[0:1]
	s_cselect_b32 s12, s9, s11
	global_load_ushort v59, v[60:61], off
	s_ashr_i32 s13, s12, 31
	s_add_i32 s9, s0, 0xfffff880
	global_load_ushort v60, v[66:67], off
	global_load_ushort v61, v[62:63], off
	s_cmp_lt_i32 s9, s10
	v_lshl_add_u64 v[68:69], s[12:13], 1, v[0:1]
	s_cselect_b32 s12, s9, s11
	s_ashr_i32 s13, s12, 31
	s_add_i32 s9, s0, 0xfffff8c0
	s_cmp_lt_i32 s9, s10
	v_lshl_add_u64 v[70:71], s[12:13], 1, v[0:1]
	s_cselect_b32 s12, s9, s11
	s_ashr_i32 s13, s12, 31
	s_add_i32 s9, s0, 0xfffff900
	;; [unrolled: 5-line block ×3, first 2 shown]
	s_cmp_lt_i32 s9, s10
	v_lshl_add_u64 v[74:75], s[12:13], 1, v[0:1]
	s_cselect_b32 s12, s9, s11
	global_load_ushort v62, v[22:23], off
	s_ashr_i32 s13, s12, 31
	s_add_i32 s9, s0, 0xfffff980
	global_load_ushort v66, v[32:33], off
	global_load_ushort v123, v[34:35], off
	;; [unrolled: 1-line block ×4, first 2 shown]
	s_cmp_lt_i32 s9, s10
	v_lshl_add_u64 v[76:77], s[12:13], 1, v[0:1]
	s_cselect_b32 s12, s9, s11
	global_load_ushort v67, v[48:49], off
	s_ashr_i32 s13, s12, 31
	s_add_i32 s9, s0, 0xfffff9c0
	s_cmp_lt_i32 s9, s10
	v_lshl_add_u64 v[78:79], s[12:13], 1, v[0:1]
	s_cselect_b32 s12, s9, s11
	s_ashr_i32 s13, s12, 31
	s_add_i32 s9, s0, 0xfffffa00
	s_cmp_lt_i32 s9, s10
	v_lshl_add_u64 v[80:81], s[12:13], 1, v[0:1]
	s_cselect_b32 s12, s9, s11
	s_ashr_i32 s13, s12, 31
	s_add_i32 s9, s0, 0xfffffa40
	s_cmp_lt_i32 s9, s10
	v_mov_b32_e32 v124, s1
	v_lshl_add_u64 v[82:83], s[12:13], 1, v[0:1]
	s_cselect_b32 s12, s9, s11
	ds_read_b128 v[30:33], v124
	ds_read_b128 v[34:37], v124 offset:16
	global_load_ushort v50, v[50:51], off
	s_ashr_i32 s13, s12, 31
	s_add_i32 s9, s0, 0xfffffa80
	s_cmp_lt_i32 s9, s10
	v_lshl_add_u64 v[84:85], s[12:13], 1, v[0:1]
	s_cselect_b32 s12, s9, s11
	ds_read_b128 v[46:49], v124 offset:32
	ds_read_b128 v[54:57], v124 offset:48
	global_load_ushort v38, v[38:39], off
	s_ashr_i32 s13, s12, 31
	s_waitcnt vmcnt(24)
	v_lshlrev_b32_e32 v3, 16, v3
	v_lshl_add_u64 v[86:87], s[12:13], 1, v[0:1]
	global_load_ushort v51, v[86:87], off
	s_waitcnt lgkmcnt(3)
	v_fmac_f32_e32 v110, v30, v3
	s_waitcnt vmcnt(23)
	v_lshlrev_b32_e32 v3, 16, v111
	v_fmac_f32_e32 v110, v31, v3
	s_waitcnt vmcnt(22)
	v_lshlrev_b32_e32 v3, 16, v112
	global_load_ushort v39, v[18:19], off
	v_fmac_f32_e32 v110, v32, v3
	s_waitcnt vmcnt(22)
	v_lshlrev_b32_e32 v3, 16, v113
	v_fmac_f32_e32 v110, v33, v3
	s_waitcnt vmcnt(21)
	v_lshlrev_b32_e32 v3, 16, v114
	s_waitcnt lgkmcnt(2)
	v_fmac_f32_e32 v110, v34, v3
	global_load_ushort v3, v[20:21], off
	global_load_ushort v34, v[40:41], off
	s_add_i32 s9, s0, 0xfffffac0
	global_load_ushort v26, v[26:27], off
	s_waitcnt vmcnt(23)
	v_lshlrev_b32_e32 v18, 16, v115
	v_fmac_f32_e32 v110, v35, v18
	global_load_ushort v35, v[42:43], off
	global_load_ushort v27, v[52:53], off
	s_cmp_lt_i32 s9, s10
	s_cselect_b32 s12, s9, s11
	s_ashr_i32 s13, s12, 31
	s_add_i32 s9, s0, 0xfffffb00
	s_cmp_lt_i32 s9, s10
	v_lshl_add_u64 v[88:89], s[12:13], 1, v[0:1]
	s_cselect_b32 s12, s9, s11
	s_ashr_i32 s13, s12, 31
	s_add_i32 s9, s0, 0xfffffb40
	s_cmp_lt_i32 s9, s10
	v_lshl_add_u64 v[90:91], s[12:13], 1, v[0:1]
	s_cselect_b32 s12, s9, s11
	s_ashr_i32 s13, s12, 31
	s_add_i32 s9, s0, 0xfffffb80
	s_cmp_lt_i32 s9, s10
	v_lshl_add_u64 v[92:93], s[12:13], 1, v[0:1]
	s_cselect_b32 s12, s9, s11
	s_ashr_i32 s13, s12, 31
	s_add_i32 s9, s0, 0xfffffbc0
	s_cmp_lt_i32 s9, s10
	v_lshl_add_u64 v[94:95], s[12:13], 1, v[0:1]
	s_cselect_b32 s12, s9, s11
	s_ashr_i32 s13, s12, 31
	s_add_i32 s9, s0, 0xfffffc00
	s_cmp_lt_i32 s9, s10
	v_lshl_add_u64 v[96:97], s[12:13], 1, v[0:1]
	s_cselect_b32 s12, s9, s11
	s_ashr_i32 s13, s12, 31
	s_add_i32 s9, s0, 0xfffffc40
	s_cmp_lt_i32 s9, s10
	v_lshl_add_u64 v[100:101], s[12:13], 1, v[0:1]
	s_cselect_b32 s12, s9, s11
	s_ashr_i32 s13, s12, 31
	s_add_i32 s9, s0, 0xfffffc80
	s_waitcnt vmcnt(24)
	v_lshlrev_b32_e32 v18, 16, v116
	s_cmp_lt_i32 s9, s10
	v_fmac_f32_e32 v110, v36, v18
	global_load_ushort v36, v[64:65], off
	s_waitcnt vmcnt(24)
	v_lshlrev_b32_e32 v18, 16, v117
	v_lshl_add_u64 v[102:103], s[12:13], 1, v[0:1]
	s_cselect_b32 s12, s9, s11
	v_fmac_f32_e32 v110, v37, v18
	global_load_ushort v37, v[68:69], off
	global_load_ushort v40, v[70:71], off
	;; [unrolled: 1-line block ×3, first 2 shown]
	s_waitcnt vmcnt(26)
	v_lshlrev_b32_e32 v18, 16, v118
	s_ashr_i32 s13, s12, 31
	s_add_i32 s9, s0, 0xfffffcc0
	s_waitcnt lgkmcnt(1)
	v_fmac_f32_e32 v110, v46, v18
	global_load_ushort v46, v[78:79], off
	s_waitcnt vmcnt(26)
	v_lshlrev_b32_e32 v18, 16, v119
	s_cmp_lt_i32 s9, s10
	v_fmac_f32_e32 v110, v47, v18
	v_lshlrev_b32_e32 v18, 16, v120
	v_lshl_add_u64 v[104:105], s[12:13], 1, v[0:1]
	s_cselect_b32 s12, s9, s11
	v_fmac_f32_e32 v110, v48, v18
	global_load_ushort v48, v[82:83], off
	global_load_ushort v42, v[74:75], off
	;; [unrolled: 1-line block ×4, first 2 shown]
	s_ashr_i32 s13, s12, 31
	s_add_i32 s9, s0, 0xfffffd00
	s_cmp_lt_i32 s9, s10
	s_waitcnt vmcnt(29)
	v_lshlrev_b32_e32 v18, 16, v121
	v_lshl_add_u64 v[106:107], s[12:13], 1, v[0:1]
	s_cselect_b32 s12, s9, s11
	v_fmac_f32_e32 v110, v49, v18
	global_load_ushort v49, v[84:85], off
	global_load_ushort v53, v[88:89], off
	s_waitcnt vmcnt(30)
	v_lshlrev_b32_e32 v18, 16, v122
	s_ashr_i32 s13, s12, 31
	s_add_i32 s9, s0, 0xfffffd40
	s_waitcnt lgkmcnt(0)
	v_fmac_f32_e32 v110, v54, v18
	global_load_ushort v54, v[90:91], off
	s_waitcnt vmcnt(30)
	v_lshlrev_b32_e32 v18, 16, v58
	s_cmp_lt_i32 s9, s10
	v_fmac_f32_e32 v110, v55, v18
	s_waitcnt vmcnt(29)
	v_lshlrev_b32_e32 v18, 16, v59
	v_lshl_add_u64 v[98:99], s[12:13], 1, v[0:1]
	s_cselect_b32 s12, s9, s11
	v_fmac_f32_e32 v110, v56, v18
	s_waitcnt vmcnt(28)
	v_lshlrev_b32_e32 v18, 16, v60
	s_ashr_i32 s13, s12, 31
	s_add_i32 s9, s0, 0xfffffd80
	v_fmac_f32_e32 v110, v57, v18
	ds_read_b128 v[18:21], v124 offset:64
	ds_read_b128 v[30:33], v124 offset:80
	s_cmp_lt_i32 s9, s10
	v_lshl_add_u64 v[44:45], s[12:13], 1, v[0:1]
	s_cselect_b32 s12, s9, s11
	s_ashr_i32 s13, s12, 31
	s_add_i32 s9, s0, 0xfffffdc0
	s_cmp_lt_i32 s9, s10
	s_waitcnt vmcnt(27)
	v_lshlrev_b32_e32 v52, 16, v61
	v_lshl_add_u64 v[108:109], s[12:13], 1, v[0:1]
	s_cselect_b32 s12, s9, s11
	s_waitcnt lgkmcnt(1)
	v_fmac_f32_e32 v110, v18, v52
	global_load_ushort v52, v[92:93], off
	global_load_ushort v55, v[94:95], off
	s_ashr_i32 s13, s12, 31
	s_add_i32 s9, s0, 0xfffffe00
	s_cmp_lt_i32 s9, s10
	global_load_ushort v56, v[96:97], off
	global_load_ushort v57, v[100:101], off
	global_load_ushort v58, v[102:103], off
	global_load_ushort v59, v[104:105], off
	v_lshl_add_u64 v[4:5], s[12:13], 1, v[0:1]
	s_cselect_b32 s12, s9, s11
	s_ashr_i32 s13, s12, 31
	s_add_i32 s9, s0, 0xfffffe40
	s_cmp_lt_i32 s9, s10
	s_waitcnt vmcnt(32)
	v_lshlrev_b32_e32 v18, 16, v62
	v_lshl_add_u64 v[6:7], s[12:13], 1, v[0:1]
	s_cselect_b32 s12, s9, s11
	v_fmac_f32_e32 v110, v19, v18
	s_waitcnt vmcnt(28)
	v_lshlrev_b32_e32 v18, 16, v63
	s_ashr_i32 s13, s12, 31
	s_add_i32 s9, s0, 0xfffffe80
	v_fmac_f32_e32 v110, v20, v18
	v_lshlrev_b32_e32 v18, 16, v66
	s_cmp_lt_i32 s9, s10
	v_fmac_f32_e32 v110, v21, v18
	s_waitcnt vmcnt(27)
	v_lshlrev_b32_e32 v18, 16, v67
	v_lshl_add_u64 v[8:9], s[12:13], 1, v[0:1]
	s_cselect_b32 s12, s9, s11
	s_waitcnt lgkmcnt(0)
	v_fmac_f32_e32 v110, v30, v18
	global_load_ushort v30, v[106:107], off
	s_ashr_i32 s13, s12, 31
	s_add_i32 s9, s0, 0xfffffec0
	s_cmp_lt_i32 s9, s10
	global_load_ushort v60, v[98:99], off
	global_load_ushort v61, v[44:45], off
	;; [unrolled: 1-line block ×3, first 2 shown]
	v_lshl_add_u64 v[12:13], s[12:13], 1, v[0:1]
	s_cselect_b32 s12, s9, s11
	v_lshlrev_b32_e32 v18, 16, v123
	s_ashr_i32 s13, s12, 31
	s_add_i32 s9, s0, 0xffffff00
	v_fmac_f32_e32 v110, v31, v18
	v_lshlrev_b32_e32 v18, 16, v125
	s_cmp_lt_i32 s9, s10
	v_fmac_f32_e32 v110, v32, v18
	global_load_ushort v31, v[4:5], off
	global_load_ushort v32, v[6:7], off
	v_lshl_add_u64 v[10:11], s[12:13], 1, v[0:1]
	s_cselect_b32 s12, s9, s11
	s_ashr_i32 s13, s12, 31
	s_add_i32 s9, s0, 0xffffff40
	s_cmp_lt_i32 s9, s10
	s_waitcnt vmcnt(32)
	v_lshlrev_b32_e32 v4, 16, v50
	v_lshl_add_u64 v[16:17], s[12:13], 1, v[0:1]
	s_cselect_b32 s12, s9, s11
	v_fmac_f32_e32 v110, v33, v4
	ds_read_b128 v[4:7], v124 offset:96
	s_ashr_i32 s13, s12, 31
	s_add_i32 s9, s0, 0xffffff80
	s_cmp_lt_i32 s9, s10
	s_waitcnt vmcnt(31)
	v_lshlrev_b32_e32 v33, 16, v38
	global_load_ushort v38, v[8:9], off
	global_load_ushort v44, v[12:13], off
	v_lshl_add_u64 v[14:15], s[12:13], 1, v[0:1]
	s_cselect_b32 s12, s9, s11
	s_ashr_i32 s13, s12, 31
	s_sub_i32 s9, s0, 64
	s_cmp_lt_i32 s9, s10
	ds_read_b128 v[18:21], v124 offset:112
	s_waitcnt lgkmcnt(1)
	v_fmac_f32_e32 v110, v4, v33
	s_waitcnt vmcnt(31)
	v_lshlrev_b32_e32 v4, 16, v39
	global_load_ushort v33, v[10:11], off
	global_load_ushort v39, v[16:17], off
	v_lshl_add_u64 v[28:29], s[12:13], 1, v[0:1]
	s_cselect_b32 s12, s9, s11
	s_ashr_i32 s13, s12, 31
	s_cmp_lt_i32 s0, s10
	v_fmac_f32_e32 v110, v5, v4
	s_waitcnt vmcnt(32)
	v_lshlrev_b32_e32 v3, 16, v3
	global_load_ushort v16, v[14:15], off
	global_load_ushort v17, v[28:29], off
	v_lshl_add_u64 v[22:23], s[12:13], 1, v[0:1]
	s_cselect_b32 s12, s0, s11
	v_fmac_f32_e32 v110, v6, v3
	s_waitcnt vmcnt(33)
	v_lshlrev_b32_e32 v3, 16, v34
	s_ashr_i32 s13, s12, 31
	v_fmac_f32_e32 v110, v7, v3
	s_waitcnt vmcnt(31)
	v_lshlrev_b32_e32 v3, 16, v35
	v_lshl_add_u64 v[24:25], s[12:13], 1, v[0:1]
	s_waitcnt lgkmcnt(0)
	v_fmac_f32_e32 v110, v18, v3
	global_load_ushort v3, v[22:23], off
	global_load_ushort v14, v[24:25], off
	v_lshlrev_b32_e32 v4, 16, v26
	v_fmac_f32_e32 v110, v19, v4
	s_waitcnt vmcnt(32)
	v_lshlrev_b32_e32 v4, 16, v27
	v_fmac_f32_e32 v110, v20, v4
	ds_read_b128 v[4:7], v124 offset:128
	s_waitcnt vmcnt(31)
	v_lshlrev_b32_e32 v8, 16, v36
	v_fmac_f32_e32 v110, v21, v8
	ds_read_b128 v[8:11], v124 offset:144
	s_waitcnt vmcnt(30)
	v_lshlrev_b32_e32 v12, 16, v37
	s_waitcnt lgkmcnt(1)
	v_fmac_f32_e32 v110, v4, v12
	s_waitcnt vmcnt(29)
	v_lshlrev_b32_e32 v4, 16, v40
	v_fmac_f32_e32 v110, v5, v4
	s_waitcnt vmcnt(28)
	v_lshlrev_b32_e32 v4, 16, v41
	;; [unrolled: 3-line block ×4, first 2 shown]
	s_waitcnt lgkmcnt(0)
	v_fmac_f32_e32 v110, v8, v4
	v_lshlrev_b32_e32 v4, 16, v46
	v_fmac_f32_e32 v110, v9, v4
	s_waitcnt vmcnt(23)
	v_lshlrev_b32_e32 v4, 16, v47
	v_fmac_f32_e32 v110, v10, v4
	ds_read_b128 v[4:7], v124 offset:160
	v_lshlrev_b32_e32 v8, 16, v48
	v_fmac_f32_e32 v110, v11, v8
	ds_read_b128 v[8:11], v124 offset:176
	s_waitcnt vmcnt(22)
	v_lshlrev_b32_e32 v12, 16, v49
	s_waitcnt lgkmcnt(1)
	v_fmac_f32_e32 v110, v4, v12
	v_lshlrev_b32_e32 v4, 16, v51
	v_fmac_f32_e32 v110, v5, v4
	s_waitcnt vmcnt(21)
	v_lshlrev_b32_e32 v4, 16, v53
	v_fmac_f32_e32 v110, v6, v4
	s_waitcnt vmcnt(20)
	;; [unrolled: 3-line block ×3, first 2 shown]
	v_lshlrev_b32_e32 v4, 16, v52
	s_waitcnt lgkmcnt(0)
	v_fmac_f32_e32 v110, v8, v4
	s_waitcnt vmcnt(18)
	v_lshlrev_b32_e32 v4, 16, v55
	v_fmac_f32_e32 v110, v9, v4
	s_waitcnt vmcnt(17)
	v_lshlrev_b32_e32 v4, 16, v56
	v_fmac_f32_e32 v110, v10, v4
	ds_read_b128 v[4:7], v124 offset:192
	s_waitcnt vmcnt(16)
	v_lshlrev_b32_e32 v8, 16, v57
	v_fmac_f32_e32 v110, v11, v8
	ds_read_b128 v[8:11], v124 offset:208
	s_waitcnt vmcnt(15)
	v_lshlrev_b32_e32 v12, 16, v58
	s_waitcnt lgkmcnt(1)
	v_fmac_f32_e32 v110, v4, v12
	s_waitcnt vmcnt(14)
	v_lshlrev_b32_e32 v4, 16, v59
	v_fmac_f32_e32 v110, v5, v4
	s_waitcnt vmcnt(13)
	v_lshlrev_b32_e32 v4, 16, v30
	;; [unrolled: 3-line block ×4, first 2 shown]
	v_lshlrev_b32_e32 v4, 16, v61
	s_waitcnt lgkmcnt(0)
	v_pk_mul_f32 v[4:5], v[8:9], v[4:5]
	s_waitcnt vmcnt(6)
	v_lshlrev_b32_e32 v13, 16, v44
	v_add_f32_e32 v4, v110, v4
	v_add_f32_e32 v6, v4, v5
	v_lshlrev_b32_e32 v5, 16, v32
	v_lshlrev_b32_e32 v4, 16, v31
	v_pk_mul_f32 v[8:9], v[10:11], v[4:5]
	v_lshlrev_b32_e32 v12, 16, v38
	v_add_f32_e32 v8, v6, v8
	ds_read_b128 v[4:7], v124 offset:224
	v_add_f32_e32 v15, v8, v9
	ds_read_b128 v[8:11], v124 offset:240
	s_waitcnt lgkmcnt(1)
	v_pk_mul_f32 v[4:5], v[4:5], v[12:13]
	s_nop 0
	v_add_f32_e32 v4, v15, v4
	v_add_f32_e32 v12, v4, v5
	s_waitcnt vmcnt(4)
	v_lshlrev_b32_e32 v5, 16, v39
	v_lshlrev_b32_e32 v4, 16, v33
	v_pk_mul_f32 v[4:5], v[6:7], v[4:5]
	s_nop 0
	v_add_f32_e32 v4, v12, v4
	v_add_f32_e32 v6, v4, v5
	s_waitcnt vmcnt(2)
	v_lshlrev_b32_e32 v5, 16, v17
	v_lshlrev_b32_e32 v4, 16, v16
	s_waitcnt lgkmcnt(0)
	v_pk_mul_f32 v[4:5], v[8:9], v[4:5]
	s_nop 0
	v_add_f32_e32 v4, v6, v4
	v_add_f32_e32 v6, v4, v5
	s_waitcnt vmcnt(0)
	v_lshlrev_b32_e32 v5, 16, v14
	v_lshlrev_b32_e32 v4, 16, v3
	v_pk_mul_f32 v[4:5], v[10:11], v[4:5]
	s_nop 0
	v_add_f32_e32 v3, v6, v4
	v_add_f32_e32 v110, v3, v5
	s_branch .LBB463_16
.LBB463_19:
	v_mov_b32_e32 v0, 0
	ds_read_b32 v0, v0 offset:2048
	s_cmp_lg_u64 s[6:7], 0
	s_cbranch_scc0 .LBB463_28
; %bb.20:
	s_load_dword s6, s[6:7], 0x0
	s_waitcnt lgkmcnt(0)
	v_div_scale_f32 v1, s[0:1], s6, s6, 1.0
	v_rcp_f32_e32 v3, v1
	v_div_scale_f32 v4, vcc, 1.0, s6, 1.0
	v_fma_f32 v5, -v1, v3, 1.0
	v_fmac_f32_e32 v3, v5, v3
	v_mul_f32_e32 v5, v4, v3
	v_fma_f32 v6, -v1, v5, v4
	v_fmac_f32_e32 v5, v6, v3
	v_fma_f32 v1, -v1, v5, v4
	v_div_fmas_f32 v1, v1, v3, v5
	v_div_fixup_f32 v1, v1, s6, 1.0
	s_andn2_b64 vcc, exec, s[34:35]
	s_cbranch_vccnz .LBB463_22
.LBB463_21:
	s_add_u32 s0, s30, s36
	s_addc_u32 s1, s31, s37
	s_load_dword s28, s[0:1], 0x0
	s_mov_b32 s29, 0
.LBB463_22:
	s_waitcnt lgkmcnt(0)
	v_add_f32_e32 v0, 0x358637bd, v0
	v_div_scale_f32 v3, s[0:1], v0, v0, 1.0
	v_rcp_f32_e32 v4, v3
	v_div_scale_f32 v5, vcc, 1.0, v0, 1.0
	s_mov_b32 s0, 0x7f800000
	v_fma_f32 v6, -v3, v4, 1.0
	v_fmac_f32_e32 v4, v6, v4
	v_mul_f32_e32 v6, v5, v4
	v_fma_f32 v7, -v3, v6, v5
	v_fmac_f32_e32 v6, v7, v4
	v_fma_f32 v3, -v3, v6, v5
	v_div_fmas_f32 v3, v3, v4, v6
	v_div_fixup_f32 v0, v3, v0, 1.0
	v_mul_f32_e32 v0, v110, v0
	v_mul_f32_e32 v1, v0, v1
	v_and_b32_e32 v0, 0x7f800000, v1
	v_cmp_ne_u32_e32 vcc, s0, v0
                                        ; implicit-def: $vgpr0
	s_and_saveexec_b64 s[0:1], vcc
	s_xor_b64 s[0:1], exec, s[0:1]
; %bb.23:
	v_bfe_u32 v0, v1, 16, 1
	s_movk_i32 s6, 0x7fff
	v_add3_u32 v0, v1, v0, s6
                                        ; implicit-def: $vgpr1
; %bb.24:
	s_andn2_saveexec_b64 s[0:1], s[0:1]
; %bb.25:
	v_mov_b32_e32 v0, 0
	v_or_b32_e32 v3, 0x10000, v1
	v_cmp_eq_u32_sdwa vcc, v1, v0 src0_sel:WORD_0 src1_sel:DWORD
	s_nop 1
	v_cndmask_b32_e32 v0, v3, v1, vcc
; %bb.26:
	s_or_b64 exec, exec, s[0:1]
	s_mul_i32 s0, s3, s29
	s_mul_hi_u32 s1, s3, s28
	s_add_i32 s1, s1, s0
	s_mul_i32 s0, s3, s28
	s_lshl_b64 s[0:1], s[0:1], 7
	s_add_u32 s4, s4, s0
	s_mov_b32 s3, 0
	s_addc_u32 s5, s5, s1
	s_lshl_b64 s[0:1], s[2:3], 7
	s_add_u32 s0, s4, s0
	s_addc_u32 s1, s5, s1
	global_store_short_d16_hi v2, v0, s[0:1]
	s_endpgm
.LBB463_27:
	s_mov_b64 s[6:7], 0
	s_branch .LBB463_2
.LBB463_28:
	v_mov_b32_e32 v1, 1.0
	s_andn2_b64 vcc, exec, s[34:35]
	s_cbranch_vccz .LBB463_21
	s_branch .LBB463_22
	.section	.rodata,"a",@progbits
	.p2align	6, 0x0
	.amdhsa_kernel _Z35paged_attention_ll4mi_reduce_kernelI14__hip_bfloat16S0_Li64ELi64ELi256ELi8EEvPT0_PKfS4_PKT_PKiS9_iS4_
		.amdhsa_group_segment_fixed_size 2052
		.amdhsa_private_segment_fixed_size 0
		.amdhsa_kernarg_size 320
		.amdhsa_user_sgpr_count 2
		.amdhsa_user_sgpr_dispatch_ptr 0
		.amdhsa_user_sgpr_queue_ptr 0
		.amdhsa_user_sgpr_kernarg_segment_ptr 1
		.amdhsa_user_sgpr_dispatch_id 0
		.amdhsa_user_sgpr_kernarg_preload_length 0
		.amdhsa_user_sgpr_kernarg_preload_offset 0
		.amdhsa_user_sgpr_private_segment_size 0
		.amdhsa_uses_dynamic_stack 0
		.amdhsa_enable_private_segment 0
		.amdhsa_system_sgpr_workgroup_id_x 1
		.amdhsa_system_sgpr_workgroup_id_y 1
		.amdhsa_system_sgpr_workgroup_id_z 0
		.amdhsa_system_sgpr_workgroup_info 0
		.amdhsa_system_vgpr_workitem_id 0
		.amdhsa_next_free_vgpr 126
		.amdhsa_next_free_sgpr 45
		.amdhsa_accum_offset 128
		.amdhsa_reserve_vcc 1
		.amdhsa_float_round_mode_32 0
		.amdhsa_float_round_mode_16_64 0
		.amdhsa_float_denorm_mode_32 3
		.amdhsa_float_denorm_mode_16_64 3
		.amdhsa_dx10_clamp 1
		.amdhsa_ieee_mode 1
		.amdhsa_fp16_overflow 0
		.amdhsa_tg_split 0
		.amdhsa_exception_fp_ieee_invalid_op 0
		.amdhsa_exception_fp_denorm_src 0
		.amdhsa_exception_fp_ieee_div_zero 0
		.amdhsa_exception_fp_ieee_overflow 0
		.amdhsa_exception_fp_ieee_underflow 0
		.amdhsa_exception_fp_ieee_inexact 0
		.amdhsa_exception_int_div_zero 0
	.end_amdhsa_kernel
	.section	.text._Z35paged_attention_ll4mi_reduce_kernelI14__hip_bfloat16S0_Li64ELi64ELi256ELi8EEvPT0_PKfS4_PKT_PKiS9_iS4_,"axG",@progbits,_Z35paged_attention_ll4mi_reduce_kernelI14__hip_bfloat16S0_Li64ELi64ELi256ELi8EEvPT0_PKfS4_PKT_PKiS9_iS4_,comdat
.Lfunc_end463:
	.size	_Z35paged_attention_ll4mi_reduce_kernelI14__hip_bfloat16S0_Li64ELi64ELi256ELi8EEvPT0_PKfS4_PKT_PKiS9_iS4_, .Lfunc_end463-_Z35paged_attention_ll4mi_reduce_kernelI14__hip_bfloat16S0_Li64ELi64ELi256ELi8EEvPT0_PKfS4_PKT_PKiS9_iS4_
                                        ; -- End function
	.section	.AMDGPU.csdata,"",@progbits
; Kernel info:
; codeLenInByte = 9400
; NumSgprs: 51
; NumVgprs: 126
; NumAgprs: 0
; TotalNumVgprs: 126
; ScratchSize: 0
; MemoryBound: 0
; FloatMode: 240
; IeeeMode: 1
; LDSByteSize: 2052 bytes/workgroup (compile time only)
; SGPRBlocks: 6
; VGPRBlocks: 15
; NumSGPRsForWavesPerEU: 51
; NumVGPRsForWavesPerEU: 126
; AccumOffset: 128
; Occupancy: 4
; WaveLimiterHint : 1
; COMPUTE_PGM_RSRC2:SCRATCH_EN: 0
; COMPUTE_PGM_RSRC2:USER_SGPR: 2
; COMPUTE_PGM_RSRC2:TRAP_HANDLER: 0
; COMPUTE_PGM_RSRC2:TGID_X_EN: 1
; COMPUTE_PGM_RSRC2:TGID_Y_EN: 1
; COMPUTE_PGM_RSRC2:TGID_Z_EN: 0
; COMPUTE_PGM_RSRC2:TIDIG_COMP_CNT: 0
; COMPUTE_PGM_RSRC3_GFX90A:ACCUM_OFFSET: 31
; COMPUTE_PGM_RSRC3_GFX90A:TG_SPLIT: 0
	.section	.text._Z39paged_attention_ll4mi_QKV_mfma16_kernelI14__hip_bfloat16S0_LN4vllm18Fp8KVCacheDataTypeE0ES0_Li16ELi64ELi256ELb1ELi1EEvPKT_PKT0_S8_ifPKiSA_SA_iPKfiiiPfSD_PS3_PT2_iSC_SC_,"axG",@progbits,_Z39paged_attention_ll4mi_QKV_mfma16_kernelI14__hip_bfloat16S0_LN4vllm18Fp8KVCacheDataTypeE0ES0_Li16ELi64ELi256ELb1ELi1EEvPKT_PKT0_S8_ifPKiSA_SA_iPKfiiiPfSD_PS3_PT2_iSC_SC_,comdat
	.protected	_Z39paged_attention_ll4mi_QKV_mfma16_kernelI14__hip_bfloat16S0_LN4vllm18Fp8KVCacheDataTypeE0ES0_Li16ELi64ELi256ELb1ELi1EEvPKT_PKT0_S8_ifPKiSA_SA_iPKfiiiPfSD_PS3_PT2_iSC_SC_ ; -- Begin function _Z39paged_attention_ll4mi_QKV_mfma16_kernelI14__hip_bfloat16S0_LN4vllm18Fp8KVCacheDataTypeE0ES0_Li16ELi64ELi256ELb1ELi1EEvPKT_PKT0_S8_ifPKiSA_SA_iPKfiiiPfSD_PS3_PT2_iSC_SC_
	.globl	_Z39paged_attention_ll4mi_QKV_mfma16_kernelI14__hip_bfloat16S0_LN4vllm18Fp8KVCacheDataTypeE0ES0_Li16ELi64ELi256ELb1ELi1EEvPKT_PKT0_S8_ifPKiSA_SA_iPKfiiiPfSD_PS3_PT2_iSC_SC_
	.p2align	8
	.type	_Z39paged_attention_ll4mi_QKV_mfma16_kernelI14__hip_bfloat16S0_LN4vllm18Fp8KVCacheDataTypeE0ES0_Li16ELi64ELi256ELb1ELi1EEvPKT_PKT0_S8_ifPKiSA_SA_iPKfiiiPfSD_PS3_PT2_iSC_SC_,@function
_Z39paged_attention_ll4mi_QKV_mfma16_kernelI14__hip_bfloat16S0_LN4vllm18Fp8KVCacheDataTypeE0ES0_Li16ELi64ELi256ELb1ELi1EEvPKT_PKT0_S8_ifPKiSA_SA_iPKfiiiPfSD_PS3_PT2_iSC_SC_: ; @_Z39paged_attention_ll4mi_QKV_mfma16_kernelI14__hip_bfloat16S0_LN4vllm18Fp8KVCacheDataTypeE0ES0_Li16ELi64ELi256ELb1ELi1EEvPKT_PKT0_S8_ifPKiSA_SA_iPKfiiiPfSD_PS3_PT2_iSC_SC_
; %bb.0:
	s_load_dwordx2 s[6:7], s[0:1], 0x30
	s_mov_b32 s30, s3
	s_mov_b64 s[8:9], 0
	s_waitcnt lgkmcnt(0)
	s_cmp_lg_u64 s[6:7], 0
	s_cselect_b64 s[10:11], -1, 0
	s_and_b64 vcc, exec, s[10:11]
	s_cbranch_vccz .LBB464_7
; %bb.1:
	s_add_i32 s12, s2, 1
	s_mov_b32 s13, 0
	s_lshl_b64 s[14:15], s[12:13], 2
	s_add_u32 s14, s6, s14
	s_mov_b32 s3, s13
	s_addc_u32 s15, s7, s15
	s_lshl_b64 s[12:13], s[2:3], 2
	s_add_u32 s12, s6, s12
	s_addc_u32 s13, s7, s13
	s_load_dword s5, s[14:15], 0x0
	s_load_dword s16, s[12:13], 0x0
	s_waitcnt lgkmcnt(0)
	s_sub_i32 s5, s5, s16
	s_cmp_eq_u32 s5, 1
	s_cselect_b64 s[12:13], -1, 0
	s_andn2_b64 vcc, exec, s[8:9]
	s_cbranch_vccnz .LBB464_3
.LBB464_2:
	s_mov_b32 s3, 0
	s_mov_b64 s[12:13], -1
.LBB464_3:
	s_andn2_b64 vcc, exec, s[12:13]
	s_cbranch_vccnz .LBB464_19
; %bb.4:
	s_load_dwordx2 s[8:9], s[0:1], 0x28
	s_lshl_b64 s[12:13], s[2:3], 2
	s_waitcnt lgkmcnt(0)
	s_add_u32 s8, s8, s12
	s_addc_u32 s9, s9, s13
	s_load_dword s31, s[8:9], 0x0
	s_lshl_b32 s16, s30, 8
	s_waitcnt lgkmcnt(0)
	s_cmp_ge_i32 s16, s31
	s_cbranch_scc1 .LBB464_19
; %bb.5:
	s_load_dwordx2 s[8:9], s[0:1], 0x20
	s_load_dword s5, s[0:1], 0x38
	s_add_i32 s14, s31, 15
	s_ashr_i32 s15, s14, 31
	v_and_b32_e32 v1, 0xcf, v0
	s_lshr_b32 s15, s15, 28
	v_add_u32_e32 v1, s16, v1
	s_add_i32 s14, s14, s15
	v_ashrrev_i32_e32 v2, 31, v1
	s_ashr_i32 s17, s14, 4
	v_lshrrev_b32_e32 v6, 28, v2
	s_add_i32 s17, s17, -1
	s_waitcnt lgkmcnt(0)
	s_mul_i32 s14, s2, s5
	s_mov_b32 s15, 0
	v_add_u32_e32 v2, v1, v6
	s_lshl_b64 s[14:15], s[14:15], 2
	v_ashrrev_i32_e32 v2, 4, v2
	v_mov_b32_e32 v7, s17
	v_cmp_gt_i32_e32 vcc, s31, v1
	s_add_u32 s8, s8, s14
	s_addc_u32 s9, s9, s15
	v_cndmask_b32_e32 v2, v7, v2, vcc
	v_ashrrev_i32_e32 v3, 31, v2
	v_lshl_add_u64 v[4:5], v[2:3], 2, s[8:9]
	v_or_b32_e32 v2, 16, v1
	v_add_u32_e32 v3, v2, v6
	v_ashrrev_i32_e32 v3, 4, v3
	v_cmp_gt_i32_e32 vcc, s31, v2
	s_load_dwordx2 s[14:15], s[0:1], 0x8
	s_nop 0
	v_cndmask_b32_e32 v2, v7, v3, vcc
	v_ashrrev_i32_e32 v3, 31, v2
	v_lshl_add_u64 v[8:9], v[2:3], 2, s[8:9]
	v_or_b32_e32 v2, 32, v1
	v_add_u32_e32 v3, v2, v6
	v_ashrrev_i32_e32 v3, 4, v3
	v_cmp_gt_i32_e32 vcc, s31, v2
	v_or_b32_e32 v1, 48, v1
	s_nop 0
	v_cndmask_b32_e32 v2, v7, v3, vcc
	v_ashrrev_i32_e32 v3, 31, v2
	v_lshl_add_u64 v[10:11], v[2:3], 2, s[8:9]
	v_add_u32_e32 v2, v1, v6
	v_ashrrev_i32_e32 v2, 4, v2
	v_cmp_gt_i32_e32 vcc, s31, v1
	s_nop 1
	v_cndmask_b32_e32 v2, v7, v2, vcc
	v_ashrrev_i32_e32 v3, 31, v2
	v_lshl_add_u64 v[12:13], v[2:3], 2, s[8:9]
	global_load_dword v3, v[4:5], off
	global_load_dword v2, v[8:9], off
	;; [unrolled: 1-line block ×4, first 2 shown]
	s_andn2_b64 vcc, exec, s[10:11]
	s_cbranch_vccnz .LBB464_8
; %bb.6:
	s_add_u32 s6, s6, s12
	s_addc_u32 s7, s7, s13
	s_load_dword s5, s[6:7], 0x0
	s_branch .LBB464_9
.LBB464_7:
	s_mov_b64 s[12:13], 0
	s_branch .LBB464_2
.LBB464_8:
	s_mov_b32 s5, s2
.LBB464_9:
	s_load_dwordx2 s[10:11], s[0:1], 0x10
	s_load_dwordx4 s[44:47], s[0:1], 0x48
	v_lshrrev_b32_e32 v52, 6, v0
	v_bfe_u32 v50, v0, 4, 2
	v_lshl_or_b32 v1, v52, 2, v50
	v_and_b32_e32 v53, 15, v0
	v_lshlrev_b32_e32 v4, 3, v53
	v_cmp_eq_u32_e32 vcc, 0, v1
	v_cmp_gt_u32_e64 s[6:7], 8, v53
	s_and_b64 s[18:19], s[6:7], vcc
	v_lshlrev_b32_e32 v1, 1, v4
	s_and_saveexec_b64 s[12:13], s[18:19]
	s_cbranch_execz .LBB464_11
; %bb.10:
	s_load_dwordx2 s[18:19], s[0:1], 0x0
	s_waitcnt lgkmcnt(0)
	s_ashr_i32 s20, s44, 31
	s_mul_hi_u32 s21, s5, s44
	s_mul_i32 s20, s5, s20
	s_add_i32 s21, s21, s20
	s_mul_i32 s20, s5, s44
	s_lshl_b64 s[20:21], s[20:21], 1
	s_add_u32 s5, s18, s20
	s_addc_u32 s20, s19, s21
	s_lshl_b32 s18, s4, 6
	s_ashr_i32 s19, s18, 31
	s_lshl_b64 s[18:19], s[18:19], 1
	s_add_u32 s18, s5, s18
	s_addc_u32 s19, s20, s19
	global_load_dwordx4 v[8:11], v1, s[18:19]
	v_and_b32_e32 v4, 3, v0
	v_lshlrev_b32_e32 v5, 9, v53
	v_lshlrev_b32_e32 v4, 9, v4
	s_movk_i32 s5, 0x1800
	v_and_or_b32 v4, v5, s5, v4
	s_waitcnt vmcnt(0)
	ds_write_b128 v4, v[8:11]
.LBB464_11:
	s_or_b64 exec, exec, s[12:13]
	s_waitcnt lgkmcnt(0)
	s_mul_i32 s12, s4, s46
	s_mov_b32 s13, 0
	s_lshl_b64 s[12:13], s[12:13], 1
	s_add_u32 s14, s14, s12
	v_lshlrev_b32_e32 v51, 4, v0
	s_addc_u32 s15, s15, s13
	v_and_b32_e32 v42, 0xf0, v51
	v_mov_b32_e32 v43, 0
	v_lshl_add_u64 v[16:17], s[14:15], 0, v[42:43]
	s_waitcnt vmcnt(3)
	v_mad_i64_i32 v[4:5], s[14:15], v3, s45, 0
	s_waitcnt vmcnt(2)
	v_mad_i64_i32 v[2:3], s[14:15], v2, s45, 0
	;; [unrolled: 2-line block ×3, first 2 shown]
	v_lshl_add_u64 v[4:5], v[4:5], 1, v[16:17]
	v_and_b32_e32 v42, 0x300, v51
	v_lshl_add_u64 v[2:3], v[2:3], 1, v[16:17]
	v_lshl_add_u64 v[6:7], v[6:7], 1, v[16:17]
	s_waitcnt vmcnt(0)
	v_mad_i64_i32 v[14:15], s[14:15], v14, s45, 0
	v_lshl_add_u64 v[4:5], v[4:5], 0, v[42:43]
	v_lshl_add_u64 v[8:9], v[2:3], 0, v[42:43]
	;; [unrolled: 1-line block ×4, first 2 shown]
	s_barrier
	global_load_dwordx4 v[30:33], v[4:5], off
	global_load_dwordx4 v[10:13], v[4:5], off offset:1024
	global_load_dwordx4 v[22:25], v[8:9], off
	s_nop 0
	global_load_dwordx4 v[2:5], v[8:9], off offset:1024
	global_load_dwordx4 v[26:29], v[18:19], off
	s_nop 0
	global_load_dwordx4 v[6:9], v[18:19], off offset:1024
	v_lshl_add_u64 v[18:19], v[14:15], 0, v[42:43]
	global_load_dwordx4 v[34:37], v[18:19], off
	global_load_dwordx4 v[14:17], v[18:19], off offset:1024
	v_lshlrev_b32_e32 v18, 9, v50
	ds_read_b128 v[38:41], v18
	ds_read_b128 v[18:21], v18 offset:2048
	v_and_b32_e32 v55, 63, v0
	v_cmp_eq_u32_e32 vcc, 0, v53
	v_mov_b32_e32 v56, 0
	s_and_saveexec_b64 s[14:15], vcc
	s_cbranch_execz .LBB464_13
; %bb.12:
	s_load_dwordx2 s[18:19], s[0:1], 0x40
	s_ashr_i32 s5, s4, 31
	s_lshl_b64 s[20:21], s[4:5], 2
	s_waitcnt lgkmcnt(0)
	s_add_u32 s18, s18, s20
	s_addc_u32 s19, s19, s21
	s_load_dword s5, s[18:19], 0x0
	s_waitcnt lgkmcnt(0)
	v_mov_b32_e32 v56, s5
.LBB464_13:
	s_or_b64 exec, exec, s[14:15]
	v_and_or_b32 v42, v0, 48, s16
	v_ashrrev_i32_e32 v44, 4, v42
	v_mov_b32_e32 v57, s17
	v_cmp_gt_i32_e32 vcc, s31, v42
	v_or_b32_e32 v54, 64, v42
	s_waitcnt vmcnt(5) lgkmcnt(1)
	v_mfma_f32_16x16x16_bf16 v[58:61], v[22:23], v[38:39], 0
	v_cndmask_b32_e32 v44, v57, v44, vcc
	v_ashrrev_i32_e32 v45, 31, v44
	v_lshl_add_u64 v[48:49], v[44:45], 2, s[8:9]
	v_mfma_f32_16x16x16_bf16 v[44:47], v[30:31], v[38:39], 0
	v_ashrrev_i32_e32 v30, 4, v54
	v_cmp_gt_i32_e32 vcc, s31, v54
	global_load_dword v70, v[48:49], off
	s_waitcnt vmcnt(4)
	v_mfma_f32_16x16x16_bf16 v[62:65], v[26:27], v[38:39], 0
	v_cndmask_b32_e32 v30, v57, v30, vcc
	v_ashrrev_i32_e32 v31, 31, v30
	v_lshl_add_u64 v[22:23], v[30:31], 2, s[8:9]
	global_load_dword v71, v[22:23], off
	v_mfma_f32_16x16x16_bf16 v[22:25], v[24:25], v[40:41], v[58:61]
	v_and_b32_e32 v26, 0xc0, v0
	s_load_dword s14, s[0:1], 0x1c
	s_mov_b32 s5, 0xff7fffff
	v_mfma_f32_16x16x16_bf16 v[30:33], v[32:33], v[40:41], v[44:47]
	s_add_u32 s10, s10, s12
	v_lshlrev_b32_e32 v54, 5, v53
	s_addc_u32 s11, s11, s13
	s_waitcnt vmcnt(3)
	v_mfma_f32_16x16x16_bf16 v[66:69], v[34:35], v[38:39], 0
	v_or_b32_e32 v38, 0x80, v42
	v_add_u32_e32 v44, s16, v26
	v_or_b32_e32 v39, 0xc0, v42
	v_mfma_f32_16x16x16_bf16 v[26:29], v[28:29], v[40:41], v[62:65]
	v_ashrrev_i32_e32 v45, 4, v38
	v_cmp_gt_i32_e32 vcc, s31, v38
	v_ashrrev_i32_e32 v46, 4, v39
	s_waitcnt lgkmcnt(0)
	v_mfma_f32_16x16x16_bf16 v[22:25], v[2:3], v[18:19], v[22:25]
	v_cndmask_b32_e32 v38, v57, v45, vcc
	v_cmp_gt_i32_e32 vcc, s31, v39
	v_ashrrev_i32_e32 v39, 31, v38
	v_mfma_f32_16x16x16_bf16 v[30:33], v[10:11], v[18:19], v[30:33]
	v_cndmask_b32_e32 v10, v57, v46, vcc
	v_ashrrev_i32_e32 v11, 31, v10
	v_lshl_or_b32 v58, v50, 2, v44
	v_mfma_f32_16x16x16_bf16 v[26:29], v[6:7], v[18:19], v[26:29]
	v_lshl_add_u64 v[6:7], v[38:39], 2, s[8:9]
	v_lshl_add_u64 v[38:39], v[10:11], 2, s[8:9]
	v_or_b32_e32 v57, 1, v58
	v_mfma_f32_16x16x16_bf16 v[2:5], v[4:5], v[20:21], v[22:25]
	s_nop 2
	global_load_dword v22, v[6:7], off
	global_load_dword v61, v[38:39], off
	v_subrev_u32_e32 v59, s31, v57
	v_cvt_f32_i32_e32 v60, v59
	v_mfma_f32_16x16x16_bf16 v[34:37], v[36:37], v[40:41], v[66:69]
	v_pk_mul_f32 v[44:45], s[14:15], v[4:5] op_sel_hi:[0,1]
	v_cmp_gt_i32_e64 s[34:35], s31, v58
	v_cmp_gt_i32_e64 s[36:37], s31, v57
	s_waitcnt vmcnt(4)
	v_mfma_f32_16x16x16_bf16 v[34:37], v[14:15], v[18:19], v[34:37]
	v_add_u32_e32 v14, 1, v59
	v_add_u32_e32 v15, 2, v59
	v_cvt_f32_i32_e32 v23, v14
	v_cvt_f32_i32_e32 v24, v15
	v_mfma_f32_16x16x16_bf16 v[14:17], v[16:17], v[20:21], v[34:37]
	v_add_u32_e32 v18, 3, v59
	v_cvt_f32_i32_e32 v18, v18
	v_add_u32_e32 v19, 16, v59
	v_mfma_f32_16x16x16_bf16 v[10:13], v[12:13], v[20:21], v[30:33]
	v_cvt_f32_i32_e32 v19, v19
	s_nop 1
	v_pk_mul_f32 v[36:37], s[14:15], v[14:15] op_sel_hi:[0,1]
	v_add_u32_e32 v15, 19, v59
	v_add_u32_e32 v31, 18, v59
	v_cvt_f32_i32_e32 v14, v31
	v_cvt_f32_i32_e32 v15, v15
	v_mfma_f32_16x16x16_bf16 v[6:9], v[8:9], v[20:21], v[26:29]
	v_pk_mul_f32 v[34:35], s[14:15], v[16:17] op_sel_hi:[0,1]
	v_fma_f32 v44, v56, v14, v44
	v_add_u32_e32 v14, 32, v59
	v_fmac_f32_e32 v45, v56, v15
	v_cvt_f32_i32_e32 v14, v14
	v_add_u32_e32 v15, 33, v59
	v_add_u32_e32 v16, 34, v59
	v_cvt_f32_i32_e32 v15, v15
	v_cvt_f32_i32_e32 v16, v16
	v_add_u32_e32 v17, 35, v59
	v_cvt_f32_i32_e32 v17, v17
	v_pk_mul_f32 v[40:41], s[14:15], v[6:7] op_sel_hi:[0,1]
	v_pk_mul_f32 v[38:39], s[14:15], v[8:9] op_sel_hi:[0,1]
	v_fma_f32 v40, v56, v14, v40
	v_add_u32_e32 v14, 48, v59
	v_fmac_f32_e32 v41, v56, v15
	v_fma_f32 v38, v56, v16, v38
	v_cvt_f32_i32_e32 v14, v14
	v_add_u32_e32 v15, 49, v59
	v_add_u32_e32 v16, 50, v59
	v_fmac_f32_e32 v39, v56, v17
	v_cvt_f32_i32_e32 v15, v15
	v_cvt_f32_i32_e32 v16, v16
	v_add_u32_e32 v17, 51, v59
	v_cvt_f32_i32_e32 v17, v17
	v_pk_mul_f32 v[10:11], s[14:15], v[10:11] op_sel_hi:[0,1]
	v_fma_f32 v10, v56, v60, v10
	v_fmac_f32_e32 v11, v56, v23
	v_fma_f32 v36, v56, v14, v36
	v_mov_b32_e32 v14, 0xff7fffff
	v_add_u32_e32 v30, 17, v59
	v_fmac_f32_e32 v37, v56, v15
	v_fma_f32 v34, v56, v16, v34
	v_cndmask_b32_e64 v15, v14, v10, s[34:35]
	v_cndmask_b32_e64 v16, v14, v11, s[36:37]
	v_cvt_f32_i32_e32 v25, v30
	v_pk_mul_f32 v[48:49], s[14:15], v[12:13] op_sel_hi:[0,1]
	v_fmac_f32_e32 v35, v56, v17
	v_max3_f32 v15, v15, s5, v16
	v_or_b32_e32 v16, 2, v58
	v_or_b32_e32 v17, 3, v58
	v_fma_f32 v48, v56, v24, v48
	v_fmac_f32_e32 v49, v56, v18
	v_cmp_gt_i32_e64 s[38:39], s31, v16
	v_cmp_gt_i32_e64 s[40:41], s31, v17
	v_pk_mul_f32 v[46:47], s[14:15], v[2:3] op_sel_hi:[0,1]
	v_cndmask_b32_e64 v16, v14, v48, s[38:39]
	v_cndmask_b32_e64 v17, v14, v49, s[40:41]
	v_max3_f32 v15, v15, v16, v17
	v_or_b32_e32 v16, 16, v58
	v_or_b32_e32 v17, 17, v58
	v_fma_f32 v46, v56, v19, v46
	v_fmac_f32_e32 v47, v56, v25
	v_cmp_gt_i32_e64 s[26:27], s31, v16
	v_cmp_gt_i32_e64 s[28:29], s31, v17
	v_lshl_or_b32 v42, v52, 9, v54
	v_cndmask_b32_e64 v16, v14, v46, s[26:27]
	v_cndmask_b32_e64 v17, v14, v47, s[28:29]
	v_max3_f32 v15, v15, v16, v17
	v_or_b32_e32 v16, 18, v58
	v_or_b32_e32 v17, 19, v58
	v_cmp_gt_i32_e64 s[22:23], s31, v16
	v_cmp_gt_i32_e64 s[24:25], s31, v17
	v_lshl_add_u64 v[42:43], s[10:11], 0, v[42:43]
	v_cndmask_b32_e64 v16, v14, v44, s[22:23]
	v_cndmask_b32_e64 v17, v14, v45, s[24:25]
	v_max3_f32 v15, v15, v16, v17
	v_or_b32_e32 v16, 32, v58
	v_or_b32_e32 v17, 33, v58
	v_cmp_gt_i32_e64 s[18:19], s31, v16
	v_cmp_gt_i32_e64 s[20:21], s31, v17
	s_waitcnt vmcnt(3)
	v_mad_i64_i32 v[2:3], s[8:9], v70, s45, 0
	v_cndmask_b32_e64 v16, v14, v40, s[18:19]
	v_cndmask_b32_e64 v17, v14, v41, s[20:21]
	v_max3_f32 v15, v15, v16, v17
	v_or_b32_e32 v16, 34, v58
	v_or_b32_e32 v17, 35, v58
	v_cmp_gt_i32_e64 s[14:15], s31, v16
	v_cmp_gt_i32_e64 s[16:17], s31, v17
	s_waitcnt vmcnt(2)
	v_mad_i64_i32 v[12:13], s[8:9], v71, s45, 0
	v_cndmask_b32_e64 v16, v14, v38, s[14:15]
	v_cndmask_b32_e64 v17, v14, v39, s[16:17]
	v_max3_f32 v15, v15, v16, v17
	v_or_b32_e32 v16, 48, v58
	v_or_b32_e32 v17, 49, v58
	v_cmp_gt_i32_e64 s[10:11], s31, v16
	v_cmp_gt_i32_e64 s[12:13], s31, v17
	v_lshl_add_u64 v[2:3], v[2:3], 1, v[42:43]
	v_cndmask_b32_e64 v16, v14, v36, s[10:11]
	v_cndmask_b32_e64 v17, v14, v37, s[12:13]
	v_max3_f32 v15, v15, v16, v17
	v_or_b32_e32 v16, 50, v58
	v_or_b32_e32 v17, 51, v58
	v_cmp_gt_i32_e32 vcc, s31, v16
	v_cmp_gt_i32_e64 s[8:9], s31, v17
	v_lshl_add_u64 v[12:13], v[12:13], 1, v[42:43]
	v_cndmask_b32_e32 v16, v14, v34, vcc
	v_cndmask_b32_e64 v14, v14, v35, s[8:9]
	v_max3_f32 v14, v15, v16, v14
	v_mbcnt_lo_u32_b32 v15, -1, 0
	v_mbcnt_hi_u32_b32 v15, -1, v15
	v_and_b32_e32 v16, 64, v15
	v_add_u32_e32 v16, 64, v16
	v_xor_b32_e32 v17, 32, v15
	v_cmp_lt_i32_e64 s[42:43], v17, v16
	global_load_dwordx4 v[6:9], v[2:3], off
	s_nop 0
	global_load_dwordx4 v[2:5], v[2:3], off offset:16
	v_cndmask_b32_e64 v17, v15, v17, s[42:43]
	v_lshlrev_b32_e32 v57, 2, v17
	ds_bpermute_b32 v17, v57, v14
	global_load_dwordx4 v[30:33], v[12:13], off
	global_load_dwordx4 v[26:29], v[12:13], off offset:16
	s_waitcnt vmcnt(5)
	v_mad_i64_i32 v[12:13], s[42:43], v22, s45, 0
	v_lshl_add_u64 v[12:13], v[12:13], 1, v[42:43]
	s_waitcnt lgkmcnt(0)
	v_max_f32_e32 v17, v17, v17
	v_max_f32_e32 v14, v14, v17
	v_xor_b32_e32 v17, 16, v15
	v_cmp_lt_i32_e64 s[42:43], v17, v16
	global_load_dwordx4 v[22:25], v[12:13], off
	global_load_dwordx4 v[18:21], v[12:13], off offset:16
	v_cndmask_b32_e64 v15, v15, v17, s[42:43]
	v_lshlrev_b32_e32 v58, 2, v15
	ds_bpermute_b32 v15, v58, v14
	s_waitcnt vmcnt(6)
	v_mad_i64_i32 v[12:13], s[42:43], v61, s45, 0
	v_lshl_add_u64 v[12:13], v[12:13], 1, v[42:43]
	s_waitcnt lgkmcnt(0)
	v_max_f32_e32 v15, v15, v15
	v_max_f32_e32 v56, v14, v15
	v_sub_f32_e32 v10, v10, v56
	v_mul_f32_e32 v10, 0x3fb8aa3b, v10
	v_exp_f32_e32 v42, v10
	v_sub_f32_e32 v10, v11, v56
	v_mul_f32_e32 v10, 0x3fb8aa3b, v10
	v_exp_f32_e32 v43, v10
	global_load_dwordx4 v[14:17], v[12:13], off
	s_nop 0
	global_load_dwordx4 v[10:13], v[12:13], off offset:16
	v_sub_f32_e32 v48, v48, v56
	v_mul_f32_e32 v48, 0x3fb8aa3b, v48
	v_sub_f32_e32 v49, v49, v56
	v_exp_f32_e32 v48, v48
	v_mul_f32_e32 v49, 0x3fb8aa3b, v49
	v_sub_f32_e32 v46, v46, v56
	v_exp_f32_e32 v49, v49
	v_mul_f32_e32 v46, 0x3fb8aa3b, v46
	v_sub_f32_e32 v47, v47, v56
	v_cndmask_b32_e64 v42, 0, v42, s[34:35]
	v_exp_f32_e32 v46, v46
	v_mul_f32_e32 v47, 0x3fb8aa3b, v47
	v_sub_f32_e32 v44, v44, v56
	v_add_f32_e32 v59, 0, v42
	v_cndmask_b32_e64 v43, 0, v43, s[36:37]
	v_exp_f32_e32 v47, v47
	v_mul_f32_e32 v44, 0x3fb8aa3b, v44
	v_sub_f32_e32 v45, v45, v56
	v_add_f32_e32 v59, v59, v43
	;; [unrolled: 5-line block ×10, first 2 shown]
	v_cndmask_b32_e64 v38, 0, v38, s[14:15]
	v_exp_f32_e32 v34, v34
	v_mul_f32_e32 v35, 0x3fb8aa3b, v35
	v_add_f32_e32 v59, v59, v38
	v_cndmask_b32_e64 v39, 0, v39, s[16:17]
	v_exp_f32_e32 v35, v35
	v_add_f32_e32 v59, v59, v39
	v_cndmask_b32_e64 v36, 0, v36, s[10:11]
	v_add_f32_e32 v59, v59, v36
	v_cndmask_b32_e64 v37, 0, v37, s[12:13]
	v_add_f32_e32 v59, v59, v37
	v_cndmask_b32_e32 v34, 0, v34, vcc
	v_add_f32_e32 v59, v59, v34
	v_cndmask_b32_e64 v35, 0, v35, s[8:9]
	v_add_f32_e32 v59, v59, v35
	ds_bpermute_b32 v57, v57, v59
	v_cmp_gt_u32_e64 s[8:9], 16, v55
	v_lshlrev_b32_e32 v55, 2, v53
	s_waitcnt lgkmcnt(0)
	s_barrier
	v_add_f32_e32 v57, v59, v57
	ds_bpermute_b32 v58, v58, v57
	s_waitcnt lgkmcnt(0)
	s_and_saveexec_b64 s[10:11], s[8:9]
	s_cbranch_execz .LBB464_15
; %bb.14:
	v_add_f32_e32 v53, v57, v58
	v_lshl_or_b32 v57, v52, 6, v55
	ds_write2st64_b32 v57, v56, v53 offset1:1
.LBB464_15:
	s_or_b64 exec, exec, s[10:11]
	s_load_dwordx2 s[10:11], s[0:1], 0x94
	s_waitcnt lgkmcnt(0)
	s_barrier
	ds_read2_b32 v[56:57], v55 offset1:16
	ds_read2_b32 v[58:59], v55 offset0:32 offset1:48
	ds_read2_b32 v[60:61], v55 offset0:64 offset1:80
	s_mov_b32 s14, 0x7060302
	s_waitcnt lgkmcnt(2)
	v_max3_f32 v53, v56, s5, v57
	s_waitcnt lgkmcnt(1)
	v_max3_f32 v53, v53, v58, v59
	v_sub_f32_e32 v56, v56, v53
	v_mul_f32_e32 v56, 0x3fb8aa3b, v56
	v_exp_f32_e32 v62, v56
	v_sub_f32_e32 v56, v57, v53
	v_mul_f32_e32 v56, 0x3fb8aa3b, v56
	v_exp_f32_e32 v63, v56
	;; [unrolled: 3-line block ×3, first 2 shown]
	ds_read2_b32 v[56:57], v55 offset0:96 offset1:112
	v_sub_f32_e32 v55, v59, v53
	v_mul_f32_e32 v55, 0x3fb8aa3b, v55
	v_exp_f32_e32 v59, v55
	s_waitcnt lgkmcnt(1)
	v_fma_f32 v55, v62, v60, 0
	v_fmac_f32_e32 v55, v63, v61
	s_waitcnt lgkmcnt(0)
	v_fmac_f32_e32 v55, v58, v56
	v_fmac_f32_e32 v55, v59, v57
	v_add_f32_e32 v57, 0x358637bd, v55
	v_div_scale_f32 v60, s[12:13], v57, v57, 1.0
	v_rcp_f32_e32 v61, v60
	s_movk_i32 s5, 0x7fff
	v_mov_b32_e32 v56, 0
	v_fma_f32 v64, -v60, v61, 1.0
	v_fmac_f32_e32 v61, v64, v61
	v_div_scale_f32 v64, vcc, 1.0, v57, 1.0
	v_mul_f32_e32 v65, v64, v61
	v_fma_f32 v66, -v60, v65, v64
	v_fmac_f32_e32 v65, v66, v61
	v_fma_f32 v60, -v60, v65, v64
	v_div_fmas_f32 v60, v60, v61, v65
	v_cmp_eq_u32_e32 vcc, 1, v52
	v_div_fixup_f32 v57, v60, v57, 1.0
	s_barrier
	v_cndmask_b32_e32 v60, v62, v63, vcc
	v_cmp_eq_u32_e32 vcc, 2, v52
	s_nop 1
	v_cndmask_b32_e32 v58, v60, v58, vcc
	v_cmp_eq_u32_e32 vcc, 3, v52
	s_nop 1
	v_cndmask_b32_e32 v58, v58, v59, vcc
	v_mul_f32_e32 v58, v58, v57
	v_pk_mul_f32 v[42:43], v[58:59], v[42:43] op_sel_hi:[0,1]
	v_pk_mul_f32 v[48:49], v[58:59], v[48:49] op_sel_hi:[0,1]
	v_bfe_u32 v57, v43, 16, 1
	v_bfe_u32 v59, v42, 16, 1
	v_add3_u32 v42, v42, v59, s5
	v_add3_u32 v43, v43, v57, s5
	v_perm_b32 v60, v43, v42, s14
	v_bfe_u32 v42, v49, 16, 1
	v_bfe_u32 v43, v48, 16, 1
	v_add3_u32 v43, v48, v43, s5
	v_add3_u32 v42, v49, v42, s5
	v_perm_b32 v61, v42, v43, s14
	v_lshlrev_b32_e32 v42, 3, v50
	v_lshlrev_b32_e32 v43, 11, v52
	v_pk_mul_f32 v[46:47], v[58:59], v[46:47] op_sel_hi:[0,1]
	v_or3_b32 v42, v43, v54, v42
	v_bfe_u32 v43, v47, 16, 1
	v_bfe_u32 v48, v46, 16, 1
	v_pk_mul_f32 v[44:45], v[58:59], v[44:45] op_sel_hi:[0,1]
	v_add3_u32 v46, v46, v48, s5
	v_add3_u32 v43, v47, v43, s5
	v_perm_b32 v46, v43, v46, s14
	v_bfe_u32 v43, v45, 16, 1
	v_bfe_u32 v47, v44, 16, 1
	v_add3_u32 v44, v44, v47, s5
	v_add3_u32 v43, v45, v43, s5
	v_pk_mul_f32 v[40:41], v[58:59], v[40:41] op_sel_hi:[0,1]
	v_perm_b32 v47, v43, v44, s14
	v_bfe_u32 v43, v41, 16, 1
	v_bfe_u32 v44, v40, 16, 1
	v_pk_mul_f32 v[38:39], v[58:59], v[38:39] op_sel_hi:[0,1]
	v_add3_u32 v40, v40, v44, s5
	v_add3_u32 v41, v41, v43, s5
	v_perm_b32 v40, v41, v40, s14
	v_bfe_u32 v41, v39, 16, 1
	v_bfe_u32 v43, v38, 16, 1
	v_add3_u32 v38, v38, v43, s5
	v_add3_u32 v39, v39, v41, s5
	v_pk_mul_f32 v[36:37], v[58:59], v[36:37] op_sel_hi:[0,1]
	v_perm_b32 v41, v39, v38, s14
	v_bfe_u32 v38, v37, 16, 1
	v_bfe_u32 v39, v36, 16, 1
	v_pk_mul_f32 v[34:35], v[58:59], v[34:35] op_sel_hi:[0,1]
	v_add3_u32 v36, v36, v39, s5
	v_add3_u32 v37, v37, v38, s5
	v_perm_b32 v36, v37, v36, s14
	v_bfe_u32 v37, v35, 16, 1
	v_bfe_u32 v38, v34, 16, 1
	v_add3_u32 v34, v34, v38, s5
	v_add3_u32 v35, v35, v37, s5
	v_perm_b32 v37, v35, v34, s14
	v_cmp_eq_u32_e32 vcc, 0, v0
	ds_write2st64_b64 v42, v[60:61], v[46:47] offset1:1
	ds_write2st64_b64 v42, v[40:41], v[36:37] offset0:2 offset1:3
	s_and_saveexec_b64 s[12:13], vcc
	s_cbranch_execz .LBB464_17
; %bb.16:
	s_mul_i32 s3, s3, s11
	s_mul_hi_u32 s15, s2, s11
	s_add_i32 s15, s15, s3
	s_mul_i32 s3, s2, s11
	s_add_u32 s3, s3, s4
	s_addc_u32 s15, s15, 0
	s_load_dwordx4 s[16:19], s[0:1], 0x58
	s_mul_i32 s15, s15, s10
	s_mul_hi_u32 s20, s3, s10
	s_add_i32 s15, s20, s15
	s_mul_i32 s3, s3, s10
	s_add_u32 s20, s3, s30
	s_addc_u32 s21, s15, 0
	s_lshl_b64 s[20:21], s[20:21], 2
	s_waitcnt lgkmcnt(0)
	s_add_u32 s18, s18, s20
	s_addc_u32 s19, s19, s21
	s_add_u32 s16, s16, s20
	s_addc_u32 s17, s17, s21
	global_store_dword v56, v53, s[18:19]
	global_store_dword v56, v55, s[16:17]
.LBB464_17:
	s_or_b64 exec, exec, s[12:13]
	v_lshl_or_b32 v43, v50, 9, v54
	s_waitcnt lgkmcnt(0)
	s_barrier
	ds_read_b128 v[34:37], v43
	ds_read_b128 v[38:41], v43 offset:16
	s_waitcnt vmcnt(7) lgkmcnt(1)
	v_mfma_f32_16x16x16_bf16 v[44:47], v[6:7], v[34:35], 0
	v_cmp_gt_u32_e32 vcc, 64, v0
	s_and_b64 s[6:7], s[6:7], vcc
	s_mov_b32 s3, 0
	v_mfma_f32_16x16x16_bf16 v[6:9], v[8:9], v[36:37], v[44:47]
	s_and_b64 s[6:7], s[6:7], s[8:9]
	s_waitcnt vmcnt(6) lgkmcnt(0)
	v_mfma_f32_16x16x16_bf16 v[6:9], v[2:3], v[38:39], v[6:9]
	v_mfma_f32_16x16x16_bf16 v[2:5], v[4:5], v[40:41], v[6:9]
	s_nop 5
	ds_read_b128 v[6:9], v43 offset:2048
	ds_read_b128 v[34:37], v43 offset:2064
	s_waitcnt vmcnt(5) lgkmcnt(1)
	v_mfma_f32_16x16x16_bf16 v[2:5], v[30:31], v[6:7], v[2:5]
	v_mfma_f32_16x16x16_bf16 v[2:5], v[32:33], v[8:9], v[2:5]
	s_waitcnt vmcnt(4) lgkmcnt(0)
	v_mfma_f32_16x16x16_bf16 v[2:5], v[26:27], v[34:35], v[2:5]
	v_mfma_f32_16x16x16_bf16 v[2:5], v[28:29], v[36:37], v[2:5]
	ds_read_b128 v[6:9], v43 offset:4096
	ds_read_b128 v[26:29], v43 offset:4112
	s_waitcnt vmcnt(3) lgkmcnt(1)
	v_mfma_f32_16x16x16_bf16 v[2:5], v[22:23], v[6:7], v[2:5]
	v_mfma_f32_16x16x16_bf16 v[2:5], v[24:25], v[8:9], v[2:5]
	s_waitcnt vmcnt(2) lgkmcnt(0)
	v_mfma_f32_16x16x16_bf16 v[2:5], v[18:19], v[26:27], v[2:5]
	v_mfma_f32_16x16x16_bf16 v[2:5], v[20:21], v[28:29], v[2:5]
	ds_read_b128 v[6:9], v43 offset:6144
	ds_read_b128 v[18:21], v43 offset:6160
	s_waitcnt lgkmcnt(0)
	s_barrier
	s_waitcnt vmcnt(1)
	v_mfma_f32_16x16x16_bf16 v[2:5], v[14:15], v[6:7], v[2:5]
	v_mfma_f32_16x16x16_bf16 v[2:5], v[16:17], v[8:9], v[2:5]
	s_waitcnt vmcnt(0)
	v_mfma_f32_16x16x16_bf16 v[2:5], v[10:11], v[18:19], v[2:5]
	v_mfma_f32_16x16x16_bf16 v[2:5], v[12:13], v[20:21], v[2:5]
	s_nop 6
	v_bfe_u32 v6, v3, 16, 1
	v_bfe_u32 v7, v2, 16, 1
	;; [unrolled: 1-line block ×4, first 2 shown]
	v_add3_u32 v2, v2, v7, s5
	v_add3_u32 v3, v3, v6, s5
	;; [unrolled: 1-line block ×4, first 2 shown]
	v_perm_b32 v2, v3, v2, s14
	v_perm_b32 v3, v5, v4, s14
	ds_write_b64 v42, v[2:3]
	s_waitcnt lgkmcnt(0)
	s_barrier
	s_and_saveexec_b64 s[8:9], s[6:7]
	s_cbranch_execz .LBB464_19
; %bb.18:
	s_load_dwordx2 s[0:1], s[0:1], 0x68
	s_mul_i32 s2, s11, s2
	s_lshl_b32 s5, s10, 6
	s_mul_hi_u32 s7, s2, s5
	s_mul_i32 s6, s2, s5
	s_lshl_b64 s[6:7], s[6:7], 1
	v_lshlrev_b32_e32 v0, 10, v0
	s_waitcnt lgkmcnt(0)
	s_add_u32 s6, s0, s6
	v_and_b32_e32 v0, 0x1800, v0
	v_lshlrev_b32_e32 v2, 5, v50
	v_and_b32_e32 v3, 16, v51
	s_addc_u32 s7, s1, s7
	s_lshl_b32 s2, s30, 6
	v_or3_b32 v0, v0, v2, v3
	s_lshl_b64 s[0:1], s[2:3], 1
	ds_read_b128 v[2:5], v0
	s_add_u32 s2, s6, s0
	s_addc_u32 s3, s7, s1
	s_mul_hi_u32 s1, s5, s4
	s_mul_i32 s0, s5, s4
	s_lshl_b64 s[0:1], s[0:1], 1
	s_add_u32 s0, s2, s0
	s_addc_u32 s1, s3, s1
	s_waitcnt lgkmcnt(0)
	global_store_dwordx4 v1, v[2:5], s[0:1]
.LBB464_19:
	s_endpgm
	.section	.rodata,"a",@progbits
	.p2align	6, 0x0
	.amdhsa_kernel _Z39paged_attention_ll4mi_QKV_mfma16_kernelI14__hip_bfloat16S0_LN4vllm18Fp8KVCacheDataTypeE0ES0_Li16ELi64ELi256ELb1ELi1EEvPKT_PKT0_S8_ifPKiSA_SA_iPKfiiiPfSD_PS3_PT2_iSC_SC_
		.amdhsa_group_segment_fixed_size 8192
		.amdhsa_private_segment_fixed_size 0
		.amdhsa_kernarg_size 400
		.amdhsa_user_sgpr_count 2
		.amdhsa_user_sgpr_dispatch_ptr 0
		.amdhsa_user_sgpr_queue_ptr 0
		.amdhsa_user_sgpr_kernarg_segment_ptr 1
		.amdhsa_user_sgpr_dispatch_id 0
		.amdhsa_user_sgpr_kernarg_preload_length 0
		.amdhsa_user_sgpr_kernarg_preload_offset 0
		.amdhsa_user_sgpr_private_segment_size 0
		.amdhsa_uses_dynamic_stack 0
		.amdhsa_enable_private_segment 0
		.amdhsa_system_sgpr_workgroup_id_x 1
		.amdhsa_system_sgpr_workgroup_id_y 1
		.amdhsa_system_sgpr_workgroup_id_z 1
		.amdhsa_system_sgpr_workgroup_info 0
		.amdhsa_system_vgpr_workitem_id 0
		.amdhsa_next_free_vgpr 72
		.amdhsa_next_free_sgpr 48
		.amdhsa_accum_offset 72
		.amdhsa_reserve_vcc 1
		.amdhsa_float_round_mode_32 0
		.amdhsa_float_round_mode_16_64 0
		.amdhsa_float_denorm_mode_32 3
		.amdhsa_float_denorm_mode_16_64 3
		.amdhsa_dx10_clamp 1
		.amdhsa_ieee_mode 1
		.amdhsa_fp16_overflow 0
		.amdhsa_tg_split 0
		.amdhsa_exception_fp_ieee_invalid_op 0
		.amdhsa_exception_fp_denorm_src 0
		.amdhsa_exception_fp_ieee_div_zero 0
		.amdhsa_exception_fp_ieee_overflow 0
		.amdhsa_exception_fp_ieee_underflow 0
		.amdhsa_exception_fp_ieee_inexact 0
		.amdhsa_exception_int_div_zero 0
	.end_amdhsa_kernel
	.section	.text._Z39paged_attention_ll4mi_QKV_mfma16_kernelI14__hip_bfloat16S0_LN4vllm18Fp8KVCacheDataTypeE0ES0_Li16ELi64ELi256ELb1ELi1EEvPKT_PKT0_S8_ifPKiSA_SA_iPKfiiiPfSD_PS3_PT2_iSC_SC_,"axG",@progbits,_Z39paged_attention_ll4mi_QKV_mfma16_kernelI14__hip_bfloat16S0_LN4vllm18Fp8KVCacheDataTypeE0ES0_Li16ELi64ELi256ELb1ELi1EEvPKT_PKT0_S8_ifPKiSA_SA_iPKfiiiPfSD_PS3_PT2_iSC_SC_,comdat
.Lfunc_end464:
	.size	_Z39paged_attention_ll4mi_QKV_mfma16_kernelI14__hip_bfloat16S0_LN4vllm18Fp8KVCacheDataTypeE0ES0_Li16ELi64ELi256ELb1ELi1EEvPKT_PKT0_S8_ifPKiSA_SA_iPKfiiiPfSD_PS3_PT2_iSC_SC_, .Lfunc_end464-_Z39paged_attention_ll4mi_QKV_mfma16_kernelI14__hip_bfloat16S0_LN4vllm18Fp8KVCacheDataTypeE0ES0_Li16ELi64ELi256ELb1ELi1EEvPKT_PKT0_S8_ifPKiSA_SA_iPKfiiiPfSD_PS3_PT2_iSC_SC_
                                        ; -- End function
	.section	.AMDGPU.csdata,"",@progbits
; Kernel info:
; codeLenInByte = 4160
; NumSgprs: 54
; NumVgprs: 72
; NumAgprs: 0
; TotalNumVgprs: 72
; ScratchSize: 0
; MemoryBound: 0
; FloatMode: 240
; IeeeMode: 1
; LDSByteSize: 8192 bytes/workgroup (compile time only)
; SGPRBlocks: 6
; VGPRBlocks: 8
; NumSGPRsForWavesPerEU: 54
; NumVGPRsForWavesPerEU: 72
; AccumOffset: 72
; Occupancy: 7
; WaveLimiterHint : 1
; COMPUTE_PGM_RSRC2:SCRATCH_EN: 0
; COMPUTE_PGM_RSRC2:USER_SGPR: 2
; COMPUTE_PGM_RSRC2:TRAP_HANDLER: 0
; COMPUTE_PGM_RSRC2:TGID_X_EN: 1
; COMPUTE_PGM_RSRC2:TGID_Y_EN: 1
; COMPUTE_PGM_RSRC2:TGID_Z_EN: 1
; COMPUTE_PGM_RSRC2:TIDIG_COMP_CNT: 0
; COMPUTE_PGM_RSRC3_GFX90A:ACCUM_OFFSET: 17
; COMPUTE_PGM_RSRC3_GFX90A:TG_SPLIT: 0
	.section	.text._Z39paged_attention_ll4mi_QKV_mfma16_kernelI14__hip_bfloat16S0_LN4vllm18Fp8KVCacheDataTypeE0ES0_Li16ELi64ELi256ELb1ELi2EEvPKT_PKT0_S8_ifPKiSA_SA_iPKfiiiPfSD_PS3_PT2_iSC_SC_,"axG",@progbits,_Z39paged_attention_ll4mi_QKV_mfma16_kernelI14__hip_bfloat16S0_LN4vllm18Fp8KVCacheDataTypeE0ES0_Li16ELi64ELi256ELb1ELi2EEvPKT_PKT0_S8_ifPKiSA_SA_iPKfiiiPfSD_PS3_PT2_iSC_SC_,comdat
	.protected	_Z39paged_attention_ll4mi_QKV_mfma16_kernelI14__hip_bfloat16S0_LN4vllm18Fp8KVCacheDataTypeE0ES0_Li16ELi64ELi256ELb1ELi2EEvPKT_PKT0_S8_ifPKiSA_SA_iPKfiiiPfSD_PS3_PT2_iSC_SC_ ; -- Begin function _Z39paged_attention_ll4mi_QKV_mfma16_kernelI14__hip_bfloat16S0_LN4vllm18Fp8KVCacheDataTypeE0ES0_Li16ELi64ELi256ELb1ELi2EEvPKT_PKT0_S8_ifPKiSA_SA_iPKfiiiPfSD_PS3_PT2_iSC_SC_
	.globl	_Z39paged_attention_ll4mi_QKV_mfma16_kernelI14__hip_bfloat16S0_LN4vllm18Fp8KVCacheDataTypeE0ES0_Li16ELi64ELi256ELb1ELi2EEvPKT_PKT0_S8_ifPKiSA_SA_iPKfiiiPfSD_PS3_PT2_iSC_SC_
	.p2align	8
	.type	_Z39paged_attention_ll4mi_QKV_mfma16_kernelI14__hip_bfloat16S0_LN4vllm18Fp8KVCacheDataTypeE0ES0_Li16ELi64ELi256ELb1ELi2EEvPKT_PKT0_S8_ifPKiSA_SA_iPKfiiiPfSD_PS3_PT2_iSC_SC_,@function
_Z39paged_attention_ll4mi_QKV_mfma16_kernelI14__hip_bfloat16S0_LN4vllm18Fp8KVCacheDataTypeE0ES0_Li16ELi64ELi256ELb1ELi2EEvPKT_PKT0_S8_ifPKiSA_SA_iPKfiiiPfSD_PS3_PT2_iSC_SC_: ; @_Z39paged_attention_ll4mi_QKV_mfma16_kernelI14__hip_bfloat16S0_LN4vllm18Fp8KVCacheDataTypeE0ES0_Li16ELi64ELi256ELb1ELi2EEvPKT_PKT0_S8_ifPKiSA_SA_iPKfiiiPfSD_PS3_PT2_iSC_SC_
; %bb.0:
	s_load_dwordx2 s[8:9], s[0:1], 0x30
	s_mov_b32 s28, s3
	s_mov_b64 s[6:7], 0
	s_waitcnt lgkmcnt(0)
	s_cmp_lg_u64 s[8:9], 0
	s_cselect_b64 s[10:11], -1, 0
	s_and_b64 vcc, exec, s[10:11]
	s_cbranch_vccz .LBB465_7
; %bb.1:
	s_add_i32 s12, s2, 1
	s_mov_b32 s13, 0
	s_lshl_b64 s[14:15], s[12:13], 2
	s_add_u32 s14, s8, s14
	s_mov_b32 s3, s13
	s_addc_u32 s15, s9, s15
	s_lshl_b64 s[12:13], s[2:3], 2
	s_add_u32 s12, s8, s12
	s_addc_u32 s13, s9, s13
	s_load_dword s5, s[14:15], 0x0
	s_load_dword s16, s[12:13], 0x0
	s_waitcnt lgkmcnt(0)
	s_sub_i32 s5, s5, s16
	s_cmp_eq_u32 s5, 1
	s_cselect_b64 s[12:13], -1, 0
	s_andn2_b64 vcc, exec, s[6:7]
	s_cbranch_vccnz .LBB465_3
.LBB465_2:
	s_mov_b32 s3, 0
	s_mov_b64 s[12:13], -1
.LBB465_3:
	s_andn2_b64 vcc, exec, s[12:13]
	s_cbranch_vccnz .LBB465_19
; %bb.4:
	s_load_dwordx2 s[6:7], s[0:1], 0x28
	s_lshl_b64 s[12:13], s[2:3], 2
	s_waitcnt lgkmcnt(0)
	s_add_u32 s6, s6, s12
	s_addc_u32 s7, s7, s13
	s_load_dword s33, s[6:7], 0x0
	s_lshl_b32 s16, s28, 8
	s_waitcnt lgkmcnt(0)
	s_cmp_ge_i32 s16, s33
	s_cbranch_scc1 .LBB465_19
; %bb.5:
	s_load_dwordx2 s[6:7], s[0:1], 0x20
	s_load_dword s5, s[0:1], 0x38
	s_add_i32 s14, s33, 15
	s_ashr_i32 s15, s14, 31
	v_and_b32_e32 v1, 0xcf, v0
	s_lshr_b32 s15, s15, 28
	v_add_u32_e32 v1, s16, v1
	s_add_i32 s14, s14, s15
	v_ashrrev_i32_e32 v2, 31, v1
	s_ashr_i32 s17, s14, 4
	v_lshrrev_b32_e32 v6, 28, v2
	s_add_i32 s17, s17, -1
	s_waitcnt lgkmcnt(0)
	s_mul_i32 s14, s2, s5
	s_mov_b32 s15, 0
	v_add_u32_e32 v2, v1, v6
	s_lshl_b64 s[14:15], s[14:15], 2
	v_ashrrev_i32_e32 v2, 4, v2
	v_mov_b32_e32 v7, s17
	v_cmp_gt_i32_e32 vcc, s33, v1
	s_add_u32 s6, s6, s14
	s_addc_u32 s7, s7, s15
	v_cndmask_b32_e32 v2, v7, v2, vcc
	v_ashrrev_i32_e32 v3, 31, v2
	v_lshl_add_u64 v[4:5], v[2:3], 2, s[6:7]
	v_or_b32_e32 v2, 16, v1
	v_add_u32_e32 v3, v2, v6
	v_ashrrev_i32_e32 v3, 4, v3
	v_cmp_gt_i32_e32 vcc, s33, v2
	s_load_dwordx2 s[14:15], s[0:1], 0x8
	s_nop 0
	v_cndmask_b32_e32 v2, v7, v3, vcc
	v_ashrrev_i32_e32 v3, 31, v2
	v_lshl_add_u64 v[8:9], v[2:3], 2, s[6:7]
	v_or_b32_e32 v2, 32, v1
	v_add_u32_e32 v3, v2, v6
	v_ashrrev_i32_e32 v3, 4, v3
	v_cmp_gt_i32_e32 vcc, s33, v2
	v_or_b32_e32 v1, 48, v1
	s_nop 0
	v_cndmask_b32_e32 v2, v7, v3, vcc
	v_ashrrev_i32_e32 v3, 31, v2
	v_lshl_add_u64 v[10:11], v[2:3], 2, s[6:7]
	v_add_u32_e32 v2, v1, v6
	v_ashrrev_i32_e32 v2, 4, v2
	v_cmp_gt_i32_e32 vcc, s33, v1
	s_nop 1
	v_cndmask_b32_e32 v2, v7, v2, vcc
	v_ashrrev_i32_e32 v3, 31, v2
	v_lshl_add_u64 v[12:13], v[2:3], 2, s[6:7]
	global_load_dword v3, v[4:5], off
	global_load_dword v2, v[8:9], off
	;; [unrolled: 1-line block ×4, first 2 shown]
	s_andn2_b64 vcc, exec, s[10:11]
	s_cbranch_vccnz .LBB465_8
; %bb.6:
	s_add_u32 s8, s8, s12
	s_addc_u32 s9, s9, s13
	s_load_dword s5, s[8:9], 0x0
	s_branch .LBB465_9
.LBB465_7:
	s_mov_b64 s[12:13], 0
	s_branch .LBB465_2
.LBB465_8:
	s_mov_b32 s5, s2
.LBB465_9:
	s_load_dwordx2 s[8:9], s[0:1], 0x10
	s_load_dwordx4 s[44:47], s[0:1], 0x48
	v_lshrrev_b32_e32 v54, 6, v0
	v_bfe_u32 v1, v0, 4, 2
	v_lshl_or_b32 v4, v54, 2, v1
	v_and_b32_e32 v55, 15, v0
	v_lshlrev_b32_e32 v5, 3, v55
	v_cmp_gt_u32_e32 vcc, 2, v4
	v_cmp_gt_u32_e64 s[30:31], 8, v55
	s_lshl_b32 s29, s4, 1
	s_and_b64 s[12:13], s[30:31], vcc
	v_lshlrev_b32_e32 v42, 1, v5
	s_and_saveexec_b64 s[10:11], s[12:13]
	s_cbranch_execz .LBB465_11
; %bb.10:
	s_load_dwordx2 s[12:13], s[0:1], 0x0
	s_waitcnt lgkmcnt(0)
	s_ashr_i32 s18, s44, 31
	s_mul_hi_u32 s19, s5, s44
	s_mul_i32 s18, s5, s18
	s_add_i32 s19, s19, s18
	s_mul_i32 s18, s5, s44
	s_lshl_b64 s[18:19], s[18:19], 1
	s_add_u32 s12, s12, s18
	v_add_lshl_u32 v8, v1, s29, 6
	s_addc_u32 s13, s13, s19
	v_ashrrev_i32_e32 v9, 31, v8
	v_lshl_add_u64 v[8:9], v[8:9], 1, s[12:13]
	v_mov_b32_e32 v43, 0
	v_lshl_add_u64 v[8:9], v[8:9], 0, v[42:43]
	global_load_dwordx4 v[8:11], v[8:9], off
	v_and_b32_e32 v5, 3, v0
	v_lshlrev_b32_e32 v7, 9, v55
	v_lshlrev_b32_e32 v4, 5, v4
	;; [unrolled: 1-line block ×3, first 2 shown]
	v_and_b32_e32 v7, 0x1800, v7
	v_or3_b32 v4, v7, v5, v4
	s_waitcnt vmcnt(0)
	ds_write_b128 v4, v[8:11]
.LBB465_11:
	s_or_b64 exec, exec, s[10:11]
	s_waitcnt lgkmcnt(0)
	s_mul_i32 s4, s4, s46
	s_mov_b32 s5, 0
	s_lshl_b64 s[4:5], s[4:5], 1
	s_add_u32 s10, s14, s4
	v_lshlrev_b32_e32 v52, 4, v0
	s_addc_u32 s11, s15, s5
	v_and_b32_e32 v44, 0xf0, v52
	v_mov_b32_e32 v45, 0
	v_lshl_add_u64 v[16:17], s[10:11], 0, v[44:45]
	s_waitcnt vmcnt(3)
	v_mad_i64_i32 v[4:5], s[10:11], v3, s45, 0
	s_waitcnt vmcnt(2)
	v_mad_i64_i32 v[2:3], s[10:11], v2, s45, 0
	;; [unrolled: 2-line block ×3, first 2 shown]
	v_lshl_add_u64 v[4:5], v[4:5], 1, v[16:17]
	v_and_b32_e32 v44, 0x300, v52
	v_lshl_add_u64 v[2:3], v[2:3], 1, v[16:17]
	v_lshl_add_u64 v[6:7], v[6:7], 1, v[16:17]
	s_waitcnt vmcnt(0)
	v_mad_i64_i32 v[14:15], s[10:11], v14, s45, 0
	v_lshl_add_u64 v[4:5], v[4:5], 0, v[44:45]
	v_lshl_add_u64 v[8:9], v[2:3], 0, v[44:45]
	;; [unrolled: 1-line block ×4, first 2 shown]
	s_barrier
	global_load_dwordx4 v[30:33], v[4:5], off
	global_load_dwordx4 v[10:13], v[4:5], off offset:1024
	global_load_dwordx4 v[22:25], v[8:9], off
	s_nop 0
	global_load_dwordx4 v[2:5], v[8:9], off offset:1024
	global_load_dwordx4 v[26:29], v[18:19], off
	s_nop 0
	global_load_dwordx4 v[6:9], v[18:19], off offset:1024
	v_lshl_add_u64 v[18:19], v[14:15], 0, v[44:45]
	global_load_dwordx4 v[34:37], v[18:19], off
	global_load_dwordx4 v[14:17], v[18:19], off offset:1024
	v_and_b32_e32 v18, 1, v0
	v_lshlrev_b32_e32 v18, 5, v18
	v_lshl_or_b32 v18, v1, 9, v18
	ds_read_b128 v[38:41], v18
	ds_read_b128 v[18:21], v18 offset:2048
	v_and_b32_e32 v53, 63, v0
	v_cmp_gt_u32_e32 vcc, 2, v55
	v_mov_b32_e32 v56, 0
	s_and_saveexec_b64 s[10:11], vcc
	s_cbranch_execz .LBB465_13
; %bb.12:
	s_load_dwordx2 s[12:13], s[0:1], 0x40
	v_or_b32_e32 v46, s29, v55
	v_ashrrev_i32_e32 v47, 31, v46
	s_waitcnt lgkmcnt(0)
	v_lshl_add_u64 v[46:47], v[46:47], 2, s[12:13]
	global_load_dword v56, v[46:47], off
.LBB465_13:
	s_or_b64 exec, exec, s[10:11]
	v_and_or_b32 v44, v0, 48, s16
	v_ashrrev_i32_e32 v43, 4, v44
	v_mov_b32_e32 v57, s17
	v_cmp_gt_i32_e32 vcc, s33, v44
	s_waitcnt vmcnt(5) lgkmcnt(1)
	v_mfma_f32_16x16x16_bf16 v[58:61], v[22:23], v[38:39], 0
	s_load_dword s10, s[0:1], 0x1c
	v_cndmask_b32_e32 v46, v57, v43, vcc
	v_ashrrev_i32_e32 v47, 31, v46
	v_or_b32_e32 v43, 64, v44
	v_lshl_add_u64 v[50:51], v[46:47], 2, s[6:7]
	v_mfma_f32_16x16x16_bf16 v[46:49], v[30:31], v[38:39], 0
	v_ashrrev_i32_e32 v30, 4, v43
	v_cmp_gt_i32_e32 vcc, s33, v43
	global_load_dword v70, v[50:51], off
	s_waitcnt vmcnt(4)
	v_mfma_f32_16x16x16_bf16 v[62:65], v[26:27], v[38:39], 0
	v_cndmask_b32_e32 v30, v57, v30, vcc
	v_ashrrev_i32_e32 v31, 31, v30
	v_lshl_add_u64 v[22:23], v[30:31], 2, s[6:7]
	global_load_dword v71, v[22:23], off
	v_mfma_f32_16x16x16_bf16 v[22:25], v[24:25], v[40:41], v[58:61]
	v_and_b32_e32 v26, 0xc0, v0
	s_add_u32 s4, s8, s4
	v_lshlrev_b32_e32 v43, 5, v55
	v_mfma_f32_16x16x16_bf16 v[30:33], v[32:33], v[40:41], v[46:49]
	s_addc_u32 s5, s9, s5
	s_mov_b32 s42, 0xff7fffff
	s_waitcnt vmcnt(3)
	v_mfma_f32_16x16x16_bf16 v[66:69], v[34:35], v[38:39], 0
	v_or_b32_e32 v38, 0x80, v44
	v_add_u32_e32 v46, s16, v26
	v_or_b32_e32 v39, 0xc0, v44
	v_mfma_f32_16x16x16_bf16 v[26:29], v[28:29], v[40:41], v[62:65]
	v_ashrrev_i32_e32 v47, 4, v38
	v_cmp_gt_i32_e32 vcc, s33, v38
	v_ashrrev_i32_e32 v48, 4, v39
	s_waitcnt lgkmcnt(0)
	v_mfma_f32_16x16x16_bf16 v[22:25], v[2:3], v[18:19], v[22:25]
	v_cndmask_b32_e32 v38, v57, v47, vcc
	v_cmp_gt_i32_e32 vcc, s33, v39
	v_ashrrev_i32_e32 v39, 31, v38
	v_mfma_f32_16x16x16_bf16 v[30:33], v[10:11], v[18:19], v[30:33]
	v_cndmask_b32_e32 v10, v57, v48, vcc
	v_ashrrev_i32_e32 v11, 31, v10
	v_lshl_or_b32 v58, v1, 2, v46
	v_mfma_f32_16x16x16_bf16 v[26:29], v[6:7], v[18:19], v[26:29]
	v_lshl_add_u64 v[6:7], v[38:39], 2, s[6:7]
	v_lshl_add_u64 v[38:39], v[10:11], 2, s[6:7]
	v_or_b32_e32 v57, 1, v58
	v_mfma_f32_16x16x16_bf16 v[2:5], v[4:5], v[20:21], v[22:25]
	s_nop 2
	global_load_dword v22, v[6:7], off
	global_load_dword v61, v[38:39], off
	v_subrev_u32_e32 v59, s33, v57
	v_cvt_f32_i32_e32 v60, v59
	v_mfma_f32_16x16x16_bf16 v[34:37], v[36:37], v[40:41], v[66:69]
	v_pk_mul_f32 v[46:47], s[10:11], v[4:5] op_sel_hi:[0,1]
	v_lshl_or_b32 v44, v54, 9, v43
	v_lshl_add_u64 v[44:45], s[4:5], 0, v[44:45]
	s_waitcnt vmcnt(4)
	v_mfma_f32_16x16x16_bf16 v[34:37], v[14:15], v[18:19], v[34:37]
	v_add_u32_e32 v14, 1, v59
	v_add_u32_e32 v15, 2, v59
	v_cvt_f32_i32_e32 v23, v14
	v_cvt_f32_i32_e32 v24, v15
	v_mfma_f32_16x16x16_bf16 v[14:17], v[16:17], v[20:21], v[34:37]
	v_add_u32_e32 v18, 3, v59
	v_cvt_f32_i32_e32 v18, v18
	v_pk_mul_f32 v[48:49], s[10:11], v[2:3] op_sel_hi:[0,1]
	v_mfma_f32_16x16x16_bf16 v[10:13], v[12:13], v[20:21], v[30:33]
	v_cmp_gt_i32_e64 s[34:35], s33, v57
	s_nop 1
	v_pk_mul_f32 v[36:37], s[10:11], v[14:15] op_sel_hi:[0,1]
	v_add_u32_e32 v15, 19, v59
	v_add_u32_e32 v31, 18, v59
	v_cvt_f32_i32_e32 v14, v31
	v_cvt_f32_i32_e32 v15, v15
	v_mfma_f32_16x16x16_bf16 v[6:9], v[8:9], v[20:21], v[26:29]
	v_pk_mul_f32 v[34:35], s[10:11], v[16:17] op_sel_hi:[0,1]
	v_fma_f32 v46, v56, v14, v46
	v_add_u32_e32 v14, 32, v59
	v_fmac_f32_e32 v47, v56, v15
	v_cvt_f32_i32_e32 v14, v14
	v_add_u32_e32 v15, 33, v59
	v_add_u32_e32 v16, 34, v59
	v_cvt_f32_i32_e32 v15, v15
	v_cvt_f32_i32_e32 v16, v16
	v_add_u32_e32 v17, 35, v59
	v_cvt_f32_i32_e32 v17, v17
	v_pk_mul_f32 v[40:41], s[10:11], v[6:7] op_sel_hi:[0,1]
	v_pk_mul_f32 v[38:39], s[10:11], v[8:9] op_sel_hi:[0,1]
	v_fma_f32 v40, v56, v14, v40
	v_add_u32_e32 v14, 48, v59
	v_fmac_f32_e32 v41, v56, v15
	v_fma_f32 v38, v56, v16, v38
	v_cvt_f32_i32_e32 v14, v14
	v_add_u32_e32 v15, 49, v59
	v_add_u32_e32 v16, 50, v59
	v_fmac_f32_e32 v39, v56, v17
	v_cvt_f32_i32_e32 v15, v15
	v_cvt_f32_i32_e32 v16, v16
	v_add_u32_e32 v17, 51, v59
	v_cvt_f32_i32_e32 v17, v17
	v_pk_mul_f32 v[50:51], s[10:11], v[12:13] op_sel_hi:[0,1]
	v_pk_mul_f32 v[10:11], s[10:11], v[10:11] op_sel_hi:[0,1]
	s_waitcnt vmcnt(3)
	v_mad_i64_i32 v[2:3], s[4:5], v70, s45, 0
	s_waitcnt vmcnt(2)
	v_mad_i64_i32 v[12:13], s[4:5], v71, s45, 0
	v_fma_f32 v10, v56, v60, v10
	v_fmac_f32_e32 v11, v56, v23
	v_fma_f32 v36, v56, v14, v36
	v_mov_b32_e32 v14, 0xff7fffff
	v_cmp_gt_i32_e64 s[4:5], s33, v58
	v_add_u32_e32 v19, 16, v59
	v_add_u32_e32 v30, 17, v59
	v_fmac_f32_e32 v37, v56, v15
	v_fma_f32 v34, v56, v16, v34
	v_cndmask_b32_e64 v15, v14, v10, s[4:5]
	v_cndmask_b32_e64 v16, v14, v11, s[34:35]
	v_cvt_f32_i32_e32 v19, v19
	v_cvt_f32_i32_e32 v25, v30
	v_fmac_f32_e32 v35, v56, v17
	v_max3_f32 v15, v15, s42, v16
	v_or_b32_e32 v16, 2, v58
	v_or_b32_e32 v17, 3, v58
	v_fma_f32 v50, v56, v24, v50
	v_fmac_f32_e32 v51, v56, v18
	v_cmp_gt_i32_e64 s[36:37], s33, v16
	v_cmp_gt_i32_e64 s[38:39], s33, v17
	v_fma_f32 v48, v56, v19, v48
	v_cndmask_b32_e64 v16, v14, v50, s[36:37]
	v_cndmask_b32_e64 v17, v14, v51, s[38:39]
	v_max3_f32 v15, v15, v16, v17
	v_or_b32_e32 v16, 16, v58
	v_or_b32_e32 v17, 17, v58
	v_fmac_f32_e32 v49, v56, v25
	v_cmp_gt_i32_e64 s[24:25], s33, v16
	v_cmp_gt_i32_e64 s[26:27], s33, v17
	v_lshl_add_u64 v[2:3], v[2:3], 1, v[44:45]
	v_cndmask_b32_e64 v16, v14, v48, s[24:25]
	v_cndmask_b32_e64 v17, v14, v49, s[26:27]
	v_max3_f32 v15, v15, v16, v17
	v_or_b32_e32 v16, 18, v58
	v_or_b32_e32 v17, 19, v58
	v_cmp_gt_i32_e64 s[20:21], s33, v16
	v_cmp_gt_i32_e64 s[22:23], s33, v17
	v_lshl_add_u64 v[12:13], v[12:13], 1, v[44:45]
	v_cndmask_b32_e64 v16, v14, v46, s[20:21]
	v_cndmask_b32_e64 v17, v14, v47, s[22:23]
	v_max3_f32 v15, v15, v16, v17
	v_or_b32_e32 v16, 32, v58
	v_or_b32_e32 v17, 33, v58
	v_cmp_gt_i32_e64 s[16:17], s33, v16
	v_cmp_gt_i32_e64 s[18:19], s33, v17
	global_load_dwordx4 v[6:9], v[2:3], off
	s_nop 0
	global_load_dwordx4 v[2:5], v[2:3], off offset:16
	v_cndmask_b32_e64 v16, v14, v40, s[16:17]
	v_cndmask_b32_e64 v17, v14, v41, s[18:19]
	v_max3_f32 v15, v15, v16, v17
	v_or_b32_e32 v16, 34, v58
	v_or_b32_e32 v17, 35, v58
	v_cmp_gt_i32_e64 s[12:13], s33, v16
	v_cmp_gt_i32_e64 s[14:15], s33, v17
	global_load_dwordx4 v[30:33], v[12:13], off
	global_load_dwordx4 v[26:29], v[12:13], off offset:16
	v_cndmask_b32_e64 v16, v14, v38, s[12:13]
	v_cndmask_b32_e64 v17, v14, v39, s[14:15]
	v_max3_f32 v15, v15, v16, v17
	v_or_b32_e32 v16, 48, v58
	v_or_b32_e32 v17, 49, v58
	v_cmp_gt_i32_e64 s[8:9], s33, v16
	v_cmp_gt_i32_e64 s[10:11], s33, v17
	s_nop 0
	v_cndmask_b32_e64 v16, v14, v36, s[8:9]
	v_cndmask_b32_e64 v17, v14, v37, s[10:11]
	v_max3_f32 v15, v15, v16, v17
	v_or_b32_e32 v16, 50, v58
	v_or_b32_e32 v17, 51, v58
	v_cmp_gt_i32_e32 vcc, s33, v16
	v_cmp_gt_i32_e64 s[6:7], s33, v17
	s_nop 0
	v_cndmask_b32_e32 v16, v14, v34, vcc
	v_cndmask_b32_e64 v14, v14, v35, s[6:7]
	v_max3_f32 v14, v15, v16, v14
	v_mbcnt_lo_u32_b32 v15, -1, 0
	v_mbcnt_hi_u32_b32 v15, -1, v15
	v_and_b32_e32 v16, 64, v15
	v_add_u32_e32 v16, 64, v16
	v_xor_b32_e32 v17, 32, v15
	v_cmp_lt_i32_e64 s[40:41], v17, v16
	s_nop 1
	v_cndmask_b32_e64 v17, v15, v17, s[40:41]
	v_lshlrev_b32_e32 v57, 2, v17
	ds_bpermute_b32 v17, v57, v14
	s_waitcnt vmcnt(5)
	v_mad_i64_i32 v[12:13], s[40:41], v22, s45, 0
	v_lshl_add_u64 v[12:13], v[12:13], 1, v[44:45]
	global_load_dwordx4 v[22:25], v[12:13], off
	global_load_dwordx4 v[18:21], v[12:13], off offset:16
	s_waitcnt lgkmcnt(0)
	v_max_f32_e32 v17, v17, v17
	v_max_f32_e32 v14, v14, v17
	v_xor_b32_e32 v17, 16, v15
	v_cmp_lt_i32_e64 s[40:41], v17, v16
	s_nop 1
	v_cndmask_b32_e64 v15, v15, v17, s[40:41]
	v_lshlrev_b32_e32 v59, 2, v15
	ds_bpermute_b32 v15, v59, v14
	s_waitcnt vmcnt(6)
	v_mad_i64_i32 v[12:13], s[40:41], v61, s45, 0
	v_lshl_add_u64 v[12:13], v[12:13], 1, v[44:45]
	s_waitcnt lgkmcnt(0)
	v_max_f32_e32 v15, v15, v15
	v_max_f32_e32 v56, v14, v15
	v_sub_f32_e32 v10, v10, v56
	v_mul_f32_e32 v10, 0x3fb8aa3b, v10
	v_exp_f32_e32 v44, v10
	v_sub_f32_e32 v10, v11, v56
	v_mul_f32_e32 v10, 0x3fb8aa3b, v10
	v_exp_f32_e32 v45, v10
	global_load_dwordx4 v[14:17], v[12:13], off
	s_nop 0
	global_load_dwordx4 v[10:13], v[12:13], off offset:16
	v_sub_f32_e32 v50, v50, v56
	v_mul_f32_e32 v50, 0x3fb8aa3b, v50
	v_sub_f32_e32 v51, v51, v56
	v_exp_f32_e32 v50, v50
	v_mul_f32_e32 v51, 0x3fb8aa3b, v51
	v_sub_f32_e32 v48, v48, v56
	v_exp_f32_e32 v51, v51
	v_mul_f32_e32 v48, 0x3fb8aa3b, v48
	v_sub_f32_e32 v49, v49, v56
	v_cndmask_b32_e64 v44, 0, v44, s[4:5]
	v_exp_f32_e32 v48, v48
	v_mul_f32_e32 v49, 0x3fb8aa3b, v49
	v_sub_f32_e32 v46, v46, v56
	v_add_f32_e32 v58, 0, v44
	v_cndmask_b32_e64 v45, 0, v45, s[34:35]
	v_exp_f32_e32 v49, v49
	v_mul_f32_e32 v46, 0x3fb8aa3b, v46
	v_sub_f32_e32 v47, v47, v56
	v_add_f32_e32 v58, v58, v45
	;; [unrolled: 5-line block ×10, first 2 shown]
	v_cndmask_b32_e64 v38, 0, v38, s[12:13]
	v_exp_f32_e32 v34, v34
	v_mul_f32_e32 v35, 0x3fb8aa3b, v35
	v_add_f32_e32 v58, v58, v38
	v_cndmask_b32_e64 v39, 0, v39, s[14:15]
	v_exp_f32_e32 v35, v35
	v_add_f32_e32 v58, v58, v39
	v_cndmask_b32_e64 v36, 0, v36, s[8:9]
	v_add_f32_e32 v58, v58, v36
	v_cndmask_b32_e64 v37, 0, v37, s[10:11]
	v_add_f32_e32 v58, v58, v37
	v_cndmask_b32_e32 v34, 0, v34, vcc
	v_add_f32_e32 v58, v58, v34
	v_cndmask_b32_e64 v35, 0, v35, s[6:7]
	v_add_f32_e32 v58, v58, v35
	ds_bpermute_b32 v57, v57, v58
	s_load_dword s7, s[0:1], 0x98
	v_cmp_gt_u32_e32 vcc, 16, v53
	s_waitcnt lgkmcnt(0)
	s_barrier
	v_add_f32_e32 v58, v58, v57
	ds_bpermute_b32 v59, v59, v58
	v_lshlrev_b32_e32 v57, 2, v55
	s_waitcnt lgkmcnt(0)
	s_and_saveexec_b64 s[4:5], vcc
	s_cbranch_execz .LBB465_15
; %bb.14:
	v_add_f32_e32 v55, v58, v59
	v_lshl_or_b32 v58, v54, 6, v57
	ds_write2st64_b32 v58, v56, v55 offset1:1
.LBB465_15:
	s_or_b64 exec, exec, s[4:5]
	s_load_dword s6, s[0:1], 0x94
	s_waitcnt lgkmcnt(0)
	s_barrier
	ds_read2_b32 v[58:59], v57 offset1:16
	ds_read2_b32 v[60:61], v57 offset0:32 offset1:48
	ds_read2_b32 v[62:63], v57 offset0:64 offset1:80
	s_movk_i32 s8, 0x7fff
	s_mov_b32 s9, 0x7060302
	s_waitcnt lgkmcnt(2)
	v_max3_f32 v55, v58, s42, v59
	s_waitcnt lgkmcnt(1)
	v_max3_f32 v55, v55, v60, v61
	v_sub_f32_e32 v56, v58, v55
	v_mul_f32_e32 v56, 0x3fb8aa3b, v56
	v_exp_f32_e32 v64, v56
	v_sub_f32_e32 v56, v59, v55
	v_mul_f32_e32 v56, 0x3fb8aa3b, v56
	v_exp_f32_e32 v65, v56
	;; [unrolled: 3-line block ×3, first 2 shown]
	ds_read2_b32 v[58:59], v57 offset0:96 offset1:112
	v_sub_f32_e32 v56, v61, v55
	v_mul_f32_e32 v56, 0x3fb8aa3b, v56
	v_exp_f32_e32 v57, v56
	s_waitcnt lgkmcnt(1)
	v_fma_f32 v56, v64, v62, 0
	v_fmac_f32_e32 v56, v65, v63
	s_waitcnt lgkmcnt(0)
	v_fmac_f32_e32 v56, v60, v58
	v_fmac_f32_e32 v56, v57, v59
	v_add_f32_e32 v58, 0x358637bd, v56
	v_div_scale_f32 v59, s[4:5], v58, v58, 1.0
	v_rcp_f32_e32 v61, v59
	s_lshl_b32 s7, s7, 1
	s_barrier
	v_fma_f32 v62, -v59, v61, 1.0
	v_fmac_f32_e32 v61, v62, v61
	v_div_scale_f32 v62, vcc, 1.0, v58, 1.0
	v_mul_f32_e32 v63, v62, v61
	v_fma_f32 v66, -v59, v63, v62
	v_fmac_f32_e32 v63, v66, v61
	v_fma_f32 v59, -v59, v63, v62
	v_div_fmas_f32 v59, v59, v61, v63
	v_cmp_eq_u32_e32 vcc, 1, v54
	v_div_fixup_f32 v58, v59, v58, 1.0
	s_nop 0
	v_cndmask_b32_e32 v59, v64, v65, vcc
	v_cmp_eq_u32_e32 vcc, 2, v54
	s_nop 1
	v_cndmask_b32_e32 v59, v59, v60, vcc
	v_cmp_eq_u32_e32 vcc, 3, v54
	s_nop 1
	v_cndmask_b32_e32 v57, v59, v57, vcc
	v_mul_f32_e32 v58, v57, v58
	v_pk_mul_f32 v[44:45], v[58:59], v[44:45] op_sel_hi:[0,1]
	v_pk_mul_f32 v[50:51], v[58:59], v[50:51] op_sel_hi:[0,1]
	v_bfe_u32 v57, v45, 16, 1
	v_bfe_u32 v59, v44, 16, 1
	v_add3_u32 v44, v44, v59, s8
	v_add3_u32 v45, v45, v57, s8
	v_perm_b32 v60, v45, v44, s9
	v_bfe_u32 v44, v51, 16, 1
	v_bfe_u32 v45, v50, 16, 1
	v_add3_u32 v45, v50, v45, s8
	v_add3_u32 v44, v51, v44, s8
	v_perm_b32 v61, v44, v45, s9
	v_lshlrev_b32_e32 v44, 3, v1
	v_lshlrev_b32_e32 v45, 11, v54
	v_pk_mul_f32 v[48:49], v[58:59], v[48:49] op_sel_hi:[0,1]
	v_or3_b32 v44, v45, v43, v44
	v_bfe_u32 v45, v49, 16, 1
	v_bfe_u32 v50, v48, 16, 1
	v_pk_mul_f32 v[46:47], v[58:59], v[46:47] op_sel_hi:[0,1]
	v_add3_u32 v48, v48, v50, s8
	v_add3_u32 v45, v49, v45, s8
	v_perm_b32 v48, v45, v48, s9
	v_bfe_u32 v45, v47, 16, 1
	v_bfe_u32 v49, v46, 16, 1
	v_add3_u32 v46, v46, v49, s8
	v_add3_u32 v45, v47, v45, s8
	v_pk_mul_f32 v[40:41], v[58:59], v[40:41] op_sel_hi:[0,1]
	v_perm_b32 v49, v45, v46, s9
	v_bfe_u32 v45, v41, 16, 1
	v_bfe_u32 v46, v40, 16, 1
	v_pk_mul_f32 v[38:39], v[58:59], v[38:39] op_sel_hi:[0,1]
	v_add3_u32 v40, v40, v46, s8
	v_add3_u32 v41, v41, v45, s8
	v_perm_b32 v40, v41, v40, s9
	v_bfe_u32 v41, v39, 16, 1
	v_bfe_u32 v45, v38, 16, 1
	v_add3_u32 v38, v38, v45, s8
	v_add3_u32 v39, v39, v41, s8
	v_pk_mul_f32 v[36:37], v[58:59], v[36:37] op_sel_hi:[0,1]
	v_perm_b32 v41, v39, v38, s9
	v_bfe_u32 v38, v37, 16, 1
	v_bfe_u32 v39, v36, 16, 1
	v_pk_mul_f32 v[34:35], v[58:59], v[34:35] op_sel_hi:[0,1]
	v_add3_u32 v36, v36, v39, s8
	v_add3_u32 v37, v37, v38, s8
	v_perm_b32 v36, v37, v36, s9
	v_bfe_u32 v37, v35, 16, 1
	v_bfe_u32 v38, v34, 16, 1
	v_add3_u32 v34, v34, v38, s8
	v_add3_u32 v35, v35, v37, s8
	v_perm_b32 v37, v35, v34, s9
	v_cmp_gt_u32_e32 vcc, 2, v0
	ds_write2st64_b64 v44, v[60:61], v[48:49] offset1:1
	ds_write2st64_b64 v44, v[40:41], v[36:37] offset0:2 offset1:3
	s_and_saveexec_b64 s[4:5], vcc
	s_cbranch_execz .LBB465_17
; %bb.16:
	v_or_b32_e32 v34, s29, v0
	v_mov_b32_e32 v35, 0
	v_mov_b32_e32 v36, s7
	v_mad_u64_u32 v[36:37], s[10:11], s2, v36, v[34:35]
	v_mov_b32_e32 v34, s28
	s_load_dwordx4 s[12:15], s[0:1], 0x58
	s_mul_i32 s3, s3, s7
	v_mad_u64_u32 v[34:35], s[10:11], v36, s6, v[34:35]
	v_add_u32_e32 v37, s3, v37
	v_mov_b32_e32 v36, v35
	v_mad_u64_u32 v[36:37], s[10:11], v37, s6, v[36:37]
	v_mov_b32_e32 v35, v36
	v_lshlrev_b64 v[34:35], 2, v[34:35]
	s_waitcnt lgkmcnt(0)
	v_lshl_add_u64 v[36:37], s[14:15], 0, v[34:35]
	v_lshl_add_u64 v[34:35], s[12:13], 0, v[34:35]
	global_store_dword v[36:37], v55, off
	global_store_dword v[34:35], v56, off
.LBB465_17:
	s_or_b64 exec, exec, s[4:5]
	v_lshl_or_b32 v43, v1, 9, v43
	s_waitcnt lgkmcnt(0)
	s_barrier
	ds_read_b128 v[34:37], v43
	ds_read_b128 v[38:41], v43 offset:16
	s_waitcnt vmcnt(7) lgkmcnt(1)
	v_mfma_f32_16x16x16_bf16 v[46:49], v[6:7], v[34:35], 0
	v_cmp_gt_u32_e32 vcc, 64, v0
	v_cmp_gt_u32_e64 s[4:5], 32, v53
	s_and_b64 s[4:5], s[4:5], vcc
	v_mfma_f32_16x16x16_bf16 v[6:9], v[8:9], v[36:37], v[46:49]
	s_mov_b32 s3, 0
	s_and_b64 s[4:5], s[4:5], s[30:31]
	s_waitcnt vmcnt(6) lgkmcnt(0)
	v_mfma_f32_16x16x16_bf16 v[6:9], v[2:3], v[38:39], v[6:9]
	v_mfma_f32_16x16x16_bf16 v[2:5], v[4:5], v[40:41], v[6:9]
	s_nop 5
	ds_read_b128 v[6:9], v43 offset:2048
	ds_read_b128 v[34:37], v43 offset:2064
	s_waitcnt vmcnt(5) lgkmcnt(1)
	v_mfma_f32_16x16x16_bf16 v[2:5], v[30:31], v[6:7], v[2:5]
	v_mfma_f32_16x16x16_bf16 v[2:5], v[32:33], v[8:9], v[2:5]
	s_waitcnt vmcnt(4) lgkmcnt(0)
	v_mfma_f32_16x16x16_bf16 v[2:5], v[26:27], v[34:35], v[2:5]
	v_mfma_f32_16x16x16_bf16 v[2:5], v[28:29], v[36:37], v[2:5]
	ds_read_b128 v[6:9], v43 offset:4096
	ds_read_b128 v[26:29], v43 offset:4112
	s_waitcnt vmcnt(3) lgkmcnt(1)
	v_mfma_f32_16x16x16_bf16 v[2:5], v[22:23], v[6:7], v[2:5]
	v_mfma_f32_16x16x16_bf16 v[2:5], v[24:25], v[8:9], v[2:5]
	s_waitcnt vmcnt(2) lgkmcnt(0)
	v_mfma_f32_16x16x16_bf16 v[2:5], v[18:19], v[26:27], v[2:5]
	v_mfma_f32_16x16x16_bf16 v[2:5], v[20:21], v[28:29], v[2:5]
	ds_read_b128 v[6:9], v43 offset:6144
	ds_read_b128 v[18:21], v43 offset:6160
	v_mov_b32_e32 v43, 0
	s_waitcnt vmcnt(1) lgkmcnt(0)
	v_mfma_f32_16x16x16_bf16 v[2:5], v[14:15], v[6:7], v[2:5]
	s_barrier
	v_mfma_f32_16x16x16_bf16 v[2:5], v[16:17], v[8:9], v[2:5]
	s_waitcnt vmcnt(0)
	v_mfma_f32_16x16x16_bf16 v[2:5], v[10:11], v[18:19], v[2:5]
	v_mfma_f32_16x16x16_bf16 v[2:5], v[12:13], v[20:21], v[2:5]
	s_nop 6
	v_bfe_u32 v6, v3, 16, 1
	v_bfe_u32 v7, v2, 16, 1
	;; [unrolled: 1-line block ×4, first 2 shown]
	v_add3_u32 v2, v2, v7, s8
	v_add3_u32 v3, v3, v6, s8
	;; [unrolled: 1-line block ×4, first 2 shown]
	v_perm_b32 v2, v3, v2, s9
	v_perm_b32 v3, v5, v4, s9
	ds_write_b64 v44, v[2:3]
	s_waitcnt lgkmcnt(0)
	s_barrier
	s_and_saveexec_b64 s[8:9], s[4:5]
	s_cbranch_execz .LBB465_19
; %bb.18:
	s_load_dwordx2 s[0:1], s[0:1], 0x68
	s_mul_i32 s2, s7, s2
	s_lshl_b32 s6, s6, 6
	s_mul_hi_u32 s5, s2, s6
	s_mul_i32 s4, s2, s6
	v_lshlrev_b32_e32 v0, 10, v0
	s_lshl_b64 s[4:5], s[4:5], 1
	v_and_b32_e32 v0, 0x1800, v0
	v_lshlrev_b32_e32 v2, 5, v1
	v_and_b32_e32 v3, 16, v52
	s_waitcnt lgkmcnt(0)
	s_add_u32 s4, s0, s4
	v_or3_b32 v0, v0, v2, v3
	s_addc_u32 s5, s1, s5
	s_lshl_b32 s2, s28, 6
	ds_read_b128 v[2:5], v0
	s_lshl_b64 s[0:1], s[2:3], 1
	s_add_u32 s0, s4, s0
	v_or_b32_e32 v0, s29, v1
	s_addc_u32 s1, s5, s1
	v_mad_u64_u32 v[0:1], s[2:3], s6, v0, 0
	v_lshl_add_u64 v[0:1], v[0:1], 1, s[0:1]
	v_lshl_add_u64 v[0:1], v[0:1], 0, v[42:43]
	s_waitcnt lgkmcnt(0)
	global_store_dwordx4 v[0:1], v[2:5], off
.LBB465_19:
	s_endpgm
	.section	.rodata,"a",@progbits
	.p2align	6, 0x0
	.amdhsa_kernel _Z39paged_attention_ll4mi_QKV_mfma16_kernelI14__hip_bfloat16S0_LN4vllm18Fp8KVCacheDataTypeE0ES0_Li16ELi64ELi256ELb1ELi2EEvPKT_PKT0_S8_ifPKiSA_SA_iPKfiiiPfSD_PS3_PT2_iSC_SC_
		.amdhsa_group_segment_fixed_size 8192
		.amdhsa_private_segment_fixed_size 0
		.amdhsa_kernarg_size 400
		.amdhsa_user_sgpr_count 2
		.amdhsa_user_sgpr_dispatch_ptr 0
		.amdhsa_user_sgpr_queue_ptr 0
		.amdhsa_user_sgpr_kernarg_segment_ptr 1
		.amdhsa_user_sgpr_dispatch_id 0
		.amdhsa_user_sgpr_kernarg_preload_length 0
		.amdhsa_user_sgpr_kernarg_preload_offset 0
		.amdhsa_user_sgpr_private_segment_size 0
		.amdhsa_uses_dynamic_stack 0
		.amdhsa_enable_private_segment 0
		.amdhsa_system_sgpr_workgroup_id_x 1
		.amdhsa_system_sgpr_workgroup_id_y 1
		.amdhsa_system_sgpr_workgroup_id_z 1
		.amdhsa_system_sgpr_workgroup_info 0
		.amdhsa_system_vgpr_workitem_id 0
		.amdhsa_next_free_vgpr 72
		.amdhsa_next_free_sgpr 48
		.amdhsa_accum_offset 72
		.amdhsa_reserve_vcc 1
		.amdhsa_float_round_mode_32 0
		.amdhsa_float_round_mode_16_64 0
		.amdhsa_float_denorm_mode_32 3
		.amdhsa_float_denorm_mode_16_64 3
		.amdhsa_dx10_clamp 1
		.amdhsa_ieee_mode 1
		.amdhsa_fp16_overflow 0
		.amdhsa_tg_split 0
		.amdhsa_exception_fp_ieee_invalid_op 0
		.amdhsa_exception_fp_denorm_src 0
		.amdhsa_exception_fp_ieee_div_zero 0
		.amdhsa_exception_fp_ieee_overflow 0
		.amdhsa_exception_fp_ieee_underflow 0
		.amdhsa_exception_fp_ieee_inexact 0
		.amdhsa_exception_int_div_zero 0
	.end_amdhsa_kernel
	.section	.text._Z39paged_attention_ll4mi_QKV_mfma16_kernelI14__hip_bfloat16S0_LN4vllm18Fp8KVCacheDataTypeE0ES0_Li16ELi64ELi256ELb1ELi2EEvPKT_PKT0_S8_ifPKiSA_SA_iPKfiiiPfSD_PS3_PT2_iSC_SC_,"axG",@progbits,_Z39paged_attention_ll4mi_QKV_mfma16_kernelI14__hip_bfloat16S0_LN4vllm18Fp8KVCacheDataTypeE0ES0_Li16ELi64ELi256ELb1ELi2EEvPKT_PKT0_S8_ifPKiSA_SA_iPKfiiiPfSD_PS3_PT2_iSC_SC_,comdat
.Lfunc_end465:
	.size	_Z39paged_attention_ll4mi_QKV_mfma16_kernelI14__hip_bfloat16S0_LN4vllm18Fp8KVCacheDataTypeE0ES0_Li16ELi64ELi256ELb1ELi2EEvPKT_PKT0_S8_ifPKiSA_SA_iPKfiiiPfSD_PS3_PT2_iSC_SC_, .Lfunc_end465-_Z39paged_attention_ll4mi_QKV_mfma16_kernelI14__hip_bfloat16S0_LN4vllm18Fp8KVCacheDataTypeE0ES0_Li16ELi64ELi256ELb1ELi2EEvPKT_PKT0_S8_ifPKiSA_SA_iPKfiiiPfSD_PS3_PT2_iSC_SC_
                                        ; -- End function
	.section	.AMDGPU.csdata,"",@progbits
; Kernel info:
; codeLenInByte = 4240
; NumSgprs: 54
; NumVgprs: 72
; NumAgprs: 0
; TotalNumVgprs: 72
; ScratchSize: 0
; MemoryBound: 0
; FloatMode: 240
; IeeeMode: 1
; LDSByteSize: 8192 bytes/workgroup (compile time only)
; SGPRBlocks: 6
; VGPRBlocks: 8
; NumSGPRsForWavesPerEU: 54
; NumVGPRsForWavesPerEU: 72
; AccumOffset: 72
; Occupancy: 7
; WaveLimiterHint : 1
; COMPUTE_PGM_RSRC2:SCRATCH_EN: 0
; COMPUTE_PGM_RSRC2:USER_SGPR: 2
; COMPUTE_PGM_RSRC2:TRAP_HANDLER: 0
; COMPUTE_PGM_RSRC2:TGID_X_EN: 1
; COMPUTE_PGM_RSRC2:TGID_Y_EN: 1
; COMPUTE_PGM_RSRC2:TGID_Z_EN: 1
; COMPUTE_PGM_RSRC2:TIDIG_COMP_CNT: 0
; COMPUTE_PGM_RSRC3_GFX90A:ACCUM_OFFSET: 17
; COMPUTE_PGM_RSRC3_GFX90A:TG_SPLIT: 0
	.section	.text._Z39paged_attention_ll4mi_QKV_mfma16_kernelI14__hip_bfloat16S0_LN4vllm18Fp8KVCacheDataTypeE0ES0_Li16ELi64ELi256ELb1ELi3EEvPKT_PKT0_S8_ifPKiSA_SA_iPKfiiiPfSD_PS3_PT2_iSC_SC_,"axG",@progbits,_Z39paged_attention_ll4mi_QKV_mfma16_kernelI14__hip_bfloat16S0_LN4vllm18Fp8KVCacheDataTypeE0ES0_Li16ELi64ELi256ELb1ELi3EEvPKT_PKT0_S8_ifPKiSA_SA_iPKfiiiPfSD_PS3_PT2_iSC_SC_,comdat
	.protected	_Z39paged_attention_ll4mi_QKV_mfma16_kernelI14__hip_bfloat16S0_LN4vllm18Fp8KVCacheDataTypeE0ES0_Li16ELi64ELi256ELb1ELi3EEvPKT_PKT0_S8_ifPKiSA_SA_iPKfiiiPfSD_PS3_PT2_iSC_SC_ ; -- Begin function _Z39paged_attention_ll4mi_QKV_mfma16_kernelI14__hip_bfloat16S0_LN4vllm18Fp8KVCacheDataTypeE0ES0_Li16ELi64ELi256ELb1ELi3EEvPKT_PKT0_S8_ifPKiSA_SA_iPKfiiiPfSD_PS3_PT2_iSC_SC_
	.globl	_Z39paged_attention_ll4mi_QKV_mfma16_kernelI14__hip_bfloat16S0_LN4vllm18Fp8KVCacheDataTypeE0ES0_Li16ELi64ELi256ELb1ELi3EEvPKT_PKT0_S8_ifPKiSA_SA_iPKfiiiPfSD_PS3_PT2_iSC_SC_
	.p2align	8
	.type	_Z39paged_attention_ll4mi_QKV_mfma16_kernelI14__hip_bfloat16S0_LN4vllm18Fp8KVCacheDataTypeE0ES0_Li16ELi64ELi256ELb1ELi3EEvPKT_PKT0_S8_ifPKiSA_SA_iPKfiiiPfSD_PS3_PT2_iSC_SC_,@function
_Z39paged_attention_ll4mi_QKV_mfma16_kernelI14__hip_bfloat16S0_LN4vllm18Fp8KVCacheDataTypeE0ES0_Li16ELi64ELi256ELb1ELi3EEvPKT_PKT0_S8_ifPKiSA_SA_iPKfiiiPfSD_PS3_PT2_iSC_SC_: ; @_Z39paged_attention_ll4mi_QKV_mfma16_kernelI14__hip_bfloat16S0_LN4vllm18Fp8KVCacheDataTypeE0ES0_Li16ELi64ELi256ELb1ELi3EEvPKT_PKT0_S8_ifPKiSA_SA_iPKfiiiPfSD_PS3_PT2_iSC_SC_
; %bb.0:
	s_load_dwordx2 s[8:9], s[0:1], 0x30
	s_mov_b32 s28, s3
	s_mov_b64 s[6:7], 0
	s_waitcnt lgkmcnt(0)
	s_cmp_lg_u64 s[8:9], 0
	s_cselect_b64 s[10:11], -1, 0
	s_and_b64 vcc, exec, s[10:11]
	s_cbranch_vccz .LBB466_7
; %bb.1:
	s_add_i32 s12, s2, 1
	s_mov_b32 s13, 0
	s_lshl_b64 s[14:15], s[12:13], 2
	s_add_u32 s14, s8, s14
	s_mov_b32 s3, s13
	s_addc_u32 s15, s9, s15
	s_lshl_b64 s[12:13], s[2:3], 2
	s_add_u32 s12, s8, s12
	s_addc_u32 s13, s9, s13
	s_load_dword s5, s[14:15], 0x0
	s_load_dword s16, s[12:13], 0x0
	s_waitcnt lgkmcnt(0)
	s_sub_i32 s5, s5, s16
	s_cmp_eq_u32 s5, 1
	s_cselect_b64 s[12:13], -1, 0
	s_andn2_b64 vcc, exec, s[6:7]
	s_cbranch_vccnz .LBB466_3
.LBB466_2:
	s_mov_b32 s3, 0
	s_mov_b64 s[12:13], -1
.LBB466_3:
	s_andn2_b64 vcc, exec, s[12:13]
	s_cbranch_vccnz .LBB466_19
; %bb.4:
	s_load_dwordx2 s[6:7], s[0:1], 0x28
	s_lshl_b64 s[14:15], s[2:3], 2
	s_waitcnt lgkmcnt(0)
	s_add_u32 s6, s6, s14
	s_addc_u32 s7, s7, s15
	s_load_dword s29, s[6:7], 0x0
	s_lshl_b32 s16, s28, 8
	s_waitcnt lgkmcnt(0)
	s_cmp_ge_i32 s16, s29
	s_cbranch_scc1 .LBB466_19
; %bb.5:
	s_load_dwordx2 s[6:7], s[0:1], 0x20
	s_load_dword s5, s[0:1], 0x38
	s_add_i32 s12, s29, 15
	s_ashr_i32 s13, s12, 31
	v_and_b32_e32 v1, 0xcf, v0
	s_lshr_b32 s13, s13, 28
	v_add_u32_e32 v1, s16, v1
	s_add_i32 s12, s12, s13
	v_ashrrev_i32_e32 v2, 31, v1
	s_ashr_i32 s17, s12, 4
	v_lshrrev_b32_e32 v6, 28, v2
	s_add_i32 s17, s17, -1
	s_waitcnt lgkmcnt(0)
	s_mul_i32 s12, s2, s5
	s_mov_b32 s13, 0
	v_add_u32_e32 v2, v1, v6
	s_lshl_b64 s[12:13], s[12:13], 2
	v_ashrrev_i32_e32 v2, 4, v2
	v_mov_b32_e32 v7, s17
	v_cmp_gt_i32_e32 vcc, s29, v1
	s_add_u32 s6, s6, s12
	s_addc_u32 s7, s7, s13
	v_cndmask_b32_e32 v2, v7, v2, vcc
	v_ashrrev_i32_e32 v3, 31, v2
	v_lshl_add_u64 v[4:5], v[2:3], 2, s[6:7]
	v_or_b32_e32 v2, 16, v1
	v_add_u32_e32 v3, v2, v6
	v_ashrrev_i32_e32 v3, 4, v3
	v_cmp_gt_i32_e32 vcc, s29, v2
	s_load_dwordx2 s[12:13], s[0:1], 0x8
	s_nop 0
	v_cndmask_b32_e32 v2, v7, v3, vcc
	v_ashrrev_i32_e32 v3, 31, v2
	v_lshl_add_u64 v[8:9], v[2:3], 2, s[6:7]
	v_or_b32_e32 v2, 32, v1
	v_add_u32_e32 v3, v2, v6
	v_ashrrev_i32_e32 v3, 4, v3
	v_cmp_gt_i32_e32 vcc, s29, v2
	v_or_b32_e32 v1, 48, v1
	s_nop 0
	v_cndmask_b32_e32 v2, v7, v3, vcc
	v_ashrrev_i32_e32 v3, 31, v2
	v_lshl_add_u64 v[10:11], v[2:3], 2, s[6:7]
	v_add_u32_e32 v2, v1, v6
	v_ashrrev_i32_e32 v2, 4, v2
	v_cmp_gt_i32_e32 vcc, s29, v1
	s_nop 1
	v_cndmask_b32_e32 v2, v7, v2, vcc
	v_ashrrev_i32_e32 v3, 31, v2
	v_lshl_add_u64 v[12:13], v[2:3], 2, s[6:7]
	global_load_dword v3, v[4:5], off
	global_load_dword v2, v[8:9], off
	;; [unrolled: 1-line block ×4, first 2 shown]
	s_andn2_b64 vcc, exec, s[10:11]
	s_cbranch_vccnz .LBB466_8
; %bb.6:
	s_add_u32 s8, s8, s14
	s_addc_u32 s9, s9, s15
	s_load_dword s5, s[8:9], 0x0
	s_branch .LBB466_9
.LBB466_7:
	s_mov_b64 s[12:13], 0
	s_branch .LBB466_2
.LBB466_8:
	s_mov_b32 s5, s2
.LBB466_9:
	s_load_dwordx2 s[8:9], s[0:1], 0x10
	s_load_dwordx4 s[44:47], s[0:1], 0x48
	v_lshrrev_b32_e32 v45, 6, v0
	v_bfe_u32 v54, v0, 4, 2
	v_lshl_or_b32 v4, v45, 2, v54
	v_and_b32_e32 v44, 15, v0
	s_mul_i32 s42, s4, 3
	v_lshlrev_b32_e32 v5, 3, v44
	v_cmp_gt_u32_e32 vcc, 3, v4
	v_cmp_gt_u32_e64 s[30:31], 8, v44
	v_add_u32_e32 v1, s42, v54
	s_and_b64 s[14:15], s[30:31], vcc
	v_lshlrev_b32_e32 v42, 1, v5
	s_and_saveexec_b64 s[10:11], s[14:15]
	s_cbranch_execz .LBB466_11
; %bb.10:
	s_load_dwordx2 s[14:15], s[0:1], 0x0
	s_waitcnt lgkmcnt(0)
	s_ashr_i32 s18, s44, 31
	s_mul_hi_u32 s19, s5, s44
	s_mul_i32 s18, s5, s18
	s_add_i32 s19, s19, s18
	s_mul_i32 s18, s5, s44
	s_lshl_b64 s[18:19], s[18:19], 1
	s_add_u32 s14, s14, s18
	v_lshlrev_b32_e32 v8, 6, v1
	s_addc_u32 s15, s15, s19
	v_ashrrev_i32_e32 v9, 31, v8
	v_lshl_add_u64 v[8:9], v[8:9], 1, s[14:15]
	v_mov_b32_e32 v43, 0
	v_lshl_add_u64 v[8:9], v[8:9], 0, v[42:43]
	global_load_dwordx4 v[8:11], v[8:9], off
	v_and_b32_e32 v5, 3, v0
	v_lshlrev_b32_e32 v7, 9, v44
	v_lshlrev_b32_e32 v4, 5, v4
	;; [unrolled: 1-line block ×3, first 2 shown]
	v_and_b32_e32 v7, 0x1800, v7
	v_or3_b32 v4, v7, v5, v4
	s_waitcnt vmcnt(0)
	ds_write_b128 v4, v[8:11]
.LBB466_11:
	s_or_b64 exec, exec, s[10:11]
	s_waitcnt lgkmcnt(0)
	s_mul_i32 s4, s4, s46
	s_mov_b32 s5, 0
	s_lshl_b64 s[4:5], s[4:5], 1
	s_add_u32 s10, s12, s4
	v_lshlrev_b32_e32 v55, 4, v0
	s_addc_u32 s11, s13, s5
	v_and_b32_e32 v46, 0xf0, v55
	v_mov_b32_e32 v47, 0
	v_lshl_add_u64 v[16:17], s[10:11], 0, v[46:47]
	s_waitcnt vmcnt(3)
	v_mad_i64_i32 v[4:5], s[10:11], v3, s45, 0
	s_waitcnt vmcnt(2)
	v_mad_i64_i32 v[2:3], s[10:11], v2, s45, 0
	;; [unrolled: 2-line block ×3, first 2 shown]
	v_lshl_add_u64 v[4:5], v[4:5], 1, v[16:17]
	v_and_b32_e32 v46, 0x300, v55
	v_lshl_add_u64 v[2:3], v[2:3], 1, v[16:17]
	v_lshl_add_u64 v[6:7], v[6:7], 1, v[16:17]
	s_waitcnt vmcnt(0)
	v_mad_i64_i32 v[14:15], s[10:11], v14, s45, 0
	v_lshl_add_u64 v[4:5], v[4:5], 0, v[46:47]
	v_lshl_add_u64 v[8:9], v[2:3], 0, v[46:47]
	;; [unrolled: 1-line block ×4, first 2 shown]
	s_barrier
	global_load_dwordx4 v[30:33], v[4:5], off
	global_load_dwordx4 v[10:13], v[4:5], off offset:1024
	global_load_dwordx4 v[22:25], v[8:9], off
	s_nop 0
	global_load_dwordx4 v[2:5], v[8:9], off offset:1024
	global_load_dwordx4 v[26:29], v[18:19], off
	s_nop 0
	global_load_dwordx4 v[6:9], v[18:19], off offset:1024
	v_lshl_add_u64 v[18:19], v[14:15], 0, v[46:47]
	global_load_dwordx4 v[34:37], v[18:19], off
	global_load_dwordx4 v[14:17], v[18:19], off offset:1024
	v_mul_lo_u16_e32 v18, 0x56, v44
	v_mov_b32_e32 v19, 3
	v_mul_lo_u16_sdwa v18, v18, v19 dst_sel:DWORD dst_unused:UNUSED_PAD src0_sel:BYTE_1 src1_sel:DWORD
	v_sub_u16_e32 v18, v44, v18
	v_mov_b32_e32 v19, 5
	v_lshlrev_b32_sdwa v18, v19, v18 dst_sel:DWORD dst_unused:UNUSED_PAD src0_sel:DWORD src1_sel:BYTE_0
	v_lshl_add_u32 v18, v54, 9, v18
	ds_read_b128 v[38:41], v18
	ds_read_b128 v[18:21], v18 offset:2048
	v_and_b32_e32 v56, 63, v0
	v_cmp_gt_u32_e32 vcc, 3, v44
	v_mov_b32_e32 v57, 0
	s_and_saveexec_b64 s[10:11], vcc
	s_cbranch_execz .LBB466_13
; %bb.12:
	s_load_dwordx2 s[12:13], s[0:1], 0x40
	v_add_u32_e32 v48, s42, v44
	v_ashrrev_i32_e32 v49, 31, v48
	s_waitcnt lgkmcnt(0)
	v_lshl_add_u64 v[48:49], v[48:49], 2, s[12:13]
	global_load_dword v57, v[48:49], off
.LBB466_13:
	s_or_b64 exec, exec, s[10:11]
	v_and_or_b32 v46, v0, 48, s16
	v_ashrrev_i32_e32 v43, 4, v46
	v_mov_b32_e32 v70, s17
	v_cmp_gt_i32_e32 vcc, s29, v46
	s_waitcnt vmcnt(5) lgkmcnt(1)
	v_mfma_f32_16x16x16_bf16 v[58:61], v[22:23], v[38:39], 0
	s_load_dword s10, s[0:1], 0x1c
	v_cndmask_b32_e32 v48, v70, v43, vcc
	v_ashrrev_i32_e32 v49, 31, v48
	v_or_b32_e32 v43, 64, v46
	v_lshl_add_u64 v[52:53], v[48:49], 2, s[6:7]
	v_mfma_f32_16x16x16_bf16 v[48:51], v[30:31], v[38:39], 0
	v_ashrrev_i32_e32 v30, 4, v43
	v_cmp_gt_i32_e32 vcc, s29, v43
	global_load_dword v71, v[52:53], off
	s_waitcnt vmcnt(4)
	v_mfma_f32_16x16x16_bf16 v[62:65], v[26:27], v[38:39], 0
	v_cndmask_b32_e32 v30, v70, v30, vcc
	v_ashrrev_i32_e32 v31, 31, v30
	v_lshl_add_u64 v[22:23], v[30:31], 2, s[6:7]
	global_load_dword v72, v[22:23], off
	v_mfma_f32_16x16x16_bf16 v[22:25], v[24:25], v[40:41], v[58:61]
	v_and_b32_e32 v26, 0xc0, v0
	s_add_u32 s4, s8, s4
	v_lshlrev_b32_e32 v43, 5, v44
	v_mfma_f32_16x16x16_bf16 v[30:33], v[32:33], v[40:41], v[48:51]
	s_addc_u32 s5, s9, s5
	s_mov_b32 s33, 0xff7fffff
	s_waitcnt vmcnt(3)
	v_mfma_f32_16x16x16_bf16 v[66:69], v[34:35], v[38:39], 0
	v_or_b32_e32 v38, 0x80, v46
	v_add_u32_e32 v48, s16, v26
	v_or_b32_e32 v39, 0xc0, v46
	v_mfma_f32_16x16x16_bf16 v[26:29], v[28:29], v[40:41], v[62:65]
	v_ashrrev_i32_e32 v49, 4, v38
	v_cmp_gt_i32_e32 vcc, s29, v38
	v_ashrrev_i32_e32 v50, 4, v39
	s_waitcnt lgkmcnt(0)
	v_mfma_f32_16x16x16_bf16 v[22:25], v[2:3], v[18:19], v[22:25]
	v_cndmask_b32_e32 v38, v70, v49, vcc
	v_cmp_gt_i32_e32 vcc, s29, v39
	v_ashrrev_i32_e32 v39, 31, v38
	v_mfma_f32_16x16x16_bf16 v[30:33], v[10:11], v[18:19], v[30:33]
	v_cndmask_b32_e32 v10, v70, v50, vcc
	v_ashrrev_i32_e32 v11, 31, v10
	v_lshl_or_b32 v58, v54, 2, v48
	v_mfma_f32_16x16x16_bf16 v[26:29], v[6:7], v[18:19], v[26:29]
	v_lshl_add_u64 v[6:7], v[38:39], 2, s[6:7]
	v_lshl_add_u64 v[38:39], v[10:11], 2, s[6:7]
	v_or_b32_e32 v59, 1, v58
	v_mfma_f32_16x16x16_bf16 v[2:5], v[4:5], v[20:21], v[22:25]
	s_nop 2
	global_load_dword v22, v[6:7], off
	global_load_dword v62, v[38:39], off
	v_subrev_u32_e32 v60, s29, v59
	v_cvt_f32_i32_e32 v61, v60
	v_mfma_f32_16x16x16_bf16 v[34:37], v[36:37], v[40:41], v[66:69]
	v_pk_mul_f32 v[48:49], s[10:11], v[4:5] op_sel_hi:[0,1]
	v_lshl_or_b32 v46, v45, 9, v43
	v_lshl_add_u64 v[46:47], s[4:5], 0, v[46:47]
	s_waitcnt vmcnt(4)
	v_mfma_f32_16x16x16_bf16 v[34:37], v[14:15], v[18:19], v[34:37]
	v_add_u32_e32 v14, 1, v60
	v_add_u32_e32 v15, 2, v60
	v_cvt_f32_i32_e32 v23, v14
	v_cvt_f32_i32_e32 v24, v15
	v_mfma_f32_16x16x16_bf16 v[14:17], v[16:17], v[20:21], v[34:37]
	v_add_u32_e32 v18, 3, v60
	v_cvt_f32_i32_e32 v18, v18
	v_pk_mul_f32 v[50:51], s[10:11], v[2:3] op_sel_hi:[0,1]
	v_mfma_f32_16x16x16_bf16 v[10:13], v[12:13], v[20:21], v[30:33]
	v_cmp_gt_i32_e64 s[34:35], s29, v59
	s_nop 1
	v_pk_mul_f32 v[36:37], s[10:11], v[14:15] op_sel_hi:[0,1]
	v_add_u32_e32 v15, 19, v60
	v_add_u32_e32 v31, 18, v60
	v_cvt_f32_i32_e32 v14, v31
	v_cvt_f32_i32_e32 v15, v15
	v_mfma_f32_16x16x16_bf16 v[6:9], v[8:9], v[20:21], v[26:29]
	v_pk_mul_f32 v[34:35], s[10:11], v[16:17] op_sel_hi:[0,1]
	v_fma_f32 v48, v57, v14, v48
	v_add_u32_e32 v14, 32, v60
	v_fmac_f32_e32 v49, v57, v15
	v_cvt_f32_i32_e32 v14, v14
	v_add_u32_e32 v15, 33, v60
	v_add_u32_e32 v16, 34, v60
	v_cvt_f32_i32_e32 v15, v15
	v_cvt_f32_i32_e32 v16, v16
	v_add_u32_e32 v17, 35, v60
	v_cvt_f32_i32_e32 v17, v17
	v_pk_mul_f32 v[40:41], s[10:11], v[6:7] op_sel_hi:[0,1]
	v_pk_mul_f32 v[38:39], s[10:11], v[8:9] op_sel_hi:[0,1]
	v_fma_f32 v40, v57, v14, v40
	v_add_u32_e32 v14, 48, v60
	v_fmac_f32_e32 v41, v57, v15
	v_fma_f32 v38, v57, v16, v38
	v_cvt_f32_i32_e32 v14, v14
	v_add_u32_e32 v15, 49, v60
	v_add_u32_e32 v16, 50, v60
	v_fmac_f32_e32 v39, v57, v17
	v_cvt_f32_i32_e32 v15, v15
	v_cvt_f32_i32_e32 v16, v16
	v_add_u32_e32 v17, 51, v60
	v_cvt_f32_i32_e32 v17, v17
	v_pk_mul_f32 v[52:53], s[10:11], v[12:13] op_sel_hi:[0,1]
	v_pk_mul_f32 v[10:11], s[10:11], v[10:11] op_sel_hi:[0,1]
	s_waitcnt vmcnt(3)
	v_mad_i64_i32 v[2:3], s[4:5], v71, s45, 0
	s_waitcnt vmcnt(2)
	v_mad_i64_i32 v[12:13], s[4:5], v72, s45, 0
	v_fma_f32 v10, v57, v61, v10
	v_fmac_f32_e32 v11, v57, v23
	v_fma_f32 v36, v57, v14, v36
	v_mov_b32_e32 v14, 0xff7fffff
	v_cmp_gt_i32_e64 s[4:5], s29, v58
	v_add_u32_e32 v19, 16, v60
	v_add_u32_e32 v30, 17, v60
	v_fmac_f32_e32 v37, v57, v15
	v_fma_f32 v34, v57, v16, v34
	v_cndmask_b32_e64 v15, v14, v10, s[4:5]
	v_cndmask_b32_e64 v16, v14, v11, s[34:35]
	v_cvt_f32_i32_e32 v19, v19
	v_cvt_f32_i32_e32 v25, v30
	v_fmac_f32_e32 v35, v57, v17
	v_max3_f32 v15, v15, s33, v16
	v_or_b32_e32 v16, 2, v58
	v_or_b32_e32 v17, 3, v58
	v_fma_f32 v52, v57, v24, v52
	v_fmac_f32_e32 v53, v57, v18
	v_cmp_gt_i32_e64 s[36:37], s29, v16
	v_cmp_gt_i32_e64 s[38:39], s29, v17
	v_fma_f32 v50, v57, v19, v50
	v_cndmask_b32_e64 v16, v14, v52, s[36:37]
	v_cndmask_b32_e64 v17, v14, v53, s[38:39]
	v_max3_f32 v15, v15, v16, v17
	v_or_b32_e32 v16, 16, v58
	v_or_b32_e32 v17, 17, v58
	v_fmac_f32_e32 v51, v57, v25
	v_cmp_gt_i32_e64 s[24:25], s29, v16
	v_cmp_gt_i32_e64 s[26:27], s29, v17
	v_lshl_add_u64 v[2:3], v[2:3], 1, v[46:47]
	v_cndmask_b32_e64 v16, v14, v50, s[24:25]
	v_cndmask_b32_e64 v17, v14, v51, s[26:27]
	v_max3_f32 v15, v15, v16, v17
	v_or_b32_e32 v16, 18, v58
	v_or_b32_e32 v17, 19, v58
	v_cmp_gt_i32_e64 s[20:21], s29, v16
	v_cmp_gt_i32_e64 s[22:23], s29, v17
	v_lshl_add_u64 v[12:13], v[12:13], 1, v[46:47]
	v_cndmask_b32_e64 v16, v14, v48, s[20:21]
	v_cndmask_b32_e64 v17, v14, v49, s[22:23]
	v_max3_f32 v15, v15, v16, v17
	v_or_b32_e32 v16, 32, v58
	v_or_b32_e32 v17, 33, v58
	v_cmp_gt_i32_e64 s[16:17], s29, v16
	v_cmp_gt_i32_e64 s[18:19], s29, v17
	global_load_dwordx4 v[6:9], v[2:3], off
	s_nop 0
	global_load_dwordx4 v[2:5], v[2:3], off offset:16
	v_cndmask_b32_e64 v16, v14, v40, s[16:17]
	v_cndmask_b32_e64 v17, v14, v41, s[18:19]
	v_max3_f32 v15, v15, v16, v17
	v_or_b32_e32 v16, 34, v58
	v_or_b32_e32 v17, 35, v58
	v_cmp_gt_i32_e64 s[12:13], s29, v16
	v_cmp_gt_i32_e64 s[14:15], s29, v17
	global_load_dwordx4 v[30:33], v[12:13], off
	global_load_dwordx4 v[26:29], v[12:13], off offset:16
	v_cndmask_b32_e64 v16, v14, v38, s[12:13]
	v_cndmask_b32_e64 v17, v14, v39, s[14:15]
	v_max3_f32 v15, v15, v16, v17
	v_or_b32_e32 v16, 48, v58
	v_or_b32_e32 v17, 49, v58
	v_cmp_gt_i32_e64 s[8:9], s29, v16
	v_cmp_gt_i32_e64 s[10:11], s29, v17
	s_nop 0
	v_cndmask_b32_e64 v16, v14, v36, s[8:9]
	v_cndmask_b32_e64 v17, v14, v37, s[10:11]
	v_max3_f32 v15, v15, v16, v17
	v_or_b32_e32 v16, 50, v58
	v_or_b32_e32 v17, 51, v58
	v_cmp_gt_i32_e32 vcc, s29, v16
	v_cmp_gt_i32_e64 s[6:7], s29, v17
	s_nop 0
	v_cndmask_b32_e32 v16, v14, v34, vcc
	v_cndmask_b32_e64 v14, v14, v35, s[6:7]
	v_max3_f32 v14, v15, v16, v14
	v_mbcnt_lo_u32_b32 v15, -1, 0
	v_mbcnt_hi_u32_b32 v15, -1, v15
	v_and_b32_e32 v16, 64, v15
	v_add_u32_e32 v16, 64, v16
	v_xor_b32_e32 v17, 32, v15
	v_cmp_lt_i32_e64 s[40:41], v17, v16
	s_nop 1
	v_cndmask_b32_e64 v17, v15, v17, s[40:41]
	v_lshlrev_b32_e32 v58, 2, v17
	ds_bpermute_b32 v17, v58, v14
	s_waitcnt vmcnt(5)
	v_mad_i64_i32 v[12:13], s[40:41], v22, s45, 0
	v_lshl_add_u64 v[12:13], v[12:13], 1, v[46:47]
	global_load_dwordx4 v[22:25], v[12:13], off
	global_load_dwordx4 v[18:21], v[12:13], off offset:16
	s_waitcnt lgkmcnt(0)
	v_max_f32_e32 v17, v17, v17
	v_max_f32_e32 v14, v14, v17
	v_xor_b32_e32 v17, 16, v15
	v_cmp_lt_i32_e64 s[40:41], v17, v16
	s_nop 1
	v_cndmask_b32_e64 v15, v15, v17, s[40:41]
	v_lshlrev_b32_e32 v60, 2, v15
	ds_bpermute_b32 v15, v60, v14
	s_waitcnt vmcnt(6)
	v_mad_i64_i32 v[12:13], s[40:41], v62, s45, 0
	v_lshl_add_u64 v[12:13], v[12:13], 1, v[46:47]
	s_waitcnt lgkmcnt(0)
	v_max_f32_e32 v15, v15, v15
	v_max_f32_e32 v57, v14, v15
	v_sub_f32_e32 v10, v10, v57
	v_mul_f32_e32 v10, 0x3fb8aa3b, v10
	v_exp_f32_e32 v46, v10
	v_sub_f32_e32 v10, v11, v57
	v_mul_f32_e32 v10, 0x3fb8aa3b, v10
	v_exp_f32_e32 v47, v10
	global_load_dwordx4 v[14:17], v[12:13], off
	s_nop 0
	global_load_dwordx4 v[10:13], v[12:13], off offset:16
	v_sub_f32_e32 v52, v52, v57
	v_mul_f32_e32 v52, 0x3fb8aa3b, v52
	v_sub_f32_e32 v53, v53, v57
	v_exp_f32_e32 v52, v52
	v_mul_f32_e32 v53, 0x3fb8aa3b, v53
	v_sub_f32_e32 v50, v50, v57
	v_exp_f32_e32 v53, v53
	v_mul_f32_e32 v50, 0x3fb8aa3b, v50
	v_sub_f32_e32 v51, v51, v57
	v_cndmask_b32_e64 v46, 0, v46, s[4:5]
	v_exp_f32_e32 v50, v50
	v_mul_f32_e32 v51, 0x3fb8aa3b, v51
	v_sub_f32_e32 v48, v48, v57
	v_add_f32_e32 v59, 0, v46
	v_cndmask_b32_e64 v47, 0, v47, s[34:35]
	v_exp_f32_e32 v51, v51
	v_mul_f32_e32 v48, 0x3fb8aa3b, v48
	v_sub_f32_e32 v49, v49, v57
	v_add_f32_e32 v59, v59, v47
	v_cndmask_b32_e64 v52, 0, v52, s[36:37]
	v_exp_f32_e32 v48, v48
	v_mul_f32_e32 v49, 0x3fb8aa3b, v49
	v_sub_f32_e32 v40, v40, v57
	v_add_f32_e32 v59, v59, v52
	v_cndmask_b32_e64 v53, 0, v53, s[38:39]
	v_exp_f32_e32 v49, v49
	v_mul_f32_e32 v40, 0x3fb8aa3b, v40
	v_sub_f32_e32 v41, v41, v57
	v_add_f32_e32 v59, v59, v53
	v_cndmask_b32_e64 v50, 0, v50, s[24:25]
	v_exp_f32_e32 v40, v40
	v_mul_f32_e32 v41, 0x3fb8aa3b, v41
	v_sub_f32_e32 v38, v38, v57
	v_add_f32_e32 v59, v59, v50
	v_cndmask_b32_e64 v51, 0, v51, s[26:27]
	v_exp_f32_e32 v41, v41
	v_mul_f32_e32 v38, 0x3fb8aa3b, v38
	v_sub_f32_e32 v39, v39, v57
	v_add_f32_e32 v59, v59, v51
	v_cndmask_b32_e64 v48, 0, v48, s[20:21]
	v_exp_f32_e32 v38, v38
	v_mul_f32_e32 v39, 0x3fb8aa3b, v39
	v_sub_f32_e32 v36, v36, v57
	v_add_f32_e32 v59, v59, v48
	v_cndmask_b32_e64 v49, 0, v49, s[22:23]
	v_exp_f32_e32 v39, v39
	v_mul_f32_e32 v36, 0x3fb8aa3b, v36
	v_sub_f32_e32 v37, v37, v57
	v_add_f32_e32 v59, v59, v49
	v_cndmask_b32_e64 v40, 0, v40, s[16:17]
	v_exp_f32_e32 v36, v36
	v_mul_f32_e32 v37, 0x3fb8aa3b, v37
	v_sub_f32_e32 v34, v34, v57
	v_add_f32_e32 v59, v59, v40
	v_cndmask_b32_e64 v41, 0, v41, s[18:19]
	v_exp_f32_e32 v37, v37
	v_mul_f32_e32 v34, 0x3fb8aa3b, v34
	v_sub_f32_e32 v35, v35, v57
	v_add_f32_e32 v59, v59, v41
	v_cndmask_b32_e64 v38, 0, v38, s[12:13]
	v_exp_f32_e32 v34, v34
	v_mul_f32_e32 v35, 0x3fb8aa3b, v35
	v_add_f32_e32 v59, v59, v38
	v_cndmask_b32_e64 v39, 0, v39, s[14:15]
	v_exp_f32_e32 v35, v35
	v_add_f32_e32 v59, v59, v39
	v_cndmask_b32_e64 v36, 0, v36, s[8:9]
	v_add_f32_e32 v59, v59, v36
	v_cndmask_b32_e64 v37, 0, v37, s[10:11]
	v_add_f32_e32 v59, v59, v37
	v_cndmask_b32_e32 v34, 0, v34, vcc
	v_add_f32_e32 v59, v59, v34
	v_cndmask_b32_e64 v35, 0, v35, s[6:7]
	v_add_f32_e32 v59, v59, v35
	ds_bpermute_b32 v58, v58, v59
	s_load_dword s7, s[0:1], 0x98
	v_cmp_gt_u32_e32 vcc, 16, v56
	s_waitcnt lgkmcnt(0)
	s_barrier
	v_add_f32_e32 v59, v59, v58
	ds_bpermute_b32 v60, v60, v59
	v_lshlrev_b32_e32 v58, 2, v44
	s_waitcnt lgkmcnt(0)
	s_and_saveexec_b64 s[4:5], vcc
	s_cbranch_execz .LBB466_15
; %bb.14:
	v_add_f32_e32 v56, v59, v60
	v_lshl_or_b32 v59, v45, 6, v58
	ds_write2st64_b32 v59, v57, v56 offset1:1
.LBB466_15:
	s_or_b64 exec, exec, s[4:5]
	s_load_dword s6, s[0:1], 0x94
	s_waitcnt lgkmcnt(0)
	s_barrier
	ds_read2_b32 v[60:61], v58 offset1:16
	ds_read2_b32 v[62:63], v58 offset0:32 offset1:48
	ds_read2_b32 v[64:65], v58 offset0:64 offset1:80
	;; [unrolled: 1-line block ×3, first 2 shown]
	s_movk_i32 s8, 0x7fff
	s_waitcnt lgkmcnt(3)
	v_max3_f32 v56, v60, s33, v61
	s_waitcnt lgkmcnt(2)
	v_max3_f32 v56, v56, v62, v63
	v_sub_f32_e32 v57, v60, v56
	v_mul_f32_e32 v57, 0x3fb8aa3b, v57
	v_exp_f32_e32 v60, v57
	v_sub_f32_e32 v57, v61, v56
	v_mul_f32_e32 v57, 0x3fb8aa3b, v57
	v_exp_f32_e32 v61, v57
	;; [unrolled: 3-line block ×4, first 2 shown]
	s_waitcnt lgkmcnt(1)
	v_fma_f32 v57, v60, v64, 0
	v_fmac_f32_e32 v57, v61, v65
	s_waitcnt lgkmcnt(0)
	v_fmac_f32_e32 v57, v62, v58
	v_fmac_f32_e32 v57, v63, v59
	v_add_f32_e32 v58, 0x358637bd, v57
	v_div_scale_f32 v59, s[4:5], v58, v58, 1.0
	v_rcp_f32_e32 v64, v59
	s_mov_b32 s9, 0x7060302
	s_mul_i32 s7, s7, 3
	v_fma_f32 v65, -v59, v64, 1.0
	v_fmac_f32_e32 v64, v65, v64
	v_div_scale_f32 v65, vcc, 1.0, v58, 1.0
	v_mul_f32_e32 v66, v65, v64
	v_fma_f32 v67, -v59, v66, v65
	v_fmac_f32_e32 v66, v67, v64
	v_fma_f32 v59, -v59, v66, v65
	v_div_fmas_f32 v59, v59, v64, v66
	v_cmp_eq_u32_e32 vcc, 1, v45
	v_div_fixup_f32 v58, v59, v58, 1.0
	s_barrier
	v_cndmask_b32_e32 v59, v60, v61, vcc
	v_cmp_eq_u32_e32 vcc, 2, v45
	s_nop 1
	v_cndmask_b32_e32 v59, v59, v62, vcc
	v_cmp_eq_u32_e32 vcc, 3, v45
	v_lshlrev_b32_e32 v45, 11, v45
	s_nop 0
	v_cndmask_b32_e32 v59, v59, v63, vcc
	v_mul_f32_e32 v58, v59, v58
	v_pk_mul_f32 v[46:47], v[58:59], v[46:47] op_sel_hi:[0,1]
	v_pk_mul_f32 v[52:53], v[58:59], v[52:53] op_sel_hi:[0,1]
	v_bfe_u32 v59, v47, 16, 1
	v_bfe_u32 v60, v46, 16, 1
	v_add3_u32 v46, v46, v60, s8
	v_add3_u32 v47, v47, v59, s8
	v_perm_b32 v60, v47, v46, s9
	v_bfe_u32 v46, v53, 16, 1
	v_bfe_u32 v47, v52, 16, 1
	v_add3_u32 v47, v52, v47, s8
	v_add3_u32 v46, v53, v46, s8
	v_perm_b32 v61, v46, v47, s9
	v_lshlrev_b32_e32 v46, 3, v54
	v_pk_mul_f32 v[50:51], v[58:59], v[50:51] op_sel_hi:[0,1]
	v_or3_b32 v46, v45, v43, v46
	v_bfe_u32 v45, v51, 16, 1
	v_bfe_u32 v47, v50, 16, 1
	v_pk_mul_f32 v[48:49], v[58:59], v[48:49] op_sel_hi:[0,1]
	v_add3_u32 v47, v50, v47, s8
	v_add3_u32 v45, v51, v45, s8
	v_perm_b32 v50, v45, v47, s9
	v_bfe_u32 v45, v49, 16, 1
	v_bfe_u32 v47, v48, 16, 1
	v_add3_u32 v47, v48, v47, s8
	v_add3_u32 v45, v49, v45, s8
	v_pk_mul_f32 v[40:41], v[58:59], v[40:41] op_sel_hi:[0,1]
	v_perm_b32 v51, v45, v47, s9
	v_bfe_u32 v45, v41, 16, 1
	v_bfe_u32 v47, v40, 16, 1
	v_pk_mul_f32 v[38:39], v[58:59], v[38:39] op_sel_hi:[0,1]
	v_add3_u32 v40, v40, v47, s8
	v_add3_u32 v41, v41, v45, s8
	v_perm_b32 v40, v41, v40, s9
	v_bfe_u32 v41, v39, 16, 1
	v_bfe_u32 v45, v38, 16, 1
	v_add3_u32 v38, v38, v45, s8
	v_add3_u32 v39, v39, v41, s8
	v_pk_mul_f32 v[36:37], v[58:59], v[36:37] op_sel_hi:[0,1]
	v_perm_b32 v41, v39, v38, s9
	v_bfe_u32 v38, v37, 16, 1
	v_bfe_u32 v39, v36, 16, 1
	v_pk_mul_f32 v[34:35], v[58:59], v[34:35] op_sel_hi:[0,1]
	v_add3_u32 v36, v36, v39, s8
	v_add3_u32 v37, v37, v38, s8
	v_perm_b32 v36, v37, v36, s9
	v_bfe_u32 v37, v35, 16, 1
	v_bfe_u32 v38, v34, 16, 1
	v_add3_u32 v34, v34, v38, s8
	v_add3_u32 v35, v35, v37, s8
	v_perm_b32 v37, v35, v34, s9
	v_cmp_gt_u32_e32 vcc, 3, v0
	ds_write2st64_b64 v46, v[60:61], v[50:51] offset1:1
	ds_write2st64_b64 v46, v[40:41], v[36:37] offset0:2 offset1:3
	s_and_saveexec_b64 s[4:5], vcc
	s_cbranch_execz .LBB466_17
; %bb.16:
	s_mov_b32 s43, 0
	v_mov_b32_e32 v45, 0
	v_lshl_add_u64 v[34:35], s[42:43], 0, v[44:45]
	v_mov_b32_e32 v36, s7
	v_mad_u64_u32 v[34:35], s[10:11], s2, v36, v[34:35]
	s_mul_i32 s3, s3, s7
	v_mov_b32_e32 v44, s28
	s_load_dwordx4 s[12:15], s[0:1], 0x58
	v_add_u32_e32 v37, s3, v35
	v_mad_u64_u32 v[34:35], s[10:11], v34, s6, v[44:45]
	v_mov_b32_e32 v36, v35
	v_mad_u64_u32 v[36:37], s[10:11], v37, s6, v[36:37]
	v_mov_b32_e32 v35, v36
	v_lshlrev_b64 v[34:35], 2, v[34:35]
	s_waitcnt lgkmcnt(0)
	v_lshl_add_u64 v[36:37], s[14:15], 0, v[34:35]
	v_lshl_add_u64 v[34:35], s[12:13], 0, v[34:35]
	global_store_dword v[36:37], v56, off
	global_store_dword v[34:35], v57, off
.LBB466_17:
	s_or_b64 exec, exec, s[4:5]
	v_lshl_or_b32 v43, v54, 9, v43
	s_waitcnt lgkmcnt(0)
	s_barrier
	ds_read_b128 v[34:37], v43
	ds_read_b128 v[38:41], v43 offset:16
	s_waitcnt vmcnt(7) lgkmcnt(1)
	v_mfma_f32_16x16x16_bf16 v[48:51], v[6:7], v[34:35], 0
	v_cmp_gt_u32_e32 vcc, 64, v0
	v_cmp_ne_u32_e64 s[4:5], 3, v54
	s_and_b64 s[4:5], s[4:5], vcc
	v_mfma_f32_16x16x16_bf16 v[6:9], v[8:9], v[36:37], v[48:51]
	s_mov_b32 s3, 0
	s_and_b64 s[4:5], s[4:5], s[30:31]
	s_waitcnt vmcnt(6) lgkmcnt(0)
	v_mfma_f32_16x16x16_bf16 v[6:9], v[2:3], v[38:39], v[6:9]
	v_mfma_f32_16x16x16_bf16 v[2:5], v[4:5], v[40:41], v[6:9]
	s_nop 5
	ds_read_b128 v[6:9], v43 offset:2048
	ds_read_b128 v[34:37], v43 offset:2064
	s_waitcnt vmcnt(5) lgkmcnt(1)
	v_mfma_f32_16x16x16_bf16 v[2:5], v[30:31], v[6:7], v[2:5]
	v_mfma_f32_16x16x16_bf16 v[2:5], v[32:33], v[8:9], v[2:5]
	s_waitcnt vmcnt(4) lgkmcnt(0)
	v_mfma_f32_16x16x16_bf16 v[2:5], v[26:27], v[34:35], v[2:5]
	v_mfma_f32_16x16x16_bf16 v[2:5], v[28:29], v[36:37], v[2:5]
	ds_read_b128 v[6:9], v43 offset:4096
	ds_read_b128 v[26:29], v43 offset:4112
	s_waitcnt vmcnt(3) lgkmcnt(1)
	v_mfma_f32_16x16x16_bf16 v[2:5], v[22:23], v[6:7], v[2:5]
	v_mfma_f32_16x16x16_bf16 v[2:5], v[24:25], v[8:9], v[2:5]
	s_waitcnt vmcnt(2) lgkmcnt(0)
	v_mfma_f32_16x16x16_bf16 v[2:5], v[18:19], v[26:27], v[2:5]
	v_mfma_f32_16x16x16_bf16 v[2:5], v[20:21], v[28:29], v[2:5]
	ds_read_b128 v[6:9], v43 offset:6144
	ds_read_b128 v[18:21], v43 offset:6160
	v_mov_b32_e32 v43, 0
	s_waitcnt vmcnt(1) lgkmcnt(0)
	v_mfma_f32_16x16x16_bf16 v[2:5], v[14:15], v[6:7], v[2:5]
	s_barrier
	v_mfma_f32_16x16x16_bf16 v[2:5], v[16:17], v[8:9], v[2:5]
	s_waitcnt vmcnt(0)
	v_mfma_f32_16x16x16_bf16 v[2:5], v[10:11], v[18:19], v[2:5]
	v_mfma_f32_16x16x16_bf16 v[2:5], v[12:13], v[20:21], v[2:5]
	s_nop 6
	v_bfe_u32 v6, v3, 16, 1
	v_bfe_u32 v7, v2, 16, 1
	;; [unrolled: 1-line block ×4, first 2 shown]
	v_add3_u32 v2, v2, v7, s8
	v_add3_u32 v3, v3, v6, s8
	;; [unrolled: 1-line block ×4, first 2 shown]
	v_perm_b32 v2, v3, v2, s9
	v_perm_b32 v3, v5, v4, s9
	ds_write_b64 v46, v[2:3]
	s_waitcnt lgkmcnt(0)
	s_barrier
	s_and_saveexec_b64 s[8:9], s[4:5]
	s_cbranch_execz .LBB466_19
; %bb.18:
	s_load_dwordx2 s[0:1], s[0:1], 0x68
	s_mul_i32 s2, s7, s2
	s_lshl_b32 s6, s6, 6
	s_mul_hi_u32 s5, s2, s6
	s_mul_i32 s4, s2, s6
	v_lshlrev_b32_e32 v0, 10, v0
	s_lshl_b64 s[4:5], s[4:5], 1
	v_and_b32_e32 v0, 0x1800, v0
	v_lshlrev_b32_e32 v2, 5, v54
	v_and_b32_e32 v3, 16, v55
	s_waitcnt lgkmcnt(0)
	s_add_u32 s4, s0, s4
	v_or3_b32 v0, v0, v2, v3
	s_addc_u32 s5, s1, s5
	s_lshl_b32 s2, s28, 6
	ds_read_b128 v[2:5], v0
	s_lshl_b64 s[0:1], s[2:3], 1
	s_add_u32 s0, s4, s0
	s_addc_u32 s1, s5, s1
	v_mad_u64_u32 v[0:1], s[2:3], s6, v1, 0
	v_lshl_add_u64 v[0:1], v[0:1], 1, s[0:1]
	v_lshl_add_u64 v[0:1], v[0:1], 0, v[42:43]
	s_waitcnt lgkmcnt(0)
	global_store_dwordx4 v[0:1], v[2:5], off
.LBB466_19:
	s_endpgm
	.section	.rodata,"a",@progbits
	.p2align	6, 0x0
	.amdhsa_kernel _Z39paged_attention_ll4mi_QKV_mfma16_kernelI14__hip_bfloat16S0_LN4vllm18Fp8KVCacheDataTypeE0ES0_Li16ELi64ELi256ELb1ELi3EEvPKT_PKT0_S8_ifPKiSA_SA_iPKfiiiPfSD_PS3_PT2_iSC_SC_
		.amdhsa_group_segment_fixed_size 8192
		.amdhsa_private_segment_fixed_size 0
		.amdhsa_kernarg_size 400
		.amdhsa_user_sgpr_count 2
		.amdhsa_user_sgpr_dispatch_ptr 0
		.amdhsa_user_sgpr_queue_ptr 0
		.amdhsa_user_sgpr_kernarg_segment_ptr 1
		.amdhsa_user_sgpr_dispatch_id 0
		.amdhsa_user_sgpr_kernarg_preload_length 0
		.amdhsa_user_sgpr_kernarg_preload_offset 0
		.amdhsa_user_sgpr_private_segment_size 0
		.amdhsa_uses_dynamic_stack 0
		.amdhsa_enable_private_segment 0
		.amdhsa_system_sgpr_workgroup_id_x 1
		.amdhsa_system_sgpr_workgroup_id_y 1
		.amdhsa_system_sgpr_workgroup_id_z 1
		.amdhsa_system_sgpr_workgroup_info 0
		.amdhsa_system_vgpr_workitem_id 0
		.amdhsa_next_free_vgpr 73
		.amdhsa_next_free_sgpr 48
		.amdhsa_accum_offset 76
		.amdhsa_reserve_vcc 1
		.amdhsa_float_round_mode_32 0
		.amdhsa_float_round_mode_16_64 0
		.amdhsa_float_denorm_mode_32 3
		.amdhsa_float_denorm_mode_16_64 3
		.amdhsa_dx10_clamp 1
		.amdhsa_ieee_mode 1
		.amdhsa_fp16_overflow 0
		.amdhsa_tg_split 0
		.amdhsa_exception_fp_ieee_invalid_op 0
		.amdhsa_exception_fp_denorm_src 0
		.amdhsa_exception_fp_ieee_div_zero 0
		.amdhsa_exception_fp_ieee_overflow 0
		.amdhsa_exception_fp_ieee_underflow 0
		.amdhsa_exception_fp_ieee_inexact 0
		.amdhsa_exception_int_div_zero 0
	.end_amdhsa_kernel
	.section	.text._Z39paged_attention_ll4mi_QKV_mfma16_kernelI14__hip_bfloat16S0_LN4vllm18Fp8KVCacheDataTypeE0ES0_Li16ELi64ELi256ELb1ELi3EEvPKT_PKT0_S8_ifPKiSA_SA_iPKfiiiPfSD_PS3_PT2_iSC_SC_,"axG",@progbits,_Z39paged_attention_ll4mi_QKV_mfma16_kernelI14__hip_bfloat16S0_LN4vllm18Fp8KVCacheDataTypeE0ES0_Li16ELi64ELi256ELb1ELi3EEvPKT_PKT0_S8_ifPKiSA_SA_iPKfiiiPfSD_PS3_PT2_iSC_SC_,comdat
.Lfunc_end466:
	.size	_Z39paged_attention_ll4mi_QKV_mfma16_kernelI14__hip_bfloat16S0_LN4vllm18Fp8KVCacheDataTypeE0ES0_Li16ELi64ELi256ELb1ELi3EEvPKT_PKT0_S8_ifPKiSA_SA_iPKfiiiPfSD_PS3_PT2_iSC_SC_, .Lfunc_end466-_Z39paged_attention_ll4mi_QKV_mfma16_kernelI14__hip_bfloat16S0_LN4vllm18Fp8KVCacheDataTypeE0ES0_Li16ELi64ELi256ELb1ELi3EEvPKT_PKT0_S8_ifPKiSA_SA_iPKfiiiPfSD_PS3_PT2_iSC_SC_
                                        ; -- End function
	.section	.AMDGPU.csdata,"",@progbits
; Kernel info:
; codeLenInByte = 4268
; NumSgprs: 54
; NumVgprs: 73
; NumAgprs: 0
; TotalNumVgprs: 73
; ScratchSize: 0
; MemoryBound: 0
; FloatMode: 240
; IeeeMode: 1
; LDSByteSize: 8192 bytes/workgroup (compile time only)
; SGPRBlocks: 6
; VGPRBlocks: 9
; NumSGPRsForWavesPerEU: 54
; NumVGPRsForWavesPerEU: 73
; AccumOffset: 76
; Occupancy: 6
; WaveLimiterHint : 1
; COMPUTE_PGM_RSRC2:SCRATCH_EN: 0
; COMPUTE_PGM_RSRC2:USER_SGPR: 2
; COMPUTE_PGM_RSRC2:TRAP_HANDLER: 0
; COMPUTE_PGM_RSRC2:TGID_X_EN: 1
; COMPUTE_PGM_RSRC2:TGID_Y_EN: 1
; COMPUTE_PGM_RSRC2:TGID_Z_EN: 1
; COMPUTE_PGM_RSRC2:TIDIG_COMP_CNT: 0
; COMPUTE_PGM_RSRC3_GFX90A:ACCUM_OFFSET: 18
; COMPUTE_PGM_RSRC3_GFX90A:TG_SPLIT: 0
	.section	.text._Z39paged_attention_ll4mi_QKV_mfma16_kernelI14__hip_bfloat16S0_LN4vllm18Fp8KVCacheDataTypeE0ES0_Li16ELi64ELi256ELb1ELi4EEvPKT_PKT0_S8_ifPKiSA_SA_iPKfiiiPfSD_PS3_PT2_iSC_SC_,"axG",@progbits,_Z39paged_attention_ll4mi_QKV_mfma16_kernelI14__hip_bfloat16S0_LN4vllm18Fp8KVCacheDataTypeE0ES0_Li16ELi64ELi256ELb1ELi4EEvPKT_PKT0_S8_ifPKiSA_SA_iPKfiiiPfSD_PS3_PT2_iSC_SC_,comdat
	.protected	_Z39paged_attention_ll4mi_QKV_mfma16_kernelI14__hip_bfloat16S0_LN4vllm18Fp8KVCacheDataTypeE0ES0_Li16ELi64ELi256ELb1ELi4EEvPKT_PKT0_S8_ifPKiSA_SA_iPKfiiiPfSD_PS3_PT2_iSC_SC_ ; -- Begin function _Z39paged_attention_ll4mi_QKV_mfma16_kernelI14__hip_bfloat16S0_LN4vllm18Fp8KVCacheDataTypeE0ES0_Li16ELi64ELi256ELb1ELi4EEvPKT_PKT0_S8_ifPKiSA_SA_iPKfiiiPfSD_PS3_PT2_iSC_SC_
	.globl	_Z39paged_attention_ll4mi_QKV_mfma16_kernelI14__hip_bfloat16S0_LN4vllm18Fp8KVCacheDataTypeE0ES0_Li16ELi64ELi256ELb1ELi4EEvPKT_PKT0_S8_ifPKiSA_SA_iPKfiiiPfSD_PS3_PT2_iSC_SC_
	.p2align	8
	.type	_Z39paged_attention_ll4mi_QKV_mfma16_kernelI14__hip_bfloat16S0_LN4vllm18Fp8KVCacheDataTypeE0ES0_Li16ELi64ELi256ELb1ELi4EEvPKT_PKT0_S8_ifPKiSA_SA_iPKfiiiPfSD_PS3_PT2_iSC_SC_,@function
_Z39paged_attention_ll4mi_QKV_mfma16_kernelI14__hip_bfloat16S0_LN4vllm18Fp8KVCacheDataTypeE0ES0_Li16ELi64ELi256ELb1ELi4EEvPKT_PKT0_S8_ifPKiSA_SA_iPKfiiiPfSD_PS3_PT2_iSC_SC_: ; @_Z39paged_attention_ll4mi_QKV_mfma16_kernelI14__hip_bfloat16S0_LN4vllm18Fp8KVCacheDataTypeE0ES0_Li16ELi64ELi256ELb1ELi4EEvPKT_PKT0_S8_ifPKiSA_SA_iPKfiiiPfSD_PS3_PT2_iSC_SC_
; %bb.0:
	s_load_dwordx2 s[6:7], s[0:1], 0x30
	s_mov_b32 s26, s3
	s_mov_b64 s[8:9], 0
	s_waitcnt lgkmcnt(0)
	s_cmp_lg_u64 s[6:7], 0
	s_cselect_b64 s[10:11], -1, 0
	s_and_b64 vcc, exec, s[10:11]
	s_cbranch_vccz .LBB467_7
; %bb.1:
	s_add_i32 s12, s2, 1
	s_mov_b32 s13, 0
	s_lshl_b64 s[14:15], s[12:13], 2
	s_add_u32 s14, s6, s14
	s_mov_b32 s3, s13
	s_addc_u32 s15, s7, s15
	s_lshl_b64 s[12:13], s[2:3], 2
	s_add_u32 s12, s6, s12
	s_addc_u32 s13, s7, s13
	s_load_dword s5, s[14:15], 0x0
	s_load_dword s16, s[12:13], 0x0
	s_waitcnt lgkmcnt(0)
	s_sub_i32 s5, s5, s16
	s_cmp_eq_u32 s5, 1
	s_cselect_b64 s[12:13], -1, 0
	s_andn2_b64 vcc, exec, s[8:9]
	s_cbranch_vccnz .LBB467_3
.LBB467_2:
	s_mov_b32 s3, 0
	s_mov_b64 s[12:13], -1
.LBB467_3:
	s_andn2_b64 vcc, exec, s[12:13]
	s_cbranch_vccnz .LBB467_19
; %bb.4:
	s_load_dwordx2 s[8:9], s[0:1], 0x28
	s_lshl_b64 s[12:13], s[2:3], 2
	s_waitcnt lgkmcnt(0)
	s_add_u32 s8, s8, s12
	s_addc_u32 s9, s9, s13
	s_load_dword s33, s[8:9], 0x0
	s_lshl_b32 s16, s26, 8
	s_waitcnt lgkmcnt(0)
	s_cmp_ge_i32 s16, s33
	s_cbranch_scc1 .LBB467_19
; %bb.5:
	s_load_dwordx2 s[8:9], s[0:1], 0x20
	s_load_dword s5, s[0:1], 0x38
	s_add_i32 s14, s33, 15
	s_ashr_i32 s15, s14, 31
	v_and_b32_e32 v1, 0xcf, v0
	s_lshr_b32 s15, s15, 28
	v_add_u32_e32 v1, s16, v1
	s_add_i32 s14, s14, s15
	v_ashrrev_i32_e32 v2, 31, v1
	s_ashr_i32 s17, s14, 4
	v_lshrrev_b32_e32 v6, 28, v2
	s_add_i32 s17, s17, -1
	s_waitcnt lgkmcnt(0)
	s_mul_i32 s14, s2, s5
	s_mov_b32 s15, 0
	v_add_u32_e32 v2, v1, v6
	s_lshl_b64 s[14:15], s[14:15], 2
	v_ashrrev_i32_e32 v2, 4, v2
	v_mov_b32_e32 v7, s17
	v_cmp_gt_i32_e32 vcc, s33, v1
	s_add_u32 s8, s8, s14
	s_addc_u32 s9, s9, s15
	v_cndmask_b32_e32 v2, v7, v2, vcc
	v_ashrrev_i32_e32 v3, 31, v2
	v_lshl_add_u64 v[4:5], v[2:3], 2, s[8:9]
	v_or_b32_e32 v2, 16, v1
	v_add_u32_e32 v3, v2, v6
	v_ashrrev_i32_e32 v3, 4, v3
	v_cmp_gt_i32_e32 vcc, s33, v2
	s_load_dwordx2 s[14:15], s[0:1], 0x8
	s_nop 0
	v_cndmask_b32_e32 v2, v7, v3, vcc
	v_ashrrev_i32_e32 v3, 31, v2
	v_lshl_add_u64 v[8:9], v[2:3], 2, s[8:9]
	v_or_b32_e32 v2, 32, v1
	v_add_u32_e32 v3, v2, v6
	v_ashrrev_i32_e32 v3, 4, v3
	v_cmp_gt_i32_e32 vcc, s33, v2
	v_or_b32_e32 v1, 48, v1
	s_nop 0
	v_cndmask_b32_e32 v2, v7, v3, vcc
	v_ashrrev_i32_e32 v3, 31, v2
	v_lshl_add_u64 v[10:11], v[2:3], 2, s[8:9]
	v_add_u32_e32 v2, v1, v6
	v_ashrrev_i32_e32 v2, 4, v2
	v_cmp_gt_i32_e32 vcc, s33, v1
	s_nop 1
	v_cndmask_b32_e32 v2, v7, v2, vcc
	v_ashrrev_i32_e32 v3, 31, v2
	v_lshl_add_u64 v[12:13], v[2:3], 2, s[8:9]
	global_load_dword v3, v[4:5], off
	global_load_dword v2, v[8:9], off
	global_load_dword v6, v[10:11], off
	global_load_dword v14, v[12:13], off
	s_andn2_b64 vcc, exec, s[10:11]
	s_cbranch_vccnz .LBB467_8
; %bb.6:
	s_add_u32 s6, s6, s12
	s_addc_u32 s7, s7, s13
	s_load_dword s5, s[6:7], 0x0
	s_branch .LBB467_9
.LBB467_7:
	s_mov_b64 s[12:13], 0
	s_branch .LBB467_2
.LBB467_8:
	s_mov_b32 s5, s2
.LBB467_9:
	s_load_dwordx2 s[10:11], s[0:1], 0x10
	s_load_dwordx4 s[40:43], s[0:1], 0x48
	v_and_b32_e32 v56, 15, v0
	v_bfe_u32 v54, v0, 4, 2
	s_lshl_b32 s27, s4, 2
	v_lshlrev_b32_e32 v4, 3, v56
	v_cmp_gt_u32_e32 vcc, 64, v0
	v_cmp_gt_u32_e64 s[6:7], 8, v56
	v_lshrrev_b32_e32 v55, 6, v0
	v_or_b32_e32 v1, s27, v54
	v_and_b32_e32 v18, 3, v0
	s_and_b64 s[44:45], vcc, s[6:7]
	v_lshlrev_b32_e32 v42, 1, v4
	v_lshlrev_b32_e32 v52, 5, v54
	s_and_saveexec_b64 s[6:7], s[44:45]
	s_cbranch_execz .LBB467_11
; %bb.10:
	s_load_dwordx2 s[12:13], s[0:1], 0x0
	s_waitcnt lgkmcnt(0)
	s_ashr_i32 s18, s40, 31
	s_mul_hi_u32 s19, s5, s40
	s_mul_i32 s18, s5, s18
	s_add_i32 s19, s19, s18
	s_mul_i32 s18, s5, s40
	s_lshl_b64 s[18:19], s[18:19], 1
	s_add_u32 s12, s12, s18
	v_lshlrev_b32_e32 v4, 6, v1
	s_addc_u32 s13, s13, s19
	v_ashrrev_i32_e32 v5, 31, v4
	v_lshl_add_u64 v[4:5], v[4:5], 1, s[12:13]
	v_mov_b32_e32 v43, 0
	v_lshl_add_u64 v[4:5], v[4:5], 0, v[42:43]
	global_load_dwordx4 v[8:11], v[4:5], off
	v_lshlrev_b32_e32 v7, 9, v56
	v_lshl_or_b32 v4, v55, 7, v52
	v_lshlrev_b32_e32 v5, 9, v18
	v_and_b32_e32 v7, 0x1800, v7
	v_or3_b32 v4, v7, v5, v4
	s_waitcnt vmcnt(0)
	ds_write_b128 v4, v[8:11]
.LBB467_11:
	s_or_b64 exec, exec, s[6:7]
	s_waitcnt lgkmcnt(0)
	s_mul_i32 s4, s4, s42
	s_mov_b32 s5, 0
	s_lshl_b64 s[4:5], s[4:5], 1
	s_add_u32 s6, s14, s4
	v_lshlrev_b32_e32 v53, 4, v0
	s_addc_u32 s7, s15, s5
	v_and_b32_e32 v44, 0xf0, v53
	v_mov_b32_e32 v45, 0
	v_lshl_add_u64 v[16:17], s[6:7], 0, v[44:45]
	s_waitcnt vmcnt(3)
	v_mad_i64_i32 v[4:5], s[6:7], v3, s41, 0
	s_waitcnt vmcnt(2)
	v_mad_i64_i32 v[2:3], s[6:7], v2, s41, 0
	;; [unrolled: 2-line block ×3, first 2 shown]
	v_lshl_add_u64 v[4:5], v[4:5], 1, v[16:17]
	v_and_b32_e32 v44, 0x300, v53
	v_lshl_add_u64 v[2:3], v[2:3], 1, v[16:17]
	v_lshl_add_u64 v[6:7], v[6:7], 1, v[16:17]
	s_waitcnt vmcnt(0)
	v_mad_i64_i32 v[14:15], s[6:7], v14, s41, 0
	v_lshl_add_u64 v[4:5], v[4:5], 0, v[44:45]
	v_lshl_add_u64 v[8:9], v[2:3], 0, v[44:45]
	;; [unrolled: 1-line block ×4, first 2 shown]
	s_barrier
	global_load_dwordx4 v[30:33], v[4:5], off
	global_load_dwordx4 v[10:13], v[4:5], off offset:1024
	global_load_dwordx4 v[22:25], v[8:9], off
	s_nop 0
	global_load_dwordx4 v[2:5], v[8:9], off offset:1024
	global_load_dwordx4 v[26:29], v[20:21], off
	s_nop 0
	global_load_dwordx4 v[6:9], v[20:21], off offset:1024
	v_lshl_add_u64 v[20:21], v[14:15], 0, v[44:45]
	global_load_dwordx4 v[34:37], v[20:21], off
	global_load_dwordx4 v[14:17], v[20:21], off offset:1024
	v_lshlrev_b32_e32 v18, 5, v18
	v_lshl_or_b32 v18, v54, 9, v18
	ds_read_b128 v[38:41], v18
	ds_read_b128 v[18:21], v18 offset:2048
	v_and_b32_e32 v57, 63, v0
	v_cmp_gt_u32_e32 vcc, 4, v56
	v_mov_b32_e32 v58, 0
	s_and_saveexec_b64 s[6:7], vcc
	s_cbranch_execz .LBB467_13
; %bb.12:
	s_load_dwordx2 s[12:13], s[0:1], 0x40
	v_or_b32_e32 v46, s27, v56
	v_ashrrev_i32_e32 v47, 31, v46
	s_waitcnt lgkmcnt(0)
	v_lshl_add_u64 v[46:47], v[46:47], 2, s[12:13]
	global_load_dword v58, v[46:47], off
.LBB467_13:
	s_or_b64 exec, exec, s[6:7]
	v_and_or_b32 v44, v0, 48, s16
	v_ashrrev_i32_e32 v43, 4, v44
	v_mov_b32_e32 v59, s17
	v_cmp_gt_i32_e32 vcc, s33, v44
	s_waitcnt vmcnt(5) lgkmcnt(1)
	v_mfma_f32_16x16x16_bf16 v[60:63], v[22:23], v[38:39], 0
	s_load_dword s6, s[0:1], 0x1c
	v_cndmask_b32_e32 v46, v59, v43, vcc
	v_ashrrev_i32_e32 v47, 31, v46
	v_or_b32_e32 v43, 64, v44
	v_lshl_add_u64 v[50:51], v[46:47], 2, s[8:9]
	v_mfma_f32_16x16x16_bf16 v[46:49], v[30:31], v[38:39], 0
	v_ashrrev_i32_e32 v30, 4, v43
	v_cmp_gt_i32_e32 vcc, s33, v43
	global_load_dword v72, v[50:51], off
	s_waitcnt vmcnt(4)
	v_mfma_f32_16x16x16_bf16 v[64:67], v[26:27], v[38:39], 0
	v_cndmask_b32_e32 v30, v59, v30, vcc
	v_ashrrev_i32_e32 v31, 31, v30
	v_lshl_add_u64 v[22:23], v[30:31], 2, s[8:9]
	global_load_dword v73, v[22:23], off
	v_mfma_f32_16x16x16_bf16 v[22:25], v[24:25], v[40:41], v[60:63]
	v_and_b32_e32 v26, 0xc0, v0
	s_mov_b32 s40, 0xff7fffff
	s_add_u32 s4, s10, s4
	v_mfma_f32_16x16x16_bf16 v[30:33], v[32:33], v[40:41], v[46:49]
	s_addc_u32 s5, s11, s5
	v_lshlrev_b32_e32 v43, 5, v56
	s_waitcnt vmcnt(3)
	v_mfma_f32_16x16x16_bf16 v[68:71], v[34:35], v[38:39], 0
	v_or_b32_e32 v38, 0x80, v44
	v_add_u32_e32 v46, s16, v26
	v_or_b32_e32 v39, 0xc0, v44
	v_mfma_f32_16x16x16_bf16 v[26:29], v[28:29], v[40:41], v[64:67]
	v_ashrrev_i32_e32 v47, 4, v38
	v_cmp_gt_i32_e32 vcc, s33, v38
	v_ashrrev_i32_e32 v48, 4, v39
	s_waitcnt lgkmcnt(0)
	v_mfma_f32_16x16x16_bf16 v[22:25], v[2:3], v[18:19], v[22:25]
	v_cndmask_b32_e32 v38, v59, v47, vcc
	v_cmp_gt_i32_e32 vcc, s33, v39
	v_ashrrev_i32_e32 v39, 31, v38
	v_mfma_f32_16x16x16_bf16 v[30:33], v[10:11], v[18:19], v[30:33]
	v_cndmask_b32_e32 v10, v59, v48, vcc
	v_ashrrev_i32_e32 v11, 31, v10
	v_lshl_or_b32 v60, v54, 2, v46
	v_mfma_f32_16x16x16_bf16 v[26:29], v[6:7], v[18:19], v[26:29]
	v_lshl_add_u64 v[6:7], v[38:39], 2, s[8:9]
	v_lshl_add_u64 v[38:39], v[10:11], 2, s[8:9]
	v_or_b32_e32 v59, 1, v60
	v_mfma_f32_16x16x16_bf16 v[2:5], v[4:5], v[20:21], v[22:25]
	s_nop 2
	global_load_dword v22, v[6:7], off
	global_load_dword v63, v[38:39], off
	v_subrev_u32_e32 v61, s33, v59
	v_cvt_f32_i32_e32 v62, v61
	v_mfma_f32_16x16x16_bf16 v[34:37], v[36:37], v[40:41], v[68:71]
	v_pk_mul_f32 v[46:47], s[6:7], v[4:5] op_sel_hi:[0,1]
	v_cmp_gt_i32_e64 s[28:29], s33, v60
	v_cmp_gt_i32_e64 s[30:31], s33, v59
	s_waitcnt vmcnt(4)
	v_mfma_f32_16x16x16_bf16 v[34:37], v[14:15], v[18:19], v[34:37]
	v_add_u32_e32 v14, 1, v61
	v_add_u32_e32 v15, 2, v61
	v_cvt_f32_i32_e32 v23, v14
	v_cvt_f32_i32_e32 v24, v15
	v_mfma_f32_16x16x16_bf16 v[14:17], v[16:17], v[20:21], v[34:37]
	v_add_u32_e32 v18, 3, v61
	v_cvt_f32_i32_e32 v18, v18
	v_add_u32_e32 v19, 16, v61
	v_mfma_f32_16x16x16_bf16 v[10:13], v[12:13], v[20:21], v[30:33]
	v_cvt_f32_i32_e32 v19, v19
	s_nop 1
	v_pk_mul_f32 v[36:37], s[6:7], v[14:15] op_sel_hi:[0,1]
	v_add_u32_e32 v15, 19, v61
	v_add_u32_e32 v31, 18, v61
	v_cvt_f32_i32_e32 v14, v31
	v_cvt_f32_i32_e32 v15, v15
	v_mfma_f32_16x16x16_bf16 v[6:9], v[8:9], v[20:21], v[26:29]
	v_pk_mul_f32 v[34:35], s[6:7], v[16:17] op_sel_hi:[0,1]
	v_fma_f32 v46, v58, v14, v46
	v_add_u32_e32 v14, 32, v61
	v_fmac_f32_e32 v47, v58, v15
	v_cvt_f32_i32_e32 v14, v14
	v_add_u32_e32 v15, 33, v61
	v_add_u32_e32 v16, 34, v61
	v_cvt_f32_i32_e32 v15, v15
	v_cvt_f32_i32_e32 v16, v16
	v_add_u32_e32 v17, 35, v61
	v_cvt_f32_i32_e32 v17, v17
	v_pk_mul_f32 v[40:41], s[6:7], v[6:7] op_sel_hi:[0,1]
	v_pk_mul_f32 v[38:39], s[6:7], v[8:9] op_sel_hi:[0,1]
	v_fma_f32 v40, v58, v14, v40
	v_add_u32_e32 v14, 48, v61
	v_fmac_f32_e32 v41, v58, v15
	v_fma_f32 v38, v58, v16, v38
	v_cvt_f32_i32_e32 v14, v14
	v_add_u32_e32 v15, 49, v61
	v_add_u32_e32 v16, 50, v61
	v_fmac_f32_e32 v39, v58, v17
	v_cvt_f32_i32_e32 v15, v15
	v_cvt_f32_i32_e32 v16, v16
	v_add_u32_e32 v17, 51, v61
	v_cvt_f32_i32_e32 v17, v17
	v_pk_mul_f32 v[10:11], s[6:7], v[10:11] op_sel_hi:[0,1]
	v_fma_f32 v10, v58, v62, v10
	v_fmac_f32_e32 v11, v58, v23
	v_fma_f32 v36, v58, v14, v36
	v_mov_b32_e32 v14, 0xff7fffff
	v_add_u32_e32 v30, 17, v61
	v_fmac_f32_e32 v37, v58, v15
	v_fma_f32 v34, v58, v16, v34
	v_cndmask_b32_e64 v15, v14, v10, s[28:29]
	v_cndmask_b32_e64 v16, v14, v11, s[30:31]
	v_cvt_f32_i32_e32 v25, v30
	v_pk_mul_f32 v[50:51], s[6:7], v[12:13] op_sel_hi:[0,1]
	v_fmac_f32_e32 v35, v58, v17
	v_max3_f32 v15, v15, s40, v16
	v_or_b32_e32 v16, 2, v60
	v_or_b32_e32 v17, 3, v60
	v_fma_f32 v50, v58, v24, v50
	v_fmac_f32_e32 v51, v58, v18
	v_cmp_gt_i32_e64 s[34:35], s33, v16
	v_cmp_gt_i32_e64 s[36:37], s33, v17
	v_pk_mul_f32 v[48:49], s[6:7], v[2:3] op_sel_hi:[0,1]
	v_cndmask_b32_e64 v16, v14, v50, s[34:35]
	v_cndmask_b32_e64 v17, v14, v51, s[36:37]
	v_max3_f32 v15, v15, v16, v17
	v_or_b32_e32 v16, 16, v60
	v_or_b32_e32 v17, 17, v60
	v_fma_f32 v48, v58, v19, v48
	v_fmac_f32_e32 v49, v58, v25
	v_cmp_gt_i32_e64 s[22:23], s33, v16
	v_cmp_gt_i32_e64 s[24:25], s33, v17
	v_lshl_or_b32 v44, v55, 9, v43
	v_cndmask_b32_e64 v16, v14, v48, s[22:23]
	v_cndmask_b32_e64 v17, v14, v49, s[24:25]
	v_max3_f32 v15, v15, v16, v17
	v_or_b32_e32 v16, 18, v60
	v_or_b32_e32 v17, 19, v60
	v_cmp_gt_i32_e64 s[18:19], s33, v16
	v_cmp_gt_i32_e64 s[20:21], s33, v17
	v_lshl_add_u64 v[44:45], s[4:5], 0, v[44:45]
	v_cndmask_b32_e64 v16, v14, v46, s[18:19]
	v_cndmask_b32_e64 v17, v14, v47, s[20:21]
	v_max3_f32 v15, v15, v16, v17
	v_or_b32_e32 v16, 32, v60
	v_or_b32_e32 v17, 33, v60
	v_cmp_gt_i32_e64 s[14:15], s33, v16
	v_cmp_gt_i32_e64 s[16:17], s33, v17
	s_waitcnt vmcnt(3)
	v_mad_i64_i32 v[2:3], s[4:5], v72, s41, 0
	v_cndmask_b32_e64 v16, v14, v40, s[14:15]
	v_cndmask_b32_e64 v17, v14, v41, s[16:17]
	v_max3_f32 v15, v15, v16, v17
	v_or_b32_e32 v16, 34, v60
	v_or_b32_e32 v17, 35, v60
	v_cmp_gt_i32_e64 s[10:11], s33, v16
	v_cmp_gt_i32_e64 s[12:13], s33, v17
	s_waitcnt vmcnt(2)
	v_mad_i64_i32 v[12:13], s[4:5], v73, s41, 0
	v_cndmask_b32_e64 v16, v14, v38, s[10:11]
	v_cndmask_b32_e64 v17, v14, v39, s[12:13]
	v_max3_f32 v15, v15, v16, v17
	v_or_b32_e32 v16, 48, v60
	v_or_b32_e32 v17, 49, v60
	v_cmp_gt_i32_e64 s[6:7], s33, v16
	v_cmp_gt_i32_e64 s[8:9], s33, v17
	v_lshl_add_u64 v[2:3], v[2:3], 1, v[44:45]
	v_cndmask_b32_e64 v16, v14, v36, s[6:7]
	v_cndmask_b32_e64 v17, v14, v37, s[8:9]
	v_max3_f32 v15, v15, v16, v17
	v_or_b32_e32 v16, 50, v60
	v_or_b32_e32 v17, 51, v60
	v_cmp_gt_i32_e32 vcc, s33, v16
	v_cmp_gt_i32_e64 s[4:5], s33, v17
	v_lshl_add_u64 v[12:13], v[12:13], 1, v[44:45]
	v_cndmask_b32_e32 v16, v14, v34, vcc
	v_cndmask_b32_e64 v14, v14, v35, s[4:5]
	v_max3_f32 v14, v15, v16, v14
	v_mbcnt_lo_u32_b32 v15, -1, 0
	v_mbcnt_hi_u32_b32 v15, -1, v15
	v_and_b32_e32 v16, 64, v15
	v_add_u32_e32 v16, 64, v16
	v_xor_b32_e32 v17, 32, v15
	v_cmp_lt_i32_e64 s[38:39], v17, v16
	global_load_dwordx4 v[6:9], v[2:3], off
	s_nop 0
	global_load_dwordx4 v[2:5], v[2:3], off offset:16
	v_cndmask_b32_e64 v17, v15, v17, s[38:39]
	v_lshlrev_b32_e32 v59, 2, v17
	ds_bpermute_b32 v17, v59, v14
	global_load_dwordx4 v[30:33], v[12:13], off
	global_load_dwordx4 v[26:29], v[12:13], off offset:16
	s_waitcnt vmcnt(5)
	v_mad_i64_i32 v[12:13], s[38:39], v22, s41, 0
	v_lshl_add_u64 v[12:13], v[12:13], 1, v[44:45]
	s_waitcnt lgkmcnt(0)
	v_max_f32_e32 v17, v17, v17
	v_max_f32_e32 v14, v14, v17
	v_xor_b32_e32 v17, 16, v15
	v_cmp_lt_i32_e64 s[38:39], v17, v16
	global_load_dwordx4 v[22:25], v[12:13], off
	global_load_dwordx4 v[18:21], v[12:13], off offset:16
	v_cndmask_b32_e64 v15, v15, v17, s[38:39]
	v_lshlrev_b32_e32 v60, 2, v15
	ds_bpermute_b32 v15, v60, v14
	s_waitcnt vmcnt(6)
	v_mad_i64_i32 v[12:13], s[38:39], v63, s41, 0
	v_lshl_add_u64 v[12:13], v[12:13], 1, v[44:45]
	s_waitcnt lgkmcnt(0)
	v_max_f32_e32 v15, v15, v15
	v_max_f32_e32 v58, v14, v15
	v_sub_f32_e32 v10, v10, v58
	v_mul_f32_e32 v10, 0x3fb8aa3b, v10
	v_exp_f32_e32 v44, v10
	v_sub_f32_e32 v10, v11, v58
	v_mul_f32_e32 v10, 0x3fb8aa3b, v10
	v_exp_f32_e32 v45, v10
	global_load_dwordx4 v[14:17], v[12:13], off
	s_nop 0
	global_load_dwordx4 v[10:13], v[12:13], off offset:16
	v_sub_f32_e32 v50, v50, v58
	v_mul_f32_e32 v50, 0x3fb8aa3b, v50
	v_sub_f32_e32 v51, v51, v58
	v_exp_f32_e32 v50, v50
	v_mul_f32_e32 v51, 0x3fb8aa3b, v51
	v_sub_f32_e32 v48, v48, v58
	v_exp_f32_e32 v51, v51
	v_mul_f32_e32 v48, 0x3fb8aa3b, v48
	v_sub_f32_e32 v49, v49, v58
	v_cndmask_b32_e64 v44, 0, v44, s[28:29]
	v_exp_f32_e32 v48, v48
	v_mul_f32_e32 v49, 0x3fb8aa3b, v49
	v_sub_f32_e32 v46, v46, v58
	v_add_f32_e32 v61, 0, v44
	v_cndmask_b32_e64 v45, 0, v45, s[30:31]
	v_exp_f32_e32 v49, v49
	v_mul_f32_e32 v46, 0x3fb8aa3b, v46
	v_sub_f32_e32 v47, v47, v58
	v_add_f32_e32 v61, v61, v45
	;; [unrolled: 5-line block ×10, first 2 shown]
	v_cndmask_b32_e64 v38, 0, v38, s[10:11]
	v_exp_f32_e32 v34, v34
	v_mul_f32_e32 v35, 0x3fb8aa3b, v35
	v_add_f32_e32 v61, v61, v38
	v_cndmask_b32_e64 v39, 0, v39, s[12:13]
	v_exp_f32_e32 v35, v35
	v_add_f32_e32 v61, v61, v39
	v_cndmask_b32_e64 v36, 0, v36, s[6:7]
	v_add_f32_e32 v61, v61, v36
	v_cndmask_b32_e64 v37, 0, v37, s[8:9]
	v_add_f32_e32 v61, v61, v37
	v_cndmask_b32_e32 v34, 0, v34, vcc
	v_add_f32_e32 v61, v61, v34
	v_cndmask_b32_e64 v35, 0, v35, s[4:5]
	v_add_f32_e32 v61, v61, v35
	ds_bpermute_b32 v59, v59, v61
	s_load_dword s7, s[0:1], 0x98
	v_cmp_gt_u32_e32 vcc, 16, v57
	v_lshlrev_b32_e32 v57, 2, v56
	s_waitcnt lgkmcnt(0)
	v_add_f32_e32 v59, v61, v59
	ds_bpermute_b32 v60, v60, v59
	s_barrier
	s_waitcnt lgkmcnt(0)
	s_and_saveexec_b64 s[4:5], vcc
	s_cbranch_execz .LBB467_15
; %bb.14:
	v_add_f32_e32 v56, v59, v60
	v_lshl_or_b32 v59, v55, 6, v57
	ds_write2st64_b32 v59, v58, v56 offset1:1
.LBB467_15:
	s_or_b64 exec, exec, s[4:5]
	s_load_dword s6, s[0:1], 0x94
	s_waitcnt lgkmcnt(0)
	s_barrier
	ds_read2_b32 v[58:59], v57 offset1:16
	ds_read2_b32 v[60:61], v57 offset0:32 offset1:48
	ds_read2_b32 v[62:63], v57 offset0:64 offset1:80
	s_movk_i32 s8, 0x7fff
	s_mov_b32 s9, 0x7060302
	s_waitcnt lgkmcnt(2)
	v_max3_f32 v56, v58, s40, v59
	s_waitcnt lgkmcnt(1)
	v_max3_f32 v56, v56, v60, v61
	v_sub_f32_e32 v58, v58, v56
	v_mul_f32_e32 v58, 0x3fb8aa3b, v58
	v_exp_f32_e32 v64, v58
	v_sub_f32_e32 v58, v59, v56
	v_mul_f32_e32 v58, 0x3fb8aa3b, v58
	v_exp_f32_e32 v65, v58
	;; [unrolled: 3-line block ×3, first 2 shown]
	ds_read2_b32 v[58:59], v57 offset0:96 offset1:112
	v_sub_f32_e32 v57, v61, v56
	v_mul_f32_e32 v57, 0x3fb8aa3b, v57
	v_exp_f32_e32 v61, v57
	s_waitcnt lgkmcnt(1)
	v_fma_f32 v57, v64, v62, 0
	v_fmac_f32_e32 v57, v65, v63
	s_waitcnt lgkmcnt(0)
	v_fmac_f32_e32 v57, v60, v58
	v_fmac_f32_e32 v57, v61, v59
	v_add_f32_e32 v58, 0x358637bd, v57
	v_div_scale_f32 v59, s[4:5], v58, v58, 1.0
	v_rcp_f32_e32 v62, v59
	s_lshl_b32 s7, s7, 2
	s_barrier
	v_fma_f32 v63, -v59, v62, 1.0
	v_fmac_f32_e32 v62, v63, v62
	v_div_scale_f32 v63, vcc, 1.0, v58, 1.0
	v_mul_f32_e32 v66, v63, v62
	v_fma_f32 v67, -v59, v66, v63
	v_fmac_f32_e32 v66, v67, v62
	v_fma_f32 v59, -v59, v66, v63
	v_div_fmas_f32 v59, v59, v62, v66
	v_cmp_eq_u32_e32 vcc, 1, v55
	v_div_fixup_f32 v58, v59, v58, 1.0
	s_nop 0
	v_cndmask_b32_e32 v59, v64, v65, vcc
	v_cmp_eq_u32_e32 vcc, 2, v55
	s_nop 1
	v_cndmask_b32_e32 v59, v59, v60, vcc
	v_cmp_eq_u32_e32 vcc, 3, v55
	s_nop 1
	v_cndmask_b32_e32 v59, v59, v61, vcc
	v_mul_f32_e32 v58, v59, v58
	v_pk_mul_f32 v[44:45], v[58:59], v[44:45] op_sel_hi:[0,1]
	v_pk_mul_f32 v[50:51], v[58:59], v[50:51] op_sel_hi:[0,1]
	v_bfe_u32 v59, v45, 16, 1
	v_bfe_u32 v60, v44, 16, 1
	v_add3_u32 v44, v44, v60, s8
	v_add3_u32 v45, v45, v59, s8
	v_perm_b32 v60, v45, v44, s9
	v_bfe_u32 v44, v51, 16, 1
	v_bfe_u32 v45, v50, 16, 1
	v_add3_u32 v45, v50, v45, s8
	v_add3_u32 v44, v51, v44, s8
	v_perm_b32 v61, v44, v45, s9
	v_lshlrev_b32_e32 v44, 3, v54
	v_lshlrev_b32_e32 v45, 11, v55
	v_pk_mul_f32 v[48:49], v[58:59], v[48:49] op_sel_hi:[0,1]
	v_or3_b32 v44, v45, v43, v44
	v_bfe_u32 v45, v49, 16, 1
	v_bfe_u32 v50, v48, 16, 1
	v_pk_mul_f32 v[46:47], v[58:59], v[46:47] op_sel_hi:[0,1]
	v_add3_u32 v48, v48, v50, s8
	v_add3_u32 v45, v49, v45, s8
	v_perm_b32 v48, v45, v48, s9
	v_bfe_u32 v45, v47, 16, 1
	v_bfe_u32 v49, v46, 16, 1
	v_add3_u32 v46, v46, v49, s8
	v_add3_u32 v45, v47, v45, s8
	v_pk_mul_f32 v[40:41], v[58:59], v[40:41] op_sel_hi:[0,1]
	v_perm_b32 v49, v45, v46, s9
	v_bfe_u32 v45, v41, 16, 1
	v_bfe_u32 v46, v40, 16, 1
	v_pk_mul_f32 v[38:39], v[58:59], v[38:39] op_sel_hi:[0,1]
	v_add3_u32 v40, v40, v46, s8
	v_add3_u32 v41, v41, v45, s8
	v_perm_b32 v40, v41, v40, s9
	v_bfe_u32 v41, v39, 16, 1
	v_bfe_u32 v45, v38, 16, 1
	v_add3_u32 v38, v38, v45, s8
	v_add3_u32 v39, v39, v41, s8
	v_pk_mul_f32 v[36:37], v[58:59], v[36:37] op_sel_hi:[0,1]
	v_perm_b32 v41, v39, v38, s9
	v_bfe_u32 v38, v37, 16, 1
	v_bfe_u32 v39, v36, 16, 1
	v_pk_mul_f32 v[34:35], v[58:59], v[34:35] op_sel_hi:[0,1]
	v_add3_u32 v36, v36, v39, s8
	v_add3_u32 v37, v37, v38, s8
	v_perm_b32 v36, v37, v36, s9
	v_bfe_u32 v37, v35, 16, 1
	v_bfe_u32 v38, v34, 16, 1
	v_add3_u32 v34, v34, v38, s8
	v_add3_u32 v35, v35, v37, s8
	v_perm_b32 v37, v35, v34, s9
	v_cmp_gt_u32_e32 vcc, 4, v0
	ds_write2st64_b64 v44, v[60:61], v[48:49] offset1:1
	ds_write2st64_b64 v44, v[40:41], v[36:37] offset0:2 offset1:3
	s_and_saveexec_b64 s[4:5], vcc
	s_cbranch_execz .LBB467_17
; %bb.16:
	v_or_b32_e32 v34, s27, v0
	v_mov_b32_e32 v35, 0
	v_mov_b32_e32 v36, s7
	v_mad_u64_u32 v[36:37], s[10:11], s2, v36, v[34:35]
	v_mov_b32_e32 v34, s26
	s_load_dwordx4 s[12:15], s[0:1], 0x58
	s_mul_i32 s3, s3, s7
	v_mad_u64_u32 v[34:35], s[10:11], v36, s6, v[34:35]
	v_add_u32_e32 v37, s3, v37
	v_mov_b32_e32 v36, v35
	v_mad_u64_u32 v[36:37], s[10:11], v37, s6, v[36:37]
	v_mov_b32_e32 v35, v36
	v_lshlrev_b64 v[34:35], 2, v[34:35]
	s_waitcnt lgkmcnt(0)
	v_lshl_add_u64 v[36:37], s[14:15], 0, v[34:35]
	v_lshl_add_u64 v[34:35], s[12:13], 0, v[34:35]
	global_store_dword v[36:37], v56, off
	global_store_dword v[34:35], v57, off
.LBB467_17:
	s_or_b64 exec, exec, s[4:5]
	v_lshl_or_b32 v43, v54, 9, v43
	s_waitcnt lgkmcnt(0)
	s_barrier
	ds_read_b128 v[34:37], v43
	ds_read_b128 v[38:41], v43 offset:16
	s_waitcnt vmcnt(7) lgkmcnt(1)
	v_mfma_f32_16x16x16_bf16 v[46:49], v[6:7], v[34:35], 0
	s_mov_b32 s3, 0
	v_mfma_f32_16x16x16_bf16 v[6:9], v[8:9], v[36:37], v[46:49]
	s_waitcnt vmcnt(6) lgkmcnt(0)
	v_mfma_f32_16x16x16_bf16 v[6:9], v[2:3], v[38:39], v[6:9]
	v_mfma_f32_16x16x16_bf16 v[2:5], v[4:5], v[40:41], v[6:9]
	s_nop 5
	ds_read_b128 v[6:9], v43 offset:2048
	ds_read_b128 v[34:37], v43 offset:2064
	s_waitcnt vmcnt(5) lgkmcnt(1)
	v_mfma_f32_16x16x16_bf16 v[2:5], v[30:31], v[6:7], v[2:5]
	v_mfma_f32_16x16x16_bf16 v[2:5], v[32:33], v[8:9], v[2:5]
	s_waitcnt vmcnt(4) lgkmcnt(0)
	v_mfma_f32_16x16x16_bf16 v[2:5], v[26:27], v[34:35], v[2:5]
	v_mfma_f32_16x16x16_bf16 v[2:5], v[28:29], v[36:37], v[2:5]
	ds_read_b128 v[6:9], v43 offset:4096
	ds_read_b128 v[26:29], v43 offset:4112
	s_waitcnt vmcnt(3) lgkmcnt(1)
	v_mfma_f32_16x16x16_bf16 v[2:5], v[22:23], v[6:7], v[2:5]
	v_mfma_f32_16x16x16_bf16 v[2:5], v[24:25], v[8:9], v[2:5]
	s_waitcnt vmcnt(2) lgkmcnt(0)
	v_mfma_f32_16x16x16_bf16 v[2:5], v[18:19], v[26:27], v[2:5]
	v_mfma_f32_16x16x16_bf16 v[2:5], v[20:21], v[28:29], v[2:5]
	ds_read_b128 v[6:9], v43 offset:6144
	ds_read_b128 v[18:21], v43 offset:6160
	v_mov_b32_e32 v43, 0
	s_waitcnt vmcnt(1) lgkmcnt(0)
	v_mfma_f32_16x16x16_bf16 v[2:5], v[14:15], v[6:7], v[2:5]
	s_barrier
	v_mfma_f32_16x16x16_bf16 v[2:5], v[16:17], v[8:9], v[2:5]
	s_waitcnt vmcnt(0)
	v_mfma_f32_16x16x16_bf16 v[2:5], v[10:11], v[18:19], v[2:5]
	v_mfma_f32_16x16x16_bf16 v[2:5], v[12:13], v[20:21], v[2:5]
	s_nop 6
	v_bfe_u32 v6, v3, 16, 1
	v_bfe_u32 v7, v2, 16, 1
	v_bfe_u32 v8, v5, 16, 1
	v_bfe_u32 v9, v4, 16, 1
	v_add3_u32 v2, v2, v7, s8
	v_add3_u32 v3, v3, v6, s8
	;; [unrolled: 1-line block ×4, first 2 shown]
	v_perm_b32 v2, v3, v2, s9
	v_perm_b32 v3, v5, v4, s9
	ds_write_b64 v44, v[2:3]
	s_waitcnt lgkmcnt(0)
	s_barrier
	s_and_saveexec_b64 s[4:5], s[44:45]
	s_cbranch_execz .LBB467_19
; %bb.18:
	s_load_dwordx2 s[0:1], s[0:1], 0x68
	s_lshl_b32 s6, s6, 6
	s_mul_i32 s2, s7, s2
	s_mul_hi_u32 s5, s2, s6
	s_mul_i32 s4, s2, s6
	v_lshlrev_b32_e32 v0, 10, v0
	s_lshl_b64 s[4:5], s[4:5], 1
	v_and_b32_e32 v0, 0x1800, v0
	v_and_b32_e32 v2, 16, v53
	s_waitcnt lgkmcnt(0)
	s_add_u32 s4, s0, s4
	v_or3_b32 v0, v0, v52, v2
	s_addc_u32 s5, s1, s5
	s_lshl_b32 s2, s26, 6
	ds_read_b128 v[2:5], v0
	s_lshl_b64 s[0:1], s[2:3], 1
	s_add_u32 s0, s4, s0
	s_addc_u32 s1, s5, s1
	v_mad_u64_u32 v[0:1], s[2:3], s6, v1, 0
	v_lshl_add_u64 v[0:1], v[0:1], 1, s[0:1]
	v_lshl_add_u64 v[0:1], v[0:1], 0, v[42:43]
	s_waitcnt lgkmcnt(0)
	global_store_dwordx4 v[0:1], v[2:5], off
.LBB467_19:
	s_endpgm
	.section	.rodata,"a",@progbits
	.p2align	6, 0x0
	.amdhsa_kernel _Z39paged_attention_ll4mi_QKV_mfma16_kernelI14__hip_bfloat16S0_LN4vllm18Fp8KVCacheDataTypeE0ES0_Li16ELi64ELi256ELb1ELi4EEvPKT_PKT0_S8_ifPKiSA_SA_iPKfiiiPfSD_PS3_PT2_iSC_SC_
		.amdhsa_group_segment_fixed_size 8192
		.amdhsa_private_segment_fixed_size 0
		.amdhsa_kernarg_size 400
		.amdhsa_user_sgpr_count 2
		.amdhsa_user_sgpr_dispatch_ptr 0
		.amdhsa_user_sgpr_queue_ptr 0
		.amdhsa_user_sgpr_kernarg_segment_ptr 1
		.amdhsa_user_sgpr_dispatch_id 0
		.amdhsa_user_sgpr_kernarg_preload_length 0
		.amdhsa_user_sgpr_kernarg_preload_offset 0
		.amdhsa_user_sgpr_private_segment_size 0
		.amdhsa_uses_dynamic_stack 0
		.amdhsa_enable_private_segment 0
		.amdhsa_system_sgpr_workgroup_id_x 1
		.amdhsa_system_sgpr_workgroup_id_y 1
		.amdhsa_system_sgpr_workgroup_id_z 1
		.amdhsa_system_sgpr_workgroup_info 0
		.amdhsa_system_vgpr_workitem_id 0
		.amdhsa_next_free_vgpr 74
		.amdhsa_next_free_sgpr 46
		.amdhsa_accum_offset 76
		.amdhsa_reserve_vcc 1
		.amdhsa_float_round_mode_32 0
		.amdhsa_float_round_mode_16_64 0
		.amdhsa_float_denorm_mode_32 3
		.amdhsa_float_denorm_mode_16_64 3
		.amdhsa_dx10_clamp 1
		.amdhsa_ieee_mode 1
		.amdhsa_fp16_overflow 0
		.amdhsa_tg_split 0
		.amdhsa_exception_fp_ieee_invalid_op 0
		.amdhsa_exception_fp_denorm_src 0
		.amdhsa_exception_fp_ieee_div_zero 0
		.amdhsa_exception_fp_ieee_overflow 0
		.amdhsa_exception_fp_ieee_underflow 0
		.amdhsa_exception_fp_ieee_inexact 0
		.amdhsa_exception_int_div_zero 0
	.end_amdhsa_kernel
	.section	.text._Z39paged_attention_ll4mi_QKV_mfma16_kernelI14__hip_bfloat16S0_LN4vllm18Fp8KVCacheDataTypeE0ES0_Li16ELi64ELi256ELb1ELi4EEvPKT_PKT0_S8_ifPKiSA_SA_iPKfiiiPfSD_PS3_PT2_iSC_SC_,"axG",@progbits,_Z39paged_attention_ll4mi_QKV_mfma16_kernelI14__hip_bfloat16S0_LN4vllm18Fp8KVCacheDataTypeE0ES0_Li16ELi64ELi256ELb1ELi4EEvPKT_PKT0_S8_ifPKiSA_SA_iPKfiiiPfSD_PS3_PT2_iSC_SC_,comdat
.Lfunc_end467:
	.size	_Z39paged_attention_ll4mi_QKV_mfma16_kernelI14__hip_bfloat16S0_LN4vllm18Fp8KVCacheDataTypeE0ES0_Li16ELi64ELi256ELb1ELi4EEvPKT_PKT0_S8_ifPKiSA_SA_iPKfiiiPfSD_PS3_PT2_iSC_SC_, .Lfunc_end467-_Z39paged_attention_ll4mi_QKV_mfma16_kernelI14__hip_bfloat16S0_LN4vllm18Fp8KVCacheDataTypeE0ES0_Li16ELi64ELi256ELb1ELi4EEvPKT_PKT0_S8_ifPKiSA_SA_iPKfiiiPfSD_PS3_PT2_iSC_SC_
                                        ; -- End function
	.section	.AMDGPU.csdata,"",@progbits
; Kernel info:
; codeLenInByte = 4192
; NumSgprs: 52
; NumVgprs: 74
; NumAgprs: 0
; TotalNumVgprs: 74
; ScratchSize: 0
; MemoryBound: 0
; FloatMode: 240
; IeeeMode: 1
; LDSByteSize: 8192 bytes/workgroup (compile time only)
; SGPRBlocks: 6
; VGPRBlocks: 9
; NumSGPRsForWavesPerEU: 52
; NumVGPRsForWavesPerEU: 74
; AccumOffset: 76
; Occupancy: 6
; WaveLimiterHint : 1
; COMPUTE_PGM_RSRC2:SCRATCH_EN: 0
; COMPUTE_PGM_RSRC2:USER_SGPR: 2
; COMPUTE_PGM_RSRC2:TRAP_HANDLER: 0
; COMPUTE_PGM_RSRC2:TGID_X_EN: 1
; COMPUTE_PGM_RSRC2:TGID_Y_EN: 1
; COMPUTE_PGM_RSRC2:TGID_Z_EN: 1
; COMPUTE_PGM_RSRC2:TIDIG_COMP_CNT: 0
; COMPUTE_PGM_RSRC3_GFX90A:ACCUM_OFFSET: 18
; COMPUTE_PGM_RSRC3_GFX90A:TG_SPLIT: 0
	.section	.text._Z35paged_attention_ll4mi_reduce_kernelI14__hip_bfloat16S0_Li64ELi64ELi256ELi9EEvPT0_PKfS4_PKT_PKiS9_iS4_,"axG",@progbits,_Z35paged_attention_ll4mi_reduce_kernelI14__hip_bfloat16S0_Li64ELi64ELi256ELi9EEvPT0_PKfS4_PKT_PKiS9_iS4_,comdat
	.protected	_Z35paged_attention_ll4mi_reduce_kernelI14__hip_bfloat16S0_Li64ELi64ELi256ELi9EEvPT0_PKfS4_PKT_PKiS9_iS4_ ; -- Begin function _Z35paged_attention_ll4mi_reduce_kernelI14__hip_bfloat16S0_Li64ELi64ELi256ELi9EEvPT0_PKfS4_PKT_PKiS9_iS4_
	.globl	_Z35paged_attention_ll4mi_reduce_kernelI14__hip_bfloat16S0_Li64ELi64ELi256ELi9EEvPT0_PKfS4_PKT_PKiS9_iS4_
	.p2align	8
	.type	_Z35paged_attention_ll4mi_reduce_kernelI14__hip_bfloat16S0_Li64ELi64ELi256ELi9EEvPT0_PKfS4_PKT_PKiS9_iS4_,@function
_Z35paged_attention_ll4mi_reduce_kernelI14__hip_bfloat16S0_Li64ELi64ELi256ELi9EEvPT0_PKfS4_PKT_PKiS9_iS4_: ; @_Z35paged_attention_ll4mi_reduce_kernelI14__hip_bfloat16S0_Li64ELi64ELi256ELi9EEvPT0_PKfS4_PKT_PKiS9_iS4_
; %bb.0:
	s_load_dwordx2 s[34:35], s[0:1], 0x28
	s_mov_b32 s22, s3
	s_mov_b64 s[4:5], 0
	s_waitcnt lgkmcnt(0)
	s_cmp_lg_u64 s[34:35], 0
	s_cselect_b64 s[36:37], -1, 0
	s_and_b64 vcc, exec, s[36:37]
	s_cbranch_vccz .LBB468_27
; %bb.1:
	s_add_i32 s6, s22, 1
	s_mov_b32 s7, 0
	s_lshl_b64 s[8:9], s[6:7], 2
	s_add_u32 s8, s34, s8
	s_mov_b32 s23, s7
	s_addc_u32 s9, s35, s9
	s_lshl_b64 s[6:7], s[22:23], 2
	s_add_u32 s6, s34, s6
	s_addc_u32 s7, s35, s7
	s_load_dword s3, s[8:9], 0x0
	s_load_dword s10, s[6:7], 0x0
	s_waitcnt lgkmcnt(0)
	s_sub_i32 s3, s3, s10
	s_cmp_eq_u32 s3, 1
	s_cselect_b64 s[6:7], -1, 0
	s_andn2_b64 vcc, exec, s[4:5]
	s_cbranch_vccnz .LBB468_3
.LBB468_2:
	s_mov_b32 s23, 0
	s_mov_b64 s[6:7], -1
.LBB468_3:
	s_andn2_b64 vcc, exec, s[6:7]
	s_cbranch_vccz .LBB468_5
; %bb.4:
	s_endpgm
.LBB468_5:
	s_load_dwordx4 s[24:27], s[0:1], 0x18
	s_load_dword s8, s[0:1], 0x30
	s_lshl_b64 s[38:39], s[22:23], 2
	v_cmp_lt_u32_e32 vcc, 63, v0
	s_waitcnt lgkmcnt(0)
	s_add_u32 s4, s26, s38
	s_addc_u32 s5, s27, s39
	s_load_dword s46, s[4:5], 0x0
	s_load_dword s3, s[0:1], 0x40
	s_mul_i32 s26, s2, s8
	s_mul_i32 s6, s22, s8
	s_waitcnt lgkmcnt(0)
	s_add_i32 s7, s46, 0xff
	s_ashr_i32 s4, s7, 31
	s_lshr_b32 s4, s4, 24
	s_add_i32 s7, s7, s4
	s_and_saveexec_b64 s[4:5], vcc
	s_xor_b64 s[4:5], exec, s[4:5]
	s_or_saveexec_b64 s[40:41], s[4:5]
	s_ashr_i32 s33, s7, 8
	v_mov_b32_e32 v1, s26
	s_mul_i32 s42, s6, s3
	s_xor_b64 exec, exec, s[40:41]
	s_cbranch_execz .LBB468_9
; %bb.6:
	s_add_i32 s4, s33, -1
	v_or_b32_e32 v3, 64, v0
	v_mov_b32_e32 v1, s4
	v_cmp_gt_u32_e64 s[16:17], s33, v3
	s_load_dwordx4 s[28:31], s[0:1], 0x8
	s_mov_b32 s43, 0
	v_cndmask_b32_e64 v4, v1, v3, s[16:17]
	v_or_b32_e32 v3, 0x80, v0
	v_cmp_gt_u32_e64 s[14:15], s33, v3
	s_lshl_b64 s[44:45], s[42:43], 2
	s_mov_b32 s27, s43
	v_cndmask_b32_e64 v6, v1, v3, s[14:15]
	v_or_b32_e32 v3, 0xc0, v0
	v_cmp_gt_u32_e64 s[12:13], s33, v3
	v_cmp_gt_u32_e64 s[18:19], s33, v0
	s_waitcnt lgkmcnt(0)
	s_add_u32 s20, s30, s44
	v_cndmask_b32_e64 v8, v1, v3, s[12:13]
	v_or_b32_e32 v3, 0x100, v0
	v_cmp_gt_u32_e64 s[10:11], s33, v3
	v_cndmask_b32_e64 v2, v1, v0, s[18:19]
	s_addc_u32 s21, s31, s45
	v_cndmask_b32_e64 v10, v1, v3, s[10:11]
	v_or_b32_e32 v3, 0x140, v0
	v_cmp_gt_u32_e64 s[8:9], s33, v3
	s_lshl_b64 s[30:31], s[26:27], 2
	s_add_u32 s20, s20, s30
	v_cndmask_b32_e64 v12, v1, v3, s[8:9]
	v_or_b32_e32 v3, 0x180, v0
	v_cmp_gt_u32_e64 s[6:7], s33, v3
	s_addc_u32 s21, s21, s31
	v_ashrrev_i32_e32 v5, 31, v4
	v_cndmask_b32_e64 v14, v1, v3, s[6:7]
	v_or_b32_e32 v3, 0x1c0, v0
	v_cmp_gt_u32_e64 s[4:5], s33, v3
	v_ashrrev_i32_e32 v7, 31, v6
	v_ashrrev_i32_e32 v9, 31, v8
	v_cndmask_b32_e64 v16, v1, v3, s[4:5]
	v_or_b32_e32 v3, 0x200, v0
	v_cmp_gt_u32_e32 vcc, s33, v3
	v_ashrrev_i32_e32 v11, 31, v10
	v_ashrrev_i32_e32 v13, 31, v12
	v_cndmask_b32_e32 v18, v1, v3, vcc
	v_ashrrev_i32_e32 v3, 31, v2
	v_lshlrev_b64 v[2:3], 2, v[2:3]
	v_ashrrev_i32_e32 v15, 31, v14
	v_ashrrev_i32_e32 v17, 31, v16
	;; [unrolled: 1-line block ×3, first 2 shown]
	v_lshl_add_u64 v[20:21], s[20:21], 0, v[2:3]
	v_lshlrev_b64 v[4:5], 2, v[4:5]
	v_lshlrev_b64 v[6:7], 2, v[6:7]
	;; [unrolled: 1-line block ×8, first 2 shown]
	v_lshl_add_u64 v[22:23], s[20:21], 0, v[4:5]
	v_lshl_add_u64 v[24:25], s[20:21], 0, v[6:7]
	;; [unrolled: 1-line block ×7, first 2 shown]
	global_load_dword v1, v[20:21], off
	global_load_dword v36, v[22:23], off
	global_load_dword v37, v[24:25], off
	global_load_dword v38, v[26:27], off
	global_load_dword v39, v[28:29], off
	global_load_dword v40, v[30:31], off
	global_load_dword v41, v[32:33], off
	global_load_dword v42, v[34:35], off
	v_lshl_add_u64 v[20:21], s[20:21], 0, v[18:19]
	global_load_dword v20, v[20:21], off
	v_mbcnt_lo_u32_b32 v21, -1, 0
	v_mbcnt_hi_u32_b32 v21, -1, v21
	v_and_b32_e32 v22, 64, v21
	v_xor_b32_e32 v23, 32, v21
	v_add_u32_e32 v22, 64, v22
	v_cmp_lt_i32_e64 s[20:21], v23, v22
	v_xor_b32_e32 v24, 16, v21
	v_xor_b32_e32 v25, 8, v21
	v_cndmask_b32_e64 v23, v21, v23, s[20:21]
	s_add_u32 s20, s28, s44
	s_addc_u32 s21, s29, s45
	s_add_u32 s28, s20, s30
	s_addc_u32 s29, s21, s31
	v_lshl_add_u64 v[2:3], s[28:29], 0, v[2:3]
	global_load_dword v27, v[2:3], off
	v_lshlrev_b32_e32 v23, 2, v23
	v_cmp_lt_i32_e64 s[20:21], v24, v22
	v_xor_b32_e32 v26, 4, v21
	v_xor_b32_e32 v28, 2, v21
	v_cndmask_b32_e64 v24, v21, v24, s[20:21]
	v_lshlrev_b32_e32 v24, 2, v24
	v_cmp_lt_i32_e64 s[20:21], v25, v22
	s_mov_b32 s27, 0x3fb8aa3b
	s_waitcnt vmcnt(7)
	v_max3_f32 v2, v1, v36, v37
	s_waitcnt vmcnt(5)
	v_max3_f32 v2, v2, v38, v39
	;; [unrolled: 2-line block ×4, first 2 shown]
	ds_bpermute_b32 v3, v23, v2
	s_waitcnt lgkmcnt(0)
	v_max_f32_e32 v3, v3, v3
	v_max_f32_e32 v29, v2, v3
	ds_bpermute_b32 v30, v24, v29
	v_cndmask_b32_e64 v2, v21, v25, s[20:21]
	v_lshlrev_b32_e32 v25, 2, v2
	v_lshl_add_u64 v[2:3], s[28:29], 0, v[4:5]
	v_cmp_lt_i32_e64 s[20:21], v26, v22
	s_waitcnt lgkmcnt(0)
	v_max_f32_e32 v4, v30, v30
	v_max_f32_e32 v4, v29, v4
	ds_bpermute_b32 v5, v25, v4
	global_load_dword v29, v[2:3], off
	v_cndmask_b32_e64 v2, v21, v26, s[20:21]
	v_lshlrev_b32_e32 v26, 2, v2
	v_cmp_lt_i32_e64 s[20:21], v28, v22
	s_waitcnt lgkmcnt(0)
	v_max_f32_e32 v2, v5, v5
	v_max_f32_e32 v2, v4, v2
	ds_bpermute_b32 v3, v26, v2
	v_cndmask_b32_e64 v5, v21, v28, s[20:21]
	v_lshlrev_b32_e32 v28, 2, v5
	v_xor_b32_e32 v4, 1, v21
	v_cmp_lt_i32_e64 s[20:21], v4, v22
	s_waitcnt lgkmcnt(0)
	v_max_f32_e32 v3, v3, v3
	v_max_f32_e32 v5, v2, v3
	ds_bpermute_b32 v30, v28, v5
	v_lshl_add_u64 v[2:3], s[28:29], 0, v[6:7]
	global_load_dword v31, v[2:3], off
	v_cndmask_b32_e64 v2, v21, v4, s[20:21]
	v_lshlrev_b32_e32 v22, 2, v2
	s_waitcnt lgkmcnt(0)
	v_max_f32_e32 v3, v30, v30
	v_max_f32_e32 v21, v5, v3
	v_lshl_add_u64 v[2:3], s[28:29], 0, v[8:9]
	v_lshl_add_u64 v[8:9], s[28:29], 0, v[14:15]
	global_load_dword v14, v[2:3], off
	ds_bpermute_b32 v30, v22, v21
	v_lshl_add_u64 v[6:7], s[28:29], 0, v[12:13]
	v_lshl_add_u64 v[4:5], s[28:29], 0, v[10:11]
	;; [unrolled: 1-line block ×3, first 2 shown]
	s_waitcnt lgkmcnt(0)
	v_max_f32_e32 v12, v30, v30
	v_max_f32_e32 v12, v21, v12
	v_sub_f32_e32 v1, v1, v12
	v_mul_f32_e32 v13, 0x3fb8aa3b, v1
	v_fma_f32 v2, v1, s27, -v13
	v_rndne_f32_e32 v3, v13
	v_fmac_f32_e32 v2, 0x32a5705f, v1
	v_sub_f32_e32 v13, v13, v3
	v_add_f32_e32 v2, v13, v2
	global_load_dword v16, v[4:5], off
	global_load_dword v17, v[6:7], off
	;; [unrolled: 1-line block ×4, first 2 shown]
	v_exp_f32_e32 v13, v2
	v_cvt_i32_f32_e32 v15, v3
	v_lshl_add_u64 v[2:3], s[28:29], 0, v[18:19]
	global_load_dword v2, v[2:3], off
	v_sub_f32_e32 v5, v36, v12
	v_mul_f32_e32 v6, 0x3fb8aa3b, v5
	v_fma_f32 v7, v5, s27, -v6
	v_rndne_f32_e32 v8, v6
	v_fmac_f32_e32 v7, 0x32a5705f, v5
	v_sub_f32_e32 v6, v6, v8
	v_add_f32_e32 v6, v6, v7
	v_exp_f32_e32 v6, v6
	v_cvt_i32_f32_e32 v7, v8
	s_mov_b32 s28, 0xc2ce8ed0
	v_ldexp_f32 v3, v13, v15
	v_cmp_ngt_f32_e64 s[20:21], s28, v1
	s_mov_b32 s29, 0x42b17218
	v_mov_b32_e32 v4, 0x7f800000
	v_cndmask_b32_e64 v3, 0, v3, s[20:21]
	v_cmp_nlt_f32_e64 s[20:21], s29, v1
	s_nop 1
	v_cndmask_b32_e64 v1, v4, v3, s[20:21]
	v_ldexp_f32 v3, v6, v7
	v_sub_f32_e32 v6, v37, v12
	v_mul_f32_e32 v7, 0x3fb8aa3b, v6
	v_fma_f32 v8, v6, s27, -v7
	v_rndne_f32_e32 v9, v7
	v_fmac_f32_e32 v8, 0x32a5705f, v6
	v_sub_f32_e32 v7, v7, v9
	v_add_f32_e32 v7, v7, v8
	v_exp_f32_e32 v7, v7
	v_cvt_i32_f32_e32 v8, v9
	v_cndmask_b32_e64 v1, 0, v1, s[18:19]
	v_cmp_ngt_f32_e64 s[18:19], s28, v5
	s_waitcnt vmcnt(8)
	v_mul_f32_e32 v1, v27, v1
	v_cndmask_b32_e64 v3, 0, v3, s[18:19]
	v_cmp_nlt_f32_e64 s[18:19], s29, v5
	v_ldexp_f32 v5, v7, v8
	v_sub_f32_e32 v7, v38, v12
	v_mul_f32_e32 v8, 0x3fb8aa3b, v7
	v_fma_f32 v9, v7, s27, -v8
	v_rndne_f32_e32 v10, v8
	v_fmac_f32_e32 v9, 0x32a5705f, v7
	v_sub_f32_e32 v8, v8, v10
	v_add_f32_e32 v8, v8, v9
	v_exp_f32_e32 v8, v8
	v_cvt_i32_f32_e32 v9, v10
	v_cndmask_b32_e64 v3, v4, v3, s[18:19]
	v_cndmask_b32_e64 v3, 0, v3, s[16:17]
	v_cmp_ngt_f32_e64 s[16:17], s28, v6
	s_waitcnt vmcnt(7)
	v_mul_f32_e32 v3, v29, v3
	v_cndmask_b32_e64 v5, 0, v5, s[16:17]
	v_cmp_nlt_f32_e64 s[16:17], s29, v6
	v_ldexp_f32 v6, v8, v9
	v_sub_f32_e32 v8, v39, v12
	v_mul_f32_e32 v9, 0x3fb8aa3b, v8
	v_fma_f32 v10, v8, s27, -v9
	v_rndne_f32_e32 v11, v9
	v_fmac_f32_e32 v10, 0x32a5705f, v8
	v_sub_f32_e32 v9, v9, v11
	v_add_f32_e32 v9, v9, v10
	v_exp_f32_e32 v9, v9
	v_cvt_i32_f32_e32 v10, v11
	v_cndmask_b32_e64 v5, v4, v5, s[16:17]
	;; [unrolled: 17-line block ×5, first 2 shown]
	v_cndmask_b32_e64 v8, 0, v8, s[8:9]
	v_cmp_ngt_f32_e64 s[8:9], s28, v10
	v_sub_f32_e32 v12, v20, v12
	s_waitcnt vmcnt(3)
	v_mul_f32_e32 v8, v17, v8
	v_cndmask_b32_e64 v9, 0, v9, s[8:9]
	v_cmp_nlt_f32_e64 s[8:9], s29, v10
	v_ldexp_f32 v10, v13, v14
	v_mul_f32_e32 v13, 0x3fb8aa3b, v12
	v_fma_f32 v14, v12, s27, -v13
	v_rndne_f32_e32 v15, v13
	v_fmac_f32_e32 v14, 0x32a5705f, v12
	v_sub_f32_e32 v13, v13, v15
	v_add_f32_e32 v13, v13, v14
	v_cndmask_b32_e64 v9, v4, v9, s[8:9]
	v_exp_f32_e32 v13, v13
	v_cvt_i32_f32_e32 v14, v15
	v_cndmask_b32_e64 v9, 0, v9, s[6:7]
	v_cmp_ngt_f32_e64 s[6:7], s28, v11
	s_nop 1
	v_cndmask_b32_e64 v10, 0, v10, s[6:7]
	v_cmp_nlt_f32_e64 s[6:7], s29, v11
	v_ldexp_f32 v11, v13, v14
	v_lshlrev_b32_e32 v13, 2, v0
	v_cndmask_b32_e64 v10, v4, v10, s[6:7]
	v_cndmask_b32_e64 v10, 0, v10, s[4:5]
	v_cmp_ngt_f32_e64 s[4:5], s28, v12
	ds_write2st64_b32 v13, v1, v3 offset1:1
	ds_write2st64_b32 v13, v5, v6 offset0:2 offset1:3
	v_cndmask_b32_e64 v11, 0, v11, s[4:5]
	v_cmp_nlt_f32_e64 s[4:5], s29, v12
	s_nop 1
	v_cndmask_b32_e64 v4, v4, v11, s[4:5]
	v_add_f32_e32 v11, v1, v3
	v_add_f32_e32 v11, v11, v5
	;; [unrolled: 1-line block ×5, first 2 shown]
	s_waitcnt vmcnt(2)
	v_fmac_f32_e32 v11, v21, v9
	v_cndmask_b32_e32 v4, 0, v4, vcc
	s_waitcnt vmcnt(1)
	v_fmac_f32_e32 v11, v30, v10
	s_waitcnt vmcnt(0)
	v_fmac_f32_e32 v11, v2, v4
	ds_bpermute_b32 v12, v23, v11
	v_mul_f32_e32 v4, v2, v4
	v_cmp_eq_u32_e32 vcc, 0, v0
	v_mul_f32_e32 v9, v21, v9
	v_mul_f32_e32 v10, v30, v10
	s_waitcnt lgkmcnt(0)
	v_add_f32_e32 v11, v11, v12
	ds_bpermute_b32 v12, v24, v11
	ds_write2st64_b32 v13, v7, v8 offset0:4 offset1:5
	ds_write2st64_b32 v13, v9, v10 offset0:6 offset1:7
	ds_write_b32 v13, v4 offset:2048
	s_waitcnt lgkmcnt(3)
	v_add_f32_e32 v11, v11, v12
	ds_bpermute_b32 v12, v25, v11
	s_waitcnt lgkmcnt(0)
	v_add_f32_e32 v11, v11, v12
	ds_bpermute_b32 v12, v26, v11
	;; [unrolled: 3-line block ×4, first 2 shown]
	s_and_saveexec_b64 s[4:5], vcc
	s_cbranch_execz .LBB468_8
; %bb.7:
	s_waitcnt lgkmcnt(0)
	v_add_f32_e32 v1, v1, v2
	v_mov_b32_e32 v2, 0
	ds_write_b32 v2, v1 offset:2304
.LBB468_8:
	s_or_b64 exec, exec, s[4:5]
	v_mov_b32_e32 v1, s26
.LBB468_9:
	s_or_b64 exec, exec, s[40:41]
	s_lshl_b32 s4, s42, 6
	s_mov_b32 s5, 0
	s_lshl_b64 s[4:5], s[4:5], 1
	s_add_u32 s4, s24, s4
	s_addc_u32 s5, s25, s5
	s_lshl_b32 s10, s33, 6
	s_sub_i32 s11, s10, 64
	s_waitcnt lgkmcnt(0)
	v_lshlrev_b32_e32 v2, 6, v1
	v_mov_b32_e32 v3, 0
	s_cmp_lt_i32 s46, 1
	v_lshl_add_u64 v[4:5], v[2:3], 1, s[4:5]
	s_cselect_b32 s4, s11, 0
	v_lshlrev_b32_e32 v2, 1, v0
	s_ashr_i32 s5, s4, 31
	v_lshl_add_u64 v[0:1], v[4:5], 0, v[2:3]
	s_cmpk_lt_i32 s46, 0x101
	v_lshl_add_u64 v[4:5], s[4:5], 1, v[0:1]
	s_cselect_b32 s4, s11, 64
	s_ashr_i32 s5, s4, 31
	s_cmpk_lt_i32 s46, 0x201
	v_lshl_add_u64 v[6:7], s[4:5], 1, v[0:1]
	s_cselect_b32 s4, s11, 0x80
	s_ashr_i32 s5, s4, 31
	;; [unrolled: 4-line block ×8, first 2 shown]
	s_cmpk_lt_i32 s46, 0x901
	global_load_ushort v23, v[4:5], off
	global_load_ushort v22, v[6:7], off
	;; [unrolled: 1-line block ×8, first 2 shown]
	v_lshl_add_u64 v[4:5], s[4:5], 1, v[0:1]
	s_cselect_b32 s4, s11, 0x240
	s_ashr_i32 s5, s4, 31
	s_cmpk_lt_i32 s46, 0xa01
	v_lshl_add_u64 v[6:7], s[4:5], 1, v[0:1]
	s_cselect_b32 s4, s11, 0x280
	s_ashr_i32 s5, s4, 31
	s_cmpk_lt_i32 s46, 0xb01
	;; [unrolled: 4-line block ×6, first 2 shown]
	v_lshl_add_u64 v[32:33], s[4:5], 1, v[0:1]
	s_cselect_b32 s4, s11, 0x3c0
	s_ashr_i32 s5, s4, 31
	v_lshl_add_u64 v[34:35], s[4:5], 1, v[0:1]
	global_load_ushort v30, v[4:5], off
	global_load_ushort v31, v[6:7], off
	;; [unrolled: 1-line block ×8, first 2 shown]
	s_cmpk_gt_i32 s46, 0x1000
	s_cselect_b64 s[8:9], -1, 0
	s_cmpk_lt_i32 s46, 0x1001
	v_mov_b32_e32 v40, 0
	v_mov_b32_e32 v41, 0
	;; [unrolled: 1-line block ×48, first 2 shown]
	s_waitcnt lgkmcnt(0)
	; wave barrier
	s_cbranch_scc1 .LBB468_12
; %bb.10:
	s_cmpk_lt_u32 s46, 0x1101
	s_cselect_b32 s4, s11, 0x440
	s_ashr_i32 s5, s4, 31
	s_cmpk_lt_u32 s46, 0x1201
	v_lshl_add_u64 v[4:5], s[4:5], 1, v[0:1]
	s_cselect_b32 s4, s11, 0x480
	s_ashr_i32 s5, s4, 31
	s_cmpk_lt_u32 s46, 0x1301
	v_lshl_add_u64 v[6:7], s[4:5], 1, v[0:1]
	;; [unrolled: 4-line block ×7, first 2 shown]
	s_cselect_b32 s4, s11, 0x600
	s_ashr_i32 s5, s4, 31
	s_cmpk_lt_u32 s46, 0x1901
	global_load_ushort v39, v[0:1], off offset:2048
	global_load_ushort v38, v[4:5], off
	global_load_ushort v37, v[6:7], off
	;; [unrolled: 1-line block ×7, first 2 shown]
	v_lshl_add_u64 v[4:5], s[4:5], 1, v[0:1]
	s_cselect_b32 s4, s11, 0x640
	s_ashr_i32 s5, s4, 31
	s_cmpk_lt_u32 s46, 0x1a01
	v_lshl_add_u64 v[6:7], s[4:5], 1, v[0:1]
	s_cselect_b32 s4, s11, 0x680
	s_ashr_i32 s5, s4, 31
	s_cmpk_lt_u32 s46, 0x1b01
	;; [unrolled: 4-line block ×6, first 2 shown]
	v_lshl_add_u64 v[48:49], s[4:5], 1, v[0:1]
	s_cselect_b32 s4, s11, 0x7c0
	s_ashr_i32 s5, s4, 31
	v_lshl_add_u64 v[50:51], s[4:5], 1, v[0:1]
	global_load_ushort v47, v[4:5], off
	global_load_ushort v46, v[6:7], off
	;; [unrolled: 1-line block ×8, first 2 shown]
	s_cmpk_lt_u32 s46, 0x2001
	v_mov_b32_e32 v67, 0
	v_mov_b32_e32 v65, 0
	;; [unrolled: 1-line block ×32, first 2 shown]
	s_cbranch_scc1 .LBB468_12
; %bb.11:
	s_cmpk_lt_u32 s46, 0x2101
	s_cselect_b32 s4, s11, 0x840
	s_ashr_i32 s5, s4, 31
	s_cmpk_lt_u32 s46, 0x2201
	v_lshl_add_u64 v[4:5], s[4:5], 1, v[0:1]
	s_cselect_b32 s4, s11, 0x880
	s_ashr_i32 s5, s4, 31
	s_cmpk_lt_u32 s46, 0x2301
	v_lshl_add_u64 v[6:7], s[4:5], 1, v[0:1]
	;; [unrolled: 4-line block ×29, first 2 shown]
	s_cselect_b32 s4, s11, 0xf80
	s_ashr_i32 s5, s4, 31
	v_lshl_add_u64 v[94:95], s[4:5], 1, v[0:1]
	s_movk_i32 s4, 0x1000
	s_cmpk_lt_u32 s46, 0x3f01
	v_add_co_u32_e32 v96, vcc, s4, v0
	s_cselect_b32 s4, s11, 0xfc0
	s_nop 0
	v_addc_co_u32_e32 v97, vcc, 0, v1, vcc
	s_ashr_i32 s5, s4, 31
	global_load_ushort v98, v[96:97], off
	global_load_ushort v99, v[4:5], off
	;; [unrolled: 1-line block ×15, first 2 shown]
                                        ; kill: killed $vgpr52_vgpr53
                                        ; kill: killed $vgpr4_vgpr5
                                        ; kill: killed $vgpr58_vgpr59
                                        ; kill: killed $vgpr10_vgpr11
                                        ; kill: killed $vgpr48_vgpr49
                                        ; kill: killed $vgpr54_vgpr55
                                        ; kill: killed $vgpr6_vgpr7
                                        ; kill: killed $vgpr60_vgpr61
                                        ; kill: killed $vgpr12_vgpr13
                                        ; kill: killed $vgpr50_vgpr51
                                        ; kill: killed $vgpr56_vgpr57
                                        ; kill: killed $vgpr8_vgpr9
                                        ; kill: killed $vgpr62_vgpr63
                                        ; kill: killed $vgpr14_vgpr15
                                        ; kill: killed $vgpr96 killed $vgpr97
	global_load_ushort v6, v[64:65], off
	global_load_ushort v7, v[66:67], off
	;; [unrolled: 1-line block ×15, first 2 shown]
                                        ; kill: killed $vgpr84_vgpr85
                                        ; kill: killed $vgpr68_vgpr69
                                        ; kill: killed $vgpr90_vgpr91
                                        ; kill: killed $vgpr74_vgpr75
                                        ; kill: killed $vgpr80_vgpr81
                                        ; kill: killed $vgpr64_vgpr65
                                        ; kill: killed $vgpr70_vgpr71
                                        ; kill: killed $vgpr92_vgpr93
                                        ; kill: killed $vgpr76_vgpr77
                                        ; kill: killed $vgpr82_vgpr83
                                        ; kill: killed $vgpr66_vgpr67
                                        ; kill: killed $vgpr88_vgpr89
                                        ; kill: killed $vgpr72_vgpr73
                                        ; kill: killed $vgpr94_vgpr95
                                        ; kill: killed $vgpr78_vgpr79
	global_load_ushort v68, v[86:87], off
	v_lshl_add_u64 v[4:5], s[4:5], 1, v[0:1]
	global_load_ushort v5, v[4:5], off
	s_waitcnt vmcnt(31)
	v_lshlrev_b32_e32 v67, 16, v98
	s_waitcnt vmcnt(30)
	v_lshlrev_b32_e32 v65, 16, v99
	;; [unrolled: 2-line block ×32, first 2 shown]
.LBB468_12:
	s_load_dwordx2 s[4:5], s[0:1], 0x0
	s_load_dwordx2 s[6:7], s[0:1], 0x38
	ds_read_b128 v[68:71], v3
	s_waitcnt vmcnt(15)
	v_lshlrev_b32_e32 v23, 16, v23
	ds_read_b128 v[72:75], v3 offset:16
	ds_read_b128 v[76:79], v3 offset:32
	;; [unrolled: 1-line block ×3, first 2 shown]
	s_waitcnt vmcnt(14)
	v_lshlrev_b32_e32 v22, 16, v22
	s_waitcnt vmcnt(13)
	v_lshlrev_b32_e32 v21, 16, v21
	s_waitcnt lgkmcnt(0)
	v_fma_f32 v23, v68, v23, 0
	v_fmac_f32_e32 v23, v69, v22
	v_fmac_f32_e32 v23, v70, v21
	s_waitcnt vmcnt(12)
	v_lshlrev_b32_e32 v20, 16, v20
	s_waitcnt vmcnt(10)
	v_lshlrev_b32_e32 v19, 16, v19
	v_lshlrev_b32_e32 v18, 16, v18
	v_fmac_f32_e32 v23, v71, v20
	v_pk_mul_f32 v[18:19], v[72:73], v[18:19]
	s_waitcnt vmcnt(8)
	v_lshlrev_b32_e32 v17, 16, v17
	v_add_f32_e32 v18, v23, v18
	v_lshlrev_b32_e32 v16, 16, v16
	v_add_f32_e32 v18, v18, v19
	v_pk_mul_f32 v[16:17], v[74:75], v[16:17]
	s_and_b64 vcc, exec, s[8:9]
	v_add_f32_e32 v16, v18, v16
	v_add_f32_e32 v18, v16, v17
	s_waitcnt vmcnt(6)
	v_lshlrev_b32_e32 v17, 16, v31
	v_lshlrev_b32_e32 v16, 16, v30
	v_pk_mul_f32 v[16:17], v[76:77], v[16:17]
	s_nop 0
	v_add_f32_e32 v16, v18, v16
	v_add_f32_e32 v18, v16, v17
	s_waitcnt vmcnt(4)
	v_lshlrev_b32_e32 v17, 16, v29
	v_lshlrev_b32_e32 v16, 16, v28
	v_pk_mul_f32 v[16:17], v[78:79], v[16:17]
	s_nop 0
	;; [unrolled: 7-line block ×4, first 2 shown]
	v_add_f32_e32 v16, v18, v16
	v_add_f32_e32 v110, v16, v17
	s_cbranch_vccz .LBB468_15
; %bb.13:
	ds_read_b128 v[16:19], v3 offset:64
	v_lshlrev_b32_e32 v39, 16, v39
	ds_read_b128 v[20:23], v3 offset:80
	ds_read_b128 v[24:27], v3 offset:96
	;; [unrolled: 1-line block ×3, first 2 shown]
	v_lshlrev_b32_e32 v3, 16, v38
	s_cmpk_lt_u32 s46, 0x2001
	s_waitcnt lgkmcnt(3)
	v_fmac_f32_e32 v110, v16, v39
	v_fmac_f32_e32 v110, v17, v3
	v_lshlrev_b32_e32 v3, 16, v37
	v_fmac_f32_e32 v110, v18, v3
	v_lshlrev_b32_e32 v3, 16, v36
	v_fmac_f32_e32 v110, v19, v3
	v_lshlrev_b32_e32 v3, 16, v35
	s_waitcnt lgkmcnt(2)
	v_fmac_f32_e32 v110, v20, v3
	v_lshlrev_b32_e32 v3, 16, v34
	v_fmac_f32_e32 v110, v21, v3
	v_lshlrev_b32_e32 v3, 16, v33
	v_fmac_f32_e32 v110, v22, v3
	v_lshlrev_b32_e32 v3, 16, v32
	v_fmac_f32_e32 v110, v23, v3
	v_lshlrev_b32_e32 v3, 16, v47
	s_waitcnt lgkmcnt(1)
	v_fmac_f32_e32 v110, v24, v3
	v_lshlrev_b32_e32 v3, 16, v46
	;; [unrolled: 9-line block ×3, first 2 shown]
	v_fmac_f32_e32 v110, v29, v3
	v_lshlrev_b32_e32 v3, 16, v41
	v_fmac_f32_e32 v110, v30, v3
	v_lshlrev_b32_e32 v3, 16, v40
	v_fmac_f32_e32 v110, v31, v3
	s_cbranch_scc1 .LBB468_15
; %bb.14:
	v_mov_b32_e32 v3, 0
	ds_read_b128 v[16:19], v3 offset:128
	ds_read_b128 v[20:23], v3 offset:144
	;; [unrolled: 1-line block ×4, first 2 shown]
	s_waitcnt lgkmcnt(3)
	v_fmac_f32_e32 v110, v16, v67
	v_fmac_f32_e32 v110, v17, v65
	v_fmac_f32_e32 v110, v18, v66
	v_fmac_f32_e32 v110, v19, v63
	s_waitcnt lgkmcnt(2)
	v_fmac_f32_e32 v110, v20, v64
	v_fmac_f32_e32 v110, v21, v61
	v_fmac_f32_e32 v110, v22, v62
	v_fmac_f32_e32 v110, v23, v59
	;; [unrolled: 5-line block ×3, first 2 shown]
	ds_read_b128 v[16:19], v3 offset:192
	ds_read_b128 v[20:23], v3 offset:208
	s_waitcnt lgkmcnt(2)
	v_fmac_f32_e32 v110, v28, v56
	v_fmac_f32_e32 v110, v29, v53
	;; [unrolled: 1-line block ×4, first 2 shown]
	s_waitcnt lgkmcnt(1)
	v_fmac_f32_e32 v110, v16, v51
	v_fmac_f32_e32 v110, v17, v49
	v_fmac_f32_e32 v110, v18, v50
	v_fmac_f32_e32 v110, v19, v48
	s_waitcnt lgkmcnt(0)
	v_pk_mul_f32 v[14:15], v[20:21], v[14:15]
	v_pk_mul_f32 v[12:13], v[22:23], v[12:13]
	v_add_f32_e32 v14, v110, v14
	v_add_f32_e32 v18, v14, v15
	ds_read_b128 v[14:17], v3 offset:224
	v_add_f32_e32 v12, v18, v12
	ds_read_b128 v[18:21], v3 offset:240
	v_add_f32_e32 v12, v12, v13
	s_waitcnt lgkmcnt(1)
	v_pk_mul_f32 v[10:11], v[14:15], v[10:11]
	s_nop 0
	v_add_f32_e32 v3, v12, v10
	v_add_f32_e32 v3, v3, v11
	v_pk_mul_f32 v[8:9], v[16:17], v[8:9]
	s_waitcnt lgkmcnt(0)
	v_pk_mul_f32 v[6:7], v[18:19], v[6:7]
	v_add_f32_e32 v3, v3, v8
	v_add_f32_e32 v3, v3, v9
	;; [unrolled: 1-line block ×4, first 2 shown]
	v_pk_mul_f32 v[4:5], v[20:21], v[4:5]
	s_nop 0
	v_add_f32_e32 v3, v3, v4
	v_add_f32_e32 v110, v3, v5
.LBB468_15:
	s_movk_i32 s0, 0x1fc0
	s_movk_i32 s1, 0x100
	s_mov_b32 s8, 64
	s_branch .LBB468_17
.LBB468_16:                             ;   in Loop: Header=BB468_17 Depth=1
	s_addk_i32 s0, 0x1000
	s_addk_i32 s1, 0x100
	s_add_i32 s8, s8, 64
	s_cmpk_eq_u32 s0, 0x9fc0
	s_cbranch_scc1 .LBB468_19
.LBB468_17:                             ; =>This Inner Loop Header: Depth=1
	s_cmp_le_i32 s33, s8
	s_cbranch_scc1 .LBB468_16
; %bb.18:                               ;   in Loop: Header=BB468_17 Depth=1
	s_add_i32 s9, s0, 0xfffff040
	s_cmp_lt_i32 s9, s10
	s_cselect_b32 s12, s9, s11
	s_ashr_i32 s13, s12, 31
	s_add_i32 s9, s0, 0xfffff080
	s_cmp_lt_i32 s9, s10
	v_lshl_add_u64 v[44:45], s[12:13], 1, v[0:1]
	s_cselect_b32 s12, s9, s11
	s_ashr_i32 s13, s12, 31
	s_add_i32 s9, s0, 0xfffff0c0
	s_cmp_lt_i32 s9, s10
	v_lshl_add_u64 v[4:5], s[12:13], 1, v[0:1]
	s_cselect_b32 s12, s9, s11
	s_ashr_i32 s13, s12, 31
	s_add_i32 s9, s0, 0xfffff100
	s_cmp_lt_i32 s9, s10
	v_lshl_add_u64 v[6:7], s[12:13], 1, v[0:1]
	s_cselect_b32 s12, s9, s11
	s_ashr_i32 s13, s12, 31
	s_add_i32 s9, s0, 0xfffff140
	s_cmp_lt_i32 s9, s10
	v_lshl_add_u64 v[8:9], s[12:13], 1, v[0:1]
	s_cselect_b32 s12, s9, s11
	s_ashr_i32 s13, s12, 31
	s_add_i32 s9, s0, 0xfffff180
	s_cmp_lt_i32 s9, s10
	v_lshl_add_u64 v[10:11], s[12:13], 1, v[0:1]
	s_cselect_b32 s12, s9, s11
	s_ashr_i32 s13, s12, 31
	s_add_i32 s9, s0, 0xfffff1c0
	s_cmp_lt_i32 s9, s10
	v_lshl_add_u64 v[12:13], s[12:13], 1, v[0:1]
	s_cselect_b32 s12, s9, s11
	s_ashr_i32 s13, s12, 31
	s_add_i32 s9, s0, 0xfffff200
	s_cmp_lt_i32 s9, s10
	v_lshl_add_u64 v[14:15], s[12:13], 1, v[0:1]
	s_cselect_b32 s12, s9, s11
	s_ashr_i32 s13, s12, 31
	s_add_i32 s9, s0, 0xfffff240
	s_cmp_lt_i32 s9, s10
	v_lshl_add_u64 v[16:17], s[12:13], 1, v[0:1]
	s_cselect_b32 s12, s9, s11
	s_ashr_i32 s13, s12, 31
	s_add_i32 s9, s0, 0xfffff280
	s_cmp_lt_i32 s9, s10
	v_lshl_add_u64 v[28:29], s[12:13], 1, v[0:1]
	s_cselect_b32 s12, s9, s11
	s_ashr_i32 s13, s12, 31
	s_add_i32 s9, s0, 0xfffff2c0
	s_cmp_lt_i32 s9, s10
	v_lshl_add_u64 v[30:31], s[12:13], 1, v[0:1]
	s_cselect_b32 s12, s9, s11
	s_ashr_i32 s13, s12, 31
	s_add_i32 s9, s0, 0xfffff300
	s_cmp_lt_i32 s9, s10
	v_lshl_add_u64 v[46:47], s[12:13], 1, v[0:1]
	s_cselect_b32 s12, s9, s11
	s_ashr_i32 s13, s12, 31
	s_add_i32 s9, s0, 0xfffff340
	s_cmp_lt_i32 s9, s10
	v_lshl_add_u64 v[54:55], s[12:13], 1, v[0:1]
	s_cselect_b32 s12, s9, s11
	s_ashr_i32 s13, s12, 31
	s_add_i32 s9, s0, 0xfffff380
	s_cmp_lt_i32 s9, s10
	v_lshl_add_u64 v[56:57], s[12:13], 1, v[0:1]
	s_cselect_b32 s12, s9, s11
	s_ashr_i32 s13, s12, 31
	s_add_i32 s9, s0, 0xfffff3c0
	s_cmp_lt_i32 s9, s10
	v_lshl_add_u64 v[58:59], s[12:13], 1, v[0:1]
	s_cselect_b32 s12, s9, s11
	s_ashr_i32 s13, s12, 31
	s_add_i32 s9, s0, 0xfffff400
	s_cmp_lt_i32 s9, s10
	global_load_ushort v3, v[44:45], off
	global_load_ushort v120, v[46:47], off
	v_lshl_add_u64 v[60:61], s[12:13], 1, v[0:1]
	s_cselect_b32 s12, s9, s11
	global_load_ushort v111, v[4:5], off
	global_load_ushort v112, v[6:7], off
	;; [unrolled: 1-line block ×7, first 2 shown]
	s_ashr_i32 s13, s12, 31
	s_add_i32 s9, s0, 0xfffff440
	s_cmp_lt_i32 s9, s10
	v_lshl_add_u64 v[66:67], s[12:13], 1, v[0:1]
	s_cselect_b32 s12, s9, s11
	s_ashr_i32 s13, s12, 31
	s_add_i32 s9, s0, 0xfffff480
	s_cmp_lt_i32 s9, s10
	v_lshl_add_u64 v[62:63], s[12:13], 1, v[0:1]
	s_cselect_b32 s12, s9, s11
	;; [unrolled: 5-line block ×14, first 2 shown]
	s_ashr_i32 s13, s12, 31
	s_add_i32 s9, s0, 0xfffff7c0
	global_load_ushort v118, v[28:29], off
	global_load_ushort v119, v[30:31], off
	s_cmp_lt_i32 s9, s10
	v_lshl_add_u64 v[26:27], s[12:13], 1, v[0:1]
	s_cselect_b32 s12, s9, s11
	s_ashr_i32 s13, s12, 31
	s_add_i32 s9, s0, 0xfffff800
	s_cmp_lt_i32 s9, s10
	v_lshl_add_u64 v[52:53], s[12:13], 1, v[0:1]
	s_cselect_b32 s12, s9, s11
	global_load_ushort v121, v[54:55], off
	global_load_ushort v122, v[56:57], off
	s_ashr_i32 s13, s12, 31
	global_load_ushort v58, v[58:59], off
	s_add_i32 s9, s0, 0xfffff840
	s_cmp_lt_i32 s9, s10
	v_lshl_add_u64 v[64:65], s[12:13], 1, v[0:1]
	s_cselect_b32 s12, s9, s11
	global_load_ushort v59, v[60:61], off
	s_ashr_i32 s13, s12, 31
	s_add_i32 s9, s0, 0xfffff880
	global_load_ushort v60, v[66:67], off
	global_load_ushort v61, v[62:63], off
	s_cmp_lt_i32 s9, s10
	v_lshl_add_u64 v[68:69], s[12:13], 1, v[0:1]
	s_cselect_b32 s12, s9, s11
	s_ashr_i32 s13, s12, 31
	s_add_i32 s9, s0, 0xfffff8c0
	s_cmp_lt_i32 s9, s10
	v_lshl_add_u64 v[70:71], s[12:13], 1, v[0:1]
	s_cselect_b32 s12, s9, s11
	s_ashr_i32 s13, s12, 31
	s_add_i32 s9, s0, 0xfffff900
	;; [unrolled: 5-line block ×3, first 2 shown]
	s_cmp_lt_i32 s9, s10
	v_lshl_add_u64 v[74:75], s[12:13], 1, v[0:1]
	s_cselect_b32 s12, s9, s11
	global_load_ushort v62, v[22:23], off
	s_ashr_i32 s13, s12, 31
	s_add_i32 s9, s0, 0xfffff980
	global_load_ushort v66, v[32:33], off
	global_load_ushort v123, v[34:35], off
	;; [unrolled: 1-line block ×4, first 2 shown]
	s_cmp_lt_i32 s9, s10
	v_lshl_add_u64 v[76:77], s[12:13], 1, v[0:1]
	s_cselect_b32 s12, s9, s11
	global_load_ushort v67, v[48:49], off
	s_ashr_i32 s13, s12, 31
	s_add_i32 s9, s0, 0xfffff9c0
	s_cmp_lt_i32 s9, s10
	v_lshl_add_u64 v[78:79], s[12:13], 1, v[0:1]
	s_cselect_b32 s12, s9, s11
	s_ashr_i32 s13, s12, 31
	s_add_i32 s9, s0, 0xfffffa00
	s_cmp_lt_i32 s9, s10
	v_lshl_add_u64 v[80:81], s[12:13], 1, v[0:1]
	s_cselect_b32 s12, s9, s11
	s_ashr_i32 s13, s12, 31
	s_add_i32 s9, s0, 0xfffffa40
	s_cmp_lt_i32 s9, s10
	v_mov_b32_e32 v124, s1
	v_lshl_add_u64 v[82:83], s[12:13], 1, v[0:1]
	s_cselect_b32 s12, s9, s11
	ds_read_b128 v[30:33], v124
	ds_read_b128 v[34:37], v124 offset:16
	global_load_ushort v50, v[50:51], off
	s_ashr_i32 s13, s12, 31
	s_add_i32 s9, s0, 0xfffffa80
	s_cmp_lt_i32 s9, s10
	v_lshl_add_u64 v[84:85], s[12:13], 1, v[0:1]
	s_cselect_b32 s12, s9, s11
	ds_read_b128 v[46:49], v124 offset:32
	ds_read_b128 v[54:57], v124 offset:48
	global_load_ushort v38, v[38:39], off
	s_ashr_i32 s13, s12, 31
	s_waitcnt vmcnt(24)
	v_lshlrev_b32_e32 v3, 16, v3
	v_lshl_add_u64 v[86:87], s[12:13], 1, v[0:1]
	global_load_ushort v51, v[86:87], off
	s_waitcnt lgkmcnt(3)
	v_fmac_f32_e32 v110, v30, v3
	s_waitcnt vmcnt(23)
	v_lshlrev_b32_e32 v3, 16, v111
	v_fmac_f32_e32 v110, v31, v3
	s_waitcnt vmcnt(22)
	v_lshlrev_b32_e32 v3, 16, v112
	global_load_ushort v39, v[18:19], off
	v_fmac_f32_e32 v110, v32, v3
	s_waitcnt vmcnt(22)
	v_lshlrev_b32_e32 v3, 16, v113
	v_fmac_f32_e32 v110, v33, v3
	s_waitcnt vmcnt(21)
	v_lshlrev_b32_e32 v3, 16, v114
	s_waitcnt lgkmcnt(2)
	v_fmac_f32_e32 v110, v34, v3
	global_load_ushort v3, v[20:21], off
	global_load_ushort v34, v[40:41], off
	s_add_i32 s9, s0, 0xfffffac0
	global_load_ushort v26, v[26:27], off
	s_waitcnt vmcnt(23)
	v_lshlrev_b32_e32 v18, 16, v115
	v_fmac_f32_e32 v110, v35, v18
	global_load_ushort v35, v[42:43], off
	global_load_ushort v27, v[52:53], off
	s_cmp_lt_i32 s9, s10
	s_cselect_b32 s12, s9, s11
	s_ashr_i32 s13, s12, 31
	s_add_i32 s9, s0, 0xfffffb00
	s_cmp_lt_i32 s9, s10
	v_lshl_add_u64 v[88:89], s[12:13], 1, v[0:1]
	s_cselect_b32 s12, s9, s11
	s_ashr_i32 s13, s12, 31
	s_add_i32 s9, s0, 0xfffffb40
	s_cmp_lt_i32 s9, s10
	v_lshl_add_u64 v[90:91], s[12:13], 1, v[0:1]
	;; [unrolled: 5-line block ×6, first 2 shown]
	s_cselect_b32 s12, s9, s11
	s_ashr_i32 s13, s12, 31
	s_add_i32 s9, s0, 0xfffffc80
	s_waitcnt vmcnt(24)
	v_lshlrev_b32_e32 v18, 16, v116
	s_cmp_lt_i32 s9, s10
	v_fmac_f32_e32 v110, v36, v18
	global_load_ushort v36, v[64:65], off
	s_waitcnt vmcnt(24)
	v_lshlrev_b32_e32 v18, 16, v117
	v_lshl_add_u64 v[102:103], s[12:13], 1, v[0:1]
	s_cselect_b32 s12, s9, s11
	v_fmac_f32_e32 v110, v37, v18
	global_load_ushort v37, v[68:69], off
	global_load_ushort v40, v[70:71], off
	;; [unrolled: 1-line block ×3, first 2 shown]
	s_waitcnt vmcnt(26)
	v_lshlrev_b32_e32 v18, 16, v118
	s_ashr_i32 s13, s12, 31
	s_add_i32 s9, s0, 0xfffffcc0
	s_waitcnt lgkmcnt(1)
	v_fmac_f32_e32 v110, v46, v18
	global_load_ushort v46, v[78:79], off
	s_waitcnt vmcnt(26)
	v_lshlrev_b32_e32 v18, 16, v119
	s_cmp_lt_i32 s9, s10
	v_fmac_f32_e32 v110, v47, v18
	v_lshlrev_b32_e32 v18, 16, v120
	v_lshl_add_u64 v[104:105], s[12:13], 1, v[0:1]
	s_cselect_b32 s12, s9, s11
	v_fmac_f32_e32 v110, v48, v18
	global_load_ushort v48, v[82:83], off
	global_load_ushort v42, v[74:75], off
	global_load_ushort v43, v[76:77], off
	global_load_ushort v47, v[80:81], off
	s_ashr_i32 s13, s12, 31
	s_add_i32 s9, s0, 0xfffffd00
	s_cmp_lt_i32 s9, s10
	s_waitcnt vmcnt(29)
	v_lshlrev_b32_e32 v18, 16, v121
	v_lshl_add_u64 v[106:107], s[12:13], 1, v[0:1]
	s_cselect_b32 s12, s9, s11
	v_fmac_f32_e32 v110, v49, v18
	global_load_ushort v49, v[84:85], off
	global_load_ushort v53, v[88:89], off
	s_waitcnt vmcnt(30)
	v_lshlrev_b32_e32 v18, 16, v122
	s_ashr_i32 s13, s12, 31
	s_add_i32 s9, s0, 0xfffffd40
	s_waitcnt lgkmcnt(0)
	v_fmac_f32_e32 v110, v54, v18
	global_load_ushort v54, v[90:91], off
	s_waitcnt vmcnt(30)
	v_lshlrev_b32_e32 v18, 16, v58
	s_cmp_lt_i32 s9, s10
	v_fmac_f32_e32 v110, v55, v18
	s_waitcnt vmcnt(29)
	v_lshlrev_b32_e32 v18, 16, v59
	v_lshl_add_u64 v[98:99], s[12:13], 1, v[0:1]
	s_cselect_b32 s12, s9, s11
	v_fmac_f32_e32 v110, v56, v18
	s_waitcnt vmcnt(28)
	v_lshlrev_b32_e32 v18, 16, v60
	s_ashr_i32 s13, s12, 31
	s_add_i32 s9, s0, 0xfffffd80
	v_fmac_f32_e32 v110, v57, v18
	ds_read_b128 v[18:21], v124 offset:64
	ds_read_b128 v[30:33], v124 offset:80
	s_cmp_lt_i32 s9, s10
	v_lshl_add_u64 v[44:45], s[12:13], 1, v[0:1]
	s_cselect_b32 s12, s9, s11
	s_ashr_i32 s13, s12, 31
	s_add_i32 s9, s0, 0xfffffdc0
	s_cmp_lt_i32 s9, s10
	s_waitcnt vmcnt(27)
	v_lshlrev_b32_e32 v52, 16, v61
	v_lshl_add_u64 v[108:109], s[12:13], 1, v[0:1]
	s_cselect_b32 s12, s9, s11
	s_waitcnt lgkmcnt(1)
	v_fmac_f32_e32 v110, v18, v52
	global_load_ushort v52, v[92:93], off
	global_load_ushort v55, v[94:95], off
	s_ashr_i32 s13, s12, 31
	s_add_i32 s9, s0, 0xfffffe00
	s_cmp_lt_i32 s9, s10
	global_load_ushort v56, v[96:97], off
	global_load_ushort v57, v[100:101], off
	;; [unrolled: 1-line block ×4, first 2 shown]
	v_lshl_add_u64 v[4:5], s[12:13], 1, v[0:1]
	s_cselect_b32 s12, s9, s11
	s_ashr_i32 s13, s12, 31
	s_add_i32 s9, s0, 0xfffffe40
	s_cmp_lt_i32 s9, s10
	s_waitcnt vmcnt(32)
	v_lshlrev_b32_e32 v18, 16, v62
	v_lshl_add_u64 v[6:7], s[12:13], 1, v[0:1]
	s_cselect_b32 s12, s9, s11
	v_fmac_f32_e32 v110, v19, v18
	s_waitcnt vmcnt(28)
	v_lshlrev_b32_e32 v18, 16, v63
	s_ashr_i32 s13, s12, 31
	s_add_i32 s9, s0, 0xfffffe80
	v_fmac_f32_e32 v110, v20, v18
	v_lshlrev_b32_e32 v18, 16, v66
	s_cmp_lt_i32 s9, s10
	v_fmac_f32_e32 v110, v21, v18
	s_waitcnt vmcnt(27)
	v_lshlrev_b32_e32 v18, 16, v67
	v_lshl_add_u64 v[8:9], s[12:13], 1, v[0:1]
	s_cselect_b32 s12, s9, s11
	s_waitcnt lgkmcnt(0)
	v_fmac_f32_e32 v110, v30, v18
	global_load_ushort v30, v[106:107], off
	s_ashr_i32 s13, s12, 31
	s_add_i32 s9, s0, 0xfffffec0
	s_cmp_lt_i32 s9, s10
	global_load_ushort v60, v[98:99], off
	global_load_ushort v61, v[44:45], off
	;; [unrolled: 1-line block ×3, first 2 shown]
	v_lshl_add_u64 v[12:13], s[12:13], 1, v[0:1]
	s_cselect_b32 s12, s9, s11
	v_lshlrev_b32_e32 v18, 16, v123
	s_ashr_i32 s13, s12, 31
	s_add_i32 s9, s0, 0xffffff00
	v_fmac_f32_e32 v110, v31, v18
	v_lshlrev_b32_e32 v18, 16, v125
	s_cmp_lt_i32 s9, s10
	v_fmac_f32_e32 v110, v32, v18
	global_load_ushort v31, v[4:5], off
	global_load_ushort v32, v[6:7], off
	v_lshl_add_u64 v[10:11], s[12:13], 1, v[0:1]
	s_cselect_b32 s12, s9, s11
	s_ashr_i32 s13, s12, 31
	s_add_i32 s9, s0, 0xffffff40
	s_cmp_lt_i32 s9, s10
	s_waitcnt vmcnt(32)
	v_lshlrev_b32_e32 v4, 16, v50
	v_lshl_add_u64 v[16:17], s[12:13], 1, v[0:1]
	s_cselect_b32 s12, s9, s11
	v_fmac_f32_e32 v110, v33, v4
	ds_read_b128 v[4:7], v124 offset:96
	s_ashr_i32 s13, s12, 31
	s_add_i32 s9, s0, 0xffffff80
	s_cmp_lt_i32 s9, s10
	s_waitcnt vmcnt(31)
	v_lshlrev_b32_e32 v33, 16, v38
	global_load_ushort v38, v[8:9], off
	global_load_ushort v44, v[12:13], off
	v_lshl_add_u64 v[14:15], s[12:13], 1, v[0:1]
	s_cselect_b32 s12, s9, s11
	s_ashr_i32 s13, s12, 31
	s_sub_i32 s9, s0, 64
	s_cmp_lt_i32 s9, s10
	ds_read_b128 v[18:21], v124 offset:112
	s_waitcnt lgkmcnt(1)
	v_fmac_f32_e32 v110, v4, v33
	s_waitcnt vmcnt(31)
	v_lshlrev_b32_e32 v4, 16, v39
	global_load_ushort v33, v[10:11], off
	global_load_ushort v39, v[16:17], off
	v_lshl_add_u64 v[28:29], s[12:13], 1, v[0:1]
	s_cselect_b32 s12, s9, s11
	s_ashr_i32 s13, s12, 31
	s_cmp_lt_i32 s0, s10
	v_fmac_f32_e32 v110, v5, v4
	s_waitcnt vmcnt(32)
	v_lshlrev_b32_e32 v3, 16, v3
	global_load_ushort v16, v[14:15], off
	global_load_ushort v17, v[28:29], off
	v_lshl_add_u64 v[22:23], s[12:13], 1, v[0:1]
	s_cselect_b32 s12, s0, s11
	v_fmac_f32_e32 v110, v6, v3
	s_waitcnt vmcnt(33)
	v_lshlrev_b32_e32 v3, 16, v34
	s_ashr_i32 s13, s12, 31
	v_fmac_f32_e32 v110, v7, v3
	s_waitcnt vmcnt(31)
	v_lshlrev_b32_e32 v3, 16, v35
	v_lshl_add_u64 v[24:25], s[12:13], 1, v[0:1]
	s_waitcnt lgkmcnt(0)
	v_fmac_f32_e32 v110, v18, v3
	global_load_ushort v3, v[22:23], off
	global_load_ushort v14, v[24:25], off
	v_lshlrev_b32_e32 v4, 16, v26
	v_fmac_f32_e32 v110, v19, v4
	s_waitcnt vmcnt(32)
	v_lshlrev_b32_e32 v4, 16, v27
	v_fmac_f32_e32 v110, v20, v4
	ds_read_b128 v[4:7], v124 offset:128
	s_waitcnt vmcnt(31)
	v_lshlrev_b32_e32 v8, 16, v36
	v_fmac_f32_e32 v110, v21, v8
	ds_read_b128 v[8:11], v124 offset:144
	s_waitcnt vmcnt(30)
	v_lshlrev_b32_e32 v12, 16, v37
	s_waitcnt lgkmcnt(1)
	v_fmac_f32_e32 v110, v4, v12
	s_waitcnt vmcnt(29)
	v_lshlrev_b32_e32 v4, 16, v40
	v_fmac_f32_e32 v110, v5, v4
	s_waitcnt vmcnt(28)
	v_lshlrev_b32_e32 v4, 16, v41
	;; [unrolled: 3-line block ×4, first 2 shown]
	s_waitcnt lgkmcnt(0)
	v_fmac_f32_e32 v110, v8, v4
	v_lshlrev_b32_e32 v4, 16, v46
	v_fmac_f32_e32 v110, v9, v4
	s_waitcnt vmcnt(23)
	v_lshlrev_b32_e32 v4, 16, v47
	v_fmac_f32_e32 v110, v10, v4
	ds_read_b128 v[4:7], v124 offset:160
	v_lshlrev_b32_e32 v8, 16, v48
	v_fmac_f32_e32 v110, v11, v8
	ds_read_b128 v[8:11], v124 offset:176
	s_waitcnt vmcnt(22)
	v_lshlrev_b32_e32 v12, 16, v49
	s_waitcnt lgkmcnt(1)
	v_fmac_f32_e32 v110, v4, v12
	v_lshlrev_b32_e32 v4, 16, v51
	v_fmac_f32_e32 v110, v5, v4
	s_waitcnt vmcnt(21)
	v_lshlrev_b32_e32 v4, 16, v53
	v_fmac_f32_e32 v110, v6, v4
	s_waitcnt vmcnt(20)
	;; [unrolled: 3-line block ×3, first 2 shown]
	v_lshlrev_b32_e32 v4, 16, v52
	s_waitcnt lgkmcnt(0)
	v_fmac_f32_e32 v110, v8, v4
	s_waitcnt vmcnt(18)
	v_lshlrev_b32_e32 v4, 16, v55
	v_fmac_f32_e32 v110, v9, v4
	s_waitcnt vmcnt(17)
	v_lshlrev_b32_e32 v4, 16, v56
	v_fmac_f32_e32 v110, v10, v4
	ds_read_b128 v[4:7], v124 offset:192
	s_waitcnt vmcnt(16)
	v_lshlrev_b32_e32 v8, 16, v57
	v_fmac_f32_e32 v110, v11, v8
	ds_read_b128 v[8:11], v124 offset:208
	s_waitcnt vmcnt(15)
	v_lshlrev_b32_e32 v12, 16, v58
	s_waitcnt lgkmcnt(1)
	v_fmac_f32_e32 v110, v4, v12
	s_waitcnt vmcnt(14)
	v_lshlrev_b32_e32 v4, 16, v59
	v_fmac_f32_e32 v110, v5, v4
	s_waitcnt vmcnt(13)
	v_lshlrev_b32_e32 v4, 16, v30
	;; [unrolled: 3-line block ×4, first 2 shown]
	v_lshlrev_b32_e32 v4, 16, v61
	s_waitcnt lgkmcnt(0)
	v_pk_mul_f32 v[4:5], v[8:9], v[4:5]
	s_waitcnt vmcnt(6)
	v_lshlrev_b32_e32 v13, 16, v44
	v_add_f32_e32 v4, v110, v4
	v_add_f32_e32 v6, v4, v5
	v_lshlrev_b32_e32 v5, 16, v32
	v_lshlrev_b32_e32 v4, 16, v31
	v_pk_mul_f32 v[8:9], v[10:11], v[4:5]
	v_lshlrev_b32_e32 v12, 16, v38
	v_add_f32_e32 v8, v6, v8
	ds_read_b128 v[4:7], v124 offset:224
	v_add_f32_e32 v15, v8, v9
	ds_read_b128 v[8:11], v124 offset:240
	s_waitcnt lgkmcnt(1)
	v_pk_mul_f32 v[4:5], v[4:5], v[12:13]
	s_nop 0
	v_add_f32_e32 v4, v15, v4
	v_add_f32_e32 v12, v4, v5
	s_waitcnt vmcnt(4)
	v_lshlrev_b32_e32 v5, 16, v39
	v_lshlrev_b32_e32 v4, 16, v33
	v_pk_mul_f32 v[4:5], v[6:7], v[4:5]
	s_nop 0
	v_add_f32_e32 v4, v12, v4
	v_add_f32_e32 v6, v4, v5
	s_waitcnt vmcnt(2)
	v_lshlrev_b32_e32 v5, 16, v17
	v_lshlrev_b32_e32 v4, 16, v16
	s_waitcnt lgkmcnt(0)
	v_pk_mul_f32 v[4:5], v[8:9], v[4:5]
	s_nop 0
	v_add_f32_e32 v4, v6, v4
	v_add_f32_e32 v6, v4, v5
	s_waitcnt vmcnt(0)
	v_lshlrev_b32_e32 v5, 16, v14
	v_lshlrev_b32_e32 v4, 16, v3
	v_pk_mul_f32 v[4:5], v[10:11], v[4:5]
	s_nop 0
	v_add_f32_e32 v3, v6, v4
	v_add_f32_e32 v110, v3, v5
	s_branch .LBB468_16
.LBB468_19:
	v_mov_b32_e32 v0, 0
	ds_read_b32 v0, v0 offset:2304
	s_cmp_lg_u64 s[6:7], 0
	s_cbranch_scc0 .LBB468_28
; %bb.20:
	s_load_dword s6, s[6:7], 0x0
	s_waitcnt lgkmcnt(0)
	v_div_scale_f32 v1, s[0:1], s6, s6, 1.0
	v_rcp_f32_e32 v3, v1
	v_div_scale_f32 v4, vcc, 1.0, s6, 1.0
	v_fma_f32 v5, -v1, v3, 1.0
	v_fmac_f32_e32 v3, v5, v3
	v_mul_f32_e32 v5, v4, v3
	v_fma_f32 v6, -v1, v5, v4
	v_fmac_f32_e32 v5, v6, v3
	v_fma_f32 v1, -v1, v5, v4
	v_div_fmas_f32 v1, v1, v3, v5
	v_div_fixup_f32 v1, v1, s6, 1.0
	s_andn2_b64 vcc, exec, s[36:37]
	s_cbranch_vccnz .LBB468_22
.LBB468_21:
	s_add_u32 s0, s34, s38
	s_addc_u32 s1, s35, s39
	s_load_dword s22, s[0:1], 0x0
	s_mov_b32 s23, 0
.LBB468_22:
	s_waitcnt lgkmcnt(0)
	v_add_f32_e32 v0, 0x358637bd, v0
	v_div_scale_f32 v3, s[0:1], v0, v0, 1.0
	v_rcp_f32_e32 v4, v3
	v_div_scale_f32 v5, vcc, 1.0, v0, 1.0
	s_mov_b32 s0, 0x7f800000
	v_fma_f32 v6, -v3, v4, 1.0
	v_fmac_f32_e32 v4, v6, v4
	v_mul_f32_e32 v6, v5, v4
	v_fma_f32 v7, -v3, v6, v5
	v_fmac_f32_e32 v6, v7, v4
	v_fma_f32 v3, -v3, v6, v5
	v_div_fmas_f32 v3, v3, v4, v6
	v_div_fixup_f32 v0, v3, v0, 1.0
	v_mul_f32_e32 v0, v110, v0
	v_mul_f32_e32 v1, v0, v1
	v_and_b32_e32 v0, 0x7f800000, v1
	v_cmp_ne_u32_e32 vcc, s0, v0
                                        ; implicit-def: $vgpr0
	s_and_saveexec_b64 s[0:1], vcc
	s_xor_b64 s[0:1], exec, s[0:1]
; %bb.23:
	v_bfe_u32 v0, v1, 16, 1
	s_movk_i32 s6, 0x7fff
	v_add3_u32 v0, v1, v0, s6
                                        ; implicit-def: $vgpr1
; %bb.24:
	s_andn2_saveexec_b64 s[0:1], s[0:1]
; %bb.25:
	v_mov_b32_e32 v0, 0
	v_or_b32_e32 v3, 0x10000, v1
	v_cmp_eq_u32_sdwa vcc, v1, v0 src0_sel:WORD_0 src1_sel:DWORD
	s_nop 1
	v_cndmask_b32_e32 v0, v3, v1, vcc
; %bb.26:
	s_or_b64 exec, exec, s[0:1]
	s_mul_i32 s0, s3, s23
	s_mul_hi_u32 s1, s3, s22
	s_add_i32 s1, s1, s0
	s_mul_i32 s0, s3, s22
	s_lshl_b64 s[0:1], s[0:1], 7
	s_add_u32 s4, s4, s0
	s_mov_b32 s3, 0
	s_addc_u32 s5, s5, s1
	s_lshl_b64 s[0:1], s[2:3], 7
	s_add_u32 s0, s4, s0
	s_addc_u32 s1, s5, s1
	global_store_short_d16_hi v2, v0, s[0:1]
	s_endpgm
.LBB468_27:
	s_mov_b64 s[6:7], 0
	s_branch .LBB468_2
.LBB468_28:
	v_mov_b32_e32 v1, 1.0
	s_andn2_b64 vcc, exec, s[36:37]
	s_cbranch_vccz .LBB468_21
	s_branch .LBB468_22
	.section	.rodata,"a",@progbits
	.p2align	6, 0x0
	.amdhsa_kernel _Z35paged_attention_ll4mi_reduce_kernelI14__hip_bfloat16S0_Li64ELi64ELi256ELi9EEvPT0_PKfS4_PKT_PKiS9_iS4_
		.amdhsa_group_segment_fixed_size 2308
		.amdhsa_private_segment_fixed_size 0
		.amdhsa_kernarg_size 320
		.amdhsa_user_sgpr_count 2
		.amdhsa_user_sgpr_dispatch_ptr 0
		.amdhsa_user_sgpr_queue_ptr 0
		.amdhsa_user_sgpr_kernarg_segment_ptr 1
		.amdhsa_user_sgpr_dispatch_id 0
		.amdhsa_user_sgpr_kernarg_preload_length 0
		.amdhsa_user_sgpr_kernarg_preload_offset 0
		.amdhsa_user_sgpr_private_segment_size 0
		.amdhsa_uses_dynamic_stack 0
		.amdhsa_enable_private_segment 0
		.amdhsa_system_sgpr_workgroup_id_x 1
		.amdhsa_system_sgpr_workgroup_id_y 1
		.amdhsa_system_sgpr_workgroup_id_z 0
		.amdhsa_system_sgpr_workgroup_info 0
		.amdhsa_system_vgpr_workitem_id 0
		.amdhsa_next_free_vgpr 126
		.amdhsa_next_free_sgpr 47
		.amdhsa_accum_offset 128
		.amdhsa_reserve_vcc 1
		.amdhsa_float_round_mode_32 0
		.amdhsa_float_round_mode_16_64 0
		.amdhsa_float_denorm_mode_32 3
		.amdhsa_float_denorm_mode_16_64 3
		.amdhsa_dx10_clamp 1
		.amdhsa_ieee_mode 1
		.amdhsa_fp16_overflow 0
		.amdhsa_tg_split 0
		.amdhsa_exception_fp_ieee_invalid_op 0
		.amdhsa_exception_fp_denorm_src 0
		.amdhsa_exception_fp_ieee_div_zero 0
		.amdhsa_exception_fp_ieee_overflow 0
		.amdhsa_exception_fp_ieee_underflow 0
		.amdhsa_exception_fp_ieee_inexact 0
		.amdhsa_exception_int_div_zero 0
	.end_amdhsa_kernel
	.section	.text._Z35paged_attention_ll4mi_reduce_kernelI14__hip_bfloat16S0_Li64ELi64ELi256ELi9EEvPT0_PKfS4_PKT_PKiS9_iS4_,"axG",@progbits,_Z35paged_attention_ll4mi_reduce_kernelI14__hip_bfloat16S0_Li64ELi64ELi256ELi9EEvPT0_PKfS4_PKT_PKiS9_iS4_,comdat
.Lfunc_end468:
	.size	_Z35paged_attention_ll4mi_reduce_kernelI14__hip_bfloat16S0_Li64ELi64ELi256ELi9EEvPT0_PKfS4_PKT_PKiS9_iS4_, .Lfunc_end468-_Z35paged_attention_ll4mi_reduce_kernelI14__hip_bfloat16S0_Li64ELi64ELi256ELi9EEvPT0_PKfS4_PKT_PKiS9_iS4_
                                        ; -- End function
	.section	.AMDGPU.csdata,"",@progbits
; Kernel info:
; codeLenInByte = 9560
; NumSgprs: 53
; NumVgprs: 126
; NumAgprs: 0
; TotalNumVgprs: 126
; ScratchSize: 0
; MemoryBound: 0
; FloatMode: 240
; IeeeMode: 1
; LDSByteSize: 2308 bytes/workgroup (compile time only)
; SGPRBlocks: 6
; VGPRBlocks: 15
; NumSGPRsForWavesPerEU: 53
; NumVGPRsForWavesPerEU: 126
; AccumOffset: 128
; Occupancy: 4
; WaveLimiterHint : 1
; COMPUTE_PGM_RSRC2:SCRATCH_EN: 0
; COMPUTE_PGM_RSRC2:USER_SGPR: 2
; COMPUTE_PGM_RSRC2:TRAP_HANDLER: 0
; COMPUTE_PGM_RSRC2:TGID_X_EN: 1
; COMPUTE_PGM_RSRC2:TGID_Y_EN: 1
; COMPUTE_PGM_RSRC2:TGID_Z_EN: 0
; COMPUTE_PGM_RSRC2:TIDIG_COMP_CNT: 0
; COMPUTE_PGM_RSRC3_GFX90A:ACCUM_OFFSET: 31
; COMPUTE_PGM_RSRC3_GFX90A:TG_SPLIT: 0
	.section	.text._Z35paged_attention_ll4mi_reduce_kernelI14__hip_bfloat16S0_Li64ELi64ELi256ELi10EEvPT0_PKfS4_PKT_PKiS9_iS4_,"axG",@progbits,_Z35paged_attention_ll4mi_reduce_kernelI14__hip_bfloat16S0_Li64ELi64ELi256ELi10EEvPT0_PKfS4_PKT_PKiS9_iS4_,comdat
	.protected	_Z35paged_attention_ll4mi_reduce_kernelI14__hip_bfloat16S0_Li64ELi64ELi256ELi10EEvPT0_PKfS4_PKT_PKiS9_iS4_ ; -- Begin function _Z35paged_attention_ll4mi_reduce_kernelI14__hip_bfloat16S0_Li64ELi64ELi256ELi10EEvPT0_PKfS4_PKT_PKiS9_iS4_
	.globl	_Z35paged_attention_ll4mi_reduce_kernelI14__hip_bfloat16S0_Li64ELi64ELi256ELi10EEvPT0_PKfS4_PKT_PKiS9_iS4_
	.p2align	8
	.type	_Z35paged_attention_ll4mi_reduce_kernelI14__hip_bfloat16S0_Li64ELi64ELi256ELi10EEvPT0_PKfS4_PKT_PKiS9_iS4_,@function
_Z35paged_attention_ll4mi_reduce_kernelI14__hip_bfloat16S0_Li64ELi64ELi256ELi10EEvPT0_PKfS4_PKT_PKiS9_iS4_: ; @_Z35paged_attention_ll4mi_reduce_kernelI14__hip_bfloat16S0_Li64ELi64ELi256ELi10EEvPT0_PKfS4_PKT_PKiS9_iS4_
; %bb.0:
	s_load_dwordx2 s[36:37], s[0:1], 0x28
	s_mov_b32 s34, s3
	s_mov_b64 s[4:5], 0
	s_waitcnt lgkmcnt(0)
	s_cmp_lg_u64 s[36:37], 0
	s_cselect_b64 s[38:39], -1, 0
	s_and_b64 vcc, exec, s[38:39]
	s_cbranch_vccz .LBB469_27
; %bb.1:
	s_add_i32 s6, s34, 1
	s_mov_b32 s7, 0
	s_lshl_b64 s[8:9], s[6:7], 2
	s_add_u32 s8, s36, s8
	s_mov_b32 s35, s7
	s_addc_u32 s9, s37, s9
	s_lshl_b64 s[6:7], s[34:35], 2
	s_add_u32 s6, s36, s6
	s_addc_u32 s7, s37, s7
	s_load_dword s3, s[8:9], 0x0
	s_load_dword s10, s[6:7], 0x0
	s_waitcnt lgkmcnt(0)
	s_sub_i32 s3, s3, s10
	s_cmp_eq_u32 s3, 1
	s_cselect_b64 s[6:7], -1, 0
	s_andn2_b64 vcc, exec, s[4:5]
	s_cbranch_vccnz .LBB469_3
.LBB469_2:
	s_mov_b32 s35, 0
	s_mov_b64 s[6:7], -1
.LBB469_3:
	s_andn2_b64 vcc, exec, s[6:7]
	s_cbranch_vccz .LBB469_5
; %bb.4:
	s_endpgm
.LBB469_5:
	s_load_dwordx4 s[24:27], s[0:1], 0x18
	s_load_dword s8, s[0:1], 0x30
	s_lshl_b64 s[40:41], s[34:35], 2
	v_cmp_lt_u32_e32 vcc, 63, v0
	s_waitcnt lgkmcnt(0)
	s_add_u32 s4, s26, s40
	s_addc_u32 s5, s27, s41
	s_load_dword s48, s[4:5], 0x0
	s_load_dword s3, s[0:1], 0x40
	s_mul_i32 s26, s2, s8
	s_mul_i32 s6, s34, s8
	s_waitcnt lgkmcnt(0)
	s_add_i32 s7, s48, 0xff
	s_ashr_i32 s4, s7, 31
	s_lshr_b32 s4, s4, 24
	s_add_i32 s7, s7, s4
	s_and_saveexec_b64 s[4:5], vcc
	s_xor_b64 s[4:5], exec, s[4:5]
	s_or_saveexec_b64 s[42:43], s[4:5]
	s_ashr_i32 s33, s7, 8
	v_mov_b32_e32 v1, s26
	s_mul_i32 s44, s6, s3
	s_xor_b64 exec, exec, s[42:43]
	s_cbranch_execz .LBB469_9
; %bb.6:
	s_add_i32 s4, s33, -1
	v_or_b32_e32 v3, 64, v0
	v_mov_b32_e32 v1, s4
	v_cmp_gt_u32_e64 s[18:19], s33, v3
	s_load_dwordx4 s[28:31], s[0:1], 0x8
	s_mov_b32 s45, 0
	v_cndmask_b32_e64 v4, v1, v3, s[18:19]
	v_or_b32_e32 v3, 0x80, v0
	v_cmp_gt_u32_e64 s[16:17], s33, v3
	s_lshl_b64 s[46:47], s[44:45], 2
	s_mov_b32 s27, s45
	v_cndmask_b32_e64 v6, v1, v3, s[16:17]
	v_or_b32_e32 v3, 0xc0, v0
	v_cmp_gt_u32_e64 s[14:15], s33, v3
	v_cmp_gt_u32_e64 s[20:21], s33, v0
	s_waitcnt lgkmcnt(0)
	s_add_u32 s22, s30, s46
	v_cndmask_b32_e64 v8, v1, v3, s[14:15]
	v_or_b32_e32 v3, 0x100, v0
	v_cmp_gt_u32_e64 s[12:13], s33, v3
	v_cndmask_b32_e64 v2, v1, v0, s[20:21]
	s_addc_u32 s23, s31, s47
	v_cndmask_b32_e64 v10, v1, v3, s[12:13]
	v_or_b32_e32 v3, 0x140, v0
	v_cmp_gt_u32_e64 s[10:11], s33, v3
	s_lshl_b64 s[30:31], s[26:27], 2
	s_add_u32 s22, s22, s30
	v_cndmask_b32_e64 v12, v1, v3, s[10:11]
	v_or_b32_e32 v3, 0x180, v0
	v_cmp_gt_u32_e64 s[8:9], s33, v3
	s_addc_u32 s23, s23, s31
	v_ashrrev_i32_e32 v5, 31, v4
	v_cndmask_b32_e64 v14, v1, v3, s[8:9]
	v_or_b32_e32 v3, 0x1c0, v0
	v_cmp_gt_u32_e64 s[6:7], s33, v3
	v_ashrrev_i32_e32 v7, 31, v6
	v_ashrrev_i32_e32 v9, 31, v8
	v_cndmask_b32_e64 v16, v1, v3, s[6:7]
	v_or_b32_e32 v3, 0x200, v0
	v_cmp_gt_u32_e64 s[4:5], s33, v3
	v_ashrrev_i32_e32 v11, 31, v10
	v_ashrrev_i32_e32 v13, 31, v12
	v_cndmask_b32_e64 v18, v1, v3, s[4:5]
	v_or_b32_e32 v3, 0x240, v0
	v_cmp_gt_u32_e32 vcc, s33, v3
	v_ashrrev_i32_e32 v15, 31, v14
	v_ashrrev_i32_e32 v17, 31, v16
	v_cndmask_b32_e32 v20, v1, v3, vcc
	v_ashrrev_i32_e32 v3, 31, v2
	v_lshlrev_b64 v[2:3], 2, v[2:3]
	v_ashrrev_i32_e32 v19, 31, v18
	v_lshl_add_u64 v[22:23], s[22:23], 0, v[2:3]
	v_lshlrev_b64 v[4:5], 2, v[4:5]
	v_lshlrev_b64 v[6:7], 2, v[6:7]
	;; [unrolled: 1-line block ×8, first 2 shown]
	v_ashrrev_i32_e32 v21, 31, v20
	v_lshl_add_u64 v[24:25], s[22:23], 0, v[4:5]
	v_lshl_add_u64 v[26:27], s[22:23], 0, v[6:7]
	;; [unrolled: 1-line block ×7, first 2 shown]
	global_load_dword v1, v[22:23], off
	global_load_dword v38, v[24:25], off
	;; [unrolled: 1-line block ×8, first 2 shown]
	v_lshl_add_u64 v[22:23], s[22:23], 0, v[18:19]
	v_lshlrev_b64 v[20:21], 2, v[20:21]
	v_lshl_add_u64 v[24:25], s[22:23], 0, v[20:21]
	global_load_dword v26, v[22:23], off
	global_load_dword v27, v[24:25], off
	v_mbcnt_lo_u32_b32 v22, -1, 0
	v_mbcnt_hi_u32_b32 v22, -1, v22
	v_and_b32_e32 v23, 64, v22
	v_xor_b32_e32 v24, 32, v22
	v_add_u32_e32 v23, 64, v23
	v_cmp_lt_i32_e64 s[22:23], v24, v23
	v_xor_b32_e32 v25, 16, v22
	v_xor_b32_e32 v30, 8, v22
	v_cndmask_b32_e64 v24, v22, v24, s[22:23]
	v_lshlrev_b32_e32 v24, 2, v24
	v_cmp_lt_i32_e64 s[22:23], v25, v23
	s_mov_b32 s27, 0x3fb8aa3b
	s_waitcnt vmcnt(9)
	v_max_f32_e32 v29, v1, v1
	s_waitcnt vmcnt(8)
	v_max_f32_e32 v28, v38, v38
	v_max_f32_e32 v28, v29, v28
	s_waitcnt vmcnt(6)
	v_max3_f32 v28, v28, v39, v40
	v_cndmask_b32_e64 v25, v22, v25, s[22:23]
	s_waitcnt vmcnt(4)
	v_max3_f32 v28, v28, v41, v42
	v_lshlrev_b32_e32 v25, 2, v25
	s_waitcnt vmcnt(2)
	v_max3_f32 v28, v28, v43, v44
	v_cmp_lt_i32_e64 s[22:23], v30, v23
	s_waitcnt vmcnt(0)
	v_max3_f32 v28, v28, v26, v27
	ds_bpermute_b32 v29, v24, v28
	v_cndmask_b32_e64 v30, v22, v30, s[22:23]
	v_lshlrev_b32_e32 v30, 2, v30
	s_add_u32 s22, s28, s46
	s_addc_u32 s23, s29, s47
	s_waitcnt lgkmcnt(0)
	v_max_f32_e32 v29, v29, v29
	v_max_f32_e32 v28, v28, v29
	ds_bpermute_b32 v29, v25, v28
	s_add_u32 s28, s22, s30
	s_addc_u32 s29, s23, s31
	v_lshl_add_u64 v[2:3], s[28:29], 0, v[2:3]
	global_load_dword v31, v[2:3], off
	s_waitcnt lgkmcnt(0)
	v_max_f32_e32 v29, v29, v29
	v_max_f32_e32 v28, v28, v29
	ds_bpermute_b32 v29, v30, v28
	s_waitcnt lgkmcnt(0)
	v_max_f32_e32 v2, v29, v29
	v_max_f32_e32 v28, v28, v2
	v_xor_b32_e32 v2, 4, v22
	v_cmp_lt_i32_e64 s[22:23], v2, v23
	s_nop 1
	v_cndmask_b32_e64 v2, v22, v2, s[22:23]
	v_lshlrev_b32_e32 v29, 2, v2
	ds_bpermute_b32 v2, v29, v28
	s_waitcnt lgkmcnt(0)
	v_max_f32_e32 v32, v2, v2
	v_lshl_add_u64 v[2:3], s[28:29], 0, v[4:5]
	global_load_dword v33, v[2:3], off
	v_xor_b32_e32 v3, 2, v22
	v_cmp_lt_i32_e64 s[22:23], v3, v23
	v_max_f32_e32 v2, v28, v32
	v_xor_b32_e32 v4, 1, v22
	v_cndmask_b32_e64 v3, v22, v3, s[22:23]
	v_lshlrev_b32_e32 v28, 2, v3
	ds_bpermute_b32 v3, v28, v2
	v_cmp_lt_i32_e64 s[22:23], v4, v23
	s_waitcnt lgkmcnt(0)
	v_max_f32_e32 v3, v3, v3
	v_max_f32_e32 v32, v2, v3
	v_lshl_add_u64 v[2:3], s[28:29], 0, v[6:7]
	global_load_dword v34, v[2:3], off
	v_cndmask_b32_e64 v2, v22, v4, s[22:23]
	v_lshlrev_b32_e32 v22, 2, v2
	v_lshl_add_u64 v[2:3], s[28:29], 0, v[8:9]
	v_lshl_add_u64 v[4:5], s[28:29], 0, v[10:11]
	;; [unrolled: 1-line block ×5, first 2 shown]
	global_load_dword v12, v[2:3], off
	global_load_dword v13, v[4:5], off
	;; [unrolled: 1-line block ×5, first 2 shown]
	ds_bpermute_b32 v23, v22, v32
	v_lshl_add_u64 v[2:3], s[28:29], 0, v[18:19]
	s_waitcnt lgkmcnt(0)
	v_max_f32_e32 v4, v23, v23
	v_max_f32_e32 v6, v32, v4
	v_sub_f32_e32 v1, v1, v6
	v_mul_f32_e32 v4, 0x3fb8aa3b, v1
	v_fma_f32 v5, v1, s27, -v4
	v_rndne_f32_e32 v7, v4
	v_fmac_f32_e32 v5, 0x32a5705f, v1
	v_sub_f32_e32 v4, v4, v7
	v_add_f32_e32 v4, v4, v5
	v_exp_f32_e32 v8, v4
	v_cvt_i32_f32_e32 v7, v7
	v_lshl_add_u64 v[4:5], s[28:29], 0, v[20:21]
	global_load_dword v9, v[2:3], off
	global_load_dword v10, v[4:5], off
	v_sub_f32_e32 v4, v38, v6
	v_mul_f32_e32 v5, 0x3fb8aa3b, v4
	v_ldexp_f32 v2, v8, v7
	v_fma_f32 v7, v4, s27, -v5
	v_rndne_f32_e32 v8, v5
	v_fmac_f32_e32 v7, 0x32a5705f, v4
	v_sub_f32_e32 v5, v5, v8
	v_add_f32_e32 v5, v5, v7
	v_exp_f32_e32 v5, v5
	v_cvt_i32_f32_e32 v7, v8
	s_mov_b32 s28, 0xc2ce8ed0
	v_cmp_ngt_f32_e64 s[22:23], s28, v1
	s_mov_b32 s29, 0x42b17218
	v_mov_b32_e32 v3, 0x7f800000
	v_cndmask_b32_e64 v2, 0, v2, s[22:23]
	v_cmp_nlt_f32_e64 s[22:23], s29, v1
	s_nop 1
	v_cndmask_b32_e64 v1, v3, v2, s[22:23]
	v_ldexp_f32 v2, v5, v7
	v_sub_f32_e32 v5, v39, v6
	v_mul_f32_e32 v7, 0x3fb8aa3b, v5
	v_fma_f32 v8, v5, s27, -v7
	v_rndne_f32_e32 v11, v7
	v_fmac_f32_e32 v8, 0x32a5705f, v5
	v_sub_f32_e32 v7, v7, v11
	v_add_f32_e32 v7, v7, v8
	v_exp_f32_e32 v7, v7
	v_cvt_i32_f32_e32 v8, v11
	v_cndmask_b32_e64 v1, 0, v1, s[20:21]
	v_cmp_ngt_f32_e64 s[20:21], s28, v4
	s_waitcnt vmcnt(9)
	v_mul_f32_e32 v1, v31, v1
	v_cndmask_b32_e64 v2, 0, v2, s[20:21]
	v_cmp_nlt_f32_e64 s[20:21], s29, v4
	v_ldexp_f32 v4, v7, v8
	v_sub_f32_e32 v7, v40, v6
	v_mul_f32_e32 v8, 0x3fb8aa3b, v7
	v_fma_f32 v11, v7, s27, -v8
	v_rndne_f32_e32 v17, v8
	v_fmac_f32_e32 v11, 0x32a5705f, v7
	v_sub_f32_e32 v8, v8, v17
	v_add_f32_e32 v8, v8, v11
	v_exp_f32_e32 v8, v8
	v_cvt_i32_f32_e32 v11, v17
	v_cndmask_b32_e64 v2, v3, v2, s[20:21]
	v_cndmask_b32_e64 v2, 0, v2, s[18:19]
	v_cmp_ngt_f32_e64 s[18:19], s28, v5
	s_waitcnt vmcnt(8)
	v_mul_f32_e32 v2, v33, v2
	v_cndmask_b32_e64 v4, 0, v4, s[18:19]
	v_cmp_nlt_f32_e64 s[18:19], s29, v5
	v_ldexp_f32 v5, v8, v11
	v_sub_f32_e32 v8, v41, v6
	v_mul_f32_e32 v11, 0x3fb8aa3b, v8
	v_fma_f32 v17, v8, s27, -v11
	v_rndne_f32_e32 v18, v11
	v_fmac_f32_e32 v17, 0x32a5705f, v8
	v_sub_f32_e32 v11, v11, v18
	v_add_f32_e32 v11, v11, v17
	v_cndmask_b32_e64 v4, v3, v4, s[18:19]
	v_exp_f32_e32 v11, v11
	v_cvt_i32_f32_e32 v17, v18
	v_cndmask_b32_e64 v4, 0, v4, s[16:17]
	v_cmp_ngt_f32_e64 s[16:17], s28, v7
	s_waitcnt vmcnt(7)
	v_mul_f32_e32 v4, v34, v4
	v_cndmask_b32_e64 v5, 0, v5, s[16:17]
	v_cmp_nlt_f32_e64 s[16:17], s29, v7
	v_ldexp_f32 v7, v11, v17
	v_sub_f32_e32 v11, v42, v6
	v_cndmask_b32_e64 v5, v3, v5, s[16:17]
	v_cndmask_b32_e64 v5, 0, v5, s[14:15]
	s_waitcnt vmcnt(6)
	v_mul_f32_e32 v5, v12, v5
	v_mul_f32_e32 v12, 0x3fb8aa3b, v11
	v_fma_f32 v17, v11, s27, -v12
	v_rndne_f32_e32 v18, v12
	v_fmac_f32_e32 v17, 0x32a5705f, v11
	v_sub_f32_e32 v12, v12, v18
	v_add_f32_e32 v12, v12, v17
	v_exp_f32_e32 v12, v12
	v_cvt_i32_f32_e32 v17, v18
	v_cmp_ngt_f32_e64 s[14:15], s28, v8
	s_nop 1
	v_cndmask_b32_e64 v7, 0, v7, s[14:15]
	v_cmp_nlt_f32_e64 s[14:15], s29, v8
	v_ldexp_f32 v8, v12, v17
	v_sub_f32_e32 v12, v43, v6
	v_cndmask_b32_e64 v7, v3, v7, s[14:15]
	v_cndmask_b32_e64 v7, 0, v7, s[12:13]
	s_waitcnt vmcnt(5)
	v_mul_f32_e32 v7, v13, v7
	v_mul_f32_e32 v13, 0x3fb8aa3b, v12
	v_fma_f32 v17, v12, s27, -v13
	v_rndne_f32_e32 v18, v13
	v_fmac_f32_e32 v17, 0x32a5705f, v12
	v_sub_f32_e32 v13, v13, v18
	v_add_f32_e32 v13, v13, v17
	v_exp_f32_e32 v13, v13
	v_cvt_i32_f32_e32 v17, v18
	v_cmp_ngt_f32_e64 s[12:13], s28, v11
	s_nop 1
	;; [unrolled: 18-line block ×3, first 2 shown]
	v_cndmask_b32_e64 v11, 0, v11, s[10:11]
	v_cmp_nlt_f32_e64 s[10:11], s29, v12
	v_ldexp_f32 v12, v14, v17
	v_sub_f32_e32 v14, v26, v6
	v_mul_f32_e32 v17, 0x3fb8aa3b, v14
	v_fma_f32 v18, v14, s27, -v17
	v_rndne_f32_e32 v19, v17
	v_fmac_f32_e32 v18, 0x32a5705f, v14
	v_sub_f32_e32 v17, v17, v19
	v_add_f32_e32 v17, v17, v18
	v_exp_f32_e32 v17, v17
	v_cvt_i32_f32_e32 v18, v19
	v_cndmask_b32_e64 v11, v3, v11, s[10:11]
	v_cndmask_b32_e64 v11, 0, v11, s[8:9]
	v_cmp_ngt_f32_e64 s[8:9], s28, v13
	v_sub_f32_e32 v6, v27, v6
	s_nop 0
	v_cndmask_b32_e64 v12, 0, v12, s[8:9]
	v_cmp_nlt_f32_e64 s[8:9], s29, v13
	v_ldexp_f32 v13, v17, v18
	v_mul_f32_e32 v17, 0x3fb8aa3b, v6
	v_fma_f32 v18, v6, s27, -v17
	v_rndne_f32_e32 v19, v17
	v_fmac_f32_e32 v18, 0x32a5705f, v6
	v_sub_f32_e32 v17, v17, v19
	v_add_f32_e32 v17, v17, v18
	v_cndmask_b32_e64 v12, v3, v12, s[8:9]
	v_exp_f32_e32 v17, v17
	v_cvt_i32_f32_e32 v18, v19
	v_cndmask_b32_e64 v12, 0, v12, s[6:7]
	v_cmp_ngt_f32_e64 s[6:7], s28, v14
	s_nop 1
	v_cndmask_b32_e64 v13, 0, v13, s[6:7]
	v_cmp_nlt_f32_e64 s[6:7], s29, v14
	v_ldexp_f32 v14, v17, v18
	s_nop 0
	v_cndmask_b32_e64 v13, v3, v13, s[6:7]
	v_cndmask_b32_e64 v13, 0, v13, s[4:5]
	v_cmp_ngt_f32_e64 s[4:5], s28, v6
	s_nop 1
	v_cndmask_b32_e64 v14, 0, v14, s[4:5]
	v_cmp_nlt_f32_e64 s[4:5], s29, v6
	v_add_f32_e32 v6, v1, v2
	v_add_f32_e32 v6, v6, v4
	;; [unrolled: 1-line block ×5, first 2 shown]
	s_waitcnt vmcnt(3)
	v_fmac_f32_e32 v6, v15, v11
	v_cndmask_b32_e64 v3, v3, v14, s[4:5]
	s_waitcnt vmcnt(2)
	v_fmac_f32_e32 v6, v16, v12
	v_cndmask_b32_e32 v3, 0, v3, vcc
	s_waitcnt vmcnt(1)
	v_fmac_f32_e32 v6, v9, v13
	s_waitcnt vmcnt(0)
	v_fmac_f32_e32 v6, v10, v3
	ds_bpermute_b32 v14, v24, v6
	v_mul_f32_e32 v9, v9, v13
	v_mul_f32_e32 v3, v10, v3
	v_lshlrev_b32_e32 v10, 2, v0
	ds_write2st64_b32 v10, v1, v2 offset1:1
	ds_write2st64_b32 v10, v4, v5 offset0:2 offset1:3
	s_waitcnt lgkmcnt(2)
	v_add_f32_e32 v6, v6, v14
	ds_bpermute_b32 v14, v25, v6
	v_cmp_eq_u32_e32 vcc, 0, v0
	v_mul_f32_e32 v11, v15, v11
	v_mul_f32_e32 v12, v16, v12
	ds_write2st64_b32 v10, v7, v8 offset0:4 offset1:5
	ds_write2st64_b32 v10, v11, v12 offset0:6 offset1:7
	;; [unrolled: 1-line block ×3, first 2 shown]
	s_waitcnt lgkmcnt(3)
	v_add_f32_e32 v6, v6, v14
	ds_bpermute_b32 v14, v30, v6
	s_waitcnt lgkmcnt(0)
	v_add_f32_e32 v6, v6, v14
	ds_bpermute_b32 v14, v29, v6
	;; [unrolled: 3-line block ×4, first 2 shown]
	s_and_saveexec_b64 s[4:5], vcc
	s_cbranch_execz .LBB469_8
; %bb.7:
	s_waitcnt lgkmcnt(0)
	v_add_f32_e32 v1, v1, v2
	v_mov_b32_e32 v2, 0
	ds_write_b32 v2, v1 offset:2560
.LBB469_8:
	s_or_b64 exec, exec, s[4:5]
	v_mov_b32_e32 v1, s26
.LBB469_9:
	s_or_b64 exec, exec, s[42:43]
	s_lshl_b32 s4, s44, 6
	s_mov_b32 s5, 0
	s_lshl_b64 s[4:5], s[4:5], 1
	s_add_u32 s4, s24, s4
	s_addc_u32 s5, s25, s5
	s_lshl_b32 s10, s33, 6
	s_sub_i32 s11, s10, 64
	s_waitcnt lgkmcnt(0)
	v_lshlrev_b32_e32 v2, 6, v1
	v_mov_b32_e32 v3, 0
	s_cmp_lt_i32 s48, 1
	v_lshl_add_u64 v[4:5], v[2:3], 1, s[4:5]
	s_cselect_b32 s4, s11, 0
	v_lshlrev_b32_e32 v2, 1, v0
	s_ashr_i32 s5, s4, 31
	v_lshl_add_u64 v[0:1], v[4:5], 0, v[2:3]
	s_cmpk_lt_i32 s48, 0x101
	v_lshl_add_u64 v[4:5], s[4:5], 1, v[0:1]
	s_cselect_b32 s4, s11, 64
	s_ashr_i32 s5, s4, 31
	s_cmpk_lt_i32 s48, 0x201
	v_lshl_add_u64 v[6:7], s[4:5], 1, v[0:1]
	s_cselect_b32 s4, s11, 0x80
	s_ashr_i32 s5, s4, 31
	;; [unrolled: 4-line block ×8, first 2 shown]
	s_cmpk_lt_i32 s48, 0x901
	global_load_ushort v23, v[4:5], off
	global_load_ushort v22, v[6:7], off
	;; [unrolled: 1-line block ×8, first 2 shown]
	v_lshl_add_u64 v[4:5], s[4:5], 1, v[0:1]
	s_cselect_b32 s4, s11, 0x240
	s_ashr_i32 s5, s4, 31
	s_cmpk_lt_i32 s48, 0xa01
	v_lshl_add_u64 v[6:7], s[4:5], 1, v[0:1]
	s_cselect_b32 s4, s11, 0x280
	s_ashr_i32 s5, s4, 31
	s_cmpk_lt_i32 s48, 0xb01
	;; [unrolled: 4-line block ×6, first 2 shown]
	v_lshl_add_u64 v[32:33], s[4:5], 1, v[0:1]
	s_cselect_b32 s4, s11, 0x3c0
	s_ashr_i32 s5, s4, 31
	v_lshl_add_u64 v[34:35], s[4:5], 1, v[0:1]
	global_load_ushort v30, v[4:5], off
	global_load_ushort v31, v[6:7], off
	;; [unrolled: 1-line block ×8, first 2 shown]
	s_cmpk_gt_i32 s48, 0x1000
	s_cselect_b64 s[8:9], -1, 0
	s_cmpk_lt_i32 s48, 0x1001
	v_mov_b32_e32 v40, 0
	v_mov_b32_e32 v41, 0
	;; [unrolled: 1-line block ×48, first 2 shown]
	s_waitcnt lgkmcnt(0)
	; wave barrier
	s_cbranch_scc1 .LBB469_12
; %bb.10:
	s_cmpk_lt_u32 s48, 0x1101
	s_cselect_b32 s4, s11, 0x440
	s_ashr_i32 s5, s4, 31
	s_cmpk_lt_u32 s48, 0x1201
	v_lshl_add_u64 v[4:5], s[4:5], 1, v[0:1]
	s_cselect_b32 s4, s11, 0x480
	s_ashr_i32 s5, s4, 31
	s_cmpk_lt_u32 s48, 0x1301
	v_lshl_add_u64 v[6:7], s[4:5], 1, v[0:1]
	;; [unrolled: 4-line block ×7, first 2 shown]
	s_cselect_b32 s4, s11, 0x600
	s_ashr_i32 s5, s4, 31
	s_cmpk_lt_u32 s48, 0x1901
	global_load_ushort v39, v[0:1], off offset:2048
	global_load_ushort v38, v[4:5], off
	global_load_ushort v37, v[6:7], off
	;; [unrolled: 1-line block ×7, first 2 shown]
	v_lshl_add_u64 v[4:5], s[4:5], 1, v[0:1]
	s_cselect_b32 s4, s11, 0x640
	s_ashr_i32 s5, s4, 31
	s_cmpk_lt_u32 s48, 0x1a01
	v_lshl_add_u64 v[6:7], s[4:5], 1, v[0:1]
	s_cselect_b32 s4, s11, 0x680
	s_ashr_i32 s5, s4, 31
	s_cmpk_lt_u32 s48, 0x1b01
	;; [unrolled: 4-line block ×6, first 2 shown]
	v_lshl_add_u64 v[48:49], s[4:5], 1, v[0:1]
	s_cselect_b32 s4, s11, 0x7c0
	s_ashr_i32 s5, s4, 31
	v_lshl_add_u64 v[50:51], s[4:5], 1, v[0:1]
	global_load_ushort v47, v[4:5], off
	global_load_ushort v46, v[6:7], off
	;; [unrolled: 1-line block ×8, first 2 shown]
	s_cmpk_lt_u32 s48, 0x2001
	v_mov_b32_e32 v67, 0
	v_mov_b32_e32 v65, 0
	;; [unrolled: 1-line block ×32, first 2 shown]
	s_cbranch_scc1 .LBB469_12
; %bb.11:
	s_cmpk_lt_u32 s48, 0x2101
	s_cselect_b32 s4, s11, 0x840
	s_ashr_i32 s5, s4, 31
	s_cmpk_lt_u32 s48, 0x2201
	v_lshl_add_u64 v[4:5], s[4:5], 1, v[0:1]
	s_cselect_b32 s4, s11, 0x880
	s_ashr_i32 s5, s4, 31
	s_cmpk_lt_u32 s48, 0x2301
	v_lshl_add_u64 v[6:7], s[4:5], 1, v[0:1]
	;; [unrolled: 4-line block ×29, first 2 shown]
	s_cselect_b32 s4, s11, 0xf80
	s_ashr_i32 s5, s4, 31
	v_lshl_add_u64 v[94:95], s[4:5], 1, v[0:1]
	s_movk_i32 s4, 0x1000
	s_cmpk_lt_u32 s48, 0x3f01
	v_add_co_u32_e32 v96, vcc, s4, v0
	s_cselect_b32 s4, s11, 0xfc0
	s_nop 0
	v_addc_co_u32_e32 v97, vcc, 0, v1, vcc
	s_ashr_i32 s5, s4, 31
	global_load_ushort v98, v[96:97], off
	global_load_ushort v99, v[4:5], off
	;; [unrolled: 1-line block ×15, first 2 shown]
                                        ; kill: killed $vgpr52_vgpr53
                                        ; kill: killed $vgpr4_vgpr5
                                        ; kill: killed $vgpr58_vgpr59
                                        ; kill: killed $vgpr10_vgpr11
                                        ; kill: killed $vgpr48_vgpr49
                                        ; kill: killed $vgpr54_vgpr55
                                        ; kill: killed $vgpr6_vgpr7
                                        ; kill: killed $vgpr60_vgpr61
                                        ; kill: killed $vgpr12_vgpr13
                                        ; kill: killed $vgpr50_vgpr51
                                        ; kill: killed $vgpr56_vgpr57
                                        ; kill: killed $vgpr8_vgpr9
                                        ; kill: killed $vgpr62_vgpr63
                                        ; kill: killed $vgpr14_vgpr15
                                        ; kill: killed $vgpr96 killed $vgpr97
	global_load_ushort v6, v[64:65], off
	global_load_ushort v7, v[66:67], off
	;; [unrolled: 1-line block ×15, first 2 shown]
                                        ; kill: killed $vgpr84_vgpr85
                                        ; kill: killed $vgpr68_vgpr69
                                        ; kill: killed $vgpr90_vgpr91
                                        ; kill: killed $vgpr74_vgpr75
                                        ; kill: killed $vgpr80_vgpr81
                                        ; kill: killed $vgpr64_vgpr65
                                        ; kill: killed $vgpr70_vgpr71
                                        ; kill: killed $vgpr92_vgpr93
                                        ; kill: killed $vgpr76_vgpr77
                                        ; kill: killed $vgpr82_vgpr83
                                        ; kill: killed $vgpr66_vgpr67
                                        ; kill: killed $vgpr88_vgpr89
                                        ; kill: killed $vgpr72_vgpr73
                                        ; kill: killed $vgpr94_vgpr95
                                        ; kill: killed $vgpr78_vgpr79
	global_load_ushort v68, v[86:87], off
	v_lshl_add_u64 v[4:5], s[4:5], 1, v[0:1]
	global_load_ushort v5, v[4:5], off
	s_waitcnt vmcnt(31)
	v_lshlrev_b32_e32 v67, 16, v98
	s_waitcnt vmcnt(30)
	v_lshlrev_b32_e32 v65, 16, v99
	s_waitcnt vmcnt(29)
	v_lshlrev_b32_e32 v66, 16, v100
	s_waitcnt vmcnt(28)
	v_lshlrev_b32_e32 v63, 16, v101
	s_waitcnt vmcnt(27)
	v_lshlrev_b32_e32 v64, 16, v102
	s_waitcnt vmcnt(26)
	v_lshlrev_b32_e32 v61, 16, v103
	s_waitcnt vmcnt(25)
	v_lshlrev_b32_e32 v62, 16, v104
	s_waitcnt vmcnt(24)
	v_lshlrev_b32_e32 v59, 16, v105
	s_waitcnt vmcnt(23)
	v_lshlrev_b32_e32 v60, 16, v106
	s_waitcnt vmcnt(22)
	v_lshlrev_b32_e32 v57, 16, v107
	s_waitcnt vmcnt(21)
	v_lshlrev_b32_e32 v58, 16, v108
	s_waitcnt vmcnt(20)
	v_lshlrev_b32_e32 v55, 16, v109
	s_waitcnt vmcnt(19)
	v_lshlrev_b32_e32 v56, 16, v110
	s_waitcnt vmcnt(18)
	v_lshlrev_b32_e32 v53, 16, v111
	s_waitcnt vmcnt(17)
	v_lshlrev_b32_e32 v54, 16, v112
	s_waitcnt vmcnt(16)
	v_lshlrev_b32_e32 v52, 16, v6
	s_waitcnt vmcnt(15)
	v_lshlrev_b32_e32 v51, 16, v7
	s_waitcnt vmcnt(14)
	v_lshlrev_b32_e32 v49, 16, v8
	s_waitcnt vmcnt(13)
	v_lshlrev_b32_e32 v50, 16, v9
	s_waitcnt vmcnt(12)
	v_lshlrev_b32_e32 v48, 16, v10
	s_waitcnt vmcnt(11)
	v_lshlrev_b32_e32 v10, 16, v11
	s_waitcnt vmcnt(10)
	v_lshlrev_b32_e32 v13, 16, v13
	s_waitcnt vmcnt(9)
	v_lshlrev_b32_e32 v12, 16, v12
	s_waitcnt vmcnt(8)
	v_lshlrev_b32_e32 v15, 16, v15
	s_waitcnt vmcnt(7)
	v_lshlrev_b32_e32 v14, 16, v14
	s_waitcnt vmcnt(6)
	v_lshlrev_b32_e32 v11, 16, v96
	s_waitcnt vmcnt(5)
	v_lshlrev_b32_e32 v4, 16, v97
	s_waitcnt vmcnt(4)
	v_lshlrev_b32_e32 v7, 16, v113
	s_waitcnt vmcnt(3)
	v_lshlrev_b32_e32 v6, 16, v114
	s_waitcnt vmcnt(2)
	v_lshlrev_b32_e32 v9, 16, v115
	s_waitcnt vmcnt(1)
	v_lshlrev_b32_e32 v8, 16, v68
	s_waitcnt vmcnt(0)
	v_lshlrev_b32_e32 v5, 16, v5
.LBB469_12:
	s_load_dwordx2 s[4:5], s[0:1], 0x0
	s_load_dwordx2 s[6:7], s[0:1], 0x38
	ds_read_b128 v[68:71], v3
	s_waitcnt vmcnt(15)
	v_lshlrev_b32_e32 v23, 16, v23
	ds_read_b128 v[72:75], v3 offset:16
	ds_read_b128 v[76:79], v3 offset:32
	;; [unrolled: 1-line block ×3, first 2 shown]
	s_waitcnt vmcnt(14)
	v_lshlrev_b32_e32 v22, 16, v22
	s_waitcnt vmcnt(13)
	v_lshlrev_b32_e32 v21, 16, v21
	s_waitcnt lgkmcnt(0)
	v_fma_f32 v23, v68, v23, 0
	v_fmac_f32_e32 v23, v69, v22
	v_fmac_f32_e32 v23, v70, v21
	s_waitcnt vmcnt(12)
	v_lshlrev_b32_e32 v20, 16, v20
	s_waitcnt vmcnt(10)
	v_lshlrev_b32_e32 v19, 16, v19
	v_lshlrev_b32_e32 v18, 16, v18
	v_fmac_f32_e32 v23, v71, v20
	v_pk_mul_f32 v[18:19], v[72:73], v[18:19]
	s_waitcnt vmcnt(8)
	v_lshlrev_b32_e32 v17, 16, v17
	v_add_f32_e32 v18, v23, v18
	v_lshlrev_b32_e32 v16, 16, v16
	v_add_f32_e32 v18, v18, v19
	v_pk_mul_f32 v[16:17], v[74:75], v[16:17]
	s_and_b64 vcc, exec, s[8:9]
	v_add_f32_e32 v16, v18, v16
	v_add_f32_e32 v18, v16, v17
	s_waitcnt vmcnt(6)
	v_lshlrev_b32_e32 v17, 16, v31
	v_lshlrev_b32_e32 v16, 16, v30
	v_pk_mul_f32 v[16:17], v[76:77], v[16:17]
	s_nop 0
	v_add_f32_e32 v16, v18, v16
	v_add_f32_e32 v18, v16, v17
	s_waitcnt vmcnt(4)
	v_lshlrev_b32_e32 v17, 16, v29
	v_lshlrev_b32_e32 v16, 16, v28
	v_pk_mul_f32 v[16:17], v[78:79], v[16:17]
	s_nop 0
	;; [unrolled: 7-line block ×4, first 2 shown]
	v_add_f32_e32 v16, v18, v16
	v_add_f32_e32 v110, v16, v17
	s_cbranch_vccz .LBB469_15
; %bb.13:
	ds_read_b128 v[16:19], v3 offset:64
	v_lshlrev_b32_e32 v39, 16, v39
	ds_read_b128 v[20:23], v3 offset:80
	ds_read_b128 v[24:27], v3 offset:96
	;; [unrolled: 1-line block ×3, first 2 shown]
	v_lshlrev_b32_e32 v3, 16, v38
	s_cmpk_lt_u32 s48, 0x2001
	s_waitcnt lgkmcnt(3)
	v_fmac_f32_e32 v110, v16, v39
	v_fmac_f32_e32 v110, v17, v3
	v_lshlrev_b32_e32 v3, 16, v37
	v_fmac_f32_e32 v110, v18, v3
	v_lshlrev_b32_e32 v3, 16, v36
	v_fmac_f32_e32 v110, v19, v3
	v_lshlrev_b32_e32 v3, 16, v35
	s_waitcnt lgkmcnt(2)
	v_fmac_f32_e32 v110, v20, v3
	v_lshlrev_b32_e32 v3, 16, v34
	v_fmac_f32_e32 v110, v21, v3
	v_lshlrev_b32_e32 v3, 16, v33
	v_fmac_f32_e32 v110, v22, v3
	v_lshlrev_b32_e32 v3, 16, v32
	v_fmac_f32_e32 v110, v23, v3
	v_lshlrev_b32_e32 v3, 16, v47
	s_waitcnt lgkmcnt(1)
	v_fmac_f32_e32 v110, v24, v3
	v_lshlrev_b32_e32 v3, 16, v46
	;; [unrolled: 9-line block ×3, first 2 shown]
	v_fmac_f32_e32 v110, v29, v3
	v_lshlrev_b32_e32 v3, 16, v41
	v_fmac_f32_e32 v110, v30, v3
	v_lshlrev_b32_e32 v3, 16, v40
	v_fmac_f32_e32 v110, v31, v3
	s_cbranch_scc1 .LBB469_15
; %bb.14:
	v_mov_b32_e32 v3, 0
	ds_read_b128 v[16:19], v3 offset:128
	ds_read_b128 v[20:23], v3 offset:144
	;; [unrolled: 1-line block ×4, first 2 shown]
	s_waitcnt lgkmcnt(3)
	v_fmac_f32_e32 v110, v16, v67
	v_fmac_f32_e32 v110, v17, v65
	v_fmac_f32_e32 v110, v18, v66
	v_fmac_f32_e32 v110, v19, v63
	s_waitcnt lgkmcnt(2)
	v_fmac_f32_e32 v110, v20, v64
	v_fmac_f32_e32 v110, v21, v61
	v_fmac_f32_e32 v110, v22, v62
	v_fmac_f32_e32 v110, v23, v59
	;; [unrolled: 5-line block ×3, first 2 shown]
	ds_read_b128 v[16:19], v3 offset:192
	ds_read_b128 v[20:23], v3 offset:208
	s_waitcnt lgkmcnt(2)
	v_fmac_f32_e32 v110, v28, v56
	v_fmac_f32_e32 v110, v29, v53
	;; [unrolled: 1-line block ×4, first 2 shown]
	s_waitcnt lgkmcnt(1)
	v_fmac_f32_e32 v110, v16, v51
	v_fmac_f32_e32 v110, v17, v49
	;; [unrolled: 1-line block ×4, first 2 shown]
	s_waitcnt lgkmcnt(0)
	v_pk_mul_f32 v[14:15], v[20:21], v[14:15]
	v_pk_mul_f32 v[12:13], v[22:23], v[12:13]
	v_add_f32_e32 v14, v110, v14
	v_add_f32_e32 v18, v14, v15
	ds_read_b128 v[14:17], v3 offset:224
	v_add_f32_e32 v12, v18, v12
	ds_read_b128 v[18:21], v3 offset:240
	v_add_f32_e32 v12, v12, v13
	s_waitcnt lgkmcnt(1)
	v_pk_mul_f32 v[10:11], v[14:15], v[10:11]
	s_nop 0
	v_add_f32_e32 v3, v12, v10
	v_add_f32_e32 v3, v3, v11
	v_pk_mul_f32 v[8:9], v[16:17], v[8:9]
	s_waitcnt lgkmcnt(0)
	v_pk_mul_f32 v[6:7], v[18:19], v[6:7]
	v_add_f32_e32 v3, v3, v8
	v_add_f32_e32 v3, v3, v9
	;; [unrolled: 1-line block ×4, first 2 shown]
	v_pk_mul_f32 v[4:5], v[20:21], v[4:5]
	s_nop 0
	v_add_f32_e32 v3, v3, v4
	v_add_f32_e32 v110, v3, v5
.LBB469_15:
	s_movk_i32 s0, 0x1fc0
	s_movk_i32 s1, 0x100
	s_mov_b32 s8, 64
	s_branch .LBB469_17
.LBB469_16:                             ;   in Loop: Header=BB469_17 Depth=1
	s_addk_i32 s0, 0x1000
	s_addk_i32 s1, 0x100
	s_add_i32 s8, s8, 64
	s_cmpk_eq_u32 s0, 0xafc0
	s_cbranch_scc1 .LBB469_19
.LBB469_17:                             ; =>This Inner Loop Header: Depth=1
	s_cmp_le_i32 s33, s8
	s_cbranch_scc1 .LBB469_16
; %bb.18:                               ;   in Loop: Header=BB469_17 Depth=1
	s_add_i32 s9, s0, 0xfffff040
	s_cmp_lt_i32 s9, s10
	s_cselect_b32 s12, s9, s11
	s_ashr_i32 s13, s12, 31
	s_add_i32 s9, s0, 0xfffff080
	s_cmp_lt_i32 s9, s10
	v_lshl_add_u64 v[44:45], s[12:13], 1, v[0:1]
	s_cselect_b32 s12, s9, s11
	s_ashr_i32 s13, s12, 31
	s_add_i32 s9, s0, 0xfffff0c0
	s_cmp_lt_i32 s9, s10
	v_lshl_add_u64 v[4:5], s[12:13], 1, v[0:1]
	;; [unrolled: 5-line block ×14, first 2 shown]
	s_cselect_b32 s12, s9, s11
	s_ashr_i32 s13, s12, 31
	s_add_i32 s9, s0, 0xfffff400
	s_cmp_lt_i32 s9, s10
	global_load_ushort v3, v[44:45], off
	global_load_ushort v120, v[46:47], off
	v_lshl_add_u64 v[60:61], s[12:13], 1, v[0:1]
	s_cselect_b32 s12, s9, s11
	global_load_ushort v111, v[4:5], off
	global_load_ushort v112, v[6:7], off
	;; [unrolled: 1-line block ×7, first 2 shown]
	s_ashr_i32 s13, s12, 31
	s_add_i32 s9, s0, 0xfffff440
	s_cmp_lt_i32 s9, s10
	v_lshl_add_u64 v[66:67], s[12:13], 1, v[0:1]
	s_cselect_b32 s12, s9, s11
	s_ashr_i32 s13, s12, 31
	s_add_i32 s9, s0, 0xfffff480
	s_cmp_lt_i32 s9, s10
	v_lshl_add_u64 v[62:63], s[12:13], 1, v[0:1]
	s_cselect_b32 s12, s9, s11
	;; [unrolled: 5-line block ×14, first 2 shown]
	s_ashr_i32 s13, s12, 31
	s_add_i32 s9, s0, 0xfffff7c0
	global_load_ushort v118, v[28:29], off
	global_load_ushort v119, v[30:31], off
	s_cmp_lt_i32 s9, s10
	v_lshl_add_u64 v[26:27], s[12:13], 1, v[0:1]
	s_cselect_b32 s12, s9, s11
	s_ashr_i32 s13, s12, 31
	s_add_i32 s9, s0, 0xfffff800
	s_cmp_lt_i32 s9, s10
	v_lshl_add_u64 v[52:53], s[12:13], 1, v[0:1]
	s_cselect_b32 s12, s9, s11
	global_load_ushort v121, v[54:55], off
	global_load_ushort v122, v[56:57], off
	s_ashr_i32 s13, s12, 31
	global_load_ushort v58, v[58:59], off
	s_add_i32 s9, s0, 0xfffff840
	s_cmp_lt_i32 s9, s10
	v_lshl_add_u64 v[64:65], s[12:13], 1, v[0:1]
	s_cselect_b32 s12, s9, s11
	global_load_ushort v59, v[60:61], off
	s_ashr_i32 s13, s12, 31
	s_add_i32 s9, s0, 0xfffff880
	global_load_ushort v60, v[66:67], off
	global_load_ushort v61, v[62:63], off
	s_cmp_lt_i32 s9, s10
	v_lshl_add_u64 v[68:69], s[12:13], 1, v[0:1]
	s_cselect_b32 s12, s9, s11
	s_ashr_i32 s13, s12, 31
	s_add_i32 s9, s0, 0xfffff8c0
	s_cmp_lt_i32 s9, s10
	v_lshl_add_u64 v[70:71], s[12:13], 1, v[0:1]
	s_cselect_b32 s12, s9, s11
	s_ashr_i32 s13, s12, 31
	s_add_i32 s9, s0, 0xfffff900
	;; [unrolled: 5-line block ×3, first 2 shown]
	s_cmp_lt_i32 s9, s10
	v_lshl_add_u64 v[74:75], s[12:13], 1, v[0:1]
	s_cselect_b32 s12, s9, s11
	global_load_ushort v62, v[22:23], off
	s_ashr_i32 s13, s12, 31
	s_add_i32 s9, s0, 0xfffff980
	global_load_ushort v66, v[32:33], off
	global_load_ushort v123, v[34:35], off
	;; [unrolled: 1-line block ×4, first 2 shown]
	s_cmp_lt_i32 s9, s10
	v_lshl_add_u64 v[76:77], s[12:13], 1, v[0:1]
	s_cselect_b32 s12, s9, s11
	global_load_ushort v67, v[48:49], off
	s_ashr_i32 s13, s12, 31
	s_add_i32 s9, s0, 0xfffff9c0
	s_cmp_lt_i32 s9, s10
	v_lshl_add_u64 v[78:79], s[12:13], 1, v[0:1]
	s_cselect_b32 s12, s9, s11
	s_ashr_i32 s13, s12, 31
	s_add_i32 s9, s0, 0xfffffa00
	s_cmp_lt_i32 s9, s10
	v_lshl_add_u64 v[80:81], s[12:13], 1, v[0:1]
	s_cselect_b32 s12, s9, s11
	s_ashr_i32 s13, s12, 31
	s_add_i32 s9, s0, 0xfffffa40
	s_cmp_lt_i32 s9, s10
	v_mov_b32_e32 v124, s1
	v_lshl_add_u64 v[82:83], s[12:13], 1, v[0:1]
	s_cselect_b32 s12, s9, s11
	ds_read_b128 v[30:33], v124
	ds_read_b128 v[34:37], v124 offset:16
	global_load_ushort v50, v[50:51], off
	s_ashr_i32 s13, s12, 31
	s_add_i32 s9, s0, 0xfffffa80
	s_cmp_lt_i32 s9, s10
	v_lshl_add_u64 v[84:85], s[12:13], 1, v[0:1]
	s_cselect_b32 s12, s9, s11
	ds_read_b128 v[46:49], v124 offset:32
	ds_read_b128 v[54:57], v124 offset:48
	global_load_ushort v38, v[38:39], off
	s_ashr_i32 s13, s12, 31
	s_waitcnt vmcnt(24)
	v_lshlrev_b32_e32 v3, 16, v3
	v_lshl_add_u64 v[86:87], s[12:13], 1, v[0:1]
	global_load_ushort v51, v[86:87], off
	s_waitcnt lgkmcnt(3)
	v_fmac_f32_e32 v110, v30, v3
	s_waitcnt vmcnt(23)
	v_lshlrev_b32_e32 v3, 16, v111
	v_fmac_f32_e32 v110, v31, v3
	s_waitcnt vmcnt(22)
	v_lshlrev_b32_e32 v3, 16, v112
	global_load_ushort v39, v[18:19], off
	v_fmac_f32_e32 v110, v32, v3
	s_waitcnt vmcnt(22)
	v_lshlrev_b32_e32 v3, 16, v113
	v_fmac_f32_e32 v110, v33, v3
	s_waitcnt vmcnt(21)
	v_lshlrev_b32_e32 v3, 16, v114
	s_waitcnt lgkmcnt(2)
	v_fmac_f32_e32 v110, v34, v3
	global_load_ushort v3, v[20:21], off
	global_load_ushort v34, v[40:41], off
	s_add_i32 s9, s0, 0xfffffac0
	global_load_ushort v26, v[26:27], off
	s_waitcnt vmcnt(23)
	v_lshlrev_b32_e32 v18, 16, v115
	v_fmac_f32_e32 v110, v35, v18
	global_load_ushort v35, v[42:43], off
	global_load_ushort v27, v[52:53], off
	s_cmp_lt_i32 s9, s10
	s_cselect_b32 s12, s9, s11
	s_ashr_i32 s13, s12, 31
	s_add_i32 s9, s0, 0xfffffb00
	s_cmp_lt_i32 s9, s10
	v_lshl_add_u64 v[88:89], s[12:13], 1, v[0:1]
	s_cselect_b32 s12, s9, s11
	s_ashr_i32 s13, s12, 31
	s_add_i32 s9, s0, 0xfffffb40
	s_cmp_lt_i32 s9, s10
	v_lshl_add_u64 v[90:91], s[12:13], 1, v[0:1]
	;; [unrolled: 5-line block ×6, first 2 shown]
	s_cselect_b32 s12, s9, s11
	s_ashr_i32 s13, s12, 31
	s_add_i32 s9, s0, 0xfffffc80
	s_waitcnt vmcnt(24)
	v_lshlrev_b32_e32 v18, 16, v116
	s_cmp_lt_i32 s9, s10
	v_fmac_f32_e32 v110, v36, v18
	global_load_ushort v36, v[64:65], off
	s_waitcnt vmcnt(24)
	v_lshlrev_b32_e32 v18, 16, v117
	v_lshl_add_u64 v[102:103], s[12:13], 1, v[0:1]
	s_cselect_b32 s12, s9, s11
	v_fmac_f32_e32 v110, v37, v18
	global_load_ushort v37, v[68:69], off
	global_load_ushort v40, v[70:71], off
	;; [unrolled: 1-line block ×3, first 2 shown]
	s_waitcnt vmcnt(26)
	v_lshlrev_b32_e32 v18, 16, v118
	s_ashr_i32 s13, s12, 31
	s_add_i32 s9, s0, 0xfffffcc0
	s_waitcnt lgkmcnt(1)
	v_fmac_f32_e32 v110, v46, v18
	global_load_ushort v46, v[78:79], off
	s_waitcnt vmcnt(26)
	v_lshlrev_b32_e32 v18, 16, v119
	s_cmp_lt_i32 s9, s10
	v_fmac_f32_e32 v110, v47, v18
	v_lshlrev_b32_e32 v18, 16, v120
	v_lshl_add_u64 v[104:105], s[12:13], 1, v[0:1]
	s_cselect_b32 s12, s9, s11
	v_fmac_f32_e32 v110, v48, v18
	global_load_ushort v48, v[82:83], off
	global_load_ushort v42, v[74:75], off
	;; [unrolled: 1-line block ×4, first 2 shown]
	s_ashr_i32 s13, s12, 31
	s_add_i32 s9, s0, 0xfffffd00
	s_cmp_lt_i32 s9, s10
	s_waitcnt vmcnt(29)
	v_lshlrev_b32_e32 v18, 16, v121
	v_lshl_add_u64 v[106:107], s[12:13], 1, v[0:1]
	s_cselect_b32 s12, s9, s11
	v_fmac_f32_e32 v110, v49, v18
	global_load_ushort v49, v[84:85], off
	global_load_ushort v53, v[88:89], off
	s_waitcnt vmcnt(30)
	v_lshlrev_b32_e32 v18, 16, v122
	s_ashr_i32 s13, s12, 31
	s_add_i32 s9, s0, 0xfffffd40
	s_waitcnt lgkmcnt(0)
	v_fmac_f32_e32 v110, v54, v18
	global_load_ushort v54, v[90:91], off
	s_waitcnt vmcnt(30)
	v_lshlrev_b32_e32 v18, 16, v58
	s_cmp_lt_i32 s9, s10
	v_fmac_f32_e32 v110, v55, v18
	s_waitcnt vmcnt(29)
	v_lshlrev_b32_e32 v18, 16, v59
	v_lshl_add_u64 v[98:99], s[12:13], 1, v[0:1]
	s_cselect_b32 s12, s9, s11
	v_fmac_f32_e32 v110, v56, v18
	s_waitcnt vmcnt(28)
	v_lshlrev_b32_e32 v18, 16, v60
	s_ashr_i32 s13, s12, 31
	s_add_i32 s9, s0, 0xfffffd80
	v_fmac_f32_e32 v110, v57, v18
	ds_read_b128 v[18:21], v124 offset:64
	ds_read_b128 v[30:33], v124 offset:80
	s_cmp_lt_i32 s9, s10
	v_lshl_add_u64 v[44:45], s[12:13], 1, v[0:1]
	s_cselect_b32 s12, s9, s11
	s_ashr_i32 s13, s12, 31
	s_add_i32 s9, s0, 0xfffffdc0
	s_cmp_lt_i32 s9, s10
	s_waitcnt vmcnt(27)
	v_lshlrev_b32_e32 v52, 16, v61
	v_lshl_add_u64 v[108:109], s[12:13], 1, v[0:1]
	s_cselect_b32 s12, s9, s11
	s_waitcnt lgkmcnt(1)
	v_fmac_f32_e32 v110, v18, v52
	global_load_ushort v52, v[92:93], off
	global_load_ushort v55, v[94:95], off
	s_ashr_i32 s13, s12, 31
	s_add_i32 s9, s0, 0xfffffe00
	s_cmp_lt_i32 s9, s10
	global_load_ushort v56, v[96:97], off
	global_load_ushort v57, v[100:101], off
	global_load_ushort v58, v[102:103], off
	global_load_ushort v59, v[104:105], off
	v_lshl_add_u64 v[4:5], s[12:13], 1, v[0:1]
	s_cselect_b32 s12, s9, s11
	s_ashr_i32 s13, s12, 31
	s_add_i32 s9, s0, 0xfffffe40
	s_cmp_lt_i32 s9, s10
	s_waitcnt vmcnt(32)
	v_lshlrev_b32_e32 v18, 16, v62
	v_lshl_add_u64 v[6:7], s[12:13], 1, v[0:1]
	s_cselect_b32 s12, s9, s11
	v_fmac_f32_e32 v110, v19, v18
	s_waitcnt vmcnt(28)
	v_lshlrev_b32_e32 v18, 16, v63
	s_ashr_i32 s13, s12, 31
	s_add_i32 s9, s0, 0xfffffe80
	v_fmac_f32_e32 v110, v20, v18
	v_lshlrev_b32_e32 v18, 16, v66
	s_cmp_lt_i32 s9, s10
	v_fmac_f32_e32 v110, v21, v18
	s_waitcnt vmcnt(27)
	v_lshlrev_b32_e32 v18, 16, v67
	v_lshl_add_u64 v[8:9], s[12:13], 1, v[0:1]
	s_cselect_b32 s12, s9, s11
	s_waitcnt lgkmcnt(0)
	v_fmac_f32_e32 v110, v30, v18
	global_load_ushort v30, v[106:107], off
	s_ashr_i32 s13, s12, 31
	s_add_i32 s9, s0, 0xfffffec0
	s_cmp_lt_i32 s9, s10
	global_load_ushort v60, v[98:99], off
	global_load_ushort v61, v[44:45], off
	;; [unrolled: 1-line block ×3, first 2 shown]
	v_lshl_add_u64 v[12:13], s[12:13], 1, v[0:1]
	s_cselect_b32 s12, s9, s11
	v_lshlrev_b32_e32 v18, 16, v123
	s_ashr_i32 s13, s12, 31
	s_add_i32 s9, s0, 0xffffff00
	v_fmac_f32_e32 v110, v31, v18
	v_lshlrev_b32_e32 v18, 16, v125
	s_cmp_lt_i32 s9, s10
	v_fmac_f32_e32 v110, v32, v18
	global_load_ushort v31, v[4:5], off
	global_load_ushort v32, v[6:7], off
	v_lshl_add_u64 v[10:11], s[12:13], 1, v[0:1]
	s_cselect_b32 s12, s9, s11
	s_ashr_i32 s13, s12, 31
	s_add_i32 s9, s0, 0xffffff40
	s_cmp_lt_i32 s9, s10
	s_waitcnt vmcnt(32)
	v_lshlrev_b32_e32 v4, 16, v50
	v_lshl_add_u64 v[16:17], s[12:13], 1, v[0:1]
	s_cselect_b32 s12, s9, s11
	v_fmac_f32_e32 v110, v33, v4
	ds_read_b128 v[4:7], v124 offset:96
	s_ashr_i32 s13, s12, 31
	s_add_i32 s9, s0, 0xffffff80
	s_cmp_lt_i32 s9, s10
	s_waitcnt vmcnt(31)
	v_lshlrev_b32_e32 v33, 16, v38
	global_load_ushort v38, v[8:9], off
	global_load_ushort v44, v[12:13], off
	v_lshl_add_u64 v[14:15], s[12:13], 1, v[0:1]
	s_cselect_b32 s12, s9, s11
	s_ashr_i32 s13, s12, 31
	s_sub_i32 s9, s0, 64
	s_cmp_lt_i32 s9, s10
	ds_read_b128 v[18:21], v124 offset:112
	s_waitcnt lgkmcnt(1)
	v_fmac_f32_e32 v110, v4, v33
	s_waitcnt vmcnt(31)
	v_lshlrev_b32_e32 v4, 16, v39
	global_load_ushort v33, v[10:11], off
	global_load_ushort v39, v[16:17], off
	v_lshl_add_u64 v[28:29], s[12:13], 1, v[0:1]
	s_cselect_b32 s12, s9, s11
	s_ashr_i32 s13, s12, 31
	s_cmp_lt_i32 s0, s10
	v_fmac_f32_e32 v110, v5, v4
	s_waitcnt vmcnt(32)
	v_lshlrev_b32_e32 v3, 16, v3
	global_load_ushort v16, v[14:15], off
	global_load_ushort v17, v[28:29], off
	v_lshl_add_u64 v[22:23], s[12:13], 1, v[0:1]
	s_cselect_b32 s12, s0, s11
	v_fmac_f32_e32 v110, v6, v3
	s_waitcnt vmcnt(33)
	v_lshlrev_b32_e32 v3, 16, v34
	s_ashr_i32 s13, s12, 31
	v_fmac_f32_e32 v110, v7, v3
	s_waitcnt vmcnt(31)
	v_lshlrev_b32_e32 v3, 16, v35
	v_lshl_add_u64 v[24:25], s[12:13], 1, v[0:1]
	s_waitcnt lgkmcnt(0)
	v_fmac_f32_e32 v110, v18, v3
	global_load_ushort v3, v[22:23], off
	global_load_ushort v14, v[24:25], off
	v_lshlrev_b32_e32 v4, 16, v26
	v_fmac_f32_e32 v110, v19, v4
	s_waitcnt vmcnt(32)
	v_lshlrev_b32_e32 v4, 16, v27
	v_fmac_f32_e32 v110, v20, v4
	ds_read_b128 v[4:7], v124 offset:128
	s_waitcnt vmcnt(31)
	v_lshlrev_b32_e32 v8, 16, v36
	v_fmac_f32_e32 v110, v21, v8
	ds_read_b128 v[8:11], v124 offset:144
	s_waitcnt vmcnt(30)
	v_lshlrev_b32_e32 v12, 16, v37
	s_waitcnt lgkmcnt(1)
	v_fmac_f32_e32 v110, v4, v12
	s_waitcnt vmcnt(29)
	v_lshlrev_b32_e32 v4, 16, v40
	v_fmac_f32_e32 v110, v5, v4
	s_waitcnt vmcnt(28)
	v_lshlrev_b32_e32 v4, 16, v41
	;; [unrolled: 3-line block ×4, first 2 shown]
	s_waitcnt lgkmcnt(0)
	v_fmac_f32_e32 v110, v8, v4
	v_lshlrev_b32_e32 v4, 16, v46
	v_fmac_f32_e32 v110, v9, v4
	s_waitcnt vmcnt(23)
	v_lshlrev_b32_e32 v4, 16, v47
	v_fmac_f32_e32 v110, v10, v4
	ds_read_b128 v[4:7], v124 offset:160
	v_lshlrev_b32_e32 v8, 16, v48
	v_fmac_f32_e32 v110, v11, v8
	ds_read_b128 v[8:11], v124 offset:176
	s_waitcnt vmcnt(22)
	v_lshlrev_b32_e32 v12, 16, v49
	s_waitcnt lgkmcnt(1)
	v_fmac_f32_e32 v110, v4, v12
	v_lshlrev_b32_e32 v4, 16, v51
	v_fmac_f32_e32 v110, v5, v4
	s_waitcnt vmcnt(21)
	v_lshlrev_b32_e32 v4, 16, v53
	v_fmac_f32_e32 v110, v6, v4
	s_waitcnt vmcnt(20)
	;; [unrolled: 3-line block ×3, first 2 shown]
	v_lshlrev_b32_e32 v4, 16, v52
	s_waitcnt lgkmcnt(0)
	v_fmac_f32_e32 v110, v8, v4
	s_waitcnt vmcnt(18)
	v_lshlrev_b32_e32 v4, 16, v55
	v_fmac_f32_e32 v110, v9, v4
	s_waitcnt vmcnt(17)
	v_lshlrev_b32_e32 v4, 16, v56
	v_fmac_f32_e32 v110, v10, v4
	ds_read_b128 v[4:7], v124 offset:192
	s_waitcnt vmcnt(16)
	v_lshlrev_b32_e32 v8, 16, v57
	v_fmac_f32_e32 v110, v11, v8
	ds_read_b128 v[8:11], v124 offset:208
	s_waitcnt vmcnt(15)
	v_lshlrev_b32_e32 v12, 16, v58
	s_waitcnt lgkmcnt(1)
	v_fmac_f32_e32 v110, v4, v12
	s_waitcnt vmcnt(14)
	v_lshlrev_b32_e32 v4, 16, v59
	v_fmac_f32_e32 v110, v5, v4
	s_waitcnt vmcnt(13)
	v_lshlrev_b32_e32 v4, 16, v30
	;; [unrolled: 3-line block ×4, first 2 shown]
	v_lshlrev_b32_e32 v4, 16, v61
	s_waitcnt lgkmcnt(0)
	v_pk_mul_f32 v[4:5], v[8:9], v[4:5]
	s_waitcnt vmcnt(6)
	v_lshlrev_b32_e32 v13, 16, v44
	v_add_f32_e32 v4, v110, v4
	v_add_f32_e32 v6, v4, v5
	v_lshlrev_b32_e32 v5, 16, v32
	v_lshlrev_b32_e32 v4, 16, v31
	v_pk_mul_f32 v[8:9], v[10:11], v[4:5]
	v_lshlrev_b32_e32 v12, 16, v38
	v_add_f32_e32 v8, v6, v8
	ds_read_b128 v[4:7], v124 offset:224
	v_add_f32_e32 v15, v8, v9
	ds_read_b128 v[8:11], v124 offset:240
	s_waitcnt lgkmcnt(1)
	v_pk_mul_f32 v[4:5], v[4:5], v[12:13]
	s_nop 0
	v_add_f32_e32 v4, v15, v4
	v_add_f32_e32 v12, v4, v5
	s_waitcnt vmcnt(4)
	v_lshlrev_b32_e32 v5, 16, v39
	v_lshlrev_b32_e32 v4, 16, v33
	v_pk_mul_f32 v[4:5], v[6:7], v[4:5]
	s_nop 0
	v_add_f32_e32 v4, v12, v4
	v_add_f32_e32 v6, v4, v5
	s_waitcnt vmcnt(2)
	v_lshlrev_b32_e32 v5, 16, v17
	v_lshlrev_b32_e32 v4, 16, v16
	s_waitcnt lgkmcnt(0)
	v_pk_mul_f32 v[4:5], v[8:9], v[4:5]
	s_nop 0
	v_add_f32_e32 v4, v6, v4
	v_add_f32_e32 v6, v4, v5
	s_waitcnt vmcnt(0)
	v_lshlrev_b32_e32 v5, 16, v14
	v_lshlrev_b32_e32 v4, 16, v3
	v_pk_mul_f32 v[4:5], v[10:11], v[4:5]
	s_nop 0
	v_add_f32_e32 v3, v6, v4
	v_add_f32_e32 v110, v3, v5
	s_branch .LBB469_16
.LBB469_19:
	v_mov_b32_e32 v0, 0
	ds_read_b32 v0, v0 offset:2560
	s_cmp_lg_u64 s[6:7], 0
	s_cbranch_scc0 .LBB469_28
; %bb.20:
	s_load_dword s6, s[6:7], 0x0
	s_waitcnt lgkmcnt(0)
	v_div_scale_f32 v1, s[0:1], s6, s6, 1.0
	v_rcp_f32_e32 v3, v1
	v_div_scale_f32 v4, vcc, 1.0, s6, 1.0
	v_fma_f32 v5, -v1, v3, 1.0
	v_fmac_f32_e32 v3, v5, v3
	v_mul_f32_e32 v5, v4, v3
	v_fma_f32 v6, -v1, v5, v4
	v_fmac_f32_e32 v5, v6, v3
	v_fma_f32 v1, -v1, v5, v4
	v_div_fmas_f32 v1, v1, v3, v5
	v_div_fixup_f32 v1, v1, s6, 1.0
	s_andn2_b64 vcc, exec, s[38:39]
	s_cbranch_vccnz .LBB469_22
.LBB469_21:
	s_add_u32 s0, s36, s40
	s_addc_u32 s1, s37, s41
	s_load_dword s34, s[0:1], 0x0
	s_mov_b32 s35, 0
.LBB469_22:
	s_waitcnt lgkmcnt(0)
	v_add_f32_e32 v0, 0x358637bd, v0
	v_div_scale_f32 v3, s[0:1], v0, v0, 1.0
	v_rcp_f32_e32 v4, v3
	v_div_scale_f32 v5, vcc, 1.0, v0, 1.0
	s_mov_b32 s0, 0x7f800000
	v_fma_f32 v6, -v3, v4, 1.0
	v_fmac_f32_e32 v4, v6, v4
	v_mul_f32_e32 v6, v5, v4
	v_fma_f32 v7, -v3, v6, v5
	v_fmac_f32_e32 v6, v7, v4
	v_fma_f32 v3, -v3, v6, v5
	v_div_fmas_f32 v3, v3, v4, v6
	v_div_fixup_f32 v0, v3, v0, 1.0
	v_mul_f32_e32 v0, v110, v0
	v_mul_f32_e32 v1, v0, v1
	v_and_b32_e32 v0, 0x7f800000, v1
	v_cmp_ne_u32_e32 vcc, s0, v0
                                        ; implicit-def: $vgpr0
	s_and_saveexec_b64 s[0:1], vcc
	s_xor_b64 s[0:1], exec, s[0:1]
; %bb.23:
	v_bfe_u32 v0, v1, 16, 1
	s_movk_i32 s6, 0x7fff
	v_add3_u32 v0, v1, v0, s6
                                        ; implicit-def: $vgpr1
; %bb.24:
	s_andn2_saveexec_b64 s[0:1], s[0:1]
; %bb.25:
	v_mov_b32_e32 v0, 0
	v_or_b32_e32 v3, 0x10000, v1
	v_cmp_eq_u32_sdwa vcc, v1, v0 src0_sel:WORD_0 src1_sel:DWORD
	s_nop 1
	v_cndmask_b32_e32 v0, v3, v1, vcc
; %bb.26:
	s_or_b64 exec, exec, s[0:1]
	s_mul_i32 s0, s3, s35
	s_mul_hi_u32 s1, s3, s34
	s_add_i32 s1, s1, s0
	s_mul_i32 s0, s3, s34
	s_lshl_b64 s[0:1], s[0:1], 7
	s_add_u32 s4, s4, s0
	s_mov_b32 s3, 0
	s_addc_u32 s5, s5, s1
	s_lshl_b64 s[0:1], s[2:3], 7
	s_add_u32 s0, s4, s0
	s_addc_u32 s1, s5, s1
	global_store_short_d16_hi v2, v0, s[0:1]
	s_endpgm
.LBB469_27:
	s_mov_b64 s[6:7], 0
	s_branch .LBB469_2
.LBB469_28:
	v_mov_b32_e32 v1, 1.0
	s_andn2_b64 vcc, exec, s[38:39]
	s_cbranch_vccz .LBB469_21
	s_branch .LBB469_22
	.section	.rodata,"a",@progbits
	.p2align	6, 0x0
	.amdhsa_kernel _Z35paged_attention_ll4mi_reduce_kernelI14__hip_bfloat16S0_Li64ELi64ELi256ELi10EEvPT0_PKfS4_PKT_PKiS9_iS4_
		.amdhsa_group_segment_fixed_size 2564
		.amdhsa_private_segment_fixed_size 0
		.amdhsa_kernarg_size 320
		.amdhsa_user_sgpr_count 2
		.amdhsa_user_sgpr_dispatch_ptr 0
		.amdhsa_user_sgpr_queue_ptr 0
		.amdhsa_user_sgpr_kernarg_segment_ptr 1
		.amdhsa_user_sgpr_dispatch_id 0
		.amdhsa_user_sgpr_kernarg_preload_length 0
		.amdhsa_user_sgpr_kernarg_preload_offset 0
		.amdhsa_user_sgpr_private_segment_size 0
		.amdhsa_uses_dynamic_stack 0
		.amdhsa_enable_private_segment 0
		.amdhsa_system_sgpr_workgroup_id_x 1
		.amdhsa_system_sgpr_workgroup_id_y 1
		.amdhsa_system_sgpr_workgroup_id_z 0
		.amdhsa_system_sgpr_workgroup_info 0
		.amdhsa_system_vgpr_workitem_id 0
		.amdhsa_next_free_vgpr 126
		.amdhsa_next_free_sgpr 49
		.amdhsa_accum_offset 128
		.amdhsa_reserve_vcc 1
		.amdhsa_float_round_mode_32 0
		.amdhsa_float_round_mode_16_64 0
		.amdhsa_float_denorm_mode_32 3
		.amdhsa_float_denorm_mode_16_64 3
		.amdhsa_dx10_clamp 1
		.amdhsa_ieee_mode 1
		.amdhsa_fp16_overflow 0
		.amdhsa_tg_split 0
		.amdhsa_exception_fp_ieee_invalid_op 0
		.amdhsa_exception_fp_denorm_src 0
		.amdhsa_exception_fp_ieee_div_zero 0
		.amdhsa_exception_fp_ieee_overflow 0
		.amdhsa_exception_fp_ieee_underflow 0
		.amdhsa_exception_fp_ieee_inexact 0
		.amdhsa_exception_int_div_zero 0
	.end_amdhsa_kernel
	.section	.text._Z35paged_attention_ll4mi_reduce_kernelI14__hip_bfloat16S0_Li64ELi64ELi256ELi10EEvPT0_PKfS4_PKT_PKiS9_iS4_,"axG",@progbits,_Z35paged_attention_ll4mi_reduce_kernelI14__hip_bfloat16S0_Li64ELi64ELi256ELi10EEvPT0_PKfS4_PKT_PKiS9_iS4_,comdat
.Lfunc_end469:
	.size	_Z35paged_attention_ll4mi_reduce_kernelI14__hip_bfloat16S0_Li64ELi64ELi256ELi10EEvPT0_PKfS4_PKT_PKiS9_iS4_, .Lfunc_end469-_Z35paged_attention_ll4mi_reduce_kernelI14__hip_bfloat16S0_Li64ELi64ELi256ELi10EEvPT0_PKfS4_PKT_PKiS9_iS4_
                                        ; -- End function
	.section	.AMDGPU.csdata,"",@progbits
; Kernel info:
; codeLenInByte = 9780
; NumSgprs: 55
; NumVgprs: 126
; NumAgprs: 0
; TotalNumVgprs: 126
; ScratchSize: 0
; MemoryBound: 0
; FloatMode: 240
; IeeeMode: 1
; LDSByteSize: 2564 bytes/workgroup (compile time only)
; SGPRBlocks: 6
; VGPRBlocks: 15
; NumSGPRsForWavesPerEU: 55
; NumVGPRsForWavesPerEU: 126
; AccumOffset: 128
; Occupancy: 4
; WaveLimiterHint : 1
; COMPUTE_PGM_RSRC2:SCRATCH_EN: 0
; COMPUTE_PGM_RSRC2:USER_SGPR: 2
; COMPUTE_PGM_RSRC2:TRAP_HANDLER: 0
; COMPUTE_PGM_RSRC2:TGID_X_EN: 1
; COMPUTE_PGM_RSRC2:TGID_Y_EN: 1
; COMPUTE_PGM_RSRC2:TGID_Z_EN: 0
; COMPUTE_PGM_RSRC2:TIDIG_COMP_CNT: 0
; COMPUTE_PGM_RSRC3_GFX90A:ACCUM_OFFSET: 31
; COMPUTE_PGM_RSRC3_GFX90A:TG_SPLIT: 0
	.section	.text._Z35paged_attention_ll4mi_reduce_kernelI14__hip_bfloat16S0_Li64ELi64ELi256ELi11EEvPT0_PKfS4_PKT_PKiS9_iS4_,"axG",@progbits,_Z35paged_attention_ll4mi_reduce_kernelI14__hip_bfloat16S0_Li64ELi64ELi256ELi11EEvPT0_PKfS4_PKT_PKiS9_iS4_,comdat
	.protected	_Z35paged_attention_ll4mi_reduce_kernelI14__hip_bfloat16S0_Li64ELi64ELi256ELi11EEvPT0_PKfS4_PKT_PKiS9_iS4_ ; -- Begin function _Z35paged_attention_ll4mi_reduce_kernelI14__hip_bfloat16S0_Li64ELi64ELi256ELi11EEvPT0_PKfS4_PKT_PKiS9_iS4_
	.globl	_Z35paged_attention_ll4mi_reduce_kernelI14__hip_bfloat16S0_Li64ELi64ELi256ELi11EEvPT0_PKfS4_PKT_PKiS9_iS4_
	.p2align	8
	.type	_Z35paged_attention_ll4mi_reduce_kernelI14__hip_bfloat16S0_Li64ELi64ELi256ELi11EEvPT0_PKfS4_PKT_PKiS9_iS4_,@function
_Z35paged_attention_ll4mi_reduce_kernelI14__hip_bfloat16S0_Li64ELi64ELi256ELi11EEvPT0_PKfS4_PKT_PKiS9_iS4_: ; @_Z35paged_attention_ll4mi_reduce_kernelI14__hip_bfloat16S0_Li64ELi64ELi256ELi11EEvPT0_PKfS4_PKT_PKiS9_iS4_
; %bb.0:
	s_load_dwordx2 s[34:35], s[0:1], 0x28
	s_mov_b32 s26, s3
	s_mov_b64 s[4:5], 0
	s_waitcnt lgkmcnt(0)
	s_cmp_lg_u64 s[34:35], 0
	s_cselect_b64 s[40:41], -1, 0
	s_and_b64 vcc, exec, s[40:41]
	s_cbranch_vccz .LBB470_27
; %bb.1:
	s_add_i32 s6, s26, 1
	s_mov_b32 s7, 0
	s_lshl_b64 s[8:9], s[6:7], 2
	s_add_u32 s8, s34, s8
	s_mov_b32 s27, s7
	s_addc_u32 s9, s35, s9
	s_lshl_b64 s[6:7], s[26:27], 2
	s_add_u32 s6, s34, s6
	s_addc_u32 s7, s35, s7
	s_load_dword s3, s[8:9], 0x0
	s_load_dword s10, s[6:7], 0x0
	s_waitcnt lgkmcnt(0)
	s_sub_i32 s3, s3, s10
	s_cmp_eq_u32 s3, 1
	s_cselect_b64 s[6:7], -1, 0
	s_andn2_b64 vcc, exec, s[4:5]
	s_cbranch_vccnz .LBB470_3
.LBB470_2:
	s_mov_b32 s27, 0
	s_mov_b64 s[6:7], -1
.LBB470_3:
	s_andn2_b64 vcc, exec, s[6:7]
	s_cbranch_vccz .LBB470_5
; %bb.4:
	s_endpgm
.LBB470_5:
	s_load_dwordx4 s[28:31], s[0:1], 0x18
	s_load_dword s8, s[0:1], 0x30
	s_lshl_b64 s[42:43], s[26:27], 2
	v_cmp_lt_u32_e32 vcc, 63, v0
	s_waitcnt lgkmcnt(0)
	s_add_u32 s4, s30, s42
	s_addc_u32 s5, s31, s43
	s_load_dword s50, s[4:5], 0x0
	s_load_dword s3, s[0:1], 0x40
	s_mul_i32 s30, s2, s8
	s_mul_i32 s6, s26, s8
	s_waitcnt lgkmcnt(0)
	s_add_i32 s7, s50, 0xff
	s_ashr_i32 s4, s7, 31
	s_lshr_b32 s4, s4, 24
	s_add_i32 s7, s7, s4
	s_and_saveexec_b64 s[4:5], vcc
	s_xor_b64 s[4:5], exec, s[4:5]
	s_or_saveexec_b64 s[44:45], s[4:5]
	s_ashr_i32 s33, s7, 8
	v_mov_b32_e32 v1, s30
	s_mul_i32 s46, s6, s3
	s_xor_b64 exec, exec, s[44:45]
	s_cbranch_execz .LBB470_9
; %bb.6:
	s_add_i32 s4, s33, -1
	v_or_b32_e32 v3, 64, v0
	v_mov_b32_e32 v1, s4
	v_cmp_gt_u32_e64 s[20:21], s33, v3
	s_load_dwordx4 s[36:39], s[0:1], 0x8
	s_mov_b32 s47, 0
	v_cndmask_b32_e64 v4, v1, v3, s[20:21]
	v_or_b32_e32 v3, 0x80, v0
	v_cmp_gt_u32_e64 s[18:19], s33, v3
	s_lshl_b64 s[48:49], s[46:47], 2
	s_mov_b32 s31, s47
	v_cndmask_b32_e64 v6, v1, v3, s[18:19]
	v_or_b32_e32 v3, 0xc0, v0
	v_cmp_gt_u32_e64 s[16:17], s33, v3
	v_cmp_gt_u32_e64 s[22:23], s33, v0
	s_waitcnt lgkmcnt(0)
	s_add_u32 s24, s38, s48
	v_cndmask_b32_e64 v8, v1, v3, s[16:17]
	v_or_b32_e32 v3, 0x100, v0
	v_cmp_gt_u32_e64 s[14:15], s33, v3
	v_cndmask_b32_e64 v2, v1, v0, s[22:23]
	s_addc_u32 s25, s39, s49
	v_cndmask_b32_e64 v10, v1, v3, s[14:15]
	v_or_b32_e32 v3, 0x140, v0
	v_cmp_gt_u32_e64 s[12:13], s33, v3
	s_lshl_b64 s[38:39], s[30:31], 2
	s_add_u32 s24, s24, s38
	v_cndmask_b32_e64 v12, v1, v3, s[12:13]
	v_or_b32_e32 v3, 0x180, v0
	v_cmp_gt_u32_e64 s[10:11], s33, v3
	v_ashrrev_i32_e32 v9, 31, v8
	v_ashrrev_i32_e32 v11, 31, v10
	v_cndmask_b32_e64 v14, v1, v3, s[10:11]
	v_or_b32_e32 v3, 0x1c0, v0
	v_cmp_gt_u32_e64 s[8:9], s33, v3
	v_ashrrev_i32_e32 v13, 31, v12
	s_addc_u32 s25, s25, s39
	v_cndmask_b32_e64 v16, v1, v3, s[8:9]
	v_or_b32_e32 v3, 0x200, v0
	v_cmp_gt_u32_e64 s[6:7], s33, v3
	v_ashrrev_i32_e32 v5, 31, v4
	v_ashrrev_i32_e32 v7, 31, v6
	v_cndmask_b32_e64 v18, v1, v3, s[6:7]
	v_or_b32_e32 v3, 0x240, v0
	v_cmp_gt_u32_e64 s[4:5], s33, v3
	v_lshlrev_b64 v[8:9], 2, v[8:9]
	v_lshlrev_b64 v[10:11], 2, v[10:11]
	v_cndmask_b32_e64 v20, v1, v3, s[4:5]
	v_or_b32_e32 v3, 0x280, v0
	v_cmp_gt_u32_e32 vcc, s33, v3
	v_lshlrev_b64 v[12:13], 2, v[12:13]
	v_ashrrev_i32_e32 v15, 31, v14
	v_cndmask_b32_e32 v22, v1, v3, vcc
	v_ashrrev_i32_e32 v3, 31, v2
	v_lshlrev_b64 v[2:3], 2, v[2:3]
	v_ashrrev_i32_e32 v17, 31, v16
	v_ashrrev_i32_e32 v19, 31, v18
	v_lshl_add_u64 v[24:25], s[24:25], 0, v[2:3]
	v_lshlrev_b64 v[4:5], 2, v[4:5]
	v_lshlrev_b64 v[6:7], 2, v[6:7]
	v_lshl_add_u64 v[30:31], s[24:25], 0, v[8:9]
	v_lshl_add_u64 v[32:33], s[24:25], 0, v[10:11]
	;; [unrolled: 1-line block ×3, first 2 shown]
	v_lshlrev_b64 v[14:15], 2, v[14:15]
	v_lshlrev_b64 v[16:17], 2, v[16:17]
	v_lshlrev_b64 v[18:19], 2, v[18:19]
	v_ashrrev_i32_e32 v21, 31, v20
	v_ashrrev_i32_e32 v23, 31, v22
	v_lshl_add_u64 v[26:27], s[24:25], 0, v[4:5]
	v_lshl_add_u64 v[28:29], s[24:25], 0, v[6:7]
	;; [unrolled: 1-line block ×4, first 2 shown]
	global_load_dword v1, v[24:25], off
	global_load_dword v40, v[26:27], off
	;; [unrolled: 1-line block ×3, first 2 shown]
	s_nop 0
	global_load_dword v30, v[30:31], off
	s_nop 0
	global_load_dword v31, v[32:33], off
	;; [unrolled: 2-line block ×3, first 2 shown]
	global_load_dword v33, v[36:37], off
	s_nop 0
	global_load_dword v34, v[38:39], off
	v_lshl_add_u64 v[24:25], s[24:25], 0, v[18:19]
	v_lshlrev_b64 v[20:21], 2, v[20:21]
	v_lshlrev_b64 v[22:23], 2, v[22:23]
	v_lshl_add_u64 v[26:27], s[24:25], 0, v[20:21]
	v_lshl_add_u64 v[28:29], s[24:25], 0, v[22:23]
	global_load_dword v24, v[24:25], off
	s_nop 0
	global_load_dword v25, v[26:27], off
	global_load_dword v35, v[28:29], off
	v_mbcnt_lo_u32_b32 v26, -1, 0
	v_mbcnt_hi_u32_b32 v26, -1, v26
	v_and_b32_e32 v27, 64, v26
	v_add_u32_e32 v27, 64, v27
	v_xor_b32_e32 v29, 32, v26
	v_cmp_lt_i32_e64 s[24:25], v29, v27
	v_xor_b32_e32 v42, 2, v26
	s_mov_b32 s31, 0x3fb8aa3b
	v_cndmask_b32_e64 v29, v26, v29, s[24:25]
	v_lshlrev_b32_e32 v29, 2, v29
	s_waitcnt vmcnt(8)
	v_max3_f32 v28, v1, v40, v41
	s_waitcnt vmcnt(6)
	v_max3_f32 v28, v28, v30, v31
	;; [unrolled: 2-line block ×5, first 2 shown]
	ds_bpermute_b32 v36, v29, v28
	s_waitcnt lgkmcnt(0)
	v_max_f32_e32 v36, v36, v36
	v_max_f32_e32 v28, v28, v36
	v_xor_b32_e32 v36, 16, v26
	v_cmp_lt_i32_e64 s[24:25], v36, v27
	s_nop 1
	v_cndmask_b32_e64 v36, v26, v36, s[24:25]
	v_lshlrev_b32_e32 v36, 2, v36
	ds_bpermute_b32 v37, v36, v28
	s_waitcnt lgkmcnt(0)
	v_max_f32_e32 v37, v37, v37
	v_max_f32_e32 v28, v28, v37
	v_xor_b32_e32 v37, 8, v26
	v_cmp_lt_i32_e64 s[24:25], v37, v27
	s_nop 1
	v_cndmask_b32_e64 v37, v26, v37, s[24:25]
	s_add_u32 s24, s36, s48
	v_lshlrev_b32_e32 v37, 2, v37
	s_addc_u32 s25, s37, s49
	ds_bpermute_b32 v38, v37, v28
	s_add_u32 s36, s24, s38
	s_addc_u32 s37, s25, s39
	v_lshl_add_u64 v[2:3], s[36:37], 0, v[2:3]
	global_load_dword v39, v[2:3], off
	v_xor_b32_e32 v3, 4, v26
	v_cmp_lt_i32_e64 s[24:25], v3, v27
	s_waitcnt lgkmcnt(0)
	v_max_f32_e32 v2, v38, v38
	v_max_f32_e32 v2, v28, v2
	v_cndmask_b32_e64 v3, v26, v3, s[24:25]
	v_lshlrev_b32_e32 v28, 2, v3
	ds_bpermute_b32 v3, v28, v2
	v_cmp_lt_i32_e64 s[24:25], v42, v27
	s_waitcnt lgkmcnt(0)
	v_max_f32_e32 v3, v3, v3
	v_max_f32_e32 v38, v2, v3
	v_lshl_add_u64 v[2:3], s[36:37], 0, v[4:5]
	global_load_dword v43, v[2:3], off
	v_cndmask_b32_e64 v2, v26, v42, s[24:25]
	v_lshlrev_b32_e32 v42, 2, v2
	ds_bpermute_b32 v2, v42, v38
	v_lshl_add_u64 v[4:5], s[36:37], 0, v[10:11]
	v_lshl_add_u64 v[10:11], s[36:37], 0, v[16:17]
	s_waitcnt lgkmcnt(0)
	v_max_f32_e32 v2, v2, v2
	v_max_f32_e32 v38, v38, v2
	v_xor_b32_e32 v2, 1, v26
	v_cmp_lt_i32_e64 s[24:25], v2, v27
	s_nop 1
	v_cndmask_b32_e64 v2, v26, v2, s[24:25]
	v_lshlrev_b32_e32 v26, 2, v2
	v_lshl_add_u64 v[2:3], s[36:37], 0, v[6:7]
	global_load_dword v27, v[2:3], off
	v_lshl_add_u64 v[2:3], s[36:37], 0, v[8:9]
	v_lshl_add_u64 v[6:7], s[36:37], 0, v[12:13]
	;; [unrolled: 1-line block ×3, first 2 shown]
	global_load_dword v12, v[2:3], off
	global_load_dword v13, v[4:5], off
	;; [unrolled: 1-line block ×5, first 2 shown]
	ds_bpermute_b32 v44, v26, v38
	v_lshl_add_u64 v[2:3], s[36:37], 0, v[18:19]
	v_lshl_add_u64 v[4:5], s[36:37], 0, v[20:21]
	v_lshl_add_u64 v[6:7], s[36:37], 0, v[22:23]
	s_mov_b32 s36, 0xc2ce8ed0
	s_waitcnt lgkmcnt(0)
	v_max_f32_e32 v8, v44, v44
	v_max_f32_e32 v8, v38, v8
	v_sub_f32_e32 v1, v1, v8
	v_mul_f32_e32 v9, 0x3fb8aa3b, v1
	v_fma_f32 v10, v1, s31, -v9
	v_rndne_f32_e32 v11, v9
	v_fmac_f32_e32 v10, 0x32a5705f, v1
	v_sub_f32_e32 v9, v9, v11
	v_add_f32_e32 v9, v9, v10
	v_cvt_i32_f32_e32 v10, v11
	global_load_dword v11, v[2:3], off
	global_load_dword v17, v[4:5], off
	;; [unrolled: 1-line block ×3, first 2 shown]
	v_sub_f32_e32 v4, v40, v8
	v_mul_f32_e32 v5, 0x3fb8aa3b, v4
	v_fma_f32 v6, v4, s31, -v5
	v_rndne_f32_e32 v7, v5
	v_exp_f32_e32 v9, v9
	v_fmac_f32_e32 v6, 0x32a5705f, v4
	v_sub_f32_e32 v5, v5, v7
	v_add_f32_e32 v5, v5, v6
	v_exp_f32_e32 v5, v5
	v_cvt_i32_f32_e32 v6, v7
	v_ldexp_f32 v2, v9, v10
	v_cmp_ngt_f32_e64 s[24:25], s36, v1
	s_mov_b32 s37, 0x42b17218
	v_mov_b32_e32 v3, 0x7f800000
	v_cndmask_b32_e64 v2, 0, v2, s[24:25]
	v_cmp_nlt_f32_e64 s[24:25], s37, v1
	s_nop 1
	v_cndmask_b32_e64 v1, v3, v2, s[24:25]
	v_ldexp_f32 v2, v5, v6
	v_sub_f32_e32 v5, v41, v8
	v_mul_f32_e32 v6, 0x3fb8aa3b, v5
	v_fma_f32 v7, v5, s31, -v6
	v_rndne_f32_e32 v9, v6
	v_fmac_f32_e32 v7, 0x32a5705f, v5
	v_sub_f32_e32 v6, v6, v9
	v_add_f32_e32 v6, v6, v7
	v_exp_f32_e32 v6, v6
	v_cvt_i32_f32_e32 v7, v9
	v_cndmask_b32_e64 v1, 0, v1, s[22:23]
	v_cmp_ngt_f32_e64 s[22:23], s36, v4
	s_waitcnt vmcnt(10)
	v_mul_f32_e32 v1, v39, v1
	v_cndmask_b32_e64 v2, 0, v2, s[22:23]
	v_cmp_nlt_f32_e64 s[22:23], s37, v4
	v_ldexp_f32 v4, v6, v7
	v_sub_f32_e32 v6, v30, v8
	v_mul_f32_e32 v7, 0x3fb8aa3b, v6
	v_fma_f32 v9, v6, s31, -v7
	v_rndne_f32_e32 v10, v7
	v_fmac_f32_e32 v9, 0x32a5705f, v6
	v_sub_f32_e32 v7, v7, v10
	v_add_f32_e32 v7, v7, v9
	v_exp_f32_e32 v7, v7
	v_cvt_i32_f32_e32 v9, v10
	v_cndmask_b32_e64 v2, v3, v2, s[22:23]
	v_cndmask_b32_e64 v2, 0, v2, s[20:21]
	v_cmp_ngt_f32_e64 s[20:21], s36, v5
	s_waitcnt vmcnt(9)
	v_mul_f32_e32 v2, v43, v2
	v_cndmask_b32_e64 v4, 0, v4, s[20:21]
	v_cmp_nlt_f32_e64 s[20:21], s37, v5
	v_ldexp_f32 v5, v7, v9
	v_sub_f32_e32 v7, v31, v8
	v_mul_f32_e32 v9, 0x3fb8aa3b, v7
	v_fma_f32 v10, v7, s31, -v9
	v_rndne_f32_e32 v19, v9
	v_fmac_f32_e32 v10, 0x32a5705f, v7
	v_sub_f32_e32 v9, v9, v19
	v_add_f32_e32 v9, v9, v10
	v_exp_f32_e32 v9, v9
	v_cvt_i32_f32_e32 v10, v19
	v_cndmask_b32_e64 v4, v3, v4, s[20:21]
	v_cndmask_b32_e64 v4, 0, v4, s[18:19]
	v_cmp_ngt_f32_e64 s[18:19], s36, v6
	s_waitcnt vmcnt(8)
	v_mul_f32_e32 v4, v27, v4
	v_cndmask_b32_e64 v5, 0, v5, s[18:19]
	v_cmp_nlt_f32_e64 s[18:19], s37, v6
	v_ldexp_f32 v6, v9, v10
	v_sub_f32_e32 v9, v32, v8
	v_cndmask_b32_e64 v5, v3, v5, s[18:19]
	v_cndmask_b32_e64 v5, 0, v5, s[16:17]
	v_mul_f32_e32 v10, 0x3fb8aa3b, v9
	s_waitcnt vmcnt(7)
	v_mul_f32_e32 v5, v12, v5
	v_fma_f32 v12, v9, s31, -v10
	v_rndne_f32_e32 v19, v10
	v_fmac_f32_e32 v12, 0x32a5705f, v9
	v_sub_f32_e32 v10, v10, v19
	v_add_f32_e32 v10, v10, v12
	v_exp_f32_e32 v10, v10
	v_cvt_i32_f32_e32 v12, v19
	v_cmp_ngt_f32_e64 s[16:17], s36, v7
	s_nop 1
	v_cndmask_b32_e64 v6, 0, v6, s[16:17]
	v_cmp_nlt_f32_e64 s[16:17], s37, v7
	v_ldexp_f32 v7, v10, v12
	v_sub_f32_e32 v10, v33, v8
	v_cndmask_b32_e64 v6, v3, v6, s[16:17]
	v_cndmask_b32_e64 v6, 0, v6, s[14:15]
	v_mul_f32_e32 v12, 0x3fb8aa3b, v10
	s_waitcnt vmcnt(6)
	v_mul_f32_e32 v6, v13, v6
	v_fma_f32 v13, v10, s31, -v12
	v_rndne_f32_e32 v19, v12
	v_fmac_f32_e32 v13, 0x32a5705f, v10
	v_sub_f32_e32 v12, v12, v19
	v_add_f32_e32 v12, v12, v13
	v_exp_f32_e32 v12, v12
	v_cvt_i32_f32_e32 v13, v19
	v_cmp_ngt_f32_e64 s[14:15], s36, v9
	s_nop 1
	;; [unrolled: 18-line block ×4, first 2 shown]
	v_cndmask_b32_e64 v10, 0, v10, s[10:11]
	v_cmp_nlt_f32_e64 s[10:11], s37, v12
	v_ldexp_f32 v12, v14, v15
	v_sub_f32_e32 v14, v25, v8
	v_cndmask_b32_e64 v10, v3, v10, s[10:11]
	v_cndmask_b32_e64 v10, 0, v10, s[8:9]
	v_mul_f32_e32 v15, 0x3fb8aa3b, v14
	s_waitcnt vmcnt(3)
	v_mul_f32_e32 v10, v16, v10
	v_fma_f32 v16, v14, s31, -v15
	v_rndne_f32_e32 v19, v15
	v_fmac_f32_e32 v16, 0x32a5705f, v14
	v_sub_f32_e32 v15, v15, v19
	v_add_f32_e32 v15, v15, v16
	v_cmp_ngt_f32_e64 s[8:9], s36, v13
	v_exp_f32_e32 v15, v15
	v_cvt_i32_f32_e32 v16, v19
	v_cndmask_b32_e64 v12, 0, v12, s[8:9]
	v_cmp_nlt_f32_e64 s[8:9], s37, v13
	v_sub_f32_e32 v8, v35, v8
	v_mul_f32_e32 v13, 0x3fb8aa3b, v8
	v_cndmask_b32_e64 v12, v3, v12, s[8:9]
	v_cndmask_b32_e64 v12, 0, v12, s[6:7]
	s_waitcnt vmcnt(2)
	v_mul_f32_e32 v11, v11, v12
	v_ldexp_f32 v12, v15, v16
	v_fma_f32 v15, v8, s31, -v13
	v_rndne_f32_e32 v16, v13
	v_fmac_f32_e32 v15, 0x32a5705f, v8
	v_sub_f32_e32 v13, v13, v16
	v_add_f32_e32 v13, v13, v15
	v_exp_f32_e32 v13, v13
	v_cvt_i32_f32_e32 v15, v16
	v_cmp_ngt_f32_e64 s[6:7], s36, v14
	v_ldexp_f32 v13, v13, v15
	s_nop 0
	v_cndmask_b32_e64 v12, 0, v12, s[6:7]
	v_cmp_nlt_f32_e64 s[6:7], s37, v14
	v_lshlrev_b32_e32 v14, 2, v0
	ds_write2st64_b32 v14, v1, v2 offset1:1
	ds_write2st64_b32 v14, v4, v5 offset0:2 offset1:3
	ds_write2st64_b32 v14, v6, v7 offset0:4 offset1:5
	v_cndmask_b32_e64 v12, v3, v12, s[6:7]
	v_cndmask_b32_e64 v12, 0, v12, s[4:5]
	v_cmp_ngt_f32_e64 s[4:5], s36, v8
	s_waitcnt vmcnt(1)
	v_mul_f32_e32 v12, v17, v12
	v_cndmask_b32_e64 v13, 0, v13, s[4:5]
	v_cmp_nlt_f32_e64 s[4:5], s37, v8
	v_add_f32_e32 v8, v1, v2
	v_add_f32_e32 v8, v8, v4
	v_add_f32_e32 v8, v8, v5
	v_add_f32_e32 v8, v8, v6
	v_add_f32_e32 v8, v8, v7
	v_add_f32_e32 v8, v8, v9
	v_cndmask_b32_e64 v3, v3, v13, s[4:5]
	v_add_f32_e32 v8, v8, v10
	v_cndmask_b32_e32 v3, 0, v3, vcc
	v_add_f32_e32 v8, v8, v11
	s_waitcnt vmcnt(0)
	v_mul_f32_e32 v3, v18, v3
	v_add_f32_e32 v8, v8, v12
	v_add_f32_e32 v8, v8, v3
	ds_bpermute_b32 v13, v29, v8
	v_cmp_eq_u32_e32 vcc, 0, v0
	ds_write2st64_b32 v14, v9, v10 offset0:6 offset1:7
	ds_write2st64_b32 v14, v11, v12 offset0:8 offset1:9
	ds_write_b32 v14, v3 offset:2560
	s_waitcnt lgkmcnt(3)
	v_add_f32_e32 v8, v8, v13
	ds_bpermute_b32 v13, v36, v8
	s_waitcnt lgkmcnt(0)
	v_add_f32_e32 v8, v8, v13
	ds_bpermute_b32 v13, v37, v8
	;; [unrolled: 3-line block ×5, first 2 shown]
	s_and_saveexec_b64 s[4:5], vcc
	s_cbranch_execz .LBB470_8
; %bb.7:
	s_waitcnt lgkmcnt(0)
	v_add_f32_e32 v1, v1, v2
	v_mov_b32_e32 v2, 0
	ds_write_b32 v2, v1 offset:2816
.LBB470_8:
	s_or_b64 exec, exec, s[4:5]
	v_mov_b32_e32 v1, s30
.LBB470_9:
	s_or_b64 exec, exec, s[44:45]
	s_lshl_b32 s4, s46, 6
	s_mov_b32 s5, 0
	s_lshl_b64 s[4:5], s[4:5], 1
	s_add_u32 s4, s28, s4
	s_addc_u32 s5, s29, s5
	s_lshl_b32 s10, s33, 6
	s_sub_i32 s11, s10, 64
	s_waitcnt lgkmcnt(0)
	v_lshlrev_b32_e32 v2, 6, v1
	v_mov_b32_e32 v3, 0
	s_cmp_lt_i32 s50, 1
	v_lshl_add_u64 v[4:5], v[2:3], 1, s[4:5]
	s_cselect_b32 s4, s11, 0
	v_lshlrev_b32_e32 v2, 1, v0
	s_ashr_i32 s5, s4, 31
	v_lshl_add_u64 v[0:1], v[4:5], 0, v[2:3]
	s_cmpk_lt_i32 s50, 0x101
	v_lshl_add_u64 v[4:5], s[4:5], 1, v[0:1]
	s_cselect_b32 s4, s11, 64
	s_ashr_i32 s5, s4, 31
	s_cmpk_lt_i32 s50, 0x201
	v_lshl_add_u64 v[6:7], s[4:5], 1, v[0:1]
	s_cselect_b32 s4, s11, 0x80
	s_ashr_i32 s5, s4, 31
	;; [unrolled: 4-line block ×8, first 2 shown]
	s_cmpk_lt_i32 s50, 0x901
	global_load_ushort v23, v[4:5], off
	global_load_ushort v22, v[6:7], off
	;; [unrolled: 1-line block ×8, first 2 shown]
	v_lshl_add_u64 v[4:5], s[4:5], 1, v[0:1]
	s_cselect_b32 s4, s11, 0x240
	s_ashr_i32 s5, s4, 31
	s_cmpk_lt_i32 s50, 0xa01
	v_lshl_add_u64 v[6:7], s[4:5], 1, v[0:1]
	s_cselect_b32 s4, s11, 0x280
	s_ashr_i32 s5, s4, 31
	s_cmpk_lt_i32 s50, 0xb01
	;; [unrolled: 4-line block ×6, first 2 shown]
	v_lshl_add_u64 v[32:33], s[4:5], 1, v[0:1]
	s_cselect_b32 s4, s11, 0x3c0
	s_ashr_i32 s5, s4, 31
	v_lshl_add_u64 v[34:35], s[4:5], 1, v[0:1]
	global_load_ushort v30, v[4:5], off
	global_load_ushort v31, v[6:7], off
	;; [unrolled: 1-line block ×8, first 2 shown]
	s_cmpk_gt_i32 s50, 0x1000
	s_cselect_b64 s[8:9], -1, 0
	s_cmpk_lt_i32 s50, 0x1001
	v_mov_b32_e32 v40, 0
	v_mov_b32_e32 v41, 0
	;; [unrolled: 1-line block ×48, first 2 shown]
	s_waitcnt lgkmcnt(0)
	; wave barrier
	s_cbranch_scc1 .LBB470_12
; %bb.10:
	s_cmpk_lt_u32 s50, 0x1101
	s_cselect_b32 s4, s11, 0x440
	s_ashr_i32 s5, s4, 31
	s_cmpk_lt_u32 s50, 0x1201
	v_lshl_add_u64 v[4:5], s[4:5], 1, v[0:1]
	s_cselect_b32 s4, s11, 0x480
	s_ashr_i32 s5, s4, 31
	s_cmpk_lt_u32 s50, 0x1301
	v_lshl_add_u64 v[6:7], s[4:5], 1, v[0:1]
	;; [unrolled: 4-line block ×7, first 2 shown]
	s_cselect_b32 s4, s11, 0x600
	s_ashr_i32 s5, s4, 31
	s_cmpk_lt_u32 s50, 0x1901
	global_load_ushort v39, v[0:1], off offset:2048
	global_load_ushort v38, v[4:5], off
	global_load_ushort v37, v[6:7], off
	;; [unrolled: 1-line block ×7, first 2 shown]
	v_lshl_add_u64 v[4:5], s[4:5], 1, v[0:1]
	s_cselect_b32 s4, s11, 0x640
	s_ashr_i32 s5, s4, 31
	s_cmpk_lt_u32 s50, 0x1a01
	v_lshl_add_u64 v[6:7], s[4:5], 1, v[0:1]
	s_cselect_b32 s4, s11, 0x680
	s_ashr_i32 s5, s4, 31
	s_cmpk_lt_u32 s50, 0x1b01
	;; [unrolled: 4-line block ×6, first 2 shown]
	v_lshl_add_u64 v[48:49], s[4:5], 1, v[0:1]
	s_cselect_b32 s4, s11, 0x7c0
	s_ashr_i32 s5, s4, 31
	v_lshl_add_u64 v[50:51], s[4:5], 1, v[0:1]
	global_load_ushort v47, v[4:5], off
	global_load_ushort v46, v[6:7], off
	;; [unrolled: 1-line block ×8, first 2 shown]
	s_cmpk_lt_u32 s50, 0x2001
	v_mov_b32_e32 v67, 0
	v_mov_b32_e32 v65, 0
	v_mov_b32_e32 v66, 0
	v_mov_b32_e32 v63, 0
	v_mov_b32_e32 v64, 0
	v_mov_b32_e32 v61, 0
	v_mov_b32_e32 v62, 0
	v_mov_b32_e32 v59, 0
	v_mov_b32_e32 v60, 0
	v_mov_b32_e32 v57, 0
	v_mov_b32_e32 v58, 0
	v_mov_b32_e32 v55, 0
	v_mov_b32_e32 v56, 0
	v_mov_b32_e32 v53, 0
	v_mov_b32_e32 v54, 0
	v_mov_b32_e32 v52, 0
	v_mov_b32_e32 v51, 0
	v_mov_b32_e32 v49, 0
	v_mov_b32_e32 v50, 0
	v_mov_b32_e32 v48, 0
	v_mov_b32_e32 v15, 0
	v_mov_b32_e32 v14, 0
	v_mov_b32_e32 v13, 0
	v_mov_b32_e32 v12, 0
	v_mov_b32_e32 v11, 0
	v_mov_b32_e32 v10, 0
	v_mov_b32_e32 v9, 0
	v_mov_b32_e32 v8, 0
	v_mov_b32_e32 v7, 0
	v_mov_b32_e32 v6, 0
	v_mov_b32_e32 v5, 0
	v_mov_b32_e32 v4, 0
	s_cbranch_scc1 .LBB470_12
; %bb.11:
	s_cmpk_lt_u32 s50, 0x2101
	s_cselect_b32 s4, s11, 0x840
	s_ashr_i32 s5, s4, 31
	s_cmpk_lt_u32 s50, 0x2201
	v_lshl_add_u64 v[4:5], s[4:5], 1, v[0:1]
	s_cselect_b32 s4, s11, 0x880
	s_ashr_i32 s5, s4, 31
	s_cmpk_lt_u32 s50, 0x2301
	v_lshl_add_u64 v[6:7], s[4:5], 1, v[0:1]
	;; [unrolled: 4-line block ×29, first 2 shown]
	s_cselect_b32 s4, s11, 0xf80
	s_ashr_i32 s5, s4, 31
	v_lshl_add_u64 v[94:95], s[4:5], 1, v[0:1]
	s_movk_i32 s4, 0x1000
	s_cmpk_lt_u32 s50, 0x3f01
	v_add_co_u32_e32 v96, vcc, s4, v0
	s_cselect_b32 s4, s11, 0xfc0
	s_nop 0
	v_addc_co_u32_e32 v97, vcc, 0, v1, vcc
	s_ashr_i32 s5, s4, 31
	global_load_ushort v98, v[96:97], off
	global_load_ushort v99, v[4:5], off
	global_load_ushort v100, v[6:7], off
	global_load_ushort v101, v[8:9], off
	global_load_ushort v102, v[10:11], off
	global_load_ushort v103, v[12:13], off
	global_load_ushort v104, v[14:15], off
	global_load_ushort v105, v[48:49], off
	global_load_ushort v106, v[50:51], off
	global_load_ushort v107, v[52:53], off
	global_load_ushort v108, v[54:55], off
	global_load_ushort v109, v[56:57], off
	global_load_ushort v110, v[58:59], off
	global_load_ushort v111, v[60:61], off
	global_load_ushort v112, v[62:63], off
                                        ; kill: killed $vgpr60_vgpr61
                                        ; kill: killed $vgpr12_vgpr13
                                        ; kill: killed $vgpr50_vgpr51
                                        ; kill: killed $vgpr56_vgpr57
                                        ; kill: killed $vgpr8_vgpr9
                                        ; kill: killed $vgpr62_vgpr63
                                        ; kill: killed $vgpr14_vgpr15
                                        ; kill: killed $vgpr96 killed $vgpr97
                                        ; kill: killed $vgpr52_vgpr53
                                        ; kill: killed $vgpr4_vgpr5
                                        ; kill: killed $vgpr58_vgpr59
                                        ; kill: killed $vgpr10_vgpr11
                                        ; kill: killed $vgpr48_vgpr49
                                        ; kill: killed $vgpr54_vgpr55
                                        ; kill: killed $vgpr6_vgpr7
	global_load_ushort v6, v[64:65], off
	global_load_ushort v7, v[66:67], off
	;; [unrolled: 1-line block ×15, first 2 shown]
                                        ; kill: killed $vgpr92_vgpr93
                                        ; kill: killed $vgpr76_vgpr77
                                        ; kill: killed $vgpr82_vgpr83
                                        ; kill: killed $vgpr66_vgpr67
                                        ; kill: killed $vgpr88_vgpr89
                                        ; kill: killed $vgpr72_vgpr73
                                        ; kill: killed $vgpr94_vgpr95
                                        ; kill: killed $vgpr78_vgpr79
                                        ; kill: killed $vgpr84_vgpr85
                                        ; kill: killed $vgpr68_vgpr69
                                        ; kill: killed $vgpr90_vgpr91
                                        ; kill: killed $vgpr74_vgpr75
                                        ; kill: killed $vgpr80_vgpr81
                                        ; kill: killed $vgpr64_vgpr65
                                        ; kill: killed $vgpr70_vgpr71
	global_load_ushort v68, v[86:87], off
	v_lshl_add_u64 v[4:5], s[4:5], 1, v[0:1]
	global_load_ushort v5, v[4:5], off
	s_waitcnt vmcnt(31)
	v_lshlrev_b32_e32 v67, 16, v98
	s_waitcnt vmcnt(30)
	v_lshlrev_b32_e32 v65, 16, v99
	;; [unrolled: 2-line block ×32, first 2 shown]
.LBB470_12:
	s_load_dwordx2 s[4:5], s[0:1], 0x0
	s_load_dwordx2 s[6:7], s[0:1], 0x38
	ds_read_b128 v[68:71], v3
	s_waitcnt vmcnt(15)
	v_lshlrev_b32_e32 v23, 16, v23
	ds_read_b128 v[72:75], v3 offset:16
	ds_read_b128 v[76:79], v3 offset:32
	;; [unrolled: 1-line block ×3, first 2 shown]
	s_waitcnt vmcnt(14)
	v_lshlrev_b32_e32 v22, 16, v22
	s_waitcnt vmcnt(13)
	v_lshlrev_b32_e32 v21, 16, v21
	s_waitcnt lgkmcnt(0)
	v_fma_f32 v23, v68, v23, 0
	v_fmac_f32_e32 v23, v69, v22
	v_fmac_f32_e32 v23, v70, v21
	s_waitcnt vmcnt(12)
	v_lshlrev_b32_e32 v20, 16, v20
	s_waitcnt vmcnt(10)
	v_lshlrev_b32_e32 v19, 16, v19
	v_lshlrev_b32_e32 v18, 16, v18
	v_fmac_f32_e32 v23, v71, v20
	v_pk_mul_f32 v[18:19], v[72:73], v[18:19]
	s_waitcnt vmcnt(8)
	v_lshlrev_b32_e32 v17, 16, v17
	v_add_f32_e32 v18, v23, v18
	v_lshlrev_b32_e32 v16, 16, v16
	v_add_f32_e32 v18, v18, v19
	v_pk_mul_f32 v[16:17], v[74:75], v[16:17]
	s_and_b64 vcc, exec, s[8:9]
	v_add_f32_e32 v16, v18, v16
	v_add_f32_e32 v18, v16, v17
	s_waitcnt vmcnt(6)
	v_lshlrev_b32_e32 v17, 16, v31
	v_lshlrev_b32_e32 v16, 16, v30
	v_pk_mul_f32 v[16:17], v[76:77], v[16:17]
	s_nop 0
	v_add_f32_e32 v16, v18, v16
	v_add_f32_e32 v18, v16, v17
	s_waitcnt vmcnt(4)
	v_lshlrev_b32_e32 v17, 16, v29
	v_lshlrev_b32_e32 v16, 16, v28
	v_pk_mul_f32 v[16:17], v[78:79], v[16:17]
	s_nop 0
	;; [unrolled: 7-line block ×4, first 2 shown]
	v_add_f32_e32 v16, v18, v16
	v_add_f32_e32 v110, v16, v17
	s_cbranch_vccz .LBB470_15
; %bb.13:
	ds_read_b128 v[16:19], v3 offset:64
	v_lshlrev_b32_e32 v39, 16, v39
	ds_read_b128 v[20:23], v3 offset:80
	ds_read_b128 v[24:27], v3 offset:96
	;; [unrolled: 1-line block ×3, first 2 shown]
	v_lshlrev_b32_e32 v3, 16, v38
	s_cmpk_lt_u32 s50, 0x2001
	s_waitcnt lgkmcnt(3)
	v_fmac_f32_e32 v110, v16, v39
	v_fmac_f32_e32 v110, v17, v3
	v_lshlrev_b32_e32 v3, 16, v37
	v_fmac_f32_e32 v110, v18, v3
	v_lshlrev_b32_e32 v3, 16, v36
	v_fmac_f32_e32 v110, v19, v3
	v_lshlrev_b32_e32 v3, 16, v35
	s_waitcnt lgkmcnt(2)
	v_fmac_f32_e32 v110, v20, v3
	v_lshlrev_b32_e32 v3, 16, v34
	v_fmac_f32_e32 v110, v21, v3
	v_lshlrev_b32_e32 v3, 16, v33
	v_fmac_f32_e32 v110, v22, v3
	v_lshlrev_b32_e32 v3, 16, v32
	v_fmac_f32_e32 v110, v23, v3
	v_lshlrev_b32_e32 v3, 16, v47
	s_waitcnt lgkmcnt(1)
	v_fmac_f32_e32 v110, v24, v3
	v_lshlrev_b32_e32 v3, 16, v46
	;; [unrolled: 9-line block ×3, first 2 shown]
	v_fmac_f32_e32 v110, v29, v3
	v_lshlrev_b32_e32 v3, 16, v41
	v_fmac_f32_e32 v110, v30, v3
	v_lshlrev_b32_e32 v3, 16, v40
	v_fmac_f32_e32 v110, v31, v3
	s_cbranch_scc1 .LBB470_15
; %bb.14:
	v_mov_b32_e32 v3, 0
	ds_read_b128 v[16:19], v3 offset:128
	ds_read_b128 v[20:23], v3 offset:144
	;; [unrolled: 1-line block ×4, first 2 shown]
	s_waitcnt lgkmcnt(3)
	v_fmac_f32_e32 v110, v16, v67
	v_fmac_f32_e32 v110, v17, v65
	v_fmac_f32_e32 v110, v18, v66
	v_fmac_f32_e32 v110, v19, v63
	s_waitcnt lgkmcnt(2)
	v_fmac_f32_e32 v110, v20, v64
	v_fmac_f32_e32 v110, v21, v61
	v_fmac_f32_e32 v110, v22, v62
	v_fmac_f32_e32 v110, v23, v59
	;; [unrolled: 5-line block ×3, first 2 shown]
	ds_read_b128 v[16:19], v3 offset:192
	ds_read_b128 v[20:23], v3 offset:208
	s_waitcnt lgkmcnt(2)
	v_fmac_f32_e32 v110, v28, v56
	v_fmac_f32_e32 v110, v29, v53
	;; [unrolled: 1-line block ×4, first 2 shown]
	s_waitcnt lgkmcnt(1)
	v_fmac_f32_e32 v110, v16, v51
	v_fmac_f32_e32 v110, v17, v49
	;; [unrolled: 1-line block ×4, first 2 shown]
	s_waitcnt lgkmcnt(0)
	v_pk_mul_f32 v[14:15], v[20:21], v[14:15]
	v_pk_mul_f32 v[12:13], v[22:23], v[12:13]
	v_add_f32_e32 v14, v110, v14
	v_add_f32_e32 v18, v14, v15
	ds_read_b128 v[14:17], v3 offset:224
	v_add_f32_e32 v12, v18, v12
	ds_read_b128 v[18:21], v3 offset:240
	v_add_f32_e32 v12, v12, v13
	s_waitcnt lgkmcnt(1)
	v_pk_mul_f32 v[10:11], v[14:15], v[10:11]
	s_nop 0
	v_add_f32_e32 v3, v12, v10
	v_add_f32_e32 v3, v3, v11
	v_pk_mul_f32 v[8:9], v[16:17], v[8:9]
	s_waitcnt lgkmcnt(0)
	v_pk_mul_f32 v[6:7], v[18:19], v[6:7]
	v_add_f32_e32 v3, v3, v8
	v_add_f32_e32 v3, v3, v9
	;; [unrolled: 1-line block ×4, first 2 shown]
	v_pk_mul_f32 v[4:5], v[20:21], v[4:5]
	s_nop 0
	v_add_f32_e32 v3, v3, v4
	v_add_f32_e32 v110, v3, v5
.LBB470_15:
	s_movk_i32 s0, 0x1fc0
	s_movk_i32 s1, 0x100
	s_mov_b32 s8, 64
	s_branch .LBB470_17
.LBB470_16:                             ;   in Loop: Header=BB470_17 Depth=1
	s_addk_i32 s0, 0x1000
	s_addk_i32 s1, 0x100
	s_add_i32 s8, s8, 64
	s_cmpk_eq_u32 s0, 0xbfc0
	s_cbranch_scc1 .LBB470_19
.LBB470_17:                             ; =>This Inner Loop Header: Depth=1
	s_cmp_le_i32 s33, s8
	s_cbranch_scc1 .LBB470_16
; %bb.18:                               ;   in Loop: Header=BB470_17 Depth=1
	s_add_i32 s9, s0, 0xfffff040
	s_cmp_lt_i32 s9, s10
	s_cselect_b32 s12, s9, s11
	s_ashr_i32 s13, s12, 31
	s_add_i32 s9, s0, 0xfffff080
	s_cmp_lt_i32 s9, s10
	v_lshl_add_u64 v[44:45], s[12:13], 1, v[0:1]
	s_cselect_b32 s12, s9, s11
	s_ashr_i32 s13, s12, 31
	s_add_i32 s9, s0, 0xfffff0c0
	s_cmp_lt_i32 s9, s10
	v_lshl_add_u64 v[4:5], s[12:13], 1, v[0:1]
	;; [unrolled: 5-line block ×14, first 2 shown]
	s_cselect_b32 s12, s9, s11
	s_ashr_i32 s13, s12, 31
	s_add_i32 s9, s0, 0xfffff400
	s_cmp_lt_i32 s9, s10
	global_load_ushort v3, v[44:45], off
	global_load_ushort v120, v[46:47], off
	v_lshl_add_u64 v[60:61], s[12:13], 1, v[0:1]
	s_cselect_b32 s12, s9, s11
	global_load_ushort v111, v[4:5], off
	global_load_ushort v112, v[6:7], off
	;; [unrolled: 1-line block ×7, first 2 shown]
	s_ashr_i32 s13, s12, 31
	s_add_i32 s9, s0, 0xfffff440
	s_cmp_lt_i32 s9, s10
	v_lshl_add_u64 v[66:67], s[12:13], 1, v[0:1]
	s_cselect_b32 s12, s9, s11
	s_ashr_i32 s13, s12, 31
	s_add_i32 s9, s0, 0xfffff480
	s_cmp_lt_i32 s9, s10
	v_lshl_add_u64 v[62:63], s[12:13], 1, v[0:1]
	s_cselect_b32 s12, s9, s11
	;; [unrolled: 5-line block ×14, first 2 shown]
	s_ashr_i32 s13, s12, 31
	s_add_i32 s9, s0, 0xfffff7c0
	global_load_ushort v118, v[28:29], off
	global_load_ushort v119, v[30:31], off
	s_cmp_lt_i32 s9, s10
	v_lshl_add_u64 v[26:27], s[12:13], 1, v[0:1]
	s_cselect_b32 s12, s9, s11
	s_ashr_i32 s13, s12, 31
	s_add_i32 s9, s0, 0xfffff800
	s_cmp_lt_i32 s9, s10
	v_lshl_add_u64 v[52:53], s[12:13], 1, v[0:1]
	s_cselect_b32 s12, s9, s11
	global_load_ushort v121, v[54:55], off
	global_load_ushort v122, v[56:57], off
	s_ashr_i32 s13, s12, 31
	global_load_ushort v58, v[58:59], off
	s_add_i32 s9, s0, 0xfffff840
	s_cmp_lt_i32 s9, s10
	v_lshl_add_u64 v[64:65], s[12:13], 1, v[0:1]
	s_cselect_b32 s12, s9, s11
	global_load_ushort v59, v[60:61], off
	s_ashr_i32 s13, s12, 31
	s_add_i32 s9, s0, 0xfffff880
	global_load_ushort v60, v[66:67], off
	global_load_ushort v61, v[62:63], off
	s_cmp_lt_i32 s9, s10
	v_lshl_add_u64 v[68:69], s[12:13], 1, v[0:1]
	s_cselect_b32 s12, s9, s11
	s_ashr_i32 s13, s12, 31
	s_add_i32 s9, s0, 0xfffff8c0
	s_cmp_lt_i32 s9, s10
	v_lshl_add_u64 v[70:71], s[12:13], 1, v[0:1]
	s_cselect_b32 s12, s9, s11
	s_ashr_i32 s13, s12, 31
	s_add_i32 s9, s0, 0xfffff900
	;; [unrolled: 5-line block ×3, first 2 shown]
	s_cmp_lt_i32 s9, s10
	v_lshl_add_u64 v[74:75], s[12:13], 1, v[0:1]
	s_cselect_b32 s12, s9, s11
	global_load_ushort v62, v[22:23], off
	s_ashr_i32 s13, s12, 31
	s_add_i32 s9, s0, 0xfffff980
	global_load_ushort v66, v[32:33], off
	global_load_ushort v123, v[34:35], off
	;; [unrolled: 1-line block ×4, first 2 shown]
	s_cmp_lt_i32 s9, s10
	v_lshl_add_u64 v[76:77], s[12:13], 1, v[0:1]
	s_cselect_b32 s12, s9, s11
	global_load_ushort v67, v[48:49], off
	s_ashr_i32 s13, s12, 31
	s_add_i32 s9, s0, 0xfffff9c0
	s_cmp_lt_i32 s9, s10
	v_lshl_add_u64 v[78:79], s[12:13], 1, v[0:1]
	s_cselect_b32 s12, s9, s11
	s_ashr_i32 s13, s12, 31
	s_add_i32 s9, s0, 0xfffffa00
	s_cmp_lt_i32 s9, s10
	v_lshl_add_u64 v[80:81], s[12:13], 1, v[0:1]
	s_cselect_b32 s12, s9, s11
	s_ashr_i32 s13, s12, 31
	s_add_i32 s9, s0, 0xfffffa40
	s_cmp_lt_i32 s9, s10
	v_mov_b32_e32 v124, s1
	v_lshl_add_u64 v[82:83], s[12:13], 1, v[0:1]
	s_cselect_b32 s12, s9, s11
	ds_read_b128 v[30:33], v124
	ds_read_b128 v[34:37], v124 offset:16
	global_load_ushort v50, v[50:51], off
	s_ashr_i32 s13, s12, 31
	s_add_i32 s9, s0, 0xfffffa80
	s_cmp_lt_i32 s9, s10
	v_lshl_add_u64 v[84:85], s[12:13], 1, v[0:1]
	s_cselect_b32 s12, s9, s11
	ds_read_b128 v[46:49], v124 offset:32
	ds_read_b128 v[54:57], v124 offset:48
	global_load_ushort v38, v[38:39], off
	s_ashr_i32 s13, s12, 31
	s_waitcnt vmcnt(24)
	v_lshlrev_b32_e32 v3, 16, v3
	v_lshl_add_u64 v[86:87], s[12:13], 1, v[0:1]
	global_load_ushort v51, v[86:87], off
	s_waitcnt lgkmcnt(3)
	v_fmac_f32_e32 v110, v30, v3
	s_waitcnt vmcnt(23)
	v_lshlrev_b32_e32 v3, 16, v111
	v_fmac_f32_e32 v110, v31, v3
	s_waitcnt vmcnt(22)
	v_lshlrev_b32_e32 v3, 16, v112
	global_load_ushort v39, v[18:19], off
	v_fmac_f32_e32 v110, v32, v3
	s_waitcnt vmcnt(22)
	v_lshlrev_b32_e32 v3, 16, v113
	v_fmac_f32_e32 v110, v33, v3
	s_waitcnt vmcnt(21)
	v_lshlrev_b32_e32 v3, 16, v114
	s_waitcnt lgkmcnt(2)
	v_fmac_f32_e32 v110, v34, v3
	global_load_ushort v3, v[20:21], off
	global_load_ushort v34, v[40:41], off
	s_add_i32 s9, s0, 0xfffffac0
	global_load_ushort v26, v[26:27], off
	s_waitcnt vmcnt(23)
	v_lshlrev_b32_e32 v18, 16, v115
	v_fmac_f32_e32 v110, v35, v18
	global_load_ushort v35, v[42:43], off
	global_load_ushort v27, v[52:53], off
	s_cmp_lt_i32 s9, s10
	s_cselect_b32 s12, s9, s11
	s_ashr_i32 s13, s12, 31
	s_add_i32 s9, s0, 0xfffffb00
	s_cmp_lt_i32 s9, s10
	v_lshl_add_u64 v[88:89], s[12:13], 1, v[0:1]
	s_cselect_b32 s12, s9, s11
	s_ashr_i32 s13, s12, 31
	s_add_i32 s9, s0, 0xfffffb40
	s_cmp_lt_i32 s9, s10
	v_lshl_add_u64 v[90:91], s[12:13], 1, v[0:1]
	;; [unrolled: 5-line block ×6, first 2 shown]
	s_cselect_b32 s12, s9, s11
	s_ashr_i32 s13, s12, 31
	s_add_i32 s9, s0, 0xfffffc80
	s_waitcnt vmcnt(24)
	v_lshlrev_b32_e32 v18, 16, v116
	s_cmp_lt_i32 s9, s10
	v_fmac_f32_e32 v110, v36, v18
	global_load_ushort v36, v[64:65], off
	s_waitcnt vmcnt(24)
	v_lshlrev_b32_e32 v18, 16, v117
	v_lshl_add_u64 v[102:103], s[12:13], 1, v[0:1]
	s_cselect_b32 s12, s9, s11
	v_fmac_f32_e32 v110, v37, v18
	global_load_ushort v37, v[68:69], off
	global_load_ushort v40, v[70:71], off
	;; [unrolled: 1-line block ×3, first 2 shown]
	s_waitcnt vmcnt(26)
	v_lshlrev_b32_e32 v18, 16, v118
	s_ashr_i32 s13, s12, 31
	s_add_i32 s9, s0, 0xfffffcc0
	s_waitcnt lgkmcnt(1)
	v_fmac_f32_e32 v110, v46, v18
	global_load_ushort v46, v[78:79], off
	s_waitcnt vmcnt(26)
	v_lshlrev_b32_e32 v18, 16, v119
	s_cmp_lt_i32 s9, s10
	v_fmac_f32_e32 v110, v47, v18
	v_lshlrev_b32_e32 v18, 16, v120
	v_lshl_add_u64 v[104:105], s[12:13], 1, v[0:1]
	s_cselect_b32 s12, s9, s11
	v_fmac_f32_e32 v110, v48, v18
	global_load_ushort v48, v[82:83], off
	global_load_ushort v42, v[74:75], off
	;; [unrolled: 1-line block ×4, first 2 shown]
	s_ashr_i32 s13, s12, 31
	s_add_i32 s9, s0, 0xfffffd00
	s_cmp_lt_i32 s9, s10
	s_waitcnt vmcnt(29)
	v_lshlrev_b32_e32 v18, 16, v121
	v_lshl_add_u64 v[106:107], s[12:13], 1, v[0:1]
	s_cselect_b32 s12, s9, s11
	v_fmac_f32_e32 v110, v49, v18
	global_load_ushort v49, v[84:85], off
	global_load_ushort v53, v[88:89], off
	s_waitcnt vmcnt(30)
	v_lshlrev_b32_e32 v18, 16, v122
	s_ashr_i32 s13, s12, 31
	s_add_i32 s9, s0, 0xfffffd40
	s_waitcnt lgkmcnt(0)
	v_fmac_f32_e32 v110, v54, v18
	global_load_ushort v54, v[90:91], off
	s_waitcnt vmcnt(30)
	v_lshlrev_b32_e32 v18, 16, v58
	s_cmp_lt_i32 s9, s10
	v_fmac_f32_e32 v110, v55, v18
	s_waitcnt vmcnt(29)
	v_lshlrev_b32_e32 v18, 16, v59
	v_lshl_add_u64 v[96:97], s[12:13], 1, v[0:1]
	s_cselect_b32 s12, s9, s11
	v_fmac_f32_e32 v110, v56, v18
	s_waitcnt vmcnt(28)
	v_lshlrev_b32_e32 v18, 16, v60
	s_ashr_i32 s13, s12, 31
	s_add_i32 s9, s0, 0xfffffd80
	v_fmac_f32_e32 v110, v57, v18
	ds_read_b128 v[18:21], v124 offset:64
	ds_read_b128 v[30:33], v124 offset:80
	s_cmp_lt_i32 s9, s10
	v_lshl_add_u64 v[44:45], s[12:13], 1, v[0:1]
	s_cselect_b32 s12, s9, s11
	s_ashr_i32 s13, s12, 31
	s_add_i32 s9, s0, 0xfffffdc0
	s_cmp_lt_i32 s9, s10
	s_waitcnt vmcnt(27)
	v_lshlrev_b32_e32 v52, 16, v61
	v_lshl_add_u64 v[108:109], s[12:13], 1, v[0:1]
	s_cselect_b32 s12, s9, s11
	s_waitcnt lgkmcnt(1)
	v_fmac_f32_e32 v110, v18, v52
	global_load_ushort v52, v[92:93], off
	global_load_ushort v55, v[94:95], off
	s_ashr_i32 s13, s12, 31
	s_add_i32 s9, s0, 0xfffffe00
	s_cmp_lt_i32 s9, s10
	global_load_ushort v56, v[98:99], off
	global_load_ushort v57, v[100:101], off
	global_load_ushort v58, v[102:103], off
	global_load_ushort v59, v[104:105], off
	v_lshl_add_u64 v[4:5], s[12:13], 1, v[0:1]
	s_cselect_b32 s12, s9, s11
	s_ashr_i32 s13, s12, 31
	s_add_i32 s9, s0, 0xfffffe40
	s_cmp_lt_i32 s9, s10
	s_waitcnt vmcnt(32)
	v_lshlrev_b32_e32 v18, 16, v62
	v_lshl_add_u64 v[6:7], s[12:13], 1, v[0:1]
	s_cselect_b32 s12, s9, s11
	v_fmac_f32_e32 v110, v19, v18
	s_waitcnt vmcnt(28)
	v_lshlrev_b32_e32 v18, 16, v63
	s_ashr_i32 s13, s12, 31
	s_add_i32 s9, s0, 0xfffffe80
	v_fmac_f32_e32 v110, v20, v18
	v_lshlrev_b32_e32 v18, 16, v66
	s_cmp_lt_i32 s9, s10
	v_fmac_f32_e32 v110, v21, v18
	s_waitcnt vmcnt(27)
	v_lshlrev_b32_e32 v18, 16, v67
	v_lshl_add_u64 v[8:9], s[12:13], 1, v[0:1]
	s_cselect_b32 s12, s9, s11
	s_waitcnt lgkmcnt(0)
	v_fmac_f32_e32 v110, v30, v18
	global_load_ushort v30, v[106:107], off
	s_ashr_i32 s13, s12, 31
	s_add_i32 s9, s0, 0xfffffec0
	s_cmp_lt_i32 s9, s10
	global_load_ushort v60, v[96:97], off
	global_load_ushort v61, v[44:45], off
	;; [unrolled: 1-line block ×3, first 2 shown]
	v_lshl_add_u64 v[12:13], s[12:13], 1, v[0:1]
	s_cselect_b32 s12, s9, s11
	v_lshlrev_b32_e32 v18, 16, v123
	s_ashr_i32 s13, s12, 31
	s_add_i32 s9, s0, 0xffffff00
	v_fmac_f32_e32 v110, v31, v18
	v_lshlrev_b32_e32 v18, 16, v125
	s_cmp_lt_i32 s9, s10
	v_fmac_f32_e32 v110, v32, v18
	global_load_ushort v31, v[4:5], off
	global_load_ushort v32, v[6:7], off
	v_lshl_add_u64 v[10:11], s[12:13], 1, v[0:1]
	s_cselect_b32 s12, s9, s11
	s_ashr_i32 s13, s12, 31
	s_add_i32 s9, s0, 0xffffff40
	s_cmp_lt_i32 s9, s10
	s_waitcnt vmcnt(32)
	v_lshlrev_b32_e32 v4, 16, v50
	v_lshl_add_u64 v[28:29], s[12:13], 1, v[0:1]
	s_cselect_b32 s12, s9, s11
	v_fmac_f32_e32 v110, v33, v4
	ds_read_b128 v[4:7], v124 offset:96
	s_ashr_i32 s13, s12, 31
	s_add_i32 s9, s0, 0xffffff80
	s_cmp_lt_i32 s9, s10
	s_waitcnt vmcnt(31)
	v_lshlrev_b32_e32 v33, 16, v38
	global_load_ushort v38, v[8:9], off
	global_load_ushort v44, v[12:13], off
	v_lshl_add_u64 v[14:15], s[12:13], 1, v[0:1]
	s_cselect_b32 s12, s9, s11
	s_ashr_i32 s13, s12, 31
	s_sub_i32 s9, s0, 64
	s_cmp_lt_i32 s9, s10
	ds_read_b128 v[18:21], v124 offset:112
	s_waitcnt lgkmcnt(1)
	v_fmac_f32_e32 v110, v4, v33
	s_waitcnt vmcnt(31)
	v_lshlrev_b32_e32 v4, 16, v39
	global_load_ushort v33, v[10:11], off
	global_load_ushort v39, v[28:29], off
	v_lshl_add_u64 v[22:23], s[12:13], 1, v[0:1]
	s_cselect_b32 s12, s9, s11
	s_ashr_i32 s13, s12, 31
	s_cmp_lt_i32 s0, s10
	v_fmac_f32_e32 v110, v5, v4
	s_waitcnt vmcnt(32)
	v_lshlrev_b32_e32 v3, 16, v3
	global_load_ushort v28, v[14:15], off
	global_load_ushort v29, v[22:23], off
	v_lshl_add_u64 v[16:17], s[12:13], 1, v[0:1]
	s_cselect_b32 s12, s0, s11
	v_fmac_f32_e32 v110, v6, v3
	s_waitcnt vmcnt(33)
	v_lshlrev_b32_e32 v3, 16, v34
	s_ashr_i32 s13, s12, 31
	v_fmac_f32_e32 v110, v7, v3
	s_waitcnt vmcnt(31)
	v_lshlrev_b32_e32 v3, 16, v35
	v_lshl_add_u64 v[24:25], s[12:13], 1, v[0:1]
	s_waitcnt lgkmcnt(0)
	v_fmac_f32_e32 v110, v18, v3
	global_load_ushort v3, v[16:17], off
	global_load_ushort v14, v[24:25], off
	v_lshlrev_b32_e32 v4, 16, v26
	v_fmac_f32_e32 v110, v19, v4
	s_waitcnt vmcnt(32)
	v_lshlrev_b32_e32 v4, 16, v27
	v_fmac_f32_e32 v110, v20, v4
	ds_read_b128 v[4:7], v124 offset:128
	s_waitcnt vmcnt(31)
	v_lshlrev_b32_e32 v8, 16, v36
	v_fmac_f32_e32 v110, v21, v8
	ds_read_b128 v[8:11], v124 offset:144
	s_waitcnt vmcnt(30)
	v_lshlrev_b32_e32 v12, 16, v37
	s_waitcnt lgkmcnt(1)
	v_fmac_f32_e32 v110, v4, v12
	s_waitcnt vmcnt(29)
	v_lshlrev_b32_e32 v4, 16, v40
	v_fmac_f32_e32 v110, v5, v4
	s_waitcnt vmcnt(28)
	v_lshlrev_b32_e32 v4, 16, v41
	;; [unrolled: 3-line block ×4, first 2 shown]
	s_waitcnt lgkmcnt(0)
	v_fmac_f32_e32 v110, v8, v4
	v_lshlrev_b32_e32 v4, 16, v46
	v_fmac_f32_e32 v110, v9, v4
	s_waitcnt vmcnt(23)
	v_lshlrev_b32_e32 v4, 16, v47
	v_fmac_f32_e32 v110, v10, v4
	ds_read_b128 v[4:7], v124 offset:160
	v_lshlrev_b32_e32 v8, 16, v48
	v_fmac_f32_e32 v110, v11, v8
	ds_read_b128 v[8:11], v124 offset:176
	s_waitcnt vmcnt(22)
	v_lshlrev_b32_e32 v12, 16, v49
	s_waitcnt lgkmcnt(1)
	v_fmac_f32_e32 v110, v4, v12
	v_lshlrev_b32_e32 v4, 16, v51
	v_fmac_f32_e32 v110, v5, v4
	s_waitcnt vmcnt(21)
	v_lshlrev_b32_e32 v4, 16, v53
	v_fmac_f32_e32 v110, v6, v4
	s_waitcnt vmcnt(20)
	;; [unrolled: 3-line block ×3, first 2 shown]
	v_lshlrev_b32_e32 v4, 16, v52
	s_waitcnt lgkmcnt(0)
	v_fmac_f32_e32 v110, v8, v4
	s_waitcnt vmcnt(18)
	v_lshlrev_b32_e32 v4, 16, v55
	v_fmac_f32_e32 v110, v9, v4
	s_waitcnt vmcnt(17)
	v_lshlrev_b32_e32 v4, 16, v56
	v_fmac_f32_e32 v110, v10, v4
	ds_read_b128 v[4:7], v124 offset:192
	s_waitcnt vmcnt(16)
	v_lshlrev_b32_e32 v8, 16, v57
	v_fmac_f32_e32 v110, v11, v8
	ds_read_b128 v[8:11], v124 offset:208
	s_waitcnt vmcnt(15)
	v_lshlrev_b32_e32 v12, 16, v58
	s_waitcnt lgkmcnt(1)
	v_fmac_f32_e32 v110, v4, v12
	s_waitcnt vmcnt(14)
	v_lshlrev_b32_e32 v4, 16, v59
	v_fmac_f32_e32 v110, v5, v4
	s_waitcnt vmcnt(13)
	v_lshlrev_b32_e32 v4, 16, v30
	;; [unrolled: 3-line block ×4, first 2 shown]
	v_lshlrev_b32_e32 v4, 16, v61
	s_waitcnt lgkmcnt(0)
	v_pk_mul_f32 v[4:5], v[8:9], v[4:5]
	s_waitcnt vmcnt(6)
	v_lshlrev_b32_e32 v13, 16, v44
	v_add_f32_e32 v4, v110, v4
	v_add_f32_e32 v6, v4, v5
	v_lshlrev_b32_e32 v5, 16, v32
	v_lshlrev_b32_e32 v4, 16, v31
	v_pk_mul_f32 v[8:9], v[10:11], v[4:5]
	v_lshlrev_b32_e32 v12, 16, v38
	v_add_f32_e32 v8, v6, v8
	ds_read_b128 v[4:7], v124 offset:224
	v_add_f32_e32 v15, v8, v9
	ds_read_b128 v[8:11], v124 offset:240
	s_waitcnt lgkmcnt(1)
	v_pk_mul_f32 v[4:5], v[4:5], v[12:13]
	s_nop 0
	v_add_f32_e32 v4, v15, v4
	v_add_f32_e32 v12, v4, v5
	s_waitcnt vmcnt(4)
	v_lshlrev_b32_e32 v5, 16, v39
	v_lshlrev_b32_e32 v4, 16, v33
	v_pk_mul_f32 v[4:5], v[6:7], v[4:5]
	s_nop 0
	v_add_f32_e32 v4, v12, v4
	v_add_f32_e32 v6, v4, v5
	s_waitcnt vmcnt(2)
	v_lshlrev_b32_e32 v5, 16, v29
	v_lshlrev_b32_e32 v4, 16, v28
	s_waitcnt lgkmcnt(0)
	v_pk_mul_f32 v[4:5], v[8:9], v[4:5]
	s_nop 0
	v_add_f32_e32 v4, v6, v4
	v_add_f32_e32 v6, v4, v5
	s_waitcnt vmcnt(0)
	v_lshlrev_b32_e32 v5, 16, v14
	v_lshlrev_b32_e32 v4, 16, v3
	v_pk_mul_f32 v[4:5], v[10:11], v[4:5]
	s_nop 0
	v_add_f32_e32 v3, v6, v4
	v_add_f32_e32 v110, v3, v5
	s_branch .LBB470_16
.LBB470_19:
	v_mov_b32_e32 v0, 0
	ds_read_b32 v0, v0 offset:2816
	s_cmp_lg_u64 s[6:7], 0
	s_cbranch_scc0 .LBB470_28
; %bb.20:
	s_load_dword s6, s[6:7], 0x0
	s_waitcnt lgkmcnt(0)
	v_div_scale_f32 v1, s[0:1], s6, s6, 1.0
	v_rcp_f32_e32 v3, v1
	v_div_scale_f32 v4, vcc, 1.0, s6, 1.0
	v_fma_f32 v5, -v1, v3, 1.0
	v_fmac_f32_e32 v3, v5, v3
	v_mul_f32_e32 v5, v4, v3
	v_fma_f32 v6, -v1, v5, v4
	v_fmac_f32_e32 v5, v6, v3
	v_fma_f32 v1, -v1, v5, v4
	v_div_fmas_f32 v1, v1, v3, v5
	v_div_fixup_f32 v1, v1, s6, 1.0
	s_andn2_b64 vcc, exec, s[40:41]
	s_cbranch_vccnz .LBB470_22
.LBB470_21:
	s_add_u32 s0, s34, s42
	s_addc_u32 s1, s35, s43
	s_load_dword s26, s[0:1], 0x0
	s_mov_b32 s27, 0
.LBB470_22:
	s_waitcnt lgkmcnt(0)
	v_add_f32_e32 v0, 0x358637bd, v0
	v_div_scale_f32 v3, s[0:1], v0, v0, 1.0
	v_rcp_f32_e32 v4, v3
	v_div_scale_f32 v5, vcc, 1.0, v0, 1.0
	s_mov_b32 s0, 0x7f800000
	v_fma_f32 v6, -v3, v4, 1.0
	v_fmac_f32_e32 v4, v6, v4
	v_mul_f32_e32 v6, v5, v4
	v_fma_f32 v7, -v3, v6, v5
	v_fmac_f32_e32 v6, v7, v4
	v_fma_f32 v3, -v3, v6, v5
	v_div_fmas_f32 v3, v3, v4, v6
	v_div_fixup_f32 v0, v3, v0, 1.0
	v_mul_f32_e32 v0, v110, v0
	v_mul_f32_e32 v1, v0, v1
	v_and_b32_e32 v0, 0x7f800000, v1
	v_cmp_ne_u32_e32 vcc, s0, v0
                                        ; implicit-def: $vgpr0
	s_and_saveexec_b64 s[0:1], vcc
	s_xor_b64 s[0:1], exec, s[0:1]
; %bb.23:
	v_bfe_u32 v0, v1, 16, 1
	s_movk_i32 s6, 0x7fff
	v_add3_u32 v0, v1, v0, s6
                                        ; implicit-def: $vgpr1
; %bb.24:
	s_andn2_saveexec_b64 s[0:1], s[0:1]
; %bb.25:
	v_mov_b32_e32 v0, 0
	v_or_b32_e32 v3, 0x10000, v1
	v_cmp_eq_u32_sdwa vcc, v1, v0 src0_sel:WORD_0 src1_sel:DWORD
	s_nop 1
	v_cndmask_b32_e32 v0, v3, v1, vcc
; %bb.26:
	s_or_b64 exec, exec, s[0:1]
	s_mul_i32 s0, s3, s27
	s_mul_hi_u32 s1, s3, s26
	s_add_i32 s1, s1, s0
	s_mul_i32 s0, s3, s26
	s_lshl_b64 s[0:1], s[0:1], 7
	s_add_u32 s4, s4, s0
	s_mov_b32 s3, 0
	s_addc_u32 s5, s5, s1
	s_lshl_b64 s[0:1], s[2:3], 7
	s_add_u32 s0, s4, s0
	s_addc_u32 s1, s5, s1
	global_store_short_d16_hi v2, v0, s[0:1]
	s_endpgm
.LBB470_27:
	s_mov_b64 s[6:7], 0
	s_branch .LBB470_2
.LBB470_28:
	v_mov_b32_e32 v1, 1.0
	s_andn2_b64 vcc, exec, s[40:41]
	s_cbranch_vccz .LBB470_21
	s_branch .LBB470_22
	.section	.rodata,"a",@progbits
	.p2align	6, 0x0
	.amdhsa_kernel _Z35paged_attention_ll4mi_reduce_kernelI14__hip_bfloat16S0_Li64ELi64ELi256ELi11EEvPT0_PKfS4_PKT_PKiS9_iS4_
		.amdhsa_group_segment_fixed_size 2820
		.amdhsa_private_segment_fixed_size 0
		.amdhsa_kernarg_size 320
		.amdhsa_user_sgpr_count 2
		.amdhsa_user_sgpr_dispatch_ptr 0
		.amdhsa_user_sgpr_queue_ptr 0
		.amdhsa_user_sgpr_kernarg_segment_ptr 1
		.amdhsa_user_sgpr_dispatch_id 0
		.amdhsa_user_sgpr_kernarg_preload_length 0
		.amdhsa_user_sgpr_kernarg_preload_offset 0
		.amdhsa_user_sgpr_private_segment_size 0
		.amdhsa_uses_dynamic_stack 0
		.amdhsa_enable_private_segment 0
		.amdhsa_system_sgpr_workgroup_id_x 1
		.amdhsa_system_sgpr_workgroup_id_y 1
		.amdhsa_system_sgpr_workgroup_id_z 0
		.amdhsa_system_sgpr_workgroup_info 0
		.amdhsa_system_vgpr_workitem_id 0
		.amdhsa_next_free_vgpr 126
		.amdhsa_next_free_sgpr 51
		.amdhsa_accum_offset 128
		.amdhsa_reserve_vcc 1
		.amdhsa_float_round_mode_32 0
		.amdhsa_float_round_mode_16_64 0
		.amdhsa_float_denorm_mode_32 3
		.amdhsa_float_denorm_mode_16_64 3
		.amdhsa_dx10_clamp 1
		.amdhsa_ieee_mode 1
		.amdhsa_fp16_overflow 0
		.amdhsa_tg_split 0
		.amdhsa_exception_fp_ieee_invalid_op 0
		.amdhsa_exception_fp_denorm_src 0
		.amdhsa_exception_fp_ieee_div_zero 0
		.amdhsa_exception_fp_ieee_overflow 0
		.amdhsa_exception_fp_ieee_underflow 0
		.amdhsa_exception_fp_ieee_inexact 0
		.amdhsa_exception_int_div_zero 0
	.end_amdhsa_kernel
	.section	.text._Z35paged_attention_ll4mi_reduce_kernelI14__hip_bfloat16S0_Li64ELi64ELi256ELi11EEvPT0_PKfS4_PKT_PKiS9_iS4_,"axG",@progbits,_Z35paged_attention_ll4mi_reduce_kernelI14__hip_bfloat16S0_Li64ELi64ELi256ELi11EEvPT0_PKfS4_PKT_PKiS9_iS4_,comdat
.Lfunc_end470:
	.size	_Z35paged_attention_ll4mi_reduce_kernelI14__hip_bfloat16S0_Li64ELi64ELi256ELi11EEvPT0_PKfS4_PKT_PKiS9_iS4_, .Lfunc_end470-_Z35paged_attention_ll4mi_reduce_kernelI14__hip_bfloat16S0_Li64ELi64ELi256ELi11EEvPT0_PKfS4_PKT_PKiS9_iS4_
                                        ; -- End function
	.section	.AMDGPU.csdata,"",@progbits
; Kernel info:
; codeLenInByte = 9976
; NumSgprs: 57
; NumVgprs: 126
; NumAgprs: 0
; TotalNumVgprs: 126
; ScratchSize: 0
; MemoryBound: 0
; FloatMode: 240
; IeeeMode: 1
; LDSByteSize: 2820 bytes/workgroup (compile time only)
; SGPRBlocks: 7
; VGPRBlocks: 15
; NumSGPRsForWavesPerEU: 57
; NumVGPRsForWavesPerEU: 126
; AccumOffset: 128
; Occupancy: 4
; WaveLimiterHint : 1
; COMPUTE_PGM_RSRC2:SCRATCH_EN: 0
; COMPUTE_PGM_RSRC2:USER_SGPR: 2
; COMPUTE_PGM_RSRC2:TRAP_HANDLER: 0
; COMPUTE_PGM_RSRC2:TGID_X_EN: 1
; COMPUTE_PGM_RSRC2:TGID_Y_EN: 1
; COMPUTE_PGM_RSRC2:TGID_Z_EN: 0
; COMPUTE_PGM_RSRC2:TIDIG_COMP_CNT: 0
; COMPUTE_PGM_RSRC3_GFX90A:ACCUM_OFFSET: 31
; COMPUTE_PGM_RSRC3_GFX90A:TG_SPLIT: 0
	.section	.text._Z35paged_attention_ll4mi_reduce_kernelI14__hip_bfloat16S0_Li64ELi64ELi256ELi12EEvPT0_PKfS4_PKT_PKiS9_iS4_,"axG",@progbits,_Z35paged_attention_ll4mi_reduce_kernelI14__hip_bfloat16S0_Li64ELi64ELi256ELi12EEvPT0_PKfS4_PKT_PKiS9_iS4_,comdat
	.protected	_Z35paged_attention_ll4mi_reduce_kernelI14__hip_bfloat16S0_Li64ELi64ELi256ELi12EEvPT0_PKfS4_PKT_PKiS9_iS4_ ; -- Begin function _Z35paged_attention_ll4mi_reduce_kernelI14__hip_bfloat16S0_Li64ELi64ELi256ELi12EEvPT0_PKfS4_PKT_PKiS9_iS4_
	.globl	_Z35paged_attention_ll4mi_reduce_kernelI14__hip_bfloat16S0_Li64ELi64ELi256ELi12EEvPT0_PKfS4_PKT_PKiS9_iS4_
	.p2align	8
	.type	_Z35paged_attention_ll4mi_reduce_kernelI14__hip_bfloat16S0_Li64ELi64ELi256ELi12EEvPT0_PKfS4_PKT_PKiS9_iS4_,@function
_Z35paged_attention_ll4mi_reduce_kernelI14__hip_bfloat16S0_Li64ELi64ELi256ELi12EEvPT0_PKfS4_PKT_PKiS9_iS4_: ; @_Z35paged_attention_ll4mi_reduce_kernelI14__hip_bfloat16S0_Li64ELi64ELi256ELi12EEvPT0_PKfS4_PKT_PKiS9_iS4_
; %bb.0:
	s_load_dwordx2 s[40:41], s[0:1], 0x28
	s_mov_b32 s34, s3
	s_mov_b64 s[4:5], 0
	s_waitcnt lgkmcnt(0)
	s_cmp_lg_u64 s[40:41], 0
	s_cselect_b64 s[42:43], -1, 0
	s_and_b64 vcc, exec, s[42:43]
	s_cbranch_vccz .LBB471_27
; %bb.1:
	s_add_i32 s6, s34, 1
	s_mov_b32 s7, 0
	s_lshl_b64 s[8:9], s[6:7], 2
	s_add_u32 s8, s40, s8
	s_mov_b32 s35, s7
	s_addc_u32 s9, s41, s9
	s_lshl_b64 s[6:7], s[34:35], 2
	s_add_u32 s6, s40, s6
	s_addc_u32 s7, s41, s7
	s_load_dword s3, s[8:9], 0x0
	s_load_dword s10, s[6:7], 0x0
	s_waitcnt lgkmcnt(0)
	s_sub_i32 s3, s3, s10
	s_cmp_eq_u32 s3, 1
	s_cselect_b64 s[6:7], -1, 0
	s_andn2_b64 vcc, exec, s[4:5]
	s_cbranch_vccnz .LBB471_3
.LBB471_2:
	s_mov_b32 s35, 0
	s_mov_b64 s[6:7], -1
.LBB471_3:
	s_andn2_b64 vcc, exec, s[6:7]
	s_cbranch_vccz .LBB471_5
; %bb.4:
	s_endpgm
.LBB471_5:
	s_load_dwordx4 s[28:31], s[0:1], 0x18
	s_load_dword s8, s[0:1], 0x30
	s_lshl_b64 s[44:45], s[34:35], 2
	v_cmp_lt_u32_e32 vcc, 63, v0
	s_waitcnt lgkmcnt(0)
	s_add_u32 s4, s30, s44
	s_addc_u32 s5, s31, s45
	s_load_dword s52, s[4:5], 0x0
	s_load_dword s3, s[0:1], 0x40
	s_mul_i32 s30, s2, s8
	s_mul_i32 s6, s34, s8
	s_waitcnt lgkmcnt(0)
	s_add_i32 s7, s52, 0xff
	s_ashr_i32 s4, s7, 31
	s_lshr_b32 s4, s4, 24
	s_add_i32 s7, s7, s4
	s_and_saveexec_b64 s[4:5], vcc
	s_xor_b64 s[4:5], exec, s[4:5]
	s_or_saveexec_b64 s[46:47], s[4:5]
	s_ashr_i32 s33, s7, 8
	v_mov_b32_e32 v1, s30
	s_mul_i32 s48, s6, s3
	s_xor_b64 exec, exec, s[46:47]
	s_cbranch_execz .LBB471_9
; %bb.6:
	s_add_i32 s4, s33, -1
	v_or_b32_e32 v3, 64, v0
	v_mov_b32_e32 v1, s4
	v_cmp_gt_u32_e64 s[22:23], s33, v3
	s_load_dwordx4 s[36:39], s[0:1], 0x8
	s_mov_b32 s49, 0
	v_cndmask_b32_e64 v4, v1, v3, s[22:23]
	v_or_b32_e32 v3, 0x80, v0
	v_cmp_gt_u32_e64 s[20:21], s33, v3
	s_lshl_b64 s[50:51], s[48:49], 2
	s_mov_b32 s31, s49
	v_cndmask_b32_e64 v6, v1, v3, s[20:21]
	v_or_b32_e32 v3, 0xc0, v0
	v_cmp_gt_u32_e64 s[18:19], s33, v3
	v_cmp_gt_u32_e64 s[24:25], s33, v0
	s_waitcnt lgkmcnt(0)
	s_add_u32 s26, s38, s50
	v_cndmask_b32_e64 v8, v1, v3, s[18:19]
	v_or_b32_e32 v3, 0x100, v0
	v_cmp_gt_u32_e64 s[16:17], s33, v3
	v_cndmask_b32_e64 v2, v1, v0, s[24:25]
	s_addc_u32 s27, s39, s51
	v_cndmask_b32_e64 v10, v1, v3, s[16:17]
	v_or_b32_e32 v3, 0x140, v0
	v_cmp_gt_u32_e64 s[14:15], s33, v3
	s_lshl_b64 s[38:39], s[30:31], 2
	s_add_u32 s26, s26, s38
	v_cndmask_b32_e64 v12, v1, v3, s[14:15]
	v_or_b32_e32 v3, 0x180, v0
	v_cmp_gt_u32_e64 s[12:13], s33, v3
	v_ashrrev_i32_e32 v11, 31, v10
	v_ashrrev_i32_e32 v13, 31, v12
	v_cndmask_b32_e64 v14, v1, v3, s[12:13]
	v_or_b32_e32 v3, 0x1c0, v0
	v_cmp_gt_u32_e64 s[10:11], s33, v3
	s_addc_u32 s27, s27, s39
	v_ashrrev_i32_e32 v5, 31, v4
	v_cndmask_b32_e64 v16, v1, v3, s[10:11]
	v_or_b32_e32 v3, 0x200, v0
	v_cmp_gt_u32_e64 s[8:9], s33, v3
	v_ashrrev_i32_e32 v7, 31, v6
	v_ashrrev_i32_e32 v9, 31, v8
	v_cndmask_b32_e64 v18, v1, v3, s[8:9]
	v_or_b32_e32 v3, 0x240, v0
	v_cmp_gt_u32_e64 s[6:7], s33, v3
	v_lshlrev_b64 v[10:11], 2, v[10:11]
	v_lshlrev_b64 v[12:13], 2, v[12:13]
	v_cndmask_b32_e64 v20, v1, v3, s[6:7]
	v_or_b32_e32 v3, 0x280, v0
	v_cmp_gt_u32_e64 s[4:5], s33, v3
	v_ashrrev_i32_e32 v15, 31, v14
	v_ashrrev_i32_e32 v17, 31, v16
	v_cndmask_b32_e64 v22, v1, v3, s[4:5]
	v_or_b32_e32 v3, 0x2c0, v0
	v_cmp_gt_u32_e32 vcc, s33, v3
	v_lshlrev_b64 v[4:5], 2, v[4:5]
	v_lshlrev_b64 v[6:7], 2, v[6:7]
	v_cndmask_b32_e32 v24, v1, v3, vcc
	v_ashrrev_i32_e32 v3, 31, v2
	v_lshlrev_b64 v[2:3], 2, v[2:3]
	v_lshl_add_u64 v[26:27], s[26:27], 0, v[2:3]
	v_lshlrev_b64 v[8:9], 2, v[8:9]
	v_lshl_add_u64 v[34:35], s[26:27], 0, v[10:11]
	v_lshl_add_u64 v[36:37], s[26:27], 0, v[12:13]
	v_lshlrev_b64 v[14:15], 2, v[14:15]
	v_lshlrev_b64 v[16:17], 2, v[16:17]
	v_ashrrev_i32_e32 v19, 31, v18
	v_ashrrev_i32_e32 v21, 31, v20
	v_lshl_add_u64 v[28:29], s[26:27], 0, v[4:5]
	v_lshl_add_u64 v[30:31], s[26:27], 0, v[6:7]
	;; [unrolled: 1-line block ×5, first 2 shown]
	global_load_dword v1, v[26:27], off
	global_load_dword v42, v[28:29], off
	;; [unrolled: 1-line block ×4, first 2 shown]
	s_nop 0
	global_load_dword v34, v[34:35], off
	s_nop 0
	global_load_dword v35, v[36:37], off
	;; [unrolled: 2-line block ×3, first 2 shown]
	global_load_dword v37, v[40:41], off
	v_lshlrev_b64 v[18:19], 2, v[18:19]
	v_lshlrev_b64 v[20:21], 2, v[20:21]
	v_ashrrev_i32_e32 v23, 31, v22
	v_ashrrev_i32_e32 v25, 31, v24
	v_lshl_add_u64 v[26:27], s[26:27], 0, v[18:19]
	v_lshl_add_u64 v[28:29], s[26:27], 0, v[20:21]
	v_lshlrev_b64 v[22:23], 2, v[22:23]
	v_lshlrev_b64 v[24:25], 2, v[24:25]
	v_lshl_add_u64 v[30:31], s[26:27], 0, v[22:23]
	v_lshl_add_u64 v[32:33], s[26:27], 0, v[24:25]
	global_load_dword v26, v[26:27], off
	s_nop 0
	global_load_dword v27, v[28:29], off
	s_nop 0
	global_load_dword v28, v[30:31], off
	global_load_dword v29, v[32:33], off
	s_mov_b32 s31, 0x3fb8aa3b
	s_waitcnt vmcnt(11)
	v_max_f32_e32 v31, v1, v1
	s_waitcnt vmcnt(10)
	v_max_f32_e32 v30, v42, v42
	v_max_f32_e32 v30, v31, v30
	v_mbcnt_lo_u32_b32 v31, -1, 0
	v_mbcnt_hi_u32_b32 v31, -1, v31
	s_waitcnt vmcnt(8)
	v_max3_f32 v30, v30, v43, v44
	v_and_b32_e32 v32, 64, v31
	s_waitcnt vmcnt(6)
	v_max3_f32 v30, v30, v34, v35
	v_add_u32_e32 v32, 64, v32
	v_xor_b32_e32 v33, 32, v31
	s_waitcnt vmcnt(4)
	v_max3_f32 v30, v30, v36, v37
	v_cmp_lt_i32_e64 s[26:27], v33, v32
	s_waitcnt vmcnt(2)
	v_max3_f32 v30, v30, v26, v27
	v_cndmask_b32_e64 v33, v31, v33, s[26:27]
	s_waitcnt vmcnt(0)
	v_max3_f32 v30, v30, v28, v29
	v_lshlrev_b32_e32 v33, 2, v33
	ds_bpermute_b32 v38, v33, v30
	s_waitcnt lgkmcnt(0)
	v_max_f32_e32 v38, v38, v38
	v_max_f32_e32 v30, v30, v38
	v_xor_b32_e32 v38, 16, v31
	v_cmp_lt_i32_e64 s[26:27], v38, v32
	s_nop 1
	v_cndmask_b32_e64 v38, v31, v38, s[26:27]
	v_lshlrev_b32_e32 v38, 2, v38
	ds_bpermute_b32 v39, v38, v30
	s_waitcnt lgkmcnt(0)
	v_max_f32_e32 v39, v39, v39
	v_max_f32_e32 v30, v30, v39
	v_xor_b32_e32 v39, 8, v31
	v_cmp_lt_i32_e64 s[26:27], v39, v32
	s_nop 1
	v_cndmask_b32_e64 v39, v31, v39, s[26:27]
	v_lshlrev_b32_e32 v39, 2, v39
	ds_bpermute_b32 v40, v39, v30
	s_add_u32 s26, s36, s50
	s_addc_u32 s27, s37, s51
	s_add_u32 s36, s26, s38
	s_addc_u32 s37, s27, s39
	s_waitcnt lgkmcnt(0)
	v_max_f32_e32 v40, v40, v40
	v_lshl_add_u64 v[2:3], s[36:37], 0, v[2:3]
	v_max_f32_e32 v30, v30, v40
	global_load_dword v40, v[2:3], off
	v_xor_b32_e32 v2, 4, v31
	v_cmp_lt_i32_e64 s[26:27], v2, v32
	s_nop 1
	v_cndmask_b32_e64 v2, v31, v2, s[26:27]
	v_lshlrev_b32_e32 v41, 2, v2
	ds_bpermute_b32 v2, v41, v30
	s_waitcnt lgkmcnt(0)
	v_max_f32_e32 v2, v2, v2
	v_max_f32_e32 v30, v30, v2
	v_xor_b32_e32 v2, 2, v31
	v_cmp_lt_i32_e64 s[26:27], v2, v32
	s_nop 1
	v_cndmask_b32_e64 v45, v31, v2, s[26:27]
	v_lshl_add_u64 v[2:3], s[36:37], 0, v[4:5]
	v_lshlrev_b32_e32 v45, 2, v45
	global_load_dword v46, v[2:3], off
	ds_bpermute_b32 v2, v45, v30
	v_lshl_add_u64 v[4:5], s[36:37], 0, v[8:9]
	v_lshl_add_u64 v[8:9], s[36:37], 0, v[14:15]
	s_waitcnt lgkmcnt(0)
	v_max_f32_e32 v2, v2, v2
	v_max_f32_e32 v30, v30, v2
	v_xor_b32_e32 v2, 1, v31
	v_cmp_lt_i32_e64 s[26:27], v2, v32
	s_nop 1
	v_cndmask_b32_e64 v2, v31, v2, s[26:27]
	v_lshlrev_b32_e32 v31, 2, v2
	v_lshl_add_u64 v[2:3], s[36:37], 0, v[6:7]
	global_load_dword v47, v[2:3], off
	v_lshl_add_u64 v[2:3], s[36:37], 0, v[10:11]
	v_lshl_add_u64 v[6:7], s[36:37], 0, v[12:13]
	;; [unrolled: 1-line block ×3, first 2 shown]
	global_load_dword v12, v[4:5], off
	global_load_dword v13, v[2:3], off
	;; [unrolled: 1-line block ×5, first 2 shown]
	ds_bpermute_b32 v32, v31, v30
	v_lshl_add_u64 v[2:3], s[36:37], 0, v[18:19]
	v_lshl_add_u64 v[4:5], s[36:37], 0, v[20:21]
	;; [unrolled: 1-line block ×4, first 2 shown]
	s_waitcnt lgkmcnt(0)
	v_max_f32_e32 v10, v32, v32
	v_max_f32_e32 v10, v30, v10
	v_sub_f32_e32 v1, v1, v10
	v_mul_f32_e32 v11, 0x3fb8aa3b, v1
	v_fma_f32 v17, v1, s31, -v11
	v_rndne_f32_e32 v18, v11
	v_fmac_f32_e32 v17, 0x32a5705f, v1
	v_sub_f32_e32 v11, v11, v18
	v_add_f32_e32 v11, v11, v17
	v_cvt_i32_f32_e32 v17, v18
	global_load_dword v18, v[2:3], off
	global_load_dword v19, v[4:5], off
	;; [unrolled: 1-line block ×4, first 2 shown]
	v_sub_f32_e32 v4, v42, v10
	v_mul_f32_e32 v5, 0x3fb8aa3b, v4
	v_fma_f32 v6, v4, s31, -v5
	v_rndne_f32_e32 v7, v5
	v_exp_f32_e32 v11, v11
	v_fmac_f32_e32 v6, 0x32a5705f, v4
	v_sub_f32_e32 v5, v5, v7
	v_add_f32_e32 v5, v5, v6
	v_exp_f32_e32 v5, v5
	v_cvt_i32_f32_e32 v6, v7
	s_mov_b32 s36, 0xc2ce8ed0
	v_ldexp_f32 v2, v11, v17
	v_cmp_ngt_f32_e64 s[26:27], s36, v1
	s_mov_b32 s37, 0x42b17218
	v_mov_b32_e32 v3, 0x7f800000
	v_cndmask_b32_e64 v2, 0, v2, s[26:27]
	v_cmp_nlt_f32_e64 s[26:27], s37, v1
	s_nop 1
	v_cndmask_b32_e64 v1, v3, v2, s[26:27]
	v_ldexp_f32 v2, v5, v6
	v_sub_f32_e32 v5, v43, v10
	v_mul_f32_e32 v6, 0x3fb8aa3b, v5
	v_fma_f32 v7, v5, s31, -v6
	v_rndne_f32_e32 v8, v6
	v_fmac_f32_e32 v7, 0x32a5705f, v5
	v_sub_f32_e32 v6, v6, v8
	v_add_f32_e32 v6, v6, v7
	v_exp_f32_e32 v6, v6
	v_cvt_i32_f32_e32 v7, v8
	v_cndmask_b32_e64 v1, 0, v1, s[24:25]
	v_cmp_ngt_f32_e64 s[24:25], s36, v4
	s_waitcnt vmcnt(11)
	v_mul_f32_e32 v1, v40, v1
	v_cndmask_b32_e64 v2, 0, v2, s[24:25]
	v_cmp_nlt_f32_e64 s[24:25], s37, v4
	v_ldexp_f32 v4, v6, v7
	v_sub_f32_e32 v6, v44, v10
	v_mul_f32_e32 v7, 0x3fb8aa3b, v6
	v_fma_f32 v8, v6, s31, -v7
	v_rndne_f32_e32 v9, v7
	v_fmac_f32_e32 v8, 0x32a5705f, v6
	v_sub_f32_e32 v7, v7, v9
	v_add_f32_e32 v7, v7, v8
	v_exp_f32_e32 v7, v7
	v_cvt_i32_f32_e32 v8, v9
	v_cndmask_b32_e64 v2, v3, v2, s[24:25]
	v_cndmask_b32_e64 v2, 0, v2, s[22:23]
	v_cmp_ngt_f32_e64 s[22:23], s36, v5
	s_waitcnt vmcnt(10)
	v_mul_f32_e32 v2, v46, v2
	v_cndmask_b32_e64 v4, 0, v4, s[22:23]
	v_cmp_nlt_f32_e64 s[22:23], s37, v5
	v_ldexp_f32 v5, v7, v8
	v_sub_f32_e32 v7, v34, v10
	v_mul_f32_e32 v8, 0x3fb8aa3b, v7
	v_fma_f32 v9, v7, s31, -v8
	v_rndne_f32_e32 v11, v8
	v_fmac_f32_e32 v9, 0x32a5705f, v7
	v_sub_f32_e32 v8, v8, v11
	v_add_f32_e32 v8, v8, v9
	v_exp_f32_e32 v8, v8
	v_cvt_i32_f32_e32 v9, v11
	v_cndmask_b32_e64 v4, v3, v4, s[22:23]
	v_cndmask_b32_e64 v4, 0, v4, s[20:21]
	v_cmp_ngt_f32_e64 s[20:21], s36, v6
	s_waitcnt vmcnt(9)
	v_mul_f32_e32 v4, v47, v4
	v_cndmask_b32_e64 v5, 0, v5, s[20:21]
	v_cmp_nlt_f32_e64 s[20:21], s37, v6
	v_ldexp_f32 v6, v8, v9
	v_sub_f32_e32 v8, v35, v10
	v_cndmask_b32_e64 v5, v3, v5, s[20:21]
	v_cndmask_b32_e64 v5, 0, v5, s[18:19]
	v_mul_f32_e32 v9, 0x3fb8aa3b, v8
	s_waitcnt vmcnt(8)
	v_mul_f32_e32 v5, v12, v5
	v_fma_f32 v11, v8, s31, -v9
	v_rndne_f32_e32 v12, v9
	v_fmac_f32_e32 v11, 0x32a5705f, v8
	v_sub_f32_e32 v9, v9, v12
	v_add_f32_e32 v9, v9, v11
	v_exp_f32_e32 v9, v9
	v_cvt_i32_f32_e32 v11, v12
	v_cmp_ngt_f32_e64 s[18:19], s36, v7
	s_nop 1
	v_cndmask_b32_e64 v6, 0, v6, s[18:19]
	v_cmp_nlt_f32_e64 s[18:19], s37, v7
	v_ldexp_f32 v7, v9, v11
	v_sub_f32_e32 v9, v36, v10
	v_cndmask_b32_e64 v6, v3, v6, s[18:19]
	v_cndmask_b32_e64 v6, 0, v6, s[16:17]
	v_mul_f32_e32 v11, 0x3fb8aa3b, v9
	s_waitcnt vmcnt(7)
	v_mul_f32_e32 v6, v13, v6
	v_fma_f32 v12, v9, s31, -v11
	v_rndne_f32_e32 v13, v11
	v_fmac_f32_e32 v12, 0x32a5705f, v9
	v_sub_f32_e32 v11, v11, v13
	v_add_f32_e32 v11, v11, v12
	v_exp_f32_e32 v11, v11
	v_cvt_i32_f32_e32 v12, v13
	v_cmp_ngt_f32_e64 s[16:17], s36, v8
	s_nop 1
	;; [unrolled: 18-line block ×5, first 2 shown]
	v_cndmask_b32_e64 v11, 0, v11, s[10:11]
	v_cmp_nlt_f32_e64 s[10:11], s37, v12
	v_ldexp_f32 v12, v14, v15
	v_sub_f32_e32 v14, v28, v10
	v_mul_f32_e32 v15, 0x3fb8aa3b, v14
	v_fma_f32 v16, v14, s31, -v15
	v_rndne_f32_e32 v17, v15
	v_fmac_f32_e32 v16, 0x32a5705f, v14
	v_sub_f32_e32 v15, v15, v17
	v_add_f32_e32 v15, v15, v16
	v_exp_f32_e32 v15, v15
	v_cvt_i32_f32_e32 v16, v17
	v_cndmask_b32_e64 v11, v3, v11, s[10:11]
	v_cndmask_b32_e64 v11, 0, v11, s[8:9]
	v_cmp_ngt_f32_e64 s[8:9], s36, v13
	v_sub_f32_e32 v10, v29, v10
	s_waitcnt vmcnt(3)
	v_mul_f32_e32 v11, v18, v11
	v_cndmask_b32_e64 v12, 0, v12, s[8:9]
	v_cmp_nlt_f32_e64 s[8:9], s37, v13
	v_ldexp_f32 v13, v15, v16
	v_mul_f32_e32 v15, 0x3fb8aa3b, v10
	v_fma_f32 v16, v10, s31, -v15
	v_rndne_f32_e32 v17, v15
	v_fmac_f32_e32 v16, 0x32a5705f, v10
	v_sub_f32_e32 v15, v15, v17
	v_add_f32_e32 v15, v15, v16
	v_cndmask_b32_e64 v12, v3, v12, s[8:9]
	v_exp_f32_e32 v15, v15
	v_cvt_i32_f32_e32 v16, v17
	v_cndmask_b32_e64 v12, 0, v12, s[6:7]
	v_cmp_ngt_f32_e64 s[6:7], s36, v14
	s_waitcnt vmcnt(2)
	v_mul_f32_e32 v12, v19, v12
	v_cndmask_b32_e64 v13, 0, v13, s[6:7]
	v_cmp_nlt_f32_e64 s[6:7], s37, v14
	v_ldexp_f32 v14, v15, v16
	v_lshlrev_b32_e32 v15, 2, v0
	v_cndmask_b32_e64 v13, v3, v13, s[6:7]
	v_cndmask_b32_e64 v13, 0, v13, s[4:5]
	v_cmp_ngt_f32_e64 s[4:5], s36, v10
	s_waitcnt vmcnt(1)
	v_mul_f32_e32 v13, v20, v13
	ds_write2st64_b32 v15, v1, v2 offset1:1
	ds_write2st64_b32 v15, v4, v5 offset0:2 offset1:3
	ds_write2st64_b32 v15, v6, v7 offset0:4 offset1:5
	v_cndmask_b32_e64 v14, 0, v14, s[4:5]
	v_cmp_nlt_f32_e64 s[4:5], s37, v10
	v_add_f32_e32 v10, v1, v2
	v_add_f32_e32 v10, v10, v4
	;; [unrolled: 1-line block ×8, first 2 shown]
	v_cndmask_b32_e64 v3, v3, v14, s[4:5]
	v_add_f32_e32 v10, v10, v12
	v_cndmask_b32_e32 v3, 0, v3, vcc
	v_add_f32_e32 v10, v10, v13
	s_waitcnt vmcnt(0)
	v_fmac_f32_e32 v10, v21, v3
	ds_bpermute_b32 v14, v33, v10
	v_cmp_eq_u32_e32 vcc, 0, v0
	v_mul_f32_e32 v3, v21, v3
	ds_write2st64_b32 v15, v8, v9 offset0:6 offset1:7
	ds_write2st64_b32 v15, v11, v12 offset0:8 offset1:9
	;; [unrolled: 1-line block ×3, first 2 shown]
	s_waitcnt lgkmcnt(3)
	v_add_f32_e32 v10, v10, v14
	ds_bpermute_b32 v14, v38, v10
	s_waitcnt lgkmcnt(0)
	v_add_f32_e32 v10, v10, v14
	ds_bpermute_b32 v14, v39, v10
	;; [unrolled: 3-line block ×5, first 2 shown]
	s_and_saveexec_b64 s[4:5], vcc
	s_cbranch_execz .LBB471_8
; %bb.7:
	s_waitcnt lgkmcnt(0)
	v_add_f32_e32 v1, v1, v2
	v_mov_b32_e32 v2, 0
	ds_write_b32 v2, v1 offset:3072
.LBB471_8:
	s_or_b64 exec, exec, s[4:5]
	v_mov_b32_e32 v1, s30
.LBB471_9:
	s_or_b64 exec, exec, s[46:47]
	s_lshl_b32 s4, s48, 6
	s_mov_b32 s5, 0
	s_lshl_b64 s[4:5], s[4:5], 1
	s_add_u32 s4, s28, s4
	s_addc_u32 s5, s29, s5
	s_lshl_b32 s10, s33, 6
	s_sub_i32 s11, s10, 64
	s_waitcnt lgkmcnt(0)
	v_lshlrev_b32_e32 v2, 6, v1
	v_mov_b32_e32 v3, 0
	s_cmp_lt_i32 s52, 1
	v_lshl_add_u64 v[4:5], v[2:3], 1, s[4:5]
	s_cselect_b32 s4, s11, 0
	v_lshlrev_b32_e32 v2, 1, v0
	s_ashr_i32 s5, s4, 31
	v_lshl_add_u64 v[0:1], v[4:5], 0, v[2:3]
	s_cmpk_lt_i32 s52, 0x101
	v_lshl_add_u64 v[4:5], s[4:5], 1, v[0:1]
	s_cselect_b32 s4, s11, 64
	s_ashr_i32 s5, s4, 31
	s_cmpk_lt_i32 s52, 0x201
	v_lshl_add_u64 v[6:7], s[4:5], 1, v[0:1]
	s_cselect_b32 s4, s11, 0x80
	s_ashr_i32 s5, s4, 31
	;; [unrolled: 4-line block ×8, first 2 shown]
	s_cmpk_lt_i32 s52, 0x901
	global_load_ushort v23, v[4:5], off
	global_load_ushort v22, v[6:7], off
	;; [unrolled: 1-line block ×8, first 2 shown]
	v_lshl_add_u64 v[4:5], s[4:5], 1, v[0:1]
	s_cselect_b32 s4, s11, 0x240
	s_ashr_i32 s5, s4, 31
	s_cmpk_lt_i32 s52, 0xa01
	v_lshl_add_u64 v[6:7], s[4:5], 1, v[0:1]
	s_cselect_b32 s4, s11, 0x280
	s_ashr_i32 s5, s4, 31
	s_cmpk_lt_i32 s52, 0xb01
	;; [unrolled: 4-line block ×6, first 2 shown]
	v_lshl_add_u64 v[32:33], s[4:5], 1, v[0:1]
	s_cselect_b32 s4, s11, 0x3c0
	s_ashr_i32 s5, s4, 31
	v_lshl_add_u64 v[34:35], s[4:5], 1, v[0:1]
	global_load_ushort v30, v[4:5], off
	global_load_ushort v31, v[6:7], off
	;; [unrolled: 1-line block ×8, first 2 shown]
	s_cmpk_gt_i32 s52, 0x1000
	s_cselect_b64 s[8:9], -1, 0
	s_cmpk_lt_i32 s52, 0x1001
	v_mov_b32_e32 v40, 0
	v_mov_b32_e32 v41, 0
	;; [unrolled: 1-line block ×48, first 2 shown]
	s_waitcnt lgkmcnt(0)
	; wave barrier
	s_cbranch_scc1 .LBB471_12
; %bb.10:
	s_cmpk_lt_u32 s52, 0x1101
	s_cselect_b32 s4, s11, 0x440
	s_ashr_i32 s5, s4, 31
	s_cmpk_lt_u32 s52, 0x1201
	v_lshl_add_u64 v[4:5], s[4:5], 1, v[0:1]
	s_cselect_b32 s4, s11, 0x480
	s_ashr_i32 s5, s4, 31
	s_cmpk_lt_u32 s52, 0x1301
	v_lshl_add_u64 v[6:7], s[4:5], 1, v[0:1]
	;; [unrolled: 4-line block ×7, first 2 shown]
	s_cselect_b32 s4, s11, 0x600
	s_ashr_i32 s5, s4, 31
	s_cmpk_lt_u32 s52, 0x1901
	global_load_ushort v39, v[0:1], off offset:2048
	global_load_ushort v38, v[4:5], off
	global_load_ushort v37, v[6:7], off
	;; [unrolled: 1-line block ×7, first 2 shown]
	v_lshl_add_u64 v[4:5], s[4:5], 1, v[0:1]
	s_cselect_b32 s4, s11, 0x640
	s_ashr_i32 s5, s4, 31
	s_cmpk_lt_u32 s52, 0x1a01
	v_lshl_add_u64 v[6:7], s[4:5], 1, v[0:1]
	s_cselect_b32 s4, s11, 0x680
	s_ashr_i32 s5, s4, 31
	s_cmpk_lt_u32 s52, 0x1b01
	v_lshl_add_u64 v[8:9], s[4:5], 1, v[0:1]
	s_cselect_b32 s4, s11, 0x6c0
	s_ashr_i32 s5, s4, 31
	s_cmpk_lt_u32 s52, 0x1c01
	v_lshl_add_u64 v[10:11], s[4:5], 1, v[0:1]
	s_cselect_b32 s4, s11, 0x700
	s_ashr_i32 s5, s4, 31
	s_cmpk_lt_u32 s52, 0x1d01
	v_lshl_add_u64 v[12:13], s[4:5], 1, v[0:1]
	s_cselect_b32 s4, s11, 0x740
	s_ashr_i32 s5, s4, 31
	s_cmpk_lt_u32 s52, 0x1e01
	v_lshl_add_u64 v[14:15], s[4:5], 1, v[0:1]
	s_cselect_b32 s4, s11, 0x780
	s_ashr_i32 s5, s4, 31
	s_cmpk_lt_u32 s52, 0x1f01
	v_lshl_add_u64 v[48:49], s[4:5], 1, v[0:1]
	s_cselect_b32 s4, s11, 0x7c0
	s_ashr_i32 s5, s4, 31
	v_lshl_add_u64 v[50:51], s[4:5], 1, v[0:1]
	global_load_ushort v47, v[4:5], off
	global_load_ushort v46, v[6:7], off
	global_load_ushort v45, v[8:9], off
	global_load_ushort v44, v[10:11], off
	global_load_ushort v43, v[12:13], off
	global_load_ushort v42, v[14:15], off
	global_load_ushort v41, v[48:49], off
	global_load_ushort v40, v[50:51], off
	s_cmpk_lt_u32 s52, 0x2001
	v_mov_b32_e32 v67, 0
	v_mov_b32_e32 v65, 0
	;; [unrolled: 1-line block ×32, first 2 shown]
	s_cbranch_scc1 .LBB471_12
; %bb.11:
	s_cmpk_lt_u32 s52, 0x2101
	s_cselect_b32 s4, s11, 0x840
	s_ashr_i32 s5, s4, 31
	s_cmpk_lt_u32 s52, 0x2201
	v_lshl_add_u64 v[4:5], s[4:5], 1, v[0:1]
	s_cselect_b32 s4, s11, 0x880
	s_ashr_i32 s5, s4, 31
	s_cmpk_lt_u32 s52, 0x2301
	v_lshl_add_u64 v[6:7], s[4:5], 1, v[0:1]
	;; [unrolled: 4-line block ×29, first 2 shown]
	s_cselect_b32 s4, s11, 0xf80
	s_ashr_i32 s5, s4, 31
	v_lshl_add_u64 v[94:95], s[4:5], 1, v[0:1]
	s_movk_i32 s4, 0x1000
	s_cmpk_lt_u32 s52, 0x3f01
	v_add_co_u32_e32 v96, vcc, s4, v0
	s_cselect_b32 s4, s11, 0xfc0
	s_nop 0
	v_addc_co_u32_e32 v97, vcc, 0, v1, vcc
	s_ashr_i32 s5, s4, 31
	global_load_ushort v98, v[96:97], off
	global_load_ushort v99, v[4:5], off
	;; [unrolled: 1-line block ×15, first 2 shown]
                                        ; kill: killed $vgpr52_vgpr53
                                        ; kill: killed $vgpr4_vgpr5
                                        ; kill: killed $vgpr58_vgpr59
                                        ; kill: killed $vgpr10_vgpr11
                                        ; kill: killed $vgpr48_vgpr49
                                        ; kill: killed $vgpr54_vgpr55
                                        ; kill: killed $vgpr6_vgpr7
                                        ; kill: killed $vgpr60_vgpr61
                                        ; kill: killed $vgpr12_vgpr13
                                        ; kill: killed $vgpr50_vgpr51
                                        ; kill: killed $vgpr56_vgpr57
                                        ; kill: killed $vgpr8_vgpr9
                                        ; kill: killed $vgpr62_vgpr63
                                        ; kill: killed $vgpr14_vgpr15
                                        ; kill: killed $vgpr96 killed $vgpr97
	global_load_ushort v6, v[64:65], off
	global_load_ushort v7, v[66:67], off
	;; [unrolled: 1-line block ×15, first 2 shown]
                                        ; kill: killed $vgpr84_vgpr85
                                        ; kill: killed $vgpr68_vgpr69
                                        ; kill: killed $vgpr90_vgpr91
                                        ; kill: killed $vgpr74_vgpr75
                                        ; kill: killed $vgpr80_vgpr81
                                        ; kill: killed $vgpr64_vgpr65
                                        ; kill: killed $vgpr70_vgpr71
                                        ; kill: killed $vgpr92_vgpr93
                                        ; kill: killed $vgpr76_vgpr77
                                        ; kill: killed $vgpr82_vgpr83
                                        ; kill: killed $vgpr66_vgpr67
                                        ; kill: killed $vgpr88_vgpr89
                                        ; kill: killed $vgpr72_vgpr73
                                        ; kill: killed $vgpr94_vgpr95
                                        ; kill: killed $vgpr78_vgpr79
	global_load_ushort v68, v[86:87], off
	v_lshl_add_u64 v[4:5], s[4:5], 1, v[0:1]
	global_load_ushort v5, v[4:5], off
	s_waitcnt vmcnt(31)
	v_lshlrev_b32_e32 v67, 16, v98
	s_waitcnt vmcnt(30)
	v_lshlrev_b32_e32 v65, 16, v99
	s_waitcnt vmcnt(29)
	v_lshlrev_b32_e32 v66, 16, v100
	s_waitcnt vmcnt(28)
	v_lshlrev_b32_e32 v63, 16, v101
	s_waitcnt vmcnt(27)
	v_lshlrev_b32_e32 v64, 16, v102
	s_waitcnt vmcnt(26)
	v_lshlrev_b32_e32 v61, 16, v103
	s_waitcnt vmcnt(25)
	v_lshlrev_b32_e32 v62, 16, v104
	s_waitcnt vmcnt(24)
	v_lshlrev_b32_e32 v59, 16, v105
	s_waitcnt vmcnt(23)
	v_lshlrev_b32_e32 v60, 16, v106
	s_waitcnt vmcnt(22)
	v_lshlrev_b32_e32 v57, 16, v107
	s_waitcnt vmcnt(21)
	v_lshlrev_b32_e32 v58, 16, v108
	s_waitcnt vmcnt(20)
	v_lshlrev_b32_e32 v55, 16, v109
	s_waitcnt vmcnt(19)
	v_lshlrev_b32_e32 v56, 16, v110
	s_waitcnt vmcnt(18)
	v_lshlrev_b32_e32 v53, 16, v111
	s_waitcnt vmcnt(17)
	v_lshlrev_b32_e32 v54, 16, v112
	s_waitcnt vmcnt(16)
	v_lshlrev_b32_e32 v52, 16, v6
	s_waitcnt vmcnt(15)
	v_lshlrev_b32_e32 v51, 16, v7
	s_waitcnt vmcnt(14)
	v_lshlrev_b32_e32 v49, 16, v8
	s_waitcnt vmcnt(13)
	v_lshlrev_b32_e32 v50, 16, v9
	s_waitcnt vmcnt(12)
	v_lshlrev_b32_e32 v48, 16, v10
	s_waitcnt vmcnt(11)
	v_lshlrev_b32_e32 v10, 16, v11
	s_waitcnt vmcnt(10)
	v_lshlrev_b32_e32 v13, 16, v13
	s_waitcnt vmcnt(9)
	v_lshlrev_b32_e32 v12, 16, v12
	s_waitcnt vmcnt(8)
	v_lshlrev_b32_e32 v15, 16, v15
	s_waitcnt vmcnt(7)
	v_lshlrev_b32_e32 v14, 16, v14
	s_waitcnt vmcnt(6)
	v_lshlrev_b32_e32 v11, 16, v96
	s_waitcnt vmcnt(5)
	v_lshlrev_b32_e32 v4, 16, v97
	s_waitcnt vmcnt(4)
	v_lshlrev_b32_e32 v7, 16, v113
	s_waitcnt vmcnt(3)
	v_lshlrev_b32_e32 v6, 16, v114
	s_waitcnt vmcnt(2)
	v_lshlrev_b32_e32 v9, 16, v115
	s_waitcnt vmcnt(1)
	v_lshlrev_b32_e32 v8, 16, v68
	s_waitcnt vmcnt(0)
	v_lshlrev_b32_e32 v5, 16, v5
.LBB471_12:
	s_load_dwordx2 s[4:5], s[0:1], 0x0
	s_load_dwordx2 s[6:7], s[0:1], 0x38
	ds_read_b128 v[68:71], v3
	s_waitcnt vmcnt(15)
	v_lshlrev_b32_e32 v23, 16, v23
	ds_read_b128 v[72:75], v3 offset:16
	ds_read_b128 v[76:79], v3 offset:32
	;; [unrolled: 1-line block ×3, first 2 shown]
	s_waitcnt vmcnt(14)
	v_lshlrev_b32_e32 v22, 16, v22
	s_waitcnt vmcnt(13)
	v_lshlrev_b32_e32 v21, 16, v21
	s_waitcnt lgkmcnt(0)
	v_fma_f32 v23, v68, v23, 0
	v_fmac_f32_e32 v23, v69, v22
	v_fmac_f32_e32 v23, v70, v21
	s_waitcnt vmcnt(12)
	v_lshlrev_b32_e32 v20, 16, v20
	s_waitcnt vmcnt(10)
	v_lshlrev_b32_e32 v19, 16, v19
	v_lshlrev_b32_e32 v18, 16, v18
	v_fmac_f32_e32 v23, v71, v20
	v_pk_mul_f32 v[18:19], v[72:73], v[18:19]
	s_waitcnt vmcnt(8)
	v_lshlrev_b32_e32 v17, 16, v17
	v_add_f32_e32 v18, v23, v18
	v_lshlrev_b32_e32 v16, 16, v16
	v_add_f32_e32 v18, v18, v19
	v_pk_mul_f32 v[16:17], v[74:75], v[16:17]
	s_and_b64 vcc, exec, s[8:9]
	v_add_f32_e32 v16, v18, v16
	v_add_f32_e32 v18, v16, v17
	s_waitcnt vmcnt(6)
	v_lshlrev_b32_e32 v17, 16, v31
	v_lshlrev_b32_e32 v16, 16, v30
	v_pk_mul_f32 v[16:17], v[76:77], v[16:17]
	s_nop 0
	v_add_f32_e32 v16, v18, v16
	v_add_f32_e32 v18, v16, v17
	s_waitcnt vmcnt(4)
	v_lshlrev_b32_e32 v17, 16, v29
	v_lshlrev_b32_e32 v16, 16, v28
	v_pk_mul_f32 v[16:17], v[78:79], v[16:17]
	s_nop 0
	;; [unrolled: 7-line block ×4, first 2 shown]
	v_add_f32_e32 v16, v18, v16
	v_add_f32_e32 v110, v16, v17
	s_cbranch_vccz .LBB471_15
; %bb.13:
	ds_read_b128 v[16:19], v3 offset:64
	v_lshlrev_b32_e32 v39, 16, v39
	ds_read_b128 v[20:23], v3 offset:80
	ds_read_b128 v[24:27], v3 offset:96
	;; [unrolled: 1-line block ×3, first 2 shown]
	v_lshlrev_b32_e32 v3, 16, v38
	s_cmpk_lt_u32 s52, 0x2001
	s_waitcnt lgkmcnt(3)
	v_fmac_f32_e32 v110, v16, v39
	v_fmac_f32_e32 v110, v17, v3
	v_lshlrev_b32_e32 v3, 16, v37
	v_fmac_f32_e32 v110, v18, v3
	v_lshlrev_b32_e32 v3, 16, v36
	v_fmac_f32_e32 v110, v19, v3
	v_lshlrev_b32_e32 v3, 16, v35
	s_waitcnt lgkmcnt(2)
	v_fmac_f32_e32 v110, v20, v3
	v_lshlrev_b32_e32 v3, 16, v34
	v_fmac_f32_e32 v110, v21, v3
	v_lshlrev_b32_e32 v3, 16, v33
	v_fmac_f32_e32 v110, v22, v3
	v_lshlrev_b32_e32 v3, 16, v32
	v_fmac_f32_e32 v110, v23, v3
	v_lshlrev_b32_e32 v3, 16, v47
	s_waitcnt lgkmcnt(1)
	v_fmac_f32_e32 v110, v24, v3
	v_lshlrev_b32_e32 v3, 16, v46
	;; [unrolled: 9-line block ×3, first 2 shown]
	v_fmac_f32_e32 v110, v29, v3
	v_lshlrev_b32_e32 v3, 16, v41
	v_fmac_f32_e32 v110, v30, v3
	v_lshlrev_b32_e32 v3, 16, v40
	v_fmac_f32_e32 v110, v31, v3
	s_cbranch_scc1 .LBB471_15
; %bb.14:
	v_mov_b32_e32 v3, 0
	ds_read_b128 v[16:19], v3 offset:128
	ds_read_b128 v[20:23], v3 offset:144
	;; [unrolled: 1-line block ×4, first 2 shown]
	s_waitcnt lgkmcnt(3)
	v_fmac_f32_e32 v110, v16, v67
	v_fmac_f32_e32 v110, v17, v65
	v_fmac_f32_e32 v110, v18, v66
	v_fmac_f32_e32 v110, v19, v63
	s_waitcnt lgkmcnt(2)
	v_fmac_f32_e32 v110, v20, v64
	v_fmac_f32_e32 v110, v21, v61
	v_fmac_f32_e32 v110, v22, v62
	v_fmac_f32_e32 v110, v23, v59
	s_waitcnt lgkmcnt(1)
	v_fmac_f32_e32 v110, v24, v60
	v_fmac_f32_e32 v110, v25, v57
	v_fmac_f32_e32 v110, v26, v58
	v_fmac_f32_e32 v110, v27, v55
	ds_read_b128 v[16:19], v3 offset:192
	ds_read_b128 v[20:23], v3 offset:208
	s_waitcnt lgkmcnt(2)
	v_fmac_f32_e32 v110, v28, v56
	v_fmac_f32_e32 v110, v29, v53
	;; [unrolled: 1-line block ×4, first 2 shown]
	s_waitcnt lgkmcnt(1)
	v_fmac_f32_e32 v110, v16, v51
	v_fmac_f32_e32 v110, v17, v49
	;; [unrolled: 1-line block ×4, first 2 shown]
	s_waitcnt lgkmcnt(0)
	v_pk_mul_f32 v[14:15], v[20:21], v[14:15]
	v_pk_mul_f32 v[12:13], v[22:23], v[12:13]
	v_add_f32_e32 v14, v110, v14
	v_add_f32_e32 v18, v14, v15
	ds_read_b128 v[14:17], v3 offset:224
	v_add_f32_e32 v12, v18, v12
	ds_read_b128 v[18:21], v3 offset:240
	v_add_f32_e32 v12, v12, v13
	s_waitcnt lgkmcnt(1)
	v_pk_mul_f32 v[10:11], v[14:15], v[10:11]
	s_nop 0
	v_add_f32_e32 v3, v12, v10
	v_add_f32_e32 v3, v3, v11
	v_pk_mul_f32 v[8:9], v[16:17], v[8:9]
	s_waitcnt lgkmcnt(0)
	v_pk_mul_f32 v[6:7], v[18:19], v[6:7]
	v_add_f32_e32 v3, v3, v8
	v_add_f32_e32 v3, v3, v9
	;; [unrolled: 1-line block ×4, first 2 shown]
	v_pk_mul_f32 v[4:5], v[20:21], v[4:5]
	s_nop 0
	v_add_f32_e32 v3, v3, v4
	v_add_f32_e32 v110, v3, v5
.LBB471_15:
	s_movk_i32 s0, 0x1fc0
	s_movk_i32 s1, 0x100
	s_mov_b32 s8, 64
	s_branch .LBB471_17
.LBB471_16:                             ;   in Loop: Header=BB471_17 Depth=1
	s_addk_i32 s0, 0x1000
	s_addk_i32 s1, 0x100
	s_add_i32 s8, s8, 64
	s_cmpk_eq_u32 s0, 0xcfc0
	s_cbranch_scc1 .LBB471_19
.LBB471_17:                             ; =>This Inner Loop Header: Depth=1
	s_cmp_le_i32 s33, s8
	s_cbranch_scc1 .LBB471_16
; %bb.18:                               ;   in Loop: Header=BB471_17 Depth=1
	s_add_i32 s9, s0, 0xfffff040
	s_cmp_lt_i32 s9, s10
	s_cselect_b32 s12, s9, s11
	s_ashr_i32 s13, s12, 31
	s_add_i32 s9, s0, 0xfffff080
	s_cmp_lt_i32 s9, s10
	v_lshl_add_u64 v[44:45], s[12:13], 1, v[0:1]
	s_cselect_b32 s12, s9, s11
	s_ashr_i32 s13, s12, 31
	s_add_i32 s9, s0, 0xfffff0c0
	s_cmp_lt_i32 s9, s10
	v_lshl_add_u64 v[4:5], s[12:13], 1, v[0:1]
	;; [unrolled: 5-line block ×14, first 2 shown]
	s_cselect_b32 s12, s9, s11
	s_ashr_i32 s13, s12, 31
	s_add_i32 s9, s0, 0xfffff400
	s_cmp_lt_i32 s9, s10
	global_load_ushort v3, v[44:45], off
	global_load_ushort v120, v[46:47], off
	v_lshl_add_u64 v[60:61], s[12:13], 1, v[0:1]
	s_cselect_b32 s12, s9, s11
	global_load_ushort v111, v[4:5], off
	global_load_ushort v112, v[6:7], off
	;; [unrolled: 1-line block ×7, first 2 shown]
	s_ashr_i32 s13, s12, 31
	s_add_i32 s9, s0, 0xfffff440
	s_cmp_lt_i32 s9, s10
	v_lshl_add_u64 v[66:67], s[12:13], 1, v[0:1]
	s_cselect_b32 s12, s9, s11
	s_ashr_i32 s13, s12, 31
	s_add_i32 s9, s0, 0xfffff480
	s_cmp_lt_i32 s9, s10
	v_lshl_add_u64 v[62:63], s[12:13], 1, v[0:1]
	s_cselect_b32 s12, s9, s11
	;; [unrolled: 5-line block ×14, first 2 shown]
	s_ashr_i32 s13, s12, 31
	s_add_i32 s9, s0, 0xfffff7c0
	global_load_ushort v118, v[28:29], off
	global_load_ushort v119, v[30:31], off
	s_cmp_lt_i32 s9, s10
	v_lshl_add_u64 v[26:27], s[12:13], 1, v[0:1]
	s_cselect_b32 s12, s9, s11
	s_ashr_i32 s13, s12, 31
	s_add_i32 s9, s0, 0xfffff800
	s_cmp_lt_i32 s9, s10
	v_lshl_add_u64 v[52:53], s[12:13], 1, v[0:1]
	s_cselect_b32 s12, s9, s11
	global_load_ushort v121, v[54:55], off
	global_load_ushort v122, v[56:57], off
	s_ashr_i32 s13, s12, 31
	global_load_ushort v58, v[58:59], off
	s_add_i32 s9, s0, 0xfffff840
	s_cmp_lt_i32 s9, s10
	v_lshl_add_u64 v[64:65], s[12:13], 1, v[0:1]
	s_cselect_b32 s12, s9, s11
	global_load_ushort v59, v[60:61], off
	s_ashr_i32 s13, s12, 31
	s_add_i32 s9, s0, 0xfffff880
	global_load_ushort v60, v[66:67], off
	global_load_ushort v61, v[62:63], off
	s_cmp_lt_i32 s9, s10
	v_lshl_add_u64 v[68:69], s[12:13], 1, v[0:1]
	s_cselect_b32 s12, s9, s11
	s_ashr_i32 s13, s12, 31
	s_add_i32 s9, s0, 0xfffff8c0
	s_cmp_lt_i32 s9, s10
	v_lshl_add_u64 v[70:71], s[12:13], 1, v[0:1]
	s_cselect_b32 s12, s9, s11
	s_ashr_i32 s13, s12, 31
	s_add_i32 s9, s0, 0xfffff900
	;; [unrolled: 5-line block ×3, first 2 shown]
	s_cmp_lt_i32 s9, s10
	v_lshl_add_u64 v[74:75], s[12:13], 1, v[0:1]
	s_cselect_b32 s12, s9, s11
	global_load_ushort v62, v[22:23], off
	s_ashr_i32 s13, s12, 31
	s_add_i32 s9, s0, 0xfffff980
	global_load_ushort v66, v[32:33], off
	global_load_ushort v123, v[34:35], off
	;; [unrolled: 1-line block ×4, first 2 shown]
	s_cmp_lt_i32 s9, s10
	v_lshl_add_u64 v[76:77], s[12:13], 1, v[0:1]
	s_cselect_b32 s12, s9, s11
	global_load_ushort v67, v[48:49], off
	s_ashr_i32 s13, s12, 31
	s_add_i32 s9, s0, 0xfffff9c0
	s_cmp_lt_i32 s9, s10
	v_lshl_add_u64 v[78:79], s[12:13], 1, v[0:1]
	s_cselect_b32 s12, s9, s11
	s_ashr_i32 s13, s12, 31
	s_add_i32 s9, s0, 0xfffffa00
	s_cmp_lt_i32 s9, s10
	v_lshl_add_u64 v[80:81], s[12:13], 1, v[0:1]
	s_cselect_b32 s12, s9, s11
	s_ashr_i32 s13, s12, 31
	s_add_i32 s9, s0, 0xfffffa40
	s_cmp_lt_i32 s9, s10
	v_mov_b32_e32 v124, s1
	v_lshl_add_u64 v[82:83], s[12:13], 1, v[0:1]
	s_cselect_b32 s12, s9, s11
	ds_read_b128 v[30:33], v124
	ds_read_b128 v[34:37], v124 offset:16
	global_load_ushort v50, v[50:51], off
	s_ashr_i32 s13, s12, 31
	s_add_i32 s9, s0, 0xfffffa80
	s_cmp_lt_i32 s9, s10
	v_lshl_add_u64 v[84:85], s[12:13], 1, v[0:1]
	s_cselect_b32 s12, s9, s11
	ds_read_b128 v[46:49], v124 offset:32
	ds_read_b128 v[54:57], v124 offset:48
	global_load_ushort v38, v[38:39], off
	s_ashr_i32 s13, s12, 31
	s_waitcnt vmcnt(24)
	v_lshlrev_b32_e32 v3, 16, v3
	v_lshl_add_u64 v[86:87], s[12:13], 1, v[0:1]
	global_load_ushort v51, v[86:87], off
	s_waitcnt lgkmcnt(3)
	v_fmac_f32_e32 v110, v30, v3
	s_waitcnt vmcnt(23)
	v_lshlrev_b32_e32 v3, 16, v111
	v_fmac_f32_e32 v110, v31, v3
	s_waitcnt vmcnt(22)
	v_lshlrev_b32_e32 v3, 16, v112
	global_load_ushort v39, v[18:19], off
	v_fmac_f32_e32 v110, v32, v3
	s_waitcnt vmcnt(22)
	v_lshlrev_b32_e32 v3, 16, v113
	v_fmac_f32_e32 v110, v33, v3
	s_waitcnt vmcnt(21)
	v_lshlrev_b32_e32 v3, 16, v114
	s_waitcnt lgkmcnt(2)
	v_fmac_f32_e32 v110, v34, v3
	global_load_ushort v3, v[20:21], off
	global_load_ushort v34, v[40:41], off
	s_add_i32 s9, s0, 0xfffffac0
	global_load_ushort v26, v[26:27], off
	s_waitcnt vmcnt(23)
	v_lshlrev_b32_e32 v18, 16, v115
	v_fmac_f32_e32 v110, v35, v18
	global_load_ushort v35, v[42:43], off
	global_load_ushort v27, v[52:53], off
	s_cmp_lt_i32 s9, s10
	s_cselect_b32 s12, s9, s11
	s_ashr_i32 s13, s12, 31
	s_add_i32 s9, s0, 0xfffffb00
	s_cmp_lt_i32 s9, s10
	v_lshl_add_u64 v[88:89], s[12:13], 1, v[0:1]
	s_cselect_b32 s12, s9, s11
	s_ashr_i32 s13, s12, 31
	s_add_i32 s9, s0, 0xfffffb40
	s_cmp_lt_i32 s9, s10
	v_lshl_add_u64 v[90:91], s[12:13], 1, v[0:1]
	;; [unrolled: 5-line block ×6, first 2 shown]
	s_cselect_b32 s12, s9, s11
	s_ashr_i32 s13, s12, 31
	s_add_i32 s9, s0, 0xfffffc80
	s_waitcnt vmcnt(24)
	v_lshlrev_b32_e32 v18, 16, v116
	s_cmp_lt_i32 s9, s10
	v_fmac_f32_e32 v110, v36, v18
	global_load_ushort v36, v[64:65], off
	s_waitcnt vmcnt(24)
	v_lshlrev_b32_e32 v18, 16, v117
	v_lshl_add_u64 v[102:103], s[12:13], 1, v[0:1]
	s_cselect_b32 s12, s9, s11
	v_fmac_f32_e32 v110, v37, v18
	global_load_ushort v37, v[68:69], off
	global_load_ushort v40, v[70:71], off
	;; [unrolled: 1-line block ×3, first 2 shown]
	s_waitcnt vmcnt(26)
	v_lshlrev_b32_e32 v18, 16, v118
	s_ashr_i32 s13, s12, 31
	s_add_i32 s9, s0, 0xfffffcc0
	s_waitcnt lgkmcnt(1)
	v_fmac_f32_e32 v110, v46, v18
	global_load_ushort v46, v[78:79], off
	s_waitcnt vmcnt(26)
	v_lshlrev_b32_e32 v18, 16, v119
	s_cmp_lt_i32 s9, s10
	v_fmac_f32_e32 v110, v47, v18
	v_lshlrev_b32_e32 v18, 16, v120
	v_lshl_add_u64 v[104:105], s[12:13], 1, v[0:1]
	s_cselect_b32 s12, s9, s11
	v_fmac_f32_e32 v110, v48, v18
	global_load_ushort v48, v[82:83], off
	global_load_ushort v42, v[74:75], off
	;; [unrolled: 1-line block ×4, first 2 shown]
	s_ashr_i32 s13, s12, 31
	s_add_i32 s9, s0, 0xfffffd00
	s_cmp_lt_i32 s9, s10
	s_waitcnt vmcnt(29)
	v_lshlrev_b32_e32 v18, 16, v121
	v_lshl_add_u64 v[106:107], s[12:13], 1, v[0:1]
	s_cselect_b32 s12, s9, s11
	v_fmac_f32_e32 v110, v49, v18
	global_load_ushort v49, v[84:85], off
	global_load_ushort v53, v[88:89], off
	s_waitcnt vmcnt(30)
	v_lshlrev_b32_e32 v18, 16, v122
	s_ashr_i32 s13, s12, 31
	s_add_i32 s9, s0, 0xfffffd40
	s_waitcnt lgkmcnt(0)
	v_fmac_f32_e32 v110, v54, v18
	global_load_ushort v54, v[90:91], off
	s_waitcnt vmcnt(30)
	v_lshlrev_b32_e32 v18, 16, v58
	s_cmp_lt_i32 s9, s10
	v_fmac_f32_e32 v110, v55, v18
	s_waitcnt vmcnt(29)
	v_lshlrev_b32_e32 v18, 16, v59
	v_lshl_add_u64 v[98:99], s[12:13], 1, v[0:1]
	s_cselect_b32 s12, s9, s11
	v_fmac_f32_e32 v110, v56, v18
	s_waitcnt vmcnt(28)
	v_lshlrev_b32_e32 v18, 16, v60
	s_ashr_i32 s13, s12, 31
	s_add_i32 s9, s0, 0xfffffd80
	v_fmac_f32_e32 v110, v57, v18
	ds_read_b128 v[18:21], v124 offset:64
	ds_read_b128 v[30:33], v124 offset:80
	s_cmp_lt_i32 s9, s10
	v_lshl_add_u64 v[44:45], s[12:13], 1, v[0:1]
	s_cselect_b32 s12, s9, s11
	s_ashr_i32 s13, s12, 31
	s_add_i32 s9, s0, 0xfffffdc0
	s_cmp_lt_i32 s9, s10
	s_waitcnt vmcnt(27)
	v_lshlrev_b32_e32 v52, 16, v61
	v_lshl_add_u64 v[108:109], s[12:13], 1, v[0:1]
	s_cselect_b32 s12, s9, s11
	s_waitcnt lgkmcnt(1)
	v_fmac_f32_e32 v110, v18, v52
	global_load_ushort v52, v[92:93], off
	global_load_ushort v55, v[94:95], off
	s_ashr_i32 s13, s12, 31
	s_add_i32 s9, s0, 0xfffffe00
	s_cmp_lt_i32 s9, s10
	global_load_ushort v56, v[96:97], off
	global_load_ushort v57, v[100:101], off
	;; [unrolled: 1-line block ×4, first 2 shown]
	v_lshl_add_u64 v[4:5], s[12:13], 1, v[0:1]
	s_cselect_b32 s12, s9, s11
	s_ashr_i32 s13, s12, 31
	s_add_i32 s9, s0, 0xfffffe40
	s_cmp_lt_i32 s9, s10
	s_waitcnt vmcnt(32)
	v_lshlrev_b32_e32 v18, 16, v62
	v_lshl_add_u64 v[6:7], s[12:13], 1, v[0:1]
	s_cselect_b32 s12, s9, s11
	v_fmac_f32_e32 v110, v19, v18
	s_waitcnt vmcnt(28)
	v_lshlrev_b32_e32 v18, 16, v63
	s_ashr_i32 s13, s12, 31
	s_add_i32 s9, s0, 0xfffffe80
	v_fmac_f32_e32 v110, v20, v18
	v_lshlrev_b32_e32 v18, 16, v66
	s_cmp_lt_i32 s9, s10
	v_fmac_f32_e32 v110, v21, v18
	s_waitcnt vmcnt(27)
	v_lshlrev_b32_e32 v18, 16, v67
	v_lshl_add_u64 v[8:9], s[12:13], 1, v[0:1]
	s_cselect_b32 s12, s9, s11
	s_waitcnt lgkmcnt(0)
	v_fmac_f32_e32 v110, v30, v18
	global_load_ushort v30, v[106:107], off
	s_ashr_i32 s13, s12, 31
	s_add_i32 s9, s0, 0xfffffec0
	s_cmp_lt_i32 s9, s10
	global_load_ushort v60, v[98:99], off
	global_load_ushort v61, v[44:45], off
	;; [unrolled: 1-line block ×3, first 2 shown]
	v_lshl_add_u64 v[12:13], s[12:13], 1, v[0:1]
	s_cselect_b32 s12, s9, s11
	v_lshlrev_b32_e32 v18, 16, v123
	s_ashr_i32 s13, s12, 31
	s_add_i32 s9, s0, 0xffffff00
	v_fmac_f32_e32 v110, v31, v18
	v_lshlrev_b32_e32 v18, 16, v125
	s_cmp_lt_i32 s9, s10
	v_fmac_f32_e32 v110, v32, v18
	global_load_ushort v31, v[4:5], off
	global_load_ushort v32, v[6:7], off
	v_lshl_add_u64 v[10:11], s[12:13], 1, v[0:1]
	s_cselect_b32 s12, s9, s11
	s_ashr_i32 s13, s12, 31
	s_add_i32 s9, s0, 0xffffff40
	s_cmp_lt_i32 s9, s10
	s_waitcnt vmcnt(32)
	v_lshlrev_b32_e32 v4, 16, v50
	v_lshl_add_u64 v[16:17], s[12:13], 1, v[0:1]
	s_cselect_b32 s12, s9, s11
	v_fmac_f32_e32 v110, v33, v4
	ds_read_b128 v[4:7], v124 offset:96
	s_ashr_i32 s13, s12, 31
	s_add_i32 s9, s0, 0xffffff80
	s_cmp_lt_i32 s9, s10
	s_waitcnt vmcnt(31)
	v_lshlrev_b32_e32 v33, 16, v38
	global_load_ushort v38, v[8:9], off
	global_load_ushort v44, v[12:13], off
	v_lshl_add_u64 v[14:15], s[12:13], 1, v[0:1]
	s_cselect_b32 s12, s9, s11
	s_ashr_i32 s13, s12, 31
	s_sub_i32 s9, s0, 64
	s_cmp_lt_i32 s9, s10
	ds_read_b128 v[18:21], v124 offset:112
	s_waitcnt lgkmcnt(1)
	v_fmac_f32_e32 v110, v4, v33
	s_waitcnt vmcnt(31)
	v_lshlrev_b32_e32 v4, 16, v39
	global_load_ushort v33, v[10:11], off
	global_load_ushort v39, v[16:17], off
	v_lshl_add_u64 v[28:29], s[12:13], 1, v[0:1]
	s_cselect_b32 s12, s9, s11
	s_ashr_i32 s13, s12, 31
	s_cmp_lt_i32 s0, s10
	v_fmac_f32_e32 v110, v5, v4
	s_waitcnt vmcnt(32)
	v_lshlrev_b32_e32 v3, 16, v3
	global_load_ushort v16, v[14:15], off
	global_load_ushort v17, v[28:29], off
	v_lshl_add_u64 v[22:23], s[12:13], 1, v[0:1]
	s_cselect_b32 s12, s0, s11
	v_fmac_f32_e32 v110, v6, v3
	s_waitcnt vmcnt(33)
	v_lshlrev_b32_e32 v3, 16, v34
	s_ashr_i32 s13, s12, 31
	v_fmac_f32_e32 v110, v7, v3
	s_waitcnt vmcnt(31)
	v_lshlrev_b32_e32 v3, 16, v35
	v_lshl_add_u64 v[24:25], s[12:13], 1, v[0:1]
	s_waitcnt lgkmcnt(0)
	v_fmac_f32_e32 v110, v18, v3
	global_load_ushort v3, v[22:23], off
	global_load_ushort v14, v[24:25], off
	v_lshlrev_b32_e32 v4, 16, v26
	v_fmac_f32_e32 v110, v19, v4
	s_waitcnt vmcnt(32)
	v_lshlrev_b32_e32 v4, 16, v27
	v_fmac_f32_e32 v110, v20, v4
	ds_read_b128 v[4:7], v124 offset:128
	s_waitcnt vmcnt(31)
	v_lshlrev_b32_e32 v8, 16, v36
	v_fmac_f32_e32 v110, v21, v8
	ds_read_b128 v[8:11], v124 offset:144
	s_waitcnt vmcnt(30)
	v_lshlrev_b32_e32 v12, 16, v37
	s_waitcnt lgkmcnt(1)
	v_fmac_f32_e32 v110, v4, v12
	s_waitcnt vmcnt(29)
	v_lshlrev_b32_e32 v4, 16, v40
	v_fmac_f32_e32 v110, v5, v4
	s_waitcnt vmcnt(28)
	v_lshlrev_b32_e32 v4, 16, v41
	;; [unrolled: 3-line block ×4, first 2 shown]
	s_waitcnt lgkmcnt(0)
	v_fmac_f32_e32 v110, v8, v4
	v_lshlrev_b32_e32 v4, 16, v46
	v_fmac_f32_e32 v110, v9, v4
	s_waitcnt vmcnt(23)
	v_lshlrev_b32_e32 v4, 16, v47
	v_fmac_f32_e32 v110, v10, v4
	ds_read_b128 v[4:7], v124 offset:160
	v_lshlrev_b32_e32 v8, 16, v48
	v_fmac_f32_e32 v110, v11, v8
	ds_read_b128 v[8:11], v124 offset:176
	s_waitcnt vmcnt(22)
	v_lshlrev_b32_e32 v12, 16, v49
	s_waitcnt lgkmcnt(1)
	v_fmac_f32_e32 v110, v4, v12
	v_lshlrev_b32_e32 v4, 16, v51
	v_fmac_f32_e32 v110, v5, v4
	s_waitcnt vmcnt(21)
	v_lshlrev_b32_e32 v4, 16, v53
	v_fmac_f32_e32 v110, v6, v4
	s_waitcnt vmcnt(20)
	;; [unrolled: 3-line block ×3, first 2 shown]
	v_lshlrev_b32_e32 v4, 16, v52
	s_waitcnt lgkmcnt(0)
	v_fmac_f32_e32 v110, v8, v4
	s_waitcnt vmcnt(18)
	v_lshlrev_b32_e32 v4, 16, v55
	v_fmac_f32_e32 v110, v9, v4
	s_waitcnt vmcnt(17)
	v_lshlrev_b32_e32 v4, 16, v56
	v_fmac_f32_e32 v110, v10, v4
	ds_read_b128 v[4:7], v124 offset:192
	s_waitcnt vmcnt(16)
	v_lshlrev_b32_e32 v8, 16, v57
	v_fmac_f32_e32 v110, v11, v8
	ds_read_b128 v[8:11], v124 offset:208
	s_waitcnt vmcnt(15)
	v_lshlrev_b32_e32 v12, 16, v58
	s_waitcnt lgkmcnt(1)
	v_fmac_f32_e32 v110, v4, v12
	s_waitcnt vmcnt(14)
	v_lshlrev_b32_e32 v4, 16, v59
	v_fmac_f32_e32 v110, v5, v4
	s_waitcnt vmcnt(13)
	v_lshlrev_b32_e32 v4, 16, v30
	;; [unrolled: 3-line block ×4, first 2 shown]
	v_lshlrev_b32_e32 v4, 16, v61
	s_waitcnt lgkmcnt(0)
	v_pk_mul_f32 v[4:5], v[8:9], v[4:5]
	s_waitcnt vmcnt(6)
	v_lshlrev_b32_e32 v13, 16, v44
	v_add_f32_e32 v4, v110, v4
	v_add_f32_e32 v6, v4, v5
	v_lshlrev_b32_e32 v5, 16, v32
	v_lshlrev_b32_e32 v4, 16, v31
	v_pk_mul_f32 v[8:9], v[10:11], v[4:5]
	v_lshlrev_b32_e32 v12, 16, v38
	v_add_f32_e32 v8, v6, v8
	ds_read_b128 v[4:7], v124 offset:224
	v_add_f32_e32 v15, v8, v9
	ds_read_b128 v[8:11], v124 offset:240
	s_waitcnt lgkmcnt(1)
	v_pk_mul_f32 v[4:5], v[4:5], v[12:13]
	s_nop 0
	v_add_f32_e32 v4, v15, v4
	v_add_f32_e32 v12, v4, v5
	s_waitcnt vmcnt(4)
	v_lshlrev_b32_e32 v5, 16, v39
	v_lshlrev_b32_e32 v4, 16, v33
	v_pk_mul_f32 v[4:5], v[6:7], v[4:5]
	s_nop 0
	v_add_f32_e32 v4, v12, v4
	v_add_f32_e32 v6, v4, v5
	s_waitcnt vmcnt(2)
	v_lshlrev_b32_e32 v5, 16, v17
	v_lshlrev_b32_e32 v4, 16, v16
	s_waitcnt lgkmcnt(0)
	v_pk_mul_f32 v[4:5], v[8:9], v[4:5]
	s_nop 0
	v_add_f32_e32 v4, v6, v4
	v_add_f32_e32 v6, v4, v5
	s_waitcnt vmcnt(0)
	v_lshlrev_b32_e32 v5, 16, v14
	v_lshlrev_b32_e32 v4, 16, v3
	v_pk_mul_f32 v[4:5], v[10:11], v[4:5]
	s_nop 0
	v_add_f32_e32 v3, v6, v4
	v_add_f32_e32 v110, v3, v5
	s_branch .LBB471_16
.LBB471_19:
	v_mov_b32_e32 v0, 0
	ds_read_b32 v0, v0 offset:3072
	s_cmp_lg_u64 s[6:7], 0
	s_cbranch_scc0 .LBB471_28
; %bb.20:
	s_load_dword s6, s[6:7], 0x0
	s_waitcnt lgkmcnt(0)
	v_div_scale_f32 v1, s[0:1], s6, s6, 1.0
	v_rcp_f32_e32 v3, v1
	v_div_scale_f32 v4, vcc, 1.0, s6, 1.0
	v_fma_f32 v5, -v1, v3, 1.0
	v_fmac_f32_e32 v3, v5, v3
	v_mul_f32_e32 v5, v4, v3
	v_fma_f32 v6, -v1, v5, v4
	v_fmac_f32_e32 v5, v6, v3
	v_fma_f32 v1, -v1, v5, v4
	v_div_fmas_f32 v1, v1, v3, v5
	v_div_fixup_f32 v1, v1, s6, 1.0
	s_andn2_b64 vcc, exec, s[42:43]
	s_cbranch_vccnz .LBB471_22
.LBB471_21:
	s_add_u32 s0, s40, s44
	s_addc_u32 s1, s41, s45
	s_load_dword s34, s[0:1], 0x0
	s_mov_b32 s35, 0
.LBB471_22:
	s_waitcnt lgkmcnt(0)
	v_add_f32_e32 v0, 0x358637bd, v0
	v_div_scale_f32 v3, s[0:1], v0, v0, 1.0
	v_rcp_f32_e32 v4, v3
	v_div_scale_f32 v5, vcc, 1.0, v0, 1.0
	s_mov_b32 s0, 0x7f800000
	v_fma_f32 v6, -v3, v4, 1.0
	v_fmac_f32_e32 v4, v6, v4
	v_mul_f32_e32 v6, v5, v4
	v_fma_f32 v7, -v3, v6, v5
	v_fmac_f32_e32 v6, v7, v4
	v_fma_f32 v3, -v3, v6, v5
	v_div_fmas_f32 v3, v3, v4, v6
	v_div_fixup_f32 v0, v3, v0, 1.0
	v_mul_f32_e32 v0, v110, v0
	v_mul_f32_e32 v1, v0, v1
	v_and_b32_e32 v0, 0x7f800000, v1
	v_cmp_ne_u32_e32 vcc, s0, v0
                                        ; implicit-def: $vgpr0
	s_and_saveexec_b64 s[0:1], vcc
	s_xor_b64 s[0:1], exec, s[0:1]
; %bb.23:
	v_bfe_u32 v0, v1, 16, 1
	s_movk_i32 s6, 0x7fff
	v_add3_u32 v0, v1, v0, s6
                                        ; implicit-def: $vgpr1
; %bb.24:
	s_andn2_saveexec_b64 s[0:1], s[0:1]
; %bb.25:
	v_mov_b32_e32 v0, 0
	v_or_b32_e32 v3, 0x10000, v1
	v_cmp_eq_u32_sdwa vcc, v1, v0 src0_sel:WORD_0 src1_sel:DWORD
	s_nop 1
	v_cndmask_b32_e32 v0, v3, v1, vcc
; %bb.26:
	s_or_b64 exec, exec, s[0:1]
	s_mul_i32 s0, s3, s35
	s_mul_hi_u32 s1, s3, s34
	s_add_i32 s1, s1, s0
	s_mul_i32 s0, s3, s34
	s_lshl_b64 s[0:1], s[0:1], 7
	s_add_u32 s4, s4, s0
	s_mov_b32 s3, 0
	s_addc_u32 s5, s5, s1
	s_lshl_b64 s[0:1], s[2:3], 7
	s_add_u32 s0, s4, s0
	s_addc_u32 s1, s5, s1
	global_store_short_d16_hi v2, v0, s[0:1]
	s_endpgm
.LBB471_27:
	s_mov_b64 s[6:7], 0
	s_branch .LBB471_2
.LBB471_28:
	v_mov_b32_e32 v1, 1.0
	s_andn2_b64 vcc, exec, s[42:43]
	s_cbranch_vccz .LBB471_21
	s_branch .LBB471_22
	.section	.rodata,"a",@progbits
	.p2align	6, 0x0
	.amdhsa_kernel _Z35paged_attention_ll4mi_reduce_kernelI14__hip_bfloat16S0_Li64ELi64ELi256ELi12EEvPT0_PKfS4_PKT_PKiS9_iS4_
		.amdhsa_group_segment_fixed_size 3076
		.amdhsa_private_segment_fixed_size 0
		.amdhsa_kernarg_size 320
		.amdhsa_user_sgpr_count 2
		.amdhsa_user_sgpr_dispatch_ptr 0
		.amdhsa_user_sgpr_queue_ptr 0
		.amdhsa_user_sgpr_kernarg_segment_ptr 1
		.amdhsa_user_sgpr_dispatch_id 0
		.amdhsa_user_sgpr_kernarg_preload_length 0
		.amdhsa_user_sgpr_kernarg_preload_offset 0
		.amdhsa_user_sgpr_private_segment_size 0
		.amdhsa_uses_dynamic_stack 0
		.amdhsa_enable_private_segment 0
		.amdhsa_system_sgpr_workgroup_id_x 1
		.amdhsa_system_sgpr_workgroup_id_y 1
		.amdhsa_system_sgpr_workgroup_id_z 0
		.amdhsa_system_sgpr_workgroup_info 0
		.amdhsa_system_vgpr_workitem_id 0
		.amdhsa_next_free_vgpr 126
		.amdhsa_next_free_sgpr 53
		.amdhsa_accum_offset 128
		.amdhsa_reserve_vcc 1
		.amdhsa_float_round_mode_32 0
		.amdhsa_float_round_mode_16_64 0
		.amdhsa_float_denorm_mode_32 3
		.amdhsa_float_denorm_mode_16_64 3
		.amdhsa_dx10_clamp 1
		.amdhsa_ieee_mode 1
		.amdhsa_fp16_overflow 0
		.amdhsa_tg_split 0
		.amdhsa_exception_fp_ieee_invalid_op 0
		.amdhsa_exception_fp_denorm_src 0
		.amdhsa_exception_fp_ieee_div_zero 0
		.amdhsa_exception_fp_ieee_overflow 0
		.amdhsa_exception_fp_ieee_underflow 0
		.amdhsa_exception_fp_ieee_inexact 0
		.amdhsa_exception_int_div_zero 0
	.end_amdhsa_kernel
	.section	.text._Z35paged_attention_ll4mi_reduce_kernelI14__hip_bfloat16S0_Li64ELi64ELi256ELi12EEvPT0_PKfS4_PKT_PKiS9_iS4_,"axG",@progbits,_Z35paged_attention_ll4mi_reduce_kernelI14__hip_bfloat16S0_Li64ELi64ELi256ELi12EEvPT0_PKfS4_PKT_PKiS9_iS4_,comdat
.Lfunc_end471:
	.size	_Z35paged_attention_ll4mi_reduce_kernelI14__hip_bfloat16S0_Li64ELi64ELi256ELi12EEvPT0_PKfS4_PKT_PKiS9_iS4_, .Lfunc_end471-_Z35paged_attention_ll4mi_reduce_kernelI14__hip_bfloat16S0_Li64ELi64ELi256ELi12EEvPT0_PKfS4_PKT_PKiS9_iS4_
                                        ; -- End function
	.section	.AMDGPU.csdata,"",@progbits
; Kernel info:
; codeLenInByte = 10180
; NumSgprs: 59
; NumVgprs: 126
; NumAgprs: 0
; TotalNumVgprs: 126
; ScratchSize: 0
; MemoryBound: 0
; FloatMode: 240
; IeeeMode: 1
; LDSByteSize: 3076 bytes/workgroup (compile time only)
; SGPRBlocks: 7
; VGPRBlocks: 15
; NumSGPRsForWavesPerEU: 59
; NumVGPRsForWavesPerEU: 126
; AccumOffset: 128
; Occupancy: 4
; WaveLimiterHint : 1
; COMPUTE_PGM_RSRC2:SCRATCH_EN: 0
; COMPUTE_PGM_RSRC2:USER_SGPR: 2
; COMPUTE_PGM_RSRC2:TRAP_HANDLER: 0
; COMPUTE_PGM_RSRC2:TGID_X_EN: 1
; COMPUTE_PGM_RSRC2:TGID_Y_EN: 1
; COMPUTE_PGM_RSRC2:TGID_Z_EN: 0
; COMPUTE_PGM_RSRC2:TIDIG_COMP_CNT: 0
; COMPUTE_PGM_RSRC3_GFX90A:ACCUM_OFFSET: 31
; COMPUTE_PGM_RSRC3_GFX90A:TG_SPLIT: 0
	.section	.text._Z35paged_attention_ll4mi_reduce_kernelI14__hip_bfloat16S0_Li64ELi64ELi256ELi13EEvPT0_PKfS4_PKT_PKiS9_iS4_,"axG",@progbits,_Z35paged_attention_ll4mi_reduce_kernelI14__hip_bfloat16S0_Li64ELi64ELi256ELi13EEvPT0_PKfS4_PKT_PKiS9_iS4_,comdat
	.protected	_Z35paged_attention_ll4mi_reduce_kernelI14__hip_bfloat16S0_Li64ELi64ELi256ELi13EEvPT0_PKfS4_PKT_PKiS9_iS4_ ; -- Begin function _Z35paged_attention_ll4mi_reduce_kernelI14__hip_bfloat16S0_Li64ELi64ELi256ELi13EEvPT0_PKfS4_PKT_PKiS9_iS4_
	.globl	_Z35paged_attention_ll4mi_reduce_kernelI14__hip_bfloat16S0_Li64ELi64ELi256ELi13EEvPT0_PKfS4_PKT_PKiS9_iS4_
	.p2align	8
	.type	_Z35paged_attention_ll4mi_reduce_kernelI14__hip_bfloat16S0_Li64ELi64ELi256ELi13EEvPT0_PKfS4_PKT_PKiS9_iS4_,@function
_Z35paged_attention_ll4mi_reduce_kernelI14__hip_bfloat16S0_Li64ELi64ELi256ELi13EEvPT0_PKfS4_PKT_PKiS9_iS4_: ; @_Z35paged_attention_ll4mi_reduce_kernelI14__hip_bfloat16S0_Li64ELi64ELi256ELi13EEvPT0_PKfS4_PKT_PKiS9_iS4_
; %bb.0:
	s_load_dwordx2 s[34:35], s[0:1], 0x28
	s_mov_b32 s30, s3
	s_mov_b64 s[4:5], 0
	s_waitcnt lgkmcnt(0)
	s_cmp_lg_u64 s[34:35], 0
	s_cselect_b64 s[44:45], -1, 0
	s_and_b64 vcc, exec, s[44:45]
	s_cbranch_vccz .LBB472_27
; %bb.1:
	s_add_i32 s6, s30, 1
	s_mov_b32 s7, 0
	s_lshl_b64 s[8:9], s[6:7], 2
	s_add_u32 s8, s34, s8
	s_mov_b32 s31, s7
	s_addc_u32 s9, s35, s9
	s_lshl_b64 s[6:7], s[30:31], 2
	s_add_u32 s6, s34, s6
	s_addc_u32 s7, s35, s7
	s_load_dword s3, s[8:9], 0x0
	s_load_dword s10, s[6:7], 0x0
	s_waitcnt lgkmcnt(0)
	s_sub_i32 s3, s3, s10
	s_cmp_eq_u32 s3, 1
	s_cselect_b64 s[6:7], -1, 0
	s_andn2_b64 vcc, exec, s[4:5]
	s_cbranch_vccnz .LBB472_3
.LBB472_2:
	s_mov_b32 s31, 0
	s_mov_b64 s[6:7], -1
.LBB472_3:
	s_andn2_b64 vcc, exec, s[6:7]
	s_cbranch_vccz .LBB472_5
; %bb.4:
	s_endpgm
.LBB472_5:
	s_load_dwordx4 s[36:39], s[0:1], 0x18
	s_load_dword s8, s[0:1], 0x30
	s_lshl_b64 s[46:47], s[30:31], 2
	v_cmp_lt_u32_e32 vcc, 63, v0
	s_waitcnt lgkmcnt(0)
	s_add_u32 s4, s38, s46
	s_addc_u32 s5, s39, s47
	s_load_dword s54, s[4:5], 0x0
	s_load_dword s3, s[0:1], 0x40
	s_mul_i32 s38, s2, s8
	s_mul_i32 s6, s30, s8
	s_waitcnt lgkmcnt(0)
	s_add_i32 s7, s54, 0xff
	s_ashr_i32 s4, s7, 31
	s_lshr_b32 s4, s4, 24
	s_add_i32 s7, s7, s4
	s_and_saveexec_b64 s[4:5], vcc
	s_xor_b64 s[4:5], exec, s[4:5]
	s_or_saveexec_b64 s[48:49], s[4:5]
	s_ashr_i32 s33, s7, 8
	v_mov_b32_e32 v1, s38
	s_mul_i32 s50, s6, s3
	s_xor_b64 exec, exec, s[48:49]
	s_cbranch_execz .LBB472_9
; %bb.6:
	s_add_i32 s4, s33, -1
	v_or_b32_e32 v3, 64, v0
	v_mov_b32_e32 v1, s4
	v_cmp_gt_u32_e64 s[24:25], s33, v3
	s_load_dwordx4 s[40:43], s[0:1], 0x8
	s_mov_b32 s51, 0
	v_cndmask_b32_e64 v4, v1, v3, s[24:25]
	v_or_b32_e32 v3, 0x80, v0
	v_cmp_gt_u32_e64 s[22:23], s33, v3
	s_lshl_b64 s[52:53], s[50:51], 2
	s_mov_b32 s39, s51
	v_cndmask_b32_e64 v6, v1, v3, s[22:23]
	v_or_b32_e32 v3, 0xc0, v0
	v_cmp_gt_u32_e64 s[20:21], s33, v3
	v_cmp_gt_u32_e64 s[26:27], s33, v0
	s_waitcnt lgkmcnt(0)
	s_add_u32 s28, s42, s52
	v_cndmask_b32_e64 v8, v1, v3, s[20:21]
	v_or_b32_e32 v3, 0x100, v0
	v_cmp_gt_u32_e64 s[18:19], s33, v3
	v_cndmask_b32_e64 v2, v1, v0, s[26:27]
	s_addc_u32 s29, s43, s53
	v_cndmask_b32_e64 v10, v1, v3, s[18:19]
	v_or_b32_e32 v3, 0x140, v0
	v_cmp_gt_u32_e64 s[16:17], s33, v3
	s_lshl_b64 s[42:43], s[38:39], 2
	s_add_u32 s28, s28, s42
	v_cndmask_b32_e64 v12, v1, v3, s[16:17]
	v_or_b32_e32 v3, 0x180, v0
	v_cmp_gt_u32_e64 s[14:15], s33, v3
	v_ashrrev_i32_e32 v13, 31, v12
	s_addc_u32 s29, s29, s43
	v_cndmask_b32_e64 v14, v1, v3, s[14:15]
	v_or_b32_e32 v3, 0x1c0, v0
	v_cmp_gt_u32_e64 s[12:13], s33, v3
	v_ashrrev_i32_e32 v15, 31, v14
	v_ashrrev_i32_e32 v5, 31, v4
	v_cndmask_b32_e64 v16, v1, v3, s[12:13]
	v_or_b32_e32 v3, 0x200, v0
	v_cmp_gt_u32_e64 s[10:11], s33, v3
	v_ashrrev_i32_e32 v7, 31, v6
	v_ashrrev_i32_e32 v9, 31, v8
	v_cndmask_b32_e64 v18, v1, v3, s[10:11]
	v_or_b32_e32 v3, 0x240, v0
	v_cmp_gt_u32_e64 s[8:9], s33, v3
	v_ashrrev_i32_e32 v11, 31, v10
	v_lshlrev_b64 v[12:13], 2, v[12:13]
	v_cndmask_b32_e64 v20, v1, v3, s[8:9]
	v_or_b32_e32 v3, 0x280, v0
	v_cmp_gt_u32_e64 s[6:7], s33, v3
	v_lshlrev_b64 v[14:15], 2, v[14:15]
	v_ashrrev_i32_e32 v17, 31, v16
	v_cndmask_b32_e64 v22, v1, v3, s[6:7]
	v_or_b32_e32 v3, 0x2c0, v0
	v_cmp_gt_u32_e64 s[4:5], s33, v3
	v_lshlrev_b64 v[4:5], 2, v[4:5]
	v_lshlrev_b64 v[6:7], 2, v[6:7]
	v_cndmask_b32_e64 v24, v1, v3, s[4:5]
	v_or_b32_e32 v3, 0x300, v0
	v_cmp_gt_u32_e32 vcc, s33, v3
	v_lshlrev_b64 v[8:9], 2, v[8:9]
	v_lshlrev_b64 v[10:11], 2, v[10:11]
	v_cndmask_b32_e32 v26, v1, v3, vcc
	v_ashrrev_i32_e32 v3, 31, v2
	v_lshlrev_b64 v[2:3], 2, v[2:3]
	v_lshl_add_u64 v[28:29], s[28:29], 0, v[2:3]
	v_lshl_add_u64 v[38:39], s[28:29], 0, v[12:13]
	;; [unrolled: 1-line block ×3, first 2 shown]
	v_lshlrev_b64 v[16:17], 2, v[16:17]
	v_ashrrev_i32_e32 v19, 31, v18
	v_ashrrev_i32_e32 v21, 31, v20
	;; [unrolled: 1-line block ×3, first 2 shown]
	v_lshl_add_u64 v[30:31], s[28:29], 0, v[4:5]
	v_lshl_add_u64 v[32:33], s[28:29], 0, v[6:7]
	;; [unrolled: 1-line block ×5, first 2 shown]
	global_load_dword v1, v[28:29], off
	global_load_dword v44, v[30:31], off
	;; [unrolled: 1-line block ×5, first 2 shown]
	s_nop 0
	global_load_dword v38, v[38:39], off
	s_nop 0
	global_load_dword v39, v[40:41], off
	s_nop 0
	global_load_dword v40, v[42:43], off
	v_lshlrev_b64 v[18:19], 2, v[18:19]
	v_lshlrev_b64 v[20:21], 2, v[20:21]
	;; [unrolled: 1-line block ×3, first 2 shown]
	v_ashrrev_i32_e32 v25, 31, v24
	v_ashrrev_i32_e32 v27, 31, v26
	v_lshl_add_u64 v[28:29], s[28:29], 0, v[18:19]
	v_lshl_add_u64 v[30:31], s[28:29], 0, v[20:21]
	;; [unrolled: 1-line block ×3, first 2 shown]
	v_lshlrev_b64 v[24:25], 2, v[24:25]
	v_lshlrev_b64 v[26:27], 2, v[26:27]
	v_lshl_add_u64 v[34:35], s[28:29], 0, v[24:25]
	v_lshl_add_u64 v[36:37], s[28:29], 0, v[26:27]
	global_load_dword v28, v[28:29], off
	s_nop 0
	global_load_dword v29, v[30:31], off
	s_nop 0
	global_load_dword v30, v[32:33], off
	global_load_dword v31, v[34:35], off
	s_nop 0
	global_load_dword v32, v[36:37], off
	v_mbcnt_lo_u32_b32 v34, -1, 0
	v_mbcnt_hi_u32_b32 v34, -1, v34
	v_and_b32_e32 v35, 64, v34
	v_add_u32_e32 v35, 64, v35
	v_xor_b32_e32 v36, 32, v34
	v_cmp_lt_i32_e64 s[28:29], v36, v35
	s_mov_b32 s39, 0x3fb8aa3b
	s_waitcnt vmcnt(10)
	v_max3_f32 v33, v1, v44, v45
	v_cndmask_b32_e64 v36, v34, v36, s[28:29]
	s_waitcnt vmcnt(8)
	v_max3_f32 v33, v33, v46, v47
	v_lshlrev_b32_e32 v36, 2, v36
	s_waitcnt vmcnt(6)
	v_max3_f32 v33, v33, v38, v39
	s_waitcnt vmcnt(4)
	v_max3_f32 v33, v33, v40, v28
	;; [unrolled: 2-line block ×4, first 2 shown]
	ds_bpermute_b32 v37, v36, v33
	s_waitcnt lgkmcnt(0)
	v_max_f32_e32 v37, v37, v37
	v_max_f32_e32 v33, v33, v37
	v_xor_b32_e32 v37, 16, v34
	v_cmp_lt_i32_e64 s[28:29], v37, v35
	s_nop 1
	v_cndmask_b32_e64 v37, v34, v37, s[28:29]
	v_lshlrev_b32_e32 v37, 2, v37
	ds_bpermute_b32 v41, v37, v33
	s_waitcnt lgkmcnt(0)
	v_max_f32_e32 v41, v41, v41
	v_max_f32_e32 v33, v33, v41
	v_xor_b32_e32 v41, 8, v34
	v_cmp_lt_i32_e64 s[28:29], v41, v35
	s_nop 1
	v_cndmask_b32_e64 v41, v34, v41, s[28:29]
	v_lshlrev_b32_e32 v41, 2, v41
	ds_bpermute_b32 v42, v41, v33
	s_add_u32 s28, s40, s52
	s_addc_u32 s29, s41, s53
	s_add_u32 s40, s28, s42
	s_addc_u32 s41, s29, s43
	s_waitcnt lgkmcnt(0)
	v_max_f32_e32 v42, v42, v42
	v_max_f32_e32 v33, v33, v42
	v_xor_b32_e32 v42, 4, v34
	v_lshl_add_u64 v[2:3], s[40:41], 0, v[2:3]
	v_cmp_lt_i32_e64 s[28:29], v42, v35
	global_load_dword v43, v[2:3], off
	s_nop 0
	v_cndmask_b32_e64 v2, v34, v42, s[28:29]
	v_lshlrev_b32_e32 v42, 2, v2
	ds_bpermute_b32 v2, v42, v33
	s_waitcnt lgkmcnt(0)
	v_max_f32_e32 v2, v2, v2
	v_max_f32_e32 v33, v33, v2
	v_xor_b32_e32 v2, 2, v34
	v_cmp_lt_i32_e64 s[28:29], v2, v35
	s_nop 1
	v_cndmask_b32_e64 v2, v34, v2, s[28:29]
	v_lshlrev_b32_e32 v48, 2, v2
	ds_bpermute_b32 v49, v48, v33
	v_lshl_add_u64 v[2:3], s[40:41], 0, v[4:5]
	global_load_dword v50, v[2:3], off
	v_lshl_add_u64 v[4:5], s[40:41], 0, v[8:9]
	v_lshl_add_u64 v[8:9], s[40:41], 0, v[12:13]
	s_waitcnt lgkmcnt(0)
	v_max_f32_e32 v2, v49, v49
	v_max_f32_e32 v33, v33, v2
	v_xor_b32_e32 v2, 1, v34
	v_cmp_lt_i32_e64 s[28:29], v2, v35
	s_nop 1
	v_cndmask_b32_e64 v2, v34, v2, s[28:29]
	v_lshlrev_b32_e32 v34, 2, v2
	v_lshl_add_u64 v[2:3], s[40:41], 0, v[6:7]
	global_load_dword v12, v[2:3], off
	v_lshl_add_u64 v[6:7], s[40:41], 0, v[10:11]
	v_lshl_add_u64 v[2:3], s[40:41], 0, v[14:15]
	;; [unrolled: 1-line block ×3, first 2 shown]
	global_load_dword v13, v[4:5], off
	global_load_dword v14, v[6:7], off
	;; [unrolled: 1-line block ×5, first 2 shown]
	ds_bpermute_b32 v35, v34, v33
	v_lshl_add_u64 v[2:3], s[40:41], 0, v[18:19]
	v_lshl_add_u64 v[4:5], s[40:41], 0, v[20:21]
	;; [unrolled: 1-line block ×4, first 2 shown]
	s_waitcnt lgkmcnt(0)
	v_max_f32_e32 v18, v35, v35
	v_max_f32_e32 v18, v33, v18
	v_sub_f32_e32 v1, v1, v18
	v_mul_f32_e32 v19, 0x3fb8aa3b, v1
	v_fma_f32 v20, v1, s39, -v19
	v_rndne_f32_e32 v21, v19
	v_fmac_f32_e32 v20, 0x32a5705f, v1
	v_sub_f32_e32 v19, v19, v21
	v_lshl_add_u64 v[10:11], s[40:41], 0, v[26:27]
	v_add_f32_e32 v19, v19, v20
	v_cvt_i32_f32_e32 v20, v21
	global_load_dword v21, v[2:3], off
	global_load_dword v22, v[4:5], off
	;; [unrolled: 1-line block ×5, first 2 shown]
	v_sub_f32_e32 v4, v44, v18
	v_mul_f32_e32 v5, 0x3fb8aa3b, v4
	v_fma_f32 v6, v4, s39, -v5
	v_rndne_f32_e32 v7, v5
	v_exp_f32_e32 v19, v19
	v_fmac_f32_e32 v6, 0x32a5705f, v4
	v_sub_f32_e32 v5, v5, v7
	v_add_f32_e32 v5, v5, v6
	v_exp_f32_e32 v5, v5
	v_cvt_i32_f32_e32 v6, v7
	s_mov_b32 s40, 0xc2ce8ed0
	v_ldexp_f32 v2, v19, v20
	v_cmp_ngt_f32_e64 s[28:29], s40, v1
	s_mov_b32 s41, 0x42b17218
	v_mov_b32_e32 v3, 0x7f800000
	v_cndmask_b32_e64 v2, 0, v2, s[28:29]
	v_cmp_nlt_f32_e64 s[28:29], s41, v1
	s_nop 1
	v_cndmask_b32_e64 v1, v3, v2, s[28:29]
	v_ldexp_f32 v2, v5, v6
	v_sub_f32_e32 v5, v45, v18
	v_mul_f32_e32 v6, 0x3fb8aa3b, v5
	v_fma_f32 v7, v5, s39, -v6
	v_rndne_f32_e32 v8, v6
	v_fmac_f32_e32 v7, 0x32a5705f, v5
	v_sub_f32_e32 v6, v6, v8
	v_add_f32_e32 v6, v6, v7
	v_exp_f32_e32 v6, v6
	v_cvt_i32_f32_e32 v7, v8
	v_cndmask_b32_e64 v1, 0, v1, s[26:27]
	v_cmp_ngt_f32_e64 s[26:27], s40, v4
	s_waitcnt vmcnt(12)
	v_mul_f32_e32 v1, v43, v1
	v_cndmask_b32_e64 v2, 0, v2, s[26:27]
	v_cmp_nlt_f32_e64 s[26:27], s41, v4
	v_ldexp_f32 v4, v6, v7
	v_sub_f32_e32 v6, v46, v18
	v_mul_f32_e32 v7, 0x3fb8aa3b, v6
	v_fma_f32 v8, v6, s39, -v7
	v_rndne_f32_e32 v9, v7
	v_fmac_f32_e32 v8, 0x32a5705f, v6
	v_sub_f32_e32 v7, v7, v9
	v_add_f32_e32 v7, v7, v8
	v_exp_f32_e32 v7, v7
	v_cvt_i32_f32_e32 v8, v9
	v_cndmask_b32_e64 v2, v3, v2, s[26:27]
	v_cndmask_b32_e64 v2, 0, v2, s[24:25]
	v_cmp_ngt_f32_e64 s[24:25], s40, v5
	s_waitcnt vmcnt(11)
	v_mul_f32_e32 v2, v50, v2
	v_cndmask_b32_e64 v4, 0, v4, s[24:25]
	v_cmp_nlt_f32_e64 s[24:25], s41, v5
	v_ldexp_f32 v5, v7, v8
	v_sub_f32_e32 v7, v47, v18
	v_mul_f32_e32 v8, 0x3fb8aa3b, v7
	v_fma_f32 v9, v7, s39, -v8
	v_rndne_f32_e32 v10, v8
	v_fmac_f32_e32 v9, 0x32a5705f, v7
	v_sub_f32_e32 v8, v8, v10
	v_add_f32_e32 v8, v8, v9
	v_exp_f32_e32 v8, v8
	v_cvt_i32_f32_e32 v9, v10
	v_cndmask_b32_e64 v4, v3, v4, s[24:25]
	v_cndmask_b32_e64 v4, 0, v4, s[22:23]
	v_cmp_ngt_f32_e64 s[22:23], s40, v6
	s_waitcnt vmcnt(10)
	v_mul_f32_e32 v4, v12, v4
	v_cndmask_b32_e64 v5, 0, v5, s[22:23]
	v_cmp_nlt_f32_e64 s[22:23], s41, v6
	v_ldexp_f32 v6, v8, v9
	v_sub_f32_e32 v8, v38, v18
	v_mul_f32_e32 v9, 0x3fb8aa3b, v8
	v_fma_f32 v10, v8, s39, -v9
	v_rndne_f32_e32 v11, v9
	v_fmac_f32_e32 v10, 0x32a5705f, v8
	v_sub_f32_e32 v9, v9, v11
	v_add_f32_e32 v9, v9, v10
	v_exp_f32_e32 v9, v9
	v_cvt_i32_f32_e32 v10, v11
	v_cndmask_b32_e64 v5, v3, v5, s[22:23]
	v_cndmask_b32_e64 v5, 0, v5, s[20:21]
	v_cmp_ngt_f32_e64 s[20:21], s40, v7
	s_waitcnt vmcnt(9)
	v_mul_f32_e32 v5, v13, v5
	v_cndmask_b32_e64 v6, 0, v6, s[20:21]
	v_cmp_nlt_f32_e64 s[20:21], s41, v7
	v_ldexp_f32 v7, v9, v10
	v_sub_f32_e32 v9, v39, v18
	v_mul_f32_e32 v10, 0x3fb8aa3b, v9
	v_fma_f32 v11, v9, s39, -v10
	v_rndne_f32_e32 v12, v10
	v_fmac_f32_e32 v11, 0x32a5705f, v9
	v_sub_f32_e32 v10, v10, v12
	v_add_f32_e32 v10, v10, v11
	v_exp_f32_e32 v10, v10
	v_cvt_i32_f32_e32 v11, v12
	v_cndmask_b32_e64 v6, v3, v6, s[20:21]
	v_cndmask_b32_e64 v6, 0, v6, s[18:19]
	v_cmp_ngt_f32_e64 s[18:19], s40, v8
	s_waitcnt vmcnt(8)
	v_mul_f32_e32 v6, v14, v6
	v_cndmask_b32_e64 v7, 0, v7, s[18:19]
	v_cmp_nlt_f32_e64 s[18:19], s41, v8
	v_ldexp_f32 v8, v10, v11
	v_sub_f32_e32 v10, v40, v18
	v_mul_f32_e32 v11, 0x3fb8aa3b, v10
	v_fma_f32 v12, v10, s39, -v11
	v_rndne_f32_e32 v13, v11
	v_fmac_f32_e32 v12, 0x32a5705f, v10
	v_sub_f32_e32 v11, v11, v13
	v_add_f32_e32 v11, v11, v12
	v_exp_f32_e32 v11, v11
	v_cvt_i32_f32_e32 v12, v13
	v_cndmask_b32_e64 v7, v3, v7, s[18:19]
	v_cndmask_b32_e64 v7, 0, v7, s[16:17]
	v_cmp_ngt_f32_e64 s[16:17], s40, v9
	s_waitcnt vmcnt(7)
	v_mul_f32_e32 v7, v15, v7
	v_cndmask_b32_e64 v8, 0, v8, s[16:17]
	v_cmp_nlt_f32_e64 s[16:17], s41, v9
	v_ldexp_f32 v9, v11, v12
	v_sub_f32_e32 v11, v28, v18
	v_mul_f32_e32 v12, 0x3fb8aa3b, v11
	v_fma_f32 v13, v11, s39, -v12
	v_rndne_f32_e32 v14, v12
	v_fmac_f32_e32 v13, 0x32a5705f, v11
	v_sub_f32_e32 v12, v12, v14
	v_add_f32_e32 v12, v12, v13
	v_exp_f32_e32 v12, v12
	v_cvt_i32_f32_e32 v13, v14
	v_cndmask_b32_e64 v8, v3, v8, s[16:17]
	v_cndmask_b32_e64 v8, 0, v8, s[14:15]
	v_cmp_ngt_f32_e64 s[14:15], s40, v10
	s_waitcnt vmcnt(6)
	v_mul_f32_e32 v8, v16, v8
	v_cndmask_b32_e64 v9, 0, v9, s[14:15]
	v_cmp_nlt_f32_e64 s[14:15], s41, v10
	v_ldexp_f32 v10, v12, v13
	v_sub_f32_e32 v12, v29, v18
	v_mul_f32_e32 v13, 0x3fb8aa3b, v12
	v_fma_f32 v14, v12, s39, -v13
	v_rndne_f32_e32 v15, v13
	v_fmac_f32_e32 v14, 0x32a5705f, v12
	v_sub_f32_e32 v13, v13, v15
	v_add_f32_e32 v13, v13, v14
	v_exp_f32_e32 v13, v13
	v_cvt_i32_f32_e32 v14, v15
	v_cndmask_b32_e64 v9, v3, v9, s[14:15]
	v_cndmask_b32_e64 v9, 0, v9, s[12:13]
	v_cmp_ngt_f32_e64 s[12:13], s40, v11
	s_waitcnt vmcnt(5)
	v_mul_f32_e32 v9, v17, v9
	v_cndmask_b32_e64 v10, 0, v10, s[12:13]
	v_cmp_nlt_f32_e64 s[12:13], s41, v11
	v_ldexp_f32 v11, v13, v14
	v_sub_f32_e32 v13, v30, v18
	v_mul_f32_e32 v14, 0x3fb8aa3b, v13
	v_fma_f32 v15, v13, s39, -v14
	v_rndne_f32_e32 v16, v14
	v_fmac_f32_e32 v15, 0x32a5705f, v13
	v_sub_f32_e32 v14, v14, v16
	v_add_f32_e32 v14, v14, v15
	v_exp_f32_e32 v14, v14
	v_cvt_i32_f32_e32 v15, v16
	v_cndmask_b32_e64 v10, v3, v10, s[12:13]
	v_cndmask_b32_e64 v10, 0, v10, s[10:11]
	v_cmp_ngt_f32_e64 s[10:11], s40, v12
	s_waitcnt vmcnt(4)
	v_mul_f32_e32 v10, v21, v10
	v_cndmask_b32_e64 v11, 0, v11, s[10:11]
	v_cmp_nlt_f32_e64 s[10:11], s41, v12
	v_ldexp_f32 v12, v14, v15
	v_sub_f32_e32 v14, v31, v18
	v_mul_f32_e32 v15, 0x3fb8aa3b, v14
	v_fma_f32 v16, v14, s39, -v15
	v_rndne_f32_e32 v17, v15
	v_fmac_f32_e32 v16, 0x32a5705f, v14
	v_sub_f32_e32 v15, v15, v17
	v_add_f32_e32 v15, v15, v16
	v_exp_f32_e32 v15, v15
	v_cvt_i32_f32_e32 v16, v17
	v_cndmask_b32_e64 v11, v3, v11, s[10:11]
	v_cndmask_b32_e64 v11, 0, v11, s[8:9]
	v_cmp_ngt_f32_e64 s[8:9], s40, v13
	s_waitcnt vmcnt(3)
	v_mul_f32_e32 v11, v22, v11
	v_cndmask_b32_e64 v12, 0, v12, s[8:9]
	v_cmp_nlt_f32_e64 s[8:9], s41, v13
	v_ldexp_f32 v13, v15, v16
	v_sub_f32_e32 v15, v32, v18
	v_mul_f32_e32 v16, 0x3fb8aa3b, v15
	v_fma_f32 v17, v15, s39, -v16
	v_rndne_f32_e32 v18, v16
	v_fmac_f32_e32 v17, 0x32a5705f, v15
	v_sub_f32_e32 v16, v16, v18
	v_add_f32_e32 v16, v16, v17
	v_cndmask_b32_e64 v12, v3, v12, s[8:9]
	v_exp_f32_e32 v16, v16
	v_cvt_i32_f32_e32 v17, v18
	v_cndmask_b32_e64 v12, 0, v12, s[6:7]
	v_cmp_ngt_f32_e64 s[6:7], s40, v14
	s_waitcnt vmcnt(2)
	v_mul_f32_e32 v12, v23, v12
	v_cndmask_b32_e64 v13, 0, v13, s[6:7]
	v_cmp_nlt_f32_e64 s[6:7], s41, v14
	v_ldexp_f32 v14, v16, v17
	v_lshlrev_b32_e32 v16, 2, v0
	v_cndmask_b32_e64 v13, v3, v13, s[6:7]
	v_cndmask_b32_e64 v13, 0, v13, s[4:5]
	v_cmp_ngt_f32_e64 s[4:5], s40, v15
	ds_write2st64_b32 v16, v1, v2 offset1:1
	ds_write2st64_b32 v16, v4, v5 offset0:2 offset1:3
	ds_write2st64_b32 v16, v6, v7 offset0:4 offset1:5
	;; [unrolled: 1-line block ×3, first 2 shown]
	v_cndmask_b32_e64 v14, 0, v14, s[4:5]
	v_cmp_nlt_f32_e64 s[4:5], s41, v15
	s_nop 1
	v_cndmask_b32_e64 v3, v3, v14, s[4:5]
	v_add_f32_e32 v14, v1, v2
	v_add_f32_e32 v14, v14, v4
	;; [unrolled: 1-line block ×10, first 2 shown]
	v_cndmask_b32_e32 v3, 0, v3, vcc
	s_waitcnt vmcnt(1)
	v_fmac_f32_e32 v14, v24, v13
	s_waitcnt vmcnt(0)
	v_fmac_f32_e32 v14, v25, v3
	ds_bpermute_b32 v15, v36, v14
	v_cmp_eq_u32_e32 vcc, 0, v0
	v_mul_f32_e32 v13, v24, v13
	v_mul_f32_e32 v3, v25, v3
	ds_write2st64_b32 v16, v10, v11 offset0:8 offset1:9
	ds_write2st64_b32 v16, v12, v13 offset0:10 offset1:11
	ds_write_b32 v16, v3 offset:3072
	s_waitcnt lgkmcnt(3)
	v_add_f32_e32 v14, v14, v15
	ds_bpermute_b32 v15, v37, v14
	s_waitcnt lgkmcnt(0)
	v_add_f32_e32 v14, v14, v15
	ds_bpermute_b32 v15, v41, v14
	;; [unrolled: 3-line block ×5, first 2 shown]
	s_and_saveexec_b64 s[4:5], vcc
	s_cbranch_execz .LBB472_8
; %bb.7:
	s_waitcnt lgkmcnt(0)
	v_add_f32_e32 v1, v1, v2
	v_mov_b32_e32 v2, 0
	ds_write_b32 v2, v1 offset:3328
.LBB472_8:
	s_or_b64 exec, exec, s[4:5]
	v_mov_b32_e32 v1, s38
.LBB472_9:
	s_or_b64 exec, exec, s[48:49]
	s_lshl_b32 s4, s50, 6
	s_mov_b32 s5, 0
	s_lshl_b64 s[4:5], s[4:5], 1
	s_add_u32 s4, s36, s4
	s_addc_u32 s5, s37, s5
	s_lshl_b32 s10, s33, 6
	s_sub_i32 s11, s10, 64
	s_waitcnt lgkmcnt(0)
	v_lshlrev_b32_e32 v2, 6, v1
	v_mov_b32_e32 v3, 0
	s_cmp_lt_i32 s54, 1
	v_lshl_add_u64 v[4:5], v[2:3], 1, s[4:5]
	s_cselect_b32 s4, s11, 0
	v_lshlrev_b32_e32 v2, 1, v0
	s_ashr_i32 s5, s4, 31
	v_lshl_add_u64 v[0:1], v[4:5], 0, v[2:3]
	s_cmpk_lt_i32 s54, 0x101
	v_lshl_add_u64 v[4:5], s[4:5], 1, v[0:1]
	s_cselect_b32 s4, s11, 64
	s_ashr_i32 s5, s4, 31
	s_cmpk_lt_i32 s54, 0x201
	v_lshl_add_u64 v[6:7], s[4:5], 1, v[0:1]
	s_cselect_b32 s4, s11, 0x80
	s_ashr_i32 s5, s4, 31
	;; [unrolled: 4-line block ×8, first 2 shown]
	s_cmpk_lt_i32 s54, 0x901
	global_load_ushort v23, v[4:5], off
	global_load_ushort v22, v[6:7], off
	;; [unrolled: 1-line block ×8, first 2 shown]
	v_lshl_add_u64 v[4:5], s[4:5], 1, v[0:1]
	s_cselect_b32 s4, s11, 0x240
	s_ashr_i32 s5, s4, 31
	s_cmpk_lt_i32 s54, 0xa01
	v_lshl_add_u64 v[6:7], s[4:5], 1, v[0:1]
	s_cselect_b32 s4, s11, 0x280
	s_ashr_i32 s5, s4, 31
	s_cmpk_lt_i32 s54, 0xb01
	;; [unrolled: 4-line block ×6, first 2 shown]
	v_lshl_add_u64 v[32:33], s[4:5], 1, v[0:1]
	s_cselect_b32 s4, s11, 0x3c0
	s_ashr_i32 s5, s4, 31
	v_lshl_add_u64 v[34:35], s[4:5], 1, v[0:1]
	global_load_ushort v30, v[4:5], off
	global_load_ushort v31, v[6:7], off
	;; [unrolled: 1-line block ×8, first 2 shown]
	s_cmpk_gt_i32 s54, 0x1000
	s_cselect_b64 s[8:9], -1, 0
	s_cmpk_lt_i32 s54, 0x1001
	v_mov_b32_e32 v40, 0
	v_mov_b32_e32 v41, 0
	;; [unrolled: 1-line block ×48, first 2 shown]
	s_waitcnt lgkmcnt(0)
	; wave barrier
	s_cbranch_scc1 .LBB472_12
; %bb.10:
	s_cmpk_lt_u32 s54, 0x1101
	s_cselect_b32 s4, s11, 0x440
	s_ashr_i32 s5, s4, 31
	s_cmpk_lt_u32 s54, 0x1201
	v_lshl_add_u64 v[4:5], s[4:5], 1, v[0:1]
	s_cselect_b32 s4, s11, 0x480
	s_ashr_i32 s5, s4, 31
	s_cmpk_lt_u32 s54, 0x1301
	v_lshl_add_u64 v[6:7], s[4:5], 1, v[0:1]
	;; [unrolled: 4-line block ×7, first 2 shown]
	s_cselect_b32 s4, s11, 0x600
	s_ashr_i32 s5, s4, 31
	s_cmpk_lt_u32 s54, 0x1901
	global_load_ushort v39, v[0:1], off offset:2048
	global_load_ushort v38, v[4:5], off
	global_load_ushort v37, v[6:7], off
	;; [unrolled: 1-line block ×7, first 2 shown]
	v_lshl_add_u64 v[4:5], s[4:5], 1, v[0:1]
	s_cselect_b32 s4, s11, 0x640
	s_ashr_i32 s5, s4, 31
	s_cmpk_lt_u32 s54, 0x1a01
	v_lshl_add_u64 v[6:7], s[4:5], 1, v[0:1]
	s_cselect_b32 s4, s11, 0x680
	s_ashr_i32 s5, s4, 31
	s_cmpk_lt_u32 s54, 0x1b01
	;; [unrolled: 4-line block ×6, first 2 shown]
	v_lshl_add_u64 v[48:49], s[4:5], 1, v[0:1]
	s_cselect_b32 s4, s11, 0x7c0
	s_ashr_i32 s5, s4, 31
	v_lshl_add_u64 v[50:51], s[4:5], 1, v[0:1]
	global_load_ushort v47, v[4:5], off
	global_load_ushort v46, v[6:7], off
	;; [unrolled: 1-line block ×8, first 2 shown]
	s_cmpk_lt_u32 s54, 0x2001
	v_mov_b32_e32 v67, 0
	v_mov_b32_e32 v65, 0
	;; [unrolled: 1-line block ×32, first 2 shown]
	s_cbranch_scc1 .LBB472_12
; %bb.11:
	s_cmpk_lt_u32 s54, 0x2101
	s_cselect_b32 s4, s11, 0x840
	s_ashr_i32 s5, s4, 31
	s_cmpk_lt_u32 s54, 0x2201
	v_lshl_add_u64 v[4:5], s[4:5], 1, v[0:1]
	s_cselect_b32 s4, s11, 0x880
	s_ashr_i32 s5, s4, 31
	s_cmpk_lt_u32 s54, 0x2301
	v_lshl_add_u64 v[6:7], s[4:5], 1, v[0:1]
	;; [unrolled: 4-line block ×29, first 2 shown]
	s_cselect_b32 s4, s11, 0xf80
	s_ashr_i32 s5, s4, 31
	v_lshl_add_u64 v[94:95], s[4:5], 1, v[0:1]
	s_movk_i32 s4, 0x1000
	s_cmpk_lt_u32 s54, 0x3f01
	v_add_co_u32_e32 v96, vcc, s4, v0
	s_cselect_b32 s4, s11, 0xfc0
	s_nop 0
	v_addc_co_u32_e32 v97, vcc, 0, v1, vcc
	s_ashr_i32 s5, s4, 31
	global_load_ushort v98, v[96:97], off
	global_load_ushort v99, v[4:5], off
	global_load_ushort v100, v[6:7], off
	global_load_ushort v101, v[8:9], off
	global_load_ushort v102, v[10:11], off
	global_load_ushort v103, v[12:13], off
	global_load_ushort v104, v[14:15], off
	global_load_ushort v105, v[48:49], off
	global_load_ushort v106, v[50:51], off
	global_load_ushort v107, v[52:53], off
	global_load_ushort v108, v[54:55], off
	global_load_ushort v109, v[56:57], off
	global_load_ushort v110, v[58:59], off
	global_load_ushort v111, v[60:61], off
	global_load_ushort v112, v[62:63], off
                                        ; kill: killed $vgpr52_vgpr53
                                        ; kill: killed $vgpr4_vgpr5
                                        ; kill: killed $vgpr58_vgpr59
                                        ; kill: killed $vgpr10_vgpr11
                                        ; kill: killed $vgpr48_vgpr49
                                        ; kill: killed $vgpr54_vgpr55
                                        ; kill: killed $vgpr6_vgpr7
                                        ; kill: killed $vgpr60_vgpr61
                                        ; kill: killed $vgpr12_vgpr13
                                        ; kill: killed $vgpr50_vgpr51
                                        ; kill: killed $vgpr56_vgpr57
                                        ; kill: killed $vgpr8_vgpr9
                                        ; kill: killed $vgpr62_vgpr63
                                        ; kill: killed $vgpr14_vgpr15
                                        ; kill: killed $vgpr96 killed $vgpr97
	global_load_ushort v6, v[64:65], off
	global_load_ushort v7, v[66:67], off
	;; [unrolled: 1-line block ×15, first 2 shown]
                                        ; kill: killed $vgpr84_vgpr85
                                        ; kill: killed $vgpr68_vgpr69
                                        ; kill: killed $vgpr90_vgpr91
                                        ; kill: killed $vgpr74_vgpr75
                                        ; kill: killed $vgpr80_vgpr81
                                        ; kill: killed $vgpr64_vgpr65
                                        ; kill: killed $vgpr70_vgpr71
                                        ; kill: killed $vgpr92_vgpr93
                                        ; kill: killed $vgpr76_vgpr77
                                        ; kill: killed $vgpr82_vgpr83
                                        ; kill: killed $vgpr66_vgpr67
                                        ; kill: killed $vgpr88_vgpr89
                                        ; kill: killed $vgpr72_vgpr73
                                        ; kill: killed $vgpr94_vgpr95
                                        ; kill: killed $vgpr78_vgpr79
	global_load_ushort v68, v[86:87], off
	v_lshl_add_u64 v[4:5], s[4:5], 1, v[0:1]
	global_load_ushort v5, v[4:5], off
	s_waitcnt vmcnt(31)
	v_lshlrev_b32_e32 v67, 16, v98
	s_waitcnt vmcnt(30)
	v_lshlrev_b32_e32 v65, 16, v99
	;; [unrolled: 2-line block ×32, first 2 shown]
.LBB472_12:
	s_load_dwordx2 s[4:5], s[0:1], 0x0
	s_load_dwordx2 s[6:7], s[0:1], 0x38
	ds_read_b128 v[68:71], v3
	s_waitcnt vmcnt(15)
	v_lshlrev_b32_e32 v23, 16, v23
	ds_read_b128 v[72:75], v3 offset:16
	ds_read_b128 v[76:79], v3 offset:32
	;; [unrolled: 1-line block ×3, first 2 shown]
	s_waitcnt vmcnt(14)
	v_lshlrev_b32_e32 v22, 16, v22
	s_waitcnt vmcnt(13)
	v_lshlrev_b32_e32 v21, 16, v21
	s_waitcnt lgkmcnt(0)
	v_fma_f32 v23, v68, v23, 0
	v_fmac_f32_e32 v23, v69, v22
	v_fmac_f32_e32 v23, v70, v21
	s_waitcnt vmcnt(12)
	v_lshlrev_b32_e32 v20, 16, v20
	s_waitcnt vmcnt(10)
	v_lshlrev_b32_e32 v19, 16, v19
	v_lshlrev_b32_e32 v18, 16, v18
	v_fmac_f32_e32 v23, v71, v20
	v_pk_mul_f32 v[18:19], v[72:73], v[18:19]
	s_waitcnt vmcnt(8)
	v_lshlrev_b32_e32 v17, 16, v17
	v_add_f32_e32 v18, v23, v18
	v_lshlrev_b32_e32 v16, 16, v16
	v_add_f32_e32 v18, v18, v19
	v_pk_mul_f32 v[16:17], v[74:75], v[16:17]
	s_and_b64 vcc, exec, s[8:9]
	v_add_f32_e32 v16, v18, v16
	v_add_f32_e32 v18, v16, v17
	s_waitcnt vmcnt(6)
	v_lshlrev_b32_e32 v17, 16, v31
	v_lshlrev_b32_e32 v16, 16, v30
	v_pk_mul_f32 v[16:17], v[76:77], v[16:17]
	s_nop 0
	v_add_f32_e32 v16, v18, v16
	v_add_f32_e32 v18, v16, v17
	s_waitcnt vmcnt(4)
	v_lshlrev_b32_e32 v17, 16, v29
	v_lshlrev_b32_e32 v16, 16, v28
	v_pk_mul_f32 v[16:17], v[78:79], v[16:17]
	s_nop 0
	;; [unrolled: 7-line block ×4, first 2 shown]
	v_add_f32_e32 v16, v18, v16
	v_add_f32_e32 v110, v16, v17
	s_cbranch_vccz .LBB472_15
; %bb.13:
	ds_read_b128 v[16:19], v3 offset:64
	v_lshlrev_b32_e32 v39, 16, v39
	ds_read_b128 v[20:23], v3 offset:80
	ds_read_b128 v[24:27], v3 offset:96
	;; [unrolled: 1-line block ×3, first 2 shown]
	v_lshlrev_b32_e32 v3, 16, v38
	s_cmpk_lt_u32 s54, 0x2001
	s_waitcnt lgkmcnt(3)
	v_fmac_f32_e32 v110, v16, v39
	v_fmac_f32_e32 v110, v17, v3
	v_lshlrev_b32_e32 v3, 16, v37
	v_fmac_f32_e32 v110, v18, v3
	v_lshlrev_b32_e32 v3, 16, v36
	v_fmac_f32_e32 v110, v19, v3
	v_lshlrev_b32_e32 v3, 16, v35
	s_waitcnt lgkmcnt(2)
	v_fmac_f32_e32 v110, v20, v3
	v_lshlrev_b32_e32 v3, 16, v34
	v_fmac_f32_e32 v110, v21, v3
	v_lshlrev_b32_e32 v3, 16, v33
	v_fmac_f32_e32 v110, v22, v3
	v_lshlrev_b32_e32 v3, 16, v32
	v_fmac_f32_e32 v110, v23, v3
	v_lshlrev_b32_e32 v3, 16, v47
	s_waitcnt lgkmcnt(1)
	v_fmac_f32_e32 v110, v24, v3
	v_lshlrev_b32_e32 v3, 16, v46
	;; [unrolled: 9-line block ×3, first 2 shown]
	v_fmac_f32_e32 v110, v29, v3
	v_lshlrev_b32_e32 v3, 16, v41
	v_fmac_f32_e32 v110, v30, v3
	v_lshlrev_b32_e32 v3, 16, v40
	v_fmac_f32_e32 v110, v31, v3
	s_cbranch_scc1 .LBB472_15
; %bb.14:
	v_mov_b32_e32 v3, 0
	ds_read_b128 v[16:19], v3 offset:128
	ds_read_b128 v[20:23], v3 offset:144
	;; [unrolled: 1-line block ×4, first 2 shown]
	s_waitcnt lgkmcnt(3)
	v_fmac_f32_e32 v110, v16, v67
	v_fmac_f32_e32 v110, v17, v65
	v_fmac_f32_e32 v110, v18, v66
	v_fmac_f32_e32 v110, v19, v63
	s_waitcnt lgkmcnt(2)
	v_fmac_f32_e32 v110, v20, v64
	v_fmac_f32_e32 v110, v21, v61
	v_fmac_f32_e32 v110, v22, v62
	v_fmac_f32_e32 v110, v23, v59
	;; [unrolled: 5-line block ×3, first 2 shown]
	ds_read_b128 v[16:19], v3 offset:192
	ds_read_b128 v[20:23], v3 offset:208
	s_waitcnt lgkmcnt(2)
	v_fmac_f32_e32 v110, v28, v56
	v_fmac_f32_e32 v110, v29, v53
	;; [unrolled: 1-line block ×4, first 2 shown]
	s_waitcnt lgkmcnt(1)
	v_fmac_f32_e32 v110, v16, v51
	v_fmac_f32_e32 v110, v17, v49
	;; [unrolled: 1-line block ×4, first 2 shown]
	s_waitcnt lgkmcnt(0)
	v_pk_mul_f32 v[14:15], v[20:21], v[14:15]
	v_pk_mul_f32 v[12:13], v[22:23], v[12:13]
	v_add_f32_e32 v14, v110, v14
	v_add_f32_e32 v18, v14, v15
	ds_read_b128 v[14:17], v3 offset:224
	v_add_f32_e32 v12, v18, v12
	ds_read_b128 v[18:21], v3 offset:240
	v_add_f32_e32 v12, v12, v13
	s_waitcnt lgkmcnt(1)
	v_pk_mul_f32 v[10:11], v[14:15], v[10:11]
	s_nop 0
	v_add_f32_e32 v3, v12, v10
	v_add_f32_e32 v3, v3, v11
	v_pk_mul_f32 v[8:9], v[16:17], v[8:9]
	s_waitcnt lgkmcnt(0)
	v_pk_mul_f32 v[6:7], v[18:19], v[6:7]
	v_add_f32_e32 v3, v3, v8
	v_add_f32_e32 v3, v3, v9
	;; [unrolled: 1-line block ×4, first 2 shown]
	v_pk_mul_f32 v[4:5], v[20:21], v[4:5]
	s_nop 0
	v_add_f32_e32 v3, v3, v4
	v_add_f32_e32 v110, v3, v5
.LBB472_15:
	s_movk_i32 s0, 0x1fc0
	s_movk_i32 s1, 0x100
	s_mov_b32 s8, 64
	s_branch .LBB472_17
.LBB472_16:                             ;   in Loop: Header=BB472_17 Depth=1
	s_addk_i32 s0, 0x1000
	s_addk_i32 s1, 0x100
	s_add_i32 s8, s8, 64
	s_cmpk_eq_u32 s0, 0xdfc0
	s_cbranch_scc1 .LBB472_19
.LBB472_17:                             ; =>This Inner Loop Header: Depth=1
	s_cmp_le_i32 s33, s8
	s_cbranch_scc1 .LBB472_16
; %bb.18:                               ;   in Loop: Header=BB472_17 Depth=1
	s_add_i32 s9, s0, 0xfffff040
	s_cmp_lt_i32 s9, s10
	s_cselect_b32 s12, s9, s11
	s_ashr_i32 s13, s12, 31
	s_add_i32 s9, s0, 0xfffff080
	s_cmp_lt_i32 s9, s10
	v_lshl_add_u64 v[44:45], s[12:13], 1, v[0:1]
	s_cselect_b32 s12, s9, s11
	s_ashr_i32 s13, s12, 31
	s_add_i32 s9, s0, 0xfffff0c0
	s_cmp_lt_i32 s9, s10
	v_lshl_add_u64 v[4:5], s[12:13], 1, v[0:1]
	;; [unrolled: 5-line block ×14, first 2 shown]
	s_cselect_b32 s12, s9, s11
	s_ashr_i32 s13, s12, 31
	s_add_i32 s9, s0, 0xfffff400
	s_cmp_lt_i32 s9, s10
	global_load_ushort v3, v[44:45], off
	global_load_ushort v120, v[46:47], off
	v_lshl_add_u64 v[60:61], s[12:13], 1, v[0:1]
	s_cselect_b32 s12, s9, s11
	global_load_ushort v111, v[4:5], off
	global_load_ushort v112, v[6:7], off
	;; [unrolled: 1-line block ×7, first 2 shown]
	s_ashr_i32 s13, s12, 31
	s_add_i32 s9, s0, 0xfffff440
	s_cmp_lt_i32 s9, s10
	v_lshl_add_u64 v[66:67], s[12:13], 1, v[0:1]
	s_cselect_b32 s12, s9, s11
	s_ashr_i32 s13, s12, 31
	s_add_i32 s9, s0, 0xfffff480
	s_cmp_lt_i32 s9, s10
	v_lshl_add_u64 v[62:63], s[12:13], 1, v[0:1]
	s_cselect_b32 s12, s9, s11
	;; [unrolled: 5-line block ×14, first 2 shown]
	s_ashr_i32 s13, s12, 31
	s_add_i32 s9, s0, 0xfffff7c0
	global_load_ushort v118, v[28:29], off
	global_load_ushort v119, v[30:31], off
	s_cmp_lt_i32 s9, s10
	v_lshl_add_u64 v[26:27], s[12:13], 1, v[0:1]
	s_cselect_b32 s12, s9, s11
	s_ashr_i32 s13, s12, 31
	s_add_i32 s9, s0, 0xfffff800
	s_cmp_lt_i32 s9, s10
	v_lshl_add_u64 v[52:53], s[12:13], 1, v[0:1]
	s_cselect_b32 s12, s9, s11
	global_load_ushort v121, v[54:55], off
	global_load_ushort v122, v[56:57], off
	s_ashr_i32 s13, s12, 31
	global_load_ushort v58, v[58:59], off
	s_add_i32 s9, s0, 0xfffff840
	s_cmp_lt_i32 s9, s10
	v_lshl_add_u64 v[64:65], s[12:13], 1, v[0:1]
	s_cselect_b32 s12, s9, s11
	global_load_ushort v59, v[60:61], off
	s_ashr_i32 s13, s12, 31
	s_add_i32 s9, s0, 0xfffff880
	global_load_ushort v60, v[66:67], off
	global_load_ushort v61, v[62:63], off
	s_cmp_lt_i32 s9, s10
	v_lshl_add_u64 v[68:69], s[12:13], 1, v[0:1]
	s_cselect_b32 s12, s9, s11
	s_ashr_i32 s13, s12, 31
	s_add_i32 s9, s0, 0xfffff8c0
	s_cmp_lt_i32 s9, s10
	v_lshl_add_u64 v[70:71], s[12:13], 1, v[0:1]
	s_cselect_b32 s12, s9, s11
	s_ashr_i32 s13, s12, 31
	s_add_i32 s9, s0, 0xfffff900
	;; [unrolled: 5-line block ×3, first 2 shown]
	s_cmp_lt_i32 s9, s10
	v_lshl_add_u64 v[74:75], s[12:13], 1, v[0:1]
	s_cselect_b32 s12, s9, s11
	global_load_ushort v62, v[22:23], off
	s_ashr_i32 s13, s12, 31
	s_add_i32 s9, s0, 0xfffff980
	global_load_ushort v66, v[32:33], off
	global_load_ushort v123, v[34:35], off
	;; [unrolled: 1-line block ×4, first 2 shown]
	s_cmp_lt_i32 s9, s10
	v_lshl_add_u64 v[76:77], s[12:13], 1, v[0:1]
	s_cselect_b32 s12, s9, s11
	global_load_ushort v67, v[48:49], off
	s_ashr_i32 s13, s12, 31
	s_add_i32 s9, s0, 0xfffff9c0
	s_cmp_lt_i32 s9, s10
	v_lshl_add_u64 v[78:79], s[12:13], 1, v[0:1]
	s_cselect_b32 s12, s9, s11
	s_ashr_i32 s13, s12, 31
	s_add_i32 s9, s0, 0xfffffa00
	s_cmp_lt_i32 s9, s10
	v_lshl_add_u64 v[80:81], s[12:13], 1, v[0:1]
	s_cselect_b32 s12, s9, s11
	s_ashr_i32 s13, s12, 31
	s_add_i32 s9, s0, 0xfffffa40
	s_cmp_lt_i32 s9, s10
	v_mov_b32_e32 v124, s1
	v_lshl_add_u64 v[82:83], s[12:13], 1, v[0:1]
	s_cselect_b32 s12, s9, s11
	ds_read_b128 v[30:33], v124
	ds_read_b128 v[34:37], v124 offset:16
	global_load_ushort v50, v[50:51], off
	s_ashr_i32 s13, s12, 31
	s_add_i32 s9, s0, 0xfffffa80
	s_cmp_lt_i32 s9, s10
	v_lshl_add_u64 v[84:85], s[12:13], 1, v[0:1]
	s_cselect_b32 s12, s9, s11
	ds_read_b128 v[46:49], v124 offset:32
	ds_read_b128 v[54:57], v124 offset:48
	global_load_ushort v38, v[38:39], off
	s_ashr_i32 s13, s12, 31
	s_waitcnt vmcnt(24)
	v_lshlrev_b32_e32 v3, 16, v3
	v_lshl_add_u64 v[86:87], s[12:13], 1, v[0:1]
	global_load_ushort v51, v[86:87], off
	s_waitcnt lgkmcnt(3)
	v_fmac_f32_e32 v110, v30, v3
	s_waitcnt vmcnt(23)
	v_lshlrev_b32_e32 v3, 16, v111
	v_fmac_f32_e32 v110, v31, v3
	s_waitcnt vmcnt(22)
	v_lshlrev_b32_e32 v3, 16, v112
	global_load_ushort v39, v[18:19], off
	v_fmac_f32_e32 v110, v32, v3
	s_waitcnt vmcnt(22)
	v_lshlrev_b32_e32 v3, 16, v113
	v_fmac_f32_e32 v110, v33, v3
	s_waitcnt vmcnt(21)
	v_lshlrev_b32_e32 v3, 16, v114
	s_waitcnt lgkmcnt(2)
	v_fmac_f32_e32 v110, v34, v3
	global_load_ushort v3, v[20:21], off
	global_load_ushort v34, v[40:41], off
	s_add_i32 s9, s0, 0xfffffac0
	global_load_ushort v26, v[26:27], off
	s_waitcnt vmcnt(23)
	v_lshlrev_b32_e32 v18, 16, v115
	v_fmac_f32_e32 v110, v35, v18
	global_load_ushort v35, v[42:43], off
	global_load_ushort v27, v[52:53], off
	s_cmp_lt_i32 s9, s10
	s_cselect_b32 s12, s9, s11
	s_ashr_i32 s13, s12, 31
	s_add_i32 s9, s0, 0xfffffb00
	s_cmp_lt_i32 s9, s10
	v_lshl_add_u64 v[88:89], s[12:13], 1, v[0:1]
	s_cselect_b32 s12, s9, s11
	s_ashr_i32 s13, s12, 31
	s_add_i32 s9, s0, 0xfffffb40
	s_cmp_lt_i32 s9, s10
	v_lshl_add_u64 v[90:91], s[12:13], 1, v[0:1]
	;; [unrolled: 5-line block ×6, first 2 shown]
	s_cselect_b32 s12, s9, s11
	s_ashr_i32 s13, s12, 31
	s_add_i32 s9, s0, 0xfffffc80
	s_waitcnt vmcnt(24)
	v_lshlrev_b32_e32 v18, 16, v116
	s_cmp_lt_i32 s9, s10
	v_fmac_f32_e32 v110, v36, v18
	global_load_ushort v36, v[64:65], off
	s_waitcnt vmcnt(24)
	v_lshlrev_b32_e32 v18, 16, v117
	v_lshl_add_u64 v[102:103], s[12:13], 1, v[0:1]
	s_cselect_b32 s12, s9, s11
	v_fmac_f32_e32 v110, v37, v18
	global_load_ushort v37, v[68:69], off
	global_load_ushort v40, v[70:71], off
	;; [unrolled: 1-line block ×3, first 2 shown]
	s_waitcnt vmcnt(26)
	v_lshlrev_b32_e32 v18, 16, v118
	s_ashr_i32 s13, s12, 31
	s_add_i32 s9, s0, 0xfffffcc0
	s_waitcnt lgkmcnt(1)
	v_fmac_f32_e32 v110, v46, v18
	global_load_ushort v46, v[78:79], off
	s_waitcnt vmcnt(26)
	v_lshlrev_b32_e32 v18, 16, v119
	s_cmp_lt_i32 s9, s10
	v_fmac_f32_e32 v110, v47, v18
	v_lshlrev_b32_e32 v18, 16, v120
	v_lshl_add_u64 v[104:105], s[12:13], 1, v[0:1]
	s_cselect_b32 s12, s9, s11
	v_fmac_f32_e32 v110, v48, v18
	global_load_ushort v48, v[82:83], off
	global_load_ushort v42, v[74:75], off
	;; [unrolled: 1-line block ×4, first 2 shown]
	s_ashr_i32 s13, s12, 31
	s_add_i32 s9, s0, 0xfffffd00
	s_cmp_lt_i32 s9, s10
	s_waitcnt vmcnt(29)
	v_lshlrev_b32_e32 v18, 16, v121
	v_lshl_add_u64 v[106:107], s[12:13], 1, v[0:1]
	s_cselect_b32 s12, s9, s11
	v_fmac_f32_e32 v110, v49, v18
	global_load_ushort v49, v[84:85], off
	global_load_ushort v53, v[88:89], off
	s_waitcnt vmcnt(30)
	v_lshlrev_b32_e32 v18, 16, v122
	s_ashr_i32 s13, s12, 31
	s_add_i32 s9, s0, 0xfffffd40
	s_waitcnt lgkmcnt(0)
	v_fmac_f32_e32 v110, v54, v18
	global_load_ushort v54, v[90:91], off
	s_waitcnt vmcnt(30)
	v_lshlrev_b32_e32 v18, 16, v58
	s_cmp_lt_i32 s9, s10
	v_fmac_f32_e32 v110, v55, v18
	s_waitcnt vmcnt(29)
	v_lshlrev_b32_e32 v18, 16, v59
	v_lshl_add_u64 v[98:99], s[12:13], 1, v[0:1]
	s_cselect_b32 s12, s9, s11
	v_fmac_f32_e32 v110, v56, v18
	s_waitcnt vmcnt(28)
	v_lshlrev_b32_e32 v18, 16, v60
	s_ashr_i32 s13, s12, 31
	s_add_i32 s9, s0, 0xfffffd80
	v_fmac_f32_e32 v110, v57, v18
	ds_read_b128 v[18:21], v124 offset:64
	ds_read_b128 v[30:33], v124 offset:80
	s_cmp_lt_i32 s9, s10
	v_lshl_add_u64 v[44:45], s[12:13], 1, v[0:1]
	s_cselect_b32 s12, s9, s11
	s_ashr_i32 s13, s12, 31
	s_add_i32 s9, s0, 0xfffffdc0
	s_cmp_lt_i32 s9, s10
	s_waitcnt vmcnt(27)
	v_lshlrev_b32_e32 v52, 16, v61
	v_lshl_add_u64 v[108:109], s[12:13], 1, v[0:1]
	s_cselect_b32 s12, s9, s11
	s_waitcnt lgkmcnt(1)
	v_fmac_f32_e32 v110, v18, v52
	global_load_ushort v52, v[92:93], off
	global_load_ushort v55, v[94:95], off
	s_ashr_i32 s13, s12, 31
	s_add_i32 s9, s0, 0xfffffe00
	s_cmp_lt_i32 s9, s10
	global_load_ushort v56, v[96:97], off
	global_load_ushort v57, v[100:101], off
	;; [unrolled: 1-line block ×4, first 2 shown]
	v_lshl_add_u64 v[4:5], s[12:13], 1, v[0:1]
	s_cselect_b32 s12, s9, s11
	s_ashr_i32 s13, s12, 31
	s_add_i32 s9, s0, 0xfffffe40
	s_cmp_lt_i32 s9, s10
	s_waitcnt vmcnt(32)
	v_lshlrev_b32_e32 v18, 16, v62
	v_lshl_add_u64 v[6:7], s[12:13], 1, v[0:1]
	s_cselect_b32 s12, s9, s11
	v_fmac_f32_e32 v110, v19, v18
	s_waitcnt vmcnt(28)
	v_lshlrev_b32_e32 v18, 16, v63
	s_ashr_i32 s13, s12, 31
	s_add_i32 s9, s0, 0xfffffe80
	v_fmac_f32_e32 v110, v20, v18
	v_lshlrev_b32_e32 v18, 16, v66
	s_cmp_lt_i32 s9, s10
	v_fmac_f32_e32 v110, v21, v18
	s_waitcnt vmcnt(27)
	v_lshlrev_b32_e32 v18, 16, v67
	v_lshl_add_u64 v[8:9], s[12:13], 1, v[0:1]
	s_cselect_b32 s12, s9, s11
	s_waitcnt lgkmcnt(0)
	v_fmac_f32_e32 v110, v30, v18
	global_load_ushort v30, v[106:107], off
	s_ashr_i32 s13, s12, 31
	s_add_i32 s9, s0, 0xfffffec0
	s_cmp_lt_i32 s9, s10
	global_load_ushort v60, v[98:99], off
	global_load_ushort v61, v[44:45], off
	;; [unrolled: 1-line block ×3, first 2 shown]
	v_lshl_add_u64 v[12:13], s[12:13], 1, v[0:1]
	s_cselect_b32 s12, s9, s11
	v_lshlrev_b32_e32 v18, 16, v123
	s_ashr_i32 s13, s12, 31
	s_add_i32 s9, s0, 0xffffff00
	v_fmac_f32_e32 v110, v31, v18
	v_lshlrev_b32_e32 v18, 16, v125
	s_cmp_lt_i32 s9, s10
	v_fmac_f32_e32 v110, v32, v18
	global_load_ushort v31, v[4:5], off
	global_load_ushort v32, v[6:7], off
	v_lshl_add_u64 v[10:11], s[12:13], 1, v[0:1]
	s_cselect_b32 s12, s9, s11
	s_ashr_i32 s13, s12, 31
	s_add_i32 s9, s0, 0xffffff40
	s_cmp_lt_i32 s9, s10
	s_waitcnt vmcnt(32)
	v_lshlrev_b32_e32 v4, 16, v50
	v_lshl_add_u64 v[16:17], s[12:13], 1, v[0:1]
	s_cselect_b32 s12, s9, s11
	v_fmac_f32_e32 v110, v33, v4
	ds_read_b128 v[4:7], v124 offset:96
	s_ashr_i32 s13, s12, 31
	s_add_i32 s9, s0, 0xffffff80
	s_cmp_lt_i32 s9, s10
	s_waitcnt vmcnt(31)
	v_lshlrev_b32_e32 v33, 16, v38
	global_load_ushort v38, v[8:9], off
	global_load_ushort v44, v[12:13], off
	v_lshl_add_u64 v[14:15], s[12:13], 1, v[0:1]
	s_cselect_b32 s12, s9, s11
	s_ashr_i32 s13, s12, 31
	s_sub_i32 s9, s0, 64
	s_cmp_lt_i32 s9, s10
	ds_read_b128 v[18:21], v124 offset:112
	s_waitcnt lgkmcnt(1)
	v_fmac_f32_e32 v110, v4, v33
	s_waitcnt vmcnt(31)
	v_lshlrev_b32_e32 v4, 16, v39
	global_load_ushort v33, v[10:11], off
	global_load_ushort v39, v[16:17], off
	v_lshl_add_u64 v[28:29], s[12:13], 1, v[0:1]
	s_cselect_b32 s12, s9, s11
	s_ashr_i32 s13, s12, 31
	s_cmp_lt_i32 s0, s10
	v_fmac_f32_e32 v110, v5, v4
	s_waitcnt vmcnt(32)
	v_lshlrev_b32_e32 v3, 16, v3
	global_load_ushort v16, v[14:15], off
	global_load_ushort v17, v[28:29], off
	v_lshl_add_u64 v[22:23], s[12:13], 1, v[0:1]
	s_cselect_b32 s12, s0, s11
	v_fmac_f32_e32 v110, v6, v3
	s_waitcnt vmcnt(33)
	v_lshlrev_b32_e32 v3, 16, v34
	s_ashr_i32 s13, s12, 31
	v_fmac_f32_e32 v110, v7, v3
	s_waitcnt vmcnt(31)
	v_lshlrev_b32_e32 v3, 16, v35
	v_lshl_add_u64 v[24:25], s[12:13], 1, v[0:1]
	s_waitcnt lgkmcnt(0)
	v_fmac_f32_e32 v110, v18, v3
	global_load_ushort v3, v[22:23], off
	global_load_ushort v14, v[24:25], off
	v_lshlrev_b32_e32 v4, 16, v26
	v_fmac_f32_e32 v110, v19, v4
	s_waitcnt vmcnt(32)
	v_lshlrev_b32_e32 v4, 16, v27
	v_fmac_f32_e32 v110, v20, v4
	ds_read_b128 v[4:7], v124 offset:128
	s_waitcnt vmcnt(31)
	v_lshlrev_b32_e32 v8, 16, v36
	v_fmac_f32_e32 v110, v21, v8
	ds_read_b128 v[8:11], v124 offset:144
	s_waitcnt vmcnt(30)
	v_lshlrev_b32_e32 v12, 16, v37
	s_waitcnt lgkmcnt(1)
	v_fmac_f32_e32 v110, v4, v12
	s_waitcnt vmcnt(29)
	v_lshlrev_b32_e32 v4, 16, v40
	v_fmac_f32_e32 v110, v5, v4
	s_waitcnt vmcnt(28)
	v_lshlrev_b32_e32 v4, 16, v41
	;; [unrolled: 3-line block ×4, first 2 shown]
	s_waitcnt lgkmcnt(0)
	v_fmac_f32_e32 v110, v8, v4
	v_lshlrev_b32_e32 v4, 16, v46
	v_fmac_f32_e32 v110, v9, v4
	s_waitcnt vmcnt(23)
	v_lshlrev_b32_e32 v4, 16, v47
	v_fmac_f32_e32 v110, v10, v4
	ds_read_b128 v[4:7], v124 offset:160
	v_lshlrev_b32_e32 v8, 16, v48
	v_fmac_f32_e32 v110, v11, v8
	ds_read_b128 v[8:11], v124 offset:176
	s_waitcnt vmcnt(22)
	v_lshlrev_b32_e32 v12, 16, v49
	s_waitcnt lgkmcnt(1)
	v_fmac_f32_e32 v110, v4, v12
	v_lshlrev_b32_e32 v4, 16, v51
	v_fmac_f32_e32 v110, v5, v4
	s_waitcnt vmcnt(21)
	v_lshlrev_b32_e32 v4, 16, v53
	v_fmac_f32_e32 v110, v6, v4
	s_waitcnt vmcnt(20)
	;; [unrolled: 3-line block ×3, first 2 shown]
	v_lshlrev_b32_e32 v4, 16, v52
	s_waitcnt lgkmcnt(0)
	v_fmac_f32_e32 v110, v8, v4
	s_waitcnt vmcnt(18)
	v_lshlrev_b32_e32 v4, 16, v55
	v_fmac_f32_e32 v110, v9, v4
	s_waitcnt vmcnt(17)
	v_lshlrev_b32_e32 v4, 16, v56
	v_fmac_f32_e32 v110, v10, v4
	ds_read_b128 v[4:7], v124 offset:192
	s_waitcnt vmcnt(16)
	v_lshlrev_b32_e32 v8, 16, v57
	v_fmac_f32_e32 v110, v11, v8
	ds_read_b128 v[8:11], v124 offset:208
	s_waitcnt vmcnt(15)
	v_lshlrev_b32_e32 v12, 16, v58
	s_waitcnt lgkmcnt(1)
	v_fmac_f32_e32 v110, v4, v12
	s_waitcnt vmcnt(14)
	v_lshlrev_b32_e32 v4, 16, v59
	v_fmac_f32_e32 v110, v5, v4
	s_waitcnt vmcnt(13)
	v_lshlrev_b32_e32 v4, 16, v30
	;; [unrolled: 3-line block ×4, first 2 shown]
	v_lshlrev_b32_e32 v4, 16, v61
	s_waitcnt lgkmcnt(0)
	v_pk_mul_f32 v[4:5], v[8:9], v[4:5]
	s_waitcnt vmcnt(6)
	v_lshlrev_b32_e32 v13, 16, v44
	v_add_f32_e32 v4, v110, v4
	v_add_f32_e32 v6, v4, v5
	v_lshlrev_b32_e32 v5, 16, v32
	v_lshlrev_b32_e32 v4, 16, v31
	v_pk_mul_f32 v[8:9], v[10:11], v[4:5]
	v_lshlrev_b32_e32 v12, 16, v38
	v_add_f32_e32 v8, v6, v8
	ds_read_b128 v[4:7], v124 offset:224
	v_add_f32_e32 v15, v8, v9
	ds_read_b128 v[8:11], v124 offset:240
	s_waitcnt lgkmcnt(1)
	v_pk_mul_f32 v[4:5], v[4:5], v[12:13]
	s_nop 0
	v_add_f32_e32 v4, v15, v4
	v_add_f32_e32 v12, v4, v5
	s_waitcnt vmcnt(4)
	v_lshlrev_b32_e32 v5, 16, v39
	v_lshlrev_b32_e32 v4, 16, v33
	v_pk_mul_f32 v[4:5], v[6:7], v[4:5]
	s_nop 0
	v_add_f32_e32 v4, v12, v4
	v_add_f32_e32 v6, v4, v5
	s_waitcnt vmcnt(2)
	v_lshlrev_b32_e32 v5, 16, v17
	v_lshlrev_b32_e32 v4, 16, v16
	s_waitcnt lgkmcnt(0)
	v_pk_mul_f32 v[4:5], v[8:9], v[4:5]
	s_nop 0
	v_add_f32_e32 v4, v6, v4
	v_add_f32_e32 v6, v4, v5
	s_waitcnt vmcnt(0)
	v_lshlrev_b32_e32 v5, 16, v14
	v_lshlrev_b32_e32 v4, 16, v3
	v_pk_mul_f32 v[4:5], v[10:11], v[4:5]
	s_nop 0
	v_add_f32_e32 v3, v6, v4
	v_add_f32_e32 v110, v3, v5
	s_branch .LBB472_16
.LBB472_19:
	v_mov_b32_e32 v0, 0
	ds_read_b32 v0, v0 offset:3328
	s_cmp_lg_u64 s[6:7], 0
	s_cbranch_scc0 .LBB472_28
; %bb.20:
	s_load_dword s6, s[6:7], 0x0
	s_waitcnt lgkmcnt(0)
	v_div_scale_f32 v1, s[0:1], s6, s6, 1.0
	v_rcp_f32_e32 v3, v1
	v_div_scale_f32 v4, vcc, 1.0, s6, 1.0
	v_fma_f32 v5, -v1, v3, 1.0
	v_fmac_f32_e32 v3, v5, v3
	v_mul_f32_e32 v5, v4, v3
	v_fma_f32 v6, -v1, v5, v4
	v_fmac_f32_e32 v5, v6, v3
	v_fma_f32 v1, -v1, v5, v4
	v_div_fmas_f32 v1, v1, v3, v5
	v_div_fixup_f32 v1, v1, s6, 1.0
	s_andn2_b64 vcc, exec, s[44:45]
	s_cbranch_vccnz .LBB472_22
.LBB472_21:
	s_add_u32 s0, s34, s46
	s_addc_u32 s1, s35, s47
	s_load_dword s30, s[0:1], 0x0
	s_mov_b32 s31, 0
.LBB472_22:
	s_waitcnt lgkmcnt(0)
	v_add_f32_e32 v0, 0x358637bd, v0
	v_div_scale_f32 v3, s[0:1], v0, v0, 1.0
	v_rcp_f32_e32 v4, v3
	v_div_scale_f32 v5, vcc, 1.0, v0, 1.0
	s_mov_b32 s0, 0x7f800000
	v_fma_f32 v6, -v3, v4, 1.0
	v_fmac_f32_e32 v4, v6, v4
	v_mul_f32_e32 v6, v5, v4
	v_fma_f32 v7, -v3, v6, v5
	v_fmac_f32_e32 v6, v7, v4
	v_fma_f32 v3, -v3, v6, v5
	v_div_fmas_f32 v3, v3, v4, v6
	v_div_fixup_f32 v0, v3, v0, 1.0
	v_mul_f32_e32 v0, v110, v0
	v_mul_f32_e32 v1, v0, v1
	v_and_b32_e32 v0, 0x7f800000, v1
	v_cmp_ne_u32_e32 vcc, s0, v0
                                        ; implicit-def: $vgpr0
	s_and_saveexec_b64 s[0:1], vcc
	s_xor_b64 s[0:1], exec, s[0:1]
; %bb.23:
	v_bfe_u32 v0, v1, 16, 1
	s_movk_i32 s6, 0x7fff
	v_add3_u32 v0, v1, v0, s6
                                        ; implicit-def: $vgpr1
; %bb.24:
	s_andn2_saveexec_b64 s[0:1], s[0:1]
; %bb.25:
	v_mov_b32_e32 v0, 0
	v_or_b32_e32 v3, 0x10000, v1
	v_cmp_eq_u32_sdwa vcc, v1, v0 src0_sel:WORD_0 src1_sel:DWORD
	s_nop 1
	v_cndmask_b32_e32 v0, v3, v1, vcc
; %bb.26:
	s_or_b64 exec, exec, s[0:1]
	s_mul_i32 s0, s3, s31
	s_mul_hi_u32 s1, s3, s30
	s_add_i32 s1, s1, s0
	s_mul_i32 s0, s3, s30
	s_lshl_b64 s[0:1], s[0:1], 7
	s_add_u32 s4, s4, s0
	s_mov_b32 s3, 0
	s_addc_u32 s5, s5, s1
	s_lshl_b64 s[0:1], s[2:3], 7
	s_add_u32 s0, s4, s0
	s_addc_u32 s1, s5, s1
	global_store_short_d16_hi v2, v0, s[0:1]
	s_endpgm
.LBB472_27:
	s_mov_b64 s[6:7], 0
	s_branch .LBB472_2
.LBB472_28:
	v_mov_b32_e32 v1, 1.0
	s_andn2_b64 vcc, exec, s[44:45]
	s_cbranch_vccz .LBB472_21
	s_branch .LBB472_22
	.section	.rodata,"a",@progbits
	.p2align	6, 0x0
	.amdhsa_kernel _Z35paged_attention_ll4mi_reduce_kernelI14__hip_bfloat16S0_Li64ELi64ELi256ELi13EEvPT0_PKfS4_PKT_PKiS9_iS4_
		.amdhsa_group_segment_fixed_size 3332
		.amdhsa_private_segment_fixed_size 0
		.amdhsa_kernarg_size 320
		.amdhsa_user_sgpr_count 2
		.amdhsa_user_sgpr_dispatch_ptr 0
		.amdhsa_user_sgpr_queue_ptr 0
		.amdhsa_user_sgpr_kernarg_segment_ptr 1
		.amdhsa_user_sgpr_dispatch_id 0
		.amdhsa_user_sgpr_kernarg_preload_length 0
		.amdhsa_user_sgpr_kernarg_preload_offset 0
		.amdhsa_user_sgpr_private_segment_size 0
		.amdhsa_uses_dynamic_stack 0
		.amdhsa_enable_private_segment 0
		.amdhsa_system_sgpr_workgroup_id_x 1
		.amdhsa_system_sgpr_workgroup_id_y 1
		.amdhsa_system_sgpr_workgroup_id_z 0
		.amdhsa_system_sgpr_workgroup_info 0
		.amdhsa_system_vgpr_workitem_id 0
		.amdhsa_next_free_vgpr 126
		.amdhsa_next_free_sgpr 55
		.amdhsa_accum_offset 128
		.amdhsa_reserve_vcc 1
		.amdhsa_float_round_mode_32 0
		.amdhsa_float_round_mode_16_64 0
		.amdhsa_float_denorm_mode_32 3
		.amdhsa_float_denorm_mode_16_64 3
		.amdhsa_dx10_clamp 1
		.amdhsa_ieee_mode 1
		.amdhsa_fp16_overflow 0
		.amdhsa_tg_split 0
		.amdhsa_exception_fp_ieee_invalid_op 0
		.amdhsa_exception_fp_denorm_src 0
		.amdhsa_exception_fp_ieee_div_zero 0
		.amdhsa_exception_fp_ieee_overflow 0
		.amdhsa_exception_fp_ieee_underflow 0
		.amdhsa_exception_fp_ieee_inexact 0
		.amdhsa_exception_int_div_zero 0
	.end_amdhsa_kernel
	.section	.text._Z35paged_attention_ll4mi_reduce_kernelI14__hip_bfloat16S0_Li64ELi64ELi256ELi13EEvPT0_PKfS4_PKT_PKiS9_iS4_,"axG",@progbits,_Z35paged_attention_ll4mi_reduce_kernelI14__hip_bfloat16S0_Li64ELi64ELi256ELi13EEvPT0_PKfS4_PKT_PKiS9_iS4_,comdat
.Lfunc_end472:
	.size	_Z35paged_attention_ll4mi_reduce_kernelI14__hip_bfloat16S0_Li64ELi64ELi256ELi13EEvPT0_PKfS4_PKT_PKiS9_iS4_, .Lfunc_end472-_Z35paged_attention_ll4mi_reduce_kernelI14__hip_bfloat16S0_Li64ELi64ELi256ELi13EEvPT0_PKfS4_PKT_PKiS9_iS4_
                                        ; -- End function
	.section	.AMDGPU.csdata,"",@progbits
; Kernel info:
; codeLenInByte = 10344
; NumSgprs: 61
; NumVgprs: 126
; NumAgprs: 0
; TotalNumVgprs: 126
; ScratchSize: 0
; MemoryBound: 0
; FloatMode: 240
; IeeeMode: 1
; LDSByteSize: 3332 bytes/workgroup (compile time only)
; SGPRBlocks: 7
; VGPRBlocks: 15
; NumSGPRsForWavesPerEU: 61
; NumVGPRsForWavesPerEU: 126
; AccumOffset: 128
; Occupancy: 4
; WaveLimiterHint : 1
; COMPUTE_PGM_RSRC2:SCRATCH_EN: 0
; COMPUTE_PGM_RSRC2:USER_SGPR: 2
; COMPUTE_PGM_RSRC2:TRAP_HANDLER: 0
; COMPUTE_PGM_RSRC2:TGID_X_EN: 1
; COMPUTE_PGM_RSRC2:TGID_Y_EN: 1
; COMPUTE_PGM_RSRC2:TGID_Z_EN: 0
; COMPUTE_PGM_RSRC2:TIDIG_COMP_CNT: 0
; COMPUTE_PGM_RSRC3_GFX90A:ACCUM_OFFSET: 31
; COMPUTE_PGM_RSRC3_GFX90A:TG_SPLIT: 0
	.section	.text._Z35paged_attention_ll4mi_reduce_kernelI14__hip_bfloat16S0_Li64ELi64ELi256ELi14EEvPT0_PKfS4_PKT_PKiS9_iS4_,"axG",@progbits,_Z35paged_attention_ll4mi_reduce_kernelI14__hip_bfloat16S0_Li64ELi64ELi256ELi14EEvPT0_PKfS4_PKT_PKiS9_iS4_,comdat
	.protected	_Z35paged_attention_ll4mi_reduce_kernelI14__hip_bfloat16S0_Li64ELi64ELi256ELi14EEvPT0_PKfS4_PKT_PKiS9_iS4_ ; -- Begin function _Z35paged_attention_ll4mi_reduce_kernelI14__hip_bfloat16S0_Li64ELi64ELi256ELi14EEvPT0_PKfS4_PKT_PKiS9_iS4_
	.globl	_Z35paged_attention_ll4mi_reduce_kernelI14__hip_bfloat16S0_Li64ELi64ELi256ELi14EEvPT0_PKfS4_PKT_PKiS9_iS4_
	.p2align	8
	.type	_Z35paged_attention_ll4mi_reduce_kernelI14__hip_bfloat16S0_Li64ELi64ELi256ELi14EEvPT0_PKfS4_PKT_PKiS9_iS4_,@function
_Z35paged_attention_ll4mi_reduce_kernelI14__hip_bfloat16S0_Li64ELi64ELi256ELi14EEvPT0_PKfS4_PKT_PKiS9_iS4_: ; @_Z35paged_attention_ll4mi_reduce_kernelI14__hip_bfloat16S0_Li64ELi64ELi256ELi14EEvPT0_PKfS4_PKT_PKiS9_iS4_
; %bb.0:
	s_load_dwordx2 s[44:45], s[0:1], 0x28
	s_mov_b32 s34, s3
	s_mov_b64 s[4:5], 0
	s_waitcnt lgkmcnt(0)
	s_cmp_lg_u64 s[44:45], 0
	s_cselect_b64 s[46:47], -1, 0
	s_and_b64 vcc, exec, s[46:47]
	s_cbranch_vccz .LBB473_27
; %bb.1:
	s_add_i32 s6, s34, 1
	s_mov_b32 s7, 0
	s_lshl_b64 s[8:9], s[6:7], 2
	s_add_u32 s8, s44, s8
	s_mov_b32 s35, s7
	s_addc_u32 s9, s45, s9
	s_lshl_b64 s[6:7], s[34:35], 2
	s_add_u32 s6, s44, s6
	s_addc_u32 s7, s45, s7
	s_load_dword s3, s[8:9], 0x0
	s_load_dword s10, s[6:7], 0x0
	s_waitcnt lgkmcnt(0)
	s_sub_i32 s3, s3, s10
	s_cmp_eq_u32 s3, 1
	s_cselect_b64 s[6:7], -1, 0
	s_andn2_b64 vcc, exec, s[4:5]
	s_cbranch_vccnz .LBB473_3
.LBB473_2:
	s_mov_b32 s35, 0
	s_mov_b64 s[6:7], -1
.LBB473_3:
	s_andn2_b64 vcc, exec, s[6:7]
	s_cbranch_vccz .LBB473_5
; %bb.4:
	s_endpgm
.LBB473_5:
	s_load_dwordx4 s[36:39], s[0:1], 0x18
	s_load_dword s8, s[0:1], 0x30
	s_lshl_b64 s[48:49], s[34:35], 2
	v_cmp_lt_u32_e32 vcc, 63, v0
	s_waitcnt lgkmcnt(0)
	s_add_u32 s4, s38, s48
	s_addc_u32 s5, s39, s49
	s_load_dword s56, s[4:5], 0x0
	s_load_dword s3, s[0:1], 0x40
	s_mul_i32 s38, s2, s8
	s_mul_i32 s6, s34, s8
	s_waitcnt lgkmcnt(0)
	s_add_i32 s7, s56, 0xff
	s_ashr_i32 s4, s7, 31
	s_lshr_b32 s4, s4, 24
	s_add_i32 s7, s7, s4
	s_and_saveexec_b64 s[4:5], vcc
	s_xor_b64 s[4:5], exec, s[4:5]
	s_or_saveexec_b64 s[50:51], s[4:5]
	s_ashr_i32 s33, s7, 8
	v_mov_b32_e32 v1, s38
	s_mul_i32 s52, s6, s3
	s_xor_b64 exec, exec, s[50:51]
	s_cbranch_execz .LBB473_9
; %bb.6:
	s_add_i32 s4, s33, -1
	v_or_b32_e32 v3, 64, v0
	v_mov_b32_e32 v1, s4
	v_cmp_gt_u32_e64 s[26:27], s33, v3
	s_load_dwordx4 s[40:43], s[0:1], 0x8
	s_mov_b32 s53, 0
	v_cndmask_b32_e64 v4, v1, v3, s[26:27]
	v_or_b32_e32 v3, 0x80, v0
	v_cmp_gt_u32_e64 s[24:25], s33, v3
	s_lshl_b64 s[54:55], s[52:53], 2
	s_mov_b32 s39, s53
	v_cndmask_b32_e64 v6, v1, v3, s[24:25]
	v_or_b32_e32 v3, 0xc0, v0
	v_cmp_gt_u32_e64 s[22:23], s33, v3
	v_cmp_gt_u32_e64 s[28:29], s33, v0
	s_waitcnt lgkmcnt(0)
	s_add_u32 s30, s42, s54
	v_cndmask_b32_e64 v8, v1, v3, s[22:23]
	v_or_b32_e32 v3, 0x100, v0
	v_cmp_gt_u32_e64 s[20:21], s33, v3
	v_cndmask_b32_e64 v2, v1, v0, s[28:29]
	s_addc_u32 s31, s43, s55
	v_cndmask_b32_e64 v10, v1, v3, s[20:21]
	v_or_b32_e32 v3, 0x140, v0
	v_cmp_gt_u32_e64 s[18:19], s33, v3
	s_lshl_b64 s[42:43], s[38:39], 2
	s_add_u32 s30, s30, s42
	v_cndmask_b32_e64 v12, v1, v3, s[18:19]
	v_or_b32_e32 v3, 0x180, v0
	v_cmp_gt_u32_e64 s[16:17], s33, v3
	s_addc_u32 s31, s31, s43
	v_ashrrev_i32_e32 v5, 31, v4
	v_cndmask_b32_e64 v14, v1, v3, s[16:17]
	v_or_b32_e32 v3, 0x1c0, v0
	v_cmp_gt_u32_e64 s[14:15], s33, v3
	v_ashrrev_i32_e32 v15, 31, v14
	v_ashrrev_i32_e32 v7, 31, v6
	v_cndmask_b32_e64 v16, v1, v3, s[14:15]
	v_or_b32_e32 v3, 0x200, v0
	v_cmp_gt_u32_e64 s[12:13], s33, v3
	v_ashrrev_i32_e32 v9, 31, v8
	;; [unrolled: 5-line block ×3, first 2 shown]
	v_lshlrev_b64 v[14:15], 2, v[14:15]
	v_cndmask_b32_e64 v20, v1, v3, s[10:11]
	v_or_b32_e32 v3, 0x280, v0
	v_cmp_gt_u32_e64 s[8:9], s33, v3
	v_ashrrev_i32_e32 v17, 31, v16
	v_lshlrev_b64 v[4:5], 2, v[4:5]
	v_cndmask_b32_e64 v22, v1, v3, s[8:9]
	v_or_b32_e32 v3, 0x2c0, v0
	v_cmp_gt_u32_e64 s[6:7], s33, v3
	v_lshlrev_b64 v[6:7], 2, v[6:7]
	v_lshlrev_b64 v[8:9], 2, v[8:9]
	v_cndmask_b32_e64 v24, v1, v3, s[6:7]
	v_or_b32_e32 v3, 0x300, v0
	v_cmp_gt_u32_e64 s[4:5], s33, v3
	v_lshlrev_b64 v[10:11], 2, v[10:11]
	v_lshlrev_b64 v[12:13], 2, v[12:13]
	v_cndmask_b32_e64 v26, v1, v3, s[4:5]
	v_or_b32_e32 v3, 0x340, v0
	v_cmp_gt_u32_e32 vcc, s33, v3
	v_lshl_add_u64 v[42:43], s[30:31], 0, v[14:15]
	v_lshlrev_b64 v[16:17], 2, v[16:17]
	v_cndmask_b32_e32 v28, v1, v3, vcc
	v_ashrrev_i32_e32 v3, 31, v2
	v_lshlrev_b64 v[2:3], 2, v[2:3]
	v_lshl_add_u64 v[30:31], s[30:31], 0, v[2:3]
	v_lshl_add_u64 v[32:33], s[30:31], 0, v[4:5]
	;; [unrolled: 1-line block ×7, first 2 shown]
	global_load_dword v1, v[30:31], off
	global_load_dword v46, v[32:33], off
	;; [unrolled: 1-line block ×6, first 2 shown]
	s_nop 0
	global_load_dword v42, v[42:43], off
	s_nop 0
	global_load_dword v43, v[44:45], off
	v_ashrrev_i32_e32 v19, 31, v18
	v_ashrrev_i32_e32 v21, 31, v20
	;; [unrolled: 1-line block ×3, first 2 shown]
	v_lshlrev_b64 v[18:19], 2, v[18:19]
	v_lshlrev_b64 v[20:21], 2, v[20:21]
	;; [unrolled: 1-line block ×3, first 2 shown]
	v_ashrrev_i32_e32 v25, 31, v24
	v_ashrrev_i32_e32 v27, 31, v26
	v_ashrrev_i32_e32 v29, 31, v28
	v_lshl_add_u64 v[30:31], s[30:31], 0, v[18:19]
	v_lshl_add_u64 v[32:33], s[30:31], 0, v[20:21]
	;; [unrolled: 1-line block ×3, first 2 shown]
	v_lshlrev_b64 v[24:25], 2, v[24:25]
	v_lshlrev_b64 v[26:27], 2, v[26:27]
	;; [unrolled: 1-line block ×3, first 2 shown]
	v_lshl_add_u64 v[36:37], s[30:31], 0, v[24:25]
	v_lshl_add_u64 v[38:39], s[30:31], 0, v[26:27]
	;; [unrolled: 1-line block ×3, first 2 shown]
	global_load_dword v30, v[30:31], off
	s_nop 0
	global_load_dword v31, v[32:33], off
	s_nop 0
	global_load_dword v32, v[34:35], off
	global_load_dword v33, v[36:37], off
	s_nop 0
	global_load_dword v34, v[38:39], off
	global_load_dword v35, v[40:41], off
	s_mov_b32 s39, 0x3fb8aa3b
	s_waitcnt vmcnt(13)
	v_max_f32_e32 v37, v1, v1
	s_waitcnt vmcnt(12)
	v_max_f32_e32 v36, v46, v46
	v_max_f32_e32 v36, v37, v36
	v_mbcnt_lo_u32_b32 v37, -1, 0
	s_waitcnt vmcnt(10)
	v_max3_f32 v36, v36, v47, v48
	v_mbcnt_hi_u32_b32 v37, -1, v37
	s_waitcnt vmcnt(8)
	v_max3_f32 v36, v36, v49, v50
	v_and_b32_e32 v38, 64, v37
	s_waitcnt vmcnt(6)
	v_max3_f32 v36, v36, v42, v43
	v_add_u32_e32 v38, 64, v38
	v_xor_b32_e32 v39, 32, v37
	v_cmp_lt_i32_e64 s[30:31], v39, v38
	s_waitcnt vmcnt(4)
	v_max3_f32 v36, v36, v30, v31
	v_cndmask_b32_e64 v39, v37, v39, s[30:31]
	s_waitcnt vmcnt(2)
	v_max3_f32 v36, v36, v32, v33
	v_lshlrev_b32_e32 v39, 2, v39
	s_waitcnt vmcnt(0)
	v_max3_f32 v36, v36, v34, v35
	ds_bpermute_b32 v40, v39, v36
	s_waitcnt lgkmcnt(0)
	v_max_f32_e32 v40, v40, v40
	v_max_f32_e32 v36, v36, v40
	v_xor_b32_e32 v40, 16, v37
	v_cmp_lt_i32_e64 s[30:31], v40, v38
	s_nop 1
	v_cndmask_b32_e64 v40, v37, v40, s[30:31]
	v_lshlrev_b32_e32 v40, 2, v40
	ds_bpermute_b32 v41, v40, v36
	s_waitcnt lgkmcnt(0)
	v_max_f32_e32 v41, v41, v41
	v_max_f32_e32 v36, v36, v41
	v_xor_b32_e32 v41, 8, v37
	v_cmp_lt_i32_e64 s[30:31], v41, v38
	s_nop 1
	v_cndmask_b32_e64 v41, v37, v41, s[30:31]
	v_lshlrev_b32_e32 v41, 2, v41
	ds_bpermute_b32 v44, v41, v36
	s_add_u32 s30, s40, s54
	s_addc_u32 s31, s41, s55
	s_add_u32 s40, s30, s42
	s_addc_u32 s41, s31, s43
	s_waitcnt lgkmcnt(0)
	v_max_f32_e32 v44, v44, v44
	v_max_f32_e32 v36, v36, v44
	v_xor_b32_e32 v44, 4, v37
	v_lshl_add_u64 v[2:3], s[40:41], 0, v[2:3]
	v_cmp_lt_i32_e64 s[30:31], v44, v38
	global_load_dword v45, v[2:3], off
	s_nop 0
	v_cndmask_b32_e64 v2, v37, v44, s[30:31]
	v_lshlrev_b32_e32 v44, 2, v2
	ds_bpermute_b32 v2, v44, v36
	s_waitcnt lgkmcnt(0)
	v_max_f32_e32 v2, v2, v2
	v_max_f32_e32 v36, v36, v2
	v_xor_b32_e32 v2, 2, v37
	v_cmp_lt_i32_e64 s[30:31], v2, v38
	s_nop 1
	v_cndmask_b32_e64 v2, v37, v2, s[30:31]
	v_lshlrev_b32_e32 v51, 2, v2
	ds_bpermute_b32 v52, v51, v36
	v_lshl_add_u64 v[2:3], s[40:41], 0, v[4:5]
	global_load_dword v53, v[2:3], off
	v_lshl_add_u64 v[4:5], s[40:41], 0, v[8:9]
	v_lshl_add_u64 v[8:9], s[40:41], 0, v[12:13]
	s_waitcnt lgkmcnt(0)
	v_max_f32_e32 v2, v52, v52
	v_max_f32_e32 v36, v36, v2
	v_xor_b32_e32 v2, 1, v37
	v_cmp_lt_i32_e64 s[30:31], v2, v38
	v_lshl_add_u64 v[12:13], s[40:41], 0, v[16:17]
	s_nop 0
	v_cndmask_b32_e64 v2, v37, v2, s[30:31]
	v_lshlrev_b32_e32 v37, 2, v2
	v_lshl_add_u64 v[2:3], s[40:41], 0, v[6:7]
	v_lshl_add_u64 v[6:7], s[40:41], 0, v[10:11]
	;; [unrolled: 1-line block ×3, first 2 shown]
	global_load_dword v14, v[2:3], off
	global_load_dword v15, v[4:5], off
	;; [unrolled: 1-line block ×6, first 2 shown]
	ds_bpermute_b32 v38, v37, v36
	v_lshl_add_u64 v[2:3], s[40:41], 0, v[18:19]
	v_lshl_add_u64 v[4:5], s[40:41], 0, v[20:21]
	;; [unrolled: 1-line block ×4, first 2 shown]
	s_waitcnt lgkmcnt(0)
	v_max_f32_e32 v18, v38, v38
	v_max_f32_e32 v18, v36, v18
	v_sub_f32_e32 v1, v1, v18
	v_mul_f32_e32 v19, 0x3fb8aa3b, v1
	v_fma_f32 v20, v1, s39, -v19
	v_rndne_f32_e32 v21, v19
	v_fmac_f32_e32 v20, 0x32a5705f, v1
	v_sub_f32_e32 v19, v19, v21
	v_lshl_add_u64 v[10:11], s[40:41], 0, v[26:27]
	v_lshl_add_u64 v[12:13], s[40:41], 0, v[28:29]
	v_add_f32_e32 v19, v19, v20
	v_cvt_i32_f32_e32 v20, v21
	global_load_dword v2, v[2:3], off
	s_nop 0
	global_load_dword v3, v[4:5], off
	global_load_dword v21, v[6:7], off
	;; [unrolled: 1-line block ×5, first 2 shown]
	v_sub_f32_e32 v6, v46, v18
	v_mul_f32_e32 v7, 0x3fb8aa3b, v6
	v_fma_f32 v8, v6, s39, -v7
	v_rndne_f32_e32 v9, v7
	v_exp_f32_e32 v19, v19
	v_fmac_f32_e32 v8, 0x32a5705f, v6
	v_sub_f32_e32 v7, v7, v9
	v_add_f32_e32 v7, v7, v8
	v_exp_f32_e32 v7, v7
	v_cvt_i32_f32_e32 v8, v9
	s_mov_b32 s40, 0xc2ce8ed0
	v_ldexp_f32 v4, v19, v20
	v_cmp_ngt_f32_e64 s[30:31], s40, v1
	s_mov_b32 s41, 0x42b17218
	v_mov_b32_e32 v5, 0x7f800000
	v_cndmask_b32_e64 v4, 0, v4, s[30:31]
	v_cmp_nlt_f32_e64 s[30:31], s41, v1
	s_nop 1
	v_cndmask_b32_e64 v1, v5, v4, s[30:31]
	v_ldexp_f32 v4, v7, v8
	v_sub_f32_e32 v7, v47, v18
	v_mul_f32_e32 v8, 0x3fb8aa3b, v7
	v_fma_f32 v9, v7, s39, -v8
	v_rndne_f32_e32 v10, v8
	v_fmac_f32_e32 v9, 0x32a5705f, v7
	v_sub_f32_e32 v8, v8, v10
	v_add_f32_e32 v8, v8, v9
	v_exp_f32_e32 v8, v8
	v_cvt_i32_f32_e32 v9, v10
	v_cndmask_b32_e64 v1, 0, v1, s[28:29]
	v_cmp_ngt_f32_e64 s[28:29], s40, v6
	s_waitcnt vmcnt(13)
	v_mul_f32_e32 v1, v45, v1
	v_cndmask_b32_e64 v4, 0, v4, s[28:29]
	v_cmp_nlt_f32_e64 s[28:29], s41, v6
	v_ldexp_f32 v6, v8, v9
	v_sub_f32_e32 v8, v48, v18
	v_mul_f32_e32 v9, 0x3fb8aa3b, v8
	v_fma_f32 v10, v8, s39, -v9
	v_rndne_f32_e32 v11, v9
	v_fmac_f32_e32 v10, 0x32a5705f, v8
	v_sub_f32_e32 v9, v9, v11
	v_add_f32_e32 v9, v9, v10
	v_exp_f32_e32 v9, v9
	v_cvt_i32_f32_e32 v10, v11
	v_cndmask_b32_e64 v4, v5, v4, s[28:29]
	v_cndmask_b32_e64 v4, 0, v4, s[26:27]
	v_cmp_ngt_f32_e64 s[26:27], s40, v7
	s_waitcnt vmcnt(12)
	v_mul_f32_e32 v4, v53, v4
	v_cndmask_b32_e64 v6, 0, v6, s[26:27]
	v_cmp_nlt_f32_e64 s[26:27], s41, v7
	v_ldexp_f32 v7, v9, v10
	v_sub_f32_e32 v9, v49, v18
	v_mul_f32_e32 v10, 0x3fb8aa3b, v9
	v_fma_f32 v11, v9, s39, -v10
	v_rndne_f32_e32 v12, v10
	v_fmac_f32_e32 v11, 0x32a5705f, v9
	v_sub_f32_e32 v10, v10, v12
	v_add_f32_e32 v10, v10, v11
	v_exp_f32_e32 v10, v10
	v_cvt_i32_f32_e32 v11, v12
	v_cndmask_b32_e64 v6, v5, v6, s[26:27]
	;; [unrolled: 17-line block ×6, first 2 shown]
	v_cndmask_b32_e64 v10, 0, v10, s[16:17]
	v_cmp_ngt_f32_e64 s[16:17], s40, v12
	s_waitcnt vmcnt(7)
	v_mul_f32_e32 v10, v52, v10
	v_cndmask_b32_e64 v11, 0, v11, s[16:17]
	v_cmp_nlt_f32_e64 s[16:17], s41, v12
	v_ldexp_f32 v12, v14, v15
	v_sub_f32_e32 v14, v31, v18
	v_mul_f32_e32 v15, 0x3fb8aa3b, v14
	v_fma_f32 v16, v14, s39, -v15
	v_rndne_f32_e32 v17, v15
	v_fmac_f32_e32 v16, 0x32a5705f, v14
	v_sub_f32_e32 v15, v15, v17
	v_cndmask_b32_e64 v11, v5, v11, s[16:17]
	v_add_f32_e32 v15, v15, v16
	v_cndmask_b32_e64 v11, 0, v11, s[14:15]
	v_cmp_ngt_f32_e64 s[14:15], s40, v13
	v_exp_f32_e32 v15, v15
	v_cvt_i32_f32_e32 v16, v17
	v_cndmask_b32_e64 v12, 0, v12, s[14:15]
	v_cmp_nlt_f32_e64 s[14:15], s41, v13
	v_sub_f32_e32 v13, v32, v18
	s_waitcnt vmcnt(6)
	v_mul_f32_e32 v11, v54, v11
	v_cndmask_b32_e64 v12, v5, v12, s[14:15]
	v_cndmask_b32_e64 v12, 0, v12, s[12:13]
	s_waitcnt vmcnt(5)
	v_mul_f32_e32 v12, v2, v12
	v_ldexp_f32 v2, v15, v16
	v_mul_f32_e32 v15, 0x3fb8aa3b, v13
	v_fma_f32 v16, v13, s39, -v15
	v_rndne_f32_e32 v17, v15
	v_fmac_f32_e32 v16, 0x32a5705f, v13
	v_sub_f32_e32 v15, v15, v17
	v_add_f32_e32 v15, v15, v16
	v_cmp_ngt_f32_e64 s[12:13], s40, v14
	v_exp_f32_e32 v15, v15
	v_cvt_i32_f32_e32 v16, v17
	v_cndmask_b32_e64 v2, 0, v2, s[12:13]
	v_cmp_nlt_f32_e64 s[12:13], s41, v14
	v_sub_f32_e32 v14, v33, v18
	s_nop 0
	v_cndmask_b32_e64 v2, v5, v2, s[12:13]
	v_cndmask_b32_e64 v2, 0, v2, s[10:11]
	s_waitcnt vmcnt(4)
	v_mul_f32_e32 v3, v3, v2
	v_ldexp_f32 v2, v15, v16
	v_mul_f32_e32 v15, 0x3fb8aa3b, v14
	v_fma_f32 v16, v14, s39, -v15
	v_rndne_f32_e32 v17, v15
	v_fmac_f32_e32 v16, 0x32a5705f, v14
	v_sub_f32_e32 v15, v15, v17
	v_add_f32_e32 v15, v15, v16
	v_cmp_ngt_f32_e64 s[10:11], s40, v13
	v_exp_f32_e32 v15, v15
	v_cvt_i32_f32_e32 v16, v17
	v_cndmask_b32_e64 v2, 0, v2, s[10:11]
	v_cmp_nlt_f32_e64 s[10:11], s41, v13
	s_nop 1
	v_cndmask_b32_e64 v2, v5, v2, s[10:11]
	v_cndmask_b32_e64 v2, 0, v2, s[8:9]
	s_waitcnt vmcnt(3)
	v_mul_f32_e32 v13, v21, v2
	v_ldexp_f32 v2, v15, v16
	v_sub_f32_e32 v15, v34, v18
	v_mul_f32_e32 v16, 0x3fb8aa3b, v15
	v_fma_f32 v17, v15, s39, -v16
	v_rndne_f32_e32 v19, v16
	v_fmac_f32_e32 v17, 0x32a5705f, v15
	v_sub_f32_e32 v16, v16, v19
	v_add_f32_e32 v16, v16, v17
	v_exp_f32_e32 v16, v16
	v_cvt_i32_f32_e32 v17, v19
	v_cmp_ngt_f32_e64 s[8:9], s40, v14
	s_nop 1
	v_cndmask_b32_e64 v2, 0, v2, s[8:9]
	v_cmp_nlt_f32_e64 s[8:9], s41, v14
	v_ldexp_f32 v14, v16, v17
	v_sub_f32_e32 v16, v35, v18
	v_mul_f32_e32 v17, 0x3fb8aa3b, v16
	v_fma_f32 v18, v16, s39, -v17
	v_rndne_f32_e32 v19, v17
	v_fmac_f32_e32 v18, 0x32a5705f, v16
	v_sub_f32_e32 v17, v17, v19
	v_add_f32_e32 v17, v17, v18
	v_cndmask_b32_e64 v2, v5, v2, s[8:9]
	v_exp_f32_e32 v17, v17
	v_cvt_i32_f32_e32 v18, v19
	v_cndmask_b32_e64 v2, 0, v2, s[6:7]
	v_cmp_ngt_f32_e64 s[6:7], s40, v15
	s_nop 1
	v_cndmask_b32_e64 v14, 0, v14, s[6:7]
	v_cmp_nlt_f32_e64 s[6:7], s41, v15
	v_ldexp_f32 v15, v17, v18
	s_waitcnt vmcnt(2)
	v_mul_f32_e32 v17, v22, v2
	v_cndmask_b32_e64 v14, v5, v14, s[6:7]
	v_cndmask_b32_e64 v14, 0, v14, s[4:5]
	v_cmp_ngt_f32_e64 s[4:5], s40, v16
	v_lshlrev_b32_e32 v18, 2, v0
	ds_write2st64_b32 v18, v1, v4 offset1:1
	ds_write2st64_b32 v18, v6, v7 offset0:2 offset1:3
	ds_write2st64_b32 v18, v8, v9 offset0:4 offset1:5
	;; [unrolled: 1-line block ×3, first 2 shown]
	v_cndmask_b32_e64 v15, 0, v15, s[4:5]
	v_cmp_nlt_f32_e64 s[4:5], s41, v16
	s_nop 1
	v_cndmask_b32_e64 v5, v5, v15, s[4:5]
	v_add_f32_e32 v15, v1, v4
	v_add_f32_e32 v15, v15, v6
	;; [unrolled: 1-line block ×10, first 2 shown]
	v_fmac_f32_e32 v15, v22, v2
	v_cndmask_b32_e32 v5, 0, v5, vcc
	s_waitcnt vmcnt(1)
	v_fmac_f32_e32 v15, v23, v14
	s_waitcnt vmcnt(0)
	v_fmac_f32_e32 v15, v24, v5
	ds_bpermute_b32 v16, v39, v15
	v_cmp_eq_u32_e32 vcc, 0, v0
	v_mul_f32_e32 v14, v23, v14
	v_mul_f32_e32 v5, v24, v5
	ds_write2st64_b32 v18, v12, v3 offset0:8 offset1:9
	ds_write2st64_b32 v18, v13, v17 offset0:10 offset1:11
	;; [unrolled: 1-line block ×3, first 2 shown]
	s_waitcnt lgkmcnt(3)
	v_add_f32_e32 v15, v15, v16
	ds_bpermute_b32 v16, v40, v15
	s_waitcnt lgkmcnt(0)
	v_add_f32_e32 v15, v15, v16
	ds_bpermute_b32 v16, v41, v15
	;; [unrolled: 3-line block ×5, first 2 shown]
	s_and_saveexec_b64 s[4:5], vcc
	s_cbranch_execz .LBB473_8
; %bb.7:
	s_waitcnt lgkmcnt(0)
	v_add_f32_e32 v1, v1, v2
	v_mov_b32_e32 v2, 0
	ds_write_b32 v2, v1 offset:3584
.LBB473_8:
	s_or_b64 exec, exec, s[4:5]
	v_mov_b32_e32 v1, s38
.LBB473_9:
	s_or_b64 exec, exec, s[50:51]
	s_lshl_b32 s4, s52, 6
	s_mov_b32 s5, 0
	s_lshl_b64 s[4:5], s[4:5], 1
	s_add_u32 s4, s36, s4
	s_addc_u32 s5, s37, s5
	s_lshl_b32 s10, s33, 6
	s_sub_i32 s11, s10, 64
	s_waitcnt lgkmcnt(0)
	v_lshlrev_b32_e32 v2, 6, v1
	v_mov_b32_e32 v3, 0
	s_cmp_lt_i32 s56, 1
	v_lshl_add_u64 v[4:5], v[2:3], 1, s[4:5]
	s_cselect_b32 s4, s11, 0
	v_lshlrev_b32_e32 v2, 1, v0
	s_ashr_i32 s5, s4, 31
	v_lshl_add_u64 v[0:1], v[4:5], 0, v[2:3]
	s_cmpk_lt_i32 s56, 0x101
	v_lshl_add_u64 v[4:5], s[4:5], 1, v[0:1]
	s_cselect_b32 s4, s11, 64
	s_ashr_i32 s5, s4, 31
	s_cmpk_lt_i32 s56, 0x201
	v_lshl_add_u64 v[6:7], s[4:5], 1, v[0:1]
	s_cselect_b32 s4, s11, 0x80
	s_ashr_i32 s5, s4, 31
	;; [unrolled: 4-line block ×8, first 2 shown]
	s_cmpk_lt_i32 s56, 0x901
	global_load_ushort v23, v[4:5], off
	global_load_ushort v22, v[6:7], off
	;; [unrolled: 1-line block ×8, first 2 shown]
	v_lshl_add_u64 v[4:5], s[4:5], 1, v[0:1]
	s_cselect_b32 s4, s11, 0x240
	s_ashr_i32 s5, s4, 31
	s_cmpk_lt_i32 s56, 0xa01
	v_lshl_add_u64 v[6:7], s[4:5], 1, v[0:1]
	s_cselect_b32 s4, s11, 0x280
	s_ashr_i32 s5, s4, 31
	s_cmpk_lt_i32 s56, 0xb01
	;; [unrolled: 4-line block ×6, first 2 shown]
	v_lshl_add_u64 v[32:33], s[4:5], 1, v[0:1]
	s_cselect_b32 s4, s11, 0x3c0
	s_ashr_i32 s5, s4, 31
	v_lshl_add_u64 v[34:35], s[4:5], 1, v[0:1]
	global_load_ushort v30, v[4:5], off
	global_load_ushort v31, v[6:7], off
	;; [unrolled: 1-line block ×8, first 2 shown]
	s_cmpk_gt_i32 s56, 0x1000
	s_cselect_b64 s[8:9], -1, 0
	s_cmpk_lt_i32 s56, 0x1001
	v_mov_b32_e32 v40, 0
	v_mov_b32_e32 v41, 0
	;; [unrolled: 1-line block ×48, first 2 shown]
	s_waitcnt lgkmcnt(0)
	; wave barrier
	s_cbranch_scc1 .LBB473_12
; %bb.10:
	s_cmpk_lt_u32 s56, 0x1101
	s_cselect_b32 s4, s11, 0x440
	s_ashr_i32 s5, s4, 31
	s_cmpk_lt_u32 s56, 0x1201
	v_lshl_add_u64 v[4:5], s[4:5], 1, v[0:1]
	s_cselect_b32 s4, s11, 0x480
	s_ashr_i32 s5, s4, 31
	s_cmpk_lt_u32 s56, 0x1301
	v_lshl_add_u64 v[6:7], s[4:5], 1, v[0:1]
	;; [unrolled: 4-line block ×7, first 2 shown]
	s_cselect_b32 s4, s11, 0x600
	s_ashr_i32 s5, s4, 31
	s_cmpk_lt_u32 s56, 0x1901
	global_load_ushort v39, v[0:1], off offset:2048
	global_load_ushort v38, v[4:5], off
	global_load_ushort v37, v[6:7], off
	;; [unrolled: 1-line block ×7, first 2 shown]
	v_lshl_add_u64 v[4:5], s[4:5], 1, v[0:1]
	s_cselect_b32 s4, s11, 0x640
	s_ashr_i32 s5, s4, 31
	s_cmpk_lt_u32 s56, 0x1a01
	v_lshl_add_u64 v[6:7], s[4:5], 1, v[0:1]
	s_cselect_b32 s4, s11, 0x680
	s_ashr_i32 s5, s4, 31
	s_cmpk_lt_u32 s56, 0x1b01
	;; [unrolled: 4-line block ×6, first 2 shown]
	v_lshl_add_u64 v[48:49], s[4:5], 1, v[0:1]
	s_cselect_b32 s4, s11, 0x7c0
	s_ashr_i32 s5, s4, 31
	v_lshl_add_u64 v[50:51], s[4:5], 1, v[0:1]
	global_load_ushort v47, v[4:5], off
	global_load_ushort v46, v[6:7], off
	global_load_ushort v45, v[8:9], off
	global_load_ushort v44, v[10:11], off
	global_load_ushort v43, v[12:13], off
	global_load_ushort v42, v[14:15], off
	global_load_ushort v41, v[48:49], off
	global_load_ushort v40, v[50:51], off
	s_cmpk_lt_u32 s56, 0x2001
	v_mov_b32_e32 v67, 0
	v_mov_b32_e32 v65, 0
	;; [unrolled: 1-line block ×32, first 2 shown]
	s_cbranch_scc1 .LBB473_12
; %bb.11:
	s_cmpk_lt_u32 s56, 0x2101
	s_cselect_b32 s4, s11, 0x840
	s_ashr_i32 s5, s4, 31
	s_cmpk_lt_u32 s56, 0x2201
	v_lshl_add_u64 v[4:5], s[4:5], 1, v[0:1]
	s_cselect_b32 s4, s11, 0x880
	s_ashr_i32 s5, s4, 31
	s_cmpk_lt_u32 s56, 0x2301
	v_lshl_add_u64 v[6:7], s[4:5], 1, v[0:1]
	;; [unrolled: 4-line block ×29, first 2 shown]
	s_cselect_b32 s4, s11, 0xf80
	s_ashr_i32 s5, s4, 31
	v_lshl_add_u64 v[94:95], s[4:5], 1, v[0:1]
	s_movk_i32 s4, 0x1000
	s_cmpk_lt_u32 s56, 0x3f01
	v_add_co_u32_e32 v96, vcc, s4, v0
	s_cselect_b32 s4, s11, 0xfc0
	s_nop 0
	v_addc_co_u32_e32 v97, vcc, 0, v1, vcc
	s_ashr_i32 s5, s4, 31
	global_load_ushort v98, v[96:97], off
	global_load_ushort v99, v[4:5], off
	;; [unrolled: 1-line block ×15, first 2 shown]
                                        ; kill: killed $vgpr52_vgpr53
                                        ; kill: killed $vgpr4_vgpr5
                                        ; kill: killed $vgpr58_vgpr59
                                        ; kill: killed $vgpr10_vgpr11
                                        ; kill: killed $vgpr48_vgpr49
                                        ; kill: killed $vgpr54_vgpr55
                                        ; kill: killed $vgpr6_vgpr7
                                        ; kill: killed $vgpr60_vgpr61
                                        ; kill: killed $vgpr12_vgpr13
                                        ; kill: killed $vgpr50_vgpr51
                                        ; kill: killed $vgpr56_vgpr57
                                        ; kill: killed $vgpr8_vgpr9
                                        ; kill: killed $vgpr62_vgpr63
                                        ; kill: killed $vgpr14_vgpr15
                                        ; kill: killed $vgpr96 killed $vgpr97
	global_load_ushort v6, v[64:65], off
	global_load_ushort v7, v[66:67], off
	;; [unrolled: 1-line block ×15, first 2 shown]
                                        ; kill: killed $vgpr84_vgpr85
                                        ; kill: killed $vgpr68_vgpr69
                                        ; kill: killed $vgpr90_vgpr91
                                        ; kill: killed $vgpr74_vgpr75
                                        ; kill: killed $vgpr80_vgpr81
                                        ; kill: killed $vgpr64_vgpr65
                                        ; kill: killed $vgpr70_vgpr71
                                        ; kill: killed $vgpr92_vgpr93
                                        ; kill: killed $vgpr76_vgpr77
                                        ; kill: killed $vgpr82_vgpr83
                                        ; kill: killed $vgpr66_vgpr67
                                        ; kill: killed $vgpr88_vgpr89
                                        ; kill: killed $vgpr72_vgpr73
                                        ; kill: killed $vgpr94_vgpr95
                                        ; kill: killed $vgpr78_vgpr79
	global_load_ushort v68, v[86:87], off
	v_lshl_add_u64 v[4:5], s[4:5], 1, v[0:1]
	global_load_ushort v5, v[4:5], off
	s_waitcnt vmcnt(31)
	v_lshlrev_b32_e32 v67, 16, v98
	s_waitcnt vmcnt(30)
	v_lshlrev_b32_e32 v65, 16, v99
	;; [unrolled: 2-line block ×32, first 2 shown]
.LBB473_12:
	s_load_dwordx2 s[4:5], s[0:1], 0x0
	s_load_dwordx2 s[6:7], s[0:1], 0x38
	ds_read_b128 v[68:71], v3
	s_waitcnt vmcnt(15)
	v_lshlrev_b32_e32 v23, 16, v23
	ds_read_b128 v[72:75], v3 offset:16
	ds_read_b128 v[76:79], v3 offset:32
	;; [unrolled: 1-line block ×3, first 2 shown]
	s_waitcnt vmcnt(14)
	v_lshlrev_b32_e32 v22, 16, v22
	s_waitcnt vmcnt(13)
	v_lshlrev_b32_e32 v21, 16, v21
	s_waitcnt lgkmcnt(0)
	v_fma_f32 v23, v68, v23, 0
	v_fmac_f32_e32 v23, v69, v22
	v_fmac_f32_e32 v23, v70, v21
	s_waitcnt vmcnt(12)
	v_lshlrev_b32_e32 v20, 16, v20
	s_waitcnt vmcnt(10)
	v_lshlrev_b32_e32 v19, 16, v19
	v_lshlrev_b32_e32 v18, 16, v18
	v_fmac_f32_e32 v23, v71, v20
	v_pk_mul_f32 v[18:19], v[72:73], v[18:19]
	s_waitcnt vmcnt(8)
	v_lshlrev_b32_e32 v17, 16, v17
	v_add_f32_e32 v18, v23, v18
	v_lshlrev_b32_e32 v16, 16, v16
	v_add_f32_e32 v18, v18, v19
	v_pk_mul_f32 v[16:17], v[74:75], v[16:17]
	s_and_b64 vcc, exec, s[8:9]
	v_add_f32_e32 v16, v18, v16
	v_add_f32_e32 v18, v16, v17
	s_waitcnt vmcnt(6)
	v_lshlrev_b32_e32 v17, 16, v31
	v_lshlrev_b32_e32 v16, 16, v30
	v_pk_mul_f32 v[16:17], v[76:77], v[16:17]
	s_nop 0
	v_add_f32_e32 v16, v18, v16
	v_add_f32_e32 v18, v16, v17
	s_waitcnt vmcnt(4)
	v_lshlrev_b32_e32 v17, 16, v29
	v_lshlrev_b32_e32 v16, 16, v28
	v_pk_mul_f32 v[16:17], v[78:79], v[16:17]
	s_nop 0
	;; [unrolled: 7-line block ×4, first 2 shown]
	v_add_f32_e32 v16, v18, v16
	v_add_f32_e32 v110, v16, v17
	s_cbranch_vccz .LBB473_15
; %bb.13:
	ds_read_b128 v[16:19], v3 offset:64
	v_lshlrev_b32_e32 v39, 16, v39
	ds_read_b128 v[20:23], v3 offset:80
	ds_read_b128 v[24:27], v3 offset:96
	;; [unrolled: 1-line block ×3, first 2 shown]
	v_lshlrev_b32_e32 v3, 16, v38
	s_cmpk_lt_u32 s56, 0x2001
	s_waitcnt lgkmcnt(3)
	v_fmac_f32_e32 v110, v16, v39
	v_fmac_f32_e32 v110, v17, v3
	v_lshlrev_b32_e32 v3, 16, v37
	v_fmac_f32_e32 v110, v18, v3
	v_lshlrev_b32_e32 v3, 16, v36
	v_fmac_f32_e32 v110, v19, v3
	v_lshlrev_b32_e32 v3, 16, v35
	s_waitcnt lgkmcnt(2)
	v_fmac_f32_e32 v110, v20, v3
	v_lshlrev_b32_e32 v3, 16, v34
	v_fmac_f32_e32 v110, v21, v3
	v_lshlrev_b32_e32 v3, 16, v33
	v_fmac_f32_e32 v110, v22, v3
	v_lshlrev_b32_e32 v3, 16, v32
	v_fmac_f32_e32 v110, v23, v3
	v_lshlrev_b32_e32 v3, 16, v47
	s_waitcnt lgkmcnt(1)
	v_fmac_f32_e32 v110, v24, v3
	v_lshlrev_b32_e32 v3, 16, v46
	;; [unrolled: 9-line block ×3, first 2 shown]
	v_fmac_f32_e32 v110, v29, v3
	v_lshlrev_b32_e32 v3, 16, v41
	v_fmac_f32_e32 v110, v30, v3
	v_lshlrev_b32_e32 v3, 16, v40
	v_fmac_f32_e32 v110, v31, v3
	s_cbranch_scc1 .LBB473_15
; %bb.14:
	v_mov_b32_e32 v3, 0
	ds_read_b128 v[16:19], v3 offset:128
	ds_read_b128 v[20:23], v3 offset:144
	;; [unrolled: 1-line block ×4, first 2 shown]
	s_waitcnt lgkmcnt(3)
	v_fmac_f32_e32 v110, v16, v67
	v_fmac_f32_e32 v110, v17, v65
	v_fmac_f32_e32 v110, v18, v66
	v_fmac_f32_e32 v110, v19, v63
	s_waitcnt lgkmcnt(2)
	v_fmac_f32_e32 v110, v20, v64
	v_fmac_f32_e32 v110, v21, v61
	v_fmac_f32_e32 v110, v22, v62
	v_fmac_f32_e32 v110, v23, v59
	s_waitcnt lgkmcnt(1)
	v_fmac_f32_e32 v110, v24, v60
	v_fmac_f32_e32 v110, v25, v57
	v_fmac_f32_e32 v110, v26, v58
	v_fmac_f32_e32 v110, v27, v55
	ds_read_b128 v[16:19], v3 offset:192
	ds_read_b128 v[20:23], v3 offset:208
	s_waitcnt lgkmcnt(2)
	v_fmac_f32_e32 v110, v28, v56
	v_fmac_f32_e32 v110, v29, v53
	;; [unrolled: 1-line block ×4, first 2 shown]
	s_waitcnt lgkmcnt(1)
	v_fmac_f32_e32 v110, v16, v51
	v_fmac_f32_e32 v110, v17, v49
	v_fmac_f32_e32 v110, v18, v50
	v_fmac_f32_e32 v110, v19, v48
	s_waitcnt lgkmcnt(0)
	v_pk_mul_f32 v[14:15], v[20:21], v[14:15]
	v_pk_mul_f32 v[12:13], v[22:23], v[12:13]
	v_add_f32_e32 v14, v110, v14
	v_add_f32_e32 v18, v14, v15
	ds_read_b128 v[14:17], v3 offset:224
	v_add_f32_e32 v12, v18, v12
	ds_read_b128 v[18:21], v3 offset:240
	v_add_f32_e32 v12, v12, v13
	s_waitcnt lgkmcnt(1)
	v_pk_mul_f32 v[10:11], v[14:15], v[10:11]
	s_nop 0
	v_add_f32_e32 v3, v12, v10
	v_add_f32_e32 v3, v3, v11
	v_pk_mul_f32 v[8:9], v[16:17], v[8:9]
	s_waitcnt lgkmcnt(0)
	v_pk_mul_f32 v[6:7], v[18:19], v[6:7]
	v_add_f32_e32 v3, v3, v8
	v_add_f32_e32 v3, v3, v9
	;; [unrolled: 1-line block ×4, first 2 shown]
	v_pk_mul_f32 v[4:5], v[20:21], v[4:5]
	s_nop 0
	v_add_f32_e32 v3, v3, v4
	v_add_f32_e32 v110, v3, v5
.LBB473_15:
	s_movk_i32 s0, 0x1fc0
	s_movk_i32 s1, 0x100
	s_mov_b32 s8, 64
	s_branch .LBB473_17
.LBB473_16:                             ;   in Loop: Header=BB473_17 Depth=1
	s_addk_i32 s0, 0x1000
	s_addk_i32 s1, 0x100
	s_add_i32 s8, s8, 64
	s_cmpk_eq_u32 s0, 0xefc0
	s_cbranch_scc1 .LBB473_19
.LBB473_17:                             ; =>This Inner Loop Header: Depth=1
	s_cmp_le_i32 s33, s8
	s_cbranch_scc1 .LBB473_16
; %bb.18:                               ;   in Loop: Header=BB473_17 Depth=1
	s_add_i32 s9, s0, 0xfffff040
	s_cmp_lt_i32 s9, s10
	s_cselect_b32 s12, s9, s11
	s_ashr_i32 s13, s12, 31
	s_add_i32 s9, s0, 0xfffff080
	s_cmp_lt_i32 s9, s10
	v_lshl_add_u64 v[44:45], s[12:13], 1, v[0:1]
	s_cselect_b32 s12, s9, s11
	s_ashr_i32 s13, s12, 31
	s_add_i32 s9, s0, 0xfffff0c0
	s_cmp_lt_i32 s9, s10
	v_lshl_add_u64 v[4:5], s[12:13], 1, v[0:1]
	;; [unrolled: 5-line block ×14, first 2 shown]
	s_cselect_b32 s12, s9, s11
	s_ashr_i32 s13, s12, 31
	s_add_i32 s9, s0, 0xfffff400
	s_cmp_lt_i32 s9, s10
	global_load_ushort v3, v[44:45], off
	global_load_ushort v120, v[46:47], off
	v_lshl_add_u64 v[60:61], s[12:13], 1, v[0:1]
	s_cselect_b32 s12, s9, s11
	global_load_ushort v111, v[4:5], off
	global_load_ushort v112, v[6:7], off
	;; [unrolled: 1-line block ×7, first 2 shown]
	s_ashr_i32 s13, s12, 31
	s_add_i32 s9, s0, 0xfffff440
	s_cmp_lt_i32 s9, s10
	v_lshl_add_u64 v[66:67], s[12:13], 1, v[0:1]
	s_cselect_b32 s12, s9, s11
	s_ashr_i32 s13, s12, 31
	s_add_i32 s9, s0, 0xfffff480
	s_cmp_lt_i32 s9, s10
	v_lshl_add_u64 v[62:63], s[12:13], 1, v[0:1]
	s_cselect_b32 s12, s9, s11
	;; [unrolled: 5-line block ×14, first 2 shown]
	s_ashr_i32 s13, s12, 31
	s_add_i32 s9, s0, 0xfffff7c0
	global_load_ushort v118, v[28:29], off
	global_load_ushort v119, v[30:31], off
	s_cmp_lt_i32 s9, s10
	v_lshl_add_u64 v[26:27], s[12:13], 1, v[0:1]
	s_cselect_b32 s12, s9, s11
	s_ashr_i32 s13, s12, 31
	s_add_i32 s9, s0, 0xfffff800
	s_cmp_lt_i32 s9, s10
	v_lshl_add_u64 v[52:53], s[12:13], 1, v[0:1]
	s_cselect_b32 s12, s9, s11
	global_load_ushort v121, v[54:55], off
	global_load_ushort v122, v[56:57], off
	s_ashr_i32 s13, s12, 31
	global_load_ushort v58, v[58:59], off
	s_add_i32 s9, s0, 0xfffff840
	s_cmp_lt_i32 s9, s10
	v_lshl_add_u64 v[64:65], s[12:13], 1, v[0:1]
	s_cselect_b32 s12, s9, s11
	global_load_ushort v59, v[60:61], off
	s_ashr_i32 s13, s12, 31
	s_add_i32 s9, s0, 0xfffff880
	global_load_ushort v60, v[66:67], off
	global_load_ushort v61, v[62:63], off
	s_cmp_lt_i32 s9, s10
	v_lshl_add_u64 v[68:69], s[12:13], 1, v[0:1]
	s_cselect_b32 s12, s9, s11
	s_ashr_i32 s13, s12, 31
	s_add_i32 s9, s0, 0xfffff8c0
	s_cmp_lt_i32 s9, s10
	v_lshl_add_u64 v[70:71], s[12:13], 1, v[0:1]
	s_cselect_b32 s12, s9, s11
	s_ashr_i32 s13, s12, 31
	s_add_i32 s9, s0, 0xfffff900
	;; [unrolled: 5-line block ×3, first 2 shown]
	s_cmp_lt_i32 s9, s10
	v_lshl_add_u64 v[74:75], s[12:13], 1, v[0:1]
	s_cselect_b32 s12, s9, s11
	global_load_ushort v62, v[22:23], off
	s_ashr_i32 s13, s12, 31
	s_add_i32 s9, s0, 0xfffff980
	global_load_ushort v66, v[32:33], off
	global_load_ushort v123, v[34:35], off
	;; [unrolled: 1-line block ×4, first 2 shown]
	s_cmp_lt_i32 s9, s10
	v_lshl_add_u64 v[76:77], s[12:13], 1, v[0:1]
	s_cselect_b32 s12, s9, s11
	global_load_ushort v67, v[48:49], off
	s_ashr_i32 s13, s12, 31
	s_add_i32 s9, s0, 0xfffff9c0
	s_cmp_lt_i32 s9, s10
	v_lshl_add_u64 v[78:79], s[12:13], 1, v[0:1]
	s_cselect_b32 s12, s9, s11
	s_ashr_i32 s13, s12, 31
	s_add_i32 s9, s0, 0xfffffa00
	s_cmp_lt_i32 s9, s10
	v_lshl_add_u64 v[80:81], s[12:13], 1, v[0:1]
	s_cselect_b32 s12, s9, s11
	s_ashr_i32 s13, s12, 31
	s_add_i32 s9, s0, 0xfffffa40
	s_cmp_lt_i32 s9, s10
	v_mov_b32_e32 v124, s1
	v_lshl_add_u64 v[82:83], s[12:13], 1, v[0:1]
	s_cselect_b32 s12, s9, s11
	ds_read_b128 v[30:33], v124
	ds_read_b128 v[34:37], v124 offset:16
	global_load_ushort v50, v[50:51], off
	s_ashr_i32 s13, s12, 31
	s_add_i32 s9, s0, 0xfffffa80
	s_cmp_lt_i32 s9, s10
	v_lshl_add_u64 v[84:85], s[12:13], 1, v[0:1]
	s_cselect_b32 s12, s9, s11
	ds_read_b128 v[46:49], v124 offset:32
	ds_read_b128 v[54:57], v124 offset:48
	global_load_ushort v38, v[38:39], off
	s_ashr_i32 s13, s12, 31
	s_waitcnt vmcnt(24)
	v_lshlrev_b32_e32 v3, 16, v3
	v_lshl_add_u64 v[86:87], s[12:13], 1, v[0:1]
	global_load_ushort v51, v[86:87], off
	s_waitcnt lgkmcnt(3)
	v_fmac_f32_e32 v110, v30, v3
	s_waitcnt vmcnt(23)
	v_lshlrev_b32_e32 v3, 16, v111
	v_fmac_f32_e32 v110, v31, v3
	s_waitcnt vmcnt(22)
	v_lshlrev_b32_e32 v3, 16, v112
	global_load_ushort v39, v[18:19], off
	v_fmac_f32_e32 v110, v32, v3
	s_waitcnt vmcnt(22)
	v_lshlrev_b32_e32 v3, 16, v113
	v_fmac_f32_e32 v110, v33, v3
	s_waitcnt vmcnt(21)
	v_lshlrev_b32_e32 v3, 16, v114
	s_waitcnt lgkmcnt(2)
	v_fmac_f32_e32 v110, v34, v3
	global_load_ushort v3, v[20:21], off
	global_load_ushort v34, v[40:41], off
	s_add_i32 s9, s0, 0xfffffac0
	global_load_ushort v26, v[26:27], off
	s_waitcnt vmcnt(23)
	v_lshlrev_b32_e32 v18, 16, v115
	v_fmac_f32_e32 v110, v35, v18
	global_load_ushort v35, v[42:43], off
	global_load_ushort v27, v[52:53], off
	s_cmp_lt_i32 s9, s10
	s_cselect_b32 s12, s9, s11
	s_ashr_i32 s13, s12, 31
	s_add_i32 s9, s0, 0xfffffb00
	s_cmp_lt_i32 s9, s10
	v_lshl_add_u64 v[88:89], s[12:13], 1, v[0:1]
	s_cselect_b32 s12, s9, s11
	s_ashr_i32 s13, s12, 31
	s_add_i32 s9, s0, 0xfffffb40
	s_cmp_lt_i32 s9, s10
	v_lshl_add_u64 v[90:91], s[12:13], 1, v[0:1]
	;; [unrolled: 5-line block ×6, first 2 shown]
	s_cselect_b32 s12, s9, s11
	s_ashr_i32 s13, s12, 31
	s_add_i32 s9, s0, 0xfffffc80
	s_waitcnt vmcnt(24)
	v_lshlrev_b32_e32 v18, 16, v116
	s_cmp_lt_i32 s9, s10
	v_fmac_f32_e32 v110, v36, v18
	global_load_ushort v36, v[64:65], off
	s_waitcnt vmcnt(24)
	v_lshlrev_b32_e32 v18, 16, v117
	v_lshl_add_u64 v[102:103], s[12:13], 1, v[0:1]
	s_cselect_b32 s12, s9, s11
	v_fmac_f32_e32 v110, v37, v18
	global_load_ushort v37, v[68:69], off
	global_load_ushort v40, v[70:71], off
	;; [unrolled: 1-line block ×3, first 2 shown]
	s_waitcnt vmcnt(26)
	v_lshlrev_b32_e32 v18, 16, v118
	s_ashr_i32 s13, s12, 31
	s_add_i32 s9, s0, 0xfffffcc0
	s_waitcnt lgkmcnt(1)
	v_fmac_f32_e32 v110, v46, v18
	global_load_ushort v46, v[78:79], off
	s_waitcnt vmcnt(26)
	v_lshlrev_b32_e32 v18, 16, v119
	s_cmp_lt_i32 s9, s10
	v_fmac_f32_e32 v110, v47, v18
	v_lshlrev_b32_e32 v18, 16, v120
	v_lshl_add_u64 v[104:105], s[12:13], 1, v[0:1]
	s_cselect_b32 s12, s9, s11
	v_fmac_f32_e32 v110, v48, v18
	global_load_ushort v48, v[82:83], off
	global_load_ushort v42, v[74:75], off
	;; [unrolled: 1-line block ×4, first 2 shown]
	s_ashr_i32 s13, s12, 31
	s_add_i32 s9, s0, 0xfffffd00
	s_cmp_lt_i32 s9, s10
	s_waitcnt vmcnt(29)
	v_lshlrev_b32_e32 v18, 16, v121
	v_lshl_add_u64 v[106:107], s[12:13], 1, v[0:1]
	s_cselect_b32 s12, s9, s11
	v_fmac_f32_e32 v110, v49, v18
	global_load_ushort v49, v[84:85], off
	global_load_ushort v53, v[88:89], off
	s_waitcnt vmcnt(30)
	v_lshlrev_b32_e32 v18, 16, v122
	s_ashr_i32 s13, s12, 31
	s_add_i32 s9, s0, 0xfffffd40
	s_waitcnt lgkmcnt(0)
	v_fmac_f32_e32 v110, v54, v18
	global_load_ushort v54, v[90:91], off
	s_waitcnt vmcnt(30)
	v_lshlrev_b32_e32 v18, 16, v58
	s_cmp_lt_i32 s9, s10
	v_fmac_f32_e32 v110, v55, v18
	s_waitcnt vmcnt(29)
	v_lshlrev_b32_e32 v18, 16, v59
	v_lshl_add_u64 v[98:99], s[12:13], 1, v[0:1]
	s_cselect_b32 s12, s9, s11
	v_fmac_f32_e32 v110, v56, v18
	s_waitcnt vmcnt(28)
	v_lshlrev_b32_e32 v18, 16, v60
	s_ashr_i32 s13, s12, 31
	s_add_i32 s9, s0, 0xfffffd80
	v_fmac_f32_e32 v110, v57, v18
	ds_read_b128 v[18:21], v124 offset:64
	ds_read_b128 v[30:33], v124 offset:80
	s_cmp_lt_i32 s9, s10
	v_lshl_add_u64 v[44:45], s[12:13], 1, v[0:1]
	s_cselect_b32 s12, s9, s11
	s_ashr_i32 s13, s12, 31
	s_add_i32 s9, s0, 0xfffffdc0
	s_cmp_lt_i32 s9, s10
	s_waitcnt vmcnt(27)
	v_lshlrev_b32_e32 v52, 16, v61
	v_lshl_add_u64 v[108:109], s[12:13], 1, v[0:1]
	s_cselect_b32 s12, s9, s11
	s_waitcnt lgkmcnt(1)
	v_fmac_f32_e32 v110, v18, v52
	global_load_ushort v52, v[92:93], off
	global_load_ushort v55, v[94:95], off
	s_ashr_i32 s13, s12, 31
	s_add_i32 s9, s0, 0xfffffe00
	s_cmp_lt_i32 s9, s10
	global_load_ushort v56, v[96:97], off
	global_load_ushort v57, v[100:101], off
	global_load_ushort v58, v[102:103], off
	global_load_ushort v59, v[104:105], off
	v_lshl_add_u64 v[4:5], s[12:13], 1, v[0:1]
	s_cselect_b32 s12, s9, s11
	s_ashr_i32 s13, s12, 31
	s_add_i32 s9, s0, 0xfffffe40
	s_cmp_lt_i32 s9, s10
	s_waitcnt vmcnt(32)
	v_lshlrev_b32_e32 v18, 16, v62
	v_lshl_add_u64 v[6:7], s[12:13], 1, v[0:1]
	s_cselect_b32 s12, s9, s11
	v_fmac_f32_e32 v110, v19, v18
	s_waitcnt vmcnt(28)
	v_lshlrev_b32_e32 v18, 16, v63
	s_ashr_i32 s13, s12, 31
	s_add_i32 s9, s0, 0xfffffe80
	v_fmac_f32_e32 v110, v20, v18
	v_lshlrev_b32_e32 v18, 16, v66
	s_cmp_lt_i32 s9, s10
	v_fmac_f32_e32 v110, v21, v18
	s_waitcnt vmcnt(27)
	v_lshlrev_b32_e32 v18, 16, v67
	v_lshl_add_u64 v[8:9], s[12:13], 1, v[0:1]
	s_cselect_b32 s12, s9, s11
	s_waitcnt lgkmcnt(0)
	v_fmac_f32_e32 v110, v30, v18
	global_load_ushort v30, v[106:107], off
	s_ashr_i32 s13, s12, 31
	s_add_i32 s9, s0, 0xfffffec0
	s_cmp_lt_i32 s9, s10
	global_load_ushort v60, v[98:99], off
	global_load_ushort v61, v[44:45], off
	;; [unrolled: 1-line block ×3, first 2 shown]
	v_lshl_add_u64 v[12:13], s[12:13], 1, v[0:1]
	s_cselect_b32 s12, s9, s11
	v_lshlrev_b32_e32 v18, 16, v123
	s_ashr_i32 s13, s12, 31
	s_add_i32 s9, s0, 0xffffff00
	v_fmac_f32_e32 v110, v31, v18
	v_lshlrev_b32_e32 v18, 16, v125
	s_cmp_lt_i32 s9, s10
	v_fmac_f32_e32 v110, v32, v18
	global_load_ushort v31, v[4:5], off
	global_load_ushort v32, v[6:7], off
	v_lshl_add_u64 v[10:11], s[12:13], 1, v[0:1]
	s_cselect_b32 s12, s9, s11
	s_ashr_i32 s13, s12, 31
	s_add_i32 s9, s0, 0xffffff40
	s_cmp_lt_i32 s9, s10
	s_waitcnt vmcnt(32)
	v_lshlrev_b32_e32 v4, 16, v50
	v_lshl_add_u64 v[16:17], s[12:13], 1, v[0:1]
	s_cselect_b32 s12, s9, s11
	v_fmac_f32_e32 v110, v33, v4
	ds_read_b128 v[4:7], v124 offset:96
	s_ashr_i32 s13, s12, 31
	s_add_i32 s9, s0, 0xffffff80
	s_cmp_lt_i32 s9, s10
	s_waitcnt vmcnt(31)
	v_lshlrev_b32_e32 v33, 16, v38
	global_load_ushort v38, v[8:9], off
	global_load_ushort v44, v[12:13], off
	v_lshl_add_u64 v[14:15], s[12:13], 1, v[0:1]
	s_cselect_b32 s12, s9, s11
	s_ashr_i32 s13, s12, 31
	s_sub_i32 s9, s0, 64
	s_cmp_lt_i32 s9, s10
	ds_read_b128 v[18:21], v124 offset:112
	s_waitcnt lgkmcnt(1)
	v_fmac_f32_e32 v110, v4, v33
	s_waitcnt vmcnt(31)
	v_lshlrev_b32_e32 v4, 16, v39
	global_load_ushort v33, v[10:11], off
	global_load_ushort v39, v[16:17], off
	v_lshl_add_u64 v[28:29], s[12:13], 1, v[0:1]
	s_cselect_b32 s12, s9, s11
	s_ashr_i32 s13, s12, 31
	s_cmp_lt_i32 s0, s10
	v_fmac_f32_e32 v110, v5, v4
	s_waitcnt vmcnt(32)
	v_lshlrev_b32_e32 v3, 16, v3
	global_load_ushort v16, v[14:15], off
	global_load_ushort v17, v[28:29], off
	v_lshl_add_u64 v[22:23], s[12:13], 1, v[0:1]
	s_cselect_b32 s12, s0, s11
	v_fmac_f32_e32 v110, v6, v3
	s_waitcnt vmcnt(33)
	v_lshlrev_b32_e32 v3, 16, v34
	s_ashr_i32 s13, s12, 31
	v_fmac_f32_e32 v110, v7, v3
	s_waitcnt vmcnt(31)
	v_lshlrev_b32_e32 v3, 16, v35
	v_lshl_add_u64 v[24:25], s[12:13], 1, v[0:1]
	s_waitcnt lgkmcnt(0)
	v_fmac_f32_e32 v110, v18, v3
	global_load_ushort v3, v[22:23], off
	global_load_ushort v14, v[24:25], off
	v_lshlrev_b32_e32 v4, 16, v26
	v_fmac_f32_e32 v110, v19, v4
	s_waitcnt vmcnt(32)
	v_lshlrev_b32_e32 v4, 16, v27
	v_fmac_f32_e32 v110, v20, v4
	ds_read_b128 v[4:7], v124 offset:128
	s_waitcnt vmcnt(31)
	v_lshlrev_b32_e32 v8, 16, v36
	v_fmac_f32_e32 v110, v21, v8
	ds_read_b128 v[8:11], v124 offset:144
	s_waitcnt vmcnt(30)
	v_lshlrev_b32_e32 v12, 16, v37
	s_waitcnt lgkmcnt(1)
	v_fmac_f32_e32 v110, v4, v12
	s_waitcnt vmcnt(29)
	v_lshlrev_b32_e32 v4, 16, v40
	v_fmac_f32_e32 v110, v5, v4
	s_waitcnt vmcnt(28)
	v_lshlrev_b32_e32 v4, 16, v41
	;; [unrolled: 3-line block ×4, first 2 shown]
	s_waitcnt lgkmcnt(0)
	v_fmac_f32_e32 v110, v8, v4
	v_lshlrev_b32_e32 v4, 16, v46
	v_fmac_f32_e32 v110, v9, v4
	s_waitcnt vmcnt(23)
	v_lshlrev_b32_e32 v4, 16, v47
	v_fmac_f32_e32 v110, v10, v4
	ds_read_b128 v[4:7], v124 offset:160
	v_lshlrev_b32_e32 v8, 16, v48
	v_fmac_f32_e32 v110, v11, v8
	ds_read_b128 v[8:11], v124 offset:176
	s_waitcnt vmcnt(22)
	v_lshlrev_b32_e32 v12, 16, v49
	s_waitcnt lgkmcnt(1)
	v_fmac_f32_e32 v110, v4, v12
	v_lshlrev_b32_e32 v4, 16, v51
	v_fmac_f32_e32 v110, v5, v4
	s_waitcnt vmcnt(21)
	v_lshlrev_b32_e32 v4, 16, v53
	v_fmac_f32_e32 v110, v6, v4
	s_waitcnt vmcnt(20)
	;; [unrolled: 3-line block ×3, first 2 shown]
	v_lshlrev_b32_e32 v4, 16, v52
	s_waitcnt lgkmcnt(0)
	v_fmac_f32_e32 v110, v8, v4
	s_waitcnt vmcnt(18)
	v_lshlrev_b32_e32 v4, 16, v55
	v_fmac_f32_e32 v110, v9, v4
	s_waitcnt vmcnt(17)
	v_lshlrev_b32_e32 v4, 16, v56
	v_fmac_f32_e32 v110, v10, v4
	ds_read_b128 v[4:7], v124 offset:192
	s_waitcnt vmcnt(16)
	v_lshlrev_b32_e32 v8, 16, v57
	v_fmac_f32_e32 v110, v11, v8
	ds_read_b128 v[8:11], v124 offset:208
	s_waitcnt vmcnt(15)
	v_lshlrev_b32_e32 v12, 16, v58
	s_waitcnt lgkmcnt(1)
	v_fmac_f32_e32 v110, v4, v12
	s_waitcnt vmcnt(14)
	v_lshlrev_b32_e32 v4, 16, v59
	v_fmac_f32_e32 v110, v5, v4
	s_waitcnt vmcnt(13)
	v_lshlrev_b32_e32 v4, 16, v30
	;; [unrolled: 3-line block ×4, first 2 shown]
	v_lshlrev_b32_e32 v4, 16, v61
	s_waitcnt lgkmcnt(0)
	v_pk_mul_f32 v[4:5], v[8:9], v[4:5]
	s_waitcnt vmcnt(6)
	v_lshlrev_b32_e32 v13, 16, v44
	v_add_f32_e32 v4, v110, v4
	v_add_f32_e32 v6, v4, v5
	v_lshlrev_b32_e32 v5, 16, v32
	v_lshlrev_b32_e32 v4, 16, v31
	v_pk_mul_f32 v[8:9], v[10:11], v[4:5]
	v_lshlrev_b32_e32 v12, 16, v38
	v_add_f32_e32 v8, v6, v8
	ds_read_b128 v[4:7], v124 offset:224
	v_add_f32_e32 v15, v8, v9
	ds_read_b128 v[8:11], v124 offset:240
	s_waitcnt lgkmcnt(1)
	v_pk_mul_f32 v[4:5], v[4:5], v[12:13]
	s_nop 0
	v_add_f32_e32 v4, v15, v4
	v_add_f32_e32 v12, v4, v5
	s_waitcnt vmcnt(4)
	v_lshlrev_b32_e32 v5, 16, v39
	v_lshlrev_b32_e32 v4, 16, v33
	v_pk_mul_f32 v[4:5], v[6:7], v[4:5]
	s_nop 0
	v_add_f32_e32 v4, v12, v4
	v_add_f32_e32 v6, v4, v5
	s_waitcnt vmcnt(2)
	v_lshlrev_b32_e32 v5, 16, v17
	v_lshlrev_b32_e32 v4, 16, v16
	s_waitcnt lgkmcnt(0)
	v_pk_mul_f32 v[4:5], v[8:9], v[4:5]
	s_nop 0
	v_add_f32_e32 v4, v6, v4
	v_add_f32_e32 v6, v4, v5
	s_waitcnt vmcnt(0)
	v_lshlrev_b32_e32 v5, 16, v14
	v_lshlrev_b32_e32 v4, 16, v3
	v_pk_mul_f32 v[4:5], v[10:11], v[4:5]
	s_nop 0
	v_add_f32_e32 v3, v6, v4
	v_add_f32_e32 v110, v3, v5
	s_branch .LBB473_16
.LBB473_19:
	v_mov_b32_e32 v0, 0
	ds_read_b32 v0, v0 offset:3584
	s_cmp_lg_u64 s[6:7], 0
	s_cbranch_scc0 .LBB473_28
; %bb.20:
	s_load_dword s6, s[6:7], 0x0
	s_waitcnt lgkmcnt(0)
	v_div_scale_f32 v1, s[0:1], s6, s6, 1.0
	v_rcp_f32_e32 v3, v1
	v_div_scale_f32 v4, vcc, 1.0, s6, 1.0
	v_fma_f32 v5, -v1, v3, 1.0
	v_fmac_f32_e32 v3, v5, v3
	v_mul_f32_e32 v5, v4, v3
	v_fma_f32 v6, -v1, v5, v4
	v_fmac_f32_e32 v5, v6, v3
	v_fma_f32 v1, -v1, v5, v4
	v_div_fmas_f32 v1, v1, v3, v5
	v_div_fixup_f32 v1, v1, s6, 1.0
	s_andn2_b64 vcc, exec, s[46:47]
	s_cbranch_vccnz .LBB473_22
.LBB473_21:
	s_add_u32 s0, s44, s48
	s_addc_u32 s1, s45, s49
	s_load_dword s34, s[0:1], 0x0
	s_mov_b32 s35, 0
.LBB473_22:
	s_waitcnt lgkmcnt(0)
	v_add_f32_e32 v0, 0x358637bd, v0
	v_div_scale_f32 v3, s[0:1], v0, v0, 1.0
	v_rcp_f32_e32 v4, v3
	v_div_scale_f32 v5, vcc, 1.0, v0, 1.0
	s_mov_b32 s0, 0x7f800000
	v_fma_f32 v6, -v3, v4, 1.0
	v_fmac_f32_e32 v4, v6, v4
	v_mul_f32_e32 v6, v5, v4
	v_fma_f32 v7, -v3, v6, v5
	v_fmac_f32_e32 v6, v7, v4
	v_fma_f32 v3, -v3, v6, v5
	v_div_fmas_f32 v3, v3, v4, v6
	v_div_fixup_f32 v0, v3, v0, 1.0
	v_mul_f32_e32 v0, v110, v0
	v_mul_f32_e32 v1, v0, v1
	v_and_b32_e32 v0, 0x7f800000, v1
	v_cmp_ne_u32_e32 vcc, s0, v0
                                        ; implicit-def: $vgpr0
	s_and_saveexec_b64 s[0:1], vcc
	s_xor_b64 s[0:1], exec, s[0:1]
; %bb.23:
	v_bfe_u32 v0, v1, 16, 1
	s_movk_i32 s6, 0x7fff
	v_add3_u32 v0, v1, v0, s6
                                        ; implicit-def: $vgpr1
; %bb.24:
	s_andn2_saveexec_b64 s[0:1], s[0:1]
; %bb.25:
	v_mov_b32_e32 v0, 0
	v_or_b32_e32 v3, 0x10000, v1
	v_cmp_eq_u32_sdwa vcc, v1, v0 src0_sel:WORD_0 src1_sel:DWORD
	s_nop 1
	v_cndmask_b32_e32 v0, v3, v1, vcc
; %bb.26:
	s_or_b64 exec, exec, s[0:1]
	s_mul_i32 s0, s3, s35
	s_mul_hi_u32 s1, s3, s34
	s_add_i32 s1, s1, s0
	s_mul_i32 s0, s3, s34
	s_lshl_b64 s[0:1], s[0:1], 7
	s_add_u32 s4, s4, s0
	s_mov_b32 s3, 0
	s_addc_u32 s5, s5, s1
	s_lshl_b64 s[0:1], s[2:3], 7
	s_add_u32 s0, s4, s0
	s_addc_u32 s1, s5, s1
	global_store_short_d16_hi v2, v0, s[0:1]
	s_endpgm
.LBB473_27:
	s_mov_b64 s[6:7], 0
	s_branch .LBB473_2
.LBB473_28:
	v_mov_b32_e32 v1, 1.0
	s_andn2_b64 vcc, exec, s[46:47]
	s_cbranch_vccz .LBB473_21
	s_branch .LBB473_22
	.section	.rodata,"a",@progbits
	.p2align	6, 0x0
	.amdhsa_kernel _Z35paged_attention_ll4mi_reduce_kernelI14__hip_bfloat16S0_Li64ELi64ELi256ELi14EEvPT0_PKfS4_PKT_PKiS9_iS4_
		.amdhsa_group_segment_fixed_size 3588
		.amdhsa_private_segment_fixed_size 0
		.amdhsa_kernarg_size 320
		.amdhsa_user_sgpr_count 2
		.amdhsa_user_sgpr_dispatch_ptr 0
		.amdhsa_user_sgpr_queue_ptr 0
		.amdhsa_user_sgpr_kernarg_segment_ptr 1
		.amdhsa_user_sgpr_dispatch_id 0
		.amdhsa_user_sgpr_kernarg_preload_length 0
		.amdhsa_user_sgpr_kernarg_preload_offset 0
		.amdhsa_user_sgpr_private_segment_size 0
		.amdhsa_uses_dynamic_stack 0
		.amdhsa_enable_private_segment 0
		.amdhsa_system_sgpr_workgroup_id_x 1
		.amdhsa_system_sgpr_workgroup_id_y 1
		.amdhsa_system_sgpr_workgroup_id_z 0
		.amdhsa_system_sgpr_workgroup_info 0
		.amdhsa_system_vgpr_workitem_id 0
		.amdhsa_next_free_vgpr 126
		.amdhsa_next_free_sgpr 57
		.amdhsa_accum_offset 128
		.amdhsa_reserve_vcc 1
		.amdhsa_float_round_mode_32 0
		.amdhsa_float_round_mode_16_64 0
		.amdhsa_float_denorm_mode_32 3
		.amdhsa_float_denorm_mode_16_64 3
		.amdhsa_dx10_clamp 1
		.amdhsa_ieee_mode 1
		.amdhsa_fp16_overflow 0
		.amdhsa_tg_split 0
		.amdhsa_exception_fp_ieee_invalid_op 0
		.amdhsa_exception_fp_denorm_src 0
		.amdhsa_exception_fp_ieee_div_zero 0
		.amdhsa_exception_fp_ieee_overflow 0
		.amdhsa_exception_fp_ieee_underflow 0
		.amdhsa_exception_fp_ieee_inexact 0
		.amdhsa_exception_int_div_zero 0
	.end_amdhsa_kernel
	.section	.text._Z35paged_attention_ll4mi_reduce_kernelI14__hip_bfloat16S0_Li64ELi64ELi256ELi14EEvPT0_PKfS4_PKT_PKiS9_iS4_,"axG",@progbits,_Z35paged_attention_ll4mi_reduce_kernelI14__hip_bfloat16S0_Li64ELi64ELi256ELi14EEvPT0_PKfS4_PKT_PKiS9_iS4_,comdat
.Lfunc_end473:
	.size	_Z35paged_attention_ll4mi_reduce_kernelI14__hip_bfloat16S0_Li64ELi64ELi256ELi14EEvPT0_PKfS4_PKT_PKiS9_iS4_, .Lfunc_end473-_Z35paged_attention_ll4mi_reduce_kernelI14__hip_bfloat16S0_Li64ELi64ELi256ELi14EEvPT0_PKfS4_PKT_PKiS9_iS4_
                                        ; -- End function
	.section	.AMDGPU.csdata,"",@progbits
; Kernel info:
; codeLenInByte = 10556
; NumSgprs: 63
; NumVgprs: 126
; NumAgprs: 0
; TotalNumVgprs: 126
; ScratchSize: 0
; MemoryBound: 0
; FloatMode: 240
; IeeeMode: 1
; LDSByteSize: 3588 bytes/workgroup (compile time only)
; SGPRBlocks: 7
; VGPRBlocks: 15
; NumSGPRsForWavesPerEU: 63
; NumVGPRsForWavesPerEU: 126
; AccumOffset: 128
; Occupancy: 4
; WaveLimiterHint : 1
; COMPUTE_PGM_RSRC2:SCRATCH_EN: 0
; COMPUTE_PGM_RSRC2:USER_SGPR: 2
; COMPUTE_PGM_RSRC2:TRAP_HANDLER: 0
; COMPUTE_PGM_RSRC2:TGID_X_EN: 1
; COMPUTE_PGM_RSRC2:TGID_Y_EN: 1
; COMPUTE_PGM_RSRC2:TGID_Z_EN: 0
; COMPUTE_PGM_RSRC2:TIDIG_COMP_CNT: 0
; COMPUTE_PGM_RSRC3_GFX90A:ACCUM_OFFSET: 31
; COMPUTE_PGM_RSRC3_GFX90A:TG_SPLIT: 0
	.section	.text._Z35paged_attention_ll4mi_reduce_kernelI14__hip_bfloat16S0_Li64ELi64ELi256ELi15EEvPT0_PKfS4_PKT_PKiS9_iS4_,"axG",@progbits,_Z35paged_attention_ll4mi_reduce_kernelI14__hip_bfloat16S0_Li64ELi64ELi256ELi15EEvPT0_PKfS4_PKT_PKiS9_iS4_,comdat
	.protected	_Z35paged_attention_ll4mi_reduce_kernelI14__hip_bfloat16S0_Li64ELi64ELi256ELi15EEvPT0_PKfS4_PKT_PKiS9_iS4_ ; -- Begin function _Z35paged_attention_ll4mi_reduce_kernelI14__hip_bfloat16S0_Li64ELi64ELi256ELi15EEvPT0_PKfS4_PKT_PKiS9_iS4_
	.globl	_Z35paged_attention_ll4mi_reduce_kernelI14__hip_bfloat16S0_Li64ELi64ELi256ELi15EEvPT0_PKfS4_PKT_PKiS9_iS4_
	.p2align	8
	.type	_Z35paged_attention_ll4mi_reduce_kernelI14__hip_bfloat16S0_Li64ELi64ELi256ELi15EEvPT0_PKfS4_PKT_PKiS9_iS4_,@function
_Z35paged_attention_ll4mi_reduce_kernelI14__hip_bfloat16S0_Li64ELi64ELi256ELi15EEvPT0_PKfS4_PKT_PKiS9_iS4_: ; @_Z35paged_attention_ll4mi_reduce_kernelI14__hip_bfloat16S0_Li64ELi64ELi256ELi15EEvPT0_PKfS4_PKT_PKiS9_iS4_
; %bb.0:
	s_load_dwordx2 s[46:47], s[0:1], 0x28
	s_mov_b32 s44, s3
	s_mov_b64 s[4:5], 0
	s_waitcnt lgkmcnt(0)
	s_cmp_lg_u64 s[46:47], 0
	s_cselect_b64 s[48:49], -1, 0
	s_and_b64 vcc, exec, s[48:49]
	s_cbranch_vccz .LBB474_27
; %bb.1:
	s_add_i32 s6, s44, 1
	s_mov_b32 s7, 0
	s_lshl_b64 s[8:9], s[6:7], 2
	s_add_u32 s8, s46, s8
	s_mov_b32 s45, s7
	s_addc_u32 s9, s47, s9
	s_lshl_b64 s[6:7], s[44:45], 2
	s_add_u32 s6, s46, s6
	s_addc_u32 s7, s47, s7
	s_load_dword s3, s[8:9], 0x0
	s_load_dword s10, s[6:7], 0x0
	s_waitcnt lgkmcnt(0)
	s_sub_i32 s3, s3, s10
	s_cmp_eq_u32 s3, 1
	s_cselect_b64 s[6:7], -1, 0
	s_andn2_b64 vcc, exec, s[4:5]
	s_cbranch_vccnz .LBB474_3
.LBB474_2:
	s_mov_b32 s45, 0
	s_mov_b64 s[6:7], -1
.LBB474_3:
	s_andn2_b64 vcc, exec, s[6:7]
	s_cbranch_vccz .LBB474_5
; %bb.4:
	s_endpgm
.LBB474_5:
	s_load_dwordx4 s[36:39], s[0:1], 0x18
	s_load_dword s8, s[0:1], 0x30
	s_lshl_b64 s[50:51], s[44:45], 2
	v_cmp_lt_u32_e32 vcc, 63, v0
	s_waitcnt lgkmcnt(0)
	s_add_u32 s4, s38, s50
	s_addc_u32 s5, s39, s51
	s_load_dword s58, s[4:5], 0x0
	s_load_dword s3, s[0:1], 0x40
	s_mul_i32 s38, s2, s8
	s_mul_i32 s6, s44, s8
	s_waitcnt lgkmcnt(0)
	s_add_i32 s7, s58, 0xff
	s_ashr_i32 s4, s7, 31
	s_lshr_b32 s4, s4, 24
	s_add_i32 s7, s7, s4
	s_and_saveexec_b64 s[4:5], vcc
	s_xor_b64 s[4:5], exec, s[4:5]
	s_or_saveexec_b64 s[52:53], s[4:5]
	s_ashr_i32 s33, s7, 8
	v_mov_b32_e32 v1, s38
	s_mul_i32 s54, s6, s3
	s_xor_b64 exec, exec, s[52:53]
	s_cbranch_execz .LBB474_9
; %bb.6:
	s_add_i32 s4, s33, -1
	v_or_b32_e32 v3, 64, v0
	v_mov_b32_e32 v1, s4
	v_cmp_gt_u32_e64 s[28:29], s33, v3
	s_load_dwordx4 s[40:43], s[0:1], 0x8
	s_mov_b32 s55, 0
	v_cndmask_b32_e64 v4, v1, v3, s[28:29]
	v_or_b32_e32 v3, 0x80, v0
	v_cmp_gt_u32_e64 s[26:27], s33, v3
	s_lshl_b64 s[56:57], s[54:55], 2
	s_mov_b32 s39, s55
	v_cndmask_b32_e64 v6, v1, v3, s[26:27]
	v_or_b32_e32 v3, 0xc0, v0
	v_cmp_gt_u32_e64 s[24:25], s33, v3
	v_cmp_gt_u32_e64 s[30:31], s33, v0
	s_waitcnt lgkmcnt(0)
	s_add_u32 s34, s42, s56
	v_cndmask_b32_e64 v8, v1, v3, s[24:25]
	v_or_b32_e32 v3, 0x100, v0
	v_cmp_gt_u32_e64 s[22:23], s33, v3
	v_cndmask_b32_e64 v2, v1, v0, s[30:31]
	s_addc_u32 s35, s43, s57
	v_cndmask_b32_e64 v10, v1, v3, s[22:23]
	v_or_b32_e32 v3, 0x140, v0
	v_cmp_gt_u32_e64 s[20:21], s33, v3
	s_lshl_b64 s[42:43], s[38:39], 2
	s_add_u32 s34, s34, s42
	v_cndmask_b32_e64 v12, v1, v3, s[20:21]
	v_or_b32_e32 v3, 0x180, v0
	v_cmp_gt_u32_e64 s[18:19], s33, v3
	s_addc_u32 s35, s35, s43
	v_ashrrev_i32_e32 v5, 31, v4
	v_cndmask_b32_e64 v14, v1, v3, s[18:19]
	v_or_b32_e32 v3, 0x1c0, v0
	v_cmp_gt_u32_e64 s[16:17], s33, v3
	v_ashrrev_i32_e32 v7, 31, v6
	v_ashrrev_i32_e32 v9, 31, v8
	v_cndmask_b32_e64 v16, v1, v3, s[16:17]
	v_or_b32_e32 v3, 0x200, v0
	v_cmp_gt_u32_e64 s[14:15], s33, v3
	v_ashrrev_i32_e32 v17, 31, v16
	;; [unrolled: 5-line block ×3, first 2 shown]
	v_ashrrev_i32_e32 v15, 31, v14
	v_cndmask_b32_e64 v20, v1, v3, s[12:13]
	v_or_b32_e32 v3, 0x280, v0
	v_cmp_gt_u32_e64 s[10:11], s33, v3
	v_lshlrev_b64 v[16:17], 2, v[16:17]
	v_lshlrev_b64 v[4:5], 2, v[4:5]
	v_cndmask_b32_e64 v22, v1, v3, s[10:11]
	v_or_b32_e32 v3, 0x2c0, v0
	v_cmp_gt_u32_e64 s[8:9], s33, v3
	v_lshlrev_b64 v[6:7], 2, v[6:7]
	v_lshlrev_b64 v[8:9], 2, v[8:9]
	v_cndmask_b32_e64 v24, v1, v3, s[8:9]
	v_or_b32_e32 v3, 0x300, v0
	v_cmp_gt_u32_e64 s[6:7], s33, v3
	v_lshlrev_b64 v[10:11], 2, v[10:11]
	v_lshlrev_b64 v[12:13], 2, v[12:13]
	v_cndmask_b32_e64 v26, v1, v3, s[6:7]
	v_or_b32_e32 v3, 0x340, v0
	v_cmp_gt_u32_e64 s[4:5], s33, v3
	v_lshlrev_b64 v[14:15], 2, v[14:15]
	v_lshl_add_u64 v[46:47], s[34:35], 0, v[16:17]
	v_cndmask_b32_e64 v28, v1, v3, s[4:5]
	v_or_b32_e32 v3, 0x380, v0
	v_cmp_gt_u32_e32 vcc, s33, v3
	v_lshl_add_u64 v[34:35], s[34:35], 0, v[4:5]
	v_lshl_add_u64 v[36:37], s[34:35], 0, v[6:7]
	v_cndmask_b32_e32 v30, v1, v3, vcc
	v_ashrrev_i32_e32 v3, 31, v2
	v_lshlrev_b64 v[2:3], 2, v[2:3]
	v_lshl_add_u64 v[32:33], s[34:35], 0, v[2:3]
	v_lshl_add_u64 v[38:39], s[34:35], 0, v[8:9]
	;; [unrolled: 1-line block ×5, first 2 shown]
	global_load_dword v1, v[32:33], off
	global_load_dword v48, v[34:35], off
	;; [unrolled: 1-line block ×7, first 2 shown]
	s_nop 0
	global_load_dword v46, v[46:47], off
	v_ashrrev_i32_e32 v19, 31, v18
	v_ashrrev_i32_e32 v21, 31, v20
	;; [unrolled: 1-line block ×4, first 2 shown]
	v_lshlrev_b64 v[18:19], 2, v[18:19]
	v_lshlrev_b64 v[20:21], 2, v[20:21]
	;; [unrolled: 1-line block ×4, first 2 shown]
	v_ashrrev_i32_e32 v27, 31, v26
	v_ashrrev_i32_e32 v29, 31, v28
	;; [unrolled: 1-line block ×3, first 2 shown]
	v_lshl_add_u64 v[32:33], s[34:35], 0, v[18:19]
	v_lshl_add_u64 v[34:35], s[34:35], 0, v[20:21]
	;; [unrolled: 1-line block ×4, first 2 shown]
	v_lshlrev_b64 v[26:27], 2, v[26:27]
	v_lshlrev_b64 v[28:29], 2, v[28:29]
	;; [unrolled: 1-line block ×3, first 2 shown]
	v_lshl_add_u64 v[40:41], s[34:35], 0, v[26:27]
	v_lshl_add_u64 v[42:43], s[34:35], 0, v[28:29]
	;; [unrolled: 1-line block ×3, first 2 shown]
	global_load_dword v32, v[32:33], off
	s_nop 0
	global_load_dword v33, v[34:35], off
	s_nop 0
	global_load_dword v34, v[36:37], off
	global_load_dword v35, v[38:39], off
	s_nop 0
	global_load_dword v36, v[40:41], off
	global_load_dword v37, v[42:43], off
	;; [unrolled: 1-line block ×3, first 2 shown]
	v_mbcnt_lo_u32_b32 v40, -1, 0
	v_mbcnt_hi_u32_b32 v40, -1, v40
	v_and_b32_e32 v41, 64, v40
	v_add_u32_e32 v41, 64, v41
	v_xor_b32_e32 v42, 32, v40
	v_cmp_lt_i32_e64 s[34:35], v42, v41
	s_mov_b32 s39, 0x3fb8aa3b
	s_waitcnt vmcnt(12)
	v_max3_f32 v39, v1, v48, v49
	v_cndmask_b32_e64 v42, v40, v42, s[34:35]
	s_waitcnt vmcnt(10)
	v_max3_f32 v39, v39, v50, v51
	v_lshlrev_b32_e32 v42, 2, v42
	s_waitcnt vmcnt(8)
	v_max3_f32 v39, v39, v52, v53
	s_waitcnt vmcnt(6)
	v_max3_f32 v39, v39, v46, v32
	;; [unrolled: 2-line block ×5, first 2 shown]
	ds_bpermute_b32 v43, v42, v39
	s_waitcnt lgkmcnt(0)
	v_max_f32_e32 v43, v43, v43
	v_max_f32_e32 v39, v39, v43
	v_xor_b32_e32 v43, 16, v40
	v_cmp_lt_i32_e64 s[34:35], v43, v41
	s_nop 1
	v_cndmask_b32_e64 v43, v40, v43, s[34:35]
	v_lshlrev_b32_e32 v43, 2, v43
	ds_bpermute_b32 v44, v43, v39
	s_waitcnt lgkmcnt(0)
	v_max_f32_e32 v44, v44, v44
	v_max_f32_e32 v39, v39, v44
	v_xor_b32_e32 v44, 8, v40
	v_cmp_lt_i32_e64 s[34:35], v44, v41
	s_nop 1
	v_cndmask_b32_e64 v44, v40, v44, s[34:35]
	v_lshlrev_b32_e32 v44, 2, v44
	ds_bpermute_b32 v45, v44, v39
	s_waitcnt lgkmcnt(0)
	v_max_f32_e32 v45, v45, v45
	v_max_f32_e32 v39, v39, v45
	v_xor_b32_e32 v45, 4, v40
	v_cmp_lt_i32_e64 s[34:35], v45, v41
	s_nop 1
	v_cndmask_b32_e64 v45, v40, v45, s[34:35]
	s_add_u32 s34, s40, s56
	s_addc_u32 s35, s41, s57
	s_add_u32 s40, s34, s42
	s_addc_u32 s41, s35, s43
	v_lshlrev_b32_e32 v45, 2, v45
	v_lshl_add_u64 v[2:3], s[40:41], 0, v[2:3]
	global_load_dword v47, v[2:3], off
	ds_bpermute_b32 v2, v45, v39
	s_waitcnt lgkmcnt(0)
	v_max_f32_e32 v2, v2, v2
	v_max_f32_e32 v39, v39, v2
	v_xor_b32_e32 v2, 2, v40
	v_cmp_lt_i32_e64 s[34:35], v2, v41
	s_nop 1
	v_cndmask_b32_e64 v2, v40, v2, s[34:35]
	v_lshlrev_b32_e32 v54, 2, v2
	ds_bpermute_b32 v55, v54, v39
	v_lshl_add_u64 v[2:3], s[40:41], 0, v[4:5]
	global_load_dword v56, v[2:3], off
	v_lshl_add_u64 v[4:5], s[40:41], 0, v[8:9]
	v_lshl_add_u64 v[8:9], s[40:41], 0, v[12:13]
	s_waitcnt lgkmcnt(0)
	v_max_f32_e32 v2, v55, v55
	v_max_f32_e32 v39, v39, v2
	v_xor_b32_e32 v2, 1, v40
	v_cmp_lt_i32_e64 s[34:35], v2, v41
	v_lshl_add_u64 v[12:13], s[40:41], 0, v[16:17]
	s_nop 0
	v_cndmask_b32_e64 v2, v40, v2, s[34:35]
	v_lshlrev_b32_e32 v40, 2, v2
	v_lshl_add_u64 v[2:3], s[40:41], 0, v[6:7]
	v_lshl_add_u64 v[6:7], s[40:41], 0, v[10:11]
	;; [unrolled: 1-line block ×3, first 2 shown]
	global_load_dword v16, v[2:3], off
	global_load_dword v17, v[4:5], off
	;; [unrolled: 1-line block ×6, first 2 shown]
	ds_bpermute_b32 v41, v40, v39
	v_lshl_add_u64 v[2:3], s[40:41], 0, v[18:19]
	v_lshl_add_u64 v[4:5], s[40:41], 0, v[20:21]
	;; [unrolled: 1-line block ×4, first 2 shown]
	s_waitcnt lgkmcnt(0)
	v_max_f32_e32 v18, v41, v41
	v_max_f32_e32 v18, v39, v18
	v_sub_f32_e32 v1, v1, v18
	v_lshl_add_u64 v[10:11], s[40:41], 0, v[26:27]
	v_mul_f32_e32 v19, 0x3fb8aa3b, v1
	v_lshl_add_u64 v[12:13], s[40:41], 0, v[28:29]
	v_lshl_add_u64 v[14:15], s[40:41], 0, v[30:31]
	v_fma_f32 v20, v1, s39, -v19
	v_rndne_f32_e32 v21, v19
	global_load_dword v2, v[2:3], off
	s_nop 0
	global_load_dword v3, v[4:5], off
	s_nop 0
	global_load_dword v4, v[6:7], off
	global_load_dword v5, v[8:9], off
	s_nop 0
	global_load_dword v6, v[10:11], off
	global_load_dword v7, v[12:13], off
	;; [unrolled: 1-line block ×3, first 2 shown]
	v_sub_f32_e32 v11, v48, v18
	v_fmac_f32_e32 v20, 0x32a5705f, v1
	v_sub_f32_e32 v19, v19, v21
	v_mul_f32_e32 v12, 0x3fb8aa3b, v11
	v_add_f32_e32 v19, v19, v20
	v_fma_f32 v13, v11, s39, -v12
	v_rndne_f32_e32 v14, v12
	v_exp_f32_e32 v19, v19
	v_cvt_i32_f32_e32 v20, v21
	v_fmac_f32_e32 v13, 0x32a5705f, v11
	v_sub_f32_e32 v12, v12, v14
	v_add_f32_e32 v12, v12, v13
	v_exp_f32_e32 v12, v12
	v_cvt_i32_f32_e32 v13, v14
	s_mov_b32 s40, 0xc2ce8ed0
	v_ldexp_f32 v9, v19, v20
	v_cmp_ngt_f32_e64 s[34:35], s40, v1
	s_mov_b32 s41, 0x42b17218
	v_mov_b32_e32 v10, 0x7f800000
	v_cndmask_b32_e64 v9, 0, v9, s[34:35]
	v_cmp_nlt_f32_e64 s[34:35], s41, v1
	s_nop 1
	v_cndmask_b32_e64 v1, v10, v9, s[34:35]
	v_ldexp_f32 v9, v12, v13
	v_sub_f32_e32 v12, v49, v18
	v_mul_f32_e32 v13, 0x3fb8aa3b, v12
	v_fma_f32 v14, v12, s39, -v13
	v_rndne_f32_e32 v15, v13
	v_fmac_f32_e32 v14, 0x32a5705f, v12
	v_sub_f32_e32 v13, v13, v15
	v_add_f32_e32 v13, v13, v14
	v_exp_f32_e32 v13, v13
	v_cvt_i32_f32_e32 v14, v15
	v_cndmask_b32_e64 v1, 0, v1, s[30:31]
	v_cmp_ngt_f32_e64 s[30:31], s40, v11
	s_waitcnt vmcnt(14)
	v_mul_f32_e32 v1, v47, v1
	v_cndmask_b32_e64 v9, 0, v9, s[30:31]
	v_cmp_nlt_f32_e64 s[30:31], s41, v11
	v_ldexp_f32 v11, v13, v14
	v_sub_f32_e32 v13, v50, v18
	v_mul_f32_e32 v14, 0x3fb8aa3b, v13
	v_fma_f32 v15, v13, s39, -v14
	v_rndne_f32_e32 v19, v14
	v_fmac_f32_e32 v15, 0x32a5705f, v13
	v_sub_f32_e32 v14, v14, v19
	v_add_f32_e32 v14, v14, v15
	v_exp_f32_e32 v14, v14
	v_cvt_i32_f32_e32 v15, v19
	v_cndmask_b32_e64 v9, v10, v9, s[30:31]
	v_cndmask_b32_e64 v9, 0, v9, s[28:29]
	v_cmp_ngt_f32_e64 s[28:29], s40, v12
	s_waitcnt vmcnt(13)
	v_mul_f32_e32 v9, v56, v9
	v_cndmask_b32_e64 v11, 0, v11, s[28:29]
	v_cmp_nlt_f32_e64 s[28:29], s41, v12
	v_ldexp_f32 v12, v14, v15
	v_sub_f32_e32 v14, v51, v18
	v_cndmask_b32_e64 v11, v10, v11, s[28:29]
	v_cndmask_b32_e64 v11, 0, v11, s[26:27]
	v_mul_f32_e32 v15, 0x3fb8aa3b, v14
	s_waitcnt vmcnt(12)
	v_mul_f32_e32 v11, v16, v11
	v_fma_f32 v16, v14, s39, -v15
	v_rndne_f32_e32 v19, v15
	v_fmac_f32_e32 v16, 0x32a5705f, v14
	v_sub_f32_e32 v15, v15, v19
	v_add_f32_e32 v15, v15, v16
	v_exp_f32_e32 v15, v15
	v_cvt_i32_f32_e32 v16, v19
	v_cmp_ngt_f32_e64 s[26:27], s40, v13
	s_nop 1
	v_cndmask_b32_e64 v12, 0, v12, s[26:27]
	v_cmp_nlt_f32_e64 s[26:27], s41, v13
	v_ldexp_f32 v13, v15, v16
	v_sub_f32_e32 v15, v52, v18
	v_cndmask_b32_e64 v12, v10, v12, s[26:27]
	v_cndmask_b32_e64 v12, 0, v12, s[24:25]
	v_mul_f32_e32 v16, 0x3fb8aa3b, v15
	s_waitcnt vmcnt(11)
	v_mul_f32_e32 v12, v17, v12
	v_fma_f32 v17, v15, s39, -v16
	v_rndne_f32_e32 v19, v16
	v_fmac_f32_e32 v17, 0x32a5705f, v15
	v_sub_f32_e32 v16, v16, v19
	v_add_f32_e32 v16, v16, v17
	v_exp_f32_e32 v16, v16
	v_cvt_i32_f32_e32 v17, v19
	v_cmp_ngt_f32_e64 s[24:25], s40, v14
	s_nop 1
	v_cndmask_b32_e64 v13, 0, v13, s[24:25]
	v_cmp_nlt_f32_e64 s[24:25], s41, v14
	v_ldexp_f32 v14, v16, v17
	v_sub_f32_e32 v16, v53, v18
	v_mul_f32_e32 v17, 0x3fb8aa3b, v16
	v_fma_f32 v19, v16, s39, -v17
	v_rndne_f32_e32 v20, v17
	v_fmac_f32_e32 v19, 0x32a5705f, v16
	v_sub_f32_e32 v17, v17, v20
	v_add_f32_e32 v17, v17, v19
	v_exp_f32_e32 v17, v17
	v_cvt_i32_f32_e32 v19, v20
	v_cndmask_b32_e64 v13, v10, v13, s[24:25]
	v_cndmask_b32_e64 v13, 0, v13, s[22:23]
	v_cmp_ngt_f32_e64 s[22:23], s40, v15
	s_waitcnt vmcnt(10)
	v_mul_f32_e32 v13, v55, v13
	v_cndmask_b32_e64 v14, 0, v14, s[22:23]
	v_cmp_nlt_f32_e64 s[22:23], s41, v15
	v_ldexp_f32 v15, v17, v19
	v_sub_f32_e32 v17, v46, v18
	v_mul_f32_e32 v19, 0x3fb8aa3b, v17
	v_fma_f32 v20, v17, s39, -v19
	v_rndne_f32_e32 v21, v19
	v_fmac_f32_e32 v20, 0x32a5705f, v17
	v_sub_f32_e32 v19, v19, v21
	v_add_f32_e32 v19, v19, v20
	v_exp_f32_e32 v19, v19
	v_cvt_i32_f32_e32 v20, v21
	v_cndmask_b32_e64 v14, v10, v14, s[22:23]
	v_cndmask_b32_e64 v14, 0, v14, s[20:21]
	v_cmp_ngt_f32_e64 s[20:21], s40, v16
	s_waitcnt vmcnt(9)
	v_mul_f32_e32 v14, v57, v14
	;; [unrolled: 17-line block ×3, first 2 shown]
	v_cndmask_b32_e64 v16, 0, v16, s[18:19]
	v_cmp_nlt_f32_e64 s[18:19], s41, v17
	v_ldexp_f32 v17, v20, v21
	v_sub_f32_e32 v20, v33, v18
	v_mul_f32_e32 v21, 0x3fb8aa3b, v20
	v_fma_f32 v22, v20, s39, -v21
	v_rndne_f32_e32 v23, v21
	v_fmac_f32_e32 v22, 0x32a5705f, v20
	v_sub_f32_e32 v21, v21, v23
	v_cndmask_b32_e64 v16, v10, v16, s[18:19]
	v_add_f32_e32 v21, v21, v22
	v_cndmask_b32_e64 v16, 0, v16, s[16:17]
	v_cmp_ngt_f32_e64 s[16:17], s40, v19
	v_exp_f32_e32 v21, v21
	v_cvt_i32_f32_e32 v22, v23
	v_cndmask_b32_e64 v17, 0, v17, s[16:17]
	v_cmp_nlt_f32_e64 s[16:17], s41, v19
	v_sub_f32_e32 v19, v34, v18
	s_waitcnt vmcnt(7)
	v_mul_f32_e32 v16, v59, v16
	v_cndmask_b32_e64 v17, v10, v17, s[16:17]
	v_cndmask_b32_e64 v17, 0, v17, s[14:15]
	s_waitcnt vmcnt(6)
	v_mul_f32_e32 v2, v2, v17
	v_ldexp_f32 v17, v21, v22
	v_mul_f32_e32 v21, 0x3fb8aa3b, v19
	v_fma_f32 v22, v19, s39, -v21
	v_rndne_f32_e32 v23, v21
	v_fmac_f32_e32 v22, 0x32a5705f, v19
	v_sub_f32_e32 v21, v21, v23
	v_add_f32_e32 v21, v21, v22
	v_cmp_ngt_f32_e64 s[14:15], s40, v20
	v_exp_f32_e32 v21, v21
	v_cvt_i32_f32_e32 v22, v23
	v_cndmask_b32_e64 v17, 0, v17, s[14:15]
	v_cmp_nlt_f32_e64 s[14:15], s41, v20
	v_sub_f32_e32 v20, v35, v18
	s_nop 0
	v_cndmask_b32_e64 v17, v10, v17, s[14:15]
	v_cndmask_b32_e64 v17, 0, v17, s[12:13]
	s_waitcnt vmcnt(5)
	v_mul_f32_e32 v3, v3, v17
	v_ldexp_f32 v17, v21, v22
	v_mul_f32_e32 v21, 0x3fb8aa3b, v20
	v_fma_f32 v22, v20, s39, -v21
	v_rndne_f32_e32 v23, v21
	v_fmac_f32_e32 v22, 0x32a5705f, v20
	v_sub_f32_e32 v21, v21, v23
	v_add_f32_e32 v21, v21, v22
	v_cmp_ngt_f32_e64 s[12:13], s40, v19
	v_exp_f32_e32 v21, v21
	v_cvt_i32_f32_e32 v22, v23
	v_cndmask_b32_e64 v17, 0, v17, s[12:13]
	v_cmp_nlt_f32_e64 s[12:13], s41, v19
	v_sub_f32_e32 v19, v36, v18
	s_nop 0
	v_cndmask_b32_e64 v17, v10, v17, s[12:13]
	v_cndmask_b32_e64 v17, 0, v17, s[10:11]
	s_waitcnt vmcnt(4)
	v_mul_f32_e32 v4, v4, v17
	v_ldexp_f32 v17, v21, v22
	v_mul_f32_e32 v21, 0x3fb8aa3b, v19
	v_fma_f32 v22, v19, s39, -v21
	v_rndne_f32_e32 v23, v21
	v_fmac_f32_e32 v22, 0x32a5705f, v19
	v_sub_f32_e32 v21, v21, v23
	v_add_f32_e32 v21, v21, v22
	v_exp_f32_e32 v21, v21
	v_cvt_i32_f32_e32 v22, v23
	v_cmp_ngt_f32_e64 s[10:11], s40, v20
	s_nop 1
	v_cndmask_b32_e64 v17, 0, v17, s[10:11]
	v_cmp_nlt_f32_e64 s[10:11], s41, v20
	v_ldexp_f32 v20, v21, v22
	v_sub_f32_e32 v21, v37, v18
	v_mul_f32_e32 v22, 0x3fb8aa3b, v21
	v_fma_f32 v23, v21, s39, -v22
	v_rndne_f32_e32 v24, v22
	v_fmac_f32_e32 v23, 0x32a5705f, v21
	v_sub_f32_e32 v22, v22, v24
	v_add_f32_e32 v22, v22, v23
	v_exp_f32_e32 v22, v22
	v_cvt_i32_f32_e32 v23, v24
	v_cndmask_b32_e64 v17, v10, v17, s[10:11]
	v_cndmask_b32_e64 v17, 0, v17, s[8:9]
	v_cmp_ngt_f32_e64 s[8:9], s40, v19
	v_sub_f32_e32 v18, v38, v18
	s_nop 0
	v_cndmask_b32_e64 v20, 0, v20, s[8:9]
	v_cmp_nlt_f32_e64 s[8:9], s41, v19
	s_nop 1
	v_cndmask_b32_e64 v19, v10, v20, s[8:9]
	v_ldexp_f32 v20, v22, v23
	v_mul_f32_e32 v22, 0x3fb8aa3b, v18
	v_fma_f32 v23, v18, s39, -v22
	v_rndne_f32_e32 v24, v22
	v_fmac_f32_e32 v23, 0x32a5705f, v18
	v_sub_f32_e32 v22, v22, v24
	v_add_f32_e32 v22, v22, v23
	v_exp_f32_e32 v22, v22
	v_cvt_i32_f32_e32 v23, v24
	v_cndmask_b32_e64 v19, 0, v19, s[6:7]
	v_cmp_ngt_f32_e64 s[6:7], s40, v21
	s_nop 1
	v_cndmask_b32_e64 v20, 0, v20, s[6:7]
	v_cmp_nlt_f32_e64 s[6:7], s41, v21
	v_ldexp_f32 v21, v22, v23
	s_nop 0
	v_cndmask_b32_e64 v20, v10, v20, s[6:7]
	v_cndmask_b32_e64 v20, 0, v20, s[4:5]
	v_cmp_ngt_f32_e64 s[4:5], s40, v18
	s_nop 1
	v_cndmask_b32_e64 v21, 0, v21, s[4:5]
	v_cmp_nlt_f32_e64 s[4:5], s41, v18
	v_add_f32_e32 v18, v1, v9
	v_add_f32_e32 v18, v18, v11
	;; [unrolled: 1-line block ×10, first 2 shown]
	s_waitcnt vmcnt(3)
	v_fmac_f32_e32 v18, v5, v17
	v_cndmask_b32_e64 v10, v10, v21, s[4:5]
	s_waitcnt vmcnt(2)
	v_fmac_f32_e32 v18, v6, v19
	v_cndmask_b32_e32 v10, 0, v10, vcc
	s_waitcnt vmcnt(1)
	v_fmac_f32_e32 v18, v7, v20
	s_waitcnt vmcnt(0)
	v_fmac_f32_e32 v18, v8, v10
	ds_bpermute_b32 v21, v42, v18
	v_mul_f32_e32 v5, v5, v17
	v_mul_f32_e32 v8, v8, v10
	v_lshlrev_b32_e32 v10, 2, v0
	ds_write2st64_b32 v10, v1, v9 offset1:1
	s_waitcnt lgkmcnt(1)
	v_add_f32_e32 v18, v18, v21
	ds_bpermute_b32 v21, v43, v18
	ds_write2st64_b32 v10, v11, v12 offset0:2 offset1:3
	ds_write2st64_b32 v10, v13, v14 offset0:4 offset1:5
	;; [unrolled: 1-line block ×4, first 2 shown]
	v_cmp_eq_u32_e32 vcc, 0, v0
	v_mul_f32_e32 v6, v6, v19
	v_mul_f32_e32 v7, v7, v20
	s_waitcnt lgkmcnt(4)
	v_add_f32_e32 v18, v18, v21
	ds_bpermute_b32 v21, v44, v18
	ds_write2st64_b32 v10, v4, v5 offset0:10 offset1:11
	ds_write2st64_b32 v10, v6, v7 offset0:12 offset1:13
	ds_write_b32 v10, v8 offset:3584
	s_waitcnt lgkmcnt(3)
	v_add_f32_e32 v17, v18, v21
	ds_bpermute_b32 v18, v45, v17
	s_waitcnt lgkmcnt(0)
	v_add_f32_e32 v1, v17, v18
	ds_bpermute_b32 v9, v54, v1
	;; [unrolled: 3-line block ×3, first 2 shown]
	s_and_saveexec_b64 s[4:5], vcc
	s_cbranch_execz .LBB474_8
; %bb.7:
	s_waitcnt lgkmcnt(0)
	v_add_f32_e32 v1, v1, v2
	v_mov_b32_e32 v2, 0
	ds_write_b32 v2, v1 offset:3840
.LBB474_8:
	s_or_b64 exec, exec, s[4:5]
	v_mov_b32_e32 v1, s38
.LBB474_9:
	s_or_b64 exec, exec, s[52:53]
	s_lshl_b32 s4, s54, 6
	s_mov_b32 s5, 0
	s_lshl_b64 s[4:5], s[4:5], 1
	s_add_u32 s4, s36, s4
	s_addc_u32 s5, s37, s5
	s_lshl_b32 s10, s33, 6
	s_sub_i32 s11, s10, 64
	s_waitcnt lgkmcnt(0)
	v_lshlrev_b32_e32 v2, 6, v1
	v_mov_b32_e32 v3, 0
	s_cmp_lt_i32 s58, 1
	v_lshl_add_u64 v[4:5], v[2:3], 1, s[4:5]
	s_cselect_b32 s4, s11, 0
	v_lshlrev_b32_e32 v2, 1, v0
	s_ashr_i32 s5, s4, 31
	v_lshl_add_u64 v[0:1], v[4:5], 0, v[2:3]
	s_cmpk_lt_i32 s58, 0x101
	v_lshl_add_u64 v[4:5], s[4:5], 1, v[0:1]
	s_cselect_b32 s4, s11, 64
	s_ashr_i32 s5, s4, 31
	s_cmpk_lt_i32 s58, 0x201
	v_lshl_add_u64 v[6:7], s[4:5], 1, v[0:1]
	s_cselect_b32 s4, s11, 0x80
	s_ashr_i32 s5, s4, 31
	s_cmpk_lt_i32 s58, 0x301
	v_lshl_add_u64 v[8:9], s[4:5], 1, v[0:1]
	s_cselect_b32 s4, s11, 0xc0
	s_ashr_i32 s5, s4, 31
	s_cmpk_lt_i32 s58, 0x401
	v_lshl_add_u64 v[10:11], s[4:5], 1, v[0:1]
	s_cselect_b32 s4, s11, 0x100
	s_ashr_i32 s5, s4, 31
	s_cmpk_lt_i32 s58, 0x501
	v_lshl_add_u64 v[12:13], s[4:5], 1, v[0:1]
	s_cselect_b32 s4, s11, 0x140
	s_ashr_i32 s5, s4, 31
	s_cmpk_lt_i32 s58, 0x601
	v_lshl_add_u64 v[14:15], s[4:5], 1, v[0:1]
	s_cselect_b32 s4, s11, 0x180
	s_ashr_i32 s5, s4, 31
	s_cmpk_lt_i32 s58, 0x701
	v_lshl_add_u64 v[24:25], s[4:5], 1, v[0:1]
	s_cselect_b32 s4, s11, 0x1c0
	s_ashr_i32 s5, s4, 31
	s_cmpk_lt_i32 s58, 0x801
	v_lshl_add_u64 v[26:27], s[4:5], 1, v[0:1]
	s_cselect_b32 s4, s11, 0x200
	s_ashr_i32 s5, s4, 31
	s_cmpk_lt_i32 s58, 0x901
	global_load_ushort v23, v[4:5], off
	global_load_ushort v22, v[6:7], off
	;; [unrolled: 1-line block ×8, first 2 shown]
	v_lshl_add_u64 v[4:5], s[4:5], 1, v[0:1]
	s_cselect_b32 s4, s11, 0x240
	s_ashr_i32 s5, s4, 31
	s_cmpk_lt_i32 s58, 0xa01
	v_lshl_add_u64 v[6:7], s[4:5], 1, v[0:1]
	s_cselect_b32 s4, s11, 0x280
	s_ashr_i32 s5, s4, 31
	s_cmpk_lt_i32 s58, 0xb01
	;; [unrolled: 4-line block ×6, first 2 shown]
	v_lshl_add_u64 v[32:33], s[4:5], 1, v[0:1]
	s_cselect_b32 s4, s11, 0x3c0
	s_ashr_i32 s5, s4, 31
	v_lshl_add_u64 v[34:35], s[4:5], 1, v[0:1]
	global_load_ushort v30, v[4:5], off
	global_load_ushort v31, v[6:7], off
	;; [unrolled: 1-line block ×8, first 2 shown]
	s_cmpk_gt_i32 s58, 0x1000
	s_cselect_b64 s[8:9], -1, 0
	s_cmpk_lt_i32 s58, 0x1001
	v_mov_b32_e32 v40, 0
	v_mov_b32_e32 v41, 0
	;; [unrolled: 1-line block ×48, first 2 shown]
	s_waitcnt lgkmcnt(0)
	; wave barrier
	s_cbranch_scc1 .LBB474_12
; %bb.10:
	s_cmpk_lt_u32 s58, 0x1101
	s_cselect_b32 s4, s11, 0x440
	s_ashr_i32 s5, s4, 31
	s_cmpk_lt_u32 s58, 0x1201
	v_lshl_add_u64 v[4:5], s[4:5], 1, v[0:1]
	s_cselect_b32 s4, s11, 0x480
	s_ashr_i32 s5, s4, 31
	s_cmpk_lt_u32 s58, 0x1301
	v_lshl_add_u64 v[6:7], s[4:5], 1, v[0:1]
	s_cselect_b32 s4, s11, 0x4c0
	s_ashr_i32 s5, s4, 31
	s_cmpk_lt_u32 s58, 0x1401
	v_lshl_add_u64 v[8:9], s[4:5], 1, v[0:1]
	s_cselect_b32 s4, s11, 0x500
	s_ashr_i32 s5, s4, 31
	s_cmpk_lt_u32 s58, 0x1501
	v_lshl_add_u64 v[10:11], s[4:5], 1, v[0:1]
	s_cselect_b32 s4, s11, 0x540
	s_ashr_i32 s5, s4, 31
	s_cmpk_lt_u32 s58, 0x1601
	v_lshl_add_u64 v[12:13], s[4:5], 1, v[0:1]
	s_cselect_b32 s4, s11, 0x580
	s_ashr_i32 s5, s4, 31
	s_cmpk_lt_u32 s58, 0x1701
	v_lshl_add_u64 v[14:15], s[4:5], 1, v[0:1]
	s_cselect_b32 s4, s11, 0x5c0
	s_ashr_i32 s5, s4, 31
	s_cmpk_lt_u32 s58, 0x1801
	v_lshl_add_u64 v[40:41], s[4:5], 1, v[0:1]
	s_cselect_b32 s4, s11, 0x600
	s_ashr_i32 s5, s4, 31
	s_cmpk_lt_u32 s58, 0x1901
	global_load_ushort v39, v[0:1], off offset:2048
	global_load_ushort v38, v[4:5], off
	global_load_ushort v37, v[6:7], off
	;; [unrolled: 1-line block ×7, first 2 shown]
	v_lshl_add_u64 v[4:5], s[4:5], 1, v[0:1]
	s_cselect_b32 s4, s11, 0x640
	s_ashr_i32 s5, s4, 31
	s_cmpk_lt_u32 s58, 0x1a01
	v_lshl_add_u64 v[6:7], s[4:5], 1, v[0:1]
	s_cselect_b32 s4, s11, 0x680
	s_ashr_i32 s5, s4, 31
	s_cmpk_lt_u32 s58, 0x1b01
	;; [unrolled: 4-line block ×6, first 2 shown]
	v_lshl_add_u64 v[48:49], s[4:5], 1, v[0:1]
	s_cselect_b32 s4, s11, 0x7c0
	s_ashr_i32 s5, s4, 31
	v_lshl_add_u64 v[50:51], s[4:5], 1, v[0:1]
	global_load_ushort v47, v[4:5], off
	global_load_ushort v46, v[6:7], off
	;; [unrolled: 1-line block ×8, first 2 shown]
	s_cmpk_lt_u32 s58, 0x2001
	v_mov_b32_e32 v67, 0
	v_mov_b32_e32 v65, 0
	;; [unrolled: 1-line block ×32, first 2 shown]
	s_cbranch_scc1 .LBB474_12
; %bb.11:
	s_cmpk_lt_u32 s58, 0x2101
	s_cselect_b32 s4, s11, 0x840
	s_ashr_i32 s5, s4, 31
	s_cmpk_lt_u32 s58, 0x2201
	v_lshl_add_u64 v[4:5], s[4:5], 1, v[0:1]
	s_cselect_b32 s4, s11, 0x880
	s_ashr_i32 s5, s4, 31
	s_cmpk_lt_u32 s58, 0x2301
	v_lshl_add_u64 v[6:7], s[4:5], 1, v[0:1]
	s_cselect_b32 s4, s11, 0x8c0
	s_ashr_i32 s5, s4, 31
	s_cmpk_lt_u32 s58, 0x2401
	v_lshl_add_u64 v[8:9], s[4:5], 1, v[0:1]
	s_cselect_b32 s4, s11, 0x900
	s_ashr_i32 s5, s4, 31
	s_cmpk_lt_u32 s58, 0x2501
	v_lshl_add_u64 v[10:11], s[4:5], 1, v[0:1]
	s_cselect_b32 s4, s11, 0x940
	s_ashr_i32 s5, s4, 31
	s_cmpk_lt_u32 s58, 0x2601
	v_lshl_add_u64 v[12:13], s[4:5], 1, v[0:1]
	s_cselect_b32 s4, s11, 0x980
	s_ashr_i32 s5, s4, 31
	s_cmpk_lt_u32 s58, 0x2701
	v_lshl_add_u64 v[14:15], s[4:5], 1, v[0:1]
	s_cselect_b32 s4, s11, 0x9c0
	s_ashr_i32 s5, s4, 31
	s_cmpk_lt_u32 s58, 0x2801
	v_lshl_add_u64 v[48:49], s[4:5], 1, v[0:1]
	s_cselect_b32 s4, s11, 0xa00
	s_ashr_i32 s5, s4, 31
	s_cmpk_lt_u32 s58, 0x2901
	v_lshl_add_u64 v[50:51], s[4:5], 1, v[0:1]
	s_cselect_b32 s4, s11, 0xa40
	s_ashr_i32 s5, s4, 31
	s_cmpk_lt_u32 s58, 0x2a01
	v_lshl_add_u64 v[52:53], s[4:5], 1, v[0:1]
	s_cselect_b32 s4, s11, 0xa80
	s_ashr_i32 s5, s4, 31
	s_cmpk_lt_u32 s58, 0x2b01
	v_lshl_add_u64 v[54:55], s[4:5], 1, v[0:1]
	s_cselect_b32 s4, s11, 0xac0
	s_ashr_i32 s5, s4, 31
	s_cmpk_lt_u32 s58, 0x2c01
	v_lshl_add_u64 v[56:57], s[4:5], 1, v[0:1]
	s_cselect_b32 s4, s11, 0xb00
	s_ashr_i32 s5, s4, 31
	s_cmpk_lt_u32 s58, 0x2d01
	v_lshl_add_u64 v[58:59], s[4:5], 1, v[0:1]
	s_cselect_b32 s4, s11, 0xb40
	s_ashr_i32 s5, s4, 31
	s_cmpk_lt_u32 s58, 0x2e01
	v_lshl_add_u64 v[60:61], s[4:5], 1, v[0:1]
	s_cselect_b32 s4, s11, 0xb80
	s_ashr_i32 s5, s4, 31
	s_cmpk_lt_u32 s58, 0x2f01
	v_lshl_add_u64 v[62:63], s[4:5], 1, v[0:1]
	s_cselect_b32 s4, s11, 0xbc0
	s_ashr_i32 s5, s4, 31
	s_cmpk_lt_u32 s58, 0x3001
	v_lshl_add_u64 v[64:65], s[4:5], 1, v[0:1]
	s_cselect_b32 s4, s11, 0xc00
	s_ashr_i32 s5, s4, 31
	s_cmpk_lt_u32 s58, 0x3101
	v_lshl_add_u64 v[66:67], s[4:5], 1, v[0:1]
	s_cselect_b32 s4, s11, 0xc40
	s_ashr_i32 s5, s4, 31
	s_cmpk_lt_u32 s58, 0x3201
	v_lshl_add_u64 v[68:69], s[4:5], 1, v[0:1]
	s_cselect_b32 s4, s11, 0xc80
	s_ashr_i32 s5, s4, 31
	s_cmpk_lt_u32 s58, 0x3301
	v_lshl_add_u64 v[70:71], s[4:5], 1, v[0:1]
	s_cselect_b32 s4, s11, 0xcc0
	s_ashr_i32 s5, s4, 31
	s_cmpk_lt_u32 s58, 0x3401
	v_lshl_add_u64 v[72:73], s[4:5], 1, v[0:1]
	s_cselect_b32 s4, s11, 0xd00
	s_ashr_i32 s5, s4, 31
	s_cmpk_lt_u32 s58, 0x3501
	v_lshl_add_u64 v[74:75], s[4:5], 1, v[0:1]
	s_cselect_b32 s4, s11, 0xd40
	s_ashr_i32 s5, s4, 31
	s_cmpk_lt_u32 s58, 0x3601
	v_lshl_add_u64 v[76:77], s[4:5], 1, v[0:1]
	s_cselect_b32 s4, s11, 0xd80
	s_ashr_i32 s5, s4, 31
	s_cmpk_lt_u32 s58, 0x3701
	v_lshl_add_u64 v[78:79], s[4:5], 1, v[0:1]
	s_cselect_b32 s4, s11, 0xdc0
	s_ashr_i32 s5, s4, 31
	s_cmpk_lt_u32 s58, 0x3801
	v_lshl_add_u64 v[80:81], s[4:5], 1, v[0:1]
	s_cselect_b32 s4, s11, 0xe00
	s_ashr_i32 s5, s4, 31
	s_cmpk_lt_u32 s58, 0x3901
	v_lshl_add_u64 v[82:83], s[4:5], 1, v[0:1]
	s_cselect_b32 s4, s11, 0xe40
	s_ashr_i32 s5, s4, 31
	s_cmpk_lt_u32 s58, 0x3a01
	v_lshl_add_u64 v[84:85], s[4:5], 1, v[0:1]
	s_cselect_b32 s4, s11, 0xe80
	s_ashr_i32 s5, s4, 31
	s_cmpk_lt_u32 s58, 0x3b01
	v_lshl_add_u64 v[86:87], s[4:5], 1, v[0:1]
	s_cselect_b32 s4, s11, 0xec0
	s_ashr_i32 s5, s4, 31
	s_cmpk_lt_u32 s58, 0x3c01
	v_lshl_add_u64 v[88:89], s[4:5], 1, v[0:1]
	s_cselect_b32 s4, s11, 0xf00
	s_ashr_i32 s5, s4, 31
	s_cmpk_lt_u32 s58, 0x3d01
	v_lshl_add_u64 v[90:91], s[4:5], 1, v[0:1]
	s_cselect_b32 s4, s11, 0xf40
	s_ashr_i32 s5, s4, 31
	s_cmpk_lt_u32 s58, 0x3e01
	v_lshl_add_u64 v[92:93], s[4:5], 1, v[0:1]
	s_cselect_b32 s4, s11, 0xf80
	s_ashr_i32 s5, s4, 31
	v_lshl_add_u64 v[94:95], s[4:5], 1, v[0:1]
	s_movk_i32 s4, 0x1000
	s_cmpk_lt_u32 s58, 0x3f01
	v_add_co_u32_e32 v96, vcc, s4, v0
	s_cselect_b32 s4, s11, 0xfc0
	s_nop 0
	v_addc_co_u32_e32 v97, vcc, 0, v1, vcc
	s_ashr_i32 s5, s4, 31
	global_load_ushort v98, v[96:97], off
	global_load_ushort v99, v[4:5], off
	;; [unrolled: 1-line block ×15, first 2 shown]
                                        ; kill: killed $vgpr4_vgpr5
                                        ; kill: killed $vgpr58_vgpr59
                                        ; kill: killed $vgpr10_vgpr11
                                        ; kill: killed $vgpr48_vgpr49
                                        ; kill: killed $vgpr54_vgpr55
                                        ; kill: killed $vgpr6_vgpr7
                                        ; kill: killed $vgpr60_vgpr61
                                        ; kill: killed $vgpr12_vgpr13
                                        ; kill: killed $vgpr50_vgpr51
                                        ; kill: killed $vgpr56_vgpr57
                                        ; kill: killed $vgpr8_vgpr9
                                        ; kill: killed $vgpr62_vgpr63
                                        ; kill: killed $vgpr14_vgpr15
                                        ; kill: killed $vgpr96 killed $vgpr97
                                        ; kill: killed $vgpr52_vgpr53
	global_load_ushort v6, v[64:65], off
	global_load_ushort v7, v[66:67], off
	global_load_ushort v8, v[68:69], off
	global_load_ushort v9, v[70:71], off
	global_load_ushort v10, v[72:73], off
	global_load_ushort v11, v[82:83], off
	global_load_ushort v13, v[80:81], off
	global_load_ushort v12, v[78:79], off
	global_load_ushort v15, v[76:77], off
	global_load_ushort v14, v[74:75], off
	global_load_ushort v96, v[84:85], off
	global_load_ushort v97, v[94:95], off
	global_load_ushort v113, v[92:93], off
	global_load_ushort v114, v[90:91], off
	global_load_ushort v115, v[88:89], off
                                        ; kill: killed $vgpr68_vgpr69
                                        ; kill: killed $vgpr90_vgpr91
                                        ; kill: killed $vgpr74_vgpr75
                                        ; kill: killed $vgpr80_vgpr81
                                        ; kill: killed $vgpr64_vgpr65
                                        ; kill: killed $vgpr70_vgpr71
                                        ; kill: killed $vgpr92_vgpr93
                                        ; kill: killed $vgpr76_vgpr77
                                        ; kill: killed $vgpr82_vgpr83
                                        ; kill: killed $vgpr66_vgpr67
                                        ; kill: killed $vgpr88_vgpr89
                                        ; kill: killed $vgpr72_vgpr73
                                        ; kill: killed $vgpr94_vgpr95
                                        ; kill: killed $vgpr78_vgpr79
                                        ; kill: killed $vgpr84_vgpr85
	global_load_ushort v68, v[86:87], off
	v_lshl_add_u64 v[4:5], s[4:5], 1, v[0:1]
	global_load_ushort v5, v[4:5], off
	s_waitcnt vmcnt(31)
	v_lshlrev_b32_e32 v67, 16, v98
	s_waitcnt vmcnt(30)
	v_lshlrev_b32_e32 v65, 16, v99
	;; [unrolled: 2-line block ×32, first 2 shown]
.LBB474_12:
	s_load_dwordx2 s[4:5], s[0:1], 0x0
	s_load_dwordx2 s[6:7], s[0:1], 0x38
	ds_read_b128 v[68:71], v3
	s_waitcnt vmcnt(15)
	v_lshlrev_b32_e32 v23, 16, v23
	ds_read_b128 v[72:75], v3 offset:16
	ds_read_b128 v[76:79], v3 offset:32
	;; [unrolled: 1-line block ×3, first 2 shown]
	s_waitcnt vmcnt(14)
	v_lshlrev_b32_e32 v22, 16, v22
	s_waitcnt vmcnt(13)
	v_lshlrev_b32_e32 v21, 16, v21
	s_waitcnt lgkmcnt(0)
	v_fma_f32 v23, v68, v23, 0
	v_fmac_f32_e32 v23, v69, v22
	v_fmac_f32_e32 v23, v70, v21
	s_waitcnt vmcnt(12)
	v_lshlrev_b32_e32 v20, 16, v20
	s_waitcnt vmcnt(10)
	v_lshlrev_b32_e32 v19, 16, v19
	v_lshlrev_b32_e32 v18, 16, v18
	v_fmac_f32_e32 v23, v71, v20
	v_pk_mul_f32 v[18:19], v[72:73], v[18:19]
	s_waitcnt vmcnt(8)
	v_lshlrev_b32_e32 v17, 16, v17
	v_add_f32_e32 v18, v23, v18
	v_lshlrev_b32_e32 v16, 16, v16
	v_add_f32_e32 v18, v18, v19
	v_pk_mul_f32 v[16:17], v[74:75], v[16:17]
	s_and_b64 vcc, exec, s[8:9]
	v_add_f32_e32 v16, v18, v16
	v_add_f32_e32 v18, v16, v17
	s_waitcnt vmcnt(6)
	v_lshlrev_b32_e32 v17, 16, v31
	v_lshlrev_b32_e32 v16, 16, v30
	v_pk_mul_f32 v[16:17], v[76:77], v[16:17]
	s_nop 0
	v_add_f32_e32 v16, v18, v16
	v_add_f32_e32 v18, v16, v17
	s_waitcnt vmcnt(4)
	v_lshlrev_b32_e32 v17, 16, v29
	v_lshlrev_b32_e32 v16, 16, v28
	v_pk_mul_f32 v[16:17], v[78:79], v[16:17]
	s_nop 0
	;; [unrolled: 7-line block ×4, first 2 shown]
	v_add_f32_e32 v16, v18, v16
	v_add_f32_e32 v110, v16, v17
	s_cbranch_vccz .LBB474_15
; %bb.13:
	ds_read_b128 v[16:19], v3 offset:64
	v_lshlrev_b32_e32 v39, 16, v39
	ds_read_b128 v[20:23], v3 offset:80
	ds_read_b128 v[24:27], v3 offset:96
	;; [unrolled: 1-line block ×3, first 2 shown]
	v_lshlrev_b32_e32 v3, 16, v38
	s_cmpk_lt_u32 s58, 0x2001
	s_waitcnt lgkmcnt(3)
	v_fmac_f32_e32 v110, v16, v39
	v_fmac_f32_e32 v110, v17, v3
	v_lshlrev_b32_e32 v3, 16, v37
	v_fmac_f32_e32 v110, v18, v3
	v_lshlrev_b32_e32 v3, 16, v36
	v_fmac_f32_e32 v110, v19, v3
	v_lshlrev_b32_e32 v3, 16, v35
	s_waitcnt lgkmcnt(2)
	v_fmac_f32_e32 v110, v20, v3
	v_lshlrev_b32_e32 v3, 16, v34
	v_fmac_f32_e32 v110, v21, v3
	v_lshlrev_b32_e32 v3, 16, v33
	v_fmac_f32_e32 v110, v22, v3
	v_lshlrev_b32_e32 v3, 16, v32
	v_fmac_f32_e32 v110, v23, v3
	v_lshlrev_b32_e32 v3, 16, v47
	s_waitcnt lgkmcnt(1)
	v_fmac_f32_e32 v110, v24, v3
	v_lshlrev_b32_e32 v3, 16, v46
	;; [unrolled: 9-line block ×3, first 2 shown]
	v_fmac_f32_e32 v110, v29, v3
	v_lshlrev_b32_e32 v3, 16, v41
	v_fmac_f32_e32 v110, v30, v3
	v_lshlrev_b32_e32 v3, 16, v40
	v_fmac_f32_e32 v110, v31, v3
	s_cbranch_scc1 .LBB474_15
; %bb.14:
	v_mov_b32_e32 v3, 0
	ds_read_b128 v[16:19], v3 offset:128
	ds_read_b128 v[20:23], v3 offset:144
	;; [unrolled: 1-line block ×4, first 2 shown]
	s_waitcnt lgkmcnt(3)
	v_fmac_f32_e32 v110, v16, v67
	v_fmac_f32_e32 v110, v17, v65
	v_fmac_f32_e32 v110, v18, v66
	v_fmac_f32_e32 v110, v19, v63
	s_waitcnt lgkmcnt(2)
	v_fmac_f32_e32 v110, v20, v64
	v_fmac_f32_e32 v110, v21, v61
	v_fmac_f32_e32 v110, v22, v62
	v_fmac_f32_e32 v110, v23, v59
	;; [unrolled: 5-line block ×3, first 2 shown]
	ds_read_b128 v[16:19], v3 offset:192
	ds_read_b128 v[20:23], v3 offset:208
	s_waitcnt lgkmcnt(2)
	v_fmac_f32_e32 v110, v28, v56
	v_fmac_f32_e32 v110, v29, v53
	;; [unrolled: 1-line block ×4, first 2 shown]
	s_waitcnt lgkmcnt(1)
	v_fmac_f32_e32 v110, v16, v51
	v_fmac_f32_e32 v110, v17, v49
	;; [unrolled: 1-line block ×4, first 2 shown]
	s_waitcnt lgkmcnt(0)
	v_pk_mul_f32 v[14:15], v[20:21], v[14:15]
	v_pk_mul_f32 v[12:13], v[22:23], v[12:13]
	v_add_f32_e32 v14, v110, v14
	v_add_f32_e32 v18, v14, v15
	ds_read_b128 v[14:17], v3 offset:224
	v_add_f32_e32 v12, v18, v12
	ds_read_b128 v[18:21], v3 offset:240
	v_add_f32_e32 v12, v12, v13
	s_waitcnt lgkmcnt(1)
	v_pk_mul_f32 v[10:11], v[14:15], v[10:11]
	s_nop 0
	v_add_f32_e32 v3, v12, v10
	v_add_f32_e32 v3, v3, v11
	v_pk_mul_f32 v[8:9], v[16:17], v[8:9]
	s_waitcnt lgkmcnt(0)
	v_pk_mul_f32 v[6:7], v[18:19], v[6:7]
	v_add_f32_e32 v3, v3, v8
	v_add_f32_e32 v3, v3, v9
	;; [unrolled: 1-line block ×4, first 2 shown]
	v_pk_mul_f32 v[4:5], v[20:21], v[4:5]
	s_nop 0
	v_add_f32_e32 v3, v3, v4
	v_add_f32_e32 v110, v3, v5
.LBB474_15:
	s_movk_i32 s0, 0x1fc0
	s_movk_i32 s1, 0x100
	s_mov_b32 s8, 64
	s_branch .LBB474_17
.LBB474_16:                             ;   in Loop: Header=BB474_17 Depth=1
	s_addk_i32 s0, 0x1000
	s_addk_i32 s1, 0x100
	s_add_i32 s8, s8, 64
	s_cmpk_eq_u32 s0, 0xffc0
	s_cbranch_scc1 .LBB474_19
.LBB474_17:                             ; =>This Inner Loop Header: Depth=1
	s_cmp_le_i32 s33, s8
	s_cbranch_scc1 .LBB474_16
; %bb.18:                               ;   in Loop: Header=BB474_17 Depth=1
	s_add_i32 s9, s0, 0xfffff040
	s_cmp_lt_i32 s9, s10
	s_cselect_b32 s12, s9, s11
	s_ashr_i32 s13, s12, 31
	s_add_i32 s9, s0, 0xfffff080
	s_cmp_lt_i32 s9, s10
	v_lshl_add_u64 v[44:45], s[12:13], 1, v[0:1]
	s_cselect_b32 s12, s9, s11
	s_ashr_i32 s13, s12, 31
	s_add_i32 s9, s0, 0xfffff0c0
	s_cmp_lt_i32 s9, s10
	v_lshl_add_u64 v[4:5], s[12:13], 1, v[0:1]
	;; [unrolled: 5-line block ×14, first 2 shown]
	s_cselect_b32 s12, s9, s11
	s_ashr_i32 s13, s12, 31
	s_add_i32 s9, s0, 0xfffff400
	s_cmp_lt_i32 s9, s10
	global_load_ushort v3, v[44:45], off
	global_load_ushort v120, v[46:47], off
	v_lshl_add_u64 v[60:61], s[12:13], 1, v[0:1]
	s_cselect_b32 s12, s9, s11
	global_load_ushort v111, v[4:5], off
	global_load_ushort v112, v[6:7], off
	;; [unrolled: 1-line block ×7, first 2 shown]
	s_ashr_i32 s13, s12, 31
	s_add_i32 s9, s0, 0xfffff440
	s_cmp_lt_i32 s9, s10
	v_lshl_add_u64 v[66:67], s[12:13], 1, v[0:1]
	s_cselect_b32 s12, s9, s11
	s_ashr_i32 s13, s12, 31
	s_add_i32 s9, s0, 0xfffff480
	s_cmp_lt_i32 s9, s10
	v_lshl_add_u64 v[62:63], s[12:13], 1, v[0:1]
	s_cselect_b32 s12, s9, s11
	;; [unrolled: 5-line block ×14, first 2 shown]
	s_ashr_i32 s13, s12, 31
	s_add_i32 s9, s0, 0xfffff7c0
	global_load_ushort v118, v[28:29], off
	global_load_ushort v119, v[30:31], off
	s_cmp_lt_i32 s9, s10
	v_lshl_add_u64 v[26:27], s[12:13], 1, v[0:1]
	s_cselect_b32 s12, s9, s11
	s_ashr_i32 s13, s12, 31
	s_add_i32 s9, s0, 0xfffff800
	s_cmp_lt_i32 s9, s10
	v_lshl_add_u64 v[52:53], s[12:13], 1, v[0:1]
	s_cselect_b32 s12, s9, s11
	global_load_ushort v121, v[54:55], off
	global_load_ushort v122, v[56:57], off
	s_ashr_i32 s13, s12, 31
	global_load_ushort v58, v[58:59], off
	s_add_i32 s9, s0, 0xfffff840
	s_cmp_lt_i32 s9, s10
	v_lshl_add_u64 v[64:65], s[12:13], 1, v[0:1]
	s_cselect_b32 s12, s9, s11
	global_load_ushort v59, v[60:61], off
	s_ashr_i32 s13, s12, 31
	s_add_i32 s9, s0, 0xfffff880
	global_load_ushort v60, v[66:67], off
	global_load_ushort v61, v[62:63], off
	s_cmp_lt_i32 s9, s10
	v_lshl_add_u64 v[68:69], s[12:13], 1, v[0:1]
	s_cselect_b32 s12, s9, s11
	s_ashr_i32 s13, s12, 31
	s_add_i32 s9, s0, 0xfffff8c0
	s_cmp_lt_i32 s9, s10
	v_lshl_add_u64 v[70:71], s[12:13], 1, v[0:1]
	s_cselect_b32 s12, s9, s11
	s_ashr_i32 s13, s12, 31
	s_add_i32 s9, s0, 0xfffff900
	;; [unrolled: 5-line block ×3, first 2 shown]
	s_cmp_lt_i32 s9, s10
	v_lshl_add_u64 v[74:75], s[12:13], 1, v[0:1]
	s_cselect_b32 s12, s9, s11
	global_load_ushort v62, v[22:23], off
	s_ashr_i32 s13, s12, 31
	s_add_i32 s9, s0, 0xfffff980
	global_load_ushort v66, v[32:33], off
	global_load_ushort v123, v[34:35], off
	;; [unrolled: 1-line block ×4, first 2 shown]
	s_cmp_lt_i32 s9, s10
	v_lshl_add_u64 v[76:77], s[12:13], 1, v[0:1]
	s_cselect_b32 s12, s9, s11
	global_load_ushort v67, v[48:49], off
	s_ashr_i32 s13, s12, 31
	s_add_i32 s9, s0, 0xfffff9c0
	s_cmp_lt_i32 s9, s10
	v_lshl_add_u64 v[78:79], s[12:13], 1, v[0:1]
	s_cselect_b32 s12, s9, s11
	s_ashr_i32 s13, s12, 31
	s_add_i32 s9, s0, 0xfffffa00
	s_cmp_lt_i32 s9, s10
	v_lshl_add_u64 v[80:81], s[12:13], 1, v[0:1]
	s_cselect_b32 s12, s9, s11
	s_ashr_i32 s13, s12, 31
	s_add_i32 s9, s0, 0xfffffa40
	s_cmp_lt_i32 s9, s10
	v_mov_b32_e32 v124, s1
	v_lshl_add_u64 v[82:83], s[12:13], 1, v[0:1]
	s_cselect_b32 s12, s9, s11
	ds_read_b128 v[30:33], v124
	ds_read_b128 v[34:37], v124 offset:16
	global_load_ushort v50, v[50:51], off
	s_ashr_i32 s13, s12, 31
	s_add_i32 s9, s0, 0xfffffa80
	s_cmp_lt_i32 s9, s10
	v_lshl_add_u64 v[84:85], s[12:13], 1, v[0:1]
	s_cselect_b32 s12, s9, s11
	ds_read_b128 v[46:49], v124 offset:32
	ds_read_b128 v[54:57], v124 offset:48
	global_load_ushort v38, v[38:39], off
	s_ashr_i32 s13, s12, 31
	s_waitcnt vmcnt(24)
	v_lshlrev_b32_e32 v3, 16, v3
	v_lshl_add_u64 v[86:87], s[12:13], 1, v[0:1]
	global_load_ushort v51, v[86:87], off
	s_waitcnt lgkmcnt(3)
	v_fmac_f32_e32 v110, v30, v3
	s_waitcnt vmcnt(23)
	v_lshlrev_b32_e32 v3, 16, v111
	v_fmac_f32_e32 v110, v31, v3
	s_waitcnt vmcnt(22)
	v_lshlrev_b32_e32 v3, 16, v112
	global_load_ushort v39, v[18:19], off
	v_fmac_f32_e32 v110, v32, v3
	s_waitcnt vmcnt(22)
	v_lshlrev_b32_e32 v3, 16, v113
	v_fmac_f32_e32 v110, v33, v3
	s_waitcnt vmcnt(21)
	v_lshlrev_b32_e32 v3, 16, v114
	s_waitcnt lgkmcnt(2)
	v_fmac_f32_e32 v110, v34, v3
	global_load_ushort v3, v[20:21], off
	global_load_ushort v34, v[40:41], off
	s_add_i32 s9, s0, 0xfffffac0
	global_load_ushort v26, v[26:27], off
	s_waitcnt vmcnt(23)
	v_lshlrev_b32_e32 v18, 16, v115
	v_fmac_f32_e32 v110, v35, v18
	global_load_ushort v35, v[42:43], off
	global_load_ushort v27, v[52:53], off
	s_cmp_lt_i32 s9, s10
	s_cselect_b32 s12, s9, s11
	s_ashr_i32 s13, s12, 31
	s_add_i32 s9, s0, 0xfffffb00
	s_cmp_lt_i32 s9, s10
	v_lshl_add_u64 v[88:89], s[12:13], 1, v[0:1]
	s_cselect_b32 s12, s9, s11
	s_ashr_i32 s13, s12, 31
	s_add_i32 s9, s0, 0xfffffb40
	s_cmp_lt_i32 s9, s10
	v_lshl_add_u64 v[90:91], s[12:13], 1, v[0:1]
	;; [unrolled: 5-line block ×6, first 2 shown]
	s_cselect_b32 s12, s9, s11
	s_ashr_i32 s13, s12, 31
	s_add_i32 s9, s0, 0xfffffc80
	s_waitcnt vmcnt(24)
	v_lshlrev_b32_e32 v18, 16, v116
	s_cmp_lt_i32 s9, s10
	v_fmac_f32_e32 v110, v36, v18
	global_load_ushort v36, v[64:65], off
	s_waitcnt vmcnt(24)
	v_lshlrev_b32_e32 v18, 16, v117
	v_lshl_add_u64 v[102:103], s[12:13], 1, v[0:1]
	s_cselect_b32 s12, s9, s11
	v_fmac_f32_e32 v110, v37, v18
	global_load_ushort v37, v[68:69], off
	global_load_ushort v40, v[70:71], off
	;; [unrolled: 1-line block ×3, first 2 shown]
	s_waitcnt vmcnt(26)
	v_lshlrev_b32_e32 v18, 16, v118
	s_ashr_i32 s13, s12, 31
	s_add_i32 s9, s0, 0xfffffcc0
	s_waitcnt lgkmcnt(1)
	v_fmac_f32_e32 v110, v46, v18
	global_load_ushort v46, v[78:79], off
	s_waitcnt vmcnt(26)
	v_lshlrev_b32_e32 v18, 16, v119
	s_cmp_lt_i32 s9, s10
	v_fmac_f32_e32 v110, v47, v18
	v_lshlrev_b32_e32 v18, 16, v120
	v_lshl_add_u64 v[104:105], s[12:13], 1, v[0:1]
	s_cselect_b32 s12, s9, s11
	v_fmac_f32_e32 v110, v48, v18
	global_load_ushort v48, v[82:83], off
	global_load_ushort v42, v[74:75], off
	;; [unrolled: 1-line block ×4, first 2 shown]
	s_ashr_i32 s13, s12, 31
	s_add_i32 s9, s0, 0xfffffd00
	s_cmp_lt_i32 s9, s10
	s_waitcnt vmcnt(29)
	v_lshlrev_b32_e32 v18, 16, v121
	v_lshl_add_u64 v[106:107], s[12:13], 1, v[0:1]
	s_cselect_b32 s12, s9, s11
	v_fmac_f32_e32 v110, v49, v18
	global_load_ushort v49, v[84:85], off
	global_load_ushort v53, v[88:89], off
	s_waitcnt vmcnt(30)
	v_lshlrev_b32_e32 v18, 16, v122
	s_ashr_i32 s13, s12, 31
	s_add_i32 s9, s0, 0xfffffd40
	s_waitcnt lgkmcnt(0)
	v_fmac_f32_e32 v110, v54, v18
	global_load_ushort v54, v[90:91], off
	s_waitcnt vmcnt(30)
	v_lshlrev_b32_e32 v18, 16, v58
	s_cmp_lt_i32 s9, s10
	v_fmac_f32_e32 v110, v55, v18
	s_waitcnt vmcnt(29)
	v_lshlrev_b32_e32 v18, 16, v59
	v_lshl_add_u64 v[98:99], s[12:13], 1, v[0:1]
	s_cselect_b32 s12, s9, s11
	v_fmac_f32_e32 v110, v56, v18
	s_waitcnt vmcnt(28)
	v_lshlrev_b32_e32 v18, 16, v60
	s_ashr_i32 s13, s12, 31
	s_add_i32 s9, s0, 0xfffffd80
	v_fmac_f32_e32 v110, v57, v18
	ds_read_b128 v[18:21], v124 offset:64
	ds_read_b128 v[30:33], v124 offset:80
	s_cmp_lt_i32 s9, s10
	v_lshl_add_u64 v[44:45], s[12:13], 1, v[0:1]
	s_cselect_b32 s12, s9, s11
	s_ashr_i32 s13, s12, 31
	s_add_i32 s9, s0, 0xfffffdc0
	s_cmp_lt_i32 s9, s10
	s_waitcnt vmcnt(27)
	v_lshlrev_b32_e32 v52, 16, v61
	v_lshl_add_u64 v[108:109], s[12:13], 1, v[0:1]
	s_cselect_b32 s12, s9, s11
	s_waitcnt lgkmcnt(1)
	v_fmac_f32_e32 v110, v18, v52
	global_load_ushort v52, v[92:93], off
	global_load_ushort v55, v[94:95], off
	s_ashr_i32 s13, s12, 31
	s_add_i32 s9, s0, 0xfffffe00
	s_cmp_lt_i32 s9, s10
	global_load_ushort v56, v[96:97], off
	global_load_ushort v57, v[100:101], off
	;; [unrolled: 1-line block ×4, first 2 shown]
	v_lshl_add_u64 v[4:5], s[12:13], 1, v[0:1]
	s_cselect_b32 s12, s9, s11
	s_ashr_i32 s13, s12, 31
	s_add_i32 s9, s0, 0xfffffe40
	s_cmp_lt_i32 s9, s10
	s_waitcnt vmcnt(32)
	v_lshlrev_b32_e32 v18, 16, v62
	v_lshl_add_u64 v[6:7], s[12:13], 1, v[0:1]
	s_cselect_b32 s12, s9, s11
	v_fmac_f32_e32 v110, v19, v18
	s_waitcnt vmcnt(28)
	v_lshlrev_b32_e32 v18, 16, v63
	s_ashr_i32 s13, s12, 31
	s_add_i32 s9, s0, 0xfffffe80
	v_fmac_f32_e32 v110, v20, v18
	v_lshlrev_b32_e32 v18, 16, v66
	s_cmp_lt_i32 s9, s10
	v_fmac_f32_e32 v110, v21, v18
	s_waitcnt vmcnt(27)
	v_lshlrev_b32_e32 v18, 16, v67
	v_lshl_add_u64 v[8:9], s[12:13], 1, v[0:1]
	s_cselect_b32 s12, s9, s11
	s_waitcnt lgkmcnt(0)
	v_fmac_f32_e32 v110, v30, v18
	global_load_ushort v30, v[106:107], off
	s_ashr_i32 s13, s12, 31
	s_add_i32 s9, s0, 0xfffffec0
	s_cmp_lt_i32 s9, s10
	global_load_ushort v60, v[98:99], off
	global_load_ushort v61, v[44:45], off
	global_load_ushort v62, v[108:109], off
	v_lshl_add_u64 v[12:13], s[12:13], 1, v[0:1]
	s_cselect_b32 s12, s9, s11
	v_lshlrev_b32_e32 v18, 16, v123
	s_ashr_i32 s13, s12, 31
	s_add_i32 s9, s0, 0xffffff00
	v_fmac_f32_e32 v110, v31, v18
	v_lshlrev_b32_e32 v18, 16, v125
	s_cmp_lt_i32 s9, s10
	v_fmac_f32_e32 v110, v32, v18
	global_load_ushort v31, v[4:5], off
	global_load_ushort v32, v[6:7], off
	v_lshl_add_u64 v[10:11], s[12:13], 1, v[0:1]
	s_cselect_b32 s12, s9, s11
	s_ashr_i32 s13, s12, 31
	s_add_i32 s9, s0, 0xffffff40
	s_cmp_lt_i32 s9, s10
	s_waitcnt vmcnt(32)
	v_lshlrev_b32_e32 v4, 16, v50
	v_lshl_add_u64 v[16:17], s[12:13], 1, v[0:1]
	s_cselect_b32 s12, s9, s11
	v_fmac_f32_e32 v110, v33, v4
	ds_read_b128 v[4:7], v124 offset:96
	s_ashr_i32 s13, s12, 31
	s_add_i32 s9, s0, 0xffffff80
	s_cmp_lt_i32 s9, s10
	s_waitcnt vmcnt(31)
	v_lshlrev_b32_e32 v33, 16, v38
	global_load_ushort v38, v[8:9], off
	global_load_ushort v44, v[12:13], off
	v_lshl_add_u64 v[14:15], s[12:13], 1, v[0:1]
	s_cselect_b32 s12, s9, s11
	s_ashr_i32 s13, s12, 31
	s_sub_i32 s9, s0, 64
	s_cmp_lt_i32 s9, s10
	ds_read_b128 v[18:21], v124 offset:112
	s_waitcnt lgkmcnt(1)
	v_fmac_f32_e32 v110, v4, v33
	s_waitcnt vmcnt(31)
	v_lshlrev_b32_e32 v4, 16, v39
	global_load_ushort v33, v[10:11], off
	global_load_ushort v39, v[16:17], off
	v_lshl_add_u64 v[28:29], s[12:13], 1, v[0:1]
	s_cselect_b32 s12, s9, s11
	s_ashr_i32 s13, s12, 31
	s_cmp_lt_i32 s0, s10
	v_fmac_f32_e32 v110, v5, v4
	s_waitcnt vmcnt(32)
	v_lshlrev_b32_e32 v3, 16, v3
	global_load_ushort v16, v[14:15], off
	global_load_ushort v17, v[28:29], off
	v_lshl_add_u64 v[22:23], s[12:13], 1, v[0:1]
	s_cselect_b32 s12, s0, s11
	v_fmac_f32_e32 v110, v6, v3
	s_waitcnt vmcnt(33)
	v_lshlrev_b32_e32 v3, 16, v34
	s_ashr_i32 s13, s12, 31
	v_fmac_f32_e32 v110, v7, v3
	s_waitcnt vmcnt(31)
	v_lshlrev_b32_e32 v3, 16, v35
	v_lshl_add_u64 v[24:25], s[12:13], 1, v[0:1]
	s_waitcnt lgkmcnt(0)
	v_fmac_f32_e32 v110, v18, v3
	global_load_ushort v3, v[22:23], off
	global_load_ushort v14, v[24:25], off
	v_lshlrev_b32_e32 v4, 16, v26
	v_fmac_f32_e32 v110, v19, v4
	s_waitcnt vmcnt(32)
	v_lshlrev_b32_e32 v4, 16, v27
	v_fmac_f32_e32 v110, v20, v4
	ds_read_b128 v[4:7], v124 offset:128
	s_waitcnt vmcnt(31)
	v_lshlrev_b32_e32 v8, 16, v36
	v_fmac_f32_e32 v110, v21, v8
	ds_read_b128 v[8:11], v124 offset:144
	s_waitcnt vmcnt(30)
	v_lshlrev_b32_e32 v12, 16, v37
	s_waitcnt lgkmcnt(1)
	v_fmac_f32_e32 v110, v4, v12
	s_waitcnt vmcnt(29)
	v_lshlrev_b32_e32 v4, 16, v40
	v_fmac_f32_e32 v110, v5, v4
	s_waitcnt vmcnt(28)
	v_lshlrev_b32_e32 v4, 16, v41
	;; [unrolled: 3-line block ×4, first 2 shown]
	s_waitcnt lgkmcnt(0)
	v_fmac_f32_e32 v110, v8, v4
	v_lshlrev_b32_e32 v4, 16, v46
	v_fmac_f32_e32 v110, v9, v4
	s_waitcnt vmcnt(23)
	v_lshlrev_b32_e32 v4, 16, v47
	v_fmac_f32_e32 v110, v10, v4
	ds_read_b128 v[4:7], v124 offset:160
	v_lshlrev_b32_e32 v8, 16, v48
	v_fmac_f32_e32 v110, v11, v8
	ds_read_b128 v[8:11], v124 offset:176
	s_waitcnt vmcnt(22)
	v_lshlrev_b32_e32 v12, 16, v49
	s_waitcnt lgkmcnt(1)
	v_fmac_f32_e32 v110, v4, v12
	v_lshlrev_b32_e32 v4, 16, v51
	v_fmac_f32_e32 v110, v5, v4
	s_waitcnt vmcnt(21)
	v_lshlrev_b32_e32 v4, 16, v53
	v_fmac_f32_e32 v110, v6, v4
	s_waitcnt vmcnt(20)
	;; [unrolled: 3-line block ×3, first 2 shown]
	v_lshlrev_b32_e32 v4, 16, v52
	s_waitcnt lgkmcnt(0)
	v_fmac_f32_e32 v110, v8, v4
	s_waitcnt vmcnt(18)
	v_lshlrev_b32_e32 v4, 16, v55
	v_fmac_f32_e32 v110, v9, v4
	s_waitcnt vmcnt(17)
	v_lshlrev_b32_e32 v4, 16, v56
	v_fmac_f32_e32 v110, v10, v4
	ds_read_b128 v[4:7], v124 offset:192
	s_waitcnt vmcnt(16)
	v_lshlrev_b32_e32 v8, 16, v57
	v_fmac_f32_e32 v110, v11, v8
	ds_read_b128 v[8:11], v124 offset:208
	s_waitcnt vmcnt(15)
	v_lshlrev_b32_e32 v12, 16, v58
	s_waitcnt lgkmcnt(1)
	v_fmac_f32_e32 v110, v4, v12
	s_waitcnt vmcnt(14)
	v_lshlrev_b32_e32 v4, 16, v59
	v_fmac_f32_e32 v110, v5, v4
	s_waitcnt vmcnt(13)
	v_lshlrev_b32_e32 v4, 16, v30
	;; [unrolled: 3-line block ×4, first 2 shown]
	v_lshlrev_b32_e32 v4, 16, v61
	s_waitcnt lgkmcnt(0)
	v_pk_mul_f32 v[4:5], v[8:9], v[4:5]
	s_waitcnt vmcnt(6)
	v_lshlrev_b32_e32 v13, 16, v44
	v_add_f32_e32 v4, v110, v4
	v_add_f32_e32 v6, v4, v5
	v_lshlrev_b32_e32 v5, 16, v32
	v_lshlrev_b32_e32 v4, 16, v31
	v_pk_mul_f32 v[8:9], v[10:11], v[4:5]
	v_lshlrev_b32_e32 v12, 16, v38
	v_add_f32_e32 v8, v6, v8
	ds_read_b128 v[4:7], v124 offset:224
	v_add_f32_e32 v15, v8, v9
	ds_read_b128 v[8:11], v124 offset:240
	s_waitcnt lgkmcnt(1)
	v_pk_mul_f32 v[4:5], v[4:5], v[12:13]
	s_nop 0
	v_add_f32_e32 v4, v15, v4
	v_add_f32_e32 v12, v4, v5
	s_waitcnt vmcnt(4)
	v_lshlrev_b32_e32 v5, 16, v39
	v_lshlrev_b32_e32 v4, 16, v33
	v_pk_mul_f32 v[4:5], v[6:7], v[4:5]
	s_nop 0
	v_add_f32_e32 v4, v12, v4
	v_add_f32_e32 v6, v4, v5
	s_waitcnt vmcnt(2)
	v_lshlrev_b32_e32 v5, 16, v17
	v_lshlrev_b32_e32 v4, 16, v16
	s_waitcnt lgkmcnt(0)
	v_pk_mul_f32 v[4:5], v[8:9], v[4:5]
	s_nop 0
	v_add_f32_e32 v4, v6, v4
	v_add_f32_e32 v6, v4, v5
	s_waitcnt vmcnt(0)
	v_lshlrev_b32_e32 v5, 16, v14
	v_lshlrev_b32_e32 v4, 16, v3
	v_pk_mul_f32 v[4:5], v[10:11], v[4:5]
	s_nop 0
	v_add_f32_e32 v3, v6, v4
	v_add_f32_e32 v110, v3, v5
	s_branch .LBB474_16
.LBB474_19:
	v_mov_b32_e32 v0, 0
	ds_read_b32 v0, v0 offset:3840
	s_cmp_lg_u64 s[6:7], 0
	s_cbranch_scc0 .LBB474_28
; %bb.20:
	s_load_dword s6, s[6:7], 0x0
	s_waitcnt lgkmcnt(0)
	v_div_scale_f32 v1, s[0:1], s6, s6, 1.0
	v_rcp_f32_e32 v3, v1
	v_div_scale_f32 v4, vcc, 1.0, s6, 1.0
	v_fma_f32 v5, -v1, v3, 1.0
	v_fmac_f32_e32 v3, v5, v3
	v_mul_f32_e32 v5, v4, v3
	v_fma_f32 v6, -v1, v5, v4
	v_fmac_f32_e32 v5, v6, v3
	v_fma_f32 v1, -v1, v5, v4
	v_div_fmas_f32 v1, v1, v3, v5
	v_div_fixup_f32 v1, v1, s6, 1.0
	s_andn2_b64 vcc, exec, s[48:49]
	s_cbranch_vccnz .LBB474_22
.LBB474_21:
	s_add_u32 s0, s46, s50
	s_addc_u32 s1, s47, s51
	s_load_dword s44, s[0:1], 0x0
	s_mov_b32 s45, 0
.LBB474_22:
	s_waitcnt lgkmcnt(0)
	v_add_f32_e32 v0, 0x358637bd, v0
	v_div_scale_f32 v3, s[0:1], v0, v0, 1.0
	v_rcp_f32_e32 v4, v3
	v_div_scale_f32 v5, vcc, 1.0, v0, 1.0
	s_mov_b32 s0, 0x7f800000
	v_fma_f32 v6, -v3, v4, 1.0
	v_fmac_f32_e32 v4, v6, v4
	v_mul_f32_e32 v6, v5, v4
	v_fma_f32 v7, -v3, v6, v5
	v_fmac_f32_e32 v6, v7, v4
	v_fma_f32 v3, -v3, v6, v5
	v_div_fmas_f32 v3, v3, v4, v6
	v_div_fixup_f32 v0, v3, v0, 1.0
	v_mul_f32_e32 v0, v110, v0
	v_mul_f32_e32 v1, v0, v1
	v_and_b32_e32 v0, 0x7f800000, v1
	v_cmp_ne_u32_e32 vcc, s0, v0
                                        ; implicit-def: $vgpr0
	s_and_saveexec_b64 s[0:1], vcc
	s_xor_b64 s[0:1], exec, s[0:1]
; %bb.23:
	v_bfe_u32 v0, v1, 16, 1
	s_movk_i32 s6, 0x7fff
	v_add3_u32 v0, v1, v0, s6
                                        ; implicit-def: $vgpr1
; %bb.24:
	s_andn2_saveexec_b64 s[0:1], s[0:1]
; %bb.25:
	v_mov_b32_e32 v0, 0
	v_or_b32_e32 v3, 0x10000, v1
	v_cmp_eq_u32_sdwa vcc, v1, v0 src0_sel:WORD_0 src1_sel:DWORD
	s_nop 1
	v_cndmask_b32_e32 v0, v3, v1, vcc
; %bb.26:
	s_or_b64 exec, exec, s[0:1]
	s_mul_i32 s0, s3, s45
	s_mul_hi_u32 s1, s3, s44
	s_add_i32 s1, s1, s0
	s_mul_i32 s0, s3, s44
	s_lshl_b64 s[0:1], s[0:1], 7
	s_add_u32 s4, s4, s0
	s_mov_b32 s3, 0
	s_addc_u32 s5, s5, s1
	s_lshl_b64 s[0:1], s[2:3], 7
	s_add_u32 s0, s4, s0
	s_addc_u32 s1, s5, s1
	global_store_short_d16_hi v2, v0, s[0:1]
	s_endpgm
.LBB474_27:
	s_mov_b64 s[6:7], 0
	s_branch .LBB474_2
.LBB474_28:
	v_mov_b32_e32 v1, 1.0
	s_andn2_b64 vcc, exec, s[48:49]
	s_cbranch_vccz .LBB474_21
	s_branch .LBB474_22
	.section	.rodata,"a",@progbits
	.p2align	6, 0x0
	.amdhsa_kernel _Z35paged_attention_ll4mi_reduce_kernelI14__hip_bfloat16S0_Li64ELi64ELi256ELi15EEvPT0_PKfS4_PKT_PKiS9_iS4_
		.amdhsa_group_segment_fixed_size 3844
		.amdhsa_private_segment_fixed_size 0
		.amdhsa_kernarg_size 320
		.amdhsa_user_sgpr_count 2
		.amdhsa_user_sgpr_dispatch_ptr 0
		.amdhsa_user_sgpr_queue_ptr 0
		.amdhsa_user_sgpr_kernarg_segment_ptr 1
		.amdhsa_user_sgpr_dispatch_id 0
		.amdhsa_user_sgpr_kernarg_preload_length 0
		.amdhsa_user_sgpr_kernarg_preload_offset 0
		.amdhsa_user_sgpr_private_segment_size 0
		.amdhsa_uses_dynamic_stack 0
		.amdhsa_enable_private_segment 0
		.amdhsa_system_sgpr_workgroup_id_x 1
		.amdhsa_system_sgpr_workgroup_id_y 1
		.amdhsa_system_sgpr_workgroup_id_z 0
		.amdhsa_system_sgpr_workgroup_info 0
		.amdhsa_system_vgpr_workitem_id 0
		.amdhsa_next_free_vgpr 126
		.amdhsa_next_free_sgpr 59
		.amdhsa_accum_offset 128
		.amdhsa_reserve_vcc 1
		.amdhsa_float_round_mode_32 0
		.amdhsa_float_round_mode_16_64 0
		.amdhsa_float_denorm_mode_32 3
		.amdhsa_float_denorm_mode_16_64 3
		.amdhsa_dx10_clamp 1
		.amdhsa_ieee_mode 1
		.amdhsa_fp16_overflow 0
		.amdhsa_tg_split 0
		.amdhsa_exception_fp_ieee_invalid_op 0
		.amdhsa_exception_fp_denorm_src 0
		.amdhsa_exception_fp_ieee_div_zero 0
		.amdhsa_exception_fp_ieee_overflow 0
		.amdhsa_exception_fp_ieee_underflow 0
		.amdhsa_exception_fp_ieee_inexact 0
		.amdhsa_exception_int_div_zero 0
	.end_amdhsa_kernel
	.section	.text._Z35paged_attention_ll4mi_reduce_kernelI14__hip_bfloat16S0_Li64ELi64ELi256ELi15EEvPT0_PKfS4_PKT_PKiS9_iS4_,"axG",@progbits,_Z35paged_attention_ll4mi_reduce_kernelI14__hip_bfloat16S0_Li64ELi64ELi256ELi15EEvPT0_PKfS4_PKT_PKiS9_iS4_,comdat
.Lfunc_end474:
	.size	_Z35paged_attention_ll4mi_reduce_kernelI14__hip_bfloat16S0_Li64ELi64ELi256ELi15EEvPT0_PKfS4_PKT_PKiS9_iS4_, .Lfunc_end474-_Z35paged_attention_ll4mi_reduce_kernelI14__hip_bfloat16S0_Li64ELi64ELi256ELi15EEvPT0_PKfS4_PKT_PKiS9_iS4_
                                        ; -- End function
	.section	.AMDGPU.csdata,"",@progbits
; Kernel info:
; codeLenInByte = 10756
; NumSgprs: 65
; NumVgprs: 126
; NumAgprs: 0
; TotalNumVgprs: 126
; ScratchSize: 0
; MemoryBound: 0
; FloatMode: 240
; IeeeMode: 1
; LDSByteSize: 3844 bytes/workgroup (compile time only)
; SGPRBlocks: 8
; VGPRBlocks: 15
; NumSGPRsForWavesPerEU: 65
; NumVGPRsForWavesPerEU: 126
; AccumOffset: 128
; Occupancy: 4
; WaveLimiterHint : 1
; COMPUTE_PGM_RSRC2:SCRATCH_EN: 0
; COMPUTE_PGM_RSRC2:USER_SGPR: 2
; COMPUTE_PGM_RSRC2:TRAP_HANDLER: 0
; COMPUTE_PGM_RSRC2:TGID_X_EN: 1
; COMPUTE_PGM_RSRC2:TGID_Y_EN: 1
; COMPUTE_PGM_RSRC2:TGID_Z_EN: 0
; COMPUTE_PGM_RSRC2:TIDIG_COMP_CNT: 0
; COMPUTE_PGM_RSRC3_GFX90A:ACCUM_OFFSET: 31
; COMPUTE_PGM_RSRC3_GFX90A:TG_SPLIT: 0
	.section	.text._Z35paged_attention_ll4mi_reduce_kernelI14__hip_bfloat16S0_Li64ELi64ELi256ELi16EEvPT0_PKfS4_PKT_PKiS9_iS4_,"axG",@progbits,_Z35paged_attention_ll4mi_reduce_kernelI14__hip_bfloat16S0_Li64ELi64ELi256ELi16EEvPT0_PKfS4_PKT_PKiS9_iS4_,comdat
	.protected	_Z35paged_attention_ll4mi_reduce_kernelI14__hip_bfloat16S0_Li64ELi64ELi256ELi16EEvPT0_PKfS4_PKT_PKiS9_iS4_ ; -- Begin function _Z35paged_attention_ll4mi_reduce_kernelI14__hip_bfloat16S0_Li64ELi64ELi256ELi16EEvPT0_PKfS4_PKT_PKiS9_iS4_
	.globl	_Z35paged_attention_ll4mi_reduce_kernelI14__hip_bfloat16S0_Li64ELi64ELi256ELi16EEvPT0_PKfS4_PKT_PKiS9_iS4_
	.p2align	8
	.type	_Z35paged_attention_ll4mi_reduce_kernelI14__hip_bfloat16S0_Li64ELi64ELi256ELi16EEvPT0_PKfS4_PKT_PKiS9_iS4_,@function
_Z35paged_attention_ll4mi_reduce_kernelI14__hip_bfloat16S0_Li64ELi64ELi256ELi16EEvPT0_PKfS4_PKT_PKiS9_iS4_: ; @_Z35paged_attention_ll4mi_reduce_kernelI14__hip_bfloat16S0_Li64ELi64ELi256ELi16EEvPT0_PKfS4_PKT_PKiS9_iS4_
; %bb.0:
	s_load_dwordx2 s[48:49], s[0:1], 0x28
	s_mov_b32 s38, s3
	s_mov_b64 s[4:5], 0
	s_waitcnt lgkmcnt(0)
	s_cmp_lg_u64 s[48:49], 0
	s_cselect_b64 s[50:51], -1, 0
	s_and_b64 vcc, exec, s[50:51]
	s_cbranch_vccz .LBB475_27
; %bb.1:
	s_add_i32 s6, s38, 1
	s_mov_b32 s7, 0
	s_lshl_b64 s[8:9], s[6:7], 2
	s_add_u32 s8, s48, s8
	s_mov_b32 s39, s7
	s_addc_u32 s9, s49, s9
	s_lshl_b64 s[6:7], s[38:39], 2
	s_add_u32 s6, s48, s6
	s_addc_u32 s7, s49, s7
	s_load_dword s3, s[8:9], 0x0
	s_load_dword s10, s[6:7], 0x0
	s_waitcnt lgkmcnt(0)
	s_sub_i32 s3, s3, s10
	s_cmp_eq_u32 s3, 1
	s_cselect_b64 s[6:7], -1, 0
	s_andn2_b64 vcc, exec, s[4:5]
	s_cbranch_vccnz .LBB475_3
.LBB475_2:
	s_mov_b32 s39, 0
	s_mov_b64 s[6:7], -1
.LBB475_3:
	s_andn2_b64 vcc, exec, s[6:7]
	s_cbranch_vccz .LBB475_5
; %bb.4:
	s_endpgm
.LBB475_5:
	s_load_dwordx4 s[40:43], s[0:1], 0x18
	s_load_dword s8, s[0:1], 0x30
	s_lshl_b64 s[52:53], s[38:39], 2
	v_cmp_lt_u32_e32 vcc, 63, v0
	s_waitcnt lgkmcnt(0)
	s_add_u32 s4, s42, s52
	s_addc_u32 s5, s43, s53
	s_load_dword s60, s[4:5], 0x0
	s_load_dword s3, s[0:1], 0x40
	s_mul_i32 s42, s2, s8
	s_mul_i32 s6, s38, s8
	s_waitcnt lgkmcnt(0)
	s_add_i32 s7, s60, 0xff
	s_ashr_i32 s4, s7, 31
	s_lshr_b32 s4, s4, 24
	s_add_i32 s7, s7, s4
	s_and_saveexec_b64 s[4:5], vcc
	s_xor_b64 s[4:5], exec, s[4:5]
	s_or_saveexec_b64 s[54:55], s[4:5]
	s_ashr_i32 s33, s7, 8
	v_mov_b32_e32 v1, s42
	s_mul_i32 s56, s6, s3
	s_xor_b64 exec, exec, s[54:55]
	s_cbranch_execz .LBB475_9
; %bb.6:
	s_add_i32 s4, s33, -1
	v_or_b32_e32 v3, 64, v0
	v_mov_b32_e32 v1, s4
	v_cmp_gt_u32_e64 s[30:31], s33, v3
	s_load_dwordx4 s[44:47], s[0:1], 0x8
	s_mov_b32 s57, 0
	v_cndmask_b32_e64 v4, v1, v3, s[30:31]
	v_or_b32_e32 v3, 0x80, v0
	v_cmp_gt_u32_e64 s[28:29], s33, v3
	s_lshl_b64 s[58:59], s[56:57], 2
	s_mov_b32 s43, s57
	v_cndmask_b32_e64 v6, v1, v3, s[28:29]
	v_or_b32_e32 v3, 0xc0, v0
	v_cmp_gt_u32_e64 s[26:27], s33, v3
	v_cmp_gt_u32_e64 s[34:35], s33, v0
	s_waitcnt lgkmcnt(0)
	s_add_u32 s36, s46, s58
	v_cndmask_b32_e64 v8, v1, v3, s[26:27]
	v_or_b32_e32 v3, 0x100, v0
	v_cmp_gt_u32_e64 s[24:25], s33, v3
	v_cndmask_b32_e64 v2, v1, v0, s[34:35]
	s_addc_u32 s37, s47, s59
	v_cndmask_b32_e64 v10, v1, v3, s[24:25]
	v_or_b32_e32 v3, 0x140, v0
	v_cmp_gt_u32_e64 s[22:23], s33, v3
	s_lshl_b64 s[46:47], s[42:43], 2
	s_add_u32 s36, s36, s46
	v_cndmask_b32_e64 v12, v1, v3, s[22:23]
	v_or_b32_e32 v3, 0x180, v0
	v_cmp_gt_u32_e64 s[20:21], s33, v3
	s_addc_u32 s37, s37, s47
	v_ashrrev_i32_e32 v5, 31, v4
	v_cndmask_b32_e64 v14, v1, v3, s[20:21]
	v_or_b32_e32 v3, 0x1c0, v0
	v_cmp_gt_u32_e64 s[16:17], s33, v3
	v_ashrrev_i32_e32 v7, 31, v6
	v_ashrrev_i32_e32 v9, 31, v8
	v_cndmask_b32_e64 v16, v1, v3, s[16:17]
	v_or_b32_e32 v3, 0x200, v0
	v_cmp_gt_u32_e64 s[12:13], s33, v3
	v_ashrrev_i32_e32 v11, 31, v10
	;; [unrolled: 5-line block ×3, first 2 shown]
	v_ashrrev_i32_e32 v17, 31, v16
	v_cndmask_b32_e64 v20, v1, v3, s[8:9]
	v_or_b32_e32 v3, 0x280, v0
	v_cmp_gt_u32_e64 s[6:7], s33, v3
	v_lshlrev_b64 v[4:5], 2, v[4:5]
	v_lshlrev_b64 v[6:7], 2, v[6:7]
	v_cndmask_b32_e64 v22, v1, v3, s[6:7]
	v_or_b32_e32 v3, 0x2c0, v0
	v_cmp_gt_u32_e64 s[18:19], s33, v3
	v_lshlrev_b64 v[8:9], 2, v[8:9]
	v_lshlrev_b64 v[10:11], 2, v[10:11]
	;; [unrolled: 5-line block ×3, first 2 shown]
	v_cndmask_b32_e64 v26, v1, v3, s[14:15]
	v_or_b32_e32 v3, 0x340, v0
	v_cmp_gt_u32_e64 s[10:11], s33, v3
	v_lshlrev_b64 v[16:17], 2, v[16:17]
	v_lshl_add_u64 v[36:37], s[36:37], 0, v[4:5]
	v_cndmask_b32_e64 v28, v1, v3, s[10:11]
	v_or_b32_e32 v3, 0x380, v0
	v_cmp_gt_u32_e64 s[4:5], s33, v3
	v_lshl_add_u64 v[38:39], s[36:37], 0, v[6:7]
	v_lshl_add_u64 v[40:41], s[36:37], 0, v[8:9]
	v_cndmask_b32_e64 v30, v1, v3, s[4:5]
	v_or_b32_e32 v3, 0x3c0, v0
	v_cmp_gt_u32_e32 vcc, s33, v3
	v_lshl_add_u64 v[42:43], s[36:37], 0, v[10:11]
	v_lshl_add_u64 v[44:45], s[36:37], 0, v[12:13]
	v_cndmask_b32_e32 v32, v1, v3, vcc
	v_ashrrev_i32_e32 v3, 31, v2
	v_lshlrev_b64 v[2:3], 2, v[2:3]
	v_lshl_add_u64 v[34:35], s[36:37], 0, v[2:3]
	v_lshl_add_u64 v[46:47], s[36:37], 0, v[14:15]
	;; [unrolled: 1-line block ×3, first 2 shown]
	global_load_dword v1, v[34:35], off
	global_load_dword v50, v[36:37], off
	;; [unrolled: 1-line block ×8, first 2 shown]
	v_ashrrev_i32_e32 v19, 31, v18
	v_ashrrev_i32_e32 v21, 31, v20
	;; [unrolled: 1-line block ×4, first 2 shown]
	v_lshlrev_b64 v[18:19], 2, v[18:19]
	v_lshlrev_b64 v[20:21], 2, v[20:21]
	;; [unrolled: 1-line block ×4, first 2 shown]
	v_ashrrev_i32_e32 v27, 31, v26
	v_ashrrev_i32_e32 v29, 31, v28
	;; [unrolled: 1-line block ×4, first 2 shown]
	v_lshl_add_u64 v[34:35], s[36:37], 0, v[18:19]
	v_lshl_add_u64 v[36:37], s[36:37], 0, v[20:21]
	;; [unrolled: 1-line block ×4, first 2 shown]
	v_lshlrev_b64 v[26:27], 2, v[26:27]
	v_lshlrev_b64 v[28:29], 2, v[28:29]
	;; [unrolled: 1-line block ×4, first 2 shown]
	v_lshl_add_u64 v[42:43], s[36:37], 0, v[26:27]
	v_lshl_add_u64 v[44:45], s[36:37], 0, v[28:29]
	;; [unrolled: 1-line block ×4, first 2 shown]
	global_load_dword v34, v[34:35], off
	s_nop 0
	global_load_dword v35, v[36:37], off
	s_nop 0
	global_load_dword v36, v[38:39], off
	global_load_dword v37, v[40:41], off
	s_nop 0
	global_load_dword v38, v[42:43], off
	global_load_dword v39, v[44:45], off
	;; [unrolled: 1-line block ×4, first 2 shown]
	s_mov_b32 s43, 0x3fb8aa3b
	s_waitcnt vmcnt(15)
	v_max_f32_e32 v43, v1, v1
	s_waitcnt vmcnt(14)
	v_max_f32_e32 v42, v50, v50
	v_max_f32_e32 v42, v43, v42
	s_waitcnt vmcnt(12)
	v_max3_f32 v42, v42, v51, v52
	v_mbcnt_lo_u32_b32 v43, -1, 0
	s_waitcnt vmcnt(10)
	v_max3_f32 v42, v42, v53, v54
	v_mbcnt_hi_u32_b32 v43, -1, v43
	s_waitcnt vmcnt(8)
	v_max3_f32 v42, v42, v55, v56
	v_and_b32_e32 v44, 64, v43
	v_add_u32_e32 v44, 64, v44
	v_xor_b32_e32 v45, 32, v43
	v_cmp_lt_i32_e64 s[36:37], v45, v44
	s_waitcnt vmcnt(6)
	v_max3_f32 v42, v42, v34, v35
	v_cndmask_b32_e64 v45, v43, v45, s[36:37]
	s_waitcnt vmcnt(4)
	v_max3_f32 v42, v42, v36, v37
	v_lshlrev_b32_e32 v45, 2, v45
	s_waitcnt vmcnt(2)
	v_max3_f32 v42, v42, v38, v39
	s_waitcnt vmcnt(0)
	v_max3_f32 v42, v42, v40, v41
	ds_bpermute_b32 v46, v45, v42
	s_waitcnt lgkmcnt(0)
	v_max_f32_e32 v46, v46, v46
	v_max_f32_e32 v42, v42, v46
	v_xor_b32_e32 v46, 16, v43
	v_cmp_lt_i32_e64 s[36:37], v46, v44
	s_nop 1
	v_cndmask_b32_e64 v46, v43, v46, s[36:37]
	v_lshlrev_b32_e32 v46, 2, v46
	ds_bpermute_b32 v47, v46, v42
	s_waitcnt lgkmcnt(0)
	v_max_f32_e32 v47, v47, v47
	v_max_f32_e32 v42, v42, v47
	v_xor_b32_e32 v47, 8, v43
	v_cmp_lt_i32_e64 s[36:37], v47, v44
	s_nop 1
	v_cndmask_b32_e64 v47, v43, v47, s[36:37]
	v_lshlrev_b32_e32 v47, 2, v47
	ds_bpermute_b32 v48, v47, v42
	s_waitcnt lgkmcnt(0)
	v_max_f32_e32 v48, v48, v48
	v_max_f32_e32 v42, v42, v48
	v_xor_b32_e32 v48, 4, v43
	v_cmp_lt_i32_e64 s[36:37], v48, v44
	s_nop 1
	v_cndmask_b32_e64 v48, v43, v48, s[36:37]
	s_add_u32 s36, s44, s58
	v_lshlrev_b32_e32 v48, 2, v48
	s_addc_u32 s37, s45, s59
	ds_bpermute_b32 v49, v48, v42
	s_add_u32 s44, s36, s46
	s_addc_u32 s45, s37, s47
	v_lshl_add_u64 v[2:3], s[44:45], 0, v[2:3]
	global_load_dword v57, v[2:3], off
	v_xor_b32_e32 v3, 2, v43
	v_cmp_lt_i32_e64 s[36:37], v3, v44
	s_waitcnt lgkmcnt(0)
	v_max_f32_e32 v2, v49, v49
	v_max_f32_e32 v2, v42, v2
	v_cndmask_b32_e64 v3, v43, v3, s[36:37]
	v_lshlrev_b32_e32 v42, 2, v3
	ds_bpermute_b32 v3, v42, v2
	s_waitcnt lgkmcnt(0)
	v_max_f32_e32 v3, v3, v3
	v_max_f32_e32 v49, v2, v3
	v_lshl_add_u64 v[2:3], s[44:45], 0, v[4:5]
	global_load_dword v58, v[2:3], off
	v_xor_b32_e32 v2, 1, v43
	v_cmp_lt_i32_e64 s[36:37], v2, v44
	v_lshl_add_u64 v[4:5], s[44:45], 0, v[8:9]
	v_lshl_add_u64 v[8:9], s[44:45], 0, v[12:13]
	v_cndmask_b32_e64 v2, v43, v2, s[36:37]
	v_lshlrev_b32_e32 v43, 2, v2
	v_lshl_add_u64 v[2:3], s[44:45], 0, v[6:7]
	v_lshl_add_u64 v[6:7], s[44:45], 0, v[10:11]
	;; [unrolled: 1-line block ×4, first 2 shown]
	global_load_dword v59, v[2:3], off
	global_load_dword v60, v[4:5], off
	;; [unrolled: 1-line block ×4, first 2 shown]
	s_nop 0
	global_load_dword v10, v[10:11], off
	s_nop 0
	global_load_dword v63, v[12:13], off
	ds_bpermute_b32 v44, v43, v49
	v_lshl_add_u64 v[4:5], s[44:45], 0, v[20:21]
	v_lshl_add_u64 v[6:7], s[44:45], 0, v[22:23]
	;; [unrolled: 1-line block ×4, first 2 shown]
	s_waitcnt lgkmcnt(0)
	v_max_f32_e32 v11, v44, v44
	v_max_f32_e32 v20, v49, v11
	v_sub_f32_e32 v1, v1, v20
	v_mul_f32_e32 v11, 0x3fb8aa3b, v1
	v_fma_f32 v21, v1, s43, -v11
	v_rndne_f32_e32 v22, v11
	v_fmac_f32_e32 v21, 0x32a5705f, v1
	v_sub_f32_e32 v11, v11, v22
	v_lshl_add_u64 v[14:15], s[44:45], 0, v[28:29]
	v_add_f32_e32 v11, v11, v21
	v_lshl_add_u64 v[8:9], s[44:45], 0, v[24:25]
	v_lshl_add_u64 v[16:17], s[44:45], 0, v[30:31]
	;; [unrolled: 1-line block ×3, first 2 shown]
	v_exp_f32_e32 v21, v11
	global_load_dword v2, v[2:3], off
	s_nop 0
	global_load_dword v3, v[4:5], off
	s_nop 0
	global_load_dword v4, v[6:7], off
	global_load_dword v11, v[8:9], off
	s_nop 0
	global_load_dword v12, v[12:13], off
	s_nop 0
	;; [unrolled: 2-line block ×3, first 2 shown]
	global_load_dword v14, v[16:17], off
	global_load_dword v15, v[18:19], off
	v_sub_f32_e32 v6, v50, v20
	v_mul_f32_e32 v7, 0x3fb8aa3b, v6
	v_fma_f32 v8, v6, s43, -v7
	v_rndne_f32_e32 v9, v7
	v_cvt_i32_f32_e32 v22, v22
	v_fmac_f32_e32 v8, 0x32a5705f, v6
	v_sub_f32_e32 v7, v7, v9
	v_add_f32_e32 v7, v7, v8
	v_exp_f32_e32 v7, v7
	v_cvt_i32_f32_e32 v8, v9
	s_mov_b32 s44, 0xc2ce8ed0
	v_ldexp_f32 v5, v21, v22
	v_cmp_ngt_f32_e64 s[36:37], s44, v1
	s_mov_b32 s45, 0x42b17218
	v_mov_b32_e32 v16, 0x7f800000
	v_cndmask_b32_e64 v5, 0, v5, s[36:37]
	v_cmp_nlt_f32_e64 s[36:37], s45, v1
	v_sub_f32_e32 v23, v37, v20
	v_mul_f32_e32 v24, 0x3fb8aa3b, v23
	v_cndmask_b32_e64 v1, v16, v5, s[36:37]
	v_ldexp_f32 v5, v7, v8
	v_sub_f32_e32 v7, v51, v20
	v_mul_f32_e32 v8, 0x3fb8aa3b, v7
	v_fma_f32 v9, v7, s43, -v8
	v_rndne_f32_e32 v17, v8
	v_fmac_f32_e32 v9, 0x32a5705f, v7
	v_sub_f32_e32 v8, v8, v17
	v_add_f32_e32 v8, v8, v9
	v_exp_f32_e32 v8, v8
	v_cvt_i32_f32_e32 v9, v17
	v_cndmask_b32_e64 v1, 0, v1, s[34:35]
	v_cmp_ngt_f32_e64 s[34:35], s44, v6
	v_fma_f32 v25, v23, s43, -v24
	v_rndne_f32_e32 v26, v24
	v_cndmask_b32_e64 v5, 0, v5, s[34:35]
	v_cmp_nlt_f32_e64 s[34:35], s45, v6
	v_ldexp_f32 v6, v8, v9
	v_sub_f32_e32 v8, v52, v20
	v_mul_f32_e32 v9, 0x3fb8aa3b, v8
	v_fma_f32 v17, v8, s43, -v9
	v_rndne_f32_e32 v18, v9
	v_fmac_f32_e32 v17, 0x32a5705f, v8
	v_sub_f32_e32 v9, v9, v18
	v_cndmask_b32_e64 v5, v16, v5, s[34:35]
	v_add_f32_e32 v9, v9, v17
	v_cndmask_b32_e64 v5, 0, v5, s[30:31]
	v_cmp_ngt_f32_e64 s[30:31], s44, v7
	v_exp_f32_e32 v9, v9
	v_cvt_i32_f32_e32 v17, v18
	v_cndmask_b32_e64 v6, 0, v6, s[30:31]
	v_cmp_nlt_f32_e64 s[30:31], s45, v7
	v_sub_f32_e32 v7, v53, v20
	v_fmac_f32_e32 v25, 0x32a5705f, v23
	v_cndmask_b32_e64 v6, v16, v6, s[30:31]
	v_cndmask_b32_e64 v6, 0, v6, s[28:29]
	s_waitcnt vmcnt(13)
	v_mul_f32_e32 v18, v59, v6
	v_ldexp_f32 v6, v9, v17
	v_mul_f32_e32 v9, 0x3fb8aa3b, v7
	v_fma_f32 v17, v7, s43, -v9
	v_rndne_f32_e32 v19, v9
	v_fmac_f32_e32 v17, 0x32a5705f, v7
	v_sub_f32_e32 v9, v9, v19
	v_add_f32_e32 v9, v9, v17
	v_cmp_ngt_f32_e64 s[28:29], s44, v8
	v_exp_f32_e32 v9, v9
	v_cvt_i32_f32_e32 v17, v19
	v_cndmask_b32_e64 v6, 0, v6, s[28:29]
	v_cmp_nlt_f32_e64 s[28:29], s45, v8
	v_sub_f32_e32 v8, v54, v20
	v_sub_f32_e32 v24, v24, v26
	v_cndmask_b32_e64 v6, v16, v6, s[28:29]
	v_cndmask_b32_e64 v6, 0, v6, s[26:27]
	s_waitcnt vmcnt(12)
	v_mul_f32_e32 v19, v60, v6
	v_ldexp_f32 v6, v9, v17
	v_mul_f32_e32 v9, 0x3fb8aa3b, v8
	v_fma_f32 v17, v8, s43, -v9
	v_rndne_f32_e32 v21, v9
	v_fmac_f32_e32 v17, 0x32a5705f, v8
	v_sub_f32_e32 v9, v9, v21
	v_add_f32_e32 v9, v9, v17
	v_cmp_ngt_f32_e64 s[26:27], s44, v7
	v_exp_f32_e32 v9, v9
	v_cvt_i32_f32_e32 v17, v21
	v_cndmask_b32_e64 v6, 0, v6, s[26:27]
	v_cmp_nlt_f32_e64 s[26:27], s45, v7
	v_sub_f32_e32 v7, v55, v20
	v_add_f32_e32 v24, v24, v25
	v_cndmask_b32_e64 v6, v16, v6, s[26:27]
	v_cndmask_b32_e64 v6, 0, v6, s[24:25]
	s_waitcnt vmcnt(11)
	v_mul_f32_e32 v21, v61, v6
	v_ldexp_f32 v6, v9, v17
	v_mul_f32_e32 v9, 0x3fb8aa3b, v7
	v_fma_f32 v17, v7, s43, -v9
	v_rndne_f32_e32 v22, v9
	v_fmac_f32_e32 v17, 0x32a5705f, v7
	v_sub_f32_e32 v9, v9, v22
	v_add_f32_e32 v9, v9, v17
	v_cmp_ngt_f32_e64 s[24:25], s44, v8
	v_exp_f32_e32 v9, v9
	v_cvt_i32_f32_e32 v17, v22
	v_cndmask_b32_e64 v6, 0, v6, s[24:25]
	v_cmp_nlt_f32_e64 s[24:25], s45, v8
	v_exp_f32_e32 v24, v24
	v_cvt_i32_f32_e32 v25, v26
	v_cndmask_b32_e64 v6, v16, v6, s[24:25]
	v_cndmask_b32_e64 v6, 0, v6, s[22:23]
	s_waitcnt vmcnt(10)
	v_mul_f32_e32 v22, v62, v6
	v_ldexp_f32 v6, v9, v17
	v_cmp_ngt_f32_e64 s[22:23], s44, v7
	v_mul_f32_e32 v1, v57, v1
	v_mul_f32_e32 v5, v58, v5
	v_cndmask_b32_e64 v6, 0, v6, s[22:23]
	v_cmp_nlt_f32_e64 s[22:23], s45, v7
	v_sub_f32_e32 v7, v56, v20
	v_mul_f32_e32 v8, 0x3fb8aa3b, v7
	v_fma_f32 v9, v7, s43, -v8
	v_rndne_f32_e32 v17, v8
	v_fmac_f32_e32 v9, 0x32a5705f, v7
	v_sub_f32_e32 v8, v8, v17
	v_add_f32_e32 v8, v8, v9
	v_exp_f32_e32 v8, v8
	v_cvt_i32_f32_e32 v9, v17
	v_cndmask_b32_e64 v6, v16, v6, s[22:23]
	v_cndmask_b32_e64 v6, 0, v6, s[20:21]
	v_ldexp_f32 v17, v24, v25
	v_cmp_ngt_f32_e64 s[20:21], s44, v23
	v_ldexp_f32 v8, v8, v9
	v_sub_f32_e32 v9, v34, v20
	v_cndmask_b32_e64 v17, 0, v17, s[20:21]
	v_cmp_nlt_f32_e64 s[20:21], s45, v23
	s_waitcnt vmcnt(9)
	v_mul_f32_e32 v6, v10, v6
	v_mul_f32_e32 v10, 0x3fb8aa3b, v9
	v_cndmask_b32_e64 v17, v16, v17, s[20:21]
	v_cndmask_b32_e64 v17, 0, v17, s[18:19]
	s_waitcnt vmcnt(4)
	v_mul_f32_e32 v11, v11, v17
	v_fma_f32 v17, v9, s43, -v10
	v_rndne_f32_e32 v23, v10
	v_fmac_f32_e32 v17, 0x32a5705f, v9
	v_sub_f32_e32 v10, v10, v23
	v_add_f32_e32 v10, v10, v17
	v_exp_f32_e32 v10, v10
	v_cvt_i32_f32_e32 v17, v23
	v_cmp_ngt_f32_e64 s[18:19], s44, v7
	s_nop 1
	v_cndmask_b32_e64 v8, 0, v8, s[18:19]
	v_cmp_nlt_f32_e64 s[18:19], s45, v7
	s_nop 1
	v_cndmask_b32_e64 v7, v16, v8, s[18:19]
	v_ldexp_f32 v8, v10, v17
	v_sub_f32_e32 v10, v35, v20
	v_mul_f32_e32 v17, 0x3fb8aa3b, v10
	v_fma_f32 v23, v10, s43, -v17
	v_rndne_f32_e32 v24, v17
	v_fmac_f32_e32 v23, 0x32a5705f, v10
	v_sub_f32_e32 v17, v17, v24
	v_add_f32_e32 v17, v17, v23
	v_cvt_i32_f32_e32 v23, v24
	v_sub_f32_e32 v24, v38, v20
	v_mul_f32_e32 v25, 0x3fb8aa3b, v24
	v_fma_f32 v26, v24, s43, -v25
	v_rndne_f32_e32 v27, v25
	v_fmac_f32_e32 v26, 0x32a5705f, v24
	v_sub_f32_e32 v25, v25, v27
	v_exp_f32_e32 v17, v17
	v_add_f32_e32 v25, v25, v26
	v_cndmask_b32_e64 v7, 0, v7, s[16:17]
	v_exp_f32_e32 v25, v25
	v_cvt_i32_f32_e32 v26, v27
	v_cmp_ngt_f32_e64 s[16:17], s44, v9
	v_ldexp_f32 v17, v17, v23
	v_mul_f32_e32 v7, v63, v7
	v_cndmask_b32_e64 v8, 0, v8, s[16:17]
	v_cmp_nlt_f32_e64 s[16:17], s45, v9
	v_ldexp_f32 v23, v25, v26
	s_nop 0
	v_cndmask_b32_e64 v8, v16, v8, s[16:17]
	v_cndmask_b32_e64 v8, 0, v8, s[12:13]
	v_cmp_ngt_f32_e64 s[12:13], s44, v10
	v_mul_f32_e32 v8, v2, v8
	s_nop 0
	v_cndmask_b32_e64 v9, 0, v17, s[12:13]
	v_cmp_ngt_f32_e64 s[12:13], s44, v24
	v_sub_f32_e32 v17, v36, v20
	s_nop 0
	v_cndmask_b32_e64 v23, 0, v23, s[12:13]
	v_cmp_nlt_f32_e64 s[12:13], s45, v24
	v_mul_f32_e32 v24, 0x3fb8aa3b, v17
	v_rndne_f32_e32 v25, v24
	v_cndmask_b32_e64 v23, v16, v23, s[12:13]
	v_cndmask_b32_e64 v23, 0, v23, s[14:15]
	s_waitcnt vmcnt(3)
	v_mul_f32_e32 v12, v12, v23
	v_fma_f32 v23, v17, s43, -v24
	v_fmac_f32_e32 v23, 0x32a5705f, v17
	v_sub_f32_e32 v24, v24, v25
	v_add_f32_e32 v23, v24, v23
	v_sub_f32_e32 v24, v39, v20
	v_mul_f32_e32 v26, 0x3fb8aa3b, v24
	v_fma_f32 v27, v24, s43, -v26
	v_rndne_f32_e32 v28, v26
	v_fmac_f32_e32 v27, 0x32a5705f, v24
	v_sub_f32_e32 v26, v26, v28
	v_add_f32_e32 v26, v26, v27
	v_cmp_nlt_f32_e64 s[12:13], s45, v10
	v_cvt_i32_f32_e32 v10, v28
	v_exp_f32_e32 v23, v23
	v_cndmask_b32_e64 v2, v16, v9, s[12:13]
	v_exp_f32_e32 v9, v26
	v_cndmask_b32_e64 v2, 0, v2, s[8:9]
	v_cmp_ngt_f32_e64 s[8:9], s44, v24
	v_cvt_i32_f32_e32 v25, v25
	v_ldexp_f32 v9, v9, v10
	v_cndmask_b32_e64 v9, 0, v9, s[8:9]
	v_cmp_nlt_f32_e64 s[8:9], s45, v24
	s_nop 1
	v_cndmask_b32_e64 v9, v16, v9, s[8:9]
	v_cndmask_b32_e64 v9, 0, v9, s[10:11]
	s_waitcnt vmcnt(2)
	v_mul_f32_e32 v13, v13, v9
	v_mul_f32_e32 v9, v3, v2
	v_sub_f32_e32 v3, v40, v20
	v_mul_f32_e32 v10, 0x3fb8aa3b, v3
	v_ldexp_f32 v2, v23, v25
	v_fma_f32 v23, v3, s43, -v10
	v_rndne_f32_e32 v24, v10
	v_fmac_f32_e32 v23, 0x32a5705f, v3
	v_sub_f32_e32 v10, v10, v24
	v_add_f32_e32 v10, v10, v23
	v_exp_f32_e32 v10, v10
	v_cvt_i32_f32_e32 v23, v24
	v_cmp_ngt_f32_e64 s[8:9], s44, v17
	v_ldexp_f32 v10, v10, v23
	s_nop 0
	v_cndmask_b32_e64 v2, 0, v2, s[8:9]
	v_cmp_nlt_f32_e64 s[8:9], s45, v17
	v_sub_f32_e32 v17, v41, v20
	s_nop 0
	v_cndmask_b32_e64 v2, v16, v2, s[8:9]
	v_cndmask_b32_e64 v2, 0, v2, s[6:7]
	v_cmp_ngt_f32_e64 s[6:7], s44, v3
	s_nop 1
	v_cndmask_b32_e64 v10, 0, v10, s[6:7]
	v_cmp_nlt_f32_e64 s[6:7], s45, v3
	s_nop 1
	v_cndmask_b32_e64 v3, v16, v10, s[6:7]
	v_mul_f32_e32 v10, 0x3fb8aa3b, v17
	v_fma_f32 v20, v17, s43, -v10
	v_rndne_f32_e32 v23, v10
	v_fmac_f32_e32 v20, 0x32a5705f, v17
	v_sub_f32_e32 v10, v10, v23
	v_add_f32_e32 v10, v10, v20
	v_exp_f32_e32 v20, v10
	v_cvt_i32_f32_e32 v23, v23
	v_cndmask_b32_e64 v3, 0, v3, s[4:5]
	v_mul_f32_e32 v10, v4, v2
	v_cmp_ngt_f32_e64 s[4:5], s44, v17
	v_ldexp_f32 v2, v20, v23
	s_waitcnt vmcnt(1)
	v_mul_f32_e32 v3, v14, v3
	v_cndmask_b32_e64 v2, 0, v2, s[4:5]
	v_cmp_nlt_f32_e64 s[4:5], s45, v17
	s_nop 1
	v_cndmask_b32_e64 v2, v16, v2, s[4:5]
	v_cndmask_b32_e32 v2, 0, v2, vcc
	s_waitcnt vmcnt(0)
	v_mul_f32_e32 v4, v15, v2
	v_add_f32_e32 v2, v1, v5
	v_add_f32_e32 v2, v2, v18
	;; [unrolled: 1-line block ×15, first 2 shown]
	ds_bpermute_b32 v14, v45, v2
	v_lshlrev_b32_e32 v15, 2, v0
	ds_write2st64_b32 v15, v1, v5 offset1:1
	v_cmp_eq_u32_e32 vcc, 0, v0
	ds_write2st64_b32 v15, v18, v19 offset0:2 offset1:3
	ds_write2st64_b32 v15, v21, v22 offset0:4 offset1:5
	;; [unrolled: 1-line block ×4, first 2 shown]
	s_waitcnt lgkmcnt(5)
	v_add_f32_e32 v2, v2, v14
	ds_bpermute_b32 v14, v46, v2
	ds_write2st64_b32 v15, v10, v11 offset0:10 offset1:11
	ds_write2st64_b32 v15, v12, v13 offset0:12 offset1:13
	;; [unrolled: 1-line block ×3, first 2 shown]
	s_waitcnt lgkmcnt(3)
	v_add_f32_e32 v2, v2, v14
	ds_bpermute_b32 v14, v47, v2
	s_waitcnt lgkmcnt(0)
	v_add_f32_e32 v2, v2, v14
	ds_bpermute_b32 v14, v48, v2
	s_waitcnt lgkmcnt(0)
	v_add_f32_e32 v1, v2, v14
	ds_bpermute_b32 v2, v42, v1
	s_waitcnt lgkmcnt(0)
	v_add_f32_e32 v1, v1, v2
	ds_bpermute_b32 v2, v43, v1
	s_and_saveexec_b64 s[4:5], vcc
	s_cbranch_execz .LBB475_8
; %bb.7:
	s_waitcnt lgkmcnt(0)
	v_add_f32_e32 v1, v1, v2
	v_mov_b32_e32 v2, 0
	ds_write_b32 v2, v1 offset:4096
.LBB475_8:
	s_or_b64 exec, exec, s[4:5]
	v_mov_b32_e32 v1, s42
.LBB475_9:
	s_or_b64 exec, exec, s[54:55]
	s_lshl_b32 s4, s56, 6
	s_mov_b32 s5, 0
	s_lshl_b64 s[4:5], s[4:5], 1
	s_add_u32 s4, s40, s4
	s_addc_u32 s5, s41, s5
	s_lshl_b32 s10, s33, 6
	s_sub_i32 s11, s10, 64
	s_waitcnt lgkmcnt(0)
	v_lshlrev_b32_e32 v2, 6, v1
	v_mov_b32_e32 v3, 0
	s_cmp_lt_i32 s60, 1
	v_lshl_add_u64 v[4:5], v[2:3], 1, s[4:5]
	s_cselect_b32 s4, s11, 0
	v_lshlrev_b32_e32 v2, 1, v0
	s_ashr_i32 s5, s4, 31
	v_lshl_add_u64 v[0:1], v[4:5], 0, v[2:3]
	s_cmpk_lt_i32 s60, 0x101
	v_lshl_add_u64 v[4:5], s[4:5], 1, v[0:1]
	s_cselect_b32 s4, s11, 64
	s_ashr_i32 s5, s4, 31
	s_cmpk_lt_i32 s60, 0x201
	v_lshl_add_u64 v[6:7], s[4:5], 1, v[0:1]
	s_cselect_b32 s4, s11, 0x80
	s_ashr_i32 s5, s4, 31
	;; [unrolled: 4-line block ×8, first 2 shown]
	s_cmpk_lt_i32 s60, 0x901
	global_load_ushort v23, v[4:5], off
	global_load_ushort v22, v[6:7], off
	global_load_ushort v21, v[8:9], off
	global_load_ushort v20, v[10:11], off
	global_load_ushort v18, v[12:13], off
	global_load_ushort v19, v[14:15], off
	global_load_ushort v16, v[24:25], off
	global_load_ushort v17, v[26:27], off
	v_lshl_add_u64 v[4:5], s[4:5], 1, v[0:1]
	s_cselect_b32 s4, s11, 0x240
	s_ashr_i32 s5, s4, 31
	s_cmpk_lt_i32 s60, 0xa01
	v_lshl_add_u64 v[6:7], s[4:5], 1, v[0:1]
	s_cselect_b32 s4, s11, 0x280
	s_ashr_i32 s5, s4, 31
	s_cmpk_lt_i32 s60, 0xb01
	;; [unrolled: 4-line block ×6, first 2 shown]
	v_lshl_add_u64 v[32:33], s[4:5], 1, v[0:1]
	s_cselect_b32 s4, s11, 0x3c0
	s_ashr_i32 s5, s4, 31
	v_lshl_add_u64 v[34:35], s[4:5], 1, v[0:1]
	global_load_ushort v30, v[4:5], off
	global_load_ushort v31, v[6:7], off
	;; [unrolled: 1-line block ×8, first 2 shown]
	s_cmpk_gt_i32 s60, 0x1000
	s_cselect_b64 s[8:9], -1, 0
	s_cmpk_lt_i32 s60, 0x1001
	v_mov_b32_e32 v40, 0
	v_mov_b32_e32 v41, 0
	v_mov_b32_e32 v42, 0
	v_mov_b32_e32 v43, 0
	v_mov_b32_e32 v44, 0
	v_mov_b32_e32 v45, 0
	v_mov_b32_e32 v46, 0
	v_mov_b32_e32 v47, 0
	v_mov_b32_e32 v32, 0
	v_mov_b32_e32 v33, 0
	v_mov_b32_e32 v34, 0
	v_mov_b32_e32 v35, 0
	v_mov_b32_e32 v36, 0
	v_mov_b32_e32 v37, 0
	v_mov_b32_e32 v38, 0
	v_mov_b32_e32 v39, 0
	v_mov_b32_e32 v4, 0
	v_mov_b32_e32 v5, 0
	v_mov_b32_e32 v6, 0
	v_mov_b32_e32 v7, 0
	v_mov_b32_e32 v8, 0
	v_mov_b32_e32 v9, 0
	v_mov_b32_e32 v10, 0
	v_mov_b32_e32 v11, 0
	v_mov_b32_e32 v12, 0
	v_mov_b32_e32 v13, 0
	v_mov_b32_e32 v14, 0
	v_mov_b32_e32 v15, 0
	v_mov_b32_e32 v48, 0
	v_mov_b32_e32 v50, 0
	v_mov_b32_e32 v49, 0
	v_mov_b32_e32 v51, 0
	v_mov_b32_e32 v52, 0
	v_mov_b32_e32 v54, 0
	v_mov_b32_e32 v53, 0
	v_mov_b32_e32 v56, 0
	v_mov_b32_e32 v55, 0
	v_mov_b32_e32 v58, 0
	v_mov_b32_e32 v57, 0
	v_mov_b32_e32 v60, 0
	v_mov_b32_e32 v59, 0
	v_mov_b32_e32 v62, 0
	v_mov_b32_e32 v61, 0
	v_mov_b32_e32 v64, 0
	v_mov_b32_e32 v63, 0
	v_mov_b32_e32 v66, 0
	v_mov_b32_e32 v65, 0
	v_mov_b32_e32 v67, 0
	s_waitcnt lgkmcnt(0)
	; wave barrier
	s_cbranch_scc1 .LBB475_12
; %bb.10:
	s_cmpk_lt_u32 s60, 0x1101
	s_cselect_b32 s4, s11, 0x440
	s_ashr_i32 s5, s4, 31
	s_cmpk_lt_u32 s60, 0x1201
	v_lshl_add_u64 v[4:5], s[4:5], 1, v[0:1]
	s_cselect_b32 s4, s11, 0x480
	s_ashr_i32 s5, s4, 31
	s_cmpk_lt_u32 s60, 0x1301
	v_lshl_add_u64 v[6:7], s[4:5], 1, v[0:1]
	;; [unrolled: 4-line block ×7, first 2 shown]
	s_cselect_b32 s4, s11, 0x600
	s_ashr_i32 s5, s4, 31
	s_cmpk_lt_u32 s60, 0x1901
	global_load_ushort v39, v[0:1], off offset:2048
	global_load_ushort v38, v[4:5], off
	global_load_ushort v37, v[6:7], off
	;; [unrolled: 1-line block ×7, first 2 shown]
	v_lshl_add_u64 v[4:5], s[4:5], 1, v[0:1]
	s_cselect_b32 s4, s11, 0x640
	s_ashr_i32 s5, s4, 31
	s_cmpk_lt_u32 s60, 0x1a01
	v_lshl_add_u64 v[6:7], s[4:5], 1, v[0:1]
	s_cselect_b32 s4, s11, 0x680
	s_ashr_i32 s5, s4, 31
	s_cmpk_lt_u32 s60, 0x1b01
	;; [unrolled: 4-line block ×6, first 2 shown]
	v_lshl_add_u64 v[48:49], s[4:5], 1, v[0:1]
	s_cselect_b32 s4, s11, 0x7c0
	s_ashr_i32 s5, s4, 31
	v_lshl_add_u64 v[50:51], s[4:5], 1, v[0:1]
	global_load_ushort v47, v[4:5], off
	global_load_ushort v46, v[6:7], off
	;; [unrolled: 1-line block ×8, first 2 shown]
	s_cmpk_lt_u32 s60, 0x2001
	v_mov_b32_e32 v67, 0
	v_mov_b32_e32 v65, 0
	;; [unrolled: 1-line block ×32, first 2 shown]
	s_cbranch_scc1 .LBB475_12
; %bb.11:
	s_cmpk_lt_u32 s60, 0x2101
	s_cselect_b32 s4, s11, 0x840
	s_ashr_i32 s5, s4, 31
	s_cmpk_lt_u32 s60, 0x2201
	v_lshl_add_u64 v[4:5], s[4:5], 1, v[0:1]
	s_cselect_b32 s4, s11, 0x880
	s_ashr_i32 s5, s4, 31
	s_cmpk_lt_u32 s60, 0x2301
	v_lshl_add_u64 v[6:7], s[4:5], 1, v[0:1]
	;; [unrolled: 4-line block ×29, first 2 shown]
	s_cselect_b32 s4, s11, 0xf80
	s_ashr_i32 s5, s4, 31
	v_lshl_add_u64 v[94:95], s[4:5], 1, v[0:1]
	s_movk_i32 s4, 0x1000
	s_cmpk_lt_u32 s60, 0x3f01
	v_add_co_u32_e32 v96, vcc, s4, v0
	s_cselect_b32 s4, s11, 0xfc0
	s_nop 0
	v_addc_co_u32_e32 v97, vcc, 0, v1, vcc
	s_ashr_i32 s5, s4, 31
	global_load_ushort v98, v[96:97], off
	global_load_ushort v99, v[4:5], off
	;; [unrolled: 1-line block ×15, first 2 shown]
                                        ; kill: killed $vgpr56_vgpr57
                                        ; kill: killed $vgpr8_vgpr9
                                        ; kill: killed $vgpr62_vgpr63
                                        ; kill: killed $vgpr14_vgpr15
                                        ; kill: killed $vgpr96 killed $vgpr97
                                        ; kill: killed $vgpr52_vgpr53
                                        ; kill: killed $vgpr4_vgpr5
                                        ; kill: killed $vgpr58_vgpr59
                                        ; kill: killed $vgpr10_vgpr11
                                        ; kill: killed $vgpr48_vgpr49
                                        ; kill: killed $vgpr54_vgpr55
                                        ; kill: killed $vgpr6_vgpr7
                                        ; kill: killed $vgpr60_vgpr61
                                        ; kill: killed $vgpr12_vgpr13
                                        ; kill: killed $vgpr50_vgpr51
	global_load_ushort v6, v[64:65], off
	global_load_ushort v7, v[66:67], off
	;; [unrolled: 1-line block ×15, first 2 shown]
                                        ; kill: killed $vgpr88_vgpr89
                                        ; kill: killed $vgpr72_vgpr73
                                        ; kill: killed $vgpr94_vgpr95
                                        ; kill: killed $vgpr78_vgpr79
                                        ; kill: killed $vgpr84_vgpr85
                                        ; kill: killed $vgpr68_vgpr69
                                        ; kill: killed $vgpr90_vgpr91
                                        ; kill: killed $vgpr74_vgpr75
                                        ; kill: killed $vgpr80_vgpr81
                                        ; kill: killed $vgpr64_vgpr65
                                        ; kill: killed $vgpr70_vgpr71
                                        ; kill: killed $vgpr92_vgpr93
                                        ; kill: killed $vgpr76_vgpr77
                                        ; kill: killed $vgpr82_vgpr83
                                        ; kill: killed $vgpr66_vgpr67
	global_load_ushort v68, v[86:87], off
	v_lshl_add_u64 v[4:5], s[4:5], 1, v[0:1]
	global_load_ushort v5, v[4:5], off
	s_waitcnt vmcnt(31)
	v_lshlrev_b32_e32 v67, 16, v98
	s_waitcnt vmcnt(30)
	v_lshlrev_b32_e32 v65, 16, v99
	;; [unrolled: 2-line block ×32, first 2 shown]
.LBB475_12:
	s_load_dwordx2 s[4:5], s[0:1], 0x0
	s_load_dwordx2 s[6:7], s[0:1], 0x38
	ds_read_b128 v[68:71], v3
	s_waitcnt vmcnt(15)
	v_lshlrev_b32_e32 v23, 16, v23
	ds_read_b128 v[72:75], v3 offset:16
	ds_read_b128 v[76:79], v3 offset:32
	;; [unrolled: 1-line block ×3, first 2 shown]
	s_waitcnt vmcnt(14)
	v_lshlrev_b32_e32 v22, 16, v22
	s_waitcnt vmcnt(13)
	v_lshlrev_b32_e32 v21, 16, v21
	s_waitcnt lgkmcnt(0)
	v_fma_f32 v23, v68, v23, 0
	v_fmac_f32_e32 v23, v69, v22
	v_fmac_f32_e32 v23, v70, v21
	s_waitcnt vmcnt(12)
	v_lshlrev_b32_e32 v20, 16, v20
	s_waitcnt vmcnt(10)
	v_lshlrev_b32_e32 v19, 16, v19
	v_lshlrev_b32_e32 v18, 16, v18
	v_fmac_f32_e32 v23, v71, v20
	v_pk_mul_f32 v[18:19], v[72:73], v[18:19]
	s_waitcnt vmcnt(8)
	v_lshlrev_b32_e32 v17, 16, v17
	v_add_f32_e32 v18, v23, v18
	v_lshlrev_b32_e32 v16, 16, v16
	v_add_f32_e32 v18, v18, v19
	v_pk_mul_f32 v[16:17], v[74:75], v[16:17]
	s_and_b64 vcc, exec, s[8:9]
	v_add_f32_e32 v16, v18, v16
	v_add_f32_e32 v18, v16, v17
	s_waitcnt vmcnt(6)
	v_lshlrev_b32_e32 v17, 16, v31
	v_lshlrev_b32_e32 v16, 16, v30
	v_pk_mul_f32 v[16:17], v[76:77], v[16:17]
	s_nop 0
	v_add_f32_e32 v16, v18, v16
	v_add_f32_e32 v18, v16, v17
	s_waitcnt vmcnt(4)
	v_lshlrev_b32_e32 v17, 16, v29
	v_lshlrev_b32_e32 v16, 16, v28
	v_pk_mul_f32 v[16:17], v[78:79], v[16:17]
	s_nop 0
	;; [unrolled: 7-line block ×4, first 2 shown]
	v_add_f32_e32 v16, v18, v16
	v_add_f32_e32 v108, v16, v17
	s_cbranch_vccz .LBB475_15
; %bb.13:
	ds_read_b128 v[16:19], v3 offset:64
	v_lshlrev_b32_e32 v39, 16, v39
	ds_read_b128 v[20:23], v3 offset:80
	ds_read_b128 v[24:27], v3 offset:96
	;; [unrolled: 1-line block ×3, first 2 shown]
	v_lshlrev_b32_e32 v3, 16, v38
	s_cmpk_lt_u32 s60, 0x2001
	s_waitcnt lgkmcnt(3)
	v_fmac_f32_e32 v108, v16, v39
	v_fmac_f32_e32 v108, v17, v3
	v_lshlrev_b32_e32 v3, 16, v37
	v_fmac_f32_e32 v108, v18, v3
	v_lshlrev_b32_e32 v3, 16, v36
	v_fmac_f32_e32 v108, v19, v3
	v_lshlrev_b32_e32 v3, 16, v35
	s_waitcnt lgkmcnt(2)
	v_fmac_f32_e32 v108, v20, v3
	v_lshlrev_b32_e32 v3, 16, v34
	v_fmac_f32_e32 v108, v21, v3
	v_lshlrev_b32_e32 v3, 16, v33
	v_fmac_f32_e32 v108, v22, v3
	v_lshlrev_b32_e32 v3, 16, v32
	v_fmac_f32_e32 v108, v23, v3
	v_lshlrev_b32_e32 v3, 16, v47
	s_waitcnt lgkmcnt(1)
	v_fmac_f32_e32 v108, v24, v3
	v_lshlrev_b32_e32 v3, 16, v46
	;; [unrolled: 9-line block ×3, first 2 shown]
	v_fmac_f32_e32 v108, v29, v3
	v_lshlrev_b32_e32 v3, 16, v41
	v_fmac_f32_e32 v108, v30, v3
	v_lshlrev_b32_e32 v3, 16, v40
	v_fmac_f32_e32 v108, v31, v3
	s_cbranch_scc1 .LBB475_15
; %bb.14:
	v_mov_b32_e32 v3, 0
	ds_read_b128 v[16:19], v3 offset:128
	ds_read_b128 v[20:23], v3 offset:144
	;; [unrolled: 1-line block ×4, first 2 shown]
	s_waitcnt lgkmcnt(3)
	v_fmac_f32_e32 v108, v16, v67
	v_fmac_f32_e32 v108, v17, v65
	v_fmac_f32_e32 v108, v18, v66
	v_fmac_f32_e32 v108, v19, v63
	s_waitcnt lgkmcnt(2)
	v_fmac_f32_e32 v108, v20, v64
	v_fmac_f32_e32 v108, v21, v61
	v_fmac_f32_e32 v108, v22, v62
	v_fmac_f32_e32 v108, v23, v59
	;; [unrolled: 5-line block ×3, first 2 shown]
	ds_read_b128 v[16:19], v3 offset:192
	ds_read_b128 v[20:23], v3 offset:208
	s_waitcnt lgkmcnt(2)
	v_fmac_f32_e32 v108, v28, v56
	v_fmac_f32_e32 v108, v29, v53
	;; [unrolled: 1-line block ×4, first 2 shown]
	s_waitcnt lgkmcnt(1)
	v_fmac_f32_e32 v108, v16, v51
	v_fmac_f32_e32 v108, v17, v49
	;; [unrolled: 1-line block ×4, first 2 shown]
	s_waitcnt lgkmcnt(0)
	v_pk_mul_f32 v[14:15], v[20:21], v[14:15]
	v_pk_mul_f32 v[12:13], v[22:23], v[12:13]
	v_add_f32_e32 v14, v108, v14
	v_add_f32_e32 v18, v14, v15
	ds_read_b128 v[14:17], v3 offset:224
	v_add_f32_e32 v12, v18, v12
	ds_read_b128 v[18:21], v3 offset:240
	v_add_f32_e32 v12, v12, v13
	s_waitcnt lgkmcnt(1)
	v_pk_mul_f32 v[10:11], v[14:15], v[10:11]
	s_nop 0
	v_add_f32_e32 v3, v12, v10
	v_add_f32_e32 v3, v3, v11
	v_pk_mul_f32 v[8:9], v[16:17], v[8:9]
	s_waitcnt lgkmcnt(0)
	v_pk_mul_f32 v[6:7], v[18:19], v[6:7]
	v_add_f32_e32 v3, v3, v8
	v_add_f32_e32 v3, v3, v9
	v_add_f32_e32 v3, v3, v6
	v_add_f32_e32 v3, v3, v7
	v_pk_mul_f32 v[4:5], v[20:21], v[4:5]
	s_nop 0
	v_add_f32_e32 v3, v3, v4
	v_add_f32_e32 v108, v3, v5
.LBB475_15:
	s_movk_i32 s0, 0x1fc0
	s_movk_i32 s1, 0x100
	s_mov_b32 s8, 64
	s_branch .LBB475_17
.LBB475_16:                             ;   in Loop: Header=BB475_17 Depth=1
	s_addk_i32 s0, 0x1000
	s_addk_i32 s1, 0x100
	s_add_i32 s8, s8, 64
	s_cmp_eq_u32 s0, 0x10fc0
	s_cbranch_scc1 .LBB475_19
.LBB475_17:                             ; =>This Inner Loop Header: Depth=1
	s_cmp_le_i32 s33, s8
	s_cbranch_scc1 .LBB475_16
; %bb.18:                               ;   in Loop: Header=BB475_17 Depth=1
	s_add_i32 s9, s0, 0xfffff040
	s_cmp_lt_i32 s9, s10
	s_cselect_b32 s12, s9, s11
	s_ashr_i32 s13, s12, 31
	s_add_i32 s9, s0, 0xfffff080
	s_cmp_lt_i32 s9, s10
	v_lshl_add_u64 v[74:75], s[12:13], 1, v[0:1]
	s_cselect_b32 s12, s9, s11
	s_ashr_i32 s13, s12, 31
	s_add_i32 s9, s0, 0xfffff0c0
	s_cmp_lt_i32 s9, s10
	v_lshl_add_u64 v[8:9], s[12:13], 1, v[0:1]
	;; [unrolled: 5-line block ×30, first 2 shown]
	s_cselect_b32 s12, s9, s11
	s_ashr_i32 s13, s12, 31
	global_load_ushort v3, v[74:75], off
	v_lshl_add_u64 v[28:29], s[12:13], 1, v[0:1]
	global_load_ushort v62, v[62:63], off
	s_add_i32 s9, s0, 0xfffff800
	global_load_ushort v109, v[8:9], off
	global_load_ushort v111, v[10:11], off
	;; [unrolled: 1-line block ×13, first 2 shown]
	s_cmp_lt_i32 s9, s10
	global_load_ushort v64, v[70:71], off
	global_load_ushort v65, v[66:67], off
	s_cselect_b32 s12, s9, s11
	global_load_ushort v66, v[36:37], off
	global_load_ushort v67, v[38:39], off
	global_load_ushort v70, v[46:47], off
	global_load_ushort v71, v[56:57], off
	s_ashr_i32 s13, s12, 31
	global_load_ushort v26, v[26:27], off
	s_add_i32 s9, s0, 0xfffff840
	global_load_ushort v27, v[40:41], off
	s_cmp_lt_i32 s9, s10
	global_load_ushort v32, v[32:33], off
	v_lshl_add_u64 v[34:35], s[12:13], 1, v[0:1]
	global_load_ushort v28, v[28:29], off
	s_cselect_b32 s12, s9, s11
	global_load_ushort v41, v[22:23], off
	global_load_ushort v110, v[4:5], off
	s_ashr_i32 s13, s12, 31
	s_add_i32 s9, s0, 0xfffff880
	s_cmp_lt_i32 s9, s10
	v_mov_b32_e32 v122, s1
	v_lshl_add_u64 v[50:51], s[12:13], 1, v[0:1]
	s_cselect_b32 s12, s9, s11
	ds_read_b128 v[46:49], v122
	s_ashr_i32 s13, s12, 31
	s_add_i32 s9, s0, 0xfffff8c0
	s_cmp_lt_i32 s9, s10
	v_lshl_add_u64 v[52:53], s[12:13], 1, v[0:1]
	s_cselect_b32 s12, s9, s11
	s_ashr_i32 s13, s12, 31
	s_add_i32 s9, s0, 0xfffff900
	global_load_ushort v29, v[34:35], off
	s_cmp_lt_i32 s9, s10
	global_load_ushort v34, v[50:51], off
	global_load_ushort v35, v[52:53], off
	ds_read_b128 v[54:57], v122 offset:16
	v_lshl_add_u64 v[68:69], s[12:13], 1, v[0:1]
	s_cselect_b32 s12, s9, s11
	s_ashr_i32 s13, s12, 31
	s_add_i32 s9, s0, 0xfffff940
	s_cmp_lt_i32 s9, s10
	global_load_ushort v33, v[14:15], off
	v_lshl_add_u64 v[72:73], s[12:13], 1, v[0:1]
	s_cselect_b32 s12, s9, s11
	global_load_ushort v40, v[20:21], off
	s_ashr_i32 s13, s12, 31
	s_add_i32 s9, s0, 0xfffff980
	s_cmp_lt_i32 s9, s10
	v_lshl_add_u64 v[76:77], s[12:13], 1, v[0:1]
	s_cselect_b32 s12, s9, s11
	s_ashr_i32 s13, s12, 31
	s_add_i32 s9, s0, 0xfffff9c0
	s_cmp_lt_i32 s9, s10
	v_lshl_add_u64 v[78:79], s[12:13], 1, v[0:1]
	s_cselect_b32 s12, s9, s11
	s_ashr_i32 s13, s12, 31
	s_add_i32 s9, s0, 0xfffffa00
	s_cmp_lt_i32 s9, s10
	v_lshl_add_u64 v[80:81], s[12:13], 1, v[0:1]
	s_cselect_b32 s12, s9, s11
	s_ashr_i32 s13, s12, 31
	s_waitcnt vmcnt(31)
	v_lshlrev_b32_e32 v3, 16, v3
	s_waitcnt lgkmcnt(1)
	v_fmac_f32_e32 v108, v46, v3
	s_add_i32 s9, s0, 0xfffffa40
	s_cmp_lt_i32 s9, s10
	s_waitcnt vmcnt(29)
	v_lshlrev_b32_e32 v3, 16, v109
	v_fmac_f32_e32 v108, v47, v3
	v_lshl_add_u64 v[82:83], s[12:13], 1, v[0:1]
	s_cselect_b32 s12, s9, s11
	s_ashr_i32 s13, s12, 31
	s_add_i32 s9, s0, 0xfffffa80
	s_cmp_lt_i32 s9, s10
	v_lshl_add_u64 v[84:85], s[12:13], 1, v[0:1]
	s_cselect_b32 s12, s9, s11
	s_ashr_i32 s13, s12, 31
	s_add_i32 s9, s0, 0xfffffac0
	s_cmp_lt_i32 s9, s10
	;; [unrolled: 5-line block ×5, first 2 shown]
	v_lshl_add_u64 v[92:93], s[12:13], 1, v[0:1]
	s_cselect_b32 s12, s9, s11
	s_ashr_i32 s13, s12, 31
	s_add_i32 s9, s0, 0xfffffbc0
	s_waitcnt vmcnt(5)
	v_lshlrev_b32_e32 v3, 16, v110
	v_fmac_f32_e32 v108, v48, v3
	v_lshlrev_b32_e32 v3, 16, v111
	v_fmac_f32_e32 v108, v49, v3
	v_lshlrev_b32_e32 v3, 16, v112
	s_waitcnt lgkmcnt(0)
	v_fmac_f32_e32 v108, v54, v3
	global_load_ushort v54, v[16:17], off
	global_load_ushort v3, v[6:7], off
	s_cmp_lt_i32 s9, s10
	v_lshl_add_u64 v[94:95], s[12:13], 1, v[0:1]
	s_cselect_b32 s12, s9, s11
	s_ashr_i32 s13, s12, 31
	s_add_i32 s9, s0, 0xfffffc00
	s_cmp_lt_i32 s9, s10
	v_lshl_add_u64 v[98:99], s[12:13], 1, v[0:1]
	s_cselect_b32 s12, s9, s11
	s_ashr_i32 s13, s12, 31
	s_add_i32 s9, s0, 0xfffffc40
	ds_read_b128 v[58:61], v122 offset:32
	ds_read_b128 v[46:49], v122 offset:48
	s_cmp_lt_i32 s9, s10
	v_lshlrev_b32_e32 v6, 16, v113
	v_lshl_add_u64 v[100:101], s[12:13], 1, v[0:1]
	s_cselect_b32 s12, s9, s11
	v_fmac_f32_e32 v108, v55, v6
	v_lshlrev_b32_e32 v6, 16, v114
	s_ashr_i32 s13, s12, 31
	s_add_i32 s9, s0, 0xfffffc80
	v_fmac_f32_e32 v108, v56, v6
	v_lshlrev_b32_e32 v6, 16, v115
	s_cmp_lt_i32 s9, s10
	v_fmac_f32_e32 v108, v57, v6
	v_lshlrev_b32_e32 v6, 16, v116
	v_lshl_add_u64 v[102:103], s[12:13], 1, v[0:1]
	s_cselect_b32 s12, s9, s11
	s_waitcnt lgkmcnt(1)
	v_fmac_f32_e32 v108, v58, v6
	v_lshlrev_b32_e32 v6, 16, v117
	s_ashr_i32 s13, s12, 31
	s_add_i32 s9, s0, 0xfffffcc0
	v_fmac_f32_e32 v108, v59, v6
	v_lshlrev_b32_e32 v6, 16, v118
	s_cmp_lt_i32 s9, s10
	v_fmac_f32_e32 v108, v60, v6
	v_lshlrev_b32_e32 v6, 16, v119
	global_load_ushort v50, v[68:69], off
	global_load_ushort v51, v[72:73], off
	v_lshl_add_u64 v[104:105], s[12:13], 1, v[0:1]
	s_cselect_b32 s12, s9, s11
	v_fmac_f32_e32 v108, v61, v6
	v_lshlrev_b32_e32 v6, 16, v120
	s_ashr_i32 s13, s12, 31
	s_add_i32 s9, s0, 0xfffffd00
	s_waitcnt lgkmcnt(0)
	v_fmac_f32_e32 v108, v46, v6
	global_load_ushort v46, v[76:77], off
	global_load_ushort v52, v[78:79], off
	s_cmp_lt_i32 s9, s10
	v_lshlrev_b32_e32 v6, 16, v62
	v_lshl_add_u64 v[106:107], s[12:13], 1, v[0:1]
	s_cselect_b32 s12, s9, s11
	v_fmac_f32_e32 v108, v47, v6
	global_load_ushort v47, v[80:81], off
	s_ashr_i32 s13, s12, 31
	s_add_i32 s9, s0, 0xfffffd40
	s_cmp_lt_i32 s9, s10
	v_lshl_add_u64 v[96:97], s[12:13], 1, v[0:1]
	s_cselect_b32 s12, s9, s11
	v_lshlrev_b32_e32 v6, 16, v63
	s_ashr_i32 s13, s12, 31
	s_add_i32 s9, s0, 0xfffffd80
	v_fmac_f32_e32 v108, v48, v6
	global_load_ushort v48, v[82:83], off
	global_load_ushort v53, v[84:85], off
	ds_read_b128 v[14:17], v122 offset:64
	ds_read_b128 v[20:23], v122 offset:80
	s_cmp_lt_i32 s9, s10
	v_lshlrev_b32_e32 v6, 16, v64
	v_lshl_add_u64 v[74:75], s[12:13], 1, v[0:1]
	s_cselect_b32 s12, s9, s11
	v_fmac_f32_e32 v108, v49, v6
	global_load_ushort v49, v[86:87], off
	s_ashr_i32 s13, s12, 31
	s_add_i32 s9, s0, 0xfffffdc0
	global_load_ushort v55, v[88:89], off
	global_load_ushort v56, v[90:91], off
	s_cmp_lt_i32 s9, s10
	v_lshlrev_b32_e32 v6, 16, v65
	v_lshl_add_u64 v[8:9], s[12:13], 1, v[0:1]
	s_cselect_b32 s12, s9, s11
	s_waitcnt lgkmcnt(1)
	v_fmac_f32_e32 v108, v14, v6
	global_load_ushort v14, v[92:93], off
	global_load_ushort v57, v[94:95], off
	s_ashr_i32 s13, s12, 31
	s_add_i32 s9, s0, 0xfffffe00
	v_lshlrev_b32_e32 v6, 16, v66
	s_cmp_lt_i32 s9, s10
	v_fmac_f32_e32 v108, v15, v6
	global_load_ushort v15, v[98:99], off
	v_lshl_add_u64 v[4:5], s[12:13], 1, v[0:1]
	s_cselect_b32 s12, s9, s11
	s_ashr_i32 s13, s12, 31
	s_add_i32 s9, s0, 0xfffffe40
	s_cmp_lt_i32 s9, s10
	v_lshlrev_b32_e32 v6, 16, v67
	v_lshl_add_u64 v[10:11], s[12:13], 1, v[0:1]
	s_cselect_b32 s12, s9, s11
	v_fmac_f32_e32 v108, v16, v6
	global_load_ushort v16, v[100:101], off
	global_load_ushort v58, v[102:103], off
	s_ashr_i32 s13, s12, 31
	s_add_i32 s9, s0, 0xfffffe80
	v_lshlrev_b32_e32 v6, 16, v70
	s_cmp_lt_i32 s9, s10
	v_fmac_f32_e32 v108, v17, v6
	global_load_ushort v17, v[104:105], off
	v_lshlrev_b32_e32 v6, 16, v71
	v_lshl_add_u64 v[12:13], s[12:13], 1, v[0:1]
	s_cselect_b32 s12, s9, s11
	s_waitcnt lgkmcnt(0)
	v_fmac_f32_e32 v108, v20, v6
	global_load_ushort v20, v[106:107], off
	s_ashr_i32 s13, s12, 31
	s_add_i32 s9, s0, 0xfffffec0
	s_cmp_lt_i32 s9, s10
	global_load_ushort v59, v[96:97], off
	global_load_ushort v60, v[74:75], off
	;; [unrolled: 1-line block ×3, first 2 shown]
	v_lshl_add_u64 v[24:25], s[12:13], 1, v[0:1]
	s_cselect_b32 s12, s9, s11
	v_lshlrev_b32_e32 v6, 16, v121
	s_ashr_i32 s13, s12, 31
	s_add_i32 s9, s0, 0xffffff00
	v_fmac_f32_e32 v108, v21, v6
	v_lshlrev_b32_e32 v6, 16, v26
	s_cmp_lt_i32 s9, s10
	v_fmac_f32_e32 v108, v22, v6
	global_load_ushort v21, v[4:5], off
	global_load_ushort v22, v[10:11], off
	v_lshl_add_u64 v[18:19], s[12:13], 1, v[0:1]
	s_cselect_b32 s12, s9, s11
	s_ashr_i32 s13, s12, 31
	s_add_i32 s9, s0, 0xffffff40
	s_cmp_lt_i32 s9, s10
	v_lshlrev_b32_e32 v4, 16, v27
	v_lshl_add_u64 v[42:43], s[12:13], 1, v[0:1]
	s_cselect_b32 s12, s9, s11
	v_fmac_f32_e32 v108, v23, v4
	ds_read_b128 v[4:7], v122 offset:96
	s_ashr_i32 s13, s12, 31
	s_add_i32 s9, s0, 0xffffff80
	s_cmp_lt_i32 s9, s10
	global_load_ushort v26, v[12:13], off
	global_load_ushort v27, v[24:25], off
	v_lshl_add_u64 v[30:31], s[12:13], 1, v[0:1]
	s_cselect_b32 s12, s9, s11
	s_ashr_i32 s13, s12, 31
	s_sub_i32 s9, s0, 64
	v_lshlrev_b32_e32 v23, 16, v32
	s_cmp_lt_i32 s9, s10
	ds_read_b128 v[8:11], v122 offset:112
	s_waitcnt lgkmcnt(1)
	v_fmac_f32_e32 v108, v4, v23
	global_load_ushort v23, v[18:19], off
	global_load_ushort v24, v[42:43], off
	v_lshl_add_u64 v[44:45], s[12:13], 1, v[0:1]
	s_cselect_b32 s12, s9, s11
	s_ashr_i32 s13, s12, 31
	s_waitcnt vmcnt(29)
	v_lshlrev_b32_e32 v4, 16, v33
	s_cmp_lt_i32 s0, s10
	v_fmac_f32_e32 v108, v5, v4
	s_waitcnt vmcnt(26)
	v_lshlrev_b32_e32 v3, 16, v3
	global_load_ushort v18, v[30:31], off
	global_load_ushort v19, v[44:45], off
	v_lshl_add_u64 v[36:37], s[12:13], 1, v[0:1]
	s_cselect_b32 s12, s0, s11
	v_fmac_f32_e32 v108, v6, v3
	v_lshlrev_b32_e32 v3, 16, v40
	s_ashr_i32 s13, s12, 31
	v_fmac_f32_e32 v108, v7, v3
	v_lshlrev_b32_e32 v3, 16, v41
	v_lshl_add_u64 v[38:39], s[12:13], 1, v[0:1]
	s_waitcnt lgkmcnt(0)
	v_fmac_f32_e32 v108, v8, v3
	global_load_ushort v3, v[36:37], off
	global_load_ushort v25, v[38:39], off
	v_lshlrev_b32_e32 v4, 16, v54
	v_fmac_f32_e32 v108, v9, v4
	v_lshlrev_b32_e32 v4, 16, v28
	v_fmac_f32_e32 v108, v10, v4
	ds_read_b128 v[4:7], v122 offset:128
	v_lshlrev_b32_e32 v8, 16, v29
	v_fmac_f32_e32 v108, v11, v8
	ds_read_b128 v[8:11], v122 offset:144
	v_lshlrev_b32_e32 v12, 16, v34
	s_waitcnt lgkmcnt(1)
	v_fmac_f32_e32 v108, v4, v12
	v_lshlrev_b32_e32 v4, 16, v35
	v_fmac_f32_e32 v108, v5, v4
	s_waitcnt vmcnt(29)
	v_lshlrev_b32_e32 v4, 16, v50
	v_fmac_f32_e32 v108, v6, v4
	s_waitcnt vmcnt(28)
	;; [unrolled: 3-line block ×3, first 2 shown]
	v_lshlrev_b32_e32 v4, 16, v46
	s_waitcnt lgkmcnt(0)
	v_fmac_f32_e32 v108, v8, v4
	s_waitcnt vmcnt(26)
	v_lshlrev_b32_e32 v4, 16, v52
	v_fmac_f32_e32 v108, v9, v4
	s_waitcnt vmcnt(25)
	v_lshlrev_b32_e32 v4, 16, v47
	v_fmac_f32_e32 v108, v10, v4
	ds_read_b128 v[4:7], v122 offset:160
	s_waitcnt vmcnt(24)
	v_lshlrev_b32_e32 v8, 16, v48
	v_fmac_f32_e32 v108, v11, v8
	ds_read_b128 v[8:11], v122 offset:176
	s_waitcnt vmcnt(23)
	v_lshlrev_b32_e32 v12, 16, v53
	s_waitcnt lgkmcnt(1)
	v_fmac_f32_e32 v108, v4, v12
	s_waitcnt vmcnt(22)
	v_lshlrev_b32_e32 v4, 16, v49
	v_fmac_f32_e32 v108, v5, v4
	s_waitcnt vmcnt(21)
	v_lshlrev_b32_e32 v4, 16, v55
	;; [unrolled: 3-line block ×4, first 2 shown]
	s_waitcnt lgkmcnt(0)
	v_fmac_f32_e32 v108, v8, v4
	s_waitcnt vmcnt(18)
	v_lshlrev_b32_e32 v4, 16, v57
	v_fmac_f32_e32 v108, v9, v4
	s_waitcnt vmcnt(17)
	v_lshlrev_b32_e32 v4, 16, v15
	v_fmac_f32_e32 v108, v10, v4
	ds_read_b128 v[4:7], v122 offset:192
	s_waitcnt vmcnt(16)
	v_lshlrev_b32_e32 v8, 16, v16
	v_fmac_f32_e32 v108, v11, v8
	ds_read_b128 v[8:11], v122 offset:208
	s_waitcnt vmcnt(15)
	v_lshlrev_b32_e32 v12, 16, v58
	s_waitcnt lgkmcnt(1)
	v_fmac_f32_e32 v108, v4, v12
	s_waitcnt vmcnt(14)
	v_lshlrev_b32_e32 v4, 16, v17
	v_fmac_f32_e32 v108, v5, v4
	s_waitcnt vmcnt(13)
	v_lshlrev_b32_e32 v4, 16, v20
	;; [unrolled: 3-line block ×4, first 2 shown]
	v_lshlrev_b32_e32 v4, 16, v60
	s_waitcnt lgkmcnt(0)
	v_pk_mul_f32 v[4:5], v[8:9], v[4:5]
	s_waitcnt vmcnt(6)
	v_lshlrev_b32_e32 v13, 16, v27
	v_add_f32_e32 v4, v108, v4
	v_add_f32_e32 v6, v4, v5
	v_lshlrev_b32_e32 v5, 16, v22
	v_lshlrev_b32_e32 v4, 16, v21
	v_pk_mul_f32 v[8:9], v[10:11], v[4:5]
	v_lshlrev_b32_e32 v12, 16, v26
	v_add_f32_e32 v8, v6, v8
	ds_read_b128 v[4:7], v122 offset:224
	v_add_f32_e32 v14, v8, v9
	ds_read_b128 v[8:11], v122 offset:240
	s_waitcnt lgkmcnt(1)
	v_pk_mul_f32 v[4:5], v[4:5], v[12:13]
	s_nop 0
	v_add_f32_e32 v4, v14, v4
	v_add_f32_e32 v12, v4, v5
	s_waitcnt vmcnt(4)
	v_lshlrev_b32_e32 v5, 16, v24
	v_lshlrev_b32_e32 v4, 16, v23
	v_pk_mul_f32 v[4:5], v[6:7], v[4:5]
	s_nop 0
	v_add_f32_e32 v4, v12, v4
	v_add_f32_e32 v6, v4, v5
	s_waitcnt vmcnt(2)
	v_lshlrev_b32_e32 v5, 16, v19
	v_lshlrev_b32_e32 v4, 16, v18
	s_waitcnt lgkmcnt(0)
	v_pk_mul_f32 v[4:5], v[8:9], v[4:5]
	s_nop 0
	v_add_f32_e32 v4, v6, v4
	v_add_f32_e32 v6, v4, v5
	s_waitcnt vmcnt(0)
	v_lshlrev_b32_e32 v5, 16, v25
	v_lshlrev_b32_e32 v4, 16, v3
	v_pk_mul_f32 v[4:5], v[10:11], v[4:5]
	s_nop 0
	v_add_f32_e32 v3, v6, v4
	v_add_f32_e32 v108, v3, v5
	s_branch .LBB475_16
.LBB475_19:
	v_mov_b32_e32 v0, 0
	ds_read_b32 v0, v0 offset:4096
	s_cmp_lg_u64 s[6:7], 0
	s_cbranch_scc0 .LBB475_28
; %bb.20:
	s_load_dword s6, s[6:7], 0x0
	s_waitcnt lgkmcnt(0)
	v_div_scale_f32 v1, s[0:1], s6, s6, 1.0
	v_rcp_f32_e32 v3, v1
	v_div_scale_f32 v4, vcc, 1.0, s6, 1.0
	v_fma_f32 v5, -v1, v3, 1.0
	v_fmac_f32_e32 v3, v5, v3
	v_mul_f32_e32 v5, v4, v3
	v_fma_f32 v6, -v1, v5, v4
	v_fmac_f32_e32 v5, v6, v3
	v_fma_f32 v1, -v1, v5, v4
	v_div_fmas_f32 v1, v1, v3, v5
	v_div_fixup_f32 v1, v1, s6, 1.0
	s_andn2_b64 vcc, exec, s[50:51]
	s_cbranch_vccnz .LBB475_22
.LBB475_21:
	s_add_u32 s0, s48, s52
	s_addc_u32 s1, s49, s53
	s_load_dword s38, s[0:1], 0x0
	s_mov_b32 s39, 0
.LBB475_22:
	s_waitcnt lgkmcnt(0)
	v_add_f32_e32 v0, 0x358637bd, v0
	v_div_scale_f32 v3, s[0:1], v0, v0, 1.0
	v_rcp_f32_e32 v4, v3
	v_div_scale_f32 v5, vcc, 1.0, v0, 1.0
	s_mov_b32 s0, 0x7f800000
	v_fma_f32 v6, -v3, v4, 1.0
	v_fmac_f32_e32 v4, v6, v4
	v_mul_f32_e32 v6, v5, v4
	v_fma_f32 v7, -v3, v6, v5
	v_fmac_f32_e32 v6, v7, v4
	v_fma_f32 v3, -v3, v6, v5
	v_div_fmas_f32 v3, v3, v4, v6
	v_div_fixup_f32 v0, v3, v0, 1.0
	v_mul_f32_e32 v0, v108, v0
	v_mul_f32_e32 v1, v0, v1
	v_and_b32_e32 v0, 0x7f800000, v1
	v_cmp_ne_u32_e32 vcc, s0, v0
                                        ; implicit-def: $vgpr0
	s_and_saveexec_b64 s[0:1], vcc
	s_xor_b64 s[0:1], exec, s[0:1]
; %bb.23:
	v_bfe_u32 v0, v1, 16, 1
	s_movk_i32 s6, 0x7fff
	v_add3_u32 v0, v1, v0, s6
                                        ; implicit-def: $vgpr1
; %bb.24:
	s_andn2_saveexec_b64 s[0:1], s[0:1]
; %bb.25:
	v_mov_b32_e32 v0, 0
	v_or_b32_e32 v3, 0x10000, v1
	v_cmp_eq_u32_sdwa vcc, v1, v0 src0_sel:WORD_0 src1_sel:DWORD
	s_nop 1
	v_cndmask_b32_e32 v0, v3, v1, vcc
; %bb.26:
	s_or_b64 exec, exec, s[0:1]
	s_mul_i32 s0, s3, s39
	s_mul_hi_u32 s1, s3, s38
	s_add_i32 s1, s1, s0
	s_mul_i32 s0, s3, s38
	s_lshl_b64 s[0:1], s[0:1], 7
	s_add_u32 s4, s4, s0
	s_mov_b32 s3, 0
	s_addc_u32 s5, s5, s1
	s_lshl_b64 s[0:1], s[2:3], 7
	s_add_u32 s0, s4, s0
	s_addc_u32 s1, s5, s1
	global_store_short_d16_hi v2, v0, s[0:1]
	s_endpgm
.LBB475_27:
	s_mov_b64 s[6:7], 0
	s_branch .LBB475_2
.LBB475_28:
	v_mov_b32_e32 v1, 1.0
	s_andn2_b64 vcc, exec, s[50:51]
	s_cbranch_vccz .LBB475_21
	s_branch .LBB475_22
	.section	.rodata,"a",@progbits
	.p2align	6, 0x0
	.amdhsa_kernel _Z35paged_attention_ll4mi_reduce_kernelI14__hip_bfloat16S0_Li64ELi64ELi256ELi16EEvPT0_PKfS4_PKT_PKiS9_iS4_
		.amdhsa_group_segment_fixed_size 4100
		.amdhsa_private_segment_fixed_size 0
		.amdhsa_kernarg_size 320
		.amdhsa_user_sgpr_count 2
		.amdhsa_user_sgpr_dispatch_ptr 0
		.amdhsa_user_sgpr_queue_ptr 0
		.amdhsa_user_sgpr_kernarg_segment_ptr 1
		.amdhsa_user_sgpr_dispatch_id 0
		.amdhsa_user_sgpr_kernarg_preload_length 0
		.amdhsa_user_sgpr_kernarg_preload_offset 0
		.amdhsa_user_sgpr_private_segment_size 0
		.amdhsa_uses_dynamic_stack 0
		.amdhsa_enable_private_segment 0
		.amdhsa_system_sgpr_workgroup_id_x 1
		.amdhsa_system_sgpr_workgroup_id_y 1
		.amdhsa_system_sgpr_workgroup_id_z 0
		.amdhsa_system_sgpr_workgroup_info 0
		.amdhsa_system_vgpr_workitem_id 0
		.amdhsa_next_free_vgpr 123
		.amdhsa_next_free_sgpr 61
		.amdhsa_accum_offset 124
		.amdhsa_reserve_vcc 1
		.amdhsa_float_round_mode_32 0
		.amdhsa_float_round_mode_16_64 0
		.amdhsa_float_denorm_mode_32 3
		.amdhsa_float_denorm_mode_16_64 3
		.amdhsa_dx10_clamp 1
		.amdhsa_ieee_mode 1
		.amdhsa_fp16_overflow 0
		.amdhsa_tg_split 0
		.amdhsa_exception_fp_ieee_invalid_op 0
		.amdhsa_exception_fp_denorm_src 0
		.amdhsa_exception_fp_ieee_div_zero 0
		.amdhsa_exception_fp_ieee_overflow 0
		.amdhsa_exception_fp_ieee_underflow 0
		.amdhsa_exception_fp_ieee_inexact 0
		.amdhsa_exception_int_div_zero 0
	.end_amdhsa_kernel
	.section	.text._Z35paged_attention_ll4mi_reduce_kernelI14__hip_bfloat16S0_Li64ELi64ELi256ELi16EEvPT0_PKfS4_PKT_PKiS9_iS4_,"axG",@progbits,_Z35paged_attention_ll4mi_reduce_kernelI14__hip_bfloat16S0_Li64ELi64ELi256ELi16EEvPT0_PKfS4_PKT_PKiS9_iS4_,comdat
.Lfunc_end475:
	.size	_Z35paged_attention_ll4mi_reduce_kernelI14__hip_bfloat16S0_Li64ELi64ELi256ELi16EEvPT0_PKfS4_PKT_PKiS9_iS4_, .Lfunc_end475-_Z35paged_attention_ll4mi_reduce_kernelI14__hip_bfloat16S0_Li64ELi64ELi256ELi16EEvPT0_PKfS4_PKT_PKiS9_iS4_
                                        ; -- End function
	.section	.AMDGPU.csdata,"",@progbits
; Kernel info:
; codeLenInByte = 10852
; NumSgprs: 67
; NumVgprs: 123
; NumAgprs: 0
; TotalNumVgprs: 123
; ScratchSize: 0
; MemoryBound: 0
; FloatMode: 240
; IeeeMode: 1
; LDSByteSize: 4100 bytes/workgroup (compile time only)
; SGPRBlocks: 8
; VGPRBlocks: 15
; NumSGPRsForWavesPerEU: 67
; NumVGPRsForWavesPerEU: 123
; AccumOffset: 124
; Occupancy: 4
; WaveLimiterHint : 1
; COMPUTE_PGM_RSRC2:SCRATCH_EN: 0
; COMPUTE_PGM_RSRC2:USER_SGPR: 2
; COMPUTE_PGM_RSRC2:TRAP_HANDLER: 0
; COMPUTE_PGM_RSRC2:TGID_X_EN: 1
; COMPUTE_PGM_RSRC2:TGID_Y_EN: 1
; COMPUTE_PGM_RSRC2:TGID_Z_EN: 0
; COMPUTE_PGM_RSRC2:TIDIG_COMP_CNT: 0
; COMPUTE_PGM_RSRC3_GFX90A:ACCUM_OFFSET: 30
; COMPUTE_PGM_RSRC3_GFX90A:TG_SPLIT: 0
	.section	.text._Z38paged_attention_ll4mi_QKV_mfma4_kernelI14__hip_bfloat16S0_LN4vllm18Fp8KVCacheDataTypeE0ES0_Li16ELi64ELi256ELb0ELi1EEvPKT_PKT0_S8_ifPKiSA_SA_iPKfiiiPfSD_PS3_PT2_iSC_SC_,"axG",@progbits,_Z38paged_attention_ll4mi_QKV_mfma4_kernelI14__hip_bfloat16S0_LN4vllm18Fp8KVCacheDataTypeE0ES0_Li16ELi64ELi256ELb0ELi1EEvPKT_PKT0_S8_ifPKiSA_SA_iPKfiiiPfSD_PS3_PT2_iSC_SC_,comdat
	.protected	_Z38paged_attention_ll4mi_QKV_mfma4_kernelI14__hip_bfloat16S0_LN4vllm18Fp8KVCacheDataTypeE0ES0_Li16ELi64ELi256ELb0ELi1EEvPKT_PKT0_S8_ifPKiSA_SA_iPKfiiiPfSD_PS3_PT2_iSC_SC_ ; -- Begin function _Z38paged_attention_ll4mi_QKV_mfma4_kernelI14__hip_bfloat16S0_LN4vllm18Fp8KVCacheDataTypeE0ES0_Li16ELi64ELi256ELb0ELi1EEvPKT_PKT0_S8_ifPKiSA_SA_iPKfiiiPfSD_PS3_PT2_iSC_SC_
	.globl	_Z38paged_attention_ll4mi_QKV_mfma4_kernelI14__hip_bfloat16S0_LN4vllm18Fp8KVCacheDataTypeE0ES0_Li16ELi64ELi256ELb0ELi1EEvPKT_PKT0_S8_ifPKiSA_SA_iPKfiiiPfSD_PS3_PT2_iSC_SC_
	.p2align	8
	.type	_Z38paged_attention_ll4mi_QKV_mfma4_kernelI14__hip_bfloat16S0_LN4vllm18Fp8KVCacheDataTypeE0ES0_Li16ELi64ELi256ELb0ELi1EEvPKT_PKT0_S8_ifPKiSA_SA_iPKfiiiPfSD_PS3_PT2_iSC_SC_,@function
_Z38paged_attention_ll4mi_QKV_mfma4_kernelI14__hip_bfloat16S0_LN4vllm18Fp8KVCacheDataTypeE0ES0_Li16ELi64ELi256ELb0ELi1EEvPKT_PKT0_S8_ifPKiSA_SA_iPKfiiiPfSD_PS3_PT2_iSC_SC_: ; @_Z38paged_attention_ll4mi_QKV_mfma4_kernelI14__hip_bfloat16S0_LN4vllm18Fp8KVCacheDataTypeE0ES0_Li16ELi64ELi256ELb0ELi1EEvPKT_PKT0_S8_ifPKiSA_SA_iPKfiiiPfSD_PS3_PT2_iSC_SC_
; %bb.0:
	s_load_dwordx2 s[16:17], s[0:1], 0x30
	s_mov_b32 s20, s3
	s_mov_b64 s[6:7], 0
	s_waitcnt lgkmcnt(0)
	s_cmp_lg_u64 s[16:17], 0
	s_cselect_b64 s[18:19], -1, 0
	s_and_b64 vcc, exec, s[18:19]
	s_cbranch_vccz .LBB476_10
; %bb.1:
	s_add_i32 s8, s2, 1
	s_mov_b32 s9, 0
	s_lshl_b64 s[10:11], s[8:9], 2
	s_add_u32 s10, s16, s10
	s_mov_b32 s3, s9
	s_addc_u32 s11, s17, s11
	s_lshl_b64 s[8:9], s[2:3], 2
	s_add_u32 s8, s16, s8
	s_addc_u32 s9, s17, s9
	s_load_dword s5, s[10:11], 0x0
	s_load_dword s12, s[8:9], 0x0
	s_waitcnt lgkmcnt(0)
	s_sub_i32 s5, s5, s12
	s_cmp_eq_u32 s5, 1
	s_cselect_b64 s[8:9], -1, 0
	s_andn2_b64 vcc, exec, s[6:7]
	s_cbranch_vccnz .LBB476_3
.LBB476_2:
	s_mov_b32 s3, 0
	s_mov_b64 s[8:9], -1
.LBB476_3:
	s_andn2_b64 vcc, exec, s[8:9]
	s_cbranch_vccnz .LBB476_23
; %bb.4:
	s_load_dword s5, s[0:1], 0x9c
	s_load_dwordx2 s[6:7], s[0:1], 0x28
	s_add_u32 s24, s0, 0x90
	s_addc_u32 s25, s1, 0
	s_lshl_b64 s[28:29], s[2:3], 2
	s_waitcnt lgkmcnt(0)
	s_and_b32 s5, s5, 0xffff
	s_add_u32 s6, s6, s28
	s_addc_u32 s7, s7, s29
	s_load_dword s3, s[6:7], 0x0
	s_mul_i32 s10, s20, s5
	s_waitcnt lgkmcnt(0)
	s_cmp_ge_i32 s10, s3
	s_cbranch_scc1 .LBB476_23
; %bb.5:
	v_and_b32_e32 v2, 0xc0, v0
	v_add_u32_e32 v2, s10, v2
	v_lshrrev_b32_e32 v1, 6, v0
	v_cmp_gt_i32_e64 s[6:7], s3, v2
	v_cmp_le_i32_e32 vcc, s3, v2
                                        ; implicit-def: $sgpr21
                                        ; implicit-def: $sgpr11
	s_and_saveexec_b64 s[8:9], vcc
	s_xor_b64 s[8:9], exec, s[8:9]
	s_cbranch_execz .LBB476_7
; %bb.6:
	v_mul_u32_u24_e32 v2, 20, v1
	v_or_b32_e32 v2, 0xa00, v2
	v_mov_b32_e32 v3, 0xa50
	v_mov_b32_e32 v4, 0xff7fffff
	v_mad_u32_u24 v3, v1, 20, v3
	ds_write2_b32 v2, v4, v4 offset1:1
	v_mov_b32_e32 v2, 0
	ds_write2_b32 v3, v2, v2 offset1:1
	v_mov_b32_e32 v3, 0xa08
	s_mov_b32 s11, 0xff7fffff
	s_mov_b32 s21, 0
	v_mad_u32_u24 v3, v1, 20, v3
	v_mov_b32_e32 v5, 0xa58
	v_mad_u32_u24 v5, v1, 20, v5
	ds_write2_b32 v3, v4, v4 offset1:1
	ds_write2_b32 v5, v2, v2 offset1:1
                                        ; implicit-def: $vgpr2
.LBB476_7:
	s_or_saveexec_b64 s[26:27], s[8:9]
	s_load_dwordx2 s[22:23], s[0:1], 0x68
	s_load_dwordx4 s[12:15], s[0:1], 0x58
	s_load_dword s5, s[24:25], 0x4
	v_and_b32_e32 v40, 63, v0
	v_and_b32_e32 v39, 3, v0
	v_mov_b32_e32 v37, s21
	v_mov_b32_e32 v41, s11
	;; [unrolled: 1-line block ×5, first 2 shown]
                                        ; implicit-def: $vgpr3
                                        ; implicit-def: $vgpr7
                                        ; implicit-def: $vgpr11
                                        ; implicit-def: $vgpr15
                                        ; implicit-def: $vgpr19
                                        ; implicit-def: $vgpr23
                                        ; implicit-def: $vgpr27
                                        ; implicit-def: $vgpr31
	s_xor_b64 exec, exec, s[26:27]
	s_cbranch_execz .LBB476_17
; %bb.8:
	s_add_i32 s21, s3, 15
	s_load_dwordx2 s[8:9], s[0:1], 0x20
	s_load_dword s11, s[0:1], 0x38
	s_ashr_i32 s30, s21, 31
	s_lshr_b32 s30, s30, 28
	v_add_u32_e32 v38, s10, v0
	s_add_i32 s21, s21, s30
	v_ashrrev_i32_e32 v3, 31, v38
	s_ashr_i32 s21, s21, 4
	v_lshrrev_b32_e32 v3, 28, v3
	s_add_i32 s21, s21, -1
	v_add_u32_e32 v3, v38, v3
	s_waitcnt lgkmcnt(0)
	s_mul_i32 s30, s2, s11
	s_mov_b32 s31, 0
	v_ashrrev_i32_e32 v3, 4, v3
	v_mov_b32_e32 v4, s21
	v_cmp_gt_i32_e32 vcc, s3, v38
	s_lshl_b64 s[30:31], s[30:31], 2
	s_add_u32 s8, s8, s30
	v_cndmask_b32_e32 v4, v4, v3, vcc
	v_ashrrev_i32_e32 v3, 31, v2
	v_lshrrev_b32_e32 v3, 28, v3
	s_addc_u32 s9, s9, s31
	v_ashrrev_i32_e32 v5, 31, v4
	v_add_u32_e32 v2, v2, v3
	v_lshl_add_u64 v[8:9], v[4:5], 2, s[8:9]
	v_ashrrev_i32_e32 v4, 4, v2
	v_min_i32_e32 v2, s21, v4
	v_ashrrev_i32_e32 v3, 31, v2
	v_lshl_add_u64 v[10:11], v[2:3], 2, s[8:9]
	v_add_u32_e32 v2, 1, v4
	v_min_i32_e32 v2, s21, v2
	v_ashrrev_i32_e32 v3, 31, v2
	v_lshl_add_u64 v[12:13], v[2:3], 2, s[8:9]
	v_add_u32_e32 v2, 2, v4
	v_min_i32_e32 v2, s21, v2
	v_ashrrev_i32_e32 v3, 31, v2
	v_lshl_add_u64 v[14:15], v[2:3], 2, s[8:9]
	v_add_u32_e32 v2, 3, v4
	v_min_i32_e32 v2, s21, v2
	v_ashrrev_i32_e32 v3, 31, v2
	v_lshl_add_u64 v[16:17], v[2:3], 2, s[8:9]
	global_load_dword v2, v[8:9], off
	global_load_dword v7, v[10:11], off
	;; [unrolled: 1-line block ×5, first 2 shown]
	s_load_dwordx4 s[8:11], s[0:1], 0x8
	s_andn2_b64 vcc, exec, s[18:19]
	s_cbranch_vccnz .LBB476_11
; %bb.9:
	s_add_u32 s16, s16, s28
	s_addc_u32 s17, s17, s29
	s_load_dword s21, s[16:17], 0x0
	s_branch .LBB476_12
.LBB476_10:
	s_mov_b64 s[8:9], 0
	s_branch .LBB476_2
.LBB476_11:
	s_mov_b32 s21, s2
.LBB476_12:
	s_load_dwordx4 s[16:19], s[0:1], 0x48
	v_cmp_eq_u32_e32 vcc, 0, v39
	s_mov_b32 s29, 0
	v_mov_b32_e32 v41, 0
	v_mov_b32_e32 v3, 0
	;; [unrolled: 1-line block ×6, first 2 shown]
	s_and_saveexec_b64 s[30:31], vcc
	s_cbranch_execz .LBB476_14
; %bb.13:
	s_load_dwordx2 s[34:35], s[0:1], 0x0
	s_waitcnt lgkmcnt(0)
	s_ashr_i32 s19, s16, 31
	s_mul_hi_u32 s28, s21, s16
	s_mul_i32 s19, s21, s19
	s_add_i32 s37, s28, s19
	s_mul_i32 s36, s21, s16
	s_lshl_b64 s[36:37], s[36:37], 1
	s_add_u32 s16, s34, s36
	s_addc_u32 s19, s35, s37
	s_lshl_b32 s28, s4, 6
	s_lshl_b64 s[34:35], s[28:29], 1
	s_add_u32 s34, s16, s34
	s_addc_u32 s35, s19, s35
	v_lshlrev_b32_e32 v8, 2, v40
	global_load_dwordx4 v[34:37], v8, s[34:35]
	v_mov_b32_e32 v41, 1.0
.LBB476_14:
	s_or_b64 exec, exec, s[30:31]
	s_waitcnt lgkmcnt(0)
	s_mul_i32 s28, s4, s18
	s_lshl_b64 s[18:19], s[28:29], 1
	s_add_u32 s8, s18, s8
	s_waitcnt vmcnt(4)
	v_mad_i64_i32 v[8:9], s[30:31], v2, s17, 0
	s_addc_u32 s9, s19, s9
	v_and_b32_e32 v2, 15, v0
	v_lshl_add_u64 v[8:9], v[8:9], 1, s[8:9]
	v_lshlrev_b32_e32 v2, 4, v2
	v_lshl_add_u64 v[32:33], v[8:9], 0, v[2:3]
	global_load_dwordx4 v[8:11], v[32:33], off
	global_load_dwordx4 v[12:15], v[32:33], off offset:256
	global_load_dwordx4 v[16:19], v[32:33], off offset:512
	;; [unrolled: 1-line block ×7, first 2 shown]
	s_waitcnt vmcnt(11)
	v_mul_hi_i32 v2, v7, s17
	s_add_u32 s8, s10, s18
	s_waitcnt vmcnt(10)
	v_mul_hi_i32 v32, v6, s17
	s_waitcnt vmcnt(9)
	v_mul_hi_i32 v33, v5, s17
	v_ashrrev_i32_e32 v51, 31, v2
	s_addc_u32 s9, s11, s19
	v_lshlrev_b32_e32 v2, 5, v40
	s_waitcnt vmcnt(8)
	v_mul_hi_i32 v50, v4, s17
	v_ashrrev_i32_e32 v52, 31, v32
	v_ashrrev_i32_e32 v53, 31, v33
	v_lshl_add_u64 v[32:33], s[8:9], 0, v[2:3]
	v_lshrrev_b32_e32 v2, 29, v51
	v_ashrrev_i32_e32 v54, 31, v50
	v_mad_i64_i32 v[50:51], s[8:9], v7, s17, v[2:3]
	v_lshrrev_b32_e32 v2, 29, v52
	v_lshlrev_b64 v[50:51], 1, v[50:51]
	v_mad_i64_i32 v[6:7], s[8:9], v6, s17, v[2:3]
	v_lshrrev_b32_e32 v2, 29, v53
	v_and_b32_e32 v50, -16, v50
	v_lshlrev_b64 v[52:53], 1, v[6:7]
	v_mad_i64_i32 v[6:7], s[8:9], v5, s17, v[2:3]
	v_lshrrev_b32_e32 v2, 29, v54
	v_lshl_add_u64 v[50:51], v[32:33], 0, v[50:51]
	v_and_b32_e32 v52, -16, v52
	v_lshlrev_b64 v[54:55], 1, v[6:7]
	v_and_b32_e32 v54, -16, v54
	s_load_dword s0, s[0:1], 0x1c
	v_cmp_eq_u32_e32 vcc, 1, v39
	v_and_b32_e32 v59, -4, v38
	v_or_b32_e32 v38, 3, v38
	v_cndmask_b32_e64 v56, 0, 1.0, vcc
	v_cmp_eq_u32_e32 vcc, 2, v39
	v_cmp_gt_i32_e64 s[10:11], s3, v38
	v_lshlrev_b32_e32 v60, 2, v0
	v_cndmask_b32_e64 v57, 0, 1.0, vcc
	v_cmp_eq_u32_e32 vcc, 3, v39
	s_waitcnt vmcnt(7)
	v_mfma_f32_4x4x4_16b_bf16 a[0:3], v[34:35], v[8:9], 0 cbsz:4
	v_cndmask_b32_e64 v58, 0, 1.0, vcc
	s_nop 0
	v_mfma_f32_4x4x4_16b_bf16 a[0:3], v[36:37], v[10:11], a[0:3] cbsz:4
	v_mad_i64_i32 v[10:11], s[8:9], v4, s17, v[2:3]
	s_waitcnt vmcnt(6)
	v_mfma_f32_4x4x4_16b_bf16 a[0:3], v[34:35], v[12:13], a[0:3] cbsz:4 abid:1
	global_load_dwordx4 v[2:5], v[50:51], off
	global_load_dwordx4 v[6:9], v[50:51], off offset:16
	v_mfma_f32_4x4x4_16b_bf16 a[0:3], v[36:37], v[14:15], a[0:3] cbsz:4 abid:1
	v_lshl_add_u64 v[50:51], v[32:33], 0, v[52:53]
	v_lshlrev_b64 v[52:53], 1, v[10:11]
	s_waitcnt vmcnt(7)
	v_mfma_f32_4x4x4_16b_bf16 a[0:3], v[34:35], v[16:17], a[0:3] cbsz:4 abid:2
	global_load_dwordx4 v[10:13], v[50:51], off
	global_load_dwordx4 v[14:17], v[50:51], off offset:16
	v_mfma_f32_4x4x4_16b_bf16 a[0:3], v[36:37], v[18:19], a[0:3] cbsz:4 abid:2
	v_lshl_add_u64 v[50:51], v[32:33], 0, v[54:55]
	v_and_b32_e32 v52, -16, v52
	s_waitcnt vmcnt(8)
	v_mfma_f32_4x4x4_16b_bf16 a[0:3], v[34:35], v[20:21], a[0:3] cbsz:4 abid:3
	v_cmp_gt_i32_e32 vcc, s3, v59
	s_nop 0
	v_mfma_f32_4x4x4_16b_bf16 a[0:3], v[36:37], v[22:23], a[0:3] cbsz:4 abid:3
	s_waitcnt vmcnt(7)
	s_nop 0
	v_mfma_f32_4x4x4_16b_bf16 a[0:3], v[34:35], v[24:25], a[0:3] cbsz:4 abid:4
	global_load_dwordx4 v[18:21], v[50:51], off
	global_load_dwordx4 v[22:25], v[50:51], off offset:16
	v_mfma_f32_4x4x4_16b_bf16 a[0:3], v[36:37], v[26:27], a[0:3] cbsz:4 abid:4
	v_lshl_add_u64 v[50:51], v[32:33], 0, v[52:53]
	s_waitcnt vmcnt(8)
	v_mfma_f32_4x4x4_16b_bf16 a[0:3], v[34:35], v[28:29], a[0:3] cbsz:4 abid:5
	s_nop 1
	v_mfma_f32_4x4x4_16b_bf16 a[0:3], v[36:37], v[30:31], a[0:3] cbsz:4 abid:5
	global_load_dwordx4 v[26:29], v[50:51], off
	global_load_dwordx4 v[30:33], v[50:51], off offset:16
	s_waitcnt vmcnt(9)
	v_mfma_f32_4x4x4_16b_bf16 a[0:3], v[34:35], v[42:43], a[0:3] cbsz:4 abid:6
	v_mov_b32_e32 v42, 0xff7fffff
	v_and_or_b32 v43, v60, 48, v39
	v_mfma_f32_4x4x4_16b_bf16 a[0:3], v[36:37], v[44:45], a[0:3] cbsz:4 abid:6
	v_lshlrev_b32_e32 v43, 2, v43
	s_waitcnt vmcnt(8)
	v_mfma_f32_4x4x4_16b_bf16 a[0:3], v[34:35], v[46:47], a[0:3] cbsz:4 abid:7
	s_nop 1
	v_mfma_f32_4x4x4_16b_bf16 a[0:3], v[36:37], v[48:49], a[0:3] cbsz:4 abid:7
	s_nop 4
	v_accvgpr_read_b32 v35, a1
	v_accvgpr_read_b32 v34, a0
	s_waitcnt lgkmcnt(0)
	v_pk_mul_f32 v[34:35], s[0:1], v[34:35] op_sel_hi:[0,1]
	v_accvgpr_read_b32 v37, a3
	v_accvgpr_read_b32 v36, a2
	v_pk_mul_f32 v[36:37], s[0:1], v[36:37] op_sel_hi:[0,1]
	v_mfma_f32_4x4x1_16b_f32 a[0:3], v34, v41, 0
	v_or_b32_e32 v34, 1, v59
	s_nop 0
	v_mfma_f32_4x4x1_16b_f32 a[0:3], v35, v56, a[0:3]
	v_cmp_gt_i32_e64 s[0:1], s3, v34
	v_or_b32_e32 v35, 2, v59
	v_mfma_f32_4x4x1_16b_f32 a[0:3], v36, v57, a[0:3]
	v_cmp_gt_i32_e64 s[8:9], s3, v35
	s_nop 0
	v_mfma_f32_4x4x1_16b_f32 a[0:3], v37, v58, a[0:3]
	s_nop 3
	v_accvgpr_read_b32 v36, a0
	v_max_f32_e32 v41, v36, v36
	v_accvgpr_read_b32 v37, a1
	v_max_f32_e32 v41, 0xff7fffff, v41
	v_max_f32_e32 v46, v37, v37
	v_cndmask_b32_e32 v41, v42, v41, vcc
	v_accvgpr_read_b32 v44, a2
	v_max_f32_e32 v42, v41, v46
	v_max_f32_e32 v47, v44, v44
	v_cndmask_b32_e64 v34, v41, v42, s[0:1]
	v_accvgpr_read_b32 v45, a3
	v_max_f32_e32 v41, v34, v47
	v_max_f32_e32 v48, v45, v45
	v_cndmask_b32_e64 v34, v34, v41, s[8:9]
	v_max_f32_e32 v35, v34, v48
	v_cndmask_b32_e64 v34, v34, v35, s[10:11]
	;;#ASMSTART
	v_nop
 v_nop
 v_max_f32_dpp v34, v34, v34 row_ror:4
	;;#ASMEND
	s_nop 0
	;;#ASMSTART
	v_nop
 v_nop
 v_max_f32_dpp v34, v34, v34 row_ror:8
	;;#ASMEND
	ds_bpermute_b32 v34, v43, v34
	s_waitcnt lgkmcnt(0)
	;;#ASMSTART
	v_nop
 v_nop
 v_max_f32_dpp v34, v34, v34 row_ror:4
	;;#ASMEND
	s_nop 0
	;;#ASMSTART
	v_nop
 v_nop
 v_max_f32_dpp v41, v34, v34 row_ror:8
	;;#ASMEND
	s_nop 0
	v_sub_f32_e32 v34, v36, v41
	v_sub_f32_e32 v35, v37, v41
	v_mul_f32_e32 v34, 0x3fb8aa3b, v34
	v_sub_f32_e32 v36, v44, v41
	v_mul_f32_e32 v35, 0x3fb8aa3b, v35
	v_exp_f32_e32 v34, v34
	v_sub_f32_e32 v37, v45, v41
	v_mul_f32_e32 v36, 0x3fb8aa3b, v36
	v_exp_f32_e32 v35, v35
	v_mul_f32_e32 v37, 0x3fb8aa3b, v37
	v_exp_f32_e32 v36, v36
	v_exp_f32_e32 v37, v37
	v_cndmask_b32_e32 v34, 0, v34, vcc
	v_cndmask_b32_e64 v35, 0, v35, s[0:1]
	v_add_f32_e32 v38, 0, v34
	v_cndmask_b32_e64 v36, 0, v36, s[8:9]
	v_add_f32_e32 v38, v38, v35
	;; [unrolled: 2-line block ×3, first 2 shown]
	v_add_f32_e32 v38, v38, v37
	;;#ASMSTART
	v_nop
 v_nop
 v_add_f32_dpp v38, v38, v38 row_ror:4
	;;#ASMEND
	v_cmp_gt_u32_e32 vcc, 4, v40
	;;#ASMSTART
	v_nop
 v_nop
 v_add_f32_dpp v38, v38, v38 row_ror:8
	;;#ASMEND
	ds_bpermute_b32 v38, v43, v38
	s_waitcnt lgkmcnt(0)
	;;#ASMSTART
	v_nop
 v_nop
 v_add_f32_dpp v38, v38, v38 row_ror:4
	;;#ASMEND
	s_nop 0
	;;#ASMSTART
	v_nop
 v_nop
 v_add_f32_dpp v38, v38, v38 row_ror:8
	;;#ASMEND
	s_and_saveexec_b64 s[0:1], vcc
	s_cbranch_execz .LBB476_16
; %bb.15:
	v_mul_u32_u24_e32 v42, 20, v1
	v_lshl_add_u32 v42, v39, 2, v42
	v_add_u32_e32 v42, 0x800, v42
	ds_write2_b32 v42, v41, v38 offset0:128 offset1:148
.LBB476_16:
	s_or_b64 exec, exec, s[0:1]
.LBB476_17:
	s_or_b64 exec, exec, s[26:27]
	s_waitcnt lgkmcnt(0)
	s_barrier
	s_load_dword s0, s[24:25], 0x8
	v_lshlrev_b32_e32 v38, 2, v39
	v_add_u32_e32 v43, 0x800, v38
	ds_read2_b32 v[44:45], v43 offset0:128 offset1:133
	ds_read2_b32 v[46:47], v43 offset0:138 offset1:143
	s_mul_i32 s1, s5, s2
	s_waitcnt lgkmcnt(0)
	s_mul_i32 s0, s1, s0
	s_mov_b32 s1, 0xff7fffff
	v_max3_f32 v38, v44, s1, v45
	v_max3_f32 v42, v38, v46, v47
	v_sub_f32_e32 v38, v44, v42
	v_sub_f32_e32 v44, v45, v42
	v_mul_f32_e32 v44, 0x3fb8aa3b, v44
	ds_read2_b32 v[48:49], v43 offset0:148 offset1:153
	v_mul_f32_e32 v38, 0x3fb8aa3b, v38
	v_exp_f32_e32 v51, v44
	ds_read2_b32 v[44:45], v43 offset0:158 offset1:163
	v_sub_f32_e32 v43, v46, v42
	v_exp_f32_e32 v50, v38
	v_mul_f32_e32 v43, 0x3fb8aa3b, v43
	v_exp_f32_e32 v46, v43
	v_sub_f32_e32 v43, v47, v42
	v_mul_f32_e32 v43, 0x3fb8aa3b, v43
	v_exp_f32_e32 v47, v43
	s_waitcnt lgkmcnt(1)
	v_fma_f32 v43, v50, v48, 0
	v_fmac_f32_e32 v43, v51, v49
	s_waitcnt lgkmcnt(0)
	v_fmac_f32_e32 v43, v46, v44
	v_mov_b32_e32 v38, 0
	v_fmac_f32_e32 v43, v47, v45
	s_mov_b32 s1, 0
	v_cmp_eq_u32_e32 vcc, 0, v39
	s_and_saveexec_b64 s[2:3], vcc
	s_cbranch_execz .LBB476_19
; %bb.18:
	s_lshl_b64 s[8:9], s[0:1], 2
	s_add_u32 s12, s12, s8
	s_mov_b32 s21, s1
	s_addc_u32 s13, s13, s9
	s_lshl_b64 s[10:11], s[20:21], 2
	s_add_u32 s12, s12, s10
	s_addc_u32 s13, s13, s11
	s_add_u32 s8, s14, s8
	s_addc_u32 s9, s15, s9
	;; [unrolled: 2-line block ×3, first 2 shown]
	s_mul_i32 s8, s5, s4
	s_mov_b32 s9, s1
	s_lshl_b64 s[8:9], s[8:9], 2
	s_add_u32 s10, s12, s8
	s_addc_u32 s11, s13, s9
	s_add_u32 s8, s14, s8
	s_addc_u32 s9, s15, s9
	global_store_dword v38, v42, s[8:9]
	global_store_dword v38, v43, s[10:11]
.LBB476_19:
	s_or_b64 exec, exec, s[2:3]
	v_mov_b32_e32 v39, 0
	s_and_saveexec_b64 s[2:3], s[6:7]
	s_cbranch_execz .LBB476_21
; %bb.20:
	v_add_f32_e32 v38, 0x358637bd, v43
	v_div_scale_f32 v39, s[6:7], v38, v38, 1.0
	v_rcp_f32_e32 v43, v39
	v_div_scale_f32 v44, vcc, 1.0, v38, 1.0
	v_sub_f32_e32 v41, v41, v42
	v_fma_f32 v45, -v39, v43, 1.0
	v_fmac_f32_e32 v43, v45, v43
	v_mul_f32_e32 v45, v44, v43
	v_fma_f32 v46, -v39, v45, v44
	v_mul_f32_e32 v41, 0x3fb8aa3b, v41
	v_fmac_f32_e32 v45, v46, v43
	v_exp_f32_e32 v41, v41
	v_fma_f32 v39, -v39, v45, v44
	v_div_fmas_f32 v39, v39, v43, v45
	v_div_fixup_f32 v38, v39, v38, 1.0
	v_mul_f32_e32 v38, v41, v38
	v_pk_mul_f32 v[34:35], v[34:35], v[38:39] op_sel_hi:[1,0]
	v_pk_mul_f32 v[36:37], v[36:37], v[38:39] op_sel_hi:[1,0]
	v_bfe_u32 v38, v35, 16, 1
	v_bfe_u32 v39, v34, 16, 1
	s_movk_i32 s1, 0x7fff
	v_add3_u32 v34, v34, v39, s1
	v_add3_u32 v35, v35, v38, s1
	s_mov_b32 s6, 0x7060302
	v_perm_b32 v34, v35, v34, s6
	v_bfe_u32 v35, v37, 16, 1
	v_bfe_u32 v38, v36, 16, 1
	v_add3_u32 v36, v36, v38, s1
	v_add3_u32 v35, v37, v35, s1
	v_perm_b32 v35, v35, v36, s6
	s_waitcnt vmcnt(7)
	s_nop 0
	v_mfma_f32_4x4x4_16b_bf16 a[0:3], v[34:35], v[2:3], 0 cbsz:4
	s_nop 1
	v_mfma_f32_4x4x4_16b_bf16 a[0:3], v[34:35], v[4:5], a[0:3] cbsz:4 abid:1
	s_waitcnt vmcnt(6)
	s_nop 0
	v_mfma_f32_4x4x4_16b_bf16 a[0:3], v[34:35], v[6:7], a[0:3] cbsz:4 abid:2
	s_nop 1
	v_mfma_f32_4x4x4_16b_bf16 a[0:3], v[34:35], v[8:9], a[0:3] cbsz:4 abid:3
	s_waitcnt vmcnt(5)
	s_nop 0
	v_mfma_f32_4x4x4_16b_bf16 a[0:3], v[34:35], v[10:11], a[0:3] cbsz:4 abid:4
	;; [unrolled: 5-line block ×7, first 2 shown]
	s_nop 1
	v_mfma_f32_4x4x4_16b_bf16 a[0:3], v[34:35], v[32:33], a[0:3] cbsz:4 abid:15
	s_nop 4
	v_accvgpr_read_b32 v5, a1
	v_accvgpr_read_b32 v2, a2
	;; [unrolled: 1-line block ×4, first 2 shown]
	v_bfe_u32 v6, v5, 16, 1
	v_bfe_u32 v7, v4, 16, 1
	;; [unrolled: 1-line block ×3, first 2 shown]
	v_add3_u32 v5, v5, v6, s1
	v_bfe_u32 v6, v2, 16, 1
	v_add3_u32 v4, v4, v7, s1
	v_add3_u32 v2, v2, v6, s1
	;; [unrolled: 1-line block ×3, first 2 shown]
	v_perm_b32 v39, v3, v2, s6
	v_perm_b32 v38, v5, v4, s6
.LBB476_21:
	s_or_b64 exec, exec, s[2:3]
	v_lshlrev_b32_e32 v1, 3, v1
	v_mad_u32_u24 v1, v40, 40, v1
	v_cmp_gt_u32_e32 vcc, 64, v0
	ds_write_b64 v1, v[38:39]
	s_waitcnt lgkmcnt(0)
	s_barrier
	s_and_saveexec_b64 s[2:3], vcc
	s_cbranch_execz .LBB476_23
; %bb.22:
	s_waitcnt vmcnt(6)
	v_mul_u32_u24_e32 v6, 40, v40
	ds_read2_b64 v[2:5], v6 offset1:1
	ds_read2_b64 v[6:9], v6 offset0:2 offset1:3
	s_lshl_b32 s0, s0, 6
	s_mov_b32 s1, 0
	s_lshl_b64 s[2:3], s[0:1], 1
	s_waitcnt lgkmcnt(1)
	v_lshlrev_b32_e32 v2, 16, v2
	v_add_f32_e32 v2, 0, v2
	s_add_u32 s2, s22, s2
	v_and_b32_e32 v2, 0xffff0000, v2
	v_lshlrev_b32_e32 v3, 16, v4
	s_addc_u32 s3, s23, s3
	s_lshl_b32 s0, s20, 6
	v_add_f32_e32 v2, v2, v3
	s_lshl_b64 s[0:1], s[0:1], 1
	v_and_b32_e32 v2, 0xffff0000, v2
	s_waitcnt lgkmcnt(0)
	v_lshlrev_b32_e32 v3, 16, v6
	s_add_u32 s0, s2, s0
	s_mul_i32 s4, s4, s5
	v_add_f32_e32 v2, v2, v3
	s_addc_u32 s1, s3, s1
	v_lshl_or_b32 v0, s4, 6, v0
	v_mov_b32_e32 v1, 0
	v_and_b32_e32 v2, 0xffff0000, v2
	v_lshlrev_b32_e32 v3, 16, v8
	v_lshl_add_u64 v[0:1], v[0:1], 1, s[0:1]
	v_add_f32_e32 v2, v2, v3
	global_store_short_d16_hi v[0:1], v2, off
.LBB476_23:
	s_endpgm
	.section	.rodata,"a",@progbits
	.p2align	6, 0x0
	.amdhsa_kernel _Z38paged_attention_ll4mi_QKV_mfma4_kernelI14__hip_bfloat16S0_LN4vllm18Fp8KVCacheDataTypeE0ES0_Li16ELi64ELi256ELb0ELi1EEvPKT_PKT0_S8_ifPKiSA_SA_iPKfiiiPfSD_PS3_PT2_iSC_SC_
		.amdhsa_group_segment_fixed_size 2720
		.amdhsa_private_segment_fixed_size 0
		.amdhsa_kernarg_size 400
		.amdhsa_user_sgpr_count 2
		.amdhsa_user_sgpr_dispatch_ptr 0
		.amdhsa_user_sgpr_queue_ptr 0
		.amdhsa_user_sgpr_kernarg_segment_ptr 1
		.amdhsa_user_sgpr_dispatch_id 0
		.amdhsa_user_sgpr_kernarg_preload_length 0
		.amdhsa_user_sgpr_kernarg_preload_offset 0
		.amdhsa_user_sgpr_private_segment_size 0
		.amdhsa_uses_dynamic_stack 0
		.amdhsa_enable_private_segment 0
		.amdhsa_system_sgpr_workgroup_id_x 1
		.amdhsa_system_sgpr_workgroup_id_y 1
		.amdhsa_system_sgpr_workgroup_id_z 1
		.amdhsa_system_sgpr_workgroup_info 0
		.amdhsa_system_vgpr_workitem_id 0
		.amdhsa_next_free_vgpr 68
		.amdhsa_next_free_sgpr 38
		.amdhsa_accum_offset 64
		.amdhsa_reserve_vcc 1
		.amdhsa_float_round_mode_32 0
		.amdhsa_float_round_mode_16_64 0
		.amdhsa_float_denorm_mode_32 3
		.amdhsa_float_denorm_mode_16_64 3
		.amdhsa_dx10_clamp 1
		.amdhsa_ieee_mode 1
		.amdhsa_fp16_overflow 0
		.amdhsa_tg_split 0
		.amdhsa_exception_fp_ieee_invalid_op 0
		.amdhsa_exception_fp_denorm_src 0
		.amdhsa_exception_fp_ieee_div_zero 0
		.amdhsa_exception_fp_ieee_overflow 0
		.amdhsa_exception_fp_ieee_underflow 0
		.amdhsa_exception_fp_ieee_inexact 0
		.amdhsa_exception_int_div_zero 0
	.end_amdhsa_kernel
	.section	.text._Z38paged_attention_ll4mi_QKV_mfma4_kernelI14__hip_bfloat16S0_LN4vllm18Fp8KVCacheDataTypeE0ES0_Li16ELi64ELi256ELb0ELi1EEvPKT_PKT0_S8_ifPKiSA_SA_iPKfiiiPfSD_PS3_PT2_iSC_SC_,"axG",@progbits,_Z38paged_attention_ll4mi_QKV_mfma4_kernelI14__hip_bfloat16S0_LN4vllm18Fp8KVCacheDataTypeE0ES0_Li16ELi64ELi256ELb0ELi1EEvPKT_PKT0_S8_ifPKiSA_SA_iPKfiiiPfSD_PS3_PT2_iSC_SC_,comdat
.Lfunc_end476:
	.size	_Z38paged_attention_ll4mi_QKV_mfma4_kernelI14__hip_bfloat16S0_LN4vllm18Fp8KVCacheDataTypeE0ES0_Li16ELi64ELi256ELb0ELi1EEvPKT_PKT0_S8_ifPKiSA_SA_iPKfiiiPfSD_PS3_PT2_iSC_SC_, .Lfunc_end476-_Z38paged_attention_ll4mi_QKV_mfma4_kernelI14__hip_bfloat16S0_LN4vllm18Fp8KVCacheDataTypeE0ES0_Li16ELi64ELi256ELb0ELi1EEvPKT_PKT0_S8_ifPKiSA_SA_iPKfiiiPfSD_PS3_PT2_iSC_SC_
                                        ; -- End function
	.section	.AMDGPU.csdata,"",@progbits
; Kernel info:
; codeLenInByte = 3176
; NumSgprs: 44
; NumVgprs: 61
; NumAgprs: 4
; TotalNumVgprs: 68
; ScratchSize: 0
; MemoryBound: 0
; FloatMode: 240
; IeeeMode: 1
; LDSByteSize: 2720 bytes/workgroup (compile time only)
; SGPRBlocks: 5
; VGPRBlocks: 8
; NumSGPRsForWavesPerEU: 44
; NumVGPRsForWavesPerEU: 68
; AccumOffset: 64
; Occupancy: 7
; WaveLimiterHint : 1
; COMPUTE_PGM_RSRC2:SCRATCH_EN: 0
; COMPUTE_PGM_RSRC2:USER_SGPR: 2
; COMPUTE_PGM_RSRC2:TRAP_HANDLER: 0
; COMPUTE_PGM_RSRC2:TGID_X_EN: 1
; COMPUTE_PGM_RSRC2:TGID_Y_EN: 1
; COMPUTE_PGM_RSRC2:TGID_Z_EN: 1
; COMPUTE_PGM_RSRC2:TIDIG_COMP_CNT: 0
; COMPUTE_PGM_RSRC3_GFX90A:ACCUM_OFFSET: 15
; COMPUTE_PGM_RSRC3_GFX90A:TG_SPLIT: 0
	.section	.text._Z38paged_attention_ll4mi_QKV_mfma4_kernelI14__hip_bfloat16S0_LN4vllm18Fp8KVCacheDataTypeE0ES0_Li16ELi64ELi256ELb0ELi2EEvPKT_PKT0_S8_ifPKiSA_SA_iPKfiiiPfSD_PS3_PT2_iSC_SC_,"axG",@progbits,_Z38paged_attention_ll4mi_QKV_mfma4_kernelI14__hip_bfloat16S0_LN4vllm18Fp8KVCacheDataTypeE0ES0_Li16ELi64ELi256ELb0ELi2EEvPKT_PKT0_S8_ifPKiSA_SA_iPKfiiiPfSD_PS3_PT2_iSC_SC_,comdat
	.protected	_Z38paged_attention_ll4mi_QKV_mfma4_kernelI14__hip_bfloat16S0_LN4vllm18Fp8KVCacheDataTypeE0ES0_Li16ELi64ELi256ELb0ELi2EEvPKT_PKT0_S8_ifPKiSA_SA_iPKfiiiPfSD_PS3_PT2_iSC_SC_ ; -- Begin function _Z38paged_attention_ll4mi_QKV_mfma4_kernelI14__hip_bfloat16S0_LN4vllm18Fp8KVCacheDataTypeE0ES0_Li16ELi64ELi256ELb0ELi2EEvPKT_PKT0_S8_ifPKiSA_SA_iPKfiiiPfSD_PS3_PT2_iSC_SC_
	.globl	_Z38paged_attention_ll4mi_QKV_mfma4_kernelI14__hip_bfloat16S0_LN4vllm18Fp8KVCacheDataTypeE0ES0_Li16ELi64ELi256ELb0ELi2EEvPKT_PKT0_S8_ifPKiSA_SA_iPKfiiiPfSD_PS3_PT2_iSC_SC_
	.p2align	8
	.type	_Z38paged_attention_ll4mi_QKV_mfma4_kernelI14__hip_bfloat16S0_LN4vllm18Fp8KVCacheDataTypeE0ES0_Li16ELi64ELi256ELb0ELi2EEvPKT_PKT0_S8_ifPKiSA_SA_iPKfiiiPfSD_PS3_PT2_iSC_SC_,@function
_Z38paged_attention_ll4mi_QKV_mfma4_kernelI14__hip_bfloat16S0_LN4vllm18Fp8KVCacheDataTypeE0ES0_Li16ELi64ELi256ELb0ELi2EEvPKT_PKT0_S8_ifPKiSA_SA_iPKfiiiPfSD_PS3_PT2_iSC_SC_: ; @_Z38paged_attention_ll4mi_QKV_mfma4_kernelI14__hip_bfloat16S0_LN4vllm18Fp8KVCacheDataTypeE0ES0_Li16ELi64ELi256ELb0ELi2EEvPKT_PKT0_S8_ifPKiSA_SA_iPKfiiiPfSD_PS3_PT2_iSC_SC_
; %bb.0:
	s_load_dwordx2 s[16:17], s[0:1], 0x30
	s_mov_b32 s20, s3
	s_mov_b64 s[6:7], 0
	s_waitcnt lgkmcnt(0)
	s_cmp_lg_u64 s[16:17], 0
	s_cselect_b64 s[18:19], -1, 0
	s_and_b64 vcc, exec, s[18:19]
	s_cbranch_vccz .LBB477_10
; %bb.1:
	s_add_i32 s8, s2, 1
	s_mov_b32 s9, 0
	s_lshl_b64 s[10:11], s[8:9], 2
	s_add_u32 s10, s16, s10
	s_mov_b32 s3, s9
	s_addc_u32 s11, s17, s11
	s_lshl_b64 s[8:9], s[2:3], 2
	s_add_u32 s8, s16, s8
	s_addc_u32 s9, s17, s9
	s_load_dword s5, s[10:11], 0x0
	s_load_dword s12, s[8:9], 0x0
	s_waitcnt lgkmcnt(0)
	s_sub_i32 s5, s5, s12
	s_cmp_eq_u32 s5, 1
	s_cselect_b64 s[8:9], -1, 0
	s_andn2_b64 vcc, exec, s[6:7]
	s_cbranch_vccnz .LBB477_3
.LBB477_2:
	s_mov_b32 s3, 0
	s_mov_b64 s[8:9], -1
.LBB477_3:
	s_andn2_b64 vcc, exec, s[8:9]
	s_cbranch_vccnz .LBB477_23
; %bb.4:
	s_load_dword s5, s[0:1], 0x9c
	s_load_dwordx2 s[6:7], s[0:1], 0x28
	s_add_u32 s24, s0, 0x90
	s_addc_u32 s25, s1, 0
	s_lshl_b64 s[28:29], s[2:3], 2
	s_waitcnt lgkmcnt(0)
	s_and_b32 s5, s5, 0xffff
	s_add_u32 s6, s6, s28
	s_addc_u32 s7, s7, s29
	s_load_dword s3, s[6:7], 0x0
	s_mul_i32 s10, s20, s5
	s_waitcnt lgkmcnt(0)
	s_cmp_ge_i32 s10, s3
	s_cbranch_scc1 .LBB477_23
; %bb.5:
	v_and_b32_e32 v2, 0xc0, v0
	v_add_u32_e32 v2, s10, v2
	v_lshrrev_b32_e32 v1, 6, v0
	v_cmp_gt_i32_e64 s[6:7], s3, v2
	v_cmp_le_i32_e32 vcc, s3, v2
                                        ; implicit-def: $sgpr21
                                        ; implicit-def: $sgpr11
	s_and_saveexec_b64 s[8:9], vcc
	s_xor_b64 s[8:9], exec, s[8:9]
	s_cbranch_execz .LBB477_7
; %bb.6:
	v_mul_u32_u24_e32 v2, 20, v1
	v_or_b32_e32 v2, 0xa00, v2
	v_mov_b32_e32 v3, 0xa50
	v_mov_b32_e32 v4, 0xff7fffff
	v_mad_u32_u24 v3, v1, 20, v3
	ds_write2_b32 v2, v4, v4 offset1:1
	v_mov_b32_e32 v2, 0
	ds_write2_b32 v3, v2, v2 offset1:1
	v_mov_b32_e32 v3, 0xa08
	s_mov_b32 s11, 0xff7fffff
	s_mov_b32 s21, 0
	v_mad_u32_u24 v3, v1, 20, v3
	v_mov_b32_e32 v5, 0xa58
	v_mad_u32_u24 v5, v1, 20, v5
	ds_write2_b32 v3, v4, v4 offset1:1
	ds_write2_b32 v5, v2, v2 offset1:1
                                        ; implicit-def: $vgpr2
.LBB477_7:
	s_or_saveexec_b64 s[26:27], s[8:9]
	s_load_dwordx2 s[22:23], s[0:1], 0x68
	s_load_dwordx4 s[12:15], s[0:1], 0x58
	s_load_dword s5, s[24:25], 0x4
	v_and_b32_e32 v40, 63, v0
	v_and_b32_e32 v38, 3, v0
	v_mov_b32_e32 v37, s21
	v_mov_b32_e32 v41, s11
	;; [unrolled: 1-line block ×5, first 2 shown]
                                        ; implicit-def: $vgpr3
                                        ; implicit-def: $vgpr7
                                        ; implicit-def: $vgpr11
                                        ; implicit-def: $vgpr15
                                        ; implicit-def: $vgpr19
                                        ; implicit-def: $vgpr23
                                        ; implicit-def: $vgpr27
                                        ; implicit-def: $vgpr31
	s_xor_b64 exec, exec, s[26:27]
	s_cbranch_execz .LBB477_17
; %bb.8:
	s_add_i32 s21, s3, 15
	s_load_dwordx2 s[8:9], s[0:1], 0x20
	s_load_dword s11, s[0:1], 0x38
	s_ashr_i32 s30, s21, 31
	s_lshr_b32 s30, s30, 28
	v_add_u32_e32 v39, s10, v0
	s_add_i32 s21, s21, s30
	v_ashrrev_i32_e32 v3, 31, v39
	s_ashr_i32 s21, s21, 4
	v_lshrrev_b32_e32 v3, 28, v3
	s_add_i32 s21, s21, -1
	v_add_u32_e32 v3, v39, v3
	s_waitcnt lgkmcnt(0)
	s_mul_i32 s30, s2, s11
	s_mov_b32 s31, 0
	v_ashrrev_i32_e32 v3, 4, v3
	v_mov_b32_e32 v4, s21
	v_cmp_gt_i32_e32 vcc, s3, v39
	s_lshl_b64 s[30:31], s[30:31], 2
	s_add_u32 s8, s8, s30
	v_cndmask_b32_e32 v4, v4, v3, vcc
	v_ashrrev_i32_e32 v3, 31, v2
	v_lshrrev_b32_e32 v3, 28, v3
	s_addc_u32 s9, s9, s31
	v_ashrrev_i32_e32 v5, 31, v4
	v_add_u32_e32 v2, v2, v3
	v_lshl_add_u64 v[8:9], v[4:5], 2, s[8:9]
	v_ashrrev_i32_e32 v4, 4, v2
	v_min_i32_e32 v2, s21, v4
	v_ashrrev_i32_e32 v3, 31, v2
	v_lshl_add_u64 v[10:11], v[2:3], 2, s[8:9]
	v_add_u32_e32 v2, 1, v4
	v_min_i32_e32 v2, s21, v2
	v_ashrrev_i32_e32 v3, 31, v2
	v_lshl_add_u64 v[12:13], v[2:3], 2, s[8:9]
	v_add_u32_e32 v2, 2, v4
	;; [unrolled: 4-line block ×3, first 2 shown]
	v_min_i32_e32 v2, s21, v2
	v_ashrrev_i32_e32 v3, 31, v2
	v_lshl_add_u64 v[16:17], v[2:3], 2, s[8:9]
	global_load_dword v2, v[8:9], off
	global_load_dword v7, v[10:11], off
	;; [unrolled: 1-line block ×5, first 2 shown]
	s_load_dwordx4 s[8:11], s[0:1], 0x8
	s_andn2_b64 vcc, exec, s[18:19]
	s_cbranch_vccnz .LBB477_11
; %bb.9:
	s_add_u32 s16, s16, s28
	s_addc_u32 s17, s17, s29
	s_load_dword s21, s[16:17], 0x0
	s_branch .LBB477_12
.LBB477_10:
	s_mov_b64 s[8:9], 0
	s_branch .LBB477_2
.LBB477_11:
	s_mov_b32 s21, s2
.LBB477_12:
	s_load_dwordx4 s[16:19], s[0:1], 0x48
	v_cmp_gt_u32_e32 vcc, 2, v38
	s_mov_b32 s29, 0
	v_mov_b32_e32 v3, 0
	v_mov_b32_e32 v34, 0
	;; [unrolled: 1-line block ×5, first 2 shown]
	s_and_saveexec_b64 s[30:31], vcc
	s_cbranch_execz .LBB477_14
; %bb.13:
	s_load_dwordx2 s[34:35], s[0:1], 0x0
	s_waitcnt lgkmcnt(0)
	s_ashr_i32 s19, s16, 31
	s_mul_hi_u32 s28, s21, s16
	s_mul_i32 s19, s21, s19
	s_add_i32 s37, s28, s19
	s_mul_i32 s36, s21, s16
	s_lshl_b64 s[36:37], s[36:37], 1
	s_add_u32 s16, s34, s36
	s_addc_u32 s19, s35, s37
	s_lshl_b32 s28, s4, 7
	s_lshl_b64 s[34:35], s[28:29], 1
	s_add_u32 s34, s16, s34
	v_lshlrev_b32_e32 v8, 3, v38
	v_lshrrev_b32_e32 v9, 2, v40
	s_addc_u32 s35, s19, s35
	v_add_lshl_u32 v8, v8, v9, 4
	global_load_dwordx4 v[34:37], v8, s[34:35]
.LBB477_14:
	s_or_b64 exec, exec, s[30:31]
	s_waitcnt lgkmcnt(0)
	s_mul_i32 s28, s4, s18
	s_lshl_b64 s[18:19], s[28:29], 1
	s_add_u32 s8, s18, s8
	s_waitcnt vmcnt(4)
	v_mad_i64_i32 v[8:9], s[30:31], v2, s17, 0
	s_addc_u32 s9, s19, s9
	v_and_b32_e32 v2, 15, v0
	v_lshl_add_u64 v[8:9], v[8:9], 1, s[8:9]
	v_lshlrev_b32_e32 v2, 4, v2
	v_lshl_add_u64 v[32:33], v[8:9], 0, v[2:3]
	global_load_dwordx4 v[8:11], v[32:33], off
	global_load_dwordx4 v[12:15], v[32:33], off offset:256
	global_load_dwordx4 v[16:19], v[32:33], off offset:512
	;; [unrolled: 1-line block ×7, first 2 shown]
	s_waitcnt vmcnt(11)
	v_mul_hi_i32 v2, v7, s17
	s_add_u32 s8, s10, s18
	s_waitcnt vmcnt(10)
	v_mul_hi_i32 v32, v6, s17
	s_waitcnt vmcnt(9)
	v_mul_hi_i32 v33, v5, s17
	v_ashrrev_i32_e32 v50, 31, v2
	s_addc_u32 s9, s11, s19
	v_lshlrev_b32_e32 v2, 5, v40
	v_ashrrev_i32_e32 v52, 31, v32
	v_ashrrev_i32_e32 v53, 31, v33
	v_lshl_add_u64 v[32:33], s[8:9], 0, v[2:3]
	v_lshrrev_b32_e32 v2, 29, v50
	s_waitcnt vmcnt(8)
	v_mul_hi_i32 v41, v4, s17
	v_mad_i64_i32 v[50:51], s[8:9], v7, s17, v[2:3]
	v_lshrrev_b32_e32 v2, 29, v52
	v_ashrrev_i32_e32 v41, 31, v41
	v_lshlrev_b64 v[50:51], 1, v[50:51]
	v_mad_i64_i32 v[6:7], s[8:9], v6, s17, v[2:3]
	v_lshrrev_b32_e32 v2, 29, v53
	v_and_b32_e32 v50, -16, v50
	v_lshlrev_b64 v[52:53], 1, v[6:7]
	v_mad_i64_i32 v[6:7], s[8:9], v5, s17, v[2:3]
	v_lshrrev_b32_e32 v2, 29, v41
	v_lshl_add_u64 v[50:51], v[32:33], 0, v[50:51]
	v_and_b32_e32 v52, -16, v52
	v_lshlrev_b64 v[54:55], 1, v[6:7]
	v_and_b32_e32 v54, -16, v54
	s_load_dword s0, s[0:1], 0x1c
	v_cmp_eq_u32_e32 vcc, 0, v38
	v_and_b32_e32 v60, -4, v39
	v_mov_b32_e32 v41, 0xff7fffff
	v_cndmask_b32_e64 v56, 0, 1.0, vcc
	v_cmp_eq_u32_e32 vcc, 1, v38
	v_or_b32_e32 v39, 3, v39
	v_cmp_gt_i32_e64 s[10:11], s3, v39
	v_cndmask_b32_e64 v57, 0, 1.0, vcc
	v_cmp_eq_u32_e32 vcc, 2, v38
	v_lshlrev_b32_e32 v61, 2, v0
	s_waitcnt vmcnt(7)
	v_mfma_f32_4x4x4_16b_bf16 a[0:3], v[34:35], v[8:9], 0 cbsz:4
	v_cndmask_b32_e64 v58, 0, 1.0, vcc
	s_nop 0
	v_mfma_f32_4x4x4_16b_bf16 a[0:3], v[36:37], v[10:11], a[0:3] cbsz:4
	v_mad_i64_i32 v[10:11], s[8:9], v4, s17, v[2:3]
	s_waitcnt vmcnt(6)
	v_mfma_f32_4x4x4_16b_bf16 a[0:3], v[34:35], v[12:13], a[0:3] cbsz:4 abid:1
	global_load_dwordx4 v[2:5], v[50:51], off
	global_load_dwordx4 v[6:9], v[50:51], off offset:16
	v_mfma_f32_4x4x4_16b_bf16 a[0:3], v[36:37], v[14:15], a[0:3] cbsz:4 abid:1
	v_lshl_add_u64 v[50:51], v[32:33], 0, v[52:53]
	v_lshlrev_b64 v[52:53], 1, v[10:11]
	s_waitcnt vmcnt(7)
	v_mfma_f32_4x4x4_16b_bf16 a[0:3], v[34:35], v[16:17], a[0:3] cbsz:4 abid:2
	global_load_dwordx4 v[10:13], v[50:51], off
	global_load_dwordx4 v[14:17], v[50:51], off offset:16
	v_mfma_f32_4x4x4_16b_bf16 a[0:3], v[36:37], v[18:19], a[0:3] cbsz:4 abid:2
	v_lshl_add_u64 v[50:51], v[32:33], 0, v[54:55]
	v_and_b32_e32 v52, -16, v52
	s_waitcnt vmcnt(8)
	v_mfma_f32_4x4x4_16b_bf16 a[0:3], v[34:35], v[20:21], a[0:3] cbsz:4 abid:3
	v_cmp_eq_u32_e32 vcc, 3, v38
	s_nop 0
	v_mfma_f32_4x4x4_16b_bf16 a[0:3], v[36:37], v[22:23], a[0:3] cbsz:4 abid:3
	v_cndmask_b32_e64 v59, 0, 1.0, vcc
	v_cmp_gt_i32_e32 vcc, s3, v60
	s_waitcnt vmcnt(7)
	v_mfma_f32_4x4x4_16b_bf16 a[0:3], v[34:35], v[24:25], a[0:3] cbsz:4 abid:4
	global_load_dwordx4 v[18:21], v[50:51], off
	global_load_dwordx4 v[22:25], v[50:51], off offset:16
	v_mfma_f32_4x4x4_16b_bf16 a[0:3], v[36:37], v[26:27], a[0:3] cbsz:4 abid:4
	v_lshl_add_u64 v[50:51], v[32:33], 0, v[52:53]
	s_waitcnt vmcnt(8)
	v_mfma_f32_4x4x4_16b_bf16 a[0:3], v[34:35], v[28:29], a[0:3] cbsz:4 abid:5
	s_nop 1
	v_mfma_f32_4x4x4_16b_bf16 a[0:3], v[36:37], v[30:31], a[0:3] cbsz:4 abid:5
	global_load_dwordx4 v[26:29], v[50:51], off
	global_load_dwordx4 v[30:33], v[50:51], off offset:16
	s_waitcnt vmcnt(9)
	v_mfma_f32_4x4x4_16b_bf16 a[0:3], v[34:35], v[42:43], a[0:3] cbsz:4 abid:6
	v_and_or_b32 v42, v61, 48, v38
	v_lshlrev_b32_e32 v42, 2, v42
	v_mfma_f32_4x4x4_16b_bf16 a[0:3], v[36:37], v[44:45], a[0:3] cbsz:4 abid:6
	s_waitcnt vmcnt(8)
	s_nop 0
	v_mfma_f32_4x4x4_16b_bf16 a[0:3], v[34:35], v[46:47], a[0:3] cbsz:4 abid:7
	s_nop 1
	v_mfma_f32_4x4x4_16b_bf16 a[0:3], v[36:37], v[48:49], a[0:3] cbsz:4 abid:7
	s_nop 4
	v_accvgpr_read_b32 v35, a1
	v_accvgpr_read_b32 v34, a0
	s_waitcnt lgkmcnt(0)
	v_pk_mul_f32 v[34:35], s[0:1], v[34:35] op_sel_hi:[0,1]
	v_accvgpr_read_b32 v37, a3
	v_accvgpr_read_b32 v36, a2
	v_pk_mul_f32 v[36:37], s[0:1], v[36:37] op_sel_hi:[0,1]
	v_mfma_f32_4x4x1_16b_f32 a[0:3], v34, v56, 0
	v_or_b32_e32 v34, 1, v60
	s_nop 0
	v_mfma_f32_4x4x1_16b_f32 a[0:3], v35, v57, a[0:3]
	v_cmp_gt_i32_e64 s[0:1], s3, v34
	v_or_b32_e32 v35, 2, v60
	v_mfma_f32_4x4x1_16b_f32 a[0:3], v36, v58, a[0:3]
	v_cmp_gt_i32_e64 s[8:9], s3, v35
	s_nop 0
	v_mfma_f32_4x4x1_16b_f32 a[0:3], v37, v59, a[0:3]
	s_nop 3
	v_accvgpr_read_b32 v36, a0
	v_max_f32_e32 v45, v36, v36
	v_accvgpr_read_b32 v37, a1
	v_max_f32_e32 v45, 0xff7fffff, v45
	v_max_f32_e32 v46, v37, v37
	v_cndmask_b32_e32 v41, v41, v45, vcc
	v_accvgpr_read_b32 v43, a2
	v_max_f32_e32 v45, v41, v46
	v_max_f32_e32 v47, v43, v43
	v_cndmask_b32_e64 v34, v41, v45, s[0:1]
	v_accvgpr_read_b32 v44, a3
	v_max_f32_e32 v41, v34, v47
	v_max_f32_e32 v48, v44, v44
	v_cndmask_b32_e64 v34, v34, v41, s[8:9]
	v_max_f32_e32 v35, v34, v48
	v_cndmask_b32_e64 v34, v34, v35, s[10:11]
	;;#ASMSTART
	v_nop
 v_nop
 v_max_f32_dpp v34, v34, v34 row_ror:4
	;;#ASMEND
	s_nop 0
	;;#ASMSTART
	v_nop
 v_nop
 v_max_f32_dpp v34, v34, v34 row_ror:8
	;;#ASMEND
	ds_bpermute_b32 v34, v42, v34
	s_waitcnt lgkmcnt(0)
	;;#ASMSTART
	v_nop
 v_nop
 v_max_f32_dpp v34, v34, v34 row_ror:4
	;;#ASMEND
	s_nop 0
	;;#ASMSTART
	v_nop
 v_nop
 v_max_f32_dpp v41, v34, v34 row_ror:8
	;;#ASMEND
	s_nop 0
	v_sub_f32_e32 v34, v36, v41
	v_sub_f32_e32 v35, v37, v41
	v_mul_f32_e32 v34, 0x3fb8aa3b, v34
	v_sub_f32_e32 v36, v43, v41
	v_mul_f32_e32 v35, 0x3fb8aa3b, v35
	v_exp_f32_e32 v34, v34
	v_sub_f32_e32 v37, v44, v41
	v_mul_f32_e32 v36, 0x3fb8aa3b, v36
	v_exp_f32_e32 v35, v35
	v_mul_f32_e32 v37, 0x3fb8aa3b, v37
	v_exp_f32_e32 v36, v36
	v_exp_f32_e32 v37, v37
	v_cndmask_b32_e32 v34, 0, v34, vcc
	v_cndmask_b32_e64 v35, 0, v35, s[0:1]
	v_add_f32_e32 v39, 0, v34
	v_cndmask_b32_e64 v36, 0, v36, s[8:9]
	v_add_f32_e32 v39, v39, v35
	;; [unrolled: 2-line block ×3, first 2 shown]
	v_add_f32_e32 v39, v39, v37
	;;#ASMSTART
	v_nop
 v_nop
 v_add_f32_dpp v39, v39, v39 row_ror:4
	;;#ASMEND
	v_cmp_gt_u32_e32 vcc, 4, v40
	;;#ASMSTART
	v_nop
 v_nop
 v_add_f32_dpp v39, v39, v39 row_ror:8
	;;#ASMEND
	ds_bpermute_b32 v39, v42, v39
	s_waitcnt lgkmcnt(0)
	;;#ASMSTART
	v_nop
 v_nop
 v_add_f32_dpp v39, v39, v39 row_ror:4
	;;#ASMEND
	s_nop 0
	;;#ASMSTART
	v_nop
 v_nop
 v_add_f32_dpp v39, v39, v39 row_ror:8
	;;#ASMEND
	s_and_saveexec_b64 s[0:1], vcc
	s_cbranch_execz .LBB477_16
; %bb.15:
	v_mul_u32_u24_e32 v42, 20, v1
	v_lshl_add_u32 v42, v38, 2, v42
	v_add_u32_e32 v42, 0x800, v42
	ds_write2_b32 v42, v41, v39 offset0:128 offset1:148
.LBB477_16:
	s_or_b64 exec, exec, s[0:1]
.LBB477_17:
	s_or_b64 exec, exec, s[26:27]
	s_waitcnt lgkmcnt(0)
	s_barrier
	s_load_dword s0, s[24:25], 0x8
	v_lshlrev_b32_e32 v39, 2, v38
	v_add_u32_e32 v39, 0x800, v39
	ds_read2_b32 v[44:45], v39 offset0:128 offset1:133
	ds_read2_b32 v[46:47], v39 offset0:138 offset1:143
	s_mul_i32 s1, s2, s5
	s_waitcnt lgkmcnt(0)
	s_mul_i32 s1, s1, s0
	s_lshl_b32 s0, s1, 1
	s_mov_b32 s1, 0xff7fffff
	v_max3_f32 v42, v44, s1, v45
	v_max3_f32 v42, v42, v46, v47
	v_sub_f32_e32 v43, v44, v42
	v_sub_f32_e32 v44, v45, v42
	ds_read2_b32 v[48:49], v39 offset0:148 offset1:153
	v_mul_f32_e32 v43, 0x3fb8aa3b, v43
	v_mul_f32_e32 v44, 0x3fb8aa3b, v44
	v_exp_f32_e32 v43, v43
	v_exp_f32_e32 v50, v44
	ds_read2_b32 v[44:45], v39 offset0:158 offset1:163
	v_sub_f32_e32 v39, v46, v42
	v_mul_f32_e32 v39, 0x3fb8aa3b, v39
	v_sub_f32_e32 v46, v47, v42
	v_exp_f32_e32 v39, v39
	v_mul_f32_e32 v46, 0x3fb8aa3b, v46
	v_exp_f32_e32 v46, v46
	s_waitcnt lgkmcnt(1)
	v_fma_f32 v43, v43, v48, 0
	v_fmac_f32_e32 v43, v50, v49
	s_waitcnt lgkmcnt(0)
	v_fmac_f32_e32 v43, v39, v44
	s_lshl_b32 s4, s4, 1
	v_fmac_f32_e32 v43, v46, v45
	v_cmp_gt_u32_e32 vcc, 2, v38
	s_and_saveexec_b64 s[2:3], vcc
	s_cbranch_execz .LBB477_19
; %bb.18:
	s_mov_b32 s1, 0
	s_lshl_b64 s[8:9], s[0:1], 2
	s_add_u32 s12, s12, s8
	s_mov_b32 s21, s1
	s_addc_u32 s13, s13, s9
	s_lshl_b64 s[10:11], s[20:21], 2
	s_add_u32 s12, s12, s10
	s_addc_u32 s13, s13, s11
	s_add_u32 s1, s14, s8
	s_addc_u32 s9, s15, s9
	v_or_b32_e32 v38, s4, v38
	s_add_u32 s8, s1, s10
	v_mul_lo_u32 v38, s5, v38
	v_mov_b32_e32 v39, 0
	s_addc_u32 s9, s9, s11
	v_lshlrev_b64 v[38:39], 2, v[38:39]
	v_lshl_add_u64 v[44:45], s[12:13], 0, v[38:39]
	v_lshl_add_u64 v[38:39], s[8:9], 0, v[38:39]
	global_store_dword v[38:39], v42, off
	global_store_dword v[44:45], v43, off
.LBB477_19:
	s_or_b64 exec, exec, s[2:3]
	v_mov_b32_e32 v38, 0
	v_mov_b32_e32 v39, 0
	s_and_saveexec_b64 s[2:3], s[6:7]
	s_cbranch_execz .LBB477_21
; %bb.20:
	v_add_f32_e32 v38, 0x358637bd, v43
	v_div_scale_f32 v39, s[6:7], v38, v38, 1.0
	v_rcp_f32_e32 v43, v39
	v_div_scale_f32 v44, vcc, 1.0, v38, 1.0
	v_sub_f32_e32 v41, v41, v42
	v_fma_f32 v45, -v39, v43, 1.0
	v_fmac_f32_e32 v43, v45, v43
	v_mul_f32_e32 v45, v44, v43
	v_fma_f32 v46, -v39, v45, v44
	v_mul_f32_e32 v41, 0x3fb8aa3b, v41
	v_fmac_f32_e32 v45, v46, v43
	v_exp_f32_e32 v41, v41
	v_fma_f32 v39, -v39, v45, v44
	v_div_fmas_f32 v39, v39, v43, v45
	v_div_fixup_f32 v38, v39, v38, 1.0
	v_mul_f32_e32 v38, v41, v38
	v_pk_mul_f32 v[34:35], v[34:35], v[38:39] op_sel_hi:[1,0]
	v_pk_mul_f32 v[36:37], v[36:37], v[38:39] op_sel_hi:[1,0]
	v_bfe_u32 v38, v35, 16, 1
	v_bfe_u32 v39, v34, 16, 1
	s_movk_i32 s1, 0x7fff
	v_add3_u32 v34, v34, v39, s1
	v_add3_u32 v35, v35, v38, s1
	s_mov_b32 s6, 0x7060302
	v_perm_b32 v34, v35, v34, s6
	v_bfe_u32 v35, v37, 16, 1
	v_bfe_u32 v38, v36, 16, 1
	v_add3_u32 v36, v36, v38, s1
	v_add3_u32 v35, v37, v35, s1
	v_perm_b32 v35, v35, v36, s6
	s_waitcnt vmcnt(7)
	s_nop 0
	v_mfma_f32_4x4x4_16b_bf16 a[0:3], v[34:35], v[2:3], 0 cbsz:4
	s_nop 1
	v_mfma_f32_4x4x4_16b_bf16 a[0:3], v[34:35], v[4:5], a[0:3] cbsz:4 abid:1
	s_waitcnt vmcnt(6)
	s_nop 0
	v_mfma_f32_4x4x4_16b_bf16 a[0:3], v[34:35], v[6:7], a[0:3] cbsz:4 abid:2
	s_nop 1
	v_mfma_f32_4x4x4_16b_bf16 a[0:3], v[34:35], v[8:9], a[0:3] cbsz:4 abid:3
	s_waitcnt vmcnt(5)
	s_nop 0
	v_mfma_f32_4x4x4_16b_bf16 a[0:3], v[34:35], v[10:11], a[0:3] cbsz:4 abid:4
	;; [unrolled: 5-line block ×7, first 2 shown]
	s_nop 1
	v_mfma_f32_4x4x4_16b_bf16 a[0:3], v[34:35], v[32:33], a[0:3] cbsz:4 abid:15
	s_nop 4
	v_accvgpr_read_b32 v5, a1
	v_accvgpr_read_b32 v2, a2
	;; [unrolled: 1-line block ×4, first 2 shown]
	v_bfe_u32 v6, v5, 16, 1
	v_bfe_u32 v7, v4, 16, 1
	;; [unrolled: 1-line block ×3, first 2 shown]
	v_add3_u32 v5, v5, v6, s1
	v_bfe_u32 v6, v2, 16, 1
	v_add3_u32 v4, v4, v7, s1
	v_add3_u32 v2, v2, v6, s1
	;; [unrolled: 1-line block ×3, first 2 shown]
	v_perm_b32 v39, v3, v2, s6
	v_perm_b32 v38, v5, v4, s6
.LBB477_21:
	s_or_b64 exec, exec, s[2:3]
	v_lshlrev_b32_e32 v1, 3, v1
	v_mad_u32_u24 v1, v40, 40, v1
	v_cmp_gt_u32_e32 vcc, 64, v0
	ds_write_b64 v1, v[38:39]
	s_waitcnt lgkmcnt(0)
	s_barrier
	s_and_saveexec_b64 s[2:3], vcc
	s_cbranch_execz .LBB477_23
; %bb.22:
	v_mul_u32_u24_e32 v1, 40, v40
	s_waitcnt vmcnt(7)
	ds_read2_b64 v[2:5], v1 offset1:1
	s_waitcnt vmcnt(6)
	ds_read2_b64 v[6:9], v1 offset0:2 offset1:3
	s_mov_b32 s1, 0
	s_lshl_b32 s0, s0, 6
	s_lshl_b64 s[2:3], s[0:1], 1
	s_waitcnt lgkmcnt(1)
	v_and_b32_e32 v1, 0xffff0000, v2
	v_add_f32_e32 v1, 0, v1
	v_and_b32_e32 v3, 0xffff0000, v4
	v_and_b32_e32 v1, 0xffff0000, v1
	v_add_f32_e32 v1, v1, v3
	s_waitcnt lgkmcnt(0)
	v_and_b32_e32 v5, 0xffff0000, v6
	v_and_b32_e32 v1, 0xffff0000, v1
	v_add_f32_e32 v1, v1, v5
	v_and_b32_e32 v1, 0xffff0000, v1
	v_and_b32_e32 v3, 0xffff0000, v8
	v_add_f32_e32 v7, v1, v3
	v_lshlrev_b32_e32 v1, 16, v2
	s_add_u32 s2, s22, s2
	v_add_f32_e32 v1, 0, v1
	s_addc_u32 s3, s23, s3
	s_lshl_b32 s0, s20, 6
	v_and_b32_e32 v1, 0xffff0000, v1
	v_lshlrev_b32_e32 v2, 16, v4
	s_lshl_b64 s[0:1], s[0:1], 1
	v_add_f32_e32 v1, v1, v2
	s_add_u32 s0, s2, s0
	v_and_b32_e32 v1, 0xffff0000, v1
	v_lshlrev_b32_e32 v2, 16, v6
	s_addc_u32 s1, s3, s1
	s_lshl_b32 s2, s5, 6
	v_add_f32_e32 v1, v1, v2
	v_and_b32_e32 v1, 0xffff0000, v1
	v_lshlrev_b32_e32 v2, 16, v8
	s_mul_i32 s3, s2, s4
	v_add_f32_e32 v1, v1, v2
	v_or_b32_e32 v2, s3, v0
	v_mov_b32_e32 v3, 0
	s_add_i32 s3, s3, s2
	v_lshl_add_u64 v[4:5], v[2:3], 1, s[0:1]
	v_or_b32_e32 v2, s3, v0
	global_store_short_d16_hi v[4:5], v1, off
	v_lshl_add_u64 v[0:1], v[2:3], 1, s[0:1]
	global_store_short_d16_hi v[0:1], v7, off
.LBB477_23:
	s_endpgm
	.section	.rodata,"a",@progbits
	.p2align	6, 0x0
	.amdhsa_kernel _Z38paged_attention_ll4mi_QKV_mfma4_kernelI14__hip_bfloat16S0_LN4vllm18Fp8KVCacheDataTypeE0ES0_Li16ELi64ELi256ELb0ELi2EEvPKT_PKT0_S8_ifPKiSA_SA_iPKfiiiPfSD_PS3_PT2_iSC_SC_
		.amdhsa_group_segment_fixed_size 2720
		.amdhsa_private_segment_fixed_size 0
		.amdhsa_kernarg_size 400
		.amdhsa_user_sgpr_count 2
		.amdhsa_user_sgpr_dispatch_ptr 0
		.amdhsa_user_sgpr_queue_ptr 0
		.amdhsa_user_sgpr_kernarg_segment_ptr 1
		.amdhsa_user_sgpr_dispatch_id 0
		.amdhsa_user_sgpr_kernarg_preload_length 0
		.amdhsa_user_sgpr_kernarg_preload_offset 0
		.amdhsa_user_sgpr_private_segment_size 0
		.amdhsa_uses_dynamic_stack 0
		.amdhsa_enable_private_segment 0
		.amdhsa_system_sgpr_workgroup_id_x 1
		.amdhsa_system_sgpr_workgroup_id_y 1
		.amdhsa_system_sgpr_workgroup_id_z 1
		.amdhsa_system_sgpr_workgroup_info 0
		.amdhsa_system_vgpr_workitem_id 0
		.amdhsa_next_free_vgpr 68
		.amdhsa_next_free_sgpr 38
		.amdhsa_accum_offset 64
		.amdhsa_reserve_vcc 1
		.amdhsa_float_round_mode_32 0
		.amdhsa_float_round_mode_16_64 0
		.amdhsa_float_denorm_mode_32 3
		.amdhsa_float_denorm_mode_16_64 3
		.amdhsa_dx10_clamp 1
		.amdhsa_ieee_mode 1
		.amdhsa_fp16_overflow 0
		.amdhsa_tg_split 0
		.amdhsa_exception_fp_ieee_invalid_op 0
		.amdhsa_exception_fp_denorm_src 0
		.amdhsa_exception_fp_ieee_div_zero 0
		.amdhsa_exception_fp_ieee_overflow 0
		.amdhsa_exception_fp_ieee_underflow 0
		.amdhsa_exception_fp_ieee_inexact 0
		.amdhsa_exception_int_div_zero 0
	.end_amdhsa_kernel
	.section	.text._Z38paged_attention_ll4mi_QKV_mfma4_kernelI14__hip_bfloat16S0_LN4vllm18Fp8KVCacheDataTypeE0ES0_Li16ELi64ELi256ELb0ELi2EEvPKT_PKT0_S8_ifPKiSA_SA_iPKfiiiPfSD_PS3_PT2_iSC_SC_,"axG",@progbits,_Z38paged_attention_ll4mi_QKV_mfma4_kernelI14__hip_bfloat16S0_LN4vllm18Fp8KVCacheDataTypeE0ES0_Li16ELi64ELi256ELb0ELi2EEvPKT_PKT0_S8_ifPKiSA_SA_iPKfiiiPfSD_PS3_PT2_iSC_SC_,comdat
.Lfunc_end477:
	.size	_Z38paged_attention_ll4mi_QKV_mfma4_kernelI14__hip_bfloat16S0_LN4vllm18Fp8KVCacheDataTypeE0ES0_Li16ELi64ELi256ELb0ELi2EEvPKT_PKT0_S8_ifPKiSA_SA_iPKfiiiPfSD_PS3_PT2_iSC_SC_, .Lfunc_end477-_Z38paged_attention_ll4mi_QKV_mfma4_kernelI14__hip_bfloat16S0_LN4vllm18Fp8KVCacheDataTypeE0ES0_Li16ELi64ELi256ELb0ELi2EEvPKT_PKT0_S8_ifPKiSA_SA_iPKfiiiPfSD_PS3_PT2_iSC_SC_
                                        ; -- End function
	.section	.AMDGPU.csdata,"",@progbits
; Kernel info:
; codeLenInByte = 3312
; NumSgprs: 44
; NumVgprs: 62
; NumAgprs: 4
; TotalNumVgprs: 68
; ScratchSize: 0
; MemoryBound: 0
; FloatMode: 240
; IeeeMode: 1
; LDSByteSize: 2720 bytes/workgroup (compile time only)
; SGPRBlocks: 5
; VGPRBlocks: 8
; NumSGPRsForWavesPerEU: 44
; NumVGPRsForWavesPerEU: 68
; AccumOffset: 64
; Occupancy: 7
; WaveLimiterHint : 1
; COMPUTE_PGM_RSRC2:SCRATCH_EN: 0
; COMPUTE_PGM_RSRC2:USER_SGPR: 2
; COMPUTE_PGM_RSRC2:TRAP_HANDLER: 0
; COMPUTE_PGM_RSRC2:TGID_X_EN: 1
; COMPUTE_PGM_RSRC2:TGID_Y_EN: 1
; COMPUTE_PGM_RSRC2:TGID_Z_EN: 1
; COMPUTE_PGM_RSRC2:TIDIG_COMP_CNT: 0
; COMPUTE_PGM_RSRC3_GFX90A:ACCUM_OFFSET: 15
; COMPUTE_PGM_RSRC3_GFX90A:TG_SPLIT: 0
	.section	.text._Z38paged_attention_ll4mi_QKV_mfma4_kernelI14__hip_bfloat16S0_LN4vllm18Fp8KVCacheDataTypeE0ES0_Li16ELi64ELi256ELb0ELi3EEvPKT_PKT0_S8_ifPKiSA_SA_iPKfiiiPfSD_PS3_PT2_iSC_SC_,"axG",@progbits,_Z38paged_attention_ll4mi_QKV_mfma4_kernelI14__hip_bfloat16S0_LN4vllm18Fp8KVCacheDataTypeE0ES0_Li16ELi64ELi256ELb0ELi3EEvPKT_PKT0_S8_ifPKiSA_SA_iPKfiiiPfSD_PS3_PT2_iSC_SC_,comdat
	.protected	_Z38paged_attention_ll4mi_QKV_mfma4_kernelI14__hip_bfloat16S0_LN4vllm18Fp8KVCacheDataTypeE0ES0_Li16ELi64ELi256ELb0ELi3EEvPKT_PKT0_S8_ifPKiSA_SA_iPKfiiiPfSD_PS3_PT2_iSC_SC_ ; -- Begin function _Z38paged_attention_ll4mi_QKV_mfma4_kernelI14__hip_bfloat16S0_LN4vllm18Fp8KVCacheDataTypeE0ES0_Li16ELi64ELi256ELb0ELi3EEvPKT_PKT0_S8_ifPKiSA_SA_iPKfiiiPfSD_PS3_PT2_iSC_SC_
	.globl	_Z38paged_attention_ll4mi_QKV_mfma4_kernelI14__hip_bfloat16S0_LN4vllm18Fp8KVCacheDataTypeE0ES0_Li16ELi64ELi256ELb0ELi3EEvPKT_PKT0_S8_ifPKiSA_SA_iPKfiiiPfSD_PS3_PT2_iSC_SC_
	.p2align	8
	.type	_Z38paged_attention_ll4mi_QKV_mfma4_kernelI14__hip_bfloat16S0_LN4vllm18Fp8KVCacheDataTypeE0ES0_Li16ELi64ELi256ELb0ELi3EEvPKT_PKT0_S8_ifPKiSA_SA_iPKfiiiPfSD_PS3_PT2_iSC_SC_,@function
_Z38paged_attention_ll4mi_QKV_mfma4_kernelI14__hip_bfloat16S0_LN4vllm18Fp8KVCacheDataTypeE0ES0_Li16ELi64ELi256ELb0ELi3EEvPKT_PKT0_S8_ifPKiSA_SA_iPKfiiiPfSD_PS3_PT2_iSC_SC_: ; @_Z38paged_attention_ll4mi_QKV_mfma4_kernelI14__hip_bfloat16S0_LN4vllm18Fp8KVCacheDataTypeE0ES0_Li16ELi64ELi256ELb0ELi3EEvPKT_PKT0_S8_ifPKiSA_SA_iPKfiiiPfSD_PS3_PT2_iSC_SC_
; %bb.0:
	s_load_dwordx2 s[16:17], s[0:1], 0x30
	s_mov_b32 s20, s3
	s_mov_b64 s[6:7], 0
	s_waitcnt lgkmcnt(0)
	s_cmp_lg_u64 s[16:17], 0
	s_cselect_b64 s[18:19], -1, 0
	s_and_b64 vcc, exec, s[18:19]
	s_cbranch_vccz .LBB478_10
; %bb.1:
	s_add_i32 s8, s2, 1
	s_mov_b32 s9, 0
	s_lshl_b64 s[10:11], s[8:9], 2
	s_add_u32 s10, s16, s10
	s_mov_b32 s3, s9
	s_addc_u32 s11, s17, s11
	s_lshl_b64 s[8:9], s[2:3], 2
	s_add_u32 s8, s16, s8
	s_addc_u32 s9, s17, s9
	s_load_dword s5, s[10:11], 0x0
	s_load_dword s12, s[8:9], 0x0
	s_waitcnt lgkmcnt(0)
	s_sub_i32 s5, s5, s12
	s_cmp_eq_u32 s5, 1
	s_cselect_b64 s[8:9], -1, 0
	s_andn2_b64 vcc, exec, s[6:7]
	s_cbranch_vccnz .LBB478_3
.LBB478_2:
	s_mov_b32 s3, 0
	s_mov_b64 s[8:9], -1
.LBB478_3:
	s_andn2_b64 vcc, exec, s[8:9]
	s_cbranch_vccnz .LBB478_23
; %bb.4:
	s_load_dword s5, s[0:1], 0x9c
	s_load_dwordx2 s[6:7], s[0:1], 0x28
	s_add_u32 s24, s0, 0x90
	s_addc_u32 s25, s1, 0
	s_lshl_b64 s[28:29], s[2:3], 2
	s_waitcnt lgkmcnt(0)
	s_and_b32 s5, s5, 0xffff
	s_add_u32 s6, s6, s28
	s_addc_u32 s7, s7, s29
	s_load_dword s3, s[6:7], 0x0
	s_mul_i32 s10, s20, s5
	s_waitcnt lgkmcnt(0)
	s_cmp_ge_i32 s10, s3
	s_cbranch_scc1 .LBB478_23
; %bb.5:
	v_and_b32_e32 v2, 0xc0, v0
	v_add_u32_e32 v2, s10, v2
	v_lshrrev_b32_e32 v1, 6, v0
	v_cmp_gt_i32_e64 s[6:7], s3, v2
	v_cmp_le_i32_e32 vcc, s3, v2
                                        ; implicit-def: $sgpr21
                                        ; implicit-def: $sgpr11
	s_and_saveexec_b64 s[8:9], vcc
	s_xor_b64 s[8:9], exec, s[8:9]
	s_cbranch_execz .LBB478_7
; %bb.6:
	v_mul_u32_u24_e32 v2, 20, v1
	v_or_b32_e32 v2, 0xa00, v2
	v_mov_b32_e32 v3, 0xa50
	v_mov_b32_e32 v4, 0xff7fffff
	v_mad_u32_u24 v3, v1, 20, v3
	ds_write2_b32 v2, v4, v4 offset1:1
	v_mov_b32_e32 v2, 0
	ds_write2_b32 v3, v2, v2 offset1:1
	v_mov_b32_e32 v3, 0xa08
	s_mov_b32 s11, 0xff7fffff
	s_mov_b32 s21, 0
	v_mad_u32_u24 v3, v1, 20, v3
	v_mov_b32_e32 v5, 0xa58
	v_mad_u32_u24 v5, v1, 20, v5
	ds_write2_b32 v3, v4, v4 offset1:1
	ds_write2_b32 v5, v2, v2 offset1:1
                                        ; implicit-def: $vgpr2
.LBB478_7:
	s_or_saveexec_b64 s[26:27], s[8:9]
	s_load_dwordx2 s[22:23], s[0:1], 0x68
	s_load_dwordx4 s[12:15], s[0:1], 0x58
	s_load_dword s5, s[24:25], 0x4
	v_and_b32_e32 v40, 63, v0
	v_and_b32_e32 v38, 3, v0
	v_mov_b32_e32 v37, s21
	v_mov_b32_e32 v41, s11
	;; [unrolled: 1-line block ×5, first 2 shown]
                                        ; implicit-def: $vgpr3
                                        ; implicit-def: $vgpr7
                                        ; implicit-def: $vgpr11
                                        ; implicit-def: $vgpr15
                                        ; implicit-def: $vgpr19
                                        ; implicit-def: $vgpr23
                                        ; implicit-def: $vgpr27
                                        ; implicit-def: $vgpr31
	s_xor_b64 exec, exec, s[26:27]
	s_cbranch_execz .LBB478_17
; %bb.8:
	s_add_i32 s21, s3, 15
	s_load_dwordx2 s[8:9], s[0:1], 0x20
	s_load_dword s11, s[0:1], 0x38
	s_ashr_i32 s30, s21, 31
	s_lshr_b32 s30, s30, 28
	v_add_u32_e32 v39, s10, v0
	s_add_i32 s21, s21, s30
	v_ashrrev_i32_e32 v3, 31, v39
	s_ashr_i32 s21, s21, 4
	v_lshrrev_b32_e32 v3, 28, v3
	s_add_i32 s21, s21, -1
	v_add_u32_e32 v3, v39, v3
	s_waitcnt lgkmcnt(0)
	s_mul_i32 s30, s2, s11
	s_mov_b32 s31, 0
	v_ashrrev_i32_e32 v3, 4, v3
	v_mov_b32_e32 v4, s21
	v_cmp_gt_i32_e32 vcc, s3, v39
	s_lshl_b64 s[30:31], s[30:31], 2
	s_add_u32 s8, s8, s30
	v_cndmask_b32_e32 v4, v4, v3, vcc
	v_ashrrev_i32_e32 v3, 31, v2
	v_lshrrev_b32_e32 v3, 28, v3
	s_addc_u32 s9, s9, s31
	v_ashrrev_i32_e32 v5, 31, v4
	v_add_u32_e32 v2, v2, v3
	v_lshl_add_u64 v[8:9], v[4:5], 2, s[8:9]
	v_ashrrev_i32_e32 v4, 4, v2
	v_min_i32_e32 v2, s21, v4
	v_ashrrev_i32_e32 v3, 31, v2
	v_lshl_add_u64 v[10:11], v[2:3], 2, s[8:9]
	v_add_u32_e32 v2, 1, v4
	v_min_i32_e32 v2, s21, v2
	v_ashrrev_i32_e32 v3, 31, v2
	v_lshl_add_u64 v[12:13], v[2:3], 2, s[8:9]
	v_add_u32_e32 v2, 2, v4
	;; [unrolled: 4-line block ×3, first 2 shown]
	v_min_i32_e32 v2, s21, v2
	v_ashrrev_i32_e32 v3, 31, v2
	v_lshl_add_u64 v[16:17], v[2:3], 2, s[8:9]
	global_load_dword v2, v[8:9], off
	global_load_dword v7, v[10:11], off
	;; [unrolled: 1-line block ×5, first 2 shown]
	s_load_dwordx4 s[8:11], s[0:1], 0x8
	s_andn2_b64 vcc, exec, s[18:19]
	s_cbranch_vccnz .LBB478_11
; %bb.9:
	s_add_u32 s16, s16, s28
	s_addc_u32 s17, s17, s29
	s_load_dword s21, s[16:17], 0x0
	s_branch .LBB478_12
.LBB478_10:
	s_mov_b64 s[8:9], 0
	s_branch .LBB478_2
.LBB478_11:
	s_mov_b32 s21, s2
.LBB478_12:
	s_load_dwordx4 s[16:19], s[0:1], 0x48
	v_cmp_ne_u32_e32 vcc, 3, v38
	s_mov_b32 s29, 0
	v_mov_b32_e32 v41, 1.0
	v_mov_b32_e32 v3, 0
	v_mov_b32_e32 v34, 0
	;; [unrolled: 1-line block ×5, first 2 shown]
	s_and_saveexec_b64 s[30:31], vcc
	s_cbranch_execz .LBB478_14
; %bb.13:
	s_load_dwordx2 s[34:35], s[0:1], 0x0
	s_waitcnt lgkmcnt(0)
	s_ashr_i32 s19, s16, 31
	s_mul_hi_u32 s28, s21, s16
	s_mul_i32 s19, s21, s19
	s_add_i32 s37, s28, s19
	s_mul_i32 s36, s21, s16
	s_lshl_b64 s[36:37], s[36:37], 1
	s_add_u32 s16, s34, s36
	s_mul_i32 s28, s4, 0xc0
	s_addc_u32 s19, s35, s37
	s_lshl_b64 s[34:35], s[28:29], 1
	s_add_u32 s34, s16, s34
	v_lshlrev_b32_e32 v8, 3, v38
	v_lshrrev_b32_e32 v9, 2, v40
	s_addc_u32 s35, s19, s35
	v_add_lshl_u32 v8, v8, v9, 4
	global_load_dwordx4 v[34:37], v8, s[34:35]
	v_mov_b32_e32 v41, 0
.LBB478_14:
	s_or_b64 exec, exec, s[30:31]
	s_waitcnt lgkmcnt(0)
	s_mul_i32 s28, s4, s18
	s_lshl_b64 s[18:19], s[28:29], 1
	s_add_u32 s8, s18, s8
	s_waitcnt vmcnt(4)
	v_mad_i64_i32 v[8:9], s[30:31], v2, s17, 0
	s_addc_u32 s9, s19, s9
	v_and_b32_e32 v2, 15, v0
	v_lshl_add_u64 v[8:9], v[8:9], 1, s[8:9]
	v_lshlrev_b32_e32 v2, 4, v2
	v_lshl_add_u64 v[32:33], v[8:9], 0, v[2:3]
	global_load_dwordx4 v[8:11], v[32:33], off
	global_load_dwordx4 v[12:15], v[32:33], off offset:256
	global_load_dwordx4 v[16:19], v[32:33], off offset:512
	;; [unrolled: 1-line block ×7, first 2 shown]
	s_waitcnt vmcnt(11)
	v_mul_hi_i32 v2, v7, s17
	s_add_u32 s8, s10, s18
	s_waitcnt vmcnt(10)
	v_mul_hi_i32 v32, v6, s17
	s_waitcnt vmcnt(9)
	v_mul_hi_i32 v33, v5, s17
	v_ashrrev_i32_e32 v51, 31, v2
	s_addc_u32 s9, s11, s19
	v_lshlrev_b32_e32 v2, 5, v40
	s_waitcnt vmcnt(8)
	v_mul_hi_i32 v50, v4, s17
	v_ashrrev_i32_e32 v52, 31, v32
	v_ashrrev_i32_e32 v53, 31, v33
	v_lshl_add_u64 v[32:33], s[8:9], 0, v[2:3]
	v_lshrrev_b32_e32 v2, 29, v51
	v_ashrrev_i32_e32 v54, 31, v50
	v_mad_i64_i32 v[50:51], s[8:9], v7, s17, v[2:3]
	v_lshrrev_b32_e32 v2, 29, v52
	v_lshlrev_b64 v[50:51], 1, v[50:51]
	v_mad_i64_i32 v[6:7], s[8:9], v6, s17, v[2:3]
	v_lshrrev_b32_e32 v2, 29, v53
	v_and_b32_e32 v50, -16, v50
	v_lshlrev_b64 v[52:53], 1, v[6:7]
	v_mad_i64_i32 v[6:7], s[8:9], v5, s17, v[2:3]
	v_lshrrev_b32_e32 v2, 29, v54
	v_lshl_add_u64 v[50:51], v[32:33], 0, v[50:51]
	v_and_b32_e32 v52, -16, v52
	v_lshlrev_b64 v[54:55], 1, v[6:7]
	v_and_b32_e32 v54, -16, v54
	s_load_dword s0, s[0:1], 0x1c
	v_cmp_eq_u32_e32 vcc, 0, v38
	v_and_b32_e32 v59, -4, v39
	v_or_b32_e32 v39, 3, v39
	v_cndmask_b32_e64 v56, 0, 1.0, vcc
	v_cmp_eq_u32_e32 vcc, 1, v38
	v_cmp_gt_i32_e64 s[10:11], s3, v39
	v_lshlrev_b32_e32 v60, 2, v0
	v_cndmask_b32_e64 v57, 0, 1.0, vcc
	v_cmp_eq_u32_e32 vcc, 2, v38
	s_waitcnt vmcnt(7)
	v_mfma_f32_4x4x4_16b_bf16 a[0:3], v[34:35], v[8:9], 0 cbsz:4
	v_cndmask_b32_e64 v58, 0, 1.0, vcc
	s_nop 0
	v_mfma_f32_4x4x4_16b_bf16 a[0:3], v[36:37], v[10:11], a[0:3] cbsz:4
	v_mad_i64_i32 v[10:11], s[8:9], v4, s17, v[2:3]
	s_waitcnt vmcnt(6)
	v_mfma_f32_4x4x4_16b_bf16 a[0:3], v[34:35], v[12:13], a[0:3] cbsz:4 abid:1
	global_load_dwordx4 v[2:5], v[50:51], off
	global_load_dwordx4 v[6:9], v[50:51], off offset:16
	v_mfma_f32_4x4x4_16b_bf16 a[0:3], v[36:37], v[14:15], a[0:3] cbsz:4 abid:1
	v_lshl_add_u64 v[50:51], v[32:33], 0, v[52:53]
	v_lshlrev_b64 v[52:53], 1, v[10:11]
	s_waitcnt vmcnt(7)
	v_mfma_f32_4x4x4_16b_bf16 a[0:3], v[34:35], v[16:17], a[0:3] cbsz:4 abid:2
	global_load_dwordx4 v[10:13], v[50:51], off
	global_load_dwordx4 v[14:17], v[50:51], off offset:16
	v_mfma_f32_4x4x4_16b_bf16 a[0:3], v[36:37], v[18:19], a[0:3] cbsz:4 abid:2
	v_lshl_add_u64 v[50:51], v[32:33], 0, v[54:55]
	v_and_b32_e32 v52, -16, v52
	s_waitcnt vmcnt(8)
	v_mfma_f32_4x4x4_16b_bf16 a[0:3], v[34:35], v[20:21], a[0:3] cbsz:4 abid:3
	v_cmp_gt_i32_e32 vcc, s3, v59
	s_nop 0
	v_mfma_f32_4x4x4_16b_bf16 a[0:3], v[36:37], v[22:23], a[0:3] cbsz:4 abid:3
	s_waitcnt vmcnt(7)
	s_nop 0
	v_mfma_f32_4x4x4_16b_bf16 a[0:3], v[34:35], v[24:25], a[0:3] cbsz:4 abid:4
	global_load_dwordx4 v[18:21], v[50:51], off
	global_load_dwordx4 v[22:25], v[50:51], off offset:16
	v_mfma_f32_4x4x4_16b_bf16 a[0:3], v[36:37], v[26:27], a[0:3] cbsz:4 abid:4
	v_lshl_add_u64 v[50:51], v[32:33], 0, v[52:53]
	s_waitcnt vmcnt(8)
	v_mfma_f32_4x4x4_16b_bf16 a[0:3], v[34:35], v[28:29], a[0:3] cbsz:4 abid:5
	s_nop 1
	v_mfma_f32_4x4x4_16b_bf16 a[0:3], v[36:37], v[30:31], a[0:3] cbsz:4 abid:5
	global_load_dwordx4 v[26:29], v[50:51], off
	global_load_dwordx4 v[30:33], v[50:51], off offset:16
	s_waitcnt vmcnt(9)
	v_mfma_f32_4x4x4_16b_bf16 a[0:3], v[34:35], v[42:43], a[0:3] cbsz:4 abid:6
	v_mov_b32_e32 v42, 0xff7fffff
	v_and_or_b32 v43, v60, 48, v38
	v_mfma_f32_4x4x4_16b_bf16 a[0:3], v[36:37], v[44:45], a[0:3] cbsz:4 abid:6
	v_lshlrev_b32_e32 v43, 2, v43
	s_waitcnt vmcnt(8)
	v_mfma_f32_4x4x4_16b_bf16 a[0:3], v[34:35], v[46:47], a[0:3] cbsz:4 abid:7
	s_nop 1
	v_mfma_f32_4x4x4_16b_bf16 a[0:3], v[36:37], v[48:49], a[0:3] cbsz:4 abid:7
	s_nop 4
	v_accvgpr_read_b32 v35, a1
	v_accvgpr_read_b32 v34, a0
	s_waitcnt lgkmcnt(0)
	v_pk_mul_f32 v[34:35], s[0:1], v[34:35] op_sel_hi:[0,1]
	v_accvgpr_read_b32 v37, a3
	v_accvgpr_read_b32 v36, a2
	v_pk_mul_f32 v[36:37], s[0:1], v[36:37] op_sel_hi:[0,1]
	v_mfma_f32_4x4x1_16b_f32 a[0:3], v34, v56, 0
	v_or_b32_e32 v34, 1, v59
	s_nop 0
	v_mfma_f32_4x4x1_16b_f32 a[0:3], v35, v57, a[0:3]
	v_cmp_gt_i32_e64 s[0:1], s3, v34
	v_or_b32_e32 v35, 2, v59
	v_mfma_f32_4x4x1_16b_f32 a[0:3], v36, v58, a[0:3]
	v_cmp_gt_i32_e64 s[8:9], s3, v35
	s_nop 0
	v_mfma_f32_4x4x1_16b_f32 a[0:3], v37, v41, a[0:3]
	s_nop 3
	v_accvgpr_read_b32 v36, a0
	v_max_f32_e32 v41, v36, v36
	v_accvgpr_read_b32 v37, a1
	v_max_f32_e32 v41, 0xff7fffff, v41
	v_max_f32_e32 v46, v37, v37
	v_cndmask_b32_e32 v41, v42, v41, vcc
	v_accvgpr_read_b32 v44, a2
	v_max_f32_e32 v42, v41, v46
	v_max_f32_e32 v47, v44, v44
	v_cndmask_b32_e64 v34, v41, v42, s[0:1]
	v_accvgpr_read_b32 v45, a3
	v_max_f32_e32 v41, v34, v47
	v_max_f32_e32 v48, v45, v45
	v_cndmask_b32_e64 v34, v34, v41, s[8:9]
	v_max_f32_e32 v35, v34, v48
	v_cndmask_b32_e64 v34, v34, v35, s[10:11]
	;;#ASMSTART
	v_nop
 v_nop
 v_max_f32_dpp v34, v34, v34 row_ror:4
	;;#ASMEND
	s_nop 0
	;;#ASMSTART
	v_nop
 v_nop
 v_max_f32_dpp v34, v34, v34 row_ror:8
	;;#ASMEND
	ds_bpermute_b32 v34, v43, v34
	s_waitcnt lgkmcnt(0)
	;;#ASMSTART
	v_nop
 v_nop
 v_max_f32_dpp v34, v34, v34 row_ror:4
	;;#ASMEND
	s_nop 0
	;;#ASMSTART
	v_nop
 v_nop
 v_max_f32_dpp v41, v34, v34 row_ror:8
	;;#ASMEND
	s_nop 0
	v_sub_f32_e32 v34, v36, v41
	v_sub_f32_e32 v35, v37, v41
	v_mul_f32_e32 v34, 0x3fb8aa3b, v34
	v_sub_f32_e32 v36, v44, v41
	v_mul_f32_e32 v35, 0x3fb8aa3b, v35
	v_exp_f32_e32 v34, v34
	v_sub_f32_e32 v37, v45, v41
	v_mul_f32_e32 v36, 0x3fb8aa3b, v36
	v_exp_f32_e32 v35, v35
	v_mul_f32_e32 v37, 0x3fb8aa3b, v37
	v_exp_f32_e32 v36, v36
	v_exp_f32_e32 v37, v37
	v_cndmask_b32_e32 v34, 0, v34, vcc
	v_cndmask_b32_e64 v35, 0, v35, s[0:1]
	v_add_f32_e32 v39, 0, v34
	v_cndmask_b32_e64 v36, 0, v36, s[8:9]
	v_add_f32_e32 v39, v39, v35
	;; [unrolled: 2-line block ×3, first 2 shown]
	v_add_f32_e32 v39, v39, v37
	;;#ASMSTART
	v_nop
 v_nop
 v_add_f32_dpp v39, v39, v39 row_ror:4
	;;#ASMEND
	v_cmp_gt_u32_e32 vcc, 4, v40
	;;#ASMSTART
	v_nop
 v_nop
 v_add_f32_dpp v39, v39, v39 row_ror:8
	;;#ASMEND
	ds_bpermute_b32 v39, v43, v39
	s_waitcnt lgkmcnt(0)
	;;#ASMSTART
	v_nop
 v_nop
 v_add_f32_dpp v39, v39, v39 row_ror:4
	;;#ASMEND
	s_nop 0
	;;#ASMSTART
	v_nop
 v_nop
 v_add_f32_dpp v39, v39, v39 row_ror:8
	;;#ASMEND
	s_and_saveexec_b64 s[0:1], vcc
	s_cbranch_execz .LBB478_16
; %bb.15:
	v_mul_u32_u24_e32 v42, 20, v1
	v_lshl_add_u32 v42, v38, 2, v42
	v_add_u32_e32 v42, 0x800, v42
	ds_write2_b32 v42, v41, v39 offset0:128 offset1:148
.LBB478_16:
	s_or_b64 exec, exec, s[0:1]
.LBB478_17:
	s_or_b64 exec, exec, s[26:27]
	s_waitcnt lgkmcnt(0)
	s_barrier
	s_load_dword s0, s[24:25], 0x8
	v_lshlrev_b32_e32 v39, 2, v38
	v_add_u32_e32 v39, 0x800, v39
	ds_read2_b32 v[44:45], v39 offset0:128 offset1:133
	ds_read2_b32 v[46:47], v39 offset0:138 offset1:143
	s_mul_i32 s1, s2, s5
	s_waitcnt lgkmcnt(0)
	s_mul_i32 s0, s1, s0
	s_mov_b32 s1, 0xff7fffff
	v_max3_f32 v42, v44, s1, v45
	v_max3_f32 v42, v42, v46, v47
	v_sub_f32_e32 v43, v44, v42
	v_sub_f32_e32 v44, v45, v42
	ds_read2_b32 v[48:49], v39 offset0:148 offset1:153
	v_mul_f32_e32 v43, 0x3fb8aa3b, v43
	v_mul_f32_e32 v44, 0x3fb8aa3b, v44
	v_exp_f32_e32 v43, v43
	v_exp_f32_e32 v50, v44
	ds_read2_b32 v[44:45], v39 offset0:158 offset1:163
	v_sub_f32_e32 v39, v46, v42
	v_mul_f32_e32 v39, 0x3fb8aa3b, v39
	v_sub_f32_e32 v46, v47, v42
	v_exp_f32_e32 v39, v39
	v_mul_f32_e32 v46, 0x3fb8aa3b, v46
	v_exp_f32_e32 v46, v46
	s_waitcnt lgkmcnt(1)
	v_fma_f32 v43, v43, v48, 0
	v_fmac_f32_e32 v43, v50, v49
	s_waitcnt lgkmcnt(0)
	v_fmac_f32_e32 v43, v39, v44
	s_mul_i32 s4, s4, 3
	s_mul_i32 s0, s0, 3
	v_fmac_f32_e32 v43, v46, v45
	v_cmp_ne_u32_e32 vcc, 3, v38
	s_and_saveexec_b64 s[2:3], vcc
	s_cbranch_execz .LBB478_19
; %bb.18:
	s_mov_b32 s1, 0
	s_lshl_b64 s[8:9], s[0:1], 2
	s_add_u32 s12, s12, s8
	s_mov_b32 s21, s1
	s_addc_u32 s13, s13, s9
	s_lshl_b64 s[10:11], s[20:21], 2
	s_add_u32 s12, s12, s10
	s_addc_u32 s13, s13, s11
	s_add_u32 s1, s14, s8
	s_addc_u32 s9, s15, s9
	v_add_u32_e32 v38, s4, v38
	s_add_u32 s8, s1, s10
	v_mul_lo_u32 v38, s5, v38
	v_mov_b32_e32 v39, 0
	s_addc_u32 s9, s9, s11
	v_lshlrev_b64 v[38:39], 2, v[38:39]
	v_lshl_add_u64 v[44:45], s[12:13], 0, v[38:39]
	v_lshl_add_u64 v[38:39], s[8:9], 0, v[38:39]
	global_store_dword v[38:39], v42, off
	global_store_dword v[44:45], v43, off
.LBB478_19:
	s_or_b64 exec, exec, s[2:3]
	v_mov_b32_e32 v38, 0
	v_mov_b32_e32 v39, 0
	s_and_saveexec_b64 s[2:3], s[6:7]
	s_cbranch_execz .LBB478_21
; %bb.20:
	v_add_f32_e32 v38, 0x358637bd, v43
	v_div_scale_f32 v39, s[6:7], v38, v38, 1.0
	v_rcp_f32_e32 v43, v39
	v_div_scale_f32 v44, vcc, 1.0, v38, 1.0
	v_sub_f32_e32 v41, v41, v42
	v_fma_f32 v45, -v39, v43, 1.0
	v_fmac_f32_e32 v43, v45, v43
	v_mul_f32_e32 v45, v44, v43
	v_fma_f32 v46, -v39, v45, v44
	v_mul_f32_e32 v41, 0x3fb8aa3b, v41
	v_fmac_f32_e32 v45, v46, v43
	v_exp_f32_e32 v41, v41
	v_fma_f32 v39, -v39, v45, v44
	v_div_fmas_f32 v39, v39, v43, v45
	v_div_fixup_f32 v38, v39, v38, 1.0
	v_mul_f32_e32 v38, v41, v38
	v_pk_mul_f32 v[34:35], v[34:35], v[38:39] op_sel_hi:[1,0]
	v_pk_mul_f32 v[36:37], v[36:37], v[38:39] op_sel_hi:[1,0]
	v_bfe_u32 v38, v35, 16, 1
	v_bfe_u32 v39, v34, 16, 1
	s_movk_i32 s1, 0x7fff
	v_add3_u32 v34, v34, v39, s1
	v_add3_u32 v35, v35, v38, s1
	s_mov_b32 s6, 0x7060302
	v_perm_b32 v34, v35, v34, s6
	v_bfe_u32 v35, v37, 16, 1
	v_bfe_u32 v38, v36, 16, 1
	v_add3_u32 v36, v36, v38, s1
	v_add3_u32 v35, v37, v35, s1
	v_perm_b32 v35, v35, v36, s6
	s_waitcnt vmcnt(7)
	s_nop 0
	v_mfma_f32_4x4x4_16b_bf16 a[0:3], v[34:35], v[2:3], 0 cbsz:4
	s_nop 1
	v_mfma_f32_4x4x4_16b_bf16 a[0:3], v[34:35], v[4:5], a[0:3] cbsz:4 abid:1
	s_waitcnt vmcnt(6)
	s_nop 0
	v_mfma_f32_4x4x4_16b_bf16 a[0:3], v[34:35], v[6:7], a[0:3] cbsz:4 abid:2
	s_nop 1
	v_mfma_f32_4x4x4_16b_bf16 a[0:3], v[34:35], v[8:9], a[0:3] cbsz:4 abid:3
	s_waitcnt vmcnt(5)
	s_nop 0
	v_mfma_f32_4x4x4_16b_bf16 a[0:3], v[34:35], v[10:11], a[0:3] cbsz:4 abid:4
	;; [unrolled: 5-line block ×7, first 2 shown]
	s_nop 1
	v_mfma_f32_4x4x4_16b_bf16 a[0:3], v[34:35], v[32:33], a[0:3] cbsz:4 abid:15
	s_nop 4
	v_accvgpr_read_b32 v5, a1
	v_accvgpr_read_b32 v2, a2
	;; [unrolled: 1-line block ×4, first 2 shown]
	v_bfe_u32 v6, v5, 16, 1
	v_bfe_u32 v7, v4, 16, 1
	;; [unrolled: 1-line block ×3, first 2 shown]
	v_add3_u32 v5, v5, v6, s1
	v_bfe_u32 v6, v2, 16, 1
	v_add3_u32 v4, v4, v7, s1
	v_add3_u32 v2, v2, v6, s1
	;; [unrolled: 1-line block ×3, first 2 shown]
	v_perm_b32 v39, v3, v2, s6
	v_perm_b32 v38, v5, v4, s6
.LBB478_21:
	s_or_b64 exec, exec, s[2:3]
	v_lshlrev_b32_e32 v1, 3, v1
	v_mad_u32_u24 v1, v40, 40, v1
	v_cmp_gt_u32_e32 vcc, 64, v0
	ds_write_b64 v1, v[38:39]
	s_waitcnt lgkmcnt(0)
	s_barrier
	s_and_saveexec_b64 s[2:3], vcc
	s_cbranch_execz .LBB478_23
; %bb.22:
	v_mul_u32_u24_e32 v1, 40, v40
	s_waitcnt vmcnt(7)
	ds_read2_b64 v[2:5], v1 offset1:1
	s_waitcnt vmcnt(6)
	ds_read2_b64 v[6:9], v1 offset0:2 offset1:3
	s_mov_b32 s1, 0
	s_lshl_b32 s0, s0, 6
	s_lshl_b64 s[2:3], s[0:1], 1
	s_waitcnt lgkmcnt(1)
	v_and_b32_e32 v1, 0xffff0000, v2
	v_lshlrev_b32_e32 v3, 16, v3
	v_add_f32_e32 v1, 0, v1
	v_add_f32_e32 v3, 0, v3
	v_and_b32_e32 v1, 0xffff0000, v1
	s_waitcnt vmcnt(5)
	v_and_b32_e32 v10, 0xffff0000, v4
	v_and_b32_e32 v3, 0xffff0000, v3
	v_add_f32_e32 v1, v1, v10
	v_lshlrev_b32_e32 v5, 16, v5
	v_and_b32_e32 v1, 0xffff0000, v1
	v_add_f32_e32 v3, v3, v5
	s_waitcnt lgkmcnt(0)
	v_and_b32_e32 v5, 0xffff0000, v6
	v_and_b32_e32 v3, 0xffff0000, v3
	v_add_f32_e32 v1, v1, v5
	v_lshlrev_b32_e32 v5, 16, v7
	v_and_b32_e32 v1, 0xffff0000, v1
	v_add_f32_e32 v3, v3, v5
	v_and_b32_e32 v5, 0xffff0000, v8
	v_lshlrev_b32_e32 v2, 16, v2
	v_and_b32_e32 v3, 0xffff0000, v3
	v_add_f32_e32 v1, v1, v5
	v_lshlrev_b32_e32 v5, 16, v9
	s_add_u32 s2, s22, s2
	v_add_f32_e32 v2, 0, v2
	v_add_f32_e32 v7, v3, v5
	s_addc_u32 s3, s23, s3
	s_lshl_b32 s0, s20, 6
	v_and_b32_e32 v2, 0xffff0000, v2
	v_lshlrev_b32_e32 v3, 16, v4
	s_lshl_b64 s[0:1], s[0:1], 1
	v_add_f32_e32 v2, v2, v3
	s_add_u32 s0, s2, s0
	v_and_b32_e32 v2, 0xffff0000, v2
	v_lshlrev_b32_e32 v3, 16, v6
	s_addc_u32 s1, s3, s1
	s_lshl_b32 s2, s5, 6
	v_add_f32_e32 v2, v2, v3
	v_and_b32_e32 v2, 0xffff0000, v2
	v_lshlrev_b32_e32 v3, 16, v8
	s_mul_i32 s3, s2, s4
	v_add_f32_e32 v6, v2, v3
	v_or_b32_e32 v2, s3, v0
	v_mov_b32_e32 v3, 0
	s_add_i32 s3, s3, s2
	v_lshl_add_u64 v[4:5], v[2:3], 1, s[0:1]
	v_or_b32_e32 v2, s3, v0
	s_add_i32 s3, s3, s2
	global_store_short_d16_hi v[4:5], v6, off
	v_lshl_add_u64 v[4:5], v[2:3], 1, s[0:1]
	v_or_b32_e32 v2, s3, v0
	global_store_short_d16_hi v[4:5], v1, off
	v_lshl_add_u64 v[0:1], v[2:3], 1, s[0:1]
	global_store_short_d16_hi v[0:1], v7, off
.LBB478_23:
	s_endpgm
	.section	.rodata,"a",@progbits
	.p2align	6, 0x0
	.amdhsa_kernel _Z38paged_attention_ll4mi_QKV_mfma4_kernelI14__hip_bfloat16S0_LN4vllm18Fp8KVCacheDataTypeE0ES0_Li16ELi64ELi256ELb0ELi3EEvPKT_PKT0_S8_ifPKiSA_SA_iPKfiiiPfSD_PS3_PT2_iSC_SC_
		.amdhsa_group_segment_fixed_size 2720
		.amdhsa_private_segment_fixed_size 0
		.amdhsa_kernarg_size 400
		.amdhsa_user_sgpr_count 2
		.amdhsa_user_sgpr_dispatch_ptr 0
		.amdhsa_user_sgpr_queue_ptr 0
		.amdhsa_user_sgpr_kernarg_segment_ptr 1
		.amdhsa_user_sgpr_dispatch_id 0
		.amdhsa_user_sgpr_kernarg_preload_length 0
		.amdhsa_user_sgpr_kernarg_preload_offset 0
		.amdhsa_user_sgpr_private_segment_size 0
		.amdhsa_uses_dynamic_stack 0
		.amdhsa_enable_private_segment 0
		.amdhsa_system_sgpr_workgroup_id_x 1
		.amdhsa_system_sgpr_workgroup_id_y 1
		.amdhsa_system_sgpr_workgroup_id_z 1
		.amdhsa_system_sgpr_workgroup_info 0
		.amdhsa_system_vgpr_workitem_id 0
		.amdhsa_next_free_vgpr 68
		.amdhsa_next_free_sgpr 38
		.amdhsa_accum_offset 64
		.amdhsa_reserve_vcc 1
		.amdhsa_float_round_mode_32 0
		.amdhsa_float_round_mode_16_64 0
		.amdhsa_float_denorm_mode_32 3
		.amdhsa_float_denorm_mode_16_64 3
		.amdhsa_dx10_clamp 1
		.amdhsa_ieee_mode 1
		.amdhsa_fp16_overflow 0
		.amdhsa_tg_split 0
		.amdhsa_exception_fp_ieee_invalid_op 0
		.amdhsa_exception_fp_denorm_src 0
		.amdhsa_exception_fp_ieee_div_zero 0
		.amdhsa_exception_fp_ieee_overflow 0
		.amdhsa_exception_fp_ieee_underflow 0
		.amdhsa_exception_fp_ieee_inexact 0
		.amdhsa_exception_int_div_zero 0
	.end_amdhsa_kernel
	.section	.text._Z38paged_attention_ll4mi_QKV_mfma4_kernelI14__hip_bfloat16S0_LN4vllm18Fp8KVCacheDataTypeE0ES0_Li16ELi64ELi256ELb0ELi3EEvPKT_PKT0_S8_ifPKiSA_SA_iPKfiiiPfSD_PS3_PT2_iSC_SC_,"axG",@progbits,_Z38paged_attention_ll4mi_QKV_mfma4_kernelI14__hip_bfloat16S0_LN4vllm18Fp8KVCacheDataTypeE0ES0_Li16ELi64ELi256ELb0ELi3EEvPKT_PKT0_S8_ifPKiSA_SA_iPKfiiiPfSD_PS3_PT2_iSC_SC_,comdat
.Lfunc_end478:
	.size	_Z38paged_attention_ll4mi_QKV_mfma4_kernelI14__hip_bfloat16S0_LN4vllm18Fp8KVCacheDataTypeE0ES0_Li16ELi64ELi256ELb0ELi3EEvPKT_PKT0_S8_ifPKiSA_SA_iPKfiiiPfSD_PS3_PT2_iSC_SC_, .Lfunc_end478-_Z38paged_attention_ll4mi_QKV_mfma4_kernelI14__hip_bfloat16S0_LN4vllm18Fp8KVCacheDataTypeE0ES0_Li16ELi64ELi256ELb0ELi3EEvPKT_PKT0_S8_ifPKiSA_SA_iPKfiiiPfSD_PS3_PT2_iSC_SC_
                                        ; -- End function
	.section	.AMDGPU.csdata,"",@progbits
; Kernel info:
; codeLenInByte = 3396
; NumSgprs: 44
; NumVgprs: 61
; NumAgprs: 4
; TotalNumVgprs: 68
; ScratchSize: 0
; MemoryBound: 0
; FloatMode: 240
; IeeeMode: 1
; LDSByteSize: 2720 bytes/workgroup (compile time only)
; SGPRBlocks: 5
; VGPRBlocks: 8
; NumSGPRsForWavesPerEU: 44
; NumVGPRsForWavesPerEU: 68
; AccumOffset: 64
; Occupancy: 7
; WaveLimiterHint : 1
; COMPUTE_PGM_RSRC2:SCRATCH_EN: 0
; COMPUTE_PGM_RSRC2:USER_SGPR: 2
; COMPUTE_PGM_RSRC2:TRAP_HANDLER: 0
; COMPUTE_PGM_RSRC2:TGID_X_EN: 1
; COMPUTE_PGM_RSRC2:TGID_Y_EN: 1
; COMPUTE_PGM_RSRC2:TGID_Z_EN: 1
; COMPUTE_PGM_RSRC2:TIDIG_COMP_CNT: 0
; COMPUTE_PGM_RSRC3_GFX90A:ACCUM_OFFSET: 15
; COMPUTE_PGM_RSRC3_GFX90A:TG_SPLIT: 0
	.section	.text._Z38paged_attention_ll4mi_QKV_mfma4_kernelI14__hip_bfloat16S0_LN4vllm18Fp8KVCacheDataTypeE0ES0_Li16ELi64ELi256ELb0ELi4EEvPKT_PKT0_S8_ifPKiSA_SA_iPKfiiiPfSD_PS3_PT2_iSC_SC_,"axG",@progbits,_Z38paged_attention_ll4mi_QKV_mfma4_kernelI14__hip_bfloat16S0_LN4vllm18Fp8KVCacheDataTypeE0ES0_Li16ELi64ELi256ELb0ELi4EEvPKT_PKT0_S8_ifPKiSA_SA_iPKfiiiPfSD_PS3_PT2_iSC_SC_,comdat
	.protected	_Z38paged_attention_ll4mi_QKV_mfma4_kernelI14__hip_bfloat16S0_LN4vllm18Fp8KVCacheDataTypeE0ES0_Li16ELi64ELi256ELb0ELi4EEvPKT_PKT0_S8_ifPKiSA_SA_iPKfiiiPfSD_PS3_PT2_iSC_SC_ ; -- Begin function _Z38paged_attention_ll4mi_QKV_mfma4_kernelI14__hip_bfloat16S0_LN4vllm18Fp8KVCacheDataTypeE0ES0_Li16ELi64ELi256ELb0ELi4EEvPKT_PKT0_S8_ifPKiSA_SA_iPKfiiiPfSD_PS3_PT2_iSC_SC_
	.globl	_Z38paged_attention_ll4mi_QKV_mfma4_kernelI14__hip_bfloat16S0_LN4vllm18Fp8KVCacheDataTypeE0ES0_Li16ELi64ELi256ELb0ELi4EEvPKT_PKT0_S8_ifPKiSA_SA_iPKfiiiPfSD_PS3_PT2_iSC_SC_
	.p2align	8
	.type	_Z38paged_attention_ll4mi_QKV_mfma4_kernelI14__hip_bfloat16S0_LN4vllm18Fp8KVCacheDataTypeE0ES0_Li16ELi64ELi256ELb0ELi4EEvPKT_PKT0_S8_ifPKiSA_SA_iPKfiiiPfSD_PS3_PT2_iSC_SC_,@function
_Z38paged_attention_ll4mi_QKV_mfma4_kernelI14__hip_bfloat16S0_LN4vllm18Fp8KVCacheDataTypeE0ES0_Li16ELi64ELi256ELb0ELi4EEvPKT_PKT0_S8_ifPKiSA_SA_iPKfiiiPfSD_PS3_PT2_iSC_SC_: ; @_Z38paged_attention_ll4mi_QKV_mfma4_kernelI14__hip_bfloat16S0_LN4vllm18Fp8KVCacheDataTypeE0ES0_Li16ELi64ELi256ELb0ELi4EEvPKT_PKT0_S8_ifPKiSA_SA_iPKfiiiPfSD_PS3_PT2_iSC_SC_
; %bb.0:
	s_load_dwordx2 s[8:9], s[0:1], 0x30
	s_mov_b32 s20, s3
	s_mov_b64 s[6:7], 0
	s_waitcnt lgkmcnt(0)
	s_cmp_lg_u64 s[8:9], 0
	s_cselect_b64 s[10:11], -1, 0
	s_and_b64 vcc, exec, s[10:11]
	s_cbranch_vccz .LBB479_18
; %bb.1:
	s_add_i32 s12, s2, 1
	s_mov_b32 s13, 0
	s_lshl_b64 s[14:15], s[12:13], 2
	s_add_u32 s14, s8, s14
	s_mov_b32 s3, s13
	s_addc_u32 s15, s9, s15
	s_lshl_b64 s[12:13], s[2:3], 2
	s_add_u32 s12, s8, s12
	s_addc_u32 s13, s9, s13
	s_load_dword s5, s[14:15], 0x0
	s_load_dword s16, s[12:13], 0x0
	s_mov_b64 s[30:31], s[2:3]
	s_waitcnt lgkmcnt(0)
	s_sub_i32 s5, s5, s16
	s_cmp_eq_u32 s5, 1
	s_cselect_b64 s[12:13], -1, 0
	s_andn2_b64 vcc, exec, s[6:7]
	s_cbranch_vccnz .LBB479_3
.LBB479_2:
	s_mov_b32 s3, 0
	s_mov_b64 s[12:13], -1
	s_mov_b64 s[30:31], s[2:3]
.LBB479_3:
	s_andn2_b64 vcc, exec, s[12:13]
	s_cbranch_vccnz .LBB479_17
; %bb.4:
	s_load_dword s3, s[0:1], 0x9c
	s_load_dwordx2 s[6:7], s[0:1], 0x28
	s_add_u32 s24, s0, 0x90
	s_addc_u32 s25, s1, 0
	s_lshl_b64 s[34:35], s[30:31], 2
	s_waitcnt lgkmcnt(0)
	s_and_b32 s5, s3, 0xffff
	s_add_u32 s6, s6, s34
	s_addc_u32 s7, s7, s35
	s_load_dword s3, s[6:7], 0x0
	s_mul_i32 s16, s20, s5
	s_waitcnt lgkmcnt(0)
	s_cmp_ge_i32 s16, s3
	s_cbranch_scc1 .LBB479_17
; %bb.5:
	v_and_b32_e32 v2, 0xc0, v0
	v_add_u32_e32 v2, s16, v2
	v_lshrrev_b32_e32 v1, 6, v0
	v_cmp_gt_i32_e64 s[6:7], s3, v2
	v_cmp_le_i32_e32 vcc, s3, v2
                                        ; implicit-def: $sgpr18
                                        ; implicit-def: $sgpr17
	s_and_saveexec_b64 s[12:13], vcc
	s_xor_b64 s[12:13], exec, s[12:13]
	s_cbranch_execz .LBB479_7
; %bb.6:
	v_mul_u32_u24_e32 v2, 20, v1
	v_or_b32_e32 v2, 0xa00, v2
	v_mov_b32_e32 v3, 0xa50
	v_mov_b32_e32 v4, 0xff7fffff
	v_mad_u32_u24 v3, v1, 20, v3
	ds_write2_b32 v2, v4, v4 offset1:1
	v_mov_b32_e32 v2, 0
	ds_write2_b32 v3, v2, v2 offset1:1
	v_mov_b32_e32 v3, 0xa08
	s_mov_b32 s17, 0xff7fffff
	s_mov_b32 s18, 0
	v_mad_u32_u24 v3, v1, 20, v3
	v_mov_b32_e32 v5, 0xa58
	v_mad_u32_u24 v5, v1, 20, v5
	ds_write2_b32 v3, v4, v4 offset1:1
	ds_write2_b32 v5, v2, v2 offset1:1
                                        ; implicit-def: $vgpr2
.LBB479_7:
	s_or_saveexec_b64 s[26:27], s[12:13]
	s_load_dwordx2 s[22:23], s[0:1], 0x68
	s_load_dwordx4 s[12:15], s[0:1], 0x58
	s_load_dword s5, s[24:25], 0x4
	v_and_b32_e32 v40, 63, v0
	v_and_b32_e32 v38, 3, v0
	v_mov_b32_e32 v37, s18
	v_mov_b32_e32 v41, s17
	;; [unrolled: 1-line block ×5, first 2 shown]
                                        ; implicit-def: $vgpr3
                                        ; implicit-def: $vgpr7
                                        ; implicit-def: $vgpr11
                                        ; implicit-def: $vgpr15
                                        ; implicit-def: $vgpr19
                                        ; implicit-def: $vgpr23
                                        ; implicit-def: $vgpr27
                                        ; implicit-def: $vgpr31
	s_xor_b64 exec, exec, s[26:27]
	s_cbranch_execz .LBB479_13
; %bb.8:
	s_add_i32 s21, s3, 15
	s_load_dwordx2 s[18:19], s[0:1], 0x20
	s_load_dword s17, s[0:1], 0x38
	s_ashr_i32 s28, s21, 31
	s_lshr_b32 s28, s28, 28
	v_add_u32_e32 v34, s16, v0
	s_add_i32 s21, s21, s28
	v_ashrrev_i32_e32 v3, 31, v34
	s_ashr_i32 s21, s21, 4
	v_lshrrev_b32_e32 v3, 28, v3
	s_add_i32 s21, s21, -1
	v_add_u32_e32 v3, v34, v3
	s_waitcnt lgkmcnt(0)
	s_mul_i32 s36, s2, s17
	s_mov_b32 s37, 0
	v_ashrrev_i32_e32 v3, 4, v3
	v_mov_b32_e32 v4, s21
	v_cmp_gt_i32_e32 vcc, s3, v34
	s_lshl_b64 s[28:29], s[36:37], 2
	s_add_u32 s18, s18, s28
	v_cndmask_b32_e32 v4, v4, v3, vcc
	v_ashrrev_i32_e32 v3, 31, v2
	v_lshrrev_b32_e32 v3, 28, v3
	s_addc_u32 s19, s19, s29
	v_ashrrev_i32_e32 v5, 31, v4
	v_add_u32_e32 v2, v2, v3
	v_lshl_add_u64 v[8:9], v[4:5], 2, s[18:19]
	v_ashrrev_i32_e32 v4, 4, v2
	v_min_i32_e32 v2, s21, v4
	v_ashrrev_i32_e32 v3, 31, v2
	v_lshl_add_u64 v[10:11], v[2:3], 2, s[18:19]
	v_add_u32_e32 v2, 1, v4
	v_min_i32_e32 v2, s21, v2
	v_ashrrev_i32_e32 v3, 31, v2
	v_lshl_add_u64 v[12:13], v[2:3], 2, s[18:19]
	v_add_u32_e32 v2, 2, v4
	;; [unrolled: 4-line block ×3, first 2 shown]
	v_min_i32_e32 v2, s21, v2
	v_ashrrev_i32_e32 v3, 31, v2
	v_lshl_add_u64 v[16:17], v[2:3], 2, s[18:19]
	global_load_dword v6, v[8:9], off
	global_load_dword v5, v[10:11], off
	;; [unrolled: 1-line block ×5, first 2 shown]
	s_load_dwordx4 s[16:19], s[0:1], 0x0
	s_load_dwordx2 s[28:29], s[0:1], 0x10
	s_andn2_b64 vcc, exec, s[10:11]
	s_cbranch_vccnz .LBB479_10
; %bb.9:
	s_add_u32 s8, s8, s34
	s_addc_u32 s9, s9, s35
	s_load_dword s36, s[8:9], 0x0
	s_waitcnt lgkmcnt(0)
	s_mov_b64 s[30:31], s[36:37]
.LBB479_10:
	s_load_dwordx4 s[8:11], s[0:1], 0x48
	v_lshrrev_b32_e32 v7, 2, v40
	v_lshlrev_b32_e32 v8, 3, v38
	v_add_lshl_u32 v7, v8, v7, 4
	v_and_b32_e32 v8, 15, v0
	s_waitcnt lgkmcnt(0)
	s_ashr_i32 s11, s8, 31
	s_mul_hi_u32 s21, s30, s8
	s_mul_i32 s31, s31, s8
	s_mul_i32 s34, s30, s8
	;; [unrolled: 1-line block ×3, first 2 shown]
	s_add_i32 s8, s21, s8
	s_add_i32 s35, s8, s31
	s_lshl_b64 s[30:31], s[34:35], 1
	s_add_u32 s8, s16, s30
	s_addc_u32 s11, s17, s31
	s_lshl_b32 s36, s4, 8
	s_lshl_b64 s[16:17], s[36:37], 1
	s_add_u32 s16, s8, s16
	s_addc_u32 s17, s11, s17
	global_load_dwordx4 v[42:45], v7, s[16:17]
	s_mul_i32 s36, s4, s10
	s_waitcnt vmcnt(5)
	v_mad_i64_i32 v[6:7], s[16:17], v6, s9, 0
	s_lshl_b64 s[10:11], s[36:37], 1
	s_add_u32 s16, s10, s18
	s_addc_u32 s17, s11, s19
	v_lshl_add_u64 v[6:7], v[6:7], 1, s[16:17]
	v_lshlrev_b32_e32 v30, 4, v8
	v_mov_b32_e32 v31, 0
	v_lshl_add_u64 v[32:33], v[6:7], 0, v[30:31]
	global_load_dwordx4 v[6:9], v[32:33], off
	global_load_dwordx4 v[10:13], v[32:33], off offset:256
	global_load_dwordx4 v[14:17], v[32:33], off offset:512
	global_load_dwordx4 v[18:21], v[32:33], off offset:768
	global_load_dwordx4 v[22:25], v[32:33], off offset:1024
	global_load_dwordx4 v[26:29], v[32:33], off offset:1280
	global_load_dwordx4 v[46:49], v[32:33], off offset:1536
	global_load_dwordx4 v[50:53], v[32:33], off offset:1792
	s_waitcnt vmcnt(12)
	v_mul_hi_i32 v30, v5, s9
	s_add_u32 s10, s28, s10
	s_waitcnt vmcnt(11)
	v_mul_hi_i32 v32, v4, s9
	s_waitcnt vmcnt(10)
	v_mul_hi_i32 v33, v3, s9
	v_ashrrev_i32_e32 v36, 31, v30
	s_addc_u32 s11, s29, s11
	v_lshlrev_b32_e32 v30, 5, v40
	v_ashrrev_i32_e32 v54, 31, v32
	v_ashrrev_i32_e32 v55, 31, v33
	v_lshl_add_u64 v[32:33], s[10:11], 0, v[30:31]
	v_lshrrev_b32_e32 v30, 29, v36
	s_waitcnt vmcnt(9)
	v_mul_hi_i32 v35, v2, s9
	v_mad_i64_i32 v[36:37], s[10:11], v5, s9, v[30:31]
	v_lshrrev_b32_e32 v30, 29, v54
	v_ashrrev_i32_e32 v35, 31, v35
	v_lshlrev_b64 v[36:37], 1, v[36:37]
	v_mad_i64_i32 v[4:5], s[10:11], v4, s9, v[30:31]
	v_lshrrev_b32_e32 v30, 29, v55
	v_and_b32_e32 v36, -16, v36
	v_lshlrev_b64 v[54:55], 1, v[4:5]
	v_mad_i64_i32 v[4:5], s[10:11], v3, s9, v[30:31]
	v_lshrrev_b32_e32 v30, 29, v35
	v_lshl_add_u64 v[36:37], v[32:33], 0, v[36:37]
	v_and_b32_e32 v54, -16, v54
	v_lshlrev_b64 v[56:57], 1, v[4:5]
	v_and_b32_e32 v56, -16, v56
	s_load_dword s0, s[0:1], 0x1c
	v_and_b32_e32 v60, -4, v34
	v_cmp_eq_u32_e32 vcc, 0, v38
	v_lshlrev_b32_e32 v61, 2, v0
	s_waitcnt vmcnt(7)
	v_mfma_f32_4x4x4_16b_bf16 a[0:3], v[42:43], v[6:7], 0 cbsz:4
	v_cndmask_b32_e64 v39, 0, 1.0, vcc
	s_nop 0
	v_mfma_f32_4x4x4_16b_bf16 a[0:3], v[44:45], v[8:9], a[0:3] cbsz:4
	v_cmp_eq_u32_e32 vcc, 1, v38
	s_waitcnt vmcnt(6)
	v_mfma_f32_4x4x4_16b_bf16 a[0:3], v[42:43], v[10:11], a[0:3] cbsz:4 abid:1
	v_mad_i64_i32 v[10:11], s[8:9], v2, s9, v[30:31]
	s_nop 0
	v_mfma_f32_4x4x4_16b_bf16 a[0:3], v[44:45], v[12:13], a[0:3] cbsz:4 abid:1
	global_load_dwordx4 v[2:5], v[36:37], off
	global_load_dwordx4 v[6:9], v[36:37], off offset:16
	s_waitcnt vmcnt(7)
	v_mfma_f32_4x4x4_16b_bf16 a[0:3], v[42:43], v[14:15], a[0:3] cbsz:4 abid:2
	v_lshlrev_b64 v[36:37], 1, v[10:11]
	v_lshl_add_u64 v[30:31], v[32:33], 0, v[54:55]
	v_mfma_f32_4x4x4_16b_bf16 a[0:3], v[44:45], v[16:17], a[0:3] cbsz:4 abid:2
	v_and_b32_e32 v36, -16, v36
	global_load_dwordx4 v[10:13], v[30:31], off
	global_load_dwordx4 v[14:17], v[30:31], off offset:16
	s_waitcnt vmcnt(8)
	v_mfma_f32_4x4x4_16b_bf16 a[0:3], v[42:43], v[18:19], a[0:3] cbsz:4 abid:3
	v_lshl_add_u64 v[30:31], v[32:33], 0, v[56:57]
	v_lshl_add_u64 v[36:37], v[32:33], 0, v[36:37]
	v_mfma_f32_4x4x4_16b_bf16 a[0:3], v[44:45], v[20:21], a[0:3] cbsz:4 abid:3
	v_cndmask_b32_e64 v41, 0, 1.0, vcc
	v_cmp_eq_u32_e32 vcc, 2, v38
	s_waitcnt vmcnt(7)
	v_mfma_f32_4x4x4_16b_bf16 a[0:3], v[42:43], v[22:23], a[0:3] cbsz:4 abid:4
	v_cndmask_b32_e64 v58, 0, 1.0, vcc
	s_nop 0
	v_mfma_f32_4x4x4_16b_bf16 a[0:3], v[44:45], v[24:25], a[0:3] cbsz:4 abid:4
	global_load_dwordx4 v[18:21], v[30:31], off
	global_load_dwordx4 v[22:25], v[30:31], off offset:16
	s_waitcnt vmcnt(8)
	v_mfma_f32_4x4x4_16b_bf16 a[0:3], v[42:43], v[26:27], a[0:3] cbsz:4 abid:5
	v_cmp_eq_u32_e32 vcc, 3, v38
	s_nop 0
	v_mfma_f32_4x4x4_16b_bf16 a[0:3], v[44:45], v[28:29], a[0:3] cbsz:4 abid:5
	global_load_dwordx4 v[26:29], v[36:37], off
	global_load_dwordx4 v[30:33], v[36:37], off offset:16
	s_waitcnt vmcnt(9)
	v_mfma_f32_4x4x4_16b_bf16 a[0:3], v[42:43], v[46:47], a[0:3] cbsz:4 abid:6
	v_cndmask_b32_e64 v59, 0, 1.0, vcc
	v_mov_b32_e32 v46, 0xff7fffff
	v_mfma_f32_4x4x4_16b_bf16 a[0:3], v[44:45], v[48:49], a[0:3] cbsz:4 abid:6
	v_cmp_gt_i32_e32 vcc, s3, v60
	s_waitcnt vmcnt(8)
	v_mfma_f32_4x4x4_16b_bf16 a[0:3], v[42:43], v[50:51], a[0:3] cbsz:4 abid:7
	v_or_b32_e32 v42, 3, v34
	v_and_or_b32 v43, v61, 48, v38
	v_mfma_f32_4x4x4_16b_bf16 a[0:3], v[44:45], v[52:53], a[0:3] cbsz:4 abid:7
	v_cmp_gt_i32_e64 s[10:11], s3, v42
	s_nop 3
	v_accvgpr_read_b32 v35, a1
	v_accvgpr_read_b32 v34, a0
	s_waitcnt lgkmcnt(0)
	v_pk_mul_f32 v[34:35], s[0:1], v[34:35] op_sel_hi:[0,1]
	v_accvgpr_read_b32 v37, a3
	v_accvgpr_read_b32 v36, a2
	v_pk_mul_f32 v[36:37], s[0:1], v[36:37] op_sel_hi:[0,1]
	v_mfma_f32_4x4x1_16b_f32 a[0:3], v34, v39, 0
	v_or_b32_e32 v34, 1, v60
	s_nop 0
	v_mfma_f32_4x4x1_16b_f32 a[0:3], v35, v41, a[0:3]
	v_lshlrev_b32_e32 v39, 2, v43
	v_cmp_gt_i32_e64 s[0:1], s3, v34
	v_mfma_f32_4x4x1_16b_f32 a[0:3], v36, v58, a[0:3]
	v_or_b32_e32 v35, 2, v60
	v_cmp_gt_i32_e64 s[8:9], s3, v35
	v_mfma_f32_4x4x1_16b_f32 a[0:3], v37, v59, a[0:3]
	s_nop 3
	v_accvgpr_read_b32 v36, a0
	v_max_f32_e32 v41, v36, v36
	v_accvgpr_read_b32 v37, a1
	v_max_f32_e32 v41, 0xff7fffff, v41
	v_max_f32_e32 v45, v37, v37
	v_cndmask_b32_e32 v41, v46, v41, vcc
	v_accvgpr_read_b32 v43, a2
	v_max_f32_e32 v45, v41, v45
	v_max_f32_e32 v47, v43, v43
	v_cndmask_b32_e64 v34, v41, v45, s[0:1]
	v_accvgpr_read_b32 v44, a3
	v_max_f32_e32 v41, v34, v47
	v_max_f32_e32 v48, v44, v44
	v_cndmask_b32_e64 v34, v34, v41, s[8:9]
	v_max_f32_e32 v35, v34, v48
	v_cndmask_b32_e64 v34, v34, v35, s[10:11]
	;;#ASMSTART
	v_nop
 v_nop
 v_max_f32_dpp v34, v34, v34 row_ror:4
	;;#ASMEND
	s_nop 0
	;;#ASMSTART
	v_nop
 v_nop
 v_max_f32_dpp v34, v34, v34 row_ror:8
	;;#ASMEND
	ds_bpermute_b32 v34, v39, v34
	s_waitcnt lgkmcnt(0)
	;;#ASMSTART
	v_nop
 v_nop
 v_max_f32_dpp v34, v34, v34 row_ror:4
	;;#ASMEND
	s_nop 0
	;;#ASMSTART
	v_nop
 v_nop
 v_max_f32_dpp v41, v34, v34 row_ror:8
	;;#ASMEND
	s_nop 0
	v_sub_f32_e32 v34, v36, v41
	v_sub_f32_e32 v35, v37, v41
	v_mul_f32_e32 v34, 0x3fb8aa3b, v34
	v_sub_f32_e32 v36, v43, v41
	v_mul_f32_e32 v35, 0x3fb8aa3b, v35
	v_exp_f32_e32 v34, v34
	v_sub_f32_e32 v37, v44, v41
	v_mul_f32_e32 v36, 0x3fb8aa3b, v36
	v_exp_f32_e32 v35, v35
	v_mul_f32_e32 v37, 0x3fb8aa3b, v37
	v_exp_f32_e32 v36, v36
	v_exp_f32_e32 v37, v37
	v_cndmask_b32_e32 v34, 0, v34, vcc
	v_cndmask_b32_e64 v35, 0, v35, s[0:1]
	v_add_f32_e32 v42, 0, v34
	v_cndmask_b32_e64 v36, 0, v36, s[8:9]
	v_add_f32_e32 v42, v42, v35
	;; [unrolled: 2-line block ×3, first 2 shown]
	v_add_f32_e32 v42, v42, v37
	;;#ASMSTART
	v_nop
 v_nop
 v_add_f32_dpp v42, v42, v42 row_ror:4
	;;#ASMEND
	v_cmp_gt_u32_e32 vcc, 4, v40
	;;#ASMSTART
	v_nop
 v_nop
 v_add_f32_dpp v42, v42, v42 row_ror:8
	;;#ASMEND
	ds_bpermute_b32 v39, v39, v42
	s_waitcnt lgkmcnt(0)
	;;#ASMSTART
	v_nop
 v_nop
 v_add_f32_dpp v39, v39, v39 row_ror:4
	;;#ASMEND
	s_nop 0
	;;#ASMSTART
	v_nop
 v_nop
 v_add_f32_dpp v39, v39, v39 row_ror:8
	;;#ASMEND
	s_and_saveexec_b64 s[0:1], vcc
	s_cbranch_execz .LBB479_12
; %bb.11:
	v_mul_u32_u24_e32 v42, 20, v1
	v_lshl_add_u32 v42, v38, 2, v42
	v_add_u32_e32 v42, 0x800, v42
	ds_write2_b32 v42, v41, v39 offset0:128 offset1:148
.LBB479_12:
	s_or_b64 exec, exec, s[0:1]
.LBB479_13:
	s_or_b64 exec, exec, s[26:27]
	v_lshlrev_b32_e32 v39, 2, v38
	v_add_u32_e32 v39, 0x800, v39
	s_waitcnt lgkmcnt(0)
	s_barrier
	s_load_dword s0, s[24:25], 0x8
	ds_read2_b32 v[44:45], v39 offset0:128 offset1:133
	ds_read2_b32 v[46:47], v39 offset0:138 offset1:143
	s_mov_b32 s8, 0xff7fffff
	s_mul_i32 s1, s2, s5
	s_lshl_b32 s4, s4, 2
	s_waitcnt lgkmcnt(0)
	v_max3_f32 v42, v44, s8, v45
	s_mul_i32 s1, s1, s0
	v_max3_f32 v42, v42, v46, v47
	s_lshl_b32 s0, s1, 2
	s_mov_b32 s1, 0
	v_sub_f32_e32 v43, v44, v42
	v_sub_f32_e32 v44, v45, v42
	s_lshl_b64 s[2:3], s[0:1], 2
	ds_read2_b32 v[48:49], v39 offset0:148 offset1:153
	v_mul_f32_e32 v43, 0x3fb8aa3b, v43
	v_mul_f32_e32 v44, 0x3fb8aa3b, v44
	s_mov_b32 s21, s1
	s_add_u32 s1, s12, s2
	v_exp_f32_e32 v43, v43
	v_exp_f32_e32 v50, v44
	ds_read2_b32 v[44:45], v39 offset0:158 offset1:163
	v_sub_f32_e32 v39, v46, v42
	s_addc_u32 s10, s13, s3
	v_mul_f32_e32 v39, 0x3fb8aa3b, v39
	v_sub_f32_e32 v46, v47, v42
	s_add_u32 s8, s14, s2
	v_exp_f32_e32 v39, v39
	v_mul_f32_e32 v46, 0x3fb8aa3b, v46
	s_addc_u32 s9, s15, s3
	s_lshl_b64 s[2:3], s[20:21], 2
	v_exp_f32_e32 v46, v46
	s_add_u32 s8, s8, s2
	s_waitcnt lgkmcnt(1)
	v_fma_f32 v43, v43, v48, 0
	s_addc_u32 s9, s9, s3
	v_fmac_f32_e32 v43, v50, v49
	v_or_b32_e32 v38, s4, v38
	s_waitcnt lgkmcnt(0)
	v_fmac_f32_e32 v43, v39, v44
	s_add_u32 s2, s1, s2
	v_mul_lo_u32 v38, s5, v38
	v_mov_b32_e32 v39, 0
	v_fmac_f32_e32 v43, v46, v45
	s_addc_u32 s3, s10, s3
	v_lshlrev_b64 v[44:45], 2, v[38:39]
	v_lshl_add_u64 v[46:47], s[8:9], 0, v[44:45]
	v_lshl_add_u64 v[44:45], s[2:3], 0, v[44:45]
	v_mov_b32_e32 v38, v39
	global_store_dword v[46:47], v42, off
	global_store_dword v[44:45], v43, off
	s_and_saveexec_b64 s[2:3], s[6:7]
	s_cbranch_execz .LBB479_15
; %bb.14:
	v_add_f32_e32 v38, 0x358637bd, v43
	v_div_scale_f32 v39, s[6:7], v38, v38, 1.0
	v_rcp_f32_e32 v43, v39
	v_div_scale_f32 v44, vcc, 1.0, v38, 1.0
	v_sub_f32_e32 v41, v41, v42
	v_fma_f32 v45, -v39, v43, 1.0
	v_fmac_f32_e32 v43, v45, v43
	v_mul_f32_e32 v45, v44, v43
	v_fma_f32 v46, -v39, v45, v44
	v_mul_f32_e32 v41, 0x3fb8aa3b, v41
	v_fmac_f32_e32 v45, v46, v43
	v_exp_f32_e32 v41, v41
	v_fma_f32 v39, -v39, v45, v44
	v_div_fmas_f32 v39, v39, v43, v45
	v_div_fixup_f32 v38, v39, v38, 1.0
	v_mul_f32_e32 v38, v41, v38
	v_pk_mul_f32 v[34:35], v[34:35], v[38:39] op_sel_hi:[1,0]
	v_pk_mul_f32 v[36:37], v[36:37], v[38:39] op_sel_hi:[1,0]
	v_bfe_u32 v38, v35, 16, 1
	v_bfe_u32 v39, v34, 16, 1
	s_movk_i32 s1, 0x7fff
	v_add3_u32 v34, v34, v39, s1
	v_add3_u32 v35, v35, v38, s1
	s_mov_b32 s6, 0x7060302
	v_perm_b32 v34, v35, v34, s6
	v_bfe_u32 v35, v37, 16, 1
	v_bfe_u32 v38, v36, 16, 1
	v_add3_u32 v36, v36, v38, s1
	v_add3_u32 v35, v37, v35, s1
	v_perm_b32 v35, v35, v36, s6
	s_waitcnt vmcnt(9)
	s_nop 0
	v_mfma_f32_4x4x4_16b_bf16 a[0:3], v[34:35], v[2:3], 0 cbsz:4
	s_nop 1
	v_mfma_f32_4x4x4_16b_bf16 a[0:3], v[34:35], v[4:5], a[0:3] cbsz:4 abid:1
	s_waitcnt vmcnt(8)
	s_nop 0
	v_mfma_f32_4x4x4_16b_bf16 a[0:3], v[34:35], v[6:7], a[0:3] cbsz:4 abid:2
	s_nop 1
	v_mfma_f32_4x4x4_16b_bf16 a[0:3], v[34:35], v[8:9], a[0:3] cbsz:4 abid:3
	s_waitcnt vmcnt(7)
	s_nop 0
	v_mfma_f32_4x4x4_16b_bf16 a[0:3], v[34:35], v[10:11], a[0:3] cbsz:4 abid:4
	;; [unrolled: 5-line block ×7, first 2 shown]
	s_nop 1
	v_mfma_f32_4x4x4_16b_bf16 a[0:3], v[34:35], v[32:33], a[0:3] cbsz:4 abid:15
	s_nop 4
	v_accvgpr_read_b32 v5, a1
	v_accvgpr_read_b32 v2, a2
	;; [unrolled: 1-line block ×4, first 2 shown]
	v_bfe_u32 v6, v5, 16, 1
	v_bfe_u32 v7, v4, 16, 1
	;; [unrolled: 1-line block ×3, first 2 shown]
	v_add3_u32 v5, v5, v6, s1
	v_bfe_u32 v6, v2, 16, 1
	v_add3_u32 v4, v4, v7, s1
	v_add3_u32 v2, v2, v6, s1
	;; [unrolled: 1-line block ×3, first 2 shown]
	v_perm_b32 v39, v3, v2, s6
	v_perm_b32 v38, v5, v4, s6
.LBB479_15:
	s_or_b64 exec, exec, s[2:3]
	v_lshlrev_b32_e32 v1, 3, v1
	v_mad_u32_u24 v1, v40, 40, v1
	v_cmp_gt_u32_e32 vcc, 64, v0
	ds_write_b64 v1, v[38:39]
	s_waitcnt lgkmcnt(0)
	s_barrier
	s_and_saveexec_b64 s[2:3], vcc
	s_cbranch_execz .LBB479_17
; %bb.16:
	v_mul_u32_u24_e32 v1, 40, v40
	s_waitcnt vmcnt(9)
	ds_read2_b64 v[2:5], v1 offset1:1
	s_waitcnt vmcnt(8)
	ds_read2_b64 v[6:9], v1 offset0:2 offset1:3
	s_mov_b32 s1, 0
	s_lshl_b32 s0, s0, 6
	s_lshl_b64 s[2:3], s[0:1], 1
	s_waitcnt lgkmcnt(1)
	v_lshlrev_b32_e32 v1, 16, v2
	v_and_b32_e32 v2, 0xffff0000, v2
	v_add_f32_e32 v1, 0, v1
	v_add_f32_e32 v2, 0, v2
	s_waitcnt vmcnt(7)
	v_lshlrev_b32_e32 v10, 16, v3
	v_and_b32_e32 v3, 0xffff0000, v3
	v_and_b32_e32 v1, 0xffff0000, v1
	;; [unrolled: 1-line block ×3, first 2 shown]
	v_add_f32_e32 v3, 0, v3
	v_lshlrev_b32_e32 v11, 16, v4
	v_and_b32_e32 v4, 0xffff0000, v4
	v_add_f32_e32 v10, 0, v10
	v_and_b32_e32 v3, 0xffff0000, v3
	v_add_f32_e32 v1, v1, v11
	v_add_f32_e32 v2, v2, v4
	v_lshlrev_b32_e32 v4, 16, v5
	v_and_b32_e32 v5, 0xffff0000, v5
	v_and_b32_e32 v10, 0xffff0000, v10
	;; [unrolled: 1-line block ×3, first 2 shown]
	v_add_f32_e32 v3, v3, v5
	s_waitcnt lgkmcnt(0)
	v_lshlrev_b32_e32 v5, 16, v6
	v_and_b32_e32 v2, 0xffff0000, v2
	v_add_f32_e32 v4, v10, v4
	v_add_f32_e32 v1, v1, v5
	v_and_b32_e32 v5, 0xffff0000, v6
	v_and_b32_e32 v4, 0xffff0000, v4
	v_add_f32_e32 v2, v2, v5
	v_lshlrev_b32_e32 v5, 16, v7
	s_add_u32 s2, s22, s2
	v_and_b32_e32 v3, 0xffff0000, v3
	v_add_f32_e32 v4, v4, v5
	v_and_b32_e32 v5, 0xffff0000, v7
	s_addc_u32 s3, s23, s3
	s_lshl_b32 s0, s20, 6
	v_and_b32_e32 v1, 0xffff0000, v1
	v_add_f32_e32 v3, v3, v5
	v_lshlrev_b32_e32 v5, 16, v8
	s_lshl_b64 s[0:1], s[0:1], 1
	v_and_b32_e32 v2, 0xffff0000, v2
	v_add_f32_e32 v1, v1, v5
	v_and_b32_e32 v5, 0xffff0000, v8
	s_add_u32 s0, s2, s0
	v_and_b32_e32 v4, 0xffff0000, v4
	v_add_f32_e32 v6, v2, v5
	v_lshlrev_b32_e32 v2, 16, v9
	s_addc_u32 s1, s3, s1
	s_lshl_b32 s2, s5, 6
	v_and_b32_e32 v3, 0xffff0000, v3
	v_add_f32_e32 v7, v4, v2
	v_and_b32_e32 v2, 0xffff0000, v9
	s_mul_i32 s3, s2, s4
	v_add_f32_e32 v8, v3, v2
	v_or_b32_e32 v2, s3, v0
	v_mov_b32_e32 v3, 0
	s_add_i32 s3, s3, s2
	v_lshl_add_u64 v[4:5], v[2:3], 1, s[0:1]
	v_or_b32_e32 v2, s3, v0
	s_add_i32 s3, s3, s2
	global_store_short_d16_hi v[4:5], v1, off
	v_lshl_add_u64 v[4:5], v[2:3], 1, s[0:1]
	v_or_b32_e32 v2, s3, v0
	s_add_i32 s3, s3, s2
	global_store_short_d16_hi v[4:5], v6, off
	v_lshl_add_u64 v[4:5], v[2:3], 1, s[0:1]
	v_or_b32_e32 v2, s3, v0
	v_lshl_add_u64 v[0:1], v[2:3], 1, s[0:1]
	global_store_short_d16_hi v[4:5], v7, off
	global_store_short_d16_hi v[0:1], v8, off
.LBB479_17:
	s_endpgm
.LBB479_18:
	s_mov_b64 s[12:13], 0
                                        ; implicit-def: $sgpr30_sgpr31
	s_branch .LBB479_2
	.section	.rodata,"a",@progbits
	.p2align	6, 0x0
	.amdhsa_kernel _Z38paged_attention_ll4mi_QKV_mfma4_kernelI14__hip_bfloat16S0_LN4vllm18Fp8KVCacheDataTypeE0ES0_Li16ELi64ELi256ELb0ELi4EEvPKT_PKT0_S8_ifPKiSA_SA_iPKfiiiPfSD_PS3_PT2_iSC_SC_
		.amdhsa_group_segment_fixed_size 2720
		.amdhsa_private_segment_fixed_size 0
		.amdhsa_kernarg_size 400
		.amdhsa_user_sgpr_count 2
		.amdhsa_user_sgpr_dispatch_ptr 0
		.amdhsa_user_sgpr_queue_ptr 0
		.amdhsa_user_sgpr_kernarg_segment_ptr 1
		.amdhsa_user_sgpr_dispatch_id 0
		.amdhsa_user_sgpr_kernarg_preload_length 0
		.amdhsa_user_sgpr_kernarg_preload_offset 0
		.amdhsa_user_sgpr_private_segment_size 0
		.amdhsa_uses_dynamic_stack 0
		.amdhsa_enable_private_segment 0
		.amdhsa_system_sgpr_workgroup_id_x 1
		.amdhsa_system_sgpr_workgroup_id_y 1
		.amdhsa_system_sgpr_workgroup_id_z 1
		.amdhsa_system_sgpr_workgroup_info 0
		.amdhsa_system_vgpr_workitem_id 0
		.amdhsa_next_free_vgpr 68
		.amdhsa_next_free_sgpr 38
		.amdhsa_accum_offset 64
		.amdhsa_reserve_vcc 1
		.amdhsa_float_round_mode_32 0
		.amdhsa_float_round_mode_16_64 0
		.amdhsa_float_denorm_mode_32 3
		.amdhsa_float_denorm_mode_16_64 3
		.amdhsa_dx10_clamp 1
		.amdhsa_ieee_mode 1
		.amdhsa_fp16_overflow 0
		.amdhsa_tg_split 0
		.amdhsa_exception_fp_ieee_invalid_op 0
		.amdhsa_exception_fp_denorm_src 0
		.amdhsa_exception_fp_ieee_div_zero 0
		.amdhsa_exception_fp_ieee_overflow 0
		.amdhsa_exception_fp_ieee_underflow 0
		.amdhsa_exception_fp_ieee_inexact 0
		.amdhsa_exception_int_div_zero 0
	.end_amdhsa_kernel
	.section	.text._Z38paged_attention_ll4mi_QKV_mfma4_kernelI14__hip_bfloat16S0_LN4vllm18Fp8KVCacheDataTypeE0ES0_Li16ELi64ELi256ELb0ELi4EEvPKT_PKT0_S8_ifPKiSA_SA_iPKfiiiPfSD_PS3_PT2_iSC_SC_,"axG",@progbits,_Z38paged_attention_ll4mi_QKV_mfma4_kernelI14__hip_bfloat16S0_LN4vllm18Fp8KVCacheDataTypeE0ES0_Li16ELi64ELi256ELb0ELi4EEvPKT_PKT0_S8_ifPKiSA_SA_iPKfiiiPfSD_PS3_PT2_iSC_SC_,comdat
.Lfunc_end479:
	.size	_Z38paged_attention_ll4mi_QKV_mfma4_kernelI14__hip_bfloat16S0_LN4vllm18Fp8KVCacheDataTypeE0ES0_Li16ELi64ELi256ELb0ELi4EEvPKT_PKT0_S8_ifPKiSA_SA_iPKfiiiPfSD_PS3_PT2_iSC_SC_, .Lfunc_end479-_Z38paged_attention_ll4mi_QKV_mfma4_kernelI14__hip_bfloat16S0_LN4vllm18Fp8KVCacheDataTypeE0ES0_Li16ELi64ELi256ELb0ELi4EEvPKT_PKT0_S8_ifPKiSA_SA_iPKfiiiPfSD_PS3_PT2_iSC_SC_
                                        ; -- End function
	.section	.AMDGPU.csdata,"",@progbits
; Kernel info:
; codeLenInByte = 3440
; NumSgprs: 44
; NumVgprs: 62
; NumAgprs: 4
; TotalNumVgprs: 68
; ScratchSize: 0
; MemoryBound: 0
; FloatMode: 240
; IeeeMode: 1
; LDSByteSize: 2720 bytes/workgroup (compile time only)
; SGPRBlocks: 5
; VGPRBlocks: 8
; NumSGPRsForWavesPerEU: 44
; NumVGPRsForWavesPerEU: 68
; AccumOffset: 64
; Occupancy: 7
; WaveLimiterHint : 1
; COMPUTE_PGM_RSRC2:SCRATCH_EN: 0
; COMPUTE_PGM_RSRC2:USER_SGPR: 2
; COMPUTE_PGM_RSRC2:TRAP_HANDLER: 0
; COMPUTE_PGM_RSRC2:TGID_X_EN: 1
; COMPUTE_PGM_RSRC2:TGID_Y_EN: 1
; COMPUTE_PGM_RSRC2:TGID_Z_EN: 1
; COMPUTE_PGM_RSRC2:TIDIG_COMP_CNT: 0
; COMPUTE_PGM_RSRC3_GFX90A:ACCUM_OFFSET: 15
; COMPUTE_PGM_RSRC3_GFX90A:TG_SPLIT: 0
	.section	.text._Z39paged_attention_ll4mi_QKV_mfma16_kernelI14__hip_bfloat16S0_LN4vllm18Fp8KVCacheDataTypeE0ES0_Li16ELi64ELi256ELb0ELi5EEvPKT_PKT0_S8_ifPKiSA_SA_iPKfiiiPfSD_PS3_PT2_iSC_SC_,"axG",@progbits,_Z39paged_attention_ll4mi_QKV_mfma16_kernelI14__hip_bfloat16S0_LN4vllm18Fp8KVCacheDataTypeE0ES0_Li16ELi64ELi256ELb0ELi5EEvPKT_PKT0_S8_ifPKiSA_SA_iPKfiiiPfSD_PS3_PT2_iSC_SC_,comdat
	.protected	_Z39paged_attention_ll4mi_QKV_mfma16_kernelI14__hip_bfloat16S0_LN4vllm18Fp8KVCacheDataTypeE0ES0_Li16ELi64ELi256ELb0ELi5EEvPKT_PKT0_S8_ifPKiSA_SA_iPKfiiiPfSD_PS3_PT2_iSC_SC_ ; -- Begin function _Z39paged_attention_ll4mi_QKV_mfma16_kernelI14__hip_bfloat16S0_LN4vllm18Fp8KVCacheDataTypeE0ES0_Li16ELi64ELi256ELb0ELi5EEvPKT_PKT0_S8_ifPKiSA_SA_iPKfiiiPfSD_PS3_PT2_iSC_SC_
	.globl	_Z39paged_attention_ll4mi_QKV_mfma16_kernelI14__hip_bfloat16S0_LN4vllm18Fp8KVCacheDataTypeE0ES0_Li16ELi64ELi256ELb0ELi5EEvPKT_PKT0_S8_ifPKiSA_SA_iPKfiiiPfSD_PS3_PT2_iSC_SC_
	.p2align	8
	.type	_Z39paged_attention_ll4mi_QKV_mfma16_kernelI14__hip_bfloat16S0_LN4vllm18Fp8KVCacheDataTypeE0ES0_Li16ELi64ELi256ELb0ELi5EEvPKT_PKT0_S8_ifPKiSA_SA_iPKfiiiPfSD_PS3_PT2_iSC_SC_,@function
_Z39paged_attention_ll4mi_QKV_mfma16_kernelI14__hip_bfloat16S0_LN4vllm18Fp8KVCacheDataTypeE0ES0_Li16ELi64ELi256ELb0ELi5EEvPKT_PKT0_S8_ifPKiSA_SA_iPKfiiiPfSD_PS3_PT2_iSC_SC_: ; @_Z39paged_attention_ll4mi_QKV_mfma16_kernelI14__hip_bfloat16S0_LN4vllm18Fp8KVCacheDataTypeE0ES0_Li16ELi64ELi256ELb0ELi5EEvPKT_PKT0_S8_ifPKiSA_SA_iPKfiiiPfSD_PS3_PT2_iSC_SC_
; %bb.0:
	s_load_dwordx2 s[12:13], s[0:1], 0x30
	s_mov_b32 s28, s3
	s_mov_b64 s[6:7], 0
	s_waitcnt lgkmcnt(0)
	s_cmp_lg_u64 s[12:13], 0
	s_cselect_b64 s[14:15], -1, 0
	s_and_b64 vcc, exec, s[14:15]
	s_cbranch_vccz .LBB480_7
; %bb.1:
	s_add_i32 s8, s2, 1
	s_mov_b32 s9, 0
	s_lshl_b64 s[10:11], s[8:9], 2
	s_add_u32 s10, s12, s10
	s_mov_b32 s3, s9
	s_addc_u32 s11, s13, s11
	s_lshl_b64 s[8:9], s[2:3], 2
	s_add_u32 s8, s12, s8
	s_addc_u32 s9, s13, s9
	s_load_dword s5, s[10:11], 0x0
	s_load_dword s16, s[8:9], 0x0
	s_waitcnt lgkmcnt(0)
	s_sub_i32 s5, s5, s16
	s_cmp_eq_u32 s5, 1
	s_cselect_b64 s[8:9], -1, 0
	s_andn2_b64 vcc, exec, s[6:7]
	s_cbranch_vccnz .LBB480_3
.LBB480_2:
	s_mov_b32 s3, 0
	s_mov_b64 s[8:9], -1
.LBB480_3:
	s_andn2_b64 vcc, exec, s[8:9]
	s_cbranch_vccnz .LBB480_18
; %bb.4:
	s_load_dwordx2 s[6:7], s[0:1], 0x28
	s_lshl_b64 s[16:17], s[2:3], 2
	s_waitcnt lgkmcnt(0)
	s_add_u32 s6, s6, s16
	s_addc_u32 s7, s7, s17
	s_load_dword s33, s[6:7], 0x0
	s_lshl_b32 s18, s28, 8
	s_waitcnt lgkmcnt(0)
	s_cmp_ge_i32 s18, s33
	s_cbranch_scc1 .LBB480_18
; %bb.5:
	s_load_dwordx2 s[6:7], s[0:1], 0x20
	s_load_dword s5, s[0:1], 0x38
	s_add_i32 s8, s33, 15
	s_ashr_i32 s9, s8, 31
	v_and_b32_e32 v1, 0xcf, v0
	s_lshr_b32 s9, s9, 28
	v_add_u32_e32 v1, s18, v1
	s_add_i32 s8, s8, s9
	v_ashrrev_i32_e32 v2, 31, v1
	s_ashr_i32 s19, s8, 4
	v_lshrrev_b32_e32 v10, 28, v2
	s_add_i32 s19, s19, -1
	s_waitcnt lgkmcnt(0)
	s_mul_i32 s8, s2, s5
	s_mov_b32 s9, 0
	v_add_u32_e32 v2, v1, v10
	s_lshl_b64 s[8:9], s[8:9], 2
	v_ashrrev_i32_e32 v2, 4, v2
	v_mov_b32_e32 v11, s19
	v_cmp_gt_i32_e32 vcc, s33, v1
	s_add_u32 s6, s6, s8
	s_addc_u32 s7, s7, s9
	v_cndmask_b32_e32 v2, v11, v2, vcc
	v_ashrrev_i32_e32 v3, 31, v2
	v_lshl_add_u64 v[4:5], v[2:3], 2, s[6:7]
	v_or_b32_e32 v2, 16, v1
	v_add_u32_e32 v3, v2, v10
	v_ashrrev_i32_e32 v3, 4, v3
	v_cmp_gt_i32_e32 vcc, s33, v2
	s_load_dwordx4 s[8:11], s[0:1], 0x8
	s_nop 0
	v_cndmask_b32_e32 v2, v11, v3, vcc
	v_ashrrev_i32_e32 v3, 31, v2
	v_lshl_add_u64 v[6:7], v[2:3], 2, s[6:7]
	v_or_b32_e32 v2, 32, v1
	v_add_u32_e32 v3, v2, v10
	v_ashrrev_i32_e32 v3, 4, v3
	v_cmp_gt_i32_e32 vcc, s33, v2
	v_or_b32_e32 v1, 48, v1
	s_nop 0
	v_cndmask_b32_e32 v2, v11, v3, vcc
	v_ashrrev_i32_e32 v3, 31, v2
	v_lshl_add_u64 v[8:9], v[2:3], 2, s[6:7]
	v_add_u32_e32 v2, v1, v10
	v_ashrrev_i32_e32 v2, 4, v2
	v_cmp_gt_i32_e32 vcc, s33, v1
	s_nop 1
	v_cndmask_b32_e32 v2, v11, v2, vcc
	v_ashrrev_i32_e32 v3, 31, v2
	v_lshl_add_u64 v[12:13], v[2:3], 2, s[6:7]
	global_load_dword v3, v[4:5], off
	global_load_dword v2, v[6:7], off
	global_load_dword v10, v[8:9], off
	global_load_dword v16, v[12:13], off
	s_andn2_b64 vcc, exec, s[14:15]
	s_cbranch_vccnz .LBB480_8
; %bb.6:
	s_add_u32 s12, s12, s16
	s_addc_u32 s13, s13, s17
	s_load_dword s5, s[12:13], 0x0
	s_branch .LBB480_9
.LBB480_7:
	s_mov_b64 s[8:9], 0
	s_branch .LBB480_2
.LBB480_8:
	s_mov_b32 s5, s2
.LBB480_9:
	s_load_dwordx4 s[44:47], s[0:1], 0x48
	v_lshrrev_b32_e32 v37, 6, v0
	v_bfe_u32 v54, v0, 4, 2
	v_lshl_or_b32 v1, v37, 2, v54
	v_and_b32_e32 v36, 15, v0
	v_lshlrev_b32_e32 v4, 3, v36
	v_cmp_gt_u32_e32 vcc, 5, v1
	v_cmp_gt_u32_e64 s[30:31], 8, v36
	v_and_b32_e32 v55, 63, v0
	s_mul_i32 s42, s4, 5
	s_and_b64 s[14:15], s[30:31], vcc
	v_lshlrev_b32_e32 v34, 1, v4
	s_and_saveexec_b64 s[12:13], s[14:15]
	s_cbranch_execz .LBB480_11
; %bb.10:
	s_load_dwordx2 s[14:15], s[0:1], 0x0
	s_waitcnt lgkmcnt(0)
	s_ashr_i32 s16, s44, 31
	s_mul_hi_u32 s17, s5, s44
	s_mul_i32 s16, s5, s16
	s_add_i32 s17, s17, s16
	s_mul_i32 s16, s5, s44
	s_lshl_b64 s[16:17], s[16:17], 1
	s_add_u32 s14, s14, s16
	v_add_lshl_u32 v4, v1, s42, 6
	s_addc_u32 s15, s15, s17
	v_ashrrev_i32_e32 v5, 31, v4
	v_lshl_add_u64 v[4:5], v[4:5], 1, s[14:15]
	v_mov_b32_e32 v35, 0
	v_lshl_add_u64 v[4:5], v[4:5], 0, v[34:35]
	global_load_dwordx4 v[4:7], v[4:5], off
	v_and_b32_e32 v8, 3, v0
	v_lshlrev_b32_e32 v9, 9, v36
	v_lshlrev_b32_e32 v1, 5, v1
	;; [unrolled: 1-line block ×3, first 2 shown]
	v_and_b32_e32 v9, 0x1800, v9
	v_or3_b32 v1, v9, v8, v1
	s_waitcnt vmcnt(0)
	ds_write_b128 v1, v[4:7]
.LBB480_11:
	s_or_b64 exec, exec, s[12:13]
	s_waitcnt lgkmcnt(0)
	s_mul_i32 s4, s4, s46
	s_mov_b32 s5, 0
	s_lshl_b64 s[4:5], s[4:5], 1
	s_add_u32 s8, s8, s4
	v_lshlrev_b32_e32 v1, 4, v0
	s_addc_u32 s9, s9, s5
	v_and_b32_e32 v30, 0xf0, v1
	v_mov_b32_e32 v31, 0
	v_lshl_add_u64 v[18:19], s[8:9], 0, v[30:31]
	s_waitcnt vmcnt(3)
	v_mad_i64_i32 v[4:5], s[8:9], v3, s45, 0
	v_lshl_add_u64 v[4:5], v[4:5], 1, v[18:19]
	v_and_b32_e32 v30, 0x300, v1
	s_waitcnt vmcnt(2)
	v_mad_i64_i32 v[2:3], s[8:9], v2, s45, 0
	v_lshl_add_u64 v[14:15], v[4:5], 0, v[30:31]
	v_lshl_add_u64 v[2:3], v[2:3], 1, v[18:19]
	s_load_dword s29, s[0:1], 0x98
	s_load_dword s12, s[0:1], 0x1c
	s_waitcnt lgkmcnt(0)
	s_barrier
	global_load_dwordx4 v[6:9], v[14:15], off
	global_load_dwordx4 v[26:29], v[14:15], off offset:1024
	v_lshl_add_u64 v[32:33], v[2:3], 0, v[30:31]
	global_load_dwordx4 v[2:5], v[32:33], off
	global_load_dwordx4 v[46:49], v[32:33], off offset:1024
	s_waitcnt vmcnt(5)
	v_mad_i64_i32 v[10:11], s[8:9], v10, s45, 0
	v_lshl_add_u64 v[10:11], v[10:11], 1, v[18:19]
	v_lshl_add_u64 v[38:39], v[10:11], 0, v[30:31]
	global_load_dwordx4 v[10:13], v[38:39], off
	global_load_dwordx4 v[56:59], v[38:39], off offset:1024
	s_waitcnt vmcnt(6)
	v_mad_i64_i32 v[16:17], s[8:9], v16, s45, 0
	v_lshl_add_u64 v[16:17], v[16:17], 1, v[18:19]
	v_lshl_add_u64 v[40:41], v[16:17], 0, v[30:31]
	global_load_dwordx4 v[18:21], v[40:41], off
	v_mul_lo_u16_e32 v16, 52, v36
	v_mov_b32_e32 v17, 5
	v_mul_lo_u16_sdwa v16, v16, v17 dst_sel:DWORD dst_unused:UNUSED_PAD src0_sel:BYTE_1 src1_sel:DWORD
	v_sub_u16_e32 v16, v36, v16
	v_lshlrev_b32_sdwa v16, v17, v16 dst_sel:DWORD dst_unused:UNUSED_PAD src0_sel:DWORD src1_sel:BYTE_0
	v_lshl_add_u32 v16, v54, 9, v16
	ds_read_b128 v[22:25], v16
	global_load_dwordx4 v[38:41], v[40:41], off offset:1024
	v_and_or_b32 v30, v0, 48, s18
	v_mov_b32_e32 v68, s19
	v_cmp_gt_i32_e32 vcc, s33, v30
	ds_read_b128 v[14:17], v16 offset:2048
	v_lshlrev_b32_e32 v35, 5, v36
	s_add_u32 s4, s10, s4
	s_addc_u32 s5, s11, s5
	s_mov_b32 s43, 0xff7fffff
	s_waitcnt vmcnt(7) lgkmcnt(1)
	v_mfma_f32_16x16x16_bf16 v[42:45], v[6:7], v[22:23], 0
	v_ashrrev_i32_e32 v6, 4, v30
	v_or_b32_e32 v7, 64, v30
	s_waitcnt vmcnt(5)
	v_mfma_f32_16x16x16_bf16 v[50:53], v[2:3], v[22:23], 0
	v_cndmask_b32_e32 v2, v68, v6, vcc
	v_ashrrev_i32_e32 v3, 31, v2
	v_ashrrev_i32_e32 v6, 4, v7
	v_cmp_gt_i32_e32 vcc, s33, v7
	v_lshl_add_u64 v[2:3], v[2:3], 2, s[6:7]
	s_waitcnt vmcnt(3)
	v_mfma_f32_16x16x16_bf16 v[60:63], v[10:11], v[22:23], 0
	v_cndmask_b32_e32 v10, v68, v6, vcc
	v_ashrrev_i32_e32 v11, 31, v10
	v_lshl_add_u64 v[10:11], v[10:11], 2, s[6:7]
	v_mfma_f32_16x16x16_bf16 v[6:9], v[8:9], v[24:25], v[42:45]
	s_nop 2
	global_load_dword v42, v[2:3], off
	global_load_dword v43, v[10:11], off
	s_waitcnt vmcnt(3)
	v_mfma_f32_16x16x16_bf16 v[64:67], v[18:19], v[22:23], 0
	v_or_b32_e32 v22, 0x80, v30
	v_or_b32_e32 v23, 0xc0, v30
	v_ashrrev_i32_e32 v30, 4, v22
	v_cmp_gt_i32_e32 vcc, s33, v22
	v_ashrrev_i32_e32 v32, 4, v23
	v_mfma_f32_16x16x16_bf16 v[2:5], v[4:5], v[24:25], v[50:53]
	v_cndmask_b32_e32 v22, v68, v30, vcc
	v_cmp_gt_i32_e32 vcc, s33, v23
	v_ashrrev_i32_e32 v23, 31, v22
	v_mfma_f32_16x16x16_bf16 v[10:13], v[12:13], v[24:25], v[60:63]
	v_lshl_or_b32 v30, v37, 9, v35
	v_mfma_f32_16x16x16_bf16 v[18:21], v[20:21], v[24:25], v[64:67]
	v_cndmask_b32_e32 v24, v68, v32, vcc
	v_ashrrev_i32_e32 v25, 31, v24
	v_lshl_add_u64 v[32:33], v[24:25], 2, s[6:7]
	s_waitcnt lgkmcnt(0)
	v_mfma_f32_16x16x16_bf16 v[6:9], v[26:27], v[14:15], v[6:9]
	v_lshl_add_u64 v[26:27], v[22:23], 2, s[6:7]
	global_load_dword v60, v[26:27], off
	global_load_dword v61, v[32:33], off
	v_mfma_f32_16x16x16_bf16 v[2:5], v[46:47], v[14:15], v[2:5]
	v_mfma_f32_16x16x16_bf16 v[22:25], v[56:57], v[14:15], v[10:13]
	s_waitcnt vmcnt(4)
	v_mfma_f32_16x16x16_bf16 v[18:21], v[38:39], v[14:15], v[18:21]
	s_nop 0
	v_lshl_add_u64 v[10:11], s[4:5], 0, v[30:31]
	s_waitcnt vmcnt(3)
	v_mad_i64_i32 v[26:27], s[4:5], v42, s45, 0
	v_mfma_f32_16x16x16_bf16 v[12:15], v[28:29], v[16:17], v[6:9]
	v_lshl_add_u64 v[30:31], v[26:27], 1, v[10:11]
	s_waitcnt vmcnt(2)
	v_mad_i64_i32 v[32:33], s[4:5], v43, s45, 0
	v_mfma_f32_16x16x16_bf16 v[26:29], v[48:49], v[16:17], v[2:5]
	v_lshl_add_u64 v[56:57], v[32:33], 1, v[10:11]
	s_nop 1
	v_pk_mul_f32 v[50:51], s[12:13], v[14:15] op_sel_hi:[0,1]
	v_pk_mul_f32 v[12:13], s[12:13], v[12:13] op_sel_hi:[0,1]
	v_mfma_f32_16x16x16_bf16 v[22:25], v[58:59], v[16:17], v[22:25]
	global_load_dwordx4 v[6:9], v[30:31], off
	global_load_dwordx4 v[2:5], v[30:31], off offset:16
	v_pk_mul_f32 v[42:43], s[12:13], v[26:27] op_sel_hi:[0,1]
	v_pk_mul_f32 v[52:53], s[12:13], v[28:29] op_sel_hi:[0,1]
	v_mfma_f32_16x16x16_bf16 v[14:17], v[40:41], v[16:17], v[18:21]
	s_nop 1
	v_pk_mul_f32 v[46:47], s[12:13], v[22:23] op_sel_hi:[0,1]
	v_pk_mul_f32 v[48:49], s[12:13], v[24:25] op_sel_hi:[0,1]
	global_load_dwordx4 v[30:33], v[56:57], off
	global_load_dwordx4 v[26:29], v[56:57], off offset:16
	s_nop 0
	v_pk_mul_f32 v[44:45], s[12:13], v[14:15] op_sel_hi:[0,1]
	v_and_b32_e32 v14, 0xc0, v0
	v_add_u32_e32 v14, s18, v14
	v_lshl_or_b32 v14, v54, 2, v14
	v_pk_mul_f32 v[38:39], s[12:13], v[16:17] op_sel_hi:[0,1]
	v_or_b32_e32 v17, 1, v14
	v_mov_b32_e32 v15, 0xff7fffff
	v_cmp_gt_i32_e64 s[4:5], s33, v14
	v_cmp_gt_i32_e64 s[34:35], s33, v17
	v_or_b32_e32 v18, 3, v14
	v_cndmask_b32_e64 v16, v15, v12, s[4:5]
	v_cndmask_b32_e64 v17, v15, v13, s[34:35]
	v_max3_f32 v16, v16, s43, v17
	v_or_b32_e32 v17, 2, v14
	v_cmp_gt_i32_e64 s[36:37], s33, v17
	v_cmp_gt_i32_e64 s[38:39], s33, v18
	s_nop 0
	v_cndmask_b32_e64 v17, v15, v50, s[36:37]
	v_cndmask_b32_e64 v18, v15, v51, s[38:39]
	v_max3_f32 v16, v16, v17, v18
	v_or_b32_e32 v17, 16, v14
	v_or_b32_e32 v18, 17, v14
	v_cmp_gt_i32_e64 s[24:25], s33, v17
	v_cmp_gt_i32_e64 s[26:27], s33, v18
	s_nop 0
	v_cndmask_b32_e64 v17, v15, v42, s[24:25]
	v_cndmask_b32_e64 v18, v15, v43, s[26:27]
	v_max3_f32 v16, v16, v17, v18
	v_or_b32_e32 v17, 18, v14
	;; [unrolled: 8-line block ×6, first 2 shown]
	v_or_b32_e32 v14, 51, v14
	v_cmp_gt_i32_e32 vcc, s33, v17
	v_cmp_gt_i32_e64 s[6:7], s33, v14
	s_nop 0
	v_cndmask_b32_e32 v17, v15, v38, vcc
	v_cndmask_b32_e64 v14, v15, v39, s[6:7]
	v_max3_f32 v16, v16, v17, v14
	v_mbcnt_lo_u32_b32 v14, -1, 0
	v_mbcnt_hi_u32_b32 v17, -1, v14
	v_and_b32_e32 v14, 64, v17
	v_add_u32_e32 v18, 64, v14
	v_xor_b32_e32 v14, 32, v17
	v_cmp_lt_i32_e64 s[40:41], v14, v18
	s_nop 1
	v_cndmask_b32_e64 v14, v17, v14, s[40:41]
	v_lshlrev_b32_e32 v58, 2, v14
	ds_bpermute_b32 v19, v58, v16
	s_waitcnt vmcnt(5)
	v_mad_i64_i32 v[14:15], s[40:41], v60, s45, 0
	v_lshl_add_u64 v[14:15], v[14:15], 1, v[10:11]
	s_waitcnt lgkmcnt(0)
	v_max_f32_e32 v19, v19, v19
	v_max_f32_e32 v16, v16, v19
	v_xor_b32_e32 v19, 16, v17
	v_cmp_lt_i32_e64 s[40:41], v19, v18
	s_nop 1
	v_cndmask_b32_e64 v17, v17, v19, s[40:41]
	v_lshlrev_b32_e32 v57, 2, v17
	ds_bpermute_b32 v17, v57, v16
	global_load_dwordx4 v[22:25], v[14:15], off
	global_load_dwordx4 v[18:21], v[14:15], off offset:16
	s_waitcnt vmcnt(6)
	v_mad_i64_i32 v[14:15], s[40:41], v61, s45, 0
	v_lshl_add_u64 v[10:11], v[14:15], 1, v[10:11]
	s_waitcnt lgkmcnt(0)
	v_max_f32_e32 v14, v17, v17
	v_max_f32_e32 v56, v16, v14
	v_sub_f32_e32 v12, v12, v56
	v_mul_f32_e32 v12, 0x3fb8aa3b, v12
	v_exp_f32_e32 v40, v12
	v_sub_f32_e32 v12, v13, v56
	v_mul_f32_e32 v12, 0x3fb8aa3b, v12
	v_exp_f32_e32 v41, v12
	global_load_dwordx4 v[14:17], v[10:11], off
	s_nop 0
	global_load_dwordx4 v[10:13], v[10:11], off offset:16
	v_sub_f32_e32 v50, v50, v56
	v_mul_f32_e32 v50, 0x3fb8aa3b, v50
	v_sub_f32_e32 v51, v51, v56
	v_exp_f32_e32 v50, v50
	v_mul_f32_e32 v51, 0x3fb8aa3b, v51
	v_sub_f32_e32 v42, v42, v56
	v_exp_f32_e32 v51, v51
	v_mul_f32_e32 v42, 0x3fb8aa3b, v42
	v_sub_f32_e32 v43, v43, v56
	v_cndmask_b32_e64 v40, 0, v40, s[4:5]
	v_exp_f32_e32 v42, v42
	v_mul_f32_e32 v43, 0x3fb8aa3b, v43
	v_sub_f32_e32 v52, v52, v56
	v_add_f32_e32 v59, 0, v40
	v_cndmask_b32_e64 v41, 0, v41, s[34:35]
	v_exp_f32_e32 v43, v43
	v_mul_f32_e32 v52, 0x3fb8aa3b, v52
	v_sub_f32_e32 v53, v53, v56
	v_add_f32_e32 v59, v59, v41
	;; [unrolled: 5-line block ×10, first 2 shown]
	v_cndmask_b32_e64 v48, 0, v48, s[12:13]
	v_exp_f32_e32 v38, v38
	v_mul_f32_e32 v39, 0x3fb8aa3b, v39
	v_add_f32_e32 v59, v59, v48
	v_cndmask_b32_e64 v49, 0, v49, s[14:15]
	v_exp_f32_e32 v39, v39
	v_add_f32_e32 v59, v59, v49
	v_cndmask_b32_e64 v44, 0, v44, s[8:9]
	v_add_f32_e32 v59, v59, v44
	v_cndmask_b32_e64 v45, 0, v45, s[10:11]
	v_add_f32_e32 v59, v59, v45
	v_cndmask_b32_e32 v38, 0, v38, vcc
	v_add_f32_e32 v59, v59, v38
	v_cndmask_b32_e64 v39, 0, v39, s[6:7]
	v_add_f32_e32 v59, v59, v39
	ds_bpermute_b32 v58, v58, v59
	v_cmp_gt_u32_e64 s[6:7], 16, v55
	s_waitcnt lgkmcnt(0)
	s_barrier
	v_add_f32_e32 v58, v59, v58
	ds_bpermute_b32 v59, v57, v58
	v_lshlrev_b32_e32 v57, 2, v36
	s_and_saveexec_b64 s[4:5], s[6:7]
	s_cbranch_execz .LBB480_13
; %bb.12:
	s_waitcnt lgkmcnt(0)
	v_add_f32_e32 v55, v58, v59
	v_lshl_or_b32 v58, v37, 6, v57
	ds_write2st64_b32 v58, v56, v55 offset1:1
.LBB480_13:
	s_or_b64 exec, exec, s[4:5]
	s_load_dword s8, s[0:1], 0x94
	s_waitcnt lgkmcnt(0)
	s_barrier
	ds_read2_b32 v[58:59], v57 offset1:16
	ds_read2_b32 v[60:61], v57 offset0:32 offset1:48
	ds_read2_b32 v[62:63], v57 offset0:64 offset1:80
	s_movk_i32 s10, 0x7fff
	s_mov_b32 s11, 0x7060302
	s_waitcnt lgkmcnt(2)
	v_max3_f32 v55, v58, s43, v59
	s_waitcnt lgkmcnt(1)
	v_max3_f32 v55, v55, v60, v61
	v_sub_f32_e32 v56, v58, v55
	v_mul_f32_e32 v56, 0x3fb8aa3b, v56
	v_exp_f32_e32 v64, v56
	v_sub_f32_e32 v56, v59, v55
	v_mul_f32_e32 v56, 0x3fb8aa3b, v56
	v_exp_f32_e32 v65, v56
	;; [unrolled: 3-line block ×3, first 2 shown]
	ds_read2_b32 v[58:59], v57 offset0:96 offset1:112
	v_sub_f32_e32 v56, v61, v55
	v_mul_f32_e32 v56, 0x3fb8aa3b, v56
	v_exp_f32_e32 v57, v56
	s_waitcnt lgkmcnt(1)
	v_fma_f32 v56, v64, v62, 0
	v_fmac_f32_e32 v56, v65, v63
	s_waitcnt lgkmcnt(0)
	v_fmac_f32_e32 v56, v60, v58
	v_fmac_f32_e32 v56, v57, v59
	v_add_f32_e32 v58, 0x358637bd, v56
	v_div_scale_f32 v59, s[4:5], v58, v58, 1.0
	v_rcp_f32_e32 v61, v59
	s_barrier
	v_fma_f32 v62, -v59, v61, 1.0
	v_fmac_f32_e32 v61, v62, v61
	v_div_scale_f32 v62, vcc, 1.0, v58, 1.0
	v_mul_f32_e32 v63, v62, v61
	v_fma_f32 v66, -v59, v63, v62
	v_fmac_f32_e32 v63, v66, v61
	v_fma_f32 v59, -v59, v63, v62
	v_div_fmas_f32 v59, v59, v61, v63
	v_cmp_eq_u32_e32 vcc, 1, v37
	v_div_fixup_f32 v58, v59, v58, 1.0
	s_mul_i32 s9, s29, 5
	v_cndmask_b32_e32 v59, v64, v65, vcc
	v_cmp_eq_u32_e32 vcc, 2, v37
	s_nop 1
	v_cndmask_b32_e32 v59, v59, v60, vcc
	v_cmp_eq_u32_e32 vcc, 3, v37
	v_lshlrev_b32_e32 v37, 11, v37
	s_nop 0
	v_cndmask_b32_e32 v57, v59, v57, vcc
	v_mul_f32_e32 v58, v57, v58
	v_pk_mul_f32 v[40:41], v[58:59], v[40:41] op_sel_hi:[0,1]
	v_pk_mul_f32 v[50:51], v[58:59], v[50:51] op_sel_hi:[0,1]
	v_bfe_u32 v57, v41, 16, 1
	v_bfe_u32 v59, v40, 16, 1
	v_add3_u32 v40, v40, v59, s10
	v_add3_u32 v41, v41, v57, s10
	v_perm_b32 v60, v41, v40, s11
	v_bfe_u32 v40, v51, 16, 1
	v_bfe_u32 v41, v50, 16, 1
	v_add3_u32 v41, v50, v41, s10
	v_add3_u32 v40, v51, v40, s10
	v_perm_b32 v61, v40, v41, s11
	v_lshlrev_b32_e32 v40, 3, v54
	v_pk_mul_f32 v[42:43], v[58:59], v[42:43] op_sel_hi:[0,1]
	v_or3_b32 v40, v37, v35, v40
	v_bfe_u32 v37, v43, 16, 1
	v_bfe_u32 v41, v42, 16, 1
	v_pk_mul_f32 v[50:51], v[58:59], v[52:53] op_sel_hi:[0,1]
	v_add3_u32 v41, v42, v41, s10
	v_add3_u32 v37, v43, v37, s10
	v_perm_b32 v42, v37, v41, s11
	v_bfe_u32 v37, v51, 16, 1
	v_bfe_u32 v41, v50, 16, 1
	v_add3_u32 v41, v50, v41, s10
	v_add3_u32 v37, v51, v37, s10
	v_pk_mul_f32 v[46:47], v[58:59], v[46:47] op_sel_hi:[0,1]
	v_perm_b32 v43, v37, v41, s11
	v_bfe_u32 v37, v47, 16, 1
	v_bfe_u32 v41, v46, 16, 1
	ds_write2st64_b64 v40, v[60:61], v[42:43] offset1:1
	v_pk_mul_f32 v[42:43], v[58:59], v[48:49] op_sel_hi:[0,1]
	v_add3_u32 v41, v46, v41, s10
	v_add3_u32 v37, v47, v37, s10
	v_perm_b32 v46, v37, v41, s11
	v_bfe_u32 v37, v43, 16, 1
	v_bfe_u32 v41, v42, 16, 1
	v_add3_u32 v41, v42, v41, s10
	v_add3_u32 v37, v43, v37, s10
	v_pk_mul_f32 v[42:43], v[58:59], v[44:45] op_sel_hi:[0,1]
	v_perm_b32 v47, v37, v41, s11
	v_bfe_u32 v37, v43, 16, 1
	v_bfe_u32 v41, v42, 16, 1
	v_pk_mul_f32 v[38:39], v[58:59], v[38:39] op_sel_hi:[0,1]
	v_add3_u32 v41, v42, v41, s10
	v_add3_u32 v37, v43, v37, s10
	v_perm_b32 v42, v37, v41, s11
	v_bfe_u32 v37, v39, 16, 1
	v_bfe_u32 v41, v38, 16, 1
	v_add3_u32 v38, v38, v41, s10
	v_add3_u32 v37, v39, v37, s10
	v_perm_b32 v43, v37, v38, s11
	v_cmp_gt_u32_e32 vcc, 5, v0
	ds_write2st64_b64 v40, v[46:47], v[42:43] offset0:2 offset1:3
	s_and_saveexec_b64 s[4:5], vcc
	s_cbranch_execz .LBB480_15
; %bb.14:
	s_mov_b32 s43, 0
	v_mov_b32_e32 v37, 0
	v_lshl_add_u64 v[38:39], s[42:43], 0, v[36:37]
	v_mov_b32_e32 v36, s9
	v_mad_u64_u32 v[38:39], s[16:17], s2, v36, v[38:39]
	v_mov_b32_e32 v36, s28
	s_load_dwordx4 s[12:15], s[0:1], 0x58
	s_mul_i32 s3, s3, s9
	v_mad_u64_u32 v[36:37], s[16:17], v38, s8, v[36:37]
	v_add_u32_e32 v39, s3, v39
	v_mov_b32_e32 v38, v37
	v_mad_u64_u32 v[38:39], s[16:17], v39, s8, v[38:39]
	v_mov_b32_e32 v37, v38
	v_lshlrev_b64 v[36:37], 2, v[36:37]
	s_waitcnt lgkmcnt(0)
	v_lshl_add_u64 v[38:39], s[14:15], 0, v[36:37]
	v_lshl_add_u64 v[36:37], s[12:13], 0, v[36:37]
	global_store_dword v[38:39], v55, off
	global_store_dword v[36:37], v56, off
.LBB480_15:
	s_or_b64 exec, exec, s[4:5]
	v_lshl_or_b32 v35, v54, 9, v35
	s_waitcnt lgkmcnt(0)
	s_barrier
	ds_read_b128 v[36:39], v35
	ds_read_b128 v[42:45], v35 offset:16
	s_waitcnt vmcnt(7) lgkmcnt(1)
	v_mfma_f32_16x16x16_bf16 v[46:49], v[6:7], v[36:37], 0
	v_cmp_gt_u32_e32 vcc, 64, v0
	s_mov_b32 s3, 0
	s_and_b64 s[4:5], vcc, s[30:31]
	v_mfma_f32_16x16x16_bf16 v[6:9], v[8:9], v[38:39], v[46:49]
	s_waitcnt vmcnt(6) lgkmcnt(0)
	v_mfma_f32_16x16x16_bf16 v[6:9], v[2:3], v[42:43], v[6:9]
	v_mfma_f32_16x16x16_bf16 v[2:5], v[4:5], v[44:45], v[6:9]
	s_nop 5
	ds_read_b128 v[6:9], v35 offset:2048
	ds_read_b128 v[36:39], v35 offset:2064
	s_waitcnt vmcnt(5) lgkmcnt(1)
	v_mfma_f32_16x16x16_bf16 v[2:5], v[30:31], v[6:7], v[2:5]
	v_mfma_f32_16x16x16_bf16 v[2:5], v[32:33], v[8:9], v[2:5]
	s_waitcnt vmcnt(4) lgkmcnt(0)
	v_mfma_f32_16x16x16_bf16 v[2:5], v[26:27], v[36:37], v[2:5]
	v_mfma_f32_16x16x16_bf16 v[2:5], v[28:29], v[38:39], v[2:5]
	ds_read_b128 v[6:9], v35 offset:4096
	ds_read_b128 v[26:29], v35 offset:4112
	s_waitcnt vmcnt(3) lgkmcnt(1)
	v_mfma_f32_16x16x16_bf16 v[2:5], v[22:23], v[6:7], v[2:5]
	v_mfma_f32_16x16x16_bf16 v[2:5], v[24:25], v[8:9], v[2:5]
	s_waitcnt vmcnt(2) lgkmcnt(0)
	v_mfma_f32_16x16x16_bf16 v[2:5], v[18:19], v[26:27], v[2:5]
	v_mfma_f32_16x16x16_bf16 v[2:5], v[20:21], v[28:29], v[2:5]
	ds_read_b128 v[6:9], v35 offset:6144
	ds_read_b128 v[18:21], v35 offset:6160
	v_mov_b32_e32 v35, 0
	s_waitcnt vmcnt(1) lgkmcnt(0)
	v_mfma_f32_16x16x16_bf16 v[2:5], v[14:15], v[6:7], v[2:5]
	s_barrier
	v_mfma_f32_16x16x16_bf16 v[2:5], v[16:17], v[8:9], v[2:5]
	s_waitcnt vmcnt(0)
	v_mfma_f32_16x16x16_bf16 v[2:5], v[10:11], v[18:19], v[2:5]
	v_mfma_f32_16x16x16_bf16 v[2:5], v[12:13], v[20:21], v[2:5]
	s_nop 6
	v_bfe_u32 v6, v3, 16, 1
	v_bfe_u32 v7, v2, 16, 1
	;; [unrolled: 1-line block ×4, first 2 shown]
	v_add3_u32 v2, v2, v7, s10
	v_add3_u32 v3, v3, v6, s10
	;; [unrolled: 1-line block ×4, first 2 shown]
	v_perm_b32 v2, v3, v2, s11
	v_perm_b32 v3, v5, v4, s11
	ds_write_b64 v40, v[2:3]
	s_waitcnt lgkmcnt(0)
	s_barrier
	s_and_saveexec_b64 s[10:11], s[4:5]
	s_cbranch_execz .LBB480_18
; %bb.16:
	s_load_dwordx2 s[4:5], s[0:1], 0x68
	s_lshl_b32 s0, s8, 6
	s_mul_i32 s1, s9, s2
	s_mul_hi_u32 s9, s1, s0
	s_mul_i32 s8, s1, s0
	v_lshlrev_b32_e32 v0, 10, v0
	s_lshl_b64 s[8:9], s[8:9], 1
	v_and_b32_e32 v0, 0x1800, v0
	v_lshlrev_b32_e32 v2, 5, v54
	v_and_b32_e32 v1, 16, v1
	s_waitcnt lgkmcnt(0)
	s_add_u32 s1, s4, s8
	v_or3_b32 v2, v0, v2, v1
	s_addc_u32 s4, s5, s9
	s_lshl_b32 s2, s28, 6
	s_lshl_b64 s[2:3], s[2:3], 1
	ds_read_b128 v[4:7], v2
	s_add_u32 s2, s1, s2
	s_addc_u32 s3, s4, s3
	v_add_u32_e32 v3, s42, v54
	v_lshl_add_u64 v[0:1], s[2:3], 0, v[34:35]
	v_mad_u64_u32 v[8:9], s[2:3], v3, s0, 0
	v_lshl_add_u64 v[8:9], v[8:9], 1, v[0:1]
	s_waitcnt lgkmcnt(0)
	global_store_dwordx4 v[8:9], v[4:7], off
	s_and_b64 exec, exec, s[6:7]
	s_cbranch_execz .LBB480_18
; %bb.17:
	ds_read_b128 v[2:5], v2 offset:128
	v_add3_u32 v6, s42, v54, 4
	v_mad_u64_u32 v[6:7], s[0:1], v6, s0, 0
	v_lshl_add_u64 v[0:1], v[6:7], 1, v[0:1]
	s_waitcnt lgkmcnt(0)
	global_store_dwordx4 v[0:1], v[2:5], off
.LBB480_18:
	s_endpgm
	.section	.rodata,"a",@progbits
	.p2align	6, 0x0
	.amdhsa_kernel _Z39paged_attention_ll4mi_QKV_mfma16_kernelI14__hip_bfloat16S0_LN4vllm18Fp8KVCacheDataTypeE0ES0_Li16ELi64ELi256ELb0ELi5EEvPKT_PKT0_S8_ifPKiSA_SA_iPKfiiiPfSD_PS3_PT2_iSC_SC_
		.amdhsa_group_segment_fixed_size 8192
		.amdhsa_private_segment_fixed_size 0
		.amdhsa_kernarg_size 400
		.amdhsa_user_sgpr_count 2
		.amdhsa_user_sgpr_dispatch_ptr 0
		.amdhsa_user_sgpr_queue_ptr 0
		.amdhsa_user_sgpr_kernarg_segment_ptr 1
		.amdhsa_user_sgpr_dispatch_id 0
		.amdhsa_user_sgpr_kernarg_preload_length 0
		.amdhsa_user_sgpr_kernarg_preload_offset 0
		.amdhsa_user_sgpr_private_segment_size 0
		.amdhsa_uses_dynamic_stack 0
		.amdhsa_enable_private_segment 0
		.amdhsa_system_sgpr_workgroup_id_x 1
		.amdhsa_system_sgpr_workgroup_id_y 1
		.amdhsa_system_sgpr_workgroup_id_z 1
		.amdhsa_system_sgpr_workgroup_info 0
		.amdhsa_system_vgpr_workitem_id 0
		.amdhsa_next_free_vgpr 69
		.amdhsa_next_free_sgpr 48
		.amdhsa_accum_offset 72
		.amdhsa_reserve_vcc 1
		.amdhsa_float_round_mode_32 0
		.amdhsa_float_round_mode_16_64 0
		.amdhsa_float_denorm_mode_32 3
		.amdhsa_float_denorm_mode_16_64 3
		.amdhsa_dx10_clamp 1
		.amdhsa_ieee_mode 1
		.amdhsa_fp16_overflow 0
		.amdhsa_tg_split 0
		.amdhsa_exception_fp_ieee_invalid_op 0
		.amdhsa_exception_fp_denorm_src 0
		.amdhsa_exception_fp_ieee_div_zero 0
		.amdhsa_exception_fp_ieee_overflow 0
		.amdhsa_exception_fp_ieee_underflow 0
		.amdhsa_exception_fp_ieee_inexact 0
		.amdhsa_exception_int_div_zero 0
	.end_amdhsa_kernel
	.section	.text._Z39paged_attention_ll4mi_QKV_mfma16_kernelI14__hip_bfloat16S0_LN4vllm18Fp8KVCacheDataTypeE0ES0_Li16ELi64ELi256ELb0ELi5EEvPKT_PKT0_S8_ifPKiSA_SA_iPKfiiiPfSD_PS3_PT2_iSC_SC_,"axG",@progbits,_Z39paged_attention_ll4mi_QKV_mfma16_kernelI14__hip_bfloat16S0_LN4vllm18Fp8KVCacheDataTypeE0ES0_Li16ELi64ELi256ELb0ELi5EEvPKT_PKT0_S8_ifPKiSA_SA_iPKfiiiPfSD_PS3_PT2_iSC_SC_,comdat
.Lfunc_end480:
	.size	_Z39paged_attention_ll4mi_QKV_mfma16_kernelI14__hip_bfloat16S0_LN4vllm18Fp8KVCacheDataTypeE0ES0_Li16ELi64ELi256ELb0ELi5EEvPKT_PKT0_S8_ifPKiSA_SA_iPKfiiiPfSD_PS3_PT2_iSC_SC_, .Lfunc_end480-_Z39paged_attention_ll4mi_QKV_mfma16_kernelI14__hip_bfloat16S0_LN4vllm18Fp8KVCacheDataTypeE0ES0_Li16ELi64ELi256ELb0ELi5EEvPKT_PKT0_S8_ifPKiSA_SA_iPKfiiiPfSD_PS3_PT2_iSC_SC_
                                        ; -- End function
	.section	.AMDGPU.csdata,"",@progbits
; Kernel info:
; codeLenInByte = 4048
; NumSgprs: 54
; NumVgprs: 69
; NumAgprs: 0
; TotalNumVgprs: 69
; ScratchSize: 0
; MemoryBound: 0
; FloatMode: 240
; IeeeMode: 1
; LDSByteSize: 8192 bytes/workgroup (compile time only)
; SGPRBlocks: 6
; VGPRBlocks: 8
; NumSGPRsForWavesPerEU: 54
; NumVGPRsForWavesPerEU: 69
; AccumOffset: 72
; Occupancy: 7
; WaveLimiterHint : 1
; COMPUTE_PGM_RSRC2:SCRATCH_EN: 0
; COMPUTE_PGM_RSRC2:USER_SGPR: 2
; COMPUTE_PGM_RSRC2:TRAP_HANDLER: 0
; COMPUTE_PGM_RSRC2:TGID_X_EN: 1
; COMPUTE_PGM_RSRC2:TGID_Y_EN: 1
; COMPUTE_PGM_RSRC2:TGID_Z_EN: 1
; COMPUTE_PGM_RSRC2:TIDIG_COMP_CNT: 0
; COMPUTE_PGM_RSRC3_GFX90A:ACCUM_OFFSET: 17
; COMPUTE_PGM_RSRC3_GFX90A:TG_SPLIT: 0
	.section	.text._Z39paged_attention_ll4mi_QKV_mfma16_kernelI14__hip_bfloat16S0_LN4vllm18Fp8KVCacheDataTypeE0ES0_Li16ELi64ELi256ELb0ELi6EEvPKT_PKT0_S8_ifPKiSA_SA_iPKfiiiPfSD_PS3_PT2_iSC_SC_,"axG",@progbits,_Z39paged_attention_ll4mi_QKV_mfma16_kernelI14__hip_bfloat16S0_LN4vllm18Fp8KVCacheDataTypeE0ES0_Li16ELi64ELi256ELb0ELi6EEvPKT_PKT0_S8_ifPKiSA_SA_iPKfiiiPfSD_PS3_PT2_iSC_SC_,comdat
	.protected	_Z39paged_attention_ll4mi_QKV_mfma16_kernelI14__hip_bfloat16S0_LN4vllm18Fp8KVCacheDataTypeE0ES0_Li16ELi64ELi256ELb0ELi6EEvPKT_PKT0_S8_ifPKiSA_SA_iPKfiiiPfSD_PS3_PT2_iSC_SC_ ; -- Begin function _Z39paged_attention_ll4mi_QKV_mfma16_kernelI14__hip_bfloat16S0_LN4vllm18Fp8KVCacheDataTypeE0ES0_Li16ELi64ELi256ELb0ELi6EEvPKT_PKT0_S8_ifPKiSA_SA_iPKfiiiPfSD_PS3_PT2_iSC_SC_
	.globl	_Z39paged_attention_ll4mi_QKV_mfma16_kernelI14__hip_bfloat16S0_LN4vllm18Fp8KVCacheDataTypeE0ES0_Li16ELi64ELi256ELb0ELi6EEvPKT_PKT0_S8_ifPKiSA_SA_iPKfiiiPfSD_PS3_PT2_iSC_SC_
	.p2align	8
	.type	_Z39paged_attention_ll4mi_QKV_mfma16_kernelI14__hip_bfloat16S0_LN4vllm18Fp8KVCacheDataTypeE0ES0_Li16ELi64ELi256ELb0ELi6EEvPKT_PKT0_S8_ifPKiSA_SA_iPKfiiiPfSD_PS3_PT2_iSC_SC_,@function
_Z39paged_attention_ll4mi_QKV_mfma16_kernelI14__hip_bfloat16S0_LN4vllm18Fp8KVCacheDataTypeE0ES0_Li16ELi64ELi256ELb0ELi6EEvPKT_PKT0_S8_ifPKiSA_SA_iPKfiiiPfSD_PS3_PT2_iSC_SC_: ; @_Z39paged_attention_ll4mi_QKV_mfma16_kernelI14__hip_bfloat16S0_LN4vllm18Fp8KVCacheDataTypeE0ES0_Li16ELi64ELi256ELb0ELi6EEvPKT_PKT0_S8_ifPKiSA_SA_iPKfiiiPfSD_PS3_PT2_iSC_SC_
; %bb.0:
	s_load_dwordx2 s[12:13], s[0:1], 0x30
	s_mov_b32 s28, s3
	s_mov_b64 s[6:7], 0
	s_waitcnt lgkmcnt(0)
	s_cmp_lg_u64 s[12:13], 0
	s_cselect_b64 s[14:15], -1, 0
	s_and_b64 vcc, exec, s[14:15]
	s_cbranch_vccz .LBB481_7
; %bb.1:
	s_add_i32 s8, s2, 1
	s_mov_b32 s9, 0
	s_lshl_b64 s[10:11], s[8:9], 2
	s_add_u32 s10, s12, s10
	s_mov_b32 s3, s9
	s_addc_u32 s11, s13, s11
	s_lshl_b64 s[8:9], s[2:3], 2
	s_add_u32 s8, s12, s8
	s_addc_u32 s9, s13, s9
	s_load_dword s5, s[10:11], 0x0
	s_load_dword s16, s[8:9], 0x0
	s_waitcnt lgkmcnt(0)
	s_sub_i32 s5, s5, s16
	s_cmp_eq_u32 s5, 1
	s_cselect_b64 s[8:9], -1, 0
	s_andn2_b64 vcc, exec, s[6:7]
	s_cbranch_vccnz .LBB481_3
.LBB481_2:
	s_mov_b32 s3, 0
	s_mov_b64 s[8:9], -1
.LBB481_3:
	s_andn2_b64 vcc, exec, s[8:9]
	s_cbranch_vccnz .LBB481_18
; %bb.4:
	s_load_dwordx2 s[6:7], s[0:1], 0x28
	s_lshl_b64 s[16:17], s[2:3], 2
	s_waitcnt lgkmcnt(0)
	s_add_u32 s6, s6, s16
	s_addc_u32 s7, s7, s17
	s_load_dword s33, s[6:7], 0x0
	s_lshl_b32 s18, s28, 8
	s_waitcnt lgkmcnt(0)
	s_cmp_ge_i32 s18, s33
	s_cbranch_scc1 .LBB481_18
; %bb.5:
	s_load_dwordx2 s[6:7], s[0:1], 0x20
	s_load_dword s5, s[0:1], 0x38
	s_add_i32 s8, s33, 15
	s_ashr_i32 s9, s8, 31
	v_and_b32_e32 v1, 0xcf, v0
	s_lshr_b32 s9, s9, 28
	v_add_u32_e32 v1, s18, v1
	s_add_i32 s8, s8, s9
	v_ashrrev_i32_e32 v2, 31, v1
	s_ashr_i32 s19, s8, 4
	v_lshrrev_b32_e32 v10, 28, v2
	s_add_i32 s19, s19, -1
	s_waitcnt lgkmcnt(0)
	s_mul_i32 s8, s2, s5
	s_mov_b32 s9, 0
	v_add_u32_e32 v2, v1, v10
	s_lshl_b64 s[8:9], s[8:9], 2
	v_ashrrev_i32_e32 v2, 4, v2
	v_mov_b32_e32 v11, s19
	v_cmp_gt_i32_e32 vcc, s33, v1
	s_add_u32 s6, s6, s8
	s_addc_u32 s7, s7, s9
	v_cndmask_b32_e32 v2, v11, v2, vcc
	v_ashrrev_i32_e32 v3, 31, v2
	v_lshl_add_u64 v[4:5], v[2:3], 2, s[6:7]
	v_or_b32_e32 v2, 16, v1
	v_add_u32_e32 v3, v2, v10
	v_ashrrev_i32_e32 v3, 4, v3
	v_cmp_gt_i32_e32 vcc, s33, v2
	s_load_dwordx4 s[8:11], s[0:1], 0x8
	s_nop 0
	v_cndmask_b32_e32 v2, v11, v3, vcc
	v_ashrrev_i32_e32 v3, 31, v2
	v_lshl_add_u64 v[6:7], v[2:3], 2, s[6:7]
	v_or_b32_e32 v2, 32, v1
	v_add_u32_e32 v3, v2, v10
	v_ashrrev_i32_e32 v3, 4, v3
	v_cmp_gt_i32_e32 vcc, s33, v2
	v_or_b32_e32 v1, 48, v1
	s_nop 0
	v_cndmask_b32_e32 v2, v11, v3, vcc
	v_ashrrev_i32_e32 v3, 31, v2
	v_lshl_add_u64 v[8:9], v[2:3], 2, s[6:7]
	v_add_u32_e32 v2, v1, v10
	v_ashrrev_i32_e32 v2, 4, v2
	v_cmp_gt_i32_e32 vcc, s33, v1
	s_nop 1
	v_cndmask_b32_e32 v2, v11, v2, vcc
	v_ashrrev_i32_e32 v3, 31, v2
	v_lshl_add_u64 v[12:13], v[2:3], 2, s[6:7]
	global_load_dword v3, v[4:5], off
	global_load_dword v2, v[6:7], off
	;; [unrolled: 1-line block ×4, first 2 shown]
	s_andn2_b64 vcc, exec, s[14:15]
	s_cbranch_vccnz .LBB481_8
; %bb.6:
	s_add_u32 s12, s12, s16
	s_addc_u32 s13, s13, s17
	s_load_dword s5, s[12:13], 0x0
	s_branch .LBB481_9
.LBB481_7:
	s_mov_b64 s[8:9], 0
	s_branch .LBB481_2
.LBB481_8:
	s_mov_b32 s5, s2
.LBB481_9:
	s_load_dwordx4 s[44:47], s[0:1], 0x48
	v_lshrrev_b32_e32 v37, 6, v0
	v_bfe_u32 v54, v0, 4, 2
	v_lshl_or_b32 v1, v37, 2, v54
	v_and_b32_e32 v36, 15, v0
	v_lshlrev_b32_e32 v4, 3, v36
	v_cmp_gt_u32_e32 vcc, 6, v1
	v_cmp_gt_u32_e64 s[30:31], 8, v36
	v_and_b32_e32 v55, 63, v0
	s_mul_i32 s42, s4, 6
	s_and_b64 s[14:15], s[30:31], vcc
	v_lshlrev_b32_e32 v34, 1, v4
	s_and_saveexec_b64 s[12:13], s[14:15]
	s_cbranch_execz .LBB481_11
; %bb.10:
	s_load_dwordx2 s[14:15], s[0:1], 0x0
	s_waitcnt lgkmcnt(0)
	s_ashr_i32 s16, s44, 31
	s_mul_hi_u32 s17, s5, s44
	s_mul_i32 s16, s5, s16
	s_add_i32 s17, s17, s16
	s_mul_i32 s16, s5, s44
	s_lshl_b64 s[16:17], s[16:17], 1
	s_add_u32 s14, s14, s16
	v_add_lshl_u32 v4, v1, s42, 6
	s_addc_u32 s15, s15, s17
	v_ashrrev_i32_e32 v5, 31, v4
	v_lshl_add_u64 v[4:5], v[4:5], 1, s[14:15]
	v_mov_b32_e32 v35, 0
	v_lshl_add_u64 v[4:5], v[4:5], 0, v[34:35]
	global_load_dwordx4 v[4:7], v[4:5], off
	v_and_b32_e32 v8, 3, v0
	v_lshlrev_b32_e32 v9, 9, v36
	v_lshlrev_b32_e32 v1, 5, v1
	;; [unrolled: 1-line block ×3, first 2 shown]
	v_and_b32_e32 v9, 0x1800, v9
	v_or3_b32 v1, v9, v8, v1
	s_waitcnt vmcnt(0)
	ds_write_b128 v1, v[4:7]
.LBB481_11:
	s_or_b64 exec, exec, s[12:13]
	s_waitcnt lgkmcnt(0)
	s_mul_i32 s4, s4, s46
	s_mov_b32 s5, 0
	s_lshl_b64 s[4:5], s[4:5], 1
	s_add_u32 s8, s8, s4
	v_lshlrev_b32_e32 v1, 4, v0
	s_addc_u32 s9, s9, s5
	v_and_b32_e32 v30, 0xf0, v1
	v_mov_b32_e32 v31, 0
	v_lshl_add_u64 v[18:19], s[8:9], 0, v[30:31]
	s_waitcnt vmcnt(3)
	v_mad_i64_i32 v[4:5], s[8:9], v3, s45, 0
	v_lshl_add_u64 v[4:5], v[4:5], 1, v[18:19]
	v_and_b32_e32 v30, 0x300, v1
	s_waitcnt vmcnt(2)
	v_mad_i64_i32 v[2:3], s[8:9], v2, s45, 0
	v_lshl_add_u64 v[14:15], v[4:5], 0, v[30:31]
	v_lshl_add_u64 v[2:3], v[2:3], 1, v[18:19]
	s_load_dword s29, s[0:1], 0x98
	s_load_dword s12, s[0:1], 0x1c
	s_waitcnt lgkmcnt(0)
	s_barrier
	global_load_dwordx4 v[6:9], v[14:15], off
	global_load_dwordx4 v[26:29], v[14:15], off offset:1024
	v_lshl_add_u64 v[32:33], v[2:3], 0, v[30:31]
	global_load_dwordx4 v[2:5], v[32:33], off
	global_load_dwordx4 v[46:49], v[32:33], off offset:1024
	s_waitcnt vmcnt(5)
	v_mad_i64_i32 v[10:11], s[8:9], v10, s45, 0
	v_lshl_add_u64 v[10:11], v[10:11], 1, v[18:19]
	v_lshl_add_u64 v[38:39], v[10:11], 0, v[30:31]
	global_load_dwordx4 v[10:13], v[38:39], off
	global_load_dwordx4 v[56:59], v[38:39], off offset:1024
	s_waitcnt vmcnt(6)
	v_mad_i64_i32 v[16:17], s[8:9], v16, s45, 0
	v_lshl_add_u64 v[16:17], v[16:17], 1, v[18:19]
	v_lshl_add_u64 v[40:41], v[16:17], 0, v[30:31]
	global_load_dwordx4 v[18:21], v[40:41], off
	v_mul_lo_u16_e32 v16, 43, v36
	v_mov_b32_e32 v17, 6
	v_mul_lo_u16_sdwa v16, v16, v17 dst_sel:DWORD dst_unused:UNUSED_PAD src0_sel:BYTE_1 src1_sel:DWORD
	v_mov_b32_e32 v22, 5
	v_sub_u16_e32 v16, v36, v16
	v_lshlrev_b32_sdwa v16, v22, v16 dst_sel:DWORD dst_unused:UNUSED_PAD src0_sel:DWORD src1_sel:BYTE_0
	v_lshl_add_u32 v16, v54, 9, v16
	ds_read_b128 v[22:25], v16
	global_load_dwordx4 v[38:41], v[40:41], off offset:1024
	v_and_or_b32 v30, v0, 48, s18
	v_mov_b32_e32 v68, s19
	v_cmp_gt_i32_e32 vcc, s33, v30
	ds_read_b128 v[14:17], v16 offset:2048
	v_lshlrev_b32_e32 v35, 5, v36
	s_add_u32 s4, s10, s4
	s_addc_u32 s5, s11, s5
	s_mov_b32 s43, 0xff7fffff
	s_waitcnt vmcnt(7) lgkmcnt(1)
	v_mfma_f32_16x16x16_bf16 v[42:45], v[6:7], v[22:23], 0
	v_ashrrev_i32_e32 v6, 4, v30
	v_or_b32_e32 v7, 64, v30
	s_waitcnt vmcnt(5)
	v_mfma_f32_16x16x16_bf16 v[50:53], v[2:3], v[22:23], 0
	v_cndmask_b32_e32 v2, v68, v6, vcc
	v_ashrrev_i32_e32 v3, 31, v2
	v_ashrrev_i32_e32 v6, 4, v7
	v_cmp_gt_i32_e32 vcc, s33, v7
	v_lshl_add_u64 v[2:3], v[2:3], 2, s[6:7]
	s_waitcnt vmcnt(3)
	v_mfma_f32_16x16x16_bf16 v[60:63], v[10:11], v[22:23], 0
	v_cndmask_b32_e32 v10, v68, v6, vcc
	v_ashrrev_i32_e32 v11, 31, v10
	v_lshl_add_u64 v[10:11], v[10:11], 2, s[6:7]
	v_mfma_f32_16x16x16_bf16 v[6:9], v[8:9], v[24:25], v[42:45]
	s_nop 2
	global_load_dword v42, v[2:3], off
	global_load_dword v43, v[10:11], off
	s_waitcnt vmcnt(3)
	v_mfma_f32_16x16x16_bf16 v[64:67], v[18:19], v[22:23], 0
	v_or_b32_e32 v22, 0x80, v30
	v_or_b32_e32 v23, 0xc0, v30
	v_ashrrev_i32_e32 v30, 4, v22
	v_cmp_gt_i32_e32 vcc, s33, v22
	v_ashrrev_i32_e32 v32, 4, v23
	v_mfma_f32_16x16x16_bf16 v[2:5], v[4:5], v[24:25], v[50:53]
	v_cndmask_b32_e32 v22, v68, v30, vcc
	v_cmp_gt_i32_e32 vcc, s33, v23
	v_ashrrev_i32_e32 v23, 31, v22
	v_mfma_f32_16x16x16_bf16 v[10:13], v[12:13], v[24:25], v[60:63]
	v_lshl_or_b32 v30, v37, 9, v35
	v_mfma_f32_16x16x16_bf16 v[18:21], v[20:21], v[24:25], v[64:67]
	v_cndmask_b32_e32 v24, v68, v32, vcc
	v_ashrrev_i32_e32 v25, 31, v24
	v_lshl_add_u64 v[32:33], v[24:25], 2, s[6:7]
	s_waitcnt lgkmcnt(0)
	v_mfma_f32_16x16x16_bf16 v[6:9], v[26:27], v[14:15], v[6:9]
	v_lshl_add_u64 v[26:27], v[22:23], 2, s[6:7]
	global_load_dword v60, v[26:27], off
	global_load_dword v61, v[32:33], off
	v_mfma_f32_16x16x16_bf16 v[2:5], v[46:47], v[14:15], v[2:5]
	v_mfma_f32_16x16x16_bf16 v[22:25], v[56:57], v[14:15], v[10:13]
	s_waitcnt vmcnt(4)
	v_mfma_f32_16x16x16_bf16 v[18:21], v[38:39], v[14:15], v[18:21]
	s_nop 0
	v_lshl_add_u64 v[10:11], s[4:5], 0, v[30:31]
	s_waitcnt vmcnt(3)
	v_mad_i64_i32 v[26:27], s[4:5], v42, s45, 0
	v_mfma_f32_16x16x16_bf16 v[12:15], v[28:29], v[16:17], v[6:9]
	v_lshl_add_u64 v[30:31], v[26:27], 1, v[10:11]
	s_waitcnt vmcnt(2)
	v_mad_i64_i32 v[32:33], s[4:5], v43, s45, 0
	v_mfma_f32_16x16x16_bf16 v[26:29], v[48:49], v[16:17], v[2:5]
	v_lshl_add_u64 v[56:57], v[32:33], 1, v[10:11]
	s_nop 1
	v_pk_mul_f32 v[50:51], s[12:13], v[14:15] op_sel_hi:[0,1]
	v_pk_mul_f32 v[12:13], s[12:13], v[12:13] op_sel_hi:[0,1]
	v_mfma_f32_16x16x16_bf16 v[22:25], v[58:59], v[16:17], v[22:25]
	global_load_dwordx4 v[6:9], v[30:31], off
	global_load_dwordx4 v[2:5], v[30:31], off offset:16
	v_pk_mul_f32 v[42:43], s[12:13], v[26:27] op_sel_hi:[0,1]
	v_pk_mul_f32 v[52:53], s[12:13], v[28:29] op_sel_hi:[0,1]
	v_mfma_f32_16x16x16_bf16 v[14:17], v[40:41], v[16:17], v[18:21]
	s_nop 1
	v_pk_mul_f32 v[46:47], s[12:13], v[22:23] op_sel_hi:[0,1]
	v_pk_mul_f32 v[48:49], s[12:13], v[24:25] op_sel_hi:[0,1]
	global_load_dwordx4 v[30:33], v[56:57], off
	global_load_dwordx4 v[26:29], v[56:57], off offset:16
	s_nop 0
	v_pk_mul_f32 v[44:45], s[12:13], v[14:15] op_sel_hi:[0,1]
	v_and_b32_e32 v14, 0xc0, v0
	v_add_u32_e32 v14, s18, v14
	v_lshl_or_b32 v14, v54, 2, v14
	v_pk_mul_f32 v[38:39], s[12:13], v[16:17] op_sel_hi:[0,1]
	v_or_b32_e32 v17, 1, v14
	v_mov_b32_e32 v15, 0xff7fffff
	v_cmp_gt_i32_e64 s[4:5], s33, v14
	v_cmp_gt_i32_e64 s[34:35], s33, v17
	v_or_b32_e32 v18, 3, v14
	v_cndmask_b32_e64 v16, v15, v12, s[4:5]
	v_cndmask_b32_e64 v17, v15, v13, s[34:35]
	v_max3_f32 v16, v16, s43, v17
	v_or_b32_e32 v17, 2, v14
	v_cmp_gt_i32_e64 s[36:37], s33, v17
	v_cmp_gt_i32_e64 s[38:39], s33, v18
	s_nop 0
	v_cndmask_b32_e64 v17, v15, v50, s[36:37]
	v_cndmask_b32_e64 v18, v15, v51, s[38:39]
	v_max3_f32 v16, v16, v17, v18
	v_or_b32_e32 v17, 16, v14
	v_or_b32_e32 v18, 17, v14
	v_cmp_gt_i32_e64 s[24:25], s33, v17
	v_cmp_gt_i32_e64 s[26:27], s33, v18
	s_nop 0
	v_cndmask_b32_e64 v17, v15, v42, s[24:25]
	v_cndmask_b32_e64 v18, v15, v43, s[26:27]
	v_max3_f32 v16, v16, v17, v18
	v_or_b32_e32 v17, 18, v14
	;; [unrolled: 8-line block ×6, first 2 shown]
	v_or_b32_e32 v14, 51, v14
	v_cmp_gt_i32_e32 vcc, s33, v17
	v_cmp_gt_i32_e64 s[6:7], s33, v14
	s_nop 0
	v_cndmask_b32_e32 v17, v15, v38, vcc
	v_cndmask_b32_e64 v14, v15, v39, s[6:7]
	v_max3_f32 v16, v16, v17, v14
	v_mbcnt_lo_u32_b32 v14, -1, 0
	v_mbcnt_hi_u32_b32 v17, -1, v14
	v_and_b32_e32 v14, 64, v17
	v_add_u32_e32 v18, 64, v14
	v_xor_b32_e32 v14, 32, v17
	v_cmp_lt_i32_e64 s[40:41], v14, v18
	s_nop 1
	v_cndmask_b32_e64 v14, v17, v14, s[40:41]
	v_lshlrev_b32_e32 v58, 2, v14
	ds_bpermute_b32 v19, v58, v16
	s_waitcnt vmcnt(5)
	v_mad_i64_i32 v[14:15], s[40:41], v60, s45, 0
	v_lshl_add_u64 v[14:15], v[14:15], 1, v[10:11]
	s_waitcnt lgkmcnt(0)
	v_max_f32_e32 v19, v19, v19
	v_max_f32_e32 v16, v16, v19
	v_xor_b32_e32 v19, 16, v17
	v_cmp_lt_i32_e64 s[40:41], v19, v18
	s_nop 1
	v_cndmask_b32_e64 v17, v17, v19, s[40:41]
	v_lshlrev_b32_e32 v57, 2, v17
	ds_bpermute_b32 v17, v57, v16
	global_load_dwordx4 v[22:25], v[14:15], off
	global_load_dwordx4 v[18:21], v[14:15], off offset:16
	s_waitcnt vmcnt(6)
	v_mad_i64_i32 v[14:15], s[40:41], v61, s45, 0
	v_lshl_add_u64 v[10:11], v[14:15], 1, v[10:11]
	s_waitcnt lgkmcnt(0)
	v_max_f32_e32 v14, v17, v17
	v_max_f32_e32 v56, v16, v14
	v_sub_f32_e32 v12, v12, v56
	v_mul_f32_e32 v12, 0x3fb8aa3b, v12
	v_exp_f32_e32 v40, v12
	v_sub_f32_e32 v12, v13, v56
	v_mul_f32_e32 v12, 0x3fb8aa3b, v12
	v_exp_f32_e32 v41, v12
	global_load_dwordx4 v[14:17], v[10:11], off
	s_nop 0
	global_load_dwordx4 v[10:13], v[10:11], off offset:16
	v_sub_f32_e32 v50, v50, v56
	v_mul_f32_e32 v50, 0x3fb8aa3b, v50
	v_sub_f32_e32 v51, v51, v56
	v_exp_f32_e32 v50, v50
	v_mul_f32_e32 v51, 0x3fb8aa3b, v51
	v_sub_f32_e32 v42, v42, v56
	v_exp_f32_e32 v51, v51
	v_mul_f32_e32 v42, 0x3fb8aa3b, v42
	v_sub_f32_e32 v43, v43, v56
	v_cndmask_b32_e64 v40, 0, v40, s[4:5]
	v_exp_f32_e32 v42, v42
	v_mul_f32_e32 v43, 0x3fb8aa3b, v43
	v_sub_f32_e32 v52, v52, v56
	v_add_f32_e32 v59, 0, v40
	v_cndmask_b32_e64 v41, 0, v41, s[34:35]
	v_exp_f32_e32 v43, v43
	v_mul_f32_e32 v52, 0x3fb8aa3b, v52
	v_sub_f32_e32 v53, v53, v56
	v_add_f32_e32 v59, v59, v41
	;; [unrolled: 5-line block ×10, first 2 shown]
	v_cndmask_b32_e64 v48, 0, v48, s[12:13]
	v_exp_f32_e32 v38, v38
	v_mul_f32_e32 v39, 0x3fb8aa3b, v39
	v_add_f32_e32 v59, v59, v48
	v_cndmask_b32_e64 v49, 0, v49, s[14:15]
	v_exp_f32_e32 v39, v39
	v_add_f32_e32 v59, v59, v49
	v_cndmask_b32_e64 v44, 0, v44, s[8:9]
	v_add_f32_e32 v59, v59, v44
	v_cndmask_b32_e64 v45, 0, v45, s[10:11]
	v_add_f32_e32 v59, v59, v45
	v_cndmask_b32_e32 v38, 0, v38, vcc
	v_add_f32_e32 v59, v59, v38
	v_cndmask_b32_e64 v39, 0, v39, s[6:7]
	v_add_f32_e32 v59, v59, v39
	ds_bpermute_b32 v58, v58, v59
	v_cmp_gt_u32_e32 vcc, 16, v55
	s_waitcnt lgkmcnt(0)
	s_barrier
	v_add_f32_e32 v58, v59, v58
	ds_bpermute_b32 v59, v57, v58
	v_lshlrev_b32_e32 v57, 2, v36
	s_and_saveexec_b64 s[4:5], vcc
	s_cbranch_execz .LBB481_13
; %bb.12:
	s_waitcnt lgkmcnt(0)
	v_add_f32_e32 v55, v58, v59
	v_lshl_or_b32 v58, v37, 6, v57
	ds_write2st64_b32 v58, v56, v55 offset1:1
.LBB481_13:
	s_or_b64 exec, exec, s[4:5]
	s_load_dword s6, s[0:1], 0x94
	s_waitcnt lgkmcnt(0)
	s_barrier
	ds_read2_b32 v[58:59], v57 offset1:16
	ds_read2_b32 v[60:61], v57 offset0:32 offset1:48
	ds_read2_b32 v[62:63], v57 offset0:64 offset1:80
	s_movk_i32 s8, 0x7fff
	s_mov_b32 s9, 0x7060302
	s_waitcnt lgkmcnt(2)
	v_max3_f32 v55, v58, s43, v59
	s_waitcnt lgkmcnt(1)
	v_max3_f32 v55, v55, v60, v61
	v_sub_f32_e32 v56, v58, v55
	v_mul_f32_e32 v56, 0x3fb8aa3b, v56
	v_exp_f32_e32 v64, v56
	v_sub_f32_e32 v56, v59, v55
	v_mul_f32_e32 v56, 0x3fb8aa3b, v56
	v_exp_f32_e32 v65, v56
	;; [unrolled: 3-line block ×3, first 2 shown]
	ds_read2_b32 v[58:59], v57 offset0:96 offset1:112
	v_sub_f32_e32 v56, v61, v55
	v_mul_f32_e32 v56, 0x3fb8aa3b, v56
	v_exp_f32_e32 v57, v56
	s_waitcnt lgkmcnt(1)
	v_fma_f32 v56, v64, v62, 0
	v_fmac_f32_e32 v56, v65, v63
	s_waitcnt lgkmcnt(0)
	v_fmac_f32_e32 v56, v60, v58
	v_fmac_f32_e32 v56, v57, v59
	v_add_f32_e32 v58, 0x358637bd, v56
	v_div_scale_f32 v59, s[4:5], v58, v58, 1.0
	v_rcp_f32_e32 v61, v59
	s_barrier
	v_fma_f32 v62, -v59, v61, 1.0
	v_fmac_f32_e32 v61, v62, v61
	v_div_scale_f32 v62, vcc, 1.0, v58, 1.0
	v_mul_f32_e32 v63, v62, v61
	v_fma_f32 v66, -v59, v63, v62
	v_fmac_f32_e32 v63, v66, v61
	v_fma_f32 v59, -v59, v63, v62
	v_div_fmas_f32 v59, v59, v61, v63
	v_cmp_eq_u32_e32 vcc, 1, v37
	v_div_fixup_f32 v58, v59, v58, 1.0
	s_mul_i32 s7, s29, 6
	v_cndmask_b32_e32 v59, v64, v65, vcc
	v_cmp_eq_u32_e32 vcc, 2, v37
	s_nop 1
	v_cndmask_b32_e32 v59, v59, v60, vcc
	v_cmp_eq_u32_e32 vcc, 3, v37
	v_lshlrev_b32_e32 v37, 11, v37
	s_nop 0
	v_cndmask_b32_e32 v57, v59, v57, vcc
	v_mul_f32_e32 v58, v57, v58
	v_pk_mul_f32 v[40:41], v[58:59], v[40:41] op_sel_hi:[0,1]
	v_pk_mul_f32 v[50:51], v[58:59], v[50:51] op_sel_hi:[0,1]
	v_bfe_u32 v57, v41, 16, 1
	v_bfe_u32 v59, v40, 16, 1
	v_add3_u32 v40, v40, v59, s8
	v_add3_u32 v41, v41, v57, s8
	v_perm_b32 v60, v41, v40, s9
	v_bfe_u32 v40, v51, 16, 1
	v_bfe_u32 v41, v50, 16, 1
	v_add3_u32 v41, v50, v41, s8
	v_add3_u32 v40, v51, v40, s8
	v_perm_b32 v61, v40, v41, s9
	v_lshlrev_b32_e32 v40, 3, v54
	v_pk_mul_f32 v[42:43], v[58:59], v[42:43] op_sel_hi:[0,1]
	v_or3_b32 v40, v37, v35, v40
	v_bfe_u32 v37, v43, 16, 1
	v_bfe_u32 v41, v42, 16, 1
	v_pk_mul_f32 v[50:51], v[58:59], v[52:53] op_sel_hi:[0,1]
	v_add3_u32 v41, v42, v41, s8
	v_add3_u32 v37, v43, v37, s8
	v_perm_b32 v42, v37, v41, s9
	v_bfe_u32 v37, v51, 16, 1
	v_bfe_u32 v41, v50, 16, 1
	v_add3_u32 v41, v50, v41, s8
	v_add3_u32 v37, v51, v37, s8
	v_pk_mul_f32 v[46:47], v[58:59], v[46:47] op_sel_hi:[0,1]
	v_perm_b32 v43, v37, v41, s9
	v_bfe_u32 v37, v47, 16, 1
	v_bfe_u32 v41, v46, 16, 1
	ds_write2st64_b64 v40, v[60:61], v[42:43] offset1:1
	v_pk_mul_f32 v[42:43], v[58:59], v[48:49] op_sel_hi:[0,1]
	v_add3_u32 v41, v46, v41, s8
	v_add3_u32 v37, v47, v37, s8
	v_perm_b32 v46, v37, v41, s9
	v_bfe_u32 v37, v43, 16, 1
	v_bfe_u32 v41, v42, 16, 1
	v_add3_u32 v41, v42, v41, s8
	v_add3_u32 v37, v43, v37, s8
	v_pk_mul_f32 v[42:43], v[58:59], v[44:45] op_sel_hi:[0,1]
	v_perm_b32 v47, v37, v41, s9
	v_bfe_u32 v37, v43, 16, 1
	v_bfe_u32 v41, v42, 16, 1
	v_pk_mul_f32 v[38:39], v[58:59], v[38:39] op_sel_hi:[0,1]
	v_add3_u32 v41, v42, v41, s8
	v_add3_u32 v37, v43, v37, s8
	v_perm_b32 v42, v37, v41, s9
	v_bfe_u32 v37, v39, 16, 1
	v_bfe_u32 v41, v38, 16, 1
	v_add3_u32 v38, v38, v41, s8
	v_add3_u32 v37, v39, v37, s8
	v_perm_b32 v43, v37, v38, s9
	v_cmp_gt_u32_e32 vcc, 6, v0
	ds_write2st64_b64 v40, v[46:47], v[42:43] offset0:2 offset1:3
	s_and_saveexec_b64 s[4:5], vcc
	s_cbranch_execz .LBB481_15
; %bb.14:
	s_mov_b32 s43, 0
	v_mov_b32_e32 v37, 0
	v_lshl_add_u64 v[38:39], s[42:43], 0, v[36:37]
	v_mov_b32_e32 v36, s7
	v_mad_u64_u32 v[38:39], s[10:11], s2, v36, v[38:39]
	v_mov_b32_e32 v36, s28
	s_load_dwordx4 s[12:15], s[0:1], 0x58
	s_mul_i32 s3, s3, s7
	v_mad_u64_u32 v[36:37], s[10:11], v38, s6, v[36:37]
	v_add_u32_e32 v39, s3, v39
	v_mov_b32_e32 v38, v37
	v_mad_u64_u32 v[38:39], s[10:11], v39, s6, v[38:39]
	v_mov_b32_e32 v37, v38
	v_lshlrev_b64 v[36:37], 2, v[36:37]
	s_waitcnt lgkmcnt(0)
	v_lshl_add_u64 v[38:39], s[14:15], 0, v[36:37]
	v_lshl_add_u64 v[36:37], s[12:13], 0, v[36:37]
	global_store_dword v[38:39], v55, off
	global_store_dword v[36:37], v56, off
.LBB481_15:
	s_or_b64 exec, exec, s[4:5]
	v_lshl_or_b32 v35, v54, 9, v35
	s_waitcnt lgkmcnt(0)
	s_barrier
	ds_read_b128 v[36:39], v35
	ds_read_b128 v[42:45], v35 offset:16
	s_waitcnt vmcnt(7) lgkmcnt(1)
	v_mfma_f32_16x16x16_bf16 v[46:49], v[6:7], v[36:37], 0
	v_cmp_gt_u32_e32 vcc, 64, v0
	s_mov_b32 s3, 0
	s_and_b64 s[4:5], vcc, s[30:31]
	v_mfma_f32_16x16x16_bf16 v[6:9], v[8:9], v[38:39], v[46:49]
	s_waitcnt vmcnt(6) lgkmcnt(0)
	v_mfma_f32_16x16x16_bf16 v[6:9], v[2:3], v[42:43], v[6:9]
	v_mfma_f32_16x16x16_bf16 v[2:5], v[4:5], v[44:45], v[6:9]
	s_nop 5
	ds_read_b128 v[6:9], v35 offset:2048
	ds_read_b128 v[36:39], v35 offset:2064
	s_waitcnt vmcnt(5) lgkmcnt(1)
	v_mfma_f32_16x16x16_bf16 v[2:5], v[30:31], v[6:7], v[2:5]
	v_mfma_f32_16x16x16_bf16 v[2:5], v[32:33], v[8:9], v[2:5]
	s_waitcnt vmcnt(4) lgkmcnt(0)
	v_mfma_f32_16x16x16_bf16 v[2:5], v[26:27], v[36:37], v[2:5]
	v_mfma_f32_16x16x16_bf16 v[2:5], v[28:29], v[38:39], v[2:5]
	ds_read_b128 v[6:9], v35 offset:4096
	ds_read_b128 v[26:29], v35 offset:4112
	s_waitcnt vmcnt(3) lgkmcnt(1)
	v_mfma_f32_16x16x16_bf16 v[2:5], v[22:23], v[6:7], v[2:5]
	v_mfma_f32_16x16x16_bf16 v[2:5], v[24:25], v[8:9], v[2:5]
	s_waitcnt vmcnt(2) lgkmcnt(0)
	v_mfma_f32_16x16x16_bf16 v[2:5], v[18:19], v[26:27], v[2:5]
	v_mfma_f32_16x16x16_bf16 v[2:5], v[20:21], v[28:29], v[2:5]
	ds_read_b128 v[6:9], v35 offset:6144
	ds_read_b128 v[18:21], v35 offset:6160
	v_mov_b32_e32 v35, 0
	s_waitcnt vmcnt(1) lgkmcnt(0)
	v_mfma_f32_16x16x16_bf16 v[2:5], v[14:15], v[6:7], v[2:5]
	s_barrier
	v_mfma_f32_16x16x16_bf16 v[2:5], v[16:17], v[8:9], v[2:5]
	s_waitcnt vmcnt(0)
	v_mfma_f32_16x16x16_bf16 v[2:5], v[10:11], v[18:19], v[2:5]
	v_mfma_f32_16x16x16_bf16 v[2:5], v[12:13], v[20:21], v[2:5]
	s_nop 6
	v_bfe_u32 v6, v3, 16, 1
	v_bfe_u32 v7, v2, 16, 1
	;; [unrolled: 1-line block ×4, first 2 shown]
	v_add3_u32 v2, v2, v7, s8
	v_add3_u32 v3, v3, v6, s8
	;; [unrolled: 1-line block ×4, first 2 shown]
	v_perm_b32 v2, v3, v2, s9
	v_perm_b32 v3, v5, v4, s9
	ds_write_b64 v40, v[2:3]
	s_waitcnt lgkmcnt(0)
	s_barrier
	s_and_saveexec_b64 s[8:9], s[4:5]
	s_cbranch_execz .LBB481_18
; %bb.16:
	s_load_dwordx2 s[4:5], s[0:1], 0x68
	s_lshl_b32 s0, s6, 6
	s_mul_i32 s1, s7, s2
	s_mul_hi_u32 s7, s1, s0
	s_mul_i32 s6, s1, s0
	v_lshlrev_b32_e32 v0, 10, v0
	s_lshl_b64 s[6:7], s[6:7], 1
	v_and_b32_e32 v0, 0x1800, v0
	v_lshlrev_b32_e32 v3, 5, v54
	v_and_b32_e32 v1, 16, v1
	s_waitcnt lgkmcnt(0)
	s_add_u32 s1, s4, s6
	v_or3_b32 v3, v0, v3, v1
	s_addc_u32 s4, s5, s7
	s_lshl_b32 s2, s28, 6
	s_lshl_b64 s[2:3], s[2:3], 1
	ds_read_b128 v[4:7], v3
	s_add_u32 s2, s1, s2
	s_addc_u32 s3, s4, s3
	v_add_u32_e32 v8, s42, v54
	v_or_b32_e32 v2, 4, v54
	v_lshl_add_u64 v[0:1], s[2:3], 0, v[34:35]
	v_mad_u64_u32 v[8:9], s[2:3], v8, s0, 0
	v_lshl_add_u64 v[8:9], v[8:9], 1, v[0:1]
	v_cmp_gt_u32_e32 vcc, 6, v2
	s_waitcnt lgkmcnt(0)
	global_store_dwordx4 v[8:9], v[4:7], off
	s_and_b64 exec, exec, vcc
	s_cbranch_execz .LBB481_18
; %bb.17:
	ds_read_b128 v[4:7], v3 offset:128
	v_add_u32_e32 v2, s42, v2
	v_mad_u64_u32 v[2:3], s[0:1], v2, s0, 0
	v_lshl_add_u64 v[0:1], v[2:3], 1, v[0:1]
	s_waitcnt lgkmcnt(0)
	global_store_dwordx4 v[0:1], v[4:7], off
.LBB481_18:
	s_endpgm
	.section	.rodata,"a",@progbits
	.p2align	6, 0x0
	.amdhsa_kernel _Z39paged_attention_ll4mi_QKV_mfma16_kernelI14__hip_bfloat16S0_LN4vllm18Fp8KVCacheDataTypeE0ES0_Li16ELi64ELi256ELb0ELi6EEvPKT_PKT0_S8_ifPKiSA_SA_iPKfiiiPfSD_PS3_PT2_iSC_SC_
		.amdhsa_group_segment_fixed_size 8192
		.amdhsa_private_segment_fixed_size 0
		.amdhsa_kernarg_size 400
		.amdhsa_user_sgpr_count 2
		.amdhsa_user_sgpr_dispatch_ptr 0
		.amdhsa_user_sgpr_queue_ptr 0
		.amdhsa_user_sgpr_kernarg_segment_ptr 1
		.amdhsa_user_sgpr_dispatch_id 0
		.amdhsa_user_sgpr_kernarg_preload_length 0
		.amdhsa_user_sgpr_kernarg_preload_offset 0
		.amdhsa_user_sgpr_private_segment_size 0
		.amdhsa_uses_dynamic_stack 0
		.amdhsa_enable_private_segment 0
		.amdhsa_system_sgpr_workgroup_id_x 1
		.amdhsa_system_sgpr_workgroup_id_y 1
		.amdhsa_system_sgpr_workgroup_id_z 1
		.amdhsa_system_sgpr_workgroup_info 0
		.amdhsa_system_vgpr_workitem_id 0
		.amdhsa_next_free_vgpr 69
		.amdhsa_next_free_sgpr 48
		.amdhsa_accum_offset 72
		.amdhsa_reserve_vcc 1
		.amdhsa_float_round_mode_32 0
		.amdhsa_float_round_mode_16_64 0
		.amdhsa_float_denorm_mode_32 3
		.amdhsa_float_denorm_mode_16_64 3
		.amdhsa_dx10_clamp 1
		.amdhsa_ieee_mode 1
		.amdhsa_fp16_overflow 0
		.amdhsa_tg_split 0
		.amdhsa_exception_fp_ieee_invalid_op 0
		.amdhsa_exception_fp_denorm_src 0
		.amdhsa_exception_fp_ieee_div_zero 0
		.amdhsa_exception_fp_ieee_overflow 0
		.amdhsa_exception_fp_ieee_underflow 0
		.amdhsa_exception_fp_ieee_inexact 0
		.amdhsa_exception_int_div_zero 0
	.end_amdhsa_kernel
	.section	.text._Z39paged_attention_ll4mi_QKV_mfma16_kernelI14__hip_bfloat16S0_LN4vllm18Fp8KVCacheDataTypeE0ES0_Li16ELi64ELi256ELb0ELi6EEvPKT_PKT0_S8_ifPKiSA_SA_iPKfiiiPfSD_PS3_PT2_iSC_SC_,"axG",@progbits,_Z39paged_attention_ll4mi_QKV_mfma16_kernelI14__hip_bfloat16S0_LN4vllm18Fp8KVCacheDataTypeE0ES0_Li16ELi64ELi256ELb0ELi6EEvPKT_PKT0_S8_ifPKiSA_SA_iPKfiiiPfSD_PS3_PT2_iSC_SC_,comdat
.Lfunc_end481:
	.size	_Z39paged_attention_ll4mi_QKV_mfma16_kernelI14__hip_bfloat16S0_LN4vllm18Fp8KVCacheDataTypeE0ES0_Li16ELi64ELi256ELb0ELi6EEvPKT_PKT0_S8_ifPKiSA_SA_iPKfiiiPfSD_PS3_PT2_iSC_SC_, .Lfunc_end481-_Z39paged_attention_ll4mi_QKV_mfma16_kernelI14__hip_bfloat16S0_LN4vllm18Fp8KVCacheDataTypeE0ES0_Li16ELi64ELi256ELb0ELi6EEvPKT_PKT0_S8_ifPKiSA_SA_iPKfiiiPfSD_PS3_PT2_iSC_SC_
                                        ; -- End function
	.section	.AMDGPU.csdata,"",@progbits
; Kernel info:
; codeLenInByte = 4052
; NumSgprs: 54
; NumVgprs: 69
; NumAgprs: 0
; TotalNumVgprs: 69
; ScratchSize: 0
; MemoryBound: 0
; FloatMode: 240
; IeeeMode: 1
; LDSByteSize: 8192 bytes/workgroup (compile time only)
; SGPRBlocks: 6
; VGPRBlocks: 8
; NumSGPRsForWavesPerEU: 54
; NumVGPRsForWavesPerEU: 69
; AccumOffset: 72
; Occupancy: 7
; WaveLimiterHint : 1
; COMPUTE_PGM_RSRC2:SCRATCH_EN: 0
; COMPUTE_PGM_RSRC2:USER_SGPR: 2
; COMPUTE_PGM_RSRC2:TRAP_HANDLER: 0
; COMPUTE_PGM_RSRC2:TGID_X_EN: 1
; COMPUTE_PGM_RSRC2:TGID_Y_EN: 1
; COMPUTE_PGM_RSRC2:TGID_Z_EN: 1
; COMPUTE_PGM_RSRC2:TIDIG_COMP_CNT: 0
; COMPUTE_PGM_RSRC3_GFX90A:ACCUM_OFFSET: 17
; COMPUTE_PGM_RSRC3_GFX90A:TG_SPLIT: 0
	.section	.text._Z39paged_attention_ll4mi_QKV_mfma16_kernelI14__hip_bfloat16S0_LN4vllm18Fp8KVCacheDataTypeE0ES0_Li16ELi64ELi256ELb0ELi7EEvPKT_PKT0_S8_ifPKiSA_SA_iPKfiiiPfSD_PS3_PT2_iSC_SC_,"axG",@progbits,_Z39paged_attention_ll4mi_QKV_mfma16_kernelI14__hip_bfloat16S0_LN4vllm18Fp8KVCacheDataTypeE0ES0_Li16ELi64ELi256ELb0ELi7EEvPKT_PKT0_S8_ifPKiSA_SA_iPKfiiiPfSD_PS3_PT2_iSC_SC_,comdat
	.protected	_Z39paged_attention_ll4mi_QKV_mfma16_kernelI14__hip_bfloat16S0_LN4vllm18Fp8KVCacheDataTypeE0ES0_Li16ELi64ELi256ELb0ELi7EEvPKT_PKT0_S8_ifPKiSA_SA_iPKfiiiPfSD_PS3_PT2_iSC_SC_ ; -- Begin function _Z39paged_attention_ll4mi_QKV_mfma16_kernelI14__hip_bfloat16S0_LN4vllm18Fp8KVCacheDataTypeE0ES0_Li16ELi64ELi256ELb0ELi7EEvPKT_PKT0_S8_ifPKiSA_SA_iPKfiiiPfSD_PS3_PT2_iSC_SC_
	.globl	_Z39paged_attention_ll4mi_QKV_mfma16_kernelI14__hip_bfloat16S0_LN4vllm18Fp8KVCacheDataTypeE0ES0_Li16ELi64ELi256ELb0ELi7EEvPKT_PKT0_S8_ifPKiSA_SA_iPKfiiiPfSD_PS3_PT2_iSC_SC_
	.p2align	8
	.type	_Z39paged_attention_ll4mi_QKV_mfma16_kernelI14__hip_bfloat16S0_LN4vllm18Fp8KVCacheDataTypeE0ES0_Li16ELi64ELi256ELb0ELi7EEvPKT_PKT0_S8_ifPKiSA_SA_iPKfiiiPfSD_PS3_PT2_iSC_SC_,@function
_Z39paged_attention_ll4mi_QKV_mfma16_kernelI14__hip_bfloat16S0_LN4vllm18Fp8KVCacheDataTypeE0ES0_Li16ELi64ELi256ELb0ELi7EEvPKT_PKT0_S8_ifPKiSA_SA_iPKfiiiPfSD_PS3_PT2_iSC_SC_: ; @_Z39paged_attention_ll4mi_QKV_mfma16_kernelI14__hip_bfloat16S0_LN4vllm18Fp8KVCacheDataTypeE0ES0_Li16ELi64ELi256ELb0ELi7EEvPKT_PKT0_S8_ifPKiSA_SA_iPKfiiiPfSD_PS3_PT2_iSC_SC_
; %bb.0:
	s_load_dwordx2 s[12:13], s[0:1], 0x30
	s_mov_b32 s28, s3
	s_mov_b64 s[6:7], 0
	s_waitcnt lgkmcnt(0)
	s_cmp_lg_u64 s[12:13], 0
	s_cselect_b64 s[14:15], -1, 0
	s_and_b64 vcc, exec, s[14:15]
	s_cbranch_vccz .LBB482_7
; %bb.1:
	s_add_i32 s8, s2, 1
	s_mov_b32 s9, 0
	s_lshl_b64 s[10:11], s[8:9], 2
	s_add_u32 s10, s12, s10
	s_mov_b32 s3, s9
	s_addc_u32 s11, s13, s11
	s_lshl_b64 s[8:9], s[2:3], 2
	s_add_u32 s8, s12, s8
	s_addc_u32 s9, s13, s9
	s_load_dword s5, s[10:11], 0x0
	s_load_dword s16, s[8:9], 0x0
	s_waitcnt lgkmcnt(0)
	s_sub_i32 s5, s5, s16
	s_cmp_eq_u32 s5, 1
	s_cselect_b64 s[8:9], -1, 0
	s_andn2_b64 vcc, exec, s[6:7]
	s_cbranch_vccnz .LBB482_3
.LBB482_2:
	s_mov_b32 s3, 0
	s_mov_b64 s[8:9], -1
.LBB482_3:
	s_andn2_b64 vcc, exec, s[8:9]
	s_cbranch_vccnz .LBB482_18
; %bb.4:
	s_load_dwordx2 s[6:7], s[0:1], 0x28
	s_lshl_b64 s[16:17], s[2:3], 2
	s_waitcnt lgkmcnt(0)
	s_add_u32 s6, s6, s16
	s_addc_u32 s7, s7, s17
	s_load_dword s33, s[6:7], 0x0
	s_lshl_b32 s18, s28, 8
	s_waitcnt lgkmcnt(0)
	s_cmp_ge_i32 s18, s33
	s_cbranch_scc1 .LBB482_18
; %bb.5:
	s_load_dwordx2 s[6:7], s[0:1], 0x20
	s_load_dword s5, s[0:1], 0x38
	s_add_i32 s8, s33, 15
	s_ashr_i32 s9, s8, 31
	v_and_b32_e32 v1, 0xcf, v0
	s_lshr_b32 s9, s9, 28
	v_add_u32_e32 v1, s18, v1
	s_add_i32 s8, s8, s9
	v_ashrrev_i32_e32 v2, 31, v1
	s_ashr_i32 s19, s8, 4
	v_lshrrev_b32_e32 v10, 28, v2
	s_add_i32 s19, s19, -1
	s_waitcnt lgkmcnt(0)
	s_mul_i32 s8, s2, s5
	s_mov_b32 s9, 0
	v_add_u32_e32 v2, v1, v10
	s_lshl_b64 s[8:9], s[8:9], 2
	v_ashrrev_i32_e32 v2, 4, v2
	v_mov_b32_e32 v11, s19
	v_cmp_gt_i32_e32 vcc, s33, v1
	s_add_u32 s6, s6, s8
	s_addc_u32 s7, s7, s9
	v_cndmask_b32_e32 v2, v11, v2, vcc
	v_ashrrev_i32_e32 v3, 31, v2
	v_lshl_add_u64 v[4:5], v[2:3], 2, s[6:7]
	v_or_b32_e32 v2, 16, v1
	v_add_u32_e32 v3, v2, v10
	v_ashrrev_i32_e32 v3, 4, v3
	v_cmp_gt_i32_e32 vcc, s33, v2
	s_load_dwordx4 s[8:11], s[0:1], 0x8
	s_nop 0
	v_cndmask_b32_e32 v2, v11, v3, vcc
	v_ashrrev_i32_e32 v3, 31, v2
	v_lshl_add_u64 v[6:7], v[2:3], 2, s[6:7]
	v_or_b32_e32 v2, 32, v1
	v_add_u32_e32 v3, v2, v10
	v_ashrrev_i32_e32 v3, 4, v3
	v_cmp_gt_i32_e32 vcc, s33, v2
	v_or_b32_e32 v1, 48, v1
	s_nop 0
	v_cndmask_b32_e32 v2, v11, v3, vcc
	v_ashrrev_i32_e32 v3, 31, v2
	v_lshl_add_u64 v[8:9], v[2:3], 2, s[6:7]
	v_add_u32_e32 v2, v1, v10
	v_ashrrev_i32_e32 v2, 4, v2
	v_cmp_gt_i32_e32 vcc, s33, v1
	s_nop 1
	v_cndmask_b32_e32 v2, v11, v2, vcc
	v_ashrrev_i32_e32 v3, 31, v2
	v_lshl_add_u64 v[12:13], v[2:3], 2, s[6:7]
	global_load_dword v3, v[4:5], off
	global_load_dword v2, v[6:7], off
	;; [unrolled: 1-line block ×4, first 2 shown]
	s_andn2_b64 vcc, exec, s[14:15]
	s_cbranch_vccnz .LBB482_8
; %bb.6:
	s_add_u32 s12, s12, s16
	s_addc_u32 s13, s13, s17
	s_load_dword s5, s[12:13], 0x0
	s_branch .LBB482_9
.LBB482_7:
	s_mov_b64 s[8:9], 0
	s_branch .LBB482_2
.LBB482_8:
	s_mov_b32 s5, s2
.LBB482_9:
	s_load_dwordx4 s[44:47], s[0:1], 0x48
	v_lshrrev_b32_e32 v37, 6, v0
	v_bfe_u32 v54, v0, 4, 2
	v_lshl_or_b32 v1, v37, 2, v54
	v_and_b32_e32 v36, 15, v0
	v_lshlrev_b32_e32 v4, 3, v36
	v_cmp_gt_u32_e32 vcc, 7, v1
	v_cmp_gt_u32_e64 s[30:31], 8, v36
	v_and_b32_e32 v55, 63, v0
	s_mul_i32 s42, s4, 7
	s_and_b64 s[14:15], s[30:31], vcc
	v_lshlrev_b32_e32 v34, 1, v4
	s_and_saveexec_b64 s[12:13], s[14:15]
	s_cbranch_execz .LBB482_11
; %bb.10:
	s_load_dwordx2 s[14:15], s[0:1], 0x0
	s_waitcnt lgkmcnt(0)
	s_ashr_i32 s16, s44, 31
	s_mul_hi_u32 s17, s5, s44
	s_mul_i32 s16, s5, s16
	s_add_i32 s17, s17, s16
	s_mul_i32 s16, s5, s44
	s_lshl_b64 s[16:17], s[16:17], 1
	s_add_u32 s14, s14, s16
	v_add_lshl_u32 v4, v1, s42, 6
	s_addc_u32 s15, s15, s17
	v_ashrrev_i32_e32 v5, 31, v4
	v_lshl_add_u64 v[4:5], v[4:5], 1, s[14:15]
	v_mov_b32_e32 v35, 0
	v_lshl_add_u64 v[4:5], v[4:5], 0, v[34:35]
	global_load_dwordx4 v[4:7], v[4:5], off
	v_and_b32_e32 v8, 3, v0
	v_lshlrev_b32_e32 v9, 9, v36
	v_lshlrev_b32_e32 v1, 5, v1
	;; [unrolled: 1-line block ×3, first 2 shown]
	v_and_b32_e32 v9, 0x1800, v9
	v_or3_b32 v1, v9, v8, v1
	s_waitcnt vmcnt(0)
	ds_write_b128 v1, v[4:7]
.LBB482_11:
	s_or_b64 exec, exec, s[12:13]
	s_waitcnt lgkmcnt(0)
	s_mul_i32 s4, s4, s46
	s_mov_b32 s5, 0
	s_lshl_b64 s[4:5], s[4:5], 1
	s_add_u32 s8, s8, s4
	v_lshlrev_b32_e32 v1, 4, v0
	s_addc_u32 s9, s9, s5
	v_and_b32_e32 v30, 0xf0, v1
	v_mov_b32_e32 v31, 0
	v_lshl_add_u64 v[18:19], s[8:9], 0, v[30:31]
	s_waitcnt vmcnt(3)
	v_mad_i64_i32 v[4:5], s[8:9], v3, s45, 0
	v_lshl_add_u64 v[4:5], v[4:5], 1, v[18:19]
	v_and_b32_e32 v30, 0x300, v1
	s_waitcnt vmcnt(2)
	v_mad_i64_i32 v[2:3], s[8:9], v2, s45, 0
	v_lshl_add_u64 v[14:15], v[4:5], 0, v[30:31]
	v_lshl_add_u64 v[2:3], v[2:3], 1, v[18:19]
	s_load_dword s29, s[0:1], 0x98
	s_load_dword s12, s[0:1], 0x1c
	s_waitcnt lgkmcnt(0)
	s_barrier
	global_load_dwordx4 v[6:9], v[14:15], off
	global_load_dwordx4 v[26:29], v[14:15], off offset:1024
	v_lshl_add_u64 v[32:33], v[2:3], 0, v[30:31]
	global_load_dwordx4 v[2:5], v[32:33], off
	global_load_dwordx4 v[46:49], v[32:33], off offset:1024
	s_waitcnt vmcnt(5)
	v_mad_i64_i32 v[10:11], s[8:9], v10, s45, 0
	v_lshl_add_u64 v[10:11], v[10:11], 1, v[18:19]
	v_lshl_add_u64 v[38:39], v[10:11], 0, v[30:31]
	global_load_dwordx4 v[10:13], v[38:39], off
	global_load_dwordx4 v[56:59], v[38:39], off offset:1024
	s_waitcnt vmcnt(6)
	v_mad_i64_i32 v[16:17], s[8:9], v16, s45, 0
	v_lshl_add_u64 v[16:17], v[16:17], 1, v[18:19]
	v_lshl_add_u64 v[40:41], v[16:17], 0, v[30:31]
	global_load_dwordx4 v[18:21], v[40:41], off
	v_mul_lo_u16_e32 v16, 37, v36
	v_mov_b32_e32 v17, 7
	v_mul_lo_u16_sdwa v16, v16, v17 dst_sel:DWORD dst_unused:UNUSED_PAD src0_sel:BYTE_1 src1_sel:DWORD
	v_mov_b32_e32 v22, 5
	v_sub_u16_e32 v16, v36, v16
	v_lshlrev_b32_sdwa v16, v22, v16 dst_sel:DWORD dst_unused:UNUSED_PAD src0_sel:DWORD src1_sel:BYTE_0
	v_lshl_add_u32 v16, v54, 9, v16
	ds_read_b128 v[22:25], v16
	global_load_dwordx4 v[38:41], v[40:41], off offset:1024
	v_and_or_b32 v30, v0, 48, s18
	v_mov_b32_e32 v68, s19
	v_cmp_gt_i32_e32 vcc, s33, v30
	ds_read_b128 v[14:17], v16 offset:2048
	v_lshlrev_b32_e32 v35, 5, v36
	s_add_u32 s4, s10, s4
	s_addc_u32 s5, s11, s5
	s_mov_b32 s43, 0xff7fffff
	s_waitcnt vmcnt(7) lgkmcnt(1)
	v_mfma_f32_16x16x16_bf16 v[42:45], v[6:7], v[22:23], 0
	v_ashrrev_i32_e32 v6, 4, v30
	v_or_b32_e32 v7, 64, v30
	s_waitcnt vmcnt(5)
	v_mfma_f32_16x16x16_bf16 v[50:53], v[2:3], v[22:23], 0
	v_cndmask_b32_e32 v2, v68, v6, vcc
	v_ashrrev_i32_e32 v3, 31, v2
	v_ashrrev_i32_e32 v6, 4, v7
	v_cmp_gt_i32_e32 vcc, s33, v7
	v_lshl_add_u64 v[2:3], v[2:3], 2, s[6:7]
	s_waitcnt vmcnt(3)
	v_mfma_f32_16x16x16_bf16 v[60:63], v[10:11], v[22:23], 0
	v_cndmask_b32_e32 v10, v68, v6, vcc
	v_ashrrev_i32_e32 v11, 31, v10
	v_lshl_add_u64 v[10:11], v[10:11], 2, s[6:7]
	v_mfma_f32_16x16x16_bf16 v[6:9], v[8:9], v[24:25], v[42:45]
	s_nop 2
	global_load_dword v42, v[2:3], off
	global_load_dword v43, v[10:11], off
	s_waitcnt vmcnt(3)
	v_mfma_f32_16x16x16_bf16 v[64:67], v[18:19], v[22:23], 0
	v_or_b32_e32 v22, 0x80, v30
	v_or_b32_e32 v23, 0xc0, v30
	v_ashrrev_i32_e32 v30, 4, v22
	v_cmp_gt_i32_e32 vcc, s33, v22
	v_ashrrev_i32_e32 v32, 4, v23
	v_mfma_f32_16x16x16_bf16 v[2:5], v[4:5], v[24:25], v[50:53]
	v_cndmask_b32_e32 v22, v68, v30, vcc
	v_cmp_gt_i32_e32 vcc, s33, v23
	v_ashrrev_i32_e32 v23, 31, v22
	v_mfma_f32_16x16x16_bf16 v[10:13], v[12:13], v[24:25], v[60:63]
	v_lshl_or_b32 v30, v37, 9, v35
	v_mfma_f32_16x16x16_bf16 v[18:21], v[20:21], v[24:25], v[64:67]
	v_cndmask_b32_e32 v24, v68, v32, vcc
	v_ashrrev_i32_e32 v25, 31, v24
	v_lshl_add_u64 v[32:33], v[24:25], 2, s[6:7]
	s_waitcnt lgkmcnt(0)
	v_mfma_f32_16x16x16_bf16 v[6:9], v[26:27], v[14:15], v[6:9]
	v_lshl_add_u64 v[26:27], v[22:23], 2, s[6:7]
	global_load_dword v60, v[26:27], off
	global_load_dword v61, v[32:33], off
	v_mfma_f32_16x16x16_bf16 v[2:5], v[46:47], v[14:15], v[2:5]
	v_mfma_f32_16x16x16_bf16 v[22:25], v[56:57], v[14:15], v[10:13]
	s_waitcnt vmcnt(4)
	v_mfma_f32_16x16x16_bf16 v[18:21], v[38:39], v[14:15], v[18:21]
	s_nop 0
	v_lshl_add_u64 v[10:11], s[4:5], 0, v[30:31]
	s_waitcnt vmcnt(3)
	v_mad_i64_i32 v[26:27], s[4:5], v42, s45, 0
	v_mfma_f32_16x16x16_bf16 v[12:15], v[28:29], v[16:17], v[6:9]
	v_lshl_add_u64 v[30:31], v[26:27], 1, v[10:11]
	s_waitcnt vmcnt(2)
	v_mad_i64_i32 v[32:33], s[4:5], v43, s45, 0
	v_mfma_f32_16x16x16_bf16 v[26:29], v[48:49], v[16:17], v[2:5]
	v_lshl_add_u64 v[56:57], v[32:33], 1, v[10:11]
	s_nop 1
	v_pk_mul_f32 v[50:51], s[12:13], v[14:15] op_sel_hi:[0,1]
	v_pk_mul_f32 v[12:13], s[12:13], v[12:13] op_sel_hi:[0,1]
	v_mfma_f32_16x16x16_bf16 v[22:25], v[58:59], v[16:17], v[22:25]
	global_load_dwordx4 v[6:9], v[30:31], off
	global_load_dwordx4 v[2:5], v[30:31], off offset:16
	v_pk_mul_f32 v[42:43], s[12:13], v[26:27] op_sel_hi:[0,1]
	v_pk_mul_f32 v[52:53], s[12:13], v[28:29] op_sel_hi:[0,1]
	v_mfma_f32_16x16x16_bf16 v[14:17], v[40:41], v[16:17], v[18:21]
	s_nop 1
	v_pk_mul_f32 v[46:47], s[12:13], v[22:23] op_sel_hi:[0,1]
	v_pk_mul_f32 v[48:49], s[12:13], v[24:25] op_sel_hi:[0,1]
	global_load_dwordx4 v[30:33], v[56:57], off
	global_load_dwordx4 v[26:29], v[56:57], off offset:16
	s_nop 0
	v_pk_mul_f32 v[44:45], s[12:13], v[14:15] op_sel_hi:[0,1]
	v_and_b32_e32 v14, 0xc0, v0
	v_add_u32_e32 v14, s18, v14
	v_lshl_or_b32 v14, v54, 2, v14
	v_pk_mul_f32 v[38:39], s[12:13], v[16:17] op_sel_hi:[0,1]
	v_or_b32_e32 v17, 1, v14
	v_mov_b32_e32 v15, 0xff7fffff
	v_cmp_gt_i32_e64 s[4:5], s33, v14
	v_cmp_gt_i32_e64 s[34:35], s33, v17
	v_or_b32_e32 v18, 3, v14
	v_cndmask_b32_e64 v16, v15, v12, s[4:5]
	v_cndmask_b32_e64 v17, v15, v13, s[34:35]
	v_max3_f32 v16, v16, s43, v17
	v_or_b32_e32 v17, 2, v14
	v_cmp_gt_i32_e64 s[36:37], s33, v17
	v_cmp_gt_i32_e64 s[38:39], s33, v18
	s_nop 0
	v_cndmask_b32_e64 v17, v15, v50, s[36:37]
	v_cndmask_b32_e64 v18, v15, v51, s[38:39]
	v_max3_f32 v16, v16, v17, v18
	v_or_b32_e32 v17, 16, v14
	v_or_b32_e32 v18, 17, v14
	v_cmp_gt_i32_e64 s[24:25], s33, v17
	v_cmp_gt_i32_e64 s[26:27], s33, v18
	s_nop 0
	v_cndmask_b32_e64 v17, v15, v42, s[24:25]
	v_cndmask_b32_e64 v18, v15, v43, s[26:27]
	v_max3_f32 v16, v16, v17, v18
	v_or_b32_e32 v17, 18, v14
	;; [unrolled: 8-line block ×6, first 2 shown]
	v_or_b32_e32 v14, 51, v14
	v_cmp_gt_i32_e32 vcc, s33, v17
	v_cmp_gt_i32_e64 s[6:7], s33, v14
	s_nop 0
	v_cndmask_b32_e32 v17, v15, v38, vcc
	v_cndmask_b32_e64 v14, v15, v39, s[6:7]
	v_max3_f32 v16, v16, v17, v14
	v_mbcnt_lo_u32_b32 v14, -1, 0
	v_mbcnt_hi_u32_b32 v17, -1, v14
	v_and_b32_e32 v14, 64, v17
	v_add_u32_e32 v18, 64, v14
	v_xor_b32_e32 v14, 32, v17
	v_cmp_lt_i32_e64 s[40:41], v14, v18
	s_nop 1
	v_cndmask_b32_e64 v14, v17, v14, s[40:41]
	v_lshlrev_b32_e32 v58, 2, v14
	ds_bpermute_b32 v19, v58, v16
	s_waitcnt vmcnt(5)
	v_mad_i64_i32 v[14:15], s[40:41], v60, s45, 0
	v_lshl_add_u64 v[14:15], v[14:15], 1, v[10:11]
	s_waitcnt lgkmcnt(0)
	v_max_f32_e32 v19, v19, v19
	v_max_f32_e32 v16, v16, v19
	v_xor_b32_e32 v19, 16, v17
	v_cmp_lt_i32_e64 s[40:41], v19, v18
	s_nop 1
	v_cndmask_b32_e64 v17, v17, v19, s[40:41]
	v_lshlrev_b32_e32 v57, 2, v17
	ds_bpermute_b32 v17, v57, v16
	global_load_dwordx4 v[22:25], v[14:15], off
	global_load_dwordx4 v[18:21], v[14:15], off offset:16
	s_waitcnt vmcnt(6)
	v_mad_i64_i32 v[14:15], s[40:41], v61, s45, 0
	v_lshl_add_u64 v[10:11], v[14:15], 1, v[10:11]
	s_waitcnt lgkmcnt(0)
	v_max_f32_e32 v14, v17, v17
	v_max_f32_e32 v56, v16, v14
	v_sub_f32_e32 v12, v12, v56
	v_mul_f32_e32 v12, 0x3fb8aa3b, v12
	v_exp_f32_e32 v40, v12
	v_sub_f32_e32 v12, v13, v56
	v_mul_f32_e32 v12, 0x3fb8aa3b, v12
	v_exp_f32_e32 v41, v12
	global_load_dwordx4 v[14:17], v[10:11], off
	s_nop 0
	global_load_dwordx4 v[10:13], v[10:11], off offset:16
	v_sub_f32_e32 v50, v50, v56
	v_mul_f32_e32 v50, 0x3fb8aa3b, v50
	v_sub_f32_e32 v51, v51, v56
	v_exp_f32_e32 v50, v50
	v_mul_f32_e32 v51, 0x3fb8aa3b, v51
	v_sub_f32_e32 v42, v42, v56
	v_exp_f32_e32 v51, v51
	v_mul_f32_e32 v42, 0x3fb8aa3b, v42
	v_sub_f32_e32 v43, v43, v56
	v_cndmask_b32_e64 v40, 0, v40, s[4:5]
	v_exp_f32_e32 v42, v42
	v_mul_f32_e32 v43, 0x3fb8aa3b, v43
	v_sub_f32_e32 v52, v52, v56
	v_add_f32_e32 v59, 0, v40
	v_cndmask_b32_e64 v41, 0, v41, s[34:35]
	v_exp_f32_e32 v43, v43
	v_mul_f32_e32 v52, 0x3fb8aa3b, v52
	v_sub_f32_e32 v53, v53, v56
	v_add_f32_e32 v59, v59, v41
	;; [unrolled: 5-line block ×10, first 2 shown]
	v_cndmask_b32_e64 v48, 0, v48, s[12:13]
	v_exp_f32_e32 v38, v38
	v_mul_f32_e32 v39, 0x3fb8aa3b, v39
	v_add_f32_e32 v59, v59, v48
	v_cndmask_b32_e64 v49, 0, v49, s[14:15]
	v_exp_f32_e32 v39, v39
	v_add_f32_e32 v59, v59, v49
	v_cndmask_b32_e64 v44, 0, v44, s[8:9]
	v_add_f32_e32 v59, v59, v44
	v_cndmask_b32_e64 v45, 0, v45, s[10:11]
	v_add_f32_e32 v59, v59, v45
	v_cndmask_b32_e32 v38, 0, v38, vcc
	v_add_f32_e32 v59, v59, v38
	v_cndmask_b32_e64 v39, 0, v39, s[6:7]
	v_add_f32_e32 v59, v59, v39
	ds_bpermute_b32 v58, v58, v59
	v_cmp_gt_u32_e32 vcc, 16, v55
	s_waitcnt lgkmcnt(0)
	s_barrier
	v_add_f32_e32 v58, v59, v58
	ds_bpermute_b32 v59, v57, v58
	v_lshlrev_b32_e32 v57, 2, v36
	s_and_saveexec_b64 s[4:5], vcc
	s_cbranch_execz .LBB482_13
; %bb.12:
	s_waitcnt lgkmcnt(0)
	v_add_f32_e32 v55, v58, v59
	v_lshl_or_b32 v58, v37, 6, v57
	ds_write2st64_b32 v58, v56, v55 offset1:1
.LBB482_13:
	s_or_b64 exec, exec, s[4:5]
	s_load_dword s6, s[0:1], 0x94
	s_waitcnt lgkmcnt(0)
	s_barrier
	ds_read2_b32 v[58:59], v57 offset1:16
	ds_read2_b32 v[60:61], v57 offset0:32 offset1:48
	ds_read2_b32 v[62:63], v57 offset0:64 offset1:80
	s_movk_i32 s8, 0x7fff
	s_mov_b32 s9, 0x7060302
	s_waitcnt lgkmcnt(2)
	v_max3_f32 v55, v58, s43, v59
	s_waitcnt lgkmcnt(1)
	v_max3_f32 v55, v55, v60, v61
	v_sub_f32_e32 v56, v58, v55
	v_mul_f32_e32 v56, 0x3fb8aa3b, v56
	v_exp_f32_e32 v64, v56
	v_sub_f32_e32 v56, v59, v55
	v_mul_f32_e32 v56, 0x3fb8aa3b, v56
	v_exp_f32_e32 v65, v56
	;; [unrolled: 3-line block ×3, first 2 shown]
	ds_read2_b32 v[58:59], v57 offset0:96 offset1:112
	v_sub_f32_e32 v56, v61, v55
	v_mul_f32_e32 v56, 0x3fb8aa3b, v56
	v_exp_f32_e32 v57, v56
	s_waitcnt lgkmcnt(1)
	v_fma_f32 v56, v64, v62, 0
	v_fmac_f32_e32 v56, v65, v63
	s_waitcnt lgkmcnt(0)
	v_fmac_f32_e32 v56, v60, v58
	v_fmac_f32_e32 v56, v57, v59
	v_add_f32_e32 v58, 0x358637bd, v56
	v_div_scale_f32 v59, s[4:5], v58, v58, 1.0
	v_rcp_f32_e32 v61, v59
	s_barrier
	v_fma_f32 v62, -v59, v61, 1.0
	v_fmac_f32_e32 v61, v62, v61
	v_div_scale_f32 v62, vcc, 1.0, v58, 1.0
	v_mul_f32_e32 v63, v62, v61
	v_fma_f32 v66, -v59, v63, v62
	v_fmac_f32_e32 v63, v66, v61
	v_fma_f32 v59, -v59, v63, v62
	v_div_fmas_f32 v59, v59, v61, v63
	v_cmp_eq_u32_e32 vcc, 1, v37
	v_div_fixup_f32 v58, v59, v58, 1.0
	s_mul_i32 s7, s29, 7
	v_cndmask_b32_e32 v59, v64, v65, vcc
	v_cmp_eq_u32_e32 vcc, 2, v37
	s_nop 1
	v_cndmask_b32_e32 v59, v59, v60, vcc
	v_cmp_eq_u32_e32 vcc, 3, v37
	v_lshlrev_b32_e32 v37, 11, v37
	s_nop 0
	v_cndmask_b32_e32 v57, v59, v57, vcc
	v_mul_f32_e32 v58, v57, v58
	v_pk_mul_f32 v[40:41], v[58:59], v[40:41] op_sel_hi:[0,1]
	v_pk_mul_f32 v[50:51], v[58:59], v[50:51] op_sel_hi:[0,1]
	v_bfe_u32 v57, v41, 16, 1
	v_bfe_u32 v59, v40, 16, 1
	v_add3_u32 v40, v40, v59, s8
	v_add3_u32 v41, v41, v57, s8
	v_perm_b32 v60, v41, v40, s9
	v_bfe_u32 v40, v51, 16, 1
	v_bfe_u32 v41, v50, 16, 1
	v_add3_u32 v41, v50, v41, s8
	v_add3_u32 v40, v51, v40, s8
	v_perm_b32 v61, v40, v41, s9
	v_lshlrev_b32_e32 v40, 3, v54
	v_pk_mul_f32 v[42:43], v[58:59], v[42:43] op_sel_hi:[0,1]
	v_or3_b32 v40, v37, v35, v40
	v_bfe_u32 v37, v43, 16, 1
	v_bfe_u32 v41, v42, 16, 1
	v_pk_mul_f32 v[50:51], v[58:59], v[52:53] op_sel_hi:[0,1]
	v_add3_u32 v41, v42, v41, s8
	v_add3_u32 v37, v43, v37, s8
	v_perm_b32 v42, v37, v41, s9
	v_bfe_u32 v37, v51, 16, 1
	v_bfe_u32 v41, v50, 16, 1
	v_add3_u32 v41, v50, v41, s8
	v_add3_u32 v37, v51, v37, s8
	v_pk_mul_f32 v[46:47], v[58:59], v[46:47] op_sel_hi:[0,1]
	v_perm_b32 v43, v37, v41, s9
	v_bfe_u32 v37, v47, 16, 1
	v_bfe_u32 v41, v46, 16, 1
	ds_write2st64_b64 v40, v[60:61], v[42:43] offset1:1
	v_pk_mul_f32 v[42:43], v[58:59], v[48:49] op_sel_hi:[0,1]
	v_add3_u32 v41, v46, v41, s8
	v_add3_u32 v37, v47, v37, s8
	v_perm_b32 v46, v37, v41, s9
	v_bfe_u32 v37, v43, 16, 1
	v_bfe_u32 v41, v42, 16, 1
	v_add3_u32 v41, v42, v41, s8
	v_add3_u32 v37, v43, v37, s8
	v_pk_mul_f32 v[42:43], v[58:59], v[44:45] op_sel_hi:[0,1]
	v_perm_b32 v47, v37, v41, s9
	v_bfe_u32 v37, v43, 16, 1
	v_bfe_u32 v41, v42, 16, 1
	v_pk_mul_f32 v[38:39], v[58:59], v[38:39] op_sel_hi:[0,1]
	v_add3_u32 v41, v42, v41, s8
	v_add3_u32 v37, v43, v37, s8
	v_perm_b32 v42, v37, v41, s9
	v_bfe_u32 v37, v39, 16, 1
	v_bfe_u32 v41, v38, 16, 1
	v_add3_u32 v38, v38, v41, s8
	v_add3_u32 v37, v39, v37, s8
	v_perm_b32 v43, v37, v38, s9
	v_cmp_gt_u32_e32 vcc, 7, v0
	ds_write2st64_b64 v40, v[46:47], v[42:43] offset0:2 offset1:3
	s_and_saveexec_b64 s[4:5], vcc
	s_cbranch_execz .LBB482_15
; %bb.14:
	s_mov_b32 s43, 0
	v_mov_b32_e32 v37, 0
	v_lshl_add_u64 v[38:39], s[42:43], 0, v[36:37]
	v_mov_b32_e32 v36, s7
	v_mad_u64_u32 v[38:39], s[10:11], s2, v36, v[38:39]
	v_mov_b32_e32 v36, s28
	s_load_dwordx4 s[12:15], s[0:1], 0x58
	s_mul_i32 s3, s3, s7
	v_mad_u64_u32 v[36:37], s[10:11], v38, s6, v[36:37]
	v_add_u32_e32 v39, s3, v39
	v_mov_b32_e32 v38, v37
	v_mad_u64_u32 v[38:39], s[10:11], v39, s6, v[38:39]
	v_mov_b32_e32 v37, v38
	v_lshlrev_b64 v[36:37], 2, v[36:37]
	s_waitcnt lgkmcnt(0)
	v_lshl_add_u64 v[38:39], s[14:15], 0, v[36:37]
	v_lshl_add_u64 v[36:37], s[12:13], 0, v[36:37]
	global_store_dword v[38:39], v55, off
	global_store_dword v[36:37], v56, off
.LBB482_15:
	s_or_b64 exec, exec, s[4:5]
	v_lshl_or_b32 v35, v54, 9, v35
	s_waitcnt lgkmcnt(0)
	s_barrier
	ds_read_b128 v[36:39], v35
	ds_read_b128 v[42:45], v35 offset:16
	s_waitcnt vmcnt(7) lgkmcnt(1)
	v_mfma_f32_16x16x16_bf16 v[46:49], v[6:7], v[36:37], 0
	v_cmp_gt_u32_e32 vcc, 64, v0
	s_mov_b32 s3, 0
	s_and_b64 s[4:5], vcc, s[30:31]
	v_mfma_f32_16x16x16_bf16 v[6:9], v[8:9], v[38:39], v[46:49]
	s_waitcnt vmcnt(6) lgkmcnt(0)
	v_mfma_f32_16x16x16_bf16 v[6:9], v[2:3], v[42:43], v[6:9]
	v_mfma_f32_16x16x16_bf16 v[2:5], v[4:5], v[44:45], v[6:9]
	s_nop 5
	ds_read_b128 v[6:9], v35 offset:2048
	ds_read_b128 v[36:39], v35 offset:2064
	s_waitcnt vmcnt(5) lgkmcnt(1)
	v_mfma_f32_16x16x16_bf16 v[2:5], v[30:31], v[6:7], v[2:5]
	v_mfma_f32_16x16x16_bf16 v[2:5], v[32:33], v[8:9], v[2:5]
	s_waitcnt vmcnt(4) lgkmcnt(0)
	v_mfma_f32_16x16x16_bf16 v[2:5], v[26:27], v[36:37], v[2:5]
	v_mfma_f32_16x16x16_bf16 v[2:5], v[28:29], v[38:39], v[2:5]
	ds_read_b128 v[6:9], v35 offset:4096
	ds_read_b128 v[26:29], v35 offset:4112
	s_waitcnt vmcnt(3) lgkmcnt(1)
	v_mfma_f32_16x16x16_bf16 v[2:5], v[22:23], v[6:7], v[2:5]
	v_mfma_f32_16x16x16_bf16 v[2:5], v[24:25], v[8:9], v[2:5]
	s_waitcnt vmcnt(2) lgkmcnt(0)
	v_mfma_f32_16x16x16_bf16 v[2:5], v[18:19], v[26:27], v[2:5]
	v_mfma_f32_16x16x16_bf16 v[2:5], v[20:21], v[28:29], v[2:5]
	ds_read_b128 v[6:9], v35 offset:6144
	ds_read_b128 v[18:21], v35 offset:6160
	v_mov_b32_e32 v35, 0
	s_waitcnt vmcnt(1) lgkmcnt(0)
	v_mfma_f32_16x16x16_bf16 v[2:5], v[14:15], v[6:7], v[2:5]
	s_barrier
	v_mfma_f32_16x16x16_bf16 v[2:5], v[16:17], v[8:9], v[2:5]
	s_waitcnt vmcnt(0)
	v_mfma_f32_16x16x16_bf16 v[2:5], v[10:11], v[18:19], v[2:5]
	v_mfma_f32_16x16x16_bf16 v[2:5], v[12:13], v[20:21], v[2:5]
	s_nop 6
	v_bfe_u32 v6, v3, 16, 1
	v_bfe_u32 v7, v2, 16, 1
	;; [unrolled: 1-line block ×4, first 2 shown]
	v_add3_u32 v2, v2, v7, s8
	v_add3_u32 v3, v3, v6, s8
	;; [unrolled: 1-line block ×4, first 2 shown]
	v_perm_b32 v2, v3, v2, s9
	v_perm_b32 v3, v5, v4, s9
	ds_write_b64 v40, v[2:3]
	s_waitcnt lgkmcnt(0)
	s_barrier
	s_and_saveexec_b64 s[8:9], s[4:5]
	s_cbranch_execz .LBB482_18
; %bb.16:
	s_load_dwordx2 s[4:5], s[0:1], 0x68
	s_lshl_b32 s0, s6, 6
	s_mul_i32 s1, s7, s2
	s_mul_hi_u32 s7, s1, s0
	s_mul_i32 s6, s1, s0
	v_lshlrev_b32_e32 v0, 10, v0
	s_lshl_b64 s[6:7], s[6:7], 1
	v_and_b32_e32 v0, 0x1800, v0
	v_lshlrev_b32_e32 v2, 5, v54
	v_and_b32_e32 v1, 16, v1
	s_waitcnt lgkmcnt(0)
	s_add_u32 s1, s4, s6
	v_or3_b32 v2, v0, v2, v1
	s_addc_u32 s4, s5, s7
	s_lshl_b32 s2, s28, 6
	s_lshl_b64 s[2:3], s[2:3], 1
	ds_read_b128 v[4:7], v2
	s_add_u32 s2, s1, s2
	s_addc_u32 s3, s4, s3
	v_add_u32_e32 v3, s42, v54
	v_lshl_add_u64 v[0:1], s[2:3], 0, v[34:35]
	v_mad_u64_u32 v[8:9], s[2:3], v3, s0, 0
	v_lshl_add_u64 v[8:9], v[8:9], 1, v[0:1]
	v_cmp_ne_u32_e32 vcc, 3, v54
	s_waitcnt lgkmcnt(0)
	global_store_dwordx4 v[8:9], v[4:7], off
	s_and_b64 exec, exec, vcc
	s_cbranch_execz .LBB482_18
; %bb.17:
	ds_read_b128 v[2:5], v2 offset:128
	v_add3_u32 v6, s42, v54, 4
	v_mad_u64_u32 v[6:7], s[0:1], v6, s0, 0
	v_lshl_add_u64 v[0:1], v[6:7], 1, v[0:1]
	s_waitcnt lgkmcnt(0)
	global_store_dwordx4 v[0:1], v[2:5], off
.LBB482_18:
	s_endpgm
	.section	.rodata,"a",@progbits
	.p2align	6, 0x0
	.amdhsa_kernel _Z39paged_attention_ll4mi_QKV_mfma16_kernelI14__hip_bfloat16S0_LN4vllm18Fp8KVCacheDataTypeE0ES0_Li16ELi64ELi256ELb0ELi7EEvPKT_PKT0_S8_ifPKiSA_SA_iPKfiiiPfSD_PS3_PT2_iSC_SC_
		.amdhsa_group_segment_fixed_size 8192
		.amdhsa_private_segment_fixed_size 0
		.amdhsa_kernarg_size 400
		.amdhsa_user_sgpr_count 2
		.amdhsa_user_sgpr_dispatch_ptr 0
		.amdhsa_user_sgpr_queue_ptr 0
		.amdhsa_user_sgpr_kernarg_segment_ptr 1
		.amdhsa_user_sgpr_dispatch_id 0
		.amdhsa_user_sgpr_kernarg_preload_length 0
		.amdhsa_user_sgpr_kernarg_preload_offset 0
		.amdhsa_user_sgpr_private_segment_size 0
		.amdhsa_uses_dynamic_stack 0
		.amdhsa_enable_private_segment 0
		.amdhsa_system_sgpr_workgroup_id_x 1
		.amdhsa_system_sgpr_workgroup_id_y 1
		.amdhsa_system_sgpr_workgroup_id_z 1
		.amdhsa_system_sgpr_workgroup_info 0
		.amdhsa_system_vgpr_workitem_id 0
		.amdhsa_next_free_vgpr 69
		.amdhsa_next_free_sgpr 48
		.amdhsa_accum_offset 72
		.amdhsa_reserve_vcc 1
		.amdhsa_float_round_mode_32 0
		.amdhsa_float_round_mode_16_64 0
		.amdhsa_float_denorm_mode_32 3
		.amdhsa_float_denorm_mode_16_64 3
		.amdhsa_dx10_clamp 1
		.amdhsa_ieee_mode 1
		.amdhsa_fp16_overflow 0
		.amdhsa_tg_split 0
		.amdhsa_exception_fp_ieee_invalid_op 0
		.amdhsa_exception_fp_denorm_src 0
		.amdhsa_exception_fp_ieee_div_zero 0
		.amdhsa_exception_fp_ieee_overflow 0
		.amdhsa_exception_fp_ieee_underflow 0
		.amdhsa_exception_fp_ieee_inexact 0
		.amdhsa_exception_int_div_zero 0
	.end_amdhsa_kernel
	.section	.text._Z39paged_attention_ll4mi_QKV_mfma16_kernelI14__hip_bfloat16S0_LN4vllm18Fp8KVCacheDataTypeE0ES0_Li16ELi64ELi256ELb0ELi7EEvPKT_PKT0_S8_ifPKiSA_SA_iPKfiiiPfSD_PS3_PT2_iSC_SC_,"axG",@progbits,_Z39paged_attention_ll4mi_QKV_mfma16_kernelI14__hip_bfloat16S0_LN4vllm18Fp8KVCacheDataTypeE0ES0_Li16ELi64ELi256ELb0ELi7EEvPKT_PKT0_S8_ifPKiSA_SA_iPKfiiiPfSD_PS3_PT2_iSC_SC_,comdat
.Lfunc_end482:
	.size	_Z39paged_attention_ll4mi_QKV_mfma16_kernelI14__hip_bfloat16S0_LN4vllm18Fp8KVCacheDataTypeE0ES0_Li16ELi64ELi256ELb0ELi7EEvPKT_PKT0_S8_ifPKiSA_SA_iPKfiiiPfSD_PS3_PT2_iSC_SC_, .Lfunc_end482-_Z39paged_attention_ll4mi_QKV_mfma16_kernelI14__hip_bfloat16S0_LN4vllm18Fp8KVCacheDataTypeE0ES0_Li16ELi64ELi256ELb0ELi7EEvPKT_PKT0_S8_ifPKiSA_SA_iPKfiiiPfSD_PS3_PT2_iSC_SC_
                                        ; -- End function
	.section	.AMDGPU.csdata,"",@progbits
; Kernel info:
; codeLenInByte = 4052
; NumSgprs: 54
; NumVgprs: 69
; NumAgprs: 0
; TotalNumVgprs: 69
; ScratchSize: 0
; MemoryBound: 0
; FloatMode: 240
; IeeeMode: 1
; LDSByteSize: 8192 bytes/workgroup (compile time only)
; SGPRBlocks: 6
; VGPRBlocks: 8
; NumSGPRsForWavesPerEU: 54
; NumVGPRsForWavesPerEU: 69
; AccumOffset: 72
; Occupancy: 7
; WaveLimiterHint : 1
; COMPUTE_PGM_RSRC2:SCRATCH_EN: 0
; COMPUTE_PGM_RSRC2:USER_SGPR: 2
; COMPUTE_PGM_RSRC2:TRAP_HANDLER: 0
; COMPUTE_PGM_RSRC2:TGID_X_EN: 1
; COMPUTE_PGM_RSRC2:TGID_Y_EN: 1
; COMPUTE_PGM_RSRC2:TGID_Z_EN: 1
; COMPUTE_PGM_RSRC2:TIDIG_COMP_CNT: 0
; COMPUTE_PGM_RSRC3_GFX90A:ACCUM_OFFSET: 17
; COMPUTE_PGM_RSRC3_GFX90A:TG_SPLIT: 0
	.section	.text._Z39paged_attention_ll4mi_QKV_mfma16_kernelI14__hip_bfloat16S0_LN4vllm18Fp8KVCacheDataTypeE0ES0_Li16ELi64ELi256ELb0ELi8EEvPKT_PKT0_S8_ifPKiSA_SA_iPKfiiiPfSD_PS3_PT2_iSC_SC_,"axG",@progbits,_Z39paged_attention_ll4mi_QKV_mfma16_kernelI14__hip_bfloat16S0_LN4vllm18Fp8KVCacheDataTypeE0ES0_Li16ELi64ELi256ELb0ELi8EEvPKT_PKT0_S8_ifPKiSA_SA_iPKfiiiPfSD_PS3_PT2_iSC_SC_,comdat
	.protected	_Z39paged_attention_ll4mi_QKV_mfma16_kernelI14__hip_bfloat16S0_LN4vllm18Fp8KVCacheDataTypeE0ES0_Li16ELi64ELi256ELb0ELi8EEvPKT_PKT0_S8_ifPKiSA_SA_iPKfiiiPfSD_PS3_PT2_iSC_SC_ ; -- Begin function _Z39paged_attention_ll4mi_QKV_mfma16_kernelI14__hip_bfloat16S0_LN4vllm18Fp8KVCacheDataTypeE0ES0_Li16ELi64ELi256ELb0ELi8EEvPKT_PKT0_S8_ifPKiSA_SA_iPKfiiiPfSD_PS3_PT2_iSC_SC_
	.globl	_Z39paged_attention_ll4mi_QKV_mfma16_kernelI14__hip_bfloat16S0_LN4vllm18Fp8KVCacheDataTypeE0ES0_Li16ELi64ELi256ELb0ELi8EEvPKT_PKT0_S8_ifPKiSA_SA_iPKfiiiPfSD_PS3_PT2_iSC_SC_
	.p2align	8
	.type	_Z39paged_attention_ll4mi_QKV_mfma16_kernelI14__hip_bfloat16S0_LN4vllm18Fp8KVCacheDataTypeE0ES0_Li16ELi64ELi256ELb0ELi8EEvPKT_PKT0_S8_ifPKiSA_SA_iPKfiiiPfSD_PS3_PT2_iSC_SC_,@function
_Z39paged_attention_ll4mi_QKV_mfma16_kernelI14__hip_bfloat16S0_LN4vllm18Fp8KVCacheDataTypeE0ES0_Li16ELi64ELi256ELb0ELi8EEvPKT_PKT0_S8_ifPKiSA_SA_iPKfiiiPfSD_PS3_PT2_iSC_SC_: ; @_Z39paged_attention_ll4mi_QKV_mfma16_kernelI14__hip_bfloat16S0_LN4vllm18Fp8KVCacheDataTypeE0ES0_Li16ELi64ELi256ELb0ELi8EEvPKT_PKT0_S8_ifPKiSA_SA_iPKfiiiPfSD_PS3_PT2_iSC_SC_
; %bb.0:
	s_load_dwordx2 s[12:13], s[0:1], 0x30
	s_mov_b32 s28, s3
	s_mov_b64 s[6:7], 0
	s_waitcnt lgkmcnt(0)
	s_cmp_lg_u64 s[12:13], 0
	s_cselect_b64 s[14:15], -1, 0
	s_and_b64 vcc, exec, s[14:15]
	s_cbranch_vccz .LBB483_7
; %bb.1:
	s_add_i32 s8, s2, 1
	s_mov_b32 s9, 0
	s_lshl_b64 s[10:11], s[8:9], 2
	s_add_u32 s10, s12, s10
	s_mov_b32 s3, s9
	s_addc_u32 s11, s13, s11
	s_lshl_b64 s[8:9], s[2:3], 2
	s_add_u32 s8, s12, s8
	s_addc_u32 s9, s13, s9
	s_load_dword s5, s[10:11], 0x0
	s_load_dword s16, s[8:9], 0x0
	s_waitcnt lgkmcnt(0)
	s_sub_i32 s5, s5, s16
	s_cmp_eq_u32 s5, 1
	s_cselect_b64 s[8:9], -1, 0
	s_andn2_b64 vcc, exec, s[6:7]
	s_cbranch_vccnz .LBB483_3
.LBB483_2:
	s_mov_b32 s3, 0
	s_mov_b64 s[8:9], -1
.LBB483_3:
	s_andn2_b64 vcc, exec, s[8:9]
	s_cbranch_vccnz .LBB483_17
; %bb.4:
	s_load_dwordx2 s[6:7], s[0:1], 0x28
	s_lshl_b64 s[16:17], s[2:3], 2
	s_waitcnt lgkmcnt(0)
	s_add_u32 s6, s6, s16
	s_addc_u32 s7, s7, s17
	s_load_dword s40, s[6:7], 0x0
	s_lshl_b32 s18, s28, 8
	s_waitcnt lgkmcnt(0)
	s_cmp_ge_i32 s18, s40
	s_cbranch_scc1 .LBB483_17
; %bb.5:
	s_load_dwordx2 s[6:7], s[0:1], 0x20
	s_load_dword s5, s[0:1], 0x38
	s_add_i32 s8, s40, 15
	s_ashr_i32 s9, s8, 31
	v_and_b32_e32 v1, 0xcf, v0
	s_lshr_b32 s9, s9, 28
	v_add_u32_e32 v1, s18, v1
	s_add_i32 s8, s8, s9
	v_ashrrev_i32_e32 v2, 31, v1
	s_ashr_i32 s19, s8, 4
	v_lshrrev_b32_e32 v8, 28, v2
	s_add_i32 s19, s19, -1
	s_waitcnt lgkmcnt(0)
	s_mul_i32 s8, s2, s5
	s_mov_b32 s9, 0
	v_add_u32_e32 v2, v1, v8
	s_lshl_b64 s[8:9], s[8:9], 2
	v_ashrrev_i32_e32 v2, 4, v2
	v_mov_b32_e32 v9, s19
	v_cmp_gt_i32_e32 vcc, s40, v1
	s_add_u32 s6, s6, s8
	s_addc_u32 s7, s7, s9
	v_cndmask_b32_e32 v2, v9, v2, vcc
	v_ashrrev_i32_e32 v3, 31, v2
	v_lshl_add_u64 v[4:5], v[2:3], 2, s[6:7]
	v_or_b32_e32 v2, 16, v1
	v_add_u32_e32 v3, v2, v8
	v_ashrrev_i32_e32 v3, 4, v3
	v_cmp_gt_i32_e32 vcc, s40, v2
	s_load_dwordx4 s[8:11], s[0:1], 0x8
	s_nop 0
	v_cndmask_b32_e32 v2, v9, v3, vcc
	v_ashrrev_i32_e32 v3, 31, v2
	v_lshl_add_u64 v[6:7], v[2:3], 2, s[6:7]
	v_or_b32_e32 v2, 32, v1
	v_add_u32_e32 v3, v2, v8
	v_ashrrev_i32_e32 v3, 4, v3
	v_cmp_gt_i32_e32 vcc, s40, v2
	v_or_b32_e32 v1, 48, v1
	s_nop 0
	v_cndmask_b32_e32 v2, v9, v3, vcc
	v_ashrrev_i32_e32 v3, 31, v2
	v_lshl_add_u64 v[12:13], v[2:3], 2, s[6:7]
	v_add_u32_e32 v2, v1, v8
	v_ashrrev_i32_e32 v2, 4, v2
	v_cmp_gt_i32_e32 vcc, s40, v1
	s_nop 1
	v_cndmask_b32_e32 v2, v9, v2, vcc
	v_ashrrev_i32_e32 v3, 31, v2
	v_lshl_add_u64 v[14:15], v[2:3], 2, s[6:7]
	global_load_dword v2, v[4:5], off
	global_load_dword v10, v[6:7], off
	;; [unrolled: 1-line block ×4, first 2 shown]
	s_andn2_b64 vcc, exec, s[14:15]
	s_cbranch_vccnz .LBB483_8
; %bb.6:
	s_add_u32 s12, s12, s16
	s_addc_u32 s13, s13, s17
	s_load_dword s5, s[12:13], 0x0
	s_branch .LBB483_9
.LBB483_7:
	s_mov_b64 s[8:9], 0
	s_branch .LBB483_2
.LBB483_8:
	s_mov_b32 s5, s2
.LBB483_9:
	s_load_dwordx4 s[44:47], s[0:1], 0x48
	v_and_b32_e32 v55, 15, v0
	s_movk_i32 s12, 0x80
	v_lshlrev_b32_e32 v3, 3, v55
	v_cmp_gt_u32_e32 vcc, s12, v0
	v_cmp_gt_u32_e64 s[30:31], 8, v55
	v_lshrrev_b32_e32 v53, 6, v0
	v_and_b32_e32 v54, 63, v0
	v_bfe_u32 v1, v0, 4, 2
	s_lshl_b32 s29, s4, 3
	s_and_b64 s[14:15], vcc, s[30:31]
	v_lshlrev_b32_e32 v34, 1, v3
	s_and_saveexec_b64 s[12:13], s[14:15]
	s_cbranch_execz .LBB483_11
; %bb.10:
	s_load_dwordx2 s[14:15], s[0:1], 0x0
	s_waitcnt lgkmcnt(0)
	s_ashr_i32 s16, s44, 31
	s_mul_hi_u32 s17, s5, s44
	s_mul_i32 s16, s5, s16
	s_add_i32 s17, s17, s16
	s_mul_i32 s16, s5, s44
	v_lshl_or_b32 v3, v53, 2, v1
	s_lshl_b64 s[16:17], s[16:17], 1
	s_add_u32 s14, s14, s16
	v_add_lshl_u32 v4, v3, s29, 6
	s_addc_u32 s15, s15, s17
	v_ashrrev_i32_e32 v5, 31, v4
	v_lshl_add_u64 v[4:5], v[4:5], 1, s[14:15]
	v_mov_b32_e32 v35, 0
	v_lshl_add_u64 v[4:5], v[4:5], 0, v[34:35]
	global_load_dwordx4 v[4:7], v[4:5], off
	v_and_b32_e32 v11, 3, v0
	v_lshlrev_b32_e32 v12, 9, v55
	v_lshlrev_b32_e32 v3, 5, v3
	;; [unrolled: 1-line block ×3, first 2 shown]
	v_and_b32_e32 v12, 0x1800, v12
	v_or3_b32 v3, v12, v11, v3
	s_waitcnt vmcnt(0)
	ds_write_b128 v3, v[4:7]
.LBB483_11:
	s_or_b64 exec, exec, s[12:13]
	s_waitcnt lgkmcnt(0)
	s_mul_i32 s4, s4, s46
	s_mov_b32 s5, 0
	s_lshl_b64 s[4:5], s[4:5], 1
	s_add_u32 s8, s8, s4
	v_lshlrev_b32_e32 v52, 4, v0
	s_addc_u32 s9, s9, s5
	v_and_b32_e32 v6, 0xf0, v52
	v_mov_b32_e32 v7, 0
	v_lshl_add_u64 v[12:13], s[8:9], 0, v[6:7]
	s_waitcnt vmcnt(3)
	v_mad_i64_i32 v[2:3], s[8:9], v2, s45, 0
	v_lshl_add_u64 v[2:3], v[2:3], 1, v[12:13]
	v_and_b32_e32 v6, 0x300, v52
	v_and_b32_e32 v11, 7, v0
	s_waitcnt vmcnt(2)
	v_mad_i64_i32 v[20:21], s[8:9], v10, s45, 0
	s_waitcnt vmcnt(1)
	v_mad_i64_i32 v[24:25], s[8:9], v9, s45, 0
	v_lshl_add_u64 v[14:15], v[2:3], 0, v[6:7]
	s_waitcnt vmcnt(0)
	v_mad_i64_i32 v[26:27], s[8:9], v8, s45, 0
	v_lshlrev_b32_e32 v8, 5, v11
	v_lshl_add_u64 v[20:21], v[20:21], 1, v[12:13]
	v_lshl_add_u64 v[24:25], v[24:25], 1, v[12:13]
	s_load_dword s33, s[0:1], 0x98
	s_load_dword s12, s[0:1], 0x1c
	s_waitcnt lgkmcnt(0)
	s_barrier
	global_load_dwordx4 v[2:5], v[14:15], off
	v_lshl_or_b32 v8, v1, 9, v8
	v_lshl_add_u64 v[32:33], v[20:21], 0, v[6:7]
	v_lshl_add_u64 v[30:31], v[24:25], 0, v[6:7]
	ds_read_b128 v[16:19], v8
	ds_read_b128 v[8:11], v8 offset:2048
	global_load_dwordx4 v[20:23], v[32:33], off
	v_lshl_add_u64 v[12:13], v[26:27], 1, v[12:13]
	global_load_dwordx4 v[24:27], v[30:31], off
	v_lshl_add_u64 v[28:29], v[12:13], 0, v[6:7]
	global_load_dwordx4 v[12:15], v[14:15], off offset:1024
	s_nop 0
	global_load_dwordx4 v[40:43], v[28:29], off
	global_load_dwordx4 v[44:47], v[32:33], off offset:1024
	global_load_dwordx4 v[60:63], v[28:29], off offset:1024
	v_and_or_b32 v6, v0, 48, s18
	global_load_dwordx4 v[30:33], v[30:31], off offset:1024
	v_mov_b32_e32 v68, s19
	v_cmp_gt_i32_e32 vcc, s40, v6
	v_or_b32_e32 v28, 0x80, v6
	v_ashrrev_i32_e32 v29, 4, v28
	v_lshlrev_b32_e32 v35, 5, v55
	s_add_u32 s4, s10, s4
	s_addc_u32 s5, s11, s5
	s_mov_b32 s42, 0xff7fffff
	v_lshlrev_b32_e32 v55, 2, v55
	s_waitcnt vmcnt(3) lgkmcnt(1)
	v_mfma_f32_16x16x16_bf16 v[64:67], v[40:41], v[16:17], 0
	v_mfma_f32_16x16x16_bf16 v[36:39], v[2:3], v[16:17], 0
	v_ashrrev_i32_e32 v2, 4, v6
	v_mfma_f32_16x16x16_bf16 v[48:51], v[20:21], v[16:17], 0
	v_or_b32_e32 v20, 64, v6
	v_ashrrev_i32_e32 v21, 4, v20
	v_or_b32_e32 v6, 0xc0, v6
	v_mfma_f32_16x16x16_bf16 v[56:59], v[24:25], v[16:17], 0
	v_cndmask_b32_e32 v16, v68, v2, vcc
	v_ashrrev_i32_e32 v17, 31, v16
	v_lshl_add_u64 v[16:17], v[16:17], 2, s[6:7]
	v_mfma_f32_16x16x16_bf16 v[2:5], v[4:5], v[18:19], v[36:39]
	v_cmp_gt_i32_e32 vcc, s40, v20
	s_nop 1
	global_load_dword v36, v[16:17], off
	v_cndmask_b32_e32 v24, v68, v21, vcc
	v_ashrrev_i32_e32 v25, 31, v24
	v_lshl_add_u64 v[16:17], v[24:25], 2, s[6:7]
	global_load_dword v37, v[16:17], off
	v_cmp_gt_i32_e32 vcc, s40, v28
	v_ashrrev_i32_e32 v38, 4, v6
	s_waitcnt lgkmcnt(0)
	v_mfma_f32_16x16x16_bf16 v[2:5], v[12:13], v[8:9], v[2:5]
	v_cndmask_b32_e32 v12, v68, v29, vcc
	v_cmp_gt_i32_e32 vcc, s40, v6
	v_ashrrev_i32_e32 v13, 31, v12
	v_lshl_add_u64 v[12:13], v[12:13], 2, s[6:7]
	v_cndmask_b32_e32 v28, v68, v38, vcc
	v_ashrrev_i32_e32 v29, 31, v28
	v_mfma_f32_16x16x16_bf16 v[24:27], v[26:27], v[18:19], v[56:59]
	v_lshl_add_u64 v[28:29], v[28:29], 2, s[6:7]
	s_nop 1
	global_load_dword v56, v[12:13], off
	global_load_dword v57, v[28:29], off
	v_lshl_or_b32 v6, v53, 9, v35
	v_mfma_f32_16x16x16_bf16 v[20:23], v[22:23], v[18:19], v[48:51]
	v_lshl_add_u64 v[12:13], s[4:5], 0, v[6:7]
	v_mfma_f32_16x16x16_bf16 v[16:19], v[42:43], v[18:19], v[64:67]
	s_waitcnt vmcnt(5)
	v_mfma_f32_16x16x16_bf16 v[16:19], v[60:61], v[8:9], v[16:19]
	s_waitcnt vmcnt(4)
	v_mfma_f32_16x16x16_bf16 v[24:27], v[30:31], v[8:9], v[24:27]
	v_mfma_f32_16x16x16_bf16 v[28:31], v[14:15], v[10:11], v[2:5]
	;; [unrolled: 1-line block ×3, first 2 shown]
	s_waitcnt vmcnt(3)
	s_nop 0
	v_mad_i64_i32 v[2:3], s[4:5], v36, s45, 0
	v_lshl_add_u64 v[14:15], v[2:3], 1, v[12:13]
	global_load_dwordx4 v[6:9], v[14:15], off
	global_load_dwordx4 v[2:5], v[14:15], off offset:16
	v_mfma_f32_16x16x16_bf16 v[14:17], v[62:63], v[10:11], v[16:19]
	s_waitcnt vmcnt(4)
	v_mad_i64_i32 v[36:37], s[4:5], v37, s45, 0
	v_lshl_add_u64 v[38:39], v[36:37], 1, v[12:13]
	v_mfma_f32_16x16x16_bf16 v[20:23], v[46:47], v[10:11], v[20:23]
	v_pk_mul_f32 v[48:49], s[12:13], v[30:31] op_sel_hi:[0,1]
	s_nop 1
	v_pk_mul_f32 v[42:43], s[12:13], v[14:15] op_sel_hi:[0,1]
	v_and_b32_e32 v14, 0xc0, v0
	v_add_u32_e32 v14, s18, v14
	v_lshl_or_b32 v14, v1, 2, v14
	v_pk_mul_f32 v[36:37], s[12:13], v[16:17] op_sel_hi:[0,1]
	v_or_b32_e32 v17, 1, v14
	v_mfma_f32_16x16x16_bf16 v[24:27], v[32:33], v[10:11], v[24:27]
	v_pk_mul_f32 v[10:11], s[12:13], v[28:29] op_sel_hi:[0,1]
	v_mov_b32_e32 v15, 0xff7fffff
	v_cmp_gt_i32_e64 s[4:5], s40, v14
	v_cmp_gt_i32_e64 s[34:35], s40, v17
	v_or_b32_e32 v18, 3, v14
	v_cndmask_b32_e64 v16, v15, v10, s[4:5]
	v_cndmask_b32_e64 v17, v15, v11, s[34:35]
	v_max3_f32 v16, v16, s42, v17
	v_or_b32_e32 v17, 2, v14
	v_cmp_gt_i32_e64 s[36:37], s40, v17
	v_cmp_gt_i32_e64 s[38:39], s40, v18
	v_pk_mul_f32 v[40:41], s[12:13], v[20:21] op_sel_hi:[0,1]
	v_cndmask_b32_e64 v17, v15, v48, s[36:37]
	v_cndmask_b32_e64 v18, v15, v49, s[38:39]
	v_max3_f32 v16, v16, v17, v18
	v_or_b32_e32 v17, 16, v14
	v_or_b32_e32 v18, 17, v14
	v_cmp_gt_i32_e64 s[24:25], s40, v17
	v_cmp_gt_i32_e64 s[26:27], s40, v18
	v_pk_mul_f32 v[50:51], s[12:13], v[22:23] op_sel_hi:[0,1]
	v_cndmask_b32_e64 v17, v15, v40, s[24:25]
	v_cndmask_b32_e64 v18, v15, v41, s[26:27]
	v_max3_f32 v16, v16, v17, v18
	v_or_b32_e32 v17, 18, v14
	;; [unrolled: 8-line block ×4, first 2 shown]
	v_or_b32_e32 v18, 35, v14
	v_cmp_gt_i32_e64 s[12:13], s40, v17
	v_cmp_gt_i32_e64 s[14:15], s40, v18
	global_load_dwordx4 v[30:33], v[38:39], off
	global_load_dwordx4 v[26:29], v[38:39], off offset:16
	v_cndmask_b32_e64 v17, v15, v46, s[12:13]
	v_cndmask_b32_e64 v18, v15, v47, s[14:15]
	v_max3_f32 v16, v16, v17, v18
	v_or_b32_e32 v17, 48, v14
	v_or_b32_e32 v18, 49, v14
	v_cmp_gt_i32_e64 s[8:9], s40, v17
	v_cmp_gt_i32_e64 s[10:11], s40, v18
	s_nop 0
	v_cndmask_b32_e64 v17, v15, v42, s[8:9]
	v_cndmask_b32_e64 v18, v15, v43, s[10:11]
	v_max3_f32 v16, v16, v17, v18
	v_or_b32_e32 v17, 50, v14
	v_or_b32_e32 v14, 51, v14
	v_cmp_gt_i32_e32 vcc, s40, v17
	v_cmp_gt_i32_e64 s[6:7], s40, v14
	s_nop 0
	v_cndmask_b32_e32 v17, v15, v36, vcc
	v_cndmask_b32_e64 v14, v15, v37, s[6:7]
	v_max3_f32 v16, v16, v17, v14
	v_mbcnt_lo_u32_b32 v14, -1, 0
	v_mbcnt_hi_u32_b32 v17, -1, v14
	v_and_b32_e32 v14, 64, v17
	v_add_u32_e32 v18, 64, v14
	v_xor_b32_e32 v14, 32, v17
	v_cmp_lt_i32_e64 s[40:41], v14, v18
	s_nop 1
	v_cndmask_b32_e64 v14, v17, v14, s[40:41]
	v_lshlrev_b32_e32 v58, 2, v14
	ds_bpermute_b32 v19, v58, v16
	s_waitcnt vmcnt(5)
	v_mad_i64_i32 v[14:15], s[40:41], v56, s45, 0
	v_lshl_add_u64 v[14:15], v[14:15], 1, v[12:13]
	s_waitcnt lgkmcnt(0)
	v_max_f32_e32 v19, v19, v19
	v_max_f32_e32 v16, v16, v19
	v_xor_b32_e32 v19, 16, v17
	v_cmp_lt_i32_e64 s[40:41], v19, v18
	s_nop 1
	v_cndmask_b32_e64 v17, v17, v19, s[40:41]
	v_lshlrev_b32_e32 v59, 2, v17
	ds_bpermute_b32 v17, v59, v16
	global_load_dwordx4 v[22:25], v[14:15], off
	global_load_dwordx4 v[18:21], v[14:15], off offset:16
	s_waitcnt vmcnt(6)
	v_mad_i64_i32 v[14:15], s[40:41], v57, s45, 0
	v_lshl_add_u64 v[12:13], v[14:15], 1, v[12:13]
	s_waitcnt lgkmcnt(0)
	v_max_f32_e32 v14, v17, v17
	v_max_f32_e32 v56, v16, v14
	v_sub_f32_e32 v10, v10, v56
	v_mul_f32_e32 v10, 0x3fb8aa3b, v10
	v_exp_f32_e32 v38, v10
	v_sub_f32_e32 v10, v11, v56
	v_mul_f32_e32 v10, 0x3fb8aa3b, v10
	v_exp_f32_e32 v39, v10
	global_load_dwordx4 v[14:17], v[12:13], off
	s_nop 0
	global_load_dwordx4 v[10:13], v[12:13], off offset:16
	v_sub_f32_e32 v48, v48, v56
	v_mul_f32_e32 v48, 0x3fb8aa3b, v48
	v_sub_f32_e32 v49, v49, v56
	v_exp_f32_e32 v48, v48
	v_mul_f32_e32 v49, 0x3fb8aa3b, v49
	v_sub_f32_e32 v40, v40, v56
	v_exp_f32_e32 v49, v49
	v_mul_f32_e32 v40, 0x3fb8aa3b, v40
	v_sub_f32_e32 v41, v41, v56
	v_cndmask_b32_e64 v38, 0, v38, s[4:5]
	v_exp_f32_e32 v40, v40
	v_mul_f32_e32 v41, 0x3fb8aa3b, v41
	v_sub_f32_e32 v50, v50, v56
	v_add_f32_e32 v57, 0, v38
	v_cndmask_b32_e64 v39, 0, v39, s[34:35]
	v_exp_f32_e32 v41, v41
	v_mul_f32_e32 v50, 0x3fb8aa3b, v50
	v_sub_f32_e32 v51, v51, v56
	v_add_f32_e32 v57, v57, v39
	;; [unrolled: 5-line block ×10, first 2 shown]
	v_cndmask_b32_e64 v46, 0, v46, s[12:13]
	v_exp_f32_e32 v36, v36
	v_mul_f32_e32 v37, 0x3fb8aa3b, v37
	v_add_f32_e32 v57, v57, v46
	v_cndmask_b32_e64 v47, 0, v47, s[14:15]
	v_exp_f32_e32 v37, v37
	v_add_f32_e32 v57, v57, v47
	v_cndmask_b32_e64 v42, 0, v42, s[8:9]
	v_add_f32_e32 v57, v57, v42
	v_cndmask_b32_e64 v43, 0, v43, s[10:11]
	v_add_f32_e32 v57, v57, v43
	v_cndmask_b32_e32 v36, 0, v36, vcc
	v_add_f32_e32 v57, v57, v36
	v_cndmask_b32_e64 v37, 0, v37, s[6:7]
	v_add_f32_e32 v57, v57, v37
	ds_bpermute_b32 v58, v58, v57
	v_cmp_gt_u32_e32 vcc, 16, v54
	s_waitcnt lgkmcnt(0)
	s_barrier
	v_add_f32_e32 v57, v57, v58
	ds_bpermute_b32 v58, v59, v57
	s_and_saveexec_b64 s[4:5], vcc
	s_cbranch_execz .LBB483_13
; %bb.12:
	s_waitcnt lgkmcnt(0)
	v_add_f32_e32 v54, v57, v58
	v_lshl_or_b32 v57, v53, 6, v55
	ds_write2st64_b32 v57, v56, v54 offset1:1
.LBB483_13:
	s_or_b64 exec, exec, s[4:5]
	s_load_dword s6, s[0:1], 0x94
	s_waitcnt lgkmcnt(0)
	s_barrier
	ds_read2_b32 v[56:57], v55 offset1:16
	ds_read2_b32 v[58:59], v55 offset0:32 offset1:48
	ds_read2_b32 v[60:61], v55 offset0:64 offset1:80
	s_movk_i32 s8, 0x7fff
	s_mov_b32 s9, 0x7060302
	s_waitcnt lgkmcnt(2)
	v_max3_f32 v54, v56, s42, v57
	s_waitcnt lgkmcnt(1)
	v_max3_f32 v54, v54, v58, v59
	v_sub_f32_e32 v56, v56, v54
	v_mul_f32_e32 v56, 0x3fb8aa3b, v56
	v_exp_f32_e32 v62, v56
	v_sub_f32_e32 v56, v57, v54
	v_mul_f32_e32 v56, 0x3fb8aa3b, v56
	v_exp_f32_e32 v63, v56
	;; [unrolled: 3-line block ×3, first 2 shown]
	ds_read2_b32 v[56:57], v55 offset0:96 offset1:112
	v_sub_f32_e32 v55, v59, v54
	v_mul_f32_e32 v55, 0x3fb8aa3b, v55
	v_exp_f32_e32 v59, v55
	s_waitcnt lgkmcnt(1)
	v_fma_f32 v55, v62, v60, 0
	v_fmac_f32_e32 v55, v63, v61
	s_waitcnt lgkmcnt(0)
	v_fmac_f32_e32 v55, v58, v56
	v_fmac_f32_e32 v55, v59, v57
	v_add_f32_e32 v56, 0x358637bd, v55
	v_div_scale_f32 v57, s[4:5], v56, v56, 1.0
	v_rcp_f32_e32 v60, v57
	s_barrier
	v_fma_f32 v61, -v57, v60, 1.0
	v_fmac_f32_e32 v60, v61, v60
	v_div_scale_f32 v61, vcc, 1.0, v56, 1.0
	v_mul_f32_e32 v64, v61, v60
	v_fma_f32 v65, -v57, v64, v61
	v_fmac_f32_e32 v64, v65, v60
	v_fma_f32 v57, -v57, v64, v61
	v_div_fmas_f32 v57, v57, v60, v64
	v_cmp_eq_u32_e32 vcc, 1, v53
	v_div_fixup_f32 v56, v57, v56, 1.0
	s_lshl_b32 s7, s33, 3
	v_cndmask_b32_e32 v57, v62, v63, vcc
	v_cmp_eq_u32_e32 vcc, 2, v53
	s_nop 1
	v_cndmask_b32_e32 v57, v57, v58, vcc
	v_cmp_eq_u32_e32 vcc, 3, v53
	s_nop 1
	v_cndmask_b32_e32 v57, v57, v59, vcc
	v_mul_f32_e32 v56, v57, v56
	v_pk_mul_f32 v[38:39], v[56:57], v[38:39] op_sel_hi:[0,1]
	v_pk_mul_f32 v[48:49], v[56:57], v[48:49] op_sel_hi:[0,1]
	v_bfe_u32 v57, v39, 16, 1
	v_bfe_u32 v58, v38, 16, 1
	v_add3_u32 v38, v38, v58, s8
	v_add3_u32 v39, v39, v57, s8
	v_perm_b32 v58, v39, v38, s9
	v_bfe_u32 v38, v49, 16, 1
	v_bfe_u32 v39, v48, 16, 1
	v_add3_u32 v39, v48, v39, s8
	v_add3_u32 v38, v49, v38, s8
	v_perm_b32 v59, v38, v39, s9
	v_lshlrev_b32_e32 v38, 3, v1
	v_lshlrev_b32_e32 v39, 11, v53
	v_pk_mul_f32 v[40:41], v[56:57], v[40:41] op_sel_hi:[0,1]
	v_or3_b32 v38, v39, v35, v38
	v_pk_mul_f32 v[48:49], v[56:57], v[50:51] op_sel_hi:[0,1]
	v_bfe_u32 v39, v41, 16, 1
	v_bfe_u32 v50, v40, 16, 1
	v_add3_u32 v40, v40, v50, s8
	v_add3_u32 v39, v41, v39, s8
	v_perm_b32 v40, v39, v40, s9
	v_bfe_u32 v39, v49, 16, 1
	v_bfe_u32 v41, v48, 16, 1
	v_add3_u32 v41, v48, v41, s8
	v_add3_u32 v39, v49, v39, s8
	v_perm_b32 v41, v39, v41, s9
	v_pk_mul_f32 v[44:45], v[56:57], v[44:45] op_sel_hi:[0,1]
	ds_write2st64_b64 v38, v[58:59], v[40:41] offset1:1
	v_pk_mul_f32 v[40:41], v[56:57], v[46:47] op_sel_hi:[0,1]
	v_bfe_u32 v39, v45, 16, 1
	v_bfe_u32 v46, v44, 16, 1
	v_add3_u32 v44, v44, v46, s8
	v_add3_u32 v39, v45, v39, s8
	v_perm_b32 v44, v39, v44, s9
	v_bfe_u32 v39, v41, 16, 1
	v_bfe_u32 v45, v40, 16, 1
	v_add3_u32 v40, v40, v45, s8
	v_add3_u32 v39, v41, v39, s8
	v_perm_b32 v45, v39, v40, s9
	v_pk_mul_f32 v[40:41], v[56:57], v[42:43] op_sel_hi:[0,1]
	v_bfe_u32 v39, v41, 16, 1
	v_bfe_u32 v42, v40, 16, 1
	v_pk_mul_f32 v[36:37], v[56:57], v[36:37] op_sel_hi:[0,1]
	v_add3_u32 v40, v40, v42, s8
	v_add3_u32 v39, v41, v39, s8
	v_perm_b32 v40, v39, v40, s9
	v_bfe_u32 v39, v37, 16, 1
	v_bfe_u32 v41, v36, 16, 1
	v_add3_u32 v36, v36, v41, s8
	v_add3_u32 v37, v37, v39, s8
	v_perm_b32 v41, v37, v36, s9
	v_cmp_gt_u32_e32 vcc, 8, v0
	ds_write2st64_b64 v38, v[44:45], v[40:41] offset0:2 offset1:3
	s_and_saveexec_b64 s[4:5], vcc
	s_cbranch_execz .LBB483_15
; %bb.14:
	v_or_b32_e32 v36, s29, v0
	v_mov_b32_e32 v37, 0
	v_mov_b32_e32 v39, s7
	v_mad_u64_u32 v[40:41], s[10:11], s2, v39, v[36:37]
	v_mov_b32_e32 v36, s28
	s_load_dwordx4 s[12:15], s[0:1], 0x58
	s_mul_i32 s3, s3, s7
	v_mad_u64_u32 v[36:37], s[10:11], v40, s6, v[36:37]
	v_add_u32_e32 v39, s3, v41
	v_mov_b32_e32 v40, v37
	v_mad_u64_u32 v[40:41], s[10:11], v39, s6, v[40:41]
	v_mov_b32_e32 v37, v40
	v_lshlrev_b64 v[36:37], 2, v[36:37]
	s_waitcnt lgkmcnt(0)
	v_lshl_add_u64 v[40:41], s[14:15], 0, v[36:37]
	v_lshl_add_u64 v[36:37], s[12:13], 0, v[36:37]
	global_store_dword v[40:41], v54, off
	global_store_dword v[36:37], v55, off
.LBB483_15:
	s_or_b64 exec, exec, s[4:5]
	v_lshl_or_b32 v35, v1, 9, v35
	s_waitcnt lgkmcnt(0)
	s_barrier
	ds_read_b128 v[40:43], v35
	ds_read_b128 v[44:47], v35 offset:16
	s_waitcnt vmcnt(7) lgkmcnt(1)
	v_mfma_f32_16x16x16_bf16 v[48:51], v[6:7], v[40:41], 0
	v_cmp_gt_u32_e32 vcc, 64, v0
	s_mov_b32 s3, 0
	s_and_b64 s[4:5], vcc, s[30:31]
	v_mfma_f32_16x16x16_bf16 v[6:9], v[8:9], v[42:43], v[48:51]
	s_waitcnt vmcnt(6) lgkmcnt(0)
	v_mfma_f32_16x16x16_bf16 v[6:9], v[2:3], v[44:45], v[6:9]
	v_mfma_f32_16x16x16_bf16 v[2:5], v[4:5], v[46:47], v[6:9]
	s_nop 5
	ds_read_b128 v[6:9], v35 offset:2048
	ds_read_b128 v[40:43], v35 offset:2064
	s_waitcnt vmcnt(5) lgkmcnt(1)
	v_mfma_f32_16x16x16_bf16 v[2:5], v[30:31], v[6:7], v[2:5]
	v_mfma_f32_16x16x16_bf16 v[2:5], v[32:33], v[8:9], v[2:5]
	s_waitcnt vmcnt(4) lgkmcnt(0)
	v_mfma_f32_16x16x16_bf16 v[2:5], v[26:27], v[40:41], v[2:5]
	v_mfma_f32_16x16x16_bf16 v[2:5], v[28:29], v[42:43], v[2:5]
	ds_read_b128 v[6:9], v35 offset:4096
	ds_read_b128 v[26:29], v35 offset:4112
	s_waitcnt vmcnt(3) lgkmcnt(1)
	v_mfma_f32_16x16x16_bf16 v[2:5], v[22:23], v[6:7], v[2:5]
	v_mfma_f32_16x16x16_bf16 v[2:5], v[24:25], v[8:9], v[2:5]
	s_waitcnt vmcnt(2) lgkmcnt(0)
	v_mfma_f32_16x16x16_bf16 v[2:5], v[18:19], v[26:27], v[2:5]
	v_mfma_f32_16x16x16_bf16 v[2:5], v[20:21], v[28:29], v[2:5]
	ds_read_b128 v[6:9], v35 offset:6144
	ds_read_b128 v[18:21], v35 offset:6160
	v_mov_b32_e32 v35, 0
	s_waitcnt vmcnt(1) lgkmcnt(0)
	v_mfma_f32_16x16x16_bf16 v[2:5], v[14:15], v[6:7], v[2:5]
	s_barrier
	v_mfma_f32_16x16x16_bf16 v[2:5], v[16:17], v[8:9], v[2:5]
	s_waitcnt vmcnt(0)
	v_mfma_f32_16x16x16_bf16 v[2:5], v[10:11], v[18:19], v[2:5]
	v_mfma_f32_16x16x16_bf16 v[2:5], v[12:13], v[20:21], v[2:5]
	s_nop 6
	v_bfe_u32 v6, v3, 16, 1
	v_bfe_u32 v7, v2, 16, 1
	;; [unrolled: 1-line block ×4, first 2 shown]
	v_add3_u32 v2, v2, v7, s8
	v_add3_u32 v3, v3, v6, s8
	;; [unrolled: 1-line block ×4, first 2 shown]
	v_perm_b32 v2, v3, v2, s9
	v_perm_b32 v3, v5, v4, s9
	ds_write_b64 v38, v[2:3]
	s_waitcnt lgkmcnt(0)
	s_barrier
	s_and_saveexec_b64 s[8:9], s[4:5]
	s_cbranch_execz .LBB483_17
; %bb.16:
	s_load_dwordx2 s[0:1], s[0:1], 0x68
	s_lshl_b32 s6, s6, 6
	s_mul_i32 s2, s7, s2
	s_mul_hi_u32 s5, s2, s6
	s_mul_i32 s4, s2, s6
	s_lshl_b64 s[4:5], s[4:5], 1
	v_lshlrev_b32_e32 v0, 10, v0
	s_waitcnt lgkmcnt(0)
	s_add_u32 s4, s0, s4
	v_and_b32_e32 v0, 0x1800, v0
	v_lshlrev_b32_e32 v2, 5, v1
	v_and_b32_e32 v3, 16, v52
	s_addc_u32 s5, s1, s5
	s_lshl_b32 s2, s28, 6
	v_or3_b32 v0, v0, v2, v3
	s_lshl_b64 s[0:1], s[2:3], 1
	ds_read_b128 v[2:5], v0
	ds_read_b128 v[6:9], v0 offset:128
	s_add_u32 s0, s4, s0
	s_addc_u32 s1, s5, s1
	v_or_b32_e32 v12, s29, v1
	v_lshl_add_u64 v[10:11], s[0:1], 0, v[34:35]
	v_mad_u64_u32 v[0:1], s[0:1], v12, s6, 0
	v_lshl_add_u64 v[0:1], v[0:1], 1, v[10:11]
	s_waitcnt lgkmcnt(1)
	global_store_dwordx4 v[0:1], v[2:5], off
	v_or_b32_e32 v0, 4, v12
	v_mad_u64_u32 v[0:1], s[0:1], v0, s6, 0
	v_lshl_add_u64 v[0:1], v[0:1], 1, v[10:11]
	s_waitcnt lgkmcnt(0)
	global_store_dwordx4 v[0:1], v[6:9], off
.LBB483_17:
	s_endpgm
	.section	.rodata,"a",@progbits
	.p2align	6, 0x0
	.amdhsa_kernel _Z39paged_attention_ll4mi_QKV_mfma16_kernelI14__hip_bfloat16S0_LN4vllm18Fp8KVCacheDataTypeE0ES0_Li16ELi64ELi256ELb0ELi8EEvPKT_PKT0_S8_ifPKiSA_SA_iPKfiiiPfSD_PS3_PT2_iSC_SC_
		.amdhsa_group_segment_fixed_size 8192
		.amdhsa_private_segment_fixed_size 0
		.amdhsa_kernarg_size 400
		.amdhsa_user_sgpr_count 2
		.amdhsa_user_sgpr_dispatch_ptr 0
		.amdhsa_user_sgpr_queue_ptr 0
		.amdhsa_user_sgpr_kernarg_segment_ptr 1
		.amdhsa_user_sgpr_dispatch_id 0
		.amdhsa_user_sgpr_kernarg_preload_length 0
		.amdhsa_user_sgpr_kernarg_preload_offset 0
		.amdhsa_user_sgpr_private_segment_size 0
		.amdhsa_uses_dynamic_stack 0
		.amdhsa_enable_private_segment 0
		.amdhsa_system_sgpr_workgroup_id_x 1
		.amdhsa_system_sgpr_workgroup_id_y 1
		.amdhsa_system_sgpr_workgroup_id_z 1
		.amdhsa_system_sgpr_workgroup_info 0
		.amdhsa_system_vgpr_workitem_id 0
		.amdhsa_next_free_vgpr 69
		.amdhsa_next_free_sgpr 48
		.amdhsa_accum_offset 72
		.amdhsa_reserve_vcc 1
		.amdhsa_float_round_mode_32 0
		.amdhsa_float_round_mode_16_64 0
		.amdhsa_float_denorm_mode_32 3
		.amdhsa_float_denorm_mode_16_64 3
		.amdhsa_dx10_clamp 1
		.amdhsa_ieee_mode 1
		.amdhsa_fp16_overflow 0
		.amdhsa_tg_split 0
		.amdhsa_exception_fp_ieee_invalid_op 0
		.amdhsa_exception_fp_denorm_src 0
		.amdhsa_exception_fp_ieee_div_zero 0
		.amdhsa_exception_fp_ieee_overflow 0
		.amdhsa_exception_fp_ieee_underflow 0
		.amdhsa_exception_fp_ieee_inexact 0
		.amdhsa_exception_int_div_zero 0
	.end_amdhsa_kernel
	.section	.text._Z39paged_attention_ll4mi_QKV_mfma16_kernelI14__hip_bfloat16S0_LN4vllm18Fp8KVCacheDataTypeE0ES0_Li16ELi64ELi256ELb0ELi8EEvPKT_PKT0_S8_ifPKiSA_SA_iPKfiiiPfSD_PS3_PT2_iSC_SC_,"axG",@progbits,_Z39paged_attention_ll4mi_QKV_mfma16_kernelI14__hip_bfloat16S0_LN4vllm18Fp8KVCacheDataTypeE0ES0_Li16ELi64ELi256ELb0ELi8EEvPKT_PKT0_S8_ifPKiSA_SA_iPKfiiiPfSD_PS3_PT2_iSC_SC_,comdat
.Lfunc_end483:
	.size	_Z39paged_attention_ll4mi_QKV_mfma16_kernelI14__hip_bfloat16S0_LN4vllm18Fp8KVCacheDataTypeE0ES0_Li16ELi64ELi256ELb0ELi8EEvPKT_PKT0_S8_ifPKiSA_SA_iPKfiiiPfSD_PS3_PT2_iSC_SC_, .Lfunc_end483-_Z39paged_attention_ll4mi_QKV_mfma16_kernelI14__hip_bfloat16S0_LN4vllm18Fp8KVCacheDataTypeE0ES0_Li16ELi64ELi256ELb0ELi8EEvPKT_PKT0_S8_ifPKiSA_SA_iPKfiiiPfSD_PS3_PT2_iSC_SC_
                                        ; -- End function
	.section	.AMDGPU.csdata,"",@progbits
; Kernel info:
; codeLenInByte = 3980
; NumSgprs: 54
; NumVgprs: 69
; NumAgprs: 0
; TotalNumVgprs: 69
; ScratchSize: 0
; MemoryBound: 0
; FloatMode: 240
; IeeeMode: 1
; LDSByteSize: 8192 bytes/workgroup (compile time only)
; SGPRBlocks: 6
; VGPRBlocks: 8
; NumSGPRsForWavesPerEU: 54
; NumVGPRsForWavesPerEU: 69
; AccumOffset: 72
; Occupancy: 7
; WaveLimiterHint : 1
; COMPUTE_PGM_RSRC2:SCRATCH_EN: 0
; COMPUTE_PGM_RSRC2:USER_SGPR: 2
; COMPUTE_PGM_RSRC2:TRAP_HANDLER: 0
; COMPUTE_PGM_RSRC2:TGID_X_EN: 1
; COMPUTE_PGM_RSRC2:TGID_Y_EN: 1
; COMPUTE_PGM_RSRC2:TGID_Z_EN: 1
; COMPUTE_PGM_RSRC2:TIDIG_COMP_CNT: 0
; COMPUTE_PGM_RSRC3_GFX90A:ACCUM_OFFSET: 17
; COMPUTE_PGM_RSRC3_GFX90A:TG_SPLIT: 0
	.section	.text._Z39paged_attention_ll4mi_QKV_mfma16_kernelI14__hip_bfloat16S0_LN4vllm18Fp8KVCacheDataTypeE0ES0_Li16ELi64ELi256ELb0ELi9EEvPKT_PKT0_S8_ifPKiSA_SA_iPKfiiiPfSD_PS3_PT2_iSC_SC_,"axG",@progbits,_Z39paged_attention_ll4mi_QKV_mfma16_kernelI14__hip_bfloat16S0_LN4vllm18Fp8KVCacheDataTypeE0ES0_Li16ELi64ELi256ELb0ELi9EEvPKT_PKT0_S8_ifPKiSA_SA_iPKfiiiPfSD_PS3_PT2_iSC_SC_,comdat
	.protected	_Z39paged_attention_ll4mi_QKV_mfma16_kernelI14__hip_bfloat16S0_LN4vllm18Fp8KVCacheDataTypeE0ES0_Li16ELi64ELi256ELb0ELi9EEvPKT_PKT0_S8_ifPKiSA_SA_iPKfiiiPfSD_PS3_PT2_iSC_SC_ ; -- Begin function _Z39paged_attention_ll4mi_QKV_mfma16_kernelI14__hip_bfloat16S0_LN4vllm18Fp8KVCacheDataTypeE0ES0_Li16ELi64ELi256ELb0ELi9EEvPKT_PKT0_S8_ifPKiSA_SA_iPKfiiiPfSD_PS3_PT2_iSC_SC_
	.globl	_Z39paged_attention_ll4mi_QKV_mfma16_kernelI14__hip_bfloat16S0_LN4vllm18Fp8KVCacheDataTypeE0ES0_Li16ELi64ELi256ELb0ELi9EEvPKT_PKT0_S8_ifPKiSA_SA_iPKfiiiPfSD_PS3_PT2_iSC_SC_
	.p2align	8
	.type	_Z39paged_attention_ll4mi_QKV_mfma16_kernelI14__hip_bfloat16S0_LN4vllm18Fp8KVCacheDataTypeE0ES0_Li16ELi64ELi256ELb0ELi9EEvPKT_PKT0_S8_ifPKiSA_SA_iPKfiiiPfSD_PS3_PT2_iSC_SC_,@function
_Z39paged_attention_ll4mi_QKV_mfma16_kernelI14__hip_bfloat16S0_LN4vllm18Fp8KVCacheDataTypeE0ES0_Li16ELi64ELi256ELb0ELi9EEvPKT_PKT0_S8_ifPKiSA_SA_iPKfiiiPfSD_PS3_PT2_iSC_SC_: ; @_Z39paged_attention_ll4mi_QKV_mfma16_kernelI14__hip_bfloat16S0_LN4vllm18Fp8KVCacheDataTypeE0ES0_Li16ELi64ELi256ELb0ELi9EEvPKT_PKT0_S8_ifPKiSA_SA_iPKfiiiPfSD_PS3_PT2_iSC_SC_
; %bb.0:
	s_load_dwordx2 s[12:13], s[0:1], 0x30
	s_mov_b32 s28, s3
	s_mov_b64 s[6:7], 0
	s_waitcnt lgkmcnt(0)
	s_cmp_lg_u64 s[12:13], 0
	s_cselect_b64 s[14:15], -1, 0
	s_and_b64 vcc, exec, s[14:15]
	s_cbranch_vccz .LBB484_7
; %bb.1:
	s_add_i32 s8, s2, 1
	s_mov_b32 s9, 0
	s_lshl_b64 s[10:11], s[8:9], 2
	s_add_u32 s10, s12, s10
	s_mov_b32 s3, s9
	s_addc_u32 s11, s13, s11
	s_lshl_b64 s[8:9], s[2:3], 2
	s_add_u32 s8, s12, s8
	s_addc_u32 s9, s13, s9
	s_load_dword s5, s[10:11], 0x0
	s_load_dword s16, s[8:9], 0x0
	s_waitcnt lgkmcnt(0)
	s_sub_i32 s5, s5, s16
	s_cmp_eq_u32 s5, 1
	s_cselect_b64 s[8:9], -1, 0
	s_andn2_b64 vcc, exec, s[6:7]
	s_cbranch_vccnz .LBB484_3
.LBB484_2:
	s_mov_b32 s3, 0
	s_mov_b64 s[8:9], -1
.LBB484_3:
	s_andn2_b64 vcc, exec, s[8:9]
	s_cbranch_vccnz .LBB484_18
; %bb.4:
	s_load_dwordx2 s[6:7], s[0:1], 0x28
	s_lshl_b64 s[16:17], s[2:3], 2
	s_waitcnt lgkmcnt(0)
	s_add_u32 s6, s6, s16
	s_addc_u32 s7, s7, s17
	s_load_dword s33, s[6:7], 0x0
	s_lshl_b32 s18, s28, 8
	s_waitcnt lgkmcnt(0)
	s_cmp_ge_i32 s18, s33
	s_cbranch_scc1 .LBB484_18
; %bb.5:
	s_load_dwordx2 s[6:7], s[0:1], 0x20
	s_load_dword s5, s[0:1], 0x38
	s_add_i32 s8, s33, 15
	s_ashr_i32 s9, s8, 31
	v_and_b32_e32 v1, 0xcf, v0
	s_lshr_b32 s9, s9, 28
	v_add_u32_e32 v1, s18, v1
	s_add_i32 s8, s8, s9
	v_ashrrev_i32_e32 v2, 31, v1
	s_ashr_i32 s19, s8, 4
	v_lshrrev_b32_e32 v6, 28, v2
	s_add_i32 s19, s19, -1
	s_waitcnt lgkmcnt(0)
	s_mul_i32 s8, s2, s5
	s_mov_b32 s9, 0
	v_add_u32_e32 v2, v1, v6
	s_lshl_b64 s[8:9], s[8:9], 2
	v_ashrrev_i32_e32 v2, 4, v2
	v_mov_b32_e32 v7, s19
	v_cmp_gt_i32_e32 vcc, s33, v1
	s_add_u32 s6, s6, s8
	s_addc_u32 s7, s7, s9
	v_cndmask_b32_e32 v2, v7, v2, vcc
	v_ashrrev_i32_e32 v3, 31, v2
	v_lshl_add_u64 v[4:5], v[2:3], 2, s[6:7]
	v_or_b32_e32 v2, 16, v1
	v_add_u32_e32 v3, v2, v6
	v_ashrrev_i32_e32 v3, 4, v3
	v_cmp_gt_i32_e32 vcc, s33, v2
	s_load_dwordx4 s[8:11], s[0:1], 0x8
	s_nop 0
	v_cndmask_b32_e32 v2, v7, v3, vcc
	v_ashrrev_i32_e32 v3, 31, v2
	v_lshl_add_u64 v[8:9], v[2:3], 2, s[6:7]
	v_or_b32_e32 v2, 32, v1
	v_add_u32_e32 v3, v2, v6
	v_ashrrev_i32_e32 v3, 4, v3
	v_cmp_gt_i32_e32 vcc, s33, v2
	v_or_b32_e32 v1, 48, v1
	s_nop 0
	v_cndmask_b32_e32 v2, v7, v3, vcc
	v_ashrrev_i32_e32 v3, 31, v2
	v_lshl_add_u64 v[12:13], v[2:3], 2, s[6:7]
	v_add_u32_e32 v2, v1, v6
	v_ashrrev_i32_e32 v2, 4, v2
	v_cmp_gt_i32_e32 vcc, s33, v1
	s_nop 1
	v_cndmask_b32_e32 v2, v7, v2, vcc
	v_ashrrev_i32_e32 v3, 31, v2
	v_lshl_add_u64 v[14:15], v[2:3], 2, s[6:7]
	global_load_dword v2, v[4:5], off
	global_load_dword v6, v[8:9], off
	;; [unrolled: 1-line block ×4, first 2 shown]
	s_andn2_b64 vcc, exec, s[14:15]
	s_cbranch_vccnz .LBB484_8
; %bb.6:
	s_add_u32 s12, s12, s16
	s_addc_u32 s13, s13, s17
	s_load_dword s5, s[12:13], 0x0
	s_branch .LBB484_9
.LBB484_7:
	s_mov_b64 s[8:9], 0
	s_branch .LBB484_2
.LBB484_8:
	s_mov_b32 s5, s2
.LBB484_9:
	s_load_dwordx4 s[44:47], s[0:1], 0x48
	v_lshrrev_b32_e32 v37, 6, v0
	v_bfe_u32 v54, v0, 4, 2
	v_lshl_or_b32 v1, v37, 2, v54
	v_and_b32_e32 v36, 15, v0
	v_lshlrev_b32_e32 v3, 3, v36
	v_cmp_gt_u32_e32 vcc, 9, v1
	v_cmp_gt_u32_e64 s[30:31], 8, v36
	v_and_b32_e32 v55, 63, v0
	s_mul_i32 s42, s4, 9
	s_and_b64 s[14:15], s[30:31], vcc
	v_lshlrev_b32_e32 v34, 1, v3
	s_and_saveexec_b64 s[12:13], s[14:15]
	s_cbranch_execz .LBB484_11
; %bb.10:
	s_load_dwordx2 s[14:15], s[0:1], 0x0
	s_waitcnt lgkmcnt(0)
	s_ashr_i32 s16, s44, 31
	s_mul_hi_u32 s17, s5, s44
	s_mul_i32 s16, s5, s16
	s_add_i32 s17, s17, s16
	s_mul_i32 s16, s5, s44
	s_lshl_b64 s[16:17], s[16:17], 1
	s_add_u32 s14, s14, s16
	v_add_lshl_u32 v4, v1, s42, 6
	s_addc_u32 s15, s15, s17
	v_ashrrev_i32_e32 v5, 31, v4
	v_lshl_add_u64 v[4:5], v[4:5], 1, s[14:15]
	v_mov_b32_e32 v35, 0
	v_lshl_add_u64 v[4:5], v[4:5], 0, v[34:35]
	global_load_dwordx4 v[12:15], v[4:5], off
	v_and_b32_e32 v3, 3, v0
	v_lshlrev_b32_e32 v4, 9, v36
	v_lshlrev_b32_e32 v1, 5, v1
	;; [unrolled: 1-line block ×3, first 2 shown]
	v_and_b32_e32 v4, 0x1800, v4
	v_or3_b32 v1, v4, v3, v1
	s_waitcnt vmcnt(0)
	ds_write_b128 v1, v[12:15]
.LBB484_11:
	s_or_b64 exec, exec, s[12:13]
	s_waitcnt lgkmcnt(0)
	s_mul_i32 s4, s4, s46
	s_mov_b32 s5, 0
	s_lshl_b64 s[4:5], s[4:5], 1
	s_add_u32 s8, s8, s4
	v_lshlrev_b32_e32 v1, 4, v0
	s_addc_u32 s9, s9, s5
	v_and_b32_e32 v30, 0xf0, v1
	v_mov_b32_e32 v31, 0
	v_lshl_add_u64 v[18:19], s[8:9], 0, v[30:31]
	s_waitcnt vmcnt(3)
	v_mad_i64_i32 v[2:3], s[8:9], v2, s45, 0
	v_lshl_add_u64 v[2:3], v[2:3], 1, v[18:19]
	v_and_b32_e32 v30, 0x300, v1
	v_lshl_add_u64 v[14:15], v[2:3], 0, v[30:31]
	s_load_dword s29, s[0:1], 0x98
	s_load_dword s12, s[0:1], 0x1c
	s_waitcnt lgkmcnt(0)
	s_barrier
	global_load_dwordx4 v[2:5], v[14:15], off
	global_load_dwordx4 v[26:29], v[14:15], off offset:1024
	s_waitcnt vmcnt(3)
	v_mad_i64_i32 v[10:11], s[8:9], v10, s45, 0
	v_lshl_add_u64 v[10:11], v[10:11], 1, v[18:19]
	v_lshl_add_u64 v[38:39], v[10:11], 0, v[30:31]
	global_load_dwordx4 v[10:13], v[38:39], off
	global_load_dwordx4 v[56:59], v[38:39], off offset:1024
	v_mad_i64_i32 v[6:7], s[8:9], v6, s45, 0
	v_lshl_add_u64 v[6:7], v[6:7], 1, v[18:19]
	v_lshl_add_u64 v[32:33], v[6:7], 0, v[30:31]
	global_load_dwordx4 v[6:9], v[32:33], off
	global_load_dwordx4 v[46:49], v[32:33], off offset:1024
	s_waitcnt vmcnt(6)
	v_mad_i64_i32 v[16:17], s[8:9], v16, s45, 0
	v_lshl_add_u64 v[16:17], v[16:17], 1, v[18:19]
	v_lshl_add_u64 v[40:41], v[16:17], 0, v[30:31]
	global_load_dwordx4 v[18:21], v[40:41], off
	v_add_u32_e32 v16, -9, v36
	v_cmp_gt_u32_e32 vcc, 9, v36
	global_load_dwordx4 v[38:41], v[40:41], off offset:1024
	v_and_or_b32 v30, v0, 48, s18
	v_cndmask_b32_e32 v16, v16, v36, vcc
	v_lshlrev_b32_e32 v16, 5, v16
	v_lshl_add_u32 v16, v54, 9, v16
	ds_read_b128 v[22:25], v16
	v_mov_b32_e32 v68, s19
	v_cmp_gt_i32_e32 vcc, s33, v30
	v_or_b32_e32 v32, 64, v30
	ds_read_b128 v[14:17], v16 offset:2048
	v_lshlrev_b32_e32 v35, 5, v36
	s_add_u32 s4, s10, s4
	s_addc_u32 s5, s11, s5
	s_mov_b32 s43, 0xff7fffff
	s_waitcnt vmcnt(7) lgkmcnt(1)
	v_mfma_f32_16x16x16_bf16 v[42:45], v[2:3], v[22:23], 0
	v_ashrrev_i32_e32 v2, 4, v30
	v_cndmask_b32_e32 v2, v68, v2, vcc
	v_ashrrev_i32_e32 v3, 31, v2
	s_waitcnt vmcnt(5)
	v_mfma_f32_16x16x16_bf16 v[60:63], v[10:11], v[22:23], 0
	v_lshl_add_u64 v[10:11], v[2:3], 2, s[6:7]
	v_cmp_gt_i32_e32 vcc, s33, v32
	v_mfma_f32_16x16x16_bf16 v[2:5], v[4:5], v[24:25], v[42:45]
	s_nop 2
	global_load_dword v42, v[10:11], off
	s_waitcnt vmcnt(4)
	v_mfma_f32_16x16x16_bf16 v[50:53], v[6:7], v[22:23], 0
	v_ashrrev_i32_e32 v6, 4, v32
	v_cndmask_b32_e32 v6, v68, v6, vcc
	v_ashrrev_i32_e32 v7, 31, v6
	v_lshl_add_u64 v[10:11], v[6:7], 2, s[6:7]
	global_load_dword v43, v[10:11], off
	s_waitcnt vmcnt(3)
	v_mfma_f32_16x16x16_bf16 v[64:67], v[18:19], v[22:23], 0
	v_or_b32_e32 v22, 0x80, v30
	v_or_b32_e32 v23, 0xc0, v30
	v_ashrrev_i32_e32 v30, 4, v22
	v_cmp_gt_i32_e32 vcc, s33, v22
	v_ashrrev_i32_e32 v32, 4, v23
	v_mfma_f32_16x16x16_bf16 v[6:9], v[8:9], v[24:25], v[50:53]
	v_cndmask_b32_e32 v22, v68, v30, vcc
	v_cmp_gt_i32_e32 vcc, s33, v23
	v_ashrrev_i32_e32 v23, 31, v22
	v_mfma_f32_16x16x16_bf16 v[10:13], v[12:13], v[24:25], v[60:63]
	v_lshl_or_b32 v30, v37, 9, v35
	v_mfma_f32_16x16x16_bf16 v[18:21], v[20:21], v[24:25], v[64:67]
	v_cndmask_b32_e32 v24, v68, v32, vcc
	v_ashrrev_i32_e32 v25, 31, v24
	v_lshl_add_u64 v[32:33], v[24:25], 2, s[6:7]
	s_waitcnt lgkmcnt(0)
	v_mfma_f32_16x16x16_bf16 v[2:5], v[26:27], v[14:15], v[2:5]
	v_lshl_add_u64 v[26:27], v[22:23], 2, s[6:7]
	global_load_dword v60, v[26:27], off
	global_load_dword v61, v[32:33], off
	v_mfma_f32_16x16x16_bf16 v[6:9], v[46:47], v[14:15], v[6:9]
	v_mfma_f32_16x16x16_bf16 v[22:25], v[56:57], v[14:15], v[10:13]
	s_waitcnt vmcnt(4)
	v_mfma_f32_16x16x16_bf16 v[18:21], v[38:39], v[14:15], v[18:21]
	s_nop 0
	v_lshl_add_u64 v[10:11], s[4:5], 0, v[30:31]
	s_waitcnt vmcnt(3)
	v_mad_i64_i32 v[26:27], s[4:5], v42, s45, 0
	v_mfma_f32_16x16x16_bf16 v[12:15], v[28:29], v[16:17], v[2:5]
	v_lshl_add_u64 v[30:31], v[26:27], 1, v[10:11]
	s_waitcnt vmcnt(2)
	v_mad_i64_i32 v[32:33], s[4:5], v43, s45, 0
	v_mfma_f32_16x16x16_bf16 v[26:29], v[48:49], v[16:17], v[6:9]
	s_nop 2
	v_pk_mul_f32 v[50:51], s[12:13], v[14:15] op_sel_hi:[0,1]
	v_pk_mul_f32 v[12:13], s[12:13], v[12:13] op_sel_hi:[0,1]
	v_lshl_add_u64 v[56:57], v[32:33], 1, v[10:11]
	v_mfma_f32_16x16x16_bf16 v[22:25], v[58:59], v[16:17], v[22:25]
	global_load_dwordx4 v[6:9], v[30:31], off
	global_load_dwordx4 v[2:5], v[30:31], off offset:16
	v_pk_mul_f32 v[42:43], s[12:13], v[26:27] op_sel_hi:[0,1]
	v_pk_mul_f32 v[52:53], s[12:13], v[28:29] op_sel_hi:[0,1]
	v_mfma_f32_16x16x16_bf16 v[14:17], v[40:41], v[16:17], v[18:21]
	s_nop 1
	v_pk_mul_f32 v[46:47], s[12:13], v[22:23] op_sel_hi:[0,1]
	v_pk_mul_f32 v[48:49], s[12:13], v[24:25] op_sel_hi:[0,1]
	global_load_dwordx4 v[30:33], v[56:57], off
	global_load_dwordx4 v[26:29], v[56:57], off offset:16
	s_nop 0
	v_pk_mul_f32 v[44:45], s[12:13], v[14:15] op_sel_hi:[0,1]
	v_and_b32_e32 v14, 0xc0, v0
	v_add_u32_e32 v14, s18, v14
	v_lshl_or_b32 v14, v54, 2, v14
	v_pk_mul_f32 v[38:39], s[12:13], v[16:17] op_sel_hi:[0,1]
	v_or_b32_e32 v17, 1, v14
	v_mov_b32_e32 v15, 0xff7fffff
	v_cmp_gt_i32_e64 s[4:5], s33, v14
	v_cmp_gt_i32_e64 s[34:35], s33, v17
	v_or_b32_e32 v18, 3, v14
	v_cndmask_b32_e64 v16, v15, v12, s[4:5]
	v_cndmask_b32_e64 v17, v15, v13, s[34:35]
	v_max3_f32 v16, v16, s43, v17
	v_or_b32_e32 v17, 2, v14
	v_cmp_gt_i32_e64 s[36:37], s33, v17
	v_cmp_gt_i32_e64 s[38:39], s33, v18
	s_nop 0
	v_cndmask_b32_e64 v17, v15, v50, s[36:37]
	v_cndmask_b32_e64 v18, v15, v51, s[38:39]
	v_max3_f32 v16, v16, v17, v18
	v_or_b32_e32 v17, 16, v14
	v_or_b32_e32 v18, 17, v14
	v_cmp_gt_i32_e64 s[24:25], s33, v17
	v_cmp_gt_i32_e64 s[26:27], s33, v18
	s_nop 0
	v_cndmask_b32_e64 v17, v15, v42, s[24:25]
	v_cndmask_b32_e64 v18, v15, v43, s[26:27]
	v_max3_f32 v16, v16, v17, v18
	v_or_b32_e32 v17, 18, v14
	v_or_b32_e32 v18, 19, v14
	v_cmp_gt_i32_e64 s[20:21], s33, v17
	v_cmp_gt_i32_e64 s[22:23], s33, v18
	s_nop 0
	v_cndmask_b32_e64 v17, v15, v52, s[20:21]
	v_cndmask_b32_e64 v18, v15, v53, s[22:23]
	v_max3_f32 v16, v16, v17, v18
	v_or_b32_e32 v17, 32, v14
	v_or_b32_e32 v18, 33, v14
	v_cmp_gt_i32_e64 s[16:17], s33, v17
	v_cmp_gt_i32_e64 s[18:19], s33, v18
	s_nop 0
	v_cndmask_b32_e64 v17, v15, v46, s[16:17]
	v_cndmask_b32_e64 v18, v15, v47, s[18:19]
	v_max3_f32 v16, v16, v17, v18
	v_or_b32_e32 v17, 34, v14
	v_or_b32_e32 v18, 35, v14
	v_cmp_gt_i32_e64 s[12:13], s33, v17
	v_cmp_gt_i32_e64 s[14:15], s33, v18
	s_nop 0
	v_cndmask_b32_e64 v17, v15, v48, s[12:13]
	v_cndmask_b32_e64 v18, v15, v49, s[14:15]
	v_max3_f32 v16, v16, v17, v18
	v_or_b32_e32 v17, 48, v14
	v_or_b32_e32 v18, 49, v14
	v_cmp_gt_i32_e64 s[8:9], s33, v17
	v_cmp_gt_i32_e64 s[10:11], s33, v18
	s_nop 0
	v_cndmask_b32_e64 v17, v15, v44, s[8:9]
	v_cndmask_b32_e64 v18, v15, v45, s[10:11]
	v_max3_f32 v16, v16, v17, v18
	v_or_b32_e32 v17, 50, v14
	v_or_b32_e32 v14, 51, v14
	v_cmp_gt_i32_e32 vcc, s33, v17
	v_cmp_gt_i32_e64 s[6:7], s33, v14
	s_nop 0
	v_cndmask_b32_e32 v17, v15, v38, vcc
	v_cndmask_b32_e64 v14, v15, v39, s[6:7]
	v_max3_f32 v16, v16, v17, v14
	v_mbcnt_lo_u32_b32 v14, -1, 0
	v_mbcnt_hi_u32_b32 v17, -1, v14
	v_and_b32_e32 v14, 64, v17
	v_add_u32_e32 v18, 64, v14
	v_xor_b32_e32 v14, 32, v17
	v_cmp_lt_i32_e64 s[40:41], v14, v18
	s_nop 1
	v_cndmask_b32_e64 v14, v17, v14, s[40:41]
	v_lshlrev_b32_e32 v58, 2, v14
	ds_bpermute_b32 v19, v58, v16
	s_waitcnt vmcnt(5)
	v_mad_i64_i32 v[14:15], s[40:41], v60, s45, 0
	v_lshl_add_u64 v[14:15], v[14:15], 1, v[10:11]
	s_waitcnt lgkmcnt(0)
	v_max_f32_e32 v19, v19, v19
	v_max_f32_e32 v16, v16, v19
	v_xor_b32_e32 v19, 16, v17
	v_cmp_lt_i32_e64 s[40:41], v19, v18
	s_nop 1
	v_cndmask_b32_e64 v17, v17, v19, s[40:41]
	v_lshlrev_b32_e32 v57, 2, v17
	ds_bpermute_b32 v17, v57, v16
	global_load_dwordx4 v[22:25], v[14:15], off
	global_load_dwordx4 v[18:21], v[14:15], off offset:16
	s_waitcnt vmcnt(6)
	v_mad_i64_i32 v[14:15], s[40:41], v61, s45, 0
	v_lshl_add_u64 v[10:11], v[14:15], 1, v[10:11]
	s_waitcnt lgkmcnt(0)
	v_max_f32_e32 v14, v17, v17
	v_max_f32_e32 v56, v16, v14
	v_sub_f32_e32 v12, v12, v56
	v_mul_f32_e32 v12, 0x3fb8aa3b, v12
	v_exp_f32_e32 v40, v12
	v_sub_f32_e32 v12, v13, v56
	v_mul_f32_e32 v12, 0x3fb8aa3b, v12
	v_exp_f32_e32 v41, v12
	global_load_dwordx4 v[14:17], v[10:11], off
	s_nop 0
	global_load_dwordx4 v[10:13], v[10:11], off offset:16
	v_sub_f32_e32 v50, v50, v56
	v_mul_f32_e32 v50, 0x3fb8aa3b, v50
	v_sub_f32_e32 v51, v51, v56
	v_exp_f32_e32 v50, v50
	v_mul_f32_e32 v51, 0x3fb8aa3b, v51
	v_sub_f32_e32 v42, v42, v56
	v_exp_f32_e32 v51, v51
	v_mul_f32_e32 v42, 0x3fb8aa3b, v42
	v_sub_f32_e32 v43, v43, v56
	v_cndmask_b32_e64 v40, 0, v40, s[4:5]
	v_exp_f32_e32 v42, v42
	v_mul_f32_e32 v43, 0x3fb8aa3b, v43
	v_sub_f32_e32 v52, v52, v56
	v_add_f32_e32 v59, 0, v40
	v_cndmask_b32_e64 v41, 0, v41, s[34:35]
	v_exp_f32_e32 v43, v43
	v_mul_f32_e32 v52, 0x3fb8aa3b, v52
	v_sub_f32_e32 v53, v53, v56
	v_add_f32_e32 v59, v59, v41
	;; [unrolled: 5-line block ×10, first 2 shown]
	v_cndmask_b32_e64 v48, 0, v48, s[12:13]
	v_exp_f32_e32 v38, v38
	v_mul_f32_e32 v39, 0x3fb8aa3b, v39
	v_add_f32_e32 v59, v59, v48
	v_cndmask_b32_e64 v49, 0, v49, s[14:15]
	v_exp_f32_e32 v39, v39
	v_add_f32_e32 v59, v59, v49
	v_cndmask_b32_e64 v44, 0, v44, s[8:9]
	v_add_f32_e32 v59, v59, v44
	v_cndmask_b32_e64 v45, 0, v45, s[10:11]
	v_add_f32_e32 v59, v59, v45
	v_cndmask_b32_e32 v38, 0, v38, vcc
	v_add_f32_e32 v59, v59, v38
	v_cndmask_b32_e64 v39, 0, v39, s[6:7]
	v_add_f32_e32 v59, v59, v39
	ds_bpermute_b32 v58, v58, v59
	v_cmp_gt_u32_e64 s[6:7], 16, v55
	s_waitcnt lgkmcnt(0)
	s_barrier
	v_add_f32_e32 v58, v59, v58
	ds_bpermute_b32 v59, v57, v58
	v_lshlrev_b32_e32 v57, 2, v36
	s_and_saveexec_b64 s[4:5], s[6:7]
	s_cbranch_execz .LBB484_13
; %bb.12:
	s_waitcnt lgkmcnt(0)
	v_add_f32_e32 v55, v58, v59
	v_lshl_or_b32 v58, v37, 6, v57
	ds_write2st64_b32 v58, v56, v55 offset1:1
.LBB484_13:
	s_or_b64 exec, exec, s[4:5]
	s_load_dword s8, s[0:1], 0x94
	s_waitcnt lgkmcnt(0)
	s_barrier
	ds_read2_b32 v[58:59], v57 offset1:16
	ds_read2_b32 v[60:61], v57 offset0:32 offset1:48
	ds_read2_b32 v[62:63], v57 offset0:64 offset1:80
	s_movk_i32 s10, 0x7fff
	s_mov_b32 s11, 0x7060302
	s_waitcnt lgkmcnt(2)
	v_max3_f32 v55, v58, s43, v59
	s_waitcnt lgkmcnt(1)
	v_max3_f32 v55, v55, v60, v61
	v_sub_f32_e32 v56, v58, v55
	v_mul_f32_e32 v56, 0x3fb8aa3b, v56
	v_exp_f32_e32 v64, v56
	v_sub_f32_e32 v56, v59, v55
	v_mul_f32_e32 v56, 0x3fb8aa3b, v56
	v_exp_f32_e32 v65, v56
	;; [unrolled: 3-line block ×3, first 2 shown]
	ds_read2_b32 v[58:59], v57 offset0:96 offset1:112
	v_sub_f32_e32 v56, v61, v55
	v_mul_f32_e32 v56, 0x3fb8aa3b, v56
	v_exp_f32_e32 v57, v56
	s_waitcnt lgkmcnt(1)
	v_fma_f32 v56, v64, v62, 0
	v_fmac_f32_e32 v56, v65, v63
	s_waitcnt lgkmcnt(0)
	v_fmac_f32_e32 v56, v60, v58
	v_fmac_f32_e32 v56, v57, v59
	v_add_f32_e32 v58, 0x358637bd, v56
	v_div_scale_f32 v59, s[4:5], v58, v58, 1.0
	v_rcp_f32_e32 v61, v59
	s_barrier
	v_fma_f32 v62, -v59, v61, 1.0
	v_fmac_f32_e32 v61, v62, v61
	v_div_scale_f32 v62, vcc, 1.0, v58, 1.0
	v_mul_f32_e32 v63, v62, v61
	v_fma_f32 v66, -v59, v63, v62
	v_fmac_f32_e32 v63, v66, v61
	v_fma_f32 v59, -v59, v63, v62
	v_div_fmas_f32 v59, v59, v61, v63
	v_cmp_eq_u32_e32 vcc, 1, v37
	v_div_fixup_f32 v58, v59, v58, 1.0
	s_mul_i32 s9, s29, 9
	v_cndmask_b32_e32 v59, v64, v65, vcc
	v_cmp_eq_u32_e32 vcc, 2, v37
	s_nop 1
	v_cndmask_b32_e32 v59, v59, v60, vcc
	v_cmp_eq_u32_e32 vcc, 3, v37
	v_lshlrev_b32_e32 v37, 11, v37
	s_nop 0
	v_cndmask_b32_e32 v57, v59, v57, vcc
	v_mul_f32_e32 v58, v57, v58
	v_pk_mul_f32 v[40:41], v[58:59], v[40:41] op_sel_hi:[0,1]
	v_pk_mul_f32 v[50:51], v[58:59], v[50:51] op_sel_hi:[0,1]
	v_bfe_u32 v57, v41, 16, 1
	v_bfe_u32 v59, v40, 16, 1
	v_add3_u32 v40, v40, v59, s10
	v_add3_u32 v41, v41, v57, s10
	v_perm_b32 v60, v41, v40, s11
	v_bfe_u32 v40, v51, 16, 1
	v_bfe_u32 v41, v50, 16, 1
	v_add3_u32 v41, v50, v41, s10
	v_add3_u32 v40, v51, v40, s10
	v_perm_b32 v61, v40, v41, s11
	v_lshlrev_b32_e32 v40, 3, v54
	v_pk_mul_f32 v[42:43], v[58:59], v[42:43] op_sel_hi:[0,1]
	v_or3_b32 v40, v37, v35, v40
	v_bfe_u32 v37, v43, 16, 1
	v_bfe_u32 v41, v42, 16, 1
	v_pk_mul_f32 v[50:51], v[58:59], v[52:53] op_sel_hi:[0,1]
	v_add3_u32 v41, v42, v41, s10
	v_add3_u32 v37, v43, v37, s10
	v_perm_b32 v42, v37, v41, s11
	v_bfe_u32 v37, v51, 16, 1
	v_bfe_u32 v41, v50, 16, 1
	v_add3_u32 v41, v50, v41, s10
	v_add3_u32 v37, v51, v37, s10
	v_pk_mul_f32 v[46:47], v[58:59], v[46:47] op_sel_hi:[0,1]
	v_perm_b32 v43, v37, v41, s11
	v_bfe_u32 v37, v47, 16, 1
	v_bfe_u32 v41, v46, 16, 1
	ds_write2st64_b64 v40, v[60:61], v[42:43] offset1:1
	v_pk_mul_f32 v[42:43], v[58:59], v[48:49] op_sel_hi:[0,1]
	v_add3_u32 v41, v46, v41, s10
	v_add3_u32 v37, v47, v37, s10
	v_perm_b32 v46, v37, v41, s11
	v_bfe_u32 v37, v43, 16, 1
	v_bfe_u32 v41, v42, 16, 1
	v_add3_u32 v41, v42, v41, s10
	v_add3_u32 v37, v43, v37, s10
	v_pk_mul_f32 v[42:43], v[58:59], v[44:45] op_sel_hi:[0,1]
	v_perm_b32 v47, v37, v41, s11
	v_bfe_u32 v37, v43, 16, 1
	v_bfe_u32 v41, v42, 16, 1
	v_pk_mul_f32 v[38:39], v[58:59], v[38:39] op_sel_hi:[0,1]
	v_add3_u32 v41, v42, v41, s10
	v_add3_u32 v37, v43, v37, s10
	v_perm_b32 v42, v37, v41, s11
	v_bfe_u32 v37, v39, 16, 1
	v_bfe_u32 v41, v38, 16, 1
	v_add3_u32 v38, v38, v41, s10
	v_add3_u32 v37, v39, v37, s10
	v_perm_b32 v43, v37, v38, s11
	v_cmp_gt_u32_e32 vcc, 9, v0
	ds_write2st64_b64 v40, v[46:47], v[42:43] offset0:2 offset1:3
	s_and_saveexec_b64 s[4:5], vcc
	s_cbranch_execz .LBB484_15
; %bb.14:
	s_mov_b32 s43, 0
	v_mov_b32_e32 v37, 0
	v_lshl_add_u64 v[38:39], s[42:43], 0, v[36:37]
	v_mov_b32_e32 v36, s9
	v_mad_u64_u32 v[38:39], s[16:17], s2, v36, v[38:39]
	v_mov_b32_e32 v36, s28
	s_load_dwordx4 s[12:15], s[0:1], 0x58
	s_mul_i32 s3, s3, s9
	v_mad_u64_u32 v[36:37], s[16:17], v38, s8, v[36:37]
	v_add_u32_e32 v39, s3, v39
	v_mov_b32_e32 v38, v37
	v_mad_u64_u32 v[38:39], s[16:17], v39, s8, v[38:39]
	v_mov_b32_e32 v37, v38
	v_lshlrev_b64 v[36:37], 2, v[36:37]
	s_waitcnt lgkmcnt(0)
	v_lshl_add_u64 v[38:39], s[14:15], 0, v[36:37]
	v_lshl_add_u64 v[36:37], s[12:13], 0, v[36:37]
	global_store_dword v[38:39], v55, off
	global_store_dword v[36:37], v56, off
.LBB484_15:
	s_or_b64 exec, exec, s[4:5]
	v_lshl_or_b32 v35, v54, 9, v35
	s_waitcnt lgkmcnt(0)
	s_barrier
	ds_read_b128 v[36:39], v35
	ds_read_b128 v[42:45], v35 offset:16
	s_waitcnt vmcnt(7) lgkmcnt(1)
	v_mfma_f32_16x16x16_bf16 v[46:49], v[6:7], v[36:37], 0
	v_cmp_gt_u32_e32 vcc, 64, v0
	s_mov_b32 s3, 0
	s_and_b64 s[4:5], vcc, s[30:31]
	v_mfma_f32_16x16x16_bf16 v[6:9], v[8:9], v[38:39], v[46:49]
	s_waitcnt vmcnt(6) lgkmcnt(0)
	v_mfma_f32_16x16x16_bf16 v[6:9], v[2:3], v[42:43], v[6:9]
	v_mfma_f32_16x16x16_bf16 v[2:5], v[4:5], v[44:45], v[6:9]
	s_nop 5
	ds_read_b128 v[6:9], v35 offset:2048
	ds_read_b128 v[36:39], v35 offset:2064
	s_waitcnt vmcnt(5) lgkmcnt(1)
	v_mfma_f32_16x16x16_bf16 v[2:5], v[30:31], v[6:7], v[2:5]
	v_mfma_f32_16x16x16_bf16 v[2:5], v[32:33], v[8:9], v[2:5]
	s_waitcnt vmcnt(4) lgkmcnt(0)
	v_mfma_f32_16x16x16_bf16 v[2:5], v[26:27], v[36:37], v[2:5]
	v_mfma_f32_16x16x16_bf16 v[2:5], v[28:29], v[38:39], v[2:5]
	ds_read_b128 v[6:9], v35 offset:4096
	ds_read_b128 v[26:29], v35 offset:4112
	s_waitcnt vmcnt(3) lgkmcnt(1)
	v_mfma_f32_16x16x16_bf16 v[2:5], v[22:23], v[6:7], v[2:5]
	v_mfma_f32_16x16x16_bf16 v[2:5], v[24:25], v[8:9], v[2:5]
	s_waitcnt vmcnt(2) lgkmcnt(0)
	v_mfma_f32_16x16x16_bf16 v[2:5], v[18:19], v[26:27], v[2:5]
	v_mfma_f32_16x16x16_bf16 v[2:5], v[20:21], v[28:29], v[2:5]
	ds_read_b128 v[6:9], v35 offset:6144
	ds_read_b128 v[18:21], v35 offset:6160
	v_mov_b32_e32 v35, 0
	s_waitcnt vmcnt(1) lgkmcnt(0)
	v_mfma_f32_16x16x16_bf16 v[2:5], v[14:15], v[6:7], v[2:5]
	s_barrier
	v_mfma_f32_16x16x16_bf16 v[2:5], v[16:17], v[8:9], v[2:5]
	s_waitcnt vmcnt(0)
	v_mfma_f32_16x16x16_bf16 v[2:5], v[10:11], v[18:19], v[2:5]
	v_mfma_f32_16x16x16_bf16 v[2:5], v[12:13], v[20:21], v[2:5]
	s_nop 6
	v_bfe_u32 v6, v3, 16, 1
	v_bfe_u32 v7, v2, 16, 1
	;; [unrolled: 1-line block ×4, first 2 shown]
	v_add3_u32 v2, v2, v7, s10
	v_add3_u32 v3, v3, v6, s10
	;; [unrolled: 1-line block ×4, first 2 shown]
	v_perm_b32 v2, v3, v2, s11
	v_perm_b32 v3, v5, v4, s11
	ds_write_b64 v40, v[2:3]
	s_waitcnt lgkmcnt(0)
	s_barrier
	s_and_saveexec_b64 s[10:11], s[4:5]
	s_cbranch_execz .LBB484_18
; %bb.16:
	s_load_dwordx2 s[4:5], s[0:1], 0x68
	s_lshl_b32 s0, s8, 6
	s_mul_i32 s1, s9, s2
	s_mul_hi_u32 s9, s1, s0
	s_mul_i32 s8, s1, s0
	v_lshlrev_b32_e32 v0, 10, v0
	s_lshl_b64 s[8:9], s[8:9], 1
	v_and_b32_e32 v0, 0x1800, v0
	v_lshlrev_b32_e32 v2, 5, v54
	v_and_b32_e32 v1, 16, v1
	s_waitcnt lgkmcnt(0)
	s_add_u32 s1, s4, s8
	v_or3_b32 v2, v0, v2, v1
	s_addc_u32 s4, s5, s9
	s_lshl_b32 s2, s28, 6
	s_lshl_b64 s[2:3], s[2:3], 1
	ds_read_b128 v[4:7], v2 offset:128
	ds_read_b128 v[8:11], v2
	s_add_u32 s2, s1, s2
	s_addc_u32 s3, s4, s3
	v_add_u32_e32 v3, s42, v54
	v_lshl_add_u64 v[0:1], s[2:3], 0, v[34:35]
	v_mad_u64_u32 v[12:13], s[2:3], v3, s0, 0
	v_lshl_add_u64 v[12:13], v[12:13], 1, v[0:1]
	v_add_u32_e32 v3, 4, v3
	s_waitcnt lgkmcnt(0)
	global_store_dwordx4 v[12:13], v[8:11], off
	s_nop 1
	v_mad_u64_u32 v[8:9], s[2:3], v3, s0, 0
	v_lshl_add_u64 v[8:9], v[8:9], 1, v[0:1]
	global_store_dwordx4 v[8:9], v[4:7], off
	s_and_b64 exec, exec, s[6:7]
	s_cbranch_execz .LBB484_18
; %bb.17:
	ds_read_b128 v[2:5], v2 offset:256
	v_add3_u32 v6, s42, v54, 8
	v_mad_u64_u32 v[6:7], s[0:1], v6, s0, 0
	v_lshl_add_u64 v[0:1], v[6:7], 1, v[0:1]
	s_waitcnt lgkmcnt(0)
	global_store_dwordx4 v[0:1], v[2:5], off
.LBB484_18:
	s_endpgm
	.section	.rodata,"a",@progbits
	.p2align	6, 0x0
	.amdhsa_kernel _Z39paged_attention_ll4mi_QKV_mfma16_kernelI14__hip_bfloat16S0_LN4vllm18Fp8KVCacheDataTypeE0ES0_Li16ELi64ELi256ELb0ELi9EEvPKT_PKT0_S8_ifPKiSA_SA_iPKfiiiPfSD_PS3_PT2_iSC_SC_
		.amdhsa_group_segment_fixed_size 8192
		.amdhsa_private_segment_fixed_size 0
		.amdhsa_kernarg_size 400
		.amdhsa_user_sgpr_count 2
		.amdhsa_user_sgpr_dispatch_ptr 0
		.amdhsa_user_sgpr_queue_ptr 0
		.amdhsa_user_sgpr_kernarg_segment_ptr 1
		.amdhsa_user_sgpr_dispatch_id 0
		.amdhsa_user_sgpr_kernarg_preload_length 0
		.amdhsa_user_sgpr_kernarg_preload_offset 0
		.amdhsa_user_sgpr_private_segment_size 0
		.amdhsa_uses_dynamic_stack 0
		.amdhsa_enable_private_segment 0
		.amdhsa_system_sgpr_workgroup_id_x 1
		.amdhsa_system_sgpr_workgroup_id_y 1
		.amdhsa_system_sgpr_workgroup_id_z 1
		.amdhsa_system_sgpr_workgroup_info 0
		.amdhsa_system_vgpr_workitem_id 0
		.amdhsa_next_free_vgpr 69
		.amdhsa_next_free_sgpr 48
		.amdhsa_accum_offset 72
		.amdhsa_reserve_vcc 1
		.amdhsa_float_round_mode_32 0
		.amdhsa_float_round_mode_16_64 0
		.amdhsa_float_denorm_mode_32 3
		.amdhsa_float_denorm_mode_16_64 3
		.amdhsa_dx10_clamp 1
		.amdhsa_ieee_mode 1
		.amdhsa_fp16_overflow 0
		.amdhsa_tg_split 0
		.amdhsa_exception_fp_ieee_invalid_op 0
		.amdhsa_exception_fp_denorm_src 0
		.amdhsa_exception_fp_ieee_div_zero 0
		.amdhsa_exception_fp_ieee_overflow 0
		.amdhsa_exception_fp_ieee_underflow 0
		.amdhsa_exception_fp_ieee_inexact 0
		.amdhsa_exception_int_div_zero 0
	.end_amdhsa_kernel
	.section	.text._Z39paged_attention_ll4mi_QKV_mfma16_kernelI14__hip_bfloat16S0_LN4vllm18Fp8KVCacheDataTypeE0ES0_Li16ELi64ELi256ELb0ELi9EEvPKT_PKT0_S8_ifPKiSA_SA_iPKfiiiPfSD_PS3_PT2_iSC_SC_,"axG",@progbits,_Z39paged_attention_ll4mi_QKV_mfma16_kernelI14__hip_bfloat16S0_LN4vllm18Fp8KVCacheDataTypeE0ES0_Li16ELi64ELi256ELb0ELi9EEvPKT_PKT0_S8_ifPKiSA_SA_iPKfiiiPfSD_PS3_PT2_iSC_SC_,comdat
.Lfunc_end484:
	.size	_Z39paged_attention_ll4mi_QKV_mfma16_kernelI14__hip_bfloat16S0_LN4vllm18Fp8KVCacheDataTypeE0ES0_Li16ELi64ELi256ELb0ELi9EEvPKT_PKT0_S8_ifPKiSA_SA_iPKfiiiPfSD_PS3_PT2_iSC_SC_, .Lfunc_end484-_Z39paged_attention_ll4mi_QKV_mfma16_kernelI14__hip_bfloat16S0_LN4vllm18Fp8KVCacheDataTypeE0ES0_Li16ELi64ELi256ELb0ELi9EEvPKT_PKT0_S8_ifPKiSA_SA_iPKfiiiPfSD_PS3_PT2_iSC_SC_
                                        ; -- End function
	.section	.AMDGPU.csdata,"",@progbits
; Kernel info:
; codeLenInByte = 4072
; NumSgprs: 54
; NumVgprs: 69
; NumAgprs: 0
; TotalNumVgprs: 69
; ScratchSize: 0
; MemoryBound: 0
; FloatMode: 240
; IeeeMode: 1
; LDSByteSize: 8192 bytes/workgroup (compile time only)
; SGPRBlocks: 6
; VGPRBlocks: 8
; NumSGPRsForWavesPerEU: 54
; NumVGPRsForWavesPerEU: 69
; AccumOffset: 72
; Occupancy: 7
; WaveLimiterHint : 1
; COMPUTE_PGM_RSRC2:SCRATCH_EN: 0
; COMPUTE_PGM_RSRC2:USER_SGPR: 2
; COMPUTE_PGM_RSRC2:TRAP_HANDLER: 0
; COMPUTE_PGM_RSRC2:TGID_X_EN: 1
; COMPUTE_PGM_RSRC2:TGID_Y_EN: 1
; COMPUTE_PGM_RSRC2:TGID_Z_EN: 1
; COMPUTE_PGM_RSRC2:TIDIG_COMP_CNT: 0
; COMPUTE_PGM_RSRC3_GFX90A:ACCUM_OFFSET: 17
; COMPUTE_PGM_RSRC3_GFX90A:TG_SPLIT: 0
	.section	.text._Z39paged_attention_ll4mi_QKV_mfma16_kernelI14__hip_bfloat16S0_LN4vllm18Fp8KVCacheDataTypeE0ES0_Li16ELi64ELi256ELb0ELi10EEvPKT_PKT0_S8_ifPKiSA_SA_iPKfiiiPfSD_PS3_PT2_iSC_SC_,"axG",@progbits,_Z39paged_attention_ll4mi_QKV_mfma16_kernelI14__hip_bfloat16S0_LN4vllm18Fp8KVCacheDataTypeE0ES0_Li16ELi64ELi256ELb0ELi10EEvPKT_PKT0_S8_ifPKiSA_SA_iPKfiiiPfSD_PS3_PT2_iSC_SC_,comdat
	.protected	_Z39paged_attention_ll4mi_QKV_mfma16_kernelI14__hip_bfloat16S0_LN4vllm18Fp8KVCacheDataTypeE0ES0_Li16ELi64ELi256ELb0ELi10EEvPKT_PKT0_S8_ifPKiSA_SA_iPKfiiiPfSD_PS3_PT2_iSC_SC_ ; -- Begin function _Z39paged_attention_ll4mi_QKV_mfma16_kernelI14__hip_bfloat16S0_LN4vllm18Fp8KVCacheDataTypeE0ES0_Li16ELi64ELi256ELb0ELi10EEvPKT_PKT0_S8_ifPKiSA_SA_iPKfiiiPfSD_PS3_PT2_iSC_SC_
	.globl	_Z39paged_attention_ll4mi_QKV_mfma16_kernelI14__hip_bfloat16S0_LN4vllm18Fp8KVCacheDataTypeE0ES0_Li16ELi64ELi256ELb0ELi10EEvPKT_PKT0_S8_ifPKiSA_SA_iPKfiiiPfSD_PS3_PT2_iSC_SC_
	.p2align	8
	.type	_Z39paged_attention_ll4mi_QKV_mfma16_kernelI14__hip_bfloat16S0_LN4vllm18Fp8KVCacheDataTypeE0ES0_Li16ELi64ELi256ELb0ELi10EEvPKT_PKT0_S8_ifPKiSA_SA_iPKfiiiPfSD_PS3_PT2_iSC_SC_,@function
_Z39paged_attention_ll4mi_QKV_mfma16_kernelI14__hip_bfloat16S0_LN4vllm18Fp8KVCacheDataTypeE0ES0_Li16ELi64ELi256ELb0ELi10EEvPKT_PKT0_S8_ifPKiSA_SA_iPKfiiiPfSD_PS3_PT2_iSC_SC_: ; @_Z39paged_attention_ll4mi_QKV_mfma16_kernelI14__hip_bfloat16S0_LN4vllm18Fp8KVCacheDataTypeE0ES0_Li16ELi64ELi256ELb0ELi10EEvPKT_PKT0_S8_ifPKiSA_SA_iPKfiiiPfSD_PS3_PT2_iSC_SC_
; %bb.0:
	s_load_dwordx2 s[12:13], s[0:1], 0x30
	s_mov_b32 s28, s3
	s_mov_b64 s[6:7], 0
	s_waitcnt lgkmcnt(0)
	s_cmp_lg_u64 s[12:13], 0
	s_cselect_b64 s[14:15], -1, 0
	s_and_b64 vcc, exec, s[14:15]
	s_cbranch_vccz .LBB485_7
; %bb.1:
	s_add_i32 s8, s2, 1
	s_mov_b32 s9, 0
	s_lshl_b64 s[10:11], s[8:9], 2
	s_add_u32 s10, s12, s10
	s_mov_b32 s3, s9
	s_addc_u32 s11, s13, s11
	s_lshl_b64 s[8:9], s[2:3], 2
	s_add_u32 s8, s12, s8
	s_addc_u32 s9, s13, s9
	s_load_dword s5, s[10:11], 0x0
	s_load_dword s16, s[8:9], 0x0
	s_waitcnt lgkmcnt(0)
	s_sub_i32 s5, s5, s16
	s_cmp_eq_u32 s5, 1
	s_cselect_b64 s[8:9], -1, 0
	s_andn2_b64 vcc, exec, s[6:7]
	s_cbranch_vccnz .LBB485_3
.LBB485_2:
	s_mov_b32 s3, 0
	s_mov_b64 s[8:9], -1
.LBB485_3:
	s_andn2_b64 vcc, exec, s[8:9]
	s_cbranch_vccnz .LBB485_18
; %bb.4:
	s_load_dwordx2 s[6:7], s[0:1], 0x28
	s_lshl_b64 s[16:17], s[2:3], 2
	s_waitcnt lgkmcnt(0)
	s_add_u32 s6, s6, s16
	s_addc_u32 s7, s7, s17
	s_load_dword s33, s[6:7], 0x0
	s_lshl_b32 s18, s28, 8
	s_waitcnt lgkmcnt(0)
	s_cmp_ge_i32 s18, s33
	s_cbranch_scc1 .LBB485_18
; %bb.5:
	s_load_dwordx2 s[6:7], s[0:1], 0x20
	s_load_dword s5, s[0:1], 0x38
	s_add_i32 s8, s33, 15
	s_ashr_i32 s9, s8, 31
	v_and_b32_e32 v1, 0xcf, v0
	s_lshr_b32 s9, s9, 28
	v_add_u32_e32 v1, s18, v1
	s_add_i32 s8, s8, s9
	v_ashrrev_i32_e32 v2, 31, v1
	s_ashr_i32 s19, s8, 4
	v_lshrrev_b32_e32 v6, 28, v2
	s_add_i32 s19, s19, -1
	s_waitcnt lgkmcnt(0)
	s_mul_i32 s8, s2, s5
	s_mov_b32 s9, 0
	v_add_u32_e32 v2, v1, v6
	s_lshl_b64 s[8:9], s[8:9], 2
	v_ashrrev_i32_e32 v2, 4, v2
	v_mov_b32_e32 v7, s19
	v_cmp_gt_i32_e32 vcc, s33, v1
	s_add_u32 s6, s6, s8
	s_addc_u32 s7, s7, s9
	v_cndmask_b32_e32 v2, v7, v2, vcc
	v_ashrrev_i32_e32 v3, 31, v2
	v_lshl_add_u64 v[4:5], v[2:3], 2, s[6:7]
	v_or_b32_e32 v2, 16, v1
	v_add_u32_e32 v3, v2, v6
	v_ashrrev_i32_e32 v3, 4, v3
	v_cmp_gt_i32_e32 vcc, s33, v2
	s_load_dwordx4 s[8:11], s[0:1], 0x8
	s_nop 0
	v_cndmask_b32_e32 v2, v7, v3, vcc
	v_ashrrev_i32_e32 v3, 31, v2
	v_lshl_add_u64 v[8:9], v[2:3], 2, s[6:7]
	v_or_b32_e32 v2, 32, v1
	v_add_u32_e32 v3, v2, v6
	v_ashrrev_i32_e32 v3, 4, v3
	v_cmp_gt_i32_e32 vcc, s33, v2
	v_or_b32_e32 v1, 48, v1
	s_nop 0
	v_cndmask_b32_e32 v2, v7, v3, vcc
	v_ashrrev_i32_e32 v3, 31, v2
	v_lshl_add_u64 v[12:13], v[2:3], 2, s[6:7]
	v_add_u32_e32 v2, v1, v6
	v_ashrrev_i32_e32 v2, 4, v2
	v_cmp_gt_i32_e32 vcc, s33, v1
	s_nop 1
	v_cndmask_b32_e32 v2, v7, v2, vcc
	v_ashrrev_i32_e32 v3, 31, v2
	v_lshl_add_u64 v[14:15], v[2:3], 2, s[6:7]
	global_load_dword v2, v[4:5], off
	global_load_dword v6, v[8:9], off
	;; [unrolled: 1-line block ×4, first 2 shown]
	s_andn2_b64 vcc, exec, s[14:15]
	s_cbranch_vccnz .LBB485_8
; %bb.6:
	s_add_u32 s12, s12, s16
	s_addc_u32 s13, s13, s17
	s_load_dword s5, s[12:13], 0x0
	s_branch .LBB485_9
.LBB485_7:
	s_mov_b64 s[8:9], 0
	s_branch .LBB485_2
.LBB485_8:
	s_mov_b32 s5, s2
.LBB485_9:
	s_load_dwordx4 s[44:47], s[0:1], 0x48
	v_lshrrev_b32_e32 v37, 6, v0
	v_bfe_u32 v54, v0, 4, 2
	v_lshl_or_b32 v1, v37, 2, v54
	v_and_b32_e32 v36, 15, v0
	v_lshlrev_b32_e32 v3, 3, v36
	v_cmp_gt_u32_e32 vcc, 10, v1
	v_cmp_gt_u32_e64 s[30:31], 8, v36
	v_and_b32_e32 v55, 63, v0
	s_mul_i32 s42, s4, 10
	s_and_b64 s[14:15], s[30:31], vcc
	v_lshlrev_b32_e32 v34, 1, v3
	s_and_saveexec_b64 s[12:13], s[14:15]
	s_cbranch_execz .LBB485_11
; %bb.10:
	s_load_dwordx2 s[14:15], s[0:1], 0x0
	s_waitcnt lgkmcnt(0)
	s_ashr_i32 s16, s44, 31
	s_mul_hi_u32 s17, s5, s44
	s_mul_i32 s16, s5, s16
	s_add_i32 s17, s17, s16
	s_mul_i32 s16, s5, s44
	s_lshl_b64 s[16:17], s[16:17], 1
	s_add_u32 s14, s14, s16
	v_add_lshl_u32 v4, v1, s42, 6
	s_addc_u32 s15, s15, s17
	v_ashrrev_i32_e32 v5, 31, v4
	v_lshl_add_u64 v[4:5], v[4:5], 1, s[14:15]
	v_mov_b32_e32 v35, 0
	v_lshl_add_u64 v[4:5], v[4:5], 0, v[34:35]
	global_load_dwordx4 v[12:15], v[4:5], off
	v_and_b32_e32 v3, 3, v0
	v_lshlrev_b32_e32 v4, 9, v36
	v_lshlrev_b32_e32 v1, 5, v1
	v_lshlrev_b32_e32 v3, 9, v3
	v_and_b32_e32 v4, 0x1800, v4
	v_or3_b32 v1, v4, v3, v1
	s_waitcnt vmcnt(0)
	ds_write_b128 v1, v[12:15]
.LBB485_11:
	s_or_b64 exec, exec, s[12:13]
	s_waitcnt lgkmcnt(0)
	s_mul_i32 s4, s4, s46
	s_mov_b32 s5, 0
	s_lshl_b64 s[4:5], s[4:5], 1
	s_add_u32 s8, s8, s4
	v_lshlrev_b32_e32 v1, 4, v0
	s_addc_u32 s9, s9, s5
	v_and_b32_e32 v30, 0xf0, v1
	v_mov_b32_e32 v31, 0
	v_lshl_add_u64 v[18:19], s[8:9], 0, v[30:31]
	s_waitcnt vmcnt(3)
	v_mad_i64_i32 v[2:3], s[8:9], v2, s45, 0
	v_lshl_add_u64 v[2:3], v[2:3], 1, v[18:19]
	v_and_b32_e32 v30, 0x300, v1
	v_lshl_add_u64 v[14:15], v[2:3], 0, v[30:31]
	s_load_dword s29, s[0:1], 0x98
	s_load_dword s12, s[0:1], 0x1c
	s_waitcnt lgkmcnt(0)
	s_barrier
	global_load_dwordx4 v[2:5], v[14:15], off
	global_load_dwordx4 v[26:29], v[14:15], off offset:1024
	s_waitcnt vmcnt(3)
	v_mad_i64_i32 v[10:11], s[8:9], v10, s45, 0
	v_lshl_add_u64 v[10:11], v[10:11], 1, v[18:19]
	v_lshl_add_u64 v[38:39], v[10:11], 0, v[30:31]
	global_load_dwordx4 v[10:13], v[38:39], off
	global_load_dwordx4 v[56:59], v[38:39], off offset:1024
	v_mad_i64_i32 v[6:7], s[8:9], v6, s45, 0
	v_lshl_add_u64 v[6:7], v[6:7], 1, v[18:19]
	v_lshl_add_u64 v[32:33], v[6:7], 0, v[30:31]
	global_load_dwordx4 v[6:9], v[32:33], off
	global_load_dwordx4 v[46:49], v[32:33], off offset:1024
	s_waitcnt vmcnt(6)
	v_mad_i64_i32 v[16:17], s[8:9], v16, s45, 0
	v_lshl_add_u64 v[16:17], v[16:17], 1, v[18:19]
	v_lshl_add_u64 v[40:41], v[16:17], 0, v[30:31]
	global_load_dwordx4 v[18:21], v[40:41], off
	v_add_u32_e32 v16, -10, v36
	v_cmp_gt_u32_e32 vcc, 10, v36
	global_load_dwordx4 v[38:41], v[40:41], off offset:1024
	v_and_or_b32 v30, v0, 48, s18
	v_cndmask_b32_e32 v16, v16, v36, vcc
	v_lshlrev_b32_e32 v16, 5, v16
	v_lshl_add_u32 v16, v54, 9, v16
	ds_read_b128 v[22:25], v16
	v_mov_b32_e32 v68, s19
	v_cmp_gt_i32_e32 vcc, s33, v30
	v_or_b32_e32 v32, 64, v30
	ds_read_b128 v[14:17], v16 offset:2048
	v_lshlrev_b32_e32 v35, 5, v36
	s_add_u32 s4, s10, s4
	s_addc_u32 s5, s11, s5
	s_mov_b32 s43, 0xff7fffff
	s_waitcnt vmcnt(7) lgkmcnt(1)
	v_mfma_f32_16x16x16_bf16 v[42:45], v[2:3], v[22:23], 0
	v_ashrrev_i32_e32 v2, 4, v30
	v_cndmask_b32_e32 v2, v68, v2, vcc
	v_ashrrev_i32_e32 v3, 31, v2
	s_waitcnt vmcnt(5)
	v_mfma_f32_16x16x16_bf16 v[60:63], v[10:11], v[22:23], 0
	v_lshl_add_u64 v[10:11], v[2:3], 2, s[6:7]
	v_cmp_gt_i32_e32 vcc, s33, v32
	v_mfma_f32_16x16x16_bf16 v[2:5], v[4:5], v[24:25], v[42:45]
	s_nop 2
	global_load_dword v42, v[10:11], off
	s_waitcnt vmcnt(4)
	v_mfma_f32_16x16x16_bf16 v[50:53], v[6:7], v[22:23], 0
	v_ashrrev_i32_e32 v6, 4, v32
	v_cndmask_b32_e32 v6, v68, v6, vcc
	v_ashrrev_i32_e32 v7, 31, v6
	v_lshl_add_u64 v[10:11], v[6:7], 2, s[6:7]
	global_load_dword v43, v[10:11], off
	s_waitcnt vmcnt(3)
	v_mfma_f32_16x16x16_bf16 v[64:67], v[18:19], v[22:23], 0
	v_or_b32_e32 v22, 0x80, v30
	v_or_b32_e32 v23, 0xc0, v30
	v_ashrrev_i32_e32 v30, 4, v22
	v_cmp_gt_i32_e32 vcc, s33, v22
	v_ashrrev_i32_e32 v32, 4, v23
	v_mfma_f32_16x16x16_bf16 v[6:9], v[8:9], v[24:25], v[50:53]
	v_cndmask_b32_e32 v22, v68, v30, vcc
	v_cmp_gt_i32_e32 vcc, s33, v23
	v_ashrrev_i32_e32 v23, 31, v22
	v_mfma_f32_16x16x16_bf16 v[10:13], v[12:13], v[24:25], v[60:63]
	v_lshl_or_b32 v30, v37, 9, v35
	v_mfma_f32_16x16x16_bf16 v[18:21], v[20:21], v[24:25], v[64:67]
	v_cndmask_b32_e32 v24, v68, v32, vcc
	v_ashrrev_i32_e32 v25, 31, v24
	v_lshl_add_u64 v[32:33], v[24:25], 2, s[6:7]
	s_waitcnt lgkmcnt(0)
	v_mfma_f32_16x16x16_bf16 v[2:5], v[26:27], v[14:15], v[2:5]
	v_lshl_add_u64 v[26:27], v[22:23], 2, s[6:7]
	global_load_dword v60, v[26:27], off
	global_load_dword v61, v[32:33], off
	v_mfma_f32_16x16x16_bf16 v[6:9], v[46:47], v[14:15], v[6:9]
	v_mfma_f32_16x16x16_bf16 v[22:25], v[56:57], v[14:15], v[10:13]
	s_waitcnt vmcnt(4)
	v_mfma_f32_16x16x16_bf16 v[18:21], v[38:39], v[14:15], v[18:21]
	s_nop 0
	v_lshl_add_u64 v[10:11], s[4:5], 0, v[30:31]
	s_waitcnt vmcnt(3)
	v_mad_i64_i32 v[26:27], s[4:5], v42, s45, 0
	v_mfma_f32_16x16x16_bf16 v[12:15], v[28:29], v[16:17], v[2:5]
	v_lshl_add_u64 v[30:31], v[26:27], 1, v[10:11]
	s_waitcnt vmcnt(2)
	v_mad_i64_i32 v[32:33], s[4:5], v43, s45, 0
	v_mfma_f32_16x16x16_bf16 v[26:29], v[48:49], v[16:17], v[6:9]
	s_nop 2
	v_pk_mul_f32 v[50:51], s[12:13], v[14:15] op_sel_hi:[0,1]
	v_pk_mul_f32 v[12:13], s[12:13], v[12:13] op_sel_hi:[0,1]
	v_lshl_add_u64 v[56:57], v[32:33], 1, v[10:11]
	v_mfma_f32_16x16x16_bf16 v[22:25], v[58:59], v[16:17], v[22:25]
	global_load_dwordx4 v[6:9], v[30:31], off
	global_load_dwordx4 v[2:5], v[30:31], off offset:16
	v_pk_mul_f32 v[42:43], s[12:13], v[26:27] op_sel_hi:[0,1]
	v_pk_mul_f32 v[52:53], s[12:13], v[28:29] op_sel_hi:[0,1]
	v_mfma_f32_16x16x16_bf16 v[14:17], v[40:41], v[16:17], v[18:21]
	s_nop 1
	v_pk_mul_f32 v[46:47], s[12:13], v[22:23] op_sel_hi:[0,1]
	v_pk_mul_f32 v[48:49], s[12:13], v[24:25] op_sel_hi:[0,1]
	global_load_dwordx4 v[30:33], v[56:57], off
	global_load_dwordx4 v[26:29], v[56:57], off offset:16
	s_nop 0
	v_pk_mul_f32 v[44:45], s[12:13], v[14:15] op_sel_hi:[0,1]
	v_and_b32_e32 v14, 0xc0, v0
	v_add_u32_e32 v14, s18, v14
	v_lshl_or_b32 v14, v54, 2, v14
	v_pk_mul_f32 v[38:39], s[12:13], v[16:17] op_sel_hi:[0,1]
	v_or_b32_e32 v17, 1, v14
	v_mov_b32_e32 v15, 0xff7fffff
	v_cmp_gt_i32_e64 s[4:5], s33, v14
	v_cmp_gt_i32_e64 s[34:35], s33, v17
	v_or_b32_e32 v18, 3, v14
	v_cndmask_b32_e64 v16, v15, v12, s[4:5]
	v_cndmask_b32_e64 v17, v15, v13, s[34:35]
	v_max3_f32 v16, v16, s43, v17
	v_or_b32_e32 v17, 2, v14
	v_cmp_gt_i32_e64 s[36:37], s33, v17
	v_cmp_gt_i32_e64 s[38:39], s33, v18
	s_nop 0
	v_cndmask_b32_e64 v17, v15, v50, s[36:37]
	v_cndmask_b32_e64 v18, v15, v51, s[38:39]
	v_max3_f32 v16, v16, v17, v18
	v_or_b32_e32 v17, 16, v14
	v_or_b32_e32 v18, 17, v14
	v_cmp_gt_i32_e64 s[24:25], s33, v17
	v_cmp_gt_i32_e64 s[26:27], s33, v18
	s_nop 0
	v_cndmask_b32_e64 v17, v15, v42, s[24:25]
	v_cndmask_b32_e64 v18, v15, v43, s[26:27]
	v_max3_f32 v16, v16, v17, v18
	v_or_b32_e32 v17, 18, v14
	;; [unrolled: 8-line block ×6, first 2 shown]
	v_or_b32_e32 v14, 51, v14
	v_cmp_gt_i32_e32 vcc, s33, v17
	v_cmp_gt_i32_e64 s[6:7], s33, v14
	s_nop 0
	v_cndmask_b32_e32 v17, v15, v38, vcc
	v_cndmask_b32_e64 v14, v15, v39, s[6:7]
	v_max3_f32 v16, v16, v17, v14
	v_mbcnt_lo_u32_b32 v14, -1, 0
	v_mbcnt_hi_u32_b32 v17, -1, v14
	v_and_b32_e32 v14, 64, v17
	v_add_u32_e32 v18, 64, v14
	v_xor_b32_e32 v14, 32, v17
	v_cmp_lt_i32_e64 s[40:41], v14, v18
	s_nop 1
	v_cndmask_b32_e64 v14, v17, v14, s[40:41]
	v_lshlrev_b32_e32 v58, 2, v14
	ds_bpermute_b32 v19, v58, v16
	s_waitcnt vmcnt(5)
	v_mad_i64_i32 v[14:15], s[40:41], v60, s45, 0
	v_lshl_add_u64 v[14:15], v[14:15], 1, v[10:11]
	s_waitcnt lgkmcnt(0)
	v_max_f32_e32 v19, v19, v19
	v_max_f32_e32 v16, v16, v19
	v_xor_b32_e32 v19, 16, v17
	v_cmp_lt_i32_e64 s[40:41], v19, v18
	s_nop 1
	v_cndmask_b32_e64 v17, v17, v19, s[40:41]
	v_lshlrev_b32_e32 v57, 2, v17
	ds_bpermute_b32 v17, v57, v16
	global_load_dwordx4 v[22:25], v[14:15], off
	global_load_dwordx4 v[18:21], v[14:15], off offset:16
	s_waitcnt vmcnt(6)
	v_mad_i64_i32 v[14:15], s[40:41], v61, s45, 0
	v_lshl_add_u64 v[10:11], v[14:15], 1, v[10:11]
	s_waitcnt lgkmcnt(0)
	v_max_f32_e32 v14, v17, v17
	v_max_f32_e32 v56, v16, v14
	v_sub_f32_e32 v12, v12, v56
	v_mul_f32_e32 v12, 0x3fb8aa3b, v12
	v_exp_f32_e32 v40, v12
	v_sub_f32_e32 v12, v13, v56
	v_mul_f32_e32 v12, 0x3fb8aa3b, v12
	v_exp_f32_e32 v41, v12
	global_load_dwordx4 v[14:17], v[10:11], off
	s_nop 0
	global_load_dwordx4 v[10:13], v[10:11], off offset:16
	v_sub_f32_e32 v50, v50, v56
	v_mul_f32_e32 v50, 0x3fb8aa3b, v50
	v_sub_f32_e32 v51, v51, v56
	v_exp_f32_e32 v50, v50
	v_mul_f32_e32 v51, 0x3fb8aa3b, v51
	v_sub_f32_e32 v42, v42, v56
	v_exp_f32_e32 v51, v51
	v_mul_f32_e32 v42, 0x3fb8aa3b, v42
	v_sub_f32_e32 v43, v43, v56
	v_cndmask_b32_e64 v40, 0, v40, s[4:5]
	v_exp_f32_e32 v42, v42
	v_mul_f32_e32 v43, 0x3fb8aa3b, v43
	v_sub_f32_e32 v52, v52, v56
	v_add_f32_e32 v59, 0, v40
	v_cndmask_b32_e64 v41, 0, v41, s[34:35]
	v_exp_f32_e32 v43, v43
	v_mul_f32_e32 v52, 0x3fb8aa3b, v52
	v_sub_f32_e32 v53, v53, v56
	v_add_f32_e32 v59, v59, v41
	;; [unrolled: 5-line block ×10, first 2 shown]
	v_cndmask_b32_e64 v48, 0, v48, s[12:13]
	v_exp_f32_e32 v38, v38
	v_mul_f32_e32 v39, 0x3fb8aa3b, v39
	v_add_f32_e32 v59, v59, v48
	v_cndmask_b32_e64 v49, 0, v49, s[14:15]
	v_exp_f32_e32 v39, v39
	v_add_f32_e32 v59, v59, v49
	v_cndmask_b32_e64 v44, 0, v44, s[8:9]
	v_add_f32_e32 v59, v59, v44
	v_cndmask_b32_e64 v45, 0, v45, s[10:11]
	v_add_f32_e32 v59, v59, v45
	v_cndmask_b32_e32 v38, 0, v38, vcc
	v_add_f32_e32 v59, v59, v38
	v_cndmask_b32_e64 v39, 0, v39, s[6:7]
	v_add_f32_e32 v59, v59, v39
	ds_bpermute_b32 v58, v58, v59
	v_cmp_gt_u32_e32 vcc, 16, v55
	s_waitcnt lgkmcnt(0)
	s_barrier
	v_add_f32_e32 v58, v59, v58
	ds_bpermute_b32 v59, v57, v58
	v_lshlrev_b32_e32 v57, 2, v36
	s_and_saveexec_b64 s[4:5], vcc
	s_cbranch_execz .LBB485_13
; %bb.12:
	s_waitcnt lgkmcnt(0)
	v_add_f32_e32 v55, v58, v59
	v_lshl_or_b32 v58, v37, 6, v57
	ds_write2st64_b32 v58, v56, v55 offset1:1
.LBB485_13:
	s_or_b64 exec, exec, s[4:5]
	s_load_dword s6, s[0:1], 0x94
	s_waitcnt lgkmcnt(0)
	s_barrier
	ds_read2_b32 v[58:59], v57 offset1:16
	ds_read2_b32 v[60:61], v57 offset0:32 offset1:48
	ds_read2_b32 v[62:63], v57 offset0:64 offset1:80
	s_movk_i32 s8, 0x7fff
	s_mov_b32 s9, 0x7060302
	s_waitcnt lgkmcnt(2)
	v_max3_f32 v55, v58, s43, v59
	s_waitcnt lgkmcnt(1)
	v_max3_f32 v55, v55, v60, v61
	v_sub_f32_e32 v56, v58, v55
	v_mul_f32_e32 v56, 0x3fb8aa3b, v56
	v_exp_f32_e32 v64, v56
	v_sub_f32_e32 v56, v59, v55
	v_mul_f32_e32 v56, 0x3fb8aa3b, v56
	v_exp_f32_e32 v65, v56
	;; [unrolled: 3-line block ×3, first 2 shown]
	ds_read2_b32 v[58:59], v57 offset0:96 offset1:112
	v_sub_f32_e32 v56, v61, v55
	v_mul_f32_e32 v56, 0x3fb8aa3b, v56
	v_exp_f32_e32 v57, v56
	s_waitcnt lgkmcnt(1)
	v_fma_f32 v56, v64, v62, 0
	v_fmac_f32_e32 v56, v65, v63
	s_waitcnt lgkmcnt(0)
	v_fmac_f32_e32 v56, v60, v58
	v_fmac_f32_e32 v56, v57, v59
	v_add_f32_e32 v58, 0x358637bd, v56
	v_div_scale_f32 v59, s[4:5], v58, v58, 1.0
	v_rcp_f32_e32 v61, v59
	s_barrier
	v_fma_f32 v62, -v59, v61, 1.0
	v_fmac_f32_e32 v61, v62, v61
	v_div_scale_f32 v62, vcc, 1.0, v58, 1.0
	v_mul_f32_e32 v63, v62, v61
	v_fma_f32 v66, -v59, v63, v62
	v_fmac_f32_e32 v63, v66, v61
	v_fma_f32 v59, -v59, v63, v62
	v_div_fmas_f32 v59, v59, v61, v63
	v_cmp_eq_u32_e32 vcc, 1, v37
	v_div_fixup_f32 v58, v59, v58, 1.0
	s_mul_i32 s7, s29, 10
	v_cndmask_b32_e32 v59, v64, v65, vcc
	v_cmp_eq_u32_e32 vcc, 2, v37
	s_nop 1
	v_cndmask_b32_e32 v59, v59, v60, vcc
	v_cmp_eq_u32_e32 vcc, 3, v37
	v_lshlrev_b32_e32 v37, 11, v37
	s_nop 0
	v_cndmask_b32_e32 v57, v59, v57, vcc
	v_mul_f32_e32 v58, v57, v58
	v_pk_mul_f32 v[40:41], v[58:59], v[40:41] op_sel_hi:[0,1]
	v_pk_mul_f32 v[50:51], v[58:59], v[50:51] op_sel_hi:[0,1]
	v_bfe_u32 v57, v41, 16, 1
	v_bfe_u32 v59, v40, 16, 1
	v_add3_u32 v40, v40, v59, s8
	v_add3_u32 v41, v41, v57, s8
	v_perm_b32 v60, v41, v40, s9
	v_bfe_u32 v40, v51, 16, 1
	v_bfe_u32 v41, v50, 16, 1
	v_add3_u32 v41, v50, v41, s8
	v_add3_u32 v40, v51, v40, s8
	v_perm_b32 v61, v40, v41, s9
	v_lshlrev_b32_e32 v40, 3, v54
	v_pk_mul_f32 v[42:43], v[58:59], v[42:43] op_sel_hi:[0,1]
	v_or3_b32 v40, v37, v35, v40
	v_bfe_u32 v37, v43, 16, 1
	v_bfe_u32 v41, v42, 16, 1
	v_pk_mul_f32 v[50:51], v[58:59], v[52:53] op_sel_hi:[0,1]
	v_add3_u32 v41, v42, v41, s8
	v_add3_u32 v37, v43, v37, s8
	v_perm_b32 v42, v37, v41, s9
	v_bfe_u32 v37, v51, 16, 1
	v_bfe_u32 v41, v50, 16, 1
	v_add3_u32 v41, v50, v41, s8
	v_add3_u32 v37, v51, v37, s8
	v_pk_mul_f32 v[46:47], v[58:59], v[46:47] op_sel_hi:[0,1]
	v_perm_b32 v43, v37, v41, s9
	v_bfe_u32 v37, v47, 16, 1
	v_bfe_u32 v41, v46, 16, 1
	ds_write2st64_b64 v40, v[60:61], v[42:43] offset1:1
	v_pk_mul_f32 v[42:43], v[58:59], v[48:49] op_sel_hi:[0,1]
	v_add3_u32 v41, v46, v41, s8
	v_add3_u32 v37, v47, v37, s8
	v_perm_b32 v46, v37, v41, s9
	v_bfe_u32 v37, v43, 16, 1
	v_bfe_u32 v41, v42, 16, 1
	v_add3_u32 v41, v42, v41, s8
	v_add3_u32 v37, v43, v37, s8
	v_pk_mul_f32 v[42:43], v[58:59], v[44:45] op_sel_hi:[0,1]
	v_perm_b32 v47, v37, v41, s9
	v_bfe_u32 v37, v43, 16, 1
	v_bfe_u32 v41, v42, 16, 1
	v_pk_mul_f32 v[38:39], v[58:59], v[38:39] op_sel_hi:[0,1]
	v_add3_u32 v41, v42, v41, s8
	v_add3_u32 v37, v43, v37, s8
	v_perm_b32 v42, v37, v41, s9
	v_bfe_u32 v37, v39, 16, 1
	v_bfe_u32 v41, v38, 16, 1
	v_add3_u32 v38, v38, v41, s8
	v_add3_u32 v37, v39, v37, s8
	v_perm_b32 v43, v37, v38, s9
	v_cmp_gt_u32_e32 vcc, 10, v0
	ds_write2st64_b64 v40, v[46:47], v[42:43] offset0:2 offset1:3
	s_and_saveexec_b64 s[4:5], vcc
	s_cbranch_execz .LBB485_15
; %bb.14:
	s_mov_b32 s43, 0
	v_mov_b32_e32 v37, 0
	v_lshl_add_u64 v[38:39], s[42:43], 0, v[36:37]
	v_mov_b32_e32 v36, s7
	v_mad_u64_u32 v[38:39], s[10:11], s2, v36, v[38:39]
	v_mov_b32_e32 v36, s28
	s_load_dwordx4 s[12:15], s[0:1], 0x58
	s_mul_i32 s3, s3, s7
	v_mad_u64_u32 v[36:37], s[10:11], v38, s6, v[36:37]
	v_add_u32_e32 v39, s3, v39
	v_mov_b32_e32 v38, v37
	v_mad_u64_u32 v[38:39], s[10:11], v39, s6, v[38:39]
	v_mov_b32_e32 v37, v38
	v_lshlrev_b64 v[36:37], 2, v[36:37]
	s_waitcnt lgkmcnt(0)
	v_lshl_add_u64 v[38:39], s[14:15], 0, v[36:37]
	v_lshl_add_u64 v[36:37], s[12:13], 0, v[36:37]
	global_store_dword v[38:39], v55, off
	global_store_dword v[36:37], v56, off
.LBB485_15:
	s_or_b64 exec, exec, s[4:5]
	v_lshl_or_b32 v35, v54, 9, v35
	s_waitcnt lgkmcnt(0)
	s_barrier
	ds_read_b128 v[36:39], v35
	ds_read_b128 v[42:45], v35 offset:16
	s_waitcnt vmcnt(7) lgkmcnt(1)
	v_mfma_f32_16x16x16_bf16 v[46:49], v[6:7], v[36:37], 0
	v_cmp_gt_u32_e32 vcc, 64, v0
	s_mov_b32 s3, 0
	s_and_b64 s[4:5], vcc, s[30:31]
	v_mfma_f32_16x16x16_bf16 v[6:9], v[8:9], v[38:39], v[46:49]
	s_waitcnt vmcnt(6) lgkmcnt(0)
	v_mfma_f32_16x16x16_bf16 v[6:9], v[2:3], v[42:43], v[6:9]
	v_mfma_f32_16x16x16_bf16 v[2:5], v[4:5], v[44:45], v[6:9]
	s_nop 5
	ds_read_b128 v[6:9], v35 offset:2048
	ds_read_b128 v[36:39], v35 offset:2064
	s_waitcnt vmcnt(5) lgkmcnt(1)
	v_mfma_f32_16x16x16_bf16 v[2:5], v[30:31], v[6:7], v[2:5]
	v_mfma_f32_16x16x16_bf16 v[2:5], v[32:33], v[8:9], v[2:5]
	s_waitcnt vmcnt(4) lgkmcnt(0)
	v_mfma_f32_16x16x16_bf16 v[2:5], v[26:27], v[36:37], v[2:5]
	v_mfma_f32_16x16x16_bf16 v[2:5], v[28:29], v[38:39], v[2:5]
	ds_read_b128 v[6:9], v35 offset:4096
	ds_read_b128 v[26:29], v35 offset:4112
	s_waitcnt vmcnt(3) lgkmcnt(1)
	v_mfma_f32_16x16x16_bf16 v[2:5], v[22:23], v[6:7], v[2:5]
	v_mfma_f32_16x16x16_bf16 v[2:5], v[24:25], v[8:9], v[2:5]
	s_waitcnt vmcnt(2) lgkmcnt(0)
	v_mfma_f32_16x16x16_bf16 v[2:5], v[18:19], v[26:27], v[2:5]
	v_mfma_f32_16x16x16_bf16 v[2:5], v[20:21], v[28:29], v[2:5]
	ds_read_b128 v[6:9], v35 offset:6144
	ds_read_b128 v[18:21], v35 offset:6160
	v_mov_b32_e32 v35, 0
	s_waitcnt vmcnt(1) lgkmcnt(0)
	v_mfma_f32_16x16x16_bf16 v[2:5], v[14:15], v[6:7], v[2:5]
	s_barrier
	v_mfma_f32_16x16x16_bf16 v[2:5], v[16:17], v[8:9], v[2:5]
	s_waitcnt vmcnt(0)
	v_mfma_f32_16x16x16_bf16 v[2:5], v[10:11], v[18:19], v[2:5]
	v_mfma_f32_16x16x16_bf16 v[2:5], v[12:13], v[20:21], v[2:5]
	s_nop 6
	v_bfe_u32 v6, v3, 16, 1
	v_bfe_u32 v7, v2, 16, 1
	;; [unrolled: 1-line block ×4, first 2 shown]
	v_add3_u32 v2, v2, v7, s8
	v_add3_u32 v3, v3, v6, s8
	;; [unrolled: 1-line block ×4, first 2 shown]
	v_perm_b32 v2, v3, v2, s9
	v_perm_b32 v3, v5, v4, s9
	ds_write_b64 v40, v[2:3]
	s_waitcnt lgkmcnt(0)
	s_barrier
	s_and_saveexec_b64 s[8:9], s[4:5]
	s_cbranch_execz .LBB485_18
; %bb.16:
	s_load_dwordx2 s[4:5], s[0:1], 0x68
	s_lshl_b32 s0, s6, 6
	s_mul_i32 s1, s7, s2
	s_mul_hi_u32 s7, s1, s0
	s_mul_i32 s6, s1, s0
	v_lshlrev_b32_e32 v0, 10, v0
	s_lshl_b64 s[6:7], s[6:7], 1
	v_and_b32_e32 v0, 0x1800, v0
	v_lshlrev_b32_e32 v2, 5, v54
	v_and_b32_e32 v1, 16, v1
	s_waitcnt lgkmcnt(0)
	s_add_u32 s1, s4, s6
	v_or3_b32 v2, v0, v2, v1
	s_addc_u32 s4, s5, s7
	s_lshl_b32 s2, s28, 6
	s_lshl_b64 s[2:3], s[2:3], 1
	ds_read_b128 v[4:7], v2 offset:128
	ds_read_b128 v[8:11], v2
	s_add_u32 s2, s1, s2
	s_addc_u32 s3, s4, s3
	v_add_u32_e32 v14, s42, v54
	v_lshl_add_u64 v[0:1], s[2:3], 0, v[34:35]
	v_mad_u64_u32 v[12:13], s[2:3], v14, s0, 0
	v_lshl_add_u64 v[12:13], v[12:13], 1, v[0:1]
	s_waitcnt lgkmcnt(0)
	global_store_dwordx4 v[12:13], v[8:11], off
	v_or_b32_e32 v3, 8, v54
	v_cmp_gt_u32_e32 vcc, 10, v3
	v_add_u32_e32 v8, 4, v14
	v_mad_u64_u32 v[8:9], s[2:3], v8, s0, 0
	v_lshl_add_u64 v[8:9], v[8:9], 1, v[0:1]
	global_store_dwordx4 v[8:9], v[4:7], off
	s_and_b64 exec, exec, vcc
	s_cbranch_execz .LBB485_18
; %bb.17:
	ds_read_b128 v[4:7], v2 offset:256
	v_add_u32_e32 v2, s42, v3
	v_mad_u64_u32 v[2:3], s[0:1], v2, s0, 0
	v_lshl_add_u64 v[0:1], v[2:3], 1, v[0:1]
	s_waitcnt lgkmcnt(0)
	global_store_dwordx4 v[0:1], v[4:7], off
.LBB485_18:
	s_endpgm
	.section	.rodata,"a",@progbits
	.p2align	6, 0x0
	.amdhsa_kernel _Z39paged_attention_ll4mi_QKV_mfma16_kernelI14__hip_bfloat16S0_LN4vllm18Fp8KVCacheDataTypeE0ES0_Li16ELi64ELi256ELb0ELi10EEvPKT_PKT0_S8_ifPKiSA_SA_iPKfiiiPfSD_PS3_PT2_iSC_SC_
		.amdhsa_group_segment_fixed_size 8192
		.amdhsa_private_segment_fixed_size 0
		.amdhsa_kernarg_size 400
		.amdhsa_user_sgpr_count 2
		.amdhsa_user_sgpr_dispatch_ptr 0
		.amdhsa_user_sgpr_queue_ptr 0
		.amdhsa_user_sgpr_kernarg_segment_ptr 1
		.amdhsa_user_sgpr_dispatch_id 0
		.amdhsa_user_sgpr_kernarg_preload_length 0
		.amdhsa_user_sgpr_kernarg_preload_offset 0
		.amdhsa_user_sgpr_private_segment_size 0
		.amdhsa_uses_dynamic_stack 0
		.amdhsa_enable_private_segment 0
		.amdhsa_system_sgpr_workgroup_id_x 1
		.amdhsa_system_sgpr_workgroup_id_y 1
		.amdhsa_system_sgpr_workgroup_id_z 1
		.amdhsa_system_sgpr_workgroup_info 0
		.amdhsa_system_vgpr_workitem_id 0
		.amdhsa_next_free_vgpr 69
		.amdhsa_next_free_sgpr 48
		.amdhsa_accum_offset 72
		.amdhsa_reserve_vcc 1
		.amdhsa_float_round_mode_32 0
		.amdhsa_float_round_mode_16_64 0
		.amdhsa_float_denorm_mode_32 3
		.amdhsa_float_denorm_mode_16_64 3
		.amdhsa_dx10_clamp 1
		.amdhsa_ieee_mode 1
		.amdhsa_fp16_overflow 0
		.amdhsa_tg_split 0
		.amdhsa_exception_fp_ieee_invalid_op 0
		.amdhsa_exception_fp_denorm_src 0
		.amdhsa_exception_fp_ieee_div_zero 0
		.amdhsa_exception_fp_ieee_overflow 0
		.amdhsa_exception_fp_ieee_underflow 0
		.amdhsa_exception_fp_ieee_inexact 0
		.amdhsa_exception_int_div_zero 0
	.end_amdhsa_kernel
	.section	.text._Z39paged_attention_ll4mi_QKV_mfma16_kernelI14__hip_bfloat16S0_LN4vllm18Fp8KVCacheDataTypeE0ES0_Li16ELi64ELi256ELb0ELi10EEvPKT_PKT0_S8_ifPKiSA_SA_iPKfiiiPfSD_PS3_PT2_iSC_SC_,"axG",@progbits,_Z39paged_attention_ll4mi_QKV_mfma16_kernelI14__hip_bfloat16S0_LN4vllm18Fp8KVCacheDataTypeE0ES0_Li16ELi64ELi256ELb0ELi10EEvPKT_PKT0_S8_ifPKiSA_SA_iPKfiiiPfSD_PS3_PT2_iSC_SC_,comdat
.Lfunc_end485:
	.size	_Z39paged_attention_ll4mi_QKV_mfma16_kernelI14__hip_bfloat16S0_LN4vllm18Fp8KVCacheDataTypeE0ES0_Li16ELi64ELi256ELb0ELi10EEvPKT_PKT0_S8_ifPKiSA_SA_iPKfiiiPfSD_PS3_PT2_iSC_SC_, .Lfunc_end485-_Z39paged_attention_ll4mi_QKV_mfma16_kernelI14__hip_bfloat16S0_LN4vllm18Fp8KVCacheDataTypeE0ES0_Li16ELi64ELi256ELb0ELi10EEvPKT_PKT0_S8_ifPKiSA_SA_iPKfiiiPfSD_PS3_PT2_iSC_SC_
                                        ; -- End function
	.section	.AMDGPU.csdata,"",@progbits
; Kernel info:
; codeLenInByte = 4068
; NumSgprs: 54
; NumVgprs: 69
; NumAgprs: 0
; TotalNumVgprs: 69
; ScratchSize: 0
; MemoryBound: 0
; FloatMode: 240
; IeeeMode: 1
; LDSByteSize: 8192 bytes/workgroup (compile time only)
; SGPRBlocks: 6
; VGPRBlocks: 8
; NumSGPRsForWavesPerEU: 54
; NumVGPRsForWavesPerEU: 69
; AccumOffset: 72
; Occupancy: 7
; WaveLimiterHint : 1
; COMPUTE_PGM_RSRC2:SCRATCH_EN: 0
; COMPUTE_PGM_RSRC2:USER_SGPR: 2
; COMPUTE_PGM_RSRC2:TRAP_HANDLER: 0
; COMPUTE_PGM_RSRC2:TGID_X_EN: 1
; COMPUTE_PGM_RSRC2:TGID_Y_EN: 1
; COMPUTE_PGM_RSRC2:TGID_Z_EN: 1
; COMPUTE_PGM_RSRC2:TIDIG_COMP_CNT: 0
; COMPUTE_PGM_RSRC3_GFX90A:ACCUM_OFFSET: 17
; COMPUTE_PGM_RSRC3_GFX90A:TG_SPLIT: 0
	.section	.text._Z39paged_attention_ll4mi_QKV_mfma16_kernelI14__hip_bfloat16S0_LN4vllm18Fp8KVCacheDataTypeE0ES0_Li16ELi64ELi256ELb0ELi11EEvPKT_PKT0_S8_ifPKiSA_SA_iPKfiiiPfSD_PS3_PT2_iSC_SC_,"axG",@progbits,_Z39paged_attention_ll4mi_QKV_mfma16_kernelI14__hip_bfloat16S0_LN4vllm18Fp8KVCacheDataTypeE0ES0_Li16ELi64ELi256ELb0ELi11EEvPKT_PKT0_S8_ifPKiSA_SA_iPKfiiiPfSD_PS3_PT2_iSC_SC_,comdat
	.protected	_Z39paged_attention_ll4mi_QKV_mfma16_kernelI14__hip_bfloat16S0_LN4vllm18Fp8KVCacheDataTypeE0ES0_Li16ELi64ELi256ELb0ELi11EEvPKT_PKT0_S8_ifPKiSA_SA_iPKfiiiPfSD_PS3_PT2_iSC_SC_ ; -- Begin function _Z39paged_attention_ll4mi_QKV_mfma16_kernelI14__hip_bfloat16S0_LN4vllm18Fp8KVCacheDataTypeE0ES0_Li16ELi64ELi256ELb0ELi11EEvPKT_PKT0_S8_ifPKiSA_SA_iPKfiiiPfSD_PS3_PT2_iSC_SC_
	.globl	_Z39paged_attention_ll4mi_QKV_mfma16_kernelI14__hip_bfloat16S0_LN4vllm18Fp8KVCacheDataTypeE0ES0_Li16ELi64ELi256ELb0ELi11EEvPKT_PKT0_S8_ifPKiSA_SA_iPKfiiiPfSD_PS3_PT2_iSC_SC_
	.p2align	8
	.type	_Z39paged_attention_ll4mi_QKV_mfma16_kernelI14__hip_bfloat16S0_LN4vllm18Fp8KVCacheDataTypeE0ES0_Li16ELi64ELi256ELb0ELi11EEvPKT_PKT0_S8_ifPKiSA_SA_iPKfiiiPfSD_PS3_PT2_iSC_SC_,@function
_Z39paged_attention_ll4mi_QKV_mfma16_kernelI14__hip_bfloat16S0_LN4vllm18Fp8KVCacheDataTypeE0ES0_Li16ELi64ELi256ELb0ELi11EEvPKT_PKT0_S8_ifPKiSA_SA_iPKfiiiPfSD_PS3_PT2_iSC_SC_: ; @_Z39paged_attention_ll4mi_QKV_mfma16_kernelI14__hip_bfloat16S0_LN4vllm18Fp8KVCacheDataTypeE0ES0_Li16ELi64ELi256ELb0ELi11EEvPKT_PKT0_S8_ifPKiSA_SA_iPKfiiiPfSD_PS3_PT2_iSC_SC_
; %bb.0:
	s_load_dwordx2 s[12:13], s[0:1], 0x30
	s_mov_b32 s28, s3
	s_mov_b64 s[6:7], 0
	s_waitcnt lgkmcnt(0)
	s_cmp_lg_u64 s[12:13], 0
	s_cselect_b64 s[14:15], -1, 0
	s_and_b64 vcc, exec, s[14:15]
	s_cbranch_vccz .LBB486_7
; %bb.1:
	s_add_i32 s8, s2, 1
	s_mov_b32 s9, 0
	s_lshl_b64 s[10:11], s[8:9], 2
	s_add_u32 s10, s12, s10
	s_mov_b32 s3, s9
	s_addc_u32 s11, s13, s11
	s_lshl_b64 s[8:9], s[2:3], 2
	s_add_u32 s8, s12, s8
	s_addc_u32 s9, s13, s9
	s_load_dword s5, s[10:11], 0x0
	s_load_dword s16, s[8:9], 0x0
	s_waitcnt lgkmcnt(0)
	s_sub_i32 s5, s5, s16
	s_cmp_eq_u32 s5, 1
	s_cselect_b64 s[8:9], -1, 0
	s_andn2_b64 vcc, exec, s[6:7]
	s_cbranch_vccnz .LBB486_3
.LBB486_2:
	s_mov_b32 s3, 0
	s_mov_b64 s[8:9], -1
.LBB486_3:
	s_andn2_b64 vcc, exec, s[8:9]
	s_cbranch_vccnz .LBB486_18
; %bb.4:
	s_load_dwordx2 s[6:7], s[0:1], 0x28
	s_lshl_b64 s[16:17], s[2:3], 2
	s_waitcnt lgkmcnt(0)
	s_add_u32 s6, s6, s16
	s_addc_u32 s7, s7, s17
	s_load_dword s33, s[6:7], 0x0
	s_lshl_b32 s18, s28, 8
	s_waitcnt lgkmcnt(0)
	s_cmp_ge_i32 s18, s33
	s_cbranch_scc1 .LBB486_18
; %bb.5:
	s_load_dwordx2 s[6:7], s[0:1], 0x20
	s_load_dword s5, s[0:1], 0x38
	s_add_i32 s8, s33, 15
	s_ashr_i32 s9, s8, 31
	v_and_b32_e32 v1, 0xcf, v0
	s_lshr_b32 s9, s9, 28
	v_add_u32_e32 v1, s18, v1
	s_add_i32 s8, s8, s9
	v_ashrrev_i32_e32 v2, 31, v1
	s_ashr_i32 s19, s8, 4
	v_lshrrev_b32_e32 v6, 28, v2
	s_add_i32 s19, s19, -1
	s_waitcnt lgkmcnt(0)
	s_mul_i32 s8, s2, s5
	s_mov_b32 s9, 0
	v_add_u32_e32 v2, v1, v6
	s_lshl_b64 s[8:9], s[8:9], 2
	v_ashrrev_i32_e32 v2, 4, v2
	v_mov_b32_e32 v7, s19
	v_cmp_gt_i32_e32 vcc, s33, v1
	s_add_u32 s6, s6, s8
	s_addc_u32 s7, s7, s9
	v_cndmask_b32_e32 v2, v7, v2, vcc
	v_ashrrev_i32_e32 v3, 31, v2
	v_lshl_add_u64 v[4:5], v[2:3], 2, s[6:7]
	v_or_b32_e32 v2, 16, v1
	v_add_u32_e32 v3, v2, v6
	v_ashrrev_i32_e32 v3, 4, v3
	v_cmp_gt_i32_e32 vcc, s33, v2
	s_load_dwordx4 s[8:11], s[0:1], 0x8
	s_nop 0
	v_cndmask_b32_e32 v2, v7, v3, vcc
	v_ashrrev_i32_e32 v3, 31, v2
	v_lshl_add_u64 v[8:9], v[2:3], 2, s[6:7]
	v_or_b32_e32 v2, 32, v1
	v_add_u32_e32 v3, v2, v6
	v_ashrrev_i32_e32 v3, 4, v3
	v_cmp_gt_i32_e32 vcc, s33, v2
	v_or_b32_e32 v1, 48, v1
	s_nop 0
	v_cndmask_b32_e32 v2, v7, v3, vcc
	v_ashrrev_i32_e32 v3, 31, v2
	v_lshl_add_u64 v[12:13], v[2:3], 2, s[6:7]
	v_add_u32_e32 v2, v1, v6
	v_ashrrev_i32_e32 v2, 4, v2
	v_cmp_gt_i32_e32 vcc, s33, v1
	s_nop 1
	v_cndmask_b32_e32 v2, v7, v2, vcc
	v_ashrrev_i32_e32 v3, 31, v2
	v_lshl_add_u64 v[14:15], v[2:3], 2, s[6:7]
	global_load_dword v2, v[4:5], off
	global_load_dword v6, v[8:9], off
	;; [unrolled: 1-line block ×4, first 2 shown]
	s_andn2_b64 vcc, exec, s[14:15]
	s_cbranch_vccnz .LBB486_8
; %bb.6:
	s_add_u32 s12, s12, s16
	s_addc_u32 s13, s13, s17
	s_load_dword s5, s[12:13], 0x0
	s_branch .LBB486_9
.LBB486_7:
	s_mov_b64 s[8:9], 0
	s_branch .LBB486_2
.LBB486_8:
	s_mov_b32 s5, s2
.LBB486_9:
	s_load_dwordx4 s[44:47], s[0:1], 0x48
	v_lshrrev_b32_e32 v37, 6, v0
	v_bfe_u32 v54, v0, 4, 2
	v_lshl_or_b32 v1, v37, 2, v54
	v_and_b32_e32 v36, 15, v0
	v_lshlrev_b32_e32 v3, 3, v36
	v_cmp_gt_u32_e32 vcc, 11, v1
	v_cmp_gt_u32_e64 s[30:31], 8, v36
	v_and_b32_e32 v55, 63, v0
	s_mul_i32 s42, s4, 11
	s_and_b64 s[14:15], s[30:31], vcc
	v_lshlrev_b32_e32 v34, 1, v3
	s_and_saveexec_b64 s[12:13], s[14:15]
	s_cbranch_execz .LBB486_11
; %bb.10:
	s_load_dwordx2 s[14:15], s[0:1], 0x0
	s_waitcnt lgkmcnt(0)
	s_ashr_i32 s16, s44, 31
	s_mul_hi_u32 s17, s5, s44
	s_mul_i32 s16, s5, s16
	s_add_i32 s17, s17, s16
	s_mul_i32 s16, s5, s44
	s_lshl_b64 s[16:17], s[16:17], 1
	s_add_u32 s14, s14, s16
	v_add_lshl_u32 v4, v1, s42, 6
	s_addc_u32 s15, s15, s17
	v_ashrrev_i32_e32 v5, 31, v4
	v_lshl_add_u64 v[4:5], v[4:5], 1, s[14:15]
	v_mov_b32_e32 v35, 0
	v_lshl_add_u64 v[4:5], v[4:5], 0, v[34:35]
	global_load_dwordx4 v[12:15], v[4:5], off
	v_and_b32_e32 v3, 3, v0
	v_lshlrev_b32_e32 v4, 9, v36
	v_lshlrev_b32_e32 v1, 5, v1
	;; [unrolled: 1-line block ×3, first 2 shown]
	v_and_b32_e32 v4, 0x1800, v4
	v_or3_b32 v1, v4, v3, v1
	s_waitcnt vmcnt(0)
	ds_write_b128 v1, v[12:15]
.LBB486_11:
	s_or_b64 exec, exec, s[12:13]
	s_waitcnt lgkmcnt(0)
	s_mul_i32 s4, s4, s46
	s_mov_b32 s5, 0
	s_lshl_b64 s[4:5], s[4:5], 1
	s_add_u32 s8, s8, s4
	v_lshlrev_b32_e32 v1, 4, v0
	s_addc_u32 s9, s9, s5
	v_and_b32_e32 v30, 0xf0, v1
	v_mov_b32_e32 v31, 0
	v_lshl_add_u64 v[18:19], s[8:9], 0, v[30:31]
	s_waitcnt vmcnt(3)
	v_mad_i64_i32 v[2:3], s[8:9], v2, s45, 0
	v_lshl_add_u64 v[2:3], v[2:3], 1, v[18:19]
	v_and_b32_e32 v30, 0x300, v1
	v_lshl_add_u64 v[14:15], v[2:3], 0, v[30:31]
	s_load_dword s29, s[0:1], 0x98
	s_load_dword s12, s[0:1], 0x1c
	s_waitcnt lgkmcnt(0)
	s_barrier
	global_load_dwordx4 v[2:5], v[14:15], off
	global_load_dwordx4 v[26:29], v[14:15], off offset:1024
	s_waitcnt vmcnt(3)
	v_mad_i64_i32 v[10:11], s[8:9], v10, s45, 0
	v_lshl_add_u64 v[10:11], v[10:11], 1, v[18:19]
	v_lshl_add_u64 v[38:39], v[10:11], 0, v[30:31]
	global_load_dwordx4 v[10:13], v[38:39], off
	global_load_dwordx4 v[56:59], v[38:39], off offset:1024
	v_mad_i64_i32 v[6:7], s[8:9], v6, s45, 0
	v_lshl_add_u64 v[6:7], v[6:7], 1, v[18:19]
	v_lshl_add_u64 v[32:33], v[6:7], 0, v[30:31]
	global_load_dwordx4 v[6:9], v[32:33], off
	global_load_dwordx4 v[46:49], v[32:33], off offset:1024
	s_waitcnt vmcnt(6)
	v_mad_i64_i32 v[16:17], s[8:9], v16, s45, 0
	v_lshl_add_u64 v[16:17], v[16:17], 1, v[18:19]
	v_lshl_add_u64 v[40:41], v[16:17], 0, v[30:31]
	global_load_dwordx4 v[18:21], v[40:41], off
	v_add_u32_e32 v16, -11, v36
	v_cmp_gt_u32_e32 vcc, 11, v36
	global_load_dwordx4 v[38:41], v[40:41], off offset:1024
	v_and_or_b32 v30, v0, 48, s18
	v_cndmask_b32_e32 v16, v16, v36, vcc
	v_lshlrev_b32_e32 v16, 5, v16
	v_lshl_add_u32 v16, v54, 9, v16
	ds_read_b128 v[22:25], v16
	v_mov_b32_e32 v68, s19
	v_cmp_gt_i32_e32 vcc, s33, v30
	v_or_b32_e32 v32, 64, v30
	ds_read_b128 v[14:17], v16 offset:2048
	v_lshlrev_b32_e32 v35, 5, v36
	s_add_u32 s4, s10, s4
	s_addc_u32 s5, s11, s5
	s_mov_b32 s43, 0xff7fffff
	s_waitcnt vmcnt(7) lgkmcnt(1)
	v_mfma_f32_16x16x16_bf16 v[42:45], v[2:3], v[22:23], 0
	v_ashrrev_i32_e32 v2, 4, v30
	v_cndmask_b32_e32 v2, v68, v2, vcc
	v_ashrrev_i32_e32 v3, 31, v2
	s_waitcnt vmcnt(5)
	v_mfma_f32_16x16x16_bf16 v[60:63], v[10:11], v[22:23], 0
	v_lshl_add_u64 v[10:11], v[2:3], 2, s[6:7]
	v_cmp_gt_i32_e32 vcc, s33, v32
	v_mfma_f32_16x16x16_bf16 v[2:5], v[4:5], v[24:25], v[42:45]
	s_nop 2
	global_load_dword v42, v[10:11], off
	s_waitcnt vmcnt(4)
	v_mfma_f32_16x16x16_bf16 v[50:53], v[6:7], v[22:23], 0
	v_ashrrev_i32_e32 v6, 4, v32
	v_cndmask_b32_e32 v6, v68, v6, vcc
	v_ashrrev_i32_e32 v7, 31, v6
	v_lshl_add_u64 v[10:11], v[6:7], 2, s[6:7]
	global_load_dword v43, v[10:11], off
	s_waitcnt vmcnt(3)
	v_mfma_f32_16x16x16_bf16 v[64:67], v[18:19], v[22:23], 0
	v_or_b32_e32 v22, 0x80, v30
	v_or_b32_e32 v23, 0xc0, v30
	v_ashrrev_i32_e32 v30, 4, v22
	v_cmp_gt_i32_e32 vcc, s33, v22
	v_ashrrev_i32_e32 v32, 4, v23
	v_mfma_f32_16x16x16_bf16 v[6:9], v[8:9], v[24:25], v[50:53]
	v_cndmask_b32_e32 v22, v68, v30, vcc
	v_cmp_gt_i32_e32 vcc, s33, v23
	v_ashrrev_i32_e32 v23, 31, v22
	v_mfma_f32_16x16x16_bf16 v[10:13], v[12:13], v[24:25], v[60:63]
	v_lshl_or_b32 v30, v37, 9, v35
	v_mfma_f32_16x16x16_bf16 v[18:21], v[20:21], v[24:25], v[64:67]
	v_cndmask_b32_e32 v24, v68, v32, vcc
	v_ashrrev_i32_e32 v25, 31, v24
	v_lshl_add_u64 v[32:33], v[24:25], 2, s[6:7]
	s_waitcnt lgkmcnt(0)
	v_mfma_f32_16x16x16_bf16 v[2:5], v[26:27], v[14:15], v[2:5]
	v_lshl_add_u64 v[26:27], v[22:23], 2, s[6:7]
	global_load_dword v60, v[26:27], off
	global_load_dword v61, v[32:33], off
	v_mfma_f32_16x16x16_bf16 v[6:9], v[46:47], v[14:15], v[6:9]
	v_mfma_f32_16x16x16_bf16 v[22:25], v[56:57], v[14:15], v[10:13]
	s_waitcnt vmcnt(4)
	v_mfma_f32_16x16x16_bf16 v[18:21], v[38:39], v[14:15], v[18:21]
	s_nop 0
	v_lshl_add_u64 v[10:11], s[4:5], 0, v[30:31]
	s_waitcnt vmcnt(3)
	v_mad_i64_i32 v[26:27], s[4:5], v42, s45, 0
	v_mfma_f32_16x16x16_bf16 v[12:15], v[28:29], v[16:17], v[2:5]
	v_lshl_add_u64 v[30:31], v[26:27], 1, v[10:11]
	s_waitcnt vmcnt(2)
	v_mad_i64_i32 v[32:33], s[4:5], v43, s45, 0
	v_mfma_f32_16x16x16_bf16 v[26:29], v[48:49], v[16:17], v[6:9]
	s_nop 2
	v_pk_mul_f32 v[50:51], s[12:13], v[14:15] op_sel_hi:[0,1]
	v_pk_mul_f32 v[12:13], s[12:13], v[12:13] op_sel_hi:[0,1]
	v_lshl_add_u64 v[56:57], v[32:33], 1, v[10:11]
	v_mfma_f32_16x16x16_bf16 v[22:25], v[58:59], v[16:17], v[22:25]
	global_load_dwordx4 v[6:9], v[30:31], off
	global_load_dwordx4 v[2:5], v[30:31], off offset:16
	v_pk_mul_f32 v[42:43], s[12:13], v[26:27] op_sel_hi:[0,1]
	v_pk_mul_f32 v[52:53], s[12:13], v[28:29] op_sel_hi:[0,1]
	v_mfma_f32_16x16x16_bf16 v[14:17], v[40:41], v[16:17], v[18:21]
	s_nop 1
	v_pk_mul_f32 v[46:47], s[12:13], v[22:23] op_sel_hi:[0,1]
	v_pk_mul_f32 v[48:49], s[12:13], v[24:25] op_sel_hi:[0,1]
	global_load_dwordx4 v[30:33], v[56:57], off
	global_load_dwordx4 v[26:29], v[56:57], off offset:16
	s_nop 0
	v_pk_mul_f32 v[44:45], s[12:13], v[14:15] op_sel_hi:[0,1]
	v_and_b32_e32 v14, 0xc0, v0
	v_add_u32_e32 v14, s18, v14
	v_lshl_or_b32 v14, v54, 2, v14
	v_pk_mul_f32 v[38:39], s[12:13], v[16:17] op_sel_hi:[0,1]
	v_or_b32_e32 v17, 1, v14
	v_mov_b32_e32 v15, 0xff7fffff
	v_cmp_gt_i32_e64 s[4:5], s33, v14
	v_cmp_gt_i32_e64 s[34:35], s33, v17
	v_or_b32_e32 v18, 3, v14
	v_cndmask_b32_e64 v16, v15, v12, s[4:5]
	v_cndmask_b32_e64 v17, v15, v13, s[34:35]
	v_max3_f32 v16, v16, s43, v17
	v_or_b32_e32 v17, 2, v14
	v_cmp_gt_i32_e64 s[36:37], s33, v17
	v_cmp_gt_i32_e64 s[38:39], s33, v18
	s_nop 0
	v_cndmask_b32_e64 v17, v15, v50, s[36:37]
	v_cndmask_b32_e64 v18, v15, v51, s[38:39]
	v_max3_f32 v16, v16, v17, v18
	v_or_b32_e32 v17, 16, v14
	v_or_b32_e32 v18, 17, v14
	v_cmp_gt_i32_e64 s[24:25], s33, v17
	v_cmp_gt_i32_e64 s[26:27], s33, v18
	s_nop 0
	v_cndmask_b32_e64 v17, v15, v42, s[24:25]
	v_cndmask_b32_e64 v18, v15, v43, s[26:27]
	v_max3_f32 v16, v16, v17, v18
	v_or_b32_e32 v17, 18, v14
	;; [unrolled: 8-line block ×6, first 2 shown]
	v_or_b32_e32 v14, 51, v14
	v_cmp_gt_i32_e32 vcc, s33, v17
	v_cmp_gt_i32_e64 s[6:7], s33, v14
	s_nop 0
	v_cndmask_b32_e32 v17, v15, v38, vcc
	v_cndmask_b32_e64 v14, v15, v39, s[6:7]
	v_max3_f32 v16, v16, v17, v14
	v_mbcnt_lo_u32_b32 v14, -1, 0
	v_mbcnt_hi_u32_b32 v17, -1, v14
	v_and_b32_e32 v14, 64, v17
	v_add_u32_e32 v18, 64, v14
	v_xor_b32_e32 v14, 32, v17
	v_cmp_lt_i32_e64 s[40:41], v14, v18
	s_nop 1
	v_cndmask_b32_e64 v14, v17, v14, s[40:41]
	v_lshlrev_b32_e32 v58, 2, v14
	ds_bpermute_b32 v19, v58, v16
	s_waitcnt vmcnt(5)
	v_mad_i64_i32 v[14:15], s[40:41], v60, s45, 0
	v_lshl_add_u64 v[14:15], v[14:15], 1, v[10:11]
	s_waitcnt lgkmcnt(0)
	v_max_f32_e32 v19, v19, v19
	v_max_f32_e32 v16, v16, v19
	v_xor_b32_e32 v19, 16, v17
	v_cmp_lt_i32_e64 s[40:41], v19, v18
	s_nop 1
	v_cndmask_b32_e64 v17, v17, v19, s[40:41]
	v_lshlrev_b32_e32 v57, 2, v17
	ds_bpermute_b32 v17, v57, v16
	global_load_dwordx4 v[22:25], v[14:15], off
	global_load_dwordx4 v[18:21], v[14:15], off offset:16
	s_waitcnt vmcnt(6)
	v_mad_i64_i32 v[14:15], s[40:41], v61, s45, 0
	v_lshl_add_u64 v[10:11], v[14:15], 1, v[10:11]
	s_waitcnt lgkmcnt(0)
	v_max_f32_e32 v14, v17, v17
	v_max_f32_e32 v56, v16, v14
	v_sub_f32_e32 v12, v12, v56
	v_mul_f32_e32 v12, 0x3fb8aa3b, v12
	v_exp_f32_e32 v40, v12
	v_sub_f32_e32 v12, v13, v56
	v_mul_f32_e32 v12, 0x3fb8aa3b, v12
	v_exp_f32_e32 v41, v12
	global_load_dwordx4 v[14:17], v[10:11], off
	s_nop 0
	global_load_dwordx4 v[10:13], v[10:11], off offset:16
	v_sub_f32_e32 v50, v50, v56
	v_mul_f32_e32 v50, 0x3fb8aa3b, v50
	v_sub_f32_e32 v51, v51, v56
	v_exp_f32_e32 v50, v50
	v_mul_f32_e32 v51, 0x3fb8aa3b, v51
	v_sub_f32_e32 v42, v42, v56
	v_exp_f32_e32 v51, v51
	v_mul_f32_e32 v42, 0x3fb8aa3b, v42
	v_sub_f32_e32 v43, v43, v56
	v_cndmask_b32_e64 v40, 0, v40, s[4:5]
	v_exp_f32_e32 v42, v42
	v_mul_f32_e32 v43, 0x3fb8aa3b, v43
	v_sub_f32_e32 v52, v52, v56
	v_add_f32_e32 v59, 0, v40
	v_cndmask_b32_e64 v41, 0, v41, s[34:35]
	v_exp_f32_e32 v43, v43
	v_mul_f32_e32 v52, 0x3fb8aa3b, v52
	v_sub_f32_e32 v53, v53, v56
	v_add_f32_e32 v59, v59, v41
	;; [unrolled: 5-line block ×10, first 2 shown]
	v_cndmask_b32_e64 v48, 0, v48, s[12:13]
	v_exp_f32_e32 v38, v38
	v_mul_f32_e32 v39, 0x3fb8aa3b, v39
	v_add_f32_e32 v59, v59, v48
	v_cndmask_b32_e64 v49, 0, v49, s[14:15]
	v_exp_f32_e32 v39, v39
	v_add_f32_e32 v59, v59, v49
	v_cndmask_b32_e64 v44, 0, v44, s[8:9]
	v_add_f32_e32 v59, v59, v44
	v_cndmask_b32_e64 v45, 0, v45, s[10:11]
	v_add_f32_e32 v59, v59, v45
	v_cndmask_b32_e32 v38, 0, v38, vcc
	v_add_f32_e32 v59, v59, v38
	v_cndmask_b32_e64 v39, 0, v39, s[6:7]
	v_add_f32_e32 v59, v59, v39
	ds_bpermute_b32 v58, v58, v59
	v_cmp_gt_u32_e32 vcc, 16, v55
	s_waitcnt lgkmcnt(0)
	s_barrier
	v_add_f32_e32 v58, v59, v58
	ds_bpermute_b32 v59, v57, v58
	v_lshlrev_b32_e32 v57, 2, v36
	s_and_saveexec_b64 s[4:5], vcc
	s_cbranch_execz .LBB486_13
; %bb.12:
	s_waitcnt lgkmcnt(0)
	v_add_f32_e32 v55, v58, v59
	v_lshl_or_b32 v58, v37, 6, v57
	ds_write2st64_b32 v58, v56, v55 offset1:1
.LBB486_13:
	s_or_b64 exec, exec, s[4:5]
	s_load_dword s6, s[0:1], 0x94
	s_waitcnt lgkmcnt(0)
	s_barrier
	ds_read2_b32 v[58:59], v57 offset1:16
	ds_read2_b32 v[60:61], v57 offset0:32 offset1:48
	ds_read2_b32 v[62:63], v57 offset0:64 offset1:80
	s_movk_i32 s8, 0x7fff
	s_mov_b32 s9, 0x7060302
	s_waitcnt lgkmcnt(2)
	v_max3_f32 v55, v58, s43, v59
	s_waitcnt lgkmcnt(1)
	v_max3_f32 v55, v55, v60, v61
	v_sub_f32_e32 v56, v58, v55
	v_mul_f32_e32 v56, 0x3fb8aa3b, v56
	v_exp_f32_e32 v64, v56
	v_sub_f32_e32 v56, v59, v55
	v_mul_f32_e32 v56, 0x3fb8aa3b, v56
	v_exp_f32_e32 v65, v56
	;; [unrolled: 3-line block ×3, first 2 shown]
	ds_read2_b32 v[58:59], v57 offset0:96 offset1:112
	v_sub_f32_e32 v56, v61, v55
	v_mul_f32_e32 v56, 0x3fb8aa3b, v56
	v_exp_f32_e32 v57, v56
	s_waitcnt lgkmcnt(1)
	v_fma_f32 v56, v64, v62, 0
	v_fmac_f32_e32 v56, v65, v63
	s_waitcnt lgkmcnt(0)
	v_fmac_f32_e32 v56, v60, v58
	v_fmac_f32_e32 v56, v57, v59
	v_add_f32_e32 v58, 0x358637bd, v56
	v_div_scale_f32 v59, s[4:5], v58, v58, 1.0
	v_rcp_f32_e32 v61, v59
	s_barrier
	v_fma_f32 v62, -v59, v61, 1.0
	v_fmac_f32_e32 v61, v62, v61
	v_div_scale_f32 v62, vcc, 1.0, v58, 1.0
	v_mul_f32_e32 v63, v62, v61
	v_fma_f32 v66, -v59, v63, v62
	v_fmac_f32_e32 v63, v66, v61
	v_fma_f32 v59, -v59, v63, v62
	v_div_fmas_f32 v59, v59, v61, v63
	v_cmp_eq_u32_e32 vcc, 1, v37
	v_div_fixup_f32 v58, v59, v58, 1.0
	s_mul_i32 s7, s29, 11
	v_cndmask_b32_e32 v59, v64, v65, vcc
	v_cmp_eq_u32_e32 vcc, 2, v37
	s_nop 1
	v_cndmask_b32_e32 v59, v59, v60, vcc
	v_cmp_eq_u32_e32 vcc, 3, v37
	v_lshlrev_b32_e32 v37, 11, v37
	s_nop 0
	v_cndmask_b32_e32 v57, v59, v57, vcc
	v_mul_f32_e32 v58, v57, v58
	v_pk_mul_f32 v[40:41], v[58:59], v[40:41] op_sel_hi:[0,1]
	v_pk_mul_f32 v[50:51], v[58:59], v[50:51] op_sel_hi:[0,1]
	v_bfe_u32 v57, v41, 16, 1
	v_bfe_u32 v59, v40, 16, 1
	v_add3_u32 v40, v40, v59, s8
	v_add3_u32 v41, v41, v57, s8
	v_perm_b32 v60, v41, v40, s9
	v_bfe_u32 v40, v51, 16, 1
	v_bfe_u32 v41, v50, 16, 1
	v_add3_u32 v41, v50, v41, s8
	v_add3_u32 v40, v51, v40, s8
	v_perm_b32 v61, v40, v41, s9
	v_lshlrev_b32_e32 v40, 3, v54
	v_pk_mul_f32 v[42:43], v[58:59], v[42:43] op_sel_hi:[0,1]
	v_or3_b32 v40, v37, v35, v40
	v_bfe_u32 v37, v43, 16, 1
	v_bfe_u32 v41, v42, 16, 1
	v_pk_mul_f32 v[50:51], v[58:59], v[52:53] op_sel_hi:[0,1]
	v_add3_u32 v41, v42, v41, s8
	v_add3_u32 v37, v43, v37, s8
	v_perm_b32 v42, v37, v41, s9
	v_bfe_u32 v37, v51, 16, 1
	v_bfe_u32 v41, v50, 16, 1
	v_add3_u32 v41, v50, v41, s8
	v_add3_u32 v37, v51, v37, s8
	v_pk_mul_f32 v[46:47], v[58:59], v[46:47] op_sel_hi:[0,1]
	v_perm_b32 v43, v37, v41, s9
	v_bfe_u32 v37, v47, 16, 1
	v_bfe_u32 v41, v46, 16, 1
	ds_write2st64_b64 v40, v[60:61], v[42:43] offset1:1
	v_pk_mul_f32 v[42:43], v[58:59], v[48:49] op_sel_hi:[0,1]
	v_add3_u32 v41, v46, v41, s8
	v_add3_u32 v37, v47, v37, s8
	v_perm_b32 v46, v37, v41, s9
	v_bfe_u32 v37, v43, 16, 1
	v_bfe_u32 v41, v42, 16, 1
	v_add3_u32 v41, v42, v41, s8
	v_add3_u32 v37, v43, v37, s8
	v_pk_mul_f32 v[42:43], v[58:59], v[44:45] op_sel_hi:[0,1]
	v_perm_b32 v47, v37, v41, s9
	v_bfe_u32 v37, v43, 16, 1
	v_bfe_u32 v41, v42, 16, 1
	v_pk_mul_f32 v[38:39], v[58:59], v[38:39] op_sel_hi:[0,1]
	v_add3_u32 v41, v42, v41, s8
	v_add3_u32 v37, v43, v37, s8
	v_perm_b32 v42, v37, v41, s9
	v_bfe_u32 v37, v39, 16, 1
	v_bfe_u32 v41, v38, 16, 1
	v_add3_u32 v38, v38, v41, s8
	v_add3_u32 v37, v39, v37, s8
	v_perm_b32 v43, v37, v38, s9
	v_cmp_gt_u32_e32 vcc, 11, v0
	ds_write2st64_b64 v40, v[46:47], v[42:43] offset0:2 offset1:3
	s_and_saveexec_b64 s[4:5], vcc
	s_cbranch_execz .LBB486_15
; %bb.14:
	s_mov_b32 s43, 0
	v_mov_b32_e32 v37, 0
	v_lshl_add_u64 v[38:39], s[42:43], 0, v[36:37]
	v_mov_b32_e32 v36, s7
	v_mad_u64_u32 v[38:39], s[10:11], s2, v36, v[38:39]
	v_mov_b32_e32 v36, s28
	s_load_dwordx4 s[12:15], s[0:1], 0x58
	s_mul_i32 s3, s3, s7
	v_mad_u64_u32 v[36:37], s[10:11], v38, s6, v[36:37]
	v_add_u32_e32 v39, s3, v39
	v_mov_b32_e32 v38, v37
	v_mad_u64_u32 v[38:39], s[10:11], v39, s6, v[38:39]
	v_mov_b32_e32 v37, v38
	v_lshlrev_b64 v[36:37], 2, v[36:37]
	s_waitcnt lgkmcnt(0)
	v_lshl_add_u64 v[38:39], s[14:15], 0, v[36:37]
	v_lshl_add_u64 v[36:37], s[12:13], 0, v[36:37]
	global_store_dword v[38:39], v55, off
	global_store_dword v[36:37], v56, off
.LBB486_15:
	s_or_b64 exec, exec, s[4:5]
	v_lshl_or_b32 v35, v54, 9, v35
	s_waitcnt lgkmcnt(0)
	s_barrier
	ds_read_b128 v[36:39], v35
	ds_read_b128 v[42:45], v35 offset:16
	s_waitcnt vmcnt(7) lgkmcnt(1)
	v_mfma_f32_16x16x16_bf16 v[46:49], v[6:7], v[36:37], 0
	v_cmp_gt_u32_e32 vcc, 64, v0
	s_mov_b32 s3, 0
	s_and_b64 s[4:5], vcc, s[30:31]
	v_mfma_f32_16x16x16_bf16 v[6:9], v[8:9], v[38:39], v[46:49]
	s_waitcnt vmcnt(6) lgkmcnt(0)
	v_mfma_f32_16x16x16_bf16 v[6:9], v[2:3], v[42:43], v[6:9]
	v_mfma_f32_16x16x16_bf16 v[2:5], v[4:5], v[44:45], v[6:9]
	s_nop 5
	ds_read_b128 v[6:9], v35 offset:2048
	ds_read_b128 v[36:39], v35 offset:2064
	s_waitcnt vmcnt(5) lgkmcnt(1)
	v_mfma_f32_16x16x16_bf16 v[2:5], v[30:31], v[6:7], v[2:5]
	v_mfma_f32_16x16x16_bf16 v[2:5], v[32:33], v[8:9], v[2:5]
	s_waitcnt vmcnt(4) lgkmcnt(0)
	v_mfma_f32_16x16x16_bf16 v[2:5], v[26:27], v[36:37], v[2:5]
	v_mfma_f32_16x16x16_bf16 v[2:5], v[28:29], v[38:39], v[2:5]
	ds_read_b128 v[6:9], v35 offset:4096
	ds_read_b128 v[26:29], v35 offset:4112
	s_waitcnt vmcnt(3) lgkmcnt(1)
	v_mfma_f32_16x16x16_bf16 v[2:5], v[22:23], v[6:7], v[2:5]
	v_mfma_f32_16x16x16_bf16 v[2:5], v[24:25], v[8:9], v[2:5]
	s_waitcnt vmcnt(2) lgkmcnt(0)
	v_mfma_f32_16x16x16_bf16 v[2:5], v[18:19], v[26:27], v[2:5]
	v_mfma_f32_16x16x16_bf16 v[2:5], v[20:21], v[28:29], v[2:5]
	ds_read_b128 v[6:9], v35 offset:6144
	ds_read_b128 v[18:21], v35 offset:6160
	v_mov_b32_e32 v35, 0
	s_waitcnt vmcnt(1) lgkmcnt(0)
	v_mfma_f32_16x16x16_bf16 v[2:5], v[14:15], v[6:7], v[2:5]
	s_barrier
	v_mfma_f32_16x16x16_bf16 v[2:5], v[16:17], v[8:9], v[2:5]
	s_waitcnt vmcnt(0)
	v_mfma_f32_16x16x16_bf16 v[2:5], v[10:11], v[18:19], v[2:5]
	v_mfma_f32_16x16x16_bf16 v[2:5], v[12:13], v[20:21], v[2:5]
	s_nop 6
	v_bfe_u32 v6, v3, 16, 1
	v_bfe_u32 v7, v2, 16, 1
	;; [unrolled: 1-line block ×4, first 2 shown]
	v_add3_u32 v2, v2, v7, s8
	v_add3_u32 v3, v3, v6, s8
	;; [unrolled: 1-line block ×4, first 2 shown]
	v_perm_b32 v2, v3, v2, s9
	v_perm_b32 v3, v5, v4, s9
	ds_write_b64 v40, v[2:3]
	s_waitcnt lgkmcnt(0)
	s_barrier
	s_and_saveexec_b64 s[8:9], s[4:5]
	s_cbranch_execz .LBB486_18
; %bb.16:
	s_load_dwordx2 s[4:5], s[0:1], 0x68
	s_lshl_b32 s0, s6, 6
	s_mul_i32 s1, s7, s2
	s_mul_hi_u32 s7, s1, s0
	s_mul_i32 s6, s1, s0
	v_lshlrev_b32_e32 v0, 10, v0
	s_lshl_b64 s[6:7], s[6:7], 1
	v_and_b32_e32 v0, 0x1800, v0
	v_lshlrev_b32_e32 v2, 5, v54
	v_and_b32_e32 v1, 16, v1
	s_waitcnt lgkmcnt(0)
	s_add_u32 s1, s4, s6
	v_or3_b32 v2, v0, v2, v1
	s_addc_u32 s4, s5, s7
	s_lshl_b32 s2, s28, 6
	s_lshl_b64 s[2:3], s[2:3], 1
	ds_read_b128 v[4:7], v2 offset:128
	ds_read_b128 v[8:11], v2
	s_add_u32 s2, s1, s2
	s_addc_u32 s3, s4, s3
	v_add_u32_e32 v3, s42, v54
	v_lshl_add_u64 v[0:1], s[2:3], 0, v[34:35]
	v_mad_u64_u32 v[12:13], s[2:3], v3, s0, 0
	v_lshl_add_u64 v[12:13], v[12:13], 1, v[0:1]
	v_add_u32_e32 v3, 4, v3
	s_waitcnt lgkmcnt(0)
	global_store_dwordx4 v[12:13], v[8:11], off
	v_cmp_ne_u32_e32 vcc, 3, v54
	s_nop 0
	v_mad_u64_u32 v[8:9], s[2:3], v3, s0, 0
	v_lshl_add_u64 v[8:9], v[8:9], 1, v[0:1]
	global_store_dwordx4 v[8:9], v[4:7], off
	s_and_b64 exec, exec, vcc
	s_cbranch_execz .LBB486_18
; %bb.17:
	ds_read_b128 v[2:5], v2 offset:256
	v_add3_u32 v6, s42, v54, 8
	v_mad_u64_u32 v[6:7], s[0:1], v6, s0, 0
	v_lshl_add_u64 v[0:1], v[6:7], 1, v[0:1]
	s_waitcnt lgkmcnt(0)
	global_store_dwordx4 v[0:1], v[2:5], off
.LBB486_18:
	s_endpgm
	.section	.rodata,"a",@progbits
	.p2align	6, 0x0
	.amdhsa_kernel _Z39paged_attention_ll4mi_QKV_mfma16_kernelI14__hip_bfloat16S0_LN4vllm18Fp8KVCacheDataTypeE0ES0_Li16ELi64ELi256ELb0ELi11EEvPKT_PKT0_S8_ifPKiSA_SA_iPKfiiiPfSD_PS3_PT2_iSC_SC_
		.amdhsa_group_segment_fixed_size 8192
		.amdhsa_private_segment_fixed_size 0
		.amdhsa_kernarg_size 400
		.amdhsa_user_sgpr_count 2
		.amdhsa_user_sgpr_dispatch_ptr 0
		.amdhsa_user_sgpr_queue_ptr 0
		.amdhsa_user_sgpr_kernarg_segment_ptr 1
		.amdhsa_user_sgpr_dispatch_id 0
		.amdhsa_user_sgpr_kernarg_preload_length 0
		.amdhsa_user_sgpr_kernarg_preload_offset 0
		.amdhsa_user_sgpr_private_segment_size 0
		.amdhsa_uses_dynamic_stack 0
		.amdhsa_enable_private_segment 0
		.amdhsa_system_sgpr_workgroup_id_x 1
		.amdhsa_system_sgpr_workgroup_id_y 1
		.amdhsa_system_sgpr_workgroup_id_z 1
		.amdhsa_system_sgpr_workgroup_info 0
		.amdhsa_system_vgpr_workitem_id 0
		.amdhsa_next_free_vgpr 69
		.amdhsa_next_free_sgpr 48
		.amdhsa_accum_offset 72
		.amdhsa_reserve_vcc 1
		.amdhsa_float_round_mode_32 0
		.amdhsa_float_round_mode_16_64 0
		.amdhsa_float_denorm_mode_32 3
		.amdhsa_float_denorm_mode_16_64 3
		.amdhsa_dx10_clamp 1
		.amdhsa_ieee_mode 1
		.amdhsa_fp16_overflow 0
		.amdhsa_tg_split 0
		.amdhsa_exception_fp_ieee_invalid_op 0
		.amdhsa_exception_fp_denorm_src 0
		.amdhsa_exception_fp_ieee_div_zero 0
		.amdhsa_exception_fp_ieee_overflow 0
		.amdhsa_exception_fp_ieee_underflow 0
		.amdhsa_exception_fp_ieee_inexact 0
		.amdhsa_exception_int_div_zero 0
	.end_amdhsa_kernel
	.section	.text._Z39paged_attention_ll4mi_QKV_mfma16_kernelI14__hip_bfloat16S0_LN4vllm18Fp8KVCacheDataTypeE0ES0_Li16ELi64ELi256ELb0ELi11EEvPKT_PKT0_S8_ifPKiSA_SA_iPKfiiiPfSD_PS3_PT2_iSC_SC_,"axG",@progbits,_Z39paged_attention_ll4mi_QKV_mfma16_kernelI14__hip_bfloat16S0_LN4vllm18Fp8KVCacheDataTypeE0ES0_Li16ELi64ELi256ELb0ELi11EEvPKT_PKT0_S8_ifPKiSA_SA_iPKfiiiPfSD_PS3_PT2_iSC_SC_,comdat
.Lfunc_end486:
	.size	_Z39paged_attention_ll4mi_QKV_mfma16_kernelI14__hip_bfloat16S0_LN4vllm18Fp8KVCacheDataTypeE0ES0_Li16ELi64ELi256ELb0ELi11EEvPKT_PKT0_S8_ifPKiSA_SA_iPKfiiiPfSD_PS3_PT2_iSC_SC_, .Lfunc_end486-_Z39paged_attention_ll4mi_QKV_mfma16_kernelI14__hip_bfloat16S0_LN4vllm18Fp8KVCacheDataTypeE0ES0_Li16ELi64ELi256ELb0ELi11EEvPKT_PKT0_S8_ifPKiSA_SA_iPKfiiiPfSD_PS3_PT2_iSC_SC_
                                        ; -- End function
	.section	.AMDGPU.csdata,"",@progbits
; Kernel info:
; codeLenInByte = 4072
; NumSgprs: 54
; NumVgprs: 69
; NumAgprs: 0
; TotalNumVgprs: 69
; ScratchSize: 0
; MemoryBound: 0
; FloatMode: 240
; IeeeMode: 1
; LDSByteSize: 8192 bytes/workgroup (compile time only)
; SGPRBlocks: 6
; VGPRBlocks: 8
; NumSGPRsForWavesPerEU: 54
; NumVGPRsForWavesPerEU: 69
; AccumOffset: 72
; Occupancy: 7
; WaveLimiterHint : 1
; COMPUTE_PGM_RSRC2:SCRATCH_EN: 0
; COMPUTE_PGM_RSRC2:USER_SGPR: 2
; COMPUTE_PGM_RSRC2:TRAP_HANDLER: 0
; COMPUTE_PGM_RSRC2:TGID_X_EN: 1
; COMPUTE_PGM_RSRC2:TGID_Y_EN: 1
; COMPUTE_PGM_RSRC2:TGID_Z_EN: 1
; COMPUTE_PGM_RSRC2:TIDIG_COMP_CNT: 0
; COMPUTE_PGM_RSRC3_GFX90A:ACCUM_OFFSET: 17
; COMPUTE_PGM_RSRC3_GFX90A:TG_SPLIT: 0
	.section	.text._Z39paged_attention_ll4mi_QKV_mfma16_kernelI14__hip_bfloat16S0_LN4vllm18Fp8KVCacheDataTypeE0ES0_Li16ELi64ELi256ELb0ELi12EEvPKT_PKT0_S8_ifPKiSA_SA_iPKfiiiPfSD_PS3_PT2_iSC_SC_,"axG",@progbits,_Z39paged_attention_ll4mi_QKV_mfma16_kernelI14__hip_bfloat16S0_LN4vllm18Fp8KVCacheDataTypeE0ES0_Li16ELi64ELi256ELb0ELi12EEvPKT_PKT0_S8_ifPKiSA_SA_iPKfiiiPfSD_PS3_PT2_iSC_SC_,comdat
	.protected	_Z39paged_attention_ll4mi_QKV_mfma16_kernelI14__hip_bfloat16S0_LN4vllm18Fp8KVCacheDataTypeE0ES0_Li16ELi64ELi256ELb0ELi12EEvPKT_PKT0_S8_ifPKiSA_SA_iPKfiiiPfSD_PS3_PT2_iSC_SC_ ; -- Begin function _Z39paged_attention_ll4mi_QKV_mfma16_kernelI14__hip_bfloat16S0_LN4vllm18Fp8KVCacheDataTypeE0ES0_Li16ELi64ELi256ELb0ELi12EEvPKT_PKT0_S8_ifPKiSA_SA_iPKfiiiPfSD_PS3_PT2_iSC_SC_
	.globl	_Z39paged_attention_ll4mi_QKV_mfma16_kernelI14__hip_bfloat16S0_LN4vllm18Fp8KVCacheDataTypeE0ES0_Li16ELi64ELi256ELb0ELi12EEvPKT_PKT0_S8_ifPKiSA_SA_iPKfiiiPfSD_PS3_PT2_iSC_SC_
	.p2align	8
	.type	_Z39paged_attention_ll4mi_QKV_mfma16_kernelI14__hip_bfloat16S0_LN4vllm18Fp8KVCacheDataTypeE0ES0_Li16ELi64ELi256ELb0ELi12EEvPKT_PKT0_S8_ifPKiSA_SA_iPKfiiiPfSD_PS3_PT2_iSC_SC_,@function
_Z39paged_attention_ll4mi_QKV_mfma16_kernelI14__hip_bfloat16S0_LN4vllm18Fp8KVCacheDataTypeE0ES0_Li16ELi64ELi256ELb0ELi12EEvPKT_PKT0_S8_ifPKiSA_SA_iPKfiiiPfSD_PS3_PT2_iSC_SC_: ; @_Z39paged_attention_ll4mi_QKV_mfma16_kernelI14__hip_bfloat16S0_LN4vllm18Fp8KVCacheDataTypeE0ES0_Li16ELi64ELi256ELb0ELi12EEvPKT_PKT0_S8_ifPKiSA_SA_iPKfiiiPfSD_PS3_PT2_iSC_SC_
; %bb.0:
	s_load_dwordx2 s[12:13], s[0:1], 0x30
	s_mov_b32 s28, s3
	s_mov_b64 s[6:7], 0
	s_waitcnt lgkmcnt(0)
	s_cmp_lg_u64 s[12:13], 0
	s_cselect_b64 s[14:15], -1, 0
	s_and_b64 vcc, exec, s[14:15]
	s_cbranch_vccz .LBB487_7
; %bb.1:
	s_add_i32 s8, s2, 1
	s_mov_b32 s9, 0
	s_lshl_b64 s[10:11], s[8:9], 2
	s_add_u32 s10, s12, s10
	s_mov_b32 s3, s9
	s_addc_u32 s11, s13, s11
	s_lshl_b64 s[8:9], s[2:3], 2
	s_add_u32 s8, s12, s8
	s_addc_u32 s9, s13, s9
	s_load_dword s5, s[10:11], 0x0
	s_load_dword s16, s[8:9], 0x0
	s_waitcnt lgkmcnt(0)
	s_sub_i32 s5, s5, s16
	s_cmp_eq_u32 s5, 1
	s_cselect_b64 s[8:9], -1, 0
	s_andn2_b64 vcc, exec, s[6:7]
	s_cbranch_vccnz .LBB487_3
.LBB487_2:
	s_mov_b32 s3, 0
	s_mov_b64 s[8:9], -1
.LBB487_3:
	s_andn2_b64 vcc, exec, s[8:9]
	s_cbranch_vccnz .LBB487_17
; %bb.4:
	s_load_dwordx2 s[6:7], s[0:1], 0x28
	s_lshl_b64 s[16:17], s[2:3], 2
	s_waitcnt lgkmcnt(0)
	s_add_u32 s6, s6, s16
	s_addc_u32 s7, s7, s17
	s_load_dword s33, s[6:7], 0x0
	s_lshl_b32 s18, s28, 8
	s_waitcnt lgkmcnt(0)
	s_cmp_ge_i32 s18, s33
	s_cbranch_scc1 .LBB487_17
; %bb.5:
	s_load_dwordx2 s[6:7], s[0:1], 0x20
	s_load_dword s5, s[0:1], 0x38
	s_add_i32 s8, s33, 15
	s_ashr_i32 s9, s8, 31
	v_and_b32_e32 v1, 0xcf, v0
	s_lshr_b32 s9, s9, 28
	v_add_u32_e32 v1, s18, v1
	s_add_i32 s8, s8, s9
	v_ashrrev_i32_e32 v2, 31, v1
	s_ashr_i32 s19, s8, 4
	v_lshrrev_b32_e32 v6, 28, v2
	s_add_i32 s19, s19, -1
	s_waitcnt lgkmcnt(0)
	s_mul_i32 s8, s2, s5
	s_mov_b32 s9, 0
	v_add_u32_e32 v2, v1, v6
	s_lshl_b64 s[8:9], s[8:9], 2
	v_ashrrev_i32_e32 v2, 4, v2
	v_mov_b32_e32 v7, s19
	v_cmp_gt_i32_e32 vcc, s33, v1
	s_add_u32 s6, s6, s8
	s_addc_u32 s7, s7, s9
	v_cndmask_b32_e32 v2, v7, v2, vcc
	v_ashrrev_i32_e32 v3, 31, v2
	v_lshl_add_u64 v[4:5], v[2:3], 2, s[6:7]
	v_or_b32_e32 v2, 16, v1
	v_add_u32_e32 v3, v2, v6
	v_ashrrev_i32_e32 v3, 4, v3
	v_cmp_gt_i32_e32 vcc, s33, v2
	s_load_dwordx4 s[8:11], s[0:1], 0x8
	s_nop 0
	v_cndmask_b32_e32 v2, v7, v3, vcc
	v_ashrrev_i32_e32 v3, 31, v2
	v_lshl_add_u64 v[8:9], v[2:3], 2, s[6:7]
	v_or_b32_e32 v2, 32, v1
	v_add_u32_e32 v3, v2, v6
	v_ashrrev_i32_e32 v3, 4, v3
	v_cmp_gt_i32_e32 vcc, s33, v2
	v_or_b32_e32 v1, 48, v1
	s_nop 0
	v_cndmask_b32_e32 v2, v7, v3, vcc
	v_ashrrev_i32_e32 v3, 31, v2
	v_lshl_add_u64 v[12:13], v[2:3], 2, s[6:7]
	v_add_u32_e32 v2, v1, v6
	v_ashrrev_i32_e32 v2, 4, v2
	v_cmp_gt_i32_e32 vcc, s33, v1
	s_nop 1
	v_cndmask_b32_e32 v2, v7, v2, vcc
	v_ashrrev_i32_e32 v3, 31, v2
	v_lshl_add_u64 v[14:15], v[2:3], 2, s[6:7]
	global_load_dword v2, v[4:5], off
	global_load_dword v6, v[8:9], off
	;; [unrolled: 1-line block ×4, first 2 shown]
	s_andn2_b64 vcc, exec, s[14:15]
	s_cbranch_vccnz .LBB487_8
; %bb.6:
	s_add_u32 s12, s12, s16
	s_addc_u32 s13, s13, s17
	s_load_dword s5, s[12:13], 0x0
	s_branch .LBB487_9
.LBB487_7:
	s_mov_b64 s[8:9], 0
	s_branch .LBB487_2
.LBB487_8:
	s_mov_b32 s5, s2
.LBB487_9:
	s_load_dwordx4 s[44:47], s[0:1], 0x48
	v_and_b32_e32 v36, 15, v0
	s_movk_i32 s12, 0xc0
	v_lshlrev_b32_e32 v3, 3, v36
	v_cmp_gt_u32_e32 vcc, s12, v0
	v_cmp_gt_u32_e64 s[30:31], 8, v36
	v_lshrrev_b32_e32 v37, 6, v0
	v_and_b32_e32 v55, 63, v0
	v_bfe_u32 v1, v0, 4, 2
	s_mul_i32 s42, s4, 12
	s_and_b64 s[14:15], vcc, s[30:31]
	v_lshlrev_b32_e32 v34, 1, v3
	s_and_saveexec_b64 s[12:13], s[14:15]
	s_cbranch_execz .LBB487_11
; %bb.10:
	s_load_dwordx2 s[14:15], s[0:1], 0x0
	s_waitcnt lgkmcnt(0)
	s_ashr_i32 s16, s44, 31
	s_mul_hi_u32 s17, s5, s44
	s_mul_i32 s16, s5, s16
	s_add_i32 s17, s17, s16
	s_mul_i32 s16, s5, s44
	v_lshl_or_b32 v3, v37, 2, v1
	s_lshl_b64 s[16:17], s[16:17], 1
	s_add_u32 s14, s14, s16
	v_add_lshl_u32 v4, v3, s42, 6
	s_addc_u32 s15, s15, s17
	v_ashrrev_i32_e32 v5, 31, v4
	v_lshl_add_u64 v[4:5], v[4:5], 1, s[14:15]
	v_mov_b32_e32 v35, 0
	v_lshl_add_u64 v[4:5], v[4:5], 0, v[34:35]
	global_load_dwordx4 v[12:15], v[4:5], off
	v_and_b32_e32 v4, 3, v0
	v_lshlrev_b32_e32 v5, 9, v36
	v_lshlrev_b32_e32 v3, 5, v3
	;; [unrolled: 1-line block ×3, first 2 shown]
	v_and_b32_e32 v5, 0x1800, v5
	v_or3_b32 v3, v5, v4, v3
	s_waitcnt vmcnt(0)
	ds_write_b128 v3, v[12:15]
.LBB487_11:
	s_or_b64 exec, exec, s[12:13]
	s_waitcnt lgkmcnt(0)
	s_mul_i32 s4, s4, s46
	s_mov_b32 s5, 0
	s_lshl_b64 s[4:5], s[4:5], 1
	s_add_u32 s8, s8, s4
	v_lshlrev_b32_e32 v54, 4, v0
	s_addc_u32 s9, s9, s5
	v_and_b32_e32 v30, 0xf0, v54
	v_mov_b32_e32 v31, 0
	v_lshl_add_u64 v[18:19], s[8:9], 0, v[30:31]
	s_waitcnt vmcnt(3)
	v_mad_i64_i32 v[2:3], s[8:9], v2, s45, 0
	v_lshl_add_u64 v[2:3], v[2:3], 1, v[18:19]
	v_and_b32_e32 v30, 0x300, v54
	v_lshl_add_u64 v[14:15], v[2:3], 0, v[30:31]
	s_load_dword s29, s[0:1], 0x98
	s_load_dword s12, s[0:1], 0x1c
	s_waitcnt lgkmcnt(0)
	s_barrier
	global_load_dwordx4 v[2:5], v[14:15], off
	global_load_dwordx4 v[26:29], v[14:15], off offset:1024
	s_waitcnt vmcnt(3)
	v_mad_i64_i32 v[10:11], s[8:9], v10, s45, 0
	v_lshl_add_u64 v[10:11], v[10:11], 1, v[18:19]
	v_lshl_add_u64 v[38:39], v[10:11], 0, v[30:31]
	global_load_dwordx4 v[10:13], v[38:39], off
	global_load_dwordx4 v[56:59], v[38:39], off offset:1024
	v_mad_i64_i32 v[6:7], s[8:9], v6, s45, 0
	v_lshl_add_u64 v[6:7], v[6:7], 1, v[18:19]
	v_lshl_add_u64 v[32:33], v[6:7], 0, v[30:31]
	global_load_dwordx4 v[6:9], v[32:33], off
	global_load_dwordx4 v[46:49], v[32:33], off offset:1024
	s_waitcnt vmcnt(6)
	v_mad_i64_i32 v[16:17], s[8:9], v16, s45, 0
	v_lshl_add_u64 v[16:17], v[16:17], 1, v[18:19]
	v_lshl_add_u64 v[40:41], v[16:17], 0, v[30:31]
	global_load_dwordx4 v[18:21], v[40:41], off
	v_add_u32_e32 v16, -12, v36
	v_cmp_gt_u32_e32 vcc, 12, v36
	global_load_dwordx4 v[38:41], v[40:41], off offset:1024
	v_and_or_b32 v30, v0, 48, s18
	v_cndmask_b32_e32 v16, v16, v36, vcc
	v_lshlrev_b32_e32 v16, 5, v16
	v_lshl_add_u32 v16, v1, 9, v16
	ds_read_b128 v[22:25], v16
	v_mov_b32_e32 v68, s19
	v_cmp_gt_i32_e32 vcc, s33, v30
	v_or_b32_e32 v32, 64, v30
	ds_read_b128 v[14:17], v16 offset:2048
	v_lshlrev_b32_e32 v35, 5, v36
	s_add_u32 s4, s10, s4
	s_addc_u32 s5, s11, s5
	s_mov_b32 s43, 0xff7fffff
	s_waitcnt vmcnt(7) lgkmcnt(1)
	v_mfma_f32_16x16x16_bf16 v[42:45], v[2:3], v[22:23], 0
	v_ashrrev_i32_e32 v2, 4, v30
	v_cndmask_b32_e32 v2, v68, v2, vcc
	v_ashrrev_i32_e32 v3, 31, v2
	s_waitcnt vmcnt(5)
	v_mfma_f32_16x16x16_bf16 v[60:63], v[10:11], v[22:23], 0
	v_lshl_add_u64 v[10:11], v[2:3], 2, s[6:7]
	v_cmp_gt_i32_e32 vcc, s33, v32
	v_mfma_f32_16x16x16_bf16 v[2:5], v[4:5], v[24:25], v[42:45]
	s_nop 2
	global_load_dword v42, v[10:11], off
	s_waitcnt vmcnt(4)
	v_mfma_f32_16x16x16_bf16 v[50:53], v[6:7], v[22:23], 0
	v_ashrrev_i32_e32 v6, 4, v32
	v_cndmask_b32_e32 v6, v68, v6, vcc
	v_ashrrev_i32_e32 v7, 31, v6
	v_lshl_add_u64 v[10:11], v[6:7], 2, s[6:7]
	global_load_dword v43, v[10:11], off
	s_waitcnt vmcnt(3)
	v_mfma_f32_16x16x16_bf16 v[64:67], v[18:19], v[22:23], 0
	v_or_b32_e32 v22, 0x80, v30
	v_or_b32_e32 v23, 0xc0, v30
	v_ashrrev_i32_e32 v30, 4, v22
	v_cmp_gt_i32_e32 vcc, s33, v22
	v_ashrrev_i32_e32 v32, 4, v23
	v_mfma_f32_16x16x16_bf16 v[6:9], v[8:9], v[24:25], v[50:53]
	v_cndmask_b32_e32 v22, v68, v30, vcc
	v_cmp_gt_i32_e32 vcc, s33, v23
	v_ashrrev_i32_e32 v23, 31, v22
	v_mfma_f32_16x16x16_bf16 v[10:13], v[12:13], v[24:25], v[60:63]
	v_lshl_or_b32 v30, v37, 9, v35
	v_mfma_f32_16x16x16_bf16 v[18:21], v[20:21], v[24:25], v[64:67]
	v_cndmask_b32_e32 v24, v68, v32, vcc
	v_ashrrev_i32_e32 v25, 31, v24
	v_lshl_add_u64 v[32:33], v[24:25], 2, s[6:7]
	s_waitcnt lgkmcnt(0)
	v_mfma_f32_16x16x16_bf16 v[2:5], v[26:27], v[14:15], v[2:5]
	v_lshl_add_u64 v[26:27], v[22:23], 2, s[6:7]
	global_load_dword v60, v[26:27], off
	global_load_dword v61, v[32:33], off
	v_mfma_f32_16x16x16_bf16 v[6:9], v[46:47], v[14:15], v[6:9]
	v_mfma_f32_16x16x16_bf16 v[22:25], v[56:57], v[14:15], v[10:13]
	s_waitcnt vmcnt(4)
	v_mfma_f32_16x16x16_bf16 v[18:21], v[38:39], v[14:15], v[18:21]
	s_nop 0
	v_lshl_add_u64 v[10:11], s[4:5], 0, v[30:31]
	s_waitcnt vmcnt(3)
	v_mad_i64_i32 v[26:27], s[4:5], v42, s45, 0
	v_mfma_f32_16x16x16_bf16 v[12:15], v[28:29], v[16:17], v[2:5]
	v_lshl_add_u64 v[30:31], v[26:27], 1, v[10:11]
	s_waitcnt vmcnt(2)
	v_mad_i64_i32 v[32:33], s[4:5], v43, s45, 0
	v_mfma_f32_16x16x16_bf16 v[26:29], v[48:49], v[16:17], v[6:9]
	s_nop 2
	v_pk_mul_f32 v[50:51], s[12:13], v[14:15] op_sel_hi:[0,1]
	v_pk_mul_f32 v[12:13], s[12:13], v[12:13] op_sel_hi:[0,1]
	v_lshl_add_u64 v[56:57], v[32:33], 1, v[10:11]
	v_mfma_f32_16x16x16_bf16 v[22:25], v[58:59], v[16:17], v[22:25]
	global_load_dwordx4 v[6:9], v[30:31], off
	global_load_dwordx4 v[2:5], v[30:31], off offset:16
	v_pk_mul_f32 v[42:43], s[12:13], v[26:27] op_sel_hi:[0,1]
	v_pk_mul_f32 v[52:53], s[12:13], v[28:29] op_sel_hi:[0,1]
	v_mfma_f32_16x16x16_bf16 v[14:17], v[40:41], v[16:17], v[18:21]
	s_nop 1
	v_pk_mul_f32 v[46:47], s[12:13], v[22:23] op_sel_hi:[0,1]
	v_pk_mul_f32 v[48:49], s[12:13], v[24:25] op_sel_hi:[0,1]
	global_load_dwordx4 v[30:33], v[56:57], off
	global_load_dwordx4 v[26:29], v[56:57], off offset:16
	s_nop 0
	v_pk_mul_f32 v[44:45], s[12:13], v[14:15] op_sel_hi:[0,1]
	v_and_b32_e32 v14, 0xc0, v0
	v_add_u32_e32 v14, s18, v14
	v_lshl_or_b32 v14, v1, 2, v14
	v_pk_mul_f32 v[38:39], s[12:13], v[16:17] op_sel_hi:[0,1]
	v_or_b32_e32 v17, 1, v14
	v_mov_b32_e32 v15, 0xff7fffff
	v_cmp_gt_i32_e64 s[4:5], s33, v14
	v_cmp_gt_i32_e64 s[34:35], s33, v17
	v_or_b32_e32 v18, 3, v14
	v_cndmask_b32_e64 v16, v15, v12, s[4:5]
	v_cndmask_b32_e64 v17, v15, v13, s[34:35]
	v_max3_f32 v16, v16, s43, v17
	v_or_b32_e32 v17, 2, v14
	v_cmp_gt_i32_e64 s[36:37], s33, v17
	v_cmp_gt_i32_e64 s[38:39], s33, v18
	s_nop 0
	v_cndmask_b32_e64 v17, v15, v50, s[36:37]
	v_cndmask_b32_e64 v18, v15, v51, s[38:39]
	v_max3_f32 v16, v16, v17, v18
	v_or_b32_e32 v17, 16, v14
	v_or_b32_e32 v18, 17, v14
	v_cmp_gt_i32_e64 s[24:25], s33, v17
	v_cmp_gt_i32_e64 s[26:27], s33, v18
	s_nop 0
	v_cndmask_b32_e64 v17, v15, v42, s[24:25]
	v_cndmask_b32_e64 v18, v15, v43, s[26:27]
	v_max3_f32 v16, v16, v17, v18
	v_or_b32_e32 v17, 18, v14
	;; [unrolled: 8-line block ×6, first 2 shown]
	v_or_b32_e32 v14, 51, v14
	v_cmp_gt_i32_e32 vcc, s33, v17
	v_cmp_gt_i32_e64 s[6:7], s33, v14
	s_nop 0
	v_cndmask_b32_e32 v17, v15, v38, vcc
	v_cndmask_b32_e64 v14, v15, v39, s[6:7]
	v_max3_f32 v16, v16, v17, v14
	v_mbcnt_lo_u32_b32 v14, -1, 0
	v_mbcnt_hi_u32_b32 v17, -1, v14
	v_and_b32_e32 v14, 64, v17
	v_add_u32_e32 v18, 64, v14
	v_xor_b32_e32 v14, 32, v17
	v_cmp_lt_i32_e64 s[40:41], v14, v18
	s_nop 1
	v_cndmask_b32_e64 v14, v17, v14, s[40:41]
	v_lshlrev_b32_e32 v58, 2, v14
	ds_bpermute_b32 v19, v58, v16
	s_waitcnt vmcnt(5)
	v_mad_i64_i32 v[14:15], s[40:41], v60, s45, 0
	v_lshl_add_u64 v[14:15], v[14:15], 1, v[10:11]
	s_waitcnt lgkmcnt(0)
	v_max_f32_e32 v19, v19, v19
	v_max_f32_e32 v16, v16, v19
	v_xor_b32_e32 v19, 16, v17
	v_cmp_lt_i32_e64 s[40:41], v19, v18
	s_nop 1
	v_cndmask_b32_e64 v17, v17, v19, s[40:41]
	v_lshlrev_b32_e32 v57, 2, v17
	ds_bpermute_b32 v17, v57, v16
	global_load_dwordx4 v[22:25], v[14:15], off
	global_load_dwordx4 v[18:21], v[14:15], off offset:16
	s_waitcnt vmcnt(6)
	v_mad_i64_i32 v[14:15], s[40:41], v61, s45, 0
	v_lshl_add_u64 v[10:11], v[14:15], 1, v[10:11]
	s_waitcnt lgkmcnt(0)
	v_max_f32_e32 v14, v17, v17
	v_max_f32_e32 v56, v16, v14
	v_sub_f32_e32 v12, v12, v56
	v_mul_f32_e32 v12, 0x3fb8aa3b, v12
	v_exp_f32_e32 v40, v12
	v_sub_f32_e32 v12, v13, v56
	v_mul_f32_e32 v12, 0x3fb8aa3b, v12
	v_exp_f32_e32 v41, v12
	global_load_dwordx4 v[14:17], v[10:11], off
	s_nop 0
	global_load_dwordx4 v[10:13], v[10:11], off offset:16
	v_sub_f32_e32 v50, v50, v56
	v_mul_f32_e32 v50, 0x3fb8aa3b, v50
	v_sub_f32_e32 v51, v51, v56
	v_exp_f32_e32 v50, v50
	v_mul_f32_e32 v51, 0x3fb8aa3b, v51
	v_sub_f32_e32 v42, v42, v56
	v_exp_f32_e32 v51, v51
	v_mul_f32_e32 v42, 0x3fb8aa3b, v42
	v_sub_f32_e32 v43, v43, v56
	v_cndmask_b32_e64 v40, 0, v40, s[4:5]
	v_exp_f32_e32 v42, v42
	v_mul_f32_e32 v43, 0x3fb8aa3b, v43
	v_sub_f32_e32 v52, v52, v56
	v_add_f32_e32 v59, 0, v40
	v_cndmask_b32_e64 v41, 0, v41, s[34:35]
	v_exp_f32_e32 v43, v43
	v_mul_f32_e32 v52, 0x3fb8aa3b, v52
	v_sub_f32_e32 v53, v53, v56
	v_add_f32_e32 v59, v59, v41
	;; [unrolled: 5-line block ×10, first 2 shown]
	v_cndmask_b32_e64 v48, 0, v48, s[12:13]
	v_exp_f32_e32 v38, v38
	v_mul_f32_e32 v39, 0x3fb8aa3b, v39
	v_add_f32_e32 v59, v59, v48
	v_cndmask_b32_e64 v49, 0, v49, s[14:15]
	v_exp_f32_e32 v39, v39
	v_add_f32_e32 v59, v59, v49
	v_cndmask_b32_e64 v44, 0, v44, s[8:9]
	v_add_f32_e32 v59, v59, v44
	v_cndmask_b32_e64 v45, 0, v45, s[10:11]
	v_add_f32_e32 v59, v59, v45
	v_cndmask_b32_e32 v38, 0, v38, vcc
	v_add_f32_e32 v59, v59, v38
	v_cndmask_b32_e64 v39, 0, v39, s[6:7]
	v_add_f32_e32 v59, v59, v39
	ds_bpermute_b32 v58, v58, v59
	v_cmp_gt_u32_e32 vcc, 16, v55
	s_waitcnt lgkmcnt(0)
	s_barrier
	v_add_f32_e32 v58, v59, v58
	ds_bpermute_b32 v59, v57, v58
	v_lshlrev_b32_e32 v57, 2, v36
	s_and_saveexec_b64 s[4:5], vcc
	s_cbranch_execz .LBB487_13
; %bb.12:
	s_waitcnt lgkmcnt(0)
	v_add_f32_e32 v55, v58, v59
	v_lshl_or_b32 v58, v37, 6, v57
	ds_write2st64_b32 v58, v56, v55 offset1:1
.LBB487_13:
	s_or_b64 exec, exec, s[4:5]
	s_load_dword s6, s[0:1], 0x94
	s_waitcnt lgkmcnt(0)
	s_barrier
	ds_read2_b32 v[58:59], v57 offset1:16
	ds_read2_b32 v[60:61], v57 offset0:32 offset1:48
	ds_read2_b32 v[62:63], v57 offset0:64 offset1:80
	s_movk_i32 s8, 0x7fff
	s_mov_b32 s9, 0x7060302
	s_waitcnt lgkmcnt(2)
	v_max3_f32 v55, v58, s43, v59
	s_waitcnt lgkmcnt(1)
	v_max3_f32 v55, v55, v60, v61
	v_sub_f32_e32 v56, v58, v55
	v_mul_f32_e32 v56, 0x3fb8aa3b, v56
	v_exp_f32_e32 v64, v56
	v_sub_f32_e32 v56, v59, v55
	v_mul_f32_e32 v56, 0x3fb8aa3b, v56
	v_exp_f32_e32 v65, v56
	;; [unrolled: 3-line block ×3, first 2 shown]
	ds_read2_b32 v[58:59], v57 offset0:96 offset1:112
	v_sub_f32_e32 v56, v61, v55
	v_mul_f32_e32 v56, 0x3fb8aa3b, v56
	v_exp_f32_e32 v57, v56
	s_waitcnt lgkmcnt(1)
	v_fma_f32 v56, v64, v62, 0
	v_fmac_f32_e32 v56, v65, v63
	s_waitcnt lgkmcnt(0)
	v_fmac_f32_e32 v56, v60, v58
	v_fmac_f32_e32 v56, v57, v59
	v_add_f32_e32 v58, 0x358637bd, v56
	v_div_scale_f32 v59, s[4:5], v58, v58, 1.0
	v_rcp_f32_e32 v61, v59
	s_barrier
	v_fma_f32 v62, -v59, v61, 1.0
	v_fmac_f32_e32 v61, v62, v61
	v_div_scale_f32 v62, vcc, 1.0, v58, 1.0
	v_mul_f32_e32 v63, v62, v61
	v_fma_f32 v66, -v59, v63, v62
	v_fmac_f32_e32 v63, v66, v61
	v_fma_f32 v59, -v59, v63, v62
	v_div_fmas_f32 v59, v59, v61, v63
	v_cmp_eq_u32_e32 vcc, 1, v37
	v_div_fixup_f32 v58, v59, v58, 1.0
	s_mul_i32 s7, s29, 12
	v_cndmask_b32_e32 v59, v64, v65, vcc
	v_cmp_eq_u32_e32 vcc, 2, v37
	s_nop 1
	v_cndmask_b32_e32 v59, v59, v60, vcc
	v_cmp_eq_u32_e32 vcc, 3, v37
	v_lshlrev_b32_e32 v37, 11, v37
	s_nop 0
	v_cndmask_b32_e32 v57, v59, v57, vcc
	v_mul_f32_e32 v58, v57, v58
	v_pk_mul_f32 v[40:41], v[58:59], v[40:41] op_sel_hi:[0,1]
	v_pk_mul_f32 v[50:51], v[58:59], v[50:51] op_sel_hi:[0,1]
	v_bfe_u32 v57, v41, 16, 1
	v_bfe_u32 v59, v40, 16, 1
	v_add3_u32 v40, v40, v59, s8
	v_add3_u32 v41, v41, v57, s8
	v_perm_b32 v60, v41, v40, s9
	v_bfe_u32 v40, v51, 16, 1
	v_bfe_u32 v41, v50, 16, 1
	v_add3_u32 v41, v50, v41, s8
	v_add3_u32 v40, v51, v40, s8
	v_perm_b32 v61, v40, v41, s9
	v_lshlrev_b32_e32 v40, 3, v1
	v_pk_mul_f32 v[42:43], v[58:59], v[42:43] op_sel_hi:[0,1]
	v_or3_b32 v40, v37, v35, v40
	v_bfe_u32 v37, v43, 16, 1
	v_bfe_u32 v41, v42, 16, 1
	v_pk_mul_f32 v[50:51], v[58:59], v[52:53] op_sel_hi:[0,1]
	v_add3_u32 v41, v42, v41, s8
	v_add3_u32 v37, v43, v37, s8
	v_perm_b32 v42, v37, v41, s9
	v_bfe_u32 v37, v51, 16, 1
	v_bfe_u32 v41, v50, 16, 1
	v_add3_u32 v41, v50, v41, s8
	v_add3_u32 v37, v51, v37, s8
	v_pk_mul_f32 v[46:47], v[58:59], v[46:47] op_sel_hi:[0,1]
	v_perm_b32 v43, v37, v41, s9
	v_bfe_u32 v37, v47, 16, 1
	v_bfe_u32 v41, v46, 16, 1
	ds_write2st64_b64 v40, v[60:61], v[42:43] offset1:1
	v_pk_mul_f32 v[42:43], v[58:59], v[48:49] op_sel_hi:[0,1]
	v_add3_u32 v41, v46, v41, s8
	v_add3_u32 v37, v47, v37, s8
	v_perm_b32 v46, v37, v41, s9
	v_bfe_u32 v37, v43, 16, 1
	v_bfe_u32 v41, v42, 16, 1
	v_add3_u32 v41, v42, v41, s8
	v_add3_u32 v37, v43, v37, s8
	v_pk_mul_f32 v[42:43], v[58:59], v[44:45] op_sel_hi:[0,1]
	v_perm_b32 v47, v37, v41, s9
	v_bfe_u32 v37, v43, 16, 1
	v_bfe_u32 v41, v42, 16, 1
	v_pk_mul_f32 v[38:39], v[58:59], v[38:39] op_sel_hi:[0,1]
	v_add3_u32 v41, v42, v41, s8
	v_add3_u32 v37, v43, v37, s8
	v_perm_b32 v42, v37, v41, s9
	v_bfe_u32 v37, v39, 16, 1
	v_bfe_u32 v41, v38, 16, 1
	v_add3_u32 v38, v38, v41, s8
	v_add3_u32 v37, v39, v37, s8
	v_perm_b32 v43, v37, v38, s9
	v_cmp_gt_u32_e32 vcc, 12, v0
	ds_write2st64_b64 v40, v[46:47], v[42:43] offset0:2 offset1:3
	s_and_saveexec_b64 s[4:5], vcc
	s_cbranch_execz .LBB487_15
; %bb.14:
	s_mov_b32 s43, 0
	v_mov_b32_e32 v37, 0
	v_lshl_add_u64 v[38:39], s[42:43], 0, v[36:37]
	v_mov_b32_e32 v36, s7
	v_mad_u64_u32 v[38:39], s[10:11], s2, v36, v[38:39]
	v_mov_b32_e32 v36, s28
	s_load_dwordx4 s[12:15], s[0:1], 0x58
	s_mul_i32 s3, s3, s7
	v_mad_u64_u32 v[36:37], s[10:11], v38, s6, v[36:37]
	v_add_u32_e32 v39, s3, v39
	v_mov_b32_e32 v38, v37
	v_mad_u64_u32 v[38:39], s[10:11], v39, s6, v[38:39]
	v_mov_b32_e32 v37, v38
	v_lshlrev_b64 v[36:37], 2, v[36:37]
	s_waitcnt lgkmcnt(0)
	v_lshl_add_u64 v[38:39], s[14:15], 0, v[36:37]
	v_lshl_add_u64 v[36:37], s[12:13], 0, v[36:37]
	global_store_dword v[38:39], v55, off
	global_store_dword v[36:37], v56, off
.LBB487_15:
	s_or_b64 exec, exec, s[4:5]
	v_lshl_or_b32 v35, v1, 9, v35
	s_waitcnt lgkmcnt(0)
	s_barrier
	ds_read_b128 v[36:39], v35
	ds_read_b128 v[42:45], v35 offset:16
	s_waitcnt vmcnt(7) lgkmcnt(1)
	v_mfma_f32_16x16x16_bf16 v[46:49], v[6:7], v[36:37], 0
	v_cmp_gt_u32_e32 vcc, 64, v0
	s_mov_b32 s3, 0
	s_and_b64 s[4:5], vcc, s[30:31]
	v_mfma_f32_16x16x16_bf16 v[6:9], v[8:9], v[38:39], v[46:49]
	s_waitcnt vmcnt(6) lgkmcnt(0)
	v_mfma_f32_16x16x16_bf16 v[6:9], v[2:3], v[42:43], v[6:9]
	v_mfma_f32_16x16x16_bf16 v[2:5], v[4:5], v[44:45], v[6:9]
	s_nop 5
	ds_read_b128 v[6:9], v35 offset:2048
	ds_read_b128 v[36:39], v35 offset:2064
	s_waitcnt vmcnt(5) lgkmcnt(1)
	v_mfma_f32_16x16x16_bf16 v[2:5], v[30:31], v[6:7], v[2:5]
	v_mfma_f32_16x16x16_bf16 v[2:5], v[32:33], v[8:9], v[2:5]
	s_waitcnt vmcnt(4) lgkmcnt(0)
	v_mfma_f32_16x16x16_bf16 v[2:5], v[26:27], v[36:37], v[2:5]
	v_mfma_f32_16x16x16_bf16 v[2:5], v[28:29], v[38:39], v[2:5]
	ds_read_b128 v[6:9], v35 offset:4096
	ds_read_b128 v[26:29], v35 offset:4112
	s_waitcnt vmcnt(3) lgkmcnt(1)
	v_mfma_f32_16x16x16_bf16 v[2:5], v[22:23], v[6:7], v[2:5]
	v_mfma_f32_16x16x16_bf16 v[2:5], v[24:25], v[8:9], v[2:5]
	s_waitcnt vmcnt(2) lgkmcnt(0)
	v_mfma_f32_16x16x16_bf16 v[2:5], v[18:19], v[26:27], v[2:5]
	v_mfma_f32_16x16x16_bf16 v[2:5], v[20:21], v[28:29], v[2:5]
	ds_read_b128 v[6:9], v35 offset:6144
	ds_read_b128 v[18:21], v35 offset:6160
	v_mov_b32_e32 v35, 0
	s_waitcnt vmcnt(1) lgkmcnt(0)
	v_mfma_f32_16x16x16_bf16 v[2:5], v[14:15], v[6:7], v[2:5]
	s_barrier
	v_mfma_f32_16x16x16_bf16 v[2:5], v[16:17], v[8:9], v[2:5]
	s_waitcnt vmcnt(0)
	v_mfma_f32_16x16x16_bf16 v[2:5], v[10:11], v[18:19], v[2:5]
	v_mfma_f32_16x16x16_bf16 v[2:5], v[12:13], v[20:21], v[2:5]
	s_nop 6
	v_bfe_u32 v6, v3, 16, 1
	v_bfe_u32 v7, v2, 16, 1
	;; [unrolled: 1-line block ×4, first 2 shown]
	v_add3_u32 v2, v2, v7, s8
	v_add3_u32 v3, v3, v6, s8
	;; [unrolled: 1-line block ×4, first 2 shown]
	v_perm_b32 v2, v3, v2, s9
	v_perm_b32 v3, v5, v4, s9
	ds_write_b64 v40, v[2:3]
	s_waitcnt lgkmcnt(0)
	s_barrier
	s_and_saveexec_b64 s[8:9], s[4:5]
	s_cbranch_execz .LBB487_17
; %bb.16:
	s_load_dwordx2 s[0:1], s[0:1], 0x68
	s_lshl_b32 s6, s6, 6
	s_mul_i32 s2, s7, s2
	s_mul_hi_u32 s5, s2, s6
	s_mul_i32 s4, s2, s6
	s_lshl_b64 s[4:5], s[4:5], 1
	s_waitcnt lgkmcnt(0)
	s_add_u32 s4, s0, s4
	v_lshlrev_b32_e32 v0, 10, v0
	s_addc_u32 s5, s1, s5
	s_lshl_b32 s2, s28, 6
	v_and_b32_e32 v0, 0x1800, v0
	v_lshlrev_b32_e32 v2, 5, v1
	v_and_b32_e32 v3, 16, v54
	s_lshl_b64 s[0:1], s[2:3], 1
	v_or3_b32 v0, v0, v2, v3
	s_add_u32 s0, s4, s0
	ds_read_b128 v[2:5], v0
	ds_read_b128 v[6:9], v0 offset:128
	ds_read_b128 v[10:13], v0 offset:256
	s_addc_u32 s1, s5, s1
	v_or_b32_e32 v16, s42, v1
	v_lshl_add_u64 v[0:1], s[0:1], 0, v[34:35]
	v_mad_u64_u32 v[14:15], s[0:1], v16, s6, 0
	v_lshl_add_u64 v[14:15], v[14:15], 1, v[0:1]
	s_waitcnt lgkmcnt(2)
	global_store_dwordx4 v[14:15], v[2:5], off
	s_nop 1
	v_add_u32_e32 v2, 4, v16
	v_mad_u64_u32 v[2:3], s[0:1], v2, s6, 0
	v_lshl_add_u64 v[2:3], v[2:3], 1, v[0:1]
	s_waitcnt lgkmcnt(1)
	global_store_dwordx4 v[2:3], v[6:9], off
	v_add_u32_e32 v2, 8, v16
	v_mad_u64_u32 v[2:3], s[0:1], v2, s6, 0
	v_lshl_add_u64 v[0:1], v[2:3], 1, v[0:1]
	s_waitcnt lgkmcnt(0)
	global_store_dwordx4 v[0:1], v[10:13], off
.LBB487_17:
	s_endpgm
	.section	.rodata,"a",@progbits
	.p2align	6, 0x0
	.amdhsa_kernel _Z39paged_attention_ll4mi_QKV_mfma16_kernelI14__hip_bfloat16S0_LN4vllm18Fp8KVCacheDataTypeE0ES0_Li16ELi64ELi256ELb0ELi12EEvPKT_PKT0_S8_ifPKiSA_SA_iPKfiiiPfSD_PS3_PT2_iSC_SC_
		.amdhsa_group_segment_fixed_size 8192
		.amdhsa_private_segment_fixed_size 0
		.amdhsa_kernarg_size 400
		.amdhsa_user_sgpr_count 2
		.amdhsa_user_sgpr_dispatch_ptr 0
		.amdhsa_user_sgpr_queue_ptr 0
		.amdhsa_user_sgpr_kernarg_segment_ptr 1
		.amdhsa_user_sgpr_dispatch_id 0
		.amdhsa_user_sgpr_kernarg_preload_length 0
		.amdhsa_user_sgpr_kernarg_preload_offset 0
		.amdhsa_user_sgpr_private_segment_size 0
		.amdhsa_uses_dynamic_stack 0
		.amdhsa_enable_private_segment 0
		.amdhsa_system_sgpr_workgroup_id_x 1
		.amdhsa_system_sgpr_workgroup_id_y 1
		.amdhsa_system_sgpr_workgroup_id_z 1
		.amdhsa_system_sgpr_workgroup_info 0
		.amdhsa_system_vgpr_workitem_id 0
		.amdhsa_next_free_vgpr 69
		.amdhsa_next_free_sgpr 48
		.amdhsa_accum_offset 72
		.amdhsa_reserve_vcc 1
		.amdhsa_float_round_mode_32 0
		.amdhsa_float_round_mode_16_64 0
		.amdhsa_float_denorm_mode_32 3
		.amdhsa_float_denorm_mode_16_64 3
		.amdhsa_dx10_clamp 1
		.amdhsa_ieee_mode 1
		.amdhsa_fp16_overflow 0
		.amdhsa_tg_split 0
		.amdhsa_exception_fp_ieee_invalid_op 0
		.amdhsa_exception_fp_denorm_src 0
		.amdhsa_exception_fp_ieee_div_zero 0
		.amdhsa_exception_fp_ieee_overflow 0
		.amdhsa_exception_fp_ieee_underflow 0
		.amdhsa_exception_fp_ieee_inexact 0
		.amdhsa_exception_int_div_zero 0
	.end_amdhsa_kernel
	.section	.text._Z39paged_attention_ll4mi_QKV_mfma16_kernelI14__hip_bfloat16S0_LN4vllm18Fp8KVCacheDataTypeE0ES0_Li16ELi64ELi256ELb0ELi12EEvPKT_PKT0_S8_ifPKiSA_SA_iPKfiiiPfSD_PS3_PT2_iSC_SC_,"axG",@progbits,_Z39paged_attention_ll4mi_QKV_mfma16_kernelI14__hip_bfloat16S0_LN4vllm18Fp8KVCacheDataTypeE0ES0_Li16ELi64ELi256ELb0ELi12EEvPKT_PKT0_S8_ifPKiSA_SA_iPKfiiiPfSD_PS3_PT2_iSC_SC_,comdat
.Lfunc_end487:
	.size	_Z39paged_attention_ll4mi_QKV_mfma16_kernelI14__hip_bfloat16S0_LN4vllm18Fp8KVCacheDataTypeE0ES0_Li16ELi64ELi256ELb0ELi12EEvPKT_PKT0_S8_ifPKiSA_SA_iPKfiiiPfSD_PS3_PT2_iSC_SC_, .Lfunc_end487-_Z39paged_attention_ll4mi_QKV_mfma16_kernelI14__hip_bfloat16S0_LN4vllm18Fp8KVCacheDataTypeE0ES0_Li16ELi64ELi256ELb0ELi12EEvPKT_PKT0_S8_ifPKiSA_SA_iPKfiiiPfSD_PS3_PT2_iSC_SC_
                                        ; -- End function
	.section	.AMDGPU.csdata,"",@progbits
; Kernel info:
; codeLenInByte = 4064
; NumSgprs: 54
; NumVgprs: 69
; NumAgprs: 0
; TotalNumVgprs: 69
; ScratchSize: 0
; MemoryBound: 0
; FloatMode: 240
; IeeeMode: 1
; LDSByteSize: 8192 bytes/workgroup (compile time only)
; SGPRBlocks: 6
; VGPRBlocks: 8
; NumSGPRsForWavesPerEU: 54
; NumVGPRsForWavesPerEU: 69
; AccumOffset: 72
; Occupancy: 7
; WaveLimiterHint : 1
; COMPUTE_PGM_RSRC2:SCRATCH_EN: 0
; COMPUTE_PGM_RSRC2:USER_SGPR: 2
; COMPUTE_PGM_RSRC2:TRAP_HANDLER: 0
; COMPUTE_PGM_RSRC2:TGID_X_EN: 1
; COMPUTE_PGM_RSRC2:TGID_Y_EN: 1
; COMPUTE_PGM_RSRC2:TGID_Z_EN: 1
; COMPUTE_PGM_RSRC2:TIDIG_COMP_CNT: 0
; COMPUTE_PGM_RSRC3_GFX90A:ACCUM_OFFSET: 17
; COMPUTE_PGM_RSRC3_GFX90A:TG_SPLIT: 0
	.section	.text._Z39paged_attention_ll4mi_QKV_mfma16_kernelI14__hip_bfloat16S0_LN4vllm18Fp8KVCacheDataTypeE0ES0_Li16ELi64ELi256ELb0ELi13EEvPKT_PKT0_S8_ifPKiSA_SA_iPKfiiiPfSD_PS3_PT2_iSC_SC_,"axG",@progbits,_Z39paged_attention_ll4mi_QKV_mfma16_kernelI14__hip_bfloat16S0_LN4vllm18Fp8KVCacheDataTypeE0ES0_Li16ELi64ELi256ELb0ELi13EEvPKT_PKT0_S8_ifPKiSA_SA_iPKfiiiPfSD_PS3_PT2_iSC_SC_,comdat
	.protected	_Z39paged_attention_ll4mi_QKV_mfma16_kernelI14__hip_bfloat16S0_LN4vllm18Fp8KVCacheDataTypeE0ES0_Li16ELi64ELi256ELb0ELi13EEvPKT_PKT0_S8_ifPKiSA_SA_iPKfiiiPfSD_PS3_PT2_iSC_SC_ ; -- Begin function _Z39paged_attention_ll4mi_QKV_mfma16_kernelI14__hip_bfloat16S0_LN4vllm18Fp8KVCacheDataTypeE0ES0_Li16ELi64ELi256ELb0ELi13EEvPKT_PKT0_S8_ifPKiSA_SA_iPKfiiiPfSD_PS3_PT2_iSC_SC_
	.globl	_Z39paged_attention_ll4mi_QKV_mfma16_kernelI14__hip_bfloat16S0_LN4vllm18Fp8KVCacheDataTypeE0ES0_Li16ELi64ELi256ELb0ELi13EEvPKT_PKT0_S8_ifPKiSA_SA_iPKfiiiPfSD_PS3_PT2_iSC_SC_
	.p2align	8
	.type	_Z39paged_attention_ll4mi_QKV_mfma16_kernelI14__hip_bfloat16S0_LN4vllm18Fp8KVCacheDataTypeE0ES0_Li16ELi64ELi256ELb0ELi13EEvPKT_PKT0_S8_ifPKiSA_SA_iPKfiiiPfSD_PS3_PT2_iSC_SC_,@function
_Z39paged_attention_ll4mi_QKV_mfma16_kernelI14__hip_bfloat16S0_LN4vllm18Fp8KVCacheDataTypeE0ES0_Li16ELi64ELi256ELb0ELi13EEvPKT_PKT0_S8_ifPKiSA_SA_iPKfiiiPfSD_PS3_PT2_iSC_SC_: ; @_Z39paged_attention_ll4mi_QKV_mfma16_kernelI14__hip_bfloat16S0_LN4vllm18Fp8KVCacheDataTypeE0ES0_Li16ELi64ELi256ELb0ELi13EEvPKT_PKT0_S8_ifPKiSA_SA_iPKfiiiPfSD_PS3_PT2_iSC_SC_
; %bb.0:
	s_load_dwordx2 s[12:13], s[0:1], 0x30
	s_mov_b32 s28, s3
	s_mov_b64 s[6:7], 0
	s_waitcnt lgkmcnt(0)
	s_cmp_lg_u64 s[12:13], 0
	s_cselect_b64 s[14:15], -1, 0
	s_and_b64 vcc, exec, s[14:15]
	s_cbranch_vccz .LBB488_7
; %bb.1:
	s_add_i32 s8, s2, 1
	s_mov_b32 s9, 0
	s_lshl_b64 s[10:11], s[8:9], 2
	s_add_u32 s10, s12, s10
	s_mov_b32 s3, s9
	s_addc_u32 s11, s13, s11
	s_lshl_b64 s[8:9], s[2:3], 2
	s_add_u32 s8, s12, s8
	s_addc_u32 s9, s13, s9
	s_load_dword s5, s[10:11], 0x0
	s_load_dword s16, s[8:9], 0x0
	s_waitcnt lgkmcnt(0)
	s_sub_i32 s5, s5, s16
	s_cmp_eq_u32 s5, 1
	s_cselect_b64 s[8:9], -1, 0
	s_andn2_b64 vcc, exec, s[6:7]
	s_cbranch_vccnz .LBB488_3
.LBB488_2:
	s_mov_b32 s3, 0
	s_mov_b64 s[8:9], -1
.LBB488_3:
	s_andn2_b64 vcc, exec, s[8:9]
	s_cbranch_vccnz .LBB488_18
; %bb.4:
	s_load_dwordx2 s[6:7], s[0:1], 0x28
	s_lshl_b64 s[16:17], s[2:3], 2
	s_waitcnt lgkmcnt(0)
	s_add_u32 s6, s6, s16
	s_addc_u32 s7, s7, s17
	s_load_dword s33, s[6:7], 0x0
	s_lshl_b32 s18, s28, 8
	s_waitcnt lgkmcnt(0)
	s_cmp_ge_i32 s18, s33
	s_cbranch_scc1 .LBB488_18
; %bb.5:
	s_load_dwordx2 s[6:7], s[0:1], 0x20
	s_load_dword s5, s[0:1], 0x38
	s_add_i32 s8, s33, 15
	s_ashr_i32 s9, s8, 31
	v_and_b32_e32 v1, 0xcf, v0
	s_lshr_b32 s9, s9, 28
	v_add_u32_e32 v1, s18, v1
	s_add_i32 s8, s8, s9
	v_ashrrev_i32_e32 v2, 31, v1
	s_ashr_i32 s19, s8, 4
	v_lshrrev_b32_e32 v6, 28, v2
	s_add_i32 s19, s19, -1
	s_waitcnt lgkmcnt(0)
	s_mul_i32 s8, s2, s5
	s_mov_b32 s9, 0
	v_add_u32_e32 v2, v1, v6
	s_lshl_b64 s[8:9], s[8:9], 2
	v_ashrrev_i32_e32 v2, 4, v2
	v_mov_b32_e32 v7, s19
	v_cmp_gt_i32_e32 vcc, s33, v1
	s_add_u32 s6, s6, s8
	s_addc_u32 s7, s7, s9
	v_cndmask_b32_e32 v2, v7, v2, vcc
	v_ashrrev_i32_e32 v3, 31, v2
	v_lshl_add_u64 v[4:5], v[2:3], 2, s[6:7]
	v_or_b32_e32 v2, 16, v1
	v_add_u32_e32 v3, v2, v6
	v_ashrrev_i32_e32 v3, 4, v3
	v_cmp_gt_i32_e32 vcc, s33, v2
	s_load_dwordx4 s[8:11], s[0:1], 0x8
	s_nop 0
	v_cndmask_b32_e32 v2, v7, v3, vcc
	v_ashrrev_i32_e32 v3, 31, v2
	v_lshl_add_u64 v[8:9], v[2:3], 2, s[6:7]
	v_or_b32_e32 v2, 32, v1
	v_add_u32_e32 v3, v2, v6
	v_ashrrev_i32_e32 v3, 4, v3
	v_cmp_gt_i32_e32 vcc, s33, v2
	v_or_b32_e32 v1, 48, v1
	s_nop 0
	v_cndmask_b32_e32 v2, v7, v3, vcc
	v_ashrrev_i32_e32 v3, 31, v2
	v_lshl_add_u64 v[12:13], v[2:3], 2, s[6:7]
	v_add_u32_e32 v2, v1, v6
	v_ashrrev_i32_e32 v2, 4, v2
	v_cmp_gt_i32_e32 vcc, s33, v1
	s_nop 1
	v_cndmask_b32_e32 v2, v7, v2, vcc
	v_ashrrev_i32_e32 v3, 31, v2
	v_lshl_add_u64 v[14:15], v[2:3], 2, s[6:7]
	global_load_dword v2, v[4:5], off
	global_load_dword v6, v[8:9], off
	;; [unrolled: 1-line block ×4, first 2 shown]
	s_andn2_b64 vcc, exec, s[14:15]
	s_cbranch_vccnz .LBB488_8
; %bb.6:
	s_add_u32 s12, s12, s16
	s_addc_u32 s13, s13, s17
	s_load_dword s5, s[12:13], 0x0
	s_branch .LBB488_9
.LBB488_7:
	s_mov_b64 s[8:9], 0
	s_branch .LBB488_2
.LBB488_8:
	s_mov_b32 s5, s2
.LBB488_9:
	s_load_dwordx4 s[44:47], s[0:1], 0x48
	v_lshrrev_b32_e32 v37, 6, v0
	v_bfe_u32 v54, v0, 4, 2
	v_lshl_or_b32 v1, v37, 2, v54
	v_and_b32_e32 v36, 15, v0
	v_lshlrev_b32_e32 v3, 3, v36
	v_cmp_gt_u32_e32 vcc, 13, v1
	v_cmp_gt_u32_e64 s[30:31], 8, v36
	v_and_b32_e32 v55, 63, v0
	s_mul_i32 s42, s4, 13
	s_and_b64 s[14:15], s[30:31], vcc
	v_lshlrev_b32_e32 v34, 1, v3
	s_and_saveexec_b64 s[12:13], s[14:15]
	s_cbranch_execz .LBB488_11
; %bb.10:
	s_load_dwordx2 s[14:15], s[0:1], 0x0
	s_waitcnt lgkmcnt(0)
	s_ashr_i32 s16, s44, 31
	s_mul_hi_u32 s17, s5, s44
	s_mul_i32 s16, s5, s16
	s_add_i32 s17, s17, s16
	s_mul_i32 s16, s5, s44
	s_lshl_b64 s[16:17], s[16:17], 1
	s_add_u32 s14, s14, s16
	v_add_lshl_u32 v4, v1, s42, 6
	s_addc_u32 s15, s15, s17
	v_ashrrev_i32_e32 v5, 31, v4
	v_lshl_add_u64 v[4:5], v[4:5], 1, s[14:15]
	v_mov_b32_e32 v35, 0
	v_lshl_add_u64 v[4:5], v[4:5], 0, v[34:35]
	global_load_dwordx4 v[12:15], v[4:5], off
	v_and_b32_e32 v3, 3, v0
	v_lshlrev_b32_e32 v4, 9, v36
	v_lshlrev_b32_e32 v1, 5, v1
	;; [unrolled: 1-line block ×3, first 2 shown]
	v_and_b32_e32 v4, 0x1800, v4
	v_or3_b32 v1, v4, v3, v1
	s_waitcnt vmcnt(0)
	ds_write_b128 v1, v[12:15]
.LBB488_11:
	s_or_b64 exec, exec, s[12:13]
	s_waitcnt lgkmcnt(0)
	s_mul_i32 s4, s4, s46
	s_mov_b32 s5, 0
	s_lshl_b64 s[4:5], s[4:5], 1
	s_add_u32 s8, s8, s4
	v_lshlrev_b32_e32 v1, 4, v0
	s_addc_u32 s9, s9, s5
	v_and_b32_e32 v30, 0xf0, v1
	v_mov_b32_e32 v31, 0
	v_lshl_add_u64 v[18:19], s[8:9], 0, v[30:31]
	s_waitcnt vmcnt(3)
	v_mad_i64_i32 v[2:3], s[8:9], v2, s45, 0
	v_lshl_add_u64 v[2:3], v[2:3], 1, v[18:19]
	v_and_b32_e32 v30, 0x300, v1
	v_lshl_add_u64 v[14:15], v[2:3], 0, v[30:31]
	s_load_dword s29, s[0:1], 0x98
	s_load_dword s12, s[0:1], 0x1c
	s_waitcnt lgkmcnt(0)
	s_barrier
	global_load_dwordx4 v[2:5], v[14:15], off
	global_load_dwordx4 v[26:29], v[14:15], off offset:1024
	s_waitcnt vmcnt(3)
	v_mad_i64_i32 v[10:11], s[8:9], v10, s45, 0
	v_lshl_add_u64 v[10:11], v[10:11], 1, v[18:19]
	v_lshl_add_u64 v[38:39], v[10:11], 0, v[30:31]
	global_load_dwordx4 v[10:13], v[38:39], off
	global_load_dwordx4 v[56:59], v[38:39], off offset:1024
	v_mad_i64_i32 v[6:7], s[8:9], v6, s45, 0
	v_lshl_add_u64 v[6:7], v[6:7], 1, v[18:19]
	v_lshl_add_u64 v[32:33], v[6:7], 0, v[30:31]
	global_load_dwordx4 v[6:9], v[32:33], off
	global_load_dwordx4 v[46:49], v[32:33], off offset:1024
	s_waitcnt vmcnt(6)
	v_mad_i64_i32 v[16:17], s[8:9], v16, s45, 0
	v_lshl_add_u64 v[16:17], v[16:17], 1, v[18:19]
	v_lshl_add_u64 v[40:41], v[16:17], 0, v[30:31]
	global_load_dwordx4 v[18:21], v[40:41], off
	v_add_u32_e32 v16, -13, v36
	v_cmp_gt_u32_e32 vcc, 13, v36
	global_load_dwordx4 v[38:41], v[40:41], off offset:1024
	v_and_or_b32 v30, v0, 48, s18
	v_cndmask_b32_e32 v16, v16, v36, vcc
	v_lshlrev_b32_e32 v16, 5, v16
	v_lshl_add_u32 v16, v54, 9, v16
	ds_read_b128 v[22:25], v16
	v_mov_b32_e32 v68, s19
	v_cmp_gt_i32_e32 vcc, s33, v30
	v_or_b32_e32 v32, 64, v30
	ds_read_b128 v[14:17], v16 offset:2048
	v_lshlrev_b32_e32 v35, 5, v36
	s_add_u32 s4, s10, s4
	s_addc_u32 s5, s11, s5
	s_mov_b32 s43, 0xff7fffff
	s_waitcnt vmcnt(7) lgkmcnt(1)
	v_mfma_f32_16x16x16_bf16 v[42:45], v[2:3], v[22:23], 0
	v_ashrrev_i32_e32 v2, 4, v30
	v_cndmask_b32_e32 v2, v68, v2, vcc
	v_ashrrev_i32_e32 v3, 31, v2
	s_waitcnt vmcnt(5)
	v_mfma_f32_16x16x16_bf16 v[60:63], v[10:11], v[22:23], 0
	v_lshl_add_u64 v[10:11], v[2:3], 2, s[6:7]
	v_cmp_gt_i32_e32 vcc, s33, v32
	v_mfma_f32_16x16x16_bf16 v[2:5], v[4:5], v[24:25], v[42:45]
	s_nop 2
	global_load_dword v42, v[10:11], off
	s_waitcnt vmcnt(4)
	v_mfma_f32_16x16x16_bf16 v[50:53], v[6:7], v[22:23], 0
	v_ashrrev_i32_e32 v6, 4, v32
	v_cndmask_b32_e32 v6, v68, v6, vcc
	v_ashrrev_i32_e32 v7, 31, v6
	v_lshl_add_u64 v[10:11], v[6:7], 2, s[6:7]
	global_load_dword v43, v[10:11], off
	s_waitcnt vmcnt(3)
	v_mfma_f32_16x16x16_bf16 v[64:67], v[18:19], v[22:23], 0
	v_or_b32_e32 v22, 0x80, v30
	v_or_b32_e32 v23, 0xc0, v30
	v_ashrrev_i32_e32 v30, 4, v22
	v_cmp_gt_i32_e32 vcc, s33, v22
	v_ashrrev_i32_e32 v32, 4, v23
	v_mfma_f32_16x16x16_bf16 v[6:9], v[8:9], v[24:25], v[50:53]
	v_cndmask_b32_e32 v22, v68, v30, vcc
	v_cmp_gt_i32_e32 vcc, s33, v23
	v_ashrrev_i32_e32 v23, 31, v22
	v_mfma_f32_16x16x16_bf16 v[10:13], v[12:13], v[24:25], v[60:63]
	v_lshl_or_b32 v30, v37, 9, v35
	v_mfma_f32_16x16x16_bf16 v[18:21], v[20:21], v[24:25], v[64:67]
	v_cndmask_b32_e32 v24, v68, v32, vcc
	v_ashrrev_i32_e32 v25, 31, v24
	v_lshl_add_u64 v[32:33], v[24:25], 2, s[6:7]
	s_waitcnt lgkmcnt(0)
	v_mfma_f32_16x16x16_bf16 v[2:5], v[26:27], v[14:15], v[2:5]
	v_lshl_add_u64 v[26:27], v[22:23], 2, s[6:7]
	global_load_dword v60, v[26:27], off
	global_load_dword v61, v[32:33], off
	v_mfma_f32_16x16x16_bf16 v[6:9], v[46:47], v[14:15], v[6:9]
	v_mfma_f32_16x16x16_bf16 v[22:25], v[56:57], v[14:15], v[10:13]
	s_waitcnt vmcnt(4)
	v_mfma_f32_16x16x16_bf16 v[18:21], v[38:39], v[14:15], v[18:21]
	s_nop 0
	v_lshl_add_u64 v[10:11], s[4:5], 0, v[30:31]
	s_waitcnt vmcnt(3)
	v_mad_i64_i32 v[26:27], s[4:5], v42, s45, 0
	v_mfma_f32_16x16x16_bf16 v[12:15], v[28:29], v[16:17], v[2:5]
	v_lshl_add_u64 v[30:31], v[26:27], 1, v[10:11]
	s_waitcnt vmcnt(2)
	v_mad_i64_i32 v[32:33], s[4:5], v43, s45, 0
	v_mfma_f32_16x16x16_bf16 v[26:29], v[48:49], v[16:17], v[6:9]
	s_nop 2
	v_pk_mul_f32 v[50:51], s[12:13], v[14:15] op_sel_hi:[0,1]
	v_pk_mul_f32 v[12:13], s[12:13], v[12:13] op_sel_hi:[0,1]
	v_lshl_add_u64 v[56:57], v[32:33], 1, v[10:11]
	v_mfma_f32_16x16x16_bf16 v[22:25], v[58:59], v[16:17], v[22:25]
	global_load_dwordx4 v[6:9], v[30:31], off
	global_load_dwordx4 v[2:5], v[30:31], off offset:16
	v_pk_mul_f32 v[42:43], s[12:13], v[26:27] op_sel_hi:[0,1]
	v_pk_mul_f32 v[52:53], s[12:13], v[28:29] op_sel_hi:[0,1]
	v_mfma_f32_16x16x16_bf16 v[14:17], v[40:41], v[16:17], v[18:21]
	s_nop 1
	v_pk_mul_f32 v[46:47], s[12:13], v[22:23] op_sel_hi:[0,1]
	v_pk_mul_f32 v[48:49], s[12:13], v[24:25] op_sel_hi:[0,1]
	global_load_dwordx4 v[30:33], v[56:57], off
	global_load_dwordx4 v[26:29], v[56:57], off offset:16
	s_nop 0
	v_pk_mul_f32 v[44:45], s[12:13], v[14:15] op_sel_hi:[0,1]
	v_and_b32_e32 v14, 0xc0, v0
	v_add_u32_e32 v14, s18, v14
	v_lshl_or_b32 v14, v54, 2, v14
	v_pk_mul_f32 v[38:39], s[12:13], v[16:17] op_sel_hi:[0,1]
	v_or_b32_e32 v17, 1, v14
	v_mov_b32_e32 v15, 0xff7fffff
	v_cmp_gt_i32_e64 s[4:5], s33, v14
	v_cmp_gt_i32_e64 s[34:35], s33, v17
	v_or_b32_e32 v18, 3, v14
	v_cndmask_b32_e64 v16, v15, v12, s[4:5]
	v_cndmask_b32_e64 v17, v15, v13, s[34:35]
	v_max3_f32 v16, v16, s43, v17
	v_or_b32_e32 v17, 2, v14
	v_cmp_gt_i32_e64 s[36:37], s33, v17
	v_cmp_gt_i32_e64 s[38:39], s33, v18
	s_nop 0
	v_cndmask_b32_e64 v17, v15, v50, s[36:37]
	v_cndmask_b32_e64 v18, v15, v51, s[38:39]
	v_max3_f32 v16, v16, v17, v18
	v_or_b32_e32 v17, 16, v14
	v_or_b32_e32 v18, 17, v14
	v_cmp_gt_i32_e64 s[24:25], s33, v17
	v_cmp_gt_i32_e64 s[26:27], s33, v18
	s_nop 0
	v_cndmask_b32_e64 v17, v15, v42, s[24:25]
	v_cndmask_b32_e64 v18, v15, v43, s[26:27]
	v_max3_f32 v16, v16, v17, v18
	v_or_b32_e32 v17, 18, v14
	;; [unrolled: 8-line block ×6, first 2 shown]
	v_or_b32_e32 v14, 51, v14
	v_cmp_gt_i32_e32 vcc, s33, v17
	v_cmp_gt_i32_e64 s[6:7], s33, v14
	s_nop 0
	v_cndmask_b32_e32 v17, v15, v38, vcc
	v_cndmask_b32_e64 v14, v15, v39, s[6:7]
	v_max3_f32 v16, v16, v17, v14
	v_mbcnt_lo_u32_b32 v14, -1, 0
	v_mbcnt_hi_u32_b32 v17, -1, v14
	v_and_b32_e32 v14, 64, v17
	v_add_u32_e32 v18, 64, v14
	v_xor_b32_e32 v14, 32, v17
	v_cmp_lt_i32_e64 s[40:41], v14, v18
	s_nop 1
	v_cndmask_b32_e64 v14, v17, v14, s[40:41]
	v_lshlrev_b32_e32 v58, 2, v14
	ds_bpermute_b32 v19, v58, v16
	s_waitcnt vmcnt(5)
	v_mad_i64_i32 v[14:15], s[40:41], v60, s45, 0
	v_lshl_add_u64 v[14:15], v[14:15], 1, v[10:11]
	s_waitcnt lgkmcnt(0)
	v_max_f32_e32 v19, v19, v19
	v_max_f32_e32 v16, v16, v19
	v_xor_b32_e32 v19, 16, v17
	v_cmp_lt_i32_e64 s[40:41], v19, v18
	s_nop 1
	v_cndmask_b32_e64 v17, v17, v19, s[40:41]
	v_lshlrev_b32_e32 v57, 2, v17
	ds_bpermute_b32 v17, v57, v16
	global_load_dwordx4 v[22:25], v[14:15], off
	global_load_dwordx4 v[18:21], v[14:15], off offset:16
	s_waitcnt vmcnt(6)
	v_mad_i64_i32 v[14:15], s[40:41], v61, s45, 0
	v_lshl_add_u64 v[10:11], v[14:15], 1, v[10:11]
	s_waitcnt lgkmcnt(0)
	v_max_f32_e32 v14, v17, v17
	v_max_f32_e32 v56, v16, v14
	v_sub_f32_e32 v12, v12, v56
	v_mul_f32_e32 v12, 0x3fb8aa3b, v12
	v_exp_f32_e32 v40, v12
	v_sub_f32_e32 v12, v13, v56
	v_mul_f32_e32 v12, 0x3fb8aa3b, v12
	v_exp_f32_e32 v41, v12
	global_load_dwordx4 v[14:17], v[10:11], off
	s_nop 0
	global_load_dwordx4 v[10:13], v[10:11], off offset:16
	v_sub_f32_e32 v50, v50, v56
	v_mul_f32_e32 v50, 0x3fb8aa3b, v50
	v_sub_f32_e32 v51, v51, v56
	v_exp_f32_e32 v50, v50
	v_mul_f32_e32 v51, 0x3fb8aa3b, v51
	v_sub_f32_e32 v42, v42, v56
	v_exp_f32_e32 v51, v51
	v_mul_f32_e32 v42, 0x3fb8aa3b, v42
	v_sub_f32_e32 v43, v43, v56
	v_cndmask_b32_e64 v40, 0, v40, s[4:5]
	v_exp_f32_e32 v42, v42
	v_mul_f32_e32 v43, 0x3fb8aa3b, v43
	v_sub_f32_e32 v52, v52, v56
	v_add_f32_e32 v59, 0, v40
	v_cndmask_b32_e64 v41, 0, v41, s[34:35]
	v_exp_f32_e32 v43, v43
	v_mul_f32_e32 v52, 0x3fb8aa3b, v52
	v_sub_f32_e32 v53, v53, v56
	v_add_f32_e32 v59, v59, v41
	;; [unrolled: 5-line block ×10, first 2 shown]
	v_cndmask_b32_e64 v48, 0, v48, s[12:13]
	v_exp_f32_e32 v38, v38
	v_mul_f32_e32 v39, 0x3fb8aa3b, v39
	v_add_f32_e32 v59, v59, v48
	v_cndmask_b32_e64 v49, 0, v49, s[14:15]
	v_exp_f32_e32 v39, v39
	v_add_f32_e32 v59, v59, v49
	v_cndmask_b32_e64 v44, 0, v44, s[8:9]
	v_add_f32_e32 v59, v59, v44
	v_cndmask_b32_e64 v45, 0, v45, s[10:11]
	v_add_f32_e32 v59, v59, v45
	v_cndmask_b32_e32 v38, 0, v38, vcc
	v_add_f32_e32 v59, v59, v38
	v_cndmask_b32_e64 v39, 0, v39, s[6:7]
	v_add_f32_e32 v59, v59, v39
	ds_bpermute_b32 v58, v58, v59
	v_cmp_gt_u32_e64 s[6:7], 16, v55
	s_waitcnt lgkmcnt(0)
	s_barrier
	v_add_f32_e32 v58, v59, v58
	ds_bpermute_b32 v59, v57, v58
	v_lshlrev_b32_e32 v57, 2, v36
	s_and_saveexec_b64 s[4:5], s[6:7]
	s_cbranch_execz .LBB488_13
; %bb.12:
	s_waitcnt lgkmcnt(0)
	v_add_f32_e32 v55, v58, v59
	v_lshl_or_b32 v58, v37, 6, v57
	ds_write2st64_b32 v58, v56, v55 offset1:1
.LBB488_13:
	s_or_b64 exec, exec, s[4:5]
	s_load_dword s8, s[0:1], 0x94
	s_waitcnt lgkmcnt(0)
	s_barrier
	ds_read2_b32 v[58:59], v57 offset1:16
	ds_read2_b32 v[60:61], v57 offset0:32 offset1:48
	ds_read2_b32 v[62:63], v57 offset0:64 offset1:80
	s_movk_i32 s10, 0x7fff
	s_mov_b32 s11, 0x7060302
	s_waitcnt lgkmcnt(2)
	v_max3_f32 v55, v58, s43, v59
	s_waitcnt lgkmcnt(1)
	v_max3_f32 v55, v55, v60, v61
	v_sub_f32_e32 v56, v58, v55
	v_mul_f32_e32 v56, 0x3fb8aa3b, v56
	v_exp_f32_e32 v64, v56
	v_sub_f32_e32 v56, v59, v55
	v_mul_f32_e32 v56, 0x3fb8aa3b, v56
	v_exp_f32_e32 v65, v56
	;; [unrolled: 3-line block ×3, first 2 shown]
	ds_read2_b32 v[58:59], v57 offset0:96 offset1:112
	v_sub_f32_e32 v56, v61, v55
	v_mul_f32_e32 v56, 0x3fb8aa3b, v56
	v_exp_f32_e32 v57, v56
	s_waitcnt lgkmcnt(1)
	v_fma_f32 v56, v64, v62, 0
	v_fmac_f32_e32 v56, v65, v63
	s_waitcnt lgkmcnt(0)
	v_fmac_f32_e32 v56, v60, v58
	v_fmac_f32_e32 v56, v57, v59
	v_add_f32_e32 v58, 0x358637bd, v56
	v_div_scale_f32 v59, s[4:5], v58, v58, 1.0
	v_rcp_f32_e32 v61, v59
	s_barrier
	v_fma_f32 v62, -v59, v61, 1.0
	v_fmac_f32_e32 v61, v62, v61
	v_div_scale_f32 v62, vcc, 1.0, v58, 1.0
	v_mul_f32_e32 v63, v62, v61
	v_fma_f32 v66, -v59, v63, v62
	v_fmac_f32_e32 v63, v66, v61
	v_fma_f32 v59, -v59, v63, v62
	v_div_fmas_f32 v59, v59, v61, v63
	v_cmp_eq_u32_e32 vcc, 1, v37
	v_div_fixup_f32 v58, v59, v58, 1.0
	s_mul_i32 s9, s29, 13
	v_cndmask_b32_e32 v59, v64, v65, vcc
	v_cmp_eq_u32_e32 vcc, 2, v37
	s_nop 1
	v_cndmask_b32_e32 v59, v59, v60, vcc
	v_cmp_eq_u32_e32 vcc, 3, v37
	v_lshlrev_b32_e32 v37, 11, v37
	s_nop 0
	v_cndmask_b32_e32 v57, v59, v57, vcc
	v_mul_f32_e32 v58, v57, v58
	v_pk_mul_f32 v[40:41], v[58:59], v[40:41] op_sel_hi:[0,1]
	v_pk_mul_f32 v[50:51], v[58:59], v[50:51] op_sel_hi:[0,1]
	v_bfe_u32 v57, v41, 16, 1
	v_bfe_u32 v59, v40, 16, 1
	v_add3_u32 v40, v40, v59, s10
	v_add3_u32 v41, v41, v57, s10
	v_perm_b32 v60, v41, v40, s11
	v_bfe_u32 v40, v51, 16, 1
	v_bfe_u32 v41, v50, 16, 1
	v_add3_u32 v41, v50, v41, s10
	v_add3_u32 v40, v51, v40, s10
	v_perm_b32 v61, v40, v41, s11
	v_lshlrev_b32_e32 v40, 3, v54
	v_pk_mul_f32 v[42:43], v[58:59], v[42:43] op_sel_hi:[0,1]
	v_or3_b32 v40, v37, v35, v40
	v_bfe_u32 v37, v43, 16, 1
	v_bfe_u32 v41, v42, 16, 1
	v_pk_mul_f32 v[50:51], v[58:59], v[52:53] op_sel_hi:[0,1]
	v_add3_u32 v41, v42, v41, s10
	v_add3_u32 v37, v43, v37, s10
	v_perm_b32 v42, v37, v41, s11
	v_bfe_u32 v37, v51, 16, 1
	v_bfe_u32 v41, v50, 16, 1
	v_add3_u32 v41, v50, v41, s10
	v_add3_u32 v37, v51, v37, s10
	v_pk_mul_f32 v[46:47], v[58:59], v[46:47] op_sel_hi:[0,1]
	v_perm_b32 v43, v37, v41, s11
	v_bfe_u32 v37, v47, 16, 1
	v_bfe_u32 v41, v46, 16, 1
	ds_write2st64_b64 v40, v[60:61], v[42:43] offset1:1
	v_pk_mul_f32 v[42:43], v[58:59], v[48:49] op_sel_hi:[0,1]
	v_add3_u32 v41, v46, v41, s10
	v_add3_u32 v37, v47, v37, s10
	v_perm_b32 v46, v37, v41, s11
	v_bfe_u32 v37, v43, 16, 1
	v_bfe_u32 v41, v42, 16, 1
	v_add3_u32 v41, v42, v41, s10
	v_add3_u32 v37, v43, v37, s10
	v_pk_mul_f32 v[42:43], v[58:59], v[44:45] op_sel_hi:[0,1]
	v_perm_b32 v47, v37, v41, s11
	v_bfe_u32 v37, v43, 16, 1
	v_bfe_u32 v41, v42, 16, 1
	v_pk_mul_f32 v[38:39], v[58:59], v[38:39] op_sel_hi:[0,1]
	v_add3_u32 v41, v42, v41, s10
	v_add3_u32 v37, v43, v37, s10
	v_perm_b32 v42, v37, v41, s11
	v_bfe_u32 v37, v39, 16, 1
	v_bfe_u32 v41, v38, 16, 1
	v_add3_u32 v38, v38, v41, s10
	v_add3_u32 v37, v39, v37, s10
	v_perm_b32 v43, v37, v38, s11
	v_cmp_gt_u32_e32 vcc, 13, v0
	ds_write2st64_b64 v40, v[46:47], v[42:43] offset0:2 offset1:3
	s_and_saveexec_b64 s[4:5], vcc
	s_cbranch_execz .LBB488_15
; %bb.14:
	s_mov_b32 s43, 0
	v_mov_b32_e32 v37, 0
	v_lshl_add_u64 v[38:39], s[42:43], 0, v[36:37]
	v_mov_b32_e32 v36, s9
	v_mad_u64_u32 v[38:39], s[16:17], s2, v36, v[38:39]
	v_mov_b32_e32 v36, s28
	s_load_dwordx4 s[12:15], s[0:1], 0x58
	s_mul_i32 s3, s3, s9
	v_mad_u64_u32 v[36:37], s[16:17], v38, s8, v[36:37]
	v_add_u32_e32 v39, s3, v39
	v_mov_b32_e32 v38, v37
	v_mad_u64_u32 v[38:39], s[16:17], v39, s8, v[38:39]
	v_mov_b32_e32 v37, v38
	v_lshlrev_b64 v[36:37], 2, v[36:37]
	s_waitcnt lgkmcnt(0)
	v_lshl_add_u64 v[38:39], s[14:15], 0, v[36:37]
	v_lshl_add_u64 v[36:37], s[12:13], 0, v[36:37]
	global_store_dword v[38:39], v55, off
	global_store_dword v[36:37], v56, off
.LBB488_15:
	s_or_b64 exec, exec, s[4:5]
	v_lshl_or_b32 v35, v54, 9, v35
	s_waitcnt lgkmcnt(0)
	s_barrier
	ds_read_b128 v[36:39], v35
	ds_read_b128 v[42:45], v35 offset:16
	s_waitcnt vmcnt(7) lgkmcnt(1)
	v_mfma_f32_16x16x16_bf16 v[46:49], v[6:7], v[36:37], 0
	v_cmp_gt_u32_e32 vcc, 64, v0
	s_mov_b32 s3, 0
	s_and_b64 s[4:5], vcc, s[30:31]
	v_mfma_f32_16x16x16_bf16 v[6:9], v[8:9], v[38:39], v[46:49]
	s_waitcnt vmcnt(6) lgkmcnt(0)
	v_mfma_f32_16x16x16_bf16 v[6:9], v[2:3], v[42:43], v[6:9]
	v_mfma_f32_16x16x16_bf16 v[2:5], v[4:5], v[44:45], v[6:9]
	s_nop 5
	ds_read_b128 v[6:9], v35 offset:2048
	ds_read_b128 v[36:39], v35 offset:2064
	s_waitcnt vmcnt(5) lgkmcnt(1)
	v_mfma_f32_16x16x16_bf16 v[2:5], v[30:31], v[6:7], v[2:5]
	v_mfma_f32_16x16x16_bf16 v[2:5], v[32:33], v[8:9], v[2:5]
	s_waitcnt vmcnt(4) lgkmcnt(0)
	v_mfma_f32_16x16x16_bf16 v[2:5], v[26:27], v[36:37], v[2:5]
	v_mfma_f32_16x16x16_bf16 v[2:5], v[28:29], v[38:39], v[2:5]
	ds_read_b128 v[6:9], v35 offset:4096
	ds_read_b128 v[26:29], v35 offset:4112
	s_waitcnt vmcnt(3) lgkmcnt(1)
	v_mfma_f32_16x16x16_bf16 v[2:5], v[22:23], v[6:7], v[2:5]
	v_mfma_f32_16x16x16_bf16 v[2:5], v[24:25], v[8:9], v[2:5]
	s_waitcnt vmcnt(2) lgkmcnt(0)
	v_mfma_f32_16x16x16_bf16 v[2:5], v[18:19], v[26:27], v[2:5]
	v_mfma_f32_16x16x16_bf16 v[2:5], v[20:21], v[28:29], v[2:5]
	ds_read_b128 v[6:9], v35 offset:6144
	ds_read_b128 v[18:21], v35 offset:6160
	v_mov_b32_e32 v35, 0
	s_waitcnt vmcnt(1) lgkmcnt(0)
	v_mfma_f32_16x16x16_bf16 v[2:5], v[14:15], v[6:7], v[2:5]
	s_barrier
	v_mfma_f32_16x16x16_bf16 v[2:5], v[16:17], v[8:9], v[2:5]
	s_waitcnt vmcnt(0)
	v_mfma_f32_16x16x16_bf16 v[2:5], v[10:11], v[18:19], v[2:5]
	v_mfma_f32_16x16x16_bf16 v[2:5], v[12:13], v[20:21], v[2:5]
	s_nop 6
	v_bfe_u32 v6, v3, 16, 1
	v_bfe_u32 v7, v2, 16, 1
	;; [unrolled: 1-line block ×4, first 2 shown]
	v_add3_u32 v2, v2, v7, s10
	v_add3_u32 v3, v3, v6, s10
	;; [unrolled: 1-line block ×4, first 2 shown]
	v_perm_b32 v2, v3, v2, s11
	v_perm_b32 v3, v5, v4, s11
	ds_write_b64 v40, v[2:3]
	s_waitcnt lgkmcnt(0)
	s_barrier
	s_and_saveexec_b64 s[10:11], s[4:5]
	s_cbranch_execz .LBB488_18
; %bb.16:
	s_load_dwordx2 s[4:5], s[0:1], 0x68
	s_lshl_b32 s0, s8, 6
	s_mul_i32 s1, s9, s2
	s_mul_hi_u32 s9, s1, s0
	s_mul_i32 s8, s1, s0
	v_lshlrev_b32_e32 v0, 10, v0
	s_lshl_b64 s[8:9], s[8:9], 1
	v_and_b32_e32 v0, 0x1800, v0
	v_lshlrev_b32_e32 v2, 5, v54
	v_and_b32_e32 v1, 16, v1
	s_waitcnt lgkmcnt(0)
	s_add_u32 s1, s4, s8
	v_or3_b32 v2, v0, v2, v1
	s_addc_u32 s4, s5, s9
	s_lshl_b32 s2, s28, 6
	ds_read_b128 v[4:7], v2 offset:256
	s_lshl_b64 s[2:3], s[2:3], 1
	ds_read_b128 v[8:11], v2 offset:128
	ds_read_b128 v[12:15], v2
	s_add_u32 s2, s1, s2
	s_addc_u32 s3, s4, s3
	v_add_u32_e32 v3, s42, v54
	v_lshl_add_u64 v[0:1], s[2:3], 0, v[34:35]
	v_mad_u64_u32 v[16:17], s[2:3], v3, s0, 0
	v_lshl_add_u64 v[16:17], v[16:17], 1, v[0:1]
	s_waitcnt lgkmcnt(0)
	global_store_dwordx4 v[16:17], v[12:15], off
	s_nop 1
	v_add_u32_e32 v12, 4, v3
	v_mad_u64_u32 v[12:13], s[2:3], v12, s0, 0
	v_lshl_add_u64 v[12:13], v[12:13], 1, v[0:1]
	v_add_u32_e32 v3, 8, v3
	global_store_dwordx4 v[12:13], v[8:11], off
	s_nop 1
	v_mad_u64_u32 v[8:9], s[2:3], v3, s0, 0
	v_lshl_add_u64 v[8:9], v[8:9], 1, v[0:1]
	global_store_dwordx4 v[8:9], v[4:7], off
	s_and_b64 exec, exec, s[6:7]
	s_cbranch_execz .LBB488_18
; %bb.17:
	ds_read_b128 v[2:5], v2 offset:384
	v_add3_u32 v6, s42, v54, 12
	v_mad_u64_u32 v[6:7], s[0:1], v6, s0, 0
	v_lshl_add_u64 v[0:1], v[6:7], 1, v[0:1]
	s_waitcnt lgkmcnt(0)
	global_store_dwordx4 v[0:1], v[2:5], off
.LBB488_18:
	s_endpgm
	.section	.rodata,"a",@progbits
	.p2align	6, 0x0
	.amdhsa_kernel _Z39paged_attention_ll4mi_QKV_mfma16_kernelI14__hip_bfloat16S0_LN4vllm18Fp8KVCacheDataTypeE0ES0_Li16ELi64ELi256ELb0ELi13EEvPKT_PKT0_S8_ifPKiSA_SA_iPKfiiiPfSD_PS3_PT2_iSC_SC_
		.amdhsa_group_segment_fixed_size 8192
		.amdhsa_private_segment_fixed_size 0
		.amdhsa_kernarg_size 400
		.amdhsa_user_sgpr_count 2
		.amdhsa_user_sgpr_dispatch_ptr 0
		.amdhsa_user_sgpr_queue_ptr 0
		.amdhsa_user_sgpr_kernarg_segment_ptr 1
		.amdhsa_user_sgpr_dispatch_id 0
		.amdhsa_user_sgpr_kernarg_preload_length 0
		.amdhsa_user_sgpr_kernarg_preload_offset 0
		.amdhsa_user_sgpr_private_segment_size 0
		.amdhsa_uses_dynamic_stack 0
		.amdhsa_enable_private_segment 0
		.amdhsa_system_sgpr_workgroup_id_x 1
		.amdhsa_system_sgpr_workgroup_id_y 1
		.amdhsa_system_sgpr_workgroup_id_z 1
		.amdhsa_system_sgpr_workgroup_info 0
		.amdhsa_system_vgpr_workitem_id 0
		.amdhsa_next_free_vgpr 69
		.amdhsa_next_free_sgpr 48
		.amdhsa_accum_offset 72
		.amdhsa_reserve_vcc 1
		.amdhsa_float_round_mode_32 0
		.amdhsa_float_round_mode_16_64 0
		.amdhsa_float_denorm_mode_32 3
		.amdhsa_float_denorm_mode_16_64 3
		.amdhsa_dx10_clamp 1
		.amdhsa_ieee_mode 1
		.amdhsa_fp16_overflow 0
		.amdhsa_tg_split 0
		.amdhsa_exception_fp_ieee_invalid_op 0
		.amdhsa_exception_fp_denorm_src 0
		.amdhsa_exception_fp_ieee_div_zero 0
		.amdhsa_exception_fp_ieee_overflow 0
		.amdhsa_exception_fp_ieee_underflow 0
		.amdhsa_exception_fp_ieee_inexact 0
		.amdhsa_exception_int_div_zero 0
	.end_amdhsa_kernel
	.section	.text._Z39paged_attention_ll4mi_QKV_mfma16_kernelI14__hip_bfloat16S0_LN4vllm18Fp8KVCacheDataTypeE0ES0_Li16ELi64ELi256ELb0ELi13EEvPKT_PKT0_S8_ifPKiSA_SA_iPKfiiiPfSD_PS3_PT2_iSC_SC_,"axG",@progbits,_Z39paged_attention_ll4mi_QKV_mfma16_kernelI14__hip_bfloat16S0_LN4vllm18Fp8KVCacheDataTypeE0ES0_Li16ELi64ELi256ELb0ELi13EEvPKT_PKT0_S8_ifPKiSA_SA_iPKfiiiPfSD_PS3_PT2_iSC_SC_,comdat
.Lfunc_end488:
	.size	_Z39paged_attention_ll4mi_QKV_mfma16_kernelI14__hip_bfloat16S0_LN4vllm18Fp8KVCacheDataTypeE0ES0_Li16ELi64ELi256ELb0ELi13EEvPKT_PKT0_S8_ifPKiSA_SA_iPKfiiiPfSD_PS3_PT2_iSC_SC_, .Lfunc_end488-_Z39paged_attention_ll4mi_QKV_mfma16_kernelI14__hip_bfloat16S0_LN4vllm18Fp8KVCacheDataTypeE0ES0_Li16ELi64ELi256ELb0ELi13EEvPKT_PKT0_S8_ifPKiSA_SA_iPKfiiiPfSD_PS3_PT2_iSC_SC_
                                        ; -- End function
	.section	.AMDGPU.csdata,"",@progbits
; Kernel info:
; codeLenInByte = 4112
; NumSgprs: 54
; NumVgprs: 69
; NumAgprs: 0
; TotalNumVgprs: 69
; ScratchSize: 0
; MemoryBound: 0
; FloatMode: 240
; IeeeMode: 1
; LDSByteSize: 8192 bytes/workgroup (compile time only)
; SGPRBlocks: 6
; VGPRBlocks: 8
; NumSGPRsForWavesPerEU: 54
; NumVGPRsForWavesPerEU: 69
; AccumOffset: 72
; Occupancy: 7
; WaveLimiterHint : 1
; COMPUTE_PGM_RSRC2:SCRATCH_EN: 0
; COMPUTE_PGM_RSRC2:USER_SGPR: 2
; COMPUTE_PGM_RSRC2:TRAP_HANDLER: 0
; COMPUTE_PGM_RSRC2:TGID_X_EN: 1
; COMPUTE_PGM_RSRC2:TGID_Y_EN: 1
; COMPUTE_PGM_RSRC2:TGID_Z_EN: 1
; COMPUTE_PGM_RSRC2:TIDIG_COMP_CNT: 0
; COMPUTE_PGM_RSRC3_GFX90A:ACCUM_OFFSET: 17
; COMPUTE_PGM_RSRC3_GFX90A:TG_SPLIT: 0
	.section	.text._Z39paged_attention_ll4mi_QKV_mfma16_kernelI14__hip_bfloat16S0_LN4vllm18Fp8KVCacheDataTypeE0ES0_Li16ELi64ELi256ELb0ELi14EEvPKT_PKT0_S8_ifPKiSA_SA_iPKfiiiPfSD_PS3_PT2_iSC_SC_,"axG",@progbits,_Z39paged_attention_ll4mi_QKV_mfma16_kernelI14__hip_bfloat16S0_LN4vllm18Fp8KVCacheDataTypeE0ES0_Li16ELi64ELi256ELb0ELi14EEvPKT_PKT0_S8_ifPKiSA_SA_iPKfiiiPfSD_PS3_PT2_iSC_SC_,comdat
	.protected	_Z39paged_attention_ll4mi_QKV_mfma16_kernelI14__hip_bfloat16S0_LN4vllm18Fp8KVCacheDataTypeE0ES0_Li16ELi64ELi256ELb0ELi14EEvPKT_PKT0_S8_ifPKiSA_SA_iPKfiiiPfSD_PS3_PT2_iSC_SC_ ; -- Begin function _Z39paged_attention_ll4mi_QKV_mfma16_kernelI14__hip_bfloat16S0_LN4vllm18Fp8KVCacheDataTypeE0ES0_Li16ELi64ELi256ELb0ELi14EEvPKT_PKT0_S8_ifPKiSA_SA_iPKfiiiPfSD_PS3_PT2_iSC_SC_
	.globl	_Z39paged_attention_ll4mi_QKV_mfma16_kernelI14__hip_bfloat16S0_LN4vllm18Fp8KVCacheDataTypeE0ES0_Li16ELi64ELi256ELb0ELi14EEvPKT_PKT0_S8_ifPKiSA_SA_iPKfiiiPfSD_PS3_PT2_iSC_SC_
	.p2align	8
	.type	_Z39paged_attention_ll4mi_QKV_mfma16_kernelI14__hip_bfloat16S0_LN4vllm18Fp8KVCacheDataTypeE0ES0_Li16ELi64ELi256ELb0ELi14EEvPKT_PKT0_S8_ifPKiSA_SA_iPKfiiiPfSD_PS3_PT2_iSC_SC_,@function
_Z39paged_attention_ll4mi_QKV_mfma16_kernelI14__hip_bfloat16S0_LN4vllm18Fp8KVCacheDataTypeE0ES0_Li16ELi64ELi256ELb0ELi14EEvPKT_PKT0_S8_ifPKiSA_SA_iPKfiiiPfSD_PS3_PT2_iSC_SC_: ; @_Z39paged_attention_ll4mi_QKV_mfma16_kernelI14__hip_bfloat16S0_LN4vllm18Fp8KVCacheDataTypeE0ES0_Li16ELi64ELi256ELb0ELi14EEvPKT_PKT0_S8_ifPKiSA_SA_iPKfiiiPfSD_PS3_PT2_iSC_SC_
; %bb.0:
	s_load_dwordx2 s[12:13], s[0:1], 0x30
	s_mov_b32 s28, s3
	s_mov_b64 s[6:7], 0
	s_waitcnt lgkmcnt(0)
	s_cmp_lg_u64 s[12:13], 0
	s_cselect_b64 s[14:15], -1, 0
	s_and_b64 vcc, exec, s[14:15]
	s_cbranch_vccz .LBB489_7
; %bb.1:
	s_add_i32 s8, s2, 1
	s_mov_b32 s9, 0
	s_lshl_b64 s[10:11], s[8:9], 2
	s_add_u32 s10, s12, s10
	s_mov_b32 s3, s9
	s_addc_u32 s11, s13, s11
	s_lshl_b64 s[8:9], s[2:3], 2
	s_add_u32 s8, s12, s8
	s_addc_u32 s9, s13, s9
	s_load_dword s5, s[10:11], 0x0
	s_load_dword s16, s[8:9], 0x0
	s_waitcnt lgkmcnt(0)
	s_sub_i32 s5, s5, s16
	s_cmp_eq_u32 s5, 1
	s_cselect_b64 s[8:9], -1, 0
	s_andn2_b64 vcc, exec, s[6:7]
	s_cbranch_vccnz .LBB489_3
.LBB489_2:
	s_mov_b32 s3, 0
	s_mov_b64 s[8:9], -1
.LBB489_3:
	s_andn2_b64 vcc, exec, s[8:9]
	s_cbranch_vccnz .LBB489_18
; %bb.4:
	s_load_dwordx2 s[6:7], s[0:1], 0x28
	s_lshl_b64 s[16:17], s[2:3], 2
	s_waitcnt lgkmcnt(0)
	s_add_u32 s6, s6, s16
	s_addc_u32 s7, s7, s17
	s_load_dword s33, s[6:7], 0x0
	s_lshl_b32 s18, s28, 8
	s_waitcnt lgkmcnt(0)
	s_cmp_ge_i32 s18, s33
	s_cbranch_scc1 .LBB489_18
; %bb.5:
	s_load_dwordx2 s[6:7], s[0:1], 0x20
	s_load_dword s5, s[0:1], 0x38
	s_add_i32 s8, s33, 15
	s_ashr_i32 s9, s8, 31
	v_and_b32_e32 v1, 0xcf, v0
	s_lshr_b32 s9, s9, 28
	v_add_u32_e32 v1, s18, v1
	s_add_i32 s8, s8, s9
	v_ashrrev_i32_e32 v2, 31, v1
	s_ashr_i32 s19, s8, 4
	v_lshrrev_b32_e32 v6, 28, v2
	s_add_i32 s19, s19, -1
	s_waitcnt lgkmcnt(0)
	s_mul_i32 s8, s2, s5
	s_mov_b32 s9, 0
	v_add_u32_e32 v2, v1, v6
	s_lshl_b64 s[8:9], s[8:9], 2
	v_ashrrev_i32_e32 v2, 4, v2
	v_mov_b32_e32 v7, s19
	v_cmp_gt_i32_e32 vcc, s33, v1
	s_add_u32 s6, s6, s8
	s_addc_u32 s7, s7, s9
	v_cndmask_b32_e32 v2, v7, v2, vcc
	v_ashrrev_i32_e32 v3, 31, v2
	v_lshl_add_u64 v[4:5], v[2:3], 2, s[6:7]
	v_or_b32_e32 v2, 16, v1
	v_add_u32_e32 v3, v2, v6
	v_ashrrev_i32_e32 v3, 4, v3
	v_cmp_gt_i32_e32 vcc, s33, v2
	s_load_dwordx4 s[8:11], s[0:1], 0x8
	s_nop 0
	v_cndmask_b32_e32 v2, v7, v3, vcc
	v_ashrrev_i32_e32 v3, 31, v2
	v_lshl_add_u64 v[8:9], v[2:3], 2, s[6:7]
	v_or_b32_e32 v2, 32, v1
	v_add_u32_e32 v3, v2, v6
	v_ashrrev_i32_e32 v3, 4, v3
	v_cmp_gt_i32_e32 vcc, s33, v2
	v_or_b32_e32 v1, 48, v1
	s_nop 0
	v_cndmask_b32_e32 v2, v7, v3, vcc
	v_ashrrev_i32_e32 v3, 31, v2
	v_lshl_add_u64 v[12:13], v[2:3], 2, s[6:7]
	v_add_u32_e32 v2, v1, v6
	v_ashrrev_i32_e32 v2, 4, v2
	v_cmp_gt_i32_e32 vcc, s33, v1
	s_nop 1
	v_cndmask_b32_e32 v2, v7, v2, vcc
	v_ashrrev_i32_e32 v3, 31, v2
	v_lshl_add_u64 v[14:15], v[2:3], 2, s[6:7]
	global_load_dword v2, v[4:5], off
	global_load_dword v6, v[8:9], off
	;; [unrolled: 1-line block ×4, first 2 shown]
	s_andn2_b64 vcc, exec, s[14:15]
	s_cbranch_vccnz .LBB489_8
; %bb.6:
	s_add_u32 s12, s12, s16
	s_addc_u32 s13, s13, s17
	s_load_dword s5, s[12:13], 0x0
	s_branch .LBB489_9
.LBB489_7:
	s_mov_b64 s[8:9], 0
	s_branch .LBB489_2
.LBB489_8:
	s_mov_b32 s5, s2
.LBB489_9:
	s_load_dwordx4 s[44:47], s[0:1], 0x48
	v_lshrrev_b32_e32 v37, 6, v0
	v_bfe_u32 v54, v0, 4, 2
	v_lshl_or_b32 v1, v37, 2, v54
	v_and_b32_e32 v36, 15, v0
	v_lshlrev_b32_e32 v3, 3, v36
	v_cmp_gt_u32_e32 vcc, 14, v1
	v_cmp_gt_u32_e64 s[30:31], 8, v36
	v_and_b32_e32 v55, 63, v0
	s_mul_i32 s42, s4, 14
	s_and_b64 s[14:15], s[30:31], vcc
	v_lshlrev_b32_e32 v34, 1, v3
	s_and_saveexec_b64 s[12:13], s[14:15]
	s_cbranch_execz .LBB489_11
; %bb.10:
	s_load_dwordx2 s[14:15], s[0:1], 0x0
	s_waitcnt lgkmcnt(0)
	s_ashr_i32 s16, s44, 31
	s_mul_hi_u32 s17, s5, s44
	s_mul_i32 s16, s5, s16
	s_add_i32 s17, s17, s16
	s_mul_i32 s16, s5, s44
	s_lshl_b64 s[16:17], s[16:17], 1
	s_add_u32 s14, s14, s16
	v_add_lshl_u32 v4, v1, s42, 6
	s_addc_u32 s15, s15, s17
	v_ashrrev_i32_e32 v5, 31, v4
	v_lshl_add_u64 v[4:5], v[4:5], 1, s[14:15]
	v_mov_b32_e32 v35, 0
	v_lshl_add_u64 v[4:5], v[4:5], 0, v[34:35]
	global_load_dwordx4 v[12:15], v[4:5], off
	v_and_b32_e32 v3, 3, v0
	v_lshlrev_b32_e32 v4, 9, v36
	v_lshlrev_b32_e32 v1, 5, v1
	;; [unrolled: 1-line block ×3, first 2 shown]
	v_and_b32_e32 v4, 0x1800, v4
	v_or3_b32 v1, v4, v3, v1
	s_waitcnt vmcnt(0)
	ds_write_b128 v1, v[12:15]
.LBB489_11:
	s_or_b64 exec, exec, s[12:13]
	s_waitcnt lgkmcnt(0)
	s_mul_i32 s4, s4, s46
	s_mov_b32 s5, 0
	s_lshl_b64 s[4:5], s[4:5], 1
	s_add_u32 s8, s8, s4
	v_lshlrev_b32_e32 v1, 4, v0
	s_addc_u32 s9, s9, s5
	v_and_b32_e32 v30, 0xf0, v1
	v_mov_b32_e32 v31, 0
	v_lshl_add_u64 v[18:19], s[8:9], 0, v[30:31]
	s_waitcnt vmcnt(3)
	v_mad_i64_i32 v[2:3], s[8:9], v2, s45, 0
	v_lshl_add_u64 v[2:3], v[2:3], 1, v[18:19]
	v_and_b32_e32 v30, 0x300, v1
	v_lshl_add_u64 v[14:15], v[2:3], 0, v[30:31]
	s_load_dword s29, s[0:1], 0x98
	s_load_dword s12, s[0:1], 0x1c
	s_waitcnt lgkmcnt(0)
	s_barrier
	global_load_dwordx4 v[2:5], v[14:15], off
	global_load_dwordx4 v[26:29], v[14:15], off offset:1024
	s_waitcnt vmcnt(3)
	v_mad_i64_i32 v[10:11], s[8:9], v10, s45, 0
	v_lshl_add_u64 v[10:11], v[10:11], 1, v[18:19]
	v_lshl_add_u64 v[38:39], v[10:11], 0, v[30:31]
	global_load_dwordx4 v[10:13], v[38:39], off
	global_load_dwordx4 v[56:59], v[38:39], off offset:1024
	v_mad_i64_i32 v[6:7], s[8:9], v6, s45, 0
	v_lshl_add_u64 v[6:7], v[6:7], 1, v[18:19]
	v_lshl_add_u64 v[32:33], v[6:7], 0, v[30:31]
	global_load_dwordx4 v[6:9], v[32:33], off
	global_load_dwordx4 v[46:49], v[32:33], off offset:1024
	s_waitcnt vmcnt(6)
	v_mad_i64_i32 v[16:17], s[8:9], v16, s45, 0
	v_lshl_add_u64 v[16:17], v[16:17], 1, v[18:19]
	v_lshl_add_u64 v[40:41], v[16:17], 0, v[30:31]
	global_load_dwordx4 v[18:21], v[40:41], off
	v_add_u32_e32 v16, -14, v36
	v_cmp_gt_u32_e32 vcc, 14, v36
	global_load_dwordx4 v[38:41], v[40:41], off offset:1024
	v_and_or_b32 v30, v0, 48, s18
	v_cndmask_b32_e32 v16, v16, v36, vcc
	v_lshlrev_b32_e32 v16, 5, v16
	v_lshl_add_u32 v16, v54, 9, v16
	ds_read_b128 v[22:25], v16
	v_mov_b32_e32 v68, s19
	v_cmp_gt_i32_e32 vcc, s33, v30
	v_or_b32_e32 v32, 64, v30
	ds_read_b128 v[14:17], v16 offset:2048
	v_lshlrev_b32_e32 v35, 5, v36
	s_add_u32 s4, s10, s4
	s_addc_u32 s5, s11, s5
	s_mov_b32 s43, 0xff7fffff
	s_waitcnt vmcnt(7) lgkmcnt(1)
	v_mfma_f32_16x16x16_bf16 v[42:45], v[2:3], v[22:23], 0
	v_ashrrev_i32_e32 v2, 4, v30
	v_cndmask_b32_e32 v2, v68, v2, vcc
	v_ashrrev_i32_e32 v3, 31, v2
	s_waitcnt vmcnt(5)
	v_mfma_f32_16x16x16_bf16 v[60:63], v[10:11], v[22:23], 0
	v_lshl_add_u64 v[10:11], v[2:3], 2, s[6:7]
	v_cmp_gt_i32_e32 vcc, s33, v32
	v_mfma_f32_16x16x16_bf16 v[2:5], v[4:5], v[24:25], v[42:45]
	s_nop 2
	global_load_dword v42, v[10:11], off
	s_waitcnt vmcnt(4)
	v_mfma_f32_16x16x16_bf16 v[50:53], v[6:7], v[22:23], 0
	v_ashrrev_i32_e32 v6, 4, v32
	v_cndmask_b32_e32 v6, v68, v6, vcc
	v_ashrrev_i32_e32 v7, 31, v6
	v_lshl_add_u64 v[10:11], v[6:7], 2, s[6:7]
	global_load_dword v43, v[10:11], off
	s_waitcnt vmcnt(3)
	v_mfma_f32_16x16x16_bf16 v[64:67], v[18:19], v[22:23], 0
	v_or_b32_e32 v22, 0x80, v30
	v_or_b32_e32 v23, 0xc0, v30
	v_ashrrev_i32_e32 v30, 4, v22
	v_cmp_gt_i32_e32 vcc, s33, v22
	v_ashrrev_i32_e32 v32, 4, v23
	v_mfma_f32_16x16x16_bf16 v[6:9], v[8:9], v[24:25], v[50:53]
	v_cndmask_b32_e32 v22, v68, v30, vcc
	v_cmp_gt_i32_e32 vcc, s33, v23
	v_ashrrev_i32_e32 v23, 31, v22
	v_mfma_f32_16x16x16_bf16 v[10:13], v[12:13], v[24:25], v[60:63]
	v_lshl_or_b32 v30, v37, 9, v35
	v_mfma_f32_16x16x16_bf16 v[18:21], v[20:21], v[24:25], v[64:67]
	v_cndmask_b32_e32 v24, v68, v32, vcc
	v_ashrrev_i32_e32 v25, 31, v24
	v_lshl_add_u64 v[32:33], v[24:25], 2, s[6:7]
	s_waitcnt lgkmcnt(0)
	v_mfma_f32_16x16x16_bf16 v[2:5], v[26:27], v[14:15], v[2:5]
	v_lshl_add_u64 v[26:27], v[22:23], 2, s[6:7]
	global_load_dword v60, v[26:27], off
	global_load_dword v61, v[32:33], off
	v_mfma_f32_16x16x16_bf16 v[6:9], v[46:47], v[14:15], v[6:9]
	v_mfma_f32_16x16x16_bf16 v[22:25], v[56:57], v[14:15], v[10:13]
	s_waitcnt vmcnt(4)
	v_mfma_f32_16x16x16_bf16 v[18:21], v[38:39], v[14:15], v[18:21]
	s_nop 0
	v_lshl_add_u64 v[10:11], s[4:5], 0, v[30:31]
	s_waitcnt vmcnt(3)
	v_mad_i64_i32 v[26:27], s[4:5], v42, s45, 0
	v_mfma_f32_16x16x16_bf16 v[12:15], v[28:29], v[16:17], v[2:5]
	v_lshl_add_u64 v[30:31], v[26:27], 1, v[10:11]
	s_waitcnt vmcnt(2)
	v_mad_i64_i32 v[32:33], s[4:5], v43, s45, 0
	v_mfma_f32_16x16x16_bf16 v[26:29], v[48:49], v[16:17], v[6:9]
	s_nop 2
	v_pk_mul_f32 v[50:51], s[12:13], v[14:15] op_sel_hi:[0,1]
	v_pk_mul_f32 v[12:13], s[12:13], v[12:13] op_sel_hi:[0,1]
	v_lshl_add_u64 v[56:57], v[32:33], 1, v[10:11]
	v_mfma_f32_16x16x16_bf16 v[22:25], v[58:59], v[16:17], v[22:25]
	global_load_dwordx4 v[6:9], v[30:31], off
	global_load_dwordx4 v[2:5], v[30:31], off offset:16
	v_pk_mul_f32 v[42:43], s[12:13], v[26:27] op_sel_hi:[0,1]
	v_pk_mul_f32 v[52:53], s[12:13], v[28:29] op_sel_hi:[0,1]
	v_mfma_f32_16x16x16_bf16 v[14:17], v[40:41], v[16:17], v[18:21]
	s_nop 1
	v_pk_mul_f32 v[46:47], s[12:13], v[22:23] op_sel_hi:[0,1]
	v_pk_mul_f32 v[48:49], s[12:13], v[24:25] op_sel_hi:[0,1]
	global_load_dwordx4 v[30:33], v[56:57], off
	global_load_dwordx4 v[26:29], v[56:57], off offset:16
	s_nop 0
	v_pk_mul_f32 v[44:45], s[12:13], v[14:15] op_sel_hi:[0,1]
	v_and_b32_e32 v14, 0xc0, v0
	v_add_u32_e32 v14, s18, v14
	v_lshl_or_b32 v14, v54, 2, v14
	v_pk_mul_f32 v[38:39], s[12:13], v[16:17] op_sel_hi:[0,1]
	v_or_b32_e32 v17, 1, v14
	v_mov_b32_e32 v15, 0xff7fffff
	v_cmp_gt_i32_e64 s[4:5], s33, v14
	v_cmp_gt_i32_e64 s[34:35], s33, v17
	v_or_b32_e32 v18, 3, v14
	v_cndmask_b32_e64 v16, v15, v12, s[4:5]
	v_cndmask_b32_e64 v17, v15, v13, s[34:35]
	v_max3_f32 v16, v16, s43, v17
	v_or_b32_e32 v17, 2, v14
	v_cmp_gt_i32_e64 s[36:37], s33, v17
	v_cmp_gt_i32_e64 s[38:39], s33, v18
	s_nop 0
	v_cndmask_b32_e64 v17, v15, v50, s[36:37]
	v_cndmask_b32_e64 v18, v15, v51, s[38:39]
	v_max3_f32 v16, v16, v17, v18
	v_or_b32_e32 v17, 16, v14
	v_or_b32_e32 v18, 17, v14
	v_cmp_gt_i32_e64 s[24:25], s33, v17
	v_cmp_gt_i32_e64 s[26:27], s33, v18
	s_nop 0
	v_cndmask_b32_e64 v17, v15, v42, s[24:25]
	v_cndmask_b32_e64 v18, v15, v43, s[26:27]
	v_max3_f32 v16, v16, v17, v18
	v_or_b32_e32 v17, 18, v14
	;; [unrolled: 8-line block ×6, first 2 shown]
	v_or_b32_e32 v14, 51, v14
	v_cmp_gt_i32_e32 vcc, s33, v17
	v_cmp_gt_i32_e64 s[6:7], s33, v14
	s_nop 0
	v_cndmask_b32_e32 v17, v15, v38, vcc
	v_cndmask_b32_e64 v14, v15, v39, s[6:7]
	v_max3_f32 v16, v16, v17, v14
	v_mbcnt_lo_u32_b32 v14, -1, 0
	v_mbcnt_hi_u32_b32 v17, -1, v14
	v_and_b32_e32 v14, 64, v17
	v_add_u32_e32 v18, 64, v14
	v_xor_b32_e32 v14, 32, v17
	v_cmp_lt_i32_e64 s[40:41], v14, v18
	s_nop 1
	v_cndmask_b32_e64 v14, v17, v14, s[40:41]
	v_lshlrev_b32_e32 v58, 2, v14
	ds_bpermute_b32 v19, v58, v16
	s_waitcnt vmcnt(5)
	v_mad_i64_i32 v[14:15], s[40:41], v60, s45, 0
	v_lshl_add_u64 v[14:15], v[14:15], 1, v[10:11]
	s_waitcnt lgkmcnt(0)
	v_max_f32_e32 v19, v19, v19
	v_max_f32_e32 v16, v16, v19
	v_xor_b32_e32 v19, 16, v17
	v_cmp_lt_i32_e64 s[40:41], v19, v18
	s_nop 1
	v_cndmask_b32_e64 v17, v17, v19, s[40:41]
	v_lshlrev_b32_e32 v57, 2, v17
	ds_bpermute_b32 v17, v57, v16
	global_load_dwordx4 v[22:25], v[14:15], off
	global_load_dwordx4 v[18:21], v[14:15], off offset:16
	s_waitcnt vmcnt(6)
	v_mad_i64_i32 v[14:15], s[40:41], v61, s45, 0
	v_lshl_add_u64 v[10:11], v[14:15], 1, v[10:11]
	s_waitcnt lgkmcnt(0)
	v_max_f32_e32 v14, v17, v17
	v_max_f32_e32 v56, v16, v14
	v_sub_f32_e32 v12, v12, v56
	v_mul_f32_e32 v12, 0x3fb8aa3b, v12
	v_exp_f32_e32 v40, v12
	v_sub_f32_e32 v12, v13, v56
	v_mul_f32_e32 v12, 0x3fb8aa3b, v12
	v_exp_f32_e32 v41, v12
	global_load_dwordx4 v[14:17], v[10:11], off
	s_nop 0
	global_load_dwordx4 v[10:13], v[10:11], off offset:16
	v_sub_f32_e32 v50, v50, v56
	v_mul_f32_e32 v50, 0x3fb8aa3b, v50
	v_sub_f32_e32 v51, v51, v56
	v_exp_f32_e32 v50, v50
	v_mul_f32_e32 v51, 0x3fb8aa3b, v51
	v_sub_f32_e32 v42, v42, v56
	v_exp_f32_e32 v51, v51
	v_mul_f32_e32 v42, 0x3fb8aa3b, v42
	v_sub_f32_e32 v43, v43, v56
	v_cndmask_b32_e64 v40, 0, v40, s[4:5]
	v_exp_f32_e32 v42, v42
	v_mul_f32_e32 v43, 0x3fb8aa3b, v43
	v_sub_f32_e32 v52, v52, v56
	v_add_f32_e32 v59, 0, v40
	v_cndmask_b32_e64 v41, 0, v41, s[34:35]
	v_exp_f32_e32 v43, v43
	v_mul_f32_e32 v52, 0x3fb8aa3b, v52
	v_sub_f32_e32 v53, v53, v56
	v_add_f32_e32 v59, v59, v41
	;; [unrolled: 5-line block ×10, first 2 shown]
	v_cndmask_b32_e64 v48, 0, v48, s[12:13]
	v_exp_f32_e32 v38, v38
	v_mul_f32_e32 v39, 0x3fb8aa3b, v39
	v_add_f32_e32 v59, v59, v48
	v_cndmask_b32_e64 v49, 0, v49, s[14:15]
	v_exp_f32_e32 v39, v39
	v_add_f32_e32 v59, v59, v49
	v_cndmask_b32_e64 v44, 0, v44, s[8:9]
	v_add_f32_e32 v59, v59, v44
	v_cndmask_b32_e64 v45, 0, v45, s[10:11]
	v_add_f32_e32 v59, v59, v45
	v_cndmask_b32_e32 v38, 0, v38, vcc
	v_add_f32_e32 v59, v59, v38
	v_cndmask_b32_e64 v39, 0, v39, s[6:7]
	v_add_f32_e32 v59, v59, v39
	ds_bpermute_b32 v58, v58, v59
	v_cmp_gt_u32_e32 vcc, 16, v55
	s_waitcnt lgkmcnt(0)
	s_barrier
	v_add_f32_e32 v58, v59, v58
	ds_bpermute_b32 v59, v57, v58
	v_lshlrev_b32_e32 v57, 2, v36
	s_and_saveexec_b64 s[4:5], vcc
	s_cbranch_execz .LBB489_13
; %bb.12:
	s_waitcnt lgkmcnt(0)
	v_add_f32_e32 v55, v58, v59
	v_lshl_or_b32 v58, v37, 6, v57
	ds_write2st64_b32 v58, v56, v55 offset1:1
.LBB489_13:
	s_or_b64 exec, exec, s[4:5]
	s_load_dword s6, s[0:1], 0x94
	s_waitcnt lgkmcnt(0)
	s_barrier
	ds_read2_b32 v[58:59], v57 offset1:16
	ds_read2_b32 v[60:61], v57 offset0:32 offset1:48
	ds_read2_b32 v[62:63], v57 offset0:64 offset1:80
	s_movk_i32 s8, 0x7fff
	s_mov_b32 s9, 0x7060302
	s_waitcnt lgkmcnt(2)
	v_max3_f32 v55, v58, s43, v59
	s_waitcnt lgkmcnt(1)
	v_max3_f32 v55, v55, v60, v61
	v_sub_f32_e32 v56, v58, v55
	v_mul_f32_e32 v56, 0x3fb8aa3b, v56
	v_exp_f32_e32 v64, v56
	v_sub_f32_e32 v56, v59, v55
	v_mul_f32_e32 v56, 0x3fb8aa3b, v56
	v_exp_f32_e32 v65, v56
	;; [unrolled: 3-line block ×3, first 2 shown]
	ds_read2_b32 v[58:59], v57 offset0:96 offset1:112
	v_sub_f32_e32 v56, v61, v55
	v_mul_f32_e32 v56, 0x3fb8aa3b, v56
	v_exp_f32_e32 v57, v56
	s_waitcnt lgkmcnt(1)
	v_fma_f32 v56, v64, v62, 0
	v_fmac_f32_e32 v56, v65, v63
	s_waitcnt lgkmcnt(0)
	v_fmac_f32_e32 v56, v60, v58
	v_fmac_f32_e32 v56, v57, v59
	v_add_f32_e32 v58, 0x358637bd, v56
	v_div_scale_f32 v59, s[4:5], v58, v58, 1.0
	v_rcp_f32_e32 v61, v59
	s_barrier
	v_fma_f32 v62, -v59, v61, 1.0
	v_fmac_f32_e32 v61, v62, v61
	v_div_scale_f32 v62, vcc, 1.0, v58, 1.0
	v_mul_f32_e32 v63, v62, v61
	v_fma_f32 v66, -v59, v63, v62
	v_fmac_f32_e32 v63, v66, v61
	v_fma_f32 v59, -v59, v63, v62
	v_div_fmas_f32 v59, v59, v61, v63
	v_cmp_eq_u32_e32 vcc, 1, v37
	v_div_fixup_f32 v58, v59, v58, 1.0
	s_mul_i32 s7, s29, 14
	v_cndmask_b32_e32 v59, v64, v65, vcc
	v_cmp_eq_u32_e32 vcc, 2, v37
	s_nop 1
	v_cndmask_b32_e32 v59, v59, v60, vcc
	v_cmp_eq_u32_e32 vcc, 3, v37
	v_lshlrev_b32_e32 v37, 11, v37
	s_nop 0
	v_cndmask_b32_e32 v57, v59, v57, vcc
	v_mul_f32_e32 v58, v57, v58
	v_pk_mul_f32 v[40:41], v[58:59], v[40:41] op_sel_hi:[0,1]
	v_pk_mul_f32 v[50:51], v[58:59], v[50:51] op_sel_hi:[0,1]
	v_bfe_u32 v57, v41, 16, 1
	v_bfe_u32 v59, v40, 16, 1
	v_add3_u32 v40, v40, v59, s8
	v_add3_u32 v41, v41, v57, s8
	v_perm_b32 v60, v41, v40, s9
	v_bfe_u32 v40, v51, 16, 1
	v_bfe_u32 v41, v50, 16, 1
	v_add3_u32 v41, v50, v41, s8
	v_add3_u32 v40, v51, v40, s8
	v_perm_b32 v61, v40, v41, s9
	v_lshlrev_b32_e32 v40, 3, v54
	v_pk_mul_f32 v[42:43], v[58:59], v[42:43] op_sel_hi:[0,1]
	v_or3_b32 v40, v37, v35, v40
	v_bfe_u32 v37, v43, 16, 1
	v_bfe_u32 v41, v42, 16, 1
	v_pk_mul_f32 v[50:51], v[58:59], v[52:53] op_sel_hi:[0,1]
	v_add3_u32 v41, v42, v41, s8
	v_add3_u32 v37, v43, v37, s8
	v_perm_b32 v42, v37, v41, s9
	v_bfe_u32 v37, v51, 16, 1
	v_bfe_u32 v41, v50, 16, 1
	v_add3_u32 v41, v50, v41, s8
	v_add3_u32 v37, v51, v37, s8
	v_pk_mul_f32 v[46:47], v[58:59], v[46:47] op_sel_hi:[0,1]
	v_perm_b32 v43, v37, v41, s9
	v_bfe_u32 v37, v47, 16, 1
	v_bfe_u32 v41, v46, 16, 1
	ds_write2st64_b64 v40, v[60:61], v[42:43] offset1:1
	v_pk_mul_f32 v[42:43], v[58:59], v[48:49] op_sel_hi:[0,1]
	v_add3_u32 v41, v46, v41, s8
	v_add3_u32 v37, v47, v37, s8
	v_perm_b32 v46, v37, v41, s9
	v_bfe_u32 v37, v43, 16, 1
	v_bfe_u32 v41, v42, 16, 1
	v_add3_u32 v41, v42, v41, s8
	v_add3_u32 v37, v43, v37, s8
	v_pk_mul_f32 v[42:43], v[58:59], v[44:45] op_sel_hi:[0,1]
	v_perm_b32 v47, v37, v41, s9
	v_bfe_u32 v37, v43, 16, 1
	v_bfe_u32 v41, v42, 16, 1
	v_pk_mul_f32 v[38:39], v[58:59], v[38:39] op_sel_hi:[0,1]
	v_add3_u32 v41, v42, v41, s8
	v_add3_u32 v37, v43, v37, s8
	v_perm_b32 v42, v37, v41, s9
	v_bfe_u32 v37, v39, 16, 1
	v_bfe_u32 v41, v38, 16, 1
	v_add3_u32 v38, v38, v41, s8
	v_add3_u32 v37, v39, v37, s8
	v_perm_b32 v43, v37, v38, s9
	v_cmp_gt_u32_e32 vcc, 14, v0
	ds_write2st64_b64 v40, v[46:47], v[42:43] offset0:2 offset1:3
	s_and_saveexec_b64 s[4:5], vcc
	s_cbranch_execz .LBB489_15
; %bb.14:
	s_mov_b32 s43, 0
	v_mov_b32_e32 v37, 0
	v_lshl_add_u64 v[38:39], s[42:43], 0, v[36:37]
	v_mov_b32_e32 v36, s7
	v_mad_u64_u32 v[38:39], s[10:11], s2, v36, v[38:39]
	v_mov_b32_e32 v36, s28
	s_load_dwordx4 s[12:15], s[0:1], 0x58
	s_mul_i32 s3, s3, s7
	v_mad_u64_u32 v[36:37], s[10:11], v38, s6, v[36:37]
	v_add_u32_e32 v39, s3, v39
	v_mov_b32_e32 v38, v37
	v_mad_u64_u32 v[38:39], s[10:11], v39, s6, v[38:39]
	v_mov_b32_e32 v37, v38
	v_lshlrev_b64 v[36:37], 2, v[36:37]
	s_waitcnt lgkmcnt(0)
	v_lshl_add_u64 v[38:39], s[14:15], 0, v[36:37]
	v_lshl_add_u64 v[36:37], s[12:13], 0, v[36:37]
	global_store_dword v[38:39], v55, off
	global_store_dword v[36:37], v56, off
.LBB489_15:
	s_or_b64 exec, exec, s[4:5]
	v_lshl_or_b32 v35, v54, 9, v35
	s_waitcnt lgkmcnt(0)
	s_barrier
	ds_read_b128 v[36:39], v35
	ds_read_b128 v[42:45], v35 offset:16
	s_waitcnt vmcnt(7) lgkmcnt(1)
	v_mfma_f32_16x16x16_bf16 v[46:49], v[6:7], v[36:37], 0
	v_cmp_gt_u32_e32 vcc, 64, v0
	s_mov_b32 s3, 0
	s_and_b64 s[4:5], vcc, s[30:31]
	v_mfma_f32_16x16x16_bf16 v[6:9], v[8:9], v[38:39], v[46:49]
	s_waitcnt vmcnt(6) lgkmcnt(0)
	v_mfma_f32_16x16x16_bf16 v[6:9], v[2:3], v[42:43], v[6:9]
	v_mfma_f32_16x16x16_bf16 v[2:5], v[4:5], v[44:45], v[6:9]
	s_nop 5
	ds_read_b128 v[6:9], v35 offset:2048
	ds_read_b128 v[36:39], v35 offset:2064
	s_waitcnt vmcnt(5) lgkmcnt(1)
	v_mfma_f32_16x16x16_bf16 v[2:5], v[30:31], v[6:7], v[2:5]
	v_mfma_f32_16x16x16_bf16 v[2:5], v[32:33], v[8:9], v[2:5]
	s_waitcnt vmcnt(4) lgkmcnt(0)
	v_mfma_f32_16x16x16_bf16 v[2:5], v[26:27], v[36:37], v[2:5]
	v_mfma_f32_16x16x16_bf16 v[2:5], v[28:29], v[38:39], v[2:5]
	ds_read_b128 v[6:9], v35 offset:4096
	ds_read_b128 v[26:29], v35 offset:4112
	s_waitcnt vmcnt(3) lgkmcnt(1)
	v_mfma_f32_16x16x16_bf16 v[2:5], v[22:23], v[6:7], v[2:5]
	v_mfma_f32_16x16x16_bf16 v[2:5], v[24:25], v[8:9], v[2:5]
	s_waitcnt vmcnt(2) lgkmcnt(0)
	v_mfma_f32_16x16x16_bf16 v[2:5], v[18:19], v[26:27], v[2:5]
	v_mfma_f32_16x16x16_bf16 v[2:5], v[20:21], v[28:29], v[2:5]
	ds_read_b128 v[6:9], v35 offset:6144
	ds_read_b128 v[18:21], v35 offset:6160
	v_mov_b32_e32 v35, 0
	s_waitcnt vmcnt(1) lgkmcnt(0)
	v_mfma_f32_16x16x16_bf16 v[2:5], v[14:15], v[6:7], v[2:5]
	s_barrier
	v_mfma_f32_16x16x16_bf16 v[2:5], v[16:17], v[8:9], v[2:5]
	s_waitcnt vmcnt(0)
	v_mfma_f32_16x16x16_bf16 v[2:5], v[10:11], v[18:19], v[2:5]
	v_mfma_f32_16x16x16_bf16 v[2:5], v[12:13], v[20:21], v[2:5]
	s_nop 6
	v_bfe_u32 v6, v3, 16, 1
	v_bfe_u32 v7, v2, 16, 1
	;; [unrolled: 1-line block ×4, first 2 shown]
	v_add3_u32 v2, v2, v7, s8
	v_add3_u32 v3, v3, v6, s8
	;; [unrolled: 1-line block ×4, first 2 shown]
	v_perm_b32 v2, v3, v2, s9
	v_perm_b32 v3, v5, v4, s9
	ds_write_b64 v40, v[2:3]
	s_waitcnt lgkmcnt(0)
	s_barrier
	s_and_saveexec_b64 s[8:9], s[4:5]
	s_cbranch_execz .LBB489_18
; %bb.16:
	s_load_dwordx2 s[4:5], s[0:1], 0x68
	s_lshl_b32 s0, s6, 6
	s_mul_i32 s1, s7, s2
	s_mul_hi_u32 s7, s1, s0
	s_mul_i32 s6, s1, s0
	v_lshlrev_b32_e32 v0, 10, v0
	s_lshl_b64 s[6:7], s[6:7], 1
	v_and_b32_e32 v0, 0x1800, v0
	v_lshlrev_b32_e32 v2, 5, v54
	v_and_b32_e32 v1, 16, v1
	s_waitcnt lgkmcnt(0)
	s_add_u32 s1, s4, s6
	v_or3_b32 v2, v0, v2, v1
	s_addc_u32 s4, s5, s7
	s_lshl_b32 s2, s28, 6
	ds_read_b128 v[4:7], v2 offset:256
	s_lshl_b64 s[2:3], s[2:3], 1
	ds_read_b128 v[8:11], v2 offset:128
	ds_read_b128 v[12:15], v2
	s_add_u32 s2, s1, s2
	s_addc_u32 s3, s4, s3
	v_add_u32_e32 v18, s42, v54
	v_lshl_add_u64 v[0:1], s[2:3], 0, v[34:35]
	v_mad_u64_u32 v[16:17], s[2:3], v18, s0, 0
	v_lshl_add_u64 v[16:17], v[16:17], 1, v[0:1]
	s_waitcnt lgkmcnt(0)
	global_store_dwordx4 v[16:17], v[12:15], off
	v_or_b32_e32 v3, 12, v54
	v_cmp_gt_u32_e32 vcc, 14, v3
	v_add_u32_e32 v12, 4, v18
	v_mad_u64_u32 v[12:13], s[2:3], v12, s0, 0
	v_lshl_add_u64 v[12:13], v[12:13], 1, v[0:1]
	global_store_dwordx4 v[12:13], v[8:11], off
	s_nop 1
	v_add_u32_e32 v8, 8, v18
	v_mad_u64_u32 v[8:9], s[2:3], v8, s0, 0
	v_lshl_add_u64 v[8:9], v[8:9], 1, v[0:1]
	global_store_dwordx4 v[8:9], v[4:7], off
	s_and_b64 exec, exec, vcc
	s_cbranch_execz .LBB489_18
; %bb.17:
	ds_read_b128 v[4:7], v2 offset:384
	v_add_u32_e32 v2, s42, v3
	v_mad_u64_u32 v[2:3], s[0:1], v2, s0, 0
	v_lshl_add_u64 v[0:1], v[2:3], 1, v[0:1]
	s_waitcnt lgkmcnt(0)
	global_store_dwordx4 v[0:1], v[4:7], off
.LBB489_18:
	s_endpgm
	.section	.rodata,"a",@progbits
	.p2align	6, 0x0
	.amdhsa_kernel _Z39paged_attention_ll4mi_QKV_mfma16_kernelI14__hip_bfloat16S0_LN4vllm18Fp8KVCacheDataTypeE0ES0_Li16ELi64ELi256ELb0ELi14EEvPKT_PKT0_S8_ifPKiSA_SA_iPKfiiiPfSD_PS3_PT2_iSC_SC_
		.amdhsa_group_segment_fixed_size 8192
		.amdhsa_private_segment_fixed_size 0
		.amdhsa_kernarg_size 400
		.amdhsa_user_sgpr_count 2
		.amdhsa_user_sgpr_dispatch_ptr 0
		.amdhsa_user_sgpr_queue_ptr 0
		.amdhsa_user_sgpr_kernarg_segment_ptr 1
		.amdhsa_user_sgpr_dispatch_id 0
		.amdhsa_user_sgpr_kernarg_preload_length 0
		.amdhsa_user_sgpr_kernarg_preload_offset 0
		.amdhsa_user_sgpr_private_segment_size 0
		.amdhsa_uses_dynamic_stack 0
		.amdhsa_enable_private_segment 0
		.amdhsa_system_sgpr_workgroup_id_x 1
		.amdhsa_system_sgpr_workgroup_id_y 1
		.amdhsa_system_sgpr_workgroup_id_z 1
		.amdhsa_system_sgpr_workgroup_info 0
		.amdhsa_system_vgpr_workitem_id 0
		.amdhsa_next_free_vgpr 69
		.amdhsa_next_free_sgpr 48
		.amdhsa_accum_offset 72
		.amdhsa_reserve_vcc 1
		.amdhsa_float_round_mode_32 0
		.amdhsa_float_round_mode_16_64 0
		.amdhsa_float_denorm_mode_32 3
		.amdhsa_float_denorm_mode_16_64 3
		.amdhsa_dx10_clamp 1
		.amdhsa_ieee_mode 1
		.amdhsa_fp16_overflow 0
		.amdhsa_tg_split 0
		.amdhsa_exception_fp_ieee_invalid_op 0
		.amdhsa_exception_fp_denorm_src 0
		.amdhsa_exception_fp_ieee_div_zero 0
		.amdhsa_exception_fp_ieee_overflow 0
		.amdhsa_exception_fp_ieee_underflow 0
		.amdhsa_exception_fp_ieee_inexact 0
		.amdhsa_exception_int_div_zero 0
	.end_amdhsa_kernel
	.section	.text._Z39paged_attention_ll4mi_QKV_mfma16_kernelI14__hip_bfloat16S0_LN4vllm18Fp8KVCacheDataTypeE0ES0_Li16ELi64ELi256ELb0ELi14EEvPKT_PKT0_S8_ifPKiSA_SA_iPKfiiiPfSD_PS3_PT2_iSC_SC_,"axG",@progbits,_Z39paged_attention_ll4mi_QKV_mfma16_kernelI14__hip_bfloat16S0_LN4vllm18Fp8KVCacheDataTypeE0ES0_Li16ELi64ELi256ELb0ELi14EEvPKT_PKT0_S8_ifPKiSA_SA_iPKfiiiPfSD_PS3_PT2_iSC_SC_,comdat
.Lfunc_end489:
	.size	_Z39paged_attention_ll4mi_QKV_mfma16_kernelI14__hip_bfloat16S0_LN4vllm18Fp8KVCacheDataTypeE0ES0_Li16ELi64ELi256ELb0ELi14EEvPKT_PKT0_S8_ifPKiSA_SA_iPKfiiiPfSD_PS3_PT2_iSC_SC_, .Lfunc_end489-_Z39paged_attention_ll4mi_QKV_mfma16_kernelI14__hip_bfloat16S0_LN4vllm18Fp8KVCacheDataTypeE0ES0_Li16ELi64ELi256ELb0ELi14EEvPKT_PKT0_S8_ifPKiSA_SA_iPKfiiiPfSD_PS3_PT2_iSC_SC_
                                        ; -- End function
	.section	.AMDGPU.csdata,"",@progbits
; Kernel info:
; codeLenInByte = 4108
; NumSgprs: 54
; NumVgprs: 69
; NumAgprs: 0
; TotalNumVgprs: 69
; ScratchSize: 0
; MemoryBound: 0
; FloatMode: 240
; IeeeMode: 1
; LDSByteSize: 8192 bytes/workgroup (compile time only)
; SGPRBlocks: 6
; VGPRBlocks: 8
; NumSGPRsForWavesPerEU: 54
; NumVGPRsForWavesPerEU: 69
; AccumOffset: 72
; Occupancy: 7
; WaveLimiterHint : 1
; COMPUTE_PGM_RSRC2:SCRATCH_EN: 0
; COMPUTE_PGM_RSRC2:USER_SGPR: 2
; COMPUTE_PGM_RSRC2:TRAP_HANDLER: 0
; COMPUTE_PGM_RSRC2:TGID_X_EN: 1
; COMPUTE_PGM_RSRC2:TGID_Y_EN: 1
; COMPUTE_PGM_RSRC2:TGID_Z_EN: 1
; COMPUTE_PGM_RSRC2:TIDIG_COMP_CNT: 0
; COMPUTE_PGM_RSRC3_GFX90A:ACCUM_OFFSET: 17
; COMPUTE_PGM_RSRC3_GFX90A:TG_SPLIT: 0
	.section	.text._Z39paged_attention_ll4mi_QKV_mfma16_kernelI14__hip_bfloat16S0_LN4vllm18Fp8KVCacheDataTypeE0ES0_Li16ELi64ELi256ELb0ELi15EEvPKT_PKT0_S8_ifPKiSA_SA_iPKfiiiPfSD_PS3_PT2_iSC_SC_,"axG",@progbits,_Z39paged_attention_ll4mi_QKV_mfma16_kernelI14__hip_bfloat16S0_LN4vllm18Fp8KVCacheDataTypeE0ES0_Li16ELi64ELi256ELb0ELi15EEvPKT_PKT0_S8_ifPKiSA_SA_iPKfiiiPfSD_PS3_PT2_iSC_SC_,comdat
	.protected	_Z39paged_attention_ll4mi_QKV_mfma16_kernelI14__hip_bfloat16S0_LN4vllm18Fp8KVCacheDataTypeE0ES0_Li16ELi64ELi256ELb0ELi15EEvPKT_PKT0_S8_ifPKiSA_SA_iPKfiiiPfSD_PS3_PT2_iSC_SC_ ; -- Begin function _Z39paged_attention_ll4mi_QKV_mfma16_kernelI14__hip_bfloat16S0_LN4vllm18Fp8KVCacheDataTypeE0ES0_Li16ELi64ELi256ELb0ELi15EEvPKT_PKT0_S8_ifPKiSA_SA_iPKfiiiPfSD_PS3_PT2_iSC_SC_
	.globl	_Z39paged_attention_ll4mi_QKV_mfma16_kernelI14__hip_bfloat16S0_LN4vllm18Fp8KVCacheDataTypeE0ES0_Li16ELi64ELi256ELb0ELi15EEvPKT_PKT0_S8_ifPKiSA_SA_iPKfiiiPfSD_PS3_PT2_iSC_SC_
	.p2align	8
	.type	_Z39paged_attention_ll4mi_QKV_mfma16_kernelI14__hip_bfloat16S0_LN4vllm18Fp8KVCacheDataTypeE0ES0_Li16ELi64ELi256ELb0ELi15EEvPKT_PKT0_S8_ifPKiSA_SA_iPKfiiiPfSD_PS3_PT2_iSC_SC_,@function
_Z39paged_attention_ll4mi_QKV_mfma16_kernelI14__hip_bfloat16S0_LN4vllm18Fp8KVCacheDataTypeE0ES0_Li16ELi64ELi256ELb0ELi15EEvPKT_PKT0_S8_ifPKiSA_SA_iPKfiiiPfSD_PS3_PT2_iSC_SC_: ; @_Z39paged_attention_ll4mi_QKV_mfma16_kernelI14__hip_bfloat16S0_LN4vllm18Fp8KVCacheDataTypeE0ES0_Li16ELi64ELi256ELb0ELi15EEvPKT_PKT0_S8_ifPKiSA_SA_iPKfiiiPfSD_PS3_PT2_iSC_SC_
; %bb.0:
	s_load_dwordx2 s[12:13], s[0:1], 0x30
	s_mov_b32 s28, s3
	s_mov_b64 s[6:7], 0
	s_waitcnt lgkmcnt(0)
	s_cmp_lg_u64 s[12:13], 0
	s_cselect_b64 s[14:15], -1, 0
	s_and_b64 vcc, exec, s[14:15]
	s_cbranch_vccz .LBB490_7
; %bb.1:
	s_add_i32 s8, s2, 1
	s_mov_b32 s9, 0
	s_lshl_b64 s[10:11], s[8:9], 2
	s_add_u32 s10, s12, s10
	s_mov_b32 s3, s9
	s_addc_u32 s11, s13, s11
	s_lshl_b64 s[8:9], s[2:3], 2
	s_add_u32 s8, s12, s8
	s_addc_u32 s9, s13, s9
	s_load_dword s5, s[10:11], 0x0
	s_load_dword s16, s[8:9], 0x0
	s_waitcnt lgkmcnt(0)
	s_sub_i32 s5, s5, s16
	s_cmp_eq_u32 s5, 1
	s_cselect_b64 s[8:9], -1, 0
	s_andn2_b64 vcc, exec, s[6:7]
	s_cbranch_vccnz .LBB490_3
.LBB490_2:
	s_mov_b32 s3, 0
	s_mov_b64 s[8:9], -1
.LBB490_3:
	s_andn2_b64 vcc, exec, s[8:9]
	s_cbranch_vccnz .LBB490_18
; %bb.4:
	s_load_dwordx2 s[6:7], s[0:1], 0x28
	s_lshl_b64 s[16:17], s[2:3], 2
	s_waitcnt lgkmcnt(0)
	s_add_u32 s6, s6, s16
	s_addc_u32 s7, s7, s17
	s_load_dword s33, s[6:7], 0x0
	s_lshl_b32 s18, s28, 8
	s_waitcnt lgkmcnt(0)
	s_cmp_ge_i32 s18, s33
	s_cbranch_scc1 .LBB490_18
; %bb.5:
	s_load_dwordx2 s[6:7], s[0:1], 0x20
	s_load_dword s5, s[0:1], 0x38
	s_add_i32 s8, s33, 15
	s_ashr_i32 s9, s8, 31
	v_and_b32_e32 v1, 0xcf, v0
	s_lshr_b32 s9, s9, 28
	v_add_u32_e32 v1, s18, v1
	s_add_i32 s8, s8, s9
	v_ashrrev_i32_e32 v2, 31, v1
	s_ashr_i32 s19, s8, 4
	v_lshrrev_b32_e32 v6, 28, v2
	s_add_i32 s19, s19, -1
	s_waitcnt lgkmcnt(0)
	s_mul_i32 s8, s2, s5
	s_mov_b32 s9, 0
	v_add_u32_e32 v2, v1, v6
	s_lshl_b64 s[8:9], s[8:9], 2
	v_ashrrev_i32_e32 v2, 4, v2
	v_mov_b32_e32 v7, s19
	v_cmp_gt_i32_e32 vcc, s33, v1
	s_add_u32 s6, s6, s8
	s_addc_u32 s7, s7, s9
	v_cndmask_b32_e32 v2, v7, v2, vcc
	v_ashrrev_i32_e32 v3, 31, v2
	v_lshl_add_u64 v[4:5], v[2:3], 2, s[6:7]
	v_or_b32_e32 v2, 16, v1
	v_add_u32_e32 v3, v2, v6
	v_ashrrev_i32_e32 v3, 4, v3
	v_cmp_gt_i32_e32 vcc, s33, v2
	s_load_dwordx4 s[8:11], s[0:1], 0x8
	s_nop 0
	v_cndmask_b32_e32 v2, v7, v3, vcc
	v_ashrrev_i32_e32 v3, 31, v2
	v_lshl_add_u64 v[8:9], v[2:3], 2, s[6:7]
	v_or_b32_e32 v2, 32, v1
	v_add_u32_e32 v3, v2, v6
	v_ashrrev_i32_e32 v3, 4, v3
	v_cmp_gt_i32_e32 vcc, s33, v2
	v_or_b32_e32 v1, 48, v1
	s_nop 0
	v_cndmask_b32_e32 v2, v7, v3, vcc
	v_ashrrev_i32_e32 v3, 31, v2
	v_lshl_add_u64 v[12:13], v[2:3], 2, s[6:7]
	v_add_u32_e32 v2, v1, v6
	v_ashrrev_i32_e32 v2, 4, v2
	v_cmp_gt_i32_e32 vcc, s33, v1
	s_nop 1
	v_cndmask_b32_e32 v2, v7, v2, vcc
	v_ashrrev_i32_e32 v3, 31, v2
	v_lshl_add_u64 v[14:15], v[2:3], 2, s[6:7]
	global_load_dword v2, v[4:5], off
	global_load_dword v6, v[8:9], off
	;; [unrolled: 1-line block ×4, first 2 shown]
	s_andn2_b64 vcc, exec, s[14:15]
	s_cbranch_vccnz .LBB490_8
; %bb.6:
	s_add_u32 s12, s12, s16
	s_addc_u32 s13, s13, s17
	s_load_dword s5, s[12:13], 0x0
	s_branch .LBB490_9
.LBB490_7:
	s_mov_b64 s[8:9], 0
	s_branch .LBB490_2
.LBB490_8:
	s_mov_b32 s5, s2
.LBB490_9:
	s_load_dwordx4 s[44:47], s[0:1], 0x48
	v_lshrrev_b32_e32 v37, 6, v0
	v_bfe_u32 v54, v0, 4, 2
	v_lshl_or_b32 v1, v37, 2, v54
	v_and_b32_e32 v36, 15, v0
	v_lshlrev_b32_e32 v3, 3, v36
	v_cmp_gt_u32_e32 vcc, 15, v1
	v_cmp_gt_u32_e64 s[30:31], 8, v36
	v_and_b32_e32 v55, 63, v0
	s_mul_i32 s42, s4, 15
	s_and_b64 s[14:15], s[30:31], vcc
	v_lshlrev_b32_e32 v34, 1, v3
	s_and_saveexec_b64 s[12:13], s[14:15]
	s_cbranch_execz .LBB490_11
; %bb.10:
	s_load_dwordx2 s[14:15], s[0:1], 0x0
	s_waitcnt lgkmcnt(0)
	s_ashr_i32 s16, s44, 31
	s_mul_hi_u32 s17, s5, s44
	s_mul_i32 s16, s5, s16
	s_add_i32 s17, s17, s16
	s_mul_i32 s16, s5, s44
	s_lshl_b64 s[16:17], s[16:17], 1
	s_add_u32 s14, s14, s16
	v_add_lshl_u32 v4, v1, s42, 6
	s_addc_u32 s15, s15, s17
	v_ashrrev_i32_e32 v5, 31, v4
	v_lshl_add_u64 v[4:5], v[4:5], 1, s[14:15]
	v_mov_b32_e32 v35, 0
	v_lshl_add_u64 v[4:5], v[4:5], 0, v[34:35]
	global_load_dwordx4 v[12:15], v[4:5], off
	v_and_b32_e32 v3, 3, v0
	v_lshlrev_b32_e32 v4, 9, v36
	v_lshlrev_b32_e32 v1, 5, v1
	;; [unrolled: 1-line block ×3, first 2 shown]
	v_and_b32_e32 v4, 0x1800, v4
	v_or3_b32 v1, v4, v3, v1
	s_waitcnt vmcnt(0)
	ds_write_b128 v1, v[12:15]
.LBB490_11:
	s_or_b64 exec, exec, s[12:13]
	s_waitcnt lgkmcnt(0)
	s_mov_b32 s5, 0
	s_mul_i32 s4, s4, s46
	s_lshl_b64 s[4:5], s[4:5], 1
	s_add_u32 s8, s8, s4
	v_lshlrev_b32_e32 v1, 4, v0
	v_mov_b32_e32 v31, 0
	s_addc_u32 s9, s9, s5
	v_and_b32_e32 v30, 0xf0, v1
	v_lshl_add_u64 v[18:19], s[8:9], 0, v[30:31]
	s_waitcnt vmcnt(3)
	v_mad_i64_i32 v[2:3], s[8:9], v2, s45, 0
	v_lshl_add_u64 v[2:3], v[2:3], 1, v[18:19]
	v_and_b32_e32 v30, 0x300, v1
	v_lshl_add_u64 v[14:15], v[2:3], 0, v[30:31]
	s_load_dword s29, s[0:1], 0x98
	s_load_dword s12, s[0:1], 0x1c
	s_waitcnt lgkmcnt(0)
	s_barrier
	global_load_dwordx4 v[2:5], v[14:15], off
	global_load_dwordx4 v[26:29], v[14:15], off offset:1024
	s_waitcnt vmcnt(3)
	v_mad_i64_i32 v[10:11], s[8:9], v10, s45, 0
	v_lshl_add_u64 v[10:11], v[10:11], 1, v[18:19]
	v_lshl_add_u64 v[38:39], v[10:11], 0, v[30:31]
	global_load_dwordx4 v[10:13], v[38:39], off
	global_load_dwordx4 v[56:59], v[38:39], off offset:1024
	v_mad_i64_i32 v[6:7], s[8:9], v6, s45, 0
	v_lshl_add_u64 v[6:7], v[6:7], 1, v[18:19]
	v_lshl_add_u64 v[32:33], v[6:7], 0, v[30:31]
	global_load_dwordx4 v[6:9], v[32:33], off
	global_load_dwordx4 v[46:49], v[32:33], off offset:1024
	s_waitcnt vmcnt(6)
	v_mad_i64_i32 v[16:17], s[8:9], v16, s45, 0
	v_lshl_add_u64 v[16:17], v[16:17], 1, v[18:19]
	v_lshl_add_u64 v[40:41], v[16:17], 0, v[30:31]
	global_load_dwordx4 v[18:21], v[40:41], off
	v_cmp_ne_u32_e32 vcc, 15, v36
	global_load_dwordx4 v[38:41], v[40:41], off offset:1024
	v_and_or_b32 v30, v0, 48, s18
	v_cndmask_b32_e32 v16, 0, v36, vcc
	v_lshlrev_b32_e32 v16, 5, v16
	v_lshl_or_b32 v16, v54, 9, v16
	ds_read_b128 v[22:25], v16
	v_mov_b32_e32 v68, s19
	v_cmp_gt_i32_e32 vcc, s33, v30
	v_or_b32_e32 v32, 64, v30
	ds_read_b128 v[14:17], v16 offset:2048
	v_lshlrev_b32_e32 v35, 5, v36
	s_add_u32 s4, s10, s4
	s_addc_u32 s5, s11, s5
	s_mov_b32 s43, 0xff7fffff
	s_waitcnt vmcnt(7) lgkmcnt(1)
	v_mfma_f32_16x16x16_bf16 v[42:45], v[2:3], v[22:23], 0
	v_ashrrev_i32_e32 v2, 4, v30
	v_cndmask_b32_e32 v2, v68, v2, vcc
	v_ashrrev_i32_e32 v3, 31, v2
	s_waitcnt vmcnt(5)
	v_mfma_f32_16x16x16_bf16 v[60:63], v[10:11], v[22:23], 0
	v_lshl_add_u64 v[10:11], v[2:3], 2, s[6:7]
	v_cmp_gt_i32_e32 vcc, s33, v32
	v_mfma_f32_16x16x16_bf16 v[2:5], v[4:5], v[24:25], v[42:45]
	s_nop 2
	global_load_dword v42, v[10:11], off
	s_waitcnt vmcnt(4)
	v_mfma_f32_16x16x16_bf16 v[50:53], v[6:7], v[22:23], 0
	v_ashrrev_i32_e32 v6, 4, v32
	v_cndmask_b32_e32 v6, v68, v6, vcc
	v_ashrrev_i32_e32 v7, 31, v6
	v_lshl_add_u64 v[10:11], v[6:7], 2, s[6:7]
	global_load_dword v43, v[10:11], off
	s_waitcnt vmcnt(3)
	v_mfma_f32_16x16x16_bf16 v[64:67], v[18:19], v[22:23], 0
	v_or_b32_e32 v22, 0x80, v30
	v_or_b32_e32 v23, 0xc0, v30
	v_ashrrev_i32_e32 v30, 4, v22
	v_cmp_gt_i32_e32 vcc, s33, v22
	v_ashrrev_i32_e32 v32, 4, v23
	v_mfma_f32_16x16x16_bf16 v[6:9], v[8:9], v[24:25], v[50:53]
	v_cndmask_b32_e32 v22, v68, v30, vcc
	v_cmp_gt_i32_e32 vcc, s33, v23
	v_ashrrev_i32_e32 v23, 31, v22
	v_mfma_f32_16x16x16_bf16 v[10:13], v[12:13], v[24:25], v[60:63]
	v_lshl_or_b32 v30, v37, 9, v35
	v_mfma_f32_16x16x16_bf16 v[18:21], v[20:21], v[24:25], v[64:67]
	v_cndmask_b32_e32 v24, v68, v32, vcc
	v_ashrrev_i32_e32 v25, 31, v24
	v_lshl_add_u64 v[32:33], v[24:25], 2, s[6:7]
	s_waitcnt lgkmcnt(0)
	v_mfma_f32_16x16x16_bf16 v[2:5], v[26:27], v[14:15], v[2:5]
	v_lshl_add_u64 v[26:27], v[22:23], 2, s[6:7]
	global_load_dword v60, v[26:27], off
	global_load_dword v61, v[32:33], off
	v_mfma_f32_16x16x16_bf16 v[6:9], v[46:47], v[14:15], v[6:9]
	v_mfma_f32_16x16x16_bf16 v[22:25], v[56:57], v[14:15], v[10:13]
	s_waitcnt vmcnt(4)
	v_mfma_f32_16x16x16_bf16 v[18:21], v[38:39], v[14:15], v[18:21]
	s_nop 0
	v_lshl_add_u64 v[10:11], s[4:5], 0, v[30:31]
	s_waitcnt vmcnt(3)
	v_mad_i64_i32 v[26:27], s[4:5], v42, s45, 0
	v_mfma_f32_16x16x16_bf16 v[12:15], v[28:29], v[16:17], v[2:5]
	v_lshl_add_u64 v[30:31], v[26:27], 1, v[10:11]
	s_waitcnt vmcnt(2)
	v_mad_i64_i32 v[32:33], s[4:5], v43, s45, 0
	v_mfma_f32_16x16x16_bf16 v[26:29], v[48:49], v[16:17], v[6:9]
	s_nop 2
	v_pk_mul_f32 v[50:51], s[12:13], v[14:15] op_sel_hi:[0,1]
	v_pk_mul_f32 v[12:13], s[12:13], v[12:13] op_sel_hi:[0,1]
	v_lshl_add_u64 v[56:57], v[32:33], 1, v[10:11]
	v_mfma_f32_16x16x16_bf16 v[22:25], v[58:59], v[16:17], v[22:25]
	global_load_dwordx4 v[6:9], v[30:31], off
	global_load_dwordx4 v[2:5], v[30:31], off offset:16
	v_pk_mul_f32 v[42:43], s[12:13], v[26:27] op_sel_hi:[0,1]
	v_pk_mul_f32 v[52:53], s[12:13], v[28:29] op_sel_hi:[0,1]
	v_mfma_f32_16x16x16_bf16 v[14:17], v[40:41], v[16:17], v[18:21]
	s_nop 1
	v_pk_mul_f32 v[46:47], s[12:13], v[22:23] op_sel_hi:[0,1]
	v_pk_mul_f32 v[48:49], s[12:13], v[24:25] op_sel_hi:[0,1]
	global_load_dwordx4 v[30:33], v[56:57], off
	global_load_dwordx4 v[26:29], v[56:57], off offset:16
	s_nop 0
	v_pk_mul_f32 v[44:45], s[12:13], v[14:15] op_sel_hi:[0,1]
	v_and_b32_e32 v14, 0xc0, v0
	v_add_u32_e32 v14, s18, v14
	v_lshl_or_b32 v14, v54, 2, v14
	v_pk_mul_f32 v[38:39], s[12:13], v[16:17] op_sel_hi:[0,1]
	v_or_b32_e32 v17, 1, v14
	v_mov_b32_e32 v15, 0xff7fffff
	v_cmp_gt_i32_e64 s[4:5], s33, v14
	v_cmp_gt_i32_e64 s[34:35], s33, v17
	v_or_b32_e32 v18, 3, v14
	v_cndmask_b32_e64 v16, v15, v12, s[4:5]
	v_cndmask_b32_e64 v17, v15, v13, s[34:35]
	v_max3_f32 v16, v16, s43, v17
	v_or_b32_e32 v17, 2, v14
	v_cmp_gt_i32_e64 s[36:37], s33, v17
	v_cmp_gt_i32_e64 s[38:39], s33, v18
	s_nop 0
	v_cndmask_b32_e64 v17, v15, v50, s[36:37]
	v_cndmask_b32_e64 v18, v15, v51, s[38:39]
	v_max3_f32 v16, v16, v17, v18
	v_or_b32_e32 v17, 16, v14
	v_or_b32_e32 v18, 17, v14
	v_cmp_gt_i32_e64 s[24:25], s33, v17
	v_cmp_gt_i32_e64 s[26:27], s33, v18
	s_nop 0
	v_cndmask_b32_e64 v17, v15, v42, s[24:25]
	v_cndmask_b32_e64 v18, v15, v43, s[26:27]
	v_max3_f32 v16, v16, v17, v18
	v_or_b32_e32 v17, 18, v14
	v_or_b32_e32 v18, 19, v14
	v_cmp_gt_i32_e64 s[20:21], s33, v17
	v_cmp_gt_i32_e64 s[22:23], s33, v18
	s_nop 0
	v_cndmask_b32_e64 v17, v15, v52, s[20:21]
	v_cndmask_b32_e64 v18, v15, v53, s[22:23]
	v_max3_f32 v16, v16, v17, v18
	v_or_b32_e32 v17, 32, v14
	v_or_b32_e32 v18, 33, v14
	v_cmp_gt_i32_e64 s[16:17], s33, v17
	v_cmp_gt_i32_e64 s[18:19], s33, v18
	s_nop 0
	v_cndmask_b32_e64 v17, v15, v46, s[16:17]
	v_cndmask_b32_e64 v18, v15, v47, s[18:19]
	v_max3_f32 v16, v16, v17, v18
	v_or_b32_e32 v17, 34, v14
	v_or_b32_e32 v18, 35, v14
	v_cmp_gt_i32_e64 s[12:13], s33, v17
	v_cmp_gt_i32_e64 s[14:15], s33, v18
	s_nop 0
	v_cndmask_b32_e64 v17, v15, v48, s[12:13]
	v_cndmask_b32_e64 v18, v15, v49, s[14:15]
	v_max3_f32 v16, v16, v17, v18
	v_or_b32_e32 v17, 48, v14
	v_or_b32_e32 v18, 49, v14
	v_cmp_gt_i32_e64 s[8:9], s33, v17
	v_cmp_gt_i32_e64 s[10:11], s33, v18
	s_nop 0
	v_cndmask_b32_e64 v17, v15, v44, s[8:9]
	v_cndmask_b32_e64 v18, v15, v45, s[10:11]
	v_max3_f32 v16, v16, v17, v18
	v_or_b32_e32 v17, 50, v14
	v_or_b32_e32 v14, 51, v14
	v_cmp_gt_i32_e32 vcc, s33, v17
	v_cmp_gt_i32_e64 s[6:7], s33, v14
	s_nop 0
	v_cndmask_b32_e32 v17, v15, v38, vcc
	v_cndmask_b32_e64 v14, v15, v39, s[6:7]
	v_max3_f32 v16, v16, v17, v14
	v_mbcnt_lo_u32_b32 v14, -1, 0
	v_mbcnt_hi_u32_b32 v17, -1, v14
	v_and_b32_e32 v14, 64, v17
	v_add_u32_e32 v18, 64, v14
	v_xor_b32_e32 v14, 32, v17
	v_cmp_lt_i32_e64 s[40:41], v14, v18
	s_nop 1
	v_cndmask_b32_e64 v14, v17, v14, s[40:41]
	v_lshlrev_b32_e32 v58, 2, v14
	ds_bpermute_b32 v19, v58, v16
	s_waitcnt vmcnt(5)
	v_mad_i64_i32 v[14:15], s[40:41], v60, s45, 0
	v_lshl_add_u64 v[14:15], v[14:15], 1, v[10:11]
	s_waitcnt lgkmcnt(0)
	v_max_f32_e32 v19, v19, v19
	v_max_f32_e32 v16, v16, v19
	v_xor_b32_e32 v19, 16, v17
	v_cmp_lt_i32_e64 s[40:41], v19, v18
	s_nop 1
	v_cndmask_b32_e64 v17, v17, v19, s[40:41]
	v_lshlrev_b32_e32 v57, 2, v17
	ds_bpermute_b32 v17, v57, v16
	global_load_dwordx4 v[22:25], v[14:15], off
	global_load_dwordx4 v[18:21], v[14:15], off offset:16
	s_waitcnt vmcnt(6)
	v_mad_i64_i32 v[14:15], s[40:41], v61, s45, 0
	v_lshl_add_u64 v[10:11], v[14:15], 1, v[10:11]
	s_waitcnt lgkmcnt(0)
	v_max_f32_e32 v14, v17, v17
	v_max_f32_e32 v56, v16, v14
	v_sub_f32_e32 v12, v12, v56
	v_mul_f32_e32 v12, 0x3fb8aa3b, v12
	v_exp_f32_e32 v40, v12
	v_sub_f32_e32 v12, v13, v56
	v_mul_f32_e32 v12, 0x3fb8aa3b, v12
	v_exp_f32_e32 v41, v12
	global_load_dwordx4 v[14:17], v[10:11], off
	s_nop 0
	global_load_dwordx4 v[10:13], v[10:11], off offset:16
	v_sub_f32_e32 v50, v50, v56
	v_mul_f32_e32 v50, 0x3fb8aa3b, v50
	v_sub_f32_e32 v51, v51, v56
	v_exp_f32_e32 v50, v50
	v_mul_f32_e32 v51, 0x3fb8aa3b, v51
	v_sub_f32_e32 v42, v42, v56
	v_exp_f32_e32 v51, v51
	v_mul_f32_e32 v42, 0x3fb8aa3b, v42
	v_sub_f32_e32 v43, v43, v56
	v_cndmask_b32_e64 v40, 0, v40, s[4:5]
	v_exp_f32_e32 v42, v42
	v_mul_f32_e32 v43, 0x3fb8aa3b, v43
	v_sub_f32_e32 v52, v52, v56
	v_add_f32_e32 v59, 0, v40
	v_cndmask_b32_e64 v41, 0, v41, s[34:35]
	v_exp_f32_e32 v43, v43
	v_mul_f32_e32 v52, 0x3fb8aa3b, v52
	v_sub_f32_e32 v53, v53, v56
	v_add_f32_e32 v59, v59, v41
	;; [unrolled: 5-line block ×10, first 2 shown]
	v_cndmask_b32_e64 v48, 0, v48, s[12:13]
	v_exp_f32_e32 v38, v38
	v_mul_f32_e32 v39, 0x3fb8aa3b, v39
	v_add_f32_e32 v59, v59, v48
	v_cndmask_b32_e64 v49, 0, v49, s[14:15]
	v_exp_f32_e32 v39, v39
	v_add_f32_e32 v59, v59, v49
	v_cndmask_b32_e64 v44, 0, v44, s[8:9]
	v_add_f32_e32 v59, v59, v44
	v_cndmask_b32_e64 v45, 0, v45, s[10:11]
	v_add_f32_e32 v59, v59, v45
	v_cndmask_b32_e32 v38, 0, v38, vcc
	v_add_f32_e32 v59, v59, v38
	v_cndmask_b32_e64 v39, 0, v39, s[6:7]
	v_add_f32_e32 v59, v59, v39
	ds_bpermute_b32 v58, v58, v59
	v_cmp_gt_u32_e32 vcc, 16, v55
	s_waitcnt lgkmcnt(0)
	s_barrier
	v_add_f32_e32 v58, v59, v58
	ds_bpermute_b32 v59, v57, v58
	v_lshlrev_b32_e32 v57, 2, v36
	s_and_saveexec_b64 s[4:5], vcc
	s_cbranch_execz .LBB490_13
; %bb.12:
	s_waitcnt lgkmcnt(0)
	v_add_f32_e32 v55, v58, v59
	v_lshl_or_b32 v58, v37, 6, v57
	ds_write2st64_b32 v58, v56, v55 offset1:1
.LBB490_13:
	s_or_b64 exec, exec, s[4:5]
	s_load_dword s6, s[0:1], 0x94
	s_waitcnt lgkmcnt(0)
	s_barrier
	ds_read2_b32 v[58:59], v57 offset1:16
	ds_read2_b32 v[60:61], v57 offset0:32 offset1:48
	ds_read2_b32 v[62:63], v57 offset0:64 offset1:80
	s_movk_i32 s8, 0x7fff
	s_mov_b32 s9, 0x7060302
	s_waitcnt lgkmcnt(2)
	v_max3_f32 v55, v58, s43, v59
	s_waitcnt lgkmcnt(1)
	v_max3_f32 v55, v55, v60, v61
	v_sub_f32_e32 v56, v58, v55
	v_mul_f32_e32 v56, 0x3fb8aa3b, v56
	v_exp_f32_e32 v64, v56
	v_sub_f32_e32 v56, v59, v55
	v_mul_f32_e32 v56, 0x3fb8aa3b, v56
	v_exp_f32_e32 v65, v56
	;; [unrolled: 3-line block ×3, first 2 shown]
	ds_read2_b32 v[58:59], v57 offset0:96 offset1:112
	v_sub_f32_e32 v56, v61, v55
	v_mul_f32_e32 v56, 0x3fb8aa3b, v56
	v_exp_f32_e32 v57, v56
	s_waitcnt lgkmcnt(1)
	v_fma_f32 v56, v64, v62, 0
	v_fmac_f32_e32 v56, v65, v63
	s_waitcnt lgkmcnt(0)
	v_fmac_f32_e32 v56, v60, v58
	v_fmac_f32_e32 v56, v57, v59
	v_add_f32_e32 v58, 0x358637bd, v56
	v_div_scale_f32 v59, s[4:5], v58, v58, 1.0
	v_rcp_f32_e32 v61, v59
	s_barrier
	v_fma_f32 v62, -v59, v61, 1.0
	v_fmac_f32_e32 v61, v62, v61
	v_div_scale_f32 v62, vcc, 1.0, v58, 1.0
	v_mul_f32_e32 v63, v62, v61
	v_fma_f32 v66, -v59, v63, v62
	v_fmac_f32_e32 v63, v66, v61
	v_fma_f32 v59, -v59, v63, v62
	v_div_fmas_f32 v59, v59, v61, v63
	v_cmp_eq_u32_e32 vcc, 1, v37
	v_div_fixup_f32 v58, v59, v58, 1.0
	s_mul_i32 s7, s29, 15
	v_cndmask_b32_e32 v59, v64, v65, vcc
	v_cmp_eq_u32_e32 vcc, 2, v37
	s_nop 1
	v_cndmask_b32_e32 v59, v59, v60, vcc
	v_cmp_eq_u32_e32 vcc, 3, v37
	v_lshlrev_b32_e32 v37, 11, v37
	s_nop 0
	v_cndmask_b32_e32 v57, v59, v57, vcc
	v_mul_f32_e32 v58, v57, v58
	v_pk_mul_f32 v[40:41], v[58:59], v[40:41] op_sel_hi:[0,1]
	v_pk_mul_f32 v[50:51], v[58:59], v[50:51] op_sel_hi:[0,1]
	v_bfe_u32 v57, v41, 16, 1
	v_bfe_u32 v59, v40, 16, 1
	v_add3_u32 v40, v40, v59, s8
	v_add3_u32 v41, v41, v57, s8
	v_perm_b32 v60, v41, v40, s9
	v_bfe_u32 v40, v51, 16, 1
	v_bfe_u32 v41, v50, 16, 1
	v_add3_u32 v41, v50, v41, s8
	v_add3_u32 v40, v51, v40, s8
	v_perm_b32 v61, v40, v41, s9
	v_lshlrev_b32_e32 v40, 3, v54
	v_pk_mul_f32 v[42:43], v[58:59], v[42:43] op_sel_hi:[0,1]
	v_or3_b32 v40, v37, v35, v40
	v_bfe_u32 v37, v43, 16, 1
	v_bfe_u32 v41, v42, 16, 1
	v_pk_mul_f32 v[50:51], v[58:59], v[52:53] op_sel_hi:[0,1]
	v_add3_u32 v41, v42, v41, s8
	v_add3_u32 v37, v43, v37, s8
	v_perm_b32 v42, v37, v41, s9
	v_bfe_u32 v37, v51, 16, 1
	v_bfe_u32 v41, v50, 16, 1
	v_add3_u32 v41, v50, v41, s8
	v_add3_u32 v37, v51, v37, s8
	v_pk_mul_f32 v[46:47], v[58:59], v[46:47] op_sel_hi:[0,1]
	v_perm_b32 v43, v37, v41, s9
	v_bfe_u32 v37, v47, 16, 1
	v_bfe_u32 v41, v46, 16, 1
	ds_write2st64_b64 v40, v[60:61], v[42:43] offset1:1
	v_pk_mul_f32 v[42:43], v[58:59], v[48:49] op_sel_hi:[0,1]
	v_add3_u32 v41, v46, v41, s8
	v_add3_u32 v37, v47, v37, s8
	v_perm_b32 v46, v37, v41, s9
	v_bfe_u32 v37, v43, 16, 1
	v_bfe_u32 v41, v42, 16, 1
	v_add3_u32 v41, v42, v41, s8
	v_add3_u32 v37, v43, v37, s8
	v_pk_mul_f32 v[42:43], v[58:59], v[44:45] op_sel_hi:[0,1]
	v_perm_b32 v47, v37, v41, s9
	v_bfe_u32 v37, v43, 16, 1
	v_bfe_u32 v41, v42, 16, 1
	v_pk_mul_f32 v[38:39], v[58:59], v[38:39] op_sel_hi:[0,1]
	v_add3_u32 v41, v42, v41, s8
	v_add3_u32 v37, v43, v37, s8
	v_perm_b32 v42, v37, v41, s9
	v_bfe_u32 v37, v39, 16, 1
	v_bfe_u32 v41, v38, 16, 1
	v_add3_u32 v38, v38, v41, s8
	v_add3_u32 v37, v39, v37, s8
	v_perm_b32 v43, v37, v38, s9
	v_cmp_gt_u32_e32 vcc, 15, v0
	ds_write2st64_b64 v40, v[46:47], v[42:43] offset0:2 offset1:3
	s_and_saveexec_b64 s[4:5], vcc
	s_cbranch_execz .LBB490_15
; %bb.14:
	s_mov_b32 s43, 0
	v_mov_b32_e32 v37, 0
	v_lshl_add_u64 v[38:39], s[42:43], 0, v[36:37]
	v_mov_b32_e32 v36, s7
	v_mad_u64_u32 v[38:39], s[10:11], s2, v36, v[38:39]
	v_mov_b32_e32 v36, s28
	s_load_dwordx4 s[12:15], s[0:1], 0x58
	s_mul_i32 s3, s3, s7
	v_mad_u64_u32 v[36:37], s[10:11], v38, s6, v[36:37]
	v_add_u32_e32 v39, s3, v39
	v_mov_b32_e32 v38, v37
	v_mad_u64_u32 v[38:39], s[10:11], v39, s6, v[38:39]
	v_mov_b32_e32 v37, v38
	v_lshlrev_b64 v[36:37], 2, v[36:37]
	s_waitcnt lgkmcnt(0)
	v_lshl_add_u64 v[38:39], s[14:15], 0, v[36:37]
	v_lshl_add_u64 v[36:37], s[12:13], 0, v[36:37]
	global_store_dword v[38:39], v55, off
	global_store_dword v[36:37], v56, off
.LBB490_15:
	s_or_b64 exec, exec, s[4:5]
	v_lshl_or_b32 v35, v54, 9, v35
	s_waitcnt lgkmcnt(0)
	s_barrier
	ds_read_b128 v[36:39], v35
	ds_read_b128 v[42:45], v35 offset:16
	s_waitcnt vmcnt(7) lgkmcnt(1)
	v_mfma_f32_16x16x16_bf16 v[46:49], v[6:7], v[36:37], 0
	v_cmp_gt_u32_e32 vcc, 64, v0
	s_mov_b32 s3, 0
	s_and_b64 s[4:5], vcc, s[30:31]
	v_mfma_f32_16x16x16_bf16 v[6:9], v[8:9], v[38:39], v[46:49]
	s_waitcnt vmcnt(6) lgkmcnt(0)
	v_mfma_f32_16x16x16_bf16 v[6:9], v[2:3], v[42:43], v[6:9]
	v_mfma_f32_16x16x16_bf16 v[2:5], v[4:5], v[44:45], v[6:9]
	s_nop 5
	ds_read_b128 v[6:9], v35 offset:2048
	ds_read_b128 v[36:39], v35 offset:2064
	s_waitcnt vmcnt(5) lgkmcnt(1)
	v_mfma_f32_16x16x16_bf16 v[2:5], v[30:31], v[6:7], v[2:5]
	v_mfma_f32_16x16x16_bf16 v[2:5], v[32:33], v[8:9], v[2:5]
	s_waitcnt vmcnt(4) lgkmcnt(0)
	v_mfma_f32_16x16x16_bf16 v[2:5], v[26:27], v[36:37], v[2:5]
	v_mfma_f32_16x16x16_bf16 v[2:5], v[28:29], v[38:39], v[2:5]
	ds_read_b128 v[6:9], v35 offset:4096
	ds_read_b128 v[26:29], v35 offset:4112
	s_waitcnt vmcnt(3) lgkmcnt(1)
	v_mfma_f32_16x16x16_bf16 v[2:5], v[22:23], v[6:7], v[2:5]
	v_mfma_f32_16x16x16_bf16 v[2:5], v[24:25], v[8:9], v[2:5]
	s_waitcnt vmcnt(2) lgkmcnt(0)
	v_mfma_f32_16x16x16_bf16 v[2:5], v[18:19], v[26:27], v[2:5]
	v_mfma_f32_16x16x16_bf16 v[2:5], v[20:21], v[28:29], v[2:5]
	ds_read_b128 v[6:9], v35 offset:6144
	ds_read_b128 v[18:21], v35 offset:6160
	v_mov_b32_e32 v35, 0
	s_waitcnt vmcnt(1) lgkmcnt(0)
	v_mfma_f32_16x16x16_bf16 v[2:5], v[14:15], v[6:7], v[2:5]
	s_barrier
	v_mfma_f32_16x16x16_bf16 v[2:5], v[16:17], v[8:9], v[2:5]
	s_waitcnt vmcnt(0)
	v_mfma_f32_16x16x16_bf16 v[2:5], v[10:11], v[18:19], v[2:5]
	v_mfma_f32_16x16x16_bf16 v[2:5], v[12:13], v[20:21], v[2:5]
	s_nop 6
	v_bfe_u32 v6, v3, 16, 1
	v_bfe_u32 v7, v2, 16, 1
	;; [unrolled: 1-line block ×4, first 2 shown]
	v_add3_u32 v2, v2, v7, s8
	v_add3_u32 v3, v3, v6, s8
	;; [unrolled: 1-line block ×4, first 2 shown]
	v_perm_b32 v2, v3, v2, s9
	v_perm_b32 v3, v5, v4, s9
	ds_write_b64 v40, v[2:3]
	s_waitcnt lgkmcnt(0)
	s_barrier
	s_and_saveexec_b64 s[8:9], s[4:5]
	s_cbranch_execz .LBB490_18
; %bb.16:
	s_load_dwordx2 s[4:5], s[0:1], 0x68
	s_lshl_b32 s0, s6, 6
	s_mul_i32 s1, s7, s2
	s_mul_hi_u32 s7, s1, s0
	s_mul_i32 s6, s1, s0
	v_lshlrev_b32_e32 v0, 10, v0
	s_lshl_b64 s[6:7], s[6:7], 1
	v_and_b32_e32 v0, 0x1800, v0
	v_lshlrev_b32_e32 v2, 5, v54
	v_and_b32_e32 v1, 16, v1
	s_waitcnt lgkmcnt(0)
	s_add_u32 s1, s4, s6
	v_or3_b32 v2, v0, v2, v1
	s_addc_u32 s4, s5, s7
	s_lshl_b32 s2, s28, 6
	ds_read_b128 v[4:7], v2 offset:256
	s_lshl_b64 s[2:3], s[2:3], 1
	ds_read_b128 v[8:11], v2 offset:128
	ds_read_b128 v[12:15], v2
	s_add_u32 s2, s1, s2
	s_addc_u32 s3, s4, s3
	v_add_u32_e32 v3, s42, v54
	v_lshl_add_u64 v[0:1], s[2:3], 0, v[34:35]
	v_mad_u64_u32 v[16:17], s[2:3], v3, s0, 0
	v_lshl_add_u64 v[16:17], v[16:17], 1, v[0:1]
	s_waitcnt lgkmcnt(0)
	global_store_dwordx4 v[16:17], v[12:15], off
	v_cmp_ne_u32_e32 vcc, 3, v54
	s_nop 0
	v_add_u32_e32 v12, 4, v3
	v_mad_u64_u32 v[12:13], s[2:3], v12, s0, 0
	v_lshl_add_u64 v[12:13], v[12:13], 1, v[0:1]
	v_add_u32_e32 v3, 8, v3
	global_store_dwordx4 v[12:13], v[8:11], off
	s_nop 1
	v_mad_u64_u32 v[8:9], s[2:3], v3, s0, 0
	v_lshl_add_u64 v[8:9], v[8:9], 1, v[0:1]
	global_store_dwordx4 v[8:9], v[4:7], off
	s_and_b64 exec, exec, vcc
	s_cbranch_execz .LBB490_18
; %bb.17:
	ds_read_b128 v[2:5], v2 offset:384
	v_add3_u32 v6, s42, v54, 12
	v_mad_u64_u32 v[6:7], s[0:1], v6, s0, 0
	v_lshl_add_u64 v[0:1], v[6:7], 1, v[0:1]
	s_waitcnt lgkmcnt(0)
	global_store_dwordx4 v[0:1], v[2:5], off
.LBB490_18:
	s_endpgm
	.section	.rodata,"a",@progbits
	.p2align	6, 0x0
	.amdhsa_kernel _Z39paged_attention_ll4mi_QKV_mfma16_kernelI14__hip_bfloat16S0_LN4vllm18Fp8KVCacheDataTypeE0ES0_Li16ELi64ELi256ELb0ELi15EEvPKT_PKT0_S8_ifPKiSA_SA_iPKfiiiPfSD_PS3_PT2_iSC_SC_
		.amdhsa_group_segment_fixed_size 8192
		.amdhsa_private_segment_fixed_size 0
		.amdhsa_kernarg_size 400
		.amdhsa_user_sgpr_count 2
		.amdhsa_user_sgpr_dispatch_ptr 0
		.amdhsa_user_sgpr_queue_ptr 0
		.amdhsa_user_sgpr_kernarg_segment_ptr 1
		.amdhsa_user_sgpr_dispatch_id 0
		.amdhsa_user_sgpr_kernarg_preload_length 0
		.amdhsa_user_sgpr_kernarg_preload_offset 0
		.amdhsa_user_sgpr_private_segment_size 0
		.amdhsa_uses_dynamic_stack 0
		.amdhsa_enable_private_segment 0
		.amdhsa_system_sgpr_workgroup_id_x 1
		.amdhsa_system_sgpr_workgroup_id_y 1
		.amdhsa_system_sgpr_workgroup_id_z 1
		.amdhsa_system_sgpr_workgroup_info 0
		.amdhsa_system_vgpr_workitem_id 0
		.amdhsa_next_free_vgpr 69
		.amdhsa_next_free_sgpr 48
		.amdhsa_accum_offset 72
		.amdhsa_reserve_vcc 1
		.amdhsa_float_round_mode_32 0
		.amdhsa_float_round_mode_16_64 0
		.amdhsa_float_denorm_mode_32 3
		.amdhsa_float_denorm_mode_16_64 3
		.amdhsa_dx10_clamp 1
		.amdhsa_ieee_mode 1
		.amdhsa_fp16_overflow 0
		.amdhsa_tg_split 0
		.amdhsa_exception_fp_ieee_invalid_op 0
		.amdhsa_exception_fp_denorm_src 0
		.amdhsa_exception_fp_ieee_div_zero 0
		.amdhsa_exception_fp_ieee_overflow 0
		.amdhsa_exception_fp_ieee_underflow 0
		.amdhsa_exception_fp_ieee_inexact 0
		.amdhsa_exception_int_div_zero 0
	.end_amdhsa_kernel
	.section	.text._Z39paged_attention_ll4mi_QKV_mfma16_kernelI14__hip_bfloat16S0_LN4vllm18Fp8KVCacheDataTypeE0ES0_Li16ELi64ELi256ELb0ELi15EEvPKT_PKT0_S8_ifPKiSA_SA_iPKfiiiPfSD_PS3_PT2_iSC_SC_,"axG",@progbits,_Z39paged_attention_ll4mi_QKV_mfma16_kernelI14__hip_bfloat16S0_LN4vllm18Fp8KVCacheDataTypeE0ES0_Li16ELi64ELi256ELb0ELi15EEvPKT_PKT0_S8_ifPKiSA_SA_iPKfiiiPfSD_PS3_PT2_iSC_SC_,comdat
.Lfunc_end490:
	.size	_Z39paged_attention_ll4mi_QKV_mfma16_kernelI14__hip_bfloat16S0_LN4vllm18Fp8KVCacheDataTypeE0ES0_Li16ELi64ELi256ELb0ELi15EEvPKT_PKT0_S8_ifPKiSA_SA_iPKfiiiPfSD_PS3_PT2_iSC_SC_, .Lfunc_end490-_Z39paged_attention_ll4mi_QKV_mfma16_kernelI14__hip_bfloat16S0_LN4vllm18Fp8KVCacheDataTypeE0ES0_Li16ELi64ELi256ELb0ELi15EEvPKT_PKT0_S8_ifPKiSA_SA_iPKfiiiPfSD_PS3_PT2_iSC_SC_
                                        ; -- End function
	.section	.AMDGPU.csdata,"",@progbits
; Kernel info:
; codeLenInByte = 4108
; NumSgprs: 54
; NumVgprs: 69
; NumAgprs: 0
; TotalNumVgprs: 69
; ScratchSize: 0
; MemoryBound: 0
; FloatMode: 240
; IeeeMode: 1
; LDSByteSize: 8192 bytes/workgroup (compile time only)
; SGPRBlocks: 6
; VGPRBlocks: 8
; NumSGPRsForWavesPerEU: 54
; NumVGPRsForWavesPerEU: 69
; AccumOffset: 72
; Occupancy: 7
; WaveLimiterHint : 1
; COMPUTE_PGM_RSRC2:SCRATCH_EN: 0
; COMPUTE_PGM_RSRC2:USER_SGPR: 2
; COMPUTE_PGM_RSRC2:TRAP_HANDLER: 0
; COMPUTE_PGM_RSRC2:TGID_X_EN: 1
; COMPUTE_PGM_RSRC2:TGID_Y_EN: 1
; COMPUTE_PGM_RSRC2:TGID_Z_EN: 1
; COMPUTE_PGM_RSRC2:TIDIG_COMP_CNT: 0
; COMPUTE_PGM_RSRC3_GFX90A:ACCUM_OFFSET: 17
; COMPUTE_PGM_RSRC3_GFX90A:TG_SPLIT: 0
	.section	.text._Z39paged_attention_ll4mi_QKV_mfma16_kernelI14__hip_bfloat16S0_LN4vllm18Fp8KVCacheDataTypeE0ES0_Li16ELi64ELi256ELb0ELi16EEvPKT_PKT0_S8_ifPKiSA_SA_iPKfiiiPfSD_PS3_PT2_iSC_SC_,"axG",@progbits,_Z39paged_attention_ll4mi_QKV_mfma16_kernelI14__hip_bfloat16S0_LN4vllm18Fp8KVCacheDataTypeE0ES0_Li16ELi64ELi256ELb0ELi16EEvPKT_PKT0_S8_ifPKiSA_SA_iPKfiiiPfSD_PS3_PT2_iSC_SC_,comdat
	.protected	_Z39paged_attention_ll4mi_QKV_mfma16_kernelI14__hip_bfloat16S0_LN4vllm18Fp8KVCacheDataTypeE0ES0_Li16ELi64ELi256ELb0ELi16EEvPKT_PKT0_S8_ifPKiSA_SA_iPKfiiiPfSD_PS3_PT2_iSC_SC_ ; -- Begin function _Z39paged_attention_ll4mi_QKV_mfma16_kernelI14__hip_bfloat16S0_LN4vllm18Fp8KVCacheDataTypeE0ES0_Li16ELi64ELi256ELb0ELi16EEvPKT_PKT0_S8_ifPKiSA_SA_iPKfiiiPfSD_PS3_PT2_iSC_SC_
	.globl	_Z39paged_attention_ll4mi_QKV_mfma16_kernelI14__hip_bfloat16S0_LN4vllm18Fp8KVCacheDataTypeE0ES0_Li16ELi64ELi256ELb0ELi16EEvPKT_PKT0_S8_ifPKiSA_SA_iPKfiiiPfSD_PS3_PT2_iSC_SC_
	.p2align	8
	.type	_Z39paged_attention_ll4mi_QKV_mfma16_kernelI14__hip_bfloat16S0_LN4vllm18Fp8KVCacheDataTypeE0ES0_Li16ELi64ELi256ELb0ELi16EEvPKT_PKT0_S8_ifPKiSA_SA_iPKfiiiPfSD_PS3_PT2_iSC_SC_,@function
_Z39paged_attention_ll4mi_QKV_mfma16_kernelI14__hip_bfloat16S0_LN4vllm18Fp8KVCacheDataTypeE0ES0_Li16ELi64ELi256ELb0ELi16EEvPKT_PKT0_S8_ifPKiSA_SA_iPKfiiiPfSD_PS3_PT2_iSC_SC_: ; @_Z39paged_attention_ll4mi_QKV_mfma16_kernelI14__hip_bfloat16S0_LN4vllm18Fp8KVCacheDataTypeE0ES0_Li16ELi64ELi256ELb0ELi16EEvPKT_PKT0_S8_ifPKiSA_SA_iPKfiiiPfSD_PS3_PT2_iSC_SC_
; %bb.0:
	s_load_dwordx2 s[12:13], s[0:1], 0x30
	s_mov_b32 s28, s3
	s_mov_b64 s[6:7], 0
	s_waitcnt lgkmcnt(0)
	s_cmp_lg_u64 s[12:13], 0
	s_cselect_b64 s[14:15], -1, 0
	s_and_b64 vcc, exec, s[14:15]
	s_cbranch_vccz .LBB491_7
; %bb.1:
	s_add_i32 s8, s2, 1
	s_mov_b32 s9, 0
	s_lshl_b64 s[10:11], s[8:9], 2
	s_add_u32 s10, s12, s10
	s_mov_b32 s3, s9
	s_addc_u32 s11, s13, s11
	s_lshl_b64 s[8:9], s[2:3], 2
	s_add_u32 s8, s12, s8
	s_addc_u32 s9, s13, s9
	s_load_dword s5, s[10:11], 0x0
	s_load_dword s16, s[8:9], 0x0
	s_waitcnt lgkmcnt(0)
	s_sub_i32 s5, s5, s16
	s_cmp_eq_u32 s5, 1
	s_cselect_b64 s[8:9], -1, 0
	s_andn2_b64 vcc, exec, s[6:7]
	s_cbranch_vccnz .LBB491_3
.LBB491_2:
	s_mov_b32 s3, 0
	s_mov_b64 s[8:9], -1
.LBB491_3:
	s_andn2_b64 vcc, exec, s[8:9]
	s_cbranch_vccnz .LBB491_17
; %bb.4:
	s_load_dwordx2 s[6:7], s[0:1], 0x28
	s_lshl_b64 s[16:17], s[2:3], 2
	s_waitcnt lgkmcnt(0)
	s_add_u32 s6, s6, s16
	s_addc_u32 s7, s7, s17
	s_load_dword s40, s[6:7], 0x0
	s_lshl_b32 s18, s28, 8
	s_waitcnt lgkmcnt(0)
	s_cmp_ge_i32 s18, s40
	s_cbranch_scc1 .LBB491_17
; %bb.5:
	s_load_dwordx2 s[6:7], s[0:1], 0x20
	s_load_dword s5, s[0:1], 0x38
	s_add_i32 s8, s40, 15
	s_ashr_i32 s9, s8, 31
	v_and_b32_e32 v1, 0xcf, v0
	s_lshr_b32 s9, s9, 28
	v_add_u32_e32 v1, s18, v1
	s_add_i32 s8, s8, s9
	v_ashrrev_i32_e32 v2, 31, v1
	s_ashr_i32 s19, s8, 4
	v_lshrrev_b32_e32 v8, 28, v2
	s_add_i32 s19, s19, -1
	s_waitcnt lgkmcnt(0)
	s_mul_i32 s8, s2, s5
	s_mov_b32 s9, 0
	v_add_u32_e32 v2, v1, v8
	s_lshl_b64 s[8:9], s[8:9], 2
	v_ashrrev_i32_e32 v2, 4, v2
	v_mov_b32_e32 v9, s19
	v_cmp_gt_i32_e32 vcc, s40, v1
	s_add_u32 s6, s6, s8
	s_addc_u32 s7, s7, s9
	v_cndmask_b32_e32 v2, v9, v2, vcc
	v_ashrrev_i32_e32 v3, 31, v2
	v_lshl_add_u64 v[4:5], v[2:3], 2, s[6:7]
	v_or_b32_e32 v2, 16, v1
	v_add_u32_e32 v3, v2, v8
	v_ashrrev_i32_e32 v3, 4, v3
	v_cmp_gt_i32_e32 vcc, s40, v2
	s_load_dwordx4 s[8:11], s[0:1], 0x8
	s_nop 0
	v_cndmask_b32_e32 v2, v9, v3, vcc
	v_ashrrev_i32_e32 v3, 31, v2
	v_lshl_add_u64 v[6:7], v[2:3], 2, s[6:7]
	v_or_b32_e32 v2, 32, v1
	v_add_u32_e32 v3, v2, v8
	v_ashrrev_i32_e32 v3, 4, v3
	v_cmp_gt_i32_e32 vcc, s40, v2
	v_or_b32_e32 v1, 48, v1
	s_nop 0
	v_cndmask_b32_e32 v2, v9, v3, vcc
	v_ashrrev_i32_e32 v3, 31, v2
	v_lshl_add_u64 v[12:13], v[2:3], 2, s[6:7]
	v_add_u32_e32 v2, v1, v8
	v_ashrrev_i32_e32 v2, 4, v2
	v_cmp_gt_i32_e32 vcc, s40, v1
	s_nop 1
	v_cndmask_b32_e32 v2, v9, v2, vcc
	v_ashrrev_i32_e32 v3, 31, v2
	v_lshl_add_u64 v[14:15], v[2:3], 2, s[6:7]
	global_load_dword v2, v[4:5], off
	global_load_dword v10, v[6:7], off
	;; [unrolled: 1-line block ×4, first 2 shown]
	s_andn2_b64 vcc, exec, s[14:15]
	s_cbranch_vccnz .LBB491_8
; %bb.6:
	s_add_u32 s12, s12, s16
	s_addc_u32 s13, s13, s17
	s_load_dword s5, s[12:13], 0x0
	s_branch .LBB491_9
.LBB491_7:
	s_mov_b64 s[8:9], 0
	s_branch .LBB491_2
.LBB491_8:
	s_mov_b32 s5, s2
.LBB491_9:
	s_load_dwordx4 s[44:47], s[0:1], 0x48
	v_and_b32_e32 v55, 15, v0
	s_movk_i32 s12, 0x100
	v_lshlrev_b32_e32 v3, 3, v55
	v_cmp_gt_u32_e32 vcc, s12, v0
	v_cmp_gt_u32_e64 s[30:31], 8, v55
	v_lshrrev_b32_e32 v53, 6, v0
	v_and_b32_e32 v54, 63, v0
	v_bfe_u32 v1, v0, 4, 2
	s_lshl_b32 s29, s4, 4
	s_and_b64 s[14:15], vcc, s[30:31]
	v_lshlrev_b32_e32 v34, 1, v3
	s_and_saveexec_b64 s[12:13], s[14:15]
	s_cbranch_execz .LBB491_11
; %bb.10:
	s_load_dwordx2 s[14:15], s[0:1], 0x0
	s_waitcnt lgkmcnt(0)
	s_ashr_i32 s16, s44, 31
	s_mul_hi_u32 s17, s5, s44
	s_mul_i32 s16, s5, s16
	s_add_i32 s17, s17, s16
	s_mul_i32 s16, s5, s44
	v_lshl_or_b32 v3, v53, 2, v1
	s_lshl_b64 s[16:17], s[16:17], 1
	s_add_u32 s14, s14, s16
	v_add_lshl_u32 v4, v3, s29, 6
	s_addc_u32 s15, s15, s17
	v_ashrrev_i32_e32 v5, 31, v4
	v_lshl_add_u64 v[4:5], v[4:5], 1, s[14:15]
	v_mov_b32_e32 v35, 0
	v_lshl_add_u64 v[4:5], v[4:5], 0, v[34:35]
	global_load_dwordx4 v[4:7], v[4:5], off
	v_and_b32_e32 v11, 3, v0
	v_lshlrev_b32_e32 v12, 9, v55
	v_lshlrev_b32_e32 v3, 5, v3
	;; [unrolled: 1-line block ×3, first 2 shown]
	v_and_b32_e32 v12, 0x1800, v12
	v_or3_b32 v3, v12, v11, v3
	s_waitcnt vmcnt(0)
	ds_write_b128 v3, v[4:7]
.LBB491_11:
	s_or_b64 exec, exec, s[12:13]
	s_waitcnt lgkmcnt(0)
	s_mul_i32 s4, s4, s46
	s_mov_b32 s5, 0
	s_lshl_b64 s[4:5], s[4:5], 1
	s_add_u32 s8, s8, s4
	v_lshlrev_b32_e32 v52, 4, v0
	s_addc_u32 s9, s9, s5
	v_and_b32_e32 v6, 0xf0, v52
	v_mov_b32_e32 v7, 0
	v_lshl_add_u64 v[12:13], s[8:9], 0, v[6:7]
	s_waitcnt vmcnt(3)
	v_mad_i64_i32 v[2:3], s[8:9], v2, s45, 0
	v_lshl_add_u64 v[2:3], v[2:3], 1, v[12:13]
	v_and_b32_e32 v6, 0x300, v52
	s_waitcnt vmcnt(2)
	v_mad_i64_i32 v[20:21], s[8:9], v10, s45, 0
	s_waitcnt vmcnt(1)
	v_mad_i64_i32 v[24:25], s[8:9], v9, s45, 0
	v_lshl_add_u64 v[14:15], v[2:3], 0, v[6:7]
	v_lshlrev_b32_e32 v56, 5, v55
	v_lshl_add_u64 v[20:21], v[20:21], 1, v[12:13]
	v_lshl_add_u64 v[24:25], v[24:25], 1, v[12:13]
	s_load_dword s33, s[0:1], 0x98
	s_load_dword s12, s[0:1], 0x1c
	s_waitcnt lgkmcnt(0)
	s_barrier
	global_load_dwordx4 v[2:5], v[14:15], off
	s_waitcnt vmcnt(1)
	v_mad_i64_i32 v[26:27], s[8:9], v8, s45, 0
	v_lshl_or_b32 v35, v1, 9, v56
	v_lshl_add_u64 v[32:33], v[20:21], 0, v[6:7]
	v_lshl_add_u64 v[30:31], v[24:25], 0, v[6:7]
	ds_read_b128 v[16:19], v35
	ds_read_b128 v[8:11], v35 offset:2048
	global_load_dwordx4 v[20:23], v[32:33], off
	v_lshl_add_u64 v[12:13], v[26:27], 1, v[12:13]
	global_load_dwordx4 v[24:27], v[30:31], off
	v_lshl_add_u64 v[28:29], v[12:13], 0, v[6:7]
	global_load_dwordx4 v[12:15], v[14:15], off offset:1024
	s_nop 0
	global_load_dwordx4 v[40:43], v[28:29], off
	global_load_dwordx4 v[44:47], v[32:33], off offset:1024
	global_load_dwordx4 v[62:65], v[28:29], off offset:1024
	v_and_or_b32 v6, v0, 48, s18
	global_load_dwordx4 v[30:33], v[30:31], off offset:1024
	v_mov_b32_e32 v57, s19
	v_cmp_gt_i32_e32 vcc, s40, v6
	v_or_b32_e32 v28, 0x80, v6
	v_ashrrev_i32_e32 v29, 4, v28
	s_add_u32 s4, s10, s4
	s_addc_u32 s5, s11, s5
	s_mov_b32 s42, 0xff7fffff
	v_lshlrev_b32_e32 v55, 2, v55
	s_waitcnt vmcnt(3) lgkmcnt(1)
	v_mfma_f32_16x16x16_bf16 v[66:69], v[40:41], v[16:17], 0
	v_mfma_f32_16x16x16_bf16 v[36:39], v[2:3], v[16:17], 0
	v_ashrrev_i32_e32 v2, 4, v6
	v_mfma_f32_16x16x16_bf16 v[48:51], v[20:21], v[16:17], 0
	v_or_b32_e32 v20, 64, v6
	v_ashrrev_i32_e32 v21, 4, v20
	v_or_b32_e32 v6, 0xc0, v6
	v_mfma_f32_16x16x16_bf16 v[58:61], v[24:25], v[16:17], 0
	v_cndmask_b32_e32 v16, v57, v2, vcc
	v_ashrrev_i32_e32 v17, 31, v16
	v_lshl_add_u64 v[16:17], v[16:17], 2, s[6:7]
	v_mfma_f32_16x16x16_bf16 v[2:5], v[4:5], v[18:19], v[36:39]
	v_cmp_gt_i32_e32 vcc, s40, v20
	s_nop 1
	global_load_dword v36, v[16:17], off
	v_cndmask_b32_e32 v24, v57, v21, vcc
	v_ashrrev_i32_e32 v25, 31, v24
	v_lshl_add_u64 v[16:17], v[24:25], 2, s[6:7]
	global_load_dword v37, v[16:17], off
	v_cmp_gt_i32_e32 vcc, s40, v28
	v_ashrrev_i32_e32 v38, 4, v6
	s_waitcnt lgkmcnt(0)
	v_mfma_f32_16x16x16_bf16 v[2:5], v[12:13], v[8:9], v[2:5]
	v_cndmask_b32_e32 v12, v57, v29, vcc
	v_cmp_gt_i32_e32 vcc, s40, v6
	v_ashrrev_i32_e32 v13, 31, v12
	v_lshl_add_u64 v[12:13], v[12:13], 2, s[6:7]
	v_cndmask_b32_e32 v28, v57, v38, vcc
	v_ashrrev_i32_e32 v29, 31, v28
	v_mfma_f32_16x16x16_bf16 v[24:27], v[26:27], v[18:19], v[58:61]
	v_lshl_add_u64 v[28:29], v[28:29], 2, s[6:7]
	global_load_dword v57, v[12:13], off
	s_nop 0
	global_load_dword v58, v[28:29], off
	v_lshl_or_b32 v6, v53, 9, v56
	v_mfma_f32_16x16x16_bf16 v[20:23], v[22:23], v[18:19], v[48:51]
	v_lshl_add_u64 v[12:13], s[4:5], 0, v[6:7]
	v_mfma_f32_16x16x16_bf16 v[16:19], v[42:43], v[18:19], v[66:69]
	s_waitcnt vmcnt(5)
	v_mfma_f32_16x16x16_bf16 v[16:19], v[62:63], v[8:9], v[16:19]
	s_waitcnt vmcnt(4)
	v_mfma_f32_16x16x16_bf16 v[24:27], v[30:31], v[8:9], v[24:27]
	v_mfma_f32_16x16x16_bf16 v[28:31], v[14:15], v[10:11], v[2:5]
	v_mfma_f32_16x16x16_bf16 v[20:23], v[44:45], v[8:9], v[20:23]
	s_waitcnt vmcnt(3)
	s_nop 0
	v_mad_i64_i32 v[2:3], s[4:5], v36, s45, 0
	v_lshl_add_u64 v[14:15], v[2:3], 1, v[12:13]
	global_load_dwordx4 v[6:9], v[14:15], off
	global_load_dwordx4 v[2:5], v[14:15], off offset:16
	v_mfma_f32_16x16x16_bf16 v[14:17], v[64:65], v[10:11], v[16:19]
	s_waitcnt vmcnt(4)
	v_mad_i64_i32 v[36:37], s[4:5], v37, s45, 0
	v_lshl_add_u64 v[38:39], v[36:37], 1, v[12:13]
	v_mfma_f32_16x16x16_bf16 v[20:23], v[46:47], v[10:11], v[20:23]
	v_pk_mul_f32 v[48:49], s[12:13], v[30:31] op_sel_hi:[0,1]
	s_nop 1
	v_pk_mul_f32 v[42:43], s[12:13], v[14:15] op_sel_hi:[0,1]
	v_and_b32_e32 v14, 0xc0, v0
	v_add_u32_e32 v14, s18, v14
	v_lshl_or_b32 v14, v1, 2, v14
	v_pk_mul_f32 v[36:37], s[12:13], v[16:17] op_sel_hi:[0,1]
	v_or_b32_e32 v17, 1, v14
	v_mfma_f32_16x16x16_bf16 v[24:27], v[32:33], v[10:11], v[24:27]
	v_pk_mul_f32 v[10:11], s[12:13], v[28:29] op_sel_hi:[0,1]
	v_mov_b32_e32 v15, 0xff7fffff
	v_cmp_gt_i32_e64 s[4:5], s40, v14
	v_cmp_gt_i32_e64 s[34:35], s40, v17
	v_or_b32_e32 v18, 3, v14
	v_cndmask_b32_e64 v16, v15, v10, s[4:5]
	v_cndmask_b32_e64 v17, v15, v11, s[34:35]
	v_max3_f32 v16, v16, s42, v17
	v_or_b32_e32 v17, 2, v14
	v_cmp_gt_i32_e64 s[36:37], s40, v17
	v_cmp_gt_i32_e64 s[38:39], s40, v18
	v_pk_mul_f32 v[40:41], s[12:13], v[20:21] op_sel_hi:[0,1]
	v_cndmask_b32_e64 v17, v15, v48, s[36:37]
	v_cndmask_b32_e64 v18, v15, v49, s[38:39]
	v_max3_f32 v16, v16, v17, v18
	v_or_b32_e32 v17, 16, v14
	v_or_b32_e32 v18, 17, v14
	v_cmp_gt_i32_e64 s[24:25], s40, v17
	v_cmp_gt_i32_e64 s[26:27], s40, v18
	v_pk_mul_f32 v[50:51], s[12:13], v[22:23] op_sel_hi:[0,1]
	v_cndmask_b32_e64 v17, v15, v40, s[24:25]
	v_cndmask_b32_e64 v18, v15, v41, s[26:27]
	v_max3_f32 v16, v16, v17, v18
	v_or_b32_e32 v17, 18, v14
	;; [unrolled: 8-line block ×4, first 2 shown]
	v_or_b32_e32 v18, 35, v14
	v_cmp_gt_i32_e64 s[12:13], s40, v17
	v_cmp_gt_i32_e64 s[14:15], s40, v18
	global_load_dwordx4 v[30:33], v[38:39], off
	global_load_dwordx4 v[26:29], v[38:39], off offset:16
	v_cndmask_b32_e64 v17, v15, v46, s[12:13]
	v_cndmask_b32_e64 v18, v15, v47, s[14:15]
	v_max3_f32 v16, v16, v17, v18
	v_or_b32_e32 v17, 48, v14
	v_or_b32_e32 v18, 49, v14
	v_cmp_gt_i32_e64 s[8:9], s40, v17
	v_cmp_gt_i32_e64 s[10:11], s40, v18
	s_nop 0
	v_cndmask_b32_e64 v17, v15, v42, s[8:9]
	v_cndmask_b32_e64 v18, v15, v43, s[10:11]
	v_max3_f32 v16, v16, v17, v18
	v_or_b32_e32 v17, 50, v14
	v_or_b32_e32 v14, 51, v14
	v_cmp_gt_i32_e32 vcc, s40, v17
	v_cmp_gt_i32_e64 s[6:7], s40, v14
	s_nop 0
	v_cndmask_b32_e32 v17, v15, v36, vcc
	v_cndmask_b32_e64 v14, v15, v37, s[6:7]
	v_max3_f32 v16, v16, v17, v14
	v_mbcnt_lo_u32_b32 v14, -1, 0
	v_mbcnt_hi_u32_b32 v17, -1, v14
	v_and_b32_e32 v14, 64, v17
	v_add_u32_e32 v18, 64, v14
	v_xor_b32_e32 v14, 32, v17
	v_cmp_lt_i32_e64 s[40:41], v14, v18
	s_nop 1
	v_cndmask_b32_e64 v14, v17, v14, s[40:41]
	v_lshlrev_b32_e32 v59, 2, v14
	ds_bpermute_b32 v19, v59, v16
	s_waitcnt vmcnt(5)
	v_mad_i64_i32 v[14:15], s[40:41], v57, s45, 0
	v_lshl_add_u64 v[14:15], v[14:15], 1, v[12:13]
	s_waitcnt lgkmcnt(0)
	v_max_f32_e32 v19, v19, v19
	v_max_f32_e32 v16, v16, v19
	v_xor_b32_e32 v19, 16, v17
	v_cmp_lt_i32_e64 s[40:41], v19, v18
	s_nop 1
	v_cndmask_b32_e64 v17, v17, v19, s[40:41]
	v_lshlrev_b32_e32 v60, 2, v17
	ds_bpermute_b32 v17, v60, v16
	global_load_dwordx4 v[22:25], v[14:15], off
	global_load_dwordx4 v[18:21], v[14:15], off offset:16
	s_waitcnt vmcnt(6)
	v_mad_i64_i32 v[14:15], s[40:41], v58, s45, 0
	v_lshl_add_u64 v[12:13], v[14:15], 1, v[12:13]
	s_waitcnt lgkmcnt(0)
	v_max_f32_e32 v14, v17, v17
	v_max_f32_e32 v57, v16, v14
	v_sub_f32_e32 v10, v10, v57
	v_mul_f32_e32 v10, 0x3fb8aa3b, v10
	v_exp_f32_e32 v38, v10
	v_sub_f32_e32 v10, v11, v57
	v_mul_f32_e32 v10, 0x3fb8aa3b, v10
	v_exp_f32_e32 v39, v10
	global_load_dwordx4 v[14:17], v[12:13], off
	s_nop 0
	global_load_dwordx4 v[10:13], v[12:13], off offset:16
	v_sub_f32_e32 v48, v48, v57
	v_mul_f32_e32 v48, 0x3fb8aa3b, v48
	v_sub_f32_e32 v49, v49, v57
	v_exp_f32_e32 v48, v48
	v_mul_f32_e32 v49, 0x3fb8aa3b, v49
	v_sub_f32_e32 v40, v40, v57
	v_exp_f32_e32 v49, v49
	v_mul_f32_e32 v40, 0x3fb8aa3b, v40
	v_sub_f32_e32 v41, v41, v57
	v_cndmask_b32_e64 v38, 0, v38, s[4:5]
	v_exp_f32_e32 v40, v40
	v_mul_f32_e32 v41, 0x3fb8aa3b, v41
	v_sub_f32_e32 v50, v50, v57
	v_add_f32_e32 v58, 0, v38
	v_cndmask_b32_e64 v39, 0, v39, s[34:35]
	v_exp_f32_e32 v41, v41
	v_mul_f32_e32 v50, 0x3fb8aa3b, v50
	v_sub_f32_e32 v51, v51, v57
	v_add_f32_e32 v58, v58, v39
	;; [unrolled: 5-line block ×10, first 2 shown]
	v_cndmask_b32_e64 v46, 0, v46, s[12:13]
	v_exp_f32_e32 v36, v36
	v_mul_f32_e32 v37, 0x3fb8aa3b, v37
	v_add_f32_e32 v58, v58, v46
	v_cndmask_b32_e64 v47, 0, v47, s[14:15]
	v_exp_f32_e32 v37, v37
	v_add_f32_e32 v58, v58, v47
	v_cndmask_b32_e64 v42, 0, v42, s[8:9]
	v_add_f32_e32 v58, v58, v42
	v_cndmask_b32_e64 v43, 0, v43, s[10:11]
	v_add_f32_e32 v58, v58, v43
	v_cndmask_b32_e32 v36, 0, v36, vcc
	v_add_f32_e32 v58, v58, v36
	v_cndmask_b32_e64 v37, 0, v37, s[6:7]
	v_add_f32_e32 v58, v58, v37
	ds_bpermute_b32 v59, v59, v58
	v_cmp_gt_u32_e32 vcc, 16, v54
	s_waitcnt lgkmcnt(0)
	s_barrier
	v_add_f32_e32 v58, v58, v59
	ds_bpermute_b32 v59, v60, v58
	s_and_saveexec_b64 s[4:5], vcc
	s_cbranch_execz .LBB491_13
; %bb.12:
	s_waitcnt lgkmcnt(0)
	v_add_f32_e32 v54, v58, v59
	v_lshl_or_b32 v58, v53, 6, v55
	ds_write2st64_b32 v58, v57, v54 offset1:1
.LBB491_13:
	s_or_b64 exec, exec, s[4:5]
	s_load_dword s6, s[0:1], 0x94
	s_waitcnt lgkmcnt(0)
	s_barrier
	ds_read2_b32 v[58:59], v55 offset1:16
	ds_read2_b32 v[60:61], v55 offset0:32 offset1:48
	ds_read2_b32 v[62:63], v55 offset0:64 offset1:80
	s_movk_i32 s8, 0x7fff
	s_mov_b32 s9, 0x7060302
	s_waitcnt lgkmcnt(2)
	v_max3_f32 v54, v58, s42, v59
	s_waitcnt lgkmcnt(1)
	v_max3_f32 v54, v54, v60, v61
	v_sub_f32_e32 v57, v58, v54
	v_sub_f32_e32 v58, v59, v54
	v_mul_f32_e32 v58, 0x3fb8aa3b, v58
	v_mul_f32_e32 v57, 0x3fb8aa3b, v57
	v_exp_f32_e32 v64, v58
	v_sub_f32_e32 v58, v60, v54
	v_exp_f32_e32 v57, v57
	v_mul_f32_e32 v58, 0x3fb8aa3b, v58
	v_exp_f32_e32 v60, v58
	ds_read2_b32 v[58:59], v55 offset0:96 offset1:112
	v_sub_f32_e32 v55, v61, v54
	v_mul_f32_e32 v55, 0x3fb8aa3b, v55
	v_exp_f32_e32 v61, v55
	s_waitcnt lgkmcnt(1)
	v_fma_f32 v55, v57, v62, 0
	v_fmac_f32_e32 v55, v64, v63
	s_waitcnt lgkmcnt(0)
	v_fmac_f32_e32 v55, v60, v58
	v_fmac_f32_e32 v55, v61, v59
	v_add_f32_e32 v58, 0x358637bd, v55
	v_div_scale_f32 v59, s[4:5], v58, v58, 1.0
	v_rcp_f32_e32 v62, v59
	s_barrier
	v_fma_f32 v63, -v59, v62, 1.0
	v_fmac_f32_e32 v62, v63, v62
	v_div_scale_f32 v63, vcc, 1.0, v58, 1.0
	v_mul_f32_e32 v65, v63, v62
	v_fma_f32 v66, -v59, v65, v63
	v_fmac_f32_e32 v65, v66, v62
	v_fma_f32 v59, -v59, v65, v63
	v_div_fmas_f32 v59, v59, v62, v65
	v_cmp_eq_u32_e32 vcc, 1, v53
	v_div_fixup_f32 v58, v59, v58, 1.0
	s_lshl_b32 s7, s33, 4
	v_cndmask_b32_e32 v57, v57, v64, vcc
	v_cmp_eq_u32_e32 vcc, 2, v53
	s_nop 1
	v_cndmask_b32_e32 v57, v57, v60, vcc
	v_cmp_eq_u32_e32 vcc, 3, v53
	s_nop 1
	v_cndmask_b32_e32 v57, v57, v61, vcc
	v_mul_f32_e32 v58, v57, v58
	v_pk_mul_f32 v[38:39], v[58:59], v[38:39] op_sel_hi:[0,1]
	v_pk_mul_f32 v[48:49], v[58:59], v[48:49] op_sel_hi:[0,1]
	v_bfe_u32 v57, v39, 16, 1
	v_bfe_u32 v59, v38, 16, 1
	v_add3_u32 v38, v38, v59, s8
	v_add3_u32 v39, v39, v57, s8
	v_perm_b32 v60, v39, v38, s9
	v_bfe_u32 v38, v49, 16, 1
	v_bfe_u32 v39, v48, 16, 1
	v_add3_u32 v39, v48, v39, s8
	v_add3_u32 v38, v49, v38, s8
	v_perm_b32 v61, v38, v39, s9
	v_lshlrev_b32_e32 v38, 3, v1
	v_lshlrev_b32_e32 v39, 11, v53
	v_pk_mul_f32 v[40:41], v[58:59], v[40:41] op_sel_hi:[0,1]
	v_or3_b32 v38, v39, v56, v38
	v_pk_mul_f32 v[48:49], v[58:59], v[50:51] op_sel_hi:[0,1]
	v_bfe_u32 v39, v41, 16, 1
	v_bfe_u32 v50, v40, 16, 1
	v_add3_u32 v40, v40, v50, s8
	v_add3_u32 v39, v41, v39, s8
	v_perm_b32 v40, v39, v40, s9
	v_bfe_u32 v39, v49, 16, 1
	v_bfe_u32 v41, v48, 16, 1
	v_add3_u32 v41, v48, v41, s8
	v_add3_u32 v39, v49, v39, s8
	v_perm_b32 v41, v39, v41, s9
	v_pk_mul_f32 v[44:45], v[58:59], v[44:45] op_sel_hi:[0,1]
	ds_write2st64_b64 v38, v[60:61], v[40:41] offset1:1
	v_pk_mul_f32 v[40:41], v[58:59], v[46:47] op_sel_hi:[0,1]
	v_bfe_u32 v39, v45, 16, 1
	v_bfe_u32 v46, v44, 16, 1
	v_add3_u32 v44, v44, v46, s8
	v_add3_u32 v39, v45, v39, s8
	v_perm_b32 v44, v39, v44, s9
	v_bfe_u32 v39, v41, 16, 1
	v_bfe_u32 v45, v40, 16, 1
	v_add3_u32 v40, v40, v45, s8
	v_add3_u32 v39, v41, v39, s8
	v_perm_b32 v45, v39, v40, s9
	v_pk_mul_f32 v[40:41], v[58:59], v[42:43] op_sel_hi:[0,1]
	v_bfe_u32 v39, v41, 16, 1
	v_bfe_u32 v42, v40, 16, 1
	v_pk_mul_f32 v[36:37], v[58:59], v[36:37] op_sel_hi:[0,1]
	v_add3_u32 v40, v40, v42, s8
	v_add3_u32 v39, v41, v39, s8
	v_perm_b32 v40, v39, v40, s9
	v_bfe_u32 v39, v37, 16, 1
	v_bfe_u32 v41, v36, 16, 1
	v_add3_u32 v36, v36, v41, s8
	v_add3_u32 v37, v37, v39, s8
	v_perm_b32 v41, v37, v36, s9
	v_cmp_gt_u32_e32 vcc, 16, v0
	ds_write2st64_b64 v38, v[44:45], v[40:41] offset0:2 offset1:3
	s_and_saveexec_b64 s[4:5], vcc
	s_cbranch_execz .LBB491_15
; %bb.14:
	v_or_b32_e32 v36, s29, v0
	v_mov_b32_e32 v37, 0
	v_mov_b32_e32 v39, s7
	v_mad_u64_u32 v[40:41], s[10:11], s2, v39, v[36:37]
	v_mov_b32_e32 v36, s28
	s_load_dwordx4 s[12:15], s[0:1], 0x58
	s_mul_i32 s3, s3, s7
	v_mad_u64_u32 v[36:37], s[10:11], v40, s6, v[36:37]
	v_add_u32_e32 v39, s3, v41
	v_mov_b32_e32 v40, v37
	v_mad_u64_u32 v[40:41], s[10:11], v39, s6, v[40:41]
	v_mov_b32_e32 v37, v40
	v_lshlrev_b64 v[36:37], 2, v[36:37]
	s_waitcnt lgkmcnt(0)
	v_lshl_add_u64 v[40:41], s[14:15], 0, v[36:37]
	v_lshl_add_u64 v[36:37], s[12:13], 0, v[36:37]
	global_store_dword v[40:41], v54, off
	global_store_dword v[36:37], v55, off
.LBB491_15:
	s_or_b64 exec, exec, s[4:5]
	s_waitcnt lgkmcnt(0)
	s_barrier
	ds_read_b128 v[40:43], v35
	ds_read_b128 v[44:47], v35 offset:16
	s_waitcnt vmcnt(7) lgkmcnt(1)
	v_mfma_f32_16x16x16_bf16 v[48:51], v[6:7], v[40:41], 0
	v_cmp_gt_u32_e32 vcc, 64, v0
	s_mov_b32 s3, 0
	s_and_b64 s[4:5], vcc, s[30:31]
	v_mfma_f32_16x16x16_bf16 v[6:9], v[8:9], v[42:43], v[48:51]
	s_waitcnt vmcnt(6) lgkmcnt(0)
	v_mfma_f32_16x16x16_bf16 v[6:9], v[2:3], v[44:45], v[6:9]
	v_mfma_f32_16x16x16_bf16 v[2:5], v[4:5], v[46:47], v[6:9]
	s_nop 5
	ds_read_b128 v[6:9], v35 offset:2048
	ds_read_b128 v[40:43], v35 offset:2064
	s_waitcnt vmcnt(5) lgkmcnt(1)
	v_mfma_f32_16x16x16_bf16 v[2:5], v[30:31], v[6:7], v[2:5]
	v_mfma_f32_16x16x16_bf16 v[2:5], v[32:33], v[8:9], v[2:5]
	s_waitcnt vmcnt(4) lgkmcnt(0)
	v_mfma_f32_16x16x16_bf16 v[2:5], v[26:27], v[40:41], v[2:5]
	v_mfma_f32_16x16x16_bf16 v[2:5], v[28:29], v[42:43], v[2:5]
	ds_read_b128 v[6:9], v35 offset:4096
	ds_read_b128 v[26:29], v35 offset:4112
	s_waitcnt vmcnt(3) lgkmcnt(1)
	v_mfma_f32_16x16x16_bf16 v[2:5], v[22:23], v[6:7], v[2:5]
	v_mfma_f32_16x16x16_bf16 v[2:5], v[24:25], v[8:9], v[2:5]
	s_waitcnt vmcnt(2) lgkmcnt(0)
	v_mfma_f32_16x16x16_bf16 v[2:5], v[18:19], v[26:27], v[2:5]
	v_mfma_f32_16x16x16_bf16 v[2:5], v[20:21], v[28:29], v[2:5]
	ds_read_b128 v[6:9], v35 offset:6144
	ds_read_b128 v[18:21], v35 offset:6160
	v_mov_b32_e32 v35, 0
	s_waitcnt vmcnt(1) lgkmcnt(0)
	v_mfma_f32_16x16x16_bf16 v[2:5], v[14:15], v[6:7], v[2:5]
	s_barrier
	v_mfma_f32_16x16x16_bf16 v[2:5], v[16:17], v[8:9], v[2:5]
	s_waitcnt vmcnt(0)
	v_mfma_f32_16x16x16_bf16 v[2:5], v[10:11], v[18:19], v[2:5]
	v_mfma_f32_16x16x16_bf16 v[2:5], v[12:13], v[20:21], v[2:5]
	s_nop 6
	v_bfe_u32 v6, v3, 16, 1
	v_bfe_u32 v7, v2, 16, 1
	;; [unrolled: 1-line block ×4, first 2 shown]
	v_add3_u32 v2, v2, v7, s8
	v_add3_u32 v3, v3, v6, s8
	;; [unrolled: 1-line block ×4, first 2 shown]
	v_perm_b32 v2, v3, v2, s9
	v_perm_b32 v3, v5, v4, s9
	ds_write_b64 v38, v[2:3]
	s_waitcnt lgkmcnt(0)
	s_barrier
	s_and_saveexec_b64 s[8:9], s[4:5]
	s_cbranch_execz .LBB491_17
; %bb.16:
	s_load_dwordx2 s[0:1], s[0:1], 0x68
	s_lshl_b32 s6, s6, 6
	s_mul_i32 s2, s7, s2
	s_mul_hi_u32 s5, s2, s6
	s_mul_i32 s4, s2, s6
	s_lshl_b64 s[4:5], s[4:5], 1
	s_waitcnt lgkmcnt(0)
	s_add_u32 s4, s0, s4
	s_addc_u32 s5, s1, s5
	s_lshl_b32 s2, s28, 6
	v_lshlrev_b32_e32 v0, 10, v0
	s_lshl_b64 s[0:1], s[2:3], 1
	v_and_b32_e32 v0, 0x1800, v0
	v_lshlrev_b32_e32 v2, 5, v1
	v_and_b32_e32 v3, 16, v52
	s_add_u32 s0, s4, s0
	v_or3_b32 v0, v0, v2, v3
	s_addc_u32 s1, s5, s1
	v_or_b32_e32 v20, s29, v1
	ds_read_b128 v[2:5], v0
	ds_read_b128 v[6:9], v0 offset:128
	ds_read_b128 v[10:13], v0 offset:256
	ds_read_b128 v[14:17], v0 offset:384
	v_lshl_add_u64 v[18:19], s[0:1], 0, v[34:35]
	v_mad_u64_u32 v[0:1], s[0:1], v20, s6, 0
	v_lshl_add_u64 v[0:1], v[0:1], 1, v[18:19]
	s_waitcnt lgkmcnt(3)
	global_store_dwordx4 v[0:1], v[2:5], off
	v_or_b32_e32 v0, 4, v20
	v_mad_u64_u32 v[0:1], s[0:1], v0, s6, 0
	v_lshl_add_u64 v[0:1], v[0:1], 1, v[18:19]
	s_waitcnt lgkmcnt(2)
	global_store_dwordx4 v[0:1], v[6:9], off
	v_or_b32_e32 v0, 8, v20
	;; [unrolled: 5-line block ×3, first 2 shown]
	v_mad_u64_u32 v[0:1], s[0:1], v0, s6, 0
	v_lshl_add_u64 v[0:1], v[0:1], 1, v[18:19]
	s_waitcnt lgkmcnt(0)
	global_store_dwordx4 v[0:1], v[14:17], off
.LBB491_17:
	s_endpgm
	.section	.rodata,"a",@progbits
	.p2align	6, 0x0
	.amdhsa_kernel _Z39paged_attention_ll4mi_QKV_mfma16_kernelI14__hip_bfloat16S0_LN4vllm18Fp8KVCacheDataTypeE0ES0_Li16ELi64ELi256ELb0ELi16EEvPKT_PKT0_S8_ifPKiSA_SA_iPKfiiiPfSD_PS3_PT2_iSC_SC_
		.amdhsa_group_segment_fixed_size 8192
		.amdhsa_private_segment_fixed_size 0
		.amdhsa_kernarg_size 400
		.amdhsa_user_sgpr_count 2
		.amdhsa_user_sgpr_dispatch_ptr 0
		.amdhsa_user_sgpr_queue_ptr 0
		.amdhsa_user_sgpr_kernarg_segment_ptr 1
		.amdhsa_user_sgpr_dispatch_id 0
		.amdhsa_user_sgpr_kernarg_preload_length 0
		.amdhsa_user_sgpr_kernarg_preload_offset 0
		.amdhsa_user_sgpr_private_segment_size 0
		.amdhsa_uses_dynamic_stack 0
		.amdhsa_enable_private_segment 0
		.amdhsa_system_sgpr_workgroup_id_x 1
		.amdhsa_system_sgpr_workgroup_id_y 1
		.amdhsa_system_sgpr_workgroup_id_z 1
		.amdhsa_system_sgpr_workgroup_info 0
		.amdhsa_system_vgpr_workitem_id 0
		.amdhsa_next_free_vgpr 70
		.amdhsa_next_free_sgpr 48
		.amdhsa_accum_offset 72
		.amdhsa_reserve_vcc 1
		.amdhsa_float_round_mode_32 0
		.amdhsa_float_round_mode_16_64 0
		.amdhsa_float_denorm_mode_32 3
		.amdhsa_float_denorm_mode_16_64 3
		.amdhsa_dx10_clamp 1
		.amdhsa_ieee_mode 1
		.amdhsa_fp16_overflow 0
		.amdhsa_tg_split 0
		.amdhsa_exception_fp_ieee_invalid_op 0
		.amdhsa_exception_fp_denorm_src 0
		.amdhsa_exception_fp_ieee_div_zero 0
		.amdhsa_exception_fp_ieee_overflow 0
		.amdhsa_exception_fp_ieee_underflow 0
		.amdhsa_exception_fp_ieee_inexact 0
		.amdhsa_exception_int_div_zero 0
	.end_amdhsa_kernel
	.section	.text._Z39paged_attention_ll4mi_QKV_mfma16_kernelI14__hip_bfloat16S0_LN4vllm18Fp8KVCacheDataTypeE0ES0_Li16ELi64ELi256ELb0ELi16EEvPKT_PKT0_S8_ifPKiSA_SA_iPKfiiiPfSD_PS3_PT2_iSC_SC_,"axG",@progbits,_Z39paged_attention_ll4mi_QKV_mfma16_kernelI14__hip_bfloat16S0_LN4vllm18Fp8KVCacheDataTypeE0ES0_Li16ELi64ELi256ELb0ELi16EEvPKT_PKT0_S8_ifPKiSA_SA_iPKfiiiPfSD_PS3_PT2_iSC_SC_,comdat
.Lfunc_end491:
	.size	_Z39paged_attention_ll4mi_QKV_mfma16_kernelI14__hip_bfloat16S0_LN4vllm18Fp8KVCacheDataTypeE0ES0_Li16ELi64ELi256ELb0ELi16EEvPKT_PKT0_S8_ifPKiSA_SA_iPKfiiiPfSD_PS3_PT2_iSC_SC_, .Lfunc_end491-_Z39paged_attention_ll4mi_QKV_mfma16_kernelI14__hip_bfloat16S0_LN4vllm18Fp8KVCacheDataTypeE0ES0_Li16ELi64ELi256ELb0ELi16EEvPKT_PKT0_S8_ifPKiSA_SA_iPKfiiiPfSD_PS3_PT2_iSC_SC_
                                        ; -- End function
	.section	.AMDGPU.csdata,"",@progbits
; Kernel info:
; codeLenInByte = 4044
; NumSgprs: 54
; NumVgprs: 70
; NumAgprs: 0
; TotalNumVgprs: 70
; ScratchSize: 0
; MemoryBound: 0
; FloatMode: 240
; IeeeMode: 1
; LDSByteSize: 8192 bytes/workgroup (compile time only)
; SGPRBlocks: 6
; VGPRBlocks: 8
; NumSGPRsForWavesPerEU: 54
; NumVGPRsForWavesPerEU: 70
; AccumOffset: 72
; Occupancy: 7
; WaveLimiterHint : 1
; COMPUTE_PGM_RSRC2:SCRATCH_EN: 0
; COMPUTE_PGM_RSRC2:USER_SGPR: 2
; COMPUTE_PGM_RSRC2:TRAP_HANDLER: 0
; COMPUTE_PGM_RSRC2:TGID_X_EN: 1
; COMPUTE_PGM_RSRC2:TGID_Y_EN: 1
; COMPUTE_PGM_RSRC2:TGID_Z_EN: 1
; COMPUTE_PGM_RSRC2:TIDIG_COMP_CNT: 0
; COMPUTE_PGM_RSRC3_GFX90A:ACCUM_OFFSET: 17
; COMPUTE_PGM_RSRC3_GFX90A:TG_SPLIT: 0
	.section	.text._Z39paged_attention_ll4mi_QKV_mfma16_kernelI14__hip_bfloat16S0_LN4vllm18Fp8KVCacheDataTypeE0ES0_Li16ELi64ELi256ELb0ELi1EEvPKT_PKT0_S8_ifPKiSA_SA_iPKfiiiPfSD_PS3_PT2_iSC_SC_,"axG",@progbits,_Z39paged_attention_ll4mi_QKV_mfma16_kernelI14__hip_bfloat16S0_LN4vllm18Fp8KVCacheDataTypeE0ES0_Li16ELi64ELi256ELb0ELi1EEvPKT_PKT0_S8_ifPKiSA_SA_iPKfiiiPfSD_PS3_PT2_iSC_SC_,comdat
	.protected	_Z39paged_attention_ll4mi_QKV_mfma16_kernelI14__hip_bfloat16S0_LN4vllm18Fp8KVCacheDataTypeE0ES0_Li16ELi64ELi256ELb0ELi1EEvPKT_PKT0_S8_ifPKiSA_SA_iPKfiiiPfSD_PS3_PT2_iSC_SC_ ; -- Begin function _Z39paged_attention_ll4mi_QKV_mfma16_kernelI14__hip_bfloat16S0_LN4vllm18Fp8KVCacheDataTypeE0ES0_Li16ELi64ELi256ELb0ELi1EEvPKT_PKT0_S8_ifPKiSA_SA_iPKfiiiPfSD_PS3_PT2_iSC_SC_
	.globl	_Z39paged_attention_ll4mi_QKV_mfma16_kernelI14__hip_bfloat16S0_LN4vllm18Fp8KVCacheDataTypeE0ES0_Li16ELi64ELi256ELb0ELi1EEvPKT_PKT0_S8_ifPKiSA_SA_iPKfiiiPfSD_PS3_PT2_iSC_SC_
	.p2align	8
	.type	_Z39paged_attention_ll4mi_QKV_mfma16_kernelI14__hip_bfloat16S0_LN4vllm18Fp8KVCacheDataTypeE0ES0_Li16ELi64ELi256ELb0ELi1EEvPKT_PKT0_S8_ifPKiSA_SA_iPKfiiiPfSD_PS3_PT2_iSC_SC_,@function
_Z39paged_attention_ll4mi_QKV_mfma16_kernelI14__hip_bfloat16S0_LN4vllm18Fp8KVCacheDataTypeE0ES0_Li16ELi64ELi256ELb0ELi1EEvPKT_PKT0_S8_ifPKiSA_SA_iPKfiiiPfSD_PS3_PT2_iSC_SC_: ; @_Z39paged_attention_ll4mi_QKV_mfma16_kernelI14__hip_bfloat16S0_LN4vllm18Fp8KVCacheDataTypeE0ES0_Li16ELi64ELi256ELb0ELi1EEvPKT_PKT0_S8_ifPKiSA_SA_iPKfiiiPfSD_PS3_PT2_iSC_SC_
; %bb.0:
	s_load_dwordx2 s[12:13], s[0:1], 0x30
	s_mov_b32 s5, s3
	s_mov_b64 s[6:7], 0
	s_waitcnt lgkmcnt(0)
	s_cmp_lg_u64 s[12:13], 0
	s_cselect_b64 s[14:15], -1, 0
	s_and_b64 vcc, exec, s[14:15]
	s_cbranch_vccz .LBB492_7
; %bb.1:
	s_add_i32 s8, s2, 1
	s_mov_b32 s9, 0
	s_lshl_b64 s[10:11], s[8:9], 2
	s_add_u32 s10, s12, s10
	s_mov_b32 s3, s9
	s_addc_u32 s11, s13, s11
	s_lshl_b64 s[8:9], s[2:3], 2
	s_add_u32 s8, s12, s8
	s_addc_u32 s9, s13, s9
	s_load_dword s16, s[10:11], 0x0
	s_load_dword s17, s[8:9], 0x0
	s_waitcnt lgkmcnt(0)
	s_sub_i32 s8, s16, s17
	s_cmp_eq_u32 s8, 1
	s_cselect_b64 s[8:9], -1, 0
	s_andn2_b64 vcc, exec, s[6:7]
	s_cbranch_vccnz .LBB492_3
.LBB492_2:
	s_mov_b32 s3, 0
	s_mov_b64 s[8:9], -1
.LBB492_3:
	s_andn2_b64 vcc, exec, s[8:9]
	s_cbranch_vccnz .LBB492_17
; %bb.4:
	s_load_dwordx2 s[6:7], s[0:1], 0x28
	s_lshl_b64 s[16:17], s[2:3], 2
	s_waitcnt lgkmcnt(0)
	s_add_u32 s6, s6, s16
	s_addc_u32 s7, s7, s17
	s_load_dword s33, s[6:7], 0x0
	s_lshl_b32 s18, s5, 8
	s_waitcnt lgkmcnt(0)
	s_cmp_ge_i32 s18, s33
	s_cbranch_scc1 .LBB492_17
; %bb.5:
	s_load_dwordx2 s[6:7], s[0:1], 0x20
	s_load_dword s8, s[0:1], 0x38
	s_add_i32 s9, s33, 15
	s_ashr_i32 s10, s9, 31
	v_and_b32_e32 v1, 0xcf, v0
	s_lshr_b32 s10, s10, 28
	v_add_u32_e32 v1, s18, v1
	s_add_i32 s9, s9, s10
	v_ashrrev_i32_e32 v2, 31, v1
	s_ashr_i32 s19, s9, 4
	v_lshrrev_b32_e32 v10, 28, v2
	s_add_i32 s19, s19, -1
	s_waitcnt lgkmcnt(0)
	s_mul_i32 s8, s2, s8
	s_mov_b32 s9, 0
	v_add_u32_e32 v2, v1, v10
	s_lshl_b64 s[8:9], s[8:9], 2
	v_ashrrev_i32_e32 v2, 4, v2
	v_mov_b32_e32 v11, s19
	v_cmp_gt_i32_e32 vcc, s33, v1
	s_add_u32 s6, s6, s8
	s_addc_u32 s7, s7, s9
	v_cndmask_b32_e32 v2, v11, v2, vcc
	v_ashrrev_i32_e32 v3, 31, v2
	v_lshl_add_u64 v[4:5], v[2:3], 2, s[6:7]
	v_or_b32_e32 v2, 16, v1
	v_add_u32_e32 v3, v2, v10
	v_ashrrev_i32_e32 v3, 4, v3
	v_cmp_gt_i32_e32 vcc, s33, v2
	s_load_dwordx4 s[8:11], s[0:1], 0x8
	s_nop 0
	v_cndmask_b32_e32 v2, v11, v3, vcc
	v_ashrrev_i32_e32 v3, 31, v2
	v_lshl_add_u64 v[6:7], v[2:3], 2, s[6:7]
	v_or_b32_e32 v2, 32, v1
	v_add_u32_e32 v3, v2, v10
	v_ashrrev_i32_e32 v3, 4, v3
	v_cmp_gt_i32_e32 vcc, s33, v2
	v_or_b32_e32 v1, 48, v1
	s_nop 0
	v_cndmask_b32_e32 v2, v11, v3, vcc
	v_ashrrev_i32_e32 v3, 31, v2
	v_lshl_add_u64 v[8:9], v[2:3], 2, s[6:7]
	v_add_u32_e32 v2, v1, v10
	v_ashrrev_i32_e32 v2, 4, v2
	v_cmp_gt_i32_e32 vcc, s33, v1
	s_nop 1
	v_cndmask_b32_e32 v2, v11, v2, vcc
	v_ashrrev_i32_e32 v3, 31, v2
	v_lshl_add_u64 v[14:15], v[2:3], 2, s[6:7]
	global_load_dword v3, v[4:5], off
	global_load_dword v2, v[6:7], off
	;; [unrolled: 1-line block ×4, first 2 shown]
	s_andn2_b64 vcc, exec, s[14:15]
	s_cbranch_vccnz .LBB492_8
; %bb.6:
	s_add_u32 s12, s12, s16
	s_addc_u32 s13, s13, s17
	s_load_dword s14, s[12:13], 0x0
	s_branch .LBB492_9
.LBB492_7:
	s_mov_b64 s[8:9], 0
	s_branch .LBB492_2
.LBB492_8:
	s_mov_b32 s14, s2
.LBB492_9:
	s_load_dwordx4 s[44:47], s[0:1], 0x48
	v_lshrrev_b32_e32 v54, 6, v0
	v_bfe_u32 v52, v0, 4, 2
	v_lshl_or_b32 v1, v54, 2, v52
	v_and_b32_e32 v56, 15, v0
	v_lshlrev_b32_e32 v4, 3, v56
	v_cmp_eq_u32_e32 vcc, 0, v1
	v_cmp_gt_u32_e64 s[28:29], 8, v56
	v_and_b32_e32 v55, 63, v0
	s_and_b64 s[16:17], s[28:29], vcc
	v_lshlrev_b32_e32 v1, 1, v4
	s_and_saveexec_b64 s[12:13], s[16:17]
	s_cbranch_execz .LBB492_11
; %bb.10:
	s_load_dwordx2 s[16:17], s[0:1], 0x0
	s_waitcnt lgkmcnt(0)
	s_ashr_i32 s15, s44, 31
	s_mul_hi_u32 s20, s14, s44
	s_mul_i32 s15, s14, s15
	s_add_i32 s15, s20, s15
	s_mul_i32 s14, s14, s44
	s_lshl_b64 s[14:15], s[14:15], 1
	s_add_u32 s16, s16, s14
	s_addc_u32 s17, s17, s15
	s_lshl_b32 s14, s4, 6
	s_ashr_i32 s15, s14, 31
	s_lshl_b64 s[14:15], s[14:15], 1
	s_add_u32 s14, s16, s14
	s_addc_u32 s15, s17, s15
	global_load_dwordx4 v[4:7], v1, s[14:15]
	v_and_b32_e32 v8, 3, v0
	v_lshlrev_b32_e32 v9, 9, v56
	v_lshlrev_b32_e32 v8, 9, v8
	s_movk_i32 s14, 0x1800
	v_and_or_b32 v8, v9, s14, v8
	s_waitcnt vmcnt(0)
	ds_write_b128 v8, v[4:7]
.LBB492_11:
	s_or_b64 exec, exec, s[12:13]
	s_waitcnt lgkmcnt(0)
	s_mul_i32 s12, s4, s46
	s_mov_b32 s13, 0
	s_lshl_b64 s[12:13], s[12:13], 1
	s_add_u32 s8, s8, s12
	v_lshlrev_b32_e32 v53, 4, v0
	s_addc_u32 s9, s9, s13
	v_and_b32_e32 v36, 0xf0, v53
	v_mov_b32_e32 v37, 0
	v_lshl_add_u64 v[14:15], s[8:9], 0, v[36:37]
	s_waitcnt vmcnt(3)
	v_mad_i64_i32 v[4:5], s[8:9], v3, s45, 0
	v_lshl_add_u64 v[4:5], v[4:5], 1, v[14:15]
	v_and_b32_e32 v36, 0x300, v53
	v_lshl_add_u64 v[16:17], v[4:5], 0, v[36:37]
	s_barrier
	s_waitcnt vmcnt(2)
	v_mad_i64_i32 v[6:7], s[8:9], v2, s45, 0
	global_load_dwordx4 v[2:5], v[16:17], off
	v_lshl_add_u64 v[6:7], v[6:7], 1, v[14:15]
	v_lshl_add_u64 v[20:21], v[6:7], 0, v[36:37]
	global_load_dwordx4 v[6:9], v[20:21], off
	s_waitcnt vmcnt(2)
	v_mad_i64_i32 v[12:13], s[8:9], v12, s45, 0
	v_lshl_add_u64 v[12:13], v[12:13], 1, v[14:15]
	v_lshl_add_u64 v[38:39], v[12:13], 0, v[36:37]
	global_load_dwordx4 v[28:31], v[38:39], off
	v_mad_i64_i32 v[10:11], s[8:9], v10, s45, 0
	v_lshl_add_u64 v[10:11], v[10:11], 1, v[14:15]
	v_lshl_add_u64 v[10:11], v[10:11], 0, v[36:37]
	global_load_dwordx4 v[24:27], v[10:11], off
	v_lshlrev_b32_e32 v12, 9, v52
	global_load_dwordx4 v[16:19], v[16:17], off offset:1024
	ds_read_b128 v[32:35], v12
	ds_read_b128 v[12:15], v12 offset:2048
	global_load_dwordx4 v[20:23], v[20:21], off offset:1024
	v_and_or_b32 v36, v0, 48, s18
	global_load_dwordx4 v[44:47], v[10:11], off offset:1024
	global_load_dwordx4 v[58:61], v[38:39], off offset:1024
	v_mov_b32_e32 v70, s19
	v_cmp_gt_i32_e32 vcc, s33, v36
	s_load_dword s8, s[0:1], 0x1c
	v_lshlrev_b32_e32 v57, 5, v56
	s_add_u32 s10, s10, s12
	s_addc_u32 s11, s11, s13
	s_mov_b32 s42, 0xff7fffff
	v_lshlrev_b32_e32 v56, 2, v56
	s_waitcnt vmcnt(7) lgkmcnt(0)
	v_mfma_f32_16x16x16_bf16 v[40:43], v[2:3], v[32:33], 0
	v_ashrrev_i32_e32 v2, 4, v36
	v_cndmask_b32_e32 v2, v70, v2, vcc
	v_ashrrev_i32_e32 v3, 31, v2
	v_lshl_add_u64 v[10:11], v[2:3], 2, s[6:7]
	global_load_dword v38, v[10:11], off
	s_waitcnt vmcnt(7)
	v_mfma_f32_16x16x16_bf16 v[48:51], v[6:7], v[32:33], 0
	v_or_b32_e32 v6, 64, v36
	v_ashrrev_i32_e32 v7, 4, v6
	v_cmp_gt_i32_e32 vcc, s33, v6
	s_waitcnt vmcnt(6)
	v_mfma_f32_16x16x16_bf16 v[66:69], v[28:29], v[32:33], 0
	v_cndmask_b32_e32 v6, v70, v7, vcc
	v_ashrrev_i32_e32 v7, 31, v6
	v_lshl_add_u64 v[10:11], v[6:7], 2, s[6:7]
	global_load_dword v39, v[10:11], off
	v_mfma_f32_16x16x16_bf16 v[2:5], v[4:5], v[34:35], v[40:43]
	v_or_b32_e32 v10, 0x80, v36
	v_or_b32_e32 v11, 0xc0, v36
	v_cmp_gt_i32_e32 vcc, s33, v10
	v_mfma_f32_16x16x16_bf16 v[6:9], v[8:9], v[34:35], v[48:51]
	v_lshl_or_b32 v36, v54, 9, v57
	s_waitcnt vmcnt(6)
	v_mfma_f32_16x16x16_bf16 v[62:65], v[24:25], v[32:33], 0
	v_ashrrev_i32_e32 v32, 4, v10
	v_ashrrev_i32_e32 v33, 4, v11
	v_mfma_f32_16x16x16_bf16 v[28:31], v[30:31], v[34:35], v[66:69]
	s_waitcnt vmcnt(5)
	v_mfma_f32_16x16x16_bf16 v[2:5], v[16:17], v[12:13], v[2:5]
	v_cndmask_b32_e32 v16, v70, v32, vcc
	v_cmp_gt_i32_e32 vcc, s33, v11
	v_ashrrev_i32_e32 v17, 31, v16
	s_waitcnt vmcnt(4)
	v_mfma_f32_16x16x16_bf16 v[8:11], v[20:21], v[12:13], v[6:9]
	v_cndmask_b32_e32 v32, v70, v33, vcc
	v_ashrrev_i32_e32 v33, 31, v32
	s_nop 0
	v_lshl_add_u64 v[6:7], v[16:17], 2, s[6:7]
	v_lshl_add_u64 v[16:17], v[32:33], 2, s[6:7]
	s_waitcnt vmcnt(2)
	v_mfma_f32_16x16x16_bf16 v[28:31], v[58:59], v[12:13], v[28:31]
	global_load_dword v58, v[6:7], off
	global_load_dword v59, v[16:17], off
	v_lshl_add_u64 v[6:7], s[10:11], 0, v[36:37]
	s_waitcnt vmcnt(2)
	v_mad_i64_i32 v[32:33], s[6:7], v39, s45, 0
	v_mfma_f32_16x16x16_bf16 v[24:27], v[26:27], v[34:35], v[62:65]
	v_mfma_f32_16x16x16_bf16 v[24:27], v[44:45], v[12:13], v[24:27]
	s_nop 1
	v_and_b32_e32 v62, 0xc0, v0
	v_mfma_f32_16x16x16_bf16 v[16:19], v[18:19], v[14:15], v[2:5]
	s_nop 2
	v_mad_i64_i32 v[2:3], s[6:7], v38, s45, 0
	v_mfma_f32_16x16x16_bf16 v[20:23], v[22:23], v[14:15], v[8:11]
	v_lshl_add_u64 v[38:39], v[32:33], 1, v[6:7]
	v_mfma_f32_16x16x16_bf16 v[24:27], v[46:47], v[14:15], v[24:27]
	s_nop 0
	v_lshl_add_u64 v[8:9], v[2:3], 1, v[6:7]
	global_load_dwordx4 v[10:13], v[8:9], off
	global_load_dwordx4 v[2:5], v[8:9], off offset:16
	v_pk_mul_f32 v[8:9], s[8:9], v[16:17] op_sel_hi:[0,1]
	v_mfma_f32_16x16x16_bf16 v[28:31], v[60:61], v[14:15], v[28:31]
	v_add_u32_e32 v14, s18, v62
	v_lshl_or_b32 v14, v52, 2, v14
	v_or_b32_e32 v17, 1, v14
	v_mov_b32_e32 v15, 0xff7fffff
	v_cmp_gt_i32_e64 s[30:31], s33, v14
	v_cmp_gt_i32_e64 s[34:35], s33, v17
	v_pk_mul_f32 v[46:47], s[8:9], v[18:19] op_sel_hi:[0,1]
	v_cndmask_b32_e64 v16, v15, v8, s[30:31]
	v_cndmask_b32_e64 v17, v15, v9, s[34:35]
	v_max3_f32 v16, v16, s42, v17
	v_or_b32_e32 v17, 2, v14
	v_or_b32_e32 v18, 3, v14
	v_cmp_gt_i32_e64 s[36:37], s33, v17
	v_cmp_gt_i32_e64 s[38:39], s33, v18
	v_pk_mul_f32 v[40:41], s[8:9], v[20:21] op_sel_hi:[0,1]
	v_cndmask_b32_e64 v17, v15, v46, s[36:37]
	v_cndmask_b32_e64 v18, v15, v47, s[38:39]
	v_max3_f32 v16, v16, v17, v18
	v_or_b32_e32 v17, 16, v14
	v_or_b32_e32 v18, 17, v14
	;; [unrolled: 8-line block ×6, first 2 shown]
	v_pk_mul_f32 v[42:43], s[8:9], v[28:29] op_sel_hi:[0,1]
	v_cmp_gt_i32_e64 s[8:9], s33, v17
	v_cmp_gt_i32_e64 s[10:11], s33, v18
	global_load_dwordx4 v[30:33], v[38:39], off
	global_load_dwordx4 v[26:29], v[38:39], off offset:16
	v_cndmask_b32_e64 v17, v15, v42, s[8:9]
	v_cndmask_b32_e64 v18, v15, v43, s[10:11]
	v_max3_f32 v16, v16, v17, v18
	v_or_b32_e32 v17, 50, v14
	v_or_b32_e32 v14, 51, v14
	v_cmp_gt_i32_e32 vcc, s33, v17
	v_cmp_gt_i32_e64 s[6:7], s33, v14
	s_nop 0
	v_cndmask_b32_e32 v17, v15, v34, vcc
	v_cndmask_b32_e64 v14, v15, v35, s[6:7]
	v_max3_f32 v16, v16, v17, v14
	v_mbcnt_lo_u32_b32 v14, -1, 0
	v_mbcnt_hi_u32_b32 v17, -1, v14
	v_and_b32_e32 v14, 64, v17
	v_add_u32_e32 v18, 64, v14
	v_xor_b32_e32 v14, 32, v17
	v_cmp_lt_i32_e64 s[40:41], v14, v18
	s_nop 1
	v_cndmask_b32_e64 v14, v17, v14, s[40:41]
	v_lshlrev_b32_e32 v60, 2, v14
	ds_bpermute_b32 v19, v60, v16
	s_waitcnt vmcnt(5)
	v_mad_i64_i32 v[14:15], s[40:41], v58, s45, 0
	v_lshl_add_u64 v[14:15], v[14:15], 1, v[6:7]
	s_waitcnt lgkmcnt(0)
	v_max_f32_e32 v19, v19, v19
	v_max_f32_e32 v16, v16, v19
	v_xor_b32_e32 v19, 16, v17
	v_cmp_lt_i32_e64 s[40:41], v19, v18
	s_nop 1
	v_cndmask_b32_e64 v17, v17, v19, s[40:41]
	v_lshlrev_b32_e32 v61, 2, v17
	ds_bpermute_b32 v17, v61, v16
	global_load_dwordx4 v[22:25], v[14:15], off
	global_load_dwordx4 v[18:21], v[14:15], off offset:16
	s_waitcnt vmcnt(6)
	v_mad_i64_i32 v[14:15], s[40:41], v59, s45, 0
	v_lshl_add_u64 v[6:7], v[14:15], 1, v[6:7]
	s_waitcnt lgkmcnt(0)
	v_max_f32_e32 v14, v17, v17
	v_max_f32_e32 v36, v16, v14
	v_sub_f32_e32 v8, v8, v36
	v_mul_f32_e32 v8, 0x3fb8aa3b, v8
	v_exp_f32_e32 v38, v8
	v_sub_f32_e32 v8, v9, v36
	v_mul_f32_e32 v8, 0x3fb8aa3b, v8
	v_exp_f32_e32 v39, v8
	global_load_dwordx4 v[14:17], v[6:7], off
	s_nop 0
	global_load_dwordx4 v[6:9], v[6:7], off offset:16
	v_sub_f32_e32 v46, v46, v36
	v_mul_f32_e32 v46, 0x3fb8aa3b, v46
	v_sub_f32_e32 v47, v47, v36
	v_exp_f32_e32 v46, v46
	v_mul_f32_e32 v47, 0x3fb8aa3b, v47
	v_sub_f32_e32 v40, v40, v36
	v_exp_f32_e32 v47, v47
	v_mul_f32_e32 v40, 0x3fb8aa3b, v40
	v_sub_f32_e32 v41, v41, v36
	v_cndmask_b32_e64 v38, 0, v38, s[30:31]
	v_exp_f32_e32 v40, v40
	v_mul_f32_e32 v41, 0x3fb8aa3b, v41
	v_sub_f32_e32 v50, v50, v36
	v_add_f32_e32 v58, 0, v38
	v_cndmask_b32_e64 v39, 0, v39, s[34:35]
	v_exp_f32_e32 v41, v41
	v_mul_f32_e32 v50, 0x3fb8aa3b, v50
	v_sub_f32_e32 v51, v51, v36
	v_add_f32_e32 v58, v58, v39
	;; [unrolled: 5-line block ×10, first 2 shown]
	v_cndmask_b32_e64 v48, 0, v48, s[12:13]
	v_exp_f32_e32 v34, v34
	v_mul_f32_e32 v35, 0x3fb8aa3b, v35
	v_add_f32_e32 v58, v58, v48
	v_cndmask_b32_e64 v49, 0, v49, s[14:15]
	v_exp_f32_e32 v35, v35
	v_add_f32_e32 v58, v58, v49
	v_cndmask_b32_e64 v42, 0, v42, s[8:9]
	v_add_f32_e32 v58, v58, v42
	v_cndmask_b32_e64 v43, 0, v43, s[10:11]
	v_add_f32_e32 v58, v58, v43
	v_cndmask_b32_e32 v34, 0, v34, vcc
	v_add_f32_e32 v58, v58, v34
	v_cndmask_b32_e64 v35, 0, v35, s[6:7]
	v_add_f32_e32 v58, v58, v35
	ds_bpermute_b32 v59, v60, v58
	v_cmp_gt_u32_e64 s[6:7], 16, v55
	s_waitcnt lgkmcnt(0)
	s_barrier
	v_add_f32_e32 v58, v58, v59
	ds_bpermute_b32 v59, v61, v58
	s_and_saveexec_b64 s[8:9], s[6:7]
	s_cbranch_execz .LBB492_13
; %bb.12:
	s_waitcnt lgkmcnt(0)
	v_add_f32_e32 v55, v58, v59
	v_lshl_or_b32 v58, v54, 6, v56
	ds_write2st64_b32 v58, v36, v55 offset1:1
.LBB492_13:
	s_or_b64 exec, exec, s[8:9]
	s_load_dwordx2 s[8:9], s[0:1], 0x94
	s_waitcnt lgkmcnt(0)
	s_barrier
	ds_read2_b32 v[58:59], v56 offset1:16
	ds_read2_b32 v[60:61], v56 offset0:32 offset1:48
	ds_read2_b32 v[62:63], v56 offset0:64 offset1:80
	s_movk_i32 s12, 0x7fff
	s_mov_b32 s13, 0x7060302
	s_waitcnt lgkmcnt(2)
	v_max3_f32 v36, v58, s42, v59
	s_waitcnt lgkmcnt(1)
	v_max3_f32 v55, v36, v60, v61
	v_sub_f32_e32 v36, v58, v55
	v_sub_f32_e32 v58, v59, v55
	v_mul_f32_e32 v58, 0x3fb8aa3b, v58
	v_mul_f32_e32 v36, 0x3fb8aa3b, v36
	v_exp_f32_e32 v64, v58
	v_sub_f32_e32 v58, v60, v55
	v_exp_f32_e32 v36, v36
	v_mul_f32_e32 v58, 0x3fb8aa3b, v58
	v_exp_f32_e32 v60, v58
	ds_read2_b32 v[58:59], v56 offset0:96 offset1:112
	v_sub_f32_e32 v56, v61, v55
	v_mul_f32_e32 v56, 0x3fb8aa3b, v56
	v_exp_f32_e32 v61, v56
	s_waitcnt lgkmcnt(1)
	v_fma_f32 v56, v36, v62, 0
	v_fmac_f32_e32 v56, v64, v63
	s_waitcnt lgkmcnt(0)
	v_fmac_f32_e32 v56, v60, v58
	v_fmac_f32_e32 v56, v61, v59
	v_add_f32_e32 v58, 0x358637bd, v56
	v_div_scale_f32 v59, s[10:11], v58, v58, 1.0
	v_rcp_f32_e32 v62, v59
	s_barrier
	v_fma_f32 v63, -v59, v62, 1.0
	v_fmac_f32_e32 v62, v63, v62
	v_div_scale_f32 v63, vcc, 1.0, v58, 1.0
	v_mul_f32_e32 v65, v63, v62
	v_fma_f32 v66, -v59, v65, v63
	v_fmac_f32_e32 v65, v66, v62
	v_fma_f32 v59, -v59, v65, v63
	v_div_fmas_f32 v59, v59, v62, v65
	v_cmp_eq_u32_e32 vcc, 1, v54
	v_div_fixup_f32 v58, v59, v58, 1.0
	s_nop 0
	v_cndmask_b32_e32 v36, v36, v64, vcc
	v_cmp_eq_u32_e32 vcc, 2, v54
	s_nop 1
	v_cndmask_b32_e32 v36, v36, v60, vcc
	v_cmp_eq_u32_e32 vcc, 3, v54
	s_nop 1
	v_cndmask_b32_e32 v36, v36, v61, vcc
	v_mul_f32_e32 v58, v36, v58
	v_pk_mul_f32 v[38:39], v[58:59], v[38:39] op_sel_hi:[0,1]
	v_pk_mul_f32 v[46:47], v[58:59], v[46:47] op_sel_hi:[0,1]
	v_bfe_u32 v36, v39, 16, 1
	v_bfe_u32 v59, v38, 16, 1
	v_add3_u32 v38, v38, v59, s12
	v_add3_u32 v36, v39, v36, s12
	v_perm_b32 v38, v36, v38, s13
	v_bfe_u32 v36, v47, 16, 1
	v_bfe_u32 v39, v46, 16, 1
	v_add3_u32 v39, v46, v39, s12
	v_add3_u32 v36, v47, v36, s12
	v_perm_b32 v39, v36, v39, s13
	v_lshlrev_b32_e32 v36, 3, v52
	v_lshlrev_b32_e32 v46, 11, v54
	v_pk_mul_f32 v[40:41], v[58:59], v[40:41] op_sel_hi:[0,1]
	v_or3_b32 v36, v46, v57, v36
	v_pk_mul_f32 v[46:47], v[58:59], v[50:51] op_sel_hi:[0,1]
	v_bfe_u32 v50, v41, 16, 1
	v_bfe_u32 v51, v40, 16, 1
	v_add3_u32 v40, v40, v51, s12
	v_add3_u32 v41, v41, v50, s12
	v_perm_b32 v40, v41, v40, s13
	v_bfe_u32 v41, v47, 16, 1
	v_bfe_u32 v50, v46, 16, 1
	v_add3_u32 v46, v46, v50, s12
	v_add3_u32 v41, v47, v41, s12
	v_perm_b32 v41, v41, v46, s13
	ds_write2st64_b64 v36, v[38:39], v[40:41] offset1:1
	v_pk_mul_f32 v[40:41], v[58:59], v[44:45] op_sel_hi:[0,1]
	v_bfe_u32 v44, v41, 16, 1
	v_bfe_u32 v45, v40, 16, 1
	v_pk_mul_f32 v[38:39], v[58:59], v[48:49] op_sel_hi:[0,1]
	v_add3_u32 v40, v40, v45, s12
	v_add3_u32 v41, v41, v44, s12
	v_perm_b32 v40, v41, v40, s13
	v_bfe_u32 v41, v39, 16, 1
	v_bfe_u32 v44, v38, 16, 1
	v_add3_u32 v38, v38, v44, s12
	v_add3_u32 v39, v39, v41, s12
	v_perm_b32 v41, v39, v38, s13
	v_pk_mul_f32 v[38:39], v[58:59], v[42:43] op_sel_hi:[0,1]
	v_bfe_u32 v42, v39, 16, 1
	v_bfe_u32 v43, v38, 16, 1
	v_pk_mul_f32 v[34:35], v[58:59], v[34:35] op_sel_hi:[0,1]
	v_add3_u32 v38, v38, v43, s12
	v_add3_u32 v39, v39, v42, s12
	v_perm_b32 v38, v39, v38, s13
	v_bfe_u32 v39, v35, 16, 1
	v_bfe_u32 v42, v34, 16, 1
	v_add3_u32 v34, v34, v42, s12
	v_add3_u32 v35, v35, v39, s12
	v_perm_b32 v39, v35, v34, s13
	v_cmp_eq_u32_e32 vcc, 0, v0
	ds_write2st64_b64 v36, v[40:41], v[38:39] offset0:2 offset1:3
	s_and_saveexec_b64 s[10:11], vcc
	s_cbranch_execz .LBB492_15
; %bb.14:
	s_mul_i32 s3, s3, s9
	s_mul_hi_u32 s14, s2, s9
	s_add_i32 s14, s14, s3
	s_mul_i32 s3, s2, s9
	s_add_u32 s3, s3, s4
	s_addc_u32 s14, s14, 0
	s_load_dwordx4 s[16:19], s[0:1], 0x58
	s_mul_i32 s14, s14, s8
	s_mul_hi_u32 s15, s3, s8
	s_add_i32 s15, s15, s14
	s_mul_i32 s3, s3, s8
	s_add_u32 s14, s3, s5
	s_addc_u32 s15, s15, 0
	s_lshl_b64 s[14:15], s[14:15], 2
	s_waitcnt lgkmcnt(0)
	s_add_u32 s18, s18, s14
	s_addc_u32 s19, s19, s15
	s_add_u32 s14, s16, s14
	s_addc_u32 s15, s17, s15
	global_store_dword v37, v55, s[18:19]
	global_store_dword v37, v56, s[14:15]
.LBB492_15:
	s_or_b64 exec, exec, s[10:11]
	v_lshl_or_b32 v34, v52, 9, v57
	s_waitcnt lgkmcnt(0)
	s_barrier
	ds_read_b128 v[38:41], v34
	ds_read_b128 v[42:45], v34 offset:16
	s_waitcnt vmcnt(7) lgkmcnt(1)
	v_mfma_f32_16x16x16_bf16 v[46:49], v[10:11], v[38:39], 0
	v_cmp_gt_u32_e32 vcc, 64, v0
	s_and_b64 s[10:11], s[28:29], vcc
	s_mov_b32 s3, 0
	v_mfma_f32_16x16x16_bf16 v[10:13], v[12:13], v[40:41], v[46:49]
	s_and_b64 s[6:7], s[10:11], s[6:7]
	s_waitcnt vmcnt(6) lgkmcnt(0)
	v_mfma_f32_16x16x16_bf16 v[10:13], v[2:3], v[42:43], v[10:13]
	v_mfma_f32_16x16x16_bf16 v[2:5], v[4:5], v[44:45], v[10:13]
	s_nop 5
	ds_read_b128 v[10:13], v34 offset:2048
	ds_read_b128 v[38:41], v34 offset:2064
	s_waitcnt vmcnt(5) lgkmcnt(1)
	v_mfma_f32_16x16x16_bf16 v[2:5], v[30:31], v[10:11], v[2:5]
	v_mfma_f32_16x16x16_bf16 v[2:5], v[32:33], v[12:13], v[2:5]
	s_waitcnt vmcnt(4) lgkmcnt(0)
	v_mfma_f32_16x16x16_bf16 v[2:5], v[26:27], v[38:39], v[2:5]
	v_mfma_f32_16x16x16_bf16 v[2:5], v[28:29], v[40:41], v[2:5]
	ds_read_b128 v[10:13], v34 offset:4096
	ds_read_b128 v[26:29], v34 offset:4112
	s_waitcnt vmcnt(3) lgkmcnt(1)
	v_mfma_f32_16x16x16_bf16 v[2:5], v[22:23], v[10:11], v[2:5]
	v_mfma_f32_16x16x16_bf16 v[2:5], v[24:25], v[12:13], v[2:5]
	s_waitcnt vmcnt(2) lgkmcnt(0)
	v_mfma_f32_16x16x16_bf16 v[2:5], v[18:19], v[26:27], v[2:5]
	v_mfma_f32_16x16x16_bf16 v[2:5], v[20:21], v[28:29], v[2:5]
	ds_read_b128 v[10:13], v34 offset:6144
	ds_read_b128 v[18:21], v34 offset:6160
	s_waitcnt lgkmcnt(0)
	s_barrier
	s_waitcnt vmcnt(1)
	v_mfma_f32_16x16x16_bf16 v[2:5], v[14:15], v[10:11], v[2:5]
	v_mfma_f32_16x16x16_bf16 v[2:5], v[16:17], v[12:13], v[2:5]
	s_waitcnt vmcnt(0)
	v_mfma_f32_16x16x16_bf16 v[2:5], v[6:7], v[18:19], v[2:5]
	v_mfma_f32_16x16x16_bf16 v[2:5], v[8:9], v[20:21], v[2:5]
	s_nop 6
	v_bfe_u32 v6, v3, 16, 1
	v_bfe_u32 v7, v2, 16, 1
	;; [unrolled: 1-line block ×4, first 2 shown]
	v_add3_u32 v2, v2, v7, s12
	v_add3_u32 v3, v3, v6, s12
	;; [unrolled: 1-line block ×4, first 2 shown]
	v_perm_b32 v2, v3, v2, s13
	v_perm_b32 v3, v5, v4, s13
	ds_write_b64 v36, v[2:3]
	s_waitcnt lgkmcnt(0)
	s_barrier
	s_and_saveexec_b64 s[10:11], s[6:7]
	s_cbranch_execz .LBB492_17
; %bb.16:
	s_load_dwordx2 s[0:1], s[0:1], 0x68
	s_mul_i32 s2, s9, s2
	s_lshl_b32 s8, s8, 6
	s_mul_hi_u32 s7, s2, s8
	s_mul_i32 s6, s2, s8
	s_lshl_b64 s[6:7], s[6:7], 1
	v_lshlrev_b32_e32 v0, 10, v0
	s_waitcnt lgkmcnt(0)
	s_add_u32 s6, s0, s6
	v_and_b32_e32 v0, 0x1800, v0
	v_lshlrev_b32_e32 v2, 5, v52
	v_and_b32_e32 v3, 16, v53
	s_addc_u32 s7, s1, s7
	s_lshl_b32 s2, s5, 6
	v_or3_b32 v0, v0, v2, v3
	s_lshl_b64 s[0:1], s[2:3], 1
	ds_read_b128 v[2:5], v0
	s_add_u32 s2, s6, s0
	s_addc_u32 s3, s7, s1
	s_mul_hi_u32 s1, s8, s4
	s_mul_i32 s0, s8, s4
	s_lshl_b64 s[0:1], s[0:1], 1
	s_add_u32 s0, s2, s0
	s_addc_u32 s1, s3, s1
	s_waitcnt lgkmcnt(0)
	global_store_dwordx4 v1, v[2:5], s[0:1]
.LBB492_17:
	s_endpgm
	.section	.rodata,"a",@progbits
	.p2align	6, 0x0
	.amdhsa_kernel _Z39paged_attention_ll4mi_QKV_mfma16_kernelI14__hip_bfloat16S0_LN4vllm18Fp8KVCacheDataTypeE0ES0_Li16ELi64ELi256ELb0ELi1EEvPKT_PKT0_S8_ifPKiSA_SA_iPKfiiiPfSD_PS3_PT2_iSC_SC_
		.amdhsa_group_segment_fixed_size 8192
		.amdhsa_private_segment_fixed_size 0
		.amdhsa_kernarg_size 400
		.amdhsa_user_sgpr_count 2
		.amdhsa_user_sgpr_dispatch_ptr 0
		.amdhsa_user_sgpr_queue_ptr 0
		.amdhsa_user_sgpr_kernarg_segment_ptr 1
		.amdhsa_user_sgpr_dispatch_id 0
		.amdhsa_user_sgpr_kernarg_preload_length 0
		.amdhsa_user_sgpr_kernarg_preload_offset 0
		.amdhsa_user_sgpr_private_segment_size 0
		.amdhsa_uses_dynamic_stack 0
		.amdhsa_enable_private_segment 0
		.amdhsa_system_sgpr_workgroup_id_x 1
		.amdhsa_system_sgpr_workgroup_id_y 1
		.amdhsa_system_sgpr_workgroup_id_z 1
		.amdhsa_system_sgpr_workgroup_info 0
		.amdhsa_system_vgpr_workitem_id 0
		.amdhsa_next_free_vgpr 71
		.amdhsa_next_free_sgpr 48
		.amdhsa_accum_offset 72
		.amdhsa_reserve_vcc 1
		.amdhsa_float_round_mode_32 0
		.amdhsa_float_round_mode_16_64 0
		.amdhsa_float_denorm_mode_32 3
		.amdhsa_float_denorm_mode_16_64 3
		.amdhsa_dx10_clamp 1
		.amdhsa_ieee_mode 1
		.amdhsa_fp16_overflow 0
		.amdhsa_tg_split 0
		.amdhsa_exception_fp_ieee_invalid_op 0
		.amdhsa_exception_fp_denorm_src 0
		.amdhsa_exception_fp_ieee_div_zero 0
		.amdhsa_exception_fp_ieee_overflow 0
		.amdhsa_exception_fp_ieee_underflow 0
		.amdhsa_exception_fp_ieee_inexact 0
		.amdhsa_exception_int_div_zero 0
	.end_amdhsa_kernel
	.section	.text._Z39paged_attention_ll4mi_QKV_mfma16_kernelI14__hip_bfloat16S0_LN4vllm18Fp8KVCacheDataTypeE0ES0_Li16ELi64ELi256ELb0ELi1EEvPKT_PKT0_S8_ifPKiSA_SA_iPKfiiiPfSD_PS3_PT2_iSC_SC_,"axG",@progbits,_Z39paged_attention_ll4mi_QKV_mfma16_kernelI14__hip_bfloat16S0_LN4vllm18Fp8KVCacheDataTypeE0ES0_Li16ELi64ELi256ELb0ELi1EEvPKT_PKT0_S8_ifPKiSA_SA_iPKfiiiPfSD_PS3_PT2_iSC_SC_,comdat
.Lfunc_end492:
	.size	_Z39paged_attention_ll4mi_QKV_mfma16_kernelI14__hip_bfloat16S0_LN4vllm18Fp8KVCacheDataTypeE0ES0_Li16ELi64ELi256ELb0ELi1EEvPKT_PKT0_S8_ifPKiSA_SA_iPKfiiiPfSD_PS3_PT2_iSC_SC_, .Lfunc_end492-_Z39paged_attention_ll4mi_QKV_mfma16_kernelI14__hip_bfloat16S0_LN4vllm18Fp8KVCacheDataTypeE0ES0_Li16ELi64ELi256ELb0ELi1EEvPKT_PKT0_S8_ifPKiSA_SA_iPKfiiiPfSD_PS3_PT2_iSC_SC_
                                        ; -- End function
	.section	.AMDGPU.csdata,"",@progbits
; Kernel info:
; codeLenInByte = 3872
; NumSgprs: 54
; NumVgprs: 71
; NumAgprs: 0
; TotalNumVgprs: 71
; ScratchSize: 0
; MemoryBound: 0
; FloatMode: 240
; IeeeMode: 1
; LDSByteSize: 8192 bytes/workgroup (compile time only)
; SGPRBlocks: 6
; VGPRBlocks: 8
; NumSGPRsForWavesPerEU: 54
; NumVGPRsForWavesPerEU: 71
; AccumOffset: 72
; Occupancy: 7
; WaveLimiterHint : 1
; COMPUTE_PGM_RSRC2:SCRATCH_EN: 0
; COMPUTE_PGM_RSRC2:USER_SGPR: 2
; COMPUTE_PGM_RSRC2:TRAP_HANDLER: 0
; COMPUTE_PGM_RSRC2:TGID_X_EN: 1
; COMPUTE_PGM_RSRC2:TGID_Y_EN: 1
; COMPUTE_PGM_RSRC2:TGID_Z_EN: 1
; COMPUTE_PGM_RSRC2:TIDIG_COMP_CNT: 0
; COMPUTE_PGM_RSRC3_GFX90A:ACCUM_OFFSET: 17
; COMPUTE_PGM_RSRC3_GFX90A:TG_SPLIT: 0
	.section	.text._Z39paged_attention_ll4mi_QKV_mfma16_kernelI14__hip_bfloat16S0_LN4vllm18Fp8KVCacheDataTypeE0ES0_Li16ELi64ELi256ELb0ELi2EEvPKT_PKT0_S8_ifPKiSA_SA_iPKfiiiPfSD_PS3_PT2_iSC_SC_,"axG",@progbits,_Z39paged_attention_ll4mi_QKV_mfma16_kernelI14__hip_bfloat16S0_LN4vllm18Fp8KVCacheDataTypeE0ES0_Li16ELi64ELi256ELb0ELi2EEvPKT_PKT0_S8_ifPKiSA_SA_iPKfiiiPfSD_PS3_PT2_iSC_SC_,comdat
	.protected	_Z39paged_attention_ll4mi_QKV_mfma16_kernelI14__hip_bfloat16S0_LN4vllm18Fp8KVCacheDataTypeE0ES0_Li16ELi64ELi256ELb0ELi2EEvPKT_PKT0_S8_ifPKiSA_SA_iPKfiiiPfSD_PS3_PT2_iSC_SC_ ; -- Begin function _Z39paged_attention_ll4mi_QKV_mfma16_kernelI14__hip_bfloat16S0_LN4vllm18Fp8KVCacheDataTypeE0ES0_Li16ELi64ELi256ELb0ELi2EEvPKT_PKT0_S8_ifPKiSA_SA_iPKfiiiPfSD_PS3_PT2_iSC_SC_
	.globl	_Z39paged_attention_ll4mi_QKV_mfma16_kernelI14__hip_bfloat16S0_LN4vllm18Fp8KVCacheDataTypeE0ES0_Li16ELi64ELi256ELb0ELi2EEvPKT_PKT0_S8_ifPKiSA_SA_iPKfiiiPfSD_PS3_PT2_iSC_SC_
	.p2align	8
	.type	_Z39paged_attention_ll4mi_QKV_mfma16_kernelI14__hip_bfloat16S0_LN4vllm18Fp8KVCacheDataTypeE0ES0_Li16ELi64ELi256ELb0ELi2EEvPKT_PKT0_S8_ifPKiSA_SA_iPKfiiiPfSD_PS3_PT2_iSC_SC_,@function
_Z39paged_attention_ll4mi_QKV_mfma16_kernelI14__hip_bfloat16S0_LN4vllm18Fp8KVCacheDataTypeE0ES0_Li16ELi64ELi256ELb0ELi2EEvPKT_PKT0_S8_ifPKiSA_SA_iPKfiiiPfSD_PS3_PT2_iSC_SC_: ; @_Z39paged_attention_ll4mi_QKV_mfma16_kernelI14__hip_bfloat16S0_LN4vllm18Fp8KVCacheDataTypeE0ES0_Li16ELi64ELi256ELb0ELi2EEvPKT_PKT0_S8_ifPKiSA_SA_iPKfiiiPfSD_PS3_PT2_iSC_SC_
; %bb.0:
	s_load_dwordx2 s[12:13], s[0:1], 0x30
	s_mov_b32 s28, s3
	s_mov_b64 s[6:7], 0
	s_waitcnt lgkmcnt(0)
	s_cmp_lg_u64 s[12:13], 0
	s_cselect_b64 s[14:15], -1, 0
	s_and_b64 vcc, exec, s[14:15]
	s_cbranch_vccz .LBB493_7
; %bb.1:
	s_add_i32 s8, s2, 1
	s_mov_b32 s9, 0
	s_lshl_b64 s[10:11], s[8:9], 2
	s_add_u32 s10, s12, s10
	s_mov_b32 s3, s9
	s_addc_u32 s11, s13, s11
	s_lshl_b64 s[8:9], s[2:3], 2
	s_add_u32 s8, s12, s8
	s_addc_u32 s9, s13, s9
	s_load_dword s5, s[10:11], 0x0
	s_load_dword s16, s[8:9], 0x0
	s_waitcnt lgkmcnt(0)
	s_sub_i32 s5, s5, s16
	s_cmp_eq_u32 s5, 1
	s_cselect_b64 s[8:9], -1, 0
	s_andn2_b64 vcc, exec, s[6:7]
	s_cbranch_vccnz .LBB493_3
.LBB493_2:
	s_mov_b32 s3, 0
	s_mov_b64 s[8:9], -1
.LBB493_3:
	s_andn2_b64 vcc, exec, s[8:9]
	s_cbranch_vccnz .LBB493_17
; %bb.4:
	s_load_dwordx2 s[6:7], s[0:1], 0x28
	s_lshl_b64 s[16:17], s[2:3], 2
	s_waitcnt lgkmcnt(0)
	s_add_u32 s6, s6, s16
	s_addc_u32 s7, s7, s17
	s_load_dword s40, s[6:7], 0x0
	s_lshl_b32 s18, s28, 8
	s_waitcnt lgkmcnt(0)
	s_cmp_ge_i32 s18, s40
	s_cbranch_scc1 .LBB493_17
; %bb.5:
	s_load_dwordx2 s[6:7], s[0:1], 0x20
	s_load_dword s5, s[0:1], 0x38
	s_add_i32 s8, s40, 15
	s_ashr_i32 s9, s8, 31
	v_and_b32_e32 v1, 0xcf, v0
	s_lshr_b32 s9, s9, 28
	v_add_u32_e32 v1, s18, v1
	s_add_i32 s8, s8, s9
	v_ashrrev_i32_e32 v2, 31, v1
	s_ashr_i32 s19, s8, 4
	v_lshrrev_b32_e32 v8, 28, v2
	s_add_i32 s19, s19, -1
	s_waitcnt lgkmcnt(0)
	s_mul_i32 s8, s2, s5
	s_mov_b32 s9, 0
	v_add_u32_e32 v2, v1, v8
	s_lshl_b64 s[8:9], s[8:9], 2
	v_ashrrev_i32_e32 v2, 4, v2
	v_mov_b32_e32 v9, s19
	v_cmp_gt_i32_e32 vcc, s40, v1
	s_add_u32 s6, s6, s8
	s_addc_u32 s7, s7, s9
	v_cndmask_b32_e32 v2, v9, v2, vcc
	v_ashrrev_i32_e32 v3, 31, v2
	v_lshl_add_u64 v[4:5], v[2:3], 2, s[6:7]
	v_or_b32_e32 v2, 16, v1
	v_add_u32_e32 v3, v2, v8
	v_ashrrev_i32_e32 v3, 4, v3
	v_cmp_gt_i32_e32 vcc, s40, v2
	s_load_dwordx4 s[8:11], s[0:1], 0x8
	s_nop 0
	v_cndmask_b32_e32 v2, v9, v3, vcc
	v_ashrrev_i32_e32 v3, 31, v2
	v_lshl_add_u64 v[6:7], v[2:3], 2, s[6:7]
	v_or_b32_e32 v2, 32, v1
	v_add_u32_e32 v3, v2, v8
	v_ashrrev_i32_e32 v3, 4, v3
	v_cmp_gt_i32_e32 vcc, s40, v2
	v_or_b32_e32 v1, 48, v1
	s_nop 0
	v_cndmask_b32_e32 v2, v9, v3, vcc
	v_ashrrev_i32_e32 v3, 31, v2
	v_lshl_add_u64 v[12:13], v[2:3], 2, s[6:7]
	v_add_u32_e32 v2, v1, v8
	v_ashrrev_i32_e32 v2, 4, v2
	v_cmp_gt_i32_e32 vcc, s40, v1
	s_nop 1
	v_cndmask_b32_e32 v2, v9, v2, vcc
	v_ashrrev_i32_e32 v3, 31, v2
	v_lshl_add_u64 v[14:15], v[2:3], 2, s[6:7]
	global_load_dword v2, v[4:5], off
	global_load_dword v10, v[6:7], off
	;; [unrolled: 1-line block ×4, first 2 shown]
	s_andn2_b64 vcc, exec, s[14:15]
	s_cbranch_vccnz .LBB493_8
; %bb.6:
	s_add_u32 s12, s12, s16
	s_addc_u32 s13, s13, s17
	s_load_dword s5, s[12:13], 0x0
	s_branch .LBB493_9
.LBB493_7:
	s_mov_b64 s[8:9], 0
	s_branch .LBB493_2
.LBB493_8:
	s_mov_b32 s5, s2
.LBB493_9:
	s_load_dwordx4 s[44:47], s[0:1], 0x48
	v_lshrrev_b32_e32 v54, 6, v0
	v_bfe_u32 v1, v0, 4, 2
	v_lshl_or_b32 v3, v54, 2, v1
	v_and_b32_e32 v55, 15, v0
	v_lshlrev_b32_e32 v4, 3, v55
	v_cmp_gt_u32_e32 vcc, 2, v3
	v_cmp_gt_u32_e64 s[30:31], 8, v55
	v_and_b32_e32 v52, 63, v0
	s_lshl_b32 s29, s4, 1
	s_and_b64 s[14:15], s[30:31], vcc
	v_lshlrev_b32_e32 v34, 1, v4
	s_and_saveexec_b64 s[12:13], s[14:15]
	s_cbranch_execz .LBB493_11
; %bb.10:
	s_load_dwordx2 s[14:15], s[0:1], 0x0
	s_waitcnt lgkmcnt(0)
	s_ashr_i32 s16, s44, 31
	s_mul_hi_u32 s17, s5, s44
	s_mul_i32 s16, s5, s16
	s_add_i32 s17, s17, s16
	s_mul_i32 s16, s5, s44
	s_lshl_b64 s[16:17], s[16:17], 1
	s_add_u32 s14, s14, s16
	v_add_lshl_u32 v4, v1, s29, 6
	s_addc_u32 s15, s15, s17
	v_ashrrev_i32_e32 v5, 31, v4
	v_lshl_add_u64 v[4:5], v[4:5], 1, s[14:15]
	v_mov_b32_e32 v35, 0
	v_lshl_add_u64 v[4:5], v[4:5], 0, v[34:35]
	global_load_dwordx4 v[4:7], v[4:5], off
	v_and_b32_e32 v11, 3, v0
	v_lshlrev_b32_e32 v12, 9, v55
	v_lshlrev_b32_e32 v3, 5, v3
	;; [unrolled: 1-line block ×3, first 2 shown]
	v_and_b32_e32 v12, 0x1800, v12
	v_or3_b32 v3, v12, v11, v3
	s_waitcnt vmcnt(0)
	ds_write_b128 v3, v[4:7]
.LBB493_11:
	s_or_b64 exec, exec, s[12:13]
	s_waitcnt lgkmcnt(0)
	s_mul_i32 s4, s4, s46
	s_mov_b32 s5, 0
	s_lshl_b64 s[4:5], s[4:5], 1
	s_add_u32 s8, s8, s4
	v_lshlrev_b32_e32 v53, 4, v0
	s_addc_u32 s9, s9, s5
	v_and_b32_e32 v6, 0xf0, v53
	v_mov_b32_e32 v7, 0
	v_lshl_add_u64 v[12:13], s[8:9], 0, v[6:7]
	s_waitcnt vmcnt(3)
	v_mad_i64_i32 v[2:3], s[8:9], v2, s45, 0
	v_lshl_add_u64 v[2:3], v[2:3], 1, v[12:13]
	v_and_b32_e32 v6, 0x300, v53
	v_and_b32_e32 v11, 1, v0
	s_waitcnt vmcnt(2)
	v_mad_i64_i32 v[20:21], s[8:9], v10, s45, 0
	s_waitcnt vmcnt(1)
	v_mad_i64_i32 v[24:25], s[8:9], v9, s45, 0
	v_lshl_add_u64 v[14:15], v[2:3], 0, v[6:7]
	s_waitcnt vmcnt(0)
	v_mad_i64_i32 v[26:27], s[8:9], v8, s45, 0
	v_lshlrev_b32_e32 v8, 5, v11
	v_lshl_add_u64 v[20:21], v[20:21], 1, v[12:13]
	v_lshl_add_u64 v[24:25], v[24:25], 1, v[12:13]
	s_load_dword s33, s[0:1], 0x98
	s_load_dword s12, s[0:1], 0x1c
	s_waitcnt lgkmcnt(0)
	s_barrier
	global_load_dwordx4 v[2:5], v[14:15], off
	v_lshl_or_b32 v8, v1, 9, v8
	v_lshl_add_u64 v[32:33], v[20:21], 0, v[6:7]
	v_lshl_add_u64 v[30:31], v[24:25], 0, v[6:7]
	ds_read_b128 v[16:19], v8
	ds_read_b128 v[8:11], v8 offset:2048
	global_load_dwordx4 v[20:23], v[32:33], off
	v_lshl_add_u64 v[12:13], v[26:27], 1, v[12:13]
	global_load_dwordx4 v[24:27], v[30:31], off
	v_lshl_add_u64 v[28:29], v[12:13], 0, v[6:7]
	global_load_dwordx4 v[12:15], v[14:15], off offset:1024
	s_nop 0
	global_load_dwordx4 v[40:43], v[28:29], off
	global_load_dwordx4 v[44:47], v[32:33], off offset:1024
	global_load_dwordx4 v[60:63], v[28:29], off offset:1024
	v_and_or_b32 v6, v0, 48, s18
	global_load_dwordx4 v[30:33], v[30:31], off offset:1024
	v_mov_b32_e32 v68, s19
	v_cmp_gt_i32_e32 vcc, s40, v6
	v_or_b32_e32 v28, 0x80, v6
	v_ashrrev_i32_e32 v29, 4, v28
	v_lshlrev_b32_e32 v35, 5, v55
	s_add_u32 s4, s10, s4
	s_addc_u32 s5, s11, s5
	s_mov_b32 s42, 0xff7fffff
	s_waitcnt vmcnt(3) lgkmcnt(1)
	v_mfma_f32_16x16x16_bf16 v[64:67], v[40:41], v[16:17], 0
	v_mfma_f32_16x16x16_bf16 v[36:39], v[2:3], v[16:17], 0
	v_ashrrev_i32_e32 v2, 4, v6
	v_mfma_f32_16x16x16_bf16 v[48:51], v[20:21], v[16:17], 0
	v_or_b32_e32 v20, 64, v6
	v_ashrrev_i32_e32 v21, 4, v20
	v_or_b32_e32 v6, 0xc0, v6
	v_mfma_f32_16x16x16_bf16 v[56:59], v[24:25], v[16:17], 0
	v_cndmask_b32_e32 v16, v68, v2, vcc
	v_ashrrev_i32_e32 v17, 31, v16
	v_lshl_add_u64 v[16:17], v[16:17], 2, s[6:7]
	v_mfma_f32_16x16x16_bf16 v[2:5], v[4:5], v[18:19], v[36:39]
	v_cmp_gt_i32_e32 vcc, s40, v20
	s_nop 1
	global_load_dword v36, v[16:17], off
	v_cndmask_b32_e32 v24, v68, v21, vcc
	v_ashrrev_i32_e32 v25, 31, v24
	v_lshl_add_u64 v[16:17], v[24:25], 2, s[6:7]
	global_load_dword v37, v[16:17], off
	v_cmp_gt_i32_e32 vcc, s40, v28
	v_ashrrev_i32_e32 v38, 4, v6
	s_waitcnt lgkmcnt(0)
	v_mfma_f32_16x16x16_bf16 v[2:5], v[12:13], v[8:9], v[2:5]
	v_cndmask_b32_e32 v12, v68, v29, vcc
	v_cmp_gt_i32_e32 vcc, s40, v6
	v_ashrrev_i32_e32 v13, 31, v12
	v_lshl_add_u64 v[12:13], v[12:13], 2, s[6:7]
	v_cndmask_b32_e32 v28, v68, v38, vcc
	v_ashrrev_i32_e32 v29, 31, v28
	v_mfma_f32_16x16x16_bf16 v[24:27], v[26:27], v[18:19], v[56:59]
	v_lshl_add_u64 v[28:29], v[28:29], 2, s[6:7]
	s_nop 1
	global_load_dword v56, v[12:13], off
	global_load_dword v57, v[28:29], off
	v_lshl_or_b32 v6, v54, 9, v35
	v_mfma_f32_16x16x16_bf16 v[20:23], v[22:23], v[18:19], v[48:51]
	v_lshl_add_u64 v[12:13], s[4:5], 0, v[6:7]
	v_mfma_f32_16x16x16_bf16 v[16:19], v[42:43], v[18:19], v[64:67]
	s_waitcnt vmcnt(5)
	v_mfma_f32_16x16x16_bf16 v[16:19], v[60:61], v[8:9], v[16:19]
	s_waitcnt vmcnt(4)
	v_mfma_f32_16x16x16_bf16 v[24:27], v[30:31], v[8:9], v[24:27]
	v_mfma_f32_16x16x16_bf16 v[28:31], v[14:15], v[10:11], v[2:5]
	;; [unrolled: 1-line block ×3, first 2 shown]
	s_waitcnt vmcnt(3)
	s_nop 0
	v_mad_i64_i32 v[2:3], s[4:5], v36, s45, 0
	v_lshl_add_u64 v[14:15], v[2:3], 1, v[12:13]
	global_load_dwordx4 v[6:9], v[14:15], off
	global_load_dwordx4 v[2:5], v[14:15], off offset:16
	v_mfma_f32_16x16x16_bf16 v[14:17], v[62:63], v[10:11], v[16:19]
	s_waitcnt vmcnt(4)
	v_mad_i64_i32 v[36:37], s[4:5], v37, s45, 0
	v_lshl_add_u64 v[38:39], v[36:37], 1, v[12:13]
	v_mfma_f32_16x16x16_bf16 v[20:23], v[46:47], v[10:11], v[20:23]
	v_pk_mul_f32 v[48:49], s[12:13], v[30:31] op_sel_hi:[0,1]
	s_nop 1
	v_pk_mul_f32 v[42:43], s[12:13], v[14:15] op_sel_hi:[0,1]
	v_and_b32_e32 v14, 0xc0, v0
	v_add_u32_e32 v14, s18, v14
	v_lshl_or_b32 v14, v1, 2, v14
	v_pk_mul_f32 v[36:37], s[12:13], v[16:17] op_sel_hi:[0,1]
	v_or_b32_e32 v17, 1, v14
	v_mfma_f32_16x16x16_bf16 v[24:27], v[32:33], v[10:11], v[24:27]
	v_pk_mul_f32 v[10:11], s[12:13], v[28:29] op_sel_hi:[0,1]
	v_mov_b32_e32 v15, 0xff7fffff
	v_cmp_gt_i32_e64 s[4:5], s40, v14
	v_cmp_gt_i32_e64 s[34:35], s40, v17
	v_or_b32_e32 v18, 3, v14
	v_cndmask_b32_e64 v16, v15, v10, s[4:5]
	v_cndmask_b32_e64 v17, v15, v11, s[34:35]
	v_max3_f32 v16, v16, s42, v17
	v_or_b32_e32 v17, 2, v14
	v_cmp_gt_i32_e64 s[36:37], s40, v17
	v_cmp_gt_i32_e64 s[38:39], s40, v18
	v_pk_mul_f32 v[40:41], s[12:13], v[20:21] op_sel_hi:[0,1]
	v_cndmask_b32_e64 v17, v15, v48, s[36:37]
	v_cndmask_b32_e64 v18, v15, v49, s[38:39]
	v_max3_f32 v16, v16, v17, v18
	v_or_b32_e32 v17, 16, v14
	v_or_b32_e32 v18, 17, v14
	v_cmp_gt_i32_e64 s[24:25], s40, v17
	v_cmp_gt_i32_e64 s[26:27], s40, v18
	v_pk_mul_f32 v[50:51], s[12:13], v[22:23] op_sel_hi:[0,1]
	v_cndmask_b32_e64 v17, v15, v40, s[24:25]
	v_cndmask_b32_e64 v18, v15, v41, s[26:27]
	v_max3_f32 v16, v16, v17, v18
	v_or_b32_e32 v17, 18, v14
	;; [unrolled: 8-line block ×4, first 2 shown]
	v_or_b32_e32 v18, 35, v14
	v_cmp_gt_i32_e64 s[12:13], s40, v17
	v_cmp_gt_i32_e64 s[14:15], s40, v18
	global_load_dwordx4 v[30:33], v[38:39], off
	global_load_dwordx4 v[26:29], v[38:39], off offset:16
	v_cndmask_b32_e64 v17, v15, v46, s[12:13]
	v_cndmask_b32_e64 v18, v15, v47, s[14:15]
	v_max3_f32 v16, v16, v17, v18
	v_or_b32_e32 v17, 48, v14
	v_or_b32_e32 v18, 49, v14
	v_cmp_gt_i32_e64 s[8:9], s40, v17
	v_cmp_gt_i32_e64 s[10:11], s40, v18
	s_nop 0
	v_cndmask_b32_e64 v17, v15, v42, s[8:9]
	v_cndmask_b32_e64 v18, v15, v43, s[10:11]
	v_max3_f32 v16, v16, v17, v18
	v_or_b32_e32 v17, 50, v14
	v_or_b32_e32 v14, 51, v14
	v_cmp_gt_i32_e32 vcc, s40, v17
	v_cmp_gt_i32_e64 s[6:7], s40, v14
	s_nop 0
	v_cndmask_b32_e32 v17, v15, v36, vcc
	v_cndmask_b32_e64 v14, v15, v37, s[6:7]
	v_max3_f32 v16, v16, v17, v14
	v_mbcnt_lo_u32_b32 v14, -1, 0
	v_mbcnt_hi_u32_b32 v17, -1, v14
	v_and_b32_e32 v14, 64, v17
	v_add_u32_e32 v18, 64, v14
	v_xor_b32_e32 v14, 32, v17
	v_cmp_lt_i32_e64 s[40:41], v14, v18
	s_nop 1
	v_cndmask_b32_e64 v14, v17, v14, s[40:41]
	v_lshlrev_b32_e32 v58, 2, v14
	ds_bpermute_b32 v19, v58, v16
	s_waitcnt vmcnt(5)
	v_mad_i64_i32 v[14:15], s[40:41], v56, s45, 0
	v_lshl_add_u64 v[14:15], v[14:15], 1, v[12:13]
	s_waitcnt lgkmcnt(0)
	v_max_f32_e32 v19, v19, v19
	v_max_f32_e32 v16, v16, v19
	v_xor_b32_e32 v19, 16, v17
	v_cmp_lt_i32_e64 s[40:41], v19, v18
	s_nop 1
	v_cndmask_b32_e64 v17, v17, v19, s[40:41]
	v_lshlrev_b32_e32 v59, 2, v17
	ds_bpermute_b32 v17, v59, v16
	global_load_dwordx4 v[22:25], v[14:15], off
	global_load_dwordx4 v[18:21], v[14:15], off offset:16
	s_waitcnt vmcnt(6)
	v_mad_i64_i32 v[14:15], s[40:41], v57, s45, 0
	v_lshl_add_u64 v[12:13], v[14:15], 1, v[12:13]
	s_waitcnt lgkmcnt(0)
	v_max_f32_e32 v14, v17, v17
	v_max_f32_e32 v56, v16, v14
	v_sub_f32_e32 v10, v10, v56
	v_mul_f32_e32 v10, 0x3fb8aa3b, v10
	v_exp_f32_e32 v38, v10
	v_sub_f32_e32 v10, v11, v56
	v_mul_f32_e32 v10, 0x3fb8aa3b, v10
	v_exp_f32_e32 v39, v10
	global_load_dwordx4 v[14:17], v[12:13], off
	s_nop 0
	global_load_dwordx4 v[10:13], v[12:13], off offset:16
	v_sub_f32_e32 v48, v48, v56
	v_mul_f32_e32 v48, 0x3fb8aa3b, v48
	v_sub_f32_e32 v49, v49, v56
	v_exp_f32_e32 v48, v48
	v_mul_f32_e32 v49, 0x3fb8aa3b, v49
	v_sub_f32_e32 v40, v40, v56
	v_exp_f32_e32 v49, v49
	v_mul_f32_e32 v40, 0x3fb8aa3b, v40
	v_sub_f32_e32 v41, v41, v56
	v_cndmask_b32_e64 v38, 0, v38, s[4:5]
	v_exp_f32_e32 v40, v40
	v_mul_f32_e32 v41, 0x3fb8aa3b, v41
	v_sub_f32_e32 v50, v50, v56
	v_add_f32_e32 v57, 0, v38
	v_cndmask_b32_e64 v39, 0, v39, s[34:35]
	v_exp_f32_e32 v41, v41
	v_mul_f32_e32 v50, 0x3fb8aa3b, v50
	v_sub_f32_e32 v51, v51, v56
	v_add_f32_e32 v57, v57, v39
	;; [unrolled: 5-line block ×10, first 2 shown]
	v_cndmask_b32_e64 v46, 0, v46, s[12:13]
	v_exp_f32_e32 v36, v36
	v_mul_f32_e32 v37, 0x3fb8aa3b, v37
	v_add_f32_e32 v57, v57, v46
	v_cndmask_b32_e64 v47, 0, v47, s[14:15]
	v_exp_f32_e32 v37, v37
	v_add_f32_e32 v57, v57, v47
	v_cndmask_b32_e64 v42, 0, v42, s[8:9]
	v_add_f32_e32 v57, v57, v42
	v_cndmask_b32_e64 v43, 0, v43, s[10:11]
	v_add_f32_e32 v57, v57, v43
	v_cndmask_b32_e32 v36, 0, v36, vcc
	v_add_f32_e32 v57, v57, v36
	v_cndmask_b32_e64 v37, 0, v37, s[6:7]
	v_add_f32_e32 v57, v57, v37
	ds_bpermute_b32 v58, v58, v57
	v_cmp_gt_u32_e32 vcc, 16, v52
	s_waitcnt lgkmcnt(0)
	s_barrier
	v_add_f32_e32 v58, v57, v58
	ds_bpermute_b32 v59, v59, v58
	v_lshlrev_b32_e32 v57, 2, v55
	s_and_saveexec_b64 s[4:5], vcc
	s_cbranch_execz .LBB493_13
; %bb.12:
	s_waitcnt lgkmcnt(0)
	v_add_f32_e32 v55, v58, v59
	v_lshl_or_b32 v58, v54, 6, v57
	ds_write2st64_b32 v58, v56, v55 offset1:1
.LBB493_13:
	s_or_b64 exec, exec, s[4:5]
	s_load_dword s6, s[0:1], 0x94
	s_waitcnt lgkmcnt(0)
	s_barrier
	ds_read2_b32 v[58:59], v57 offset1:16
	ds_read2_b32 v[60:61], v57 offset0:32 offset1:48
	ds_read2_b32 v[62:63], v57 offset0:64 offset1:80
	s_movk_i32 s8, 0x7fff
	s_mov_b32 s9, 0x7060302
	s_waitcnt lgkmcnt(2)
	v_max3_f32 v55, v58, s42, v59
	s_waitcnt lgkmcnt(1)
	v_max3_f32 v55, v55, v60, v61
	v_sub_f32_e32 v56, v58, v55
	v_mul_f32_e32 v56, 0x3fb8aa3b, v56
	v_exp_f32_e32 v64, v56
	v_sub_f32_e32 v56, v59, v55
	v_mul_f32_e32 v56, 0x3fb8aa3b, v56
	v_exp_f32_e32 v65, v56
	;; [unrolled: 3-line block ×3, first 2 shown]
	ds_read2_b32 v[58:59], v57 offset0:96 offset1:112
	v_sub_f32_e32 v56, v61, v55
	v_mul_f32_e32 v56, 0x3fb8aa3b, v56
	v_exp_f32_e32 v57, v56
	s_waitcnt lgkmcnt(1)
	v_fma_f32 v56, v64, v62, 0
	v_fmac_f32_e32 v56, v65, v63
	s_waitcnt lgkmcnt(0)
	v_fmac_f32_e32 v56, v60, v58
	v_fmac_f32_e32 v56, v57, v59
	v_add_f32_e32 v58, 0x358637bd, v56
	v_div_scale_f32 v59, s[4:5], v58, v58, 1.0
	v_rcp_f32_e32 v61, v59
	s_barrier
	v_fma_f32 v62, -v59, v61, 1.0
	v_fmac_f32_e32 v61, v62, v61
	v_div_scale_f32 v62, vcc, 1.0, v58, 1.0
	v_mul_f32_e32 v63, v62, v61
	v_fma_f32 v66, -v59, v63, v62
	v_fmac_f32_e32 v63, v66, v61
	v_fma_f32 v59, -v59, v63, v62
	v_div_fmas_f32 v59, v59, v61, v63
	v_cmp_eq_u32_e32 vcc, 1, v54
	v_div_fixup_f32 v58, v59, v58, 1.0
	s_lshl_b32 s7, s33, 1
	v_cndmask_b32_e32 v59, v64, v65, vcc
	v_cmp_eq_u32_e32 vcc, 2, v54
	s_nop 1
	v_cndmask_b32_e32 v59, v59, v60, vcc
	v_cmp_eq_u32_e32 vcc, 3, v54
	s_nop 1
	v_cndmask_b32_e32 v57, v59, v57, vcc
	v_mul_f32_e32 v58, v57, v58
	v_pk_mul_f32 v[38:39], v[58:59], v[38:39] op_sel_hi:[0,1]
	v_pk_mul_f32 v[48:49], v[58:59], v[48:49] op_sel_hi:[0,1]
	v_bfe_u32 v57, v39, 16, 1
	v_bfe_u32 v59, v38, 16, 1
	v_add3_u32 v38, v38, v59, s8
	v_add3_u32 v39, v39, v57, s8
	v_perm_b32 v60, v39, v38, s9
	v_bfe_u32 v38, v49, 16, 1
	v_bfe_u32 v39, v48, 16, 1
	v_add3_u32 v39, v48, v39, s8
	v_add3_u32 v38, v49, v38, s8
	v_perm_b32 v61, v38, v39, s9
	v_lshlrev_b32_e32 v38, 3, v1
	v_lshlrev_b32_e32 v39, 11, v54
	v_pk_mul_f32 v[40:41], v[58:59], v[40:41] op_sel_hi:[0,1]
	v_or3_b32 v38, v39, v35, v38
	v_pk_mul_f32 v[48:49], v[58:59], v[50:51] op_sel_hi:[0,1]
	v_bfe_u32 v39, v41, 16, 1
	v_bfe_u32 v50, v40, 16, 1
	v_add3_u32 v40, v40, v50, s8
	v_add3_u32 v39, v41, v39, s8
	v_perm_b32 v40, v39, v40, s9
	v_bfe_u32 v39, v49, 16, 1
	v_bfe_u32 v41, v48, 16, 1
	v_add3_u32 v41, v48, v41, s8
	v_add3_u32 v39, v49, v39, s8
	v_perm_b32 v41, v39, v41, s9
	v_pk_mul_f32 v[44:45], v[58:59], v[44:45] op_sel_hi:[0,1]
	ds_write2st64_b64 v38, v[60:61], v[40:41] offset1:1
	v_pk_mul_f32 v[40:41], v[58:59], v[46:47] op_sel_hi:[0,1]
	v_bfe_u32 v39, v45, 16, 1
	v_bfe_u32 v46, v44, 16, 1
	v_add3_u32 v44, v44, v46, s8
	v_add3_u32 v39, v45, v39, s8
	v_perm_b32 v44, v39, v44, s9
	v_bfe_u32 v39, v41, 16, 1
	v_bfe_u32 v45, v40, 16, 1
	v_add3_u32 v40, v40, v45, s8
	v_add3_u32 v39, v41, v39, s8
	v_perm_b32 v45, v39, v40, s9
	v_pk_mul_f32 v[40:41], v[58:59], v[42:43] op_sel_hi:[0,1]
	v_bfe_u32 v39, v41, 16, 1
	v_bfe_u32 v42, v40, 16, 1
	v_pk_mul_f32 v[36:37], v[58:59], v[36:37] op_sel_hi:[0,1]
	v_add3_u32 v40, v40, v42, s8
	v_add3_u32 v39, v41, v39, s8
	v_perm_b32 v40, v39, v40, s9
	v_bfe_u32 v39, v37, 16, 1
	v_bfe_u32 v41, v36, 16, 1
	v_add3_u32 v36, v36, v41, s8
	v_add3_u32 v37, v37, v39, s8
	v_perm_b32 v41, v37, v36, s9
	v_cmp_gt_u32_e32 vcc, 2, v0
	ds_write2st64_b64 v38, v[44:45], v[40:41] offset0:2 offset1:3
	s_and_saveexec_b64 s[4:5], vcc
	s_cbranch_execz .LBB493_15
; %bb.14:
	v_or_b32_e32 v36, s29, v0
	v_mov_b32_e32 v37, 0
	v_mov_b32_e32 v39, s7
	v_mad_u64_u32 v[40:41], s[10:11], s2, v39, v[36:37]
	v_mov_b32_e32 v36, s28
	s_load_dwordx4 s[12:15], s[0:1], 0x58
	s_mul_i32 s3, s3, s7
	v_mad_u64_u32 v[36:37], s[10:11], v40, s6, v[36:37]
	v_add_u32_e32 v39, s3, v41
	v_mov_b32_e32 v40, v37
	v_mad_u64_u32 v[40:41], s[10:11], v39, s6, v[40:41]
	v_mov_b32_e32 v37, v40
	v_lshlrev_b64 v[36:37], 2, v[36:37]
	s_waitcnt lgkmcnt(0)
	v_lshl_add_u64 v[40:41], s[14:15], 0, v[36:37]
	v_lshl_add_u64 v[36:37], s[12:13], 0, v[36:37]
	global_store_dword v[40:41], v55, off
	global_store_dword v[36:37], v56, off
.LBB493_15:
	s_or_b64 exec, exec, s[4:5]
	v_lshl_or_b32 v35, v1, 9, v35
	s_waitcnt lgkmcnt(0)
	s_barrier
	ds_read_b128 v[40:43], v35
	ds_read_b128 v[44:47], v35 offset:16
	s_waitcnt vmcnt(7) lgkmcnt(1)
	v_mfma_f32_16x16x16_bf16 v[48:51], v[6:7], v[40:41], 0
	v_cmp_gt_u32_e32 vcc, 64, v0
	v_cmp_gt_u32_e64 s[4:5], 32, v52
	s_and_b64 s[4:5], s[4:5], vcc
	v_mfma_f32_16x16x16_bf16 v[6:9], v[8:9], v[42:43], v[48:51]
	s_mov_b32 s3, 0
	s_and_b64 s[4:5], s[4:5], s[30:31]
	s_waitcnt vmcnt(6) lgkmcnt(0)
	v_mfma_f32_16x16x16_bf16 v[6:9], v[2:3], v[44:45], v[6:9]
	v_mfma_f32_16x16x16_bf16 v[2:5], v[4:5], v[46:47], v[6:9]
	s_nop 5
	ds_read_b128 v[6:9], v35 offset:2048
	ds_read_b128 v[40:43], v35 offset:2064
	s_waitcnt vmcnt(5) lgkmcnt(1)
	v_mfma_f32_16x16x16_bf16 v[2:5], v[30:31], v[6:7], v[2:5]
	v_mfma_f32_16x16x16_bf16 v[2:5], v[32:33], v[8:9], v[2:5]
	s_waitcnt vmcnt(4) lgkmcnt(0)
	v_mfma_f32_16x16x16_bf16 v[2:5], v[26:27], v[40:41], v[2:5]
	v_mfma_f32_16x16x16_bf16 v[2:5], v[28:29], v[42:43], v[2:5]
	ds_read_b128 v[6:9], v35 offset:4096
	ds_read_b128 v[26:29], v35 offset:4112
	s_waitcnt vmcnt(3) lgkmcnt(1)
	v_mfma_f32_16x16x16_bf16 v[2:5], v[22:23], v[6:7], v[2:5]
	v_mfma_f32_16x16x16_bf16 v[2:5], v[24:25], v[8:9], v[2:5]
	s_waitcnt vmcnt(2) lgkmcnt(0)
	v_mfma_f32_16x16x16_bf16 v[2:5], v[18:19], v[26:27], v[2:5]
	v_mfma_f32_16x16x16_bf16 v[2:5], v[20:21], v[28:29], v[2:5]
	ds_read_b128 v[6:9], v35 offset:6144
	ds_read_b128 v[18:21], v35 offset:6160
	v_mov_b32_e32 v35, 0
	s_waitcnt vmcnt(1) lgkmcnt(0)
	v_mfma_f32_16x16x16_bf16 v[2:5], v[14:15], v[6:7], v[2:5]
	s_barrier
	v_mfma_f32_16x16x16_bf16 v[2:5], v[16:17], v[8:9], v[2:5]
	s_waitcnt vmcnt(0)
	v_mfma_f32_16x16x16_bf16 v[2:5], v[10:11], v[18:19], v[2:5]
	v_mfma_f32_16x16x16_bf16 v[2:5], v[12:13], v[20:21], v[2:5]
	s_nop 6
	v_bfe_u32 v6, v3, 16, 1
	v_bfe_u32 v7, v2, 16, 1
	;; [unrolled: 1-line block ×4, first 2 shown]
	v_add3_u32 v2, v2, v7, s8
	v_add3_u32 v3, v3, v6, s8
	;; [unrolled: 1-line block ×4, first 2 shown]
	v_perm_b32 v2, v3, v2, s9
	v_perm_b32 v3, v5, v4, s9
	ds_write_b64 v38, v[2:3]
	s_waitcnt lgkmcnt(0)
	s_barrier
	s_and_saveexec_b64 s[8:9], s[4:5]
	s_cbranch_execz .LBB493_17
; %bb.16:
	s_load_dwordx2 s[0:1], s[0:1], 0x68
	s_mul_i32 s2, s7, s2
	s_lshl_b32 s6, s6, 6
	s_mul_hi_u32 s5, s2, s6
	s_mul_i32 s4, s2, s6
	v_lshlrev_b32_e32 v0, 10, v0
	s_lshl_b64 s[4:5], s[4:5], 1
	v_and_b32_e32 v0, 0x1800, v0
	v_lshlrev_b32_e32 v2, 5, v1
	v_and_b32_e32 v3, 16, v53
	s_waitcnt lgkmcnt(0)
	s_add_u32 s4, s0, s4
	v_or3_b32 v0, v0, v2, v3
	s_addc_u32 s5, s1, s5
	s_lshl_b32 s2, s28, 6
	ds_read_b128 v[2:5], v0
	s_lshl_b64 s[0:1], s[2:3], 1
	s_add_u32 s0, s4, s0
	v_or_b32_e32 v0, s29, v1
	s_addc_u32 s1, s5, s1
	v_mad_u64_u32 v[0:1], s[2:3], s6, v0, 0
	v_lshl_add_u64 v[0:1], v[0:1], 1, s[0:1]
	v_lshl_add_u64 v[0:1], v[0:1], 0, v[34:35]
	s_waitcnt lgkmcnt(0)
	global_store_dwordx4 v[0:1], v[2:5], off
.LBB493_17:
	s_endpgm
	.section	.rodata,"a",@progbits
	.p2align	6, 0x0
	.amdhsa_kernel _Z39paged_attention_ll4mi_QKV_mfma16_kernelI14__hip_bfloat16S0_LN4vllm18Fp8KVCacheDataTypeE0ES0_Li16ELi64ELi256ELb0ELi2EEvPKT_PKT0_S8_ifPKiSA_SA_iPKfiiiPfSD_PS3_PT2_iSC_SC_
		.amdhsa_group_segment_fixed_size 8192
		.amdhsa_private_segment_fixed_size 0
		.amdhsa_kernarg_size 400
		.amdhsa_user_sgpr_count 2
		.amdhsa_user_sgpr_dispatch_ptr 0
		.amdhsa_user_sgpr_queue_ptr 0
		.amdhsa_user_sgpr_kernarg_segment_ptr 1
		.amdhsa_user_sgpr_dispatch_id 0
		.amdhsa_user_sgpr_kernarg_preload_length 0
		.amdhsa_user_sgpr_kernarg_preload_offset 0
		.amdhsa_user_sgpr_private_segment_size 0
		.amdhsa_uses_dynamic_stack 0
		.amdhsa_enable_private_segment 0
		.amdhsa_system_sgpr_workgroup_id_x 1
		.amdhsa_system_sgpr_workgroup_id_y 1
		.amdhsa_system_sgpr_workgroup_id_z 1
		.amdhsa_system_sgpr_workgroup_info 0
		.amdhsa_system_vgpr_workitem_id 0
		.amdhsa_next_free_vgpr 69
		.amdhsa_next_free_sgpr 48
		.amdhsa_accum_offset 72
		.amdhsa_reserve_vcc 1
		.amdhsa_float_round_mode_32 0
		.amdhsa_float_round_mode_16_64 0
		.amdhsa_float_denorm_mode_32 3
		.amdhsa_float_denorm_mode_16_64 3
		.amdhsa_dx10_clamp 1
		.amdhsa_ieee_mode 1
		.amdhsa_fp16_overflow 0
		.amdhsa_tg_split 0
		.amdhsa_exception_fp_ieee_invalid_op 0
		.amdhsa_exception_fp_denorm_src 0
		.amdhsa_exception_fp_ieee_div_zero 0
		.amdhsa_exception_fp_ieee_overflow 0
		.amdhsa_exception_fp_ieee_underflow 0
		.amdhsa_exception_fp_ieee_inexact 0
		.amdhsa_exception_int_div_zero 0
	.end_amdhsa_kernel
	.section	.text._Z39paged_attention_ll4mi_QKV_mfma16_kernelI14__hip_bfloat16S0_LN4vllm18Fp8KVCacheDataTypeE0ES0_Li16ELi64ELi256ELb0ELi2EEvPKT_PKT0_S8_ifPKiSA_SA_iPKfiiiPfSD_PS3_PT2_iSC_SC_,"axG",@progbits,_Z39paged_attention_ll4mi_QKV_mfma16_kernelI14__hip_bfloat16S0_LN4vllm18Fp8KVCacheDataTypeE0ES0_Li16ELi64ELi256ELb0ELi2EEvPKT_PKT0_S8_ifPKiSA_SA_iPKfiiiPfSD_PS3_PT2_iSC_SC_,comdat
.Lfunc_end493:
	.size	_Z39paged_attention_ll4mi_QKV_mfma16_kernelI14__hip_bfloat16S0_LN4vllm18Fp8KVCacheDataTypeE0ES0_Li16ELi64ELi256ELb0ELi2EEvPKT_PKT0_S8_ifPKiSA_SA_iPKfiiiPfSD_PS3_PT2_iSC_SC_, .Lfunc_end493-_Z39paged_attention_ll4mi_QKV_mfma16_kernelI14__hip_bfloat16S0_LN4vllm18Fp8KVCacheDataTypeE0ES0_Li16ELi64ELi256ELb0ELi2EEvPKT_PKT0_S8_ifPKiSA_SA_iPKfiiiPfSD_PS3_PT2_iSC_SC_
                                        ; -- End function
	.section	.AMDGPU.csdata,"",@progbits
; Kernel info:
; codeLenInByte = 3948
; NumSgprs: 54
; NumVgprs: 69
; NumAgprs: 0
; TotalNumVgprs: 69
; ScratchSize: 0
; MemoryBound: 0
; FloatMode: 240
; IeeeMode: 1
; LDSByteSize: 8192 bytes/workgroup (compile time only)
; SGPRBlocks: 6
; VGPRBlocks: 8
; NumSGPRsForWavesPerEU: 54
; NumVGPRsForWavesPerEU: 69
; AccumOffset: 72
; Occupancy: 7
; WaveLimiterHint : 1
; COMPUTE_PGM_RSRC2:SCRATCH_EN: 0
; COMPUTE_PGM_RSRC2:USER_SGPR: 2
; COMPUTE_PGM_RSRC2:TRAP_HANDLER: 0
; COMPUTE_PGM_RSRC2:TGID_X_EN: 1
; COMPUTE_PGM_RSRC2:TGID_Y_EN: 1
; COMPUTE_PGM_RSRC2:TGID_Z_EN: 1
; COMPUTE_PGM_RSRC2:TIDIG_COMP_CNT: 0
; COMPUTE_PGM_RSRC3_GFX90A:ACCUM_OFFSET: 17
; COMPUTE_PGM_RSRC3_GFX90A:TG_SPLIT: 0
	.section	.text._Z39paged_attention_ll4mi_QKV_mfma16_kernelI14__hip_bfloat16S0_LN4vllm18Fp8KVCacheDataTypeE0ES0_Li16ELi64ELi256ELb0ELi3EEvPKT_PKT0_S8_ifPKiSA_SA_iPKfiiiPfSD_PS3_PT2_iSC_SC_,"axG",@progbits,_Z39paged_attention_ll4mi_QKV_mfma16_kernelI14__hip_bfloat16S0_LN4vllm18Fp8KVCacheDataTypeE0ES0_Li16ELi64ELi256ELb0ELi3EEvPKT_PKT0_S8_ifPKiSA_SA_iPKfiiiPfSD_PS3_PT2_iSC_SC_,comdat
	.protected	_Z39paged_attention_ll4mi_QKV_mfma16_kernelI14__hip_bfloat16S0_LN4vllm18Fp8KVCacheDataTypeE0ES0_Li16ELi64ELi256ELb0ELi3EEvPKT_PKT0_S8_ifPKiSA_SA_iPKfiiiPfSD_PS3_PT2_iSC_SC_ ; -- Begin function _Z39paged_attention_ll4mi_QKV_mfma16_kernelI14__hip_bfloat16S0_LN4vllm18Fp8KVCacheDataTypeE0ES0_Li16ELi64ELi256ELb0ELi3EEvPKT_PKT0_S8_ifPKiSA_SA_iPKfiiiPfSD_PS3_PT2_iSC_SC_
	.globl	_Z39paged_attention_ll4mi_QKV_mfma16_kernelI14__hip_bfloat16S0_LN4vllm18Fp8KVCacheDataTypeE0ES0_Li16ELi64ELi256ELb0ELi3EEvPKT_PKT0_S8_ifPKiSA_SA_iPKfiiiPfSD_PS3_PT2_iSC_SC_
	.p2align	8
	.type	_Z39paged_attention_ll4mi_QKV_mfma16_kernelI14__hip_bfloat16S0_LN4vllm18Fp8KVCacheDataTypeE0ES0_Li16ELi64ELi256ELb0ELi3EEvPKT_PKT0_S8_ifPKiSA_SA_iPKfiiiPfSD_PS3_PT2_iSC_SC_,@function
_Z39paged_attention_ll4mi_QKV_mfma16_kernelI14__hip_bfloat16S0_LN4vllm18Fp8KVCacheDataTypeE0ES0_Li16ELi64ELi256ELb0ELi3EEvPKT_PKT0_S8_ifPKiSA_SA_iPKfiiiPfSD_PS3_PT2_iSC_SC_: ; @_Z39paged_attention_ll4mi_QKV_mfma16_kernelI14__hip_bfloat16S0_LN4vllm18Fp8KVCacheDataTypeE0ES0_Li16ELi64ELi256ELb0ELi3EEvPKT_PKT0_S8_ifPKiSA_SA_iPKfiiiPfSD_PS3_PT2_iSC_SC_
; %bb.0:
	s_load_dwordx2 s[12:13], s[0:1], 0x30
	s_mov_b32 s28, s3
	s_mov_b64 s[6:7], 0
	s_waitcnt lgkmcnt(0)
	s_cmp_lg_u64 s[12:13], 0
	s_cselect_b64 s[14:15], -1, 0
	s_and_b64 vcc, exec, s[14:15]
	s_cbranch_vccz .LBB494_7
; %bb.1:
	s_add_i32 s8, s2, 1
	s_mov_b32 s9, 0
	s_lshl_b64 s[10:11], s[8:9], 2
	s_add_u32 s10, s12, s10
	s_mov_b32 s3, s9
	s_addc_u32 s11, s13, s11
	s_lshl_b64 s[8:9], s[2:3], 2
	s_add_u32 s8, s12, s8
	s_addc_u32 s9, s13, s9
	s_load_dword s5, s[10:11], 0x0
	s_load_dword s16, s[8:9], 0x0
	s_waitcnt lgkmcnt(0)
	s_sub_i32 s5, s5, s16
	s_cmp_eq_u32 s5, 1
	s_cselect_b64 s[8:9], -1, 0
	s_andn2_b64 vcc, exec, s[6:7]
	s_cbranch_vccnz .LBB494_3
.LBB494_2:
	s_mov_b32 s3, 0
	s_mov_b64 s[8:9], -1
.LBB494_3:
	s_andn2_b64 vcc, exec, s[8:9]
	s_cbranch_vccnz .LBB494_17
; %bb.4:
	s_load_dwordx2 s[6:7], s[0:1], 0x28
	s_lshl_b64 s[16:17], s[2:3], 2
	s_waitcnt lgkmcnt(0)
	s_add_u32 s6, s6, s16
	s_addc_u32 s7, s7, s17
	s_load_dword s33, s[6:7], 0x0
	s_lshl_b32 s18, s28, 8
	s_waitcnt lgkmcnt(0)
	s_cmp_ge_i32 s18, s33
	s_cbranch_scc1 .LBB494_17
; %bb.5:
	s_load_dwordx2 s[6:7], s[0:1], 0x20
	s_load_dword s5, s[0:1], 0x38
	s_add_i32 s8, s33, 15
	s_ashr_i32 s9, s8, 31
	v_and_b32_e32 v1, 0xcf, v0
	s_lshr_b32 s9, s9, 28
	v_add_u32_e32 v1, s18, v1
	s_add_i32 s8, s8, s9
	v_ashrrev_i32_e32 v2, 31, v1
	s_ashr_i32 s19, s8, 4
	v_lshrrev_b32_e32 v10, 28, v2
	s_add_i32 s19, s19, -1
	s_waitcnt lgkmcnt(0)
	s_mul_i32 s8, s2, s5
	s_mov_b32 s9, 0
	v_add_u32_e32 v2, v1, v10
	s_lshl_b64 s[8:9], s[8:9], 2
	v_ashrrev_i32_e32 v2, 4, v2
	v_mov_b32_e32 v11, s19
	v_cmp_gt_i32_e32 vcc, s33, v1
	s_add_u32 s6, s6, s8
	s_addc_u32 s7, s7, s9
	v_cndmask_b32_e32 v2, v11, v2, vcc
	v_ashrrev_i32_e32 v3, 31, v2
	v_lshl_add_u64 v[4:5], v[2:3], 2, s[6:7]
	v_or_b32_e32 v2, 16, v1
	v_add_u32_e32 v3, v2, v10
	v_ashrrev_i32_e32 v3, 4, v3
	v_cmp_gt_i32_e32 vcc, s33, v2
	s_load_dwordx4 s[8:11], s[0:1], 0x8
	s_nop 0
	v_cndmask_b32_e32 v2, v11, v3, vcc
	v_ashrrev_i32_e32 v3, 31, v2
	v_lshl_add_u64 v[6:7], v[2:3], 2, s[6:7]
	v_or_b32_e32 v2, 32, v1
	v_add_u32_e32 v3, v2, v10
	v_ashrrev_i32_e32 v3, 4, v3
	v_cmp_gt_i32_e32 vcc, s33, v2
	v_or_b32_e32 v1, 48, v1
	s_nop 0
	v_cndmask_b32_e32 v2, v11, v3, vcc
	v_ashrrev_i32_e32 v3, 31, v2
	v_lshl_add_u64 v[8:9], v[2:3], 2, s[6:7]
	v_add_u32_e32 v2, v1, v10
	v_ashrrev_i32_e32 v2, 4, v2
	v_cmp_gt_i32_e32 vcc, s33, v1
	s_nop 1
	v_cndmask_b32_e32 v2, v11, v2, vcc
	v_ashrrev_i32_e32 v3, 31, v2
	v_lshl_add_u64 v[12:13], v[2:3], 2, s[6:7]
	global_load_dword v3, v[4:5], off
	global_load_dword v2, v[6:7], off
	;; [unrolled: 1-line block ×4, first 2 shown]
	s_andn2_b64 vcc, exec, s[14:15]
	s_cbranch_vccnz .LBB494_8
; %bb.6:
	s_add_u32 s12, s12, s16
	s_addc_u32 s13, s13, s17
	s_load_dword s5, s[12:13], 0x0
	s_branch .LBB494_9
.LBB494_7:
	s_mov_b64 s[8:9], 0
	s_branch .LBB494_2
.LBB494_8:
	s_mov_b32 s5, s2
.LBB494_9:
	s_load_dwordx4 s[44:47], s[0:1], 0x48
	v_lshrrev_b32_e32 v37, 6, v0
	v_bfe_u32 v54, v0, 4, 2
	v_lshl_or_b32 v4, v37, 2, v54
	v_and_b32_e32 v36, 15, v0
	s_mul_i32 s42, s4, 3
	v_lshlrev_b32_e32 v5, 3, v36
	v_cmp_gt_u32_e32 vcc, 3, v4
	v_cmp_gt_u32_e64 s[30:31], 8, v36
	v_and_b32_e32 v56, 63, v0
	v_add_u32_e32 v1, s42, v54
	s_and_b64 s[14:15], s[30:31], vcc
	v_lshlrev_b32_e32 v34, 1, v5
	s_and_saveexec_b64 s[12:13], s[14:15]
	s_cbranch_execz .LBB494_11
; %bb.10:
	s_load_dwordx2 s[14:15], s[0:1], 0x0
	s_waitcnt lgkmcnt(0)
	s_ashr_i32 s16, s44, 31
	s_mul_hi_u32 s17, s5, s44
	s_mul_i32 s16, s5, s16
	s_add_i32 s17, s17, s16
	s_mul_i32 s16, s5, s44
	s_lshl_b64 s[16:17], s[16:17], 1
	s_add_u32 s14, s14, s16
	v_lshlrev_b32_e32 v6, 6, v1
	s_addc_u32 s15, s15, s17
	v_ashrrev_i32_e32 v7, 31, v6
	v_lshl_add_u64 v[6:7], v[6:7], 1, s[14:15]
	v_mov_b32_e32 v35, 0
	v_lshl_add_u64 v[6:7], v[6:7], 0, v[34:35]
	global_load_dwordx4 v[6:9], v[6:7], off
	v_and_b32_e32 v5, 3, v0
	v_lshlrev_b32_e32 v11, 9, v36
	v_lshlrev_b32_e32 v4, 5, v4
	;; [unrolled: 1-line block ×3, first 2 shown]
	v_and_b32_e32 v11, 0x1800, v11
	v_or3_b32 v4, v11, v5, v4
	s_waitcnt vmcnt(0)
	ds_write_b128 v4, v[6:9]
.LBB494_11:
	s_or_b64 exec, exec, s[12:13]
	s_waitcnt lgkmcnt(0)
	s_mul_i32 s4, s4, s46
	s_mov_b32 s5, 0
	s_lshl_b64 s[4:5], s[4:5], 1
	s_add_u32 s8, s8, s4
	v_lshlrev_b32_e32 v55, 4, v0
	s_addc_u32 s9, s9, s5
	v_and_b32_e32 v30, 0xf0, v55
	v_mov_b32_e32 v31, 0
	v_lshl_add_u64 v[18:19], s[8:9], 0, v[30:31]
	s_waitcnt vmcnt(3)
	v_mad_i64_i32 v[4:5], s[8:9], v3, s45, 0
	v_lshl_add_u64 v[4:5], v[4:5], 1, v[18:19]
	v_and_b32_e32 v30, 0x300, v55
	s_waitcnt vmcnt(2)
	v_mad_i64_i32 v[2:3], s[8:9], v2, s45, 0
	v_lshl_add_u64 v[14:15], v[4:5], 0, v[30:31]
	v_lshl_add_u64 v[2:3], v[2:3], 1, v[18:19]
	s_load_dword s29, s[0:1], 0x98
	s_load_dword s12, s[0:1], 0x1c
	s_waitcnt lgkmcnt(0)
	s_barrier
	global_load_dwordx4 v[6:9], v[14:15], off
	global_load_dwordx4 v[26:29], v[14:15], off offset:1024
	v_lshl_add_u64 v[32:33], v[2:3], 0, v[30:31]
	global_load_dwordx4 v[2:5], v[32:33], off
	global_load_dwordx4 v[46:49], v[32:33], off offset:1024
	s_waitcnt vmcnt(5)
	v_mad_i64_i32 v[10:11], s[8:9], v10, s45, 0
	v_lshl_add_u64 v[10:11], v[10:11], 1, v[18:19]
	v_lshl_add_u64 v[38:39], v[10:11], 0, v[30:31]
	global_load_dwordx4 v[10:13], v[38:39], off
	global_load_dwordx4 v[58:61], v[38:39], off offset:1024
	s_waitcnt vmcnt(6)
	v_mad_i64_i32 v[16:17], s[8:9], v16, s45, 0
	v_lshl_add_u64 v[16:17], v[16:17], 1, v[18:19]
	v_lshl_add_u64 v[40:41], v[16:17], 0, v[30:31]
	global_load_dwordx4 v[18:21], v[40:41], off
	v_mul_lo_u16_e32 v16, 0x56, v36
	v_mov_b32_e32 v17, 3
	v_mul_lo_u16_sdwa v16, v16, v17 dst_sel:DWORD dst_unused:UNUSED_PAD src0_sel:BYTE_1 src1_sel:DWORD
	v_mov_b32_e32 v22, 5
	v_sub_u16_e32 v16, v36, v16
	v_lshlrev_b32_sdwa v16, v22, v16 dst_sel:DWORD dst_unused:UNUSED_PAD src0_sel:DWORD src1_sel:BYTE_0
	v_lshl_add_u32 v16, v54, 9, v16
	ds_read_b128 v[22:25], v16
	global_load_dwordx4 v[38:41], v[40:41], off offset:1024
	v_and_or_b32 v30, v0, 48, s18
	v_mov_b32_e32 v57, s19
	v_cmp_gt_i32_e32 vcc, s33, v30
	ds_read_b128 v[14:17], v16 offset:2048
	v_lshlrev_b32_e32 v35, 5, v36
	s_add_u32 s4, s10, s4
	s_addc_u32 s5, s11, s5
	s_mov_b32 s43, 0xff7fffff
	s_waitcnt vmcnt(7) lgkmcnt(1)
	v_mfma_f32_16x16x16_bf16 v[42:45], v[6:7], v[22:23], 0
	v_ashrrev_i32_e32 v6, 4, v30
	v_or_b32_e32 v7, 64, v30
	s_waitcnt vmcnt(5)
	v_mfma_f32_16x16x16_bf16 v[50:53], v[2:3], v[22:23], 0
	v_cndmask_b32_e32 v2, v57, v6, vcc
	v_ashrrev_i32_e32 v3, 31, v2
	v_ashrrev_i32_e32 v6, 4, v7
	v_cmp_gt_i32_e32 vcc, s33, v7
	v_lshl_add_u64 v[2:3], v[2:3], 2, s[6:7]
	s_waitcnt vmcnt(3)
	v_mfma_f32_16x16x16_bf16 v[62:65], v[10:11], v[22:23], 0
	v_cndmask_b32_e32 v10, v57, v6, vcc
	v_ashrrev_i32_e32 v11, 31, v10
	v_lshl_add_u64 v[10:11], v[10:11], 2, s[6:7]
	v_mfma_f32_16x16x16_bf16 v[6:9], v[8:9], v[24:25], v[42:45]
	s_nop 2
	global_load_dword v42, v[2:3], off
	global_load_dword v43, v[10:11], off
	s_waitcnt vmcnt(3)
	v_mfma_f32_16x16x16_bf16 v[66:69], v[18:19], v[22:23], 0
	v_or_b32_e32 v22, 0x80, v30
	v_or_b32_e32 v23, 0xc0, v30
	v_ashrrev_i32_e32 v30, 4, v22
	v_cmp_gt_i32_e32 vcc, s33, v22
	v_ashrrev_i32_e32 v32, 4, v23
	v_mfma_f32_16x16x16_bf16 v[2:5], v[4:5], v[24:25], v[50:53]
	v_cndmask_b32_e32 v22, v57, v30, vcc
	v_cmp_gt_i32_e32 vcc, s33, v23
	v_ashrrev_i32_e32 v23, 31, v22
	v_mfma_f32_16x16x16_bf16 v[10:13], v[12:13], v[24:25], v[62:65]
	v_lshl_or_b32 v30, v37, 9, v35
	v_mfma_f32_16x16x16_bf16 v[18:21], v[20:21], v[24:25], v[66:69]
	v_cndmask_b32_e32 v24, v57, v32, vcc
	v_ashrrev_i32_e32 v25, 31, v24
	v_lshl_add_u64 v[32:33], v[24:25], 2, s[6:7]
	s_waitcnt lgkmcnt(0)
	v_mfma_f32_16x16x16_bf16 v[6:9], v[26:27], v[14:15], v[6:9]
	v_lshl_add_u64 v[26:27], v[22:23], 2, s[6:7]
	global_load_dword v57, v[26:27], off
	global_load_dword v62, v[32:33], off
	v_mfma_f32_16x16x16_bf16 v[2:5], v[46:47], v[14:15], v[2:5]
	v_mfma_f32_16x16x16_bf16 v[22:25], v[58:59], v[14:15], v[10:13]
	s_waitcnt vmcnt(4)
	v_mfma_f32_16x16x16_bf16 v[18:21], v[38:39], v[14:15], v[18:21]
	s_nop 0
	v_lshl_add_u64 v[10:11], s[4:5], 0, v[30:31]
	s_waitcnt vmcnt(3)
	v_mad_i64_i32 v[26:27], s[4:5], v42, s45, 0
	v_mfma_f32_16x16x16_bf16 v[12:15], v[28:29], v[16:17], v[6:9]
	v_lshl_add_u64 v[30:31], v[26:27], 1, v[10:11]
	s_waitcnt vmcnt(2)
	v_mad_i64_i32 v[32:33], s[4:5], v43, s45, 0
	v_mfma_f32_16x16x16_bf16 v[26:29], v[48:49], v[16:17], v[2:5]
	v_lshl_add_u64 v[58:59], v[32:33], 1, v[10:11]
	s_nop 1
	v_pk_mul_f32 v[50:51], s[12:13], v[14:15] op_sel_hi:[0,1]
	v_pk_mul_f32 v[12:13], s[12:13], v[12:13] op_sel_hi:[0,1]
	v_mfma_f32_16x16x16_bf16 v[22:25], v[60:61], v[16:17], v[22:25]
	global_load_dwordx4 v[6:9], v[30:31], off
	global_load_dwordx4 v[2:5], v[30:31], off offset:16
	v_pk_mul_f32 v[42:43], s[12:13], v[26:27] op_sel_hi:[0,1]
	v_pk_mul_f32 v[52:53], s[12:13], v[28:29] op_sel_hi:[0,1]
	v_mfma_f32_16x16x16_bf16 v[14:17], v[40:41], v[16:17], v[18:21]
	s_nop 1
	v_pk_mul_f32 v[46:47], s[12:13], v[22:23] op_sel_hi:[0,1]
	v_pk_mul_f32 v[48:49], s[12:13], v[24:25] op_sel_hi:[0,1]
	global_load_dwordx4 v[30:33], v[58:59], off
	global_load_dwordx4 v[26:29], v[58:59], off offset:16
	s_nop 0
	v_pk_mul_f32 v[44:45], s[12:13], v[14:15] op_sel_hi:[0,1]
	v_and_b32_e32 v14, 0xc0, v0
	v_add_u32_e32 v14, s18, v14
	v_lshl_or_b32 v14, v54, 2, v14
	v_pk_mul_f32 v[38:39], s[12:13], v[16:17] op_sel_hi:[0,1]
	v_or_b32_e32 v17, 1, v14
	v_mov_b32_e32 v15, 0xff7fffff
	v_cmp_gt_i32_e64 s[4:5], s33, v14
	v_cmp_gt_i32_e64 s[34:35], s33, v17
	v_or_b32_e32 v18, 3, v14
	v_cndmask_b32_e64 v16, v15, v12, s[4:5]
	v_cndmask_b32_e64 v17, v15, v13, s[34:35]
	v_max3_f32 v16, v16, s43, v17
	v_or_b32_e32 v17, 2, v14
	v_cmp_gt_i32_e64 s[36:37], s33, v17
	v_cmp_gt_i32_e64 s[38:39], s33, v18
	s_nop 0
	v_cndmask_b32_e64 v17, v15, v50, s[36:37]
	v_cndmask_b32_e64 v18, v15, v51, s[38:39]
	v_max3_f32 v16, v16, v17, v18
	v_or_b32_e32 v17, 16, v14
	v_or_b32_e32 v18, 17, v14
	v_cmp_gt_i32_e64 s[24:25], s33, v17
	v_cmp_gt_i32_e64 s[26:27], s33, v18
	s_nop 0
	v_cndmask_b32_e64 v17, v15, v42, s[24:25]
	v_cndmask_b32_e64 v18, v15, v43, s[26:27]
	v_max3_f32 v16, v16, v17, v18
	v_or_b32_e32 v17, 18, v14
	;; [unrolled: 8-line block ×6, first 2 shown]
	v_or_b32_e32 v14, 51, v14
	v_cmp_gt_i32_e32 vcc, s33, v17
	v_cmp_gt_i32_e64 s[6:7], s33, v14
	s_nop 0
	v_cndmask_b32_e32 v17, v15, v38, vcc
	v_cndmask_b32_e64 v14, v15, v39, s[6:7]
	v_max3_f32 v16, v16, v17, v14
	v_mbcnt_lo_u32_b32 v14, -1, 0
	v_mbcnt_hi_u32_b32 v17, -1, v14
	v_and_b32_e32 v14, 64, v17
	v_add_u32_e32 v18, 64, v14
	v_xor_b32_e32 v14, 32, v17
	v_cmp_lt_i32_e64 s[40:41], v14, v18
	s_nop 1
	v_cndmask_b32_e64 v14, v17, v14, s[40:41]
	v_lshlrev_b32_e32 v60, 2, v14
	ds_bpermute_b32 v19, v60, v16
	s_waitcnt vmcnt(5)
	v_mad_i64_i32 v[14:15], s[40:41], v57, s45, 0
	v_lshl_add_u64 v[14:15], v[14:15], 1, v[10:11]
	s_waitcnt lgkmcnt(0)
	v_max_f32_e32 v19, v19, v19
	v_max_f32_e32 v16, v16, v19
	v_xor_b32_e32 v19, 16, v17
	v_cmp_lt_i32_e64 s[40:41], v19, v18
	s_nop 1
	v_cndmask_b32_e64 v17, v17, v19, s[40:41]
	v_lshlrev_b32_e32 v58, 2, v17
	ds_bpermute_b32 v17, v58, v16
	global_load_dwordx4 v[22:25], v[14:15], off
	global_load_dwordx4 v[18:21], v[14:15], off offset:16
	s_waitcnt vmcnt(6)
	v_mad_i64_i32 v[14:15], s[40:41], v62, s45, 0
	v_lshl_add_u64 v[10:11], v[14:15], 1, v[10:11]
	s_waitcnt lgkmcnt(0)
	v_max_f32_e32 v14, v17, v17
	v_max_f32_e32 v57, v16, v14
	v_sub_f32_e32 v12, v12, v57
	v_mul_f32_e32 v12, 0x3fb8aa3b, v12
	v_exp_f32_e32 v40, v12
	v_sub_f32_e32 v12, v13, v57
	v_mul_f32_e32 v12, 0x3fb8aa3b, v12
	v_exp_f32_e32 v41, v12
	global_load_dwordx4 v[14:17], v[10:11], off
	s_nop 0
	global_load_dwordx4 v[10:13], v[10:11], off offset:16
	v_sub_f32_e32 v50, v50, v57
	v_mul_f32_e32 v50, 0x3fb8aa3b, v50
	v_sub_f32_e32 v51, v51, v57
	v_exp_f32_e32 v50, v50
	v_mul_f32_e32 v51, 0x3fb8aa3b, v51
	v_sub_f32_e32 v42, v42, v57
	v_exp_f32_e32 v51, v51
	v_mul_f32_e32 v42, 0x3fb8aa3b, v42
	v_sub_f32_e32 v43, v43, v57
	v_cndmask_b32_e64 v40, 0, v40, s[4:5]
	v_exp_f32_e32 v42, v42
	v_mul_f32_e32 v43, 0x3fb8aa3b, v43
	v_sub_f32_e32 v52, v52, v57
	v_add_f32_e32 v59, 0, v40
	v_cndmask_b32_e64 v41, 0, v41, s[34:35]
	v_exp_f32_e32 v43, v43
	v_mul_f32_e32 v52, 0x3fb8aa3b, v52
	v_sub_f32_e32 v53, v53, v57
	v_add_f32_e32 v59, v59, v41
	;; [unrolled: 5-line block ×10, first 2 shown]
	v_cndmask_b32_e64 v48, 0, v48, s[12:13]
	v_exp_f32_e32 v38, v38
	v_mul_f32_e32 v39, 0x3fb8aa3b, v39
	v_add_f32_e32 v59, v59, v48
	v_cndmask_b32_e64 v49, 0, v49, s[14:15]
	v_exp_f32_e32 v39, v39
	v_add_f32_e32 v59, v59, v49
	v_cndmask_b32_e64 v44, 0, v44, s[8:9]
	v_add_f32_e32 v59, v59, v44
	v_cndmask_b32_e64 v45, 0, v45, s[10:11]
	v_add_f32_e32 v59, v59, v45
	v_cndmask_b32_e32 v38, 0, v38, vcc
	v_add_f32_e32 v59, v59, v38
	v_cndmask_b32_e64 v39, 0, v39, s[6:7]
	v_add_f32_e32 v59, v59, v39
	ds_bpermute_b32 v60, v60, v59
	v_cmp_gt_u32_e32 vcc, 16, v56
	s_waitcnt lgkmcnt(0)
	s_barrier
	v_add_f32_e32 v59, v59, v60
	ds_bpermute_b32 v60, v58, v59
	v_lshlrev_b32_e32 v58, 2, v36
	s_and_saveexec_b64 s[4:5], vcc
	s_cbranch_execz .LBB494_13
; %bb.12:
	s_waitcnt lgkmcnt(0)
	v_add_f32_e32 v56, v59, v60
	v_lshl_or_b32 v59, v37, 6, v58
	ds_write2st64_b32 v59, v57, v56 offset1:1
.LBB494_13:
	s_or_b64 exec, exec, s[4:5]
	s_load_dword s6, s[0:1], 0x94
	s_waitcnt lgkmcnt(0)
	s_barrier
	ds_read2_b32 v[60:61], v58 offset1:16
	ds_read2_b32 v[62:63], v58 offset0:32 offset1:48
	ds_read2_b32 v[64:65], v58 offset0:64 offset1:80
	;; [unrolled: 1-line block ×3, first 2 shown]
	s_movk_i32 s8, 0x7fff
	s_waitcnt lgkmcnt(3)
	v_max3_f32 v56, v60, s43, v61
	s_waitcnt lgkmcnt(2)
	v_max3_f32 v56, v56, v62, v63
	v_sub_f32_e32 v57, v60, v56
	v_mul_f32_e32 v57, 0x3fb8aa3b, v57
	v_exp_f32_e32 v60, v57
	v_sub_f32_e32 v57, v61, v56
	v_mul_f32_e32 v57, 0x3fb8aa3b, v57
	v_exp_f32_e32 v61, v57
	;; [unrolled: 3-line block ×4, first 2 shown]
	s_waitcnt lgkmcnt(1)
	v_fma_f32 v57, v60, v64, 0
	v_fmac_f32_e32 v57, v61, v65
	s_waitcnt lgkmcnt(0)
	v_fmac_f32_e32 v57, v62, v58
	v_fmac_f32_e32 v57, v63, v59
	v_add_f32_e32 v58, 0x358637bd, v57
	v_div_scale_f32 v59, s[4:5], v58, v58, 1.0
	v_rcp_f32_e32 v64, v59
	s_mov_b32 s9, 0x7060302
	s_barrier
	v_fma_f32 v65, -v59, v64, 1.0
	v_fmac_f32_e32 v64, v65, v64
	v_div_scale_f32 v65, vcc, 1.0, v58, 1.0
	v_mul_f32_e32 v66, v65, v64
	v_fma_f32 v67, -v59, v66, v65
	v_fmac_f32_e32 v66, v67, v64
	v_fma_f32 v59, -v59, v66, v65
	v_div_fmas_f32 v59, v59, v64, v66
	v_cmp_eq_u32_e32 vcc, 1, v37
	v_div_fixup_f32 v58, v59, v58, 1.0
	s_nop 0
	v_cndmask_b32_e32 v59, v60, v61, vcc
	v_cmp_eq_u32_e32 vcc, 2, v37
	s_mul_i32 s7, s29, 3
	s_nop 0
	v_cndmask_b32_e32 v59, v59, v62, vcc
	v_cmp_eq_u32_e32 vcc, 3, v37
	v_lshlrev_b32_e32 v37, 11, v37
	s_nop 0
	v_cndmask_b32_e32 v59, v59, v63, vcc
	v_mul_f32_e32 v58, v59, v58
	v_pk_mul_f32 v[40:41], v[58:59], v[40:41] op_sel_hi:[0,1]
	v_pk_mul_f32 v[50:51], v[58:59], v[50:51] op_sel_hi:[0,1]
	v_bfe_u32 v59, v41, 16, 1
	v_bfe_u32 v60, v40, 16, 1
	v_add3_u32 v40, v40, v60, s8
	v_add3_u32 v41, v41, v59, s8
	v_perm_b32 v60, v41, v40, s9
	v_bfe_u32 v40, v51, 16, 1
	v_bfe_u32 v41, v50, 16, 1
	v_add3_u32 v41, v50, v41, s8
	v_add3_u32 v40, v51, v40, s8
	v_perm_b32 v61, v40, v41, s9
	v_lshlrev_b32_e32 v40, 3, v54
	v_pk_mul_f32 v[42:43], v[58:59], v[42:43] op_sel_hi:[0,1]
	v_or3_b32 v40, v37, v35, v40
	v_bfe_u32 v37, v43, 16, 1
	v_bfe_u32 v41, v42, 16, 1
	v_pk_mul_f32 v[50:51], v[58:59], v[52:53] op_sel_hi:[0,1]
	v_add3_u32 v41, v42, v41, s8
	v_add3_u32 v37, v43, v37, s8
	v_perm_b32 v42, v37, v41, s9
	v_bfe_u32 v37, v51, 16, 1
	v_bfe_u32 v41, v50, 16, 1
	v_add3_u32 v41, v50, v41, s8
	v_add3_u32 v37, v51, v37, s8
	v_pk_mul_f32 v[46:47], v[58:59], v[46:47] op_sel_hi:[0,1]
	v_perm_b32 v43, v37, v41, s9
	v_bfe_u32 v37, v47, 16, 1
	v_bfe_u32 v41, v46, 16, 1
	ds_write2st64_b64 v40, v[60:61], v[42:43] offset1:1
	v_pk_mul_f32 v[42:43], v[58:59], v[48:49] op_sel_hi:[0,1]
	v_add3_u32 v41, v46, v41, s8
	v_add3_u32 v37, v47, v37, s8
	v_perm_b32 v46, v37, v41, s9
	v_bfe_u32 v37, v43, 16, 1
	v_bfe_u32 v41, v42, 16, 1
	v_add3_u32 v41, v42, v41, s8
	v_add3_u32 v37, v43, v37, s8
	v_pk_mul_f32 v[42:43], v[58:59], v[44:45] op_sel_hi:[0,1]
	v_perm_b32 v47, v37, v41, s9
	v_bfe_u32 v37, v43, 16, 1
	v_bfe_u32 v41, v42, 16, 1
	v_pk_mul_f32 v[38:39], v[58:59], v[38:39] op_sel_hi:[0,1]
	v_add3_u32 v41, v42, v41, s8
	v_add3_u32 v37, v43, v37, s8
	v_perm_b32 v42, v37, v41, s9
	v_bfe_u32 v37, v39, 16, 1
	v_bfe_u32 v41, v38, 16, 1
	v_add3_u32 v38, v38, v41, s8
	v_add3_u32 v37, v39, v37, s8
	v_perm_b32 v43, v37, v38, s9
	v_cmp_gt_u32_e32 vcc, 3, v0
	ds_write2st64_b64 v40, v[46:47], v[42:43] offset0:2 offset1:3
	s_and_saveexec_b64 s[4:5], vcc
	s_cbranch_execz .LBB494_15
; %bb.14:
	s_mov_b32 s43, 0
	v_mov_b32_e32 v37, 0
	v_lshl_add_u64 v[38:39], s[42:43], 0, v[36:37]
	v_mov_b32_e32 v36, s7
	v_mad_u64_u32 v[38:39], s[10:11], s2, v36, v[38:39]
	v_mov_b32_e32 v36, s28
	s_load_dwordx4 s[12:15], s[0:1], 0x58
	s_mul_i32 s3, s3, s7
	v_mad_u64_u32 v[36:37], s[10:11], v38, s6, v[36:37]
	v_add_u32_e32 v39, s3, v39
	v_mov_b32_e32 v38, v37
	v_mad_u64_u32 v[38:39], s[10:11], v39, s6, v[38:39]
	v_mov_b32_e32 v37, v38
	v_lshlrev_b64 v[36:37], 2, v[36:37]
	s_waitcnt lgkmcnt(0)
	v_lshl_add_u64 v[38:39], s[14:15], 0, v[36:37]
	v_lshl_add_u64 v[36:37], s[12:13], 0, v[36:37]
	global_store_dword v[38:39], v56, off
	global_store_dword v[36:37], v57, off
.LBB494_15:
	s_or_b64 exec, exec, s[4:5]
	v_lshl_or_b32 v35, v54, 9, v35
	s_waitcnt lgkmcnt(0)
	s_barrier
	ds_read_b128 v[36:39], v35
	ds_read_b128 v[42:45], v35 offset:16
	s_waitcnt vmcnt(7) lgkmcnt(1)
	v_mfma_f32_16x16x16_bf16 v[46:49], v[6:7], v[36:37], 0
	v_cmp_gt_u32_e32 vcc, 64, v0
	v_cmp_ne_u32_e64 s[4:5], 3, v54
	s_and_b64 s[4:5], s[4:5], vcc
	v_mfma_f32_16x16x16_bf16 v[6:9], v[8:9], v[38:39], v[46:49]
	s_mov_b32 s3, 0
	s_and_b64 s[4:5], s[4:5], s[30:31]
	s_waitcnt vmcnt(6) lgkmcnt(0)
	v_mfma_f32_16x16x16_bf16 v[6:9], v[2:3], v[42:43], v[6:9]
	v_mfma_f32_16x16x16_bf16 v[2:5], v[4:5], v[44:45], v[6:9]
	s_nop 5
	ds_read_b128 v[6:9], v35 offset:2048
	ds_read_b128 v[36:39], v35 offset:2064
	s_waitcnt vmcnt(5) lgkmcnt(1)
	v_mfma_f32_16x16x16_bf16 v[2:5], v[30:31], v[6:7], v[2:5]
	v_mfma_f32_16x16x16_bf16 v[2:5], v[32:33], v[8:9], v[2:5]
	s_waitcnt vmcnt(4) lgkmcnt(0)
	v_mfma_f32_16x16x16_bf16 v[2:5], v[26:27], v[36:37], v[2:5]
	v_mfma_f32_16x16x16_bf16 v[2:5], v[28:29], v[38:39], v[2:5]
	ds_read_b128 v[6:9], v35 offset:4096
	ds_read_b128 v[26:29], v35 offset:4112
	s_waitcnt vmcnt(3) lgkmcnt(1)
	v_mfma_f32_16x16x16_bf16 v[2:5], v[22:23], v[6:7], v[2:5]
	v_mfma_f32_16x16x16_bf16 v[2:5], v[24:25], v[8:9], v[2:5]
	s_waitcnt vmcnt(2) lgkmcnt(0)
	v_mfma_f32_16x16x16_bf16 v[2:5], v[18:19], v[26:27], v[2:5]
	v_mfma_f32_16x16x16_bf16 v[2:5], v[20:21], v[28:29], v[2:5]
	ds_read_b128 v[6:9], v35 offset:6144
	ds_read_b128 v[18:21], v35 offset:6160
	v_mov_b32_e32 v35, 0
	s_waitcnt vmcnt(1) lgkmcnt(0)
	v_mfma_f32_16x16x16_bf16 v[2:5], v[14:15], v[6:7], v[2:5]
	s_barrier
	v_mfma_f32_16x16x16_bf16 v[2:5], v[16:17], v[8:9], v[2:5]
	s_waitcnt vmcnt(0)
	v_mfma_f32_16x16x16_bf16 v[2:5], v[10:11], v[18:19], v[2:5]
	v_mfma_f32_16x16x16_bf16 v[2:5], v[12:13], v[20:21], v[2:5]
	s_nop 6
	v_bfe_u32 v6, v3, 16, 1
	v_bfe_u32 v7, v2, 16, 1
	;; [unrolled: 1-line block ×4, first 2 shown]
	v_add3_u32 v2, v2, v7, s8
	v_add3_u32 v3, v3, v6, s8
	;; [unrolled: 1-line block ×4, first 2 shown]
	v_perm_b32 v2, v3, v2, s9
	v_perm_b32 v3, v5, v4, s9
	ds_write_b64 v40, v[2:3]
	s_waitcnt lgkmcnt(0)
	s_barrier
	s_and_saveexec_b64 s[8:9], s[4:5]
	s_cbranch_execz .LBB494_17
; %bb.16:
	s_load_dwordx2 s[0:1], s[0:1], 0x68
	s_mul_i32 s2, s7, s2
	s_lshl_b32 s6, s6, 6
	s_mul_hi_u32 s5, s2, s6
	s_mul_i32 s4, s2, s6
	v_lshlrev_b32_e32 v0, 10, v0
	s_lshl_b64 s[4:5], s[4:5], 1
	v_and_b32_e32 v0, 0x1800, v0
	v_lshlrev_b32_e32 v2, 5, v54
	v_and_b32_e32 v3, 16, v55
	s_waitcnt lgkmcnt(0)
	s_add_u32 s4, s0, s4
	v_or3_b32 v0, v0, v2, v3
	s_addc_u32 s5, s1, s5
	s_lshl_b32 s2, s28, 6
	ds_read_b128 v[2:5], v0
	s_lshl_b64 s[0:1], s[2:3], 1
	s_add_u32 s0, s4, s0
	s_addc_u32 s1, s5, s1
	v_mad_u64_u32 v[0:1], s[2:3], s6, v1, 0
	v_lshl_add_u64 v[0:1], v[0:1], 1, s[0:1]
	v_lshl_add_u64 v[0:1], v[0:1], 0, v[34:35]
	s_waitcnt lgkmcnt(0)
	global_store_dwordx4 v[0:1], v[2:5], off
.LBB494_17:
	s_endpgm
	.section	.rodata,"a",@progbits
	.p2align	6, 0x0
	.amdhsa_kernel _Z39paged_attention_ll4mi_QKV_mfma16_kernelI14__hip_bfloat16S0_LN4vllm18Fp8KVCacheDataTypeE0ES0_Li16ELi64ELi256ELb0ELi3EEvPKT_PKT0_S8_ifPKiSA_SA_iPKfiiiPfSD_PS3_PT2_iSC_SC_
		.amdhsa_group_segment_fixed_size 8192
		.amdhsa_private_segment_fixed_size 0
		.amdhsa_kernarg_size 400
		.amdhsa_user_sgpr_count 2
		.amdhsa_user_sgpr_dispatch_ptr 0
		.amdhsa_user_sgpr_queue_ptr 0
		.amdhsa_user_sgpr_kernarg_segment_ptr 1
		.amdhsa_user_sgpr_dispatch_id 0
		.amdhsa_user_sgpr_kernarg_preload_length 0
		.amdhsa_user_sgpr_kernarg_preload_offset 0
		.amdhsa_user_sgpr_private_segment_size 0
		.amdhsa_uses_dynamic_stack 0
		.amdhsa_enable_private_segment 0
		.amdhsa_system_sgpr_workgroup_id_x 1
		.amdhsa_system_sgpr_workgroup_id_y 1
		.amdhsa_system_sgpr_workgroup_id_z 1
		.amdhsa_system_sgpr_workgroup_info 0
		.amdhsa_system_vgpr_workitem_id 0
		.amdhsa_next_free_vgpr 70
		.amdhsa_next_free_sgpr 48
		.amdhsa_accum_offset 72
		.amdhsa_reserve_vcc 1
		.amdhsa_float_round_mode_32 0
		.amdhsa_float_round_mode_16_64 0
		.amdhsa_float_denorm_mode_32 3
		.amdhsa_float_denorm_mode_16_64 3
		.amdhsa_dx10_clamp 1
		.amdhsa_ieee_mode 1
		.amdhsa_fp16_overflow 0
		.amdhsa_tg_split 0
		.amdhsa_exception_fp_ieee_invalid_op 0
		.amdhsa_exception_fp_denorm_src 0
		.amdhsa_exception_fp_ieee_div_zero 0
		.amdhsa_exception_fp_ieee_overflow 0
		.amdhsa_exception_fp_ieee_underflow 0
		.amdhsa_exception_fp_ieee_inexact 0
		.amdhsa_exception_int_div_zero 0
	.end_amdhsa_kernel
	.section	.text._Z39paged_attention_ll4mi_QKV_mfma16_kernelI14__hip_bfloat16S0_LN4vllm18Fp8KVCacheDataTypeE0ES0_Li16ELi64ELi256ELb0ELi3EEvPKT_PKT0_S8_ifPKiSA_SA_iPKfiiiPfSD_PS3_PT2_iSC_SC_,"axG",@progbits,_Z39paged_attention_ll4mi_QKV_mfma16_kernelI14__hip_bfloat16S0_LN4vllm18Fp8KVCacheDataTypeE0ES0_Li16ELi64ELi256ELb0ELi3EEvPKT_PKT0_S8_ifPKiSA_SA_iPKfiiiPfSD_PS3_PT2_iSC_SC_,comdat
.Lfunc_end494:
	.size	_Z39paged_attention_ll4mi_QKV_mfma16_kernelI14__hip_bfloat16S0_LN4vllm18Fp8KVCacheDataTypeE0ES0_Li16ELi64ELi256ELb0ELi3EEvPKT_PKT0_S8_ifPKiSA_SA_iPKfiiiPfSD_PS3_PT2_iSC_SC_, .Lfunc_end494-_Z39paged_attention_ll4mi_QKV_mfma16_kernelI14__hip_bfloat16S0_LN4vllm18Fp8KVCacheDataTypeE0ES0_Li16ELi64ELi256ELb0ELi3EEvPKT_PKT0_S8_ifPKiSA_SA_iPKfiiiPfSD_PS3_PT2_iSC_SC_
                                        ; -- End function
	.section	.AMDGPU.csdata,"",@progbits
; Kernel info:
; codeLenInByte = 4012
; NumSgprs: 54
; NumVgprs: 70
; NumAgprs: 0
; TotalNumVgprs: 70
; ScratchSize: 0
; MemoryBound: 0
; FloatMode: 240
; IeeeMode: 1
; LDSByteSize: 8192 bytes/workgroup (compile time only)
; SGPRBlocks: 6
; VGPRBlocks: 8
; NumSGPRsForWavesPerEU: 54
; NumVGPRsForWavesPerEU: 70
; AccumOffset: 72
; Occupancy: 7
; WaveLimiterHint : 1
; COMPUTE_PGM_RSRC2:SCRATCH_EN: 0
; COMPUTE_PGM_RSRC2:USER_SGPR: 2
; COMPUTE_PGM_RSRC2:TRAP_HANDLER: 0
; COMPUTE_PGM_RSRC2:TGID_X_EN: 1
; COMPUTE_PGM_RSRC2:TGID_Y_EN: 1
; COMPUTE_PGM_RSRC2:TGID_Z_EN: 1
; COMPUTE_PGM_RSRC2:TIDIG_COMP_CNT: 0
; COMPUTE_PGM_RSRC3_GFX90A:ACCUM_OFFSET: 17
; COMPUTE_PGM_RSRC3_GFX90A:TG_SPLIT: 0
	.section	.text._Z39paged_attention_ll4mi_QKV_mfma16_kernelI14__hip_bfloat16S0_LN4vllm18Fp8KVCacheDataTypeE0ES0_Li16ELi64ELi256ELb0ELi4EEvPKT_PKT0_S8_ifPKiSA_SA_iPKfiiiPfSD_PS3_PT2_iSC_SC_,"axG",@progbits,_Z39paged_attention_ll4mi_QKV_mfma16_kernelI14__hip_bfloat16S0_LN4vllm18Fp8KVCacheDataTypeE0ES0_Li16ELi64ELi256ELb0ELi4EEvPKT_PKT0_S8_ifPKiSA_SA_iPKfiiiPfSD_PS3_PT2_iSC_SC_,comdat
	.protected	_Z39paged_attention_ll4mi_QKV_mfma16_kernelI14__hip_bfloat16S0_LN4vllm18Fp8KVCacheDataTypeE0ES0_Li16ELi64ELi256ELb0ELi4EEvPKT_PKT0_S8_ifPKiSA_SA_iPKfiiiPfSD_PS3_PT2_iSC_SC_ ; -- Begin function _Z39paged_attention_ll4mi_QKV_mfma16_kernelI14__hip_bfloat16S0_LN4vllm18Fp8KVCacheDataTypeE0ES0_Li16ELi64ELi256ELb0ELi4EEvPKT_PKT0_S8_ifPKiSA_SA_iPKfiiiPfSD_PS3_PT2_iSC_SC_
	.globl	_Z39paged_attention_ll4mi_QKV_mfma16_kernelI14__hip_bfloat16S0_LN4vllm18Fp8KVCacheDataTypeE0ES0_Li16ELi64ELi256ELb0ELi4EEvPKT_PKT0_S8_ifPKiSA_SA_iPKfiiiPfSD_PS3_PT2_iSC_SC_
	.p2align	8
	.type	_Z39paged_attention_ll4mi_QKV_mfma16_kernelI14__hip_bfloat16S0_LN4vllm18Fp8KVCacheDataTypeE0ES0_Li16ELi64ELi256ELb0ELi4EEvPKT_PKT0_S8_ifPKiSA_SA_iPKfiiiPfSD_PS3_PT2_iSC_SC_,@function
_Z39paged_attention_ll4mi_QKV_mfma16_kernelI14__hip_bfloat16S0_LN4vllm18Fp8KVCacheDataTypeE0ES0_Li16ELi64ELi256ELb0ELi4EEvPKT_PKT0_S8_ifPKiSA_SA_iPKfiiiPfSD_PS3_PT2_iSC_SC_: ; @_Z39paged_attention_ll4mi_QKV_mfma16_kernelI14__hip_bfloat16S0_LN4vllm18Fp8KVCacheDataTypeE0ES0_Li16ELi64ELi256ELb0ELi4EEvPKT_PKT0_S8_ifPKiSA_SA_iPKfiiiPfSD_PS3_PT2_iSC_SC_
; %bb.0:
	s_load_dwordx2 s[6:7], s[0:1], 0x30
	s_mov_b32 s26, s3
	s_mov_b64 s[8:9], 0
	s_waitcnt lgkmcnt(0)
	s_cmp_lg_u64 s[6:7], 0
	s_cselect_b64 s[14:15], -1, 0
	s_and_b64 vcc, exec, s[14:15]
	s_cbranch_vccz .LBB495_7
; %bb.1:
	s_add_i32 s10, s2, 1
	s_mov_b32 s11, 0
	s_lshl_b64 s[12:13], s[10:11], 2
	s_add_u32 s12, s6, s12
	s_mov_b32 s3, s11
	s_addc_u32 s13, s7, s13
	s_lshl_b64 s[10:11], s[2:3], 2
	s_add_u32 s10, s6, s10
	s_addc_u32 s11, s7, s11
	s_load_dword s5, s[12:13], 0x0
	s_load_dword s16, s[10:11], 0x0
	s_waitcnt lgkmcnt(0)
	s_sub_i32 s5, s5, s16
	s_cmp_eq_u32 s5, 1
	s_cselect_b64 s[10:11], -1, 0
	s_andn2_b64 vcc, exec, s[8:9]
	s_cbranch_vccnz .LBB495_3
.LBB495_2:
	s_mov_b32 s3, 0
	s_mov_b64 s[10:11], -1
.LBB495_3:
	s_andn2_b64 vcc, exec, s[10:11]
	s_cbranch_vccnz .LBB495_17
; %bb.4:
	s_load_dwordx2 s[8:9], s[0:1], 0x28
	s_lshl_b64 s[16:17], s[2:3], 2
	s_waitcnt lgkmcnt(0)
	s_add_u32 s8, s8, s16
	s_addc_u32 s9, s9, s17
	s_load_dword s38, s[8:9], 0x0
	s_lshl_b32 s18, s26, 8
	s_waitcnt lgkmcnt(0)
	s_cmp_ge_i32 s18, s38
	s_cbranch_scc1 .LBB495_17
; %bb.5:
	s_load_dwordx2 s[8:9], s[0:1], 0x20
	s_load_dword s5, s[0:1], 0x38
	s_add_i32 s10, s38, 15
	s_ashr_i32 s11, s10, 31
	v_and_b32_e32 v1, 0xcf, v0
	s_lshr_b32 s11, s11, 28
	v_add_u32_e32 v1, s18, v1
	s_add_i32 s10, s10, s11
	v_ashrrev_i32_e32 v2, 31, v1
	s_ashr_i32 s19, s10, 4
	v_lshrrev_b32_e32 v8, 28, v2
	s_add_i32 s19, s19, -1
	s_waitcnt lgkmcnt(0)
	s_mul_i32 s10, s2, s5
	s_mov_b32 s11, 0
	v_add_u32_e32 v2, v1, v8
	s_lshl_b64 s[10:11], s[10:11], 2
	v_ashrrev_i32_e32 v2, 4, v2
	v_mov_b32_e32 v9, s19
	v_cmp_gt_i32_e32 vcc, s38, v1
	s_add_u32 s12, s8, s10
	s_addc_u32 s13, s9, s11
	v_cndmask_b32_e32 v2, v9, v2, vcc
	v_ashrrev_i32_e32 v3, 31, v2
	v_lshl_add_u64 v[4:5], v[2:3], 2, s[12:13]
	v_or_b32_e32 v2, 16, v1
	v_add_u32_e32 v3, v2, v8
	v_ashrrev_i32_e32 v3, 4, v3
	v_cmp_gt_i32_e32 vcc, s38, v2
	s_load_dwordx4 s[8:11], s[0:1], 0x8
	s_nop 0
	v_cndmask_b32_e32 v2, v9, v3, vcc
	v_ashrrev_i32_e32 v3, 31, v2
	v_lshl_add_u64 v[6:7], v[2:3], 2, s[12:13]
	v_or_b32_e32 v2, 32, v1
	v_add_u32_e32 v3, v2, v8
	v_ashrrev_i32_e32 v3, 4, v3
	v_cmp_gt_i32_e32 vcc, s38, v2
	v_or_b32_e32 v1, 48, v1
	s_nop 0
	v_cndmask_b32_e32 v2, v9, v3, vcc
	v_ashrrev_i32_e32 v3, 31, v2
	v_lshl_add_u64 v[12:13], v[2:3], 2, s[12:13]
	v_add_u32_e32 v2, v1, v8
	v_ashrrev_i32_e32 v2, 4, v2
	v_cmp_gt_i32_e32 vcc, s38, v1
	s_nop 1
	v_cndmask_b32_e32 v2, v9, v2, vcc
	v_ashrrev_i32_e32 v3, 31, v2
	v_lshl_add_u64 v[14:15], v[2:3], 2, s[12:13]
	global_load_dword v2, v[4:5], off
	global_load_dword v10, v[6:7], off
	;; [unrolled: 1-line block ×4, first 2 shown]
	s_andn2_b64 vcc, exec, s[14:15]
	s_cbranch_vccnz .LBB495_8
; %bb.6:
	s_add_u32 s6, s6, s16
	s_addc_u32 s7, s7, s17
	s_load_dword s5, s[6:7], 0x0
	s_branch .LBB495_9
.LBB495_7:
	s_mov_b64 s[10:11], 0
	s_branch .LBB495_2
.LBB495_8:
	s_mov_b32 s5, s2
.LBB495_9:
	s_load_dwordx4 s[40:43], s[0:1], 0x48
	v_and_b32_e32 v57, 15, v0
	v_bfe_u32 v54, v0, 4, 2
	s_lshl_b32 s27, s4, 2
	v_lshlrev_b32_e32 v3, 3, v57
	v_cmp_gt_u32_e32 vcc, 64, v0
	v_cmp_gt_u32_e64 s[6:7], 8, v57
	v_lshrrev_b32_e32 v55, 6, v0
	v_and_b32_e32 v56, 63, v0
	v_or_b32_e32 v1, s27, v54
	v_and_b32_e32 v11, 3, v0
	s_and_b64 s[44:45], vcc, s[6:7]
	v_lshlrev_b32_e32 v34, 1, v3
	v_lshlrev_b32_e32 v52, 5, v54
	s_and_saveexec_b64 s[6:7], s[44:45]
	s_cbranch_execz .LBB495_11
; %bb.10:
	s_load_dwordx2 s[14:15], s[0:1], 0x0
	s_waitcnt lgkmcnt(0)
	s_ashr_i32 s16, s40, 31
	s_mul_hi_u32 s17, s5, s40
	s_mul_i32 s16, s5, s16
	s_add_i32 s17, s17, s16
	s_mul_i32 s16, s5, s40
	s_lshl_b64 s[16:17], s[16:17], 1
	s_add_u32 s14, s14, s16
	v_lshlrev_b32_e32 v4, 6, v1
	s_addc_u32 s15, s15, s17
	v_ashrrev_i32_e32 v5, 31, v4
	v_lshl_add_u64 v[4:5], v[4:5], 1, s[14:15]
	v_mov_b32_e32 v35, 0
	v_lshl_add_u64 v[4:5], v[4:5], 0, v[34:35]
	global_load_dwordx4 v[4:7], v[4:5], off
	v_lshlrev_b32_e32 v13, 9, v57
	v_lshl_or_b32 v3, v55, 7, v52
	v_lshlrev_b32_e32 v12, 9, v11
	v_and_b32_e32 v13, 0x1800, v13
	v_or3_b32 v3, v13, v12, v3
	s_waitcnt vmcnt(0)
	ds_write_b128 v3, v[4:7]
.LBB495_11:
	s_or_b64 exec, exec, s[6:7]
	s_waitcnt lgkmcnt(0)
	s_mul_i32 s4, s4, s42
	s_mov_b32 s5, 0
	s_lshl_b64 s[4:5], s[4:5], 1
	s_add_u32 s8, s8, s4
	v_lshlrev_b32_e32 v53, 4, v0
	s_addc_u32 s9, s9, s5
	v_and_b32_e32 v6, 0xf0, v53
	v_mov_b32_e32 v7, 0
	v_lshl_add_u64 v[12:13], s[8:9], 0, v[6:7]
	s_waitcnt vmcnt(3)
	v_mad_i64_i32 v[2:3], s[8:9], v2, s41, 0
	v_lshl_add_u64 v[2:3], v[2:3], 1, v[12:13]
	v_and_b32_e32 v6, 0x300, v53
	s_waitcnt vmcnt(2)
	v_mad_i64_i32 v[20:21], s[8:9], v10, s41, 0
	s_waitcnt vmcnt(1)
	v_mad_i64_i32 v[24:25], s[8:9], v9, s41, 0
	v_lshl_add_u64 v[14:15], v[2:3], 0, v[6:7]
	v_lshlrev_b32_e32 v11, 5, v11
	v_lshl_add_u64 v[20:21], v[20:21], 1, v[12:13]
	v_lshl_add_u64 v[24:25], v[24:25], 1, v[12:13]
	s_load_dword s33, s[0:1], 0x98
	s_load_dword s6, s[0:1], 0x1c
	s_waitcnt lgkmcnt(0)
	s_barrier
	global_load_dwordx4 v[2:5], v[14:15], off
	s_waitcnt vmcnt(1)
	v_mad_i64_i32 v[26:27], s[8:9], v8, s41, 0
	v_lshl_or_b32 v8, v54, 9, v11
	v_lshl_add_u64 v[32:33], v[20:21], 0, v[6:7]
	v_lshl_add_u64 v[30:31], v[24:25], 0, v[6:7]
	ds_read_b128 v[16:19], v8
	ds_read_b128 v[8:11], v8 offset:2048
	global_load_dwordx4 v[20:23], v[32:33], off
	v_lshl_add_u64 v[12:13], v[26:27], 1, v[12:13]
	global_load_dwordx4 v[24:27], v[30:31], off
	v_lshl_add_u64 v[28:29], v[12:13], 0, v[6:7]
	global_load_dwordx4 v[12:15], v[14:15], off offset:1024
	s_nop 0
	global_load_dwordx4 v[40:43], v[28:29], off
	global_load_dwordx4 v[44:47], v[32:33], off offset:1024
	global_load_dwordx4 v[62:65], v[28:29], off offset:1024
	v_and_or_b32 v6, v0, 48, s18
	global_load_dwordx4 v[30:33], v[30:31], off offset:1024
	v_mov_b32_e32 v70, s19
	v_cmp_gt_i32_e32 vcc, s38, v6
	v_or_b32_e32 v28, 0x80, v6
	v_ashrrev_i32_e32 v29, 4, v28
	v_lshlrev_b32_e32 v35, 5, v57
	s_add_u32 s4, s10, s4
	s_addc_u32 s5, s11, s5
	s_mov_b32 s40, 0xff7fffff
	v_lshlrev_b32_e32 v57, 2, v57
	s_waitcnt vmcnt(3) lgkmcnt(1)
	v_mfma_f32_16x16x16_bf16 v[66:69], v[40:41], v[16:17], 0
	v_mfma_f32_16x16x16_bf16 v[36:39], v[2:3], v[16:17], 0
	v_ashrrev_i32_e32 v2, 4, v6
	v_mfma_f32_16x16x16_bf16 v[48:51], v[20:21], v[16:17], 0
	v_or_b32_e32 v20, 64, v6
	v_ashrrev_i32_e32 v21, 4, v20
	v_or_b32_e32 v6, 0xc0, v6
	v_mfma_f32_16x16x16_bf16 v[58:61], v[24:25], v[16:17], 0
	v_cndmask_b32_e32 v16, v70, v2, vcc
	v_ashrrev_i32_e32 v17, 31, v16
	v_lshl_add_u64 v[16:17], v[16:17], 2, s[12:13]
	v_mfma_f32_16x16x16_bf16 v[2:5], v[4:5], v[18:19], v[36:39]
	v_cmp_gt_i32_e32 vcc, s38, v20
	s_nop 1
	global_load_dword v36, v[16:17], off
	v_cndmask_b32_e32 v24, v70, v21, vcc
	v_ashrrev_i32_e32 v25, 31, v24
	v_lshl_add_u64 v[16:17], v[24:25], 2, s[12:13]
	global_load_dword v37, v[16:17], off
	v_cmp_gt_i32_e32 vcc, s38, v28
	v_ashrrev_i32_e32 v38, 4, v6
	s_waitcnt lgkmcnt(0)
	v_mfma_f32_16x16x16_bf16 v[2:5], v[12:13], v[8:9], v[2:5]
	v_cndmask_b32_e32 v12, v70, v29, vcc
	v_cmp_gt_i32_e32 vcc, s38, v6
	v_ashrrev_i32_e32 v13, 31, v12
	v_lshl_add_u64 v[12:13], v[12:13], 2, s[12:13]
	v_cndmask_b32_e32 v28, v70, v38, vcc
	v_ashrrev_i32_e32 v29, 31, v28
	v_mfma_f32_16x16x16_bf16 v[24:27], v[26:27], v[18:19], v[58:61]
	v_lshl_add_u64 v[28:29], v[28:29], 2, s[12:13]
	s_nop 1
	global_load_dword v58, v[12:13], off
	global_load_dword v59, v[28:29], off
	v_lshl_or_b32 v6, v55, 9, v35
	v_mfma_f32_16x16x16_bf16 v[20:23], v[22:23], v[18:19], v[48:51]
	v_lshl_add_u64 v[12:13], s[4:5], 0, v[6:7]
	v_mfma_f32_16x16x16_bf16 v[16:19], v[42:43], v[18:19], v[66:69]
	s_waitcnt vmcnt(5)
	v_mfma_f32_16x16x16_bf16 v[16:19], v[62:63], v[8:9], v[16:19]
	s_waitcnt vmcnt(4)
	v_mfma_f32_16x16x16_bf16 v[24:27], v[30:31], v[8:9], v[24:27]
	v_mfma_f32_16x16x16_bf16 v[28:31], v[14:15], v[10:11], v[2:5]
	v_mfma_f32_16x16x16_bf16 v[20:23], v[44:45], v[8:9], v[20:23]
	s_waitcnt vmcnt(3)
	s_nop 0
	v_mad_i64_i32 v[2:3], s[4:5], v36, s41, 0
	v_lshl_add_u64 v[14:15], v[2:3], 1, v[12:13]
	global_load_dwordx4 v[6:9], v[14:15], off
	global_load_dwordx4 v[2:5], v[14:15], off offset:16
	v_mfma_f32_16x16x16_bf16 v[14:17], v[64:65], v[10:11], v[16:19]
	s_waitcnt vmcnt(4)
	v_mad_i64_i32 v[36:37], s[4:5], v37, s41, 0
	v_lshl_add_u64 v[38:39], v[36:37], 1, v[12:13]
	v_mfma_f32_16x16x16_bf16 v[20:23], v[46:47], v[10:11], v[20:23]
	v_pk_mul_f32 v[48:49], s[6:7], v[30:31] op_sel_hi:[0,1]
	s_nop 1
	v_pk_mul_f32 v[42:43], s[6:7], v[14:15] op_sel_hi:[0,1]
	v_and_b32_e32 v14, 0xc0, v0
	v_add_u32_e32 v14, s18, v14
	v_lshl_or_b32 v14, v54, 2, v14
	v_pk_mul_f32 v[36:37], s[6:7], v[16:17] op_sel_hi:[0,1]
	v_or_b32_e32 v17, 1, v14
	v_mfma_f32_16x16x16_bf16 v[24:27], v[32:33], v[10:11], v[24:27]
	v_pk_mul_f32 v[10:11], s[6:7], v[28:29] op_sel_hi:[0,1]
	v_mov_b32_e32 v15, 0xff7fffff
	v_cmp_gt_i32_e64 s[28:29], s38, v14
	v_cmp_gt_i32_e64 s[30:31], s38, v17
	v_or_b32_e32 v18, 3, v14
	v_cndmask_b32_e64 v16, v15, v10, s[28:29]
	v_cndmask_b32_e64 v17, v15, v11, s[30:31]
	v_max3_f32 v16, v16, s40, v17
	v_or_b32_e32 v17, 2, v14
	v_cmp_gt_i32_e64 s[34:35], s38, v17
	v_cmp_gt_i32_e64 s[36:37], s38, v18
	v_pk_mul_f32 v[40:41], s[6:7], v[20:21] op_sel_hi:[0,1]
	v_cndmask_b32_e64 v17, v15, v48, s[34:35]
	v_cndmask_b32_e64 v18, v15, v49, s[36:37]
	v_max3_f32 v16, v16, v17, v18
	v_or_b32_e32 v17, 16, v14
	v_or_b32_e32 v18, 17, v14
	v_cmp_gt_i32_e64 s[22:23], s38, v17
	v_cmp_gt_i32_e64 s[24:25], s38, v18
	v_pk_mul_f32 v[50:51], s[6:7], v[22:23] op_sel_hi:[0,1]
	v_cndmask_b32_e64 v17, v15, v40, s[22:23]
	v_cndmask_b32_e64 v18, v15, v41, s[24:25]
	v_max3_f32 v16, v16, v17, v18
	v_or_b32_e32 v17, 18, v14
	;; [unrolled: 8-line block ×4, first 2 shown]
	v_or_b32_e32 v18, 35, v14
	v_cmp_gt_i32_e64 s[10:11], s38, v17
	v_cmp_gt_i32_e64 s[12:13], s38, v18
	global_load_dwordx4 v[30:33], v[38:39], off
	global_load_dwordx4 v[26:29], v[38:39], off offset:16
	v_cndmask_b32_e64 v17, v15, v46, s[10:11]
	v_cndmask_b32_e64 v18, v15, v47, s[12:13]
	v_max3_f32 v16, v16, v17, v18
	v_or_b32_e32 v17, 48, v14
	v_or_b32_e32 v18, 49, v14
	v_cmp_gt_i32_e64 s[6:7], s38, v17
	v_cmp_gt_i32_e64 s[8:9], s38, v18
	s_nop 0
	v_cndmask_b32_e64 v17, v15, v42, s[6:7]
	v_cndmask_b32_e64 v18, v15, v43, s[8:9]
	v_max3_f32 v16, v16, v17, v18
	v_or_b32_e32 v17, 50, v14
	v_or_b32_e32 v14, 51, v14
	v_cmp_gt_i32_e32 vcc, s38, v17
	v_cmp_gt_i32_e64 s[4:5], s38, v14
	s_nop 0
	v_cndmask_b32_e32 v17, v15, v36, vcc
	v_cndmask_b32_e64 v14, v15, v37, s[4:5]
	v_max3_f32 v16, v16, v17, v14
	v_mbcnt_lo_u32_b32 v14, -1, 0
	v_mbcnt_hi_u32_b32 v17, -1, v14
	v_and_b32_e32 v14, 64, v17
	v_add_u32_e32 v18, 64, v14
	v_xor_b32_e32 v14, 32, v17
	v_cmp_lt_i32_e64 s[38:39], v14, v18
	s_nop 1
	v_cndmask_b32_e64 v14, v17, v14, s[38:39]
	v_lshlrev_b32_e32 v60, 2, v14
	ds_bpermute_b32 v19, v60, v16
	s_waitcnt vmcnt(5)
	v_mad_i64_i32 v[14:15], s[38:39], v58, s41, 0
	v_lshl_add_u64 v[14:15], v[14:15], 1, v[12:13]
	s_waitcnt lgkmcnt(0)
	v_max_f32_e32 v19, v19, v19
	v_max_f32_e32 v16, v16, v19
	v_xor_b32_e32 v19, 16, v17
	v_cmp_lt_i32_e64 s[38:39], v19, v18
	s_nop 1
	v_cndmask_b32_e64 v17, v17, v19, s[38:39]
	v_lshlrev_b32_e32 v61, 2, v17
	ds_bpermute_b32 v17, v61, v16
	global_load_dwordx4 v[22:25], v[14:15], off
	global_load_dwordx4 v[18:21], v[14:15], off offset:16
	s_waitcnt vmcnt(6)
	v_mad_i64_i32 v[14:15], s[38:39], v59, s41, 0
	v_lshl_add_u64 v[12:13], v[14:15], 1, v[12:13]
	s_waitcnt lgkmcnt(0)
	v_max_f32_e32 v14, v17, v17
	v_max_f32_e32 v58, v16, v14
	v_sub_f32_e32 v10, v10, v58
	v_mul_f32_e32 v10, 0x3fb8aa3b, v10
	v_exp_f32_e32 v38, v10
	v_sub_f32_e32 v10, v11, v58
	v_mul_f32_e32 v10, 0x3fb8aa3b, v10
	v_exp_f32_e32 v39, v10
	global_load_dwordx4 v[14:17], v[12:13], off
	s_nop 0
	global_load_dwordx4 v[10:13], v[12:13], off offset:16
	v_sub_f32_e32 v48, v48, v58
	v_mul_f32_e32 v48, 0x3fb8aa3b, v48
	v_sub_f32_e32 v49, v49, v58
	v_exp_f32_e32 v48, v48
	v_mul_f32_e32 v49, 0x3fb8aa3b, v49
	v_sub_f32_e32 v40, v40, v58
	v_exp_f32_e32 v49, v49
	v_mul_f32_e32 v40, 0x3fb8aa3b, v40
	v_sub_f32_e32 v41, v41, v58
	v_cndmask_b32_e64 v38, 0, v38, s[28:29]
	v_exp_f32_e32 v40, v40
	v_mul_f32_e32 v41, 0x3fb8aa3b, v41
	v_sub_f32_e32 v50, v50, v58
	v_add_f32_e32 v59, 0, v38
	v_cndmask_b32_e64 v39, 0, v39, s[30:31]
	v_exp_f32_e32 v41, v41
	v_mul_f32_e32 v50, 0x3fb8aa3b, v50
	v_sub_f32_e32 v51, v51, v58
	v_add_f32_e32 v59, v59, v39
	;; [unrolled: 5-line block ×10, first 2 shown]
	v_cndmask_b32_e64 v46, 0, v46, s[10:11]
	v_exp_f32_e32 v36, v36
	v_mul_f32_e32 v37, 0x3fb8aa3b, v37
	v_add_f32_e32 v59, v59, v46
	v_cndmask_b32_e64 v47, 0, v47, s[12:13]
	v_exp_f32_e32 v37, v37
	v_add_f32_e32 v59, v59, v47
	v_cndmask_b32_e64 v42, 0, v42, s[6:7]
	v_add_f32_e32 v59, v59, v42
	v_cndmask_b32_e64 v43, 0, v43, s[8:9]
	v_add_f32_e32 v59, v59, v43
	v_cndmask_b32_e32 v36, 0, v36, vcc
	v_add_f32_e32 v59, v59, v36
	v_cndmask_b32_e64 v37, 0, v37, s[4:5]
	v_add_f32_e32 v59, v59, v37
	ds_bpermute_b32 v60, v60, v59
	v_cmp_gt_u32_e32 vcc, 16, v56
	s_waitcnt lgkmcnt(0)
	s_barrier
	v_add_f32_e32 v59, v59, v60
	ds_bpermute_b32 v60, v61, v59
	s_and_saveexec_b64 s[4:5], vcc
	s_cbranch_execz .LBB495_13
; %bb.12:
	s_waitcnt lgkmcnt(0)
	v_add_f32_e32 v56, v59, v60
	v_lshl_or_b32 v59, v55, 6, v57
	ds_write2st64_b32 v59, v58, v56 offset1:1
.LBB495_13:
	s_or_b64 exec, exec, s[4:5]
	s_load_dword s6, s[0:1], 0x94
	s_waitcnt lgkmcnt(0)
	s_barrier
	ds_read2_b32 v[58:59], v57 offset1:16
	ds_read2_b32 v[60:61], v57 offset0:32 offset1:48
	ds_read2_b32 v[62:63], v57 offset0:64 offset1:80
	s_movk_i32 s8, 0x7fff
	s_mov_b32 s9, 0x7060302
	s_waitcnt lgkmcnt(2)
	v_max3_f32 v56, v58, s40, v59
	s_waitcnt lgkmcnt(1)
	v_max3_f32 v56, v56, v60, v61
	v_sub_f32_e32 v58, v58, v56
	v_mul_f32_e32 v58, 0x3fb8aa3b, v58
	v_exp_f32_e32 v64, v58
	v_sub_f32_e32 v58, v59, v56
	v_mul_f32_e32 v58, 0x3fb8aa3b, v58
	v_exp_f32_e32 v65, v58
	;; [unrolled: 3-line block ×3, first 2 shown]
	ds_read2_b32 v[58:59], v57 offset0:96 offset1:112
	v_sub_f32_e32 v57, v61, v56
	v_mul_f32_e32 v57, 0x3fb8aa3b, v57
	v_exp_f32_e32 v61, v57
	s_waitcnt lgkmcnt(1)
	v_fma_f32 v57, v64, v62, 0
	v_fmac_f32_e32 v57, v65, v63
	s_waitcnt lgkmcnt(0)
	v_fmac_f32_e32 v57, v60, v58
	v_fmac_f32_e32 v57, v61, v59
	v_add_f32_e32 v58, 0x358637bd, v57
	v_div_scale_f32 v59, s[4:5], v58, v58, 1.0
	v_rcp_f32_e32 v62, v59
	s_barrier
	v_fma_f32 v63, -v59, v62, 1.0
	v_fmac_f32_e32 v62, v63, v62
	v_div_scale_f32 v63, vcc, 1.0, v58, 1.0
	v_mul_f32_e32 v66, v63, v62
	v_fma_f32 v67, -v59, v66, v63
	v_fmac_f32_e32 v66, v67, v62
	v_fma_f32 v59, -v59, v66, v63
	v_div_fmas_f32 v59, v59, v62, v66
	v_cmp_eq_u32_e32 vcc, 1, v55
	v_div_fixup_f32 v58, v59, v58, 1.0
	s_lshl_b32 s7, s33, 2
	v_cndmask_b32_e32 v59, v64, v65, vcc
	v_cmp_eq_u32_e32 vcc, 2, v55
	s_nop 1
	v_cndmask_b32_e32 v59, v59, v60, vcc
	v_cmp_eq_u32_e32 vcc, 3, v55
	s_nop 1
	v_cndmask_b32_e32 v59, v59, v61, vcc
	v_mul_f32_e32 v58, v59, v58
	v_pk_mul_f32 v[38:39], v[58:59], v[38:39] op_sel_hi:[0,1]
	v_pk_mul_f32 v[48:49], v[58:59], v[48:49] op_sel_hi:[0,1]
	v_bfe_u32 v59, v39, 16, 1
	v_bfe_u32 v60, v38, 16, 1
	v_add3_u32 v38, v38, v60, s8
	v_add3_u32 v39, v39, v59, s8
	v_perm_b32 v60, v39, v38, s9
	v_bfe_u32 v38, v49, 16, 1
	v_bfe_u32 v39, v48, 16, 1
	v_add3_u32 v39, v48, v39, s8
	v_add3_u32 v38, v49, v38, s8
	v_perm_b32 v61, v38, v39, s9
	v_lshlrev_b32_e32 v38, 3, v54
	v_lshlrev_b32_e32 v39, 11, v55
	v_pk_mul_f32 v[40:41], v[58:59], v[40:41] op_sel_hi:[0,1]
	v_or3_b32 v38, v39, v35, v38
	v_pk_mul_f32 v[48:49], v[58:59], v[50:51] op_sel_hi:[0,1]
	v_bfe_u32 v39, v41, 16, 1
	v_bfe_u32 v50, v40, 16, 1
	v_add3_u32 v40, v40, v50, s8
	v_add3_u32 v39, v41, v39, s8
	v_perm_b32 v40, v39, v40, s9
	v_bfe_u32 v39, v49, 16, 1
	v_bfe_u32 v41, v48, 16, 1
	v_add3_u32 v41, v48, v41, s8
	v_add3_u32 v39, v49, v39, s8
	v_perm_b32 v41, v39, v41, s9
	v_pk_mul_f32 v[44:45], v[58:59], v[44:45] op_sel_hi:[0,1]
	ds_write2st64_b64 v38, v[60:61], v[40:41] offset1:1
	v_pk_mul_f32 v[40:41], v[58:59], v[46:47] op_sel_hi:[0,1]
	v_bfe_u32 v39, v45, 16, 1
	v_bfe_u32 v46, v44, 16, 1
	v_add3_u32 v44, v44, v46, s8
	v_add3_u32 v39, v45, v39, s8
	v_perm_b32 v44, v39, v44, s9
	v_bfe_u32 v39, v41, 16, 1
	v_bfe_u32 v45, v40, 16, 1
	v_add3_u32 v40, v40, v45, s8
	v_add3_u32 v39, v41, v39, s8
	v_perm_b32 v45, v39, v40, s9
	v_pk_mul_f32 v[40:41], v[58:59], v[42:43] op_sel_hi:[0,1]
	v_bfe_u32 v39, v41, 16, 1
	v_bfe_u32 v42, v40, 16, 1
	v_pk_mul_f32 v[36:37], v[58:59], v[36:37] op_sel_hi:[0,1]
	v_add3_u32 v40, v40, v42, s8
	v_add3_u32 v39, v41, v39, s8
	v_perm_b32 v40, v39, v40, s9
	v_bfe_u32 v39, v37, 16, 1
	v_bfe_u32 v41, v36, 16, 1
	v_add3_u32 v36, v36, v41, s8
	v_add3_u32 v37, v37, v39, s8
	v_perm_b32 v41, v37, v36, s9
	v_cmp_gt_u32_e32 vcc, 4, v0
	ds_write2st64_b64 v38, v[44:45], v[40:41] offset0:2 offset1:3
	s_and_saveexec_b64 s[4:5], vcc
	s_cbranch_execz .LBB495_15
; %bb.14:
	v_or_b32_e32 v36, s27, v0
	v_mov_b32_e32 v37, 0
	v_mov_b32_e32 v39, s7
	v_mad_u64_u32 v[40:41], s[10:11], s2, v39, v[36:37]
	v_mov_b32_e32 v36, s26
	s_load_dwordx4 s[12:15], s[0:1], 0x58
	s_mul_i32 s3, s3, s7
	v_mad_u64_u32 v[36:37], s[10:11], v40, s6, v[36:37]
	v_add_u32_e32 v39, s3, v41
	v_mov_b32_e32 v40, v37
	v_mad_u64_u32 v[40:41], s[10:11], v39, s6, v[40:41]
	v_mov_b32_e32 v37, v40
	v_lshlrev_b64 v[36:37], 2, v[36:37]
	s_waitcnt lgkmcnt(0)
	v_lshl_add_u64 v[40:41], s[14:15], 0, v[36:37]
	v_lshl_add_u64 v[36:37], s[12:13], 0, v[36:37]
	global_store_dword v[40:41], v56, off
	global_store_dword v[36:37], v57, off
.LBB495_15:
	s_or_b64 exec, exec, s[4:5]
	v_lshl_or_b32 v35, v54, 9, v35
	s_waitcnt lgkmcnt(0)
	s_barrier
	ds_read_b128 v[40:43], v35
	ds_read_b128 v[44:47], v35 offset:16
	s_waitcnt vmcnt(7) lgkmcnt(1)
	v_mfma_f32_16x16x16_bf16 v[48:51], v[6:7], v[40:41], 0
	s_mov_b32 s3, 0
	v_mfma_f32_16x16x16_bf16 v[6:9], v[8:9], v[42:43], v[48:51]
	s_waitcnt vmcnt(6) lgkmcnt(0)
	v_mfma_f32_16x16x16_bf16 v[6:9], v[2:3], v[44:45], v[6:9]
	v_mfma_f32_16x16x16_bf16 v[2:5], v[4:5], v[46:47], v[6:9]
	s_nop 5
	ds_read_b128 v[6:9], v35 offset:2048
	ds_read_b128 v[40:43], v35 offset:2064
	s_waitcnt vmcnt(5) lgkmcnt(1)
	v_mfma_f32_16x16x16_bf16 v[2:5], v[30:31], v[6:7], v[2:5]
	v_mfma_f32_16x16x16_bf16 v[2:5], v[32:33], v[8:9], v[2:5]
	s_waitcnt vmcnt(4) lgkmcnt(0)
	v_mfma_f32_16x16x16_bf16 v[2:5], v[26:27], v[40:41], v[2:5]
	v_mfma_f32_16x16x16_bf16 v[2:5], v[28:29], v[42:43], v[2:5]
	ds_read_b128 v[6:9], v35 offset:4096
	ds_read_b128 v[26:29], v35 offset:4112
	s_waitcnt vmcnt(3) lgkmcnt(1)
	v_mfma_f32_16x16x16_bf16 v[2:5], v[22:23], v[6:7], v[2:5]
	v_mfma_f32_16x16x16_bf16 v[2:5], v[24:25], v[8:9], v[2:5]
	s_waitcnt vmcnt(2) lgkmcnt(0)
	v_mfma_f32_16x16x16_bf16 v[2:5], v[18:19], v[26:27], v[2:5]
	v_mfma_f32_16x16x16_bf16 v[2:5], v[20:21], v[28:29], v[2:5]
	ds_read_b128 v[6:9], v35 offset:6144
	ds_read_b128 v[18:21], v35 offset:6160
	v_mov_b32_e32 v35, 0
	s_waitcnt vmcnt(1) lgkmcnt(0)
	v_mfma_f32_16x16x16_bf16 v[2:5], v[14:15], v[6:7], v[2:5]
	s_barrier
	v_mfma_f32_16x16x16_bf16 v[2:5], v[16:17], v[8:9], v[2:5]
	s_waitcnt vmcnt(0)
	v_mfma_f32_16x16x16_bf16 v[2:5], v[10:11], v[18:19], v[2:5]
	v_mfma_f32_16x16x16_bf16 v[2:5], v[12:13], v[20:21], v[2:5]
	s_nop 6
	v_bfe_u32 v6, v3, 16, 1
	v_bfe_u32 v7, v2, 16, 1
	;; [unrolled: 1-line block ×4, first 2 shown]
	v_add3_u32 v2, v2, v7, s8
	v_add3_u32 v3, v3, v6, s8
	;; [unrolled: 1-line block ×4, first 2 shown]
	v_perm_b32 v2, v3, v2, s9
	v_perm_b32 v3, v5, v4, s9
	ds_write_b64 v38, v[2:3]
	s_waitcnt lgkmcnt(0)
	s_barrier
	s_and_saveexec_b64 s[4:5], s[44:45]
	s_cbranch_execz .LBB495_17
; %bb.16:
	s_load_dwordx2 s[0:1], s[0:1], 0x68
	s_lshl_b32 s6, s6, 6
	s_mul_i32 s2, s7, s2
	s_mul_hi_u32 s5, s2, s6
	s_mul_i32 s4, s2, s6
	v_lshlrev_b32_e32 v0, 10, v0
	s_lshl_b64 s[4:5], s[4:5], 1
	v_and_b32_e32 v0, 0x1800, v0
	v_and_b32_e32 v2, 16, v53
	s_waitcnt lgkmcnt(0)
	s_add_u32 s4, s0, s4
	v_or3_b32 v0, v0, v52, v2
	s_addc_u32 s5, s1, s5
	s_lshl_b32 s2, s26, 6
	ds_read_b128 v[2:5], v0
	s_lshl_b64 s[0:1], s[2:3], 1
	s_add_u32 s0, s4, s0
	s_addc_u32 s1, s5, s1
	v_mad_u64_u32 v[0:1], s[2:3], s6, v1, 0
	v_lshl_add_u64 v[0:1], v[0:1], 1, s[0:1]
	v_lshl_add_u64 v[0:1], v[0:1], 0, v[34:35]
	s_waitcnt lgkmcnt(0)
	global_store_dwordx4 v[0:1], v[2:5], off
.LBB495_17:
	s_endpgm
	.section	.rodata,"a",@progbits
	.p2align	6, 0x0
	.amdhsa_kernel _Z39paged_attention_ll4mi_QKV_mfma16_kernelI14__hip_bfloat16S0_LN4vllm18Fp8KVCacheDataTypeE0ES0_Li16ELi64ELi256ELb0ELi4EEvPKT_PKT0_S8_ifPKiSA_SA_iPKfiiiPfSD_PS3_PT2_iSC_SC_
		.amdhsa_group_segment_fixed_size 8192
		.amdhsa_private_segment_fixed_size 0
		.amdhsa_kernarg_size 400
		.amdhsa_user_sgpr_count 2
		.amdhsa_user_sgpr_dispatch_ptr 0
		.amdhsa_user_sgpr_queue_ptr 0
		.amdhsa_user_sgpr_kernarg_segment_ptr 1
		.amdhsa_user_sgpr_dispatch_id 0
		.amdhsa_user_sgpr_kernarg_preload_length 0
		.amdhsa_user_sgpr_kernarg_preload_offset 0
		.amdhsa_user_sgpr_private_segment_size 0
		.amdhsa_uses_dynamic_stack 0
		.amdhsa_enable_private_segment 0
		.amdhsa_system_sgpr_workgroup_id_x 1
		.amdhsa_system_sgpr_workgroup_id_y 1
		.amdhsa_system_sgpr_workgroup_id_z 1
		.amdhsa_system_sgpr_workgroup_info 0
		.amdhsa_system_vgpr_workitem_id 0
		.amdhsa_next_free_vgpr 71
		.amdhsa_next_free_sgpr 46
		.amdhsa_accum_offset 72
		.amdhsa_reserve_vcc 1
		.amdhsa_float_round_mode_32 0
		.amdhsa_float_round_mode_16_64 0
		.amdhsa_float_denorm_mode_32 3
		.amdhsa_float_denorm_mode_16_64 3
		.amdhsa_dx10_clamp 1
		.amdhsa_ieee_mode 1
		.amdhsa_fp16_overflow 0
		.amdhsa_tg_split 0
		.amdhsa_exception_fp_ieee_invalid_op 0
		.amdhsa_exception_fp_denorm_src 0
		.amdhsa_exception_fp_ieee_div_zero 0
		.amdhsa_exception_fp_ieee_overflow 0
		.amdhsa_exception_fp_ieee_underflow 0
		.amdhsa_exception_fp_ieee_inexact 0
		.amdhsa_exception_int_div_zero 0
	.end_amdhsa_kernel
	.section	.text._Z39paged_attention_ll4mi_QKV_mfma16_kernelI14__hip_bfloat16S0_LN4vllm18Fp8KVCacheDataTypeE0ES0_Li16ELi64ELi256ELb0ELi4EEvPKT_PKT0_S8_ifPKiSA_SA_iPKfiiiPfSD_PS3_PT2_iSC_SC_,"axG",@progbits,_Z39paged_attention_ll4mi_QKV_mfma16_kernelI14__hip_bfloat16S0_LN4vllm18Fp8KVCacheDataTypeE0ES0_Li16ELi64ELi256ELb0ELi4EEvPKT_PKT0_S8_ifPKiSA_SA_iPKfiiiPfSD_PS3_PT2_iSC_SC_,comdat
.Lfunc_end495:
	.size	_Z39paged_attention_ll4mi_QKV_mfma16_kernelI14__hip_bfloat16S0_LN4vllm18Fp8KVCacheDataTypeE0ES0_Li16ELi64ELi256ELb0ELi4EEvPKT_PKT0_S8_ifPKiSA_SA_iPKfiiiPfSD_PS3_PT2_iSC_SC_, .Lfunc_end495-_Z39paged_attention_ll4mi_QKV_mfma16_kernelI14__hip_bfloat16S0_LN4vllm18Fp8KVCacheDataTypeE0ES0_Li16ELi64ELi256ELb0ELi4EEvPKT_PKT0_S8_ifPKiSA_SA_iPKfiiiPfSD_PS3_PT2_iSC_SC_
                                        ; -- End function
	.section	.AMDGPU.csdata,"",@progbits
; Kernel info:
; codeLenInByte = 3916
; NumSgprs: 52
; NumVgprs: 71
; NumAgprs: 0
; TotalNumVgprs: 71
; ScratchSize: 0
; MemoryBound: 0
; FloatMode: 240
; IeeeMode: 1
; LDSByteSize: 8192 bytes/workgroup (compile time only)
; SGPRBlocks: 6
; VGPRBlocks: 8
; NumSGPRsForWavesPerEU: 52
; NumVGPRsForWavesPerEU: 71
; AccumOffset: 72
; Occupancy: 7
; WaveLimiterHint : 1
; COMPUTE_PGM_RSRC2:SCRATCH_EN: 0
; COMPUTE_PGM_RSRC2:USER_SGPR: 2
; COMPUTE_PGM_RSRC2:TRAP_HANDLER: 0
; COMPUTE_PGM_RSRC2:TGID_X_EN: 1
; COMPUTE_PGM_RSRC2:TGID_Y_EN: 1
; COMPUTE_PGM_RSRC2:TGID_Z_EN: 1
; COMPUTE_PGM_RSRC2:TIDIG_COMP_CNT: 0
; COMPUTE_PGM_RSRC3_GFX90A:ACCUM_OFFSET: 17
; COMPUTE_PGM_RSRC3_GFX90A:TG_SPLIT: 0
	.section	.text._Z38paged_attention_ll4mi_QKV_mfma4_kernelI14__hip_bfloat16S0_LN4vllm18Fp8KVCacheDataTypeE0EhLi32ELi64ELi256ELb1ELi1EEvPKT_PKT0_S8_ifPKiSA_SA_iPKfiiiPfSD_PS3_PT2_iSC_SC_,"axG",@progbits,_Z38paged_attention_ll4mi_QKV_mfma4_kernelI14__hip_bfloat16S0_LN4vllm18Fp8KVCacheDataTypeE0EhLi32ELi64ELi256ELb1ELi1EEvPKT_PKT0_S8_ifPKiSA_SA_iPKfiiiPfSD_PS3_PT2_iSC_SC_,comdat
	.protected	_Z38paged_attention_ll4mi_QKV_mfma4_kernelI14__hip_bfloat16S0_LN4vllm18Fp8KVCacheDataTypeE0EhLi32ELi64ELi256ELb1ELi1EEvPKT_PKT0_S8_ifPKiSA_SA_iPKfiiiPfSD_PS3_PT2_iSC_SC_ ; -- Begin function _Z38paged_attention_ll4mi_QKV_mfma4_kernelI14__hip_bfloat16S0_LN4vllm18Fp8KVCacheDataTypeE0EhLi32ELi64ELi256ELb1ELi1EEvPKT_PKT0_S8_ifPKiSA_SA_iPKfiiiPfSD_PS3_PT2_iSC_SC_
	.globl	_Z38paged_attention_ll4mi_QKV_mfma4_kernelI14__hip_bfloat16S0_LN4vllm18Fp8KVCacheDataTypeE0EhLi32ELi64ELi256ELb1ELi1EEvPKT_PKT0_S8_ifPKiSA_SA_iPKfiiiPfSD_PS3_PT2_iSC_SC_
	.p2align	8
	.type	_Z38paged_attention_ll4mi_QKV_mfma4_kernelI14__hip_bfloat16S0_LN4vllm18Fp8KVCacheDataTypeE0EhLi32ELi64ELi256ELb1ELi1EEvPKT_PKT0_S8_ifPKiSA_SA_iPKfiiiPfSD_PS3_PT2_iSC_SC_,@function
_Z38paged_attention_ll4mi_QKV_mfma4_kernelI14__hip_bfloat16S0_LN4vllm18Fp8KVCacheDataTypeE0EhLi32ELi64ELi256ELb1ELi1EEvPKT_PKT0_S8_ifPKiSA_SA_iPKfiiiPfSD_PS3_PT2_iSC_SC_: ; @_Z38paged_attention_ll4mi_QKV_mfma4_kernelI14__hip_bfloat16S0_LN4vllm18Fp8KVCacheDataTypeE0EhLi32ELi64ELi256ELb1ELi1EEvPKT_PKT0_S8_ifPKiSA_SA_iPKfiiiPfSD_PS3_PT2_iSC_SC_
; %bb.0:
	s_load_dwordx2 s[8:9], s[0:1], 0x30
	s_mov_b32 s16, s3
	s_mov_b64 s[6:7], 0
	s_waitcnt lgkmcnt(0)
	s_cmp_lg_u64 s[8:9], 0
	s_cselect_b64 s[10:11], -1, 0
	s_and_b64 vcc, exec, s[10:11]
	s_cbranch_vccz .LBB496_10
; %bb.1:
	s_add_i32 s12, s2, 1
	s_mov_b32 s13, 0
	s_lshl_b64 s[14:15], s[12:13], 2
	s_add_u32 s14, s8, s14
	s_mov_b32 s3, s13
	s_addc_u32 s15, s9, s15
	s_lshl_b64 s[12:13], s[2:3], 2
	s_add_u32 s12, s8, s12
	s_addc_u32 s13, s9, s13
	s_load_dword s5, s[14:15], 0x0
	s_load_dword s17, s[12:13], 0x0
	s_waitcnt lgkmcnt(0)
	s_sub_i32 s5, s5, s17
	s_cmp_eq_u32 s5, 1
	s_cselect_b64 s[12:13], -1, 0
	s_andn2_b64 vcc, exec, s[6:7]
	s_cbranch_vccnz .LBB496_3
.LBB496_2:
	s_mov_b32 s3, 0
	s_mov_b64 s[12:13], -1
.LBB496_3:
	s_andn2_b64 vcc, exec, s[12:13]
	s_cbranch_vccnz .LBB496_25
; %bb.4:
	s_load_dword s5, s[0:1], 0x9c
	s_load_dwordx2 s[6:7], s[0:1], 0x28
	s_add_u32 s20, s0, 0x90
	s_addc_u32 s21, s1, 0
	s_lshl_b64 s[24:25], s[2:3], 2
	s_waitcnt lgkmcnt(0)
	s_and_b32 s5, s5, 0xffff
	s_add_u32 s6, s6, s24
	s_addc_u32 s7, s7, s25
	s_load_dword s3, s[6:7], 0x0
	s_mul_i32 s5, s16, s5
	s_waitcnt lgkmcnt(0)
	s_cmp_ge_i32 s5, s3
	s_cbranch_scc1 .LBB496_25
; %bb.5:
	v_and_b32_e32 v2, 0xc0, v0
	v_add_u32_e32 v2, s5, v2
	v_lshrrev_b32_e32 v1, 6, v0
	v_cmp_gt_i32_e64 s[6:7], s3, v2
	v_cmp_le_i32_e32 vcc, s3, v2
                                        ; implicit-def: $sgpr26
                                        ; implicit-def: $sgpr17
	s_and_saveexec_b64 s[12:13], vcc
	s_xor_b64 s[12:13], exec, s[12:13]
	s_cbranch_execz .LBB496_7
; %bb.6:
	v_mul_u32_u24_e32 v2, 20, v1
	v_or_b32_e32 v2, 0xa00, v2
	v_mov_b32_e32 v3, 0xa50
	v_mov_b32_e32 v4, 0xff7fffff
	v_mad_u32_u24 v3, v1, 20, v3
	ds_write2_b32 v2, v4, v4 offset1:1
	v_mov_b32_e32 v2, 0
	ds_write2_b32 v3, v2, v2 offset1:1
	v_mov_b32_e32 v3, 0xa08
	s_mov_b32 s17, 0xff7fffff
	s_mov_b32 s26, 0
	v_mad_u32_u24 v3, v1, 20, v3
	v_mov_b32_e32 v5, 0xa58
	v_mad_u32_u24 v5, v1, 20, v5
	ds_write2_b32 v3, v4, v4 offset1:1
	ds_write2_b32 v5, v2, v2 offset1:1
                                        ; implicit-def: $vgpr2
.LBB496_7:
	s_or_saveexec_b64 s[22:23], s[12:13]
	s_load_dwordx2 s[18:19], s[0:1], 0x68
	s_load_dwordx4 s[12:15], s[0:1], 0x58
	s_load_dword s33, s[20:21], 0x4
	v_and_b32_e32 v46, 63, v0
	v_and_b32_e32 v47, 3, v0
	v_mov_b32_e32 v37, s26
	v_mov_b32_e32 v40, s17
	;; [unrolled: 1-line block ×5, first 2 shown]
                                        ; implicit-def: $vgpr3
                                        ; implicit-def: $vgpr7
                                        ; implicit-def: $vgpr11
                                        ; implicit-def: $vgpr15
                                        ; implicit-def: $vgpr19
                                        ; implicit-def: $vgpr23
                                        ; implicit-def: $vgpr27
                                        ; implicit-def: $vgpr31
	s_xor_b64 exec, exec, s[22:23]
	s_cbranch_execz .LBB496_19
; %bb.8:
	s_add_i32 s28, s3, 31
	s_ashr_i32 s29, s28, 31
	s_lshr_b32 s29, s29, 27
	v_add_u32_e32 v48, s5, v0
	s_add_i32 s28, s28, s29
	v_ashrrev_i32_e32 v3, 31, v48
	s_load_dwordx2 s[26:27], s[0:1], 0x20
	s_load_dword s17, s[0:1], 0x38
	s_ashr_i32 s28, s28, 5
	v_lshrrev_b32_e32 v3, 27, v3
	s_add_i32 s30, s28, -1
	v_add_u32_e32 v3, v48, v3
	v_ashrrev_i32_e32 v3, 5, v3
	v_mov_b32_e32 v4, s30
	v_cmp_gt_i32_e32 vcc, s3, v48
	s_waitcnt lgkmcnt(0)
	s_mul_i32 s28, s2, s17
	s_mov_b32 s29, 0
	v_cndmask_b32_e32 v4, v4, v3, vcc
	v_ashrrev_i32_e32 v3, 31, v2
	v_lshrrev_b32_e32 v3, 27, v3
	v_add_u32_e32 v2, v2, v3
	s_lshl_b64 s[28:29], s[28:29], 2
	v_ashrrev_i32_e32 v8, 5, v2
	s_add_u32 s26, s26, s28
	v_min_i32_e32 v2, s30, v8
	s_addc_u32 s27, s27, s29
	v_ashrrev_i32_e32 v3, 31, v2
	v_lshl_add_u64 v[6:7], v[2:3], 2, s[26:27]
	v_add_u32_e32 v2, 1, v8
	v_ashrrev_i32_e32 v5, 31, v4
	v_min_i32_e32 v2, s30, v2
	v_lshl_add_u64 v[4:5], v[4:5], 2, s[26:27]
	v_ashrrev_i32_e32 v3, 31, v2
	v_lshl_add_u64 v[8:9], v[2:3], 2, s[26:27]
	global_load_dword v2, v[4:5], off
	global_load_dword v14, v[6:7], off
	global_load_dword v22, v[8:9], off
	s_load_dwordx2 s[28:29], s[0:1], 0x8
	s_andn2_b64 vcc, exec, s[10:11]
	s_cbranch_vccnz .LBB496_11
; %bb.9:
	s_add_u32 s8, s8, s24
	s_addc_u32 s9, s9, s25
	s_load_dword s5, s[8:9], 0x0
	s_branch .LBB496_12
.LBB496_10:
	s_mov_b64 s[12:13], 0
	s_branch .LBB496_2
.LBB496_11:
	s_mov_b32 s5, s2
.LBB496_12:
	s_load_dwordx2 s[24:25], s[0:1], 0x10
	s_load_dwordx4 s[8:11], s[0:1], 0x48
	v_cmp_eq_u32_e32 vcc, 0, v47
	s_mov_b32 s27, 0
	v_mov_b32_e32 v45, 0
	v_mov_b32_e32 v24, 0
	;; [unrolled: 1-line block ×5, first 2 shown]
	s_and_saveexec_b64 s[30:31], vcc
	s_cbranch_execz .LBB496_14
; %bb.13:
	s_load_dwordx2 s[34:35], s[0:1], 0x0
	s_waitcnt lgkmcnt(0)
	s_ashr_i32 s11, s8, 31
	s_mul_hi_u32 s17, s5, s8
	s_mul_i32 s11, s5, s11
	s_add_i32 s37, s17, s11
	s_mul_i32 s36, s5, s8
	s_lshl_b64 s[36:37], s[36:37], 1
	s_add_u32 s5, s34, s36
	s_addc_u32 s8, s35, s37
	s_lshl_b32 s26, s4, 6
	s_lshl_b64 s[34:35], s[26:27], 1
	s_add_u32 s34, s5, s34
	s_addc_u32 s35, s8, s35
	v_lshlrev_b32_e32 v3, 2, v46
	global_load_dwordx4 v[24:27], v3, s[34:35]
.LBB496_14:
	s_or_b64 exec, exec, s[30:31]
	s_waitcnt lgkmcnt(0)
	s_mul_i32 s26, s4, s10
	s_lshl_b64 s[10:11], s[26:27], 1
	s_add_u32 s28, s10, s28
	s_waitcnt vmcnt(2)
	v_mad_i64_i32 v[2:3], s[30:31], v2, s9, 0
	s_addc_u32 s29, s11, s29
	v_and_b32_e32 v4, 31, v0
	v_lshl_add_u64 v[2:3], v[2:3], 1, s[28:29]
	v_lshlrev_b32_e32 v44, 4, v4
	v_lshl_add_u64 v[16:17], v[2:3], 0, v[44:45]
	global_load_dwordx4 v[10:13], v[16:17], off
	global_load_dwordx4 v[6:9], v[16:17], off offset:512
	global_load_dwordx4 v[2:5], v[16:17], off offset:1024
	;; [unrolled: 1-line block ×7, first 2 shown]
	v_mov_b32_e32 v44, 0
	s_and_saveexec_b64 s[28:29], vcc
	s_cbranch_execz .LBB496_16
; %bb.15:
	s_load_dwordx2 s[30:31], s[0:1], 0x40
	s_mov_b32 s5, s27
	s_lshl_b64 s[26:27], s[4:5], 2
	v_mov_b32_e32 v45, 1.0
	s_waitcnt lgkmcnt(0)
	s_add_u32 s26, s30, s26
	s_addc_u32 s27, s31, s27
	s_load_dword s5, s[26:27], 0x0
	s_waitcnt lgkmcnt(0)
	v_mov_b32_e32 v44, s5
.LBB496_16:
	s_or_b64 exec, exec, s[28:29]
	s_waitcnt vmcnt(7)
	v_mfma_f32_4x4x4_16b_bf16 a[0:3], v[24:25], v[10:11], 0 cbsz:4
	s_add_u32 s10, s24, s10
	v_mul_hi_i32 v15, v14, s9
	v_mfma_f32_4x4x4_16b_bf16 a[0:3], v[26:27], v[12:13], a[0:3] cbsz:4
	s_addc_u32 s11, s25, s11
	v_lshlrev_b32_e32 v50, 6, v46
	s_waitcnt vmcnt(6)
	v_mfma_f32_4x4x4_16b_bf16 a[0:3], v[24:25], v[6:7], a[0:3] cbsz:4 abid:1
	v_mov_b32_e32 v51, 0
	v_ashrrev_i32_e32 v15, 31, v15
	v_mfma_f32_4x4x4_16b_bf16 a[0:3], v[26:27], v[8:9], a[0:3] cbsz:4 abid:1
	v_mul_hi_i32 v23, v22, s9
	v_lshl_add_u64 v[52:53], s[10:11], 0, v[50:51]
	s_waitcnt vmcnt(5)
	v_mfma_f32_4x4x4_16b_bf16 a[0:3], v[24:25], v[2:3], a[0:3] cbsz:4 abid:2
	v_lshrrev_b32_e32 v50, 29, v15
	v_ashrrev_i32_e32 v23, 31, v23
	v_mfma_f32_4x4x4_16b_bf16 a[0:3], v[26:27], v[4:5], a[0:3] cbsz:4 abid:2
	s_load_dword s0, s[0:1], 0x1c
	v_mad_i64_i32 v[10:11], s[10:11], v14, s9, v[50:51]
	s_waitcnt vmcnt(4)
	v_mfma_f32_4x4x4_16b_bf16 a[0:3], v[24:25], v[40:41], a[0:3] cbsz:4 abid:3
	v_lshrrev_b32_e32 v50, 29, v23
	v_mad_i64_i32 v[22:23], s[8:9], v22, s9, v[50:51]
	v_mfma_f32_4x4x4_16b_bf16 a[0:3], v[26:27], v[42:43], a[0:3] cbsz:4 abid:3
	v_lshlrev_b64 v[6:7], 1, v[10:11]
	v_lshlrev_b64 v[22:23], 1, v[22:23]
	s_waitcnt vmcnt(3)
	v_mfma_f32_4x4x4_16b_bf16 a[0:3], v[24:25], v[36:37], a[0:3] cbsz:4 abid:4
	v_and_b32_e32 v6, -16, v6
	v_and_b32_e32 v22, -16, v22
	v_mfma_f32_4x4x4_16b_bf16 a[0:3], v[26:27], v[38:39], a[0:3] cbsz:4 abid:4
	v_lshl_add_u64 v[54:55], v[52:53], 0, v[6:7]
	global_load_dwordx4 v[2:5], v[54:55], off
	global_load_dwordx4 v[6:9], v[54:55], off offset:16
	s_waitcnt vmcnt(4)
	v_mfma_f32_4x4x4_16b_bf16 a[0:3], v[24:25], v[32:33], a[0:3] cbsz:4 abid:5
	global_load_dwordx4 v[10:13], v[54:55], off offset:32
	global_load_dwordx4 v[14:17], v[54:55], off offset:48
	v_mfma_f32_4x4x4_16b_bf16 a[0:3], v[26:27], v[34:35], a[0:3] cbsz:4 abid:5
	v_lshl_add_u64 v[34:35], v[52:53], 0, v[22:23]
	v_cmp_eq_u32_e32 vcc, 1, v47
	s_waitcnt vmcnt(5)
	v_mfma_f32_4x4x4_16b_bf16 a[0:3], v[24:25], v[18:19], a[0:3] cbsz:4 abid:6
	v_mov_b32_e32 v41, 0xff7fffff
	s_nop 0
	v_mfma_f32_4x4x4_16b_bf16 a[0:3], v[26:27], v[20:21], a[0:3] cbsz:4 abid:6
	s_waitcnt vmcnt(4)
	s_nop 0
	v_mfma_f32_4x4x4_16b_bf16 a[0:3], v[24:25], v[28:29], a[0:3] cbsz:4 abid:7
	global_load_dwordx4 v[18:21], v[34:35], off
	global_load_dwordx4 v[22:25], v[34:35], off offset:16
	v_mfma_f32_4x4x4_16b_bf16 a[0:3], v[26:27], v[30:31], a[0:3] cbsz:4 abid:7
	s_nop 4
	v_accvgpr_read_b32 v27, a1
	v_accvgpr_read_b32 v26, a0
	s_waitcnt lgkmcnt(0)
	v_pk_mul_f32 v[36:37], s[0:1], v[26:27] op_sel_hi:[0,1]
	global_load_dwordx4 v[26:29], v[34:35], off offset:32
	global_load_dwordx4 v[30:33], v[34:35], off offset:48
	v_accvgpr_read_b32 v35, a3
	v_accvgpr_read_b32 v34, a2
	v_pk_mul_f32 v[34:35], s[0:1], v[34:35] op_sel_hi:[0,1]
	v_mfma_f32_4x4x1_16b_f32 a[0:3], v36, v45, 0
	v_cndmask_b32_e64 v36, 0, 1.0, vcc
	v_cmp_eq_u32_e32 vcc, 2, v47
	s_nop 0
	v_mfma_f32_4x4x1_16b_f32 a[0:3], v37, v36, a[0:3]
	v_cndmask_b32_e64 v36, 0, 1.0, vcc
	v_cmp_eq_u32_e32 vcc, 3, v47
	s_nop 0
	v_mfma_f32_4x4x1_16b_f32 a[0:3], v34, v36, a[0:3]
	v_cndmask_b32_e64 v34, 0, 1.0, vcc
	s_nop 1
	v_mfma_f32_4x4x1_16b_f32 a[0:3], v35, v34, a[0:3]
	v_and_b32_e32 v34, -4, v48
	v_subrev_u32_e32 v35, s3, v34
	v_add_u32_e32 v36, 1, v35
	v_cvt_f32_i32_e32 v36, v36
	v_add_u32_e32 v37, 2, v35
	v_cvt_f32_i32_e32 v37, v37
	v_accvgpr_read_b32 v38, a0
	v_fma_f32 v36, v44, v36, v38
	v_accvgpr_read_b32 v38, a1
	v_fma_f32 v37, v44, v37, v38
	v_add_u32_e32 v38, 3, v35
	v_cvt_f32_i32_e32 v38, v38
	v_add_u32_e32 v35, 4, v35
	v_max_f32_e32 v40, 0xff7fffff, v36
	v_cmp_gt_i32_e32 vcc, s3, v34
	v_cvt_f32_i32_e32 v35, v35
	v_accvgpr_read_b32 v39, a2
	v_cndmask_b32_e32 v40, v41, v40, vcc
	v_or_b32_e32 v41, 1, v34
	v_max_f32_e32 v42, v40, v37
	v_cmp_gt_i32_e64 s[0:1], s3, v41
	v_fma_f32 v38, v44, v38, v39
	v_or_b32_e32 v34, 2, v34
	v_cndmask_b32_e64 v40, v40, v42, s[0:1]
	v_accvgpr_read_b32 v39, a3
	v_max_f32_e32 v41, v40, v38
	v_cmp_gt_i32_e64 s[8:9], s3, v34
	v_fmac_f32_e32 v39, v44, v35
	v_lshlrev_b32_e32 v35, 2, v0
	v_cndmask_b32_e64 v34, v40, v41, s[8:9]
	v_or_b32_e32 v40, 3, v48
	v_max_f32_e32 v41, v34, v39
	v_cmp_gt_i32_e64 s[10:11], s3, v40
	v_and_or_b32 v35, v35, 48, v47
	s_nop 0
	v_cndmask_b32_e64 v34, v34, v41, s[10:11]
	;;#ASMSTART
	v_nop
 v_nop
 v_max_f32_dpp v34, v34, v34 row_ror:4
	;;#ASMEND
	v_lshlrev_b32_e32 v41, 2, v35
	;;#ASMSTART
	v_nop
 v_nop
 v_max_f32_dpp v34, v34, v34 row_ror:8
	;;#ASMEND
	ds_bpermute_b32 v34, v41, v34
	s_waitcnt lgkmcnt(0)
	;;#ASMSTART
	v_nop
 v_nop
 v_max_f32_dpp v34, v34, v34 row_ror:4
	;;#ASMEND
	s_nop 0
	;;#ASMSTART
	v_nop
 v_nop
 v_max_f32_dpp v40, v34, v34 row_ror:8
	;;#ASMEND
	s_nop 0
	v_sub_f32_e32 v34, v36, v40
	v_mul_f32_e32 v34, 0x3fb8aa3b, v34
	v_sub_f32_e32 v35, v37, v40
	v_exp_f32_e32 v34, v34
	v_mul_f32_e32 v35, 0x3fb8aa3b, v35
	v_sub_f32_e32 v37, v38, v40
	v_exp_f32_e32 v35, v35
	;; [unrolled: 3-line block ×3, first 2 shown]
	v_mul_f32_e32 v38, 0x3fb8aa3b, v38
	v_exp_f32_e32 v38, v38
	v_cndmask_b32_e32 v34, 0, v34, vcc
	v_add_f32_e32 v36, 0, v34
	v_cndmask_b32_e64 v35, 0, v35, s[0:1]
	v_add_f32_e32 v39, v36, v35
	v_cndmask_b32_e64 v36, 0, v37, s[8:9]
	;; [unrolled: 2-line block ×3, first 2 shown]
	v_add_f32_e32 v38, v39, v37
	;;#ASMSTART
	v_nop
 v_nop
 v_add_f32_dpp v38, v38, v38 row_ror:4
	;;#ASMEND
	v_cmp_gt_u32_e32 vcc, 4, v46
	;;#ASMSTART
	v_nop
 v_nop
 v_add_f32_dpp v38, v38, v38 row_ror:8
	;;#ASMEND
	ds_bpermute_b32 v38, v41, v38
	s_waitcnt lgkmcnt(0)
	;;#ASMSTART
	v_nop
 v_nop
 v_add_f32_dpp v38, v38, v38 row_ror:4
	;;#ASMEND
	s_nop 0
	;;#ASMSTART
	v_nop
 v_nop
 v_add_f32_dpp v38, v38, v38 row_ror:8
	;;#ASMEND
	s_and_saveexec_b64 s[0:1], vcc
	s_cbranch_execz .LBB496_18
; %bb.17:
	v_mul_u32_u24_e32 v39, 20, v1
	v_lshl_add_u32 v39, v47, 2, v39
	v_add_u32_e32 v39, 0x800, v39
	ds_write2_b32 v39, v40, v38 offset0:128 offset1:148
.LBB496_18:
	s_or_b64 exec, exec, s[0:1]
.LBB496_19:
	s_or_b64 exec, exec, s[22:23]
	s_waitcnt lgkmcnt(0)
	s_barrier
	s_load_dword s0, s[20:21], 0x8
	v_lshlrev_b32_e32 v38, 2, v47
	v_add_u32_e32 v48, 0x800, v38
	ds_read2_b32 v[38:39], v48 offset0:128 offset1:133
	ds_read2_b32 v[42:43], v48 offset0:138 offset1:143
	s_mul_i32 s1, s33, s2
	s_waitcnt lgkmcnt(0)
	s_mul_i32 s0, s1, s0
	s_mov_b32 s1, 0xff7fffff
	v_max3_f32 v41, v38, s1, v39
	v_max3_f32 v41, v41, v42, v43
	v_sub_f32_e32 v38, v38, v41
	ds_read2_b32 v[44:45], v48 offset0:148 offset1:153
	v_mul_f32_e32 v38, 0x3fb8aa3b, v38
	v_sub_f32_e32 v39, v39, v41
	v_sub_f32_e32 v42, v42, v41
	v_exp_f32_e32 v50, v38
	v_mul_f32_e32 v39, 0x3fb8aa3b, v39
	v_mul_f32_e32 v42, 0x3fb8aa3b, v42
	v_exp_f32_e32 v39, v39
	ds_read2_b32 v[48:49], v48 offset0:158 offset1:163
	v_exp_f32_e32 v51, v42
	v_sub_f32_e32 v42, v43, v41
	v_mul_f32_e32 v42, 0x3fb8aa3b, v42
	v_exp_f32_e32 v43, v42
	s_waitcnt lgkmcnt(1)
	v_fma_f32 v42, v50, v44, 0
	v_fmac_f32_e32 v42, v39, v45
	s_waitcnt lgkmcnt(0)
	v_fmac_f32_e32 v42, v51, v48
	v_mov_b32_e32 v38, 0
	v_fmac_f32_e32 v42, v43, v49
	s_mov_b32 s1, 0
	v_cmp_eq_u32_e32 vcc, 0, v47
	s_and_saveexec_b64 s[2:3], vcc
	s_cbranch_execz .LBB496_21
; %bb.20:
	s_lshl_b64 s[8:9], s[0:1], 2
	s_add_u32 s5, s12, s8
	s_mov_b32 s17, s1
	s_addc_u32 s12, s13, s9
	s_lshl_b64 s[10:11], s[16:17], 2
	s_add_u32 s5, s5, s10
	s_addc_u32 s12, s12, s11
	s_add_u32 s8, s14, s8
	s_addc_u32 s9, s15, s9
	;; [unrolled: 2-line block ×3, first 2 shown]
	s_mul_i32 s8, s33, s4
	s_mov_b32 s9, s1
	s_lshl_b64 s[8:9], s[8:9], 2
	s_add_u32 s10, s5, s8
	s_addc_u32 s11, s12, s9
	s_add_u32 s8, s13, s8
	s_addc_u32 s9, s14, s9
	global_store_dword v38, v41, s[8:9]
	global_store_dword v38, v42, s[10:11]
.LBB496_21:
	s_or_b64 exec, exec, s[2:3]
	v_mov_b32_e32 v39, 0
	s_and_saveexec_b64 s[2:3], s[6:7]
	s_cbranch_execz .LBB496_23
; %bb.22:
	v_add_f32_e32 v38, 0x358637bd, v42
	v_div_scale_f32 v39, s[6:7], v38, v38, 1.0
	v_rcp_f32_e32 v42, v39
	v_div_scale_f32 v43, vcc, 1.0, v38, 1.0
	v_sub_f32_e32 v40, v40, v41
	v_fma_f32 v44, -v39, v42, 1.0
	v_fmac_f32_e32 v42, v44, v42
	v_mul_f32_e32 v44, v43, v42
	v_fma_f32 v45, -v39, v44, v43
	v_mul_f32_e32 v40, 0x3fb8aa3b, v40
	v_fmac_f32_e32 v44, v45, v42
	v_exp_f32_e32 v40, v40
	v_fma_f32 v39, -v39, v44, v43
	v_div_fmas_f32 v39, v39, v42, v44
	v_div_fixup_f32 v38, v39, v38, 1.0
	v_mul_f32_e32 v38, v40, v38
	v_pk_mul_f32 v[34:35], v[34:35], v[38:39] op_sel_hi:[1,0]
	v_pk_mul_f32 v[36:37], v[36:37], v[38:39] op_sel_hi:[1,0]
	v_bfe_u32 v38, v35, 16, 1
	v_bfe_u32 v39, v34, 16, 1
	s_movk_i32 s1, 0x7fff
	v_add3_u32 v34, v34, v39, s1
	v_add3_u32 v35, v35, v38, s1
	s_mov_b32 s5, 0x7060302
	v_perm_b32 v34, v35, v34, s5
	v_bfe_u32 v35, v37, 16, 1
	v_bfe_u32 v38, v36, 16, 1
	v_add3_u32 v36, v36, v38, s1
	v_add3_u32 v35, v37, v35, s1
	v_perm_b32 v35, v35, v36, s5
	s_waitcnt vmcnt(7)
	s_nop 0
	v_mfma_f32_4x4x4_16b_bf16 a[0:3], v[34:35], v[2:3], 0 cbsz:4
	s_nop 1
	v_mfma_f32_4x4x4_16b_bf16 a[0:3], v[34:35], v[4:5], a[0:3] cbsz:4 abid:1
	s_waitcnt vmcnt(6)
	s_nop 0
	v_mfma_f32_4x4x4_16b_bf16 a[0:3], v[34:35], v[6:7], a[0:3] cbsz:4 abid:2
	s_nop 1
	v_mfma_f32_4x4x4_16b_bf16 a[0:3], v[34:35], v[8:9], a[0:3] cbsz:4 abid:3
	s_waitcnt vmcnt(5)
	s_nop 0
	v_mfma_f32_4x4x4_16b_bf16 a[0:3], v[34:35], v[10:11], a[0:3] cbsz:4 abid:4
	;; [unrolled: 5-line block ×7, first 2 shown]
	s_nop 1
	v_mfma_f32_4x4x4_16b_bf16 a[0:3], v[34:35], v[32:33], a[0:3] cbsz:4 abid:15
	s_nop 4
	v_accvgpr_read_b32 v5, a1
	v_accvgpr_read_b32 v2, a2
	v_accvgpr_read_b32 v3, a3
	v_accvgpr_read_b32 v4, a0
	v_bfe_u32 v6, v5, 16, 1
	v_bfe_u32 v7, v4, 16, 1
	;; [unrolled: 1-line block ×3, first 2 shown]
	v_add3_u32 v5, v5, v6, s1
	v_bfe_u32 v6, v2, 16, 1
	v_add3_u32 v4, v4, v7, s1
	v_add3_u32 v2, v2, v6, s1
	v_add3_u32 v3, v3, v8, s1
	v_perm_b32 v39, v3, v2, s5
	v_perm_b32 v38, v5, v4, s5
.LBB496_23:
	s_or_b64 exec, exec, s[2:3]
	v_lshlrev_b32_e32 v1, 3, v1
	v_mad_u32_u24 v1, v46, 40, v1
	v_cmp_gt_u32_e32 vcc, 64, v0
	ds_write_b64 v1, v[38:39]
	s_waitcnt lgkmcnt(0)
	s_barrier
	s_and_saveexec_b64 s[2:3], vcc
	s_cbranch_execz .LBB496_25
; %bb.24:
	s_waitcnt vmcnt(6)
	v_mul_u32_u24_e32 v6, 40, v46
	ds_read2_b64 v[2:5], v6 offset1:1
	ds_read2_b64 v[6:9], v6 offset0:2 offset1:3
	s_lshl_b32 s0, s0, 6
	s_mov_b32 s1, 0
	s_lshl_b64 s[2:3], s[0:1], 1
	s_waitcnt lgkmcnt(1)
	v_lshlrev_b32_e32 v2, 16, v2
	v_add_f32_e32 v2, 0, v2
	s_add_u32 s2, s18, s2
	v_and_b32_e32 v2, 0xffff0000, v2
	v_lshlrev_b32_e32 v3, 16, v4
	s_addc_u32 s3, s19, s3
	s_lshl_b32 s0, s16, 6
	v_add_f32_e32 v2, v2, v3
	s_lshl_b64 s[0:1], s[0:1], 1
	v_and_b32_e32 v2, 0xffff0000, v2
	s_waitcnt lgkmcnt(0)
	v_lshlrev_b32_e32 v3, 16, v6
	s_add_u32 s0, s2, s0
	s_mul_i32 s2, s4, s33
	v_add_f32_e32 v2, v2, v3
	s_addc_u32 s1, s3, s1
	v_lshl_or_b32 v0, s2, 6, v0
	v_mov_b32_e32 v1, 0
	v_and_b32_e32 v2, 0xffff0000, v2
	v_lshlrev_b32_e32 v3, 16, v8
	v_lshl_add_u64 v[0:1], v[0:1], 1, s[0:1]
	v_add_f32_e32 v2, v2, v3
	global_store_short_d16_hi v[0:1], v2, off
.LBB496_25:
	s_endpgm
	.section	.rodata,"a",@progbits
	.p2align	6, 0x0
	.amdhsa_kernel _Z38paged_attention_ll4mi_QKV_mfma4_kernelI14__hip_bfloat16S0_LN4vllm18Fp8KVCacheDataTypeE0EhLi32ELi64ELi256ELb1ELi1EEvPKT_PKT0_S8_ifPKiSA_SA_iPKfiiiPfSD_PS3_PT2_iSC_SC_
		.amdhsa_group_segment_fixed_size 2720
		.amdhsa_private_segment_fixed_size 0
		.amdhsa_kernarg_size 400
		.amdhsa_user_sgpr_count 2
		.amdhsa_user_sgpr_dispatch_ptr 0
		.amdhsa_user_sgpr_queue_ptr 0
		.amdhsa_user_sgpr_kernarg_segment_ptr 1
		.amdhsa_user_sgpr_dispatch_id 0
		.amdhsa_user_sgpr_kernarg_preload_length 0
		.amdhsa_user_sgpr_kernarg_preload_offset 0
		.amdhsa_user_sgpr_private_segment_size 0
		.amdhsa_uses_dynamic_stack 0
		.amdhsa_enable_private_segment 0
		.amdhsa_system_sgpr_workgroup_id_x 1
		.amdhsa_system_sgpr_workgroup_id_y 1
		.amdhsa_system_sgpr_workgroup_id_z 1
		.amdhsa_system_sgpr_workgroup_info 0
		.amdhsa_system_vgpr_workitem_id 0
		.amdhsa_next_free_vgpr 60
		.amdhsa_next_free_sgpr 38
		.amdhsa_accum_offset 56
		.amdhsa_reserve_vcc 1
		.amdhsa_float_round_mode_32 0
		.amdhsa_float_round_mode_16_64 0
		.amdhsa_float_denorm_mode_32 3
		.amdhsa_float_denorm_mode_16_64 3
		.amdhsa_dx10_clamp 1
		.amdhsa_ieee_mode 1
		.amdhsa_fp16_overflow 0
		.amdhsa_tg_split 0
		.amdhsa_exception_fp_ieee_invalid_op 0
		.amdhsa_exception_fp_denorm_src 0
		.amdhsa_exception_fp_ieee_div_zero 0
		.amdhsa_exception_fp_ieee_overflow 0
		.amdhsa_exception_fp_ieee_underflow 0
		.amdhsa_exception_fp_ieee_inexact 0
		.amdhsa_exception_int_div_zero 0
	.end_amdhsa_kernel
	.section	.text._Z38paged_attention_ll4mi_QKV_mfma4_kernelI14__hip_bfloat16S0_LN4vllm18Fp8KVCacheDataTypeE0EhLi32ELi64ELi256ELb1ELi1EEvPKT_PKT0_S8_ifPKiSA_SA_iPKfiiiPfSD_PS3_PT2_iSC_SC_,"axG",@progbits,_Z38paged_attention_ll4mi_QKV_mfma4_kernelI14__hip_bfloat16S0_LN4vllm18Fp8KVCacheDataTypeE0EhLi32ELi64ELi256ELb1ELi1EEvPKT_PKT0_S8_ifPKiSA_SA_iPKfiiiPfSD_PS3_PT2_iSC_SC_,comdat
.Lfunc_end496:
	.size	_Z38paged_attention_ll4mi_QKV_mfma4_kernelI14__hip_bfloat16S0_LN4vllm18Fp8KVCacheDataTypeE0EhLi32ELi64ELi256ELb1ELi1EEvPKT_PKT0_S8_ifPKiSA_SA_iPKfiiiPfSD_PS3_PT2_iSC_SC_, .Lfunc_end496-_Z38paged_attention_ll4mi_QKV_mfma4_kernelI14__hip_bfloat16S0_LN4vllm18Fp8KVCacheDataTypeE0EhLi32ELi64ELi256ELb1ELi1EEvPKT_PKT0_S8_ifPKiSA_SA_iPKfiiiPfSD_PS3_PT2_iSC_SC_
                                        ; -- End function
	.section	.AMDGPU.csdata,"",@progbits
; Kernel info:
; codeLenInByte = 3120
; NumSgprs: 44
; NumVgprs: 56
; NumAgprs: 4
; TotalNumVgprs: 60
; ScratchSize: 0
; MemoryBound: 0
; FloatMode: 240
; IeeeMode: 1
; LDSByteSize: 2720 bytes/workgroup (compile time only)
; SGPRBlocks: 5
; VGPRBlocks: 7
; NumSGPRsForWavesPerEU: 44
; NumVGPRsForWavesPerEU: 60
; AccumOffset: 56
; Occupancy: 8
; WaveLimiterHint : 1
; COMPUTE_PGM_RSRC2:SCRATCH_EN: 0
; COMPUTE_PGM_RSRC2:USER_SGPR: 2
; COMPUTE_PGM_RSRC2:TRAP_HANDLER: 0
; COMPUTE_PGM_RSRC2:TGID_X_EN: 1
; COMPUTE_PGM_RSRC2:TGID_Y_EN: 1
; COMPUTE_PGM_RSRC2:TGID_Z_EN: 1
; COMPUTE_PGM_RSRC2:TIDIG_COMP_CNT: 0
; COMPUTE_PGM_RSRC3_GFX90A:ACCUM_OFFSET: 13
; COMPUTE_PGM_RSRC3_GFX90A:TG_SPLIT: 0
	.section	.text._Z38paged_attention_ll4mi_QKV_mfma4_kernelI14__hip_bfloat16S0_LN4vllm18Fp8KVCacheDataTypeE0EhLi32ELi64ELi256ELb1ELi2EEvPKT_PKT0_S8_ifPKiSA_SA_iPKfiiiPfSD_PS3_PT2_iSC_SC_,"axG",@progbits,_Z38paged_attention_ll4mi_QKV_mfma4_kernelI14__hip_bfloat16S0_LN4vllm18Fp8KVCacheDataTypeE0EhLi32ELi64ELi256ELb1ELi2EEvPKT_PKT0_S8_ifPKiSA_SA_iPKfiiiPfSD_PS3_PT2_iSC_SC_,comdat
	.protected	_Z38paged_attention_ll4mi_QKV_mfma4_kernelI14__hip_bfloat16S0_LN4vllm18Fp8KVCacheDataTypeE0EhLi32ELi64ELi256ELb1ELi2EEvPKT_PKT0_S8_ifPKiSA_SA_iPKfiiiPfSD_PS3_PT2_iSC_SC_ ; -- Begin function _Z38paged_attention_ll4mi_QKV_mfma4_kernelI14__hip_bfloat16S0_LN4vllm18Fp8KVCacheDataTypeE0EhLi32ELi64ELi256ELb1ELi2EEvPKT_PKT0_S8_ifPKiSA_SA_iPKfiiiPfSD_PS3_PT2_iSC_SC_
	.globl	_Z38paged_attention_ll4mi_QKV_mfma4_kernelI14__hip_bfloat16S0_LN4vllm18Fp8KVCacheDataTypeE0EhLi32ELi64ELi256ELb1ELi2EEvPKT_PKT0_S8_ifPKiSA_SA_iPKfiiiPfSD_PS3_PT2_iSC_SC_
	.p2align	8
	.type	_Z38paged_attention_ll4mi_QKV_mfma4_kernelI14__hip_bfloat16S0_LN4vllm18Fp8KVCacheDataTypeE0EhLi32ELi64ELi256ELb1ELi2EEvPKT_PKT0_S8_ifPKiSA_SA_iPKfiiiPfSD_PS3_PT2_iSC_SC_,@function
_Z38paged_attention_ll4mi_QKV_mfma4_kernelI14__hip_bfloat16S0_LN4vllm18Fp8KVCacheDataTypeE0EhLi32ELi64ELi256ELb1ELi2EEvPKT_PKT0_S8_ifPKiSA_SA_iPKfiiiPfSD_PS3_PT2_iSC_SC_: ; @_Z38paged_attention_ll4mi_QKV_mfma4_kernelI14__hip_bfloat16S0_LN4vllm18Fp8KVCacheDataTypeE0EhLi32ELi64ELi256ELb1ELi2EEvPKT_PKT0_S8_ifPKiSA_SA_iPKfiiiPfSD_PS3_PT2_iSC_SC_
; %bb.0:
	s_load_dwordx2 s[8:9], s[0:1], 0x30
	s_mov_b32 s16, s3
	s_mov_b64 s[6:7], 0
	s_waitcnt lgkmcnt(0)
	s_cmp_lg_u64 s[8:9], 0
	s_cselect_b64 s[10:11], -1, 0
	s_and_b64 vcc, exec, s[10:11]
	s_cbranch_vccz .LBB497_10
; %bb.1:
	s_add_i32 s12, s2, 1
	s_mov_b32 s13, 0
	s_lshl_b64 s[14:15], s[12:13], 2
	s_add_u32 s14, s8, s14
	s_mov_b32 s3, s13
	s_addc_u32 s15, s9, s15
	s_lshl_b64 s[12:13], s[2:3], 2
	s_add_u32 s12, s8, s12
	s_addc_u32 s13, s9, s13
	s_load_dword s5, s[14:15], 0x0
	s_load_dword s17, s[12:13], 0x0
	s_waitcnt lgkmcnt(0)
	s_sub_i32 s5, s5, s17
	s_cmp_eq_u32 s5, 1
	s_cselect_b64 s[12:13], -1, 0
	s_andn2_b64 vcc, exec, s[6:7]
	s_cbranch_vccnz .LBB497_3
.LBB497_2:
	s_mov_b32 s3, 0
	s_mov_b64 s[12:13], -1
.LBB497_3:
	s_andn2_b64 vcc, exec, s[12:13]
	s_cbranch_vccnz .LBB497_25
; %bb.4:
	s_load_dword s5, s[0:1], 0x9c
	s_load_dwordx2 s[6:7], s[0:1], 0x28
	s_add_u32 s20, s0, 0x90
	s_addc_u32 s21, s1, 0
	s_lshl_b64 s[24:25], s[2:3], 2
	s_waitcnt lgkmcnt(0)
	s_and_b32 s5, s5, 0xffff
	s_add_u32 s6, s6, s24
	s_addc_u32 s7, s7, s25
	s_load_dword s3, s[6:7], 0x0
	s_mul_i32 s5, s16, s5
	s_waitcnt lgkmcnt(0)
	s_cmp_ge_i32 s5, s3
	s_cbranch_scc1 .LBB497_25
; %bb.5:
	v_and_b32_e32 v2, 0xc0, v0
	v_add_u32_e32 v2, s5, v2
	v_lshrrev_b32_e32 v1, 6, v0
	v_cmp_gt_i32_e64 s[6:7], s3, v2
	v_cmp_le_i32_e32 vcc, s3, v2
                                        ; implicit-def: $sgpr26
                                        ; implicit-def: $sgpr17
	s_and_saveexec_b64 s[12:13], vcc
	s_xor_b64 s[12:13], exec, s[12:13]
	s_cbranch_execz .LBB497_7
; %bb.6:
	v_mul_u32_u24_e32 v2, 20, v1
	v_or_b32_e32 v2, 0xa00, v2
	v_mov_b32_e32 v3, 0xa50
	v_mov_b32_e32 v4, 0xff7fffff
	v_mad_u32_u24 v3, v1, 20, v3
	ds_write2_b32 v2, v4, v4 offset1:1
	v_mov_b32_e32 v2, 0
	ds_write2_b32 v3, v2, v2 offset1:1
	v_mov_b32_e32 v3, 0xa08
	s_mov_b32 s17, 0xff7fffff
	s_mov_b32 s26, 0
	v_mad_u32_u24 v3, v1, 20, v3
	v_mov_b32_e32 v5, 0xa58
	v_mad_u32_u24 v5, v1, 20, v5
	ds_write2_b32 v3, v4, v4 offset1:1
	ds_write2_b32 v5, v2, v2 offset1:1
                                        ; implicit-def: $vgpr2
.LBB497_7:
	s_or_saveexec_b64 s[22:23], s[12:13]
	s_load_dwordx2 s[18:19], s[0:1], 0x68
	s_load_dwordx4 s[12:15], s[0:1], 0x58
	s_load_dword s34, s[20:21], 0x4
	v_and_b32_e32 v44, 63, v0
	v_and_b32_e32 v45, 3, v0
	s_lshl_b32 s33, s4, 1
	v_mov_b32_e32 v37, s26
	v_mov_b32_e32 v40, s17
	;; [unrolled: 1-line block ×5, first 2 shown]
                                        ; implicit-def: $vgpr3
                                        ; implicit-def: $vgpr7
                                        ; implicit-def: $vgpr11
                                        ; implicit-def: $vgpr15
                                        ; implicit-def: $vgpr19
                                        ; implicit-def: $vgpr23
                                        ; implicit-def: $vgpr27
                                        ; implicit-def: $vgpr31
	s_xor_b64 exec, exec, s[22:23]
	s_cbranch_execz .LBB497_19
; %bb.8:
	s_add_i32 s28, s3, 31
	s_ashr_i32 s29, s28, 31
	s_lshr_b32 s29, s29, 27
	v_add_u32_e32 v46, s5, v0
	s_add_i32 s28, s28, s29
	v_ashrrev_i32_e32 v3, 31, v46
	s_load_dwordx2 s[26:27], s[0:1], 0x20
	s_load_dword s17, s[0:1], 0x38
	s_ashr_i32 s28, s28, 5
	v_lshrrev_b32_e32 v3, 27, v3
	s_add_i32 s30, s28, -1
	v_add_u32_e32 v3, v46, v3
	v_ashrrev_i32_e32 v3, 5, v3
	v_mov_b32_e32 v4, s30
	v_cmp_gt_i32_e32 vcc, s3, v46
	s_waitcnt lgkmcnt(0)
	s_mul_i32 s28, s2, s17
	s_mov_b32 s29, 0
	v_cndmask_b32_e32 v4, v4, v3, vcc
	v_ashrrev_i32_e32 v3, 31, v2
	v_lshrrev_b32_e32 v3, 27, v3
	v_add_u32_e32 v2, v2, v3
	s_lshl_b64 s[28:29], s[28:29], 2
	v_ashrrev_i32_e32 v8, 5, v2
	s_add_u32 s26, s26, s28
	v_min_i32_e32 v2, s30, v8
	s_addc_u32 s27, s27, s29
	v_ashrrev_i32_e32 v3, 31, v2
	v_lshl_add_u64 v[6:7], v[2:3], 2, s[26:27]
	v_add_u32_e32 v2, 1, v8
	v_ashrrev_i32_e32 v5, 31, v4
	v_min_i32_e32 v2, s30, v2
	v_lshl_add_u64 v[4:5], v[4:5], 2, s[26:27]
	v_ashrrev_i32_e32 v3, 31, v2
	v_lshl_add_u64 v[8:9], v[2:3], 2, s[26:27]
	global_load_dword v2, v[4:5], off
	global_load_dword v16, v[6:7], off
	;; [unrolled: 1-line block ×3, first 2 shown]
	s_load_dwordx2 s[26:27], s[0:1], 0x8
	s_andn2_b64 vcc, exec, s[10:11]
	s_cbranch_vccnz .LBB497_11
; %bb.9:
	s_add_u32 s8, s8, s24
	s_addc_u32 s9, s9, s25
	s_load_dword s5, s[8:9], 0x0
	s_branch .LBB497_12
.LBB497_10:
	s_mov_b64 s[12:13], 0
	s_branch .LBB497_2
.LBB497_11:
	s_mov_b32 s5, s2
.LBB497_12:
	s_load_dwordx2 s[24:25], s[0:1], 0x10
	s_load_dwordx4 s[8:11], s[0:1], 0x48
	v_cmp_gt_u32_e32 vcc, 2, v45
	s_mov_b32 s29, 0
	v_mov_b32_e32 v7, 0
	v_mov_b32_e32 v32, 0
	v_mov_b32_e32 v33, 0
	v_mov_b32_e32 v34, 0
	v_mov_b32_e32 v35, 0
	s_and_saveexec_b64 s[30:31], vcc
	s_cbranch_execz .LBB497_14
; %bb.13:
	s_load_dwordx2 s[36:37], s[0:1], 0x0
	s_waitcnt lgkmcnt(0)
	s_ashr_i32 s11, s8, 31
	s_mul_hi_u32 s17, s5, s8
	s_mul_i32 s11, s5, s11
	s_add_i32 s39, s17, s11
	s_mul_i32 s38, s5, s8
	s_lshl_b64 s[38:39], s[38:39], 1
	s_add_u32 s5, s36, s38
	s_addc_u32 s8, s37, s39
	s_lshl_b32 s28, s4, 7
	s_lshl_b64 s[36:37], s[28:29], 1
	s_add_u32 s36, s5, s36
	v_lshlrev_b32_e32 v3, 3, v45
	v_lshrrev_b32_e32 v4, 2, v44
	s_addc_u32 s37, s8, s37
	v_add_lshl_u32 v3, v3, v4, 4
	global_load_dwordx4 v[32:35], v3, s[36:37]
.LBB497_14:
	s_or_b64 exec, exec, s[30:31]
	s_waitcnt lgkmcnt(0)
	s_mul_i32 s28, s4, s10
	s_lshl_b64 s[4:5], s[28:29], 1
	s_add_u32 s10, s4, s26
	s_waitcnt vmcnt(2)
	v_mad_i64_i32 v[2:3], s[30:31], v2, s9, 0
	s_addc_u32 s11, s5, s27
	v_and_b32_e32 v4, 31, v0
	v_lshl_add_u64 v[2:3], v[2:3], 1, s[10:11]
	v_lshlrev_b32_e32 v6, 4, v4
	v_lshl_add_u64 v[48:49], v[2:3], 0, v[6:7]
	global_load_dwordx4 v[12:15], v[48:49], off
	global_load_dwordx4 v[2:5], v[48:49], off offset:512
	global_load_dwordx4 v[8:11], v[48:49], off offset:1024
	;; [unrolled: 1-line block ×7, first 2 shown]
	v_mov_b32_e32 v47, 0
	s_and_saveexec_b64 s[10:11], vcc
	s_cbranch_execz .LBB497_16
; %bb.15:
	s_load_dwordx2 s[26:27], s[0:1], 0x40
	v_or_b32_e32 v48, s33, v45
	v_mov_b32_e32 v49, 0
	s_waitcnt lgkmcnt(0)
	v_lshl_add_u64 v[48:49], v[48:49], 2, s[26:27]
	global_load_dword v47, v[48:49], off
.LBB497_16:
	s_or_b64 exec, exec, s[10:11]
	s_waitcnt vmcnt(7)
	v_mfma_f32_4x4x4_16b_bf16 a[0:3], v[32:33], v[12:13], 0 cbsz:4
	s_add_u32 s4, s24, s4
	s_addc_u32 s5, s25, s5
	v_mfma_f32_4x4x4_16b_bf16 a[0:3], v[34:35], v[14:15], a[0:3] cbsz:4
	v_lshlrev_b32_e32 v6, 6, v44
	v_lshl_add_u64 v[48:49], s[4:5], 0, v[6:7]
	s_waitcnt vmcnt(6)
	v_mfma_f32_4x4x4_16b_bf16 a[0:3], v[32:33], v[2:3], a[0:3] cbsz:4 abid:1
	v_mul_hi_i32 v6, v16, s9
	v_ashrrev_i32_e32 v6, 31, v6
	v_mfma_f32_4x4x4_16b_bf16 a[0:3], v[34:35], v[4:5], a[0:3] cbsz:4 abid:1
	v_mul_hi_i32 v31, v30, s9
	v_lshrrev_b32_e32 v50, 29, v6
	s_waitcnt vmcnt(5)
	v_mfma_f32_4x4x4_16b_bf16 a[0:3], v[32:33], v[8:9], a[0:3] cbsz:4 abid:2
	v_mov_b32_e32 v51, 0
	v_ashrrev_i32_e32 v31, 31, v31
	v_mfma_f32_4x4x4_16b_bf16 a[0:3], v[34:35], v[10:11], a[0:3] cbsz:4 abid:2
	v_mad_i64_i32 v[6:7], s[4:5], v16, s9, v[50:51]
	s_waitcnt vmcnt(4)
	v_mfma_f32_4x4x4_16b_bf16 a[0:3], v[32:33], v[40:41], a[0:3] cbsz:4 abid:3
	v_lshrrev_b32_e32 v50, 29, v31
	v_lshlrev_b64 v[6:7], 1, v[6:7]
	v_mfma_f32_4x4x4_16b_bf16 a[0:3], v[34:35], v[42:43], a[0:3] cbsz:4 abid:3
	v_and_b32_e32 v6, -16, v6
	v_lshl_add_u64 v[52:53], v[48:49], 0, v[6:7]
	s_waitcnt vmcnt(3)
	v_mfma_f32_4x4x4_16b_bf16 a[0:3], v[32:33], v[26:27], a[0:3] cbsz:4 abid:4
	v_mad_i64_i32 v[26:27], s[4:5], v30, s9, v[50:51]
	s_nop 0
	v_mfma_f32_4x4x4_16b_bf16 a[0:3], v[34:35], v[28:29], a[0:3] cbsz:4 abid:4
	global_load_dwordx4 v[2:5], v[52:53], off
	global_load_dwordx4 v[6:9], v[52:53], off offset:16
	s_waitcnt vmcnt(4)
	v_mfma_f32_4x4x4_16b_bf16 a[0:3], v[32:33], v[22:23], a[0:3] cbsz:4 abid:5
	v_lshlrev_b64 v[22:23], 1, v[26:27]
	v_and_b32_e32 v22, -16, v22
	v_mfma_f32_4x4x4_16b_bf16 a[0:3], v[34:35], v[24:25], a[0:3] cbsz:4 abid:5
	v_lshl_add_u64 v[40:41], v[48:49], 0, v[22:23]
	global_load_dwordx4 v[10:13], v[52:53], off offset:32
	global_load_dwordx4 v[14:17], v[52:53], off offset:48
	s_waitcnt vmcnt(5)
	v_mfma_f32_4x4x4_16b_bf16 a[0:3], v[32:33], v[18:19], a[0:3] cbsz:4 abid:6
	s_load_dword s0, s[0:1], 0x1c
	v_cmp_eq_u32_e32 vcc, 0, v45
	v_mfma_f32_4x4x4_16b_bf16 a[0:3], v[34:35], v[20:21], a[0:3] cbsz:4 abid:6
	global_load_dwordx4 v[18:21], v[40:41], off
	global_load_dwordx4 v[22:25], v[40:41], off offset:16
	s_waitcnt vmcnt(6)
	v_mfma_f32_4x4x4_16b_bf16 a[0:3], v[32:33], v[36:37], a[0:3] cbsz:4 abid:7
	global_load_dwordx4 v[26:29], v[40:41], off offset:32
	global_load_dwordx4 v[30:33], v[40:41], off offset:48
	v_mfma_f32_4x4x4_16b_bf16 a[0:3], v[34:35], v[38:39], a[0:3] cbsz:4 abid:7
	v_cndmask_b32_e64 v38, 0, 1.0, vcc
	v_cmp_eq_u32_e32 vcc, 1, v45
	v_mov_b32_e32 v41, 0xff7fffff
	s_nop 1
	v_accvgpr_read_b32 v37, a1
	v_accvgpr_read_b32 v36, a0
	s_waitcnt lgkmcnt(0)
	v_pk_mul_f32 v[36:37], s[0:1], v[36:37] op_sel_hi:[0,1]
	v_accvgpr_read_b32 v35, a3
	v_accvgpr_read_b32 v34, a2
	v_pk_mul_f32 v[34:35], s[0:1], v[34:35] op_sel_hi:[0,1]
	v_mfma_f32_4x4x1_16b_f32 a[0:3], v36, v38, 0
	v_cndmask_b32_e64 v36, 0, 1.0, vcc
	v_cmp_eq_u32_e32 vcc, 2, v45
	s_nop 0
	v_mfma_f32_4x4x1_16b_f32 a[0:3], v37, v36, a[0:3]
	v_cndmask_b32_e64 v36, 0, 1.0, vcc
	v_cmp_eq_u32_e32 vcc, 3, v45
	s_nop 0
	v_mfma_f32_4x4x1_16b_f32 a[0:3], v34, v36, a[0:3]
	v_cndmask_b32_e64 v34, 0, 1.0, vcc
	s_nop 1
	v_mfma_f32_4x4x1_16b_f32 a[0:3], v35, v34, a[0:3]
	v_and_b32_e32 v34, -4, v46
	v_subrev_u32_e32 v35, s3, v34
	v_add_u32_e32 v36, 1, v35
	v_cvt_f32_i32_e32 v36, v36
	v_add_u32_e32 v37, 2, v35
	v_cvt_f32_i32_e32 v37, v37
	v_accvgpr_read_b32 v38, a0
	v_fma_f32 v36, v47, v36, v38
	v_accvgpr_read_b32 v38, a1
	v_fma_f32 v37, v47, v37, v38
	v_add_u32_e32 v38, 3, v35
	v_cvt_f32_i32_e32 v38, v38
	v_add_u32_e32 v35, 4, v35
	v_max_f32_e32 v40, 0xff7fffff, v36
	v_cmp_gt_i32_e32 vcc, s3, v34
	v_cvt_f32_i32_e32 v35, v35
	v_accvgpr_read_b32 v39, a2
	v_cndmask_b32_e32 v40, v41, v40, vcc
	v_or_b32_e32 v41, 1, v34
	v_max_f32_e32 v42, v40, v37
	v_cmp_gt_i32_e64 s[0:1], s3, v41
	v_fma_f32 v38, v47, v38, v39
	v_or_b32_e32 v34, 2, v34
	v_cndmask_b32_e64 v40, v40, v42, s[0:1]
	v_accvgpr_read_b32 v39, a3
	v_max_f32_e32 v41, v40, v38
	v_cmp_gt_i32_e64 s[4:5], s3, v34
	v_fmac_f32_e32 v39, v47, v35
	v_lshlrev_b32_e32 v35, 2, v0
	v_cndmask_b32_e64 v34, v40, v41, s[4:5]
	v_or_b32_e32 v40, 3, v46
	v_max_f32_e32 v41, v34, v39
	v_cmp_gt_i32_e64 s[8:9], s3, v40
	v_and_or_b32 v35, v35, 48, v45
	s_nop 0
	v_cndmask_b32_e64 v34, v34, v41, s[8:9]
	;;#ASMSTART
	v_nop
 v_nop
 v_max_f32_dpp v34, v34, v34 row_ror:4
	;;#ASMEND
	v_lshlrev_b32_e32 v41, 2, v35
	;;#ASMSTART
	v_nop
 v_nop
 v_max_f32_dpp v34, v34, v34 row_ror:8
	;;#ASMEND
	ds_bpermute_b32 v34, v41, v34
	s_waitcnt lgkmcnt(0)
	;;#ASMSTART
	v_nop
 v_nop
 v_max_f32_dpp v34, v34, v34 row_ror:4
	;;#ASMEND
	s_nop 0
	;;#ASMSTART
	v_nop
 v_nop
 v_max_f32_dpp v40, v34, v34 row_ror:8
	;;#ASMEND
	s_nop 0
	v_sub_f32_e32 v34, v36, v40
	v_mul_f32_e32 v34, 0x3fb8aa3b, v34
	v_sub_f32_e32 v35, v37, v40
	v_exp_f32_e32 v34, v34
	v_mul_f32_e32 v35, 0x3fb8aa3b, v35
	v_sub_f32_e32 v37, v38, v40
	v_exp_f32_e32 v35, v35
	v_mul_f32_e32 v37, 0x3fb8aa3b, v37
	v_sub_f32_e32 v38, v39, v40
	v_exp_f32_e32 v37, v37
	v_mul_f32_e32 v38, 0x3fb8aa3b, v38
	v_exp_f32_e32 v38, v38
	v_cndmask_b32_e32 v34, 0, v34, vcc
	v_add_f32_e32 v36, 0, v34
	v_cndmask_b32_e64 v35, 0, v35, s[0:1]
	v_add_f32_e32 v39, v36, v35
	v_cndmask_b32_e64 v36, 0, v37, s[4:5]
	;; [unrolled: 2-line block ×3, first 2 shown]
	v_add_f32_e32 v38, v39, v37
	;;#ASMSTART
	v_nop
 v_nop
 v_add_f32_dpp v38, v38, v38 row_ror:4
	;;#ASMEND
	v_cmp_gt_u32_e32 vcc, 4, v44
	;;#ASMSTART
	v_nop
 v_nop
 v_add_f32_dpp v38, v38, v38 row_ror:8
	;;#ASMEND
	ds_bpermute_b32 v38, v41, v38
	s_waitcnt lgkmcnt(0)
	;;#ASMSTART
	v_nop
 v_nop
 v_add_f32_dpp v38, v38, v38 row_ror:4
	;;#ASMEND
	s_nop 0
	;;#ASMSTART
	v_nop
 v_nop
 v_add_f32_dpp v38, v38, v38 row_ror:8
	;;#ASMEND
	s_and_saveexec_b64 s[0:1], vcc
	s_cbranch_execz .LBB497_18
; %bb.17:
	v_mul_u32_u24_e32 v39, 20, v1
	v_lshl_add_u32 v39, v45, 2, v39
	v_add_u32_e32 v39, 0x800, v39
	ds_write2_b32 v39, v40, v38 offset0:128 offset1:148
.LBB497_18:
	s_or_b64 exec, exec, s[0:1]
.LBB497_19:
	s_or_b64 exec, exec, s[22:23]
	s_waitcnt lgkmcnt(0)
	s_barrier
	s_load_dword s0, s[20:21], 0x8
	v_lshlrev_b32_e32 v38, 2, v45
	v_add_u32_e32 v48, 0x800, v38
	ds_read2_b32 v[38:39], v48 offset0:128 offset1:133
	ds_read2_b32 v[42:43], v48 offset0:138 offset1:143
	s_mul_i32 s1, s2, s34
	s_waitcnt lgkmcnt(0)
	s_mul_i32 s1, s1, s0
	s_lshl_b32 s0, s1, 1
	s_mov_b32 s1, 0xff7fffff
	v_max3_f32 v41, v38, s1, v39
	v_max3_f32 v41, v41, v42, v43
	v_sub_f32_e32 v38, v38, v41
	v_mul_f32_e32 v38, 0x3fb8aa3b, v38
	ds_read2_b32 v[46:47], v48 offset0:148 offset1:153
	v_exp_f32_e32 v49, v38
	v_sub_f32_e32 v38, v39, v41
	v_sub_f32_e32 v42, v42, v41
	v_mul_f32_e32 v38, 0x3fb8aa3b, v38
	v_mul_f32_e32 v42, 0x3fb8aa3b, v42
	v_exp_f32_e32 v50, v38
	ds_read2_b32 v[38:39], v48 offset0:158 offset1:163
	v_exp_f32_e32 v48, v42
	v_sub_f32_e32 v42, v43, v41
	v_mul_f32_e32 v42, 0x3fb8aa3b, v42
	v_exp_f32_e32 v43, v42
	s_waitcnt lgkmcnt(1)
	v_fma_f32 v42, v49, v46, 0
	v_fmac_f32_e32 v42, v50, v47
	s_waitcnt lgkmcnt(0)
	v_fmac_f32_e32 v42, v48, v38
	v_fmac_f32_e32 v42, v43, v39
	v_cmp_gt_u32_e32 vcc, 2, v45
	s_and_saveexec_b64 s[2:3], vcc
	s_cbranch_execz .LBB497_21
; %bb.20:
	s_mov_b32 s1, 0
	s_lshl_b64 s[4:5], s[0:1], 2
	s_add_u32 s10, s12, s4
	s_mov_b32 s17, s1
	s_addc_u32 s11, s13, s5
	s_lshl_b64 s[8:9], s[16:17], 2
	s_add_u32 s10, s10, s8
	s_addc_u32 s11, s11, s9
	s_add_u32 s1, s14, s4
	s_addc_u32 s5, s15, s5
	v_or_b32_e32 v38, s33, v45
	s_add_u32 s4, s1, s8
	v_mul_lo_u32 v38, s34, v38
	v_mov_b32_e32 v39, 0
	s_addc_u32 s5, s5, s9
	v_lshlrev_b64 v[38:39], 2, v[38:39]
	v_lshl_add_u64 v[46:47], s[10:11], 0, v[38:39]
	v_lshl_add_u64 v[38:39], s[4:5], 0, v[38:39]
	global_store_dword v[38:39], v41, off
	global_store_dword v[46:47], v42, off
.LBB497_21:
	s_or_b64 exec, exec, s[2:3]
	v_mov_b32_e32 v38, 0
	v_mov_b32_e32 v39, 0
	s_and_saveexec_b64 s[2:3], s[6:7]
	s_cbranch_execz .LBB497_23
; %bb.22:
	v_add_f32_e32 v38, 0x358637bd, v42
	v_div_scale_f32 v39, s[4:5], v38, v38, 1.0
	v_rcp_f32_e32 v42, v39
	v_div_scale_f32 v43, vcc, 1.0, v38, 1.0
	v_sub_f32_e32 v40, v40, v41
	v_fma_f32 v45, -v39, v42, 1.0
	v_fmac_f32_e32 v42, v45, v42
	v_mul_f32_e32 v45, v43, v42
	v_fma_f32 v46, -v39, v45, v43
	v_mul_f32_e32 v40, 0x3fb8aa3b, v40
	v_fmac_f32_e32 v45, v46, v42
	v_exp_f32_e32 v40, v40
	v_fma_f32 v39, -v39, v45, v43
	v_div_fmas_f32 v39, v39, v42, v45
	v_div_fixup_f32 v38, v39, v38, 1.0
	v_mul_f32_e32 v38, v40, v38
	v_pk_mul_f32 v[34:35], v[34:35], v[38:39] op_sel_hi:[1,0]
	v_pk_mul_f32 v[36:37], v[36:37], v[38:39] op_sel_hi:[1,0]
	v_bfe_u32 v38, v35, 16, 1
	v_bfe_u32 v39, v34, 16, 1
	s_movk_i32 s1, 0x7fff
	v_add3_u32 v34, v34, v39, s1
	v_add3_u32 v35, v35, v38, s1
	s_mov_b32 s4, 0x7060302
	v_perm_b32 v34, v35, v34, s4
	v_bfe_u32 v35, v37, 16, 1
	v_bfe_u32 v38, v36, 16, 1
	v_add3_u32 v36, v36, v38, s1
	v_add3_u32 v35, v37, v35, s1
	v_perm_b32 v35, v35, v36, s4
	s_waitcnt vmcnt(7)
	s_nop 0
	v_mfma_f32_4x4x4_16b_bf16 a[0:3], v[34:35], v[2:3], 0 cbsz:4
	s_nop 1
	v_mfma_f32_4x4x4_16b_bf16 a[0:3], v[34:35], v[4:5], a[0:3] cbsz:4 abid:1
	s_waitcnt vmcnt(6)
	s_nop 0
	v_mfma_f32_4x4x4_16b_bf16 a[0:3], v[34:35], v[6:7], a[0:3] cbsz:4 abid:2
	s_nop 1
	v_mfma_f32_4x4x4_16b_bf16 a[0:3], v[34:35], v[8:9], a[0:3] cbsz:4 abid:3
	s_waitcnt vmcnt(5)
	s_nop 0
	v_mfma_f32_4x4x4_16b_bf16 a[0:3], v[34:35], v[10:11], a[0:3] cbsz:4 abid:4
	s_nop 1
	v_mfma_f32_4x4x4_16b_bf16 a[0:3], v[34:35], v[12:13], a[0:3] cbsz:4 abid:5
	s_waitcnt vmcnt(4)
	s_nop 0
	v_mfma_f32_4x4x4_16b_bf16 a[0:3], v[34:35], v[14:15], a[0:3] cbsz:4 abid:6
	s_nop 1
	v_mfma_f32_4x4x4_16b_bf16 a[0:3], v[34:35], v[16:17], a[0:3] cbsz:4 abid:7
	s_waitcnt vmcnt(3)
	s_nop 0
	v_mfma_f32_4x4x4_16b_bf16 a[0:3], v[34:35], v[18:19], a[0:3] cbsz:4 abid:8
	s_nop 1
	v_mfma_f32_4x4x4_16b_bf16 a[0:3], v[34:35], v[20:21], a[0:3] cbsz:4 abid:9
	s_waitcnt vmcnt(2)
	s_nop 0
	v_mfma_f32_4x4x4_16b_bf16 a[0:3], v[34:35], v[22:23], a[0:3] cbsz:4 abid:10
	s_nop 1
	v_mfma_f32_4x4x4_16b_bf16 a[0:3], v[34:35], v[24:25], a[0:3] cbsz:4 abid:11
	s_waitcnt vmcnt(1)
	s_nop 0
	v_mfma_f32_4x4x4_16b_bf16 a[0:3], v[34:35], v[26:27], a[0:3] cbsz:4 abid:12
	s_nop 1
	v_mfma_f32_4x4x4_16b_bf16 a[0:3], v[34:35], v[28:29], a[0:3] cbsz:4 abid:13
	s_waitcnt vmcnt(0)
	s_nop 0
	v_mfma_f32_4x4x4_16b_bf16 a[0:3], v[34:35], v[30:31], a[0:3] cbsz:4 abid:14
	s_nop 1
	v_mfma_f32_4x4x4_16b_bf16 a[0:3], v[34:35], v[32:33], a[0:3] cbsz:4 abid:15
	s_nop 4
	v_accvgpr_read_b32 v5, a1
	v_accvgpr_read_b32 v2, a2
	;; [unrolled: 1-line block ×4, first 2 shown]
	v_bfe_u32 v6, v5, 16, 1
	v_bfe_u32 v7, v4, 16, 1
	;; [unrolled: 1-line block ×3, first 2 shown]
	v_add3_u32 v5, v5, v6, s1
	v_bfe_u32 v6, v2, 16, 1
	v_add3_u32 v4, v4, v7, s1
	v_add3_u32 v2, v2, v6, s1
	;; [unrolled: 1-line block ×3, first 2 shown]
	v_perm_b32 v39, v3, v2, s4
	v_perm_b32 v38, v5, v4, s4
.LBB497_23:
	s_or_b64 exec, exec, s[2:3]
	v_lshlrev_b32_e32 v1, 3, v1
	v_mad_u32_u24 v1, v44, 40, v1
	v_cmp_gt_u32_e32 vcc, 64, v0
	ds_write_b64 v1, v[38:39]
	s_waitcnt lgkmcnt(0)
	s_barrier
	s_and_saveexec_b64 s[2:3], vcc
	s_cbranch_execz .LBB497_25
; %bb.24:
	v_mul_u32_u24_e32 v1, 40, v44
	s_waitcnt vmcnt(7)
	ds_read2_b64 v[2:5], v1 offset1:1
	s_waitcnt vmcnt(6)
	ds_read2_b64 v[6:9], v1 offset0:2 offset1:3
	s_mov_b32 s1, 0
	s_lshl_b32 s0, s0, 6
	s_lshl_b64 s[2:3], s[0:1], 1
	s_waitcnt lgkmcnt(1)
	v_and_b32_e32 v1, 0xffff0000, v2
	v_add_f32_e32 v1, 0, v1
	v_and_b32_e32 v3, 0xffff0000, v4
	v_and_b32_e32 v1, 0xffff0000, v1
	v_add_f32_e32 v1, v1, v3
	s_waitcnt lgkmcnt(0)
	v_and_b32_e32 v5, 0xffff0000, v6
	v_and_b32_e32 v1, 0xffff0000, v1
	v_add_f32_e32 v1, v1, v5
	v_and_b32_e32 v1, 0xffff0000, v1
	v_and_b32_e32 v3, 0xffff0000, v8
	v_add_f32_e32 v7, v1, v3
	v_lshlrev_b32_e32 v1, 16, v2
	s_add_u32 s2, s18, s2
	v_add_f32_e32 v1, 0, v1
	s_addc_u32 s3, s19, s3
	s_lshl_b32 s0, s16, 6
	v_and_b32_e32 v1, 0xffff0000, v1
	v_lshlrev_b32_e32 v2, 16, v4
	s_lshl_b64 s[0:1], s[0:1], 1
	v_add_f32_e32 v1, v1, v2
	s_add_u32 s0, s2, s0
	v_and_b32_e32 v1, 0xffff0000, v1
	v_lshlrev_b32_e32 v2, 16, v6
	s_addc_u32 s1, s3, s1
	s_lshl_b32 s2, s34, 6
	v_add_f32_e32 v1, v1, v2
	v_and_b32_e32 v1, 0xffff0000, v1
	v_lshlrev_b32_e32 v2, 16, v8
	s_mul_i32 s3, s2, s33
	v_add_f32_e32 v1, v1, v2
	v_or_b32_e32 v2, s3, v0
	v_mov_b32_e32 v3, 0
	s_add_i32 s3, s3, s2
	v_lshl_add_u64 v[4:5], v[2:3], 1, s[0:1]
	v_or_b32_e32 v2, s3, v0
	global_store_short_d16_hi v[4:5], v1, off
	v_lshl_add_u64 v[0:1], v[2:3], 1, s[0:1]
	global_store_short_d16_hi v[0:1], v7, off
.LBB497_25:
	s_endpgm
	.section	.rodata,"a",@progbits
	.p2align	6, 0x0
	.amdhsa_kernel _Z38paged_attention_ll4mi_QKV_mfma4_kernelI14__hip_bfloat16S0_LN4vllm18Fp8KVCacheDataTypeE0EhLi32ELi64ELi256ELb1ELi2EEvPKT_PKT0_S8_ifPKiSA_SA_iPKfiiiPfSD_PS3_PT2_iSC_SC_
		.amdhsa_group_segment_fixed_size 2720
		.amdhsa_private_segment_fixed_size 0
		.amdhsa_kernarg_size 400
		.amdhsa_user_sgpr_count 2
		.amdhsa_user_sgpr_dispatch_ptr 0
		.amdhsa_user_sgpr_queue_ptr 0
		.amdhsa_user_sgpr_kernarg_segment_ptr 1
		.amdhsa_user_sgpr_dispatch_id 0
		.amdhsa_user_sgpr_kernarg_preload_length 0
		.amdhsa_user_sgpr_kernarg_preload_offset 0
		.amdhsa_user_sgpr_private_segment_size 0
		.amdhsa_uses_dynamic_stack 0
		.amdhsa_enable_private_segment 0
		.amdhsa_system_sgpr_workgroup_id_x 1
		.amdhsa_system_sgpr_workgroup_id_y 1
		.amdhsa_system_sgpr_workgroup_id_z 1
		.amdhsa_system_sgpr_workgroup_info 0
		.amdhsa_system_vgpr_workitem_id 0
		.amdhsa_next_free_vgpr 60
		.amdhsa_next_free_sgpr 40
		.amdhsa_accum_offset 56
		.amdhsa_reserve_vcc 1
		.amdhsa_float_round_mode_32 0
		.amdhsa_float_round_mode_16_64 0
		.amdhsa_float_denorm_mode_32 3
		.amdhsa_float_denorm_mode_16_64 3
		.amdhsa_dx10_clamp 1
		.amdhsa_ieee_mode 1
		.amdhsa_fp16_overflow 0
		.amdhsa_tg_split 0
		.amdhsa_exception_fp_ieee_invalid_op 0
		.amdhsa_exception_fp_denorm_src 0
		.amdhsa_exception_fp_ieee_div_zero 0
		.amdhsa_exception_fp_ieee_overflow 0
		.amdhsa_exception_fp_ieee_underflow 0
		.amdhsa_exception_fp_ieee_inexact 0
		.amdhsa_exception_int_div_zero 0
	.end_amdhsa_kernel
	.section	.text._Z38paged_attention_ll4mi_QKV_mfma4_kernelI14__hip_bfloat16S0_LN4vllm18Fp8KVCacheDataTypeE0EhLi32ELi64ELi256ELb1ELi2EEvPKT_PKT0_S8_ifPKiSA_SA_iPKfiiiPfSD_PS3_PT2_iSC_SC_,"axG",@progbits,_Z38paged_attention_ll4mi_QKV_mfma4_kernelI14__hip_bfloat16S0_LN4vllm18Fp8KVCacheDataTypeE0EhLi32ELi64ELi256ELb1ELi2EEvPKT_PKT0_S8_ifPKiSA_SA_iPKfiiiPfSD_PS3_PT2_iSC_SC_,comdat
.Lfunc_end497:
	.size	_Z38paged_attention_ll4mi_QKV_mfma4_kernelI14__hip_bfloat16S0_LN4vllm18Fp8KVCacheDataTypeE0EhLi32ELi64ELi256ELb1ELi2EEvPKT_PKT0_S8_ifPKiSA_SA_iPKfiiiPfSD_PS3_PT2_iSC_SC_, .Lfunc_end497-_Z38paged_attention_ll4mi_QKV_mfma4_kernelI14__hip_bfloat16S0_LN4vllm18Fp8KVCacheDataTypeE0EhLi32ELi64ELi256ELb1ELi2EEvPKT_PKT0_S8_ifPKiSA_SA_iPKfiiiPfSD_PS3_PT2_iSC_SC_
                                        ; -- End function
	.section	.AMDGPU.csdata,"",@progbits
; Kernel info:
; codeLenInByte = 3248
; NumSgprs: 46
; NumVgprs: 54
; NumAgprs: 4
; TotalNumVgprs: 60
; ScratchSize: 0
; MemoryBound: 0
; FloatMode: 240
; IeeeMode: 1
; LDSByteSize: 2720 bytes/workgroup (compile time only)
; SGPRBlocks: 5
; VGPRBlocks: 7
; NumSGPRsForWavesPerEU: 46
; NumVGPRsForWavesPerEU: 60
; AccumOffset: 56
; Occupancy: 8
; WaveLimiterHint : 1
; COMPUTE_PGM_RSRC2:SCRATCH_EN: 0
; COMPUTE_PGM_RSRC2:USER_SGPR: 2
; COMPUTE_PGM_RSRC2:TRAP_HANDLER: 0
; COMPUTE_PGM_RSRC2:TGID_X_EN: 1
; COMPUTE_PGM_RSRC2:TGID_Y_EN: 1
; COMPUTE_PGM_RSRC2:TGID_Z_EN: 1
; COMPUTE_PGM_RSRC2:TIDIG_COMP_CNT: 0
; COMPUTE_PGM_RSRC3_GFX90A:ACCUM_OFFSET: 13
; COMPUTE_PGM_RSRC3_GFX90A:TG_SPLIT: 0
	.section	.text._Z38paged_attention_ll4mi_QKV_mfma4_kernelI14__hip_bfloat16S0_LN4vllm18Fp8KVCacheDataTypeE0EhLi32ELi64ELi256ELb1ELi3EEvPKT_PKT0_S8_ifPKiSA_SA_iPKfiiiPfSD_PS3_PT2_iSC_SC_,"axG",@progbits,_Z38paged_attention_ll4mi_QKV_mfma4_kernelI14__hip_bfloat16S0_LN4vllm18Fp8KVCacheDataTypeE0EhLi32ELi64ELi256ELb1ELi3EEvPKT_PKT0_S8_ifPKiSA_SA_iPKfiiiPfSD_PS3_PT2_iSC_SC_,comdat
	.protected	_Z38paged_attention_ll4mi_QKV_mfma4_kernelI14__hip_bfloat16S0_LN4vllm18Fp8KVCacheDataTypeE0EhLi32ELi64ELi256ELb1ELi3EEvPKT_PKT0_S8_ifPKiSA_SA_iPKfiiiPfSD_PS3_PT2_iSC_SC_ ; -- Begin function _Z38paged_attention_ll4mi_QKV_mfma4_kernelI14__hip_bfloat16S0_LN4vllm18Fp8KVCacheDataTypeE0EhLi32ELi64ELi256ELb1ELi3EEvPKT_PKT0_S8_ifPKiSA_SA_iPKfiiiPfSD_PS3_PT2_iSC_SC_
	.globl	_Z38paged_attention_ll4mi_QKV_mfma4_kernelI14__hip_bfloat16S0_LN4vllm18Fp8KVCacheDataTypeE0EhLi32ELi64ELi256ELb1ELi3EEvPKT_PKT0_S8_ifPKiSA_SA_iPKfiiiPfSD_PS3_PT2_iSC_SC_
	.p2align	8
	.type	_Z38paged_attention_ll4mi_QKV_mfma4_kernelI14__hip_bfloat16S0_LN4vllm18Fp8KVCacheDataTypeE0EhLi32ELi64ELi256ELb1ELi3EEvPKT_PKT0_S8_ifPKiSA_SA_iPKfiiiPfSD_PS3_PT2_iSC_SC_,@function
_Z38paged_attention_ll4mi_QKV_mfma4_kernelI14__hip_bfloat16S0_LN4vllm18Fp8KVCacheDataTypeE0EhLi32ELi64ELi256ELb1ELi3EEvPKT_PKT0_S8_ifPKiSA_SA_iPKfiiiPfSD_PS3_PT2_iSC_SC_: ; @_Z38paged_attention_ll4mi_QKV_mfma4_kernelI14__hip_bfloat16S0_LN4vllm18Fp8KVCacheDataTypeE0EhLi32ELi64ELi256ELb1ELi3EEvPKT_PKT0_S8_ifPKiSA_SA_iPKfiiiPfSD_PS3_PT2_iSC_SC_
; %bb.0:
	s_load_dwordx2 s[8:9], s[0:1], 0x30
	s_mov_b32 s16, s3
	s_mov_b64 s[6:7], 0
	s_waitcnt lgkmcnt(0)
	s_cmp_lg_u64 s[8:9], 0
	s_cselect_b64 s[10:11], -1, 0
	s_and_b64 vcc, exec, s[10:11]
	s_cbranch_vccz .LBB498_10
; %bb.1:
	s_add_i32 s12, s2, 1
	s_mov_b32 s13, 0
	s_lshl_b64 s[14:15], s[12:13], 2
	s_add_u32 s14, s8, s14
	s_mov_b32 s3, s13
	s_addc_u32 s15, s9, s15
	s_lshl_b64 s[12:13], s[2:3], 2
	s_add_u32 s12, s8, s12
	s_addc_u32 s13, s9, s13
	s_load_dword s5, s[14:15], 0x0
	s_load_dword s17, s[12:13], 0x0
	s_waitcnt lgkmcnt(0)
	s_sub_i32 s5, s5, s17
	s_cmp_eq_u32 s5, 1
	s_cselect_b64 s[12:13], -1, 0
	s_andn2_b64 vcc, exec, s[6:7]
	s_cbranch_vccnz .LBB498_3
.LBB498_2:
	s_mov_b32 s3, 0
	s_mov_b64 s[12:13], -1
.LBB498_3:
	s_andn2_b64 vcc, exec, s[12:13]
	s_cbranch_vccnz .LBB498_25
; %bb.4:
	s_load_dword s5, s[0:1], 0x9c
	s_load_dwordx2 s[6:7], s[0:1], 0x28
	s_add_u32 s20, s0, 0x90
	s_addc_u32 s21, s1, 0
	s_lshl_b64 s[24:25], s[2:3], 2
	s_waitcnt lgkmcnt(0)
	s_and_b32 s5, s5, 0xffff
	s_add_u32 s6, s6, s24
	s_addc_u32 s7, s7, s25
	s_load_dword s3, s[6:7], 0x0
	s_mul_i32 s5, s16, s5
	s_waitcnt lgkmcnt(0)
	s_cmp_ge_i32 s5, s3
	s_cbranch_scc1 .LBB498_25
; %bb.5:
	v_and_b32_e32 v2, 0xc0, v0
	v_add_u32_e32 v2, s5, v2
	v_lshrrev_b32_e32 v1, 6, v0
	v_cmp_gt_i32_e64 s[6:7], s3, v2
	v_cmp_le_i32_e32 vcc, s3, v2
                                        ; implicit-def: $sgpr26
                                        ; implicit-def: $sgpr17
	s_and_saveexec_b64 s[12:13], vcc
	s_xor_b64 s[12:13], exec, s[12:13]
	s_cbranch_execz .LBB498_7
; %bb.6:
	v_mul_u32_u24_e32 v2, 20, v1
	v_or_b32_e32 v2, 0xa00, v2
	v_mov_b32_e32 v3, 0xa50
	v_mov_b32_e32 v4, 0xff7fffff
	v_mad_u32_u24 v3, v1, 20, v3
	ds_write2_b32 v2, v4, v4 offset1:1
	v_mov_b32_e32 v2, 0
	ds_write2_b32 v3, v2, v2 offset1:1
	v_mov_b32_e32 v3, 0xa08
	s_mov_b32 s17, 0xff7fffff
	s_mov_b32 s26, 0
	v_mad_u32_u24 v3, v1, 20, v3
	v_mov_b32_e32 v5, 0xa58
	v_mad_u32_u24 v5, v1, 20, v5
	ds_write2_b32 v3, v4, v4 offset1:1
	ds_write2_b32 v5, v2, v2 offset1:1
                                        ; implicit-def: $vgpr2
.LBB498_7:
	s_or_saveexec_b64 s[22:23], s[12:13]
	s_load_dwordx2 s[18:19], s[0:1], 0x68
	s_load_dwordx4 s[12:15], s[0:1], 0x58
	s_load_dword s34, s[20:21], 0x4
	v_and_b32_e32 v46, 63, v0
	v_and_b32_e32 v47, 3, v0
	s_mul_i32 s33, s4, 3
	v_mov_b32_e32 v37, s26
	v_mov_b32_e32 v40, s17
	;; [unrolled: 1-line block ×5, first 2 shown]
                                        ; implicit-def: $vgpr3
                                        ; implicit-def: $vgpr7
                                        ; implicit-def: $vgpr11
                                        ; implicit-def: $vgpr15
                                        ; implicit-def: $vgpr19
                                        ; implicit-def: $vgpr23
                                        ; implicit-def: $vgpr27
                                        ; implicit-def: $vgpr31
	s_xor_b64 exec, exec, s[22:23]
	s_cbranch_execz .LBB498_19
; %bb.8:
	s_add_i32 s28, s3, 31
	s_ashr_i32 s29, s28, 31
	s_lshr_b32 s29, s29, 27
	v_add_u32_e32 v48, s5, v0
	s_add_i32 s28, s28, s29
	v_ashrrev_i32_e32 v3, 31, v48
	s_load_dwordx2 s[26:27], s[0:1], 0x20
	s_load_dword s17, s[0:1], 0x38
	s_ashr_i32 s28, s28, 5
	v_lshrrev_b32_e32 v3, 27, v3
	s_add_i32 s30, s28, -1
	v_add_u32_e32 v3, v48, v3
	v_ashrrev_i32_e32 v3, 5, v3
	v_mov_b32_e32 v4, s30
	v_cmp_gt_i32_e32 vcc, s3, v48
	s_waitcnt lgkmcnt(0)
	s_mul_i32 s28, s2, s17
	s_mov_b32 s29, 0
	v_cndmask_b32_e32 v4, v4, v3, vcc
	v_ashrrev_i32_e32 v3, 31, v2
	v_lshrrev_b32_e32 v3, 27, v3
	v_add_u32_e32 v2, v2, v3
	s_lshl_b64 s[28:29], s[28:29], 2
	v_ashrrev_i32_e32 v8, 5, v2
	s_add_u32 s26, s26, s28
	v_min_i32_e32 v2, s30, v8
	s_addc_u32 s27, s27, s29
	v_ashrrev_i32_e32 v3, 31, v2
	v_lshl_add_u64 v[6:7], v[2:3], 2, s[26:27]
	v_add_u32_e32 v2, 1, v8
	v_ashrrev_i32_e32 v5, 31, v4
	v_min_i32_e32 v2, s30, v2
	v_lshl_add_u64 v[4:5], v[4:5], 2, s[26:27]
	v_ashrrev_i32_e32 v3, 31, v2
	v_lshl_add_u64 v[8:9], v[2:3], 2, s[26:27]
	global_load_dword v2, v[4:5], off
	global_load_dword v16, v[6:7], off
	global_load_dword v22, v[8:9], off
	s_load_dwordx2 s[26:27], s[0:1], 0x8
	s_andn2_b64 vcc, exec, s[10:11]
	s_cbranch_vccnz .LBB498_11
; %bb.9:
	s_add_u32 s8, s8, s24
	s_addc_u32 s9, s9, s25
	s_load_dword s5, s[8:9], 0x0
	s_branch .LBB498_12
.LBB498_10:
	s_mov_b64 s[12:13], 0
	s_branch .LBB498_2
.LBB498_11:
	s_mov_b32 s5, s2
.LBB498_12:
	s_load_dwordx2 s[24:25], s[0:1], 0x10
	s_load_dwordx4 s[8:11], s[0:1], 0x48
	v_cmp_ne_u32_e32 vcc, 3, v47
	s_mov_b32 s29, 0
	v_mov_b32_e32 v15, 0
	v_mov_b32_e32 v24, 0
	;; [unrolled: 1-line block ×5, first 2 shown]
	s_and_saveexec_b64 s[30:31], vcc
	s_cbranch_execz .LBB498_14
; %bb.13:
	s_load_dwordx2 s[36:37], s[0:1], 0x0
	s_waitcnt lgkmcnt(0)
	s_ashr_i32 s11, s8, 31
	s_mul_hi_u32 s17, s5, s8
	s_mul_i32 s11, s5, s11
	s_add_i32 s39, s17, s11
	s_mul_i32 s38, s5, s8
	s_lshl_b64 s[38:39], s[38:39], 1
	s_add_u32 s5, s36, s38
	s_mul_i32 s28, s4, 0xc0
	s_addc_u32 s8, s37, s39
	s_lshl_b64 s[36:37], s[28:29], 1
	s_add_u32 s36, s5, s36
	v_lshlrev_b32_e32 v3, 3, v47
	v_lshrrev_b32_e32 v4, 2, v46
	s_addc_u32 s37, s8, s37
	v_add_lshl_u32 v3, v3, v4, 4
	global_load_dwordx4 v[24:27], v3, s[36:37]
.LBB498_14:
	s_or_b64 exec, exec, s[30:31]
	s_waitcnt lgkmcnt(0)
	s_mul_i32 s28, s4, s10
	s_lshl_b64 s[4:5], s[28:29], 1
	s_add_u32 s10, s4, s26
	s_waitcnt vmcnt(2)
	v_mad_i64_i32 v[2:3], s[30:31], v2, s9, 0
	s_addc_u32 s11, s5, s27
	v_and_b32_e32 v4, 31, v0
	v_lshl_add_u64 v[2:3], v[2:3], 1, s[10:11]
	v_lshlrev_b32_e32 v14, 4, v4
	v_lshl_add_u64 v[44:45], v[2:3], 0, v[14:15]
	global_load_dwordx4 v[10:13], v[44:45], off
	global_load_dwordx4 v[6:9], v[44:45], off offset:512
	global_load_dwordx4 v[2:5], v[44:45], off offset:1024
	;; [unrolled: 1-line block ×7, first 2 shown]
	v_mov_b32_e32 v45, 1.0
	v_mov_b32_e32 v44, 0
	s_and_saveexec_b64 s[10:11], vcc
	s_cbranch_execz .LBB498_16
; %bb.15:
	s_load_dwordx2 s[26:27], s[0:1], 0x40
	v_add_u32_e32 v44, s33, v47
	v_mov_b32_e32 v45, 0
	s_waitcnt lgkmcnt(0)
	v_lshl_add_u64 v[50:51], v[44:45], 2, s[26:27]
	global_load_dword v44, v[50:51], off
.LBB498_16:
	s_or_b64 exec, exec, s[10:11]
	s_waitcnt vmcnt(7)
	v_mfma_f32_4x4x4_16b_bf16 a[0:3], v[24:25], v[10:11], 0 cbsz:4
	s_load_dword s0, s[0:1], 0x1c
	s_add_u32 s4, s24, s4
	v_mfma_f32_4x4x4_16b_bf16 a[0:3], v[26:27], v[12:13], a[0:3] cbsz:4
	s_addc_u32 s5, s25, s5
	v_lshlrev_b32_e32 v14, 6, v46
	s_waitcnt vmcnt(6)
	v_mfma_f32_4x4x4_16b_bf16 a[0:3], v[24:25], v[6:7], a[0:3] cbsz:4 abid:1
	v_lshl_add_u64 v[50:51], s[4:5], 0, v[14:15]
	v_mul_hi_i32 v14, v16, s9
	v_mfma_f32_4x4x4_16b_bf16 a[0:3], v[26:27], v[8:9], a[0:3] cbsz:4 abid:1
	v_ashrrev_i32_e32 v14, 31, v14
	v_mul_hi_i32 v23, v22, s9
	s_waitcnt vmcnt(5)
	v_mfma_f32_4x4x4_16b_bf16 a[0:3], v[24:25], v[2:3], a[0:3] cbsz:4 abid:2
	v_lshrrev_b32_e32 v52, 29, v14
	v_mov_b32_e32 v53, 0
	v_mfma_f32_4x4x4_16b_bf16 a[0:3], v[26:27], v[4:5], a[0:3] cbsz:4 abid:2
	v_ashrrev_i32_e32 v23, 31, v23
	v_cmp_eq_u32_e32 vcc, 0, v47
	s_waitcnt vmcnt(4)
	v_mfma_f32_4x4x4_16b_bf16 a[0:3], v[24:25], v[40:41], a[0:3] cbsz:4 abid:3
	v_mad_i64_i32 v[10:11], s[4:5], v16, s9, v[52:53]
	s_nop 0
	v_mfma_f32_4x4x4_16b_bf16 a[0:3], v[26:27], v[42:43], a[0:3] cbsz:4 abid:3
	v_lshrrev_b32_e32 v52, 29, v23
	v_mad_i64_i32 v[22:23], s[4:5], v22, s9, v[52:53]
	s_waitcnt vmcnt(3)
	v_mfma_f32_4x4x4_16b_bf16 a[0:3], v[24:25], v[36:37], a[0:3] cbsz:4 abid:4
	v_lshlrev_b64 v[6:7], 1, v[10:11]
	v_lshlrev_b64 v[22:23], 1, v[22:23]
	v_mfma_f32_4x4x4_16b_bf16 a[0:3], v[26:27], v[38:39], a[0:3] cbsz:4 abid:4
	v_and_b32_e32 v6, -16, v6
	v_and_b32_e32 v22, -16, v22
	s_waitcnt vmcnt(2)
	v_mfma_f32_4x4x4_16b_bf16 a[0:3], v[24:25], v[32:33], a[0:3] cbsz:4 abid:5
	v_lshl_add_u64 v[54:55], v[50:51], 0, v[6:7]
	global_load_dwordx4 v[2:5], v[54:55], off
	global_load_dwordx4 v[6:9], v[54:55], off offset:16
	v_mfma_f32_4x4x4_16b_bf16 a[0:3], v[26:27], v[34:35], a[0:3] cbsz:4 abid:5
	v_lshl_add_u64 v[34:35], v[50:51], 0, v[22:23]
	global_load_dwordx4 v[10:13], v[54:55], off offset:32
	global_load_dwordx4 v[14:17], v[54:55], off offset:48
	s_waitcnt vmcnt(5)
	v_mfma_f32_4x4x4_16b_bf16 a[0:3], v[24:25], v[18:19], a[0:3] cbsz:4 abid:6
	v_mov_b32_e32 v41, 0xff7fffff
	s_nop 0
	v_mfma_f32_4x4x4_16b_bf16 a[0:3], v[26:27], v[20:21], a[0:3] cbsz:4 abid:6
	s_waitcnt vmcnt(4)
	s_nop 0
	v_mfma_f32_4x4x4_16b_bf16 a[0:3], v[24:25], v[28:29], a[0:3] cbsz:4 abid:7
	global_load_dwordx4 v[18:21], v[34:35], off
	global_load_dwordx4 v[22:25], v[34:35], off offset:16
	v_mfma_f32_4x4x4_16b_bf16 a[0:3], v[26:27], v[30:31], a[0:3] cbsz:4 abid:7
	s_nop 4
	v_accvgpr_read_b32 v29, a1
	v_accvgpr_read_b32 v28, a0
	s_waitcnt lgkmcnt(0)
	v_pk_mul_f32 v[28:29], s[0:1], v[28:29] op_sel_hi:[0,1]
	v_accvgpr_read_b32 v27, a3
	v_accvgpr_read_b32 v26, a2
	v_pk_mul_f32 v[36:37], s[0:1], v[26:27] op_sel_hi:[0,1]
	v_cndmask_b32_e64 v26, 0, 1.0, vcc
	v_cmp_eq_u32_e32 vcc, 1, v47
	s_nop 0
	v_mfma_f32_4x4x1_16b_f32 a[0:3], v28, v26, 0
	v_cndmask_b32_e64 v26, 0, 1.0, vcc
	v_cmp_eq_u32_e32 vcc, 2, v47
	s_nop 0
	v_mfma_f32_4x4x1_16b_f32 a[0:3], v29, v26, a[0:3]
	v_cndmask_b32_e64 v26, 0, 1.0, vcc
	s_nop 1
	v_mfma_f32_4x4x1_16b_f32 a[0:3], v36, v26, a[0:3]
	global_load_dwordx4 v[26:29], v[34:35], off offset:32
	global_load_dwordx4 v[30:33], v[34:35], off offset:48
	v_and_b32_e32 v34, -4, v48
	v_subrev_u32_e32 v35, s3, v34
	v_add_u32_e32 v36, 1, v35
	v_mfma_f32_4x4x1_16b_f32 a[0:3], v37, v45, a[0:3]
	v_cvt_f32_i32_e32 v36, v36
	v_add_u32_e32 v37, 2, v35
	v_cvt_f32_i32_e32 v37, v37
	v_cmp_gt_i32_e32 vcc, s3, v34
	v_accvgpr_read_b32 v38, a0
	v_fma_f32 v36, v44, v36, v38
	v_accvgpr_read_b32 v38, a1
	v_fma_f32 v37, v44, v37, v38
	v_add_u32_e32 v38, 3, v35
	v_cvt_f32_i32_e32 v38, v38
	v_add_u32_e32 v35, 4, v35
	v_max_f32_e32 v40, 0xff7fffff, v36
	v_cvt_f32_i32_e32 v35, v35
	v_cndmask_b32_e32 v40, v41, v40, vcc
	v_or_b32_e32 v41, 1, v34
	v_accvgpr_read_b32 v39, a2
	v_max_f32_e32 v42, v40, v37
	v_cmp_gt_i32_e64 s[0:1], s3, v41
	v_fma_f32 v38, v44, v38, v39
	v_or_b32_e32 v34, 2, v34
	v_cndmask_b32_e64 v40, v40, v42, s[0:1]
	v_accvgpr_read_b32 v39, a3
	v_max_f32_e32 v41, v40, v38
	v_cmp_gt_i32_e64 s[4:5], s3, v34
	v_fmac_f32_e32 v39, v44, v35
	v_lshlrev_b32_e32 v35, 2, v0
	v_cndmask_b32_e64 v34, v40, v41, s[4:5]
	v_or_b32_e32 v40, 3, v48
	v_max_f32_e32 v41, v34, v39
	v_cmp_gt_i32_e64 s[8:9], s3, v40
	v_and_or_b32 v35, v35, 48, v47
	s_nop 0
	v_cndmask_b32_e64 v34, v34, v41, s[8:9]
	;;#ASMSTART
	v_nop
 v_nop
 v_max_f32_dpp v34, v34, v34 row_ror:4
	;;#ASMEND
	v_lshlrev_b32_e32 v41, 2, v35
	;;#ASMSTART
	v_nop
 v_nop
 v_max_f32_dpp v34, v34, v34 row_ror:8
	;;#ASMEND
	ds_bpermute_b32 v34, v41, v34
	s_waitcnt lgkmcnt(0)
	;;#ASMSTART
	v_nop
 v_nop
 v_max_f32_dpp v34, v34, v34 row_ror:4
	;;#ASMEND
	s_nop 0
	;;#ASMSTART
	v_nop
 v_nop
 v_max_f32_dpp v40, v34, v34 row_ror:8
	;;#ASMEND
	s_nop 0
	v_sub_f32_e32 v34, v36, v40
	v_mul_f32_e32 v34, 0x3fb8aa3b, v34
	v_sub_f32_e32 v35, v37, v40
	v_exp_f32_e32 v34, v34
	v_mul_f32_e32 v35, 0x3fb8aa3b, v35
	v_sub_f32_e32 v37, v38, v40
	v_exp_f32_e32 v35, v35
	;; [unrolled: 3-line block ×3, first 2 shown]
	v_mul_f32_e32 v38, 0x3fb8aa3b, v38
	v_exp_f32_e32 v38, v38
	v_cndmask_b32_e32 v34, 0, v34, vcc
	v_add_f32_e32 v36, 0, v34
	v_cndmask_b32_e64 v35, 0, v35, s[0:1]
	v_add_f32_e32 v39, v36, v35
	v_cndmask_b32_e64 v36, 0, v37, s[4:5]
	;; [unrolled: 2-line block ×3, first 2 shown]
	v_add_f32_e32 v38, v39, v37
	;;#ASMSTART
	v_nop
 v_nop
 v_add_f32_dpp v38, v38, v38 row_ror:4
	;;#ASMEND
	v_cmp_gt_u32_e32 vcc, 4, v46
	;;#ASMSTART
	v_nop
 v_nop
 v_add_f32_dpp v38, v38, v38 row_ror:8
	;;#ASMEND
	ds_bpermute_b32 v38, v41, v38
	s_waitcnt lgkmcnt(0)
	;;#ASMSTART
	v_nop
 v_nop
 v_add_f32_dpp v38, v38, v38 row_ror:4
	;;#ASMEND
	s_nop 0
	;;#ASMSTART
	v_nop
 v_nop
 v_add_f32_dpp v38, v38, v38 row_ror:8
	;;#ASMEND
	s_and_saveexec_b64 s[0:1], vcc
	s_cbranch_execz .LBB498_18
; %bb.17:
	v_mul_u32_u24_e32 v39, 20, v1
	v_lshl_add_u32 v39, v47, 2, v39
	v_add_u32_e32 v39, 0x800, v39
	ds_write2_b32 v39, v40, v38 offset0:128 offset1:148
.LBB498_18:
	s_or_b64 exec, exec, s[0:1]
.LBB498_19:
	s_or_b64 exec, exec, s[22:23]
	s_waitcnt lgkmcnt(0)
	s_barrier
	s_load_dword s0, s[20:21], 0x8
	v_lshlrev_b32_e32 v38, 2, v47
	v_add_u32_e32 v48, 0x800, v38
	ds_read2_b32 v[38:39], v48 offset0:128 offset1:133
	ds_read2_b32 v[42:43], v48 offset0:138 offset1:143
	s_mul_i32 s1, s2, s34
	s_waitcnt lgkmcnt(0)
	s_mul_i32 s0, s1, s0
	s_mov_b32 s1, 0xff7fffff
	v_max3_f32 v41, v38, s1, v39
	v_max3_f32 v41, v41, v42, v43
	v_sub_f32_e32 v38, v38, v41
	v_mul_f32_e32 v38, 0x3fb8aa3b, v38
	ds_read2_b32 v[44:45], v48 offset0:148 offset1:153
	v_exp_f32_e32 v49, v38
	v_sub_f32_e32 v38, v39, v41
	v_sub_f32_e32 v42, v42, v41
	v_mul_f32_e32 v38, 0x3fb8aa3b, v38
	v_mul_f32_e32 v42, 0x3fb8aa3b, v42
	v_exp_f32_e32 v50, v38
	ds_read2_b32 v[38:39], v48 offset0:158 offset1:163
	v_exp_f32_e32 v48, v42
	v_sub_f32_e32 v42, v43, v41
	v_mul_f32_e32 v42, 0x3fb8aa3b, v42
	v_exp_f32_e32 v43, v42
	s_waitcnt lgkmcnt(1)
	v_fma_f32 v42, v49, v44, 0
	v_fmac_f32_e32 v42, v50, v45
	s_waitcnt lgkmcnt(0)
	v_fmac_f32_e32 v42, v48, v38
	s_mul_i32 s0, s0, 3
	v_fmac_f32_e32 v42, v43, v39
	v_cmp_ne_u32_e32 vcc, 3, v47
	s_and_saveexec_b64 s[2:3], vcc
	s_cbranch_execz .LBB498_21
; %bb.20:
	s_mov_b32 s1, 0
	s_lshl_b64 s[4:5], s[0:1], 2
	s_add_u32 s10, s12, s4
	s_mov_b32 s17, s1
	s_addc_u32 s11, s13, s5
	s_lshl_b64 s[8:9], s[16:17], 2
	s_add_u32 s10, s10, s8
	s_addc_u32 s11, s11, s9
	s_add_u32 s1, s14, s4
	s_addc_u32 s5, s15, s5
	v_add_u32_e32 v38, s33, v47
	s_add_u32 s4, s1, s8
	v_mul_lo_u32 v38, s34, v38
	v_mov_b32_e32 v39, 0
	s_addc_u32 s5, s5, s9
	v_lshlrev_b64 v[38:39], 2, v[38:39]
	v_lshl_add_u64 v[44:45], s[10:11], 0, v[38:39]
	v_lshl_add_u64 v[38:39], s[4:5], 0, v[38:39]
	global_store_dword v[38:39], v41, off
	global_store_dword v[44:45], v42, off
.LBB498_21:
	s_or_b64 exec, exec, s[2:3]
	v_mov_b32_e32 v38, 0
	v_mov_b32_e32 v39, 0
	s_and_saveexec_b64 s[2:3], s[6:7]
	s_cbranch_execz .LBB498_23
; %bb.22:
	v_add_f32_e32 v38, 0x358637bd, v42
	v_div_scale_f32 v39, s[4:5], v38, v38, 1.0
	v_rcp_f32_e32 v42, v39
	v_div_scale_f32 v43, vcc, 1.0, v38, 1.0
	v_sub_f32_e32 v40, v40, v41
	v_fma_f32 v44, -v39, v42, 1.0
	v_fmac_f32_e32 v42, v44, v42
	v_mul_f32_e32 v44, v43, v42
	v_fma_f32 v45, -v39, v44, v43
	v_mul_f32_e32 v40, 0x3fb8aa3b, v40
	v_fmac_f32_e32 v44, v45, v42
	v_exp_f32_e32 v40, v40
	v_fma_f32 v39, -v39, v44, v43
	v_div_fmas_f32 v39, v39, v42, v44
	v_div_fixup_f32 v38, v39, v38, 1.0
	v_mul_f32_e32 v38, v40, v38
	v_pk_mul_f32 v[34:35], v[34:35], v[38:39] op_sel_hi:[1,0]
	v_pk_mul_f32 v[36:37], v[36:37], v[38:39] op_sel_hi:[1,0]
	v_bfe_u32 v38, v35, 16, 1
	v_bfe_u32 v39, v34, 16, 1
	s_movk_i32 s1, 0x7fff
	v_add3_u32 v34, v34, v39, s1
	v_add3_u32 v35, v35, v38, s1
	s_mov_b32 s4, 0x7060302
	v_perm_b32 v34, v35, v34, s4
	v_bfe_u32 v35, v37, 16, 1
	v_bfe_u32 v38, v36, 16, 1
	v_add3_u32 v36, v36, v38, s1
	v_add3_u32 v35, v37, v35, s1
	v_perm_b32 v35, v35, v36, s4
	s_waitcnt vmcnt(7)
	s_nop 0
	v_mfma_f32_4x4x4_16b_bf16 a[0:3], v[34:35], v[2:3], 0 cbsz:4
	s_nop 1
	v_mfma_f32_4x4x4_16b_bf16 a[0:3], v[34:35], v[4:5], a[0:3] cbsz:4 abid:1
	s_waitcnt vmcnt(6)
	s_nop 0
	v_mfma_f32_4x4x4_16b_bf16 a[0:3], v[34:35], v[6:7], a[0:3] cbsz:4 abid:2
	s_nop 1
	v_mfma_f32_4x4x4_16b_bf16 a[0:3], v[34:35], v[8:9], a[0:3] cbsz:4 abid:3
	s_waitcnt vmcnt(5)
	s_nop 0
	v_mfma_f32_4x4x4_16b_bf16 a[0:3], v[34:35], v[10:11], a[0:3] cbsz:4 abid:4
	;; [unrolled: 5-line block ×7, first 2 shown]
	s_nop 1
	v_mfma_f32_4x4x4_16b_bf16 a[0:3], v[34:35], v[32:33], a[0:3] cbsz:4 abid:15
	s_nop 4
	v_accvgpr_read_b32 v5, a1
	v_accvgpr_read_b32 v2, a2
	;; [unrolled: 1-line block ×4, first 2 shown]
	v_bfe_u32 v6, v5, 16, 1
	v_bfe_u32 v7, v4, 16, 1
	;; [unrolled: 1-line block ×3, first 2 shown]
	v_add3_u32 v5, v5, v6, s1
	v_bfe_u32 v6, v2, 16, 1
	v_add3_u32 v4, v4, v7, s1
	v_add3_u32 v2, v2, v6, s1
	;; [unrolled: 1-line block ×3, first 2 shown]
	v_perm_b32 v39, v3, v2, s4
	v_perm_b32 v38, v5, v4, s4
.LBB498_23:
	s_or_b64 exec, exec, s[2:3]
	v_lshlrev_b32_e32 v1, 3, v1
	v_mad_u32_u24 v1, v46, 40, v1
	v_cmp_gt_u32_e32 vcc, 64, v0
	ds_write_b64 v1, v[38:39]
	s_waitcnt lgkmcnt(0)
	s_barrier
	s_and_saveexec_b64 s[2:3], vcc
	s_cbranch_execz .LBB498_25
; %bb.24:
	v_mul_u32_u24_e32 v1, 40, v46
	s_waitcnt vmcnt(7)
	ds_read2_b64 v[2:5], v1 offset1:1
	s_waitcnt vmcnt(6)
	ds_read2_b64 v[6:9], v1 offset0:2 offset1:3
	s_mov_b32 s1, 0
	s_lshl_b32 s0, s0, 6
	s_lshl_b64 s[2:3], s[0:1], 1
	s_waitcnt lgkmcnt(1)
	v_and_b32_e32 v1, 0xffff0000, v2
	v_lshlrev_b32_e32 v3, 16, v3
	v_add_f32_e32 v1, 0, v1
	v_add_f32_e32 v3, 0, v3
	v_and_b32_e32 v1, 0xffff0000, v1
	s_waitcnt vmcnt(5)
	v_and_b32_e32 v10, 0xffff0000, v4
	v_and_b32_e32 v3, 0xffff0000, v3
	v_add_f32_e32 v1, v1, v10
	v_lshlrev_b32_e32 v5, 16, v5
	v_and_b32_e32 v1, 0xffff0000, v1
	v_add_f32_e32 v3, v3, v5
	s_waitcnt lgkmcnt(0)
	v_and_b32_e32 v5, 0xffff0000, v6
	v_and_b32_e32 v3, 0xffff0000, v3
	v_add_f32_e32 v1, v1, v5
	v_lshlrev_b32_e32 v5, 16, v7
	v_and_b32_e32 v1, 0xffff0000, v1
	v_add_f32_e32 v3, v3, v5
	v_and_b32_e32 v5, 0xffff0000, v8
	v_lshlrev_b32_e32 v2, 16, v2
	v_and_b32_e32 v3, 0xffff0000, v3
	v_add_f32_e32 v1, v1, v5
	v_lshlrev_b32_e32 v5, 16, v9
	s_add_u32 s2, s18, s2
	v_add_f32_e32 v2, 0, v2
	v_add_f32_e32 v7, v3, v5
	s_addc_u32 s3, s19, s3
	s_lshl_b32 s0, s16, 6
	v_and_b32_e32 v2, 0xffff0000, v2
	v_lshlrev_b32_e32 v3, 16, v4
	s_lshl_b64 s[0:1], s[0:1], 1
	v_add_f32_e32 v2, v2, v3
	s_add_u32 s0, s2, s0
	v_and_b32_e32 v2, 0xffff0000, v2
	v_lshlrev_b32_e32 v3, 16, v6
	s_addc_u32 s1, s3, s1
	s_lshl_b32 s2, s34, 6
	v_add_f32_e32 v2, v2, v3
	v_and_b32_e32 v2, 0xffff0000, v2
	v_lshlrev_b32_e32 v3, 16, v8
	s_mul_i32 s3, s2, s33
	v_add_f32_e32 v6, v2, v3
	v_or_b32_e32 v2, s3, v0
	v_mov_b32_e32 v3, 0
	s_add_i32 s3, s3, s2
	v_lshl_add_u64 v[4:5], v[2:3], 1, s[0:1]
	v_or_b32_e32 v2, s3, v0
	s_add_i32 s3, s3, s2
	global_store_short_d16_hi v[4:5], v6, off
	v_lshl_add_u64 v[4:5], v[2:3], 1, s[0:1]
	v_or_b32_e32 v2, s3, v0
	global_store_short_d16_hi v[4:5], v1, off
	v_lshl_add_u64 v[0:1], v[2:3], 1, s[0:1]
	global_store_short_d16_hi v[0:1], v7, off
.LBB498_25:
	s_endpgm
	.section	.rodata,"a",@progbits
	.p2align	6, 0x0
	.amdhsa_kernel _Z38paged_attention_ll4mi_QKV_mfma4_kernelI14__hip_bfloat16S0_LN4vllm18Fp8KVCacheDataTypeE0EhLi32ELi64ELi256ELb1ELi3EEvPKT_PKT0_S8_ifPKiSA_SA_iPKfiiiPfSD_PS3_PT2_iSC_SC_
		.amdhsa_group_segment_fixed_size 2720
		.amdhsa_private_segment_fixed_size 0
		.amdhsa_kernarg_size 400
		.amdhsa_user_sgpr_count 2
		.amdhsa_user_sgpr_dispatch_ptr 0
		.amdhsa_user_sgpr_queue_ptr 0
		.amdhsa_user_sgpr_kernarg_segment_ptr 1
		.amdhsa_user_sgpr_dispatch_id 0
		.amdhsa_user_sgpr_kernarg_preload_length 0
		.amdhsa_user_sgpr_kernarg_preload_offset 0
		.amdhsa_user_sgpr_private_segment_size 0
		.amdhsa_uses_dynamic_stack 0
		.amdhsa_enable_private_segment 0
		.amdhsa_system_sgpr_workgroup_id_x 1
		.amdhsa_system_sgpr_workgroup_id_y 1
		.amdhsa_system_sgpr_workgroup_id_z 1
		.amdhsa_system_sgpr_workgroup_info 0
		.amdhsa_system_vgpr_workitem_id 0
		.amdhsa_next_free_vgpr 60
		.amdhsa_next_free_sgpr 40
		.amdhsa_accum_offset 56
		.amdhsa_reserve_vcc 1
		.amdhsa_float_round_mode_32 0
		.amdhsa_float_round_mode_16_64 0
		.amdhsa_float_denorm_mode_32 3
		.amdhsa_float_denorm_mode_16_64 3
		.amdhsa_dx10_clamp 1
		.amdhsa_ieee_mode 1
		.amdhsa_fp16_overflow 0
		.amdhsa_tg_split 0
		.amdhsa_exception_fp_ieee_invalid_op 0
		.amdhsa_exception_fp_denorm_src 0
		.amdhsa_exception_fp_ieee_div_zero 0
		.amdhsa_exception_fp_ieee_overflow 0
		.amdhsa_exception_fp_ieee_underflow 0
		.amdhsa_exception_fp_ieee_inexact 0
		.amdhsa_exception_int_div_zero 0
	.end_amdhsa_kernel
	.section	.text._Z38paged_attention_ll4mi_QKV_mfma4_kernelI14__hip_bfloat16S0_LN4vllm18Fp8KVCacheDataTypeE0EhLi32ELi64ELi256ELb1ELi3EEvPKT_PKT0_S8_ifPKiSA_SA_iPKfiiiPfSD_PS3_PT2_iSC_SC_,"axG",@progbits,_Z38paged_attention_ll4mi_QKV_mfma4_kernelI14__hip_bfloat16S0_LN4vllm18Fp8KVCacheDataTypeE0EhLi32ELi64ELi256ELb1ELi3EEvPKT_PKT0_S8_ifPKiSA_SA_iPKfiiiPfSD_PS3_PT2_iSC_SC_,comdat
.Lfunc_end498:
	.size	_Z38paged_attention_ll4mi_QKV_mfma4_kernelI14__hip_bfloat16S0_LN4vllm18Fp8KVCacheDataTypeE0EhLi32ELi64ELi256ELb1ELi3EEvPKT_PKT0_S8_ifPKiSA_SA_iPKfiiiPfSD_PS3_PT2_iSC_SC_, .Lfunc_end498-_Z38paged_attention_ll4mi_QKV_mfma4_kernelI14__hip_bfloat16S0_LN4vllm18Fp8KVCacheDataTypeE0EhLi32ELi64ELi256ELb1ELi3EEvPKT_PKT0_S8_ifPKiSA_SA_iPKfiiiPfSD_PS3_PT2_iSC_SC_
                                        ; -- End function
	.section	.AMDGPU.csdata,"",@progbits
; Kernel info:
; codeLenInByte = 3336
; NumSgprs: 46
; NumVgprs: 56
; NumAgprs: 4
; TotalNumVgprs: 60
; ScratchSize: 0
; MemoryBound: 0
; FloatMode: 240
; IeeeMode: 1
; LDSByteSize: 2720 bytes/workgroup (compile time only)
; SGPRBlocks: 5
; VGPRBlocks: 7
; NumSGPRsForWavesPerEU: 46
; NumVGPRsForWavesPerEU: 60
; AccumOffset: 56
; Occupancy: 8
; WaveLimiterHint : 1
; COMPUTE_PGM_RSRC2:SCRATCH_EN: 0
; COMPUTE_PGM_RSRC2:USER_SGPR: 2
; COMPUTE_PGM_RSRC2:TRAP_HANDLER: 0
; COMPUTE_PGM_RSRC2:TGID_X_EN: 1
; COMPUTE_PGM_RSRC2:TGID_Y_EN: 1
; COMPUTE_PGM_RSRC2:TGID_Z_EN: 1
; COMPUTE_PGM_RSRC2:TIDIG_COMP_CNT: 0
; COMPUTE_PGM_RSRC3_GFX90A:ACCUM_OFFSET: 13
; COMPUTE_PGM_RSRC3_GFX90A:TG_SPLIT: 0
	.section	.text._Z38paged_attention_ll4mi_QKV_mfma4_kernelI14__hip_bfloat16S0_LN4vllm18Fp8KVCacheDataTypeE0EhLi32ELi64ELi256ELb1ELi4EEvPKT_PKT0_S8_ifPKiSA_SA_iPKfiiiPfSD_PS3_PT2_iSC_SC_,"axG",@progbits,_Z38paged_attention_ll4mi_QKV_mfma4_kernelI14__hip_bfloat16S0_LN4vllm18Fp8KVCacheDataTypeE0EhLi32ELi64ELi256ELb1ELi4EEvPKT_PKT0_S8_ifPKiSA_SA_iPKfiiiPfSD_PS3_PT2_iSC_SC_,comdat
	.protected	_Z38paged_attention_ll4mi_QKV_mfma4_kernelI14__hip_bfloat16S0_LN4vllm18Fp8KVCacheDataTypeE0EhLi32ELi64ELi256ELb1ELi4EEvPKT_PKT0_S8_ifPKiSA_SA_iPKfiiiPfSD_PS3_PT2_iSC_SC_ ; -- Begin function _Z38paged_attention_ll4mi_QKV_mfma4_kernelI14__hip_bfloat16S0_LN4vllm18Fp8KVCacheDataTypeE0EhLi32ELi64ELi256ELb1ELi4EEvPKT_PKT0_S8_ifPKiSA_SA_iPKfiiiPfSD_PS3_PT2_iSC_SC_
	.globl	_Z38paged_attention_ll4mi_QKV_mfma4_kernelI14__hip_bfloat16S0_LN4vllm18Fp8KVCacheDataTypeE0EhLi32ELi64ELi256ELb1ELi4EEvPKT_PKT0_S8_ifPKiSA_SA_iPKfiiiPfSD_PS3_PT2_iSC_SC_
	.p2align	8
	.type	_Z38paged_attention_ll4mi_QKV_mfma4_kernelI14__hip_bfloat16S0_LN4vllm18Fp8KVCacheDataTypeE0EhLi32ELi64ELi256ELb1ELi4EEvPKT_PKT0_S8_ifPKiSA_SA_iPKfiiiPfSD_PS3_PT2_iSC_SC_,@function
_Z38paged_attention_ll4mi_QKV_mfma4_kernelI14__hip_bfloat16S0_LN4vllm18Fp8KVCacheDataTypeE0EhLi32ELi64ELi256ELb1ELi4EEvPKT_PKT0_S8_ifPKiSA_SA_iPKfiiiPfSD_PS3_PT2_iSC_SC_: ; @_Z38paged_attention_ll4mi_QKV_mfma4_kernelI14__hip_bfloat16S0_LN4vllm18Fp8KVCacheDataTypeE0EhLi32ELi64ELi256ELb1ELi4EEvPKT_PKT0_S8_ifPKiSA_SA_iPKfiiiPfSD_PS3_PT2_iSC_SC_
; %bb.0:
	s_load_dwordx2 s[8:9], s[0:1], 0x30
	s_mov_b32 s20, s3
	s_mov_b64 s[6:7], 0
	s_waitcnt lgkmcnt(0)
	s_cmp_lg_u64 s[8:9], 0
	s_cselect_b64 s[10:11], -1, 0
	s_and_b64 vcc, exec, s[10:11]
	s_cbranch_vccz .LBB499_18
; %bb.1:
	s_add_i32 s12, s2, 1
	s_mov_b32 s13, 0
	s_lshl_b64 s[14:15], s[12:13], 2
	s_add_u32 s14, s8, s14
	s_mov_b32 s3, s13
	s_addc_u32 s15, s9, s15
	s_lshl_b64 s[12:13], s[2:3], 2
	s_add_u32 s12, s8, s12
	s_addc_u32 s13, s9, s13
	s_load_dword s5, s[14:15], 0x0
	s_load_dword s16, s[12:13], 0x0
	s_mov_b64 s[30:31], s[2:3]
	s_waitcnt lgkmcnt(0)
	s_sub_i32 s5, s5, s16
	s_cmp_eq_u32 s5, 1
	s_cselect_b64 s[12:13], -1, 0
	s_andn2_b64 vcc, exec, s[6:7]
	s_cbranch_vccnz .LBB499_3
.LBB499_2:
	s_mov_b32 s3, 0
	s_mov_b64 s[12:13], -1
	s_mov_b64 s[30:31], s[2:3]
.LBB499_3:
	s_andn2_b64 vcc, exec, s[12:13]
	s_cbranch_vccnz .LBB499_17
; %bb.4:
	s_load_dword s3, s[0:1], 0x9c
	s_load_dwordx2 s[6:7], s[0:1], 0x28
	s_add_u32 s24, s0, 0x90
	s_addc_u32 s25, s1, 0
	s_lshl_b64 s[36:37], s[30:31], 2
	s_waitcnt lgkmcnt(0)
	s_and_b32 s5, s3, 0xffff
	s_add_u32 s6, s6, s36
	s_addc_u32 s7, s7, s37
	s_load_dword s3, s[6:7], 0x0
	s_mul_i32 s5, s20, s5
	s_waitcnt lgkmcnt(0)
	s_cmp_ge_i32 s5, s3
	s_cbranch_scc1 .LBB499_17
; %bb.5:
	v_and_b32_e32 v2, 0xc0, v0
	v_and_b32_e32 v41, 3, v0
	s_lshl_b32 s33, s4, 2
	v_add_u32_e32 v4, s5, v2
	v_lshrrev_b32_e32 v1, 6, v0
	v_cmp_gt_i32_e64 s[6:7], s3, v4
	v_cmp_le_i32_e32 vcc, s3, v4
	v_or_b32_e32 v34, s33, v41
                                        ; implicit-def: $sgpr17
                                        ; implicit-def: $sgpr16
	s_and_saveexec_b64 s[12:13], vcc
	s_xor_b64 s[12:13], exec, s[12:13]
	s_cbranch_execz .LBB499_7
; %bb.6:
	v_mul_u32_u24_e32 v2, 20, v1
	v_or_b32_e32 v2, 0xa00, v2
	v_mov_b32_e32 v3, 0xa50
	v_mov_b32_e32 v4, 0xff7fffff
	v_mad_u32_u24 v3, v1, 20, v3
	ds_write2_b32 v2, v4, v4 offset1:1
	v_mov_b32_e32 v2, 0
	ds_write2_b32 v3, v2, v2 offset1:1
	v_mov_b32_e32 v3, 0xa08
	s_mov_b32 s16, 0xff7fffff
	s_mov_b32 s17, 0
	v_mad_u32_u24 v3, v1, 20, v3
	v_mov_b32_e32 v5, 0xa58
	v_or_b32_e32 v34, s33, v41
	v_mad_u32_u24 v5, v1, 20, v5
	ds_write2_b32 v3, v4, v4 offset1:1
	ds_write2_b32 v5, v2, v2 offset1:1
                                        ; implicit-def: $vgpr4
.LBB499_7:
	s_or_saveexec_b64 s[26:27], s[12:13]
	s_load_dwordx2 s[22:23], s[0:1], 0x68
	s_load_dwordx4 s[12:15], s[0:1], 0x58
	s_load_dword s40, s[24:25], 0x4
	v_and_b32_e32 v40, 63, v0
	v_mov_b32_e32 v39, s17
	v_mov_b32_e32 v42, s16
	;; [unrolled: 1-line block ×5, first 2 shown]
                                        ; implicit-def: $vgpr3
                                        ; implicit-def: $vgpr7
                                        ; implicit-def: $vgpr11
                                        ; implicit-def: $vgpr15
                                        ; implicit-def: $vgpr19
                                        ; implicit-def: $vgpr23
                                        ; implicit-def: $vgpr27
                                        ; implicit-def: $vgpr31
	s_xor_b64 exec, exec, s[26:27]
	s_cbranch_execz .LBB499_13
; %bb.8:
	s_add_i32 s19, s3, 31
	s_ashr_i32 s21, s19, 31
	s_lshr_b32 s21, s21, 27
	v_add_u32_e32 v2, s5, v0
	s_add_i32 s19, s19, s21
	v_ashrrev_i32_e32 v3, 31, v2
	s_load_dwordx2 s[16:17], s[0:1], 0x20
	s_load_dword s18, s[0:1], 0x38
	s_ashr_i32 s19, s19, 5
	v_lshrrev_b32_e32 v3, 27, v3
	s_add_i32 s21, s19, -1
	v_add_u32_e32 v3, v2, v3
	v_ashrrev_i32_e32 v3, 5, v3
	v_mov_b32_e32 v5, s21
	v_cmp_gt_i32_e32 vcc, s3, v2
	s_waitcnt lgkmcnt(0)
	s_mul_i32 s38, s2, s18
	s_mov_b32 s39, 0
	v_cndmask_b32_e32 v6, v5, v3, vcc
	v_ashrrev_i32_e32 v3, 31, v4
	v_lshrrev_b32_e32 v3, 27, v3
	v_add_u32_e32 v3, v4, v3
	s_lshl_b64 s[18:19], s[38:39], 2
	v_ashrrev_i32_e32 v3, 5, v3
	s_add_u32 s16, s16, s18
	v_min_i32_e32 v4, s21, v3
	s_addc_u32 s17, s17, s19
	v_ashrrev_i32_e32 v5, 31, v4
	v_add_u32_e32 v3, 1, v3
	v_ashrrev_i32_e32 v7, 31, v6
	v_lshl_add_u64 v[8:9], v[4:5], 2, s[16:17]
	v_min_i32_e32 v4, s21, v3
	v_lshl_add_u64 v[6:7], v[6:7], 2, s[16:17]
	v_ashrrev_i32_e32 v5, 31, v4
	v_lshl_add_u64 v[10:11], v[4:5], 2, s[16:17]
	global_load_dword v5, v[6:7], off
	global_load_dword v4, v[8:9], off
	;; [unrolled: 1-line block ×3, first 2 shown]
	s_load_dwordx2 s[34:35], s[0:1], 0x40
	s_load_dwordx4 s[16:19], s[0:1], 0x0
	s_load_dwordx2 s[28:29], s[0:1], 0x10
	s_andn2_b64 vcc, exec, s[10:11]
	s_cbranch_vccnz .LBB499_10
; %bb.9:
	s_add_u32 s8, s8, s36
	s_addc_u32 s9, s9, s37
	s_load_dword s38, s[8:9], 0x0
	s_waitcnt lgkmcnt(0)
	s_mov_b64 s[30:31], s[38:39]
.LBB499_10:
	s_load_dwordx4 s[8:11], s[0:1], 0x48
	v_lshrrev_b32_e32 v6, 2, v40
	v_lshlrev_b32_e32 v7, 3, v41
	v_add_lshl_u32 v6, v7, v6, 4
	v_mov_b32_e32 v31, 0
	s_waitcnt lgkmcnt(0)
	s_ashr_i32 s5, s8, 31
	s_mul_hi_u32 s11, s30, s8
	s_mul_i32 s5, s30, s5
	s_mul_i32 s21, s31, s8
	s_add_i32 s5, s11, s5
	s_mul_i32 s36, s30, s8
	s_add_i32 s37, s5, s21
	s_lshl_b64 s[30:31], s[36:37], 1
	s_add_u32 s5, s16, s30
	s_addc_u32 s8, s17, s31
	s_lshl_b32 s38, s4, 8
	s_lshl_b64 s[16:17], s[38:39], 1
	s_add_u32 s16, s5, s16
	s_addc_u32 s17, s8, s17
	global_load_dwordx4 v[36:39], v6, s[16:17]
	s_mul_i32 s38, s4, s10
	s_lshl_b64 s[4:5], s[38:39], 1
	s_add_u32 s10, s4, s18
	s_waitcnt vmcnt(3)
	v_mad_i64_i32 v[6:7], s[16:17], v5, s9, 0
	s_addc_u32 s11, s5, s19
	v_and_b32_e32 v5, 31, v0
	v_lshl_add_u64 v[6:7], v[6:7], 1, s[10:11]
	v_lshlrev_b32_e32 v30, 4, v5
	v_lshl_add_u64 v[32:33], v[6:7], 0, v[30:31]
	global_load_dwordx4 v[6:9], v[32:33], off
	global_load_dwordx4 v[10:13], v[32:33], off offset:512
	global_load_dwordx4 v[14:17], v[32:33], off offset:1024
	;; [unrolled: 1-line block ×7, first 2 shown]
	v_mov_b32_e32 v35, v31
	v_lshl_add_u64 v[32:33], v[34:35], 2, s[34:35]
	global_load_dword v35, v[32:33], off
	v_and_b32_e32 v56, -4, v2
	v_lshlrev_b32_e32 v5, 2, v0
	v_or_b32_e32 v58, 3, v2
	s_waitcnt vmcnt(11)
	v_mul_hi_i32 v2, v4, s9
	s_add_u32 s4, s28, s4
	v_and_or_b32 v60, v5, 48, v41
	s_waitcnt vmcnt(10)
	v_mul_hi_i32 v5, v3, s9
	v_ashrrev_i32_e32 v2, 31, v2
	s_addc_u32 s5, s29, s5
	v_lshlrev_b32_e32 v30, 6, v40
	v_ashrrev_i32_e32 v50, 31, v5
	v_lshl_add_u64 v[32:33], s[4:5], 0, v[30:31]
	v_lshrrev_b32_e32 v30, 29, v2
	v_mad_i64_i32 v[4:5], s[4:5], v4, s9, v[30:31]
	v_lshrrev_b32_e32 v30, 29, v50
	v_mad_i64_i32 v[2:3], s[4:5], v3, s9, v[30:31]
	v_lshlrev_b64 v[4:5], 1, v[4:5]
	v_lshlrev_b64 v[30:31], 1, v[2:3]
	v_and_b32_e32 v4, -16, v4
	v_and_b32_e32 v30, -16, v30
	v_lshl_add_u64 v[50:51], v[32:33], 0, v[30:31]
	s_load_dword s0, s[0:1], 0x1c
	v_cmp_eq_u32_e32 vcc, 0, v41
	v_subrev_u32_e32 v59, s3, v56
	v_add_u32_e32 v63, 1, v59
	v_cndmask_b32_e64 v52, 0, 1.0, vcc
	v_cmp_eq_u32_e32 vcc, 1, v41
	v_add_u32_e32 v64, 2, v59
	v_add_u32_e32 v65, 3, v59
	v_cndmask_b32_e64 v53, 0, 1.0, vcc
	v_cmp_eq_u32_e32 vcc, 2, v41
	v_mov_b32_e32 v57, 0xff7fffff
	v_or_b32_e32 v61, 1, v56
	v_cndmask_b32_e64 v54, 0, 1.0, vcc
	v_cmp_eq_u32_e32 vcc, 3, v41
	v_or_b32_e32 v62, 2, v56
	v_cmp_gt_i32_e64 s[4:5], s3, v62
	v_cndmask_b32_e64 v55, 0, 1.0, vcc
	v_cmp_gt_i32_e32 vcc, s3, v56
	v_cmp_gt_i32_e64 s[8:9], s3, v58
	s_waitcnt vmcnt(8)
	v_mfma_f32_4x4x4_16b_bf16 a[0:3], v[36:37], v[6:7], 0 cbsz:4
	s_nop 1
	v_mfma_f32_4x4x4_16b_bf16 a[0:3], v[38:39], v[8:9], a[0:3] cbsz:4
	s_waitcnt vmcnt(7)
	s_nop 0
	v_mfma_f32_4x4x4_16b_bf16 a[0:3], v[36:37], v[10:11], a[0:3] cbsz:4 abid:1
	s_nop 1
	v_mfma_f32_4x4x4_16b_bf16 a[0:3], v[38:39], v[12:13], a[0:3] cbsz:4 abid:1
	s_waitcnt vmcnt(6)
	s_nop 0
	v_mfma_f32_4x4x4_16b_bf16 a[0:3], v[36:37], v[14:15], a[0:3] cbsz:4 abid:2
	s_nop 1
	v_mfma_f32_4x4x4_16b_bf16 a[0:3], v[38:39], v[16:17], a[0:3] cbsz:4 abid:2
	s_waitcnt vmcnt(5)
	s_nop 0
	v_mfma_f32_4x4x4_16b_bf16 a[0:3], v[36:37], v[18:19], a[0:3] cbsz:4 abid:3
	v_lshl_add_u64 v[18:19], v[32:33], 0, v[4:5]
	global_load_dwordx4 v[2:5], v[18:19], off
	global_load_dwordx4 v[6:9], v[18:19], off offset:16
	v_mfma_f32_4x4x4_16b_bf16 a[0:3], v[38:39], v[20:21], a[0:3] cbsz:4 abid:3
	global_load_dwordx4 v[10:13], v[18:19], off offset:32
	global_load_dwordx4 v[14:17], v[18:19], off offset:48
	s_waitcnt vmcnt(8)
	v_mfma_f32_4x4x4_16b_bf16 a[0:3], v[36:37], v[22:23], a[0:3] cbsz:4 abid:4
	s_nop 1
	v_mfma_f32_4x4x4_16b_bf16 a[0:3], v[38:39], v[24:25], a[0:3] cbsz:4 abid:4
	global_load_dwordx4 v[18:21], v[50:51], off
	global_load_dwordx4 v[22:25], v[50:51], off offset:16
	s_waitcnt vmcnt(9)
	v_mfma_f32_4x4x4_16b_bf16 a[0:3], v[36:37], v[26:27], a[0:3] cbsz:4 abid:5
	s_nop 1
	v_mfma_f32_4x4x4_16b_bf16 a[0:3], v[38:39], v[28:29], a[0:3] cbsz:4 abid:5
	global_load_dwordx4 v[26:29], v[50:51], off offset:32
	global_load_dwordx4 v[30:33], v[50:51], off offset:48
	s_waitcnt vmcnt(10)
	v_mfma_f32_4x4x4_16b_bf16 a[0:3], v[36:37], v[42:43], a[0:3] cbsz:4 abid:6
	v_add_u32_e32 v42, 4, v59
	v_lshlrev_b32_e32 v43, 2, v60
	v_mfma_f32_4x4x4_16b_bf16 a[0:3], v[38:39], v[44:45], a[0:3] cbsz:4 abid:6
	v_cvt_f32_i32_e32 v44, v63
	s_waitcnt vmcnt(9)
	v_mfma_f32_4x4x4_16b_bf16 a[0:3], v[36:37], v[46:47], a[0:3] cbsz:4 abid:7
	s_nop 1
	v_mfma_f32_4x4x4_16b_bf16 a[0:3], v[38:39], v[48:49], a[0:3] cbsz:4 abid:7
	s_nop 4
	v_accvgpr_read_b32 v37, a1
	v_accvgpr_read_b32 v36, a0
	s_waitcnt lgkmcnt(0)
	v_pk_mul_f32 v[36:37], s[0:1], v[36:37] op_sel_hi:[0,1]
	v_accvgpr_read_b32 v39, a3
	v_accvgpr_read_b32 v38, a2
	v_pk_mul_f32 v[38:39], s[0:1], v[38:39] op_sel_hi:[0,1]
	v_mfma_f32_4x4x1_16b_f32 a[0:3], v36, v52, 0
	v_cvt_f32_i32_e32 v36, v64
	s_nop 0
	v_mfma_f32_4x4x1_16b_f32 a[0:3], v37, v53, a[0:3]
	v_cvt_f32_i32_e32 v37, v65
	v_cmp_gt_i32_e64 s[0:1], s3, v61
	v_mfma_f32_4x4x1_16b_f32 a[0:3], v38, v54, a[0:3]
	v_cvt_f32_i32_e32 v38, v42
	s_nop 0
	v_mfma_f32_4x4x1_16b_f32 a[0:3], v39, v55, a[0:3]
	s_nop 3
	v_accvgpr_read_b32 v39, a0
	v_accvgpr_read_b32 v42, a1
	;; [unrolled: 1-line block ×4, first 2 shown]
	s_waitcnt vmcnt(8)
	v_fma_f32 v39, v35, v44, v39
	v_fma_f32 v36, v35, v36, v42
	;; [unrolled: 1-line block ×3, first 2 shown]
	v_fmac_f32_e32 v46, v35, v38
	v_max_f32_e32 v35, 0xff7fffff, v39
	v_cndmask_b32_e32 v35, v57, v35, vcc
	v_max_f32_e32 v38, v35, v36
	v_cndmask_b32_e64 v35, v35, v38, s[0:1]
	v_max_f32_e32 v38, v35, v37
	v_cndmask_b32_e64 v35, v35, v38, s[4:5]
	;; [unrolled: 2-line block ×3, first 2 shown]
	;;#ASMSTART
	v_nop
 v_nop
 v_max_f32_dpp v35, v35, v35 row_ror:4
	;;#ASMEND
	s_nop 0
	;;#ASMSTART
	v_nop
 v_nop
 v_max_f32_dpp v35, v35, v35 row_ror:8
	;;#ASMEND
	ds_bpermute_b32 v35, v43, v35
	s_waitcnt lgkmcnt(0)
	;;#ASMSTART
	v_nop
 v_nop
 v_max_f32_dpp v35, v35, v35 row_ror:4
	;;#ASMEND
	s_nop 0
	;;#ASMSTART
	v_nop
 v_nop
 v_max_f32_dpp v42, v35, v35 row_ror:8
	;;#ASMEND
	s_nop 0
	v_sub_f32_e32 v35, v39, v42
	v_sub_f32_e32 v36, v36, v42
	v_mul_f32_e32 v35, 0x3fb8aa3b, v35
	v_sub_f32_e32 v37, v37, v42
	v_mul_f32_e32 v36, 0x3fb8aa3b, v36
	v_exp_f32_e32 v35, v35
	v_sub_f32_e32 v38, v46, v42
	v_mul_f32_e32 v37, 0x3fb8aa3b, v37
	v_exp_f32_e32 v39, v36
	v_mul_f32_e32 v38, 0x3fb8aa3b, v38
	v_exp_f32_e32 v44, v37
	v_exp_f32_e32 v45, v38
	v_cndmask_b32_e32 v36, 0, v35, vcc
	v_cndmask_b32_e64 v37, 0, v39, s[0:1]
	v_add_f32_e32 v35, 0, v36
	v_cndmask_b32_e64 v38, 0, v44, s[4:5]
	v_add_f32_e32 v35, v35, v37
	;; [unrolled: 2-line block ×3, first 2 shown]
	v_add_f32_e32 v35, v35, v39
	;;#ASMSTART
	v_nop
 v_nop
 v_add_f32_dpp v35, v35, v35 row_ror:4
	;;#ASMEND
	v_cmp_gt_u32_e32 vcc, 4, v40
	;;#ASMSTART
	v_nop
 v_nop
 v_add_f32_dpp v35, v35, v35 row_ror:8
	;;#ASMEND
	ds_bpermute_b32 v35, v43, v35
	s_waitcnt lgkmcnt(0)
	;;#ASMSTART
	v_nop
 v_nop
 v_add_f32_dpp v35, v35, v35 row_ror:4
	;;#ASMEND
	s_nop 0
	;;#ASMSTART
	v_nop
 v_nop
 v_add_f32_dpp v35, v35, v35 row_ror:8
	;;#ASMEND
	s_and_saveexec_b64 s[0:1], vcc
	s_cbranch_execz .LBB499_12
; %bb.11:
	v_mul_u32_u24_e32 v43, 20, v1
	v_lshl_add_u32 v43, v41, 2, v43
	v_add_u32_e32 v43, 0x800, v43
	ds_write2_b32 v43, v42, v35 offset0:128 offset1:148
.LBB499_12:
	s_or_b64 exec, exec, s[0:1]
.LBB499_13:
	s_or_b64 exec, exec, s[26:27]
	v_lshlrev_b32_e32 v35, 2, v41
	v_add_u32_e32 v35, 0x800, v35
	s_waitcnt lgkmcnt(0)
	s_barrier
	s_load_dword s0, s[24:25], 0x8
	ds_read2_b32 v[44:45], v35 offset0:128 offset1:133
	ds_read2_b32 v[46:47], v35 offset0:138 offset1:143
	s_mov_b32 s4, 0xff7fffff
	s_mul_i32 s1, s2, s40
	ds_read2_b32 v[48:49], v35 offset0:148 offset1:153
	s_waitcnt lgkmcnt(0)
	v_max3_f32 v41, v44, s4, v45
	s_mul_i32 s1, s1, s0
	v_max3_f32 v41, v41, v46, v47
	s_lshl_b32 s0, s1, 2
	s_mov_b32 s1, 0
	v_sub_f32_e32 v43, v44, v41
	v_sub_f32_e32 v44, v45, v41
	s_lshl_b64 s[2:3], s[0:1], 2
	v_mul_f32_e32 v43, 0x3fb8aa3b, v43
	v_mul_f32_e32 v44, 0x3fb8aa3b, v44
	s_mov_b32 s21, s1
	s_add_u32 s1, s12, s2
	v_exp_f32_e32 v43, v43
	v_exp_f32_e32 v50, v44
	ds_read2_b32 v[44:45], v35 offset0:158 offset1:163
	v_sub_f32_e32 v35, v46, v41
	s_addc_u32 s8, s13, s3
	v_mul_f32_e32 v35, 0x3fb8aa3b, v35
	v_sub_f32_e32 v46, v47, v41
	s_add_u32 s4, s14, s2
	v_exp_f32_e32 v35, v35
	v_mul_f32_e32 v46, 0x3fb8aa3b, v46
	s_addc_u32 s5, s15, s3
	s_lshl_b64 s[2:3], s[20:21], 2
	v_exp_f32_e32 v46, v46
	s_add_u32 s4, s4, s2
	v_fma_f32 v43, v43, v48, 0
	s_addc_u32 s5, s5, s3
	v_fmac_f32_e32 v43, v50, v49
	s_waitcnt lgkmcnt(0)
	v_fmac_f32_e32 v43, v35, v44
	s_add_u32 s2, s1, s2
	v_mul_lo_u32 v34, s40, v34
	v_mov_b32_e32 v35, 0
	v_fmac_f32_e32 v43, v46, v45
	s_addc_u32 s3, s8, s3
	v_lshlrev_b64 v[44:45], 2, v[34:35]
	v_lshl_add_u64 v[46:47], s[4:5], 0, v[44:45]
	v_lshl_add_u64 v[44:45], s[2:3], 0, v[44:45]
	v_mov_b32_e32 v34, v35
	global_store_dword v[46:47], v41, off
	global_store_dword v[44:45], v43, off
	s_and_saveexec_b64 s[2:3], s[6:7]
	s_cbranch_execz .LBB499_15
; %bb.14:
	v_add_f32_e32 v34, 0x358637bd, v43
	v_div_scale_f32 v35, s[4:5], v34, v34, 1.0
	v_rcp_f32_e32 v43, v35
	v_div_scale_f32 v44, vcc, 1.0, v34, 1.0
	v_sub_f32_e32 v41, v42, v41
	v_fma_f32 v45, -v35, v43, 1.0
	v_fmac_f32_e32 v43, v45, v43
	v_mul_f32_e32 v45, v44, v43
	v_fma_f32 v46, -v35, v45, v44
	v_mul_f32_e32 v41, 0x3fb8aa3b, v41
	v_fmac_f32_e32 v45, v46, v43
	v_exp_f32_e32 v41, v41
	v_fma_f32 v35, -v35, v45, v44
	v_div_fmas_f32 v35, v35, v43, v45
	v_div_fixup_f32 v34, v35, v34, 1.0
	v_mul_f32_e32 v34, v41, v34
	v_pk_mul_f32 v[38:39], v[38:39], v[34:35] op_sel_hi:[1,0]
	v_pk_mul_f32 v[34:35], v[36:37], v[34:35] op_sel_hi:[1,0]
	s_movk_i32 s1, 0x7fff
	v_bfe_u32 v36, v35, 16, 1
	v_bfe_u32 v37, v34, 16, 1
	v_add3_u32 v34, v34, v37, s1
	v_add3_u32 v35, v35, v36, s1
	s_mov_b32 s4, 0x7060302
	v_perm_b32 v34, v35, v34, s4
	v_bfe_u32 v35, v39, 16, 1
	v_bfe_u32 v36, v38, 16, 1
	v_add3_u32 v36, v38, v36, s1
	v_add3_u32 v35, v39, v35, s1
	v_perm_b32 v35, v35, v36, s4
	s_waitcnt vmcnt(9)
	s_nop 0
	v_mfma_f32_4x4x4_16b_bf16 a[0:3], v[34:35], v[2:3], 0 cbsz:4
	s_nop 1
	v_mfma_f32_4x4x4_16b_bf16 a[0:3], v[34:35], v[4:5], a[0:3] cbsz:4 abid:1
	s_waitcnt vmcnt(8)
	s_nop 0
	v_mfma_f32_4x4x4_16b_bf16 a[0:3], v[34:35], v[6:7], a[0:3] cbsz:4 abid:2
	s_nop 1
	v_mfma_f32_4x4x4_16b_bf16 a[0:3], v[34:35], v[8:9], a[0:3] cbsz:4 abid:3
	s_waitcnt vmcnt(7)
	s_nop 0
	v_mfma_f32_4x4x4_16b_bf16 a[0:3], v[34:35], v[10:11], a[0:3] cbsz:4 abid:4
	;; [unrolled: 5-line block ×7, first 2 shown]
	s_nop 1
	v_mfma_f32_4x4x4_16b_bf16 a[0:3], v[34:35], v[32:33], a[0:3] cbsz:4 abid:15
	s_nop 4
	v_accvgpr_read_b32 v5, a1
	v_accvgpr_read_b32 v2, a2
	;; [unrolled: 1-line block ×4, first 2 shown]
	v_bfe_u32 v6, v5, 16, 1
	v_bfe_u32 v7, v4, 16, 1
	;; [unrolled: 1-line block ×3, first 2 shown]
	v_add3_u32 v5, v5, v6, s1
	v_bfe_u32 v6, v2, 16, 1
	v_add3_u32 v4, v4, v7, s1
	v_add3_u32 v2, v2, v6, s1
	;; [unrolled: 1-line block ×3, first 2 shown]
	v_perm_b32 v35, v3, v2, s4
	v_perm_b32 v34, v5, v4, s4
.LBB499_15:
	s_or_b64 exec, exec, s[2:3]
	v_lshlrev_b32_e32 v1, 3, v1
	v_mad_u32_u24 v1, v40, 40, v1
	v_cmp_gt_u32_e32 vcc, 64, v0
	ds_write_b64 v1, v[34:35]
	s_waitcnt lgkmcnt(0)
	s_barrier
	s_and_saveexec_b64 s[2:3], vcc
	s_cbranch_execz .LBB499_17
; %bb.16:
	v_mul_u32_u24_e32 v1, 40, v40
	s_waitcnt vmcnt(9)
	ds_read2_b64 v[2:5], v1 offset1:1
	s_waitcnt vmcnt(8)
	ds_read2_b64 v[6:9], v1 offset0:2 offset1:3
	s_mov_b32 s1, 0
	s_lshl_b32 s0, s0, 6
	s_lshl_b64 s[2:3], s[0:1], 1
	s_waitcnt lgkmcnt(1)
	v_lshlrev_b32_e32 v1, 16, v2
	v_and_b32_e32 v2, 0xffff0000, v2
	v_add_f32_e32 v1, 0, v1
	v_add_f32_e32 v2, 0, v2
	s_waitcnt vmcnt(7)
	v_lshlrev_b32_e32 v10, 16, v3
	v_and_b32_e32 v3, 0xffff0000, v3
	v_and_b32_e32 v1, 0xffff0000, v1
	v_and_b32_e32 v2, 0xffff0000, v2
	v_add_f32_e32 v3, 0, v3
	v_lshlrev_b32_e32 v11, 16, v4
	v_and_b32_e32 v4, 0xffff0000, v4
	v_add_f32_e32 v10, 0, v10
	v_and_b32_e32 v3, 0xffff0000, v3
	v_add_f32_e32 v1, v1, v11
	v_add_f32_e32 v2, v2, v4
	v_lshlrev_b32_e32 v4, 16, v5
	v_and_b32_e32 v5, 0xffff0000, v5
	v_and_b32_e32 v10, 0xffff0000, v10
	;; [unrolled: 1-line block ×3, first 2 shown]
	v_add_f32_e32 v3, v3, v5
	s_waitcnt lgkmcnt(0)
	v_lshlrev_b32_e32 v5, 16, v6
	v_and_b32_e32 v2, 0xffff0000, v2
	v_add_f32_e32 v4, v10, v4
	v_add_f32_e32 v1, v1, v5
	v_and_b32_e32 v5, 0xffff0000, v6
	v_and_b32_e32 v4, 0xffff0000, v4
	v_add_f32_e32 v2, v2, v5
	v_lshlrev_b32_e32 v5, 16, v7
	s_add_u32 s2, s22, s2
	v_and_b32_e32 v3, 0xffff0000, v3
	v_add_f32_e32 v4, v4, v5
	v_and_b32_e32 v5, 0xffff0000, v7
	s_addc_u32 s3, s23, s3
	s_lshl_b32 s0, s20, 6
	v_and_b32_e32 v1, 0xffff0000, v1
	v_add_f32_e32 v3, v3, v5
	v_lshlrev_b32_e32 v5, 16, v8
	s_lshl_b64 s[0:1], s[0:1], 1
	v_and_b32_e32 v2, 0xffff0000, v2
	v_add_f32_e32 v1, v1, v5
	v_and_b32_e32 v5, 0xffff0000, v8
	s_add_u32 s0, s2, s0
	v_and_b32_e32 v4, 0xffff0000, v4
	v_add_f32_e32 v6, v2, v5
	v_lshlrev_b32_e32 v2, 16, v9
	s_addc_u32 s1, s3, s1
	s_lshl_b32 s2, s40, 6
	v_and_b32_e32 v3, 0xffff0000, v3
	v_add_f32_e32 v7, v4, v2
	v_and_b32_e32 v2, 0xffff0000, v9
	s_mul_i32 s3, s2, s33
	v_add_f32_e32 v8, v3, v2
	v_or_b32_e32 v2, s3, v0
	v_mov_b32_e32 v3, 0
	s_add_i32 s3, s3, s2
	v_lshl_add_u64 v[4:5], v[2:3], 1, s[0:1]
	v_or_b32_e32 v2, s3, v0
	s_add_i32 s3, s3, s2
	global_store_short_d16_hi v[4:5], v1, off
	v_lshl_add_u64 v[4:5], v[2:3], 1, s[0:1]
	v_or_b32_e32 v2, s3, v0
	s_add_i32 s3, s3, s2
	global_store_short_d16_hi v[4:5], v6, off
	v_lshl_add_u64 v[4:5], v[2:3], 1, s[0:1]
	v_or_b32_e32 v2, s3, v0
	v_lshl_add_u64 v[0:1], v[2:3], 1, s[0:1]
	global_store_short_d16_hi v[4:5], v7, off
	global_store_short_d16_hi v[0:1], v8, off
.LBB499_17:
	s_endpgm
.LBB499_18:
	s_mov_b64 s[12:13], 0
                                        ; implicit-def: $sgpr30_sgpr31
	s_branch .LBB499_2
	.section	.rodata,"a",@progbits
	.p2align	6, 0x0
	.amdhsa_kernel _Z38paged_attention_ll4mi_QKV_mfma4_kernelI14__hip_bfloat16S0_LN4vllm18Fp8KVCacheDataTypeE0EhLi32ELi64ELi256ELb1ELi4EEvPKT_PKT0_S8_ifPKiSA_SA_iPKfiiiPfSD_PS3_PT2_iSC_SC_
		.amdhsa_group_segment_fixed_size 2720
		.amdhsa_private_segment_fixed_size 0
		.amdhsa_kernarg_size 400
		.amdhsa_user_sgpr_count 2
		.amdhsa_user_sgpr_dispatch_ptr 0
		.amdhsa_user_sgpr_queue_ptr 0
		.amdhsa_user_sgpr_kernarg_segment_ptr 1
		.amdhsa_user_sgpr_dispatch_id 0
		.amdhsa_user_sgpr_kernarg_preload_length 0
		.amdhsa_user_sgpr_kernarg_preload_offset 0
		.amdhsa_user_sgpr_private_segment_size 0
		.amdhsa_uses_dynamic_stack 0
		.amdhsa_enable_private_segment 0
		.amdhsa_system_sgpr_workgroup_id_x 1
		.amdhsa_system_sgpr_workgroup_id_y 1
		.amdhsa_system_sgpr_workgroup_id_z 1
		.amdhsa_system_sgpr_workgroup_info 0
		.amdhsa_system_vgpr_workitem_id 0
		.amdhsa_next_free_vgpr 72
		.amdhsa_next_free_sgpr 41
		.amdhsa_accum_offset 68
		.amdhsa_reserve_vcc 1
		.amdhsa_float_round_mode_32 0
		.amdhsa_float_round_mode_16_64 0
		.amdhsa_float_denorm_mode_32 3
		.amdhsa_float_denorm_mode_16_64 3
		.amdhsa_dx10_clamp 1
		.amdhsa_ieee_mode 1
		.amdhsa_fp16_overflow 0
		.amdhsa_tg_split 0
		.amdhsa_exception_fp_ieee_invalid_op 0
		.amdhsa_exception_fp_denorm_src 0
		.amdhsa_exception_fp_ieee_div_zero 0
		.amdhsa_exception_fp_ieee_overflow 0
		.amdhsa_exception_fp_ieee_underflow 0
		.amdhsa_exception_fp_ieee_inexact 0
		.amdhsa_exception_int_div_zero 0
	.end_amdhsa_kernel
	.section	.text._Z38paged_attention_ll4mi_QKV_mfma4_kernelI14__hip_bfloat16S0_LN4vllm18Fp8KVCacheDataTypeE0EhLi32ELi64ELi256ELb1ELi4EEvPKT_PKT0_S8_ifPKiSA_SA_iPKfiiiPfSD_PS3_PT2_iSC_SC_,"axG",@progbits,_Z38paged_attention_ll4mi_QKV_mfma4_kernelI14__hip_bfloat16S0_LN4vllm18Fp8KVCacheDataTypeE0EhLi32ELi64ELi256ELb1ELi4EEvPKT_PKT0_S8_ifPKiSA_SA_iPKfiiiPfSD_PS3_PT2_iSC_SC_,comdat
.Lfunc_end499:
	.size	_Z38paged_attention_ll4mi_QKV_mfma4_kernelI14__hip_bfloat16S0_LN4vllm18Fp8KVCacheDataTypeE0EhLi32ELi64ELi256ELb1ELi4EEvPKT_PKT0_S8_ifPKiSA_SA_iPKfiiiPfSD_PS3_PT2_iSC_SC_, .Lfunc_end499-_Z38paged_attention_ll4mi_QKV_mfma4_kernelI14__hip_bfloat16S0_LN4vllm18Fp8KVCacheDataTypeE0EhLi32ELi64ELi256ELb1ELi4EEvPKT_PKT0_S8_ifPKiSA_SA_iPKfiiiPfSD_PS3_PT2_iSC_SC_
                                        ; -- End function
	.section	.AMDGPU.csdata,"",@progbits
; Kernel info:
; codeLenInByte = 3392
; NumSgprs: 47
; NumVgprs: 66
; NumAgprs: 4
; TotalNumVgprs: 72
; ScratchSize: 0
; MemoryBound: 0
; FloatMode: 240
; IeeeMode: 1
; LDSByteSize: 2720 bytes/workgroup (compile time only)
; SGPRBlocks: 5
; VGPRBlocks: 8
; NumSGPRsForWavesPerEU: 47
; NumVGPRsForWavesPerEU: 72
; AccumOffset: 68
; Occupancy: 7
; WaveLimiterHint : 1
; COMPUTE_PGM_RSRC2:SCRATCH_EN: 0
; COMPUTE_PGM_RSRC2:USER_SGPR: 2
; COMPUTE_PGM_RSRC2:TRAP_HANDLER: 0
; COMPUTE_PGM_RSRC2:TGID_X_EN: 1
; COMPUTE_PGM_RSRC2:TGID_Y_EN: 1
; COMPUTE_PGM_RSRC2:TGID_Z_EN: 1
; COMPUTE_PGM_RSRC2:TIDIG_COMP_CNT: 0
; COMPUTE_PGM_RSRC3_GFX90A:ACCUM_OFFSET: 16
; COMPUTE_PGM_RSRC3_GFX90A:TG_SPLIT: 0
	.section	.text._Z39paged_attention_ll4mi_QKV_mfma16_kernelI14__hip_bfloat16S0_LN4vllm18Fp8KVCacheDataTypeE0EhLi32ELi64ELi256ELb1ELi5EEvPKT_PKT0_S8_ifPKiSA_SA_iPKfiiiPfSD_PS3_PT2_iSC_SC_,"axG",@progbits,_Z39paged_attention_ll4mi_QKV_mfma16_kernelI14__hip_bfloat16S0_LN4vllm18Fp8KVCacheDataTypeE0EhLi32ELi64ELi256ELb1ELi5EEvPKT_PKT0_S8_ifPKiSA_SA_iPKfiiiPfSD_PS3_PT2_iSC_SC_,comdat
	.protected	_Z39paged_attention_ll4mi_QKV_mfma16_kernelI14__hip_bfloat16S0_LN4vllm18Fp8KVCacheDataTypeE0EhLi32ELi64ELi256ELb1ELi5EEvPKT_PKT0_S8_ifPKiSA_SA_iPKfiiiPfSD_PS3_PT2_iSC_SC_ ; -- Begin function _Z39paged_attention_ll4mi_QKV_mfma16_kernelI14__hip_bfloat16S0_LN4vllm18Fp8KVCacheDataTypeE0EhLi32ELi64ELi256ELb1ELi5EEvPKT_PKT0_S8_ifPKiSA_SA_iPKfiiiPfSD_PS3_PT2_iSC_SC_
	.globl	_Z39paged_attention_ll4mi_QKV_mfma16_kernelI14__hip_bfloat16S0_LN4vllm18Fp8KVCacheDataTypeE0EhLi32ELi64ELi256ELb1ELi5EEvPKT_PKT0_S8_ifPKiSA_SA_iPKfiiiPfSD_PS3_PT2_iSC_SC_
	.p2align	8
	.type	_Z39paged_attention_ll4mi_QKV_mfma16_kernelI14__hip_bfloat16S0_LN4vllm18Fp8KVCacheDataTypeE0EhLi32ELi64ELi256ELb1ELi5EEvPKT_PKT0_S8_ifPKiSA_SA_iPKfiiiPfSD_PS3_PT2_iSC_SC_,@function
_Z39paged_attention_ll4mi_QKV_mfma16_kernelI14__hip_bfloat16S0_LN4vllm18Fp8KVCacheDataTypeE0EhLi32ELi64ELi256ELb1ELi5EEvPKT_PKT0_S8_ifPKiSA_SA_iPKfiiiPfSD_PS3_PT2_iSC_SC_: ; @_Z39paged_attention_ll4mi_QKV_mfma16_kernelI14__hip_bfloat16S0_LN4vllm18Fp8KVCacheDataTypeE0EhLi32ELi64ELi256ELb1ELi5EEvPKT_PKT0_S8_ifPKiSA_SA_iPKfiiiPfSD_PS3_PT2_iSC_SC_
; %bb.0:
	s_load_dwordx2 s[6:7], s[0:1], 0x30
	s_mov_b32 s28, s3
	s_mov_b64 s[8:9], 0
	s_waitcnt lgkmcnt(0)
	s_cmp_lg_u64 s[6:7], 0
	s_cselect_b64 s[10:11], -1, 0
	s_and_b64 vcc, exec, s[10:11]
	s_cbranch_vccz .LBB500_7
; %bb.1:
	s_add_i32 s12, s2, 1
	s_mov_b32 s13, 0
	s_lshl_b64 s[14:15], s[12:13], 2
	s_add_u32 s14, s6, s14
	s_mov_b32 s3, s13
	s_addc_u32 s15, s7, s15
	s_lshl_b64 s[12:13], s[2:3], 2
	s_add_u32 s12, s6, s12
	s_addc_u32 s13, s7, s13
	s_load_dword s5, s[14:15], 0x0
	s_load_dword s16, s[12:13], 0x0
	s_waitcnt lgkmcnt(0)
	s_sub_i32 s5, s5, s16
	s_cmp_eq_u32 s5, 1
	s_cselect_b64 s[12:13], -1, 0
	s_andn2_b64 vcc, exec, s[8:9]
	s_cbranch_vccnz .LBB500_3
.LBB500_2:
	s_mov_b32 s3, 0
	s_mov_b64 s[12:13], -1
.LBB500_3:
	s_andn2_b64 vcc, exec, s[12:13]
	s_cbranch_vccnz .LBB500_22
; %bb.4:
	s_load_dwordx2 s[8:9], s[0:1], 0x28
	s_lshl_b64 s[12:13], s[2:3], 2
	s_waitcnt lgkmcnt(0)
	s_add_u32 s8, s8, s12
	s_addc_u32 s9, s9, s13
	s_load_dword s29, s[8:9], 0x0
	s_lshl_b32 s14, s28, 8
	s_waitcnt lgkmcnt(0)
	s_cmp_ge_i32 s14, s29
	s_cbranch_scc1 .LBB500_22
; %bb.5:
	s_load_dwordx2 s[8:9], s[0:1], 0x20
	s_load_dword s5, s[0:1], 0x38
	s_add_i32 s15, s29, 31
	s_ashr_i32 s16, s15, 31
	v_and_b32_e32 v1, 0xcf, v0
	s_lshr_b32 s16, s16, 27
	v_add_u32_e32 v1, s14, v1
	s_add_i32 s15, s15, s16
	v_ashrrev_i32_e32 v2, 31, v1
	s_ashr_i32 s15, s15, 5
	v_lshrrev_b32_e32 v6, 27, v2
	s_add_i32 s15, s15, -1
	s_waitcnt lgkmcnt(0)
	s_mul_i32 s16, s2, s5
	s_mov_b32 s17, 0
	v_add_u32_e32 v2, v1, v6
	s_lshl_b64 s[16:17], s[16:17], 2
	v_ashrrev_i32_e32 v2, 5, v2
	v_mov_b32_e32 v7, s15
	v_cmp_gt_i32_e32 vcc, s29, v1
	s_add_u32 s8, s8, s16
	s_addc_u32 s9, s9, s17
	v_cndmask_b32_e32 v2, v7, v2, vcc
	v_ashrrev_i32_e32 v3, 31, v2
	v_lshl_add_u64 v[4:5], v[2:3], 2, s[8:9]
	v_or_b32_e32 v2, 16, v1
	v_add_u32_e32 v3, v2, v6
	v_ashrrev_i32_e32 v3, 5, v3
	v_cmp_gt_i32_e32 vcc, s29, v2
	s_nop 1
	v_cndmask_b32_e32 v2, v7, v3, vcc
	v_ashrrev_i32_e32 v3, 31, v2
	v_lshl_add_u64 v[8:9], v[2:3], 2, s[8:9]
	v_or_b32_e32 v2, 32, v1
	v_add_u32_e32 v3, v2, v6
	v_ashrrev_i32_e32 v3, 5, v3
	v_cmp_gt_i32_e32 vcc, s29, v2
	v_or_b32_e32 v1, 48, v1
	s_nop 0
	v_cndmask_b32_e32 v2, v7, v3, vcc
	v_ashrrev_i32_e32 v3, 31, v2
	v_lshl_add_u64 v[12:13], v[2:3], 2, s[8:9]
	v_add_u32_e32 v2, v1, v6
	v_ashrrev_i32_e32 v2, 5, v2
	v_cmp_gt_i32_e32 vcc, s29, v1
	s_nop 1
	v_cndmask_b32_e32 v2, v7, v2, vcc
	v_ashrrev_i32_e32 v3, 31, v2
	v_lshl_add_u64 v[16:17], v[2:3], 2, s[8:9]
	global_load_dword v2, v[4:5], off
	global_load_dword v6, v[8:9], off
	;; [unrolled: 1-line block ×4, first 2 shown]
	s_andn2_b64 vcc, exec, s[10:11]
	s_cbranch_vccnz .LBB500_8
; %bb.6:
	s_add_u32 s6, s6, s12
	s_addc_u32 s7, s7, s13
	s_load_dword s5, s[6:7], 0x0
	s_branch .LBB500_9
.LBB500_7:
	s_mov_b64 s[12:13], 0
	s_branch .LBB500_2
.LBB500_8:
	s_mov_b32 s5, s2
.LBB500_9:
	s_load_dwordx2 s[10:11], s[0:1], 0x8
	s_load_dwordx4 s[44:47], s[0:1], 0x48
	v_lshrrev_b32_e32 v1, 6, v0
	v_bfe_u32 v54, v0, 4, 2
	v_lshl_or_b32 v3, v1, 2, v54
	v_and_b32_e32 v44, 15, v0
	v_cmp_lt_u32_e32 vcc, 4, v3
	v_cmp_lt_u32_e64 s[6:7], 7, v44
	v_lshlrev_b32_e32 v42, 3, v44
	v_cmp_gt_u32_e64 s[30:31], 8, v44
	s_or_b64 s[6:7], s[6:7], vcc
	s_and_saveexec_b64 s[12:13], s[6:7]
	s_xor_b64 s[6:7], exec, s[12:13]
; %bb.10:
	v_mov_b32_e32 v43, 0
                                        ; implicit-def: $vgpr3
; %bb.11:
	s_or_saveexec_b64 s[12:13], s[6:7]
	s_load_dwordx2 s[6:7], s[0:1], 0x10
	s_mul_i32 s42, s4, 5
	s_xor_b64 exec, exec, s[12:13]
	s_cbranch_execz .LBB500_13
; %bb.12:
	s_load_dwordx2 s[16:17], s[0:1], 0x0
	s_waitcnt lgkmcnt(0)
	s_ashr_i32 s18, s44, 31
	s_mul_hi_u32 s19, s5, s44
	s_mul_i32 s18, s5, s18
	s_add_i32 s19, s19, s18
	s_mul_i32 s18, s5, s44
	s_lshl_b64 s[18:19], s[18:19], 1
	s_add_u32 s16, s16, s18
	v_add_lshl_u32 v4, v3, s42, 6
	s_addc_u32 s17, s17, s19
	v_ashrrev_i32_e32 v5, 31, v4
	v_mov_b32_e32 v43, 0
	v_lshl_add_u64 v[4:5], v[4:5], 1, s[16:17]
	v_lshlrev_b32_e32 v8, 1, v42
	v_mov_b32_e32 v9, v43
	v_lshl_add_u64 v[4:5], v[4:5], 0, v[8:9]
	global_load_dwordx4 v[16:19], v[4:5], off
	v_and_b32_e32 v4, 3, v0
	v_lshlrev_b32_e32 v5, 9, v44
	v_lshlrev_b32_e32 v3, 5, v3
	;; [unrolled: 1-line block ×3, first 2 shown]
	v_and_b32_e32 v5, 0x1800, v5
	v_or3_b32 v3, v5, v4, v3
	s_waitcnt vmcnt(0)
	ds_write_b128 v3, v[16:19]
.LBB500_13:
	s_or_b64 exec, exec, s[12:13]
	s_waitcnt lgkmcnt(0)
	s_mul_i32 s4, s4, s46
	s_mov_b32 s5, 0
	s_lshl_b64 s[4:5], s[4:5], 1
	s_add_u32 s10, s10, s4
	s_addc_u32 s11, s11, s5
	s_waitcnt vmcnt(3)
	v_mad_i64_i32 v[2:3], s[12:13], v2, s45, 0
	v_lshl_add_u64 v[2:3], v[2:3], 1, s[10:11]
	v_lshlrev_b64 v[12:13], 1, v[42:43]
	v_lshlrev_b32_e32 v46, 9, v54
	v_lshl_add_u64 v[2:3], v[2:3], 0, v[12:13]
	v_mov_b32_e32 v47, 0
	v_lshl_add_u64 v[8:9], v[2:3], 0, v[46:47]
	s_barrier
	global_load_dwordx4 v[22:25], v[8:9], off
	global_load_dwordx4 v[2:5], v[8:9], off offset:2048
	s_waitcnt vmcnt(4)
	v_mad_i64_i32 v[6:7], s[12:13], v6, s45, 0
	v_mov_b32_e32 v8, 0x100
	v_lshl_add_u64 v[6:7], v[6:7], 1, s[10:11]
	v_lshl_or_b32 v16, v44, 4, v8
	v_mov_b32_e32 v17, v47
	s_waitcnt vmcnt(3)
	v_mad_i64_i32 v[10:11], s[12:13], v10, s45, 0
	v_lshl_add_u64 v[6:7], v[6:7], 0, v[16:17]
	v_lshl_add_u64 v[10:11], v[10:11], 1, s[10:11]
	s_waitcnt vmcnt(2)
	v_mad_i64_i32 v[14:15], s[12:13], v14, s45, 0
	v_lshl_add_u64 v[18:19], v[6:7], 0, v[46:47]
	v_lshl_add_u64 v[10:11], v[10:11], 0, v[12:13]
	;; [unrolled: 1-line block ×3, first 2 shown]
	global_load_dwordx4 v[26:29], v[18:19], off
	global_load_dwordx4 v[6:9], v[18:19], off offset:2048
	v_lshl_add_u64 v[18:19], v[10:11], 0, v[46:47]
	v_lshl_add_u64 v[14:15], v[14:15], 0, v[16:17]
	global_load_dwordx4 v[30:33], v[18:19], off
	global_load_dwordx4 v[10:13], v[18:19], off offset:2048
	v_lshl_add_u64 v[18:19], v[14:15], 0, v[46:47]
	global_load_dwordx4 v[34:37], v[18:19], off
	global_load_dwordx4 v[14:17], v[18:19], off offset:2048
	v_mul_lo_u16_e32 v18, 52, v44
	v_mov_b32_e32 v19, 5
	v_mul_lo_u16_sdwa v18, v18, v19 dst_sel:DWORD dst_unused:UNUSED_PAD src0_sel:BYTE_1 src1_sel:DWORD
	v_sub_u16_e32 v18, v44, v18
	v_and_b32_e32 v18, 0xff, v18
	v_lshl_add_u32 v18, v18, 5, v46
	ds_read_b128 v[38:41], v18
	ds_read_b128 v[18:21], v18 offset:2048
	v_and_b32_e32 v45, 63, v0
	v_cmp_gt_u32_e32 vcc, 5, v44
	v_mov_b32_e32 v50, 0
	s_and_saveexec_b64 s[10:11], vcc
	s_cbranch_execz .LBB500_15
; %bb.14:
	s_load_dwordx2 s[12:13], s[0:1], 0x40
	v_add_u32_e32 v48, s42, v44
	v_ashrrev_i32_e32 v49, 31, v48
	s_waitcnt lgkmcnt(0)
	v_lshl_add_u64 v[48:49], v[48:49], 2, s[12:13]
	global_load_dword v50, v[48:49], off
.LBB500_15:
	s_or_b64 exec, exec, s[10:11]
	s_ashr_i32 s10, s14, 31
	v_and_or_b32 v46, v0, 48, s14
	s_lshr_b32 s11, s10, 27
	v_add_u32_e32 v48, s11, v46
	v_or_b32_e32 v52, 64, v46
	v_ashrrev_i32_e32 v48, 5, v48
	v_mov_b32_e32 v51, s15
	v_cmp_gt_i32_e32 vcc, s29, v46
	v_add_u32_e32 v53, s11, v52
	s_waitcnt vmcnt(7) lgkmcnt(1)
	v_mfma_f32_16x16x16_bf16 v[56:59], v[22:23], v[38:39], 0
	v_cndmask_b32_e32 v48, v51, v48, vcc
	v_ashrrev_i32_e32 v22, 5, v53
	v_cmp_gt_i32_e32 vcc, s29, v52
	v_ashrrev_i32_e32 v49, 31, v48
	v_lshl_add_u64 v[48:49], v[48:49], 2, s[8:9]
	v_cndmask_b32_e32 v22, v51, v22, vcc
	v_ashrrev_i32_e32 v23, 31, v22
	v_lshl_add_u64 v[22:23], v[22:23], 2, s[8:9]
	global_load_dword v55, v[48:49], off
	global_load_dword v72, v[22:23], off
	s_waitcnt vmcnt(3)
	v_mfma_f32_16x16x16_bf16 v[68:71], v[34:35], v[38:39], 0
	v_or_b32_e32 v48, 0xc0, v46
	v_add_u32_e32 v52, s11, v48
	s_add_u32 s4, s6, s4
	v_mfma_f32_16x16x16_bf16 v[60:63], v[26:27], v[38:39], 0
	s_addc_u32 s5, s7, s5
	s_load_dword s10, s[0:1], 0x1c
	s_mov_b32 s33, 0xff7fffff
	v_mfma_f32_16x16x16_bf16 v[64:67], v[30:31], v[38:39], 0
	v_and_b32_e32 v31, 0xc0, v0
	v_or_b32_e32 v38, 0x80, v46
	v_add_u32_e32 v34, s14, v31
	v_mfma_f32_16x16x16_bf16 v[22:25], v[24:25], v[40:41], v[56:59]
	v_and_b32_e32 v30, 16, v0
	v_add_u32_e32 v49, s11, v38
	v_lshlrev_b32_e32 v46, 1, v30
	v_lshl_or_b32 v56, v54, 2, v34
	v_mfma_f32_16x16x16_bf16 v[34:37], v[36:37], v[40:41], v[68:71]
	v_cmp_gt_i32_e32 vcc, s29, v38
	v_lshlrev_b32_e32 v39, 6, v44
	v_or_b32_e32 v57, 1, v56
	v_mfma_f32_16x16x16_bf16 v[26:29], v[28:29], v[40:41], v[60:63]
	v_cmp_gt_i32_e64 s[34:35], s29, v57
	v_mfma_f32_16x16x16_bf16 v[30:33], v[32:33], v[40:41], v[64:67]
	v_ashrrev_i32_e32 v40, 5, v49
	v_ashrrev_i32_e32 v41, 5, v52
	v_cndmask_b32_e32 v38, v51, v40, vcc
	v_cmp_gt_i32_e32 vcc, s29, v48
	s_waitcnt lgkmcnt(0)
	v_mfma_f32_16x16x16_bf16 v[22:25], v[2:3], v[18:19], v[22:25]
	v_lshl_add_u64 v[2:3], s[4:5], 0, v[46:47]
	v_cndmask_b32_e32 v40, v51, v41, vcc
	v_lshl_or_b32 v46, v1, 10, v39
	v_ashrrev_i32_e32 v39, 31, v38
	v_ashrrev_i32_e32 v41, 31, v40
	s_waitcnt vmcnt(2)
	v_mfma_f32_16x16x16_bf16 v[34:37], v[14:15], v[18:19], v[34:37]
	v_lshl_add_u64 v[14:15], v[38:39], 2, s[8:9]
	v_subrev_u32_e32 v51, s29, v57
	v_cvt_f32_i32_e32 v58, v51
	v_mfma_f32_16x16x16_bf16 v[26:29], v[6:7], v[18:19], v[26:29]
	v_mfma_f32_16x16x16_bf16 v[30:33], v[10:11], v[18:19], v[30:33]
	v_lshl_add_u64 v[18:19], v[40:41], 2, s[8:9]
	global_load_dword v59, v[14:15], off
	global_load_dword v60, v[18:19], off
	v_lshl_add_u64 v[10:11], v[2:3], 0, v[46:47]
	v_mfma_f32_16x16x16_bf16 v[2:5], v[4:5], v[20:21], v[22:25]
	v_add_u32_e32 v46, 1, v51
	v_add_u32_e32 v47, 3, v51
	;; [unrolled: 1-line block ×3, first 2 shown]
	v_mfma_f32_16x16x16_bf16 v[14:17], v[16:17], v[20:21], v[34:37]
	v_add_u32_e32 v22, 2, v51
	s_nop 1
	v_pk_mul_f32 v[52:53], s[10:11], v[4:5] op_sel_hi:[0,1]
	v_cvt_f32_i32_e32 v18, v18
	v_mfma_f32_16x16x16_bf16 v[6:9], v[8:9], v[20:21], v[26:29]
	v_add_u32_e32 v19, 19, v51
	v_pk_mul_f32 v[34:35], s[10:11], v[16:17] op_sel_hi:[0,1]
	v_pk_mul_f32 v[36:37], s[10:11], v[14:15] op_sel_hi:[0,1]
	v_cvt_f32_i32_e32 v27, v22
	v_mfma_f32_16x16x16_bf16 v[22:25], v[12:13], v[20:21], v[30:33]
	v_pk_mul_f32 v[12:13], s[10:11], v[2:3] op_sel_hi:[0,1]
	v_cvt_f32_i32_e32 v26, v46
	v_cvt_f32_i32_e32 v28, v47
	v_pk_mul_f32 v[46:47], s[10:11], v[8:9] op_sel_hi:[0,1]
	v_pk_mul_f32 v[48:49], s[10:11], v[6:7] op_sel_hi:[0,1]
	v_cvt_f32_i32_e32 v19, v19
	v_fma_f32 v46, v50, v18, v46
	v_add_u32_e32 v18, 34, v51
	v_cvt_f32_i32_e32 v18, v18
	v_fmac_f32_e32 v47, v50, v19
	v_add_u32_e32 v19, 35, v51
	v_cvt_f32_i32_e32 v19, v19
	v_pk_mul_f32 v[40:41], s[10:11], v[22:23] op_sel_hi:[0,1]
	v_pk_mul_f32 v[38:39], s[10:11], v[24:25] op_sel_hi:[0,1]
	v_fma_f32 v38, v50, v18, v38
	v_add_u32_e32 v18, 50, v51
	s_waitcnt vmcnt(3)
	v_mad_i64_i32 v[2:3], s[4:5], v55, s45, 0
	s_waitcnt vmcnt(2)
	v_mad_i64_i32 v[4:5], s[4:5], v72, s45, 0
	v_lshl_add_u64 v[16:17], v[2:3], 1, v[10:11]
	v_lshl_add_u64 v[14:15], v[4:5], 1, v[10:11]
	global_load_dwordx4 v[6:9], v[16:17], off
	global_load_dwordx4 v[2:5], v[16:17], off offset:16
	v_add_u32_e32 v16, 16, v51
	v_cvt_f32_i32_e32 v16, v16
	v_add_u32_e32 v17, 17, v51
	v_cvt_f32_i32_e32 v17, v17
	v_fmac_f32_e32 v39, v50, v19
	v_fma_f32 v48, v50, v16, v48
	v_add_u32_e32 v16, 32, v51
	v_fmac_f32_e32 v49, v50, v17
	v_cvt_f32_i32_e32 v16, v16
	v_add_u32_e32 v17, 33, v51
	v_cvt_f32_i32_e32 v17, v17
	v_cvt_f32_i32_e32 v18, v18
	v_fma_f32 v40, v50, v16, v40
	v_add_u32_e32 v16, 48, v51
	v_fmac_f32_e32 v41, v50, v17
	v_cvt_f32_i32_e32 v16, v16
	v_add_u32_e32 v17, 49, v51
	v_cvt_f32_i32_e32 v17, v17
	v_add_u32_e32 v19, 51, v51
	v_cvt_f32_i32_e32 v19, v19
	v_fma_f32 v12, v50, v58, v12
	v_fmac_f32_e32 v13, v50, v26
	v_fma_f32 v36, v50, v16, v36
	v_mov_b32_e32 v16, 0xff7fffff
	v_cmp_gt_i32_e64 s[4:5], s29, v56
	v_fmac_f32_e32 v37, v50, v17
	v_fma_f32 v34, v50, v18, v34
	v_cndmask_b32_e64 v17, v16, v12, s[4:5]
	v_cndmask_b32_e64 v18, v16, v13, s[34:35]
	v_fmac_f32_e32 v35, v50, v19
	v_max3_f32 v17, v17, s33, v18
	v_or_b32_e32 v18, 2, v56
	v_or_b32_e32 v19, 3, v56
	v_fma_f32 v52, v50, v27, v52
	v_fmac_f32_e32 v53, v50, v28
	v_cmp_gt_i32_e64 s[36:37], s29, v18
	v_cmp_gt_i32_e64 s[38:39], s29, v19
	global_load_dwordx4 v[30:33], v[14:15], off
	global_load_dwordx4 v[26:29], v[14:15], off offset:16
	v_cndmask_b32_e64 v18, v16, v52, s[36:37]
	v_cndmask_b32_e64 v19, v16, v53, s[38:39]
	v_max3_f32 v17, v17, v18, v19
	v_or_b32_e32 v18, 16, v56
	v_or_b32_e32 v19, 17, v56
	v_cmp_gt_i32_e64 s[24:25], s29, v18
	v_cmp_gt_i32_e64 s[26:27], s29, v19
	s_nop 0
	v_cndmask_b32_e64 v18, v16, v48, s[24:25]
	v_cndmask_b32_e64 v19, v16, v49, s[26:27]
	v_max3_f32 v17, v17, v18, v19
	v_or_b32_e32 v18, 18, v56
	v_or_b32_e32 v19, 19, v56
	v_cmp_gt_i32_e64 s[20:21], s29, v18
	v_cmp_gt_i32_e64 s[22:23], s29, v19
	s_nop 0
	;; [unrolled: 8-line block ×5, first 2 shown]
	v_cndmask_b32_e64 v18, v16, v36, s[8:9]
	v_cndmask_b32_e64 v19, v16, v37, s[10:11]
	v_max3_f32 v17, v17, v18, v19
	v_or_b32_e32 v18, 50, v56
	v_or_b32_e32 v19, 51, v56
	v_cmp_gt_i32_e32 vcc, s29, v18
	v_cmp_gt_i32_e64 s[6:7], s29, v19
	s_nop 0
	v_cndmask_b32_e32 v18, v16, v34, vcc
	v_cndmask_b32_e64 v16, v16, v35, s[6:7]
	v_max3_f32 v16, v17, v18, v16
	v_mbcnt_lo_u32_b32 v17, -1, 0
	v_mbcnt_hi_u32_b32 v17, -1, v17
	v_and_b32_e32 v18, 64, v17
	v_add_u32_e32 v18, 64, v18
	v_xor_b32_e32 v19, 32, v17
	v_cmp_lt_i32_e64 s[40:41], v19, v18
	s_nop 1
	v_cndmask_b32_e64 v19, v17, v19, s[40:41]
	v_lshlrev_b32_e32 v56, 2, v19
	ds_bpermute_b32 v19, v56, v16
	s_waitcnt vmcnt(5)
	v_mad_i64_i32 v[14:15], s[40:41], v59, s45, 0
	v_lshl_add_u64 v[14:15], v[14:15], 1, v[10:11]
	s_waitcnt lgkmcnt(0)
	v_max_f32_e32 v19, v19, v19
	v_max_f32_e32 v16, v16, v19
	v_xor_b32_e32 v19, 16, v17
	v_cmp_lt_i32_e64 s[40:41], v19, v18
	s_nop 1
	v_cndmask_b32_e64 v17, v17, v19, s[40:41]
	v_lshlrev_b32_e32 v57, 2, v17
	ds_bpermute_b32 v17, v57, v16
	global_load_dwordx4 v[22:25], v[14:15], off
	global_load_dwordx4 v[18:21], v[14:15], off offset:16
	s_waitcnt vmcnt(6)
	v_mad_i64_i32 v[14:15], s[40:41], v60, s45, 0
	v_lshl_add_u64 v[10:11], v[14:15], 1, v[10:11]
	s_waitcnt lgkmcnt(0)
	v_max_f32_e32 v14, v17, v17
	v_max_f32_e32 v55, v16, v14
	v_sub_f32_e32 v12, v12, v55
	v_mul_f32_e32 v12, 0x3fb8aa3b, v12
	v_exp_f32_e32 v50, v12
	v_sub_f32_e32 v12, v13, v55
	v_mul_f32_e32 v12, 0x3fb8aa3b, v12
	v_exp_f32_e32 v51, v12
	global_load_dwordx4 v[14:17], v[10:11], off
	s_nop 0
	global_load_dwordx4 v[10:13], v[10:11], off offset:16
	v_sub_f32_e32 v52, v52, v55
	v_mul_f32_e32 v52, 0x3fb8aa3b, v52
	v_sub_f32_e32 v53, v53, v55
	v_exp_f32_e32 v52, v52
	v_mul_f32_e32 v53, 0x3fb8aa3b, v53
	v_sub_f32_e32 v48, v48, v55
	v_exp_f32_e32 v53, v53
	v_mul_f32_e32 v48, 0x3fb8aa3b, v48
	v_sub_f32_e32 v49, v49, v55
	v_cndmask_b32_e64 v50, 0, v50, s[4:5]
	v_exp_f32_e32 v48, v48
	v_mul_f32_e32 v49, 0x3fb8aa3b, v49
	v_sub_f32_e32 v46, v46, v55
	v_add_f32_e32 v58, 0, v50
	v_cndmask_b32_e64 v51, 0, v51, s[34:35]
	v_exp_f32_e32 v49, v49
	v_mul_f32_e32 v46, 0x3fb8aa3b, v46
	v_sub_f32_e32 v47, v47, v55
	v_add_f32_e32 v58, v58, v51
	;; [unrolled: 5-line block ×10, first 2 shown]
	v_cndmask_b32_e64 v38, 0, v38, s[12:13]
	v_exp_f32_e32 v34, v34
	v_mul_f32_e32 v35, 0x3fb8aa3b, v35
	v_add_f32_e32 v58, v58, v38
	v_cndmask_b32_e64 v39, 0, v39, s[14:15]
	v_exp_f32_e32 v35, v35
	v_add_f32_e32 v58, v58, v39
	v_cndmask_b32_e64 v36, 0, v36, s[8:9]
	v_add_f32_e32 v58, v58, v36
	v_cndmask_b32_e64 v37, 0, v37, s[10:11]
	v_add_f32_e32 v58, v58, v37
	v_cndmask_b32_e32 v34, 0, v34, vcc
	v_add_f32_e32 v58, v58, v34
	v_cndmask_b32_e64 v35, 0, v35, s[6:7]
	v_add_f32_e32 v58, v58, v35
	ds_bpermute_b32 v56, v56, v58
	s_load_dword s9, s[0:1], 0x98
	v_cmp_gt_u32_e64 s[6:7], 16, v45
	v_lshlrev_b32_e32 v45, 2, v44
	s_waitcnt lgkmcnt(0)
	v_add_f32_e32 v56, v58, v56
	ds_bpermute_b32 v57, v57, v56
	s_barrier
	s_waitcnt lgkmcnt(0)
	s_and_saveexec_b64 s[4:5], s[6:7]
	s_cbranch_execz .LBB500_17
; %bb.16:
	v_add_f32_e32 v56, v56, v57
	v_lshl_or_b32 v57, v1, 6, v45
	ds_write2st64_b32 v57, v55, v56 offset1:1
.LBB500_17:
	s_or_b64 exec, exec, s[4:5]
	s_load_dword s8, s[0:1], 0x94
	s_waitcnt lgkmcnt(0)
	s_barrier
	ds_read2_b32 v[56:57], v45 offset1:16
	ds_read2_b32 v[58:59], v45 offset0:32 offset1:48
	ds_read2_b32 v[60:61], v45 offset0:64 offset1:80
	ds_read2_b32 v[62:63], v45 offset0:96 offset1:112
	s_movk_i32 s10, 0x7fff
	s_waitcnt lgkmcnt(3)
	v_max3_f32 v55, v56, s33, v57
	s_waitcnt lgkmcnt(2)
	v_max3_f32 v55, v55, v58, v59
	v_sub_f32_e32 v56, v56, v55
	v_mul_f32_e32 v56, 0x3fb8aa3b, v56
	v_exp_f32_e32 v64, v56
	v_sub_f32_e32 v56, v57, v55
	v_mul_f32_e32 v56, 0x3fb8aa3b, v56
	v_exp_f32_e32 v57, v56
	v_sub_f32_e32 v56, v58, v55
	v_mul_f32_e32 v56, 0x3fb8aa3b, v56
	v_sub_f32_e32 v45, v59, v55
	v_exp_f32_e32 v58, v56
	v_mul_f32_e32 v45, 0x3fb8aa3b, v45
	v_exp_f32_e32 v45, v45
	s_waitcnt lgkmcnt(1)
	v_fma_f32 v56, v64, v60, 0
	v_fmac_f32_e32 v56, v57, v61
	s_waitcnt lgkmcnt(0)
	v_fmac_f32_e32 v56, v58, v62
	v_fmac_f32_e32 v56, v45, v63
	v_add_f32_e32 v59, 0x358637bd, v56
	v_div_scale_f32 v60, s[4:5], v59, v59, 1.0
	v_rcp_f32_e32 v61, v60
	s_mov_b32 s11, 0x7060302
	s_mul_i32 s9, s9, 5
	v_fma_f32 v62, -v60, v61, 1.0
	v_fmac_f32_e32 v61, v62, v61
	v_div_scale_f32 v62, vcc, 1.0, v59, 1.0
	v_mul_f32_e32 v63, v62, v61
	v_fma_f32 v65, -v60, v63, v62
	v_fmac_f32_e32 v63, v65, v61
	v_fma_f32 v60, -v60, v63, v62
	v_div_fmas_f32 v60, v60, v61, v63
	v_cmp_eq_u32_e32 vcc, 1, v1
	v_div_fixup_f32 v59, v60, v59, 1.0
	s_barrier
	v_cndmask_b32_e32 v57, v64, v57, vcc
	v_cmp_eq_u32_e32 vcc, 2, v1
	s_nop 1
	v_cndmask_b32_e32 v57, v57, v58, vcc
	v_cmp_eq_u32_e32 vcc, 3, v1
	v_lshlrev_b32_e32 v1, 11, v1
	s_nop 0
	v_cndmask_b32_e32 v45, v57, v45, vcc
	v_mul_f32_e32 v58, v45, v59
	v_pk_mul_f32 v[50:51], v[58:59], v[50:51] op_sel_hi:[0,1]
	v_bfe_u32 v45, v51, 16, 1
	v_bfe_u32 v57, v50, 16, 1
	v_pk_mul_f32 v[52:53], v[58:59], v[52:53] op_sel_hi:[0,1]
	v_add3_u32 v50, v50, v57, s10
	v_add3_u32 v45, v51, v45, s10
	v_perm_b32 v60, v45, v50, s11
	v_bfe_u32 v45, v53, 16, 1
	v_bfe_u32 v50, v52, 16, 1
	v_add3_u32 v50, v52, v50, s10
	v_add3_u32 v45, v53, v45, s10
	v_perm_b32 v61, v45, v50, s11
	v_lshlrev_b32_e32 v45, 3, v54
	v_lshlrev_b32_e32 v50, 5, v44
	v_pk_mul_f32 v[48:49], v[58:59], v[48:49] op_sel_hi:[0,1]
	v_or3_b32 v1, v1, v50, v45
	v_bfe_u32 v45, v49, 16, 1
	v_bfe_u32 v51, v48, 16, 1
	v_pk_mul_f32 v[46:47], v[58:59], v[46:47] op_sel_hi:[0,1]
	v_add3_u32 v48, v48, v51, s10
	v_add3_u32 v45, v49, v45, s10
	v_perm_b32 v48, v45, v48, s11
	v_bfe_u32 v45, v47, 16, 1
	v_bfe_u32 v49, v46, 16, 1
	v_add3_u32 v46, v46, v49, s10
	v_add3_u32 v45, v47, v45, s10
	v_pk_mul_f32 v[40:41], v[58:59], v[40:41] op_sel_hi:[0,1]
	v_perm_b32 v49, v45, v46, s11
	v_bfe_u32 v45, v41, 16, 1
	v_bfe_u32 v46, v40, 16, 1
	v_pk_mul_f32 v[38:39], v[58:59], v[38:39] op_sel_hi:[0,1]
	v_add3_u32 v40, v40, v46, s10
	v_add3_u32 v41, v41, v45, s10
	v_perm_b32 v40, v41, v40, s11
	v_bfe_u32 v41, v39, 16, 1
	v_bfe_u32 v45, v38, 16, 1
	v_add3_u32 v38, v38, v45, s10
	v_add3_u32 v39, v39, v41, s10
	v_pk_mul_f32 v[36:37], v[58:59], v[36:37] op_sel_hi:[0,1]
	v_perm_b32 v41, v39, v38, s11
	v_bfe_u32 v38, v37, 16, 1
	v_bfe_u32 v39, v36, 16, 1
	v_pk_mul_f32 v[34:35], v[58:59], v[34:35] op_sel_hi:[0,1]
	v_add3_u32 v36, v36, v39, s10
	v_add3_u32 v37, v37, v38, s10
	v_perm_b32 v36, v37, v36, s11
	v_bfe_u32 v37, v35, 16, 1
	v_bfe_u32 v38, v34, 16, 1
	v_add3_u32 v34, v34, v38, s10
	v_add3_u32 v35, v35, v37, s10
	v_perm_b32 v37, v35, v34, s11
	v_cmp_gt_u32_e32 vcc, 5, v0
	ds_write2st64_b64 v1, v[60:61], v[48:49] offset1:1
	ds_write2st64_b64 v1, v[40:41], v[36:37] offset0:2 offset1:3
	s_and_saveexec_b64 s[4:5], vcc
	s_cbranch_execz .LBB500_19
; %bb.18:
	s_mov_b32 s43, 0
	v_mov_b32_e32 v45, 0
	v_lshl_add_u64 v[34:35], s[42:43], 0, v[44:45]
	v_mov_b32_e32 v36, s9
	v_mad_u64_u32 v[34:35], s[16:17], s2, v36, v[34:35]
	s_mul_i32 s3, s3, s9
	v_mov_b32_e32 v44, s28
	s_load_dwordx4 s[12:15], s[0:1], 0x58
	v_add_u32_e32 v37, s3, v35
	v_mad_u64_u32 v[34:35], s[16:17], v34, s8, v[44:45]
	v_mov_b32_e32 v36, v35
	v_mad_u64_u32 v[36:37], s[16:17], v37, s8, v[36:37]
	v_mov_b32_e32 v35, v36
	v_lshlrev_b64 v[34:35], 2, v[34:35]
	s_waitcnt lgkmcnt(0)
	v_lshl_add_u64 v[36:37], s[14:15], 0, v[34:35]
	v_lshl_add_u64 v[34:35], s[12:13], 0, v[34:35]
	global_store_dword v[36:37], v55, off
	global_store_dword v[34:35], v56, off
.LBB500_19:
	s_or_b64 exec, exec, s[4:5]
	v_lshl_or_b32 v48, v54, 9, v50
	s_waitcnt lgkmcnt(0)
	s_barrier
	ds_read_b128 v[34:37], v48
	ds_read_b128 v[38:41], v48 offset:16
	s_waitcnt vmcnt(7) lgkmcnt(1)
	v_mfma_f32_16x16x16_bf16 v[44:47], v[6:7], v[34:35], 0
	v_cmp_gt_u32_e32 vcc, 64, v0
	s_mov_b32 s3, 0
	s_and_b64 s[4:5], vcc, s[30:31]
	v_mfma_f32_16x16x16_bf16 v[6:9], v[8:9], v[36:37], v[44:47]
	s_waitcnt vmcnt(6) lgkmcnt(0)
	v_mfma_f32_16x16x16_bf16 v[6:9], v[2:3], v[38:39], v[6:9]
	v_mfma_f32_16x16x16_bf16 v[2:5], v[4:5], v[40:41], v[6:9]
	s_nop 5
	ds_read_b128 v[6:9], v48 offset:2048
	ds_read_b128 v[34:37], v48 offset:2064
	s_waitcnt vmcnt(5) lgkmcnt(1)
	v_mfma_f32_16x16x16_bf16 v[2:5], v[30:31], v[6:7], v[2:5]
	v_mfma_f32_16x16x16_bf16 v[2:5], v[32:33], v[8:9], v[2:5]
	s_waitcnt vmcnt(4) lgkmcnt(0)
	v_mfma_f32_16x16x16_bf16 v[2:5], v[26:27], v[34:35], v[2:5]
	v_mfma_f32_16x16x16_bf16 v[2:5], v[28:29], v[36:37], v[2:5]
	ds_read_b128 v[6:9], v48 offset:4096
	ds_read_b128 v[26:29], v48 offset:4112
	s_waitcnt vmcnt(3) lgkmcnt(1)
	v_mfma_f32_16x16x16_bf16 v[2:5], v[22:23], v[6:7], v[2:5]
	v_mfma_f32_16x16x16_bf16 v[2:5], v[24:25], v[8:9], v[2:5]
	s_waitcnt vmcnt(2) lgkmcnt(0)
	v_mfma_f32_16x16x16_bf16 v[2:5], v[18:19], v[26:27], v[2:5]
	v_mfma_f32_16x16x16_bf16 v[2:5], v[20:21], v[28:29], v[2:5]
	ds_read_b128 v[6:9], v48 offset:6144
	ds_read_b128 v[18:21], v48 offset:6160
	s_waitcnt lgkmcnt(0)
	s_barrier
	s_waitcnt vmcnt(1)
	v_mfma_f32_16x16x16_bf16 v[2:5], v[14:15], v[6:7], v[2:5]
	v_mfma_f32_16x16x16_bf16 v[2:5], v[16:17], v[8:9], v[2:5]
	s_waitcnt vmcnt(0)
	v_mfma_f32_16x16x16_bf16 v[2:5], v[10:11], v[18:19], v[2:5]
	v_mfma_f32_16x16x16_bf16 v[2:5], v[12:13], v[20:21], v[2:5]
	s_nop 6
	v_bfe_u32 v6, v3, 16, 1
	v_bfe_u32 v7, v2, 16, 1
	;; [unrolled: 1-line block ×4, first 2 shown]
	v_add3_u32 v2, v2, v7, s10
	v_add3_u32 v3, v3, v6, s10
	;; [unrolled: 1-line block ×4, first 2 shown]
	v_perm_b32 v2, v3, v2, s11
	v_perm_b32 v3, v5, v4, s11
	ds_write_b64 v1, v[2:3]
	s_waitcnt lgkmcnt(0)
	s_barrier
	s_and_saveexec_b64 s[10:11], s[4:5]
	s_cbranch_execz .LBB500_22
; %bb.20:
	s_load_dwordx2 s[4:5], s[0:1], 0x68
	s_lshl_b32 s0, s8, 6
	s_mul_i32 s1, s9, s2
	s_mul_hi_u32 s9, s1, s0
	s_mul_i32 s8, s1, s0
	v_lshlrev_b32_e32 v1, 10, v0
	v_lshlrev_b32_e32 v0, 4, v0
	s_lshl_b64 s[8:9], s[8:9], 1
	v_and_b32_e32 v1, 0x1800, v1
	v_lshlrev_b32_e32 v2, 5, v54
	v_and_b32_e32 v0, 16, v0
	s_waitcnt lgkmcnt(0)
	s_add_u32 s1, s4, s8
	v_or3_b32 v2, v1, v2, v0
	s_addc_u32 s4, s5, s9
	s_lshl_b32 s2, s28, 6
	s_lshl_b64 s[2:3], s[2:3], 1
	ds_read_b128 v[4:7], v2
	s_add_u32 s2, s1, s2
	s_addc_u32 s3, s4, s3
	v_add_u32_e32 v3, s42, v54
	v_lshl_add_u64 v[0:1], v[42:43], 1, s[2:3]
	v_mad_u64_u32 v[8:9], s[2:3], v3, s0, 0
	v_lshl_add_u64 v[8:9], v[8:9], 1, v[0:1]
	s_waitcnt lgkmcnt(0)
	global_store_dwordx4 v[8:9], v[4:7], off
	s_and_b64 exec, exec, s[6:7]
	s_cbranch_execz .LBB500_22
; %bb.21:
	ds_read_b128 v[2:5], v2 offset:128
	v_add3_u32 v6, s42, v54, 4
	v_mad_u64_u32 v[6:7], s[0:1], v6, s0, 0
	v_lshl_add_u64 v[0:1], v[6:7], 1, v[0:1]
	s_waitcnt lgkmcnt(0)
	global_store_dwordx4 v[0:1], v[2:5], off
.LBB500_22:
	s_endpgm
	.section	.rodata,"a",@progbits
	.p2align	6, 0x0
	.amdhsa_kernel _Z39paged_attention_ll4mi_QKV_mfma16_kernelI14__hip_bfloat16S0_LN4vllm18Fp8KVCacheDataTypeE0EhLi32ELi64ELi256ELb1ELi5EEvPKT_PKT0_S8_ifPKiSA_SA_iPKfiiiPfSD_PS3_PT2_iSC_SC_
		.amdhsa_group_segment_fixed_size 8192
		.amdhsa_private_segment_fixed_size 0
		.amdhsa_kernarg_size 400
		.amdhsa_user_sgpr_count 2
		.amdhsa_user_sgpr_dispatch_ptr 0
		.amdhsa_user_sgpr_queue_ptr 0
		.amdhsa_user_sgpr_kernarg_segment_ptr 1
		.amdhsa_user_sgpr_dispatch_id 0
		.amdhsa_user_sgpr_kernarg_preload_length 0
		.amdhsa_user_sgpr_kernarg_preload_offset 0
		.amdhsa_user_sgpr_private_segment_size 0
		.amdhsa_uses_dynamic_stack 0
		.amdhsa_enable_private_segment 0
		.amdhsa_system_sgpr_workgroup_id_x 1
		.amdhsa_system_sgpr_workgroup_id_y 1
		.amdhsa_system_sgpr_workgroup_id_z 1
		.amdhsa_system_sgpr_workgroup_info 0
		.amdhsa_system_vgpr_workitem_id 0
		.amdhsa_next_free_vgpr 73
		.amdhsa_next_free_sgpr 48
		.amdhsa_accum_offset 76
		.amdhsa_reserve_vcc 1
		.amdhsa_float_round_mode_32 0
		.amdhsa_float_round_mode_16_64 0
		.amdhsa_float_denorm_mode_32 3
		.amdhsa_float_denorm_mode_16_64 3
		.amdhsa_dx10_clamp 1
		.amdhsa_ieee_mode 1
		.amdhsa_fp16_overflow 0
		.amdhsa_tg_split 0
		.amdhsa_exception_fp_ieee_invalid_op 0
		.amdhsa_exception_fp_denorm_src 0
		.amdhsa_exception_fp_ieee_div_zero 0
		.amdhsa_exception_fp_ieee_overflow 0
		.amdhsa_exception_fp_ieee_underflow 0
		.amdhsa_exception_fp_ieee_inexact 0
		.amdhsa_exception_int_div_zero 0
	.end_amdhsa_kernel
	.section	.text._Z39paged_attention_ll4mi_QKV_mfma16_kernelI14__hip_bfloat16S0_LN4vllm18Fp8KVCacheDataTypeE0EhLi32ELi64ELi256ELb1ELi5EEvPKT_PKT0_S8_ifPKiSA_SA_iPKfiiiPfSD_PS3_PT2_iSC_SC_,"axG",@progbits,_Z39paged_attention_ll4mi_QKV_mfma16_kernelI14__hip_bfloat16S0_LN4vllm18Fp8KVCacheDataTypeE0EhLi32ELi64ELi256ELb1ELi5EEvPKT_PKT0_S8_ifPKiSA_SA_iPKfiiiPfSD_PS3_PT2_iSC_SC_,comdat
.Lfunc_end500:
	.size	_Z39paged_attention_ll4mi_QKV_mfma16_kernelI14__hip_bfloat16S0_LN4vllm18Fp8KVCacheDataTypeE0EhLi32ELi64ELi256ELb1ELi5EEvPKT_PKT0_S8_ifPKiSA_SA_iPKfiiiPfSD_PS3_PT2_iSC_SC_, .Lfunc_end500-_Z39paged_attention_ll4mi_QKV_mfma16_kernelI14__hip_bfloat16S0_LN4vllm18Fp8KVCacheDataTypeE0EhLi32ELi64ELi256ELb1ELi5EEvPKT_PKT0_S8_ifPKiSA_SA_iPKfiiiPfSD_PS3_PT2_iSC_SC_
                                        ; -- End function
	.section	.AMDGPU.csdata,"",@progbits
; Kernel info:
; codeLenInByte = 4416
; NumSgprs: 54
; NumVgprs: 73
; NumAgprs: 0
; TotalNumVgprs: 73
; ScratchSize: 0
; MemoryBound: 0
; FloatMode: 240
; IeeeMode: 1
; LDSByteSize: 8192 bytes/workgroup (compile time only)
; SGPRBlocks: 6
; VGPRBlocks: 9
; NumSGPRsForWavesPerEU: 54
; NumVGPRsForWavesPerEU: 73
; AccumOffset: 76
; Occupancy: 6
; WaveLimiterHint : 1
; COMPUTE_PGM_RSRC2:SCRATCH_EN: 0
; COMPUTE_PGM_RSRC2:USER_SGPR: 2
; COMPUTE_PGM_RSRC2:TRAP_HANDLER: 0
; COMPUTE_PGM_RSRC2:TGID_X_EN: 1
; COMPUTE_PGM_RSRC2:TGID_Y_EN: 1
; COMPUTE_PGM_RSRC2:TGID_Z_EN: 1
; COMPUTE_PGM_RSRC2:TIDIG_COMP_CNT: 0
; COMPUTE_PGM_RSRC3_GFX90A:ACCUM_OFFSET: 18
; COMPUTE_PGM_RSRC3_GFX90A:TG_SPLIT: 0
	.section	.text._Z39paged_attention_ll4mi_QKV_mfma16_kernelI14__hip_bfloat16S0_LN4vllm18Fp8KVCacheDataTypeE0EhLi32ELi64ELi256ELb1ELi6EEvPKT_PKT0_S8_ifPKiSA_SA_iPKfiiiPfSD_PS3_PT2_iSC_SC_,"axG",@progbits,_Z39paged_attention_ll4mi_QKV_mfma16_kernelI14__hip_bfloat16S0_LN4vllm18Fp8KVCacheDataTypeE0EhLi32ELi64ELi256ELb1ELi6EEvPKT_PKT0_S8_ifPKiSA_SA_iPKfiiiPfSD_PS3_PT2_iSC_SC_,comdat
	.protected	_Z39paged_attention_ll4mi_QKV_mfma16_kernelI14__hip_bfloat16S0_LN4vllm18Fp8KVCacheDataTypeE0EhLi32ELi64ELi256ELb1ELi6EEvPKT_PKT0_S8_ifPKiSA_SA_iPKfiiiPfSD_PS3_PT2_iSC_SC_ ; -- Begin function _Z39paged_attention_ll4mi_QKV_mfma16_kernelI14__hip_bfloat16S0_LN4vllm18Fp8KVCacheDataTypeE0EhLi32ELi64ELi256ELb1ELi6EEvPKT_PKT0_S8_ifPKiSA_SA_iPKfiiiPfSD_PS3_PT2_iSC_SC_
	.globl	_Z39paged_attention_ll4mi_QKV_mfma16_kernelI14__hip_bfloat16S0_LN4vllm18Fp8KVCacheDataTypeE0EhLi32ELi64ELi256ELb1ELi6EEvPKT_PKT0_S8_ifPKiSA_SA_iPKfiiiPfSD_PS3_PT2_iSC_SC_
	.p2align	8
	.type	_Z39paged_attention_ll4mi_QKV_mfma16_kernelI14__hip_bfloat16S0_LN4vllm18Fp8KVCacheDataTypeE0EhLi32ELi64ELi256ELb1ELi6EEvPKT_PKT0_S8_ifPKiSA_SA_iPKfiiiPfSD_PS3_PT2_iSC_SC_,@function
_Z39paged_attention_ll4mi_QKV_mfma16_kernelI14__hip_bfloat16S0_LN4vllm18Fp8KVCacheDataTypeE0EhLi32ELi64ELi256ELb1ELi6EEvPKT_PKT0_S8_ifPKiSA_SA_iPKfiiiPfSD_PS3_PT2_iSC_SC_: ; @_Z39paged_attention_ll4mi_QKV_mfma16_kernelI14__hip_bfloat16S0_LN4vllm18Fp8KVCacheDataTypeE0EhLi32ELi64ELi256ELb1ELi6EEvPKT_PKT0_S8_ifPKiSA_SA_iPKfiiiPfSD_PS3_PT2_iSC_SC_
; %bb.0:
	s_load_dwordx2 s[6:7], s[0:1], 0x30
	s_mov_b32 s28, s3
	s_mov_b64 s[8:9], 0
	s_waitcnt lgkmcnt(0)
	s_cmp_lg_u64 s[6:7], 0
	s_cselect_b64 s[10:11], -1, 0
	s_and_b64 vcc, exec, s[10:11]
	s_cbranch_vccz .LBB501_7
; %bb.1:
	s_add_i32 s12, s2, 1
	s_mov_b32 s13, 0
	s_lshl_b64 s[14:15], s[12:13], 2
	s_add_u32 s14, s6, s14
	s_mov_b32 s3, s13
	s_addc_u32 s15, s7, s15
	s_lshl_b64 s[12:13], s[2:3], 2
	s_add_u32 s12, s6, s12
	s_addc_u32 s13, s7, s13
	s_load_dword s5, s[14:15], 0x0
	s_load_dword s16, s[12:13], 0x0
	s_waitcnt lgkmcnt(0)
	s_sub_i32 s5, s5, s16
	s_cmp_eq_u32 s5, 1
	s_cselect_b64 s[12:13], -1, 0
	s_andn2_b64 vcc, exec, s[8:9]
	s_cbranch_vccnz .LBB501_3
.LBB501_2:
	s_mov_b32 s3, 0
	s_mov_b64 s[12:13], -1
.LBB501_3:
	s_andn2_b64 vcc, exec, s[12:13]
	s_cbranch_vccnz .LBB501_22
; %bb.4:
	s_load_dwordx2 s[8:9], s[0:1], 0x28
	s_lshl_b64 s[12:13], s[2:3], 2
	s_waitcnt lgkmcnt(0)
	s_add_u32 s8, s8, s12
	s_addc_u32 s9, s9, s13
	s_load_dword s29, s[8:9], 0x0
	s_lshl_b32 s14, s28, 8
	s_waitcnt lgkmcnt(0)
	s_cmp_ge_i32 s14, s29
	s_cbranch_scc1 .LBB501_22
; %bb.5:
	s_load_dwordx2 s[8:9], s[0:1], 0x20
	s_load_dword s5, s[0:1], 0x38
	s_add_i32 s15, s29, 31
	s_ashr_i32 s16, s15, 31
	v_and_b32_e32 v1, 0xcf, v0
	s_lshr_b32 s16, s16, 27
	v_add_u32_e32 v1, s14, v1
	s_add_i32 s15, s15, s16
	v_ashrrev_i32_e32 v2, 31, v1
	s_ashr_i32 s15, s15, 5
	v_lshrrev_b32_e32 v6, 27, v2
	s_add_i32 s15, s15, -1
	s_waitcnt lgkmcnt(0)
	s_mul_i32 s16, s2, s5
	s_mov_b32 s17, 0
	v_add_u32_e32 v2, v1, v6
	s_lshl_b64 s[16:17], s[16:17], 2
	v_ashrrev_i32_e32 v2, 5, v2
	v_mov_b32_e32 v7, s15
	v_cmp_gt_i32_e32 vcc, s29, v1
	s_add_u32 s8, s8, s16
	s_addc_u32 s9, s9, s17
	v_cndmask_b32_e32 v2, v7, v2, vcc
	v_ashrrev_i32_e32 v3, 31, v2
	v_lshl_add_u64 v[4:5], v[2:3], 2, s[8:9]
	v_or_b32_e32 v2, 16, v1
	v_add_u32_e32 v3, v2, v6
	v_ashrrev_i32_e32 v3, 5, v3
	v_cmp_gt_i32_e32 vcc, s29, v2
	s_nop 1
	v_cndmask_b32_e32 v2, v7, v3, vcc
	v_ashrrev_i32_e32 v3, 31, v2
	v_lshl_add_u64 v[8:9], v[2:3], 2, s[8:9]
	v_or_b32_e32 v2, 32, v1
	v_add_u32_e32 v3, v2, v6
	v_ashrrev_i32_e32 v3, 5, v3
	v_cmp_gt_i32_e32 vcc, s29, v2
	v_or_b32_e32 v1, 48, v1
	s_nop 0
	v_cndmask_b32_e32 v2, v7, v3, vcc
	v_ashrrev_i32_e32 v3, 31, v2
	v_lshl_add_u64 v[12:13], v[2:3], 2, s[8:9]
	v_add_u32_e32 v2, v1, v6
	v_ashrrev_i32_e32 v2, 5, v2
	v_cmp_gt_i32_e32 vcc, s29, v1
	s_nop 1
	v_cndmask_b32_e32 v2, v7, v2, vcc
	v_ashrrev_i32_e32 v3, 31, v2
	v_lshl_add_u64 v[16:17], v[2:3], 2, s[8:9]
	global_load_dword v2, v[4:5], off
	global_load_dword v6, v[8:9], off
	;; [unrolled: 1-line block ×4, first 2 shown]
	s_andn2_b64 vcc, exec, s[10:11]
	s_cbranch_vccnz .LBB501_8
; %bb.6:
	s_add_u32 s6, s6, s12
	s_addc_u32 s7, s7, s13
	s_load_dword s5, s[6:7], 0x0
	s_branch .LBB501_9
.LBB501_7:
	s_mov_b64 s[12:13], 0
	s_branch .LBB501_2
.LBB501_8:
	s_mov_b32 s5, s2
.LBB501_9:
	s_load_dwordx2 s[10:11], s[0:1], 0x8
	s_load_dwordx4 s[44:47], s[0:1], 0x48
	v_lshrrev_b32_e32 v1, 6, v0
	v_bfe_u32 v54, v0, 4, 2
	v_lshl_or_b32 v3, v1, 2, v54
	v_and_b32_e32 v44, 15, v0
	v_cmp_lt_u32_e32 vcc, 5, v3
	v_cmp_lt_u32_e64 s[6:7], 7, v44
	v_lshlrev_b32_e32 v42, 3, v44
	v_cmp_gt_u32_e64 s[30:31], 8, v44
	s_or_b64 s[6:7], s[6:7], vcc
	s_and_saveexec_b64 s[12:13], s[6:7]
	s_xor_b64 s[6:7], exec, s[12:13]
; %bb.10:
	v_mov_b32_e32 v43, 0
                                        ; implicit-def: $vgpr3
; %bb.11:
	s_or_saveexec_b64 s[12:13], s[6:7]
	s_load_dwordx2 s[6:7], s[0:1], 0x10
	s_mul_i32 s42, s4, 6
	s_xor_b64 exec, exec, s[12:13]
	s_cbranch_execz .LBB501_13
; %bb.12:
	s_load_dwordx2 s[16:17], s[0:1], 0x0
	s_waitcnt lgkmcnt(0)
	s_ashr_i32 s18, s44, 31
	s_mul_hi_u32 s19, s5, s44
	s_mul_i32 s18, s5, s18
	s_add_i32 s19, s19, s18
	s_mul_i32 s18, s5, s44
	s_lshl_b64 s[18:19], s[18:19], 1
	s_add_u32 s16, s16, s18
	v_add_lshl_u32 v4, v3, s42, 6
	s_addc_u32 s17, s17, s19
	v_ashrrev_i32_e32 v5, 31, v4
	v_mov_b32_e32 v43, 0
	v_lshl_add_u64 v[4:5], v[4:5], 1, s[16:17]
	v_lshlrev_b32_e32 v8, 1, v42
	v_mov_b32_e32 v9, v43
	v_lshl_add_u64 v[4:5], v[4:5], 0, v[8:9]
	global_load_dwordx4 v[16:19], v[4:5], off
	v_and_b32_e32 v4, 3, v0
	v_lshlrev_b32_e32 v5, 9, v44
	v_lshlrev_b32_e32 v3, 5, v3
	;; [unrolled: 1-line block ×3, first 2 shown]
	v_and_b32_e32 v5, 0x1800, v5
	v_or3_b32 v3, v5, v4, v3
	s_waitcnt vmcnt(0)
	ds_write_b128 v3, v[16:19]
.LBB501_13:
	s_or_b64 exec, exec, s[12:13]
	s_waitcnt lgkmcnt(0)
	s_mul_i32 s4, s4, s46
	s_mov_b32 s5, 0
	s_lshl_b64 s[4:5], s[4:5], 1
	s_add_u32 s10, s10, s4
	s_addc_u32 s11, s11, s5
	s_waitcnt vmcnt(3)
	v_mad_i64_i32 v[2:3], s[12:13], v2, s45, 0
	v_lshl_add_u64 v[2:3], v[2:3], 1, s[10:11]
	v_lshlrev_b64 v[12:13], 1, v[42:43]
	v_lshlrev_b32_e32 v46, 9, v54
	v_lshl_add_u64 v[2:3], v[2:3], 0, v[12:13]
	v_mov_b32_e32 v47, 0
	v_lshl_add_u64 v[8:9], v[2:3], 0, v[46:47]
	s_barrier
	global_load_dwordx4 v[22:25], v[8:9], off
	global_load_dwordx4 v[2:5], v[8:9], off offset:2048
	s_waitcnt vmcnt(4)
	v_mad_i64_i32 v[6:7], s[12:13], v6, s45, 0
	v_mov_b32_e32 v8, 0x100
	v_lshl_add_u64 v[6:7], v[6:7], 1, s[10:11]
	v_lshl_or_b32 v16, v44, 4, v8
	v_mov_b32_e32 v17, v47
	s_waitcnt vmcnt(3)
	v_mad_i64_i32 v[10:11], s[12:13], v10, s45, 0
	v_lshl_add_u64 v[6:7], v[6:7], 0, v[16:17]
	v_lshl_add_u64 v[10:11], v[10:11], 1, s[10:11]
	s_waitcnt vmcnt(2)
	v_mad_i64_i32 v[14:15], s[12:13], v14, s45, 0
	v_lshl_add_u64 v[18:19], v[6:7], 0, v[46:47]
	v_lshl_add_u64 v[10:11], v[10:11], 0, v[12:13]
	;; [unrolled: 1-line block ×3, first 2 shown]
	global_load_dwordx4 v[26:29], v[18:19], off
	global_load_dwordx4 v[6:9], v[18:19], off offset:2048
	v_lshl_add_u64 v[18:19], v[10:11], 0, v[46:47]
	v_lshl_add_u64 v[14:15], v[14:15], 0, v[16:17]
	global_load_dwordx4 v[30:33], v[18:19], off
	global_load_dwordx4 v[10:13], v[18:19], off offset:2048
	v_lshl_add_u64 v[18:19], v[14:15], 0, v[46:47]
	global_load_dwordx4 v[34:37], v[18:19], off
	global_load_dwordx4 v[14:17], v[18:19], off offset:2048
	v_mul_lo_u16_e32 v18, 43, v44
	v_mov_b32_e32 v19, 6
	v_mul_lo_u16_sdwa v18, v18, v19 dst_sel:DWORD dst_unused:UNUSED_PAD src0_sel:BYTE_1 src1_sel:DWORD
	v_sub_u16_e32 v18, v44, v18
	v_and_b32_e32 v18, 0xff, v18
	v_lshl_add_u32 v18, v18, 5, v46
	ds_read_b128 v[38:41], v18
	ds_read_b128 v[18:21], v18 offset:2048
	v_and_b32_e32 v45, 63, v0
	v_cmp_gt_u32_e32 vcc, 6, v44
	v_mov_b32_e32 v50, 0
	s_and_saveexec_b64 s[10:11], vcc
	s_cbranch_execz .LBB501_15
; %bb.14:
	s_load_dwordx2 s[12:13], s[0:1], 0x40
	v_add_u32_e32 v48, s42, v44
	v_ashrrev_i32_e32 v49, 31, v48
	s_waitcnt lgkmcnt(0)
	v_lshl_add_u64 v[48:49], v[48:49], 2, s[12:13]
	global_load_dword v50, v[48:49], off
.LBB501_15:
	s_or_b64 exec, exec, s[10:11]
	s_ashr_i32 s10, s14, 31
	v_and_or_b32 v46, v0, 48, s14
	s_lshr_b32 s11, s10, 27
	v_add_u32_e32 v48, s11, v46
	v_or_b32_e32 v52, 64, v46
	v_ashrrev_i32_e32 v48, 5, v48
	v_mov_b32_e32 v51, s15
	v_cmp_gt_i32_e32 vcc, s29, v46
	v_add_u32_e32 v53, s11, v52
	s_waitcnt vmcnt(7) lgkmcnt(1)
	v_mfma_f32_16x16x16_bf16 v[56:59], v[22:23], v[38:39], 0
	v_cndmask_b32_e32 v48, v51, v48, vcc
	v_ashrrev_i32_e32 v22, 5, v53
	v_cmp_gt_i32_e32 vcc, s29, v52
	v_ashrrev_i32_e32 v49, 31, v48
	v_lshl_add_u64 v[48:49], v[48:49], 2, s[8:9]
	v_cndmask_b32_e32 v22, v51, v22, vcc
	v_ashrrev_i32_e32 v23, 31, v22
	v_lshl_add_u64 v[22:23], v[22:23], 2, s[8:9]
	global_load_dword v55, v[48:49], off
	global_load_dword v72, v[22:23], off
	s_waitcnt vmcnt(3)
	v_mfma_f32_16x16x16_bf16 v[68:71], v[34:35], v[38:39], 0
	v_or_b32_e32 v48, 0xc0, v46
	v_add_u32_e32 v52, s11, v48
	s_add_u32 s4, s6, s4
	v_mfma_f32_16x16x16_bf16 v[60:63], v[26:27], v[38:39], 0
	s_addc_u32 s5, s7, s5
	s_load_dword s10, s[0:1], 0x1c
	s_mov_b32 s33, 0xff7fffff
	v_mfma_f32_16x16x16_bf16 v[64:67], v[30:31], v[38:39], 0
	v_and_b32_e32 v31, 0xc0, v0
	v_or_b32_e32 v38, 0x80, v46
	v_add_u32_e32 v34, s14, v31
	v_mfma_f32_16x16x16_bf16 v[22:25], v[24:25], v[40:41], v[56:59]
	v_and_b32_e32 v30, 16, v0
	v_add_u32_e32 v49, s11, v38
	v_lshlrev_b32_e32 v46, 1, v30
	v_lshl_or_b32 v56, v54, 2, v34
	v_mfma_f32_16x16x16_bf16 v[34:37], v[36:37], v[40:41], v[68:71]
	v_cmp_gt_i32_e32 vcc, s29, v38
	v_lshlrev_b32_e32 v39, 6, v44
	v_or_b32_e32 v57, 1, v56
	v_mfma_f32_16x16x16_bf16 v[26:29], v[28:29], v[40:41], v[60:63]
	v_cmp_gt_i32_e64 s[34:35], s29, v57
	v_mfma_f32_16x16x16_bf16 v[30:33], v[32:33], v[40:41], v[64:67]
	v_ashrrev_i32_e32 v40, 5, v49
	v_ashrrev_i32_e32 v41, 5, v52
	v_cndmask_b32_e32 v38, v51, v40, vcc
	v_cmp_gt_i32_e32 vcc, s29, v48
	s_waitcnt lgkmcnt(0)
	v_mfma_f32_16x16x16_bf16 v[22:25], v[2:3], v[18:19], v[22:25]
	v_lshl_add_u64 v[2:3], s[4:5], 0, v[46:47]
	v_cndmask_b32_e32 v40, v51, v41, vcc
	v_lshl_or_b32 v46, v1, 10, v39
	v_ashrrev_i32_e32 v39, 31, v38
	v_ashrrev_i32_e32 v41, 31, v40
	s_waitcnt vmcnt(2)
	v_mfma_f32_16x16x16_bf16 v[34:37], v[14:15], v[18:19], v[34:37]
	v_lshl_add_u64 v[14:15], v[38:39], 2, s[8:9]
	v_subrev_u32_e32 v51, s29, v57
	v_cvt_f32_i32_e32 v58, v51
	v_mfma_f32_16x16x16_bf16 v[26:29], v[6:7], v[18:19], v[26:29]
	v_mfma_f32_16x16x16_bf16 v[30:33], v[10:11], v[18:19], v[30:33]
	v_lshl_add_u64 v[18:19], v[40:41], 2, s[8:9]
	global_load_dword v59, v[14:15], off
	global_load_dword v60, v[18:19], off
	v_lshl_add_u64 v[10:11], v[2:3], 0, v[46:47]
	v_mfma_f32_16x16x16_bf16 v[2:5], v[4:5], v[20:21], v[22:25]
	v_add_u32_e32 v46, 1, v51
	v_add_u32_e32 v47, 3, v51
	;; [unrolled: 1-line block ×3, first 2 shown]
	v_mfma_f32_16x16x16_bf16 v[14:17], v[16:17], v[20:21], v[34:37]
	v_add_u32_e32 v22, 2, v51
	s_nop 1
	v_pk_mul_f32 v[52:53], s[10:11], v[4:5] op_sel_hi:[0,1]
	v_cvt_f32_i32_e32 v18, v18
	v_mfma_f32_16x16x16_bf16 v[6:9], v[8:9], v[20:21], v[26:29]
	v_add_u32_e32 v19, 19, v51
	v_pk_mul_f32 v[34:35], s[10:11], v[16:17] op_sel_hi:[0,1]
	v_pk_mul_f32 v[36:37], s[10:11], v[14:15] op_sel_hi:[0,1]
	v_cvt_f32_i32_e32 v27, v22
	v_mfma_f32_16x16x16_bf16 v[22:25], v[12:13], v[20:21], v[30:33]
	v_pk_mul_f32 v[12:13], s[10:11], v[2:3] op_sel_hi:[0,1]
	v_cvt_f32_i32_e32 v26, v46
	v_cvt_f32_i32_e32 v28, v47
	v_pk_mul_f32 v[46:47], s[10:11], v[8:9] op_sel_hi:[0,1]
	v_pk_mul_f32 v[48:49], s[10:11], v[6:7] op_sel_hi:[0,1]
	v_cvt_f32_i32_e32 v19, v19
	v_fma_f32 v46, v50, v18, v46
	v_add_u32_e32 v18, 34, v51
	v_cvt_f32_i32_e32 v18, v18
	v_fmac_f32_e32 v47, v50, v19
	v_add_u32_e32 v19, 35, v51
	v_cvt_f32_i32_e32 v19, v19
	v_pk_mul_f32 v[40:41], s[10:11], v[22:23] op_sel_hi:[0,1]
	v_pk_mul_f32 v[38:39], s[10:11], v[24:25] op_sel_hi:[0,1]
	v_fma_f32 v38, v50, v18, v38
	v_add_u32_e32 v18, 50, v51
	s_waitcnt vmcnt(3)
	v_mad_i64_i32 v[2:3], s[4:5], v55, s45, 0
	s_waitcnt vmcnt(2)
	v_mad_i64_i32 v[4:5], s[4:5], v72, s45, 0
	v_lshl_add_u64 v[16:17], v[2:3], 1, v[10:11]
	v_lshl_add_u64 v[14:15], v[4:5], 1, v[10:11]
	global_load_dwordx4 v[6:9], v[16:17], off
	global_load_dwordx4 v[2:5], v[16:17], off offset:16
	v_add_u32_e32 v16, 16, v51
	v_cvt_f32_i32_e32 v16, v16
	v_add_u32_e32 v17, 17, v51
	v_cvt_f32_i32_e32 v17, v17
	v_fmac_f32_e32 v39, v50, v19
	v_fma_f32 v48, v50, v16, v48
	v_add_u32_e32 v16, 32, v51
	v_fmac_f32_e32 v49, v50, v17
	v_cvt_f32_i32_e32 v16, v16
	v_add_u32_e32 v17, 33, v51
	v_cvt_f32_i32_e32 v17, v17
	v_cvt_f32_i32_e32 v18, v18
	v_fma_f32 v40, v50, v16, v40
	v_add_u32_e32 v16, 48, v51
	v_fmac_f32_e32 v41, v50, v17
	v_cvt_f32_i32_e32 v16, v16
	v_add_u32_e32 v17, 49, v51
	v_cvt_f32_i32_e32 v17, v17
	v_add_u32_e32 v19, 51, v51
	v_cvt_f32_i32_e32 v19, v19
	v_fma_f32 v12, v50, v58, v12
	v_fmac_f32_e32 v13, v50, v26
	v_fma_f32 v36, v50, v16, v36
	v_mov_b32_e32 v16, 0xff7fffff
	v_cmp_gt_i32_e64 s[4:5], s29, v56
	v_fmac_f32_e32 v37, v50, v17
	v_fma_f32 v34, v50, v18, v34
	v_cndmask_b32_e64 v17, v16, v12, s[4:5]
	v_cndmask_b32_e64 v18, v16, v13, s[34:35]
	v_fmac_f32_e32 v35, v50, v19
	v_max3_f32 v17, v17, s33, v18
	v_or_b32_e32 v18, 2, v56
	v_or_b32_e32 v19, 3, v56
	v_fma_f32 v52, v50, v27, v52
	v_fmac_f32_e32 v53, v50, v28
	v_cmp_gt_i32_e64 s[36:37], s29, v18
	v_cmp_gt_i32_e64 s[38:39], s29, v19
	global_load_dwordx4 v[30:33], v[14:15], off
	global_load_dwordx4 v[26:29], v[14:15], off offset:16
	v_cndmask_b32_e64 v18, v16, v52, s[36:37]
	v_cndmask_b32_e64 v19, v16, v53, s[38:39]
	v_max3_f32 v17, v17, v18, v19
	v_or_b32_e32 v18, 16, v56
	v_or_b32_e32 v19, 17, v56
	v_cmp_gt_i32_e64 s[24:25], s29, v18
	v_cmp_gt_i32_e64 s[26:27], s29, v19
	s_nop 0
	v_cndmask_b32_e64 v18, v16, v48, s[24:25]
	v_cndmask_b32_e64 v19, v16, v49, s[26:27]
	v_max3_f32 v17, v17, v18, v19
	v_or_b32_e32 v18, 18, v56
	v_or_b32_e32 v19, 19, v56
	v_cmp_gt_i32_e64 s[20:21], s29, v18
	v_cmp_gt_i32_e64 s[22:23], s29, v19
	s_nop 0
	;; [unrolled: 8-line block ×5, first 2 shown]
	v_cndmask_b32_e64 v18, v16, v36, s[8:9]
	v_cndmask_b32_e64 v19, v16, v37, s[10:11]
	v_max3_f32 v17, v17, v18, v19
	v_or_b32_e32 v18, 50, v56
	v_or_b32_e32 v19, 51, v56
	v_cmp_gt_i32_e32 vcc, s29, v18
	v_cmp_gt_i32_e64 s[6:7], s29, v19
	s_nop 0
	v_cndmask_b32_e32 v18, v16, v34, vcc
	v_cndmask_b32_e64 v16, v16, v35, s[6:7]
	v_max3_f32 v16, v17, v18, v16
	v_mbcnt_lo_u32_b32 v17, -1, 0
	v_mbcnt_hi_u32_b32 v17, -1, v17
	v_and_b32_e32 v18, 64, v17
	v_add_u32_e32 v18, 64, v18
	v_xor_b32_e32 v19, 32, v17
	v_cmp_lt_i32_e64 s[40:41], v19, v18
	s_nop 1
	v_cndmask_b32_e64 v19, v17, v19, s[40:41]
	v_lshlrev_b32_e32 v56, 2, v19
	ds_bpermute_b32 v19, v56, v16
	s_waitcnt vmcnt(5)
	v_mad_i64_i32 v[14:15], s[40:41], v59, s45, 0
	v_lshl_add_u64 v[14:15], v[14:15], 1, v[10:11]
	s_waitcnt lgkmcnt(0)
	v_max_f32_e32 v19, v19, v19
	v_max_f32_e32 v16, v16, v19
	v_xor_b32_e32 v19, 16, v17
	v_cmp_lt_i32_e64 s[40:41], v19, v18
	s_nop 1
	v_cndmask_b32_e64 v17, v17, v19, s[40:41]
	v_lshlrev_b32_e32 v57, 2, v17
	ds_bpermute_b32 v17, v57, v16
	global_load_dwordx4 v[22:25], v[14:15], off
	global_load_dwordx4 v[18:21], v[14:15], off offset:16
	s_waitcnt vmcnt(6)
	v_mad_i64_i32 v[14:15], s[40:41], v60, s45, 0
	v_lshl_add_u64 v[10:11], v[14:15], 1, v[10:11]
	s_waitcnt lgkmcnt(0)
	v_max_f32_e32 v14, v17, v17
	v_max_f32_e32 v55, v16, v14
	v_sub_f32_e32 v12, v12, v55
	v_mul_f32_e32 v12, 0x3fb8aa3b, v12
	v_exp_f32_e32 v50, v12
	v_sub_f32_e32 v12, v13, v55
	v_mul_f32_e32 v12, 0x3fb8aa3b, v12
	v_exp_f32_e32 v51, v12
	global_load_dwordx4 v[14:17], v[10:11], off
	s_nop 0
	global_load_dwordx4 v[10:13], v[10:11], off offset:16
	v_sub_f32_e32 v52, v52, v55
	v_mul_f32_e32 v52, 0x3fb8aa3b, v52
	v_sub_f32_e32 v53, v53, v55
	v_exp_f32_e32 v52, v52
	v_mul_f32_e32 v53, 0x3fb8aa3b, v53
	v_sub_f32_e32 v48, v48, v55
	v_exp_f32_e32 v53, v53
	v_mul_f32_e32 v48, 0x3fb8aa3b, v48
	v_sub_f32_e32 v49, v49, v55
	v_cndmask_b32_e64 v50, 0, v50, s[4:5]
	v_exp_f32_e32 v48, v48
	v_mul_f32_e32 v49, 0x3fb8aa3b, v49
	v_sub_f32_e32 v46, v46, v55
	v_add_f32_e32 v58, 0, v50
	v_cndmask_b32_e64 v51, 0, v51, s[34:35]
	v_exp_f32_e32 v49, v49
	v_mul_f32_e32 v46, 0x3fb8aa3b, v46
	v_sub_f32_e32 v47, v47, v55
	v_add_f32_e32 v58, v58, v51
	;; [unrolled: 5-line block ×10, first 2 shown]
	v_cndmask_b32_e64 v38, 0, v38, s[12:13]
	v_exp_f32_e32 v34, v34
	v_mul_f32_e32 v35, 0x3fb8aa3b, v35
	v_add_f32_e32 v58, v58, v38
	v_cndmask_b32_e64 v39, 0, v39, s[14:15]
	v_exp_f32_e32 v35, v35
	v_add_f32_e32 v58, v58, v39
	v_cndmask_b32_e64 v36, 0, v36, s[8:9]
	v_add_f32_e32 v58, v58, v36
	v_cndmask_b32_e64 v37, 0, v37, s[10:11]
	v_add_f32_e32 v58, v58, v37
	v_cndmask_b32_e32 v34, 0, v34, vcc
	v_add_f32_e32 v58, v58, v34
	v_cndmask_b32_e64 v35, 0, v35, s[6:7]
	v_add_f32_e32 v58, v58, v35
	ds_bpermute_b32 v56, v56, v58
	s_load_dword s7, s[0:1], 0x98
	v_cmp_gt_u32_e32 vcc, 16, v45
	v_lshlrev_b32_e32 v45, 2, v44
	s_waitcnt lgkmcnt(0)
	v_add_f32_e32 v56, v58, v56
	ds_bpermute_b32 v57, v57, v56
	s_barrier
	s_waitcnt lgkmcnt(0)
	s_and_saveexec_b64 s[4:5], vcc
	s_cbranch_execz .LBB501_17
; %bb.16:
	v_add_f32_e32 v56, v56, v57
	v_lshl_or_b32 v57, v1, 6, v45
	ds_write2st64_b32 v57, v55, v56 offset1:1
.LBB501_17:
	s_or_b64 exec, exec, s[4:5]
	s_load_dword s6, s[0:1], 0x94
	s_waitcnt lgkmcnt(0)
	s_barrier
	ds_read2_b32 v[56:57], v45 offset1:16
	ds_read2_b32 v[58:59], v45 offset0:32 offset1:48
	ds_read2_b32 v[60:61], v45 offset0:64 offset1:80
	;; [unrolled: 1-line block ×3, first 2 shown]
	s_movk_i32 s8, 0x7fff
	s_waitcnt lgkmcnt(3)
	v_max3_f32 v55, v56, s33, v57
	s_waitcnt lgkmcnt(2)
	v_max3_f32 v55, v55, v58, v59
	v_sub_f32_e32 v56, v56, v55
	v_mul_f32_e32 v56, 0x3fb8aa3b, v56
	v_exp_f32_e32 v64, v56
	v_sub_f32_e32 v56, v57, v55
	v_mul_f32_e32 v56, 0x3fb8aa3b, v56
	v_exp_f32_e32 v57, v56
	v_sub_f32_e32 v56, v58, v55
	v_mul_f32_e32 v56, 0x3fb8aa3b, v56
	v_sub_f32_e32 v45, v59, v55
	v_exp_f32_e32 v58, v56
	v_mul_f32_e32 v45, 0x3fb8aa3b, v45
	v_exp_f32_e32 v45, v45
	s_waitcnt lgkmcnt(1)
	v_fma_f32 v56, v64, v60, 0
	v_fmac_f32_e32 v56, v57, v61
	s_waitcnt lgkmcnt(0)
	v_fmac_f32_e32 v56, v58, v62
	v_fmac_f32_e32 v56, v45, v63
	v_add_f32_e32 v59, 0x358637bd, v56
	v_div_scale_f32 v60, s[4:5], v59, v59, 1.0
	v_rcp_f32_e32 v61, v60
	s_mov_b32 s9, 0x7060302
	s_mul_i32 s7, s7, 6
	v_fma_f32 v62, -v60, v61, 1.0
	v_fmac_f32_e32 v61, v62, v61
	v_div_scale_f32 v62, vcc, 1.0, v59, 1.0
	v_mul_f32_e32 v63, v62, v61
	v_fma_f32 v65, -v60, v63, v62
	v_fmac_f32_e32 v63, v65, v61
	v_fma_f32 v60, -v60, v63, v62
	v_div_fmas_f32 v60, v60, v61, v63
	v_cmp_eq_u32_e32 vcc, 1, v1
	v_div_fixup_f32 v59, v60, v59, 1.0
	s_barrier
	v_cndmask_b32_e32 v57, v64, v57, vcc
	v_cmp_eq_u32_e32 vcc, 2, v1
	s_nop 1
	v_cndmask_b32_e32 v57, v57, v58, vcc
	v_cmp_eq_u32_e32 vcc, 3, v1
	v_lshlrev_b32_e32 v1, 11, v1
	s_nop 0
	v_cndmask_b32_e32 v45, v57, v45, vcc
	v_mul_f32_e32 v58, v45, v59
	v_pk_mul_f32 v[50:51], v[58:59], v[50:51] op_sel_hi:[0,1]
	v_bfe_u32 v45, v51, 16, 1
	v_bfe_u32 v57, v50, 16, 1
	v_pk_mul_f32 v[52:53], v[58:59], v[52:53] op_sel_hi:[0,1]
	v_add3_u32 v50, v50, v57, s8
	v_add3_u32 v45, v51, v45, s8
	v_perm_b32 v60, v45, v50, s9
	v_bfe_u32 v45, v53, 16, 1
	v_bfe_u32 v50, v52, 16, 1
	v_add3_u32 v50, v52, v50, s8
	v_add3_u32 v45, v53, v45, s8
	v_perm_b32 v61, v45, v50, s9
	v_lshlrev_b32_e32 v45, 3, v54
	v_lshlrev_b32_e32 v50, 5, v44
	v_pk_mul_f32 v[48:49], v[58:59], v[48:49] op_sel_hi:[0,1]
	v_or3_b32 v1, v1, v50, v45
	v_bfe_u32 v45, v49, 16, 1
	v_bfe_u32 v51, v48, 16, 1
	v_pk_mul_f32 v[46:47], v[58:59], v[46:47] op_sel_hi:[0,1]
	v_add3_u32 v48, v48, v51, s8
	v_add3_u32 v45, v49, v45, s8
	v_perm_b32 v48, v45, v48, s9
	v_bfe_u32 v45, v47, 16, 1
	v_bfe_u32 v49, v46, 16, 1
	v_add3_u32 v46, v46, v49, s8
	v_add3_u32 v45, v47, v45, s8
	v_pk_mul_f32 v[40:41], v[58:59], v[40:41] op_sel_hi:[0,1]
	v_perm_b32 v49, v45, v46, s9
	v_bfe_u32 v45, v41, 16, 1
	v_bfe_u32 v46, v40, 16, 1
	v_pk_mul_f32 v[38:39], v[58:59], v[38:39] op_sel_hi:[0,1]
	v_add3_u32 v40, v40, v46, s8
	v_add3_u32 v41, v41, v45, s8
	v_perm_b32 v40, v41, v40, s9
	v_bfe_u32 v41, v39, 16, 1
	v_bfe_u32 v45, v38, 16, 1
	v_add3_u32 v38, v38, v45, s8
	v_add3_u32 v39, v39, v41, s8
	v_pk_mul_f32 v[36:37], v[58:59], v[36:37] op_sel_hi:[0,1]
	v_perm_b32 v41, v39, v38, s9
	v_bfe_u32 v38, v37, 16, 1
	v_bfe_u32 v39, v36, 16, 1
	v_pk_mul_f32 v[34:35], v[58:59], v[34:35] op_sel_hi:[0,1]
	v_add3_u32 v36, v36, v39, s8
	v_add3_u32 v37, v37, v38, s8
	v_perm_b32 v36, v37, v36, s9
	v_bfe_u32 v37, v35, 16, 1
	v_bfe_u32 v38, v34, 16, 1
	v_add3_u32 v34, v34, v38, s8
	v_add3_u32 v35, v35, v37, s8
	v_perm_b32 v37, v35, v34, s9
	v_cmp_gt_u32_e32 vcc, 6, v0
	ds_write2st64_b64 v1, v[60:61], v[48:49] offset1:1
	ds_write2st64_b64 v1, v[40:41], v[36:37] offset0:2 offset1:3
	s_and_saveexec_b64 s[4:5], vcc
	s_cbranch_execz .LBB501_19
; %bb.18:
	s_mov_b32 s43, 0
	v_mov_b32_e32 v45, 0
	v_lshl_add_u64 v[34:35], s[42:43], 0, v[44:45]
	v_mov_b32_e32 v36, s7
	v_mad_u64_u32 v[34:35], s[10:11], s2, v36, v[34:35]
	s_mul_i32 s3, s3, s7
	v_mov_b32_e32 v44, s28
	s_load_dwordx4 s[12:15], s[0:1], 0x58
	v_add_u32_e32 v37, s3, v35
	v_mad_u64_u32 v[34:35], s[10:11], v34, s6, v[44:45]
	v_mov_b32_e32 v36, v35
	v_mad_u64_u32 v[36:37], s[10:11], v37, s6, v[36:37]
	v_mov_b32_e32 v35, v36
	v_lshlrev_b64 v[34:35], 2, v[34:35]
	s_waitcnt lgkmcnt(0)
	v_lshl_add_u64 v[36:37], s[14:15], 0, v[34:35]
	v_lshl_add_u64 v[34:35], s[12:13], 0, v[34:35]
	global_store_dword v[36:37], v55, off
	global_store_dword v[34:35], v56, off
.LBB501_19:
	s_or_b64 exec, exec, s[4:5]
	v_lshl_or_b32 v48, v54, 9, v50
	s_waitcnt lgkmcnt(0)
	s_barrier
	ds_read_b128 v[34:37], v48
	ds_read_b128 v[38:41], v48 offset:16
	s_waitcnt vmcnt(7) lgkmcnt(1)
	v_mfma_f32_16x16x16_bf16 v[44:47], v[6:7], v[34:35], 0
	v_cmp_gt_u32_e32 vcc, 64, v0
	s_mov_b32 s3, 0
	s_and_b64 s[4:5], vcc, s[30:31]
	v_mfma_f32_16x16x16_bf16 v[6:9], v[8:9], v[36:37], v[44:47]
	s_waitcnt vmcnt(6) lgkmcnt(0)
	v_mfma_f32_16x16x16_bf16 v[6:9], v[2:3], v[38:39], v[6:9]
	v_mfma_f32_16x16x16_bf16 v[2:5], v[4:5], v[40:41], v[6:9]
	s_nop 5
	ds_read_b128 v[6:9], v48 offset:2048
	ds_read_b128 v[34:37], v48 offset:2064
	s_waitcnt vmcnt(5) lgkmcnt(1)
	v_mfma_f32_16x16x16_bf16 v[2:5], v[30:31], v[6:7], v[2:5]
	v_mfma_f32_16x16x16_bf16 v[2:5], v[32:33], v[8:9], v[2:5]
	s_waitcnt vmcnt(4) lgkmcnt(0)
	v_mfma_f32_16x16x16_bf16 v[2:5], v[26:27], v[34:35], v[2:5]
	v_mfma_f32_16x16x16_bf16 v[2:5], v[28:29], v[36:37], v[2:5]
	ds_read_b128 v[6:9], v48 offset:4096
	ds_read_b128 v[26:29], v48 offset:4112
	s_waitcnt vmcnt(3) lgkmcnt(1)
	v_mfma_f32_16x16x16_bf16 v[2:5], v[22:23], v[6:7], v[2:5]
	v_mfma_f32_16x16x16_bf16 v[2:5], v[24:25], v[8:9], v[2:5]
	s_waitcnt vmcnt(2) lgkmcnt(0)
	v_mfma_f32_16x16x16_bf16 v[2:5], v[18:19], v[26:27], v[2:5]
	v_mfma_f32_16x16x16_bf16 v[2:5], v[20:21], v[28:29], v[2:5]
	ds_read_b128 v[6:9], v48 offset:6144
	ds_read_b128 v[18:21], v48 offset:6160
	s_waitcnt lgkmcnt(0)
	s_barrier
	s_waitcnt vmcnt(1)
	v_mfma_f32_16x16x16_bf16 v[2:5], v[14:15], v[6:7], v[2:5]
	v_mfma_f32_16x16x16_bf16 v[2:5], v[16:17], v[8:9], v[2:5]
	s_waitcnt vmcnt(0)
	v_mfma_f32_16x16x16_bf16 v[2:5], v[10:11], v[18:19], v[2:5]
	v_mfma_f32_16x16x16_bf16 v[2:5], v[12:13], v[20:21], v[2:5]
	s_nop 6
	v_bfe_u32 v6, v3, 16, 1
	v_bfe_u32 v7, v2, 16, 1
	;; [unrolled: 1-line block ×4, first 2 shown]
	v_add3_u32 v2, v2, v7, s8
	v_add3_u32 v3, v3, v6, s8
	;; [unrolled: 1-line block ×4, first 2 shown]
	v_perm_b32 v2, v3, v2, s9
	v_perm_b32 v3, v5, v4, s9
	ds_write_b64 v1, v[2:3]
	s_waitcnt lgkmcnt(0)
	s_barrier
	s_and_saveexec_b64 s[8:9], s[4:5]
	s_cbranch_execz .LBB501_22
; %bb.20:
	s_load_dwordx2 s[4:5], s[0:1], 0x68
	s_lshl_b32 s0, s6, 6
	s_mul_i32 s1, s7, s2
	s_mul_hi_u32 s7, s1, s0
	s_mul_i32 s6, s1, s0
	v_lshlrev_b32_e32 v1, 10, v0
	v_lshlrev_b32_e32 v0, 4, v0
	s_lshl_b64 s[6:7], s[6:7], 1
	v_and_b32_e32 v1, 0x1800, v1
	v_lshlrev_b32_e32 v3, 5, v54
	v_and_b32_e32 v0, 16, v0
	s_waitcnt lgkmcnt(0)
	s_add_u32 s1, s4, s6
	v_or3_b32 v3, v1, v3, v0
	s_addc_u32 s4, s5, s7
	s_lshl_b32 s2, s28, 6
	s_lshl_b64 s[2:3], s[2:3], 1
	ds_read_b128 v[4:7], v3
	s_add_u32 s2, s1, s2
	s_addc_u32 s3, s4, s3
	v_add_u32_e32 v8, s42, v54
	v_or_b32_e32 v2, 4, v54
	v_lshl_add_u64 v[0:1], v[42:43], 1, s[2:3]
	v_mad_u64_u32 v[8:9], s[2:3], v8, s0, 0
	v_lshl_add_u64 v[8:9], v[8:9], 1, v[0:1]
	v_cmp_gt_u32_e32 vcc, 6, v2
	s_waitcnt lgkmcnt(0)
	global_store_dwordx4 v[8:9], v[4:7], off
	s_and_b64 exec, exec, vcc
	s_cbranch_execz .LBB501_22
; %bb.21:
	ds_read_b128 v[4:7], v3 offset:128
	v_add_u32_e32 v2, s42, v2
	v_mad_u64_u32 v[2:3], s[0:1], v2, s0, 0
	v_lshl_add_u64 v[0:1], v[2:3], 1, v[0:1]
	s_waitcnt lgkmcnt(0)
	global_store_dwordx4 v[0:1], v[4:7], off
.LBB501_22:
	s_endpgm
	.section	.rodata,"a",@progbits
	.p2align	6, 0x0
	.amdhsa_kernel _Z39paged_attention_ll4mi_QKV_mfma16_kernelI14__hip_bfloat16S0_LN4vllm18Fp8KVCacheDataTypeE0EhLi32ELi64ELi256ELb1ELi6EEvPKT_PKT0_S8_ifPKiSA_SA_iPKfiiiPfSD_PS3_PT2_iSC_SC_
		.amdhsa_group_segment_fixed_size 8192
		.amdhsa_private_segment_fixed_size 0
		.amdhsa_kernarg_size 400
		.amdhsa_user_sgpr_count 2
		.amdhsa_user_sgpr_dispatch_ptr 0
		.amdhsa_user_sgpr_queue_ptr 0
		.amdhsa_user_sgpr_kernarg_segment_ptr 1
		.amdhsa_user_sgpr_dispatch_id 0
		.amdhsa_user_sgpr_kernarg_preload_length 0
		.amdhsa_user_sgpr_kernarg_preload_offset 0
		.amdhsa_user_sgpr_private_segment_size 0
		.amdhsa_uses_dynamic_stack 0
		.amdhsa_enable_private_segment 0
		.amdhsa_system_sgpr_workgroup_id_x 1
		.amdhsa_system_sgpr_workgroup_id_y 1
		.amdhsa_system_sgpr_workgroup_id_z 1
		.amdhsa_system_sgpr_workgroup_info 0
		.amdhsa_system_vgpr_workitem_id 0
		.amdhsa_next_free_vgpr 73
		.amdhsa_next_free_sgpr 48
		.amdhsa_accum_offset 76
		.amdhsa_reserve_vcc 1
		.amdhsa_float_round_mode_32 0
		.amdhsa_float_round_mode_16_64 0
		.amdhsa_float_denorm_mode_32 3
		.amdhsa_float_denorm_mode_16_64 3
		.amdhsa_dx10_clamp 1
		.amdhsa_ieee_mode 1
		.amdhsa_fp16_overflow 0
		.amdhsa_tg_split 0
		.amdhsa_exception_fp_ieee_invalid_op 0
		.amdhsa_exception_fp_denorm_src 0
		.amdhsa_exception_fp_ieee_div_zero 0
		.amdhsa_exception_fp_ieee_overflow 0
		.amdhsa_exception_fp_ieee_underflow 0
		.amdhsa_exception_fp_ieee_inexact 0
		.amdhsa_exception_int_div_zero 0
	.end_amdhsa_kernel
	.section	.text._Z39paged_attention_ll4mi_QKV_mfma16_kernelI14__hip_bfloat16S0_LN4vllm18Fp8KVCacheDataTypeE0EhLi32ELi64ELi256ELb1ELi6EEvPKT_PKT0_S8_ifPKiSA_SA_iPKfiiiPfSD_PS3_PT2_iSC_SC_,"axG",@progbits,_Z39paged_attention_ll4mi_QKV_mfma16_kernelI14__hip_bfloat16S0_LN4vllm18Fp8KVCacheDataTypeE0EhLi32ELi64ELi256ELb1ELi6EEvPKT_PKT0_S8_ifPKiSA_SA_iPKfiiiPfSD_PS3_PT2_iSC_SC_,comdat
.Lfunc_end501:
	.size	_Z39paged_attention_ll4mi_QKV_mfma16_kernelI14__hip_bfloat16S0_LN4vllm18Fp8KVCacheDataTypeE0EhLi32ELi64ELi256ELb1ELi6EEvPKT_PKT0_S8_ifPKiSA_SA_iPKfiiiPfSD_PS3_PT2_iSC_SC_, .Lfunc_end501-_Z39paged_attention_ll4mi_QKV_mfma16_kernelI14__hip_bfloat16S0_LN4vllm18Fp8KVCacheDataTypeE0EhLi32ELi64ELi256ELb1ELi6EEvPKT_PKT0_S8_ifPKiSA_SA_iPKfiiiPfSD_PS3_PT2_iSC_SC_
                                        ; -- End function
	.section	.AMDGPU.csdata,"",@progbits
; Kernel info:
; codeLenInByte = 4416
; NumSgprs: 54
; NumVgprs: 73
; NumAgprs: 0
; TotalNumVgprs: 73
; ScratchSize: 0
; MemoryBound: 0
; FloatMode: 240
; IeeeMode: 1
; LDSByteSize: 8192 bytes/workgroup (compile time only)
; SGPRBlocks: 6
; VGPRBlocks: 9
; NumSGPRsForWavesPerEU: 54
; NumVGPRsForWavesPerEU: 73
; AccumOffset: 76
; Occupancy: 6
; WaveLimiterHint : 1
; COMPUTE_PGM_RSRC2:SCRATCH_EN: 0
; COMPUTE_PGM_RSRC2:USER_SGPR: 2
; COMPUTE_PGM_RSRC2:TRAP_HANDLER: 0
; COMPUTE_PGM_RSRC2:TGID_X_EN: 1
; COMPUTE_PGM_RSRC2:TGID_Y_EN: 1
; COMPUTE_PGM_RSRC2:TGID_Z_EN: 1
; COMPUTE_PGM_RSRC2:TIDIG_COMP_CNT: 0
; COMPUTE_PGM_RSRC3_GFX90A:ACCUM_OFFSET: 18
; COMPUTE_PGM_RSRC3_GFX90A:TG_SPLIT: 0
	.section	.text._Z39paged_attention_ll4mi_QKV_mfma16_kernelI14__hip_bfloat16S0_LN4vllm18Fp8KVCacheDataTypeE0EhLi32ELi64ELi256ELb1ELi7EEvPKT_PKT0_S8_ifPKiSA_SA_iPKfiiiPfSD_PS3_PT2_iSC_SC_,"axG",@progbits,_Z39paged_attention_ll4mi_QKV_mfma16_kernelI14__hip_bfloat16S0_LN4vllm18Fp8KVCacheDataTypeE0EhLi32ELi64ELi256ELb1ELi7EEvPKT_PKT0_S8_ifPKiSA_SA_iPKfiiiPfSD_PS3_PT2_iSC_SC_,comdat
	.protected	_Z39paged_attention_ll4mi_QKV_mfma16_kernelI14__hip_bfloat16S0_LN4vllm18Fp8KVCacheDataTypeE0EhLi32ELi64ELi256ELb1ELi7EEvPKT_PKT0_S8_ifPKiSA_SA_iPKfiiiPfSD_PS3_PT2_iSC_SC_ ; -- Begin function _Z39paged_attention_ll4mi_QKV_mfma16_kernelI14__hip_bfloat16S0_LN4vllm18Fp8KVCacheDataTypeE0EhLi32ELi64ELi256ELb1ELi7EEvPKT_PKT0_S8_ifPKiSA_SA_iPKfiiiPfSD_PS3_PT2_iSC_SC_
	.globl	_Z39paged_attention_ll4mi_QKV_mfma16_kernelI14__hip_bfloat16S0_LN4vllm18Fp8KVCacheDataTypeE0EhLi32ELi64ELi256ELb1ELi7EEvPKT_PKT0_S8_ifPKiSA_SA_iPKfiiiPfSD_PS3_PT2_iSC_SC_
	.p2align	8
	.type	_Z39paged_attention_ll4mi_QKV_mfma16_kernelI14__hip_bfloat16S0_LN4vllm18Fp8KVCacheDataTypeE0EhLi32ELi64ELi256ELb1ELi7EEvPKT_PKT0_S8_ifPKiSA_SA_iPKfiiiPfSD_PS3_PT2_iSC_SC_,@function
_Z39paged_attention_ll4mi_QKV_mfma16_kernelI14__hip_bfloat16S0_LN4vllm18Fp8KVCacheDataTypeE0EhLi32ELi64ELi256ELb1ELi7EEvPKT_PKT0_S8_ifPKiSA_SA_iPKfiiiPfSD_PS3_PT2_iSC_SC_: ; @_Z39paged_attention_ll4mi_QKV_mfma16_kernelI14__hip_bfloat16S0_LN4vllm18Fp8KVCacheDataTypeE0EhLi32ELi64ELi256ELb1ELi7EEvPKT_PKT0_S8_ifPKiSA_SA_iPKfiiiPfSD_PS3_PT2_iSC_SC_
; %bb.0:
	s_load_dwordx2 s[6:7], s[0:1], 0x30
	s_mov_b32 s28, s3
	s_mov_b64 s[8:9], 0
	s_waitcnt lgkmcnt(0)
	s_cmp_lg_u64 s[6:7], 0
	s_cselect_b64 s[10:11], -1, 0
	s_and_b64 vcc, exec, s[10:11]
	s_cbranch_vccz .LBB502_7
; %bb.1:
	s_add_i32 s12, s2, 1
	s_mov_b32 s13, 0
	s_lshl_b64 s[14:15], s[12:13], 2
	s_add_u32 s14, s6, s14
	s_mov_b32 s3, s13
	s_addc_u32 s15, s7, s15
	s_lshl_b64 s[12:13], s[2:3], 2
	s_add_u32 s12, s6, s12
	s_addc_u32 s13, s7, s13
	s_load_dword s5, s[14:15], 0x0
	s_load_dword s16, s[12:13], 0x0
	s_waitcnt lgkmcnt(0)
	s_sub_i32 s5, s5, s16
	s_cmp_eq_u32 s5, 1
	s_cselect_b64 s[12:13], -1, 0
	s_andn2_b64 vcc, exec, s[8:9]
	s_cbranch_vccnz .LBB502_3
.LBB502_2:
	s_mov_b32 s3, 0
	s_mov_b64 s[12:13], -1
.LBB502_3:
	s_andn2_b64 vcc, exec, s[12:13]
	s_cbranch_vccnz .LBB502_22
; %bb.4:
	s_load_dwordx2 s[8:9], s[0:1], 0x28
	s_lshl_b64 s[12:13], s[2:3], 2
	s_waitcnt lgkmcnt(0)
	s_add_u32 s8, s8, s12
	s_addc_u32 s9, s9, s13
	s_load_dword s29, s[8:9], 0x0
	s_lshl_b32 s14, s28, 8
	s_waitcnt lgkmcnt(0)
	s_cmp_ge_i32 s14, s29
	s_cbranch_scc1 .LBB502_22
; %bb.5:
	s_load_dwordx2 s[8:9], s[0:1], 0x20
	s_load_dword s5, s[0:1], 0x38
	s_add_i32 s15, s29, 31
	s_ashr_i32 s16, s15, 31
	v_and_b32_e32 v1, 0xcf, v0
	s_lshr_b32 s16, s16, 27
	v_add_u32_e32 v1, s14, v1
	s_add_i32 s15, s15, s16
	v_ashrrev_i32_e32 v2, 31, v1
	s_ashr_i32 s15, s15, 5
	v_lshrrev_b32_e32 v6, 27, v2
	s_add_i32 s15, s15, -1
	s_waitcnt lgkmcnt(0)
	s_mul_i32 s16, s2, s5
	s_mov_b32 s17, 0
	v_add_u32_e32 v2, v1, v6
	s_lshl_b64 s[16:17], s[16:17], 2
	v_ashrrev_i32_e32 v2, 5, v2
	v_mov_b32_e32 v7, s15
	v_cmp_gt_i32_e32 vcc, s29, v1
	s_add_u32 s8, s8, s16
	s_addc_u32 s9, s9, s17
	v_cndmask_b32_e32 v2, v7, v2, vcc
	v_ashrrev_i32_e32 v3, 31, v2
	v_lshl_add_u64 v[4:5], v[2:3], 2, s[8:9]
	v_or_b32_e32 v2, 16, v1
	v_add_u32_e32 v3, v2, v6
	v_ashrrev_i32_e32 v3, 5, v3
	v_cmp_gt_i32_e32 vcc, s29, v2
	s_nop 1
	v_cndmask_b32_e32 v2, v7, v3, vcc
	v_ashrrev_i32_e32 v3, 31, v2
	v_lshl_add_u64 v[8:9], v[2:3], 2, s[8:9]
	v_or_b32_e32 v2, 32, v1
	v_add_u32_e32 v3, v2, v6
	v_ashrrev_i32_e32 v3, 5, v3
	v_cmp_gt_i32_e32 vcc, s29, v2
	v_or_b32_e32 v1, 48, v1
	s_nop 0
	v_cndmask_b32_e32 v2, v7, v3, vcc
	v_ashrrev_i32_e32 v3, 31, v2
	v_lshl_add_u64 v[12:13], v[2:3], 2, s[8:9]
	v_add_u32_e32 v2, v1, v6
	v_ashrrev_i32_e32 v2, 5, v2
	v_cmp_gt_i32_e32 vcc, s29, v1
	s_nop 1
	v_cndmask_b32_e32 v2, v7, v2, vcc
	v_ashrrev_i32_e32 v3, 31, v2
	v_lshl_add_u64 v[16:17], v[2:3], 2, s[8:9]
	global_load_dword v2, v[4:5], off
	global_load_dword v6, v[8:9], off
	;; [unrolled: 1-line block ×4, first 2 shown]
	s_andn2_b64 vcc, exec, s[10:11]
	s_cbranch_vccnz .LBB502_8
; %bb.6:
	s_add_u32 s6, s6, s12
	s_addc_u32 s7, s7, s13
	s_load_dword s5, s[6:7], 0x0
	s_branch .LBB502_9
.LBB502_7:
	s_mov_b64 s[12:13], 0
	s_branch .LBB502_2
.LBB502_8:
	s_mov_b32 s5, s2
.LBB502_9:
	s_load_dwordx2 s[10:11], s[0:1], 0x8
	s_load_dwordx4 s[44:47], s[0:1], 0x48
	v_lshrrev_b32_e32 v1, 6, v0
	v_bfe_u32 v54, v0, 4, 2
	v_lshl_or_b32 v3, v1, 2, v54
	v_and_b32_e32 v44, 15, v0
	v_cmp_lt_u32_e32 vcc, 6, v3
	v_cmp_lt_u32_e64 s[6:7], 7, v44
	v_lshlrev_b32_e32 v42, 3, v44
	v_cmp_gt_u32_e64 s[30:31], 8, v44
	s_or_b64 s[6:7], s[6:7], vcc
	s_and_saveexec_b64 s[12:13], s[6:7]
	s_xor_b64 s[6:7], exec, s[12:13]
; %bb.10:
	v_mov_b32_e32 v43, 0
                                        ; implicit-def: $vgpr3
; %bb.11:
	s_or_saveexec_b64 s[12:13], s[6:7]
	s_load_dwordx2 s[6:7], s[0:1], 0x10
	s_mul_i32 s42, s4, 7
	s_xor_b64 exec, exec, s[12:13]
	s_cbranch_execz .LBB502_13
; %bb.12:
	s_load_dwordx2 s[16:17], s[0:1], 0x0
	s_waitcnt lgkmcnt(0)
	s_ashr_i32 s18, s44, 31
	s_mul_hi_u32 s19, s5, s44
	s_mul_i32 s18, s5, s18
	s_add_i32 s19, s19, s18
	s_mul_i32 s18, s5, s44
	s_lshl_b64 s[18:19], s[18:19], 1
	s_add_u32 s16, s16, s18
	v_add_lshl_u32 v4, v3, s42, 6
	s_addc_u32 s17, s17, s19
	v_ashrrev_i32_e32 v5, 31, v4
	v_mov_b32_e32 v43, 0
	v_lshl_add_u64 v[4:5], v[4:5], 1, s[16:17]
	v_lshlrev_b32_e32 v8, 1, v42
	v_mov_b32_e32 v9, v43
	v_lshl_add_u64 v[4:5], v[4:5], 0, v[8:9]
	global_load_dwordx4 v[16:19], v[4:5], off
	v_and_b32_e32 v4, 3, v0
	v_lshlrev_b32_e32 v5, 9, v44
	v_lshlrev_b32_e32 v3, 5, v3
	;; [unrolled: 1-line block ×3, first 2 shown]
	v_and_b32_e32 v5, 0x1800, v5
	v_or3_b32 v3, v5, v4, v3
	s_waitcnt vmcnt(0)
	ds_write_b128 v3, v[16:19]
.LBB502_13:
	s_or_b64 exec, exec, s[12:13]
	s_waitcnt lgkmcnt(0)
	s_mul_i32 s4, s4, s46
	s_mov_b32 s5, 0
	s_lshl_b64 s[4:5], s[4:5], 1
	s_add_u32 s10, s10, s4
	s_addc_u32 s11, s11, s5
	s_waitcnt vmcnt(3)
	v_mad_i64_i32 v[2:3], s[12:13], v2, s45, 0
	v_lshl_add_u64 v[2:3], v[2:3], 1, s[10:11]
	v_lshlrev_b64 v[12:13], 1, v[42:43]
	v_lshlrev_b32_e32 v46, 9, v54
	v_lshl_add_u64 v[2:3], v[2:3], 0, v[12:13]
	v_mov_b32_e32 v47, 0
	v_lshl_add_u64 v[8:9], v[2:3], 0, v[46:47]
	s_barrier
	global_load_dwordx4 v[22:25], v[8:9], off
	global_load_dwordx4 v[2:5], v[8:9], off offset:2048
	s_waitcnt vmcnt(4)
	v_mad_i64_i32 v[6:7], s[12:13], v6, s45, 0
	v_mov_b32_e32 v8, 0x100
	v_lshl_add_u64 v[6:7], v[6:7], 1, s[10:11]
	v_lshl_or_b32 v16, v44, 4, v8
	v_mov_b32_e32 v17, v47
	s_waitcnt vmcnt(3)
	v_mad_i64_i32 v[10:11], s[12:13], v10, s45, 0
	v_lshl_add_u64 v[6:7], v[6:7], 0, v[16:17]
	v_lshl_add_u64 v[10:11], v[10:11], 1, s[10:11]
	s_waitcnt vmcnt(2)
	v_mad_i64_i32 v[14:15], s[12:13], v14, s45, 0
	v_lshl_add_u64 v[18:19], v[6:7], 0, v[46:47]
	v_lshl_add_u64 v[10:11], v[10:11], 0, v[12:13]
	;; [unrolled: 1-line block ×3, first 2 shown]
	global_load_dwordx4 v[26:29], v[18:19], off
	global_load_dwordx4 v[6:9], v[18:19], off offset:2048
	v_lshl_add_u64 v[18:19], v[10:11], 0, v[46:47]
	v_lshl_add_u64 v[14:15], v[14:15], 0, v[16:17]
	global_load_dwordx4 v[30:33], v[18:19], off
	global_load_dwordx4 v[10:13], v[18:19], off offset:2048
	v_lshl_add_u64 v[18:19], v[14:15], 0, v[46:47]
	global_load_dwordx4 v[34:37], v[18:19], off
	global_load_dwordx4 v[14:17], v[18:19], off offset:2048
	v_mul_lo_u16_e32 v18, 37, v44
	v_mov_b32_e32 v19, 7
	v_mul_lo_u16_sdwa v18, v18, v19 dst_sel:DWORD dst_unused:UNUSED_PAD src0_sel:BYTE_1 src1_sel:DWORD
	v_sub_u16_e32 v18, v44, v18
	v_and_b32_e32 v18, 0xff, v18
	v_lshl_add_u32 v18, v18, 5, v46
	ds_read_b128 v[38:41], v18
	ds_read_b128 v[18:21], v18 offset:2048
	v_and_b32_e32 v45, 63, v0
	v_cmp_gt_u32_e32 vcc, 7, v44
	v_mov_b32_e32 v50, 0
	s_and_saveexec_b64 s[10:11], vcc
	s_cbranch_execz .LBB502_15
; %bb.14:
	s_load_dwordx2 s[12:13], s[0:1], 0x40
	v_add_u32_e32 v48, s42, v44
	v_ashrrev_i32_e32 v49, 31, v48
	s_waitcnt lgkmcnt(0)
	v_lshl_add_u64 v[48:49], v[48:49], 2, s[12:13]
	global_load_dword v50, v[48:49], off
.LBB502_15:
	s_or_b64 exec, exec, s[10:11]
	s_ashr_i32 s10, s14, 31
	v_and_or_b32 v46, v0, 48, s14
	s_lshr_b32 s11, s10, 27
	v_add_u32_e32 v48, s11, v46
	v_or_b32_e32 v52, 64, v46
	v_ashrrev_i32_e32 v48, 5, v48
	v_mov_b32_e32 v51, s15
	v_cmp_gt_i32_e32 vcc, s29, v46
	v_add_u32_e32 v53, s11, v52
	s_waitcnt vmcnt(7) lgkmcnt(1)
	v_mfma_f32_16x16x16_bf16 v[56:59], v[22:23], v[38:39], 0
	v_cndmask_b32_e32 v48, v51, v48, vcc
	v_ashrrev_i32_e32 v22, 5, v53
	v_cmp_gt_i32_e32 vcc, s29, v52
	v_ashrrev_i32_e32 v49, 31, v48
	v_lshl_add_u64 v[48:49], v[48:49], 2, s[8:9]
	v_cndmask_b32_e32 v22, v51, v22, vcc
	v_ashrrev_i32_e32 v23, 31, v22
	v_lshl_add_u64 v[22:23], v[22:23], 2, s[8:9]
	global_load_dword v55, v[48:49], off
	global_load_dword v72, v[22:23], off
	s_waitcnt vmcnt(3)
	v_mfma_f32_16x16x16_bf16 v[68:71], v[34:35], v[38:39], 0
	v_or_b32_e32 v48, 0xc0, v46
	v_add_u32_e32 v52, s11, v48
	s_add_u32 s4, s6, s4
	v_mfma_f32_16x16x16_bf16 v[60:63], v[26:27], v[38:39], 0
	s_addc_u32 s5, s7, s5
	s_load_dword s10, s[0:1], 0x1c
	s_mov_b32 s33, 0xff7fffff
	v_mfma_f32_16x16x16_bf16 v[64:67], v[30:31], v[38:39], 0
	v_and_b32_e32 v31, 0xc0, v0
	v_or_b32_e32 v38, 0x80, v46
	v_add_u32_e32 v34, s14, v31
	v_mfma_f32_16x16x16_bf16 v[22:25], v[24:25], v[40:41], v[56:59]
	v_and_b32_e32 v30, 16, v0
	v_add_u32_e32 v49, s11, v38
	v_lshlrev_b32_e32 v46, 1, v30
	v_lshl_or_b32 v56, v54, 2, v34
	v_mfma_f32_16x16x16_bf16 v[34:37], v[36:37], v[40:41], v[68:71]
	v_cmp_gt_i32_e32 vcc, s29, v38
	v_lshlrev_b32_e32 v39, 6, v44
	v_or_b32_e32 v57, 1, v56
	v_mfma_f32_16x16x16_bf16 v[26:29], v[28:29], v[40:41], v[60:63]
	v_cmp_gt_i32_e64 s[34:35], s29, v57
	v_mfma_f32_16x16x16_bf16 v[30:33], v[32:33], v[40:41], v[64:67]
	v_ashrrev_i32_e32 v40, 5, v49
	v_ashrrev_i32_e32 v41, 5, v52
	v_cndmask_b32_e32 v38, v51, v40, vcc
	v_cmp_gt_i32_e32 vcc, s29, v48
	s_waitcnt lgkmcnt(0)
	v_mfma_f32_16x16x16_bf16 v[22:25], v[2:3], v[18:19], v[22:25]
	v_lshl_add_u64 v[2:3], s[4:5], 0, v[46:47]
	v_cndmask_b32_e32 v40, v51, v41, vcc
	v_lshl_or_b32 v46, v1, 10, v39
	v_ashrrev_i32_e32 v39, 31, v38
	v_ashrrev_i32_e32 v41, 31, v40
	s_waitcnt vmcnt(2)
	v_mfma_f32_16x16x16_bf16 v[34:37], v[14:15], v[18:19], v[34:37]
	v_lshl_add_u64 v[14:15], v[38:39], 2, s[8:9]
	v_subrev_u32_e32 v51, s29, v57
	v_cvt_f32_i32_e32 v58, v51
	v_mfma_f32_16x16x16_bf16 v[26:29], v[6:7], v[18:19], v[26:29]
	v_mfma_f32_16x16x16_bf16 v[30:33], v[10:11], v[18:19], v[30:33]
	v_lshl_add_u64 v[18:19], v[40:41], 2, s[8:9]
	global_load_dword v59, v[14:15], off
	global_load_dword v60, v[18:19], off
	v_lshl_add_u64 v[10:11], v[2:3], 0, v[46:47]
	v_mfma_f32_16x16x16_bf16 v[2:5], v[4:5], v[20:21], v[22:25]
	v_add_u32_e32 v46, 1, v51
	v_add_u32_e32 v47, 3, v51
	;; [unrolled: 1-line block ×3, first 2 shown]
	v_mfma_f32_16x16x16_bf16 v[14:17], v[16:17], v[20:21], v[34:37]
	v_add_u32_e32 v22, 2, v51
	s_nop 1
	v_pk_mul_f32 v[52:53], s[10:11], v[4:5] op_sel_hi:[0,1]
	v_cvt_f32_i32_e32 v18, v18
	v_mfma_f32_16x16x16_bf16 v[6:9], v[8:9], v[20:21], v[26:29]
	v_add_u32_e32 v19, 19, v51
	v_pk_mul_f32 v[34:35], s[10:11], v[16:17] op_sel_hi:[0,1]
	v_pk_mul_f32 v[36:37], s[10:11], v[14:15] op_sel_hi:[0,1]
	v_cvt_f32_i32_e32 v27, v22
	v_mfma_f32_16x16x16_bf16 v[22:25], v[12:13], v[20:21], v[30:33]
	v_pk_mul_f32 v[12:13], s[10:11], v[2:3] op_sel_hi:[0,1]
	v_cvt_f32_i32_e32 v26, v46
	v_cvt_f32_i32_e32 v28, v47
	v_pk_mul_f32 v[46:47], s[10:11], v[8:9] op_sel_hi:[0,1]
	v_pk_mul_f32 v[48:49], s[10:11], v[6:7] op_sel_hi:[0,1]
	v_cvt_f32_i32_e32 v19, v19
	v_fma_f32 v46, v50, v18, v46
	v_add_u32_e32 v18, 34, v51
	v_cvt_f32_i32_e32 v18, v18
	v_fmac_f32_e32 v47, v50, v19
	v_add_u32_e32 v19, 35, v51
	v_cvt_f32_i32_e32 v19, v19
	v_pk_mul_f32 v[40:41], s[10:11], v[22:23] op_sel_hi:[0,1]
	v_pk_mul_f32 v[38:39], s[10:11], v[24:25] op_sel_hi:[0,1]
	v_fma_f32 v38, v50, v18, v38
	v_add_u32_e32 v18, 50, v51
	s_waitcnt vmcnt(3)
	v_mad_i64_i32 v[2:3], s[4:5], v55, s45, 0
	s_waitcnt vmcnt(2)
	v_mad_i64_i32 v[4:5], s[4:5], v72, s45, 0
	v_lshl_add_u64 v[16:17], v[2:3], 1, v[10:11]
	v_lshl_add_u64 v[14:15], v[4:5], 1, v[10:11]
	global_load_dwordx4 v[6:9], v[16:17], off
	global_load_dwordx4 v[2:5], v[16:17], off offset:16
	v_add_u32_e32 v16, 16, v51
	v_cvt_f32_i32_e32 v16, v16
	v_add_u32_e32 v17, 17, v51
	v_cvt_f32_i32_e32 v17, v17
	v_fmac_f32_e32 v39, v50, v19
	v_fma_f32 v48, v50, v16, v48
	v_add_u32_e32 v16, 32, v51
	v_fmac_f32_e32 v49, v50, v17
	v_cvt_f32_i32_e32 v16, v16
	v_add_u32_e32 v17, 33, v51
	v_cvt_f32_i32_e32 v17, v17
	v_cvt_f32_i32_e32 v18, v18
	v_fma_f32 v40, v50, v16, v40
	v_add_u32_e32 v16, 48, v51
	v_fmac_f32_e32 v41, v50, v17
	v_cvt_f32_i32_e32 v16, v16
	v_add_u32_e32 v17, 49, v51
	v_cvt_f32_i32_e32 v17, v17
	v_add_u32_e32 v19, 51, v51
	v_cvt_f32_i32_e32 v19, v19
	v_fma_f32 v12, v50, v58, v12
	v_fmac_f32_e32 v13, v50, v26
	v_fma_f32 v36, v50, v16, v36
	v_mov_b32_e32 v16, 0xff7fffff
	v_cmp_gt_i32_e64 s[4:5], s29, v56
	v_fmac_f32_e32 v37, v50, v17
	v_fma_f32 v34, v50, v18, v34
	v_cndmask_b32_e64 v17, v16, v12, s[4:5]
	v_cndmask_b32_e64 v18, v16, v13, s[34:35]
	v_fmac_f32_e32 v35, v50, v19
	v_max3_f32 v17, v17, s33, v18
	v_or_b32_e32 v18, 2, v56
	v_or_b32_e32 v19, 3, v56
	v_fma_f32 v52, v50, v27, v52
	v_fmac_f32_e32 v53, v50, v28
	v_cmp_gt_i32_e64 s[36:37], s29, v18
	v_cmp_gt_i32_e64 s[38:39], s29, v19
	global_load_dwordx4 v[30:33], v[14:15], off
	global_load_dwordx4 v[26:29], v[14:15], off offset:16
	v_cndmask_b32_e64 v18, v16, v52, s[36:37]
	v_cndmask_b32_e64 v19, v16, v53, s[38:39]
	v_max3_f32 v17, v17, v18, v19
	v_or_b32_e32 v18, 16, v56
	v_or_b32_e32 v19, 17, v56
	v_cmp_gt_i32_e64 s[24:25], s29, v18
	v_cmp_gt_i32_e64 s[26:27], s29, v19
	s_nop 0
	v_cndmask_b32_e64 v18, v16, v48, s[24:25]
	v_cndmask_b32_e64 v19, v16, v49, s[26:27]
	v_max3_f32 v17, v17, v18, v19
	v_or_b32_e32 v18, 18, v56
	v_or_b32_e32 v19, 19, v56
	v_cmp_gt_i32_e64 s[20:21], s29, v18
	v_cmp_gt_i32_e64 s[22:23], s29, v19
	s_nop 0
	;; [unrolled: 8-line block ×5, first 2 shown]
	v_cndmask_b32_e64 v18, v16, v36, s[8:9]
	v_cndmask_b32_e64 v19, v16, v37, s[10:11]
	v_max3_f32 v17, v17, v18, v19
	v_or_b32_e32 v18, 50, v56
	v_or_b32_e32 v19, 51, v56
	v_cmp_gt_i32_e32 vcc, s29, v18
	v_cmp_gt_i32_e64 s[6:7], s29, v19
	s_nop 0
	v_cndmask_b32_e32 v18, v16, v34, vcc
	v_cndmask_b32_e64 v16, v16, v35, s[6:7]
	v_max3_f32 v16, v17, v18, v16
	v_mbcnt_lo_u32_b32 v17, -1, 0
	v_mbcnt_hi_u32_b32 v17, -1, v17
	v_and_b32_e32 v18, 64, v17
	v_add_u32_e32 v18, 64, v18
	v_xor_b32_e32 v19, 32, v17
	v_cmp_lt_i32_e64 s[40:41], v19, v18
	s_nop 1
	v_cndmask_b32_e64 v19, v17, v19, s[40:41]
	v_lshlrev_b32_e32 v56, 2, v19
	ds_bpermute_b32 v19, v56, v16
	s_waitcnt vmcnt(5)
	v_mad_i64_i32 v[14:15], s[40:41], v59, s45, 0
	v_lshl_add_u64 v[14:15], v[14:15], 1, v[10:11]
	s_waitcnt lgkmcnt(0)
	v_max_f32_e32 v19, v19, v19
	v_max_f32_e32 v16, v16, v19
	v_xor_b32_e32 v19, 16, v17
	v_cmp_lt_i32_e64 s[40:41], v19, v18
	s_nop 1
	v_cndmask_b32_e64 v17, v17, v19, s[40:41]
	v_lshlrev_b32_e32 v57, 2, v17
	ds_bpermute_b32 v17, v57, v16
	global_load_dwordx4 v[22:25], v[14:15], off
	global_load_dwordx4 v[18:21], v[14:15], off offset:16
	s_waitcnt vmcnt(6)
	v_mad_i64_i32 v[14:15], s[40:41], v60, s45, 0
	v_lshl_add_u64 v[10:11], v[14:15], 1, v[10:11]
	s_waitcnt lgkmcnt(0)
	v_max_f32_e32 v14, v17, v17
	v_max_f32_e32 v55, v16, v14
	v_sub_f32_e32 v12, v12, v55
	v_mul_f32_e32 v12, 0x3fb8aa3b, v12
	v_exp_f32_e32 v50, v12
	v_sub_f32_e32 v12, v13, v55
	v_mul_f32_e32 v12, 0x3fb8aa3b, v12
	v_exp_f32_e32 v51, v12
	global_load_dwordx4 v[14:17], v[10:11], off
	s_nop 0
	global_load_dwordx4 v[10:13], v[10:11], off offset:16
	v_sub_f32_e32 v52, v52, v55
	v_mul_f32_e32 v52, 0x3fb8aa3b, v52
	v_sub_f32_e32 v53, v53, v55
	v_exp_f32_e32 v52, v52
	v_mul_f32_e32 v53, 0x3fb8aa3b, v53
	v_sub_f32_e32 v48, v48, v55
	v_exp_f32_e32 v53, v53
	v_mul_f32_e32 v48, 0x3fb8aa3b, v48
	v_sub_f32_e32 v49, v49, v55
	v_cndmask_b32_e64 v50, 0, v50, s[4:5]
	v_exp_f32_e32 v48, v48
	v_mul_f32_e32 v49, 0x3fb8aa3b, v49
	v_sub_f32_e32 v46, v46, v55
	v_add_f32_e32 v58, 0, v50
	v_cndmask_b32_e64 v51, 0, v51, s[34:35]
	v_exp_f32_e32 v49, v49
	v_mul_f32_e32 v46, 0x3fb8aa3b, v46
	v_sub_f32_e32 v47, v47, v55
	v_add_f32_e32 v58, v58, v51
	v_cndmask_b32_e64 v52, 0, v52, s[36:37]
	v_exp_f32_e32 v46, v46
	v_mul_f32_e32 v47, 0x3fb8aa3b, v47
	v_sub_f32_e32 v40, v40, v55
	v_add_f32_e32 v58, v58, v52
	v_cndmask_b32_e64 v53, 0, v53, s[38:39]
	v_exp_f32_e32 v47, v47
	v_mul_f32_e32 v40, 0x3fb8aa3b, v40
	v_sub_f32_e32 v41, v41, v55
	v_add_f32_e32 v58, v58, v53
	v_cndmask_b32_e64 v48, 0, v48, s[24:25]
	v_exp_f32_e32 v40, v40
	v_mul_f32_e32 v41, 0x3fb8aa3b, v41
	v_sub_f32_e32 v38, v38, v55
	v_add_f32_e32 v58, v58, v48
	v_cndmask_b32_e64 v49, 0, v49, s[26:27]
	v_exp_f32_e32 v41, v41
	v_mul_f32_e32 v38, 0x3fb8aa3b, v38
	v_sub_f32_e32 v39, v39, v55
	v_add_f32_e32 v58, v58, v49
	v_cndmask_b32_e64 v46, 0, v46, s[20:21]
	v_exp_f32_e32 v38, v38
	v_mul_f32_e32 v39, 0x3fb8aa3b, v39
	v_sub_f32_e32 v36, v36, v55
	v_add_f32_e32 v58, v58, v46
	v_cndmask_b32_e64 v47, 0, v47, s[22:23]
	v_exp_f32_e32 v39, v39
	v_mul_f32_e32 v36, 0x3fb8aa3b, v36
	v_sub_f32_e32 v37, v37, v55
	v_add_f32_e32 v58, v58, v47
	v_cndmask_b32_e64 v40, 0, v40, s[16:17]
	v_exp_f32_e32 v36, v36
	v_mul_f32_e32 v37, 0x3fb8aa3b, v37
	v_sub_f32_e32 v34, v34, v55
	v_add_f32_e32 v58, v58, v40
	v_cndmask_b32_e64 v41, 0, v41, s[18:19]
	v_exp_f32_e32 v37, v37
	v_mul_f32_e32 v34, 0x3fb8aa3b, v34
	v_sub_f32_e32 v35, v35, v55
	v_add_f32_e32 v58, v58, v41
	v_cndmask_b32_e64 v38, 0, v38, s[12:13]
	v_exp_f32_e32 v34, v34
	v_mul_f32_e32 v35, 0x3fb8aa3b, v35
	v_add_f32_e32 v58, v58, v38
	v_cndmask_b32_e64 v39, 0, v39, s[14:15]
	v_exp_f32_e32 v35, v35
	v_add_f32_e32 v58, v58, v39
	v_cndmask_b32_e64 v36, 0, v36, s[8:9]
	v_add_f32_e32 v58, v58, v36
	v_cndmask_b32_e64 v37, 0, v37, s[10:11]
	v_add_f32_e32 v58, v58, v37
	v_cndmask_b32_e32 v34, 0, v34, vcc
	v_add_f32_e32 v58, v58, v34
	v_cndmask_b32_e64 v35, 0, v35, s[6:7]
	v_add_f32_e32 v58, v58, v35
	ds_bpermute_b32 v56, v56, v58
	s_load_dword s7, s[0:1], 0x98
	v_cmp_gt_u32_e32 vcc, 16, v45
	v_lshlrev_b32_e32 v45, 2, v44
	s_waitcnt lgkmcnt(0)
	v_add_f32_e32 v56, v58, v56
	ds_bpermute_b32 v57, v57, v56
	s_barrier
	s_waitcnt lgkmcnt(0)
	s_and_saveexec_b64 s[4:5], vcc
	s_cbranch_execz .LBB502_17
; %bb.16:
	v_add_f32_e32 v56, v56, v57
	v_lshl_or_b32 v57, v1, 6, v45
	ds_write2st64_b32 v57, v55, v56 offset1:1
.LBB502_17:
	s_or_b64 exec, exec, s[4:5]
	s_load_dword s6, s[0:1], 0x94
	s_waitcnt lgkmcnt(0)
	s_barrier
	ds_read2_b32 v[56:57], v45 offset1:16
	ds_read2_b32 v[58:59], v45 offset0:32 offset1:48
	ds_read2_b32 v[60:61], v45 offset0:64 offset1:80
	ds_read2_b32 v[62:63], v45 offset0:96 offset1:112
	s_movk_i32 s8, 0x7fff
	s_waitcnt lgkmcnt(3)
	v_max3_f32 v55, v56, s33, v57
	s_waitcnt lgkmcnt(2)
	v_max3_f32 v55, v55, v58, v59
	v_sub_f32_e32 v56, v56, v55
	v_mul_f32_e32 v56, 0x3fb8aa3b, v56
	v_exp_f32_e32 v64, v56
	v_sub_f32_e32 v56, v57, v55
	v_mul_f32_e32 v56, 0x3fb8aa3b, v56
	v_exp_f32_e32 v57, v56
	v_sub_f32_e32 v56, v58, v55
	v_mul_f32_e32 v56, 0x3fb8aa3b, v56
	v_sub_f32_e32 v45, v59, v55
	v_exp_f32_e32 v58, v56
	v_mul_f32_e32 v45, 0x3fb8aa3b, v45
	v_exp_f32_e32 v45, v45
	s_waitcnt lgkmcnt(1)
	v_fma_f32 v56, v64, v60, 0
	v_fmac_f32_e32 v56, v57, v61
	s_waitcnt lgkmcnt(0)
	v_fmac_f32_e32 v56, v58, v62
	v_fmac_f32_e32 v56, v45, v63
	v_add_f32_e32 v59, 0x358637bd, v56
	v_div_scale_f32 v60, s[4:5], v59, v59, 1.0
	v_rcp_f32_e32 v61, v60
	s_mov_b32 s9, 0x7060302
	s_mul_i32 s7, s7, 7
	v_fma_f32 v62, -v60, v61, 1.0
	v_fmac_f32_e32 v61, v62, v61
	v_div_scale_f32 v62, vcc, 1.0, v59, 1.0
	v_mul_f32_e32 v63, v62, v61
	v_fma_f32 v65, -v60, v63, v62
	v_fmac_f32_e32 v63, v65, v61
	v_fma_f32 v60, -v60, v63, v62
	v_div_fmas_f32 v60, v60, v61, v63
	v_cmp_eq_u32_e32 vcc, 1, v1
	v_div_fixup_f32 v59, v60, v59, 1.0
	s_barrier
	v_cndmask_b32_e32 v57, v64, v57, vcc
	v_cmp_eq_u32_e32 vcc, 2, v1
	s_nop 1
	v_cndmask_b32_e32 v57, v57, v58, vcc
	v_cmp_eq_u32_e32 vcc, 3, v1
	v_lshlrev_b32_e32 v1, 11, v1
	s_nop 0
	v_cndmask_b32_e32 v45, v57, v45, vcc
	v_mul_f32_e32 v58, v45, v59
	v_pk_mul_f32 v[50:51], v[58:59], v[50:51] op_sel_hi:[0,1]
	v_bfe_u32 v45, v51, 16, 1
	v_bfe_u32 v57, v50, 16, 1
	v_pk_mul_f32 v[52:53], v[58:59], v[52:53] op_sel_hi:[0,1]
	v_add3_u32 v50, v50, v57, s8
	v_add3_u32 v45, v51, v45, s8
	v_perm_b32 v60, v45, v50, s9
	v_bfe_u32 v45, v53, 16, 1
	v_bfe_u32 v50, v52, 16, 1
	v_add3_u32 v50, v52, v50, s8
	v_add3_u32 v45, v53, v45, s8
	v_perm_b32 v61, v45, v50, s9
	v_lshlrev_b32_e32 v45, 3, v54
	v_lshlrev_b32_e32 v50, 5, v44
	v_pk_mul_f32 v[48:49], v[58:59], v[48:49] op_sel_hi:[0,1]
	v_or3_b32 v1, v1, v50, v45
	v_bfe_u32 v45, v49, 16, 1
	v_bfe_u32 v51, v48, 16, 1
	v_pk_mul_f32 v[46:47], v[58:59], v[46:47] op_sel_hi:[0,1]
	v_add3_u32 v48, v48, v51, s8
	v_add3_u32 v45, v49, v45, s8
	v_perm_b32 v48, v45, v48, s9
	v_bfe_u32 v45, v47, 16, 1
	v_bfe_u32 v49, v46, 16, 1
	v_add3_u32 v46, v46, v49, s8
	v_add3_u32 v45, v47, v45, s8
	v_pk_mul_f32 v[40:41], v[58:59], v[40:41] op_sel_hi:[0,1]
	v_perm_b32 v49, v45, v46, s9
	v_bfe_u32 v45, v41, 16, 1
	v_bfe_u32 v46, v40, 16, 1
	v_pk_mul_f32 v[38:39], v[58:59], v[38:39] op_sel_hi:[0,1]
	v_add3_u32 v40, v40, v46, s8
	v_add3_u32 v41, v41, v45, s8
	v_perm_b32 v40, v41, v40, s9
	v_bfe_u32 v41, v39, 16, 1
	v_bfe_u32 v45, v38, 16, 1
	v_add3_u32 v38, v38, v45, s8
	v_add3_u32 v39, v39, v41, s8
	v_pk_mul_f32 v[36:37], v[58:59], v[36:37] op_sel_hi:[0,1]
	v_perm_b32 v41, v39, v38, s9
	v_bfe_u32 v38, v37, 16, 1
	v_bfe_u32 v39, v36, 16, 1
	v_pk_mul_f32 v[34:35], v[58:59], v[34:35] op_sel_hi:[0,1]
	v_add3_u32 v36, v36, v39, s8
	v_add3_u32 v37, v37, v38, s8
	v_perm_b32 v36, v37, v36, s9
	v_bfe_u32 v37, v35, 16, 1
	v_bfe_u32 v38, v34, 16, 1
	v_add3_u32 v34, v34, v38, s8
	v_add3_u32 v35, v35, v37, s8
	v_perm_b32 v37, v35, v34, s9
	v_cmp_gt_u32_e32 vcc, 7, v0
	ds_write2st64_b64 v1, v[60:61], v[48:49] offset1:1
	ds_write2st64_b64 v1, v[40:41], v[36:37] offset0:2 offset1:3
	s_and_saveexec_b64 s[4:5], vcc
	s_cbranch_execz .LBB502_19
; %bb.18:
	s_mov_b32 s43, 0
	v_mov_b32_e32 v45, 0
	v_lshl_add_u64 v[34:35], s[42:43], 0, v[44:45]
	v_mov_b32_e32 v36, s7
	v_mad_u64_u32 v[34:35], s[10:11], s2, v36, v[34:35]
	s_mul_i32 s3, s3, s7
	v_mov_b32_e32 v44, s28
	s_load_dwordx4 s[12:15], s[0:1], 0x58
	v_add_u32_e32 v37, s3, v35
	v_mad_u64_u32 v[34:35], s[10:11], v34, s6, v[44:45]
	v_mov_b32_e32 v36, v35
	v_mad_u64_u32 v[36:37], s[10:11], v37, s6, v[36:37]
	v_mov_b32_e32 v35, v36
	v_lshlrev_b64 v[34:35], 2, v[34:35]
	s_waitcnt lgkmcnt(0)
	v_lshl_add_u64 v[36:37], s[14:15], 0, v[34:35]
	v_lshl_add_u64 v[34:35], s[12:13], 0, v[34:35]
	global_store_dword v[36:37], v55, off
	global_store_dword v[34:35], v56, off
.LBB502_19:
	s_or_b64 exec, exec, s[4:5]
	v_lshl_or_b32 v48, v54, 9, v50
	s_waitcnt lgkmcnt(0)
	s_barrier
	ds_read_b128 v[34:37], v48
	ds_read_b128 v[38:41], v48 offset:16
	s_waitcnt vmcnt(7) lgkmcnt(1)
	v_mfma_f32_16x16x16_bf16 v[44:47], v[6:7], v[34:35], 0
	v_cmp_gt_u32_e32 vcc, 64, v0
	s_mov_b32 s3, 0
	s_and_b64 s[4:5], vcc, s[30:31]
	v_mfma_f32_16x16x16_bf16 v[6:9], v[8:9], v[36:37], v[44:47]
	s_waitcnt vmcnt(6) lgkmcnt(0)
	v_mfma_f32_16x16x16_bf16 v[6:9], v[2:3], v[38:39], v[6:9]
	v_mfma_f32_16x16x16_bf16 v[2:5], v[4:5], v[40:41], v[6:9]
	s_nop 5
	ds_read_b128 v[6:9], v48 offset:2048
	ds_read_b128 v[34:37], v48 offset:2064
	s_waitcnt vmcnt(5) lgkmcnt(1)
	v_mfma_f32_16x16x16_bf16 v[2:5], v[30:31], v[6:7], v[2:5]
	v_mfma_f32_16x16x16_bf16 v[2:5], v[32:33], v[8:9], v[2:5]
	s_waitcnt vmcnt(4) lgkmcnt(0)
	v_mfma_f32_16x16x16_bf16 v[2:5], v[26:27], v[34:35], v[2:5]
	v_mfma_f32_16x16x16_bf16 v[2:5], v[28:29], v[36:37], v[2:5]
	ds_read_b128 v[6:9], v48 offset:4096
	ds_read_b128 v[26:29], v48 offset:4112
	s_waitcnt vmcnt(3) lgkmcnt(1)
	v_mfma_f32_16x16x16_bf16 v[2:5], v[22:23], v[6:7], v[2:5]
	v_mfma_f32_16x16x16_bf16 v[2:5], v[24:25], v[8:9], v[2:5]
	s_waitcnt vmcnt(2) lgkmcnt(0)
	v_mfma_f32_16x16x16_bf16 v[2:5], v[18:19], v[26:27], v[2:5]
	v_mfma_f32_16x16x16_bf16 v[2:5], v[20:21], v[28:29], v[2:5]
	ds_read_b128 v[6:9], v48 offset:6144
	ds_read_b128 v[18:21], v48 offset:6160
	s_waitcnt lgkmcnt(0)
	s_barrier
	s_waitcnt vmcnt(1)
	v_mfma_f32_16x16x16_bf16 v[2:5], v[14:15], v[6:7], v[2:5]
	v_mfma_f32_16x16x16_bf16 v[2:5], v[16:17], v[8:9], v[2:5]
	s_waitcnt vmcnt(0)
	v_mfma_f32_16x16x16_bf16 v[2:5], v[10:11], v[18:19], v[2:5]
	v_mfma_f32_16x16x16_bf16 v[2:5], v[12:13], v[20:21], v[2:5]
	s_nop 6
	v_bfe_u32 v6, v3, 16, 1
	v_bfe_u32 v7, v2, 16, 1
	;; [unrolled: 1-line block ×4, first 2 shown]
	v_add3_u32 v2, v2, v7, s8
	v_add3_u32 v3, v3, v6, s8
	;; [unrolled: 1-line block ×4, first 2 shown]
	v_perm_b32 v2, v3, v2, s9
	v_perm_b32 v3, v5, v4, s9
	ds_write_b64 v1, v[2:3]
	s_waitcnt lgkmcnt(0)
	s_barrier
	s_and_saveexec_b64 s[8:9], s[4:5]
	s_cbranch_execz .LBB502_22
; %bb.20:
	s_load_dwordx2 s[4:5], s[0:1], 0x68
	s_lshl_b32 s0, s6, 6
	s_mul_i32 s1, s7, s2
	s_mul_hi_u32 s7, s1, s0
	s_mul_i32 s6, s1, s0
	v_lshlrev_b32_e32 v1, 10, v0
	v_lshlrev_b32_e32 v0, 4, v0
	s_lshl_b64 s[6:7], s[6:7], 1
	v_and_b32_e32 v1, 0x1800, v1
	v_lshlrev_b32_e32 v2, 5, v54
	v_and_b32_e32 v0, 16, v0
	s_waitcnt lgkmcnt(0)
	s_add_u32 s1, s4, s6
	v_or3_b32 v2, v1, v2, v0
	s_addc_u32 s4, s5, s7
	s_lshl_b32 s2, s28, 6
	s_lshl_b64 s[2:3], s[2:3], 1
	ds_read_b128 v[4:7], v2
	s_add_u32 s2, s1, s2
	s_addc_u32 s3, s4, s3
	v_add_u32_e32 v3, s42, v54
	v_lshl_add_u64 v[0:1], v[42:43], 1, s[2:3]
	v_mad_u64_u32 v[8:9], s[2:3], v3, s0, 0
	v_lshl_add_u64 v[8:9], v[8:9], 1, v[0:1]
	v_cmp_ne_u32_e32 vcc, 3, v54
	s_waitcnt lgkmcnt(0)
	global_store_dwordx4 v[8:9], v[4:7], off
	s_and_b64 exec, exec, vcc
	s_cbranch_execz .LBB502_22
; %bb.21:
	ds_read_b128 v[2:5], v2 offset:128
	v_add3_u32 v6, s42, v54, 4
	v_mad_u64_u32 v[6:7], s[0:1], v6, s0, 0
	v_lshl_add_u64 v[0:1], v[6:7], 1, v[0:1]
	s_waitcnt lgkmcnt(0)
	global_store_dwordx4 v[0:1], v[2:5], off
.LBB502_22:
	s_endpgm
	.section	.rodata,"a",@progbits
	.p2align	6, 0x0
	.amdhsa_kernel _Z39paged_attention_ll4mi_QKV_mfma16_kernelI14__hip_bfloat16S0_LN4vllm18Fp8KVCacheDataTypeE0EhLi32ELi64ELi256ELb1ELi7EEvPKT_PKT0_S8_ifPKiSA_SA_iPKfiiiPfSD_PS3_PT2_iSC_SC_
		.amdhsa_group_segment_fixed_size 8192
		.amdhsa_private_segment_fixed_size 0
		.amdhsa_kernarg_size 400
		.amdhsa_user_sgpr_count 2
		.amdhsa_user_sgpr_dispatch_ptr 0
		.amdhsa_user_sgpr_queue_ptr 0
		.amdhsa_user_sgpr_kernarg_segment_ptr 1
		.amdhsa_user_sgpr_dispatch_id 0
		.amdhsa_user_sgpr_kernarg_preload_length 0
		.amdhsa_user_sgpr_kernarg_preload_offset 0
		.amdhsa_user_sgpr_private_segment_size 0
		.amdhsa_uses_dynamic_stack 0
		.amdhsa_enable_private_segment 0
		.amdhsa_system_sgpr_workgroup_id_x 1
		.amdhsa_system_sgpr_workgroup_id_y 1
		.amdhsa_system_sgpr_workgroup_id_z 1
		.amdhsa_system_sgpr_workgroup_info 0
		.amdhsa_system_vgpr_workitem_id 0
		.amdhsa_next_free_vgpr 73
		.amdhsa_next_free_sgpr 48
		.amdhsa_accum_offset 76
		.amdhsa_reserve_vcc 1
		.amdhsa_float_round_mode_32 0
		.amdhsa_float_round_mode_16_64 0
		.amdhsa_float_denorm_mode_32 3
		.amdhsa_float_denorm_mode_16_64 3
		.amdhsa_dx10_clamp 1
		.amdhsa_ieee_mode 1
		.amdhsa_fp16_overflow 0
		.amdhsa_tg_split 0
		.amdhsa_exception_fp_ieee_invalid_op 0
		.amdhsa_exception_fp_denorm_src 0
		.amdhsa_exception_fp_ieee_div_zero 0
		.amdhsa_exception_fp_ieee_overflow 0
		.amdhsa_exception_fp_ieee_underflow 0
		.amdhsa_exception_fp_ieee_inexact 0
		.amdhsa_exception_int_div_zero 0
	.end_amdhsa_kernel
	.section	.text._Z39paged_attention_ll4mi_QKV_mfma16_kernelI14__hip_bfloat16S0_LN4vllm18Fp8KVCacheDataTypeE0EhLi32ELi64ELi256ELb1ELi7EEvPKT_PKT0_S8_ifPKiSA_SA_iPKfiiiPfSD_PS3_PT2_iSC_SC_,"axG",@progbits,_Z39paged_attention_ll4mi_QKV_mfma16_kernelI14__hip_bfloat16S0_LN4vllm18Fp8KVCacheDataTypeE0EhLi32ELi64ELi256ELb1ELi7EEvPKT_PKT0_S8_ifPKiSA_SA_iPKfiiiPfSD_PS3_PT2_iSC_SC_,comdat
.Lfunc_end502:
	.size	_Z39paged_attention_ll4mi_QKV_mfma16_kernelI14__hip_bfloat16S0_LN4vllm18Fp8KVCacheDataTypeE0EhLi32ELi64ELi256ELb1ELi7EEvPKT_PKT0_S8_ifPKiSA_SA_iPKfiiiPfSD_PS3_PT2_iSC_SC_, .Lfunc_end502-_Z39paged_attention_ll4mi_QKV_mfma16_kernelI14__hip_bfloat16S0_LN4vllm18Fp8KVCacheDataTypeE0EhLi32ELi64ELi256ELb1ELi7EEvPKT_PKT0_S8_ifPKiSA_SA_iPKfiiiPfSD_PS3_PT2_iSC_SC_
                                        ; -- End function
	.section	.AMDGPU.csdata,"",@progbits
; Kernel info:
; codeLenInByte = 4416
; NumSgprs: 54
; NumVgprs: 73
; NumAgprs: 0
; TotalNumVgprs: 73
; ScratchSize: 0
; MemoryBound: 0
; FloatMode: 240
; IeeeMode: 1
; LDSByteSize: 8192 bytes/workgroup (compile time only)
; SGPRBlocks: 6
; VGPRBlocks: 9
; NumSGPRsForWavesPerEU: 54
; NumVGPRsForWavesPerEU: 73
; AccumOffset: 76
; Occupancy: 6
; WaveLimiterHint : 1
; COMPUTE_PGM_RSRC2:SCRATCH_EN: 0
; COMPUTE_PGM_RSRC2:USER_SGPR: 2
; COMPUTE_PGM_RSRC2:TRAP_HANDLER: 0
; COMPUTE_PGM_RSRC2:TGID_X_EN: 1
; COMPUTE_PGM_RSRC2:TGID_Y_EN: 1
; COMPUTE_PGM_RSRC2:TGID_Z_EN: 1
; COMPUTE_PGM_RSRC2:TIDIG_COMP_CNT: 0
; COMPUTE_PGM_RSRC3_GFX90A:ACCUM_OFFSET: 18
; COMPUTE_PGM_RSRC3_GFX90A:TG_SPLIT: 0
	.section	.text._Z39paged_attention_ll4mi_QKV_mfma16_kernelI14__hip_bfloat16S0_LN4vllm18Fp8KVCacheDataTypeE0EhLi32ELi64ELi256ELb1ELi8EEvPKT_PKT0_S8_ifPKiSA_SA_iPKfiiiPfSD_PS3_PT2_iSC_SC_,"axG",@progbits,_Z39paged_attention_ll4mi_QKV_mfma16_kernelI14__hip_bfloat16S0_LN4vllm18Fp8KVCacheDataTypeE0EhLi32ELi64ELi256ELb1ELi8EEvPKT_PKT0_S8_ifPKiSA_SA_iPKfiiiPfSD_PS3_PT2_iSC_SC_,comdat
	.protected	_Z39paged_attention_ll4mi_QKV_mfma16_kernelI14__hip_bfloat16S0_LN4vllm18Fp8KVCacheDataTypeE0EhLi32ELi64ELi256ELb1ELi8EEvPKT_PKT0_S8_ifPKiSA_SA_iPKfiiiPfSD_PS3_PT2_iSC_SC_ ; -- Begin function _Z39paged_attention_ll4mi_QKV_mfma16_kernelI14__hip_bfloat16S0_LN4vllm18Fp8KVCacheDataTypeE0EhLi32ELi64ELi256ELb1ELi8EEvPKT_PKT0_S8_ifPKiSA_SA_iPKfiiiPfSD_PS3_PT2_iSC_SC_
	.globl	_Z39paged_attention_ll4mi_QKV_mfma16_kernelI14__hip_bfloat16S0_LN4vllm18Fp8KVCacheDataTypeE0EhLi32ELi64ELi256ELb1ELi8EEvPKT_PKT0_S8_ifPKiSA_SA_iPKfiiiPfSD_PS3_PT2_iSC_SC_
	.p2align	8
	.type	_Z39paged_attention_ll4mi_QKV_mfma16_kernelI14__hip_bfloat16S0_LN4vllm18Fp8KVCacheDataTypeE0EhLi32ELi64ELi256ELb1ELi8EEvPKT_PKT0_S8_ifPKiSA_SA_iPKfiiiPfSD_PS3_PT2_iSC_SC_,@function
_Z39paged_attention_ll4mi_QKV_mfma16_kernelI14__hip_bfloat16S0_LN4vllm18Fp8KVCacheDataTypeE0EhLi32ELi64ELi256ELb1ELi8EEvPKT_PKT0_S8_ifPKiSA_SA_iPKfiiiPfSD_PS3_PT2_iSC_SC_: ; @_Z39paged_attention_ll4mi_QKV_mfma16_kernelI14__hip_bfloat16S0_LN4vllm18Fp8KVCacheDataTypeE0EhLi32ELi64ELi256ELb1ELi8EEvPKT_PKT0_S8_ifPKiSA_SA_iPKfiiiPfSD_PS3_PT2_iSC_SC_
; %bb.0:
	s_load_dwordx2 s[6:7], s[0:1], 0x30
	s_mov_b32 s28, s3
	s_mov_b64 s[8:9], 0
	s_waitcnt lgkmcnt(0)
	s_cmp_lg_u64 s[6:7], 0
	s_cselect_b64 s[10:11], -1, 0
	s_and_b64 vcc, exec, s[10:11]
	s_cbranch_vccz .LBB503_7
; %bb.1:
	s_add_i32 s12, s2, 1
	s_mov_b32 s13, 0
	s_lshl_b64 s[14:15], s[12:13], 2
	s_add_u32 s14, s6, s14
	s_mov_b32 s3, s13
	s_addc_u32 s15, s7, s15
	s_lshl_b64 s[12:13], s[2:3], 2
	s_add_u32 s12, s6, s12
	s_addc_u32 s13, s7, s13
	s_load_dword s5, s[14:15], 0x0
	s_load_dword s16, s[12:13], 0x0
	s_waitcnt lgkmcnt(0)
	s_sub_i32 s5, s5, s16
	s_cmp_eq_u32 s5, 1
	s_cselect_b64 s[12:13], -1, 0
	s_andn2_b64 vcc, exec, s[8:9]
	s_cbranch_vccnz .LBB503_3
.LBB503_2:
	s_mov_b32 s3, 0
	s_mov_b64 s[12:13], -1
.LBB503_3:
	s_andn2_b64 vcc, exec, s[12:13]
	s_cbranch_vccnz .LBB503_21
; %bb.4:
	s_load_dwordx2 s[8:9], s[0:1], 0x28
	s_lshl_b64 s[12:13], s[2:3], 2
	s_waitcnt lgkmcnt(0)
	s_add_u32 s8, s8, s12
	s_addc_u32 s9, s9, s13
	s_load_dword s33, s[8:9], 0x0
	s_lshl_b32 s14, s28, 8
	s_waitcnt lgkmcnt(0)
	s_cmp_ge_i32 s14, s33
	s_cbranch_scc1 .LBB503_21
; %bb.5:
	s_load_dwordx2 s[8:9], s[0:1], 0x20
	s_load_dword s5, s[0:1], 0x38
	s_add_i32 s15, s33, 31
	s_ashr_i32 s16, s15, 31
	v_and_b32_e32 v1, 0xcf, v0
	s_lshr_b32 s16, s16, 27
	v_add_u32_e32 v1, s14, v1
	s_add_i32 s15, s15, s16
	v_ashrrev_i32_e32 v2, 31, v1
	s_ashr_i32 s15, s15, 5
	v_lshrrev_b32_e32 v6, 27, v2
	s_add_i32 s15, s15, -1
	s_waitcnt lgkmcnt(0)
	s_mul_i32 s16, s2, s5
	s_mov_b32 s17, 0
	v_add_u32_e32 v2, v1, v6
	s_lshl_b64 s[16:17], s[16:17], 2
	v_ashrrev_i32_e32 v2, 5, v2
	v_mov_b32_e32 v7, s15
	v_cmp_gt_i32_e32 vcc, s33, v1
	s_add_u32 s8, s8, s16
	s_addc_u32 s9, s9, s17
	v_cndmask_b32_e32 v2, v7, v2, vcc
	v_ashrrev_i32_e32 v3, 31, v2
	v_lshl_add_u64 v[4:5], v[2:3], 2, s[8:9]
	v_or_b32_e32 v2, 16, v1
	v_add_u32_e32 v3, v2, v6
	v_ashrrev_i32_e32 v3, 5, v3
	v_cmp_gt_i32_e32 vcc, s33, v2
	s_nop 1
	v_cndmask_b32_e32 v2, v7, v3, vcc
	v_ashrrev_i32_e32 v3, 31, v2
	v_lshl_add_u64 v[8:9], v[2:3], 2, s[8:9]
	v_or_b32_e32 v2, 32, v1
	v_add_u32_e32 v3, v2, v6
	v_ashrrev_i32_e32 v3, 5, v3
	v_cmp_gt_i32_e32 vcc, s33, v2
	v_or_b32_e32 v1, 48, v1
	s_nop 0
	v_cndmask_b32_e32 v2, v7, v3, vcc
	v_ashrrev_i32_e32 v3, 31, v2
	v_lshl_add_u64 v[12:13], v[2:3], 2, s[8:9]
	v_add_u32_e32 v2, v1, v6
	v_ashrrev_i32_e32 v2, 5, v2
	v_cmp_gt_i32_e32 vcc, s33, v1
	s_nop 1
	v_cndmask_b32_e32 v2, v7, v2, vcc
	v_ashrrev_i32_e32 v3, 31, v2
	v_lshl_add_u64 v[16:17], v[2:3], 2, s[8:9]
	global_load_dword v2, v[4:5], off
	global_load_dword v6, v[8:9], off
	;; [unrolled: 1-line block ×4, first 2 shown]
	s_andn2_b64 vcc, exec, s[10:11]
	s_cbranch_vccnz .LBB503_8
; %bb.6:
	s_add_u32 s6, s6, s12
	s_addc_u32 s7, s7, s13
	s_load_dword s5, s[6:7], 0x0
	s_branch .LBB503_9
.LBB503_7:
	s_mov_b64 s[12:13], 0
	s_branch .LBB503_2
.LBB503_8:
	s_mov_b32 s5, s2
.LBB503_9:
	s_load_dwordx2 s[10:11], s[0:1], 0x8
	s_load_dwordx4 s[44:47], s[0:1], 0x48
	v_and_b32_e32 v52, 15, v0
	s_movk_i32 s6, 0x7f
	v_cmp_lt_u32_e32 vcc, s6, v0
	v_cmp_lt_u32_e64 s[6:7], 7, v52
	v_lshlrev_b32_e32 v42, 3, v52
	v_cmp_gt_u32_e64 s[30:31], 8, v52
	s_or_b64 s[6:7], vcc, s[6:7]
	s_and_saveexec_b64 s[12:13], s[6:7]
	s_xor_b64 s[6:7], exec, s[12:13]
; %bb.10:
	v_mov_b32_e32 v43, 0
; %bb.11:
	s_or_saveexec_b64 s[12:13], s[6:7]
	s_load_dwordx2 s[6:7], s[0:1], 0x10
	v_lshrrev_b32_e32 v53, 6, v0
	s_lshl_b32 s29, s4, 3
	v_bfe_u32 v1, v0, 4, 2
	s_xor_b64 exec, exec, s[12:13]
	s_cbranch_execz .LBB503_13
; %bb.12:
	s_load_dwordx2 s[16:17], s[0:1], 0x0
	s_waitcnt lgkmcnt(0)
	s_ashr_i32 s18, s44, 31
	s_mul_hi_u32 s19, s5, s44
	s_mul_i32 s18, s5, s18
	s_add_i32 s19, s19, s18
	s_mul_i32 s18, s5, s44
	v_lshl_or_b32 v3, v53, 2, v1
	s_lshl_b64 s[18:19], s[18:19], 1
	s_add_u32 s16, s16, s18
	v_add_lshl_u32 v4, v3, s29, 6
	s_addc_u32 s17, s17, s19
	v_ashrrev_i32_e32 v5, 31, v4
	v_mov_b32_e32 v43, 0
	v_lshl_add_u64 v[4:5], v[4:5], 1, s[16:17]
	v_lshlrev_b32_e32 v8, 1, v42
	v_mov_b32_e32 v9, v43
	v_lshl_add_u64 v[4:5], v[4:5], 0, v[8:9]
	global_load_dwordx4 v[16:19], v[4:5], off
	v_and_b32_e32 v4, 3, v0
	v_lshlrev_b32_e32 v5, 9, v52
	v_lshlrev_b32_e32 v3, 5, v3
	;; [unrolled: 1-line block ×3, first 2 shown]
	v_and_b32_e32 v5, 0x1800, v5
	v_or3_b32 v3, v5, v4, v3
	s_waitcnt vmcnt(0)
	ds_write_b128 v3, v[16:19]
.LBB503_13:
	s_or_b64 exec, exec, s[12:13]
	s_waitcnt lgkmcnt(0)
	s_mul_i32 s4, s4, s46
	s_mov_b32 s5, 0
	s_lshl_b64 s[4:5], s[4:5], 1
	s_add_u32 s10, s10, s4
	s_addc_u32 s11, s11, s5
	s_waitcnt vmcnt(3)
	v_mad_i64_i32 v[2:3], s[12:13], v2, s45, 0
	v_lshl_add_u64 v[2:3], v[2:3], 1, s[10:11]
	v_lshlrev_b64 v[12:13], 1, v[42:43]
	v_lshlrev_b32_e32 v44, 9, v1
	v_lshl_add_u64 v[2:3], v[2:3], 0, v[12:13]
	v_mov_b32_e32 v45, 0
	v_lshl_add_u64 v[8:9], v[2:3], 0, v[44:45]
	s_barrier
	global_load_dwordx4 v[22:25], v[8:9], off
	global_load_dwordx4 v[2:5], v[8:9], off offset:2048
	s_waitcnt vmcnt(4)
	v_mad_i64_i32 v[6:7], s[12:13], v6, s45, 0
	v_mov_b32_e32 v8, 0x100
	v_lshl_add_u64 v[6:7], v[6:7], 1, s[10:11]
	v_lshl_or_b32 v16, v52, 4, v8
	v_mov_b32_e32 v17, v45
	s_waitcnt vmcnt(3)
	v_mad_i64_i32 v[10:11], s[12:13], v10, s45, 0
	v_lshl_add_u64 v[6:7], v[6:7], 0, v[16:17]
	v_lshl_add_u64 v[10:11], v[10:11], 1, s[10:11]
	s_waitcnt vmcnt(2)
	v_mad_i64_i32 v[14:15], s[12:13], v14, s45, 0
	v_lshl_add_u64 v[18:19], v[6:7], 0, v[44:45]
	v_lshl_add_u64 v[10:11], v[10:11], 0, v[12:13]
	;; [unrolled: 1-line block ×3, first 2 shown]
	global_load_dwordx4 v[26:29], v[18:19], off
	global_load_dwordx4 v[6:9], v[18:19], off offset:2048
	v_lshl_add_u64 v[18:19], v[10:11], 0, v[44:45]
	v_lshl_add_u64 v[14:15], v[14:15], 0, v[16:17]
	global_load_dwordx4 v[30:33], v[18:19], off
	global_load_dwordx4 v[10:13], v[18:19], off offset:2048
	v_lshl_add_u64 v[18:19], v[14:15], 0, v[44:45]
	global_load_dwordx4 v[34:37], v[18:19], off
	global_load_dwordx4 v[14:17], v[18:19], off offset:2048
	v_and_b32_e32 v18, 7, v0
	v_lshl_or_b32 v18, v18, 5, v44
	ds_read_b128 v[38:41], v18
	ds_read_b128 v[18:21], v18 offset:2048
	v_and_b32_e32 v54, 63, v0
	v_mov_b32_e32 v48, 0
	s_and_saveexec_b64 s[10:11], s[30:31]
	s_cbranch_execz .LBB503_15
; %bb.14:
	s_load_dwordx2 s[12:13], s[0:1], 0x40
	v_or_b32_e32 v46, s29, v52
	v_ashrrev_i32_e32 v47, 31, v46
	s_waitcnt lgkmcnt(0)
	v_lshl_add_u64 v[46:47], v[46:47], 2, s[12:13]
	global_load_dword v48, v[46:47], off
.LBB503_15:
	s_or_b64 exec, exec, s[10:11]
	s_ashr_i32 s10, s14, 31
	v_and_or_b32 v44, v0, 48, s14
	s_lshr_b32 s11, s10, 27
	v_add_u32_e32 v46, s11, v44
	v_or_b32_e32 v50, 64, v44
	v_ashrrev_i32_e32 v46, 5, v46
	v_mov_b32_e32 v49, s15
	v_cmp_gt_i32_e32 vcc, s33, v44
	v_add_u32_e32 v51, s11, v50
	s_waitcnt vmcnt(7) lgkmcnt(1)
	v_mfma_f32_16x16x16_bf16 v[56:59], v[22:23], v[38:39], 0
	v_cndmask_b32_e32 v46, v49, v46, vcc
	v_ashrrev_i32_e32 v22, 5, v51
	v_cmp_gt_i32_e32 vcc, s33, v50
	v_ashrrev_i32_e32 v47, 31, v46
	v_lshl_add_u64 v[46:47], v[46:47], 2, s[8:9]
	v_cndmask_b32_e32 v22, v49, v22, vcc
	v_ashrrev_i32_e32 v23, 31, v22
	v_lshl_add_u64 v[22:23], v[22:23], 2, s[8:9]
	global_load_dword v55, v[46:47], off
	global_load_dword v72, v[22:23], off
	s_waitcnt vmcnt(3)
	v_mfma_f32_16x16x16_bf16 v[68:71], v[34:35], v[38:39], 0
	v_or_b32_e32 v46, 0xc0, v44
	v_add_u32_e32 v50, s11, v46
	s_add_u32 s4, s6, s4
	v_mfma_f32_16x16x16_bf16 v[60:63], v[26:27], v[38:39], 0
	s_addc_u32 s5, s7, s5
	s_load_dword s10, s[0:1], 0x1c
	s_mov_b32 s42, 0xff7fffff
	v_mfma_f32_16x16x16_bf16 v[64:67], v[30:31], v[38:39], 0
	v_and_b32_e32 v31, 0xc0, v0
	v_or_b32_e32 v38, 0x80, v44
	v_add_u32_e32 v34, s14, v31
	v_mfma_f32_16x16x16_bf16 v[22:25], v[24:25], v[40:41], v[56:59]
	v_and_b32_e32 v30, 16, v0
	v_add_u32_e32 v47, s11, v38
	v_lshlrev_b32_e32 v44, 1, v30
	v_lshl_or_b32 v56, v1, 2, v34
	v_mfma_f32_16x16x16_bf16 v[34:37], v[36:37], v[40:41], v[68:71]
	v_cmp_gt_i32_e32 vcc, s33, v38
	v_lshlrev_b32_e32 v39, 6, v52
	v_or_b32_e32 v57, 1, v56
	v_mfma_f32_16x16x16_bf16 v[26:29], v[28:29], v[40:41], v[60:63]
	v_cmp_gt_i32_e64 s[34:35], s33, v57
	v_mfma_f32_16x16x16_bf16 v[30:33], v[32:33], v[40:41], v[64:67]
	v_ashrrev_i32_e32 v40, 5, v47
	v_ashrrev_i32_e32 v41, 5, v50
	v_cndmask_b32_e32 v38, v49, v40, vcc
	v_cmp_gt_i32_e32 vcc, s33, v46
	s_waitcnt lgkmcnt(0)
	v_mfma_f32_16x16x16_bf16 v[22:25], v[2:3], v[18:19], v[22:25]
	v_lshl_add_u64 v[2:3], s[4:5], 0, v[44:45]
	v_cndmask_b32_e32 v40, v49, v41, vcc
	v_lshl_or_b32 v44, v53, 10, v39
	v_ashrrev_i32_e32 v39, 31, v38
	v_ashrrev_i32_e32 v41, 31, v40
	s_waitcnt vmcnt(2)
	v_mfma_f32_16x16x16_bf16 v[34:37], v[14:15], v[18:19], v[34:37]
	v_lshl_add_u64 v[14:15], v[38:39], 2, s[8:9]
	v_subrev_u32_e32 v49, s33, v57
	v_cvt_f32_i32_e32 v58, v49
	v_mfma_f32_16x16x16_bf16 v[26:29], v[6:7], v[18:19], v[26:29]
	v_mfma_f32_16x16x16_bf16 v[30:33], v[10:11], v[18:19], v[30:33]
	v_lshl_add_u64 v[18:19], v[40:41], 2, s[8:9]
	global_load_dword v59, v[14:15], off
	global_load_dword v60, v[18:19], off
	v_lshl_add_u64 v[10:11], v[2:3], 0, v[44:45]
	v_mfma_f32_16x16x16_bf16 v[2:5], v[4:5], v[20:21], v[22:25]
	v_add_u32_e32 v44, 1, v49
	v_add_u32_e32 v45, 3, v49
	;; [unrolled: 1-line block ×3, first 2 shown]
	v_mfma_f32_16x16x16_bf16 v[14:17], v[16:17], v[20:21], v[34:37]
	v_add_u32_e32 v22, 2, v49
	s_nop 1
	v_pk_mul_f32 v[50:51], s[10:11], v[4:5] op_sel_hi:[0,1]
	v_cvt_f32_i32_e32 v18, v18
	v_mfma_f32_16x16x16_bf16 v[6:9], v[8:9], v[20:21], v[26:29]
	v_add_u32_e32 v19, 19, v49
	v_pk_mul_f32 v[34:35], s[10:11], v[16:17] op_sel_hi:[0,1]
	v_pk_mul_f32 v[36:37], s[10:11], v[14:15] op_sel_hi:[0,1]
	v_cvt_f32_i32_e32 v27, v22
	v_mfma_f32_16x16x16_bf16 v[22:25], v[12:13], v[20:21], v[30:33]
	v_pk_mul_f32 v[12:13], s[10:11], v[2:3] op_sel_hi:[0,1]
	v_cvt_f32_i32_e32 v26, v44
	v_cvt_f32_i32_e32 v28, v45
	v_pk_mul_f32 v[44:45], s[10:11], v[8:9] op_sel_hi:[0,1]
	v_pk_mul_f32 v[46:47], s[10:11], v[6:7] op_sel_hi:[0,1]
	v_cvt_f32_i32_e32 v19, v19
	v_fma_f32 v44, v48, v18, v44
	v_add_u32_e32 v18, 34, v49
	v_cvt_f32_i32_e32 v18, v18
	v_fmac_f32_e32 v45, v48, v19
	v_add_u32_e32 v19, 35, v49
	v_cvt_f32_i32_e32 v19, v19
	v_pk_mul_f32 v[40:41], s[10:11], v[22:23] op_sel_hi:[0,1]
	v_pk_mul_f32 v[38:39], s[10:11], v[24:25] op_sel_hi:[0,1]
	v_fma_f32 v38, v48, v18, v38
	v_add_u32_e32 v18, 50, v49
	s_waitcnt vmcnt(3)
	v_mad_i64_i32 v[2:3], s[4:5], v55, s45, 0
	s_waitcnt vmcnt(2)
	v_mad_i64_i32 v[4:5], s[4:5], v72, s45, 0
	v_lshl_add_u64 v[16:17], v[2:3], 1, v[10:11]
	v_lshl_add_u64 v[14:15], v[4:5], 1, v[10:11]
	global_load_dwordx4 v[6:9], v[16:17], off
	global_load_dwordx4 v[2:5], v[16:17], off offset:16
	v_add_u32_e32 v16, 16, v49
	v_cvt_f32_i32_e32 v16, v16
	v_add_u32_e32 v17, 17, v49
	v_cvt_f32_i32_e32 v17, v17
	v_fmac_f32_e32 v39, v48, v19
	v_fma_f32 v46, v48, v16, v46
	v_add_u32_e32 v16, 32, v49
	v_fmac_f32_e32 v47, v48, v17
	v_cvt_f32_i32_e32 v16, v16
	v_add_u32_e32 v17, 33, v49
	v_cvt_f32_i32_e32 v17, v17
	v_cvt_f32_i32_e32 v18, v18
	v_fma_f32 v40, v48, v16, v40
	v_add_u32_e32 v16, 48, v49
	v_fmac_f32_e32 v41, v48, v17
	v_cvt_f32_i32_e32 v16, v16
	v_add_u32_e32 v17, 49, v49
	v_cvt_f32_i32_e32 v17, v17
	v_add_u32_e32 v19, 51, v49
	v_cvt_f32_i32_e32 v19, v19
	v_fma_f32 v12, v48, v58, v12
	v_fmac_f32_e32 v13, v48, v26
	v_fma_f32 v36, v48, v16, v36
	v_mov_b32_e32 v16, 0xff7fffff
	v_cmp_gt_i32_e64 s[4:5], s33, v56
	v_fmac_f32_e32 v37, v48, v17
	v_fma_f32 v34, v48, v18, v34
	v_cndmask_b32_e64 v17, v16, v12, s[4:5]
	v_cndmask_b32_e64 v18, v16, v13, s[34:35]
	v_fmac_f32_e32 v35, v48, v19
	v_max3_f32 v17, v17, s42, v18
	v_or_b32_e32 v18, 2, v56
	v_or_b32_e32 v19, 3, v56
	v_fma_f32 v50, v48, v27, v50
	v_fmac_f32_e32 v51, v48, v28
	v_cmp_gt_i32_e64 s[36:37], s33, v18
	v_cmp_gt_i32_e64 s[38:39], s33, v19
	global_load_dwordx4 v[30:33], v[14:15], off
	global_load_dwordx4 v[26:29], v[14:15], off offset:16
	v_cndmask_b32_e64 v18, v16, v50, s[36:37]
	v_cndmask_b32_e64 v19, v16, v51, s[38:39]
	v_max3_f32 v17, v17, v18, v19
	v_or_b32_e32 v18, 16, v56
	v_or_b32_e32 v19, 17, v56
	v_cmp_gt_i32_e64 s[24:25], s33, v18
	v_cmp_gt_i32_e64 s[26:27], s33, v19
	s_nop 0
	v_cndmask_b32_e64 v18, v16, v46, s[24:25]
	v_cndmask_b32_e64 v19, v16, v47, s[26:27]
	v_max3_f32 v17, v17, v18, v19
	v_or_b32_e32 v18, 18, v56
	v_or_b32_e32 v19, 19, v56
	v_cmp_gt_i32_e64 s[20:21], s33, v18
	v_cmp_gt_i32_e64 s[22:23], s33, v19
	s_nop 0
	;; [unrolled: 8-line block ×5, first 2 shown]
	v_cndmask_b32_e64 v18, v16, v36, s[8:9]
	v_cndmask_b32_e64 v19, v16, v37, s[10:11]
	v_max3_f32 v17, v17, v18, v19
	v_or_b32_e32 v18, 50, v56
	v_or_b32_e32 v19, 51, v56
	v_cmp_gt_i32_e32 vcc, s33, v18
	v_cmp_gt_i32_e64 s[6:7], s33, v19
	s_nop 0
	v_cndmask_b32_e32 v18, v16, v34, vcc
	v_cndmask_b32_e64 v16, v16, v35, s[6:7]
	v_max3_f32 v16, v17, v18, v16
	v_mbcnt_lo_u32_b32 v17, -1, 0
	v_mbcnt_hi_u32_b32 v17, -1, v17
	v_and_b32_e32 v18, 64, v17
	v_add_u32_e32 v18, 64, v18
	v_xor_b32_e32 v19, 32, v17
	v_cmp_lt_i32_e64 s[40:41], v19, v18
	s_nop 1
	v_cndmask_b32_e64 v19, v17, v19, s[40:41]
	v_lshlrev_b32_e32 v56, 2, v19
	ds_bpermute_b32 v19, v56, v16
	s_waitcnt vmcnt(5)
	v_mad_i64_i32 v[14:15], s[40:41], v59, s45, 0
	v_lshl_add_u64 v[14:15], v[14:15], 1, v[10:11]
	s_waitcnt lgkmcnt(0)
	v_max_f32_e32 v19, v19, v19
	v_max_f32_e32 v16, v16, v19
	v_xor_b32_e32 v19, 16, v17
	v_cmp_lt_i32_e64 s[40:41], v19, v18
	s_nop 1
	v_cndmask_b32_e64 v17, v17, v19, s[40:41]
	v_lshlrev_b32_e32 v58, 2, v17
	ds_bpermute_b32 v17, v58, v16
	global_load_dwordx4 v[22:25], v[14:15], off
	global_load_dwordx4 v[18:21], v[14:15], off offset:16
	s_waitcnt vmcnt(6)
	v_mad_i64_i32 v[14:15], s[40:41], v60, s45, 0
	v_lshl_add_u64 v[10:11], v[14:15], 1, v[10:11]
	s_waitcnt lgkmcnt(0)
	v_max_f32_e32 v14, v17, v17
	v_max_f32_e32 v55, v16, v14
	v_sub_f32_e32 v12, v12, v55
	v_mul_f32_e32 v12, 0x3fb8aa3b, v12
	v_exp_f32_e32 v48, v12
	v_sub_f32_e32 v12, v13, v55
	v_mul_f32_e32 v12, 0x3fb8aa3b, v12
	v_exp_f32_e32 v49, v12
	global_load_dwordx4 v[14:17], v[10:11], off
	s_nop 0
	global_load_dwordx4 v[10:13], v[10:11], off offset:16
	v_sub_f32_e32 v50, v50, v55
	v_mul_f32_e32 v50, 0x3fb8aa3b, v50
	v_sub_f32_e32 v51, v51, v55
	v_exp_f32_e32 v50, v50
	v_mul_f32_e32 v51, 0x3fb8aa3b, v51
	v_sub_f32_e32 v46, v46, v55
	v_exp_f32_e32 v51, v51
	v_mul_f32_e32 v46, 0x3fb8aa3b, v46
	v_sub_f32_e32 v47, v47, v55
	v_cndmask_b32_e64 v48, 0, v48, s[4:5]
	v_exp_f32_e32 v46, v46
	v_mul_f32_e32 v47, 0x3fb8aa3b, v47
	v_sub_f32_e32 v44, v44, v55
	v_add_f32_e32 v57, 0, v48
	v_cndmask_b32_e64 v49, 0, v49, s[34:35]
	v_exp_f32_e32 v47, v47
	v_mul_f32_e32 v44, 0x3fb8aa3b, v44
	v_sub_f32_e32 v45, v45, v55
	v_add_f32_e32 v57, v57, v49
	;; [unrolled: 5-line block ×10, first 2 shown]
	v_cndmask_b32_e64 v38, 0, v38, s[12:13]
	v_exp_f32_e32 v34, v34
	v_mul_f32_e32 v35, 0x3fb8aa3b, v35
	v_add_f32_e32 v57, v57, v38
	v_cndmask_b32_e64 v39, 0, v39, s[14:15]
	v_exp_f32_e32 v35, v35
	v_add_f32_e32 v57, v57, v39
	v_cndmask_b32_e64 v36, 0, v36, s[8:9]
	v_add_f32_e32 v57, v57, v36
	v_cndmask_b32_e64 v37, 0, v37, s[10:11]
	v_add_f32_e32 v57, v57, v37
	v_cndmask_b32_e32 v34, 0, v34, vcc
	v_add_f32_e32 v57, v57, v34
	v_cndmask_b32_e64 v35, 0, v35, s[6:7]
	v_add_f32_e32 v57, v57, v35
	ds_bpermute_b32 v56, v56, v57
	s_load_dword s7, s[0:1], 0x98
	v_cmp_gt_u32_e32 vcc, 16, v54
	s_waitcnt lgkmcnt(0)
	s_barrier
	v_add_f32_e32 v57, v57, v56
	ds_bpermute_b32 v58, v58, v57
	v_lshlrev_b32_e32 v56, 2, v52
	s_waitcnt lgkmcnt(0)
	s_and_saveexec_b64 s[4:5], vcc
	s_cbranch_execz .LBB503_17
; %bb.16:
	v_add_f32_e32 v54, v57, v58
	v_lshl_or_b32 v57, v53, 6, v56
	ds_write2st64_b32 v57, v55, v54 offset1:1
.LBB503_17:
	s_or_b64 exec, exec, s[4:5]
	s_load_dword s6, s[0:1], 0x94
	s_waitcnt lgkmcnt(0)
	s_barrier
	ds_read2_b32 v[58:59], v56 offset1:16
	ds_read2_b32 v[60:61], v56 offset0:32 offset1:48
	ds_read2_b32 v[62:63], v56 offset0:64 offset1:80
	;; [unrolled: 1-line block ×3, first 2 shown]
	s_movk_i32 s8, 0x7fff
	s_waitcnt lgkmcnt(3)
	v_max3_f32 v54, v58, s42, v59
	s_waitcnt lgkmcnt(2)
	v_max3_f32 v54, v54, v60, v61
	v_sub_f32_e32 v55, v58, v54
	v_mul_f32_e32 v55, 0x3fb8aa3b, v55
	v_exp_f32_e32 v58, v55
	v_sub_f32_e32 v55, v59, v54
	v_mul_f32_e32 v55, 0x3fb8aa3b, v55
	v_exp_f32_e32 v59, v55
	;; [unrolled: 3-line block ×4, first 2 shown]
	s_waitcnt lgkmcnt(1)
	v_fma_f32 v55, v58, v62, 0
	v_fmac_f32_e32 v55, v59, v63
	s_waitcnt lgkmcnt(0)
	v_fmac_f32_e32 v55, v60, v56
	v_fmac_f32_e32 v55, v61, v57
	v_add_f32_e32 v56, 0x358637bd, v55
	v_div_scale_f32 v57, s[4:5], v56, v56, 1.0
	v_rcp_f32_e32 v62, v57
	s_mov_b32 s9, 0x7060302
	s_lshl_b32 s7, s7, 3
	v_fma_f32 v63, -v57, v62, 1.0
	v_fmac_f32_e32 v62, v63, v62
	v_div_scale_f32 v63, vcc, 1.0, v56, 1.0
	v_mul_f32_e32 v64, v63, v62
	v_fma_f32 v65, -v57, v64, v63
	v_fmac_f32_e32 v64, v65, v62
	v_fma_f32 v57, -v57, v64, v63
	v_div_fmas_f32 v57, v57, v62, v64
	v_cmp_eq_u32_e32 vcc, 1, v53
	v_div_fixup_f32 v56, v57, v56, 1.0
	s_barrier
	v_cndmask_b32_e32 v57, v58, v59, vcc
	v_cmp_eq_u32_e32 vcc, 2, v53
	s_nop 1
	v_cndmask_b32_e32 v57, v57, v60, vcc
	v_cmp_eq_u32_e32 vcc, 3, v53
	s_nop 1
	v_cndmask_b32_e32 v57, v57, v61, vcc
	v_mul_f32_e32 v56, v57, v56
	v_pk_mul_f32 v[48:49], v[56:57], v[48:49] op_sel_hi:[0,1]
	v_pk_mul_f32 v[50:51], v[56:57], v[50:51] op_sel_hi:[0,1]
	v_bfe_u32 v57, v49, 16, 1
	v_bfe_u32 v58, v48, 16, 1
	v_add3_u32 v48, v48, v58, s8
	v_add3_u32 v49, v49, v57, s8
	v_perm_b32 v58, v49, v48, s9
	v_bfe_u32 v48, v51, 16, 1
	v_bfe_u32 v49, v50, 16, 1
	v_add3_u32 v49, v50, v49, s8
	v_add3_u32 v48, v51, v48, s8
	v_perm_b32 v59, v48, v49, s9
	v_lshlrev_b32_e32 v48, 3, v1
	v_lshlrev_b32_e32 v49, 5, v52
	;; [unrolled: 1-line block ×3, first 2 shown]
	v_pk_mul_f32 v[46:47], v[56:57], v[46:47] op_sel_hi:[0,1]
	v_or3_b32 v48, v50, v49, v48
	v_bfe_u32 v50, v47, 16, 1
	v_bfe_u32 v51, v46, 16, 1
	v_pk_mul_f32 v[44:45], v[56:57], v[44:45] op_sel_hi:[0,1]
	v_add3_u32 v46, v46, v51, s8
	v_add3_u32 v47, v47, v50, s8
	v_perm_b32 v46, v47, v46, s9
	v_bfe_u32 v47, v45, 16, 1
	v_bfe_u32 v50, v44, 16, 1
	v_add3_u32 v44, v44, v50, s8
	v_add3_u32 v45, v45, v47, s8
	v_pk_mul_f32 v[40:41], v[56:57], v[40:41] op_sel_hi:[0,1]
	v_perm_b32 v47, v45, v44, s9
	v_bfe_u32 v44, v41, 16, 1
	v_bfe_u32 v45, v40, 16, 1
	v_pk_mul_f32 v[38:39], v[56:57], v[38:39] op_sel_hi:[0,1]
	v_add3_u32 v40, v40, v45, s8
	v_add3_u32 v41, v41, v44, s8
	v_perm_b32 v40, v41, v40, s9
	v_bfe_u32 v41, v39, 16, 1
	v_bfe_u32 v44, v38, 16, 1
	v_add3_u32 v38, v38, v44, s8
	v_add3_u32 v39, v39, v41, s8
	v_pk_mul_f32 v[36:37], v[56:57], v[36:37] op_sel_hi:[0,1]
	v_perm_b32 v41, v39, v38, s9
	v_bfe_u32 v38, v37, 16, 1
	v_bfe_u32 v39, v36, 16, 1
	v_pk_mul_f32 v[34:35], v[56:57], v[34:35] op_sel_hi:[0,1]
	v_add3_u32 v36, v36, v39, s8
	v_add3_u32 v37, v37, v38, s8
	v_perm_b32 v36, v37, v36, s9
	v_bfe_u32 v37, v35, 16, 1
	v_bfe_u32 v38, v34, 16, 1
	v_add3_u32 v34, v34, v38, s8
	v_add3_u32 v35, v35, v37, s8
	v_perm_b32 v37, v35, v34, s9
	v_cmp_gt_u32_e32 vcc, 8, v0
	ds_write2st64_b64 v48, v[58:59], v[46:47] offset1:1
	ds_write2st64_b64 v48, v[40:41], v[36:37] offset0:2 offset1:3
	s_and_saveexec_b64 s[4:5], vcc
	s_cbranch_execz .LBB503_19
; %bb.18:
	v_or_b32_e32 v34, s29, v0
	v_mov_b32_e32 v35, 0
	v_mov_b32_e32 v36, s7
	v_mad_u64_u32 v[36:37], s[10:11], s2, v36, v[34:35]
	v_mov_b32_e32 v34, s28
	s_load_dwordx4 s[12:15], s[0:1], 0x58
	s_mul_i32 s3, s3, s7
	v_mad_u64_u32 v[34:35], s[10:11], v36, s6, v[34:35]
	v_add_u32_e32 v37, s3, v37
	v_mov_b32_e32 v36, v35
	v_mad_u64_u32 v[36:37], s[10:11], v37, s6, v[36:37]
	v_mov_b32_e32 v35, v36
	v_lshlrev_b64 v[34:35], 2, v[34:35]
	s_waitcnt lgkmcnt(0)
	v_lshl_add_u64 v[36:37], s[14:15], 0, v[34:35]
	v_lshl_add_u64 v[34:35], s[12:13], 0, v[34:35]
	global_store_dword v[36:37], v54, off
	global_store_dword v[34:35], v55, off
.LBB503_19:
	s_or_b64 exec, exec, s[4:5]
	v_lshl_or_b32 v49, v1, 9, v49
	s_waitcnt lgkmcnt(0)
	s_barrier
	ds_read_b128 v[34:37], v49
	ds_read_b128 v[38:41], v49 offset:16
	s_waitcnt vmcnt(7) lgkmcnt(1)
	v_mfma_f32_16x16x16_bf16 v[44:47], v[6:7], v[34:35], 0
	v_cmp_gt_u32_e32 vcc, 64, v0
	s_mov_b32 s3, 0
	s_and_b64 s[4:5], vcc, s[30:31]
	v_mfma_f32_16x16x16_bf16 v[6:9], v[8:9], v[36:37], v[44:47]
	s_waitcnt vmcnt(6) lgkmcnt(0)
	v_mfma_f32_16x16x16_bf16 v[6:9], v[2:3], v[38:39], v[6:9]
	v_mfma_f32_16x16x16_bf16 v[2:5], v[4:5], v[40:41], v[6:9]
	s_nop 5
	ds_read_b128 v[6:9], v49 offset:2048
	ds_read_b128 v[34:37], v49 offset:2064
	s_waitcnt vmcnt(5) lgkmcnt(1)
	v_mfma_f32_16x16x16_bf16 v[2:5], v[30:31], v[6:7], v[2:5]
	v_mfma_f32_16x16x16_bf16 v[2:5], v[32:33], v[8:9], v[2:5]
	s_waitcnt vmcnt(4) lgkmcnt(0)
	v_mfma_f32_16x16x16_bf16 v[2:5], v[26:27], v[34:35], v[2:5]
	v_mfma_f32_16x16x16_bf16 v[2:5], v[28:29], v[36:37], v[2:5]
	ds_read_b128 v[6:9], v49 offset:4096
	ds_read_b128 v[26:29], v49 offset:4112
	s_waitcnt vmcnt(3) lgkmcnt(1)
	v_mfma_f32_16x16x16_bf16 v[2:5], v[22:23], v[6:7], v[2:5]
	v_mfma_f32_16x16x16_bf16 v[2:5], v[24:25], v[8:9], v[2:5]
	s_waitcnt vmcnt(2) lgkmcnt(0)
	v_mfma_f32_16x16x16_bf16 v[2:5], v[18:19], v[26:27], v[2:5]
	v_mfma_f32_16x16x16_bf16 v[2:5], v[20:21], v[28:29], v[2:5]
	ds_read_b128 v[6:9], v49 offset:6144
	ds_read_b128 v[18:21], v49 offset:6160
	s_waitcnt lgkmcnt(0)
	s_barrier
	s_waitcnt vmcnt(1)
	v_mfma_f32_16x16x16_bf16 v[2:5], v[14:15], v[6:7], v[2:5]
	v_mfma_f32_16x16x16_bf16 v[2:5], v[16:17], v[8:9], v[2:5]
	s_waitcnt vmcnt(0)
	v_mfma_f32_16x16x16_bf16 v[2:5], v[10:11], v[18:19], v[2:5]
	v_mfma_f32_16x16x16_bf16 v[2:5], v[12:13], v[20:21], v[2:5]
	s_nop 6
	v_bfe_u32 v6, v3, 16, 1
	v_bfe_u32 v7, v2, 16, 1
	v_bfe_u32 v8, v5, 16, 1
	v_bfe_u32 v9, v4, 16, 1
	v_add3_u32 v2, v2, v7, s8
	v_add3_u32 v3, v3, v6, s8
	;; [unrolled: 1-line block ×4, first 2 shown]
	v_perm_b32 v2, v3, v2, s9
	v_perm_b32 v3, v5, v4, s9
	ds_write_b64 v48, v[2:3]
	s_waitcnt lgkmcnt(0)
	s_barrier
	s_and_saveexec_b64 s[8:9], s[4:5]
	s_cbranch_execz .LBB503_21
; %bb.20:
	s_load_dwordx2 s[0:1], s[0:1], 0x68
	s_lshl_b32 s6, s6, 6
	s_mul_i32 s2, s7, s2
	s_mul_hi_u32 s5, s2, s6
	s_mul_i32 s4, s2, s6
	s_lshl_b64 s[4:5], s[4:5], 1
	v_lshlrev_b32_e32 v2, 10, v0
	v_lshlrev_b32_e32 v0, 4, v0
	s_waitcnt lgkmcnt(0)
	s_add_u32 s4, s0, s4
	v_and_b32_e32 v2, 0x1800, v2
	v_lshlrev_b32_e32 v3, 5, v1
	v_and_b32_e32 v0, 16, v0
	s_addc_u32 s5, s1, s5
	s_lshl_b32 s2, s28, 6
	v_or3_b32 v0, v2, v3, v0
	s_lshl_b64 s[0:1], s[2:3], 1
	ds_read_b128 v[2:5], v0
	ds_read_b128 v[6:9], v0 offset:128
	s_add_u32 s0, s4, s0
	s_addc_u32 s1, s5, s1
	v_or_b32_e32 v12, s29, v1
	v_lshl_add_u64 v[10:11], v[42:43], 1, s[0:1]
	v_mad_u64_u32 v[0:1], s[0:1], v12, s6, 0
	v_lshl_add_u64 v[0:1], v[0:1], 1, v[10:11]
	s_waitcnt lgkmcnt(1)
	global_store_dwordx4 v[0:1], v[2:5], off
	v_or_b32_e32 v0, 4, v12
	v_mad_u64_u32 v[0:1], s[0:1], v0, s6, 0
	v_lshl_add_u64 v[0:1], v[0:1], 1, v[10:11]
	s_waitcnt lgkmcnt(0)
	global_store_dwordx4 v[0:1], v[6:9], off
.LBB503_21:
	s_endpgm
	.section	.rodata,"a",@progbits
	.p2align	6, 0x0
	.amdhsa_kernel _Z39paged_attention_ll4mi_QKV_mfma16_kernelI14__hip_bfloat16S0_LN4vllm18Fp8KVCacheDataTypeE0EhLi32ELi64ELi256ELb1ELi8EEvPKT_PKT0_S8_ifPKiSA_SA_iPKfiiiPfSD_PS3_PT2_iSC_SC_
		.amdhsa_group_segment_fixed_size 8192
		.amdhsa_private_segment_fixed_size 0
		.amdhsa_kernarg_size 400
		.amdhsa_user_sgpr_count 2
		.amdhsa_user_sgpr_dispatch_ptr 0
		.amdhsa_user_sgpr_queue_ptr 0
		.amdhsa_user_sgpr_kernarg_segment_ptr 1
		.amdhsa_user_sgpr_dispatch_id 0
		.amdhsa_user_sgpr_kernarg_preload_length 0
		.amdhsa_user_sgpr_kernarg_preload_offset 0
		.amdhsa_user_sgpr_private_segment_size 0
		.amdhsa_uses_dynamic_stack 0
		.amdhsa_enable_private_segment 0
		.amdhsa_system_sgpr_workgroup_id_x 1
		.amdhsa_system_sgpr_workgroup_id_y 1
		.amdhsa_system_sgpr_workgroup_id_z 1
		.amdhsa_system_sgpr_workgroup_info 0
		.amdhsa_system_vgpr_workitem_id 0
		.amdhsa_next_free_vgpr 73
		.amdhsa_next_free_sgpr 48
		.amdhsa_accum_offset 76
		.amdhsa_reserve_vcc 1
		.amdhsa_float_round_mode_32 0
		.amdhsa_float_round_mode_16_64 0
		.amdhsa_float_denorm_mode_32 3
		.amdhsa_float_denorm_mode_16_64 3
		.amdhsa_dx10_clamp 1
		.amdhsa_ieee_mode 1
		.amdhsa_fp16_overflow 0
		.amdhsa_tg_split 0
		.amdhsa_exception_fp_ieee_invalid_op 0
		.amdhsa_exception_fp_denorm_src 0
		.amdhsa_exception_fp_ieee_div_zero 0
		.amdhsa_exception_fp_ieee_overflow 0
		.amdhsa_exception_fp_ieee_underflow 0
		.amdhsa_exception_fp_ieee_inexact 0
		.amdhsa_exception_int_div_zero 0
	.end_amdhsa_kernel
	.section	.text._Z39paged_attention_ll4mi_QKV_mfma16_kernelI14__hip_bfloat16S0_LN4vllm18Fp8KVCacheDataTypeE0EhLi32ELi64ELi256ELb1ELi8EEvPKT_PKT0_S8_ifPKiSA_SA_iPKfiiiPfSD_PS3_PT2_iSC_SC_,"axG",@progbits,_Z39paged_attention_ll4mi_QKV_mfma16_kernelI14__hip_bfloat16S0_LN4vllm18Fp8KVCacheDataTypeE0EhLi32ELi64ELi256ELb1ELi8EEvPKT_PKT0_S8_ifPKiSA_SA_iPKfiiiPfSD_PS3_PT2_iSC_SC_,comdat
.Lfunc_end503:
	.size	_Z39paged_attention_ll4mi_QKV_mfma16_kernelI14__hip_bfloat16S0_LN4vllm18Fp8KVCacheDataTypeE0EhLi32ELi64ELi256ELb1ELi8EEvPKT_PKT0_S8_ifPKiSA_SA_iPKfiiiPfSD_PS3_PT2_iSC_SC_, .Lfunc_end503-_Z39paged_attention_ll4mi_QKV_mfma16_kernelI14__hip_bfloat16S0_LN4vllm18Fp8KVCacheDataTypeE0EhLi32ELi64ELi256ELb1ELi8EEvPKT_PKT0_S8_ifPKiSA_SA_iPKfiiiPfSD_PS3_PT2_iSC_SC_
                                        ; -- End function
	.section	.AMDGPU.csdata,"",@progbits
; Kernel info:
; codeLenInByte = 4368
; NumSgprs: 54
; NumVgprs: 73
; NumAgprs: 0
; TotalNumVgprs: 73
; ScratchSize: 0
; MemoryBound: 0
; FloatMode: 240
; IeeeMode: 1
; LDSByteSize: 8192 bytes/workgroup (compile time only)
; SGPRBlocks: 6
; VGPRBlocks: 9
; NumSGPRsForWavesPerEU: 54
; NumVGPRsForWavesPerEU: 73
; AccumOffset: 76
; Occupancy: 6
; WaveLimiterHint : 1
; COMPUTE_PGM_RSRC2:SCRATCH_EN: 0
; COMPUTE_PGM_RSRC2:USER_SGPR: 2
; COMPUTE_PGM_RSRC2:TRAP_HANDLER: 0
; COMPUTE_PGM_RSRC2:TGID_X_EN: 1
; COMPUTE_PGM_RSRC2:TGID_Y_EN: 1
; COMPUTE_PGM_RSRC2:TGID_Z_EN: 1
; COMPUTE_PGM_RSRC2:TIDIG_COMP_CNT: 0
; COMPUTE_PGM_RSRC3_GFX90A:ACCUM_OFFSET: 18
; COMPUTE_PGM_RSRC3_GFX90A:TG_SPLIT: 0
	.section	.text._Z39paged_attention_ll4mi_QKV_mfma16_kernelI14__hip_bfloat16S0_LN4vllm18Fp8KVCacheDataTypeE0EhLi32ELi64ELi256ELb1ELi9EEvPKT_PKT0_S8_ifPKiSA_SA_iPKfiiiPfSD_PS3_PT2_iSC_SC_,"axG",@progbits,_Z39paged_attention_ll4mi_QKV_mfma16_kernelI14__hip_bfloat16S0_LN4vllm18Fp8KVCacheDataTypeE0EhLi32ELi64ELi256ELb1ELi9EEvPKT_PKT0_S8_ifPKiSA_SA_iPKfiiiPfSD_PS3_PT2_iSC_SC_,comdat
	.protected	_Z39paged_attention_ll4mi_QKV_mfma16_kernelI14__hip_bfloat16S0_LN4vllm18Fp8KVCacheDataTypeE0EhLi32ELi64ELi256ELb1ELi9EEvPKT_PKT0_S8_ifPKiSA_SA_iPKfiiiPfSD_PS3_PT2_iSC_SC_ ; -- Begin function _Z39paged_attention_ll4mi_QKV_mfma16_kernelI14__hip_bfloat16S0_LN4vllm18Fp8KVCacheDataTypeE0EhLi32ELi64ELi256ELb1ELi9EEvPKT_PKT0_S8_ifPKiSA_SA_iPKfiiiPfSD_PS3_PT2_iSC_SC_
	.globl	_Z39paged_attention_ll4mi_QKV_mfma16_kernelI14__hip_bfloat16S0_LN4vllm18Fp8KVCacheDataTypeE0EhLi32ELi64ELi256ELb1ELi9EEvPKT_PKT0_S8_ifPKiSA_SA_iPKfiiiPfSD_PS3_PT2_iSC_SC_
	.p2align	8
	.type	_Z39paged_attention_ll4mi_QKV_mfma16_kernelI14__hip_bfloat16S0_LN4vllm18Fp8KVCacheDataTypeE0EhLi32ELi64ELi256ELb1ELi9EEvPKT_PKT0_S8_ifPKiSA_SA_iPKfiiiPfSD_PS3_PT2_iSC_SC_,@function
_Z39paged_attention_ll4mi_QKV_mfma16_kernelI14__hip_bfloat16S0_LN4vllm18Fp8KVCacheDataTypeE0EhLi32ELi64ELi256ELb1ELi9EEvPKT_PKT0_S8_ifPKiSA_SA_iPKfiiiPfSD_PS3_PT2_iSC_SC_: ; @_Z39paged_attention_ll4mi_QKV_mfma16_kernelI14__hip_bfloat16S0_LN4vllm18Fp8KVCacheDataTypeE0EhLi32ELi64ELi256ELb1ELi9EEvPKT_PKT0_S8_ifPKiSA_SA_iPKfiiiPfSD_PS3_PT2_iSC_SC_
; %bb.0:
	s_load_dwordx2 s[6:7], s[0:1], 0x30
	s_mov_b32 s28, s3
	s_mov_b64 s[8:9], 0
	s_waitcnt lgkmcnt(0)
	s_cmp_lg_u64 s[6:7], 0
	s_cselect_b64 s[10:11], -1, 0
	s_and_b64 vcc, exec, s[10:11]
	s_cbranch_vccz .LBB504_7
; %bb.1:
	s_add_i32 s12, s2, 1
	s_mov_b32 s13, 0
	s_lshl_b64 s[14:15], s[12:13], 2
	s_add_u32 s14, s6, s14
	s_mov_b32 s3, s13
	s_addc_u32 s15, s7, s15
	s_lshl_b64 s[12:13], s[2:3], 2
	s_add_u32 s12, s6, s12
	s_addc_u32 s13, s7, s13
	s_load_dword s5, s[14:15], 0x0
	s_load_dword s16, s[12:13], 0x0
	s_waitcnt lgkmcnt(0)
	s_sub_i32 s5, s5, s16
	s_cmp_eq_u32 s5, 1
	s_cselect_b64 s[12:13], -1, 0
	s_andn2_b64 vcc, exec, s[8:9]
	s_cbranch_vccnz .LBB504_3
.LBB504_2:
	s_mov_b32 s3, 0
	s_mov_b64 s[12:13], -1
.LBB504_3:
	s_andn2_b64 vcc, exec, s[12:13]
	s_cbranch_vccnz .LBB504_22
; %bb.4:
	s_load_dwordx2 s[8:9], s[0:1], 0x28
	s_lshl_b64 s[12:13], s[2:3], 2
	s_waitcnt lgkmcnt(0)
	s_add_u32 s8, s8, s12
	s_addc_u32 s9, s9, s13
	s_load_dword s29, s[8:9], 0x0
	s_lshl_b32 s14, s28, 8
	s_waitcnt lgkmcnt(0)
	s_cmp_ge_i32 s14, s29
	s_cbranch_scc1 .LBB504_22
; %bb.5:
	s_load_dwordx2 s[8:9], s[0:1], 0x20
	s_load_dword s5, s[0:1], 0x38
	s_add_i32 s15, s29, 31
	s_ashr_i32 s16, s15, 31
	v_and_b32_e32 v1, 0xcf, v0
	s_lshr_b32 s16, s16, 27
	v_add_u32_e32 v1, s14, v1
	s_add_i32 s15, s15, s16
	v_ashrrev_i32_e32 v2, 31, v1
	s_ashr_i32 s15, s15, 5
	v_lshrrev_b32_e32 v6, 27, v2
	s_add_i32 s15, s15, -1
	s_waitcnt lgkmcnt(0)
	s_mul_i32 s16, s2, s5
	s_mov_b32 s17, 0
	v_add_u32_e32 v2, v1, v6
	s_lshl_b64 s[16:17], s[16:17], 2
	v_ashrrev_i32_e32 v2, 5, v2
	v_mov_b32_e32 v7, s15
	v_cmp_gt_i32_e32 vcc, s29, v1
	s_add_u32 s8, s8, s16
	s_addc_u32 s9, s9, s17
	v_cndmask_b32_e32 v2, v7, v2, vcc
	v_ashrrev_i32_e32 v3, 31, v2
	v_lshl_add_u64 v[4:5], v[2:3], 2, s[8:9]
	v_or_b32_e32 v2, 16, v1
	v_add_u32_e32 v3, v2, v6
	v_ashrrev_i32_e32 v3, 5, v3
	v_cmp_gt_i32_e32 vcc, s29, v2
	s_nop 1
	v_cndmask_b32_e32 v2, v7, v3, vcc
	v_ashrrev_i32_e32 v3, 31, v2
	v_lshl_add_u64 v[8:9], v[2:3], 2, s[8:9]
	v_or_b32_e32 v2, 32, v1
	v_add_u32_e32 v3, v2, v6
	v_ashrrev_i32_e32 v3, 5, v3
	v_cmp_gt_i32_e32 vcc, s29, v2
	v_or_b32_e32 v1, 48, v1
	s_nop 0
	v_cndmask_b32_e32 v2, v7, v3, vcc
	v_ashrrev_i32_e32 v3, 31, v2
	v_lshl_add_u64 v[12:13], v[2:3], 2, s[8:9]
	v_add_u32_e32 v2, v1, v6
	v_ashrrev_i32_e32 v2, 5, v2
	v_cmp_gt_i32_e32 vcc, s29, v1
	s_nop 1
	v_cndmask_b32_e32 v2, v7, v2, vcc
	v_ashrrev_i32_e32 v3, 31, v2
	v_lshl_add_u64 v[16:17], v[2:3], 2, s[8:9]
	global_load_dword v2, v[4:5], off
	global_load_dword v6, v[8:9], off
	;; [unrolled: 1-line block ×4, first 2 shown]
	s_andn2_b64 vcc, exec, s[10:11]
	s_cbranch_vccnz .LBB504_8
; %bb.6:
	s_add_u32 s6, s6, s12
	s_addc_u32 s7, s7, s13
	s_load_dword s5, s[6:7], 0x0
	s_branch .LBB504_9
.LBB504_7:
	s_mov_b64 s[12:13], 0
	s_branch .LBB504_2
.LBB504_8:
	s_mov_b32 s5, s2
.LBB504_9:
	s_load_dwordx2 s[10:11], s[0:1], 0x8
	s_load_dwordx4 s[44:47], s[0:1], 0x48
	v_lshrrev_b32_e32 v1, 6, v0
	v_bfe_u32 v54, v0, 4, 2
	v_lshl_or_b32 v3, v1, 2, v54
	v_and_b32_e32 v44, 15, v0
	v_cmp_lt_u32_e32 vcc, 8, v3
	v_cmp_lt_u32_e64 s[6:7], 7, v44
	v_lshlrev_b32_e32 v42, 3, v44
	v_cmp_gt_u32_e64 s[30:31], 8, v44
	s_or_b64 s[6:7], s[6:7], vcc
	s_and_saveexec_b64 s[12:13], s[6:7]
	s_xor_b64 s[6:7], exec, s[12:13]
; %bb.10:
	v_mov_b32_e32 v43, 0
                                        ; implicit-def: $vgpr3
; %bb.11:
	s_or_saveexec_b64 s[12:13], s[6:7]
	s_load_dwordx2 s[6:7], s[0:1], 0x10
	s_mul_i32 s42, s4, 9
	s_xor_b64 exec, exec, s[12:13]
	s_cbranch_execz .LBB504_13
; %bb.12:
	s_load_dwordx2 s[16:17], s[0:1], 0x0
	s_waitcnt lgkmcnt(0)
	s_ashr_i32 s18, s44, 31
	s_mul_hi_u32 s19, s5, s44
	s_mul_i32 s18, s5, s18
	s_add_i32 s19, s19, s18
	s_mul_i32 s18, s5, s44
	s_lshl_b64 s[18:19], s[18:19], 1
	s_add_u32 s16, s16, s18
	v_add_lshl_u32 v4, v3, s42, 6
	s_addc_u32 s17, s17, s19
	v_ashrrev_i32_e32 v5, 31, v4
	v_mov_b32_e32 v43, 0
	v_lshl_add_u64 v[4:5], v[4:5], 1, s[16:17]
	v_lshlrev_b32_e32 v8, 1, v42
	v_mov_b32_e32 v9, v43
	v_lshl_add_u64 v[4:5], v[4:5], 0, v[8:9]
	global_load_dwordx4 v[16:19], v[4:5], off
	v_and_b32_e32 v4, 3, v0
	v_lshlrev_b32_e32 v5, 9, v44
	v_lshlrev_b32_e32 v3, 5, v3
	;; [unrolled: 1-line block ×3, first 2 shown]
	v_and_b32_e32 v5, 0x1800, v5
	v_or3_b32 v3, v5, v4, v3
	s_waitcnt vmcnt(0)
	ds_write_b128 v3, v[16:19]
.LBB504_13:
	s_or_b64 exec, exec, s[12:13]
	s_waitcnt lgkmcnt(0)
	s_mul_i32 s4, s4, s46
	s_mov_b32 s5, 0
	s_lshl_b64 s[4:5], s[4:5], 1
	s_add_u32 s10, s10, s4
	s_addc_u32 s11, s11, s5
	s_waitcnt vmcnt(3)
	v_mad_i64_i32 v[2:3], s[12:13], v2, s45, 0
	v_lshl_add_u64 v[2:3], v[2:3], 1, s[10:11]
	v_lshlrev_b64 v[12:13], 1, v[42:43]
	v_lshlrev_b32_e32 v46, 9, v54
	v_lshl_add_u64 v[2:3], v[2:3], 0, v[12:13]
	v_mov_b32_e32 v47, 0
	v_lshl_add_u64 v[8:9], v[2:3], 0, v[46:47]
	s_barrier
	global_load_dwordx4 v[22:25], v[8:9], off
	global_load_dwordx4 v[2:5], v[8:9], off offset:2048
	s_waitcnt vmcnt(4)
	v_mad_i64_i32 v[6:7], s[12:13], v6, s45, 0
	v_mov_b32_e32 v8, 0x100
	v_lshl_add_u64 v[6:7], v[6:7], 1, s[10:11]
	v_lshl_or_b32 v16, v44, 4, v8
	v_mov_b32_e32 v17, v47
	s_waitcnt vmcnt(3)
	v_mad_i64_i32 v[10:11], s[12:13], v10, s45, 0
	v_lshl_add_u64 v[6:7], v[6:7], 0, v[16:17]
	v_lshl_add_u64 v[10:11], v[10:11], 1, s[10:11]
	s_waitcnt vmcnt(2)
	v_mad_i64_i32 v[14:15], s[12:13], v14, s45, 0
	v_lshl_add_u64 v[18:19], v[6:7], 0, v[46:47]
	v_lshl_add_u64 v[10:11], v[10:11], 0, v[12:13]
	;; [unrolled: 1-line block ×3, first 2 shown]
	global_load_dwordx4 v[26:29], v[18:19], off
	global_load_dwordx4 v[6:9], v[18:19], off offset:2048
	v_lshl_add_u64 v[18:19], v[10:11], 0, v[46:47]
	v_lshl_add_u64 v[14:15], v[14:15], 0, v[16:17]
	global_load_dwordx4 v[30:33], v[18:19], off
	global_load_dwordx4 v[10:13], v[18:19], off offset:2048
	v_lshl_add_u64 v[18:19], v[14:15], 0, v[46:47]
	global_load_dwordx4 v[34:37], v[18:19], off
	global_load_dwordx4 v[14:17], v[18:19], off offset:2048
	v_add_u32_e32 v18, -9, v44
	v_cmp_gt_u32_e32 vcc, 9, v44
	v_and_b32_e32 v45, 63, v0
	v_mov_b32_e32 v50, 0
	v_cndmask_b32_e32 v18, v18, v44, vcc
	v_lshl_add_u32 v18, v18, 5, v46
	ds_read_b128 v[38:41], v18
	ds_read_b128 v[18:21], v18 offset:2048
	s_and_saveexec_b64 s[10:11], vcc
	s_cbranch_execz .LBB504_15
; %bb.14:
	s_load_dwordx2 s[12:13], s[0:1], 0x40
	v_add_u32_e32 v48, s42, v44
	v_ashrrev_i32_e32 v49, 31, v48
	s_waitcnt lgkmcnt(0)
	v_lshl_add_u64 v[48:49], v[48:49], 2, s[12:13]
	global_load_dword v50, v[48:49], off
.LBB504_15:
	s_or_b64 exec, exec, s[10:11]
	s_ashr_i32 s10, s14, 31
	v_and_or_b32 v46, v0, 48, s14
	s_lshr_b32 s11, s10, 27
	v_add_u32_e32 v48, s11, v46
	v_or_b32_e32 v52, 64, v46
	v_ashrrev_i32_e32 v48, 5, v48
	v_mov_b32_e32 v51, s15
	v_cmp_gt_i32_e32 vcc, s29, v46
	v_add_u32_e32 v53, s11, v52
	s_waitcnt vmcnt(7) lgkmcnt(1)
	v_mfma_f32_16x16x16_bf16 v[56:59], v[22:23], v[38:39], 0
	v_cndmask_b32_e32 v48, v51, v48, vcc
	v_ashrrev_i32_e32 v22, 5, v53
	v_cmp_gt_i32_e32 vcc, s29, v52
	v_ashrrev_i32_e32 v49, 31, v48
	v_lshl_add_u64 v[48:49], v[48:49], 2, s[8:9]
	v_cndmask_b32_e32 v22, v51, v22, vcc
	v_ashrrev_i32_e32 v23, 31, v22
	v_lshl_add_u64 v[22:23], v[22:23], 2, s[8:9]
	global_load_dword v55, v[48:49], off
	global_load_dword v72, v[22:23], off
	s_waitcnt vmcnt(3)
	v_mfma_f32_16x16x16_bf16 v[68:71], v[34:35], v[38:39], 0
	v_or_b32_e32 v48, 0xc0, v46
	v_add_u32_e32 v52, s11, v48
	s_add_u32 s4, s6, s4
	v_mfma_f32_16x16x16_bf16 v[60:63], v[26:27], v[38:39], 0
	s_addc_u32 s5, s7, s5
	s_load_dword s10, s[0:1], 0x1c
	s_mov_b32 s33, 0xff7fffff
	v_mfma_f32_16x16x16_bf16 v[64:67], v[30:31], v[38:39], 0
	v_and_b32_e32 v31, 0xc0, v0
	v_or_b32_e32 v38, 0x80, v46
	v_add_u32_e32 v34, s14, v31
	v_mfma_f32_16x16x16_bf16 v[22:25], v[24:25], v[40:41], v[56:59]
	v_and_b32_e32 v30, 16, v0
	v_add_u32_e32 v49, s11, v38
	v_lshlrev_b32_e32 v46, 1, v30
	v_lshl_or_b32 v56, v54, 2, v34
	v_mfma_f32_16x16x16_bf16 v[34:37], v[36:37], v[40:41], v[68:71]
	v_cmp_gt_i32_e32 vcc, s29, v38
	v_lshlrev_b32_e32 v39, 6, v44
	v_or_b32_e32 v57, 1, v56
	v_mfma_f32_16x16x16_bf16 v[26:29], v[28:29], v[40:41], v[60:63]
	v_cmp_gt_i32_e64 s[34:35], s29, v57
	v_mfma_f32_16x16x16_bf16 v[30:33], v[32:33], v[40:41], v[64:67]
	v_ashrrev_i32_e32 v40, 5, v49
	v_ashrrev_i32_e32 v41, 5, v52
	v_cndmask_b32_e32 v38, v51, v40, vcc
	v_cmp_gt_i32_e32 vcc, s29, v48
	s_waitcnt lgkmcnt(0)
	v_mfma_f32_16x16x16_bf16 v[22:25], v[2:3], v[18:19], v[22:25]
	v_lshl_add_u64 v[2:3], s[4:5], 0, v[46:47]
	v_cndmask_b32_e32 v40, v51, v41, vcc
	v_lshl_or_b32 v46, v1, 10, v39
	v_ashrrev_i32_e32 v39, 31, v38
	v_ashrrev_i32_e32 v41, 31, v40
	s_waitcnt vmcnt(2)
	v_mfma_f32_16x16x16_bf16 v[34:37], v[14:15], v[18:19], v[34:37]
	v_lshl_add_u64 v[14:15], v[38:39], 2, s[8:9]
	v_subrev_u32_e32 v51, s29, v57
	v_cvt_f32_i32_e32 v58, v51
	v_mfma_f32_16x16x16_bf16 v[26:29], v[6:7], v[18:19], v[26:29]
	v_mfma_f32_16x16x16_bf16 v[30:33], v[10:11], v[18:19], v[30:33]
	v_lshl_add_u64 v[18:19], v[40:41], 2, s[8:9]
	global_load_dword v59, v[14:15], off
	global_load_dword v60, v[18:19], off
	v_lshl_add_u64 v[10:11], v[2:3], 0, v[46:47]
	v_mfma_f32_16x16x16_bf16 v[2:5], v[4:5], v[20:21], v[22:25]
	v_add_u32_e32 v46, 1, v51
	v_add_u32_e32 v47, 3, v51
	;; [unrolled: 1-line block ×3, first 2 shown]
	v_mfma_f32_16x16x16_bf16 v[14:17], v[16:17], v[20:21], v[34:37]
	v_add_u32_e32 v22, 2, v51
	s_nop 1
	v_pk_mul_f32 v[52:53], s[10:11], v[4:5] op_sel_hi:[0,1]
	v_cvt_f32_i32_e32 v18, v18
	v_mfma_f32_16x16x16_bf16 v[6:9], v[8:9], v[20:21], v[26:29]
	v_add_u32_e32 v19, 19, v51
	v_pk_mul_f32 v[34:35], s[10:11], v[16:17] op_sel_hi:[0,1]
	v_pk_mul_f32 v[36:37], s[10:11], v[14:15] op_sel_hi:[0,1]
	v_cvt_f32_i32_e32 v27, v22
	v_mfma_f32_16x16x16_bf16 v[22:25], v[12:13], v[20:21], v[30:33]
	v_pk_mul_f32 v[12:13], s[10:11], v[2:3] op_sel_hi:[0,1]
	v_cvt_f32_i32_e32 v26, v46
	v_cvt_f32_i32_e32 v28, v47
	v_pk_mul_f32 v[46:47], s[10:11], v[8:9] op_sel_hi:[0,1]
	v_pk_mul_f32 v[48:49], s[10:11], v[6:7] op_sel_hi:[0,1]
	v_cvt_f32_i32_e32 v19, v19
	v_fma_f32 v46, v50, v18, v46
	v_add_u32_e32 v18, 34, v51
	v_cvt_f32_i32_e32 v18, v18
	v_fmac_f32_e32 v47, v50, v19
	v_add_u32_e32 v19, 35, v51
	v_cvt_f32_i32_e32 v19, v19
	v_pk_mul_f32 v[40:41], s[10:11], v[22:23] op_sel_hi:[0,1]
	v_pk_mul_f32 v[38:39], s[10:11], v[24:25] op_sel_hi:[0,1]
	v_fma_f32 v38, v50, v18, v38
	v_add_u32_e32 v18, 50, v51
	s_waitcnt vmcnt(3)
	v_mad_i64_i32 v[2:3], s[4:5], v55, s45, 0
	s_waitcnt vmcnt(2)
	v_mad_i64_i32 v[4:5], s[4:5], v72, s45, 0
	v_lshl_add_u64 v[16:17], v[2:3], 1, v[10:11]
	v_lshl_add_u64 v[14:15], v[4:5], 1, v[10:11]
	global_load_dwordx4 v[6:9], v[16:17], off
	global_load_dwordx4 v[2:5], v[16:17], off offset:16
	v_add_u32_e32 v16, 16, v51
	v_cvt_f32_i32_e32 v16, v16
	v_add_u32_e32 v17, 17, v51
	v_cvt_f32_i32_e32 v17, v17
	v_fmac_f32_e32 v39, v50, v19
	v_fma_f32 v48, v50, v16, v48
	v_add_u32_e32 v16, 32, v51
	v_fmac_f32_e32 v49, v50, v17
	v_cvt_f32_i32_e32 v16, v16
	v_add_u32_e32 v17, 33, v51
	v_cvt_f32_i32_e32 v17, v17
	v_cvt_f32_i32_e32 v18, v18
	v_fma_f32 v40, v50, v16, v40
	v_add_u32_e32 v16, 48, v51
	v_fmac_f32_e32 v41, v50, v17
	v_cvt_f32_i32_e32 v16, v16
	v_add_u32_e32 v17, 49, v51
	v_cvt_f32_i32_e32 v17, v17
	v_add_u32_e32 v19, 51, v51
	v_cvt_f32_i32_e32 v19, v19
	v_fma_f32 v12, v50, v58, v12
	v_fmac_f32_e32 v13, v50, v26
	v_fma_f32 v36, v50, v16, v36
	v_mov_b32_e32 v16, 0xff7fffff
	v_cmp_gt_i32_e64 s[4:5], s29, v56
	v_fmac_f32_e32 v37, v50, v17
	v_fma_f32 v34, v50, v18, v34
	v_cndmask_b32_e64 v17, v16, v12, s[4:5]
	v_cndmask_b32_e64 v18, v16, v13, s[34:35]
	v_fmac_f32_e32 v35, v50, v19
	v_max3_f32 v17, v17, s33, v18
	v_or_b32_e32 v18, 2, v56
	v_or_b32_e32 v19, 3, v56
	v_fma_f32 v52, v50, v27, v52
	v_fmac_f32_e32 v53, v50, v28
	v_cmp_gt_i32_e64 s[36:37], s29, v18
	v_cmp_gt_i32_e64 s[38:39], s29, v19
	global_load_dwordx4 v[30:33], v[14:15], off
	global_load_dwordx4 v[26:29], v[14:15], off offset:16
	v_cndmask_b32_e64 v18, v16, v52, s[36:37]
	v_cndmask_b32_e64 v19, v16, v53, s[38:39]
	v_max3_f32 v17, v17, v18, v19
	v_or_b32_e32 v18, 16, v56
	v_or_b32_e32 v19, 17, v56
	v_cmp_gt_i32_e64 s[24:25], s29, v18
	v_cmp_gt_i32_e64 s[26:27], s29, v19
	s_nop 0
	v_cndmask_b32_e64 v18, v16, v48, s[24:25]
	v_cndmask_b32_e64 v19, v16, v49, s[26:27]
	v_max3_f32 v17, v17, v18, v19
	v_or_b32_e32 v18, 18, v56
	v_or_b32_e32 v19, 19, v56
	v_cmp_gt_i32_e64 s[20:21], s29, v18
	v_cmp_gt_i32_e64 s[22:23], s29, v19
	s_nop 0
	;; [unrolled: 8-line block ×5, first 2 shown]
	v_cndmask_b32_e64 v18, v16, v36, s[8:9]
	v_cndmask_b32_e64 v19, v16, v37, s[10:11]
	v_max3_f32 v17, v17, v18, v19
	v_or_b32_e32 v18, 50, v56
	v_or_b32_e32 v19, 51, v56
	v_cmp_gt_i32_e32 vcc, s29, v18
	v_cmp_gt_i32_e64 s[6:7], s29, v19
	s_nop 0
	v_cndmask_b32_e32 v18, v16, v34, vcc
	v_cndmask_b32_e64 v16, v16, v35, s[6:7]
	v_max3_f32 v16, v17, v18, v16
	v_mbcnt_lo_u32_b32 v17, -1, 0
	v_mbcnt_hi_u32_b32 v17, -1, v17
	v_and_b32_e32 v18, 64, v17
	v_add_u32_e32 v18, 64, v18
	v_xor_b32_e32 v19, 32, v17
	v_cmp_lt_i32_e64 s[40:41], v19, v18
	s_nop 1
	v_cndmask_b32_e64 v19, v17, v19, s[40:41]
	v_lshlrev_b32_e32 v56, 2, v19
	ds_bpermute_b32 v19, v56, v16
	s_waitcnt vmcnt(5)
	v_mad_i64_i32 v[14:15], s[40:41], v59, s45, 0
	v_lshl_add_u64 v[14:15], v[14:15], 1, v[10:11]
	s_waitcnt lgkmcnt(0)
	v_max_f32_e32 v19, v19, v19
	v_max_f32_e32 v16, v16, v19
	v_xor_b32_e32 v19, 16, v17
	v_cmp_lt_i32_e64 s[40:41], v19, v18
	s_nop 1
	v_cndmask_b32_e64 v17, v17, v19, s[40:41]
	v_lshlrev_b32_e32 v57, 2, v17
	ds_bpermute_b32 v17, v57, v16
	global_load_dwordx4 v[22:25], v[14:15], off
	global_load_dwordx4 v[18:21], v[14:15], off offset:16
	s_waitcnt vmcnt(6)
	v_mad_i64_i32 v[14:15], s[40:41], v60, s45, 0
	v_lshl_add_u64 v[10:11], v[14:15], 1, v[10:11]
	s_waitcnt lgkmcnt(0)
	v_max_f32_e32 v14, v17, v17
	v_max_f32_e32 v55, v16, v14
	v_sub_f32_e32 v12, v12, v55
	v_mul_f32_e32 v12, 0x3fb8aa3b, v12
	v_exp_f32_e32 v50, v12
	v_sub_f32_e32 v12, v13, v55
	v_mul_f32_e32 v12, 0x3fb8aa3b, v12
	v_exp_f32_e32 v51, v12
	global_load_dwordx4 v[14:17], v[10:11], off
	s_nop 0
	global_load_dwordx4 v[10:13], v[10:11], off offset:16
	v_sub_f32_e32 v52, v52, v55
	v_mul_f32_e32 v52, 0x3fb8aa3b, v52
	v_sub_f32_e32 v53, v53, v55
	v_exp_f32_e32 v52, v52
	v_mul_f32_e32 v53, 0x3fb8aa3b, v53
	v_sub_f32_e32 v48, v48, v55
	v_exp_f32_e32 v53, v53
	v_mul_f32_e32 v48, 0x3fb8aa3b, v48
	v_sub_f32_e32 v49, v49, v55
	v_cndmask_b32_e64 v50, 0, v50, s[4:5]
	v_exp_f32_e32 v48, v48
	v_mul_f32_e32 v49, 0x3fb8aa3b, v49
	v_sub_f32_e32 v46, v46, v55
	v_add_f32_e32 v58, 0, v50
	v_cndmask_b32_e64 v51, 0, v51, s[34:35]
	v_exp_f32_e32 v49, v49
	v_mul_f32_e32 v46, 0x3fb8aa3b, v46
	v_sub_f32_e32 v47, v47, v55
	v_add_f32_e32 v58, v58, v51
	;; [unrolled: 5-line block ×10, first 2 shown]
	v_cndmask_b32_e64 v38, 0, v38, s[12:13]
	v_exp_f32_e32 v34, v34
	v_mul_f32_e32 v35, 0x3fb8aa3b, v35
	v_add_f32_e32 v58, v58, v38
	v_cndmask_b32_e64 v39, 0, v39, s[14:15]
	v_exp_f32_e32 v35, v35
	v_add_f32_e32 v58, v58, v39
	v_cndmask_b32_e64 v36, 0, v36, s[8:9]
	v_add_f32_e32 v58, v58, v36
	v_cndmask_b32_e64 v37, 0, v37, s[10:11]
	v_add_f32_e32 v58, v58, v37
	v_cndmask_b32_e32 v34, 0, v34, vcc
	v_add_f32_e32 v58, v58, v34
	v_cndmask_b32_e64 v35, 0, v35, s[6:7]
	v_add_f32_e32 v58, v58, v35
	ds_bpermute_b32 v56, v56, v58
	s_load_dword s9, s[0:1], 0x98
	v_cmp_gt_u32_e64 s[6:7], 16, v45
	v_lshlrev_b32_e32 v45, 2, v44
	s_waitcnt lgkmcnt(0)
	v_add_f32_e32 v56, v58, v56
	ds_bpermute_b32 v57, v57, v56
	s_barrier
	s_waitcnt lgkmcnt(0)
	s_and_saveexec_b64 s[4:5], s[6:7]
	s_cbranch_execz .LBB504_17
; %bb.16:
	v_add_f32_e32 v56, v56, v57
	v_lshl_or_b32 v57, v1, 6, v45
	ds_write2st64_b32 v57, v55, v56 offset1:1
.LBB504_17:
	s_or_b64 exec, exec, s[4:5]
	s_load_dword s8, s[0:1], 0x94
	s_waitcnt lgkmcnt(0)
	s_barrier
	ds_read2_b32 v[56:57], v45 offset1:16
	ds_read2_b32 v[58:59], v45 offset0:32 offset1:48
	ds_read2_b32 v[60:61], v45 offset0:64 offset1:80
	;; [unrolled: 1-line block ×3, first 2 shown]
	s_movk_i32 s10, 0x7fff
	s_waitcnt lgkmcnt(3)
	v_max3_f32 v55, v56, s33, v57
	s_waitcnt lgkmcnt(2)
	v_max3_f32 v55, v55, v58, v59
	v_sub_f32_e32 v56, v56, v55
	v_mul_f32_e32 v56, 0x3fb8aa3b, v56
	v_exp_f32_e32 v64, v56
	v_sub_f32_e32 v56, v57, v55
	v_mul_f32_e32 v56, 0x3fb8aa3b, v56
	v_exp_f32_e32 v57, v56
	v_sub_f32_e32 v56, v58, v55
	v_mul_f32_e32 v56, 0x3fb8aa3b, v56
	v_sub_f32_e32 v45, v59, v55
	v_exp_f32_e32 v58, v56
	v_mul_f32_e32 v45, 0x3fb8aa3b, v45
	v_exp_f32_e32 v45, v45
	s_waitcnt lgkmcnt(1)
	v_fma_f32 v56, v64, v60, 0
	v_fmac_f32_e32 v56, v57, v61
	s_waitcnt lgkmcnt(0)
	v_fmac_f32_e32 v56, v58, v62
	v_fmac_f32_e32 v56, v45, v63
	v_add_f32_e32 v59, 0x358637bd, v56
	v_div_scale_f32 v60, s[4:5], v59, v59, 1.0
	v_rcp_f32_e32 v61, v60
	s_mov_b32 s11, 0x7060302
	s_mul_i32 s9, s9, 9
	v_fma_f32 v62, -v60, v61, 1.0
	v_fmac_f32_e32 v61, v62, v61
	v_div_scale_f32 v62, vcc, 1.0, v59, 1.0
	v_mul_f32_e32 v63, v62, v61
	v_fma_f32 v65, -v60, v63, v62
	v_fmac_f32_e32 v63, v65, v61
	v_fma_f32 v60, -v60, v63, v62
	v_div_fmas_f32 v60, v60, v61, v63
	v_cmp_eq_u32_e32 vcc, 1, v1
	v_div_fixup_f32 v59, v60, v59, 1.0
	s_barrier
	v_cndmask_b32_e32 v57, v64, v57, vcc
	v_cmp_eq_u32_e32 vcc, 2, v1
	s_nop 1
	v_cndmask_b32_e32 v57, v57, v58, vcc
	v_cmp_eq_u32_e32 vcc, 3, v1
	v_lshlrev_b32_e32 v1, 11, v1
	s_nop 0
	v_cndmask_b32_e32 v45, v57, v45, vcc
	v_mul_f32_e32 v58, v45, v59
	v_pk_mul_f32 v[50:51], v[58:59], v[50:51] op_sel_hi:[0,1]
	v_bfe_u32 v45, v51, 16, 1
	v_bfe_u32 v57, v50, 16, 1
	v_pk_mul_f32 v[52:53], v[58:59], v[52:53] op_sel_hi:[0,1]
	v_add3_u32 v50, v50, v57, s10
	v_add3_u32 v45, v51, v45, s10
	v_perm_b32 v60, v45, v50, s11
	v_bfe_u32 v45, v53, 16, 1
	v_bfe_u32 v50, v52, 16, 1
	v_add3_u32 v50, v52, v50, s10
	v_add3_u32 v45, v53, v45, s10
	v_perm_b32 v61, v45, v50, s11
	v_lshlrev_b32_e32 v45, 3, v54
	v_lshlrev_b32_e32 v50, 5, v44
	v_pk_mul_f32 v[48:49], v[58:59], v[48:49] op_sel_hi:[0,1]
	v_or3_b32 v1, v1, v50, v45
	v_bfe_u32 v45, v49, 16, 1
	v_bfe_u32 v51, v48, 16, 1
	v_pk_mul_f32 v[46:47], v[58:59], v[46:47] op_sel_hi:[0,1]
	v_add3_u32 v48, v48, v51, s10
	v_add3_u32 v45, v49, v45, s10
	v_perm_b32 v48, v45, v48, s11
	v_bfe_u32 v45, v47, 16, 1
	v_bfe_u32 v49, v46, 16, 1
	v_add3_u32 v46, v46, v49, s10
	v_add3_u32 v45, v47, v45, s10
	v_pk_mul_f32 v[40:41], v[58:59], v[40:41] op_sel_hi:[0,1]
	v_perm_b32 v49, v45, v46, s11
	v_bfe_u32 v45, v41, 16, 1
	v_bfe_u32 v46, v40, 16, 1
	v_pk_mul_f32 v[38:39], v[58:59], v[38:39] op_sel_hi:[0,1]
	v_add3_u32 v40, v40, v46, s10
	v_add3_u32 v41, v41, v45, s10
	v_perm_b32 v40, v41, v40, s11
	v_bfe_u32 v41, v39, 16, 1
	v_bfe_u32 v45, v38, 16, 1
	v_add3_u32 v38, v38, v45, s10
	v_add3_u32 v39, v39, v41, s10
	v_pk_mul_f32 v[36:37], v[58:59], v[36:37] op_sel_hi:[0,1]
	v_perm_b32 v41, v39, v38, s11
	v_bfe_u32 v38, v37, 16, 1
	v_bfe_u32 v39, v36, 16, 1
	v_pk_mul_f32 v[34:35], v[58:59], v[34:35] op_sel_hi:[0,1]
	v_add3_u32 v36, v36, v39, s10
	v_add3_u32 v37, v37, v38, s10
	v_perm_b32 v36, v37, v36, s11
	v_bfe_u32 v37, v35, 16, 1
	v_bfe_u32 v38, v34, 16, 1
	v_add3_u32 v34, v34, v38, s10
	v_add3_u32 v35, v35, v37, s10
	v_perm_b32 v37, v35, v34, s11
	v_cmp_gt_u32_e32 vcc, 9, v0
	ds_write2st64_b64 v1, v[60:61], v[48:49] offset1:1
	ds_write2st64_b64 v1, v[40:41], v[36:37] offset0:2 offset1:3
	s_and_saveexec_b64 s[4:5], vcc
	s_cbranch_execz .LBB504_19
; %bb.18:
	s_mov_b32 s43, 0
	v_mov_b32_e32 v45, 0
	v_lshl_add_u64 v[34:35], s[42:43], 0, v[44:45]
	v_mov_b32_e32 v36, s9
	v_mad_u64_u32 v[34:35], s[16:17], s2, v36, v[34:35]
	s_mul_i32 s3, s3, s9
	v_mov_b32_e32 v44, s28
	s_load_dwordx4 s[12:15], s[0:1], 0x58
	v_add_u32_e32 v37, s3, v35
	v_mad_u64_u32 v[34:35], s[16:17], v34, s8, v[44:45]
	v_mov_b32_e32 v36, v35
	v_mad_u64_u32 v[36:37], s[16:17], v37, s8, v[36:37]
	v_mov_b32_e32 v35, v36
	v_lshlrev_b64 v[34:35], 2, v[34:35]
	s_waitcnt lgkmcnt(0)
	v_lshl_add_u64 v[36:37], s[14:15], 0, v[34:35]
	v_lshl_add_u64 v[34:35], s[12:13], 0, v[34:35]
	global_store_dword v[36:37], v55, off
	global_store_dword v[34:35], v56, off
.LBB504_19:
	s_or_b64 exec, exec, s[4:5]
	v_lshl_or_b32 v48, v54, 9, v50
	s_waitcnt lgkmcnt(0)
	s_barrier
	ds_read_b128 v[34:37], v48
	ds_read_b128 v[38:41], v48 offset:16
	s_waitcnt vmcnt(7) lgkmcnt(1)
	v_mfma_f32_16x16x16_bf16 v[44:47], v[6:7], v[34:35], 0
	v_cmp_gt_u32_e32 vcc, 64, v0
	s_mov_b32 s3, 0
	s_and_b64 s[4:5], vcc, s[30:31]
	v_mfma_f32_16x16x16_bf16 v[6:9], v[8:9], v[36:37], v[44:47]
	s_waitcnt vmcnt(6) lgkmcnt(0)
	v_mfma_f32_16x16x16_bf16 v[6:9], v[2:3], v[38:39], v[6:9]
	v_mfma_f32_16x16x16_bf16 v[2:5], v[4:5], v[40:41], v[6:9]
	s_nop 5
	ds_read_b128 v[6:9], v48 offset:2048
	ds_read_b128 v[34:37], v48 offset:2064
	s_waitcnt vmcnt(5) lgkmcnt(1)
	v_mfma_f32_16x16x16_bf16 v[2:5], v[30:31], v[6:7], v[2:5]
	v_mfma_f32_16x16x16_bf16 v[2:5], v[32:33], v[8:9], v[2:5]
	s_waitcnt vmcnt(4) lgkmcnt(0)
	v_mfma_f32_16x16x16_bf16 v[2:5], v[26:27], v[34:35], v[2:5]
	v_mfma_f32_16x16x16_bf16 v[2:5], v[28:29], v[36:37], v[2:5]
	ds_read_b128 v[6:9], v48 offset:4096
	ds_read_b128 v[26:29], v48 offset:4112
	s_waitcnt vmcnt(3) lgkmcnt(1)
	v_mfma_f32_16x16x16_bf16 v[2:5], v[22:23], v[6:7], v[2:5]
	v_mfma_f32_16x16x16_bf16 v[2:5], v[24:25], v[8:9], v[2:5]
	s_waitcnt vmcnt(2) lgkmcnt(0)
	v_mfma_f32_16x16x16_bf16 v[2:5], v[18:19], v[26:27], v[2:5]
	v_mfma_f32_16x16x16_bf16 v[2:5], v[20:21], v[28:29], v[2:5]
	ds_read_b128 v[6:9], v48 offset:6144
	ds_read_b128 v[18:21], v48 offset:6160
	s_waitcnt lgkmcnt(0)
	s_barrier
	s_waitcnt vmcnt(1)
	v_mfma_f32_16x16x16_bf16 v[2:5], v[14:15], v[6:7], v[2:5]
	v_mfma_f32_16x16x16_bf16 v[2:5], v[16:17], v[8:9], v[2:5]
	s_waitcnt vmcnt(0)
	v_mfma_f32_16x16x16_bf16 v[2:5], v[10:11], v[18:19], v[2:5]
	v_mfma_f32_16x16x16_bf16 v[2:5], v[12:13], v[20:21], v[2:5]
	s_nop 6
	v_bfe_u32 v6, v3, 16, 1
	v_bfe_u32 v7, v2, 16, 1
	;; [unrolled: 1-line block ×4, first 2 shown]
	v_add3_u32 v2, v2, v7, s10
	v_add3_u32 v3, v3, v6, s10
	;; [unrolled: 1-line block ×4, first 2 shown]
	v_perm_b32 v2, v3, v2, s11
	v_perm_b32 v3, v5, v4, s11
	ds_write_b64 v1, v[2:3]
	s_waitcnt lgkmcnt(0)
	s_barrier
	s_and_saveexec_b64 s[10:11], s[4:5]
	s_cbranch_execz .LBB504_22
; %bb.20:
	s_load_dwordx2 s[4:5], s[0:1], 0x68
	s_lshl_b32 s0, s8, 6
	s_mul_i32 s1, s9, s2
	s_mul_hi_u32 s9, s1, s0
	s_mul_i32 s8, s1, s0
	v_lshlrev_b32_e32 v1, 10, v0
	v_lshlrev_b32_e32 v0, 4, v0
	s_lshl_b64 s[8:9], s[8:9], 1
	v_and_b32_e32 v1, 0x1800, v1
	v_lshlrev_b32_e32 v2, 5, v54
	v_and_b32_e32 v0, 16, v0
	s_waitcnt lgkmcnt(0)
	s_add_u32 s1, s4, s8
	v_or3_b32 v2, v1, v2, v0
	s_addc_u32 s4, s5, s9
	s_lshl_b32 s2, s28, 6
	s_lshl_b64 s[2:3], s[2:3], 1
	ds_read_b128 v[4:7], v2 offset:128
	ds_read_b128 v[8:11], v2
	s_add_u32 s2, s1, s2
	s_addc_u32 s3, s4, s3
	v_add_u32_e32 v3, s42, v54
	v_lshl_add_u64 v[0:1], v[42:43], 1, s[2:3]
	v_mad_u64_u32 v[12:13], s[2:3], v3, s0, 0
	v_lshl_add_u64 v[12:13], v[12:13], 1, v[0:1]
	v_add_u32_e32 v3, 4, v3
	s_waitcnt lgkmcnt(0)
	global_store_dwordx4 v[12:13], v[8:11], off
	s_nop 1
	v_mad_u64_u32 v[8:9], s[2:3], v3, s0, 0
	v_lshl_add_u64 v[8:9], v[8:9], 1, v[0:1]
	global_store_dwordx4 v[8:9], v[4:7], off
	s_and_b64 exec, exec, s[6:7]
	s_cbranch_execz .LBB504_22
; %bb.21:
	ds_read_b128 v[2:5], v2 offset:256
	v_add3_u32 v6, s42, v54, 8
	v_mad_u64_u32 v[6:7], s[0:1], v6, s0, 0
	v_lshl_add_u64 v[0:1], v[6:7], 1, v[0:1]
	s_waitcnt lgkmcnt(0)
	global_store_dwordx4 v[0:1], v[2:5], off
.LBB504_22:
	s_endpgm
	.section	.rodata,"a",@progbits
	.p2align	6, 0x0
	.amdhsa_kernel _Z39paged_attention_ll4mi_QKV_mfma16_kernelI14__hip_bfloat16S0_LN4vllm18Fp8KVCacheDataTypeE0EhLi32ELi64ELi256ELb1ELi9EEvPKT_PKT0_S8_ifPKiSA_SA_iPKfiiiPfSD_PS3_PT2_iSC_SC_
		.amdhsa_group_segment_fixed_size 8192
		.amdhsa_private_segment_fixed_size 0
		.amdhsa_kernarg_size 400
		.amdhsa_user_sgpr_count 2
		.amdhsa_user_sgpr_dispatch_ptr 0
		.amdhsa_user_sgpr_queue_ptr 0
		.amdhsa_user_sgpr_kernarg_segment_ptr 1
		.amdhsa_user_sgpr_dispatch_id 0
		.amdhsa_user_sgpr_kernarg_preload_length 0
		.amdhsa_user_sgpr_kernarg_preload_offset 0
		.amdhsa_user_sgpr_private_segment_size 0
		.amdhsa_uses_dynamic_stack 0
		.amdhsa_enable_private_segment 0
		.amdhsa_system_sgpr_workgroup_id_x 1
		.amdhsa_system_sgpr_workgroup_id_y 1
		.amdhsa_system_sgpr_workgroup_id_z 1
		.amdhsa_system_sgpr_workgroup_info 0
		.amdhsa_system_vgpr_workitem_id 0
		.amdhsa_next_free_vgpr 73
		.amdhsa_next_free_sgpr 48
		.amdhsa_accum_offset 76
		.amdhsa_reserve_vcc 1
		.amdhsa_float_round_mode_32 0
		.amdhsa_float_round_mode_16_64 0
		.amdhsa_float_denorm_mode_32 3
		.amdhsa_float_denorm_mode_16_64 3
		.amdhsa_dx10_clamp 1
		.amdhsa_ieee_mode 1
		.amdhsa_fp16_overflow 0
		.amdhsa_tg_split 0
		.amdhsa_exception_fp_ieee_invalid_op 0
		.amdhsa_exception_fp_denorm_src 0
		.amdhsa_exception_fp_ieee_div_zero 0
		.amdhsa_exception_fp_ieee_overflow 0
		.amdhsa_exception_fp_ieee_underflow 0
		.amdhsa_exception_fp_ieee_inexact 0
		.amdhsa_exception_int_div_zero 0
	.end_amdhsa_kernel
	.section	.text._Z39paged_attention_ll4mi_QKV_mfma16_kernelI14__hip_bfloat16S0_LN4vllm18Fp8KVCacheDataTypeE0EhLi32ELi64ELi256ELb1ELi9EEvPKT_PKT0_S8_ifPKiSA_SA_iPKfiiiPfSD_PS3_PT2_iSC_SC_,"axG",@progbits,_Z39paged_attention_ll4mi_QKV_mfma16_kernelI14__hip_bfloat16S0_LN4vllm18Fp8KVCacheDataTypeE0EhLi32ELi64ELi256ELb1ELi9EEvPKT_PKT0_S8_ifPKiSA_SA_iPKfiiiPfSD_PS3_PT2_iSC_SC_,comdat
.Lfunc_end504:
	.size	_Z39paged_attention_ll4mi_QKV_mfma16_kernelI14__hip_bfloat16S0_LN4vllm18Fp8KVCacheDataTypeE0EhLi32ELi64ELi256ELb1ELi9EEvPKT_PKT0_S8_ifPKiSA_SA_iPKfiiiPfSD_PS3_PT2_iSC_SC_, .Lfunc_end504-_Z39paged_attention_ll4mi_QKV_mfma16_kernelI14__hip_bfloat16S0_LN4vllm18Fp8KVCacheDataTypeE0EhLi32ELi64ELi256ELb1ELi9EEvPKT_PKT0_S8_ifPKiSA_SA_iPKfiiiPfSD_PS3_PT2_iSC_SC_
                                        ; -- End function
	.section	.AMDGPU.csdata,"",@progbits
; Kernel info:
; codeLenInByte = 4436
; NumSgprs: 54
; NumVgprs: 73
; NumAgprs: 0
; TotalNumVgprs: 73
; ScratchSize: 0
; MemoryBound: 0
; FloatMode: 240
; IeeeMode: 1
; LDSByteSize: 8192 bytes/workgroup (compile time only)
; SGPRBlocks: 6
; VGPRBlocks: 9
; NumSGPRsForWavesPerEU: 54
; NumVGPRsForWavesPerEU: 73
; AccumOffset: 76
; Occupancy: 6
; WaveLimiterHint : 1
; COMPUTE_PGM_RSRC2:SCRATCH_EN: 0
; COMPUTE_PGM_RSRC2:USER_SGPR: 2
; COMPUTE_PGM_RSRC2:TRAP_HANDLER: 0
; COMPUTE_PGM_RSRC2:TGID_X_EN: 1
; COMPUTE_PGM_RSRC2:TGID_Y_EN: 1
; COMPUTE_PGM_RSRC2:TGID_Z_EN: 1
; COMPUTE_PGM_RSRC2:TIDIG_COMP_CNT: 0
; COMPUTE_PGM_RSRC3_GFX90A:ACCUM_OFFSET: 18
; COMPUTE_PGM_RSRC3_GFX90A:TG_SPLIT: 0
	.section	.text._Z39paged_attention_ll4mi_QKV_mfma16_kernelI14__hip_bfloat16S0_LN4vllm18Fp8KVCacheDataTypeE0EhLi32ELi64ELi256ELb1ELi10EEvPKT_PKT0_S8_ifPKiSA_SA_iPKfiiiPfSD_PS3_PT2_iSC_SC_,"axG",@progbits,_Z39paged_attention_ll4mi_QKV_mfma16_kernelI14__hip_bfloat16S0_LN4vllm18Fp8KVCacheDataTypeE0EhLi32ELi64ELi256ELb1ELi10EEvPKT_PKT0_S8_ifPKiSA_SA_iPKfiiiPfSD_PS3_PT2_iSC_SC_,comdat
	.protected	_Z39paged_attention_ll4mi_QKV_mfma16_kernelI14__hip_bfloat16S0_LN4vllm18Fp8KVCacheDataTypeE0EhLi32ELi64ELi256ELb1ELi10EEvPKT_PKT0_S8_ifPKiSA_SA_iPKfiiiPfSD_PS3_PT2_iSC_SC_ ; -- Begin function _Z39paged_attention_ll4mi_QKV_mfma16_kernelI14__hip_bfloat16S0_LN4vllm18Fp8KVCacheDataTypeE0EhLi32ELi64ELi256ELb1ELi10EEvPKT_PKT0_S8_ifPKiSA_SA_iPKfiiiPfSD_PS3_PT2_iSC_SC_
	.globl	_Z39paged_attention_ll4mi_QKV_mfma16_kernelI14__hip_bfloat16S0_LN4vllm18Fp8KVCacheDataTypeE0EhLi32ELi64ELi256ELb1ELi10EEvPKT_PKT0_S8_ifPKiSA_SA_iPKfiiiPfSD_PS3_PT2_iSC_SC_
	.p2align	8
	.type	_Z39paged_attention_ll4mi_QKV_mfma16_kernelI14__hip_bfloat16S0_LN4vllm18Fp8KVCacheDataTypeE0EhLi32ELi64ELi256ELb1ELi10EEvPKT_PKT0_S8_ifPKiSA_SA_iPKfiiiPfSD_PS3_PT2_iSC_SC_,@function
_Z39paged_attention_ll4mi_QKV_mfma16_kernelI14__hip_bfloat16S0_LN4vllm18Fp8KVCacheDataTypeE0EhLi32ELi64ELi256ELb1ELi10EEvPKT_PKT0_S8_ifPKiSA_SA_iPKfiiiPfSD_PS3_PT2_iSC_SC_: ; @_Z39paged_attention_ll4mi_QKV_mfma16_kernelI14__hip_bfloat16S0_LN4vllm18Fp8KVCacheDataTypeE0EhLi32ELi64ELi256ELb1ELi10EEvPKT_PKT0_S8_ifPKiSA_SA_iPKfiiiPfSD_PS3_PT2_iSC_SC_
; %bb.0:
	s_load_dwordx2 s[6:7], s[0:1], 0x30
	s_mov_b32 s28, s3
	s_mov_b64 s[8:9], 0
	s_waitcnt lgkmcnt(0)
	s_cmp_lg_u64 s[6:7], 0
	s_cselect_b64 s[10:11], -1, 0
	s_and_b64 vcc, exec, s[10:11]
	s_cbranch_vccz .LBB505_7
; %bb.1:
	s_add_i32 s12, s2, 1
	s_mov_b32 s13, 0
	s_lshl_b64 s[14:15], s[12:13], 2
	s_add_u32 s14, s6, s14
	s_mov_b32 s3, s13
	s_addc_u32 s15, s7, s15
	s_lshl_b64 s[12:13], s[2:3], 2
	s_add_u32 s12, s6, s12
	s_addc_u32 s13, s7, s13
	s_load_dword s5, s[14:15], 0x0
	s_load_dword s16, s[12:13], 0x0
	s_waitcnt lgkmcnt(0)
	s_sub_i32 s5, s5, s16
	s_cmp_eq_u32 s5, 1
	s_cselect_b64 s[12:13], -1, 0
	s_andn2_b64 vcc, exec, s[8:9]
	s_cbranch_vccnz .LBB505_3
.LBB505_2:
	s_mov_b32 s3, 0
	s_mov_b64 s[12:13], -1
.LBB505_3:
	s_andn2_b64 vcc, exec, s[12:13]
	s_cbranch_vccnz .LBB505_22
; %bb.4:
	s_load_dwordx2 s[8:9], s[0:1], 0x28
	s_lshl_b64 s[12:13], s[2:3], 2
	s_waitcnt lgkmcnt(0)
	s_add_u32 s8, s8, s12
	s_addc_u32 s9, s9, s13
	s_load_dword s29, s[8:9], 0x0
	s_lshl_b32 s14, s28, 8
	s_waitcnt lgkmcnt(0)
	s_cmp_ge_i32 s14, s29
	s_cbranch_scc1 .LBB505_22
; %bb.5:
	s_load_dwordx2 s[8:9], s[0:1], 0x20
	s_load_dword s5, s[0:1], 0x38
	s_add_i32 s15, s29, 31
	s_ashr_i32 s16, s15, 31
	v_and_b32_e32 v1, 0xcf, v0
	s_lshr_b32 s16, s16, 27
	v_add_u32_e32 v1, s14, v1
	s_add_i32 s15, s15, s16
	v_ashrrev_i32_e32 v2, 31, v1
	s_ashr_i32 s15, s15, 5
	v_lshrrev_b32_e32 v6, 27, v2
	s_add_i32 s15, s15, -1
	s_waitcnt lgkmcnt(0)
	s_mul_i32 s16, s2, s5
	s_mov_b32 s17, 0
	v_add_u32_e32 v2, v1, v6
	s_lshl_b64 s[16:17], s[16:17], 2
	v_ashrrev_i32_e32 v2, 5, v2
	v_mov_b32_e32 v7, s15
	v_cmp_gt_i32_e32 vcc, s29, v1
	s_add_u32 s8, s8, s16
	s_addc_u32 s9, s9, s17
	v_cndmask_b32_e32 v2, v7, v2, vcc
	v_ashrrev_i32_e32 v3, 31, v2
	v_lshl_add_u64 v[4:5], v[2:3], 2, s[8:9]
	v_or_b32_e32 v2, 16, v1
	v_add_u32_e32 v3, v2, v6
	v_ashrrev_i32_e32 v3, 5, v3
	v_cmp_gt_i32_e32 vcc, s29, v2
	s_nop 1
	v_cndmask_b32_e32 v2, v7, v3, vcc
	v_ashrrev_i32_e32 v3, 31, v2
	v_lshl_add_u64 v[8:9], v[2:3], 2, s[8:9]
	v_or_b32_e32 v2, 32, v1
	v_add_u32_e32 v3, v2, v6
	v_ashrrev_i32_e32 v3, 5, v3
	v_cmp_gt_i32_e32 vcc, s29, v2
	v_or_b32_e32 v1, 48, v1
	s_nop 0
	v_cndmask_b32_e32 v2, v7, v3, vcc
	v_ashrrev_i32_e32 v3, 31, v2
	v_lshl_add_u64 v[12:13], v[2:3], 2, s[8:9]
	v_add_u32_e32 v2, v1, v6
	v_ashrrev_i32_e32 v2, 5, v2
	v_cmp_gt_i32_e32 vcc, s29, v1
	s_nop 1
	v_cndmask_b32_e32 v2, v7, v2, vcc
	v_ashrrev_i32_e32 v3, 31, v2
	v_lshl_add_u64 v[16:17], v[2:3], 2, s[8:9]
	global_load_dword v2, v[4:5], off
	global_load_dword v6, v[8:9], off
	;; [unrolled: 1-line block ×4, first 2 shown]
	s_andn2_b64 vcc, exec, s[10:11]
	s_cbranch_vccnz .LBB505_8
; %bb.6:
	s_add_u32 s6, s6, s12
	s_addc_u32 s7, s7, s13
	s_load_dword s5, s[6:7], 0x0
	s_branch .LBB505_9
.LBB505_7:
	s_mov_b64 s[12:13], 0
	s_branch .LBB505_2
.LBB505_8:
	s_mov_b32 s5, s2
.LBB505_9:
	s_load_dwordx2 s[10:11], s[0:1], 0x8
	s_load_dwordx4 s[44:47], s[0:1], 0x48
	v_lshrrev_b32_e32 v1, 6, v0
	v_bfe_u32 v54, v0, 4, 2
	v_lshl_or_b32 v3, v1, 2, v54
	v_and_b32_e32 v44, 15, v0
	v_cmp_lt_u32_e32 vcc, 9, v3
	v_cmp_lt_u32_e64 s[6:7], 7, v44
	v_lshlrev_b32_e32 v42, 3, v44
	v_cmp_gt_u32_e64 s[30:31], 8, v44
	s_or_b64 s[6:7], s[6:7], vcc
	s_and_saveexec_b64 s[12:13], s[6:7]
	s_xor_b64 s[6:7], exec, s[12:13]
; %bb.10:
	v_mov_b32_e32 v43, 0
                                        ; implicit-def: $vgpr3
; %bb.11:
	s_or_saveexec_b64 s[12:13], s[6:7]
	s_load_dwordx2 s[6:7], s[0:1], 0x10
	s_mul_i32 s42, s4, 10
	s_xor_b64 exec, exec, s[12:13]
	s_cbranch_execz .LBB505_13
; %bb.12:
	s_load_dwordx2 s[16:17], s[0:1], 0x0
	s_waitcnt lgkmcnt(0)
	s_ashr_i32 s18, s44, 31
	s_mul_hi_u32 s19, s5, s44
	s_mul_i32 s18, s5, s18
	s_add_i32 s19, s19, s18
	s_mul_i32 s18, s5, s44
	s_lshl_b64 s[18:19], s[18:19], 1
	s_add_u32 s16, s16, s18
	v_add_lshl_u32 v4, v3, s42, 6
	s_addc_u32 s17, s17, s19
	v_ashrrev_i32_e32 v5, 31, v4
	v_mov_b32_e32 v43, 0
	v_lshl_add_u64 v[4:5], v[4:5], 1, s[16:17]
	v_lshlrev_b32_e32 v8, 1, v42
	v_mov_b32_e32 v9, v43
	v_lshl_add_u64 v[4:5], v[4:5], 0, v[8:9]
	global_load_dwordx4 v[16:19], v[4:5], off
	v_and_b32_e32 v4, 3, v0
	v_lshlrev_b32_e32 v5, 9, v44
	v_lshlrev_b32_e32 v3, 5, v3
	;; [unrolled: 1-line block ×3, first 2 shown]
	v_and_b32_e32 v5, 0x1800, v5
	v_or3_b32 v3, v5, v4, v3
	s_waitcnt vmcnt(0)
	ds_write_b128 v3, v[16:19]
.LBB505_13:
	s_or_b64 exec, exec, s[12:13]
	s_waitcnt lgkmcnt(0)
	s_mul_i32 s4, s4, s46
	s_mov_b32 s5, 0
	s_lshl_b64 s[4:5], s[4:5], 1
	s_add_u32 s10, s10, s4
	s_addc_u32 s11, s11, s5
	s_waitcnt vmcnt(3)
	v_mad_i64_i32 v[2:3], s[12:13], v2, s45, 0
	v_lshl_add_u64 v[2:3], v[2:3], 1, s[10:11]
	v_lshlrev_b64 v[12:13], 1, v[42:43]
	v_lshlrev_b32_e32 v46, 9, v54
	v_lshl_add_u64 v[2:3], v[2:3], 0, v[12:13]
	v_mov_b32_e32 v47, 0
	v_lshl_add_u64 v[8:9], v[2:3], 0, v[46:47]
	s_barrier
	global_load_dwordx4 v[22:25], v[8:9], off
	global_load_dwordx4 v[2:5], v[8:9], off offset:2048
	s_waitcnt vmcnt(4)
	v_mad_i64_i32 v[6:7], s[12:13], v6, s45, 0
	v_mov_b32_e32 v8, 0x100
	v_lshl_add_u64 v[6:7], v[6:7], 1, s[10:11]
	v_lshl_or_b32 v16, v44, 4, v8
	v_mov_b32_e32 v17, v47
	s_waitcnt vmcnt(3)
	v_mad_i64_i32 v[10:11], s[12:13], v10, s45, 0
	v_lshl_add_u64 v[6:7], v[6:7], 0, v[16:17]
	v_lshl_add_u64 v[10:11], v[10:11], 1, s[10:11]
	s_waitcnt vmcnt(2)
	v_mad_i64_i32 v[14:15], s[12:13], v14, s45, 0
	v_lshl_add_u64 v[18:19], v[6:7], 0, v[46:47]
	v_lshl_add_u64 v[10:11], v[10:11], 0, v[12:13]
	;; [unrolled: 1-line block ×3, first 2 shown]
	global_load_dwordx4 v[26:29], v[18:19], off
	global_load_dwordx4 v[6:9], v[18:19], off offset:2048
	v_lshl_add_u64 v[18:19], v[10:11], 0, v[46:47]
	v_lshl_add_u64 v[14:15], v[14:15], 0, v[16:17]
	global_load_dwordx4 v[30:33], v[18:19], off
	global_load_dwordx4 v[10:13], v[18:19], off offset:2048
	v_lshl_add_u64 v[18:19], v[14:15], 0, v[46:47]
	global_load_dwordx4 v[34:37], v[18:19], off
	global_load_dwordx4 v[14:17], v[18:19], off offset:2048
	v_add_u32_e32 v18, -10, v44
	v_cmp_gt_u32_e32 vcc, 10, v44
	v_and_b32_e32 v45, 63, v0
	v_mov_b32_e32 v50, 0
	v_cndmask_b32_e32 v18, v18, v44, vcc
	v_lshl_add_u32 v18, v18, 5, v46
	ds_read_b128 v[38:41], v18
	ds_read_b128 v[18:21], v18 offset:2048
	s_and_saveexec_b64 s[10:11], vcc
	s_cbranch_execz .LBB505_15
; %bb.14:
	s_load_dwordx2 s[12:13], s[0:1], 0x40
	v_add_u32_e32 v48, s42, v44
	v_ashrrev_i32_e32 v49, 31, v48
	s_waitcnt lgkmcnt(0)
	v_lshl_add_u64 v[48:49], v[48:49], 2, s[12:13]
	global_load_dword v50, v[48:49], off
.LBB505_15:
	s_or_b64 exec, exec, s[10:11]
	s_ashr_i32 s10, s14, 31
	v_and_or_b32 v46, v0, 48, s14
	s_lshr_b32 s11, s10, 27
	v_add_u32_e32 v48, s11, v46
	v_or_b32_e32 v52, 64, v46
	v_ashrrev_i32_e32 v48, 5, v48
	v_mov_b32_e32 v51, s15
	v_cmp_gt_i32_e32 vcc, s29, v46
	v_add_u32_e32 v53, s11, v52
	s_waitcnt vmcnt(7) lgkmcnt(1)
	v_mfma_f32_16x16x16_bf16 v[56:59], v[22:23], v[38:39], 0
	v_cndmask_b32_e32 v48, v51, v48, vcc
	v_ashrrev_i32_e32 v22, 5, v53
	v_cmp_gt_i32_e32 vcc, s29, v52
	v_ashrrev_i32_e32 v49, 31, v48
	v_lshl_add_u64 v[48:49], v[48:49], 2, s[8:9]
	v_cndmask_b32_e32 v22, v51, v22, vcc
	v_ashrrev_i32_e32 v23, 31, v22
	v_lshl_add_u64 v[22:23], v[22:23], 2, s[8:9]
	global_load_dword v55, v[48:49], off
	global_load_dword v72, v[22:23], off
	s_waitcnt vmcnt(3)
	v_mfma_f32_16x16x16_bf16 v[68:71], v[34:35], v[38:39], 0
	v_or_b32_e32 v48, 0xc0, v46
	v_add_u32_e32 v52, s11, v48
	s_add_u32 s4, s6, s4
	v_mfma_f32_16x16x16_bf16 v[60:63], v[26:27], v[38:39], 0
	s_addc_u32 s5, s7, s5
	s_load_dword s10, s[0:1], 0x1c
	s_mov_b32 s33, 0xff7fffff
	v_mfma_f32_16x16x16_bf16 v[64:67], v[30:31], v[38:39], 0
	v_and_b32_e32 v31, 0xc0, v0
	v_or_b32_e32 v38, 0x80, v46
	v_add_u32_e32 v34, s14, v31
	v_mfma_f32_16x16x16_bf16 v[22:25], v[24:25], v[40:41], v[56:59]
	v_and_b32_e32 v30, 16, v0
	v_add_u32_e32 v49, s11, v38
	v_lshlrev_b32_e32 v46, 1, v30
	v_lshl_or_b32 v56, v54, 2, v34
	v_mfma_f32_16x16x16_bf16 v[34:37], v[36:37], v[40:41], v[68:71]
	v_cmp_gt_i32_e32 vcc, s29, v38
	v_lshlrev_b32_e32 v39, 6, v44
	v_or_b32_e32 v57, 1, v56
	v_mfma_f32_16x16x16_bf16 v[26:29], v[28:29], v[40:41], v[60:63]
	v_cmp_gt_i32_e64 s[34:35], s29, v57
	v_mfma_f32_16x16x16_bf16 v[30:33], v[32:33], v[40:41], v[64:67]
	v_ashrrev_i32_e32 v40, 5, v49
	v_ashrrev_i32_e32 v41, 5, v52
	v_cndmask_b32_e32 v38, v51, v40, vcc
	v_cmp_gt_i32_e32 vcc, s29, v48
	s_waitcnt lgkmcnt(0)
	v_mfma_f32_16x16x16_bf16 v[22:25], v[2:3], v[18:19], v[22:25]
	v_lshl_add_u64 v[2:3], s[4:5], 0, v[46:47]
	v_cndmask_b32_e32 v40, v51, v41, vcc
	v_lshl_or_b32 v46, v1, 10, v39
	v_ashrrev_i32_e32 v39, 31, v38
	v_ashrrev_i32_e32 v41, 31, v40
	s_waitcnt vmcnt(2)
	v_mfma_f32_16x16x16_bf16 v[34:37], v[14:15], v[18:19], v[34:37]
	v_lshl_add_u64 v[14:15], v[38:39], 2, s[8:9]
	v_subrev_u32_e32 v51, s29, v57
	v_cvt_f32_i32_e32 v58, v51
	v_mfma_f32_16x16x16_bf16 v[26:29], v[6:7], v[18:19], v[26:29]
	v_mfma_f32_16x16x16_bf16 v[30:33], v[10:11], v[18:19], v[30:33]
	v_lshl_add_u64 v[18:19], v[40:41], 2, s[8:9]
	global_load_dword v59, v[14:15], off
	global_load_dword v60, v[18:19], off
	v_lshl_add_u64 v[10:11], v[2:3], 0, v[46:47]
	v_mfma_f32_16x16x16_bf16 v[2:5], v[4:5], v[20:21], v[22:25]
	v_add_u32_e32 v46, 1, v51
	v_add_u32_e32 v47, 3, v51
	v_add_u32_e32 v18, 18, v51
	v_mfma_f32_16x16x16_bf16 v[14:17], v[16:17], v[20:21], v[34:37]
	v_add_u32_e32 v22, 2, v51
	s_nop 1
	v_pk_mul_f32 v[52:53], s[10:11], v[4:5] op_sel_hi:[0,1]
	v_cvt_f32_i32_e32 v18, v18
	v_mfma_f32_16x16x16_bf16 v[6:9], v[8:9], v[20:21], v[26:29]
	v_add_u32_e32 v19, 19, v51
	v_pk_mul_f32 v[34:35], s[10:11], v[16:17] op_sel_hi:[0,1]
	v_pk_mul_f32 v[36:37], s[10:11], v[14:15] op_sel_hi:[0,1]
	v_cvt_f32_i32_e32 v27, v22
	v_mfma_f32_16x16x16_bf16 v[22:25], v[12:13], v[20:21], v[30:33]
	v_pk_mul_f32 v[12:13], s[10:11], v[2:3] op_sel_hi:[0,1]
	v_cvt_f32_i32_e32 v26, v46
	v_cvt_f32_i32_e32 v28, v47
	v_pk_mul_f32 v[46:47], s[10:11], v[8:9] op_sel_hi:[0,1]
	v_pk_mul_f32 v[48:49], s[10:11], v[6:7] op_sel_hi:[0,1]
	v_cvt_f32_i32_e32 v19, v19
	v_fma_f32 v46, v50, v18, v46
	v_add_u32_e32 v18, 34, v51
	v_cvt_f32_i32_e32 v18, v18
	v_fmac_f32_e32 v47, v50, v19
	v_add_u32_e32 v19, 35, v51
	v_cvt_f32_i32_e32 v19, v19
	v_pk_mul_f32 v[40:41], s[10:11], v[22:23] op_sel_hi:[0,1]
	v_pk_mul_f32 v[38:39], s[10:11], v[24:25] op_sel_hi:[0,1]
	v_fma_f32 v38, v50, v18, v38
	v_add_u32_e32 v18, 50, v51
	s_waitcnt vmcnt(3)
	v_mad_i64_i32 v[2:3], s[4:5], v55, s45, 0
	s_waitcnt vmcnt(2)
	v_mad_i64_i32 v[4:5], s[4:5], v72, s45, 0
	v_lshl_add_u64 v[16:17], v[2:3], 1, v[10:11]
	v_lshl_add_u64 v[14:15], v[4:5], 1, v[10:11]
	global_load_dwordx4 v[6:9], v[16:17], off
	global_load_dwordx4 v[2:5], v[16:17], off offset:16
	v_add_u32_e32 v16, 16, v51
	v_cvt_f32_i32_e32 v16, v16
	v_add_u32_e32 v17, 17, v51
	v_cvt_f32_i32_e32 v17, v17
	v_fmac_f32_e32 v39, v50, v19
	v_fma_f32 v48, v50, v16, v48
	v_add_u32_e32 v16, 32, v51
	v_fmac_f32_e32 v49, v50, v17
	v_cvt_f32_i32_e32 v16, v16
	v_add_u32_e32 v17, 33, v51
	v_cvt_f32_i32_e32 v17, v17
	v_cvt_f32_i32_e32 v18, v18
	v_fma_f32 v40, v50, v16, v40
	v_add_u32_e32 v16, 48, v51
	v_fmac_f32_e32 v41, v50, v17
	v_cvt_f32_i32_e32 v16, v16
	v_add_u32_e32 v17, 49, v51
	v_cvt_f32_i32_e32 v17, v17
	v_add_u32_e32 v19, 51, v51
	v_cvt_f32_i32_e32 v19, v19
	v_fma_f32 v12, v50, v58, v12
	v_fmac_f32_e32 v13, v50, v26
	v_fma_f32 v36, v50, v16, v36
	v_mov_b32_e32 v16, 0xff7fffff
	v_cmp_gt_i32_e64 s[4:5], s29, v56
	v_fmac_f32_e32 v37, v50, v17
	v_fma_f32 v34, v50, v18, v34
	v_cndmask_b32_e64 v17, v16, v12, s[4:5]
	v_cndmask_b32_e64 v18, v16, v13, s[34:35]
	v_fmac_f32_e32 v35, v50, v19
	v_max3_f32 v17, v17, s33, v18
	v_or_b32_e32 v18, 2, v56
	v_or_b32_e32 v19, 3, v56
	v_fma_f32 v52, v50, v27, v52
	v_fmac_f32_e32 v53, v50, v28
	v_cmp_gt_i32_e64 s[36:37], s29, v18
	v_cmp_gt_i32_e64 s[38:39], s29, v19
	global_load_dwordx4 v[30:33], v[14:15], off
	global_load_dwordx4 v[26:29], v[14:15], off offset:16
	v_cndmask_b32_e64 v18, v16, v52, s[36:37]
	v_cndmask_b32_e64 v19, v16, v53, s[38:39]
	v_max3_f32 v17, v17, v18, v19
	v_or_b32_e32 v18, 16, v56
	v_or_b32_e32 v19, 17, v56
	v_cmp_gt_i32_e64 s[24:25], s29, v18
	v_cmp_gt_i32_e64 s[26:27], s29, v19
	s_nop 0
	v_cndmask_b32_e64 v18, v16, v48, s[24:25]
	v_cndmask_b32_e64 v19, v16, v49, s[26:27]
	v_max3_f32 v17, v17, v18, v19
	v_or_b32_e32 v18, 18, v56
	v_or_b32_e32 v19, 19, v56
	v_cmp_gt_i32_e64 s[20:21], s29, v18
	v_cmp_gt_i32_e64 s[22:23], s29, v19
	s_nop 0
	;; [unrolled: 8-line block ×5, first 2 shown]
	v_cndmask_b32_e64 v18, v16, v36, s[8:9]
	v_cndmask_b32_e64 v19, v16, v37, s[10:11]
	v_max3_f32 v17, v17, v18, v19
	v_or_b32_e32 v18, 50, v56
	v_or_b32_e32 v19, 51, v56
	v_cmp_gt_i32_e32 vcc, s29, v18
	v_cmp_gt_i32_e64 s[6:7], s29, v19
	s_nop 0
	v_cndmask_b32_e32 v18, v16, v34, vcc
	v_cndmask_b32_e64 v16, v16, v35, s[6:7]
	v_max3_f32 v16, v17, v18, v16
	v_mbcnt_lo_u32_b32 v17, -1, 0
	v_mbcnt_hi_u32_b32 v17, -1, v17
	v_and_b32_e32 v18, 64, v17
	v_add_u32_e32 v18, 64, v18
	v_xor_b32_e32 v19, 32, v17
	v_cmp_lt_i32_e64 s[40:41], v19, v18
	s_nop 1
	v_cndmask_b32_e64 v19, v17, v19, s[40:41]
	v_lshlrev_b32_e32 v56, 2, v19
	ds_bpermute_b32 v19, v56, v16
	s_waitcnt vmcnt(5)
	v_mad_i64_i32 v[14:15], s[40:41], v59, s45, 0
	v_lshl_add_u64 v[14:15], v[14:15], 1, v[10:11]
	s_waitcnt lgkmcnt(0)
	v_max_f32_e32 v19, v19, v19
	v_max_f32_e32 v16, v16, v19
	v_xor_b32_e32 v19, 16, v17
	v_cmp_lt_i32_e64 s[40:41], v19, v18
	s_nop 1
	v_cndmask_b32_e64 v17, v17, v19, s[40:41]
	v_lshlrev_b32_e32 v57, 2, v17
	ds_bpermute_b32 v17, v57, v16
	global_load_dwordx4 v[22:25], v[14:15], off
	global_load_dwordx4 v[18:21], v[14:15], off offset:16
	s_waitcnt vmcnt(6)
	v_mad_i64_i32 v[14:15], s[40:41], v60, s45, 0
	v_lshl_add_u64 v[10:11], v[14:15], 1, v[10:11]
	s_waitcnt lgkmcnt(0)
	v_max_f32_e32 v14, v17, v17
	v_max_f32_e32 v55, v16, v14
	v_sub_f32_e32 v12, v12, v55
	v_mul_f32_e32 v12, 0x3fb8aa3b, v12
	v_exp_f32_e32 v50, v12
	v_sub_f32_e32 v12, v13, v55
	v_mul_f32_e32 v12, 0x3fb8aa3b, v12
	v_exp_f32_e32 v51, v12
	global_load_dwordx4 v[14:17], v[10:11], off
	s_nop 0
	global_load_dwordx4 v[10:13], v[10:11], off offset:16
	v_sub_f32_e32 v52, v52, v55
	v_mul_f32_e32 v52, 0x3fb8aa3b, v52
	v_sub_f32_e32 v53, v53, v55
	v_exp_f32_e32 v52, v52
	v_mul_f32_e32 v53, 0x3fb8aa3b, v53
	v_sub_f32_e32 v48, v48, v55
	v_exp_f32_e32 v53, v53
	v_mul_f32_e32 v48, 0x3fb8aa3b, v48
	v_sub_f32_e32 v49, v49, v55
	v_cndmask_b32_e64 v50, 0, v50, s[4:5]
	v_exp_f32_e32 v48, v48
	v_mul_f32_e32 v49, 0x3fb8aa3b, v49
	v_sub_f32_e32 v46, v46, v55
	v_add_f32_e32 v58, 0, v50
	v_cndmask_b32_e64 v51, 0, v51, s[34:35]
	v_exp_f32_e32 v49, v49
	v_mul_f32_e32 v46, 0x3fb8aa3b, v46
	v_sub_f32_e32 v47, v47, v55
	v_add_f32_e32 v58, v58, v51
	;; [unrolled: 5-line block ×10, first 2 shown]
	v_cndmask_b32_e64 v38, 0, v38, s[12:13]
	v_exp_f32_e32 v34, v34
	v_mul_f32_e32 v35, 0x3fb8aa3b, v35
	v_add_f32_e32 v58, v58, v38
	v_cndmask_b32_e64 v39, 0, v39, s[14:15]
	v_exp_f32_e32 v35, v35
	v_add_f32_e32 v58, v58, v39
	v_cndmask_b32_e64 v36, 0, v36, s[8:9]
	v_add_f32_e32 v58, v58, v36
	v_cndmask_b32_e64 v37, 0, v37, s[10:11]
	v_add_f32_e32 v58, v58, v37
	v_cndmask_b32_e32 v34, 0, v34, vcc
	v_add_f32_e32 v58, v58, v34
	v_cndmask_b32_e64 v35, 0, v35, s[6:7]
	v_add_f32_e32 v58, v58, v35
	ds_bpermute_b32 v56, v56, v58
	s_load_dword s7, s[0:1], 0x98
	v_cmp_gt_u32_e32 vcc, 16, v45
	v_lshlrev_b32_e32 v45, 2, v44
	s_waitcnt lgkmcnt(0)
	v_add_f32_e32 v56, v58, v56
	ds_bpermute_b32 v57, v57, v56
	s_barrier
	s_waitcnt lgkmcnt(0)
	s_and_saveexec_b64 s[4:5], vcc
	s_cbranch_execz .LBB505_17
; %bb.16:
	v_add_f32_e32 v56, v56, v57
	v_lshl_or_b32 v57, v1, 6, v45
	ds_write2st64_b32 v57, v55, v56 offset1:1
.LBB505_17:
	s_or_b64 exec, exec, s[4:5]
	s_load_dword s6, s[0:1], 0x94
	s_waitcnt lgkmcnt(0)
	s_barrier
	ds_read2_b32 v[56:57], v45 offset1:16
	ds_read2_b32 v[58:59], v45 offset0:32 offset1:48
	ds_read2_b32 v[60:61], v45 offset0:64 offset1:80
	;; [unrolled: 1-line block ×3, first 2 shown]
	s_movk_i32 s8, 0x7fff
	s_waitcnt lgkmcnt(3)
	v_max3_f32 v55, v56, s33, v57
	s_waitcnt lgkmcnt(2)
	v_max3_f32 v55, v55, v58, v59
	v_sub_f32_e32 v56, v56, v55
	v_mul_f32_e32 v56, 0x3fb8aa3b, v56
	v_exp_f32_e32 v64, v56
	v_sub_f32_e32 v56, v57, v55
	v_mul_f32_e32 v56, 0x3fb8aa3b, v56
	v_exp_f32_e32 v57, v56
	v_sub_f32_e32 v56, v58, v55
	v_mul_f32_e32 v56, 0x3fb8aa3b, v56
	v_sub_f32_e32 v45, v59, v55
	v_exp_f32_e32 v58, v56
	v_mul_f32_e32 v45, 0x3fb8aa3b, v45
	v_exp_f32_e32 v45, v45
	s_waitcnt lgkmcnt(1)
	v_fma_f32 v56, v64, v60, 0
	v_fmac_f32_e32 v56, v57, v61
	s_waitcnt lgkmcnt(0)
	v_fmac_f32_e32 v56, v58, v62
	v_fmac_f32_e32 v56, v45, v63
	v_add_f32_e32 v59, 0x358637bd, v56
	v_div_scale_f32 v60, s[4:5], v59, v59, 1.0
	v_rcp_f32_e32 v61, v60
	s_mov_b32 s9, 0x7060302
	s_mul_i32 s7, s7, 10
	v_fma_f32 v62, -v60, v61, 1.0
	v_fmac_f32_e32 v61, v62, v61
	v_div_scale_f32 v62, vcc, 1.0, v59, 1.0
	v_mul_f32_e32 v63, v62, v61
	v_fma_f32 v65, -v60, v63, v62
	v_fmac_f32_e32 v63, v65, v61
	v_fma_f32 v60, -v60, v63, v62
	v_div_fmas_f32 v60, v60, v61, v63
	v_cmp_eq_u32_e32 vcc, 1, v1
	v_div_fixup_f32 v59, v60, v59, 1.0
	s_barrier
	v_cndmask_b32_e32 v57, v64, v57, vcc
	v_cmp_eq_u32_e32 vcc, 2, v1
	s_nop 1
	v_cndmask_b32_e32 v57, v57, v58, vcc
	v_cmp_eq_u32_e32 vcc, 3, v1
	v_lshlrev_b32_e32 v1, 11, v1
	s_nop 0
	v_cndmask_b32_e32 v45, v57, v45, vcc
	v_mul_f32_e32 v58, v45, v59
	v_pk_mul_f32 v[50:51], v[58:59], v[50:51] op_sel_hi:[0,1]
	v_bfe_u32 v45, v51, 16, 1
	v_bfe_u32 v57, v50, 16, 1
	v_pk_mul_f32 v[52:53], v[58:59], v[52:53] op_sel_hi:[0,1]
	v_add3_u32 v50, v50, v57, s8
	v_add3_u32 v45, v51, v45, s8
	v_perm_b32 v60, v45, v50, s9
	v_bfe_u32 v45, v53, 16, 1
	v_bfe_u32 v50, v52, 16, 1
	v_add3_u32 v50, v52, v50, s8
	v_add3_u32 v45, v53, v45, s8
	v_perm_b32 v61, v45, v50, s9
	v_lshlrev_b32_e32 v45, 3, v54
	v_lshlrev_b32_e32 v50, 5, v44
	v_pk_mul_f32 v[48:49], v[58:59], v[48:49] op_sel_hi:[0,1]
	v_or3_b32 v1, v1, v50, v45
	v_bfe_u32 v45, v49, 16, 1
	v_bfe_u32 v51, v48, 16, 1
	v_pk_mul_f32 v[46:47], v[58:59], v[46:47] op_sel_hi:[0,1]
	v_add3_u32 v48, v48, v51, s8
	v_add3_u32 v45, v49, v45, s8
	v_perm_b32 v48, v45, v48, s9
	v_bfe_u32 v45, v47, 16, 1
	v_bfe_u32 v49, v46, 16, 1
	v_add3_u32 v46, v46, v49, s8
	v_add3_u32 v45, v47, v45, s8
	v_pk_mul_f32 v[40:41], v[58:59], v[40:41] op_sel_hi:[0,1]
	v_perm_b32 v49, v45, v46, s9
	v_bfe_u32 v45, v41, 16, 1
	v_bfe_u32 v46, v40, 16, 1
	v_pk_mul_f32 v[38:39], v[58:59], v[38:39] op_sel_hi:[0,1]
	v_add3_u32 v40, v40, v46, s8
	v_add3_u32 v41, v41, v45, s8
	v_perm_b32 v40, v41, v40, s9
	v_bfe_u32 v41, v39, 16, 1
	v_bfe_u32 v45, v38, 16, 1
	v_add3_u32 v38, v38, v45, s8
	v_add3_u32 v39, v39, v41, s8
	v_pk_mul_f32 v[36:37], v[58:59], v[36:37] op_sel_hi:[0,1]
	v_perm_b32 v41, v39, v38, s9
	v_bfe_u32 v38, v37, 16, 1
	v_bfe_u32 v39, v36, 16, 1
	v_pk_mul_f32 v[34:35], v[58:59], v[34:35] op_sel_hi:[0,1]
	v_add3_u32 v36, v36, v39, s8
	v_add3_u32 v37, v37, v38, s8
	v_perm_b32 v36, v37, v36, s9
	v_bfe_u32 v37, v35, 16, 1
	v_bfe_u32 v38, v34, 16, 1
	v_add3_u32 v34, v34, v38, s8
	v_add3_u32 v35, v35, v37, s8
	v_perm_b32 v37, v35, v34, s9
	v_cmp_gt_u32_e32 vcc, 10, v0
	ds_write2st64_b64 v1, v[60:61], v[48:49] offset1:1
	ds_write2st64_b64 v1, v[40:41], v[36:37] offset0:2 offset1:3
	s_and_saveexec_b64 s[4:5], vcc
	s_cbranch_execz .LBB505_19
; %bb.18:
	s_mov_b32 s43, 0
	v_mov_b32_e32 v45, 0
	v_lshl_add_u64 v[34:35], s[42:43], 0, v[44:45]
	v_mov_b32_e32 v36, s7
	v_mad_u64_u32 v[34:35], s[10:11], s2, v36, v[34:35]
	s_mul_i32 s3, s3, s7
	v_mov_b32_e32 v44, s28
	s_load_dwordx4 s[12:15], s[0:1], 0x58
	v_add_u32_e32 v37, s3, v35
	v_mad_u64_u32 v[34:35], s[10:11], v34, s6, v[44:45]
	v_mov_b32_e32 v36, v35
	v_mad_u64_u32 v[36:37], s[10:11], v37, s6, v[36:37]
	v_mov_b32_e32 v35, v36
	v_lshlrev_b64 v[34:35], 2, v[34:35]
	s_waitcnt lgkmcnt(0)
	v_lshl_add_u64 v[36:37], s[14:15], 0, v[34:35]
	v_lshl_add_u64 v[34:35], s[12:13], 0, v[34:35]
	global_store_dword v[36:37], v55, off
	global_store_dword v[34:35], v56, off
.LBB505_19:
	s_or_b64 exec, exec, s[4:5]
	v_lshl_or_b32 v48, v54, 9, v50
	s_waitcnt lgkmcnt(0)
	s_barrier
	ds_read_b128 v[34:37], v48
	ds_read_b128 v[38:41], v48 offset:16
	s_waitcnt vmcnt(7) lgkmcnt(1)
	v_mfma_f32_16x16x16_bf16 v[44:47], v[6:7], v[34:35], 0
	v_cmp_gt_u32_e32 vcc, 64, v0
	s_mov_b32 s3, 0
	s_and_b64 s[4:5], vcc, s[30:31]
	v_mfma_f32_16x16x16_bf16 v[6:9], v[8:9], v[36:37], v[44:47]
	s_waitcnt vmcnt(6) lgkmcnt(0)
	v_mfma_f32_16x16x16_bf16 v[6:9], v[2:3], v[38:39], v[6:9]
	v_mfma_f32_16x16x16_bf16 v[2:5], v[4:5], v[40:41], v[6:9]
	s_nop 5
	ds_read_b128 v[6:9], v48 offset:2048
	ds_read_b128 v[34:37], v48 offset:2064
	s_waitcnt vmcnt(5) lgkmcnt(1)
	v_mfma_f32_16x16x16_bf16 v[2:5], v[30:31], v[6:7], v[2:5]
	v_mfma_f32_16x16x16_bf16 v[2:5], v[32:33], v[8:9], v[2:5]
	s_waitcnt vmcnt(4) lgkmcnt(0)
	v_mfma_f32_16x16x16_bf16 v[2:5], v[26:27], v[34:35], v[2:5]
	v_mfma_f32_16x16x16_bf16 v[2:5], v[28:29], v[36:37], v[2:5]
	ds_read_b128 v[6:9], v48 offset:4096
	ds_read_b128 v[26:29], v48 offset:4112
	s_waitcnt vmcnt(3) lgkmcnt(1)
	v_mfma_f32_16x16x16_bf16 v[2:5], v[22:23], v[6:7], v[2:5]
	v_mfma_f32_16x16x16_bf16 v[2:5], v[24:25], v[8:9], v[2:5]
	s_waitcnt vmcnt(2) lgkmcnt(0)
	v_mfma_f32_16x16x16_bf16 v[2:5], v[18:19], v[26:27], v[2:5]
	v_mfma_f32_16x16x16_bf16 v[2:5], v[20:21], v[28:29], v[2:5]
	ds_read_b128 v[6:9], v48 offset:6144
	ds_read_b128 v[18:21], v48 offset:6160
	s_waitcnt lgkmcnt(0)
	s_barrier
	s_waitcnt vmcnt(1)
	v_mfma_f32_16x16x16_bf16 v[2:5], v[14:15], v[6:7], v[2:5]
	v_mfma_f32_16x16x16_bf16 v[2:5], v[16:17], v[8:9], v[2:5]
	s_waitcnt vmcnt(0)
	v_mfma_f32_16x16x16_bf16 v[2:5], v[10:11], v[18:19], v[2:5]
	v_mfma_f32_16x16x16_bf16 v[2:5], v[12:13], v[20:21], v[2:5]
	s_nop 6
	v_bfe_u32 v6, v3, 16, 1
	v_bfe_u32 v7, v2, 16, 1
	;; [unrolled: 1-line block ×4, first 2 shown]
	v_add3_u32 v2, v2, v7, s8
	v_add3_u32 v3, v3, v6, s8
	;; [unrolled: 1-line block ×4, first 2 shown]
	v_perm_b32 v2, v3, v2, s9
	v_perm_b32 v3, v5, v4, s9
	ds_write_b64 v1, v[2:3]
	s_waitcnt lgkmcnt(0)
	s_barrier
	s_and_saveexec_b64 s[8:9], s[4:5]
	s_cbranch_execz .LBB505_22
; %bb.20:
	s_load_dwordx2 s[4:5], s[0:1], 0x68
	s_lshl_b32 s0, s6, 6
	s_mul_i32 s1, s7, s2
	s_mul_hi_u32 s7, s1, s0
	s_mul_i32 s6, s1, s0
	v_lshlrev_b32_e32 v1, 10, v0
	v_lshlrev_b32_e32 v0, 4, v0
	s_lshl_b64 s[6:7], s[6:7], 1
	v_and_b32_e32 v1, 0x1800, v1
	v_lshlrev_b32_e32 v2, 5, v54
	v_and_b32_e32 v0, 16, v0
	s_waitcnt lgkmcnt(0)
	s_add_u32 s1, s4, s6
	v_or3_b32 v2, v1, v2, v0
	s_addc_u32 s4, s5, s7
	s_lshl_b32 s2, s28, 6
	s_lshl_b64 s[2:3], s[2:3], 1
	ds_read_b128 v[4:7], v2 offset:128
	ds_read_b128 v[8:11], v2
	s_add_u32 s2, s1, s2
	s_addc_u32 s3, s4, s3
	v_add_u32_e32 v14, s42, v54
	v_lshl_add_u64 v[0:1], v[42:43], 1, s[2:3]
	v_mad_u64_u32 v[12:13], s[2:3], v14, s0, 0
	v_lshl_add_u64 v[12:13], v[12:13], 1, v[0:1]
	s_waitcnt lgkmcnt(0)
	global_store_dwordx4 v[12:13], v[8:11], off
	v_or_b32_e32 v3, 8, v54
	v_cmp_gt_u32_e32 vcc, 10, v3
	v_add_u32_e32 v8, 4, v14
	v_mad_u64_u32 v[8:9], s[2:3], v8, s0, 0
	v_lshl_add_u64 v[8:9], v[8:9], 1, v[0:1]
	global_store_dwordx4 v[8:9], v[4:7], off
	s_and_b64 exec, exec, vcc
	s_cbranch_execz .LBB505_22
; %bb.21:
	ds_read_b128 v[4:7], v2 offset:256
	v_add_u32_e32 v2, s42, v3
	v_mad_u64_u32 v[2:3], s[0:1], v2, s0, 0
	v_lshl_add_u64 v[0:1], v[2:3], 1, v[0:1]
	s_waitcnt lgkmcnt(0)
	global_store_dwordx4 v[0:1], v[4:7], off
.LBB505_22:
	s_endpgm
	.section	.rodata,"a",@progbits
	.p2align	6, 0x0
	.amdhsa_kernel _Z39paged_attention_ll4mi_QKV_mfma16_kernelI14__hip_bfloat16S0_LN4vllm18Fp8KVCacheDataTypeE0EhLi32ELi64ELi256ELb1ELi10EEvPKT_PKT0_S8_ifPKiSA_SA_iPKfiiiPfSD_PS3_PT2_iSC_SC_
		.amdhsa_group_segment_fixed_size 8192
		.amdhsa_private_segment_fixed_size 0
		.amdhsa_kernarg_size 400
		.amdhsa_user_sgpr_count 2
		.amdhsa_user_sgpr_dispatch_ptr 0
		.amdhsa_user_sgpr_queue_ptr 0
		.amdhsa_user_sgpr_kernarg_segment_ptr 1
		.amdhsa_user_sgpr_dispatch_id 0
		.amdhsa_user_sgpr_kernarg_preload_length 0
		.amdhsa_user_sgpr_kernarg_preload_offset 0
		.amdhsa_user_sgpr_private_segment_size 0
		.amdhsa_uses_dynamic_stack 0
		.amdhsa_enable_private_segment 0
		.amdhsa_system_sgpr_workgroup_id_x 1
		.amdhsa_system_sgpr_workgroup_id_y 1
		.amdhsa_system_sgpr_workgroup_id_z 1
		.amdhsa_system_sgpr_workgroup_info 0
		.amdhsa_system_vgpr_workitem_id 0
		.amdhsa_next_free_vgpr 73
		.amdhsa_next_free_sgpr 48
		.amdhsa_accum_offset 76
		.amdhsa_reserve_vcc 1
		.amdhsa_float_round_mode_32 0
		.amdhsa_float_round_mode_16_64 0
		.amdhsa_float_denorm_mode_32 3
		.amdhsa_float_denorm_mode_16_64 3
		.amdhsa_dx10_clamp 1
		.amdhsa_ieee_mode 1
		.amdhsa_fp16_overflow 0
		.amdhsa_tg_split 0
		.amdhsa_exception_fp_ieee_invalid_op 0
		.amdhsa_exception_fp_denorm_src 0
		.amdhsa_exception_fp_ieee_div_zero 0
		.amdhsa_exception_fp_ieee_overflow 0
		.amdhsa_exception_fp_ieee_underflow 0
		.amdhsa_exception_fp_ieee_inexact 0
		.amdhsa_exception_int_div_zero 0
	.end_amdhsa_kernel
	.section	.text._Z39paged_attention_ll4mi_QKV_mfma16_kernelI14__hip_bfloat16S0_LN4vllm18Fp8KVCacheDataTypeE0EhLi32ELi64ELi256ELb1ELi10EEvPKT_PKT0_S8_ifPKiSA_SA_iPKfiiiPfSD_PS3_PT2_iSC_SC_,"axG",@progbits,_Z39paged_attention_ll4mi_QKV_mfma16_kernelI14__hip_bfloat16S0_LN4vllm18Fp8KVCacheDataTypeE0EhLi32ELi64ELi256ELb1ELi10EEvPKT_PKT0_S8_ifPKiSA_SA_iPKfiiiPfSD_PS3_PT2_iSC_SC_,comdat
.Lfunc_end505:
	.size	_Z39paged_attention_ll4mi_QKV_mfma16_kernelI14__hip_bfloat16S0_LN4vllm18Fp8KVCacheDataTypeE0EhLi32ELi64ELi256ELb1ELi10EEvPKT_PKT0_S8_ifPKiSA_SA_iPKfiiiPfSD_PS3_PT2_iSC_SC_, .Lfunc_end505-_Z39paged_attention_ll4mi_QKV_mfma16_kernelI14__hip_bfloat16S0_LN4vllm18Fp8KVCacheDataTypeE0EhLi32ELi64ELi256ELb1ELi10EEvPKT_PKT0_S8_ifPKiSA_SA_iPKfiiiPfSD_PS3_PT2_iSC_SC_
                                        ; -- End function
	.section	.AMDGPU.csdata,"",@progbits
; Kernel info:
; codeLenInByte = 4432
; NumSgprs: 54
; NumVgprs: 73
; NumAgprs: 0
; TotalNumVgprs: 73
; ScratchSize: 0
; MemoryBound: 0
; FloatMode: 240
; IeeeMode: 1
; LDSByteSize: 8192 bytes/workgroup (compile time only)
; SGPRBlocks: 6
; VGPRBlocks: 9
; NumSGPRsForWavesPerEU: 54
; NumVGPRsForWavesPerEU: 73
; AccumOffset: 76
; Occupancy: 6
; WaveLimiterHint : 1
; COMPUTE_PGM_RSRC2:SCRATCH_EN: 0
; COMPUTE_PGM_RSRC2:USER_SGPR: 2
; COMPUTE_PGM_RSRC2:TRAP_HANDLER: 0
; COMPUTE_PGM_RSRC2:TGID_X_EN: 1
; COMPUTE_PGM_RSRC2:TGID_Y_EN: 1
; COMPUTE_PGM_RSRC2:TGID_Z_EN: 1
; COMPUTE_PGM_RSRC2:TIDIG_COMP_CNT: 0
; COMPUTE_PGM_RSRC3_GFX90A:ACCUM_OFFSET: 18
; COMPUTE_PGM_RSRC3_GFX90A:TG_SPLIT: 0
	.section	.text._Z39paged_attention_ll4mi_QKV_mfma16_kernelI14__hip_bfloat16S0_LN4vllm18Fp8KVCacheDataTypeE0EhLi32ELi64ELi256ELb1ELi11EEvPKT_PKT0_S8_ifPKiSA_SA_iPKfiiiPfSD_PS3_PT2_iSC_SC_,"axG",@progbits,_Z39paged_attention_ll4mi_QKV_mfma16_kernelI14__hip_bfloat16S0_LN4vllm18Fp8KVCacheDataTypeE0EhLi32ELi64ELi256ELb1ELi11EEvPKT_PKT0_S8_ifPKiSA_SA_iPKfiiiPfSD_PS3_PT2_iSC_SC_,comdat
	.protected	_Z39paged_attention_ll4mi_QKV_mfma16_kernelI14__hip_bfloat16S0_LN4vllm18Fp8KVCacheDataTypeE0EhLi32ELi64ELi256ELb1ELi11EEvPKT_PKT0_S8_ifPKiSA_SA_iPKfiiiPfSD_PS3_PT2_iSC_SC_ ; -- Begin function _Z39paged_attention_ll4mi_QKV_mfma16_kernelI14__hip_bfloat16S0_LN4vllm18Fp8KVCacheDataTypeE0EhLi32ELi64ELi256ELb1ELi11EEvPKT_PKT0_S8_ifPKiSA_SA_iPKfiiiPfSD_PS3_PT2_iSC_SC_
	.globl	_Z39paged_attention_ll4mi_QKV_mfma16_kernelI14__hip_bfloat16S0_LN4vllm18Fp8KVCacheDataTypeE0EhLi32ELi64ELi256ELb1ELi11EEvPKT_PKT0_S8_ifPKiSA_SA_iPKfiiiPfSD_PS3_PT2_iSC_SC_
	.p2align	8
	.type	_Z39paged_attention_ll4mi_QKV_mfma16_kernelI14__hip_bfloat16S0_LN4vllm18Fp8KVCacheDataTypeE0EhLi32ELi64ELi256ELb1ELi11EEvPKT_PKT0_S8_ifPKiSA_SA_iPKfiiiPfSD_PS3_PT2_iSC_SC_,@function
_Z39paged_attention_ll4mi_QKV_mfma16_kernelI14__hip_bfloat16S0_LN4vllm18Fp8KVCacheDataTypeE0EhLi32ELi64ELi256ELb1ELi11EEvPKT_PKT0_S8_ifPKiSA_SA_iPKfiiiPfSD_PS3_PT2_iSC_SC_: ; @_Z39paged_attention_ll4mi_QKV_mfma16_kernelI14__hip_bfloat16S0_LN4vllm18Fp8KVCacheDataTypeE0EhLi32ELi64ELi256ELb1ELi11EEvPKT_PKT0_S8_ifPKiSA_SA_iPKfiiiPfSD_PS3_PT2_iSC_SC_
; %bb.0:
	s_load_dwordx2 s[6:7], s[0:1], 0x30
	s_mov_b32 s28, s3
	s_mov_b64 s[8:9], 0
	s_waitcnt lgkmcnt(0)
	s_cmp_lg_u64 s[6:7], 0
	s_cselect_b64 s[10:11], -1, 0
	s_and_b64 vcc, exec, s[10:11]
	s_cbranch_vccz .LBB506_7
; %bb.1:
	s_add_i32 s12, s2, 1
	s_mov_b32 s13, 0
	s_lshl_b64 s[14:15], s[12:13], 2
	s_add_u32 s14, s6, s14
	s_mov_b32 s3, s13
	s_addc_u32 s15, s7, s15
	s_lshl_b64 s[12:13], s[2:3], 2
	s_add_u32 s12, s6, s12
	s_addc_u32 s13, s7, s13
	s_load_dword s5, s[14:15], 0x0
	s_load_dword s16, s[12:13], 0x0
	s_waitcnt lgkmcnt(0)
	s_sub_i32 s5, s5, s16
	s_cmp_eq_u32 s5, 1
	s_cselect_b64 s[12:13], -1, 0
	s_andn2_b64 vcc, exec, s[8:9]
	s_cbranch_vccnz .LBB506_3
.LBB506_2:
	s_mov_b32 s3, 0
	s_mov_b64 s[12:13], -1
.LBB506_3:
	s_andn2_b64 vcc, exec, s[12:13]
	s_cbranch_vccnz .LBB506_22
; %bb.4:
	s_load_dwordx2 s[8:9], s[0:1], 0x28
	s_lshl_b64 s[12:13], s[2:3], 2
	s_waitcnt lgkmcnt(0)
	s_add_u32 s8, s8, s12
	s_addc_u32 s9, s9, s13
	s_load_dword s29, s[8:9], 0x0
	s_lshl_b32 s14, s28, 8
	s_waitcnt lgkmcnt(0)
	s_cmp_ge_i32 s14, s29
	s_cbranch_scc1 .LBB506_22
; %bb.5:
	s_load_dwordx2 s[8:9], s[0:1], 0x20
	s_load_dword s5, s[0:1], 0x38
	s_add_i32 s15, s29, 31
	s_ashr_i32 s16, s15, 31
	v_and_b32_e32 v1, 0xcf, v0
	s_lshr_b32 s16, s16, 27
	v_add_u32_e32 v1, s14, v1
	s_add_i32 s15, s15, s16
	v_ashrrev_i32_e32 v2, 31, v1
	s_ashr_i32 s15, s15, 5
	v_lshrrev_b32_e32 v6, 27, v2
	s_add_i32 s15, s15, -1
	s_waitcnt lgkmcnt(0)
	s_mul_i32 s16, s2, s5
	s_mov_b32 s17, 0
	v_add_u32_e32 v2, v1, v6
	s_lshl_b64 s[16:17], s[16:17], 2
	v_ashrrev_i32_e32 v2, 5, v2
	v_mov_b32_e32 v7, s15
	v_cmp_gt_i32_e32 vcc, s29, v1
	s_add_u32 s8, s8, s16
	s_addc_u32 s9, s9, s17
	v_cndmask_b32_e32 v2, v7, v2, vcc
	v_ashrrev_i32_e32 v3, 31, v2
	v_lshl_add_u64 v[4:5], v[2:3], 2, s[8:9]
	v_or_b32_e32 v2, 16, v1
	v_add_u32_e32 v3, v2, v6
	v_ashrrev_i32_e32 v3, 5, v3
	v_cmp_gt_i32_e32 vcc, s29, v2
	s_nop 1
	v_cndmask_b32_e32 v2, v7, v3, vcc
	v_ashrrev_i32_e32 v3, 31, v2
	v_lshl_add_u64 v[8:9], v[2:3], 2, s[8:9]
	v_or_b32_e32 v2, 32, v1
	v_add_u32_e32 v3, v2, v6
	v_ashrrev_i32_e32 v3, 5, v3
	v_cmp_gt_i32_e32 vcc, s29, v2
	v_or_b32_e32 v1, 48, v1
	s_nop 0
	v_cndmask_b32_e32 v2, v7, v3, vcc
	v_ashrrev_i32_e32 v3, 31, v2
	v_lshl_add_u64 v[12:13], v[2:3], 2, s[8:9]
	v_add_u32_e32 v2, v1, v6
	v_ashrrev_i32_e32 v2, 5, v2
	v_cmp_gt_i32_e32 vcc, s29, v1
	s_nop 1
	v_cndmask_b32_e32 v2, v7, v2, vcc
	v_ashrrev_i32_e32 v3, 31, v2
	v_lshl_add_u64 v[16:17], v[2:3], 2, s[8:9]
	global_load_dword v2, v[4:5], off
	global_load_dword v6, v[8:9], off
	;; [unrolled: 1-line block ×4, first 2 shown]
	s_andn2_b64 vcc, exec, s[10:11]
	s_cbranch_vccnz .LBB506_8
; %bb.6:
	s_add_u32 s6, s6, s12
	s_addc_u32 s7, s7, s13
	s_load_dword s5, s[6:7], 0x0
	s_branch .LBB506_9
.LBB506_7:
	s_mov_b64 s[12:13], 0
	s_branch .LBB506_2
.LBB506_8:
	s_mov_b32 s5, s2
.LBB506_9:
	s_load_dwordx2 s[10:11], s[0:1], 0x8
	s_load_dwordx4 s[44:47], s[0:1], 0x48
	v_lshrrev_b32_e32 v1, 6, v0
	v_bfe_u32 v54, v0, 4, 2
	v_lshl_or_b32 v3, v1, 2, v54
	v_and_b32_e32 v44, 15, v0
	v_cmp_lt_u32_e32 vcc, 10, v3
	v_cmp_lt_u32_e64 s[6:7], 7, v44
	v_lshlrev_b32_e32 v42, 3, v44
	v_cmp_gt_u32_e64 s[30:31], 8, v44
	s_or_b64 s[6:7], s[6:7], vcc
	s_and_saveexec_b64 s[12:13], s[6:7]
	s_xor_b64 s[6:7], exec, s[12:13]
; %bb.10:
	v_mov_b32_e32 v43, 0
                                        ; implicit-def: $vgpr3
; %bb.11:
	s_or_saveexec_b64 s[12:13], s[6:7]
	s_load_dwordx2 s[6:7], s[0:1], 0x10
	s_mul_i32 s42, s4, 11
	s_xor_b64 exec, exec, s[12:13]
	s_cbranch_execz .LBB506_13
; %bb.12:
	s_load_dwordx2 s[16:17], s[0:1], 0x0
	s_waitcnt lgkmcnt(0)
	s_ashr_i32 s18, s44, 31
	s_mul_hi_u32 s19, s5, s44
	s_mul_i32 s18, s5, s18
	s_add_i32 s19, s19, s18
	s_mul_i32 s18, s5, s44
	s_lshl_b64 s[18:19], s[18:19], 1
	s_add_u32 s16, s16, s18
	v_add_lshl_u32 v4, v3, s42, 6
	s_addc_u32 s17, s17, s19
	v_ashrrev_i32_e32 v5, 31, v4
	v_mov_b32_e32 v43, 0
	v_lshl_add_u64 v[4:5], v[4:5], 1, s[16:17]
	v_lshlrev_b32_e32 v8, 1, v42
	v_mov_b32_e32 v9, v43
	v_lshl_add_u64 v[4:5], v[4:5], 0, v[8:9]
	global_load_dwordx4 v[16:19], v[4:5], off
	v_and_b32_e32 v4, 3, v0
	v_lshlrev_b32_e32 v5, 9, v44
	v_lshlrev_b32_e32 v3, 5, v3
	;; [unrolled: 1-line block ×3, first 2 shown]
	v_and_b32_e32 v5, 0x1800, v5
	v_or3_b32 v3, v5, v4, v3
	s_waitcnt vmcnt(0)
	ds_write_b128 v3, v[16:19]
.LBB506_13:
	s_or_b64 exec, exec, s[12:13]
	s_waitcnt lgkmcnt(0)
	s_mul_i32 s4, s4, s46
	s_mov_b32 s5, 0
	s_lshl_b64 s[4:5], s[4:5], 1
	s_add_u32 s10, s10, s4
	s_addc_u32 s11, s11, s5
	s_waitcnt vmcnt(3)
	v_mad_i64_i32 v[2:3], s[12:13], v2, s45, 0
	v_lshl_add_u64 v[2:3], v[2:3], 1, s[10:11]
	v_lshlrev_b64 v[12:13], 1, v[42:43]
	v_lshlrev_b32_e32 v46, 9, v54
	v_lshl_add_u64 v[2:3], v[2:3], 0, v[12:13]
	v_mov_b32_e32 v47, 0
	v_lshl_add_u64 v[8:9], v[2:3], 0, v[46:47]
	s_barrier
	global_load_dwordx4 v[22:25], v[8:9], off
	global_load_dwordx4 v[2:5], v[8:9], off offset:2048
	s_waitcnt vmcnt(4)
	v_mad_i64_i32 v[6:7], s[12:13], v6, s45, 0
	v_mov_b32_e32 v8, 0x100
	v_lshl_add_u64 v[6:7], v[6:7], 1, s[10:11]
	v_lshl_or_b32 v16, v44, 4, v8
	v_mov_b32_e32 v17, v47
	s_waitcnt vmcnt(3)
	v_mad_i64_i32 v[10:11], s[12:13], v10, s45, 0
	v_lshl_add_u64 v[6:7], v[6:7], 0, v[16:17]
	v_lshl_add_u64 v[10:11], v[10:11], 1, s[10:11]
	s_waitcnt vmcnt(2)
	v_mad_i64_i32 v[14:15], s[12:13], v14, s45, 0
	v_lshl_add_u64 v[18:19], v[6:7], 0, v[46:47]
	v_lshl_add_u64 v[10:11], v[10:11], 0, v[12:13]
	;; [unrolled: 1-line block ×3, first 2 shown]
	global_load_dwordx4 v[26:29], v[18:19], off
	global_load_dwordx4 v[6:9], v[18:19], off offset:2048
	v_lshl_add_u64 v[18:19], v[10:11], 0, v[46:47]
	v_lshl_add_u64 v[14:15], v[14:15], 0, v[16:17]
	global_load_dwordx4 v[30:33], v[18:19], off
	global_load_dwordx4 v[10:13], v[18:19], off offset:2048
	v_lshl_add_u64 v[18:19], v[14:15], 0, v[46:47]
	global_load_dwordx4 v[34:37], v[18:19], off
	global_load_dwordx4 v[14:17], v[18:19], off offset:2048
	v_add_u32_e32 v18, -11, v44
	v_cmp_gt_u32_e32 vcc, 11, v44
	v_and_b32_e32 v45, 63, v0
	v_mov_b32_e32 v50, 0
	v_cndmask_b32_e32 v18, v18, v44, vcc
	v_lshl_add_u32 v18, v18, 5, v46
	ds_read_b128 v[38:41], v18
	ds_read_b128 v[18:21], v18 offset:2048
	s_and_saveexec_b64 s[10:11], vcc
	s_cbranch_execz .LBB506_15
; %bb.14:
	s_load_dwordx2 s[12:13], s[0:1], 0x40
	v_add_u32_e32 v48, s42, v44
	v_ashrrev_i32_e32 v49, 31, v48
	s_waitcnt lgkmcnt(0)
	v_lshl_add_u64 v[48:49], v[48:49], 2, s[12:13]
	global_load_dword v50, v[48:49], off
.LBB506_15:
	s_or_b64 exec, exec, s[10:11]
	s_ashr_i32 s10, s14, 31
	v_and_or_b32 v46, v0, 48, s14
	s_lshr_b32 s11, s10, 27
	v_add_u32_e32 v48, s11, v46
	v_or_b32_e32 v52, 64, v46
	v_ashrrev_i32_e32 v48, 5, v48
	v_mov_b32_e32 v51, s15
	v_cmp_gt_i32_e32 vcc, s29, v46
	v_add_u32_e32 v53, s11, v52
	s_waitcnt vmcnt(7) lgkmcnt(1)
	v_mfma_f32_16x16x16_bf16 v[56:59], v[22:23], v[38:39], 0
	v_cndmask_b32_e32 v48, v51, v48, vcc
	v_ashrrev_i32_e32 v22, 5, v53
	v_cmp_gt_i32_e32 vcc, s29, v52
	v_ashrrev_i32_e32 v49, 31, v48
	v_lshl_add_u64 v[48:49], v[48:49], 2, s[8:9]
	v_cndmask_b32_e32 v22, v51, v22, vcc
	v_ashrrev_i32_e32 v23, 31, v22
	v_lshl_add_u64 v[22:23], v[22:23], 2, s[8:9]
	global_load_dword v55, v[48:49], off
	global_load_dword v72, v[22:23], off
	s_waitcnt vmcnt(3)
	v_mfma_f32_16x16x16_bf16 v[68:71], v[34:35], v[38:39], 0
	v_or_b32_e32 v48, 0xc0, v46
	v_add_u32_e32 v52, s11, v48
	s_add_u32 s4, s6, s4
	v_mfma_f32_16x16x16_bf16 v[60:63], v[26:27], v[38:39], 0
	s_addc_u32 s5, s7, s5
	s_load_dword s10, s[0:1], 0x1c
	s_mov_b32 s33, 0xff7fffff
	v_mfma_f32_16x16x16_bf16 v[64:67], v[30:31], v[38:39], 0
	v_and_b32_e32 v31, 0xc0, v0
	v_or_b32_e32 v38, 0x80, v46
	v_add_u32_e32 v34, s14, v31
	v_mfma_f32_16x16x16_bf16 v[22:25], v[24:25], v[40:41], v[56:59]
	v_and_b32_e32 v30, 16, v0
	v_add_u32_e32 v49, s11, v38
	v_lshlrev_b32_e32 v46, 1, v30
	v_lshl_or_b32 v56, v54, 2, v34
	v_mfma_f32_16x16x16_bf16 v[34:37], v[36:37], v[40:41], v[68:71]
	v_cmp_gt_i32_e32 vcc, s29, v38
	v_lshlrev_b32_e32 v39, 6, v44
	v_or_b32_e32 v57, 1, v56
	v_mfma_f32_16x16x16_bf16 v[26:29], v[28:29], v[40:41], v[60:63]
	v_cmp_gt_i32_e64 s[34:35], s29, v57
	v_mfma_f32_16x16x16_bf16 v[30:33], v[32:33], v[40:41], v[64:67]
	v_ashrrev_i32_e32 v40, 5, v49
	v_ashrrev_i32_e32 v41, 5, v52
	v_cndmask_b32_e32 v38, v51, v40, vcc
	v_cmp_gt_i32_e32 vcc, s29, v48
	s_waitcnt lgkmcnt(0)
	v_mfma_f32_16x16x16_bf16 v[22:25], v[2:3], v[18:19], v[22:25]
	v_lshl_add_u64 v[2:3], s[4:5], 0, v[46:47]
	v_cndmask_b32_e32 v40, v51, v41, vcc
	v_lshl_or_b32 v46, v1, 10, v39
	v_ashrrev_i32_e32 v39, 31, v38
	v_ashrrev_i32_e32 v41, 31, v40
	s_waitcnt vmcnt(2)
	v_mfma_f32_16x16x16_bf16 v[34:37], v[14:15], v[18:19], v[34:37]
	v_lshl_add_u64 v[14:15], v[38:39], 2, s[8:9]
	v_subrev_u32_e32 v51, s29, v57
	v_cvt_f32_i32_e32 v58, v51
	v_mfma_f32_16x16x16_bf16 v[26:29], v[6:7], v[18:19], v[26:29]
	v_mfma_f32_16x16x16_bf16 v[30:33], v[10:11], v[18:19], v[30:33]
	v_lshl_add_u64 v[18:19], v[40:41], 2, s[8:9]
	global_load_dword v59, v[14:15], off
	global_load_dword v60, v[18:19], off
	v_lshl_add_u64 v[10:11], v[2:3], 0, v[46:47]
	v_mfma_f32_16x16x16_bf16 v[2:5], v[4:5], v[20:21], v[22:25]
	v_add_u32_e32 v46, 1, v51
	v_add_u32_e32 v47, 3, v51
	;; [unrolled: 1-line block ×3, first 2 shown]
	v_mfma_f32_16x16x16_bf16 v[14:17], v[16:17], v[20:21], v[34:37]
	v_add_u32_e32 v22, 2, v51
	s_nop 1
	v_pk_mul_f32 v[52:53], s[10:11], v[4:5] op_sel_hi:[0,1]
	v_cvt_f32_i32_e32 v18, v18
	v_mfma_f32_16x16x16_bf16 v[6:9], v[8:9], v[20:21], v[26:29]
	v_add_u32_e32 v19, 19, v51
	v_pk_mul_f32 v[34:35], s[10:11], v[16:17] op_sel_hi:[0,1]
	v_pk_mul_f32 v[36:37], s[10:11], v[14:15] op_sel_hi:[0,1]
	v_cvt_f32_i32_e32 v27, v22
	v_mfma_f32_16x16x16_bf16 v[22:25], v[12:13], v[20:21], v[30:33]
	v_pk_mul_f32 v[12:13], s[10:11], v[2:3] op_sel_hi:[0,1]
	v_cvt_f32_i32_e32 v26, v46
	v_cvt_f32_i32_e32 v28, v47
	v_pk_mul_f32 v[46:47], s[10:11], v[8:9] op_sel_hi:[0,1]
	v_pk_mul_f32 v[48:49], s[10:11], v[6:7] op_sel_hi:[0,1]
	v_cvt_f32_i32_e32 v19, v19
	v_fma_f32 v46, v50, v18, v46
	v_add_u32_e32 v18, 34, v51
	v_cvt_f32_i32_e32 v18, v18
	v_fmac_f32_e32 v47, v50, v19
	v_add_u32_e32 v19, 35, v51
	v_cvt_f32_i32_e32 v19, v19
	v_pk_mul_f32 v[40:41], s[10:11], v[22:23] op_sel_hi:[0,1]
	v_pk_mul_f32 v[38:39], s[10:11], v[24:25] op_sel_hi:[0,1]
	v_fma_f32 v38, v50, v18, v38
	v_add_u32_e32 v18, 50, v51
	s_waitcnt vmcnt(3)
	v_mad_i64_i32 v[2:3], s[4:5], v55, s45, 0
	s_waitcnt vmcnt(2)
	v_mad_i64_i32 v[4:5], s[4:5], v72, s45, 0
	v_lshl_add_u64 v[16:17], v[2:3], 1, v[10:11]
	v_lshl_add_u64 v[14:15], v[4:5], 1, v[10:11]
	global_load_dwordx4 v[6:9], v[16:17], off
	global_load_dwordx4 v[2:5], v[16:17], off offset:16
	v_add_u32_e32 v16, 16, v51
	v_cvt_f32_i32_e32 v16, v16
	v_add_u32_e32 v17, 17, v51
	v_cvt_f32_i32_e32 v17, v17
	v_fmac_f32_e32 v39, v50, v19
	v_fma_f32 v48, v50, v16, v48
	v_add_u32_e32 v16, 32, v51
	v_fmac_f32_e32 v49, v50, v17
	v_cvt_f32_i32_e32 v16, v16
	v_add_u32_e32 v17, 33, v51
	v_cvt_f32_i32_e32 v17, v17
	v_cvt_f32_i32_e32 v18, v18
	v_fma_f32 v40, v50, v16, v40
	v_add_u32_e32 v16, 48, v51
	v_fmac_f32_e32 v41, v50, v17
	v_cvt_f32_i32_e32 v16, v16
	v_add_u32_e32 v17, 49, v51
	v_cvt_f32_i32_e32 v17, v17
	v_add_u32_e32 v19, 51, v51
	v_cvt_f32_i32_e32 v19, v19
	v_fma_f32 v12, v50, v58, v12
	v_fmac_f32_e32 v13, v50, v26
	v_fma_f32 v36, v50, v16, v36
	v_mov_b32_e32 v16, 0xff7fffff
	v_cmp_gt_i32_e64 s[4:5], s29, v56
	v_fmac_f32_e32 v37, v50, v17
	v_fma_f32 v34, v50, v18, v34
	v_cndmask_b32_e64 v17, v16, v12, s[4:5]
	v_cndmask_b32_e64 v18, v16, v13, s[34:35]
	v_fmac_f32_e32 v35, v50, v19
	v_max3_f32 v17, v17, s33, v18
	v_or_b32_e32 v18, 2, v56
	v_or_b32_e32 v19, 3, v56
	v_fma_f32 v52, v50, v27, v52
	v_fmac_f32_e32 v53, v50, v28
	v_cmp_gt_i32_e64 s[36:37], s29, v18
	v_cmp_gt_i32_e64 s[38:39], s29, v19
	global_load_dwordx4 v[30:33], v[14:15], off
	global_load_dwordx4 v[26:29], v[14:15], off offset:16
	v_cndmask_b32_e64 v18, v16, v52, s[36:37]
	v_cndmask_b32_e64 v19, v16, v53, s[38:39]
	v_max3_f32 v17, v17, v18, v19
	v_or_b32_e32 v18, 16, v56
	v_or_b32_e32 v19, 17, v56
	v_cmp_gt_i32_e64 s[24:25], s29, v18
	v_cmp_gt_i32_e64 s[26:27], s29, v19
	s_nop 0
	v_cndmask_b32_e64 v18, v16, v48, s[24:25]
	v_cndmask_b32_e64 v19, v16, v49, s[26:27]
	v_max3_f32 v17, v17, v18, v19
	v_or_b32_e32 v18, 18, v56
	v_or_b32_e32 v19, 19, v56
	v_cmp_gt_i32_e64 s[20:21], s29, v18
	v_cmp_gt_i32_e64 s[22:23], s29, v19
	s_nop 0
	;; [unrolled: 8-line block ×5, first 2 shown]
	v_cndmask_b32_e64 v18, v16, v36, s[8:9]
	v_cndmask_b32_e64 v19, v16, v37, s[10:11]
	v_max3_f32 v17, v17, v18, v19
	v_or_b32_e32 v18, 50, v56
	v_or_b32_e32 v19, 51, v56
	v_cmp_gt_i32_e32 vcc, s29, v18
	v_cmp_gt_i32_e64 s[6:7], s29, v19
	s_nop 0
	v_cndmask_b32_e32 v18, v16, v34, vcc
	v_cndmask_b32_e64 v16, v16, v35, s[6:7]
	v_max3_f32 v16, v17, v18, v16
	v_mbcnt_lo_u32_b32 v17, -1, 0
	v_mbcnt_hi_u32_b32 v17, -1, v17
	v_and_b32_e32 v18, 64, v17
	v_add_u32_e32 v18, 64, v18
	v_xor_b32_e32 v19, 32, v17
	v_cmp_lt_i32_e64 s[40:41], v19, v18
	s_nop 1
	v_cndmask_b32_e64 v19, v17, v19, s[40:41]
	v_lshlrev_b32_e32 v56, 2, v19
	ds_bpermute_b32 v19, v56, v16
	s_waitcnt vmcnt(5)
	v_mad_i64_i32 v[14:15], s[40:41], v59, s45, 0
	v_lshl_add_u64 v[14:15], v[14:15], 1, v[10:11]
	s_waitcnt lgkmcnt(0)
	v_max_f32_e32 v19, v19, v19
	v_max_f32_e32 v16, v16, v19
	v_xor_b32_e32 v19, 16, v17
	v_cmp_lt_i32_e64 s[40:41], v19, v18
	s_nop 1
	v_cndmask_b32_e64 v17, v17, v19, s[40:41]
	v_lshlrev_b32_e32 v57, 2, v17
	ds_bpermute_b32 v17, v57, v16
	global_load_dwordx4 v[22:25], v[14:15], off
	global_load_dwordx4 v[18:21], v[14:15], off offset:16
	s_waitcnt vmcnt(6)
	v_mad_i64_i32 v[14:15], s[40:41], v60, s45, 0
	v_lshl_add_u64 v[10:11], v[14:15], 1, v[10:11]
	s_waitcnt lgkmcnt(0)
	v_max_f32_e32 v14, v17, v17
	v_max_f32_e32 v55, v16, v14
	v_sub_f32_e32 v12, v12, v55
	v_mul_f32_e32 v12, 0x3fb8aa3b, v12
	v_exp_f32_e32 v50, v12
	v_sub_f32_e32 v12, v13, v55
	v_mul_f32_e32 v12, 0x3fb8aa3b, v12
	v_exp_f32_e32 v51, v12
	global_load_dwordx4 v[14:17], v[10:11], off
	s_nop 0
	global_load_dwordx4 v[10:13], v[10:11], off offset:16
	v_sub_f32_e32 v52, v52, v55
	v_mul_f32_e32 v52, 0x3fb8aa3b, v52
	v_sub_f32_e32 v53, v53, v55
	v_exp_f32_e32 v52, v52
	v_mul_f32_e32 v53, 0x3fb8aa3b, v53
	v_sub_f32_e32 v48, v48, v55
	v_exp_f32_e32 v53, v53
	v_mul_f32_e32 v48, 0x3fb8aa3b, v48
	v_sub_f32_e32 v49, v49, v55
	v_cndmask_b32_e64 v50, 0, v50, s[4:5]
	v_exp_f32_e32 v48, v48
	v_mul_f32_e32 v49, 0x3fb8aa3b, v49
	v_sub_f32_e32 v46, v46, v55
	v_add_f32_e32 v58, 0, v50
	v_cndmask_b32_e64 v51, 0, v51, s[34:35]
	v_exp_f32_e32 v49, v49
	v_mul_f32_e32 v46, 0x3fb8aa3b, v46
	v_sub_f32_e32 v47, v47, v55
	v_add_f32_e32 v58, v58, v51
	;; [unrolled: 5-line block ×10, first 2 shown]
	v_cndmask_b32_e64 v38, 0, v38, s[12:13]
	v_exp_f32_e32 v34, v34
	v_mul_f32_e32 v35, 0x3fb8aa3b, v35
	v_add_f32_e32 v58, v58, v38
	v_cndmask_b32_e64 v39, 0, v39, s[14:15]
	v_exp_f32_e32 v35, v35
	v_add_f32_e32 v58, v58, v39
	v_cndmask_b32_e64 v36, 0, v36, s[8:9]
	v_add_f32_e32 v58, v58, v36
	v_cndmask_b32_e64 v37, 0, v37, s[10:11]
	v_add_f32_e32 v58, v58, v37
	v_cndmask_b32_e32 v34, 0, v34, vcc
	v_add_f32_e32 v58, v58, v34
	v_cndmask_b32_e64 v35, 0, v35, s[6:7]
	v_add_f32_e32 v58, v58, v35
	ds_bpermute_b32 v56, v56, v58
	s_load_dword s7, s[0:1], 0x98
	v_cmp_gt_u32_e32 vcc, 16, v45
	v_lshlrev_b32_e32 v45, 2, v44
	s_waitcnt lgkmcnt(0)
	v_add_f32_e32 v56, v58, v56
	ds_bpermute_b32 v57, v57, v56
	s_barrier
	s_waitcnt lgkmcnt(0)
	s_and_saveexec_b64 s[4:5], vcc
	s_cbranch_execz .LBB506_17
; %bb.16:
	v_add_f32_e32 v56, v56, v57
	v_lshl_or_b32 v57, v1, 6, v45
	ds_write2st64_b32 v57, v55, v56 offset1:1
.LBB506_17:
	s_or_b64 exec, exec, s[4:5]
	s_load_dword s6, s[0:1], 0x94
	s_waitcnt lgkmcnt(0)
	s_barrier
	ds_read2_b32 v[56:57], v45 offset1:16
	ds_read2_b32 v[58:59], v45 offset0:32 offset1:48
	ds_read2_b32 v[60:61], v45 offset0:64 offset1:80
	;; [unrolled: 1-line block ×3, first 2 shown]
	s_movk_i32 s8, 0x7fff
	s_waitcnt lgkmcnt(3)
	v_max3_f32 v55, v56, s33, v57
	s_waitcnt lgkmcnt(2)
	v_max3_f32 v55, v55, v58, v59
	v_sub_f32_e32 v56, v56, v55
	v_mul_f32_e32 v56, 0x3fb8aa3b, v56
	v_exp_f32_e32 v64, v56
	v_sub_f32_e32 v56, v57, v55
	v_mul_f32_e32 v56, 0x3fb8aa3b, v56
	v_exp_f32_e32 v57, v56
	v_sub_f32_e32 v56, v58, v55
	v_mul_f32_e32 v56, 0x3fb8aa3b, v56
	v_sub_f32_e32 v45, v59, v55
	v_exp_f32_e32 v58, v56
	v_mul_f32_e32 v45, 0x3fb8aa3b, v45
	v_exp_f32_e32 v45, v45
	s_waitcnt lgkmcnt(1)
	v_fma_f32 v56, v64, v60, 0
	v_fmac_f32_e32 v56, v57, v61
	s_waitcnt lgkmcnt(0)
	v_fmac_f32_e32 v56, v58, v62
	v_fmac_f32_e32 v56, v45, v63
	v_add_f32_e32 v59, 0x358637bd, v56
	v_div_scale_f32 v60, s[4:5], v59, v59, 1.0
	v_rcp_f32_e32 v61, v60
	s_mov_b32 s9, 0x7060302
	s_mul_i32 s7, s7, 11
	v_fma_f32 v62, -v60, v61, 1.0
	v_fmac_f32_e32 v61, v62, v61
	v_div_scale_f32 v62, vcc, 1.0, v59, 1.0
	v_mul_f32_e32 v63, v62, v61
	v_fma_f32 v65, -v60, v63, v62
	v_fmac_f32_e32 v63, v65, v61
	v_fma_f32 v60, -v60, v63, v62
	v_div_fmas_f32 v60, v60, v61, v63
	v_cmp_eq_u32_e32 vcc, 1, v1
	v_div_fixup_f32 v59, v60, v59, 1.0
	s_barrier
	v_cndmask_b32_e32 v57, v64, v57, vcc
	v_cmp_eq_u32_e32 vcc, 2, v1
	s_nop 1
	v_cndmask_b32_e32 v57, v57, v58, vcc
	v_cmp_eq_u32_e32 vcc, 3, v1
	v_lshlrev_b32_e32 v1, 11, v1
	s_nop 0
	v_cndmask_b32_e32 v45, v57, v45, vcc
	v_mul_f32_e32 v58, v45, v59
	v_pk_mul_f32 v[50:51], v[58:59], v[50:51] op_sel_hi:[0,1]
	v_bfe_u32 v45, v51, 16, 1
	v_bfe_u32 v57, v50, 16, 1
	v_pk_mul_f32 v[52:53], v[58:59], v[52:53] op_sel_hi:[0,1]
	v_add3_u32 v50, v50, v57, s8
	v_add3_u32 v45, v51, v45, s8
	v_perm_b32 v60, v45, v50, s9
	v_bfe_u32 v45, v53, 16, 1
	v_bfe_u32 v50, v52, 16, 1
	v_add3_u32 v50, v52, v50, s8
	v_add3_u32 v45, v53, v45, s8
	v_perm_b32 v61, v45, v50, s9
	v_lshlrev_b32_e32 v45, 3, v54
	v_lshlrev_b32_e32 v50, 5, v44
	v_pk_mul_f32 v[48:49], v[58:59], v[48:49] op_sel_hi:[0,1]
	v_or3_b32 v1, v1, v50, v45
	v_bfe_u32 v45, v49, 16, 1
	v_bfe_u32 v51, v48, 16, 1
	v_pk_mul_f32 v[46:47], v[58:59], v[46:47] op_sel_hi:[0,1]
	v_add3_u32 v48, v48, v51, s8
	v_add3_u32 v45, v49, v45, s8
	v_perm_b32 v48, v45, v48, s9
	v_bfe_u32 v45, v47, 16, 1
	v_bfe_u32 v49, v46, 16, 1
	v_add3_u32 v46, v46, v49, s8
	v_add3_u32 v45, v47, v45, s8
	v_pk_mul_f32 v[40:41], v[58:59], v[40:41] op_sel_hi:[0,1]
	v_perm_b32 v49, v45, v46, s9
	v_bfe_u32 v45, v41, 16, 1
	v_bfe_u32 v46, v40, 16, 1
	v_pk_mul_f32 v[38:39], v[58:59], v[38:39] op_sel_hi:[0,1]
	v_add3_u32 v40, v40, v46, s8
	v_add3_u32 v41, v41, v45, s8
	v_perm_b32 v40, v41, v40, s9
	v_bfe_u32 v41, v39, 16, 1
	v_bfe_u32 v45, v38, 16, 1
	v_add3_u32 v38, v38, v45, s8
	v_add3_u32 v39, v39, v41, s8
	v_pk_mul_f32 v[36:37], v[58:59], v[36:37] op_sel_hi:[0,1]
	v_perm_b32 v41, v39, v38, s9
	v_bfe_u32 v38, v37, 16, 1
	v_bfe_u32 v39, v36, 16, 1
	v_pk_mul_f32 v[34:35], v[58:59], v[34:35] op_sel_hi:[0,1]
	v_add3_u32 v36, v36, v39, s8
	v_add3_u32 v37, v37, v38, s8
	v_perm_b32 v36, v37, v36, s9
	v_bfe_u32 v37, v35, 16, 1
	v_bfe_u32 v38, v34, 16, 1
	v_add3_u32 v34, v34, v38, s8
	v_add3_u32 v35, v35, v37, s8
	v_perm_b32 v37, v35, v34, s9
	v_cmp_gt_u32_e32 vcc, 11, v0
	ds_write2st64_b64 v1, v[60:61], v[48:49] offset1:1
	ds_write2st64_b64 v1, v[40:41], v[36:37] offset0:2 offset1:3
	s_and_saveexec_b64 s[4:5], vcc
	s_cbranch_execz .LBB506_19
; %bb.18:
	s_mov_b32 s43, 0
	v_mov_b32_e32 v45, 0
	v_lshl_add_u64 v[34:35], s[42:43], 0, v[44:45]
	v_mov_b32_e32 v36, s7
	v_mad_u64_u32 v[34:35], s[10:11], s2, v36, v[34:35]
	s_mul_i32 s3, s3, s7
	v_mov_b32_e32 v44, s28
	s_load_dwordx4 s[12:15], s[0:1], 0x58
	v_add_u32_e32 v37, s3, v35
	v_mad_u64_u32 v[34:35], s[10:11], v34, s6, v[44:45]
	v_mov_b32_e32 v36, v35
	v_mad_u64_u32 v[36:37], s[10:11], v37, s6, v[36:37]
	v_mov_b32_e32 v35, v36
	v_lshlrev_b64 v[34:35], 2, v[34:35]
	s_waitcnt lgkmcnt(0)
	v_lshl_add_u64 v[36:37], s[14:15], 0, v[34:35]
	v_lshl_add_u64 v[34:35], s[12:13], 0, v[34:35]
	global_store_dword v[36:37], v55, off
	global_store_dword v[34:35], v56, off
.LBB506_19:
	s_or_b64 exec, exec, s[4:5]
	v_lshl_or_b32 v48, v54, 9, v50
	s_waitcnt lgkmcnt(0)
	s_barrier
	ds_read_b128 v[34:37], v48
	ds_read_b128 v[38:41], v48 offset:16
	s_waitcnt vmcnt(7) lgkmcnt(1)
	v_mfma_f32_16x16x16_bf16 v[44:47], v[6:7], v[34:35], 0
	v_cmp_gt_u32_e32 vcc, 64, v0
	s_mov_b32 s3, 0
	s_and_b64 s[4:5], vcc, s[30:31]
	v_mfma_f32_16x16x16_bf16 v[6:9], v[8:9], v[36:37], v[44:47]
	s_waitcnt vmcnt(6) lgkmcnt(0)
	v_mfma_f32_16x16x16_bf16 v[6:9], v[2:3], v[38:39], v[6:9]
	v_mfma_f32_16x16x16_bf16 v[2:5], v[4:5], v[40:41], v[6:9]
	s_nop 5
	ds_read_b128 v[6:9], v48 offset:2048
	ds_read_b128 v[34:37], v48 offset:2064
	s_waitcnt vmcnt(5) lgkmcnt(1)
	v_mfma_f32_16x16x16_bf16 v[2:5], v[30:31], v[6:7], v[2:5]
	v_mfma_f32_16x16x16_bf16 v[2:5], v[32:33], v[8:9], v[2:5]
	s_waitcnt vmcnt(4) lgkmcnt(0)
	v_mfma_f32_16x16x16_bf16 v[2:5], v[26:27], v[34:35], v[2:5]
	v_mfma_f32_16x16x16_bf16 v[2:5], v[28:29], v[36:37], v[2:5]
	ds_read_b128 v[6:9], v48 offset:4096
	ds_read_b128 v[26:29], v48 offset:4112
	s_waitcnt vmcnt(3) lgkmcnt(1)
	v_mfma_f32_16x16x16_bf16 v[2:5], v[22:23], v[6:7], v[2:5]
	v_mfma_f32_16x16x16_bf16 v[2:5], v[24:25], v[8:9], v[2:5]
	s_waitcnt vmcnt(2) lgkmcnt(0)
	v_mfma_f32_16x16x16_bf16 v[2:5], v[18:19], v[26:27], v[2:5]
	v_mfma_f32_16x16x16_bf16 v[2:5], v[20:21], v[28:29], v[2:5]
	ds_read_b128 v[6:9], v48 offset:6144
	ds_read_b128 v[18:21], v48 offset:6160
	s_waitcnt lgkmcnt(0)
	s_barrier
	s_waitcnt vmcnt(1)
	v_mfma_f32_16x16x16_bf16 v[2:5], v[14:15], v[6:7], v[2:5]
	v_mfma_f32_16x16x16_bf16 v[2:5], v[16:17], v[8:9], v[2:5]
	s_waitcnt vmcnt(0)
	v_mfma_f32_16x16x16_bf16 v[2:5], v[10:11], v[18:19], v[2:5]
	v_mfma_f32_16x16x16_bf16 v[2:5], v[12:13], v[20:21], v[2:5]
	s_nop 6
	v_bfe_u32 v6, v3, 16, 1
	v_bfe_u32 v7, v2, 16, 1
	;; [unrolled: 1-line block ×4, first 2 shown]
	v_add3_u32 v2, v2, v7, s8
	v_add3_u32 v3, v3, v6, s8
	;; [unrolled: 1-line block ×4, first 2 shown]
	v_perm_b32 v2, v3, v2, s9
	v_perm_b32 v3, v5, v4, s9
	ds_write_b64 v1, v[2:3]
	s_waitcnt lgkmcnt(0)
	s_barrier
	s_and_saveexec_b64 s[8:9], s[4:5]
	s_cbranch_execz .LBB506_22
; %bb.20:
	s_load_dwordx2 s[4:5], s[0:1], 0x68
	s_lshl_b32 s0, s6, 6
	s_mul_i32 s1, s7, s2
	s_mul_hi_u32 s7, s1, s0
	s_mul_i32 s6, s1, s0
	v_lshlrev_b32_e32 v1, 10, v0
	v_lshlrev_b32_e32 v0, 4, v0
	s_lshl_b64 s[6:7], s[6:7], 1
	v_and_b32_e32 v1, 0x1800, v1
	v_lshlrev_b32_e32 v2, 5, v54
	v_and_b32_e32 v0, 16, v0
	s_waitcnt lgkmcnt(0)
	s_add_u32 s1, s4, s6
	v_or3_b32 v2, v1, v2, v0
	s_addc_u32 s4, s5, s7
	s_lshl_b32 s2, s28, 6
	s_lshl_b64 s[2:3], s[2:3], 1
	ds_read_b128 v[4:7], v2 offset:128
	ds_read_b128 v[8:11], v2
	s_add_u32 s2, s1, s2
	s_addc_u32 s3, s4, s3
	v_add_u32_e32 v3, s42, v54
	v_lshl_add_u64 v[0:1], v[42:43], 1, s[2:3]
	v_mad_u64_u32 v[12:13], s[2:3], v3, s0, 0
	v_lshl_add_u64 v[12:13], v[12:13], 1, v[0:1]
	v_add_u32_e32 v3, 4, v3
	s_waitcnt lgkmcnt(0)
	global_store_dwordx4 v[12:13], v[8:11], off
	v_cmp_ne_u32_e32 vcc, 3, v54
	s_nop 0
	v_mad_u64_u32 v[8:9], s[2:3], v3, s0, 0
	v_lshl_add_u64 v[8:9], v[8:9], 1, v[0:1]
	global_store_dwordx4 v[8:9], v[4:7], off
	s_and_b64 exec, exec, vcc
	s_cbranch_execz .LBB506_22
; %bb.21:
	ds_read_b128 v[2:5], v2 offset:256
	v_add3_u32 v6, s42, v54, 8
	v_mad_u64_u32 v[6:7], s[0:1], v6, s0, 0
	v_lshl_add_u64 v[0:1], v[6:7], 1, v[0:1]
	s_waitcnt lgkmcnt(0)
	global_store_dwordx4 v[0:1], v[2:5], off
.LBB506_22:
	s_endpgm
	.section	.rodata,"a",@progbits
	.p2align	6, 0x0
	.amdhsa_kernel _Z39paged_attention_ll4mi_QKV_mfma16_kernelI14__hip_bfloat16S0_LN4vllm18Fp8KVCacheDataTypeE0EhLi32ELi64ELi256ELb1ELi11EEvPKT_PKT0_S8_ifPKiSA_SA_iPKfiiiPfSD_PS3_PT2_iSC_SC_
		.amdhsa_group_segment_fixed_size 8192
		.amdhsa_private_segment_fixed_size 0
		.amdhsa_kernarg_size 400
		.amdhsa_user_sgpr_count 2
		.amdhsa_user_sgpr_dispatch_ptr 0
		.amdhsa_user_sgpr_queue_ptr 0
		.amdhsa_user_sgpr_kernarg_segment_ptr 1
		.amdhsa_user_sgpr_dispatch_id 0
		.amdhsa_user_sgpr_kernarg_preload_length 0
		.amdhsa_user_sgpr_kernarg_preload_offset 0
		.amdhsa_user_sgpr_private_segment_size 0
		.amdhsa_uses_dynamic_stack 0
		.amdhsa_enable_private_segment 0
		.amdhsa_system_sgpr_workgroup_id_x 1
		.amdhsa_system_sgpr_workgroup_id_y 1
		.amdhsa_system_sgpr_workgroup_id_z 1
		.amdhsa_system_sgpr_workgroup_info 0
		.amdhsa_system_vgpr_workitem_id 0
		.amdhsa_next_free_vgpr 73
		.amdhsa_next_free_sgpr 48
		.amdhsa_accum_offset 76
		.amdhsa_reserve_vcc 1
		.amdhsa_float_round_mode_32 0
		.amdhsa_float_round_mode_16_64 0
		.amdhsa_float_denorm_mode_32 3
		.amdhsa_float_denorm_mode_16_64 3
		.amdhsa_dx10_clamp 1
		.amdhsa_ieee_mode 1
		.amdhsa_fp16_overflow 0
		.amdhsa_tg_split 0
		.amdhsa_exception_fp_ieee_invalid_op 0
		.amdhsa_exception_fp_denorm_src 0
		.amdhsa_exception_fp_ieee_div_zero 0
		.amdhsa_exception_fp_ieee_overflow 0
		.amdhsa_exception_fp_ieee_underflow 0
		.amdhsa_exception_fp_ieee_inexact 0
		.amdhsa_exception_int_div_zero 0
	.end_amdhsa_kernel
	.section	.text._Z39paged_attention_ll4mi_QKV_mfma16_kernelI14__hip_bfloat16S0_LN4vllm18Fp8KVCacheDataTypeE0EhLi32ELi64ELi256ELb1ELi11EEvPKT_PKT0_S8_ifPKiSA_SA_iPKfiiiPfSD_PS3_PT2_iSC_SC_,"axG",@progbits,_Z39paged_attention_ll4mi_QKV_mfma16_kernelI14__hip_bfloat16S0_LN4vllm18Fp8KVCacheDataTypeE0EhLi32ELi64ELi256ELb1ELi11EEvPKT_PKT0_S8_ifPKiSA_SA_iPKfiiiPfSD_PS3_PT2_iSC_SC_,comdat
.Lfunc_end506:
	.size	_Z39paged_attention_ll4mi_QKV_mfma16_kernelI14__hip_bfloat16S0_LN4vllm18Fp8KVCacheDataTypeE0EhLi32ELi64ELi256ELb1ELi11EEvPKT_PKT0_S8_ifPKiSA_SA_iPKfiiiPfSD_PS3_PT2_iSC_SC_, .Lfunc_end506-_Z39paged_attention_ll4mi_QKV_mfma16_kernelI14__hip_bfloat16S0_LN4vllm18Fp8KVCacheDataTypeE0EhLi32ELi64ELi256ELb1ELi11EEvPKT_PKT0_S8_ifPKiSA_SA_iPKfiiiPfSD_PS3_PT2_iSC_SC_
                                        ; -- End function
	.section	.AMDGPU.csdata,"",@progbits
; Kernel info:
; codeLenInByte = 4436
; NumSgprs: 54
; NumVgprs: 73
; NumAgprs: 0
; TotalNumVgprs: 73
; ScratchSize: 0
; MemoryBound: 0
; FloatMode: 240
; IeeeMode: 1
; LDSByteSize: 8192 bytes/workgroup (compile time only)
; SGPRBlocks: 6
; VGPRBlocks: 9
; NumSGPRsForWavesPerEU: 54
; NumVGPRsForWavesPerEU: 73
; AccumOffset: 76
; Occupancy: 6
; WaveLimiterHint : 1
; COMPUTE_PGM_RSRC2:SCRATCH_EN: 0
; COMPUTE_PGM_RSRC2:USER_SGPR: 2
; COMPUTE_PGM_RSRC2:TRAP_HANDLER: 0
; COMPUTE_PGM_RSRC2:TGID_X_EN: 1
; COMPUTE_PGM_RSRC2:TGID_Y_EN: 1
; COMPUTE_PGM_RSRC2:TGID_Z_EN: 1
; COMPUTE_PGM_RSRC2:TIDIG_COMP_CNT: 0
; COMPUTE_PGM_RSRC3_GFX90A:ACCUM_OFFSET: 18
; COMPUTE_PGM_RSRC3_GFX90A:TG_SPLIT: 0
	.section	.text._Z39paged_attention_ll4mi_QKV_mfma16_kernelI14__hip_bfloat16S0_LN4vllm18Fp8KVCacheDataTypeE0EhLi32ELi64ELi256ELb1ELi12EEvPKT_PKT0_S8_ifPKiSA_SA_iPKfiiiPfSD_PS3_PT2_iSC_SC_,"axG",@progbits,_Z39paged_attention_ll4mi_QKV_mfma16_kernelI14__hip_bfloat16S0_LN4vllm18Fp8KVCacheDataTypeE0EhLi32ELi64ELi256ELb1ELi12EEvPKT_PKT0_S8_ifPKiSA_SA_iPKfiiiPfSD_PS3_PT2_iSC_SC_,comdat
	.protected	_Z39paged_attention_ll4mi_QKV_mfma16_kernelI14__hip_bfloat16S0_LN4vllm18Fp8KVCacheDataTypeE0EhLi32ELi64ELi256ELb1ELi12EEvPKT_PKT0_S8_ifPKiSA_SA_iPKfiiiPfSD_PS3_PT2_iSC_SC_ ; -- Begin function _Z39paged_attention_ll4mi_QKV_mfma16_kernelI14__hip_bfloat16S0_LN4vllm18Fp8KVCacheDataTypeE0EhLi32ELi64ELi256ELb1ELi12EEvPKT_PKT0_S8_ifPKiSA_SA_iPKfiiiPfSD_PS3_PT2_iSC_SC_
	.globl	_Z39paged_attention_ll4mi_QKV_mfma16_kernelI14__hip_bfloat16S0_LN4vllm18Fp8KVCacheDataTypeE0EhLi32ELi64ELi256ELb1ELi12EEvPKT_PKT0_S8_ifPKiSA_SA_iPKfiiiPfSD_PS3_PT2_iSC_SC_
	.p2align	8
	.type	_Z39paged_attention_ll4mi_QKV_mfma16_kernelI14__hip_bfloat16S0_LN4vllm18Fp8KVCacheDataTypeE0EhLi32ELi64ELi256ELb1ELi12EEvPKT_PKT0_S8_ifPKiSA_SA_iPKfiiiPfSD_PS3_PT2_iSC_SC_,@function
_Z39paged_attention_ll4mi_QKV_mfma16_kernelI14__hip_bfloat16S0_LN4vllm18Fp8KVCacheDataTypeE0EhLi32ELi64ELi256ELb1ELi12EEvPKT_PKT0_S8_ifPKiSA_SA_iPKfiiiPfSD_PS3_PT2_iSC_SC_: ; @_Z39paged_attention_ll4mi_QKV_mfma16_kernelI14__hip_bfloat16S0_LN4vllm18Fp8KVCacheDataTypeE0EhLi32ELi64ELi256ELb1ELi12EEvPKT_PKT0_S8_ifPKiSA_SA_iPKfiiiPfSD_PS3_PT2_iSC_SC_
; %bb.0:
	s_load_dwordx2 s[6:7], s[0:1], 0x30
	s_mov_b32 s28, s3
	s_mov_b64 s[8:9], 0
	s_waitcnt lgkmcnt(0)
	s_cmp_lg_u64 s[6:7], 0
	s_cselect_b64 s[10:11], -1, 0
	s_and_b64 vcc, exec, s[10:11]
	s_cbranch_vccz .LBB507_7
; %bb.1:
	s_add_i32 s12, s2, 1
	s_mov_b32 s13, 0
	s_lshl_b64 s[14:15], s[12:13], 2
	s_add_u32 s14, s6, s14
	s_mov_b32 s3, s13
	s_addc_u32 s15, s7, s15
	s_lshl_b64 s[12:13], s[2:3], 2
	s_add_u32 s12, s6, s12
	s_addc_u32 s13, s7, s13
	s_load_dword s5, s[14:15], 0x0
	s_load_dword s16, s[12:13], 0x0
	s_waitcnt lgkmcnt(0)
	s_sub_i32 s5, s5, s16
	s_cmp_eq_u32 s5, 1
	s_cselect_b64 s[12:13], -1, 0
	s_andn2_b64 vcc, exec, s[8:9]
	s_cbranch_vccnz .LBB507_3
.LBB507_2:
	s_mov_b32 s3, 0
	s_mov_b64 s[12:13], -1
.LBB507_3:
	s_andn2_b64 vcc, exec, s[12:13]
	s_cbranch_vccnz .LBB507_21
; %bb.4:
	s_load_dwordx2 s[8:9], s[0:1], 0x28
	s_lshl_b64 s[12:13], s[2:3], 2
	s_waitcnt lgkmcnt(0)
	s_add_u32 s8, s8, s12
	s_addc_u32 s9, s9, s13
	s_load_dword s29, s[8:9], 0x0
	s_lshl_b32 s14, s28, 8
	s_waitcnt lgkmcnt(0)
	s_cmp_ge_i32 s14, s29
	s_cbranch_scc1 .LBB507_21
; %bb.5:
	s_load_dwordx2 s[8:9], s[0:1], 0x20
	s_load_dword s5, s[0:1], 0x38
	s_add_i32 s15, s29, 31
	s_ashr_i32 s16, s15, 31
	v_and_b32_e32 v1, 0xcf, v0
	s_lshr_b32 s16, s16, 27
	v_add_u32_e32 v1, s14, v1
	s_add_i32 s15, s15, s16
	v_ashrrev_i32_e32 v2, 31, v1
	s_ashr_i32 s15, s15, 5
	v_lshrrev_b32_e32 v6, 27, v2
	s_add_i32 s15, s15, -1
	s_waitcnt lgkmcnt(0)
	s_mul_i32 s16, s2, s5
	s_mov_b32 s17, 0
	v_add_u32_e32 v2, v1, v6
	s_lshl_b64 s[16:17], s[16:17], 2
	v_ashrrev_i32_e32 v2, 5, v2
	v_mov_b32_e32 v7, s15
	v_cmp_gt_i32_e32 vcc, s29, v1
	s_add_u32 s8, s8, s16
	s_addc_u32 s9, s9, s17
	v_cndmask_b32_e32 v2, v7, v2, vcc
	v_ashrrev_i32_e32 v3, 31, v2
	v_lshl_add_u64 v[4:5], v[2:3], 2, s[8:9]
	v_or_b32_e32 v2, 16, v1
	v_add_u32_e32 v3, v2, v6
	v_ashrrev_i32_e32 v3, 5, v3
	v_cmp_gt_i32_e32 vcc, s29, v2
	s_nop 1
	v_cndmask_b32_e32 v2, v7, v3, vcc
	v_ashrrev_i32_e32 v3, 31, v2
	v_lshl_add_u64 v[8:9], v[2:3], 2, s[8:9]
	v_or_b32_e32 v2, 32, v1
	v_add_u32_e32 v3, v2, v6
	v_ashrrev_i32_e32 v3, 5, v3
	v_cmp_gt_i32_e32 vcc, s29, v2
	v_or_b32_e32 v1, 48, v1
	s_nop 0
	v_cndmask_b32_e32 v2, v7, v3, vcc
	v_ashrrev_i32_e32 v3, 31, v2
	v_lshl_add_u64 v[12:13], v[2:3], 2, s[8:9]
	v_add_u32_e32 v2, v1, v6
	v_ashrrev_i32_e32 v2, 5, v2
	v_cmp_gt_i32_e32 vcc, s29, v1
	s_nop 1
	v_cndmask_b32_e32 v2, v7, v2, vcc
	v_ashrrev_i32_e32 v3, 31, v2
	v_lshl_add_u64 v[16:17], v[2:3], 2, s[8:9]
	global_load_dword v2, v[4:5], off
	global_load_dword v6, v[8:9], off
	;; [unrolled: 1-line block ×4, first 2 shown]
	s_andn2_b64 vcc, exec, s[10:11]
	s_cbranch_vccnz .LBB507_8
; %bb.6:
	s_add_u32 s6, s6, s12
	s_addc_u32 s7, s7, s13
	s_load_dword s5, s[6:7], 0x0
	s_branch .LBB507_9
.LBB507_7:
	s_mov_b64 s[12:13], 0
	s_branch .LBB507_2
.LBB507_8:
	s_mov_b32 s5, s2
.LBB507_9:
	s_load_dwordx2 s[10:11], s[0:1], 0x8
	s_load_dwordx4 s[44:47], s[0:1], 0x48
	v_and_b32_e32 v44, 15, v0
	s_movk_i32 s6, 0xbf
	v_cmp_lt_u32_e32 vcc, s6, v0
	v_cmp_lt_u32_e64 s[6:7], 7, v44
	v_lshlrev_b32_e32 v42, 3, v44
	v_cmp_gt_u32_e64 s[30:31], 8, v44
	s_or_b64 s[6:7], vcc, s[6:7]
	s_and_saveexec_b64 s[12:13], s[6:7]
	s_xor_b64 s[6:7], exec, s[12:13]
; %bb.10:
	v_mov_b32_e32 v43, 0
; %bb.11:
	s_or_saveexec_b64 s[12:13], s[6:7]
	s_load_dwordx2 s[6:7], s[0:1], 0x10
	v_lshrrev_b32_e32 v45, 6, v0
	v_bfe_u32 v1, v0, 4, 2
	s_mul_i32 s42, s4, 12
	s_xor_b64 exec, exec, s[12:13]
	s_cbranch_execz .LBB507_13
; %bb.12:
	s_load_dwordx2 s[16:17], s[0:1], 0x0
	s_waitcnt lgkmcnt(0)
	s_ashr_i32 s18, s44, 31
	s_mul_hi_u32 s19, s5, s44
	s_mul_i32 s18, s5, s18
	s_add_i32 s19, s19, s18
	s_mul_i32 s18, s5, s44
	v_lshl_or_b32 v3, v45, 2, v1
	s_lshl_b64 s[18:19], s[18:19], 1
	s_add_u32 s16, s16, s18
	v_add_lshl_u32 v4, v3, s42, 6
	s_addc_u32 s17, s17, s19
	v_ashrrev_i32_e32 v5, 31, v4
	v_mov_b32_e32 v43, 0
	v_lshl_add_u64 v[4:5], v[4:5], 1, s[16:17]
	v_lshlrev_b32_e32 v8, 1, v42
	v_mov_b32_e32 v9, v43
	v_lshl_add_u64 v[4:5], v[4:5], 0, v[8:9]
	global_load_dwordx4 v[16:19], v[4:5], off
	v_and_b32_e32 v4, 3, v0
	v_lshlrev_b32_e32 v5, 9, v44
	v_lshlrev_b32_e32 v3, 5, v3
	;; [unrolled: 1-line block ×3, first 2 shown]
	v_and_b32_e32 v5, 0x1800, v5
	v_or3_b32 v3, v5, v4, v3
	s_waitcnt vmcnt(0)
	ds_write_b128 v3, v[16:19]
.LBB507_13:
	s_or_b64 exec, exec, s[12:13]
	s_waitcnt lgkmcnt(0)
	s_mul_i32 s4, s4, s46
	s_mov_b32 s5, 0
	s_lshl_b64 s[4:5], s[4:5], 1
	s_add_u32 s10, s10, s4
	s_addc_u32 s11, s11, s5
	s_waitcnt vmcnt(3)
	v_mad_i64_i32 v[2:3], s[12:13], v2, s45, 0
	v_lshl_add_u64 v[2:3], v[2:3], 1, s[10:11]
	v_lshlrev_b64 v[12:13], 1, v[42:43]
	v_lshlrev_b32_e32 v46, 9, v1
	v_lshl_add_u64 v[2:3], v[2:3], 0, v[12:13]
	v_mov_b32_e32 v47, 0
	v_lshl_add_u64 v[8:9], v[2:3], 0, v[46:47]
	s_barrier
	global_load_dwordx4 v[22:25], v[8:9], off
	global_load_dwordx4 v[2:5], v[8:9], off offset:2048
	s_waitcnt vmcnt(4)
	v_mad_i64_i32 v[6:7], s[12:13], v6, s45, 0
	v_mov_b32_e32 v8, 0x100
	v_lshl_add_u64 v[6:7], v[6:7], 1, s[10:11]
	v_lshl_or_b32 v16, v44, 4, v8
	v_mov_b32_e32 v17, v47
	s_waitcnt vmcnt(3)
	v_mad_i64_i32 v[10:11], s[12:13], v10, s45, 0
	v_lshl_add_u64 v[6:7], v[6:7], 0, v[16:17]
	v_lshl_add_u64 v[10:11], v[10:11], 1, s[10:11]
	s_waitcnt vmcnt(2)
	v_mad_i64_i32 v[14:15], s[12:13], v14, s45, 0
	v_lshl_add_u64 v[18:19], v[6:7], 0, v[46:47]
	v_lshl_add_u64 v[10:11], v[10:11], 0, v[12:13]
	v_lshl_add_u64 v[14:15], v[14:15], 1, s[10:11]
	global_load_dwordx4 v[26:29], v[18:19], off
	global_load_dwordx4 v[6:9], v[18:19], off offset:2048
	v_lshl_add_u64 v[18:19], v[10:11], 0, v[46:47]
	v_lshl_add_u64 v[14:15], v[14:15], 0, v[16:17]
	global_load_dwordx4 v[30:33], v[18:19], off
	global_load_dwordx4 v[10:13], v[18:19], off offset:2048
	v_lshl_add_u64 v[18:19], v[14:15], 0, v[46:47]
	global_load_dwordx4 v[34:37], v[18:19], off
	global_load_dwordx4 v[14:17], v[18:19], off offset:2048
	v_add_u32_e32 v18, -12, v44
	v_cmp_gt_u32_e32 vcc, 12, v44
	v_and_b32_e32 v54, 63, v0
	v_mov_b32_e32 v50, 0
	v_cndmask_b32_e32 v18, v18, v44, vcc
	v_lshl_add_u32 v18, v18, 5, v46
	ds_read_b128 v[38:41], v18
	ds_read_b128 v[18:21], v18 offset:2048
	s_and_saveexec_b64 s[10:11], vcc
	s_cbranch_execz .LBB507_15
; %bb.14:
	s_load_dwordx2 s[12:13], s[0:1], 0x40
	v_add_u32_e32 v48, s42, v44
	v_ashrrev_i32_e32 v49, 31, v48
	s_waitcnt lgkmcnt(0)
	v_lshl_add_u64 v[48:49], v[48:49], 2, s[12:13]
	global_load_dword v50, v[48:49], off
.LBB507_15:
	s_or_b64 exec, exec, s[10:11]
	s_ashr_i32 s10, s14, 31
	v_and_or_b32 v46, v0, 48, s14
	s_lshr_b32 s11, s10, 27
	v_add_u32_e32 v48, s11, v46
	v_or_b32_e32 v52, 64, v46
	v_ashrrev_i32_e32 v48, 5, v48
	v_mov_b32_e32 v51, s15
	v_cmp_gt_i32_e32 vcc, s29, v46
	v_add_u32_e32 v53, s11, v52
	s_waitcnt vmcnt(7) lgkmcnt(1)
	v_mfma_f32_16x16x16_bf16 v[56:59], v[22:23], v[38:39], 0
	v_cndmask_b32_e32 v48, v51, v48, vcc
	v_ashrrev_i32_e32 v22, 5, v53
	v_cmp_gt_i32_e32 vcc, s29, v52
	v_ashrrev_i32_e32 v49, 31, v48
	v_lshl_add_u64 v[48:49], v[48:49], 2, s[8:9]
	v_cndmask_b32_e32 v22, v51, v22, vcc
	v_ashrrev_i32_e32 v23, 31, v22
	v_lshl_add_u64 v[22:23], v[22:23], 2, s[8:9]
	global_load_dword v55, v[48:49], off
	global_load_dword v72, v[22:23], off
	s_waitcnt vmcnt(3)
	v_mfma_f32_16x16x16_bf16 v[68:71], v[34:35], v[38:39], 0
	v_or_b32_e32 v48, 0xc0, v46
	v_add_u32_e32 v52, s11, v48
	s_add_u32 s4, s6, s4
	v_mfma_f32_16x16x16_bf16 v[60:63], v[26:27], v[38:39], 0
	s_addc_u32 s5, s7, s5
	s_load_dword s10, s[0:1], 0x1c
	s_mov_b32 s33, 0xff7fffff
	v_mfma_f32_16x16x16_bf16 v[64:67], v[30:31], v[38:39], 0
	v_and_b32_e32 v31, 0xc0, v0
	v_or_b32_e32 v38, 0x80, v46
	v_add_u32_e32 v34, s14, v31
	v_mfma_f32_16x16x16_bf16 v[22:25], v[24:25], v[40:41], v[56:59]
	v_and_b32_e32 v30, 16, v0
	v_add_u32_e32 v49, s11, v38
	v_lshlrev_b32_e32 v46, 1, v30
	v_lshl_or_b32 v56, v1, 2, v34
	v_mfma_f32_16x16x16_bf16 v[34:37], v[36:37], v[40:41], v[68:71]
	v_cmp_gt_i32_e32 vcc, s29, v38
	v_lshlrev_b32_e32 v39, 6, v44
	v_or_b32_e32 v57, 1, v56
	v_mfma_f32_16x16x16_bf16 v[26:29], v[28:29], v[40:41], v[60:63]
	v_cmp_gt_i32_e64 s[34:35], s29, v57
	v_mfma_f32_16x16x16_bf16 v[30:33], v[32:33], v[40:41], v[64:67]
	v_ashrrev_i32_e32 v40, 5, v49
	v_ashrrev_i32_e32 v41, 5, v52
	v_cndmask_b32_e32 v38, v51, v40, vcc
	v_cmp_gt_i32_e32 vcc, s29, v48
	s_waitcnt lgkmcnt(0)
	v_mfma_f32_16x16x16_bf16 v[22:25], v[2:3], v[18:19], v[22:25]
	v_lshl_add_u64 v[2:3], s[4:5], 0, v[46:47]
	v_cndmask_b32_e32 v40, v51, v41, vcc
	v_lshl_or_b32 v46, v45, 10, v39
	v_ashrrev_i32_e32 v39, 31, v38
	v_ashrrev_i32_e32 v41, 31, v40
	s_waitcnt vmcnt(2)
	v_mfma_f32_16x16x16_bf16 v[34:37], v[14:15], v[18:19], v[34:37]
	v_lshl_add_u64 v[14:15], v[38:39], 2, s[8:9]
	v_subrev_u32_e32 v51, s29, v57
	v_cvt_f32_i32_e32 v58, v51
	v_mfma_f32_16x16x16_bf16 v[26:29], v[6:7], v[18:19], v[26:29]
	v_mfma_f32_16x16x16_bf16 v[30:33], v[10:11], v[18:19], v[30:33]
	v_lshl_add_u64 v[18:19], v[40:41], 2, s[8:9]
	global_load_dword v59, v[14:15], off
	global_load_dword v60, v[18:19], off
	v_lshl_add_u64 v[10:11], v[2:3], 0, v[46:47]
	v_mfma_f32_16x16x16_bf16 v[2:5], v[4:5], v[20:21], v[22:25]
	v_add_u32_e32 v46, 1, v51
	v_add_u32_e32 v47, 3, v51
	;; [unrolled: 1-line block ×3, first 2 shown]
	v_mfma_f32_16x16x16_bf16 v[14:17], v[16:17], v[20:21], v[34:37]
	v_add_u32_e32 v22, 2, v51
	s_nop 1
	v_pk_mul_f32 v[52:53], s[10:11], v[4:5] op_sel_hi:[0,1]
	v_cvt_f32_i32_e32 v18, v18
	v_mfma_f32_16x16x16_bf16 v[6:9], v[8:9], v[20:21], v[26:29]
	v_add_u32_e32 v19, 19, v51
	v_pk_mul_f32 v[34:35], s[10:11], v[16:17] op_sel_hi:[0,1]
	v_pk_mul_f32 v[36:37], s[10:11], v[14:15] op_sel_hi:[0,1]
	v_cvt_f32_i32_e32 v27, v22
	v_mfma_f32_16x16x16_bf16 v[22:25], v[12:13], v[20:21], v[30:33]
	v_pk_mul_f32 v[12:13], s[10:11], v[2:3] op_sel_hi:[0,1]
	v_cvt_f32_i32_e32 v26, v46
	v_cvt_f32_i32_e32 v28, v47
	v_pk_mul_f32 v[46:47], s[10:11], v[8:9] op_sel_hi:[0,1]
	v_pk_mul_f32 v[48:49], s[10:11], v[6:7] op_sel_hi:[0,1]
	v_cvt_f32_i32_e32 v19, v19
	v_fma_f32 v46, v50, v18, v46
	v_add_u32_e32 v18, 34, v51
	v_cvt_f32_i32_e32 v18, v18
	v_fmac_f32_e32 v47, v50, v19
	v_add_u32_e32 v19, 35, v51
	v_cvt_f32_i32_e32 v19, v19
	v_pk_mul_f32 v[40:41], s[10:11], v[22:23] op_sel_hi:[0,1]
	v_pk_mul_f32 v[38:39], s[10:11], v[24:25] op_sel_hi:[0,1]
	v_fma_f32 v38, v50, v18, v38
	v_add_u32_e32 v18, 50, v51
	s_waitcnt vmcnt(3)
	v_mad_i64_i32 v[2:3], s[4:5], v55, s45, 0
	s_waitcnt vmcnt(2)
	v_mad_i64_i32 v[4:5], s[4:5], v72, s45, 0
	v_lshl_add_u64 v[16:17], v[2:3], 1, v[10:11]
	v_lshl_add_u64 v[14:15], v[4:5], 1, v[10:11]
	global_load_dwordx4 v[6:9], v[16:17], off
	global_load_dwordx4 v[2:5], v[16:17], off offset:16
	v_add_u32_e32 v16, 16, v51
	v_cvt_f32_i32_e32 v16, v16
	v_add_u32_e32 v17, 17, v51
	v_cvt_f32_i32_e32 v17, v17
	v_fmac_f32_e32 v39, v50, v19
	v_fma_f32 v48, v50, v16, v48
	v_add_u32_e32 v16, 32, v51
	v_fmac_f32_e32 v49, v50, v17
	v_cvt_f32_i32_e32 v16, v16
	v_add_u32_e32 v17, 33, v51
	v_cvt_f32_i32_e32 v17, v17
	v_cvt_f32_i32_e32 v18, v18
	v_fma_f32 v40, v50, v16, v40
	v_add_u32_e32 v16, 48, v51
	v_fmac_f32_e32 v41, v50, v17
	v_cvt_f32_i32_e32 v16, v16
	v_add_u32_e32 v17, 49, v51
	v_cvt_f32_i32_e32 v17, v17
	v_add_u32_e32 v19, 51, v51
	v_cvt_f32_i32_e32 v19, v19
	v_fma_f32 v12, v50, v58, v12
	v_fmac_f32_e32 v13, v50, v26
	v_fma_f32 v36, v50, v16, v36
	v_mov_b32_e32 v16, 0xff7fffff
	v_cmp_gt_i32_e64 s[4:5], s29, v56
	v_fmac_f32_e32 v37, v50, v17
	v_fma_f32 v34, v50, v18, v34
	v_cndmask_b32_e64 v17, v16, v12, s[4:5]
	v_cndmask_b32_e64 v18, v16, v13, s[34:35]
	v_fmac_f32_e32 v35, v50, v19
	v_max3_f32 v17, v17, s33, v18
	v_or_b32_e32 v18, 2, v56
	v_or_b32_e32 v19, 3, v56
	v_fma_f32 v52, v50, v27, v52
	v_fmac_f32_e32 v53, v50, v28
	v_cmp_gt_i32_e64 s[36:37], s29, v18
	v_cmp_gt_i32_e64 s[38:39], s29, v19
	global_load_dwordx4 v[30:33], v[14:15], off
	global_load_dwordx4 v[26:29], v[14:15], off offset:16
	v_cndmask_b32_e64 v18, v16, v52, s[36:37]
	v_cndmask_b32_e64 v19, v16, v53, s[38:39]
	v_max3_f32 v17, v17, v18, v19
	v_or_b32_e32 v18, 16, v56
	v_or_b32_e32 v19, 17, v56
	v_cmp_gt_i32_e64 s[24:25], s29, v18
	v_cmp_gt_i32_e64 s[26:27], s29, v19
	s_nop 0
	v_cndmask_b32_e64 v18, v16, v48, s[24:25]
	v_cndmask_b32_e64 v19, v16, v49, s[26:27]
	v_max3_f32 v17, v17, v18, v19
	v_or_b32_e32 v18, 18, v56
	v_or_b32_e32 v19, 19, v56
	v_cmp_gt_i32_e64 s[20:21], s29, v18
	v_cmp_gt_i32_e64 s[22:23], s29, v19
	s_nop 0
	;; [unrolled: 8-line block ×5, first 2 shown]
	v_cndmask_b32_e64 v18, v16, v36, s[8:9]
	v_cndmask_b32_e64 v19, v16, v37, s[10:11]
	v_max3_f32 v17, v17, v18, v19
	v_or_b32_e32 v18, 50, v56
	v_or_b32_e32 v19, 51, v56
	v_cmp_gt_i32_e32 vcc, s29, v18
	v_cmp_gt_i32_e64 s[6:7], s29, v19
	s_nop 0
	v_cndmask_b32_e32 v18, v16, v34, vcc
	v_cndmask_b32_e64 v16, v16, v35, s[6:7]
	v_max3_f32 v16, v17, v18, v16
	v_mbcnt_lo_u32_b32 v17, -1, 0
	v_mbcnt_hi_u32_b32 v17, -1, v17
	v_and_b32_e32 v18, 64, v17
	v_add_u32_e32 v18, 64, v18
	v_xor_b32_e32 v19, 32, v17
	v_cmp_lt_i32_e64 s[40:41], v19, v18
	s_nop 1
	v_cndmask_b32_e64 v19, v17, v19, s[40:41]
	v_lshlrev_b32_e32 v56, 2, v19
	ds_bpermute_b32 v19, v56, v16
	s_waitcnt vmcnt(5)
	v_mad_i64_i32 v[14:15], s[40:41], v59, s45, 0
	v_lshl_add_u64 v[14:15], v[14:15], 1, v[10:11]
	s_waitcnt lgkmcnt(0)
	v_max_f32_e32 v19, v19, v19
	v_max_f32_e32 v16, v16, v19
	v_xor_b32_e32 v19, 16, v17
	v_cmp_lt_i32_e64 s[40:41], v19, v18
	s_nop 1
	v_cndmask_b32_e64 v17, v17, v19, s[40:41]
	v_lshlrev_b32_e32 v58, 2, v17
	ds_bpermute_b32 v17, v58, v16
	global_load_dwordx4 v[22:25], v[14:15], off
	global_load_dwordx4 v[18:21], v[14:15], off offset:16
	s_waitcnt vmcnt(6)
	v_mad_i64_i32 v[14:15], s[40:41], v60, s45, 0
	v_lshl_add_u64 v[10:11], v[14:15], 1, v[10:11]
	s_waitcnt lgkmcnt(0)
	v_max_f32_e32 v14, v17, v17
	v_max_f32_e32 v55, v16, v14
	v_sub_f32_e32 v12, v12, v55
	v_mul_f32_e32 v12, 0x3fb8aa3b, v12
	v_exp_f32_e32 v50, v12
	v_sub_f32_e32 v12, v13, v55
	v_mul_f32_e32 v12, 0x3fb8aa3b, v12
	v_exp_f32_e32 v51, v12
	global_load_dwordx4 v[14:17], v[10:11], off
	s_nop 0
	global_load_dwordx4 v[10:13], v[10:11], off offset:16
	v_sub_f32_e32 v52, v52, v55
	v_mul_f32_e32 v52, 0x3fb8aa3b, v52
	v_sub_f32_e32 v53, v53, v55
	v_exp_f32_e32 v52, v52
	v_mul_f32_e32 v53, 0x3fb8aa3b, v53
	v_sub_f32_e32 v48, v48, v55
	v_exp_f32_e32 v53, v53
	v_mul_f32_e32 v48, 0x3fb8aa3b, v48
	v_sub_f32_e32 v49, v49, v55
	v_cndmask_b32_e64 v50, 0, v50, s[4:5]
	v_exp_f32_e32 v48, v48
	v_mul_f32_e32 v49, 0x3fb8aa3b, v49
	v_sub_f32_e32 v46, v46, v55
	v_add_f32_e32 v57, 0, v50
	v_cndmask_b32_e64 v51, 0, v51, s[34:35]
	v_exp_f32_e32 v49, v49
	v_mul_f32_e32 v46, 0x3fb8aa3b, v46
	v_sub_f32_e32 v47, v47, v55
	v_add_f32_e32 v57, v57, v51
	v_cndmask_b32_e64 v52, 0, v52, s[36:37]
	v_exp_f32_e32 v46, v46
	v_mul_f32_e32 v47, 0x3fb8aa3b, v47
	v_sub_f32_e32 v40, v40, v55
	v_add_f32_e32 v57, v57, v52
	v_cndmask_b32_e64 v53, 0, v53, s[38:39]
	v_exp_f32_e32 v47, v47
	v_mul_f32_e32 v40, 0x3fb8aa3b, v40
	v_sub_f32_e32 v41, v41, v55
	v_add_f32_e32 v57, v57, v53
	v_cndmask_b32_e64 v48, 0, v48, s[24:25]
	v_exp_f32_e32 v40, v40
	v_mul_f32_e32 v41, 0x3fb8aa3b, v41
	v_sub_f32_e32 v38, v38, v55
	v_add_f32_e32 v57, v57, v48
	v_cndmask_b32_e64 v49, 0, v49, s[26:27]
	v_exp_f32_e32 v41, v41
	v_mul_f32_e32 v38, 0x3fb8aa3b, v38
	v_sub_f32_e32 v39, v39, v55
	v_add_f32_e32 v57, v57, v49
	v_cndmask_b32_e64 v46, 0, v46, s[20:21]
	v_exp_f32_e32 v38, v38
	v_mul_f32_e32 v39, 0x3fb8aa3b, v39
	v_sub_f32_e32 v36, v36, v55
	v_add_f32_e32 v57, v57, v46
	v_cndmask_b32_e64 v47, 0, v47, s[22:23]
	v_exp_f32_e32 v39, v39
	v_mul_f32_e32 v36, 0x3fb8aa3b, v36
	v_sub_f32_e32 v37, v37, v55
	v_add_f32_e32 v57, v57, v47
	v_cndmask_b32_e64 v40, 0, v40, s[16:17]
	v_exp_f32_e32 v36, v36
	v_mul_f32_e32 v37, 0x3fb8aa3b, v37
	v_sub_f32_e32 v34, v34, v55
	v_add_f32_e32 v57, v57, v40
	v_cndmask_b32_e64 v41, 0, v41, s[18:19]
	v_exp_f32_e32 v37, v37
	v_mul_f32_e32 v34, 0x3fb8aa3b, v34
	v_sub_f32_e32 v35, v35, v55
	v_add_f32_e32 v57, v57, v41
	v_cndmask_b32_e64 v38, 0, v38, s[12:13]
	v_exp_f32_e32 v34, v34
	v_mul_f32_e32 v35, 0x3fb8aa3b, v35
	v_add_f32_e32 v57, v57, v38
	v_cndmask_b32_e64 v39, 0, v39, s[14:15]
	v_exp_f32_e32 v35, v35
	v_add_f32_e32 v57, v57, v39
	v_cndmask_b32_e64 v36, 0, v36, s[8:9]
	v_add_f32_e32 v57, v57, v36
	v_cndmask_b32_e64 v37, 0, v37, s[10:11]
	v_add_f32_e32 v57, v57, v37
	v_cndmask_b32_e32 v34, 0, v34, vcc
	v_add_f32_e32 v57, v57, v34
	v_cndmask_b32_e64 v35, 0, v35, s[6:7]
	v_add_f32_e32 v57, v57, v35
	ds_bpermute_b32 v56, v56, v57
	s_load_dword s7, s[0:1], 0x98
	v_cmp_gt_u32_e32 vcc, 16, v54
	s_waitcnt lgkmcnt(0)
	s_barrier
	v_add_f32_e32 v57, v57, v56
	ds_bpermute_b32 v58, v58, v57
	v_lshlrev_b32_e32 v56, 2, v44
	s_waitcnt lgkmcnt(0)
	s_and_saveexec_b64 s[4:5], vcc
	s_cbranch_execz .LBB507_17
; %bb.16:
	v_add_f32_e32 v54, v57, v58
	v_lshl_or_b32 v57, v45, 6, v56
	ds_write2st64_b32 v57, v55, v54 offset1:1
.LBB507_17:
	s_or_b64 exec, exec, s[4:5]
	s_load_dword s6, s[0:1], 0x94
	s_waitcnt lgkmcnt(0)
	s_barrier
	ds_read2_b32 v[58:59], v56 offset1:16
	ds_read2_b32 v[60:61], v56 offset0:32 offset1:48
	ds_read2_b32 v[62:63], v56 offset0:64 offset1:80
	;; [unrolled: 1-line block ×3, first 2 shown]
	s_movk_i32 s8, 0x7fff
	s_waitcnt lgkmcnt(3)
	v_max3_f32 v54, v58, s33, v59
	s_waitcnt lgkmcnt(2)
	v_max3_f32 v54, v54, v60, v61
	v_sub_f32_e32 v55, v58, v54
	v_mul_f32_e32 v55, 0x3fb8aa3b, v55
	v_exp_f32_e32 v58, v55
	v_sub_f32_e32 v55, v59, v54
	v_mul_f32_e32 v55, 0x3fb8aa3b, v55
	v_exp_f32_e32 v59, v55
	;; [unrolled: 3-line block ×4, first 2 shown]
	s_waitcnt lgkmcnt(1)
	v_fma_f32 v55, v58, v62, 0
	v_fmac_f32_e32 v55, v59, v63
	s_waitcnt lgkmcnt(0)
	v_fmac_f32_e32 v55, v60, v56
	v_fmac_f32_e32 v55, v61, v57
	v_add_f32_e32 v56, 0x358637bd, v55
	v_div_scale_f32 v57, s[4:5], v56, v56, 1.0
	v_rcp_f32_e32 v62, v57
	s_mov_b32 s9, 0x7060302
	s_mul_i32 s7, s7, 12
	v_fma_f32 v63, -v57, v62, 1.0
	v_fmac_f32_e32 v62, v63, v62
	v_div_scale_f32 v63, vcc, 1.0, v56, 1.0
	v_mul_f32_e32 v64, v63, v62
	v_fma_f32 v65, -v57, v64, v63
	v_fmac_f32_e32 v64, v65, v62
	v_fma_f32 v57, -v57, v64, v63
	v_div_fmas_f32 v57, v57, v62, v64
	v_cmp_eq_u32_e32 vcc, 1, v45
	v_div_fixup_f32 v56, v57, v56, 1.0
	s_barrier
	v_cndmask_b32_e32 v57, v58, v59, vcc
	v_cmp_eq_u32_e32 vcc, 2, v45
	s_nop 1
	v_cndmask_b32_e32 v57, v57, v60, vcc
	v_cmp_eq_u32_e32 vcc, 3, v45
	v_lshlrev_b32_e32 v45, 11, v45
	s_nop 0
	v_cndmask_b32_e32 v57, v57, v61, vcc
	v_mul_f32_e32 v56, v57, v56
	v_pk_mul_f32 v[50:51], v[56:57], v[50:51] op_sel_hi:[0,1]
	v_pk_mul_f32 v[52:53], v[56:57], v[52:53] op_sel_hi:[0,1]
	v_bfe_u32 v57, v51, 16, 1
	v_bfe_u32 v58, v50, 16, 1
	v_add3_u32 v50, v50, v58, s8
	v_add3_u32 v51, v51, v57, s8
	v_perm_b32 v58, v51, v50, s9
	v_bfe_u32 v50, v53, 16, 1
	v_bfe_u32 v51, v52, 16, 1
	v_add3_u32 v51, v52, v51, s8
	v_add3_u32 v50, v53, v50, s8
	v_perm_b32 v59, v50, v51, s9
	v_lshlrev_b32_e32 v50, 3, v1
	v_lshlrev_b32_e32 v51, 5, v44
	v_pk_mul_f32 v[48:49], v[56:57], v[48:49] op_sel_hi:[0,1]
	v_or3_b32 v50, v45, v51, v50
	v_bfe_u32 v45, v49, 16, 1
	v_bfe_u32 v52, v48, 16, 1
	v_pk_mul_f32 v[46:47], v[56:57], v[46:47] op_sel_hi:[0,1]
	v_add3_u32 v48, v48, v52, s8
	v_add3_u32 v45, v49, v45, s8
	v_perm_b32 v48, v45, v48, s9
	v_bfe_u32 v45, v47, 16, 1
	v_bfe_u32 v49, v46, 16, 1
	v_add3_u32 v46, v46, v49, s8
	v_add3_u32 v45, v47, v45, s8
	v_pk_mul_f32 v[40:41], v[56:57], v[40:41] op_sel_hi:[0,1]
	v_perm_b32 v49, v45, v46, s9
	v_bfe_u32 v45, v41, 16, 1
	v_bfe_u32 v46, v40, 16, 1
	v_pk_mul_f32 v[38:39], v[56:57], v[38:39] op_sel_hi:[0,1]
	v_add3_u32 v40, v40, v46, s8
	v_add3_u32 v41, v41, v45, s8
	v_perm_b32 v40, v41, v40, s9
	v_bfe_u32 v41, v39, 16, 1
	v_bfe_u32 v45, v38, 16, 1
	v_add3_u32 v38, v38, v45, s8
	v_add3_u32 v39, v39, v41, s8
	v_pk_mul_f32 v[36:37], v[56:57], v[36:37] op_sel_hi:[0,1]
	v_perm_b32 v41, v39, v38, s9
	v_bfe_u32 v38, v37, 16, 1
	v_bfe_u32 v39, v36, 16, 1
	v_pk_mul_f32 v[34:35], v[56:57], v[34:35] op_sel_hi:[0,1]
	v_add3_u32 v36, v36, v39, s8
	v_add3_u32 v37, v37, v38, s8
	v_perm_b32 v36, v37, v36, s9
	v_bfe_u32 v37, v35, 16, 1
	v_bfe_u32 v38, v34, 16, 1
	v_add3_u32 v34, v34, v38, s8
	v_add3_u32 v35, v35, v37, s8
	v_perm_b32 v37, v35, v34, s9
	v_cmp_gt_u32_e32 vcc, 12, v0
	ds_write2st64_b64 v50, v[58:59], v[48:49] offset1:1
	ds_write2st64_b64 v50, v[40:41], v[36:37] offset0:2 offset1:3
	s_and_saveexec_b64 s[4:5], vcc
	s_cbranch_execz .LBB507_19
; %bb.18:
	s_mov_b32 s43, 0
	v_mov_b32_e32 v45, 0
	v_lshl_add_u64 v[34:35], s[42:43], 0, v[44:45]
	v_mov_b32_e32 v36, s7
	v_mad_u64_u32 v[34:35], s[10:11], s2, v36, v[34:35]
	s_mul_i32 s3, s3, s7
	v_mov_b32_e32 v44, s28
	s_load_dwordx4 s[12:15], s[0:1], 0x58
	v_add_u32_e32 v37, s3, v35
	v_mad_u64_u32 v[34:35], s[10:11], v34, s6, v[44:45]
	v_mov_b32_e32 v36, v35
	v_mad_u64_u32 v[36:37], s[10:11], v37, s6, v[36:37]
	v_mov_b32_e32 v35, v36
	v_lshlrev_b64 v[34:35], 2, v[34:35]
	s_waitcnt lgkmcnt(0)
	v_lshl_add_u64 v[36:37], s[14:15], 0, v[34:35]
	v_lshl_add_u64 v[34:35], s[12:13], 0, v[34:35]
	global_store_dword v[36:37], v54, off
	global_store_dword v[34:35], v55, off
.LBB507_19:
	s_or_b64 exec, exec, s[4:5]
	v_lshl_or_b32 v48, v1, 9, v51
	s_waitcnt lgkmcnt(0)
	s_barrier
	ds_read_b128 v[34:37], v48
	ds_read_b128 v[38:41], v48 offset:16
	s_waitcnt vmcnt(7) lgkmcnt(1)
	v_mfma_f32_16x16x16_bf16 v[44:47], v[6:7], v[34:35], 0
	v_cmp_gt_u32_e32 vcc, 64, v0
	s_mov_b32 s3, 0
	s_and_b64 s[4:5], vcc, s[30:31]
	v_mfma_f32_16x16x16_bf16 v[6:9], v[8:9], v[36:37], v[44:47]
	s_waitcnt vmcnt(6) lgkmcnt(0)
	v_mfma_f32_16x16x16_bf16 v[6:9], v[2:3], v[38:39], v[6:9]
	v_mfma_f32_16x16x16_bf16 v[2:5], v[4:5], v[40:41], v[6:9]
	s_nop 5
	ds_read_b128 v[6:9], v48 offset:2048
	ds_read_b128 v[34:37], v48 offset:2064
	s_waitcnt vmcnt(5) lgkmcnt(1)
	v_mfma_f32_16x16x16_bf16 v[2:5], v[30:31], v[6:7], v[2:5]
	v_mfma_f32_16x16x16_bf16 v[2:5], v[32:33], v[8:9], v[2:5]
	s_waitcnt vmcnt(4) lgkmcnt(0)
	v_mfma_f32_16x16x16_bf16 v[2:5], v[26:27], v[34:35], v[2:5]
	v_mfma_f32_16x16x16_bf16 v[2:5], v[28:29], v[36:37], v[2:5]
	ds_read_b128 v[6:9], v48 offset:4096
	ds_read_b128 v[26:29], v48 offset:4112
	s_waitcnt vmcnt(3) lgkmcnt(1)
	v_mfma_f32_16x16x16_bf16 v[2:5], v[22:23], v[6:7], v[2:5]
	v_mfma_f32_16x16x16_bf16 v[2:5], v[24:25], v[8:9], v[2:5]
	s_waitcnt vmcnt(2) lgkmcnt(0)
	v_mfma_f32_16x16x16_bf16 v[2:5], v[18:19], v[26:27], v[2:5]
	v_mfma_f32_16x16x16_bf16 v[2:5], v[20:21], v[28:29], v[2:5]
	ds_read_b128 v[6:9], v48 offset:6144
	ds_read_b128 v[18:21], v48 offset:6160
	s_waitcnt lgkmcnt(0)
	s_barrier
	s_waitcnt vmcnt(1)
	v_mfma_f32_16x16x16_bf16 v[2:5], v[14:15], v[6:7], v[2:5]
	v_mfma_f32_16x16x16_bf16 v[2:5], v[16:17], v[8:9], v[2:5]
	s_waitcnt vmcnt(0)
	v_mfma_f32_16x16x16_bf16 v[2:5], v[10:11], v[18:19], v[2:5]
	v_mfma_f32_16x16x16_bf16 v[2:5], v[12:13], v[20:21], v[2:5]
	s_nop 6
	v_bfe_u32 v6, v3, 16, 1
	v_bfe_u32 v7, v2, 16, 1
	v_bfe_u32 v8, v5, 16, 1
	v_bfe_u32 v9, v4, 16, 1
	v_add3_u32 v2, v2, v7, s8
	v_add3_u32 v3, v3, v6, s8
	;; [unrolled: 1-line block ×4, first 2 shown]
	v_perm_b32 v2, v3, v2, s9
	v_perm_b32 v3, v5, v4, s9
	ds_write_b64 v50, v[2:3]
	s_waitcnt lgkmcnt(0)
	s_barrier
	s_and_saveexec_b64 s[8:9], s[4:5]
	s_cbranch_execz .LBB507_21
; %bb.20:
	s_load_dwordx2 s[0:1], s[0:1], 0x68
	s_lshl_b32 s6, s6, 6
	s_mul_i32 s2, s7, s2
	s_mul_hi_u32 s5, s2, s6
	s_mul_i32 s4, s2, s6
	s_lshl_b64 s[4:5], s[4:5], 1
	s_waitcnt lgkmcnt(0)
	s_add_u32 s4, s0, s4
	v_lshlrev_b32_e32 v2, 10, v0
	v_lshlrev_b32_e32 v0, 4, v0
	s_addc_u32 s5, s1, s5
	s_lshl_b32 s2, s28, 6
	v_and_b32_e32 v2, 0x1800, v2
	v_lshlrev_b32_e32 v3, 5, v1
	v_and_b32_e32 v0, 16, v0
	s_lshl_b64 s[0:1], s[2:3], 1
	v_or3_b32 v0, v2, v3, v0
	s_add_u32 s0, s4, s0
	ds_read_b128 v[2:5], v0
	ds_read_b128 v[6:9], v0 offset:128
	ds_read_b128 v[10:13], v0 offset:256
	s_addc_u32 s1, s5, s1
	v_or_b32_e32 v16, s42, v1
	v_lshl_add_u64 v[0:1], v[42:43], 1, s[0:1]
	v_mad_u64_u32 v[14:15], s[0:1], v16, s6, 0
	v_lshl_add_u64 v[14:15], v[14:15], 1, v[0:1]
	s_waitcnt lgkmcnt(2)
	global_store_dwordx4 v[14:15], v[2:5], off
	s_nop 1
	v_add_u32_e32 v2, 4, v16
	v_mad_u64_u32 v[2:3], s[0:1], v2, s6, 0
	v_lshl_add_u64 v[2:3], v[2:3], 1, v[0:1]
	s_waitcnt lgkmcnt(1)
	global_store_dwordx4 v[2:3], v[6:9], off
	v_add_u32_e32 v2, 8, v16
	v_mad_u64_u32 v[2:3], s[0:1], v2, s6, 0
	v_lshl_add_u64 v[0:1], v[2:3], 1, v[0:1]
	s_waitcnt lgkmcnt(0)
	global_store_dwordx4 v[0:1], v[10:13], off
.LBB507_21:
	s_endpgm
	.section	.rodata,"a",@progbits
	.p2align	6, 0x0
	.amdhsa_kernel _Z39paged_attention_ll4mi_QKV_mfma16_kernelI14__hip_bfloat16S0_LN4vllm18Fp8KVCacheDataTypeE0EhLi32ELi64ELi256ELb1ELi12EEvPKT_PKT0_S8_ifPKiSA_SA_iPKfiiiPfSD_PS3_PT2_iSC_SC_
		.amdhsa_group_segment_fixed_size 8192
		.amdhsa_private_segment_fixed_size 0
		.amdhsa_kernarg_size 400
		.amdhsa_user_sgpr_count 2
		.amdhsa_user_sgpr_dispatch_ptr 0
		.amdhsa_user_sgpr_queue_ptr 0
		.amdhsa_user_sgpr_kernarg_segment_ptr 1
		.amdhsa_user_sgpr_dispatch_id 0
		.amdhsa_user_sgpr_kernarg_preload_length 0
		.amdhsa_user_sgpr_kernarg_preload_offset 0
		.amdhsa_user_sgpr_private_segment_size 0
		.amdhsa_uses_dynamic_stack 0
		.amdhsa_enable_private_segment 0
		.amdhsa_system_sgpr_workgroup_id_x 1
		.amdhsa_system_sgpr_workgroup_id_y 1
		.amdhsa_system_sgpr_workgroup_id_z 1
		.amdhsa_system_sgpr_workgroup_info 0
		.amdhsa_system_vgpr_workitem_id 0
		.amdhsa_next_free_vgpr 73
		.amdhsa_next_free_sgpr 48
		.amdhsa_accum_offset 76
		.amdhsa_reserve_vcc 1
		.amdhsa_float_round_mode_32 0
		.amdhsa_float_round_mode_16_64 0
		.amdhsa_float_denorm_mode_32 3
		.amdhsa_float_denorm_mode_16_64 3
		.amdhsa_dx10_clamp 1
		.amdhsa_ieee_mode 1
		.amdhsa_fp16_overflow 0
		.amdhsa_tg_split 0
		.amdhsa_exception_fp_ieee_invalid_op 0
		.amdhsa_exception_fp_denorm_src 0
		.amdhsa_exception_fp_ieee_div_zero 0
		.amdhsa_exception_fp_ieee_overflow 0
		.amdhsa_exception_fp_ieee_underflow 0
		.amdhsa_exception_fp_ieee_inexact 0
		.amdhsa_exception_int_div_zero 0
	.end_amdhsa_kernel
	.section	.text._Z39paged_attention_ll4mi_QKV_mfma16_kernelI14__hip_bfloat16S0_LN4vllm18Fp8KVCacheDataTypeE0EhLi32ELi64ELi256ELb1ELi12EEvPKT_PKT0_S8_ifPKiSA_SA_iPKfiiiPfSD_PS3_PT2_iSC_SC_,"axG",@progbits,_Z39paged_attention_ll4mi_QKV_mfma16_kernelI14__hip_bfloat16S0_LN4vllm18Fp8KVCacheDataTypeE0EhLi32ELi64ELi256ELb1ELi12EEvPKT_PKT0_S8_ifPKiSA_SA_iPKfiiiPfSD_PS3_PT2_iSC_SC_,comdat
.Lfunc_end507:
	.size	_Z39paged_attention_ll4mi_QKV_mfma16_kernelI14__hip_bfloat16S0_LN4vllm18Fp8KVCacheDataTypeE0EhLi32ELi64ELi256ELb1ELi12EEvPKT_PKT0_S8_ifPKiSA_SA_iPKfiiiPfSD_PS3_PT2_iSC_SC_, .Lfunc_end507-_Z39paged_attention_ll4mi_QKV_mfma16_kernelI14__hip_bfloat16S0_LN4vllm18Fp8KVCacheDataTypeE0EhLi32ELi64ELi256ELb1ELi12EEvPKT_PKT0_S8_ifPKiSA_SA_iPKfiiiPfSD_PS3_PT2_iSC_SC_
                                        ; -- End function
	.section	.AMDGPU.csdata,"",@progbits
; Kernel info:
; codeLenInByte = 4428
; NumSgprs: 54
; NumVgprs: 73
; NumAgprs: 0
; TotalNumVgprs: 73
; ScratchSize: 0
; MemoryBound: 0
; FloatMode: 240
; IeeeMode: 1
; LDSByteSize: 8192 bytes/workgroup (compile time only)
; SGPRBlocks: 6
; VGPRBlocks: 9
; NumSGPRsForWavesPerEU: 54
; NumVGPRsForWavesPerEU: 73
; AccumOffset: 76
; Occupancy: 6
; WaveLimiterHint : 1
; COMPUTE_PGM_RSRC2:SCRATCH_EN: 0
; COMPUTE_PGM_RSRC2:USER_SGPR: 2
; COMPUTE_PGM_RSRC2:TRAP_HANDLER: 0
; COMPUTE_PGM_RSRC2:TGID_X_EN: 1
; COMPUTE_PGM_RSRC2:TGID_Y_EN: 1
; COMPUTE_PGM_RSRC2:TGID_Z_EN: 1
; COMPUTE_PGM_RSRC2:TIDIG_COMP_CNT: 0
; COMPUTE_PGM_RSRC3_GFX90A:ACCUM_OFFSET: 18
; COMPUTE_PGM_RSRC3_GFX90A:TG_SPLIT: 0
	.section	.text._Z39paged_attention_ll4mi_QKV_mfma16_kernelI14__hip_bfloat16S0_LN4vllm18Fp8KVCacheDataTypeE0EhLi32ELi64ELi256ELb1ELi13EEvPKT_PKT0_S8_ifPKiSA_SA_iPKfiiiPfSD_PS3_PT2_iSC_SC_,"axG",@progbits,_Z39paged_attention_ll4mi_QKV_mfma16_kernelI14__hip_bfloat16S0_LN4vllm18Fp8KVCacheDataTypeE0EhLi32ELi64ELi256ELb1ELi13EEvPKT_PKT0_S8_ifPKiSA_SA_iPKfiiiPfSD_PS3_PT2_iSC_SC_,comdat
	.protected	_Z39paged_attention_ll4mi_QKV_mfma16_kernelI14__hip_bfloat16S0_LN4vllm18Fp8KVCacheDataTypeE0EhLi32ELi64ELi256ELb1ELi13EEvPKT_PKT0_S8_ifPKiSA_SA_iPKfiiiPfSD_PS3_PT2_iSC_SC_ ; -- Begin function _Z39paged_attention_ll4mi_QKV_mfma16_kernelI14__hip_bfloat16S0_LN4vllm18Fp8KVCacheDataTypeE0EhLi32ELi64ELi256ELb1ELi13EEvPKT_PKT0_S8_ifPKiSA_SA_iPKfiiiPfSD_PS3_PT2_iSC_SC_
	.globl	_Z39paged_attention_ll4mi_QKV_mfma16_kernelI14__hip_bfloat16S0_LN4vllm18Fp8KVCacheDataTypeE0EhLi32ELi64ELi256ELb1ELi13EEvPKT_PKT0_S8_ifPKiSA_SA_iPKfiiiPfSD_PS3_PT2_iSC_SC_
	.p2align	8
	.type	_Z39paged_attention_ll4mi_QKV_mfma16_kernelI14__hip_bfloat16S0_LN4vllm18Fp8KVCacheDataTypeE0EhLi32ELi64ELi256ELb1ELi13EEvPKT_PKT0_S8_ifPKiSA_SA_iPKfiiiPfSD_PS3_PT2_iSC_SC_,@function
_Z39paged_attention_ll4mi_QKV_mfma16_kernelI14__hip_bfloat16S0_LN4vllm18Fp8KVCacheDataTypeE0EhLi32ELi64ELi256ELb1ELi13EEvPKT_PKT0_S8_ifPKiSA_SA_iPKfiiiPfSD_PS3_PT2_iSC_SC_: ; @_Z39paged_attention_ll4mi_QKV_mfma16_kernelI14__hip_bfloat16S0_LN4vllm18Fp8KVCacheDataTypeE0EhLi32ELi64ELi256ELb1ELi13EEvPKT_PKT0_S8_ifPKiSA_SA_iPKfiiiPfSD_PS3_PT2_iSC_SC_
; %bb.0:
	s_load_dwordx2 s[6:7], s[0:1], 0x30
	s_mov_b32 s28, s3
	s_mov_b64 s[8:9], 0
	s_waitcnt lgkmcnt(0)
	s_cmp_lg_u64 s[6:7], 0
	s_cselect_b64 s[10:11], -1, 0
	s_and_b64 vcc, exec, s[10:11]
	s_cbranch_vccz .LBB508_7
; %bb.1:
	s_add_i32 s12, s2, 1
	s_mov_b32 s13, 0
	s_lshl_b64 s[14:15], s[12:13], 2
	s_add_u32 s14, s6, s14
	s_mov_b32 s3, s13
	s_addc_u32 s15, s7, s15
	s_lshl_b64 s[12:13], s[2:3], 2
	s_add_u32 s12, s6, s12
	s_addc_u32 s13, s7, s13
	s_load_dword s5, s[14:15], 0x0
	s_load_dword s16, s[12:13], 0x0
	s_waitcnt lgkmcnt(0)
	s_sub_i32 s5, s5, s16
	s_cmp_eq_u32 s5, 1
	s_cselect_b64 s[12:13], -1, 0
	s_andn2_b64 vcc, exec, s[8:9]
	s_cbranch_vccnz .LBB508_3
.LBB508_2:
	s_mov_b32 s3, 0
	s_mov_b64 s[12:13], -1
.LBB508_3:
	s_andn2_b64 vcc, exec, s[12:13]
	s_cbranch_vccnz .LBB508_22
; %bb.4:
	s_load_dwordx2 s[8:9], s[0:1], 0x28
	s_lshl_b64 s[12:13], s[2:3], 2
	s_waitcnt lgkmcnt(0)
	s_add_u32 s8, s8, s12
	s_addc_u32 s9, s9, s13
	s_load_dword s29, s[8:9], 0x0
	s_lshl_b32 s14, s28, 8
	s_waitcnt lgkmcnt(0)
	s_cmp_ge_i32 s14, s29
	s_cbranch_scc1 .LBB508_22
; %bb.5:
	s_load_dwordx2 s[8:9], s[0:1], 0x20
	s_load_dword s5, s[0:1], 0x38
	s_add_i32 s15, s29, 31
	s_ashr_i32 s16, s15, 31
	v_and_b32_e32 v1, 0xcf, v0
	s_lshr_b32 s16, s16, 27
	v_add_u32_e32 v1, s14, v1
	s_add_i32 s15, s15, s16
	v_ashrrev_i32_e32 v2, 31, v1
	s_ashr_i32 s15, s15, 5
	v_lshrrev_b32_e32 v6, 27, v2
	s_add_i32 s15, s15, -1
	s_waitcnt lgkmcnt(0)
	s_mul_i32 s16, s2, s5
	s_mov_b32 s17, 0
	v_add_u32_e32 v2, v1, v6
	s_lshl_b64 s[16:17], s[16:17], 2
	v_ashrrev_i32_e32 v2, 5, v2
	v_mov_b32_e32 v7, s15
	v_cmp_gt_i32_e32 vcc, s29, v1
	s_add_u32 s8, s8, s16
	s_addc_u32 s9, s9, s17
	v_cndmask_b32_e32 v2, v7, v2, vcc
	v_ashrrev_i32_e32 v3, 31, v2
	v_lshl_add_u64 v[4:5], v[2:3], 2, s[8:9]
	v_or_b32_e32 v2, 16, v1
	v_add_u32_e32 v3, v2, v6
	v_ashrrev_i32_e32 v3, 5, v3
	v_cmp_gt_i32_e32 vcc, s29, v2
	s_nop 1
	v_cndmask_b32_e32 v2, v7, v3, vcc
	v_ashrrev_i32_e32 v3, 31, v2
	v_lshl_add_u64 v[8:9], v[2:3], 2, s[8:9]
	v_or_b32_e32 v2, 32, v1
	v_add_u32_e32 v3, v2, v6
	v_ashrrev_i32_e32 v3, 5, v3
	v_cmp_gt_i32_e32 vcc, s29, v2
	v_or_b32_e32 v1, 48, v1
	s_nop 0
	v_cndmask_b32_e32 v2, v7, v3, vcc
	v_ashrrev_i32_e32 v3, 31, v2
	v_lshl_add_u64 v[12:13], v[2:3], 2, s[8:9]
	v_add_u32_e32 v2, v1, v6
	v_ashrrev_i32_e32 v2, 5, v2
	v_cmp_gt_i32_e32 vcc, s29, v1
	s_nop 1
	v_cndmask_b32_e32 v2, v7, v2, vcc
	v_ashrrev_i32_e32 v3, 31, v2
	v_lshl_add_u64 v[16:17], v[2:3], 2, s[8:9]
	global_load_dword v2, v[4:5], off
	global_load_dword v6, v[8:9], off
	;; [unrolled: 1-line block ×4, first 2 shown]
	s_andn2_b64 vcc, exec, s[10:11]
	s_cbranch_vccnz .LBB508_8
; %bb.6:
	s_add_u32 s6, s6, s12
	s_addc_u32 s7, s7, s13
	s_load_dword s5, s[6:7], 0x0
	s_branch .LBB508_9
.LBB508_7:
	s_mov_b64 s[12:13], 0
	s_branch .LBB508_2
.LBB508_8:
	s_mov_b32 s5, s2
.LBB508_9:
	s_load_dwordx2 s[10:11], s[0:1], 0x8
	s_load_dwordx4 s[44:47], s[0:1], 0x48
	v_lshrrev_b32_e32 v1, 6, v0
	v_bfe_u32 v54, v0, 4, 2
	v_lshl_or_b32 v3, v1, 2, v54
	v_and_b32_e32 v44, 15, v0
	v_cmp_lt_u32_e32 vcc, 12, v3
	v_cmp_lt_u32_e64 s[6:7], 7, v44
	v_lshlrev_b32_e32 v42, 3, v44
	v_cmp_gt_u32_e64 s[30:31], 8, v44
	s_or_b64 s[6:7], s[6:7], vcc
	s_and_saveexec_b64 s[12:13], s[6:7]
	s_xor_b64 s[6:7], exec, s[12:13]
; %bb.10:
	v_mov_b32_e32 v43, 0
                                        ; implicit-def: $vgpr3
; %bb.11:
	s_or_saveexec_b64 s[12:13], s[6:7]
	s_load_dwordx2 s[6:7], s[0:1], 0x10
	s_mul_i32 s42, s4, 13
	s_xor_b64 exec, exec, s[12:13]
	s_cbranch_execz .LBB508_13
; %bb.12:
	s_load_dwordx2 s[16:17], s[0:1], 0x0
	s_waitcnt lgkmcnt(0)
	s_ashr_i32 s18, s44, 31
	s_mul_hi_u32 s19, s5, s44
	s_mul_i32 s18, s5, s18
	s_add_i32 s19, s19, s18
	s_mul_i32 s18, s5, s44
	s_lshl_b64 s[18:19], s[18:19], 1
	s_add_u32 s16, s16, s18
	v_add_lshl_u32 v4, v3, s42, 6
	s_addc_u32 s17, s17, s19
	v_ashrrev_i32_e32 v5, 31, v4
	v_mov_b32_e32 v43, 0
	v_lshl_add_u64 v[4:5], v[4:5], 1, s[16:17]
	v_lshlrev_b32_e32 v8, 1, v42
	v_mov_b32_e32 v9, v43
	v_lshl_add_u64 v[4:5], v[4:5], 0, v[8:9]
	global_load_dwordx4 v[16:19], v[4:5], off
	v_and_b32_e32 v4, 3, v0
	v_lshlrev_b32_e32 v5, 9, v44
	v_lshlrev_b32_e32 v3, 5, v3
	;; [unrolled: 1-line block ×3, first 2 shown]
	v_and_b32_e32 v5, 0x1800, v5
	v_or3_b32 v3, v5, v4, v3
	s_waitcnt vmcnt(0)
	ds_write_b128 v3, v[16:19]
.LBB508_13:
	s_or_b64 exec, exec, s[12:13]
	s_waitcnt lgkmcnt(0)
	s_mul_i32 s4, s4, s46
	s_mov_b32 s5, 0
	s_lshl_b64 s[4:5], s[4:5], 1
	s_add_u32 s10, s10, s4
	s_addc_u32 s11, s11, s5
	s_waitcnt vmcnt(3)
	v_mad_i64_i32 v[2:3], s[12:13], v2, s45, 0
	v_lshl_add_u64 v[2:3], v[2:3], 1, s[10:11]
	v_lshlrev_b64 v[12:13], 1, v[42:43]
	v_lshlrev_b32_e32 v46, 9, v54
	v_lshl_add_u64 v[2:3], v[2:3], 0, v[12:13]
	v_mov_b32_e32 v47, 0
	v_lshl_add_u64 v[8:9], v[2:3], 0, v[46:47]
	s_barrier
	global_load_dwordx4 v[22:25], v[8:9], off
	global_load_dwordx4 v[2:5], v[8:9], off offset:2048
	s_waitcnt vmcnt(4)
	v_mad_i64_i32 v[6:7], s[12:13], v6, s45, 0
	v_mov_b32_e32 v8, 0x100
	v_lshl_add_u64 v[6:7], v[6:7], 1, s[10:11]
	v_lshl_or_b32 v16, v44, 4, v8
	v_mov_b32_e32 v17, v47
	s_waitcnt vmcnt(3)
	v_mad_i64_i32 v[10:11], s[12:13], v10, s45, 0
	v_lshl_add_u64 v[6:7], v[6:7], 0, v[16:17]
	v_lshl_add_u64 v[10:11], v[10:11], 1, s[10:11]
	s_waitcnt vmcnt(2)
	v_mad_i64_i32 v[14:15], s[12:13], v14, s45, 0
	v_lshl_add_u64 v[18:19], v[6:7], 0, v[46:47]
	v_lshl_add_u64 v[10:11], v[10:11], 0, v[12:13]
	;; [unrolled: 1-line block ×3, first 2 shown]
	global_load_dwordx4 v[26:29], v[18:19], off
	global_load_dwordx4 v[6:9], v[18:19], off offset:2048
	v_lshl_add_u64 v[18:19], v[10:11], 0, v[46:47]
	v_lshl_add_u64 v[14:15], v[14:15], 0, v[16:17]
	global_load_dwordx4 v[30:33], v[18:19], off
	global_load_dwordx4 v[10:13], v[18:19], off offset:2048
	v_lshl_add_u64 v[18:19], v[14:15], 0, v[46:47]
	global_load_dwordx4 v[34:37], v[18:19], off
	global_load_dwordx4 v[14:17], v[18:19], off offset:2048
	v_add_u32_e32 v18, -13, v44
	v_cmp_gt_u32_e32 vcc, 13, v44
	v_and_b32_e32 v45, 63, v0
	v_mov_b32_e32 v50, 0
	v_cndmask_b32_e32 v18, v18, v44, vcc
	v_lshl_add_u32 v18, v18, 5, v46
	ds_read_b128 v[38:41], v18
	ds_read_b128 v[18:21], v18 offset:2048
	s_and_saveexec_b64 s[10:11], vcc
	s_cbranch_execz .LBB508_15
; %bb.14:
	s_load_dwordx2 s[12:13], s[0:1], 0x40
	v_add_u32_e32 v48, s42, v44
	v_ashrrev_i32_e32 v49, 31, v48
	s_waitcnt lgkmcnt(0)
	v_lshl_add_u64 v[48:49], v[48:49], 2, s[12:13]
	global_load_dword v50, v[48:49], off
.LBB508_15:
	s_or_b64 exec, exec, s[10:11]
	s_ashr_i32 s10, s14, 31
	v_and_or_b32 v46, v0, 48, s14
	s_lshr_b32 s11, s10, 27
	v_add_u32_e32 v48, s11, v46
	v_or_b32_e32 v52, 64, v46
	v_ashrrev_i32_e32 v48, 5, v48
	v_mov_b32_e32 v51, s15
	v_cmp_gt_i32_e32 vcc, s29, v46
	v_add_u32_e32 v53, s11, v52
	s_waitcnt vmcnt(7) lgkmcnt(1)
	v_mfma_f32_16x16x16_bf16 v[56:59], v[22:23], v[38:39], 0
	v_cndmask_b32_e32 v48, v51, v48, vcc
	v_ashrrev_i32_e32 v22, 5, v53
	v_cmp_gt_i32_e32 vcc, s29, v52
	v_ashrrev_i32_e32 v49, 31, v48
	v_lshl_add_u64 v[48:49], v[48:49], 2, s[8:9]
	v_cndmask_b32_e32 v22, v51, v22, vcc
	v_ashrrev_i32_e32 v23, 31, v22
	v_lshl_add_u64 v[22:23], v[22:23], 2, s[8:9]
	global_load_dword v55, v[48:49], off
	global_load_dword v72, v[22:23], off
	s_waitcnt vmcnt(3)
	v_mfma_f32_16x16x16_bf16 v[68:71], v[34:35], v[38:39], 0
	v_or_b32_e32 v48, 0xc0, v46
	v_add_u32_e32 v52, s11, v48
	s_add_u32 s4, s6, s4
	v_mfma_f32_16x16x16_bf16 v[60:63], v[26:27], v[38:39], 0
	s_addc_u32 s5, s7, s5
	s_load_dword s10, s[0:1], 0x1c
	s_mov_b32 s33, 0xff7fffff
	v_mfma_f32_16x16x16_bf16 v[64:67], v[30:31], v[38:39], 0
	v_and_b32_e32 v31, 0xc0, v0
	v_or_b32_e32 v38, 0x80, v46
	v_add_u32_e32 v34, s14, v31
	v_mfma_f32_16x16x16_bf16 v[22:25], v[24:25], v[40:41], v[56:59]
	v_and_b32_e32 v30, 16, v0
	v_add_u32_e32 v49, s11, v38
	v_lshlrev_b32_e32 v46, 1, v30
	v_lshl_or_b32 v56, v54, 2, v34
	v_mfma_f32_16x16x16_bf16 v[34:37], v[36:37], v[40:41], v[68:71]
	v_cmp_gt_i32_e32 vcc, s29, v38
	v_lshlrev_b32_e32 v39, 6, v44
	v_or_b32_e32 v57, 1, v56
	v_mfma_f32_16x16x16_bf16 v[26:29], v[28:29], v[40:41], v[60:63]
	v_cmp_gt_i32_e64 s[34:35], s29, v57
	v_mfma_f32_16x16x16_bf16 v[30:33], v[32:33], v[40:41], v[64:67]
	v_ashrrev_i32_e32 v40, 5, v49
	v_ashrrev_i32_e32 v41, 5, v52
	v_cndmask_b32_e32 v38, v51, v40, vcc
	v_cmp_gt_i32_e32 vcc, s29, v48
	s_waitcnt lgkmcnt(0)
	v_mfma_f32_16x16x16_bf16 v[22:25], v[2:3], v[18:19], v[22:25]
	v_lshl_add_u64 v[2:3], s[4:5], 0, v[46:47]
	v_cndmask_b32_e32 v40, v51, v41, vcc
	v_lshl_or_b32 v46, v1, 10, v39
	v_ashrrev_i32_e32 v39, 31, v38
	v_ashrrev_i32_e32 v41, 31, v40
	s_waitcnt vmcnt(2)
	v_mfma_f32_16x16x16_bf16 v[34:37], v[14:15], v[18:19], v[34:37]
	v_lshl_add_u64 v[14:15], v[38:39], 2, s[8:9]
	v_subrev_u32_e32 v51, s29, v57
	v_cvt_f32_i32_e32 v58, v51
	v_mfma_f32_16x16x16_bf16 v[26:29], v[6:7], v[18:19], v[26:29]
	v_mfma_f32_16x16x16_bf16 v[30:33], v[10:11], v[18:19], v[30:33]
	v_lshl_add_u64 v[18:19], v[40:41], 2, s[8:9]
	global_load_dword v59, v[14:15], off
	global_load_dword v60, v[18:19], off
	v_lshl_add_u64 v[10:11], v[2:3], 0, v[46:47]
	v_mfma_f32_16x16x16_bf16 v[2:5], v[4:5], v[20:21], v[22:25]
	v_add_u32_e32 v46, 1, v51
	v_add_u32_e32 v47, 3, v51
	;; [unrolled: 1-line block ×3, first 2 shown]
	v_mfma_f32_16x16x16_bf16 v[14:17], v[16:17], v[20:21], v[34:37]
	v_add_u32_e32 v22, 2, v51
	s_nop 1
	v_pk_mul_f32 v[52:53], s[10:11], v[4:5] op_sel_hi:[0,1]
	v_cvt_f32_i32_e32 v18, v18
	v_mfma_f32_16x16x16_bf16 v[6:9], v[8:9], v[20:21], v[26:29]
	v_add_u32_e32 v19, 19, v51
	v_pk_mul_f32 v[34:35], s[10:11], v[16:17] op_sel_hi:[0,1]
	v_pk_mul_f32 v[36:37], s[10:11], v[14:15] op_sel_hi:[0,1]
	v_cvt_f32_i32_e32 v27, v22
	v_mfma_f32_16x16x16_bf16 v[22:25], v[12:13], v[20:21], v[30:33]
	v_pk_mul_f32 v[12:13], s[10:11], v[2:3] op_sel_hi:[0,1]
	v_cvt_f32_i32_e32 v26, v46
	v_cvt_f32_i32_e32 v28, v47
	v_pk_mul_f32 v[46:47], s[10:11], v[8:9] op_sel_hi:[0,1]
	v_pk_mul_f32 v[48:49], s[10:11], v[6:7] op_sel_hi:[0,1]
	v_cvt_f32_i32_e32 v19, v19
	v_fma_f32 v46, v50, v18, v46
	v_add_u32_e32 v18, 34, v51
	v_cvt_f32_i32_e32 v18, v18
	v_fmac_f32_e32 v47, v50, v19
	v_add_u32_e32 v19, 35, v51
	v_cvt_f32_i32_e32 v19, v19
	v_pk_mul_f32 v[40:41], s[10:11], v[22:23] op_sel_hi:[0,1]
	v_pk_mul_f32 v[38:39], s[10:11], v[24:25] op_sel_hi:[0,1]
	v_fma_f32 v38, v50, v18, v38
	v_add_u32_e32 v18, 50, v51
	s_waitcnt vmcnt(3)
	v_mad_i64_i32 v[2:3], s[4:5], v55, s45, 0
	s_waitcnt vmcnt(2)
	v_mad_i64_i32 v[4:5], s[4:5], v72, s45, 0
	v_lshl_add_u64 v[16:17], v[2:3], 1, v[10:11]
	v_lshl_add_u64 v[14:15], v[4:5], 1, v[10:11]
	global_load_dwordx4 v[6:9], v[16:17], off
	global_load_dwordx4 v[2:5], v[16:17], off offset:16
	v_add_u32_e32 v16, 16, v51
	v_cvt_f32_i32_e32 v16, v16
	v_add_u32_e32 v17, 17, v51
	v_cvt_f32_i32_e32 v17, v17
	v_fmac_f32_e32 v39, v50, v19
	v_fma_f32 v48, v50, v16, v48
	v_add_u32_e32 v16, 32, v51
	v_fmac_f32_e32 v49, v50, v17
	v_cvt_f32_i32_e32 v16, v16
	v_add_u32_e32 v17, 33, v51
	v_cvt_f32_i32_e32 v17, v17
	v_cvt_f32_i32_e32 v18, v18
	v_fma_f32 v40, v50, v16, v40
	v_add_u32_e32 v16, 48, v51
	v_fmac_f32_e32 v41, v50, v17
	v_cvt_f32_i32_e32 v16, v16
	v_add_u32_e32 v17, 49, v51
	v_cvt_f32_i32_e32 v17, v17
	v_add_u32_e32 v19, 51, v51
	v_cvt_f32_i32_e32 v19, v19
	v_fma_f32 v12, v50, v58, v12
	v_fmac_f32_e32 v13, v50, v26
	v_fma_f32 v36, v50, v16, v36
	v_mov_b32_e32 v16, 0xff7fffff
	v_cmp_gt_i32_e64 s[4:5], s29, v56
	v_fmac_f32_e32 v37, v50, v17
	v_fma_f32 v34, v50, v18, v34
	v_cndmask_b32_e64 v17, v16, v12, s[4:5]
	v_cndmask_b32_e64 v18, v16, v13, s[34:35]
	v_fmac_f32_e32 v35, v50, v19
	v_max3_f32 v17, v17, s33, v18
	v_or_b32_e32 v18, 2, v56
	v_or_b32_e32 v19, 3, v56
	v_fma_f32 v52, v50, v27, v52
	v_fmac_f32_e32 v53, v50, v28
	v_cmp_gt_i32_e64 s[36:37], s29, v18
	v_cmp_gt_i32_e64 s[38:39], s29, v19
	global_load_dwordx4 v[30:33], v[14:15], off
	global_load_dwordx4 v[26:29], v[14:15], off offset:16
	v_cndmask_b32_e64 v18, v16, v52, s[36:37]
	v_cndmask_b32_e64 v19, v16, v53, s[38:39]
	v_max3_f32 v17, v17, v18, v19
	v_or_b32_e32 v18, 16, v56
	v_or_b32_e32 v19, 17, v56
	v_cmp_gt_i32_e64 s[24:25], s29, v18
	v_cmp_gt_i32_e64 s[26:27], s29, v19
	s_nop 0
	v_cndmask_b32_e64 v18, v16, v48, s[24:25]
	v_cndmask_b32_e64 v19, v16, v49, s[26:27]
	v_max3_f32 v17, v17, v18, v19
	v_or_b32_e32 v18, 18, v56
	v_or_b32_e32 v19, 19, v56
	v_cmp_gt_i32_e64 s[20:21], s29, v18
	v_cmp_gt_i32_e64 s[22:23], s29, v19
	s_nop 0
	;; [unrolled: 8-line block ×5, first 2 shown]
	v_cndmask_b32_e64 v18, v16, v36, s[8:9]
	v_cndmask_b32_e64 v19, v16, v37, s[10:11]
	v_max3_f32 v17, v17, v18, v19
	v_or_b32_e32 v18, 50, v56
	v_or_b32_e32 v19, 51, v56
	v_cmp_gt_i32_e32 vcc, s29, v18
	v_cmp_gt_i32_e64 s[6:7], s29, v19
	s_nop 0
	v_cndmask_b32_e32 v18, v16, v34, vcc
	v_cndmask_b32_e64 v16, v16, v35, s[6:7]
	v_max3_f32 v16, v17, v18, v16
	v_mbcnt_lo_u32_b32 v17, -1, 0
	v_mbcnt_hi_u32_b32 v17, -1, v17
	v_and_b32_e32 v18, 64, v17
	v_add_u32_e32 v18, 64, v18
	v_xor_b32_e32 v19, 32, v17
	v_cmp_lt_i32_e64 s[40:41], v19, v18
	s_nop 1
	v_cndmask_b32_e64 v19, v17, v19, s[40:41]
	v_lshlrev_b32_e32 v56, 2, v19
	ds_bpermute_b32 v19, v56, v16
	s_waitcnt vmcnt(5)
	v_mad_i64_i32 v[14:15], s[40:41], v59, s45, 0
	v_lshl_add_u64 v[14:15], v[14:15], 1, v[10:11]
	s_waitcnt lgkmcnt(0)
	v_max_f32_e32 v19, v19, v19
	v_max_f32_e32 v16, v16, v19
	v_xor_b32_e32 v19, 16, v17
	v_cmp_lt_i32_e64 s[40:41], v19, v18
	s_nop 1
	v_cndmask_b32_e64 v17, v17, v19, s[40:41]
	v_lshlrev_b32_e32 v57, 2, v17
	ds_bpermute_b32 v17, v57, v16
	global_load_dwordx4 v[22:25], v[14:15], off
	global_load_dwordx4 v[18:21], v[14:15], off offset:16
	s_waitcnt vmcnt(6)
	v_mad_i64_i32 v[14:15], s[40:41], v60, s45, 0
	v_lshl_add_u64 v[10:11], v[14:15], 1, v[10:11]
	s_waitcnt lgkmcnt(0)
	v_max_f32_e32 v14, v17, v17
	v_max_f32_e32 v55, v16, v14
	v_sub_f32_e32 v12, v12, v55
	v_mul_f32_e32 v12, 0x3fb8aa3b, v12
	v_exp_f32_e32 v50, v12
	v_sub_f32_e32 v12, v13, v55
	v_mul_f32_e32 v12, 0x3fb8aa3b, v12
	v_exp_f32_e32 v51, v12
	global_load_dwordx4 v[14:17], v[10:11], off
	s_nop 0
	global_load_dwordx4 v[10:13], v[10:11], off offset:16
	v_sub_f32_e32 v52, v52, v55
	v_mul_f32_e32 v52, 0x3fb8aa3b, v52
	v_sub_f32_e32 v53, v53, v55
	v_exp_f32_e32 v52, v52
	v_mul_f32_e32 v53, 0x3fb8aa3b, v53
	v_sub_f32_e32 v48, v48, v55
	v_exp_f32_e32 v53, v53
	v_mul_f32_e32 v48, 0x3fb8aa3b, v48
	v_sub_f32_e32 v49, v49, v55
	v_cndmask_b32_e64 v50, 0, v50, s[4:5]
	v_exp_f32_e32 v48, v48
	v_mul_f32_e32 v49, 0x3fb8aa3b, v49
	v_sub_f32_e32 v46, v46, v55
	v_add_f32_e32 v58, 0, v50
	v_cndmask_b32_e64 v51, 0, v51, s[34:35]
	v_exp_f32_e32 v49, v49
	v_mul_f32_e32 v46, 0x3fb8aa3b, v46
	v_sub_f32_e32 v47, v47, v55
	v_add_f32_e32 v58, v58, v51
	;; [unrolled: 5-line block ×10, first 2 shown]
	v_cndmask_b32_e64 v38, 0, v38, s[12:13]
	v_exp_f32_e32 v34, v34
	v_mul_f32_e32 v35, 0x3fb8aa3b, v35
	v_add_f32_e32 v58, v58, v38
	v_cndmask_b32_e64 v39, 0, v39, s[14:15]
	v_exp_f32_e32 v35, v35
	v_add_f32_e32 v58, v58, v39
	v_cndmask_b32_e64 v36, 0, v36, s[8:9]
	v_add_f32_e32 v58, v58, v36
	v_cndmask_b32_e64 v37, 0, v37, s[10:11]
	v_add_f32_e32 v58, v58, v37
	v_cndmask_b32_e32 v34, 0, v34, vcc
	v_add_f32_e32 v58, v58, v34
	v_cndmask_b32_e64 v35, 0, v35, s[6:7]
	v_add_f32_e32 v58, v58, v35
	ds_bpermute_b32 v56, v56, v58
	s_load_dword s9, s[0:1], 0x98
	v_cmp_gt_u32_e64 s[6:7], 16, v45
	v_lshlrev_b32_e32 v45, 2, v44
	s_waitcnt lgkmcnt(0)
	v_add_f32_e32 v56, v58, v56
	ds_bpermute_b32 v57, v57, v56
	s_barrier
	s_waitcnt lgkmcnt(0)
	s_and_saveexec_b64 s[4:5], s[6:7]
	s_cbranch_execz .LBB508_17
; %bb.16:
	v_add_f32_e32 v56, v56, v57
	v_lshl_or_b32 v57, v1, 6, v45
	ds_write2st64_b32 v57, v55, v56 offset1:1
.LBB508_17:
	s_or_b64 exec, exec, s[4:5]
	s_load_dword s8, s[0:1], 0x94
	s_waitcnt lgkmcnt(0)
	s_barrier
	ds_read2_b32 v[56:57], v45 offset1:16
	ds_read2_b32 v[58:59], v45 offset0:32 offset1:48
	ds_read2_b32 v[60:61], v45 offset0:64 offset1:80
	;; [unrolled: 1-line block ×3, first 2 shown]
	s_movk_i32 s10, 0x7fff
	s_waitcnt lgkmcnt(3)
	v_max3_f32 v55, v56, s33, v57
	s_waitcnt lgkmcnt(2)
	v_max3_f32 v55, v55, v58, v59
	v_sub_f32_e32 v56, v56, v55
	v_mul_f32_e32 v56, 0x3fb8aa3b, v56
	v_exp_f32_e32 v64, v56
	v_sub_f32_e32 v56, v57, v55
	v_mul_f32_e32 v56, 0x3fb8aa3b, v56
	v_exp_f32_e32 v57, v56
	v_sub_f32_e32 v56, v58, v55
	v_mul_f32_e32 v56, 0x3fb8aa3b, v56
	v_sub_f32_e32 v45, v59, v55
	v_exp_f32_e32 v58, v56
	v_mul_f32_e32 v45, 0x3fb8aa3b, v45
	v_exp_f32_e32 v45, v45
	s_waitcnt lgkmcnt(1)
	v_fma_f32 v56, v64, v60, 0
	v_fmac_f32_e32 v56, v57, v61
	s_waitcnt lgkmcnt(0)
	v_fmac_f32_e32 v56, v58, v62
	v_fmac_f32_e32 v56, v45, v63
	v_add_f32_e32 v59, 0x358637bd, v56
	v_div_scale_f32 v60, s[4:5], v59, v59, 1.0
	v_rcp_f32_e32 v61, v60
	s_mov_b32 s11, 0x7060302
	s_mul_i32 s9, s9, 13
	v_fma_f32 v62, -v60, v61, 1.0
	v_fmac_f32_e32 v61, v62, v61
	v_div_scale_f32 v62, vcc, 1.0, v59, 1.0
	v_mul_f32_e32 v63, v62, v61
	v_fma_f32 v65, -v60, v63, v62
	v_fmac_f32_e32 v63, v65, v61
	v_fma_f32 v60, -v60, v63, v62
	v_div_fmas_f32 v60, v60, v61, v63
	v_cmp_eq_u32_e32 vcc, 1, v1
	v_div_fixup_f32 v59, v60, v59, 1.0
	s_barrier
	v_cndmask_b32_e32 v57, v64, v57, vcc
	v_cmp_eq_u32_e32 vcc, 2, v1
	s_nop 1
	v_cndmask_b32_e32 v57, v57, v58, vcc
	v_cmp_eq_u32_e32 vcc, 3, v1
	v_lshlrev_b32_e32 v1, 11, v1
	s_nop 0
	v_cndmask_b32_e32 v45, v57, v45, vcc
	v_mul_f32_e32 v58, v45, v59
	v_pk_mul_f32 v[50:51], v[58:59], v[50:51] op_sel_hi:[0,1]
	v_bfe_u32 v45, v51, 16, 1
	v_bfe_u32 v57, v50, 16, 1
	v_pk_mul_f32 v[52:53], v[58:59], v[52:53] op_sel_hi:[0,1]
	v_add3_u32 v50, v50, v57, s10
	v_add3_u32 v45, v51, v45, s10
	v_perm_b32 v60, v45, v50, s11
	v_bfe_u32 v45, v53, 16, 1
	v_bfe_u32 v50, v52, 16, 1
	v_add3_u32 v50, v52, v50, s10
	v_add3_u32 v45, v53, v45, s10
	v_perm_b32 v61, v45, v50, s11
	v_lshlrev_b32_e32 v45, 3, v54
	v_lshlrev_b32_e32 v50, 5, v44
	v_pk_mul_f32 v[48:49], v[58:59], v[48:49] op_sel_hi:[0,1]
	v_or3_b32 v1, v1, v50, v45
	v_bfe_u32 v45, v49, 16, 1
	v_bfe_u32 v51, v48, 16, 1
	v_pk_mul_f32 v[46:47], v[58:59], v[46:47] op_sel_hi:[0,1]
	v_add3_u32 v48, v48, v51, s10
	v_add3_u32 v45, v49, v45, s10
	v_perm_b32 v48, v45, v48, s11
	v_bfe_u32 v45, v47, 16, 1
	v_bfe_u32 v49, v46, 16, 1
	v_add3_u32 v46, v46, v49, s10
	v_add3_u32 v45, v47, v45, s10
	v_pk_mul_f32 v[40:41], v[58:59], v[40:41] op_sel_hi:[0,1]
	v_perm_b32 v49, v45, v46, s11
	v_bfe_u32 v45, v41, 16, 1
	v_bfe_u32 v46, v40, 16, 1
	v_pk_mul_f32 v[38:39], v[58:59], v[38:39] op_sel_hi:[0,1]
	v_add3_u32 v40, v40, v46, s10
	v_add3_u32 v41, v41, v45, s10
	v_perm_b32 v40, v41, v40, s11
	v_bfe_u32 v41, v39, 16, 1
	v_bfe_u32 v45, v38, 16, 1
	v_add3_u32 v38, v38, v45, s10
	v_add3_u32 v39, v39, v41, s10
	v_pk_mul_f32 v[36:37], v[58:59], v[36:37] op_sel_hi:[0,1]
	v_perm_b32 v41, v39, v38, s11
	v_bfe_u32 v38, v37, 16, 1
	v_bfe_u32 v39, v36, 16, 1
	v_pk_mul_f32 v[34:35], v[58:59], v[34:35] op_sel_hi:[0,1]
	v_add3_u32 v36, v36, v39, s10
	v_add3_u32 v37, v37, v38, s10
	v_perm_b32 v36, v37, v36, s11
	v_bfe_u32 v37, v35, 16, 1
	v_bfe_u32 v38, v34, 16, 1
	v_add3_u32 v34, v34, v38, s10
	v_add3_u32 v35, v35, v37, s10
	v_perm_b32 v37, v35, v34, s11
	v_cmp_gt_u32_e32 vcc, 13, v0
	ds_write2st64_b64 v1, v[60:61], v[48:49] offset1:1
	ds_write2st64_b64 v1, v[40:41], v[36:37] offset0:2 offset1:3
	s_and_saveexec_b64 s[4:5], vcc
	s_cbranch_execz .LBB508_19
; %bb.18:
	s_mov_b32 s43, 0
	v_mov_b32_e32 v45, 0
	v_lshl_add_u64 v[34:35], s[42:43], 0, v[44:45]
	v_mov_b32_e32 v36, s9
	v_mad_u64_u32 v[34:35], s[16:17], s2, v36, v[34:35]
	s_mul_i32 s3, s3, s9
	v_mov_b32_e32 v44, s28
	s_load_dwordx4 s[12:15], s[0:1], 0x58
	v_add_u32_e32 v37, s3, v35
	v_mad_u64_u32 v[34:35], s[16:17], v34, s8, v[44:45]
	v_mov_b32_e32 v36, v35
	v_mad_u64_u32 v[36:37], s[16:17], v37, s8, v[36:37]
	v_mov_b32_e32 v35, v36
	v_lshlrev_b64 v[34:35], 2, v[34:35]
	s_waitcnt lgkmcnt(0)
	v_lshl_add_u64 v[36:37], s[14:15], 0, v[34:35]
	v_lshl_add_u64 v[34:35], s[12:13], 0, v[34:35]
	global_store_dword v[36:37], v55, off
	global_store_dword v[34:35], v56, off
.LBB508_19:
	s_or_b64 exec, exec, s[4:5]
	v_lshl_or_b32 v48, v54, 9, v50
	s_waitcnt lgkmcnt(0)
	s_barrier
	ds_read_b128 v[34:37], v48
	ds_read_b128 v[38:41], v48 offset:16
	s_waitcnt vmcnt(7) lgkmcnt(1)
	v_mfma_f32_16x16x16_bf16 v[44:47], v[6:7], v[34:35], 0
	v_cmp_gt_u32_e32 vcc, 64, v0
	s_mov_b32 s3, 0
	s_and_b64 s[4:5], vcc, s[30:31]
	v_mfma_f32_16x16x16_bf16 v[6:9], v[8:9], v[36:37], v[44:47]
	s_waitcnt vmcnt(6) lgkmcnt(0)
	v_mfma_f32_16x16x16_bf16 v[6:9], v[2:3], v[38:39], v[6:9]
	v_mfma_f32_16x16x16_bf16 v[2:5], v[4:5], v[40:41], v[6:9]
	s_nop 5
	ds_read_b128 v[6:9], v48 offset:2048
	ds_read_b128 v[34:37], v48 offset:2064
	s_waitcnt vmcnt(5) lgkmcnt(1)
	v_mfma_f32_16x16x16_bf16 v[2:5], v[30:31], v[6:7], v[2:5]
	v_mfma_f32_16x16x16_bf16 v[2:5], v[32:33], v[8:9], v[2:5]
	s_waitcnt vmcnt(4) lgkmcnt(0)
	v_mfma_f32_16x16x16_bf16 v[2:5], v[26:27], v[34:35], v[2:5]
	v_mfma_f32_16x16x16_bf16 v[2:5], v[28:29], v[36:37], v[2:5]
	ds_read_b128 v[6:9], v48 offset:4096
	ds_read_b128 v[26:29], v48 offset:4112
	s_waitcnt vmcnt(3) lgkmcnt(1)
	v_mfma_f32_16x16x16_bf16 v[2:5], v[22:23], v[6:7], v[2:5]
	v_mfma_f32_16x16x16_bf16 v[2:5], v[24:25], v[8:9], v[2:5]
	s_waitcnt vmcnt(2) lgkmcnt(0)
	v_mfma_f32_16x16x16_bf16 v[2:5], v[18:19], v[26:27], v[2:5]
	v_mfma_f32_16x16x16_bf16 v[2:5], v[20:21], v[28:29], v[2:5]
	ds_read_b128 v[6:9], v48 offset:6144
	ds_read_b128 v[18:21], v48 offset:6160
	s_waitcnt lgkmcnt(0)
	s_barrier
	s_waitcnt vmcnt(1)
	v_mfma_f32_16x16x16_bf16 v[2:5], v[14:15], v[6:7], v[2:5]
	v_mfma_f32_16x16x16_bf16 v[2:5], v[16:17], v[8:9], v[2:5]
	s_waitcnt vmcnt(0)
	v_mfma_f32_16x16x16_bf16 v[2:5], v[10:11], v[18:19], v[2:5]
	v_mfma_f32_16x16x16_bf16 v[2:5], v[12:13], v[20:21], v[2:5]
	s_nop 6
	v_bfe_u32 v6, v3, 16, 1
	v_bfe_u32 v7, v2, 16, 1
	v_bfe_u32 v8, v5, 16, 1
	v_bfe_u32 v9, v4, 16, 1
	v_add3_u32 v2, v2, v7, s10
	v_add3_u32 v3, v3, v6, s10
	;; [unrolled: 1-line block ×4, first 2 shown]
	v_perm_b32 v2, v3, v2, s11
	v_perm_b32 v3, v5, v4, s11
	ds_write_b64 v1, v[2:3]
	s_waitcnt lgkmcnt(0)
	s_barrier
	s_and_saveexec_b64 s[10:11], s[4:5]
	s_cbranch_execz .LBB508_22
; %bb.20:
	s_load_dwordx2 s[4:5], s[0:1], 0x68
	s_lshl_b32 s0, s8, 6
	s_mul_i32 s1, s9, s2
	s_mul_hi_u32 s9, s1, s0
	s_mul_i32 s8, s1, s0
	v_lshlrev_b32_e32 v1, 10, v0
	v_lshlrev_b32_e32 v0, 4, v0
	s_lshl_b64 s[8:9], s[8:9], 1
	v_and_b32_e32 v1, 0x1800, v1
	v_lshlrev_b32_e32 v2, 5, v54
	v_and_b32_e32 v0, 16, v0
	s_waitcnt lgkmcnt(0)
	s_add_u32 s1, s4, s8
	v_or3_b32 v2, v1, v2, v0
	s_addc_u32 s4, s5, s9
	s_lshl_b32 s2, s28, 6
	ds_read_b128 v[4:7], v2 offset:256
	s_lshl_b64 s[2:3], s[2:3], 1
	ds_read_b128 v[8:11], v2 offset:128
	ds_read_b128 v[12:15], v2
	s_add_u32 s2, s1, s2
	s_addc_u32 s3, s4, s3
	v_add_u32_e32 v3, s42, v54
	v_lshl_add_u64 v[0:1], v[42:43], 1, s[2:3]
	v_mad_u64_u32 v[16:17], s[2:3], v3, s0, 0
	v_lshl_add_u64 v[16:17], v[16:17], 1, v[0:1]
	s_waitcnt lgkmcnt(0)
	global_store_dwordx4 v[16:17], v[12:15], off
	s_nop 1
	v_add_u32_e32 v12, 4, v3
	v_mad_u64_u32 v[12:13], s[2:3], v12, s0, 0
	v_lshl_add_u64 v[12:13], v[12:13], 1, v[0:1]
	v_add_u32_e32 v3, 8, v3
	global_store_dwordx4 v[12:13], v[8:11], off
	s_nop 1
	v_mad_u64_u32 v[8:9], s[2:3], v3, s0, 0
	v_lshl_add_u64 v[8:9], v[8:9], 1, v[0:1]
	global_store_dwordx4 v[8:9], v[4:7], off
	s_and_b64 exec, exec, s[6:7]
	s_cbranch_execz .LBB508_22
; %bb.21:
	ds_read_b128 v[2:5], v2 offset:384
	v_add3_u32 v6, s42, v54, 12
	v_mad_u64_u32 v[6:7], s[0:1], v6, s0, 0
	v_lshl_add_u64 v[0:1], v[6:7], 1, v[0:1]
	s_waitcnt lgkmcnt(0)
	global_store_dwordx4 v[0:1], v[2:5], off
.LBB508_22:
	s_endpgm
	.section	.rodata,"a",@progbits
	.p2align	6, 0x0
	.amdhsa_kernel _Z39paged_attention_ll4mi_QKV_mfma16_kernelI14__hip_bfloat16S0_LN4vllm18Fp8KVCacheDataTypeE0EhLi32ELi64ELi256ELb1ELi13EEvPKT_PKT0_S8_ifPKiSA_SA_iPKfiiiPfSD_PS3_PT2_iSC_SC_
		.amdhsa_group_segment_fixed_size 8192
		.amdhsa_private_segment_fixed_size 0
		.amdhsa_kernarg_size 400
		.amdhsa_user_sgpr_count 2
		.amdhsa_user_sgpr_dispatch_ptr 0
		.amdhsa_user_sgpr_queue_ptr 0
		.amdhsa_user_sgpr_kernarg_segment_ptr 1
		.amdhsa_user_sgpr_dispatch_id 0
		.amdhsa_user_sgpr_kernarg_preload_length 0
		.amdhsa_user_sgpr_kernarg_preload_offset 0
		.amdhsa_user_sgpr_private_segment_size 0
		.amdhsa_uses_dynamic_stack 0
		.amdhsa_enable_private_segment 0
		.amdhsa_system_sgpr_workgroup_id_x 1
		.amdhsa_system_sgpr_workgroup_id_y 1
		.amdhsa_system_sgpr_workgroup_id_z 1
		.amdhsa_system_sgpr_workgroup_info 0
		.amdhsa_system_vgpr_workitem_id 0
		.amdhsa_next_free_vgpr 73
		.amdhsa_next_free_sgpr 48
		.amdhsa_accum_offset 76
		.amdhsa_reserve_vcc 1
		.amdhsa_float_round_mode_32 0
		.amdhsa_float_round_mode_16_64 0
		.amdhsa_float_denorm_mode_32 3
		.amdhsa_float_denorm_mode_16_64 3
		.amdhsa_dx10_clamp 1
		.amdhsa_ieee_mode 1
		.amdhsa_fp16_overflow 0
		.amdhsa_tg_split 0
		.amdhsa_exception_fp_ieee_invalid_op 0
		.amdhsa_exception_fp_denorm_src 0
		.amdhsa_exception_fp_ieee_div_zero 0
		.amdhsa_exception_fp_ieee_overflow 0
		.amdhsa_exception_fp_ieee_underflow 0
		.amdhsa_exception_fp_ieee_inexact 0
		.amdhsa_exception_int_div_zero 0
	.end_amdhsa_kernel
	.section	.text._Z39paged_attention_ll4mi_QKV_mfma16_kernelI14__hip_bfloat16S0_LN4vllm18Fp8KVCacheDataTypeE0EhLi32ELi64ELi256ELb1ELi13EEvPKT_PKT0_S8_ifPKiSA_SA_iPKfiiiPfSD_PS3_PT2_iSC_SC_,"axG",@progbits,_Z39paged_attention_ll4mi_QKV_mfma16_kernelI14__hip_bfloat16S0_LN4vllm18Fp8KVCacheDataTypeE0EhLi32ELi64ELi256ELb1ELi13EEvPKT_PKT0_S8_ifPKiSA_SA_iPKfiiiPfSD_PS3_PT2_iSC_SC_,comdat
.Lfunc_end508:
	.size	_Z39paged_attention_ll4mi_QKV_mfma16_kernelI14__hip_bfloat16S0_LN4vllm18Fp8KVCacheDataTypeE0EhLi32ELi64ELi256ELb1ELi13EEvPKT_PKT0_S8_ifPKiSA_SA_iPKfiiiPfSD_PS3_PT2_iSC_SC_, .Lfunc_end508-_Z39paged_attention_ll4mi_QKV_mfma16_kernelI14__hip_bfloat16S0_LN4vllm18Fp8KVCacheDataTypeE0EhLi32ELi64ELi256ELb1ELi13EEvPKT_PKT0_S8_ifPKiSA_SA_iPKfiiiPfSD_PS3_PT2_iSC_SC_
                                        ; -- End function
	.section	.AMDGPU.csdata,"",@progbits
; Kernel info:
; codeLenInByte = 4476
; NumSgprs: 54
; NumVgprs: 73
; NumAgprs: 0
; TotalNumVgprs: 73
; ScratchSize: 0
; MemoryBound: 0
; FloatMode: 240
; IeeeMode: 1
; LDSByteSize: 8192 bytes/workgroup (compile time only)
; SGPRBlocks: 6
; VGPRBlocks: 9
; NumSGPRsForWavesPerEU: 54
; NumVGPRsForWavesPerEU: 73
; AccumOffset: 76
; Occupancy: 6
; WaveLimiterHint : 1
; COMPUTE_PGM_RSRC2:SCRATCH_EN: 0
; COMPUTE_PGM_RSRC2:USER_SGPR: 2
; COMPUTE_PGM_RSRC2:TRAP_HANDLER: 0
; COMPUTE_PGM_RSRC2:TGID_X_EN: 1
; COMPUTE_PGM_RSRC2:TGID_Y_EN: 1
; COMPUTE_PGM_RSRC2:TGID_Z_EN: 1
; COMPUTE_PGM_RSRC2:TIDIG_COMP_CNT: 0
; COMPUTE_PGM_RSRC3_GFX90A:ACCUM_OFFSET: 18
; COMPUTE_PGM_RSRC3_GFX90A:TG_SPLIT: 0
	.section	.text._Z39paged_attention_ll4mi_QKV_mfma16_kernelI14__hip_bfloat16S0_LN4vllm18Fp8KVCacheDataTypeE0EhLi32ELi64ELi256ELb1ELi14EEvPKT_PKT0_S8_ifPKiSA_SA_iPKfiiiPfSD_PS3_PT2_iSC_SC_,"axG",@progbits,_Z39paged_attention_ll4mi_QKV_mfma16_kernelI14__hip_bfloat16S0_LN4vllm18Fp8KVCacheDataTypeE0EhLi32ELi64ELi256ELb1ELi14EEvPKT_PKT0_S8_ifPKiSA_SA_iPKfiiiPfSD_PS3_PT2_iSC_SC_,comdat
	.protected	_Z39paged_attention_ll4mi_QKV_mfma16_kernelI14__hip_bfloat16S0_LN4vllm18Fp8KVCacheDataTypeE0EhLi32ELi64ELi256ELb1ELi14EEvPKT_PKT0_S8_ifPKiSA_SA_iPKfiiiPfSD_PS3_PT2_iSC_SC_ ; -- Begin function _Z39paged_attention_ll4mi_QKV_mfma16_kernelI14__hip_bfloat16S0_LN4vllm18Fp8KVCacheDataTypeE0EhLi32ELi64ELi256ELb1ELi14EEvPKT_PKT0_S8_ifPKiSA_SA_iPKfiiiPfSD_PS3_PT2_iSC_SC_
	.globl	_Z39paged_attention_ll4mi_QKV_mfma16_kernelI14__hip_bfloat16S0_LN4vllm18Fp8KVCacheDataTypeE0EhLi32ELi64ELi256ELb1ELi14EEvPKT_PKT0_S8_ifPKiSA_SA_iPKfiiiPfSD_PS3_PT2_iSC_SC_
	.p2align	8
	.type	_Z39paged_attention_ll4mi_QKV_mfma16_kernelI14__hip_bfloat16S0_LN4vllm18Fp8KVCacheDataTypeE0EhLi32ELi64ELi256ELb1ELi14EEvPKT_PKT0_S8_ifPKiSA_SA_iPKfiiiPfSD_PS3_PT2_iSC_SC_,@function
_Z39paged_attention_ll4mi_QKV_mfma16_kernelI14__hip_bfloat16S0_LN4vllm18Fp8KVCacheDataTypeE0EhLi32ELi64ELi256ELb1ELi14EEvPKT_PKT0_S8_ifPKiSA_SA_iPKfiiiPfSD_PS3_PT2_iSC_SC_: ; @_Z39paged_attention_ll4mi_QKV_mfma16_kernelI14__hip_bfloat16S0_LN4vllm18Fp8KVCacheDataTypeE0EhLi32ELi64ELi256ELb1ELi14EEvPKT_PKT0_S8_ifPKiSA_SA_iPKfiiiPfSD_PS3_PT2_iSC_SC_
; %bb.0:
	s_load_dwordx2 s[6:7], s[0:1], 0x30
	s_mov_b32 s28, s3
	s_mov_b64 s[8:9], 0
	s_waitcnt lgkmcnt(0)
	s_cmp_lg_u64 s[6:7], 0
	s_cselect_b64 s[10:11], -1, 0
	s_and_b64 vcc, exec, s[10:11]
	s_cbranch_vccz .LBB509_7
; %bb.1:
	s_add_i32 s12, s2, 1
	s_mov_b32 s13, 0
	s_lshl_b64 s[14:15], s[12:13], 2
	s_add_u32 s14, s6, s14
	s_mov_b32 s3, s13
	s_addc_u32 s15, s7, s15
	s_lshl_b64 s[12:13], s[2:3], 2
	s_add_u32 s12, s6, s12
	s_addc_u32 s13, s7, s13
	s_load_dword s5, s[14:15], 0x0
	s_load_dword s16, s[12:13], 0x0
	s_waitcnt lgkmcnt(0)
	s_sub_i32 s5, s5, s16
	s_cmp_eq_u32 s5, 1
	s_cselect_b64 s[12:13], -1, 0
	s_andn2_b64 vcc, exec, s[8:9]
	s_cbranch_vccnz .LBB509_3
.LBB509_2:
	s_mov_b32 s3, 0
	s_mov_b64 s[12:13], -1
.LBB509_3:
	s_andn2_b64 vcc, exec, s[12:13]
	s_cbranch_vccnz .LBB509_22
; %bb.4:
	s_load_dwordx2 s[8:9], s[0:1], 0x28
	s_lshl_b64 s[12:13], s[2:3], 2
	s_waitcnt lgkmcnt(0)
	s_add_u32 s8, s8, s12
	s_addc_u32 s9, s9, s13
	s_load_dword s29, s[8:9], 0x0
	s_lshl_b32 s14, s28, 8
	s_waitcnt lgkmcnt(0)
	s_cmp_ge_i32 s14, s29
	s_cbranch_scc1 .LBB509_22
; %bb.5:
	s_load_dwordx2 s[8:9], s[0:1], 0x20
	s_load_dword s5, s[0:1], 0x38
	s_add_i32 s15, s29, 31
	s_ashr_i32 s16, s15, 31
	v_and_b32_e32 v1, 0xcf, v0
	s_lshr_b32 s16, s16, 27
	v_add_u32_e32 v1, s14, v1
	s_add_i32 s15, s15, s16
	v_ashrrev_i32_e32 v2, 31, v1
	s_ashr_i32 s15, s15, 5
	v_lshrrev_b32_e32 v6, 27, v2
	s_add_i32 s15, s15, -1
	s_waitcnt lgkmcnt(0)
	s_mul_i32 s16, s2, s5
	s_mov_b32 s17, 0
	v_add_u32_e32 v2, v1, v6
	s_lshl_b64 s[16:17], s[16:17], 2
	v_ashrrev_i32_e32 v2, 5, v2
	v_mov_b32_e32 v7, s15
	v_cmp_gt_i32_e32 vcc, s29, v1
	s_add_u32 s8, s8, s16
	s_addc_u32 s9, s9, s17
	v_cndmask_b32_e32 v2, v7, v2, vcc
	v_ashrrev_i32_e32 v3, 31, v2
	v_lshl_add_u64 v[4:5], v[2:3], 2, s[8:9]
	v_or_b32_e32 v2, 16, v1
	v_add_u32_e32 v3, v2, v6
	v_ashrrev_i32_e32 v3, 5, v3
	v_cmp_gt_i32_e32 vcc, s29, v2
	s_nop 1
	v_cndmask_b32_e32 v2, v7, v3, vcc
	v_ashrrev_i32_e32 v3, 31, v2
	v_lshl_add_u64 v[8:9], v[2:3], 2, s[8:9]
	v_or_b32_e32 v2, 32, v1
	v_add_u32_e32 v3, v2, v6
	v_ashrrev_i32_e32 v3, 5, v3
	v_cmp_gt_i32_e32 vcc, s29, v2
	v_or_b32_e32 v1, 48, v1
	s_nop 0
	v_cndmask_b32_e32 v2, v7, v3, vcc
	v_ashrrev_i32_e32 v3, 31, v2
	v_lshl_add_u64 v[12:13], v[2:3], 2, s[8:9]
	v_add_u32_e32 v2, v1, v6
	v_ashrrev_i32_e32 v2, 5, v2
	v_cmp_gt_i32_e32 vcc, s29, v1
	s_nop 1
	v_cndmask_b32_e32 v2, v7, v2, vcc
	v_ashrrev_i32_e32 v3, 31, v2
	v_lshl_add_u64 v[16:17], v[2:3], 2, s[8:9]
	global_load_dword v2, v[4:5], off
	global_load_dword v6, v[8:9], off
	;; [unrolled: 1-line block ×4, first 2 shown]
	s_andn2_b64 vcc, exec, s[10:11]
	s_cbranch_vccnz .LBB509_8
; %bb.6:
	s_add_u32 s6, s6, s12
	s_addc_u32 s7, s7, s13
	s_load_dword s5, s[6:7], 0x0
	s_branch .LBB509_9
.LBB509_7:
	s_mov_b64 s[12:13], 0
	s_branch .LBB509_2
.LBB509_8:
	s_mov_b32 s5, s2
.LBB509_9:
	s_load_dwordx2 s[10:11], s[0:1], 0x8
	s_load_dwordx4 s[44:47], s[0:1], 0x48
	v_lshrrev_b32_e32 v1, 6, v0
	v_bfe_u32 v54, v0, 4, 2
	v_lshl_or_b32 v3, v1, 2, v54
	v_and_b32_e32 v44, 15, v0
	v_cmp_lt_u32_e32 vcc, 13, v3
	v_cmp_lt_u32_e64 s[6:7], 7, v44
	v_lshlrev_b32_e32 v42, 3, v44
	v_cmp_gt_u32_e64 s[30:31], 8, v44
	s_or_b64 s[6:7], s[6:7], vcc
	s_and_saveexec_b64 s[12:13], s[6:7]
	s_xor_b64 s[6:7], exec, s[12:13]
; %bb.10:
	v_mov_b32_e32 v43, 0
                                        ; implicit-def: $vgpr3
; %bb.11:
	s_or_saveexec_b64 s[12:13], s[6:7]
	s_load_dwordx2 s[6:7], s[0:1], 0x10
	s_mul_i32 s42, s4, 14
	s_xor_b64 exec, exec, s[12:13]
	s_cbranch_execz .LBB509_13
; %bb.12:
	s_load_dwordx2 s[16:17], s[0:1], 0x0
	s_waitcnt lgkmcnt(0)
	s_ashr_i32 s18, s44, 31
	s_mul_hi_u32 s19, s5, s44
	s_mul_i32 s18, s5, s18
	s_add_i32 s19, s19, s18
	s_mul_i32 s18, s5, s44
	s_lshl_b64 s[18:19], s[18:19], 1
	s_add_u32 s16, s16, s18
	v_add_lshl_u32 v4, v3, s42, 6
	s_addc_u32 s17, s17, s19
	v_ashrrev_i32_e32 v5, 31, v4
	v_mov_b32_e32 v43, 0
	v_lshl_add_u64 v[4:5], v[4:5], 1, s[16:17]
	v_lshlrev_b32_e32 v8, 1, v42
	v_mov_b32_e32 v9, v43
	v_lshl_add_u64 v[4:5], v[4:5], 0, v[8:9]
	global_load_dwordx4 v[16:19], v[4:5], off
	v_and_b32_e32 v4, 3, v0
	v_lshlrev_b32_e32 v5, 9, v44
	v_lshlrev_b32_e32 v3, 5, v3
	;; [unrolled: 1-line block ×3, first 2 shown]
	v_and_b32_e32 v5, 0x1800, v5
	v_or3_b32 v3, v5, v4, v3
	s_waitcnt vmcnt(0)
	ds_write_b128 v3, v[16:19]
.LBB509_13:
	s_or_b64 exec, exec, s[12:13]
	s_waitcnt lgkmcnt(0)
	s_mul_i32 s4, s4, s46
	s_mov_b32 s5, 0
	s_lshl_b64 s[4:5], s[4:5], 1
	s_add_u32 s10, s10, s4
	s_addc_u32 s11, s11, s5
	s_waitcnt vmcnt(3)
	v_mad_i64_i32 v[2:3], s[12:13], v2, s45, 0
	v_lshl_add_u64 v[2:3], v[2:3], 1, s[10:11]
	v_lshlrev_b64 v[12:13], 1, v[42:43]
	v_lshlrev_b32_e32 v46, 9, v54
	v_lshl_add_u64 v[2:3], v[2:3], 0, v[12:13]
	v_mov_b32_e32 v47, 0
	v_lshl_add_u64 v[8:9], v[2:3], 0, v[46:47]
	s_barrier
	global_load_dwordx4 v[22:25], v[8:9], off
	global_load_dwordx4 v[2:5], v[8:9], off offset:2048
	s_waitcnt vmcnt(4)
	v_mad_i64_i32 v[6:7], s[12:13], v6, s45, 0
	v_mov_b32_e32 v8, 0x100
	v_lshl_add_u64 v[6:7], v[6:7], 1, s[10:11]
	v_lshl_or_b32 v16, v44, 4, v8
	v_mov_b32_e32 v17, v47
	s_waitcnt vmcnt(3)
	v_mad_i64_i32 v[10:11], s[12:13], v10, s45, 0
	v_lshl_add_u64 v[6:7], v[6:7], 0, v[16:17]
	v_lshl_add_u64 v[10:11], v[10:11], 1, s[10:11]
	s_waitcnt vmcnt(2)
	v_mad_i64_i32 v[14:15], s[12:13], v14, s45, 0
	v_lshl_add_u64 v[18:19], v[6:7], 0, v[46:47]
	v_lshl_add_u64 v[10:11], v[10:11], 0, v[12:13]
	;; [unrolled: 1-line block ×3, first 2 shown]
	global_load_dwordx4 v[26:29], v[18:19], off
	global_load_dwordx4 v[6:9], v[18:19], off offset:2048
	v_lshl_add_u64 v[18:19], v[10:11], 0, v[46:47]
	v_lshl_add_u64 v[14:15], v[14:15], 0, v[16:17]
	global_load_dwordx4 v[30:33], v[18:19], off
	global_load_dwordx4 v[10:13], v[18:19], off offset:2048
	v_lshl_add_u64 v[18:19], v[14:15], 0, v[46:47]
	global_load_dwordx4 v[34:37], v[18:19], off
	global_load_dwordx4 v[14:17], v[18:19], off offset:2048
	v_add_u32_e32 v18, -14, v44
	v_cmp_gt_u32_e32 vcc, 14, v44
	v_and_b32_e32 v45, 63, v0
	v_mov_b32_e32 v50, 0
	v_cndmask_b32_e32 v18, v18, v44, vcc
	v_lshl_add_u32 v18, v18, 5, v46
	ds_read_b128 v[38:41], v18
	ds_read_b128 v[18:21], v18 offset:2048
	s_and_saveexec_b64 s[10:11], vcc
	s_cbranch_execz .LBB509_15
; %bb.14:
	s_load_dwordx2 s[12:13], s[0:1], 0x40
	v_add_u32_e32 v48, s42, v44
	v_ashrrev_i32_e32 v49, 31, v48
	s_waitcnt lgkmcnt(0)
	v_lshl_add_u64 v[48:49], v[48:49], 2, s[12:13]
	global_load_dword v50, v[48:49], off
.LBB509_15:
	s_or_b64 exec, exec, s[10:11]
	s_ashr_i32 s10, s14, 31
	v_and_or_b32 v46, v0, 48, s14
	s_lshr_b32 s11, s10, 27
	v_add_u32_e32 v48, s11, v46
	v_or_b32_e32 v52, 64, v46
	v_ashrrev_i32_e32 v48, 5, v48
	v_mov_b32_e32 v51, s15
	v_cmp_gt_i32_e32 vcc, s29, v46
	v_add_u32_e32 v53, s11, v52
	s_waitcnt vmcnt(7) lgkmcnt(1)
	v_mfma_f32_16x16x16_bf16 v[56:59], v[22:23], v[38:39], 0
	v_cndmask_b32_e32 v48, v51, v48, vcc
	v_ashrrev_i32_e32 v22, 5, v53
	v_cmp_gt_i32_e32 vcc, s29, v52
	v_ashrrev_i32_e32 v49, 31, v48
	v_lshl_add_u64 v[48:49], v[48:49], 2, s[8:9]
	v_cndmask_b32_e32 v22, v51, v22, vcc
	v_ashrrev_i32_e32 v23, 31, v22
	v_lshl_add_u64 v[22:23], v[22:23], 2, s[8:9]
	global_load_dword v55, v[48:49], off
	global_load_dword v72, v[22:23], off
	s_waitcnt vmcnt(3)
	v_mfma_f32_16x16x16_bf16 v[68:71], v[34:35], v[38:39], 0
	v_or_b32_e32 v48, 0xc0, v46
	v_add_u32_e32 v52, s11, v48
	s_add_u32 s4, s6, s4
	v_mfma_f32_16x16x16_bf16 v[60:63], v[26:27], v[38:39], 0
	s_addc_u32 s5, s7, s5
	s_load_dword s10, s[0:1], 0x1c
	s_mov_b32 s33, 0xff7fffff
	v_mfma_f32_16x16x16_bf16 v[64:67], v[30:31], v[38:39], 0
	v_and_b32_e32 v31, 0xc0, v0
	v_or_b32_e32 v38, 0x80, v46
	v_add_u32_e32 v34, s14, v31
	v_mfma_f32_16x16x16_bf16 v[22:25], v[24:25], v[40:41], v[56:59]
	v_and_b32_e32 v30, 16, v0
	v_add_u32_e32 v49, s11, v38
	v_lshlrev_b32_e32 v46, 1, v30
	v_lshl_or_b32 v56, v54, 2, v34
	v_mfma_f32_16x16x16_bf16 v[34:37], v[36:37], v[40:41], v[68:71]
	v_cmp_gt_i32_e32 vcc, s29, v38
	v_lshlrev_b32_e32 v39, 6, v44
	v_or_b32_e32 v57, 1, v56
	v_mfma_f32_16x16x16_bf16 v[26:29], v[28:29], v[40:41], v[60:63]
	v_cmp_gt_i32_e64 s[34:35], s29, v57
	v_mfma_f32_16x16x16_bf16 v[30:33], v[32:33], v[40:41], v[64:67]
	v_ashrrev_i32_e32 v40, 5, v49
	v_ashrrev_i32_e32 v41, 5, v52
	v_cndmask_b32_e32 v38, v51, v40, vcc
	v_cmp_gt_i32_e32 vcc, s29, v48
	s_waitcnt lgkmcnt(0)
	v_mfma_f32_16x16x16_bf16 v[22:25], v[2:3], v[18:19], v[22:25]
	v_lshl_add_u64 v[2:3], s[4:5], 0, v[46:47]
	v_cndmask_b32_e32 v40, v51, v41, vcc
	v_lshl_or_b32 v46, v1, 10, v39
	v_ashrrev_i32_e32 v39, 31, v38
	v_ashrrev_i32_e32 v41, 31, v40
	s_waitcnt vmcnt(2)
	v_mfma_f32_16x16x16_bf16 v[34:37], v[14:15], v[18:19], v[34:37]
	v_lshl_add_u64 v[14:15], v[38:39], 2, s[8:9]
	v_subrev_u32_e32 v51, s29, v57
	v_cvt_f32_i32_e32 v58, v51
	v_mfma_f32_16x16x16_bf16 v[26:29], v[6:7], v[18:19], v[26:29]
	v_mfma_f32_16x16x16_bf16 v[30:33], v[10:11], v[18:19], v[30:33]
	v_lshl_add_u64 v[18:19], v[40:41], 2, s[8:9]
	global_load_dword v59, v[14:15], off
	global_load_dword v60, v[18:19], off
	v_lshl_add_u64 v[10:11], v[2:3], 0, v[46:47]
	v_mfma_f32_16x16x16_bf16 v[2:5], v[4:5], v[20:21], v[22:25]
	v_add_u32_e32 v46, 1, v51
	v_add_u32_e32 v47, 3, v51
	;; [unrolled: 1-line block ×3, first 2 shown]
	v_mfma_f32_16x16x16_bf16 v[14:17], v[16:17], v[20:21], v[34:37]
	v_add_u32_e32 v22, 2, v51
	s_nop 1
	v_pk_mul_f32 v[52:53], s[10:11], v[4:5] op_sel_hi:[0,1]
	v_cvt_f32_i32_e32 v18, v18
	v_mfma_f32_16x16x16_bf16 v[6:9], v[8:9], v[20:21], v[26:29]
	v_add_u32_e32 v19, 19, v51
	v_pk_mul_f32 v[34:35], s[10:11], v[16:17] op_sel_hi:[0,1]
	v_pk_mul_f32 v[36:37], s[10:11], v[14:15] op_sel_hi:[0,1]
	v_cvt_f32_i32_e32 v27, v22
	v_mfma_f32_16x16x16_bf16 v[22:25], v[12:13], v[20:21], v[30:33]
	v_pk_mul_f32 v[12:13], s[10:11], v[2:3] op_sel_hi:[0,1]
	v_cvt_f32_i32_e32 v26, v46
	v_cvt_f32_i32_e32 v28, v47
	v_pk_mul_f32 v[46:47], s[10:11], v[8:9] op_sel_hi:[0,1]
	v_pk_mul_f32 v[48:49], s[10:11], v[6:7] op_sel_hi:[0,1]
	v_cvt_f32_i32_e32 v19, v19
	v_fma_f32 v46, v50, v18, v46
	v_add_u32_e32 v18, 34, v51
	v_cvt_f32_i32_e32 v18, v18
	v_fmac_f32_e32 v47, v50, v19
	v_add_u32_e32 v19, 35, v51
	v_cvt_f32_i32_e32 v19, v19
	v_pk_mul_f32 v[40:41], s[10:11], v[22:23] op_sel_hi:[0,1]
	v_pk_mul_f32 v[38:39], s[10:11], v[24:25] op_sel_hi:[0,1]
	v_fma_f32 v38, v50, v18, v38
	v_add_u32_e32 v18, 50, v51
	s_waitcnt vmcnt(3)
	v_mad_i64_i32 v[2:3], s[4:5], v55, s45, 0
	s_waitcnt vmcnt(2)
	v_mad_i64_i32 v[4:5], s[4:5], v72, s45, 0
	v_lshl_add_u64 v[16:17], v[2:3], 1, v[10:11]
	v_lshl_add_u64 v[14:15], v[4:5], 1, v[10:11]
	global_load_dwordx4 v[6:9], v[16:17], off
	global_load_dwordx4 v[2:5], v[16:17], off offset:16
	v_add_u32_e32 v16, 16, v51
	v_cvt_f32_i32_e32 v16, v16
	v_add_u32_e32 v17, 17, v51
	v_cvt_f32_i32_e32 v17, v17
	v_fmac_f32_e32 v39, v50, v19
	v_fma_f32 v48, v50, v16, v48
	v_add_u32_e32 v16, 32, v51
	v_fmac_f32_e32 v49, v50, v17
	v_cvt_f32_i32_e32 v16, v16
	v_add_u32_e32 v17, 33, v51
	v_cvt_f32_i32_e32 v17, v17
	v_cvt_f32_i32_e32 v18, v18
	v_fma_f32 v40, v50, v16, v40
	v_add_u32_e32 v16, 48, v51
	v_fmac_f32_e32 v41, v50, v17
	v_cvt_f32_i32_e32 v16, v16
	v_add_u32_e32 v17, 49, v51
	v_cvt_f32_i32_e32 v17, v17
	v_add_u32_e32 v19, 51, v51
	v_cvt_f32_i32_e32 v19, v19
	v_fma_f32 v12, v50, v58, v12
	v_fmac_f32_e32 v13, v50, v26
	v_fma_f32 v36, v50, v16, v36
	v_mov_b32_e32 v16, 0xff7fffff
	v_cmp_gt_i32_e64 s[4:5], s29, v56
	v_fmac_f32_e32 v37, v50, v17
	v_fma_f32 v34, v50, v18, v34
	v_cndmask_b32_e64 v17, v16, v12, s[4:5]
	v_cndmask_b32_e64 v18, v16, v13, s[34:35]
	v_fmac_f32_e32 v35, v50, v19
	v_max3_f32 v17, v17, s33, v18
	v_or_b32_e32 v18, 2, v56
	v_or_b32_e32 v19, 3, v56
	v_fma_f32 v52, v50, v27, v52
	v_fmac_f32_e32 v53, v50, v28
	v_cmp_gt_i32_e64 s[36:37], s29, v18
	v_cmp_gt_i32_e64 s[38:39], s29, v19
	global_load_dwordx4 v[30:33], v[14:15], off
	global_load_dwordx4 v[26:29], v[14:15], off offset:16
	v_cndmask_b32_e64 v18, v16, v52, s[36:37]
	v_cndmask_b32_e64 v19, v16, v53, s[38:39]
	v_max3_f32 v17, v17, v18, v19
	v_or_b32_e32 v18, 16, v56
	v_or_b32_e32 v19, 17, v56
	v_cmp_gt_i32_e64 s[24:25], s29, v18
	v_cmp_gt_i32_e64 s[26:27], s29, v19
	s_nop 0
	v_cndmask_b32_e64 v18, v16, v48, s[24:25]
	v_cndmask_b32_e64 v19, v16, v49, s[26:27]
	v_max3_f32 v17, v17, v18, v19
	v_or_b32_e32 v18, 18, v56
	v_or_b32_e32 v19, 19, v56
	v_cmp_gt_i32_e64 s[20:21], s29, v18
	v_cmp_gt_i32_e64 s[22:23], s29, v19
	s_nop 0
	;; [unrolled: 8-line block ×5, first 2 shown]
	v_cndmask_b32_e64 v18, v16, v36, s[8:9]
	v_cndmask_b32_e64 v19, v16, v37, s[10:11]
	v_max3_f32 v17, v17, v18, v19
	v_or_b32_e32 v18, 50, v56
	v_or_b32_e32 v19, 51, v56
	v_cmp_gt_i32_e32 vcc, s29, v18
	v_cmp_gt_i32_e64 s[6:7], s29, v19
	s_nop 0
	v_cndmask_b32_e32 v18, v16, v34, vcc
	v_cndmask_b32_e64 v16, v16, v35, s[6:7]
	v_max3_f32 v16, v17, v18, v16
	v_mbcnt_lo_u32_b32 v17, -1, 0
	v_mbcnt_hi_u32_b32 v17, -1, v17
	v_and_b32_e32 v18, 64, v17
	v_add_u32_e32 v18, 64, v18
	v_xor_b32_e32 v19, 32, v17
	v_cmp_lt_i32_e64 s[40:41], v19, v18
	s_nop 1
	v_cndmask_b32_e64 v19, v17, v19, s[40:41]
	v_lshlrev_b32_e32 v56, 2, v19
	ds_bpermute_b32 v19, v56, v16
	s_waitcnt vmcnt(5)
	v_mad_i64_i32 v[14:15], s[40:41], v59, s45, 0
	v_lshl_add_u64 v[14:15], v[14:15], 1, v[10:11]
	s_waitcnt lgkmcnt(0)
	v_max_f32_e32 v19, v19, v19
	v_max_f32_e32 v16, v16, v19
	v_xor_b32_e32 v19, 16, v17
	v_cmp_lt_i32_e64 s[40:41], v19, v18
	s_nop 1
	v_cndmask_b32_e64 v17, v17, v19, s[40:41]
	v_lshlrev_b32_e32 v57, 2, v17
	ds_bpermute_b32 v17, v57, v16
	global_load_dwordx4 v[22:25], v[14:15], off
	global_load_dwordx4 v[18:21], v[14:15], off offset:16
	s_waitcnt vmcnt(6)
	v_mad_i64_i32 v[14:15], s[40:41], v60, s45, 0
	v_lshl_add_u64 v[10:11], v[14:15], 1, v[10:11]
	s_waitcnt lgkmcnt(0)
	v_max_f32_e32 v14, v17, v17
	v_max_f32_e32 v55, v16, v14
	v_sub_f32_e32 v12, v12, v55
	v_mul_f32_e32 v12, 0x3fb8aa3b, v12
	v_exp_f32_e32 v50, v12
	v_sub_f32_e32 v12, v13, v55
	v_mul_f32_e32 v12, 0x3fb8aa3b, v12
	v_exp_f32_e32 v51, v12
	global_load_dwordx4 v[14:17], v[10:11], off
	s_nop 0
	global_load_dwordx4 v[10:13], v[10:11], off offset:16
	v_sub_f32_e32 v52, v52, v55
	v_mul_f32_e32 v52, 0x3fb8aa3b, v52
	v_sub_f32_e32 v53, v53, v55
	v_exp_f32_e32 v52, v52
	v_mul_f32_e32 v53, 0x3fb8aa3b, v53
	v_sub_f32_e32 v48, v48, v55
	v_exp_f32_e32 v53, v53
	v_mul_f32_e32 v48, 0x3fb8aa3b, v48
	v_sub_f32_e32 v49, v49, v55
	v_cndmask_b32_e64 v50, 0, v50, s[4:5]
	v_exp_f32_e32 v48, v48
	v_mul_f32_e32 v49, 0x3fb8aa3b, v49
	v_sub_f32_e32 v46, v46, v55
	v_add_f32_e32 v58, 0, v50
	v_cndmask_b32_e64 v51, 0, v51, s[34:35]
	v_exp_f32_e32 v49, v49
	v_mul_f32_e32 v46, 0x3fb8aa3b, v46
	v_sub_f32_e32 v47, v47, v55
	v_add_f32_e32 v58, v58, v51
	v_cndmask_b32_e64 v52, 0, v52, s[36:37]
	v_exp_f32_e32 v46, v46
	v_mul_f32_e32 v47, 0x3fb8aa3b, v47
	v_sub_f32_e32 v40, v40, v55
	v_add_f32_e32 v58, v58, v52
	v_cndmask_b32_e64 v53, 0, v53, s[38:39]
	v_exp_f32_e32 v47, v47
	v_mul_f32_e32 v40, 0x3fb8aa3b, v40
	v_sub_f32_e32 v41, v41, v55
	v_add_f32_e32 v58, v58, v53
	v_cndmask_b32_e64 v48, 0, v48, s[24:25]
	v_exp_f32_e32 v40, v40
	v_mul_f32_e32 v41, 0x3fb8aa3b, v41
	v_sub_f32_e32 v38, v38, v55
	v_add_f32_e32 v58, v58, v48
	v_cndmask_b32_e64 v49, 0, v49, s[26:27]
	v_exp_f32_e32 v41, v41
	v_mul_f32_e32 v38, 0x3fb8aa3b, v38
	v_sub_f32_e32 v39, v39, v55
	v_add_f32_e32 v58, v58, v49
	v_cndmask_b32_e64 v46, 0, v46, s[20:21]
	v_exp_f32_e32 v38, v38
	v_mul_f32_e32 v39, 0x3fb8aa3b, v39
	v_sub_f32_e32 v36, v36, v55
	v_add_f32_e32 v58, v58, v46
	v_cndmask_b32_e64 v47, 0, v47, s[22:23]
	v_exp_f32_e32 v39, v39
	v_mul_f32_e32 v36, 0x3fb8aa3b, v36
	v_sub_f32_e32 v37, v37, v55
	v_add_f32_e32 v58, v58, v47
	v_cndmask_b32_e64 v40, 0, v40, s[16:17]
	v_exp_f32_e32 v36, v36
	v_mul_f32_e32 v37, 0x3fb8aa3b, v37
	v_sub_f32_e32 v34, v34, v55
	v_add_f32_e32 v58, v58, v40
	v_cndmask_b32_e64 v41, 0, v41, s[18:19]
	v_exp_f32_e32 v37, v37
	v_mul_f32_e32 v34, 0x3fb8aa3b, v34
	v_sub_f32_e32 v35, v35, v55
	v_add_f32_e32 v58, v58, v41
	v_cndmask_b32_e64 v38, 0, v38, s[12:13]
	v_exp_f32_e32 v34, v34
	v_mul_f32_e32 v35, 0x3fb8aa3b, v35
	v_add_f32_e32 v58, v58, v38
	v_cndmask_b32_e64 v39, 0, v39, s[14:15]
	v_exp_f32_e32 v35, v35
	v_add_f32_e32 v58, v58, v39
	v_cndmask_b32_e64 v36, 0, v36, s[8:9]
	v_add_f32_e32 v58, v58, v36
	v_cndmask_b32_e64 v37, 0, v37, s[10:11]
	v_add_f32_e32 v58, v58, v37
	v_cndmask_b32_e32 v34, 0, v34, vcc
	v_add_f32_e32 v58, v58, v34
	v_cndmask_b32_e64 v35, 0, v35, s[6:7]
	v_add_f32_e32 v58, v58, v35
	ds_bpermute_b32 v56, v56, v58
	s_load_dword s7, s[0:1], 0x98
	v_cmp_gt_u32_e32 vcc, 16, v45
	v_lshlrev_b32_e32 v45, 2, v44
	s_waitcnt lgkmcnt(0)
	v_add_f32_e32 v56, v58, v56
	ds_bpermute_b32 v57, v57, v56
	s_barrier
	s_waitcnt lgkmcnt(0)
	s_and_saveexec_b64 s[4:5], vcc
	s_cbranch_execz .LBB509_17
; %bb.16:
	v_add_f32_e32 v56, v56, v57
	v_lshl_or_b32 v57, v1, 6, v45
	ds_write2st64_b32 v57, v55, v56 offset1:1
.LBB509_17:
	s_or_b64 exec, exec, s[4:5]
	s_load_dword s6, s[0:1], 0x94
	s_waitcnt lgkmcnt(0)
	s_barrier
	ds_read2_b32 v[56:57], v45 offset1:16
	ds_read2_b32 v[58:59], v45 offset0:32 offset1:48
	ds_read2_b32 v[60:61], v45 offset0:64 offset1:80
	;; [unrolled: 1-line block ×3, first 2 shown]
	s_movk_i32 s8, 0x7fff
	s_waitcnt lgkmcnt(3)
	v_max3_f32 v55, v56, s33, v57
	s_waitcnt lgkmcnt(2)
	v_max3_f32 v55, v55, v58, v59
	v_sub_f32_e32 v56, v56, v55
	v_mul_f32_e32 v56, 0x3fb8aa3b, v56
	v_exp_f32_e32 v64, v56
	v_sub_f32_e32 v56, v57, v55
	v_mul_f32_e32 v56, 0x3fb8aa3b, v56
	v_exp_f32_e32 v57, v56
	v_sub_f32_e32 v56, v58, v55
	v_mul_f32_e32 v56, 0x3fb8aa3b, v56
	v_sub_f32_e32 v45, v59, v55
	v_exp_f32_e32 v58, v56
	v_mul_f32_e32 v45, 0x3fb8aa3b, v45
	v_exp_f32_e32 v45, v45
	s_waitcnt lgkmcnt(1)
	v_fma_f32 v56, v64, v60, 0
	v_fmac_f32_e32 v56, v57, v61
	s_waitcnt lgkmcnt(0)
	v_fmac_f32_e32 v56, v58, v62
	v_fmac_f32_e32 v56, v45, v63
	v_add_f32_e32 v59, 0x358637bd, v56
	v_div_scale_f32 v60, s[4:5], v59, v59, 1.0
	v_rcp_f32_e32 v61, v60
	s_mov_b32 s9, 0x7060302
	s_mul_i32 s7, s7, 14
	v_fma_f32 v62, -v60, v61, 1.0
	v_fmac_f32_e32 v61, v62, v61
	v_div_scale_f32 v62, vcc, 1.0, v59, 1.0
	v_mul_f32_e32 v63, v62, v61
	v_fma_f32 v65, -v60, v63, v62
	v_fmac_f32_e32 v63, v65, v61
	v_fma_f32 v60, -v60, v63, v62
	v_div_fmas_f32 v60, v60, v61, v63
	v_cmp_eq_u32_e32 vcc, 1, v1
	v_div_fixup_f32 v59, v60, v59, 1.0
	s_barrier
	v_cndmask_b32_e32 v57, v64, v57, vcc
	v_cmp_eq_u32_e32 vcc, 2, v1
	s_nop 1
	v_cndmask_b32_e32 v57, v57, v58, vcc
	v_cmp_eq_u32_e32 vcc, 3, v1
	v_lshlrev_b32_e32 v1, 11, v1
	s_nop 0
	v_cndmask_b32_e32 v45, v57, v45, vcc
	v_mul_f32_e32 v58, v45, v59
	v_pk_mul_f32 v[50:51], v[58:59], v[50:51] op_sel_hi:[0,1]
	v_bfe_u32 v45, v51, 16, 1
	v_bfe_u32 v57, v50, 16, 1
	v_pk_mul_f32 v[52:53], v[58:59], v[52:53] op_sel_hi:[0,1]
	v_add3_u32 v50, v50, v57, s8
	v_add3_u32 v45, v51, v45, s8
	v_perm_b32 v60, v45, v50, s9
	v_bfe_u32 v45, v53, 16, 1
	v_bfe_u32 v50, v52, 16, 1
	v_add3_u32 v50, v52, v50, s8
	v_add3_u32 v45, v53, v45, s8
	v_perm_b32 v61, v45, v50, s9
	v_lshlrev_b32_e32 v45, 3, v54
	v_lshlrev_b32_e32 v50, 5, v44
	v_pk_mul_f32 v[48:49], v[58:59], v[48:49] op_sel_hi:[0,1]
	v_or3_b32 v1, v1, v50, v45
	v_bfe_u32 v45, v49, 16, 1
	v_bfe_u32 v51, v48, 16, 1
	v_pk_mul_f32 v[46:47], v[58:59], v[46:47] op_sel_hi:[0,1]
	v_add3_u32 v48, v48, v51, s8
	v_add3_u32 v45, v49, v45, s8
	v_perm_b32 v48, v45, v48, s9
	v_bfe_u32 v45, v47, 16, 1
	v_bfe_u32 v49, v46, 16, 1
	v_add3_u32 v46, v46, v49, s8
	v_add3_u32 v45, v47, v45, s8
	v_pk_mul_f32 v[40:41], v[58:59], v[40:41] op_sel_hi:[0,1]
	v_perm_b32 v49, v45, v46, s9
	v_bfe_u32 v45, v41, 16, 1
	v_bfe_u32 v46, v40, 16, 1
	v_pk_mul_f32 v[38:39], v[58:59], v[38:39] op_sel_hi:[0,1]
	v_add3_u32 v40, v40, v46, s8
	v_add3_u32 v41, v41, v45, s8
	v_perm_b32 v40, v41, v40, s9
	v_bfe_u32 v41, v39, 16, 1
	v_bfe_u32 v45, v38, 16, 1
	v_add3_u32 v38, v38, v45, s8
	v_add3_u32 v39, v39, v41, s8
	v_pk_mul_f32 v[36:37], v[58:59], v[36:37] op_sel_hi:[0,1]
	v_perm_b32 v41, v39, v38, s9
	v_bfe_u32 v38, v37, 16, 1
	v_bfe_u32 v39, v36, 16, 1
	v_pk_mul_f32 v[34:35], v[58:59], v[34:35] op_sel_hi:[0,1]
	v_add3_u32 v36, v36, v39, s8
	v_add3_u32 v37, v37, v38, s8
	v_perm_b32 v36, v37, v36, s9
	v_bfe_u32 v37, v35, 16, 1
	v_bfe_u32 v38, v34, 16, 1
	v_add3_u32 v34, v34, v38, s8
	v_add3_u32 v35, v35, v37, s8
	v_perm_b32 v37, v35, v34, s9
	v_cmp_gt_u32_e32 vcc, 14, v0
	ds_write2st64_b64 v1, v[60:61], v[48:49] offset1:1
	ds_write2st64_b64 v1, v[40:41], v[36:37] offset0:2 offset1:3
	s_and_saveexec_b64 s[4:5], vcc
	s_cbranch_execz .LBB509_19
; %bb.18:
	s_mov_b32 s43, 0
	v_mov_b32_e32 v45, 0
	v_lshl_add_u64 v[34:35], s[42:43], 0, v[44:45]
	v_mov_b32_e32 v36, s7
	v_mad_u64_u32 v[34:35], s[10:11], s2, v36, v[34:35]
	s_mul_i32 s3, s3, s7
	v_mov_b32_e32 v44, s28
	s_load_dwordx4 s[12:15], s[0:1], 0x58
	v_add_u32_e32 v37, s3, v35
	v_mad_u64_u32 v[34:35], s[10:11], v34, s6, v[44:45]
	v_mov_b32_e32 v36, v35
	v_mad_u64_u32 v[36:37], s[10:11], v37, s6, v[36:37]
	v_mov_b32_e32 v35, v36
	v_lshlrev_b64 v[34:35], 2, v[34:35]
	s_waitcnt lgkmcnt(0)
	v_lshl_add_u64 v[36:37], s[14:15], 0, v[34:35]
	v_lshl_add_u64 v[34:35], s[12:13], 0, v[34:35]
	global_store_dword v[36:37], v55, off
	global_store_dword v[34:35], v56, off
.LBB509_19:
	s_or_b64 exec, exec, s[4:5]
	v_lshl_or_b32 v48, v54, 9, v50
	s_waitcnt lgkmcnt(0)
	s_barrier
	ds_read_b128 v[34:37], v48
	ds_read_b128 v[38:41], v48 offset:16
	s_waitcnt vmcnt(7) lgkmcnt(1)
	v_mfma_f32_16x16x16_bf16 v[44:47], v[6:7], v[34:35], 0
	v_cmp_gt_u32_e32 vcc, 64, v0
	s_mov_b32 s3, 0
	s_and_b64 s[4:5], vcc, s[30:31]
	v_mfma_f32_16x16x16_bf16 v[6:9], v[8:9], v[36:37], v[44:47]
	s_waitcnt vmcnt(6) lgkmcnt(0)
	v_mfma_f32_16x16x16_bf16 v[6:9], v[2:3], v[38:39], v[6:9]
	v_mfma_f32_16x16x16_bf16 v[2:5], v[4:5], v[40:41], v[6:9]
	s_nop 5
	ds_read_b128 v[6:9], v48 offset:2048
	ds_read_b128 v[34:37], v48 offset:2064
	s_waitcnt vmcnt(5) lgkmcnt(1)
	v_mfma_f32_16x16x16_bf16 v[2:5], v[30:31], v[6:7], v[2:5]
	v_mfma_f32_16x16x16_bf16 v[2:5], v[32:33], v[8:9], v[2:5]
	s_waitcnt vmcnt(4) lgkmcnt(0)
	v_mfma_f32_16x16x16_bf16 v[2:5], v[26:27], v[34:35], v[2:5]
	v_mfma_f32_16x16x16_bf16 v[2:5], v[28:29], v[36:37], v[2:5]
	ds_read_b128 v[6:9], v48 offset:4096
	ds_read_b128 v[26:29], v48 offset:4112
	s_waitcnt vmcnt(3) lgkmcnt(1)
	v_mfma_f32_16x16x16_bf16 v[2:5], v[22:23], v[6:7], v[2:5]
	v_mfma_f32_16x16x16_bf16 v[2:5], v[24:25], v[8:9], v[2:5]
	s_waitcnt vmcnt(2) lgkmcnt(0)
	v_mfma_f32_16x16x16_bf16 v[2:5], v[18:19], v[26:27], v[2:5]
	v_mfma_f32_16x16x16_bf16 v[2:5], v[20:21], v[28:29], v[2:5]
	ds_read_b128 v[6:9], v48 offset:6144
	ds_read_b128 v[18:21], v48 offset:6160
	s_waitcnt lgkmcnt(0)
	s_barrier
	s_waitcnt vmcnt(1)
	v_mfma_f32_16x16x16_bf16 v[2:5], v[14:15], v[6:7], v[2:5]
	v_mfma_f32_16x16x16_bf16 v[2:5], v[16:17], v[8:9], v[2:5]
	s_waitcnt vmcnt(0)
	v_mfma_f32_16x16x16_bf16 v[2:5], v[10:11], v[18:19], v[2:5]
	v_mfma_f32_16x16x16_bf16 v[2:5], v[12:13], v[20:21], v[2:5]
	s_nop 6
	v_bfe_u32 v6, v3, 16, 1
	v_bfe_u32 v7, v2, 16, 1
	v_bfe_u32 v8, v5, 16, 1
	v_bfe_u32 v9, v4, 16, 1
	v_add3_u32 v2, v2, v7, s8
	v_add3_u32 v3, v3, v6, s8
	;; [unrolled: 1-line block ×4, first 2 shown]
	v_perm_b32 v2, v3, v2, s9
	v_perm_b32 v3, v5, v4, s9
	ds_write_b64 v1, v[2:3]
	s_waitcnt lgkmcnt(0)
	s_barrier
	s_and_saveexec_b64 s[8:9], s[4:5]
	s_cbranch_execz .LBB509_22
; %bb.20:
	s_load_dwordx2 s[4:5], s[0:1], 0x68
	s_lshl_b32 s0, s6, 6
	s_mul_i32 s1, s7, s2
	s_mul_hi_u32 s7, s1, s0
	s_mul_i32 s6, s1, s0
	v_lshlrev_b32_e32 v1, 10, v0
	v_lshlrev_b32_e32 v0, 4, v0
	s_lshl_b64 s[6:7], s[6:7], 1
	v_and_b32_e32 v1, 0x1800, v1
	v_lshlrev_b32_e32 v2, 5, v54
	v_and_b32_e32 v0, 16, v0
	s_waitcnt lgkmcnt(0)
	s_add_u32 s1, s4, s6
	v_or3_b32 v2, v1, v2, v0
	s_addc_u32 s4, s5, s7
	s_lshl_b32 s2, s28, 6
	ds_read_b128 v[4:7], v2 offset:256
	s_lshl_b64 s[2:3], s[2:3], 1
	ds_read_b128 v[8:11], v2 offset:128
	ds_read_b128 v[12:15], v2
	s_add_u32 s2, s1, s2
	s_addc_u32 s3, s4, s3
	v_add_u32_e32 v18, s42, v54
	v_lshl_add_u64 v[0:1], v[42:43], 1, s[2:3]
	v_mad_u64_u32 v[16:17], s[2:3], v18, s0, 0
	v_lshl_add_u64 v[16:17], v[16:17], 1, v[0:1]
	s_waitcnt lgkmcnt(0)
	global_store_dwordx4 v[16:17], v[12:15], off
	v_or_b32_e32 v3, 12, v54
	v_cmp_gt_u32_e32 vcc, 14, v3
	v_add_u32_e32 v12, 4, v18
	v_mad_u64_u32 v[12:13], s[2:3], v12, s0, 0
	v_lshl_add_u64 v[12:13], v[12:13], 1, v[0:1]
	global_store_dwordx4 v[12:13], v[8:11], off
	s_nop 1
	v_add_u32_e32 v8, 8, v18
	v_mad_u64_u32 v[8:9], s[2:3], v8, s0, 0
	v_lshl_add_u64 v[8:9], v[8:9], 1, v[0:1]
	global_store_dwordx4 v[8:9], v[4:7], off
	s_and_b64 exec, exec, vcc
	s_cbranch_execz .LBB509_22
; %bb.21:
	ds_read_b128 v[4:7], v2 offset:384
	v_add_u32_e32 v2, s42, v3
	v_mad_u64_u32 v[2:3], s[0:1], v2, s0, 0
	v_lshl_add_u64 v[0:1], v[2:3], 1, v[0:1]
	s_waitcnt lgkmcnt(0)
	global_store_dwordx4 v[0:1], v[4:7], off
.LBB509_22:
	s_endpgm
	.section	.rodata,"a",@progbits
	.p2align	6, 0x0
	.amdhsa_kernel _Z39paged_attention_ll4mi_QKV_mfma16_kernelI14__hip_bfloat16S0_LN4vllm18Fp8KVCacheDataTypeE0EhLi32ELi64ELi256ELb1ELi14EEvPKT_PKT0_S8_ifPKiSA_SA_iPKfiiiPfSD_PS3_PT2_iSC_SC_
		.amdhsa_group_segment_fixed_size 8192
		.amdhsa_private_segment_fixed_size 0
		.amdhsa_kernarg_size 400
		.amdhsa_user_sgpr_count 2
		.amdhsa_user_sgpr_dispatch_ptr 0
		.amdhsa_user_sgpr_queue_ptr 0
		.amdhsa_user_sgpr_kernarg_segment_ptr 1
		.amdhsa_user_sgpr_dispatch_id 0
		.amdhsa_user_sgpr_kernarg_preload_length 0
		.amdhsa_user_sgpr_kernarg_preload_offset 0
		.amdhsa_user_sgpr_private_segment_size 0
		.amdhsa_uses_dynamic_stack 0
		.amdhsa_enable_private_segment 0
		.amdhsa_system_sgpr_workgroup_id_x 1
		.amdhsa_system_sgpr_workgroup_id_y 1
		.amdhsa_system_sgpr_workgroup_id_z 1
		.amdhsa_system_sgpr_workgroup_info 0
		.amdhsa_system_vgpr_workitem_id 0
		.amdhsa_next_free_vgpr 73
		.amdhsa_next_free_sgpr 48
		.amdhsa_accum_offset 76
		.amdhsa_reserve_vcc 1
		.amdhsa_float_round_mode_32 0
		.amdhsa_float_round_mode_16_64 0
		.amdhsa_float_denorm_mode_32 3
		.amdhsa_float_denorm_mode_16_64 3
		.amdhsa_dx10_clamp 1
		.amdhsa_ieee_mode 1
		.amdhsa_fp16_overflow 0
		.amdhsa_tg_split 0
		.amdhsa_exception_fp_ieee_invalid_op 0
		.amdhsa_exception_fp_denorm_src 0
		.amdhsa_exception_fp_ieee_div_zero 0
		.amdhsa_exception_fp_ieee_overflow 0
		.amdhsa_exception_fp_ieee_underflow 0
		.amdhsa_exception_fp_ieee_inexact 0
		.amdhsa_exception_int_div_zero 0
	.end_amdhsa_kernel
	.section	.text._Z39paged_attention_ll4mi_QKV_mfma16_kernelI14__hip_bfloat16S0_LN4vllm18Fp8KVCacheDataTypeE0EhLi32ELi64ELi256ELb1ELi14EEvPKT_PKT0_S8_ifPKiSA_SA_iPKfiiiPfSD_PS3_PT2_iSC_SC_,"axG",@progbits,_Z39paged_attention_ll4mi_QKV_mfma16_kernelI14__hip_bfloat16S0_LN4vllm18Fp8KVCacheDataTypeE0EhLi32ELi64ELi256ELb1ELi14EEvPKT_PKT0_S8_ifPKiSA_SA_iPKfiiiPfSD_PS3_PT2_iSC_SC_,comdat
.Lfunc_end509:
	.size	_Z39paged_attention_ll4mi_QKV_mfma16_kernelI14__hip_bfloat16S0_LN4vllm18Fp8KVCacheDataTypeE0EhLi32ELi64ELi256ELb1ELi14EEvPKT_PKT0_S8_ifPKiSA_SA_iPKfiiiPfSD_PS3_PT2_iSC_SC_, .Lfunc_end509-_Z39paged_attention_ll4mi_QKV_mfma16_kernelI14__hip_bfloat16S0_LN4vllm18Fp8KVCacheDataTypeE0EhLi32ELi64ELi256ELb1ELi14EEvPKT_PKT0_S8_ifPKiSA_SA_iPKfiiiPfSD_PS3_PT2_iSC_SC_
                                        ; -- End function
	.section	.AMDGPU.csdata,"",@progbits
; Kernel info:
; codeLenInByte = 4472
; NumSgprs: 54
; NumVgprs: 73
; NumAgprs: 0
; TotalNumVgprs: 73
; ScratchSize: 0
; MemoryBound: 0
; FloatMode: 240
; IeeeMode: 1
; LDSByteSize: 8192 bytes/workgroup (compile time only)
; SGPRBlocks: 6
; VGPRBlocks: 9
; NumSGPRsForWavesPerEU: 54
; NumVGPRsForWavesPerEU: 73
; AccumOffset: 76
; Occupancy: 6
; WaveLimiterHint : 1
; COMPUTE_PGM_RSRC2:SCRATCH_EN: 0
; COMPUTE_PGM_RSRC2:USER_SGPR: 2
; COMPUTE_PGM_RSRC2:TRAP_HANDLER: 0
; COMPUTE_PGM_RSRC2:TGID_X_EN: 1
; COMPUTE_PGM_RSRC2:TGID_Y_EN: 1
; COMPUTE_PGM_RSRC2:TGID_Z_EN: 1
; COMPUTE_PGM_RSRC2:TIDIG_COMP_CNT: 0
; COMPUTE_PGM_RSRC3_GFX90A:ACCUM_OFFSET: 18
; COMPUTE_PGM_RSRC3_GFX90A:TG_SPLIT: 0
	.section	.text._Z39paged_attention_ll4mi_QKV_mfma16_kernelI14__hip_bfloat16S0_LN4vllm18Fp8KVCacheDataTypeE0EhLi32ELi64ELi256ELb1ELi15EEvPKT_PKT0_S8_ifPKiSA_SA_iPKfiiiPfSD_PS3_PT2_iSC_SC_,"axG",@progbits,_Z39paged_attention_ll4mi_QKV_mfma16_kernelI14__hip_bfloat16S0_LN4vllm18Fp8KVCacheDataTypeE0EhLi32ELi64ELi256ELb1ELi15EEvPKT_PKT0_S8_ifPKiSA_SA_iPKfiiiPfSD_PS3_PT2_iSC_SC_,comdat
	.protected	_Z39paged_attention_ll4mi_QKV_mfma16_kernelI14__hip_bfloat16S0_LN4vllm18Fp8KVCacheDataTypeE0EhLi32ELi64ELi256ELb1ELi15EEvPKT_PKT0_S8_ifPKiSA_SA_iPKfiiiPfSD_PS3_PT2_iSC_SC_ ; -- Begin function _Z39paged_attention_ll4mi_QKV_mfma16_kernelI14__hip_bfloat16S0_LN4vllm18Fp8KVCacheDataTypeE0EhLi32ELi64ELi256ELb1ELi15EEvPKT_PKT0_S8_ifPKiSA_SA_iPKfiiiPfSD_PS3_PT2_iSC_SC_
	.globl	_Z39paged_attention_ll4mi_QKV_mfma16_kernelI14__hip_bfloat16S0_LN4vllm18Fp8KVCacheDataTypeE0EhLi32ELi64ELi256ELb1ELi15EEvPKT_PKT0_S8_ifPKiSA_SA_iPKfiiiPfSD_PS3_PT2_iSC_SC_
	.p2align	8
	.type	_Z39paged_attention_ll4mi_QKV_mfma16_kernelI14__hip_bfloat16S0_LN4vllm18Fp8KVCacheDataTypeE0EhLi32ELi64ELi256ELb1ELi15EEvPKT_PKT0_S8_ifPKiSA_SA_iPKfiiiPfSD_PS3_PT2_iSC_SC_,@function
_Z39paged_attention_ll4mi_QKV_mfma16_kernelI14__hip_bfloat16S0_LN4vllm18Fp8KVCacheDataTypeE0EhLi32ELi64ELi256ELb1ELi15EEvPKT_PKT0_S8_ifPKiSA_SA_iPKfiiiPfSD_PS3_PT2_iSC_SC_: ; @_Z39paged_attention_ll4mi_QKV_mfma16_kernelI14__hip_bfloat16S0_LN4vllm18Fp8KVCacheDataTypeE0EhLi32ELi64ELi256ELb1ELi15EEvPKT_PKT0_S8_ifPKiSA_SA_iPKfiiiPfSD_PS3_PT2_iSC_SC_
; %bb.0:
	s_load_dwordx2 s[6:7], s[0:1], 0x30
	s_mov_b32 s28, s3
	s_mov_b64 s[8:9], 0
	s_waitcnt lgkmcnt(0)
	s_cmp_lg_u64 s[6:7], 0
	s_cselect_b64 s[10:11], -1, 0
	s_and_b64 vcc, exec, s[10:11]
	s_cbranch_vccz .LBB510_7
; %bb.1:
	s_add_i32 s12, s2, 1
	s_mov_b32 s13, 0
	s_lshl_b64 s[14:15], s[12:13], 2
	s_add_u32 s14, s6, s14
	s_mov_b32 s3, s13
	s_addc_u32 s15, s7, s15
	s_lshl_b64 s[12:13], s[2:3], 2
	s_add_u32 s12, s6, s12
	s_addc_u32 s13, s7, s13
	s_load_dword s5, s[14:15], 0x0
	s_load_dword s16, s[12:13], 0x0
	s_waitcnt lgkmcnt(0)
	s_sub_i32 s5, s5, s16
	s_cmp_eq_u32 s5, 1
	s_cselect_b64 s[12:13], -1, 0
	s_andn2_b64 vcc, exec, s[8:9]
	s_cbranch_vccnz .LBB510_3
.LBB510_2:
	s_mov_b32 s3, 0
	s_mov_b64 s[12:13], -1
.LBB510_3:
	s_andn2_b64 vcc, exec, s[12:13]
	s_cbranch_vccnz .LBB510_22
; %bb.4:
	s_load_dwordx2 s[8:9], s[0:1], 0x28
	s_lshl_b64 s[12:13], s[2:3], 2
	s_waitcnt lgkmcnt(0)
	s_add_u32 s8, s8, s12
	s_addc_u32 s9, s9, s13
	s_load_dword s29, s[8:9], 0x0
	s_lshl_b32 s14, s28, 8
	s_waitcnt lgkmcnt(0)
	s_cmp_ge_i32 s14, s29
	s_cbranch_scc1 .LBB510_22
; %bb.5:
	s_load_dwordx2 s[8:9], s[0:1], 0x20
	s_load_dword s5, s[0:1], 0x38
	s_add_i32 s15, s29, 31
	s_ashr_i32 s16, s15, 31
	v_and_b32_e32 v1, 0xcf, v0
	s_lshr_b32 s16, s16, 27
	v_add_u32_e32 v1, s14, v1
	s_add_i32 s15, s15, s16
	v_ashrrev_i32_e32 v2, 31, v1
	s_ashr_i32 s15, s15, 5
	v_lshrrev_b32_e32 v6, 27, v2
	s_add_i32 s15, s15, -1
	s_waitcnt lgkmcnt(0)
	s_mul_i32 s16, s2, s5
	s_mov_b32 s17, 0
	v_add_u32_e32 v2, v1, v6
	s_lshl_b64 s[16:17], s[16:17], 2
	v_ashrrev_i32_e32 v2, 5, v2
	v_mov_b32_e32 v7, s15
	v_cmp_gt_i32_e32 vcc, s29, v1
	s_add_u32 s8, s8, s16
	s_addc_u32 s9, s9, s17
	v_cndmask_b32_e32 v2, v7, v2, vcc
	v_ashrrev_i32_e32 v3, 31, v2
	v_lshl_add_u64 v[4:5], v[2:3], 2, s[8:9]
	v_or_b32_e32 v2, 16, v1
	v_add_u32_e32 v3, v2, v6
	v_ashrrev_i32_e32 v3, 5, v3
	v_cmp_gt_i32_e32 vcc, s29, v2
	s_nop 1
	v_cndmask_b32_e32 v2, v7, v3, vcc
	v_ashrrev_i32_e32 v3, 31, v2
	v_lshl_add_u64 v[8:9], v[2:3], 2, s[8:9]
	v_or_b32_e32 v2, 32, v1
	v_add_u32_e32 v3, v2, v6
	v_ashrrev_i32_e32 v3, 5, v3
	v_cmp_gt_i32_e32 vcc, s29, v2
	v_or_b32_e32 v1, 48, v1
	s_nop 0
	v_cndmask_b32_e32 v2, v7, v3, vcc
	v_ashrrev_i32_e32 v3, 31, v2
	v_lshl_add_u64 v[12:13], v[2:3], 2, s[8:9]
	v_add_u32_e32 v2, v1, v6
	v_ashrrev_i32_e32 v2, 5, v2
	v_cmp_gt_i32_e32 vcc, s29, v1
	s_nop 1
	v_cndmask_b32_e32 v2, v7, v2, vcc
	v_ashrrev_i32_e32 v3, 31, v2
	v_lshl_add_u64 v[16:17], v[2:3], 2, s[8:9]
	global_load_dword v2, v[4:5], off
	global_load_dword v6, v[8:9], off
	;; [unrolled: 1-line block ×4, first 2 shown]
	s_andn2_b64 vcc, exec, s[10:11]
	s_cbranch_vccnz .LBB510_8
; %bb.6:
	s_add_u32 s6, s6, s12
	s_addc_u32 s7, s7, s13
	s_load_dword s5, s[6:7], 0x0
	s_branch .LBB510_9
.LBB510_7:
	s_mov_b64 s[12:13], 0
	s_branch .LBB510_2
.LBB510_8:
	s_mov_b32 s5, s2
.LBB510_9:
	s_load_dwordx2 s[10:11], s[0:1], 0x8
	s_load_dwordx4 s[44:47], s[0:1], 0x48
	v_lshrrev_b32_e32 v1, 6, v0
	v_bfe_u32 v54, v0, 4, 2
	v_lshl_or_b32 v3, v1, 2, v54
	v_and_b32_e32 v44, 15, v0
	v_cmp_lt_u32_e32 vcc, 14, v3
	v_cmp_lt_u32_e64 s[6:7], 7, v44
	v_lshlrev_b32_e32 v42, 3, v44
	v_cmp_gt_u32_e64 s[30:31], 8, v44
	s_or_b64 s[6:7], s[6:7], vcc
	s_and_saveexec_b64 s[12:13], s[6:7]
	s_xor_b64 s[6:7], exec, s[12:13]
; %bb.10:
	v_mov_b32_e32 v43, 0
                                        ; implicit-def: $vgpr3
; %bb.11:
	s_or_saveexec_b64 s[12:13], s[6:7]
	s_load_dwordx2 s[6:7], s[0:1], 0x10
	s_mul_i32 s42, s4, 15
	s_xor_b64 exec, exec, s[12:13]
	s_cbranch_execz .LBB510_13
; %bb.12:
	s_load_dwordx2 s[16:17], s[0:1], 0x0
	s_waitcnt lgkmcnt(0)
	s_ashr_i32 s18, s44, 31
	s_mul_hi_u32 s19, s5, s44
	s_mul_i32 s18, s5, s18
	s_add_i32 s19, s19, s18
	s_mul_i32 s18, s5, s44
	s_lshl_b64 s[18:19], s[18:19], 1
	s_add_u32 s16, s16, s18
	v_add_lshl_u32 v4, v3, s42, 6
	s_addc_u32 s17, s17, s19
	v_ashrrev_i32_e32 v5, 31, v4
	v_mov_b32_e32 v43, 0
	v_lshl_add_u64 v[4:5], v[4:5], 1, s[16:17]
	v_lshlrev_b32_e32 v8, 1, v42
	v_mov_b32_e32 v9, v43
	v_lshl_add_u64 v[4:5], v[4:5], 0, v[8:9]
	global_load_dwordx4 v[16:19], v[4:5], off
	v_and_b32_e32 v4, 3, v0
	v_lshlrev_b32_e32 v5, 9, v44
	v_lshlrev_b32_e32 v3, 5, v3
	;; [unrolled: 1-line block ×3, first 2 shown]
	v_and_b32_e32 v5, 0x1800, v5
	v_or3_b32 v3, v5, v4, v3
	s_waitcnt vmcnt(0)
	ds_write_b128 v3, v[16:19]
.LBB510_13:
	s_or_b64 exec, exec, s[12:13]
	s_waitcnt lgkmcnt(0)
	s_mov_b32 s5, 0
	s_mul_i32 s4, s4, s46
	s_lshl_b64 s[4:5], s[4:5], 1
	s_add_u32 s10, s10, s4
	s_addc_u32 s11, s11, s5
	s_waitcnt vmcnt(3)
	v_mad_i64_i32 v[2:3], s[12:13], v2, s45, 0
	v_lshl_add_u64 v[2:3], v[2:3], 1, s[10:11]
	v_lshlrev_b64 v[12:13], 1, v[42:43]
	v_mov_b32_e32 v47, 0
	v_lshlrev_b32_e32 v46, 9, v54
	v_lshl_add_u64 v[2:3], v[2:3], 0, v[12:13]
	v_lshl_add_u64 v[8:9], v[2:3], 0, v[46:47]
	s_barrier
	global_load_dwordx4 v[22:25], v[8:9], off
	global_load_dwordx4 v[2:5], v[8:9], off offset:2048
	s_waitcnt vmcnt(4)
	v_mad_i64_i32 v[6:7], s[12:13], v6, s45, 0
	v_mov_b32_e32 v8, 0x100
	v_lshl_add_u64 v[6:7], v[6:7], 1, s[10:11]
	v_lshl_or_b32 v16, v44, 4, v8
	v_mov_b32_e32 v17, v47
	s_waitcnt vmcnt(3)
	v_mad_i64_i32 v[10:11], s[12:13], v10, s45, 0
	v_lshl_add_u64 v[6:7], v[6:7], 0, v[16:17]
	v_lshl_add_u64 v[10:11], v[10:11], 1, s[10:11]
	s_waitcnt vmcnt(2)
	v_mad_i64_i32 v[14:15], s[12:13], v14, s45, 0
	v_lshl_add_u64 v[18:19], v[6:7], 0, v[46:47]
	v_lshl_add_u64 v[10:11], v[10:11], 0, v[12:13]
	;; [unrolled: 1-line block ×3, first 2 shown]
	global_load_dwordx4 v[26:29], v[18:19], off
	global_load_dwordx4 v[6:9], v[18:19], off offset:2048
	v_lshl_add_u64 v[18:19], v[10:11], 0, v[46:47]
	v_lshl_add_u64 v[14:15], v[14:15], 0, v[16:17]
	global_load_dwordx4 v[30:33], v[18:19], off
	global_load_dwordx4 v[10:13], v[18:19], off offset:2048
	v_lshl_add_u64 v[18:19], v[14:15], 0, v[46:47]
	global_load_dwordx4 v[34:37], v[18:19], off
	global_load_dwordx4 v[14:17], v[18:19], off offset:2048
	v_cmp_ne_u32_e32 vcc, 15, v44
	v_and_b32_e32 v45, 63, v0
	v_mov_b32_e32 v50, 0
	v_cndmask_b32_e32 v18, 0, v44, vcc
	v_lshl_or_b32 v18, v18, 5, v46
	ds_read_b128 v[38:41], v18
	ds_read_b128 v[18:21], v18 offset:2048
	s_and_saveexec_b64 s[10:11], vcc
	s_cbranch_execz .LBB510_15
; %bb.14:
	s_load_dwordx2 s[12:13], s[0:1], 0x40
	v_add_u32_e32 v48, s42, v44
	v_ashrrev_i32_e32 v49, 31, v48
	s_waitcnt lgkmcnt(0)
	v_lshl_add_u64 v[48:49], v[48:49], 2, s[12:13]
	global_load_dword v50, v[48:49], off
.LBB510_15:
	s_or_b64 exec, exec, s[10:11]
	s_ashr_i32 s10, s14, 31
	v_and_or_b32 v46, v0, 48, s14
	s_lshr_b32 s11, s10, 27
	v_add_u32_e32 v48, s11, v46
	v_or_b32_e32 v52, 64, v46
	v_ashrrev_i32_e32 v48, 5, v48
	v_mov_b32_e32 v51, s15
	v_cmp_gt_i32_e32 vcc, s29, v46
	v_add_u32_e32 v53, s11, v52
	s_waitcnt vmcnt(7) lgkmcnt(1)
	v_mfma_f32_16x16x16_bf16 v[56:59], v[22:23], v[38:39], 0
	v_cndmask_b32_e32 v48, v51, v48, vcc
	v_ashrrev_i32_e32 v22, 5, v53
	v_cmp_gt_i32_e32 vcc, s29, v52
	v_ashrrev_i32_e32 v49, 31, v48
	v_lshl_add_u64 v[48:49], v[48:49], 2, s[8:9]
	v_cndmask_b32_e32 v22, v51, v22, vcc
	v_ashrrev_i32_e32 v23, 31, v22
	v_lshl_add_u64 v[22:23], v[22:23], 2, s[8:9]
	global_load_dword v55, v[48:49], off
	global_load_dword v72, v[22:23], off
	s_waitcnt vmcnt(3)
	v_mfma_f32_16x16x16_bf16 v[68:71], v[34:35], v[38:39], 0
	v_or_b32_e32 v48, 0xc0, v46
	v_add_u32_e32 v52, s11, v48
	s_add_u32 s4, s6, s4
	v_mfma_f32_16x16x16_bf16 v[60:63], v[26:27], v[38:39], 0
	s_addc_u32 s5, s7, s5
	s_load_dword s10, s[0:1], 0x1c
	s_mov_b32 s33, 0xff7fffff
	v_mfma_f32_16x16x16_bf16 v[64:67], v[30:31], v[38:39], 0
	v_and_b32_e32 v31, 0xc0, v0
	v_or_b32_e32 v38, 0x80, v46
	v_add_u32_e32 v34, s14, v31
	v_mfma_f32_16x16x16_bf16 v[22:25], v[24:25], v[40:41], v[56:59]
	v_and_b32_e32 v30, 16, v0
	v_add_u32_e32 v49, s11, v38
	v_lshlrev_b32_e32 v46, 1, v30
	v_lshl_or_b32 v56, v54, 2, v34
	v_mfma_f32_16x16x16_bf16 v[34:37], v[36:37], v[40:41], v[68:71]
	v_cmp_gt_i32_e32 vcc, s29, v38
	v_lshlrev_b32_e32 v39, 6, v44
	v_or_b32_e32 v57, 1, v56
	v_mfma_f32_16x16x16_bf16 v[26:29], v[28:29], v[40:41], v[60:63]
	v_cmp_gt_i32_e64 s[34:35], s29, v57
	v_mfma_f32_16x16x16_bf16 v[30:33], v[32:33], v[40:41], v[64:67]
	v_ashrrev_i32_e32 v40, 5, v49
	v_ashrrev_i32_e32 v41, 5, v52
	v_cndmask_b32_e32 v38, v51, v40, vcc
	v_cmp_gt_i32_e32 vcc, s29, v48
	s_waitcnt lgkmcnt(0)
	v_mfma_f32_16x16x16_bf16 v[22:25], v[2:3], v[18:19], v[22:25]
	v_lshl_add_u64 v[2:3], s[4:5], 0, v[46:47]
	v_cndmask_b32_e32 v40, v51, v41, vcc
	v_lshl_or_b32 v46, v1, 10, v39
	v_ashrrev_i32_e32 v39, 31, v38
	v_ashrrev_i32_e32 v41, 31, v40
	s_waitcnt vmcnt(2)
	v_mfma_f32_16x16x16_bf16 v[34:37], v[14:15], v[18:19], v[34:37]
	v_lshl_add_u64 v[14:15], v[38:39], 2, s[8:9]
	v_subrev_u32_e32 v51, s29, v57
	v_cvt_f32_i32_e32 v58, v51
	v_mfma_f32_16x16x16_bf16 v[26:29], v[6:7], v[18:19], v[26:29]
	v_mfma_f32_16x16x16_bf16 v[30:33], v[10:11], v[18:19], v[30:33]
	v_lshl_add_u64 v[18:19], v[40:41], 2, s[8:9]
	global_load_dword v59, v[14:15], off
	global_load_dword v60, v[18:19], off
	v_lshl_add_u64 v[10:11], v[2:3], 0, v[46:47]
	v_mfma_f32_16x16x16_bf16 v[2:5], v[4:5], v[20:21], v[22:25]
	v_add_u32_e32 v46, 1, v51
	v_add_u32_e32 v47, 3, v51
	;; [unrolled: 1-line block ×3, first 2 shown]
	v_mfma_f32_16x16x16_bf16 v[14:17], v[16:17], v[20:21], v[34:37]
	v_add_u32_e32 v22, 2, v51
	s_nop 1
	v_pk_mul_f32 v[52:53], s[10:11], v[4:5] op_sel_hi:[0,1]
	v_cvt_f32_i32_e32 v18, v18
	v_mfma_f32_16x16x16_bf16 v[6:9], v[8:9], v[20:21], v[26:29]
	v_add_u32_e32 v19, 19, v51
	v_pk_mul_f32 v[34:35], s[10:11], v[16:17] op_sel_hi:[0,1]
	v_pk_mul_f32 v[36:37], s[10:11], v[14:15] op_sel_hi:[0,1]
	v_cvt_f32_i32_e32 v27, v22
	v_mfma_f32_16x16x16_bf16 v[22:25], v[12:13], v[20:21], v[30:33]
	v_pk_mul_f32 v[12:13], s[10:11], v[2:3] op_sel_hi:[0,1]
	v_cvt_f32_i32_e32 v26, v46
	v_cvt_f32_i32_e32 v28, v47
	v_pk_mul_f32 v[46:47], s[10:11], v[8:9] op_sel_hi:[0,1]
	v_pk_mul_f32 v[48:49], s[10:11], v[6:7] op_sel_hi:[0,1]
	v_cvt_f32_i32_e32 v19, v19
	v_fma_f32 v46, v50, v18, v46
	v_add_u32_e32 v18, 34, v51
	v_cvt_f32_i32_e32 v18, v18
	v_fmac_f32_e32 v47, v50, v19
	v_add_u32_e32 v19, 35, v51
	v_cvt_f32_i32_e32 v19, v19
	v_pk_mul_f32 v[40:41], s[10:11], v[22:23] op_sel_hi:[0,1]
	v_pk_mul_f32 v[38:39], s[10:11], v[24:25] op_sel_hi:[0,1]
	v_fma_f32 v38, v50, v18, v38
	v_add_u32_e32 v18, 50, v51
	s_waitcnt vmcnt(3)
	v_mad_i64_i32 v[2:3], s[4:5], v55, s45, 0
	s_waitcnt vmcnt(2)
	v_mad_i64_i32 v[4:5], s[4:5], v72, s45, 0
	v_lshl_add_u64 v[16:17], v[2:3], 1, v[10:11]
	v_lshl_add_u64 v[14:15], v[4:5], 1, v[10:11]
	global_load_dwordx4 v[6:9], v[16:17], off
	global_load_dwordx4 v[2:5], v[16:17], off offset:16
	v_add_u32_e32 v16, 16, v51
	v_cvt_f32_i32_e32 v16, v16
	v_add_u32_e32 v17, 17, v51
	v_cvt_f32_i32_e32 v17, v17
	v_fmac_f32_e32 v39, v50, v19
	v_fma_f32 v48, v50, v16, v48
	v_add_u32_e32 v16, 32, v51
	v_fmac_f32_e32 v49, v50, v17
	v_cvt_f32_i32_e32 v16, v16
	v_add_u32_e32 v17, 33, v51
	v_cvt_f32_i32_e32 v17, v17
	v_cvt_f32_i32_e32 v18, v18
	v_fma_f32 v40, v50, v16, v40
	v_add_u32_e32 v16, 48, v51
	v_fmac_f32_e32 v41, v50, v17
	v_cvt_f32_i32_e32 v16, v16
	v_add_u32_e32 v17, 49, v51
	v_cvt_f32_i32_e32 v17, v17
	v_add_u32_e32 v19, 51, v51
	v_cvt_f32_i32_e32 v19, v19
	v_fma_f32 v12, v50, v58, v12
	v_fmac_f32_e32 v13, v50, v26
	v_fma_f32 v36, v50, v16, v36
	v_mov_b32_e32 v16, 0xff7fffff
	v_cmp_gt_i32_e64 s[4:5], s29, v56
	v_fmac_f32_e32 v37, v50, v17
	v_fma_f32 v34, v50, v18, v34
	v_cndmask_b32_e64 v17, v16, v12, s[4:5]
	v_cndmask_b32_e64 v18, v16, v13, s[34:35]
	v_fmac_f32_e32 v35, v50, v19
	v_max3_f32 v17, v17, s33, v18
	v_or_b32_e32 v18, 2, v56
	v_or_b32_e32 v19, 3, v56
	v_fma_f32 v52, v50, v27, v52
	v_fmac_f32_e32 v53, v50, v28
	v_cmp_gt_i32_e64 s[36:37], s29, v18
	v_cmp_gt_i32_e64 s[38:39], s29, v19
	global_load_dwordx4 v[30:33], v[14:15], off
	global_load_dwordx4 v[26:29], v[14:15], off offset:16
	v_cndmask_b32_e64 v18, v16, v52, s[36:37]
	v_cndmask_b32_e64 v19, v16, v53, s[38:39]
	v_max3_f32 v17, v17, v18, v19
	v_or_b32_e32 v18, 16, v56
	v_or_b32_e32 v19, 17, v56
	v_cmp_gt_i32_e64 s[24:25], s29, v18
	v_cmp_gt_i32_e64 s[26:27], s29, v19
	s_nop 0
	v_cndmask_b32_e64 v18, v16, v48, s[24:25]
	v_cndmask_b32_e64 v19, v16, v49, s[26:27]
	v_max3_f32 v17, v17, v18, v19
	v_or_b32_e32 v18, 18, v56
	v_or_b32_e32 v19, 19, v56
	v_cmp_gt_i32_e64 s[20:21], s29, v18
	v_cmp_gt_i32_e64 s[22:23], s29, v19
	s_nop 0
	;; [unrolled: 8-line block ×5, first 2 shown]
	v_cndmask_b32_e64 v18, v16, v36, s[8:9]
	v_cndmask_b32_e64 v19, v16, v37, s[10:11]
	v_max3_f32 v17, v17, v18, v19
	v_or_b32_e32 v18, 50, v56
	v_or_b32_e32 v19, 51, v56
	v_cmp_gt_i32_e32 vcc, s29, v18
	v_cmp_gt_i32_e64 s[6:7], s29, v19
	s_nop 0
	v_cndmask_b32_e32 v18, v16, v34, vcc
	v_cndmask_b32_e64 v16, v16, v35, s[6:7]
	v_max3_f32 v16, v17, v18, v16
	v_mbcnt_lo_u32_b32 v17, -1, 0
	v_mbcnt_hi_u32_b32 v17, -1, v17
	v_and_b32_e32 v18, 64, v17
	v_add_u32_e32 v18, 64, v18
	v_xor_b32_e32 v19, 32, v17
	v_cmp_lt_i32_e64 s[40:41], v19, v18
	s_nop 1
	v_cndmask_b32_e64 v19, v17, v19, s[40:41]
	v_lshlrev_b32_e32 v56, 2, v19
	ds_bpermute_b32 v19, v56, v16
	s_waitcnt vmcnt(5)
	v_mad_i64_i32 v[14:15], s[40:41], v59, s45, 0
	v_lshl_add_u64 v[14:15], v[14:15], 1, v[10:11]
	s_waitcnt lgkmcnt(0)
	v_max_f32_e32 v19, v19, v19
	v_max_f32_e32 v16, v16, v19
	v_xor_b32_e32 v19, 16, v17
	v_cmp_lt_i32_e64 s[40:41], v19, v18
	s_nop 1
	v_cndmask_b32_e64 v17, v17, v19, s[40:41]
	v_lshlrev_b32_e32 v57, 2, v17
	ds_bpermute_b32 v17, v57, v16
	global_load_dwordx4 v[22:25], v[14:15], off
	global_load_dwordx4 v[18:21], v[14:15], off offset:16
	s_waitcnt vmcnt(6)
	v_mad_i64_i32 v[14:15], s[40:41], v60, s45, 0
	v_lshl_add_u64 v[10:11], v[14:15], 1, v[10:11]
	s_waitcnt lgkmcnt(0)
	v_max_f32_e32 v14, v17, v17
	v_max_f32_e32 v55, v16, v14
	v_sub_f32_e32 v12, v12, v55
	v_mul_f32_e32 v12, 0x3fb8aa3b, v12
	v_exp_f32_e32 v50, v12
	v_sub_f32_e32 v12, v13, v55
	v_mul_f32_e32 v12, 0x3fb8aa3b, v12
	v_exp_f32_e32 v51, v12
	global_load_dwordx4 v[14:17], v[10:11], off
	s_nop 0
	global_load_dwordx4 v[10:13], v[10:11], off offset:16
	v_sub_f32_e32 v52, v52, v55
	v_mul_f32_e32 v52, 0x3fb8aa3b, v52
	v_sub_f32_e32 v53, v53, v55
	v_exp_f32_e32 v52, v52
	v_mul_f32_e32 v53, 0x3fb8aa3b, v53
	v_sub_f32_e32 v48, v48, v55
	v_exp_f32_e32 v53, v53
	v_mul_f32_e32 v48, 0x3fb8aa3b, v48
	v_sub_f32_e32 v49, v49, v55
	v_cndmask_b32_e64 v50, 0, v50, s[4:5]
	v_exp_f32_e32 v48, v48
	v_mul_f32_e32 v49, 0x3fb8aa3b, v49
	v_sub_f32_e32 v46, v46, v55
	v_add_f32_e32 v58, 0, v50
	v_cndmask_b32_e64 v51, 0, v51, s[34:35]
	v_exp_f32_e32 v49, v49
	v_mul_f32_e32 v46, 0x3fb8aa3b, v46
	v_sub_f32_e32 v47, v47, v55
	v_add_f32_e32 v58, v58, v51
	;; [unrolled: 5-line block ×10, first 2 shown]
	v_cndmask_b32_e64 v38, 0, v38, s[12:13]
	v_exp_f32_e32 v34, v34
	v_mul_f32_e32 v35, 0x3fb8aa3b, v35
	v_add_f32_e32 v58, v58, v38
	v_cndmask_b32_e64 v39, 0, v39, s[14:15]
	v_exp_f32_e32 v35, v35
	v_add_f32_e32 v58, v58, v39
	v_cndmask_b32_e64 v36, 0, v36, s[8:9]
	v_add_f32_e32 v58, v58, v36
	v_cndmask_b32_e64 v37, 0, v37, s[10:11]
	v_add_f32_e32 v58, v58, v37
	v_cndmask_b32_e32 v34, 0, v34, vcc
	v_add_f32_e32 v58, v58, v34
	v_cndmask_b32_e64 v35, 0, v35, s[6:7]
	v_add_f32_e32 v58, v58, v35
	ds_bpermute_b32 v56, v56, v58
	s_load_dword s7, s[0:1], 0x98
	v_cmp_gt_u32_e32 vcc, 16, v45
	v_lshlrev_b32_e32 v45, 2, v44
	s_waitcnt lgkmcnt(0)
	v_add_f32_e32 v56, v58, v56
	ds_bpermute_b32 v57, v57, v56
	s_barrier
	s_waitcnt lgkmcnt(0)
	s_and_saveexec_b64 s[4:5], vcc
	s_cbranch_execz .LBB510_17
; %bb.16:
	v_add_f32_e32 v56, v56, v57
	v_lshl_or_b32 v57, v1, 6, v45
	ds_write2st64_b32 v57, v55, v56 offset1:1
.LBB510_17:
	s_or_b64 exec, exec, s[4:5]
	s_load_dword s6, s[0:1], 0x94
	s_waitcnt lgkmcnt(0)
	s_barrier
	ds_read2_b32 v[56:57], v45 offset1:16
	ds_read2_b32 v[58:59], v45 offset0:32 offset1:48
	ds_read2_b32 v[60:61], v45 offset0:64 offset1:80
	;; [unrolled: 1-line block ×3, first 2 shown]
	s_movk_i32 s8, 0x7fff
	s_waitcnt lgkmcnt(3)
	v_max3_f32 v55, v56, s33, v57
	s_waitcnt lgkmcnt(2)
	v_max3_f32 v55, v55, v58, v59
	v_sub_f32_e32 v56, v56, v55
	v_mul_f32_e32 v56, 0x3fb8aa3b, v56
	v_exp_f32_e32 v64, v56
	v_sub_f32_e32 v56, v57, v55
	v_mul_f32_e32 v56, 0x3fb8aa3b, v56
	v_exp_f32_e32 v57, v56
	v_sub_f32_e32 v56, v58, v55
	v_mul_f32_e32 v56, 0x3fb8aa3b, v56
	v_sub_f32_e32 v45, v59, v55
	v_exp_f32_e32 v58, v56
	v_mul_f32_e32 v45, 0x3fb8aa3b, v45
	v_exp_f32_e32 v45, v45
	s_waitcnt lgkmcnt(1)
	v_fma_f32 v56, v64, v60, 0
	v_fmac_f32_e32 v56, v57, v61
	s_waitcnt lgkmcnt(0)
	v_fmac_f32_e32 v56, v58, v62
	v_fmac_f32_e32 v56, v45, v63
	v_add_f32_e32 v59, 0x358637bd, v56
	v_div_scale_f32 v60, s[4:5], v59, v59, 1.0
	v_rcp_f32_e32 v61, v60
	s_mov_b32 s9, 0x7060302
	s_mul_i32 s7, s7, 15
	v_fma_f32 v62, -v60, v61, 1.0
	v_fmac_f32_e32 v61, v62, v61
	v_div_scale_f32 v62, vcc, 1.0, v59, 1.0
	v_mul_f32_e32 v63, v62, v61
	v_fma_f32 v65, -v60, v63, v62
	v_fmac_f32_e32 v63, v65, v61
	v_fma_f32 v60, -v60, v63, v62
	v_div_fmas_f32 v60, v60, v61, v63
	v_cmp_eq_u32_e32 vcc, 1, v1
	v_div_fixup_f32 v59, v60, v59, 1.0
	s_barrier
	v_cndmask_b32_e32 v57, v64, v57, vcc
	v_cmp_eq_u32_e32 vcc, 2, v1
	s_nop 1
	v_cndmask_b32_e32 v57, v57, v58, vcc
	v_cmp_eq_u32_e32 vcc, 3, v1
	v_lshlrev_b32_e32 v1, 11, v1
	s_nop 0
	v_cndmask_b32_e32 v45, v57, v45, vcc
	v_mul_f32_e32 v58, v45, v59
	v_pk_mul_f32 v[50:51], v[58:59], v[50:51] op_sel_hi:[0,1]
	v_bfe_u32 v45, v51, 16, 1
	v_bfe_u32 v57, v50, 16, 1
	v_pk_mul_f32 v[52:53], v[58:59], v[52:53] op_sel_hi:[0,1]
	v_add3_u32 v50, v50, v57, s8
	v_add3_u32 v45, v51, v45, s8
	v_perm_b32 v60, v45, v50, s9
	v_bfe_u32 v45, v53, 16, 1
	v_bfe_u32 v50, v52, 16, 1
	v_add3_u32 v50, v52, v50, s8
	v_add3_u32 v45, v53, v45, s8
	v_perm_b32 v61, v45, v50, s9
	v_lshlrev_b32_e32 v45, 3, v54
	v_lshlrev_b32_e32 v50, 5, v44
	v_pk_mul_f32 v[48:49], v[58:59], v[48:49] op_sel_hi:[0,1]
	v_or3_b32 v1, v1, v50, v45
	v_bfe_u32 v45, v49, 16, 1
	v_bfe_u32 v51, v48, 16, 1
	v_pk_mul_f32 v[46:47], v[58:59], v[46:47] op_sel_hi:[0,1]
	v_add3_u32 v48, v48, v51, s8
	v_add3_u32 v45, v49, v45, s8
	v_perm_b32 v48, v45, v48, s9
	v_bfe_u32 v45, v47, 16, 1
	v_bfe_u32 v49, v46, 16, 1
	v_add3_u32 v46, v46, v49, s8
	v_add3_u32 v45, v47, v45, s8
	v_pk_mul_f32 v[40:41], v[58:59], v[40:41] op_sel_hi:[0,1]
	v_perm_b32 v49, v45, v46, s9
	v_bfe_u32 v45, v41, 16, 1
	v_bfe_u32 v46, v40, 16, 1
	v_pk_mul_f32 v[38:39], v[58:59], v[38:39] op_sel_hi:[0,1]
	v_add3_u32 v40, v40, v46, s8
	v_add3_u32 v41, v41, v45, s8
	v_perm_b32 v40, v41, v40, s9
	v_bfe_u32 v41, v39, 16, 1
	v_bfe_u32 v45, v38, 16, 1
	v_add3_u32 v38, v38, v45, s8
	v_add3_u32 v39, v39, v41, s8
	v_pk_mul_f32 v[36:37], v[58:59], v[36:37] op_sel_hi:[0,1]
	v_perm_b32 v41, v39, v38, s9
	v_bfe_u32 v38, v37, 16, 1
	v_bfe_u32 v39, v36, 16, 1
	v_pk_mul_f32 v[34:35], v[58:59], v[34:35] op_sel_hi:[0,1]
	v_add3_u32 v36, v36, v39, s8
	v_add3_u32 v37, v37, v38, s8
	v_perm_b32 v36, v37, v36, s9
	v_bfe_u32 v37, v35, 16, 1
	v_bfe_u32 v38, v34, 16, 1
	v_add3_u32 v34, v34, v38, s8
	v_add3_u32 v35, v35, v37, s8
	v_perm_b32 v37, v35, v34, s9
	v_cmp_gt_u32_e32 vcc, 15, v0
	ds_write2st64_b64 v1, v[60:61], v[48:49] offset1:1
	ds_write2st64_b64 v1, v[40:41], v[36:37] offset0:2 offset1:3
	s_and_saveexec_b64 s[4:5], vcc
	s_cbranch_execz .LBB510_19
; %bb.18:
	s_mov_b32 s43, 0
	v_mov_b32_e32 v45, 0
	v_lshl_add_u64 v[34:35], s[42:43], 0, v[44:45]
	v_mov_b32_e32 v36, s7
	v_mad_u64_u32 v[34:35], s[10:11], s2, v36, v[34:35]
	s_mul_i32 s3, s3, s7
	v_mov_b32_e32 v44, s28
	s_load_dwordx4 s[12:15], s[0:1], 0x58
	v_add_u32_e32 v37, s3, v35
	v_mad_u64_u32 v[34:35], s[10:11], v34, s6, v[44:45]
	v_mov_b32_e32 v36, v35
	v_mad_u64_u32 v[36:37], s[10:11], v37, s6, v[36:37]
	v_mov_b32_e32 v35, v36
	v_lshlrev_b64 v[34:35], 2, v[34:35]
	s_waitcnt lgkmcnt(0)
	v_lshl_add_u64 v[36:37], s[14:15], 0, v[34:35]
	v_lshl_add_u64 v[34:35], s[12:13], 0, v[34:35]
	global_store_dword v[36:37], v55, off
	global_store_dword v[34:35], v56, off
.LBB510_19:
	s_or_b64 exec, exec, s[4:5]
	v_lshl_or_b32 v48, v54, 9, v50
	s_waitcnt lgkmcnt(0)
	s_barrier
	ds_read_b128 v[34:37], v48
	ds_read_b128 v[38:41], v48 offset:16
	s_waitcnt vmcnt(7) lgkmcnt(1)
	v_mfma_f32_16x16x16_bf16 v[44:47], v[6:7], v[34:35], 0
	v_cmp_gt_u32_e32 vcc, 64, v0
	s_mov_b32 s3, 0
	s_and_b64 s[4:5], vcc, s[30:31]
	v_mfma_f32_16x16x16_bf16 v[6:9], v[8:9], v[36:37], v[44:47]
	s_waitcnt vmcnt(6) lgkmcnt(0)
	v_mfma_f32_16x16x16_bf16 v[6:9], v[2:3], v[38:39], v[6:9]
	v_mfma_f32_16x16x16_bf16 v[2:5], v[4:5], v[40:41], v[6:9]
	s_nop 5
	ds_read_b128 v[6:9], v48 offset:2048
	ds_read_b128 v[34:37], v48 offset:2064
	s_waitcnt vmcnt(5) lgkmcnt(1)
	v_mfma_f32_16x16x16_bf16 v[2:5], v[30:31], v[6:7], v[2:5]
	v_mfma_f32_16x16x16_bf16 v[2:5], v[32:33], v[8:9], v[2:5]
	s_waitcnt vmcnt(4) lgkmcnt(0)
	v_mfma_f32_16x16x16_bf16 v[2:5], v[26:27], v[34:35], v[2:5]
	v_mfma_f32_16x16x16_bf16 v[2:5], v[28:29], v[36:37], v[2:5]
	ds_read_b128 v[6:9], v48 offset:4096
	ds_read_b128 v[26:29], v48 offset:4112
	s_waitcnt vmcnt(3) lgkmcnt(1)
	v_mfma_f32_16x16x16_bf16 v[2:5], v[22:23], v[6:7], v[2:5]
	v_mfma_f32_16x16x16_bf16 v[2:5], v[24:25], v[8:9], v[2:5]
	s_waitcnt vmcnt(2) lgkmcnt(0)
	v_mfma_f32_16x16x16_bf16 v[2:5], v[18:19], v[26:27], v[2:5]
	v_mfma_f32_16x16x16_bf16 v[2:5], v[20:21], v[28:29], v[2:5]
	ds_read_b128 v[6:9], v48 offset:6144
	ds_read_b128 v[18:21], v48 offset:6160
	s_waitcnt lgkmcnt(0)
	s_barrier
	s_waitcnt vmcnt(1)
	v_mfma_f32_16x16x16_bf16 v[2:5], v[14:15], v[6:7], v[2:5]
	v_mfma_f32_16x16x16_bf16 v[2:5], v[16:17], v[8:9], v[2:5]
	s_waitcnt vmcnt(0)
	v_mfma_f32_16x16x16_bf16 v[2:5], v[10:11], v[18:19], v[2:5]
	v_mfma_f32_16x16x16_bf16 v[2:5], v[12:13], v[20:21], v[2:5]
	s_nop 6
	v_bfe_u32 v6, v3, 16, 1
	v_bfe_u32 v7, v2, 16, 1
	v_bfe_u32 v8, v5, 16, 1
	v_bfe_u32 v9, v4, 16, 1
	v_add3_u32 v2, v2, v7, s8
	v_add3_u32 v3, v3, v6, s8
	;; [unrolled: 1-line block ×4, first 2 shown]
	v_perm_b32 v2, v3, v2, s9
	v_perm_b32 v3, v5, v4, s9
	ds_write_b64 v1, v[2:3]
	s_waitcnt lgkmcnt(0)
	s_barrier
	s_and_saveexec_b64 s[8:9], s[4:5]
	s_cbranch_execz .LBB510_22
; %bb.20:
	s_load_dwordx2 s[4:5], s[0:1], 0x68
	s_lshl_b32 s0, s6, 6
	s_mul_i32 s1, s7, s2
	s_mul_hi_u32 s7, s1, s0
	s_mul_i32 s6, s1, s0
	v_lshlrev_b32_e32 v1, 10, v0
	v_lshlrev_b32_e32 v0, 4, v0
	s_lshl_b64 s[6:7], s[6:7], 1
	v_and_b32_e32 v1, 0x1800, v1
	v_lshlrev_b32_e32 v2, 5, v54
	v_and_b32_e32 v0, 16, v0
	s_waitcnt lgkmcnt(0)
	s_add_u32 s1, s4, s6
	v_or3_b32 v2, v1, v2, v0
	s_addc_u32 s4, s5, s7
	s_lshl_b32 s2, s28, 6
	ds_read_b128 v[4:7], v2 offset:256
	s_lshl_b64 s[2:3], s[2:3], 1
	ds_read_b128 v[8:11], v2 offset:128
	ds_read_b128 v[12:15], v2
	s_add_u32 s2, s1, s2
	s_addc_u32 s3, s4, s3
	v_add_u32_e32 v3, s42, v54
	v_lshl_add_u64 v[0:1], v[42:43], 1, s[2:3]
	v_mad_u64_u32 v[16:17], s[2:3], v3, s0, 0
	v_lshl_add_u64 v[16:17], v[16:17], 1, v[0:1]
	s_waitcnt lgkmcnt(0)
	global_store_dwordx4 v[16:17], v[12:15], off
	v_cmp_ne_u32_e32 vcc, 3, v54
	s_nop 0
	v_add_u32_e32 v12, 4, v3
	v_mad_u64_u32 v[12:13], s[2:3], v12, s0, 0
	v_lshl_add_u64 v[12:13], v[12:13], 1, v[0:1]
	v_add_u32_e32 v3, 8, v3
	global_store_dwordx4 v[12:13], v[8:11], off
	s_nop 1
	v_mad_u64_u32 v[8:9], s[2:3], v3, s0, 0
	v_lshl_add_u64 v[8:9], v[8:9], 1, v[0:1]
	global_store_dwordx4 v[8:9], v[4:7], off
	s_and_b64 exec, exec, vcc
	s_cbranch_execz .LBB510_22
; %bb.21:
	ds_read_b128 v[2:5], v2 offset:384
	v_add3_u32 v6, s42, v54, 12
	v_mad_u64_u32 v[6:7], s[0:1], v6, s0, 0
	v_lshl_add_u64 v[0:1], v[6:7], 1, v[0:1]
	s_waitcnt lgkmcnt(0)
	global_store_dwordx4 v[0:1], v[2:5], off
.LBB510_22:
	s_endpgm
	.section	.rodata,"a",@progbits
	.p2align	6, 0x0
	.amdhsa_kernel _Z39paged_attention_ll4mi_QKV_mfma16_kernelI14__hip_bfloat16S0_LN4vllm18Fp8KVCacheDataTypeE0EhLi32ELi64ELi256ELb1ELi15EEvPKT_PKT0_S8_ifPKiSA_SA_iPKfiiiPfSD_PS3_PT2_iSC_SC_
		.amdhsa_group_segment_fixed_size 8192
		.amdhsa_private_segment_fixed_size 0
		.amdhsa_kernarg_size 400
		.amdhsa_user_sgpr_count 2
		.amdhsa_user_sgpr_dispatch_ptr 0
		.amdhsa_user_sgpr_queue_ptr 0
		.amdhsa_user_sgpr_kernarg_segment_ptr 1
		.amdhsa_user_sgpr_dispatch_id 0
		.amdhsa_user_sgpr_kernarg_preload_length 0
		.amdhsa_user_sgpr_kernarg_preload_offset 0
		.amdhsa_user_sgpr_private_segment_size 0
		.amdhsa_uses_dynamic_stack 0
		.amdhsa_enable_private_segment 0
		.amdhsa_system_sgpr_workgroup_id_x 1
		.amdhsa_system_sgpr_workgroup_id_y 1
		.amdhsa_system_sgpr_workgroup_id_z 1
		.amdhsa_system_sgpr_workgroup_info 0
		.amdhsa_system_vgpr_workitem_id 0
		.amdhsa_next_free_vgpr 73
		.amdhsa_next_free_sgpr 48
		.amdhsa_accum_offset 76
		.amdhsa_reserve_vcc 1
		.amdhsa_float_round_mode_32 0
		.amdhsa_float_round_mode_16_64 0
		.amdhsa_float_denorm_mode_32 3
		.amdhsa_float_denorm_mode_16_64 3
		.amdhsa_dx10_clamp 1
		.amdhsa_ieee_mode 1
		.amdhsa_fp16_overflow 0
		.amdhsa_tg_split 0
		.amdhsa_exception_fp_ieee_invalid_op 0
		.amdhsa_exception_fp_denorm_src 0
		.amdhsa_exception_fp_ieee_div_zero 0
		.amdhsa_exception_fp_ieee_overflow 0
		.amdhsa_exception_fp_ieee_underflow 0
		.amdhsa_exception_fp_ieee_inexact 0
		.amdhsa_exception_int_div_zero 0
	.end_amdhsa_kernel
	.section	.text._Z39paged_attention_ll4mi_QKV_mfma16_kernelI14__hip_bfloat16S0_LN4vllm18Fp8KVCacheDataTypeE0EhLi32ELi64ELi256ELb1ELi15EEvPKT_PKT0_S8_ifPKiSA_SA_iPKfiiiPfSD_PS3_PT2_iSC_SC_,"axG",@progbits,_Z39paged_attention_ll4mi_QKV_mfma16_kernelI14__hip_bfloat16S0_LN4vllm18Fp8KVCacheDataTypeE0EhLi32ELi64ELi256ELb1ELi15EEvPKT_PKT0_S8_ifPKiSA_SA_iPKfiiiPfSD_PS3_PT2_iSC_SC_,comdat
.Lfunc_end510:
	.size	_Z39paged_attention_ll4mi_QKV_mfma16_kernelI14__hip_bfloat16S0_LN4vllm18Fp8KVCacheDataTypeE0EhLi32ELi64ELi256ELb1ELi15EEvPKT_PKT0_S8_ifPKiSA_SA_iPKfiiiPfSD_PS3_PT2_iSC_SC_, .Lfunc_end510-_Z39paged_attention_ll4mi_QKV_mfma16_kernelI14__hip_bfloat16S0_LN4vllm18Fp8KVCacheDataTypeE0EhLi32ELi64ELi256ELb1ELi15EEvPKT_PKT0_S8_ifPKiSA_SA_iPKfiiiPfSD_PS3_PT2_iSC_SC_
                                        ; -- End function
	.section	.AMDGPU.csdata,"",@progbits
; Kernel info:
; codeLenInByte = 4472
; NumSgprs: 54
; NumVgprs: 73
; NumAgprs: 0
; TotalNumVgprs: 73
; ScratchSize: 0
; MemoryBound: 0
; FloatMode: 240
; IeeeMode: 1
; LDSByteSize: 8192 bytes/workgroup (compile time only)
; SGPRBlocks: 6
; VGPRBlocks: 9
; NumSGPRsForWavesPerEU: 54
; NumVGPRsForWavesPerEU: 73
; AccumOffset: 76
; Occupancy: 6
; WaveLimiterHint : 1
; COMPUTE_PGM_RSRC2:SCRATCH_EN: 0
; COMPUTE_PGM_RSRC2:USER_SGPR: 2
; COMPUTE_PGM_RSRC2:TRAP_HANDLER: 0
; COMPUTE_PGM_RSRC2:TGID_X_EN: 1
; COMPUTE_PGM_RSRC2:TGID_Y_EN: 1
; COMPUTE_PGM_RSRC2:TGID_Z_EN: 1
; COMPUTE_PGM_RSRC2:TIDIG_COMP_CNT: 0
; COMPUTE_PGM_RSRC3_GFX90A:ACCUM_OFFSET: 18
; COMPUTE_PGM_RSRC3_GFX90A:TG_SPLIT: 0
	.section	.text._Z39paged_attention_ll4mi_QKV_mfma16_kernelI14__hip_bfloat16S0_LN4vllm18Fp8KVCacheDataTypeE0EhLi32ELi64ELi256ELb1ELi16EEvPKT_PKT0_S8_ifPKiSA_SA_iPKfiiiPfSD_PS3_PT2_iSC_SC_,"axG",@progbits,_Z39paged_attention_ll4mi_QKV_mfma16_kernelI14__hip_bfloat16S0_LN4vllm18Fp8KVCacheDataTypeE0EhLi32ELi64ELi256ELb1ELi16EEvPKT_PKT0_S8_ifPKiSA_SA_iPKfiiiPfSD_PS3_PT2_iSC_SC_,comdat
	.protected	_Z39paged_attention_ll4mi_QKV_mfma16_kernelI14__hip_bfloat16S0_LN4vllm18Fp8KVCacheDataTypeE0EhLi32ELi64ELi256ELb1ELi16EEvPKT_PKT0_S8_ifPKiSA_SA_iPKfiiiPfSD_PS3_PT2_iSC_SC_ ; -- Begin function _Z39paged_attention_ll4mi_QKV_mfma16_kernelI14__hip_bfloat16S0_LN4vllm18Fp8KVCacheDataTypeE0EhLi32ELi64ELi256ELb1ELi16EEvPKT_PKT0_S8_ifPKiSA_SA_iPKfiiiPfSD_PS3_PT2_iSC_SC_
	.globl	_Z39paged_attention_ll4mi_QKV_mfma16_kernelI14__hip_bfloat16S0_LN4vllm18Fp8KVCacheDataTypeE0EhLi32ELi64ELi256ELb1ELi16EEvPKT_PKT0_S8_ifPKiSA_SA_iPKfiiiPfSD_PS3_PT2_iSC_SC_
	.p2align	8
	.type	_Z39paged_attention_ll4mi_QKV_mfma16_kernelI14__hip_bfloat16S0_LN4vllm18Fp8KVCacheDataTypeE0EhLi32ELi64ELi256ELb1ELi16EEvPKT_PKT0_S8_ifPKiSA_SA_iPKfiiiPfSD_PS3_PT2_iSC_SC_,@function
_Z39paged_attention_ll4mi_QKV_mfma16_kernelI14__hip_bfloat16S0_LN4vllm18Fp8KVCacheDataTypeE0EhLi32ELi64ELi256ELb1ELi16EEvPKT_PKT0_S8_ifPKiSA_SA_iPKfiiiPfSD_PS3_PT2_iSC_SC_: ; @_Z39paged_attention_ll4mi_QKV_mfma16_kernelI14__hip_bfloat16S0_LN4vllm18Fp8KVCacheDataTypeE0EhLi32ELi64ELi256ELb1ELi16EEvPKT_PKT0_S8_ifPKiSA_SA_iPKfiiiPfSD_PS3_PT2_iSC_SC_
; %bb.0:
	s_load_dwordx2 s[6:7], s[0:1], 0x30
	s_mov_b32 s28, s3
	s_mov_b64 s[10:11], 0
	s_waitcnt lgkmcnt(0)
	s_cmp_lg_u64 s[6:7], 0
	s_cselect_b64 s[8:9], -1, 0
	s_and_b64 vcc, exec, s[8:9]
	s_cbranch_vccz .LBB511_7
; %bb.1:
	s_add_i32 s12, s2, 1
	s_mov_b32 s13, 0
	s_lshl_b64 s[14:15], s[12:13], 2
	s_add_u32 s14, s6, s14
	s_mov_b32 s3, s13
	s_addc_u32 s15, s7, s15
	s_lshl_b64 s[12:13], s[2:3], 2
	s_add_u32 s12, s6, s12
	s_addc_u32 s13, s7, s13
	s_load_dword s5, s[14:15], 0x0
	s_load_dword s16, s[12:13], 0x0
	s_waitcnt lgkmcnt(0)
	s_sub_i32 s5, s5, s16
	s_cmp_eq_u32 s5, 1
	s_cselect_b64 s[12:13], -1, 0
	s_andn2_b64 vcc, exec, s[10:11]
	s_cbranch_vccnz .LBB511_3
.LBB511_2:
	s_mov_b32 s3, 0
	s_mov_b64 s[12:13], -1
.LBB511_3:
	s_andn2_b64 vcc, exec, s[12:13]
	s_cbranch_vccnz .LBB511_19
; %bb.4:
	s_load_dwordx2 s[12:13], s[0:1], 0x28
	s_lshl_b64 s[10:11], s[2:3], 2
	s_waitcnt lgkmcnt(0)
	s_add_u32 s12, s12, s10
	s_addc_u32 s13, s13, s11
	s_load_dword s40, s[12:13], 0x0
	s_lshl_b32 s16, s28, 8
	s_waitcnt lgkmcnt(0)
	s_cmp_ge_i32 s16, s40
	s_cbranch_scc1 .LBB511_19
; %bb.5:
	s_load_dwordx2 s[12:13], s[0:1], 0x20
	s_load_dword s5, s[0:1], 0x38
	s_add_i32 s14, s40, 31
	s_ashr_i32 s15, s14, 31
	v_and_b32_e32 v1, 0xcf, v0
	s_lshr_b32 s15, s15, 27
	v_add_u32_e32 v1, s16, v1
	s_add_i32 s14, s14, s15
	v_ashrrev_i32_e32 v2, 31, v1
	s_ashr_i32 s17, s14, 5
	v_lshrrev_b32_e32 v6, 27, v2
	s_add_i32 s17, s17, -1
	s_waitcnt lgkmcnt(0)
	s_mul_i32 s14, s2, s5
	s_mov_b32 s15, 0
	v_add_u32_e32 v2, v1, v6
	s_lshl_b64 s[14:15], s[14:15], 2
	v_ashrrev_i32_e32 v2, 5, v2
	v_mov_b32_e32 v7, s17
	v_cmp_gt_i32_e32 vcc, s40, v1
	s_add_u32 s12, s12, s14
	s_addc_u32 s13, s13, s15
	v_cndmask_b32_e32 v2, v7, v2, vcc
	v_ashrrev_i32_e32 v3, 31, v2
	v_lshl_add_u64 v[4:5], v[2:3], 2, s[12:13]
	v_or_b32_e32 v2, 16, v1
	v_add_u32_e32 v3, v2, v6
	v_ashrrev_i32_e32 v3, 5, v3
	v_cmp_gt_i32_e32 vcc, s40, v2
	s_nop 1
	v_cndmask_b32_e32 v2, v7, v3, vcc
	v_ashrrev_i32_e32 v3, 31, v2
	v_lshl_add_u64 v[8:9], v[2:3], 2, s[12:13]
	v_or_b32_e32 v2, 32, v1
	v_add_u32_e32 v3, v2, v6
	v_ashrrev_i32_e32 v3, 5, v3
	v_cmp_gt_i32_e32 vcc, s40, v2
	v_or_b32_e32 v1, 48, v1
	s_nop 0
	v_cndmask_b32_e32 v2, v7, v3, vcc
	v_ashrrev_i32_e32 v3, 31, v2
	v_lshl_add_u64 v[10:11], v[2:3], 2, s[12:13]
	v_add_u32_e32 v2, v1, v6
	v_ashrrev_i32_e32 v2, 5, v2
	v_cmp_gt_i32_e32 vcc, s40, v1
	s_nop 1
	v_cndmask_b32_e32 v2, v7, v2, vcc
	v_ashrrev_i32_e32 v3, 31, v2
	v_lshl_add_u64 v[12:13], v[2:3], 2, s[12:13]
	global_load_dword v2, v[4:5], off
	global_load_dword v7, v[8:9], off
	;; [unrolled: 1-line block ×4, first 2 shown]
	s_andn2_b64 vcc, exec, s[8:9]
	s_cbranch_vccnz .LBB511_8
; %bb.6:
	s_add_u32 s6, s6, s10
	s_addc_u32 s7, s7, s11
	s_load_dword s5, s[6:7], 0x0
	s_branch .LBB511_9
.LBB511_7:
	s_mov_b64 s[12:13], 0
	s_branch .LBB511_2
.LBB511_8:
	s_mov_b32 s5, s2
.LBB511_9:
	s_load_dwordx2 s[14:15], s[0:1], 0x40
	s_load_dwordx4 s[8:11], s[0:1], 0x8
	s_load_dwordx4 s[44:47], s[0:1], 0x48
	v_and_b32_e32 v55, 15, v0
	s_movk_i32 s6, 0xff
	v_cmp_lt_u32_e32 vcc, s6, v0
	v_cmp_lt_u32_e64 s[6:7], 7, v55
	v_lshlrev_b32_e32 v38, 3, v55
	v_cmp_gt_u32_e64 s[30:31], 8, v55
	s_or_b64 s[6:7], vcc, s[6:7]
	s_and_saveexec_b64 s[18:19], s[6:7]
	s_xor_b64 s[6:7], exec, s[18:19]
; %bb.10:
	v_mov_b32_e32 v39, 0
; %bb.11:
	s_or_saveexec_b64 s[6:7], s[6:7]
	v_lshrrev_b32_e32 v56, 6, v0
	v_and_b32_e32 v57, 63, v0
	s_lshl_b32 s29, s4, 4
	v_bfe_u32 v1, v0, 4, 2
	s_xor_b64 exec, exec, s[6:7]
	s_cbranch_execz .LBB511_13
; %bb.12:
	s_load_dwordx2 s[18:19], s[0:1], 0x0
	s_waitcnt lgkmcnt(0)
	s_ashr_i32 s20, s44, 31
	s_mul_hi_u32 s21, s5, s44
	s_mul_i32 s20, s5, s20
	s_add_i32 s21, s21, s20
	s_mul_i32 s20, s5, s44
	v_lshl_or_b32 v3, v56, 2, v1
	s_lshl_b64 s[20:21], s[20:21], 1
	s_add_u32 s18, s18, s20
	v_add_lshl_u32 v4, v3, s29, 6
	s_addc_u32 s19, s19, s21
	v_ashrrev_i32_e32 v5, 31, v4
	v_mov_b32_e32 v39, 0
	v_lshl_add_u64 v[4:5], v[4:5], 1, s[18:19]
	v_lshlrev_b32_e32 v8, 1, v38
	v_mov_b32_e32 v9, v39
	v_lshl_add_u64 v[4:5], v[4:5], 0, v[8:9]
	global_load_dwordx4 v[8:11], v[4:5], off
	v_and_b32_e32 v4, 3, v0
	v_lshlrev_b32_e32 v5, 9, v55
	v_lshlrev_b32_e32 v3, 5, v3
	;; [unrolled: 1-line block ×3, first 2 shown]
	v_and_b32_e32 v5, 0x1800, v5
	v_or3_b32 v3, v5, v4, v3
	s_waitcnt vmcnt(0)
	ds_write_b128 v3, v[8:11]
.LBB511_13:
	s_or_b64 exec, exec, s[6:7]
	s_waitcnt lgkmcnt(0)
	s_mul_i32 s4, s4, s46
	s_mov_b32 s5, 0
	s_lshl_b64 s[4:5], s[4:5], 1
	s_add_u32 s8, s8, s4
	s_addc_u32 s9, s9, s5
	s_waitcnt vmcnt(3)
	v_mad_i64_i32 v[2:3], s[18:19], v2, s45, 0
	v_lshl_add_u64 v[2:3], v[2:3], 1, s[8:9]
	v_lshlrev_b64 v[8:9], 1, v[38:39]
	v_lshlrev_b32_e32 v42, 9, v1
	v_lshl_add_u64 v[2:3], v[2:3], 0, v[8:9]
	v_mov_b32_e32 v43, 0
	v_lshl_add_u64 v[16:17], v[2:3], 0, v[42:43]
	s_load_dword s33, s[0:1], 0x98
	s_load_dword s6, s[0:1], 0x1c
	s_waitcnt lgkmcnt(0)
	s_barrier
	global_load_dwordx4 v[2:5], v[16:17], off
	s_waitcnt vmcnt(3)
	v_mad_i64_i32 v[10:11], s[18:19], v7, s45, 0
	v_mov_b32_e32 v12, 0x100
	v_lshl_or_b32 v34, v55, 4, v12
	v_mov_b32_e32 v35, v43
	v_lshl_add_u64 v[10:11], v[10:11], 1, s[8:9]
	v_lshl_add_u64 v[10:11], v[10:11], 0, v[34:35]
	;; [unrolled: 1-line block ×3, first 2 shown]
	global_load_dwordx4 v[10:13], v[22:23], off
	s_waitcnt vmcnt(3)
	v_mad_i64_i32 v[6:7], s[18:19], v6, s45, 0
	v_lshl_add_u64 v[6:7], v[6:7], 1, s[8:9]
	v_lshl_add_u64 v[6:7], v[6:7], 0, v[8:9]
	;; [unrolled: 1-line block ×3, first 2 shown]
	global_load_dwordx4 v[18:21], v[24:25], off
	global_load_dwordx4 v[6:9], v[16:17], off offset:2048
	s_waitcnt vmcnt(4)
	v_mad_i64_i32 v[36:37], s[18:19], v14, s45, 0
	global_load_dwordx4 v[14:17], v[22:23], off offset:2048
	global_load_dwordx4 v[30:33], v[24:25], off offset:2048
	s_ashr_i32 s7, s16, 31
	v_and_or_b32 v52, v0, 48, s16
	v_lshl_add_u64 v[36:37], v[36:37], 1, s[8:9]
	s_lshr_b32 s7, s7, 27
	v_lshl_add_u64 v[34:35], v[36:37], 0, v[34:35]
	v_add_u32_e32 v36, s7, v52
	v_mov_b32_e32 v53, s17
	v_lshl_add_u64 v[40:41], v[34:35], 0, v[42:43]
	v_ashrrev_i32_e32 v34, 5, v36
	v_cmp_gt_i32_e32 vcc, s40, v52
	v_lshl_or_b32 v54, v55, 5, v42
	ds_read_b128 v[26:29], v54
	ds_read_b128 v[22:25], v54 offset:2048
	v_cndmask_b32_e32 v34, v53, v34, vcc
	v_ashrrev_i32_e32 v35, 31, v34
	v_lshl_add_u64 v[34:35], v[34:35], 2, s[12:13]
	global_load_dword v66, v[34:35], off
	s_nop 0
	global_load_dwordx4 v[34:37], v[40:41], off
	global_load_dwordx4 v[58:61], v[40:41], off offset:2048
	v_or_b32_e32 v44, 64, v52
	v_add_u32_e32 v45, s7, v44
	v_ashrrev_i32_e32 v42, 5, v45
	v_cmp_gt_i32_e32 vcc, s40, v44
	v_or_b32_e32 v40, s29, v55
	v_ashrrev_i32_e32 v41, 31, v40
	v_cndmask_b32_e32 v44, v53, v42, vcc
	v_ashrrev_i32_e32 v45, 31, v44
	v_lshl_add_u64 v[44:45], v[44:45], 2, s[12:13]
	global_load_dword v67, v[44:45], off
	v_and_b32_e32 v42, 16, v0
	s_add_u32 s4, s10, s4
	s_addc_u32 s5, s11, s5
	v_lshlrev_b32_e32 v42, 1, v42
	s_mov_b32 s42, 0xff7fffff
	s_waitcnt vmcnt(7) lgkmcnt(1)
	v_mfma_f32_16x16x16_bf16 v[62:65], v[18:19], v[26:27], 0
	v_mfma_f32_16x16x16_bf16 v[44:47], v[2:3], v[26:27], 0
	v_lshl_add_u64 v[2:3], v[40:41], 2, s[14:15]
	global_load_dword v41, v[2:3], off
	v_mfma_f32_16x16x16_bf16 v[48:51], v[10:11], v[26:27], 0
	v_mfma_f32_16x16x16_bf16 v[2:5], v[4:5], v[28:29], v[44:47]
	s_nop 2
	v_or_b32_e32 v45, 0x80, v52
	v_mfma_f32_16x16x16_bf16 v[10:13], v[12:13], v[28:29], v[48:51]
	v_or_b32_e32 v46, 0xc0, v52
	v_add_u32_e32 v47, s7, v45
	v_ashrrev_i32_e32 v47, 5, v47
	v_mfma_f32_16x16x16_bf16 v[18:21], v[20:21], v[28:29], v[62:65]
	v_add_u32_e32 v48, s7, v46
	v_cmp_gt_i32_e32 vcc, s40, v45
	v_ashrrev_i32_e32 v48, 5, v48
	s_waitcnt vmcnt(7) lgkmcnt(0)
	v_mfma_f32_16x16x16_bf16 v[2:5], v[6:7], v[22:23], v[2:5]
	v_cndmask_b32_e32 v6, v53, v47, vcc
	v_cmp_gt_i32_e32 vcc, s40, v46
	v_ashrrev_i32_e32 v7, 31, v6
	s_waitcnt vmcnt(6)
	v_mfma_f32_16x16x16_bf16 v[10:13], v[14:15], v[22:23], v[10:13]
	v_cndmask_b32_e32 v14, v53, v48, vcc
	v_lshlrev_b32_e32 v44, 6, v55
	v_ashrrev_i32_e32 v15, 31, v14
	s_waitcnt vmcnt(5)
	v_mfma_f32_16x16x16_bf16 v[18:21], v[30:31], v[22:23], v[18:21]
	v_lshl_add_u64 v[6:7], v[6:7], 2, s[12:13]
	v_lshl_add_u64 v[48:49], s[4:5], 0, v[42:43]
	v_lshl_or_b32 v42, v56, 10, v44
	v_mfma_f32_16x16x16_bf16 v[44:47], v[8:9], v[24:25], v[2:5]
	s_nop 2
	v_lshl_add_u64 v[2:3], v[14:15], 2, s[12:13]
	global_load_dword v52, v[6:7], off
	global_load_dword v53, v[2:3], off
	v_mfma_f32_16x16x16_bf16 v[62:65], v[16:17], v[24:25], v[10:13]
	v_pk_mul_f32 v[50:51], s[6:7], v[46:47] op_sel_hi:[0,1]
	s_waitcnt vmcnt(6)
	v_mad_i64_i32 v[2:3], s[4:5], v66, s45, 0
	v_mfma_f32_16x16x16_bf16 v[16:19], v[32:33], v[24:25], v[18:21]
	v_lshl_add_u64 v[10:11], v[48:49], 0, v[42:43]
	s_waitcnt vmcnt(3)
	v_mad_i64_i32 v[12:13], s[4:5], v67, s45, 0
	v_mfma_f32_16x16x16_bf16 v[30:33], v[34:35], v[26:27], 0
	v_lshl_add_u64 v[14:15], v[12:13], 1, v[10:11]
	v_pk_mul_f32 v[12:13], s[6:7], v[44:45] op_sel_hi:[0,1]
	s_nop 0
	v_pk_mul_f32 v[42:43], s[6:7], v[18:19] op_sel_hi:[0,1]
	v_mfma_f32_16x16x16_bf16 v[26:29], v[36:37], v[28:29], v[30:33]
	v_pk_mul_f32 v[44:45], s[6:7], v[16:17] op_sel_hi:[0,1]
	v_pk_mul_f32 v[46:47], s[6:7], v[64:65] op_sel_hi:[0,1]
	;; [unrolled: 1-line block ×3, first 2 shown]
	v_mfma_f32_16x16x16_bf16 v[20:23], v[58:59], v[22:23], v[26:29]
	v_lshl_add_u64 v[2:3], v[2:3], 1, v[10:11]
	global_load_dwordx4 v[6:9], v[2:3], off
	s_nop 0
	global_load_dwordx4 v[2:5], v[2:3], off offset:16
	s_nop 0
	global_load_dwordx4 v[30:33], v[14:15], off
	global_load_dwordx4 v[26:29], v[14:15], off offset:16
	v_mfma_f32_16x16x16_bf16 v[16:19], v[60:61], v[24:25], v[20:23]
	s_nop 6
	v_pk_mul_f32 v[36:37], s[6:7], v[16:17] op_sel_hi:[0,1]
	v_and_b32_e32 v16, 0xc0, v0
	v_add_u32_e32 v16, s16, v16
	v_lshl_or_b32 v16, v1, 2, v16
	v_or_b32_e32 v17, 1, v16
	v_pk_mul_f32 v[34:35], s[6:7], v[18:19] op_sel_hi:[0,1]
	v_subrev_u32_e32 v18, s40, v17
	v_add_u32_e32 v20, 1, v18
	v_add_u32_e32 v21, 2, v18
	v_cvt_f32_i32_e32 v19, v18
	v_cvt_f32_i32_e32 v20, v20
	;; [unrolled: 1-line block ×3, first 2 shown]
	v_add_u32_e32 v22, 3, v18
	v_cvt_f32_i32_e32 v22, v22
	v_cmp_gt_i32_e64 s[4:5], s40, v16
	s_waitcnt vmcnt(6)
	v_fma_f32 v12, v41, v19, v12
	v_fmac_f32_e32 v13, v41, v20
	v_fma_f32 v50, v41, v21, v50
	v_add_u32_e32 v19, 16, v18
	v_add_u32_e32 v20, 17, v18
	;; [unrolled: 1-line block ×3, first 2 shown]
	v_cvt_f32_i32_e32 v19, v19
	v_cvt_f32_i32_e32 v20, v20
	;; [unrolled: 1-line block ×3, first 2 shown]
	v_fmac_f32_e32 v51, v41, v22
	v_add_u32_e32 v22, 19, v18
	v_fma_f32 v48, v41, v19, v48
	v_fmac_f32_e32 v49, v41, v20
	v_fma_f32 v46, v41, v21, v46
	v_add_u32_e32 v19, 32, v18
	v_add_u32_e32 v20, 33, v18
	;; [unrolled: 1-line block ×3, first 2 shown]
	v_cvt_f32_i32_e32 v22, v22
	v_cvt_f32_i32_e32 v19, v19
	v_cvt_f32_i32_e32 v20, v20
	v_cvt_f32_i32_e32 v21, v21
	v_fmac_f32_e32 v47, v41, v22
	v_add_u32_e32 v22, 35, v18
	v_fma_f32 v44, v41, v19, v44
	v_fmac_f32_e32 v45, v41, v20
	v_fma_f32 v42, v41, v21, v42
	v_add_u32_e32 v19, 48, v18
	v_add_u32_e32 v20, 49, v18
	;; [unrolled: 1-line block ×4, first 2 shown]
	v_cvt_f32_i32_e32 v18, v18
	v_cvt_f32_i32_e32 v19, v19
	;; [unrolled: 1-line block ×3, first 2 shown]
	v_cmp_gt_i32_e64 s[34:35], s40, v17
	v_fmac_f32_e32 v35, v41, v18
	v_mov_b32_e32 v18, 0xff7fffff
	v_fma_f32 v36, v41, v19, v36
	v_cndmask_b32_e64 v19, v18, v12, s[4:5]
	v_cndmask_b32_e64 v17, v18, v13, s[34:35]
	v_fmac_f32_e32 v37, v41, v20
	v_max3_f32 v17, v19, s42, v17
	v_or_b32_e32 v19, 2, v16
	v_or_b32_e32 v20, 3, v16
	v_cmp_gt_i32_e64 s[36:37], s40, v19
	v_cmp_gt_i32_e64 s[38:39], s40, v20
	v_cvt_f32_i32_e32 v22, v22
	v_cndmask_b32_e64 v19, v18, v50, s[36:37]
	v_cndmask_b32_e64 v20, v18, v51, s[38:39]
	v_max3_f32 v17, v17, v19, v20
	v_or_b32_e32 v19, 16, v16
	v_or_b32_e32 v20, 17, v16
	v_cmp_gt_i32_e64 s[24:25], s40, v19
	v_cmp_gt_i32_e64 s[26:27], s40, v20
	v_fmac_f32_e32 v43, v41, v22
	v_cndmask_b32_e64 v19, v18, v48, s[24:25]
	v_cndmask_b32_e64 v20, v18, v49, s[26:27]
	v_max3_f32 v17, v17, v19, v20
	v_or_b32_e32 v19, 18, v16
	v_or_b32_e32 v20, 19, v16
	v_cmp_gt_i32_e64 s[20:21], s40, v19
	v_cmp_gt_i32_e64 s[22:23], s40, v20
	v_cvt_f32_i32_e32 v21, v21
	v_cndmask_b32_e64 v19, v18, v46, s[20:21]
	v_cndmask_b32_e64 v20, v18, v47, s[22:23]
	v_max3_f32 v17, v17, v19, v20
	v_or_b32_e32 v19, 32, v16
	v_or_b32_e32 v20, 33, v16
	v_cmp_gt_i32_e64 s[16:17], s40, v19
	v_cmp_gt_i32_e64 s[18:19], s40, v20
	v_fma_f32 v34, v41, v21, v34
	v_cndmask_b32_e64 v19, v18, v44, s[16:17]
	v_cndmask_b32_e64 v20, v18, v45, s[18:19]
	v_max3_f32 v17, v17, v19, v20
	v_or_b32_e32 v19, 34, v16
	v_or_b32_e32 v20, 35, v16
	v_cmp_gt_i32_e64 s[12:13], s40, v19
	v_cmp_gt_i32_e64 s[14:15], s40, v20
	s_nop 0
	v_cndmask_b32_e64 v19, v18, v42, s[12:13]
	v_cndmask_b32_e64 v20, v18, v43, s[14:15]
	v_max3_f32 v17, v17, v19, v20
	v_or_b32_e32 v19, 48, v16
	v_or_b32_e32 v20, 49, v16
	v_cmp_gt_i32_e64 s[8:9], s40, v19
	v_cmp_gt_i32_e64 s[10:11], s40, v20
	s_nop 0
	v_cndmask_b32_e64 v19, v18, v36, s[8:9]
	v_cndmask_b32_e64 v20, v18, v37, s[10:11]
	v_max3_f32 v17, v17, v19, v20
	v_or_b32_e32 v19, 50, v16
	v_or_b32_e32 v16, 51, v16
	v_cmp_gt_i32_e32 vcc, s40, v19
	v_cmp_gt_i32_e64 s[6:7], s40, v16
	s_nop 0
	v_cndmask_b32_e32 v19, v18, v34, vcc
	v_cndmask_b32_e64 v16, v18, v35, s[6:7]
	v_max3_f32 v16, v17, v19, v16
	v_mbcnt_lo_u32_b32 v17, -1, 0
	v_mbcnt_hi_u32_b32 v17, -1, v17
	v_and_b32_e32 v18, 64, v17
	v_add_u32_e32 v18, 64, v18
	v_xor_b32_e32 v19, 32, v17
	v_cmp_lt_i32_e64 s[40:41], v19, v18
	s_nop 1
	v_cndmask_b32_e64 v19, v17, v19, s[40:41]
	v_lshlrev_b32_e32 v58, 2, v19
	ds_bpermute_b32 v19, v58, v16
	s_waitcnt vmcnt(5)
	v_mad_i64_i32 v[14:15], s[40:41], v52, s45, 0
	v_lshl_add_u64 v[14:15], v[14:15], 1, v[10:11]
	s_waitcnt lgkmcnt(0)
	v_max_f32_e32 v19, v19, v19
	v_max_f32_e32 v16, v16, v19
	v_xor_b32_e32 v19, 16, v17
	v_cmp_lt_i32_e64 s[40:41], v19, v18
	s_nop 1
	v_cndmask_b32_e64 v17, v17, v19, s[40:41]
	v_lshlrev_b32_e32 v60, 2, v17
	ds_bpermute_b32 v17, v60, v16
	global_load_dwordx4 v[22:25], v[14:15], off
	global_load_dwordx4 v[18:21], v[14:15], off offset:16
	s_waitcnt vmcnt(6)
	v_mad_i64_i32 v[14:15], s[40:41], v53, s45, 0
	v_lshl_add_u64 v[10:11], v[14:15], 1, v[10:11]
	s_waitcnt lgkmcnt(0)
	v_max_f32_e32 v14, v17, v17
	v_max_f32_e32 v41, v16, v14
	v_sub_f32_e32 v12, v12, v41
	v_mul_f32_e32 v12, 0x3fb8aa3b, v12
	v_exp_f32_e32 v52, v12
	v_sub_f32_e32 v12, v13, v41
	v_mul_f32_e32 v12, 0x3fb8aa3b, v12
	v_exp_f32_e32 v53, v12
	global_load_dwordx4 v[14:17], v[10:11], off
	s_nop 0
	global_load_dwordx4 v[10:13], v[10:11], off offset:16
	v_sub_f32_e32 v50, v50, v41
	v_mul_f32_e32 v50, 0x3fb8aa3b, v50
	v_sub_f32_e32 v51, v51, v41
	v_exp_f32_e32 v50, v50
	v_mul_f32_e32 v51, 0x3fb8aa3b, v51
	v_sub_f32_e32 v48, v48, v41
	v_exp_f32_e32 v51, v51
	v_mul_f32_e32 v48, 0x3fb8aa3b, v48
	v_sub_f32_e32 v49, v49, v41
	v_cndmask_b32_e64 v52, 0, v52, s[4:5]
	v_exp_f32_e32 v48, v48
	v_mul_f32_e32 v49, 0x3fb8aa3b, v49
	v_sub_f32_e32 v46, v46, v41
	v_add_f32_e32 v59, 0, v52
	v_cndmask_b32_e64 v53, 0, v53, s[34:35]
	v_exp_f32_e32 v49, v49
	v_mul_f32_e32 v46, 0x3fb8aa3b, v46
	v_sub_f32_e32 v47, v47, v41
	v_add_f32_e32 v59, v59, v53
	;; [unrolled: 5-line block ×10, first 2 shown]
	v_cndmask_b32_e64 v42, 0, v42, s[12:13]
	v_exp_f32_e32 v34, v34
	v_mul_f32_e32 v35, 0x3fb8aa3b, v35
	v_add_f32_e32 v59, v59, v42
	v_cndmask_b32_e64 v43, 0, v43, s[14:15]
	v_exp_f32_e32 v35, v35
	v_add_f32_e32 v59, v59, v43
	v_cndmask_b32_e64 v36, 0, v36, s[8:9]
	v_add_f32_e32 v59, v59, v36
	v_cndmask_b32_e64 v37, 0, v37, s[10:11]
	v_add_f32_e32 v59, v59, v37
	v_cndmask_b32_e32 v34, 0, v34, vcc
	v_add_f32_e32 v59, v59, v34
	v_cndmask_b32_e64 v35, 0, v35, s[6:7]
	v_add_f32_e32 v59, v59, v35
	ds_bpermute_b32 v58, v58, v59
	v_cmp_gt_u32_e32 vcc, 16, v57
	s_waitcnt lgkmcnt(0)
	s_barrier
	v_add_f32_e32 v59, v59, v58
	ds_bpermute_b32 v60, v60, v59
	v_lshlrev_b32_e32 v58, 2, v55
	s_and_saveexec_b64 s[4:5], vcc
	s_cbranch_execz .LBB511_15
; %bb.14:
	s_waitcnt lgkmcnt(0)
	v_add_f32_e32 v57, v59, v60
	v_lshl_or_b32 v59, v56, 6, v58
	ds_write2st64_b32 v59, v41, v57 offset1:1
.LBB511_15:
	s_or_b64 exec, exec, s[4:5]
	s_load_dword s6, s[0:1], 0x94
	s_waitcnt lgkmcnt(0)
	s_barrier
	ds_read2_b32 v[60:61], v58 offset1:16
	ds_read2_b32 v[62:63], v58 offset0:32 offset1:48
	ds_read2_b32 v[64:65], v58 offset0:64 offset1:80
	s_movk_i32 s8, 0x7fff
	s_mov_b32 s9, 0x7060302
	s_waitcnt lgkmcnt(2)
	v_max3_f32 v41, v60, s42, v61
	s_waitcnt lgkmcnt(1)
	v_max3_f32 v57, v41, v62, v63
	v_sub_f32_e32 v41, v60, v57
	v_mul_f32_e32 v41, 0x3fb8aa3b, v41
	v_sub_f32_e32 v59, v61, v57
	v_sub_f32_e32 v60, v62, v57
	v_exp_f32_e32 v41, v41
	v_mul_f32_e32 v59, 0x3fb8aa3b, v59
	v_mul_f32_e32 v60, 0x3fb8aa3b, v60
	v_exp_f32_e32 v59, v59
	v_exp_f32_e32 v62, v60
	ds_read2_b32 v[60:61], v58 offset0:96 offset1:112
	v_sub_f32_e32 v58, v63, v57
	v_mul_f32_e32 v58, 0x3fb8aa3b, v58
	v_exp_f32_e32 v63, v58
	s_waitcnt lgkmcnt(1)
	v_fma_f32 v58, v41, v64, 0
	v_fmac_f32_e32 v58, v59, v65
	s_waitcnt lgkmcnt(0)
	v_fmac_f32_e32 v58, v62, v60
	v_fmac_f32_e32 v58, v63, v61
	v_add_f32_e32 v60, 0x358637bd, v58
	v_div_scale_f32 v61, s[4:5], v60, v60, 1.0
	v_rcp_f32_e32 v64, v61
	s_lshl_b32 s7, s33, 4
	s_barrier
	v_fma_f32 v65, -v61, v64, 1.0
	v_fmac_f32_e32 v64, v65, v64
	v_div_scale_f32 v65, vcc, 1.0, v60, 1.0
	v_mul_f32_e32 v66, v65, v64
	v_fma_f32 v67, -v61, v66, v65
	v_fmac_f32_e32 v66, v67, v64
	v_fma_f32 v61, -v61, v66, v65
	v_div_fmas_f32 v61, v61, v64, v66
	v_cmp_eq_u32_e32 vcc, 1, v56
	v_div_fixup_f32 v60, v61, v60, 1.0
	s_nop 0
	v_cndmask_b32_e32 v41, v41, v59, vcc
	v_cmp_eq_u32_e32 vcc, 2, v56
	s_nop 1
	v_cndmask_b32_e32 v41, v41, v62, vcc
	v_cmp_eq_u32_e32 vcc, 3, v56
	s_nop 1
	v_cndmask_b32_e32 v41, v41, v63, vcc
	v_mul_f32_e32 v60, v41, v60
	v_pk_mul_f32 v[52:53], v[60:61], v[52:53] op_sel_hi:[0,1]
	v_bfe_u32 v41, v53, 16, 1
	v_bfe_u32 v59, v52, 16, 1
	v_pk_mul_f32 v[50:51], v[60:61], v[50:51] op_sel_hi:[0,1]
	v_add3_u32 v52, v52, v59, s8
	v_add3_u32 v41, v53, v41, s8
	v_perm_b32 v52, v41, v52, s9
	v_bfe_u32 v41, v51, 16, 1
	v_bfe_u32 v53, v50, 16, 1
	v_add3_u32 v50, v50, v53, s8
	v_add3_u32 v41, v51, v41, s8
	v_perm_b32 v53, v41, v50, s9
	v_lshlrev_b32_e32 v41, 3, v1
	v_lshlrev_b32_e32 v50, 5, v55
	;; [unrolled: 1-line block ×3, first 2 shown]
	v_pk_mul_f32 v[48:49], v[60:61], v[48:49] op_sel_hi:[0,1]
	v_or3_b32 v50, v51, v50, v41
	v_bfe_u32 v41, v49, 16, 1
	v_bfe_u32 v51, v48, 16, 1
	v_pk_mul_f32 v[46:47], v[60:61], v[46:47] op_sel_hi:[0,1]
	v_add3_u32 v48, v48, v51, s8
	v_add3_u32 v41, v49, v41, s8
	v_perm_b32 v48, v41, v48, s9
	v_bfe_u32 v41, v47, 16, 1
	v_bfe_u32 v49, v46, 16, 1
	v_add3_u32 v46, v46, v49, s8
	v_add3_u32 v41, v47, v41, s8
	v_pk_mul_f32 v[44:45], v[60:61], v[44:45] op_sel_hi:[0,1]
	v_perm_b32 v49, v41, v46, s9
	v_bfe_u32 v41, v45, 16, 1
	v_bfe_u32 v46, v44, 16, 1
	v_pk_mul_f32 v[42:43], v[60:61], v[42:43] op_sel_hi:[0,1]
	v_add3_u32 v44, v44, v46, s8
	v_add3_u32 v41, v45, v41, s8
	v_perm_b32 v44, v41, v44, s9
	v_bfe_u32 v41, v43, 16, 1
	v_bfe_u32 v45, v42, 16, 1
	v_add3_u32 v42, v42, v45, s8
	v_add3_u32 v41, v43, v41, s8
	v_pk_mul_f32 v[36:37], v[60:61], v[36:37] op_sel_hi:[0,1]
	v_perm_b32 v45, v41, v42, s9
	v_bfe_u32 v41, v37, 16, 1
	v_bfe_u32 v42, v36, 16, 1
	v_pk_mul_f32 v[34:35], v[60:61], v[34:35] op_sel_hi:[0,1]
	v_add3_u32 v36, v36, v42, s8
	v_add3_u32 v37, v37, v41, s8
	v_perm_b32 v36, v37, v36, s9
	v_bfe_u32 v37, v35, 16, 1
	v_bfe_u32 v41, v34, 16, 1
	v_add3_u32 v34, v34, v41, s8
	v_add3_u32 v35, v35, v37, s8
	v_perm_b32 v37, v35, v34, s9
	v_cmp_gt_u32_e32 vcc, 16, v0
	ds_write2st64_b64 v50, v[52:53], v[48:49] offset1:1
	ds_write2st64_b64 v50, v[44:45], v[36:37] offset0:2 offset1:3
	s_and_saveexec_b64 s[4:5], vcc
	s_cbranch_execz .LBB511_17
; %bb.16:
	v_mov_b32_e32 v41, 0
	v_mov_b32_e32 v34, s7
	s_mul_i32 s3, s3, s7
	v_mad_u64_u32 v[34:35], s[10:11], s2, v34, v[40:41]
	v_mov_b32_e32 v40, s28
	s_load_dwordx4 s[12:15], s[0:1], 0x58
	v_add_u32_e32 v37, s3, v35
	v_mad_u64_u32 v[34:35], s[10:11], v34, s6, v[40:41]
	v_mov_b32_e32 v36, v35
	v_mad_u64_u32 v[36:37], s[10:11], v37, s6, v[36:37]
	v_mov_b32_e32 v35, v36
	v_lshlrev_b64 v[34:35], 2, v[34:35]
	s_waitcnt lgkmcnt(0)
	v_lshl_add_u64 v[36:37], s[14:15], 0, v[34:35]
	v_lshl_add_u64 v[34:35], s[12:13], 0, v[34:35]
	global_store_dword v[36:37], v57, off
	global_store_dword v[34:35], v58, off
.LBB511_17:
	s_or_b64 exec, exec, s[4:5]
	s_waitcnt lgkmcnt(0)
	s_barrier
	ds_read_b128 v[34:37], v54
	ds_read_b128 v[40:43], v54 offset:16
	s_waitcnt vmcnt(7) lgkmcnt(1)
	v_mfma_f32_16x16x16_bf16 v[44:47], v[6:7], v[34:35], 0
	v_cmp_gt_u32_e32 vcc, 64, v0
	s_mov_b32 s3, 0
	s_and_b64 s[4:5], vcc, s[30:31]
	v_mfma_f32_16x16x16_bf16 v[6:9], v[8:9], v[36:37], v[44:47]
	s_waitcnt vmcnt(6) lgkmcnt(0)
	v_mfma_f32_16x16x16_bf16 v[6:9], v[2:3], v[40:41], v[6:9]
	v_mfma_f32_16x16x16_bf16 v[2:5], v[4:5], v[42:43], v[6:9]
	s_nop 5
	ds_read_b128 v[6:9], v54 offset:2048
	ds_read_b128 v[34:37], v54 offset:2064
	s_waitcnt vmcnt(5) lgkmcnt(1)
	v_mfma_f32_16x16x16_bf16 v[2:5], v[30:31], v[6:7], v[2:5]
	v_mfma_f32_16x16x16_bf16 v[2:5], v[32:33], v[8:9], v[2:5]
	s_waitcnt vmcnt(4) lgkmcnt(0)
	v_mfma_f32_16x16x16_bf16 v[2:5], v[26:27], v[34:35], v[2:5]
	v_mfma_f32_16x16x16_bf16 v[2:5], v[28:29], v[36:37], v[2:5]
	ds_read_b128 v[6:9], v54 offset:4096
	ds_read_b128 v[26:29], v54 offset:4112
	s_waitcnt vmcnt(3) lgkmcnt(1)
	v_mfma_f32_16x16x16_bf16 v[2:5], v[22:23], v[6:7], v[2:5]
	v_mfma_f32_16x16x16_bf16 v[2:5], v[24:25], v[8:9], v[2:5]
	s_waitcnt vmcnt(2) lgkmcnt(0)
	v_mfma_f32_16x16x16_bf16 v[2:5], v[18:19], v[26:27], v[2:5]
	v_mfma_f32_16x16x16_bf16 v[2:5], v[20:21], v[28:29], v[2:5]
	ds_read_b128 v[6:9], v54 offset:6144
	ds_read_b128 v[18:21], v54 offset:6160
	s_waitcnt lgkmcnt(0)
	s_barrier
	s_waitcnt vmcnt(1)
	v_mfma_f32_16x16x16_bf16 v[2:5], v[14:15], v[6:7], v[2:5]
	v_mfma_f32_16x16x16_bf16 v[2:5], v[16:17], v[8:9], v[2:5]
	s_waitcnt vmcnt(0)
	v_mfma_f32_16x16x16_bf16 v[2:5], v[10:11], v[18:19], v[2:5]
	v_mfma_f32_16x16x16_bf16 v[2:5], v[12:13], v[20:21], v[2:5]
	s_nop 6
	v_bfe_u32 v6, v3, 16, 1
	v_bfe_u32 v7, v2, 16, 1
	;; [unrolled: 1-line block ×4, first 2 shown]
	v_add3_u32 v2, v2, v7, s8
	v_add3_u32 v3, v3, v6, s8
	;; [unrolled: 1-line block ×4, first 2 shown]
	v_perm_b32 v2, v3, v2, s9
	v_perm_b32 v3, v5, v4, s9
	ds_write_b64 v50, v[2:3]
	s_waitcnt lgkmcnt(0)
	s_barrier
	s_and_saveexec_b64 s[8:9], s[4:5]
	s_cbranch_execz .LBB511_19
; %bb.18:
	s_load_dwordx2 s[0:1], s[0:1], 0x68
	s_lshl_b32 s6, s6, 6
	s_mul_i32 s2, s7, s2
	s_mul_hi_u32 s5, s2, s6
	s_mul_i32 s4, s2, s6
	s_lshl_b64 s[4:5], s[4:5], 1
	s_waitcnt lgkmcnt(0)
	s_add_u32 s4, s0, s4
	s_addc_u32 s5, s1, s5
	s_lshl_b32 s2, s28, 6
	v_lshlrev_b32_e32 v2, 10, v0
	v_lshlrev_b32_e32 v0, 4, v0
	s_lshl_b64 s[0:1], s[2:3], 1
	v_and_b32_e32 v2, 0x1800, v2
	v_lshlrev_b32_e32 v3, 5, v1
	v_and_b32_e32 v0, 16, v0
	s_add_u32 s0, s4, s0
	v_or3_b32 v0, v2, v3, v0
	s_addc_u32 s1, s5, s1
	v_or_b32_e32 v20, s29, v1
	ds_read_b128 v[2:5], v0
	ds_read_b128 v[6:9], v0 offset:128
	ds_read_b128 v[10:13], v0 offset:256
	;; [unrolled: 1-line block ×3, first 2 shown]
	v_lshl_add_u64 v[18:19], v[38:39], 1, s[0:1]
	v_mad_u64_u32 v[0:1], s[0:1], v20, s6, 0
	v_lshl_add_u64 v[0:1], v[0:1], 1, v[18:19]
	s_waitcnt lgkmcnt(3)
	global_store_dwordx4 v[0:1], v[2:5], off
	v_or_b32_e32 v0, 4, v20
	v_mad_u64_u32 v[0:1], s[0:1], v0, s6, 0
	v_lshl_add_u64 v[0:1], v[0:1], 1, v[18:19]
	s_waitcnt lgkmcnt(2)
	global_store_dwordx4 v[0:1], v[6:9], off
	v_or_b32_e32 v0, 8, v20
	;; [unrolled: 5-line block ×3, first 2 shown]
	v_mad_u64_u32 v[0:1], s[0:1], v0, s6, 0
	v_lshl_add_u64 v[0:1], v[0:1], 1, v[18:19]
	s_waitcnt lgkmcnt(0)
	global_store_dwordx4 v[0:1], v[14:17], off
.LBB511_19:
	s_endpgm
	.section	.rodata,"a",@progbits
	.p2align	6, 0x0
	.amdhsa_kernel _Z39paged_attention_ll4mi_QKV_mfma16_kernelI14__hip_bfloat16S0_LN4vllm18Fp8KVCacheDataTypeE0EhLi32ELi64ELi256ELb1ELi16EEvPKT_PKT0_S8_ifPKiSA_SA_iPKfiiiPfSD_PS3_PT2_iSC_SC_
		.amdhsa_group_segment_fixed_size 8192
		.amdhsa_private_segment_fixed_size 0
		.amdhsa_kernarg_size 400
		.amdhsa_user_sgpr_count 2
		.amdhsa_user_sgpr_dispatch_ptr 0
		.amdhsa_user_sgpr_queue_ptr 0
		.amdhsa_user_sgpr_kernarg_segment_ptr 1
		.amdhsa_user_sgpr_dispatch_id 0
		.amdhsa_user_sgpr_kernarg_preload_length 0
		.amdhsa_user_sgpr_kernarg_preload_offset 0
		.amdhsa_user_sgpr_private_segment_size 0
		.amdhsa_uses_dynamic_stack 0
		.amdhsa_enable_private_segment 0
		.amdhsa_system_sgpr_workgroup_id_x 1
		.amdhsa_system_sgpr_workgroup_id_y 1
		.amdhsa_system_sgpr_workgroup_id_z 1
		.amdhsa_system_sgpr_workgroup_info 0
		.amdhsa_system_vgpr_workitem_id 0
		.amdhsa_next_free_vgpr 68
		.amdhsa_next_free_sgpr 48
		.amdhsa_accum_offset 68
		.amdhsa_reserve_vcc 1
		.amdhsa_float_round_mode_32 0
		.amdhsa_float_round_mode_16_64 0
		.amdhsa_float_denorm_mode_32 3
		.amdhsa_float_denorm_mode_16_64 3
		.amdhsa_dx10_clamp 1
		.amdhsa_ieee_mode 1
		.amdhsa_fp16_overflow 0
		.amdhsa_tg_split 0
		.amdhsa_exception_fp_ieee_invalid_op 0
		.amdhsa_exception_fp_denorm_src 0
		.amdhsa_exception_fp_ieee_div_zero 0
		.amdhsa_exception_fp_ieee_overflow 0
		.amdhsa_exception_fp_ieee_underflow 0
		.amdhsa_exception_fp_ieee_inexact 0
		.amdhsa_exception_int_div_zero 0
	.end_amdhsa_kernel
	.section	.text._Z39paged_attention_ll4mi_QKV_mfma16_kernelI14__hip_bfloat16S0_LN4vllm18Fp8KVCacheDataTypeE0EhLi32ELi64ELi256ELb1ELi16EEvPKT_PKT0_S8_ifPKiSA_SA_iPKfiiiPfSD_PS3_PT2_iSC_SC_,"axG",@progbits,_Z39paged_attention_ll4mi_QKV_mfma16_kernelI14__hip_bfloat16S0_LN4vllm18Fp8KVCacheDataTypeE0EhLi32ELi64ELi256ELb1ELi16EEvPKT_PKT0_S8_ifPKiSA_SA_iPKfiiiPfSD_PS3_PT2_iSC_SC_,comdat
.Lfunc_end511:
	.size	_Z39paged_attention_ll4mi_QKV_mfma16_kernelI14__hip_bfloat16S0_LN4vllm18Fp8KVCacheDataTypeE0EhLi32ELi64ELi256ELb1ELi16EEvPKT_PKT0_S8_ifPKiSA_SA_iPKfiiiPfSD_PS3_PT2_iSC_SC_, .Lfunc_end511-_Z39paged_attention_ll4mi_QKV_mfma16_kernelI14__hip_bfloat16S0_LN4vllm18Fp8KVCacheDataTypeE0EhLi32ELi64ELi256ELb1ELi16EEvPKT_PKT0_S8_ifPKiSA_SA_iPKfiiiPfSD_PS3_PT2_iSC_SC_
                                        ; -- End function
	.section	.AMDGPU.csdata,"",@progbits
; Kernel info:
; codeLenInByte = 4428
; NumSgprs: 54
; NumVgprs: 68
; NumAgprs: 0
; TotalNumVgprs: 68
; ScratchSize: 0
; MemoryBound: 0
; FloatMode: 240
; IeeeMode: 1
; LDSByteSize: 8192 bytes/workgroup (compile time only)
; SGPRBlocks: 6
; VGPRBlocks: 8
; NumSGPRsForWavesPerEU: 54
; NumVGPRsForWavesPerEU: 68
; AccumOffset: 68
; Occupancy: 7
; WaveLimiterHint : 1
; COMPUTE_PGM_RSRC2:SCRATCH_EN: 0
; COMPUTE_PGM_RSRC2:USER_SGPR: 2
; COMPUTE_PGM_RSRC2:TRAP_HANDLER: 0
; COMPUTE_PGM_RSRC2:TGID_X_EN: 1
; COMPUTE_PGM_RSRC2:TGID_Y_EN: 1
; COMPUTE_PGM_RSRC2:TGID_Z_EN: 1
; COMPUTE_PGM_RSRC2:TIDIG_COMP_CNT: 0
; COMPUTE_PGM_RSRC3_GFX90A:ACCUM_OFFSET: 16
; COMPUTE_PGM_RSRC3_GFX90A:TG_SPLIT: 0
	.section	.text._Z39paged_attention_ll4mi_QKV_mfma16_kernelI14__hip_bfloat16S0_LN4vllm18Fp8KVCacheDataTypeE0EhLi32ELi64ELi256ELb1ELi1EEvPKT_PKT0_S8_ifPKiSA_SA_iPKfiiiPfSD_PS3_PT2_iSC_SC_,"axG",@progbits,_Z39paged_attention_ll4mi_QKV_mfma16_kernelI14__hip_bfloat16S0_LN4vllm18Fp8KVCacheDataTypeE0EhLi32ELi64ELi256ELb1ELi1EEvPKT_PKT0_S8_ifPKiSA_SA_iPKfiiiPfSD_PS3_PT2_iSC_SC_,comdat
	.protected	_Z39paged_attention_ll4mi_QKV_mfma16_kernelI14__hip_bfloat16S0_LN4vllm18Fp8KVCacheDataTypeE0EhLi32ELi64ELi256ELb1ELi1EEvPKT_PKT0_S8_ifPKiSA_SA_iPKfiiiPfSD_PS3_PT2_iSC_SC_ ; -- Begin function _Z39paged_attention_ll4mi_QKV_mfma16_kernelI14__hip_bfloat16S0_LN4vllm18Fp8KVCacheDataTypeE0EhLi32ELi64ELi256ELb1ELi1EEvPKT_PKT0_S8_ifPKiSA_SA_iPKfiiiPfSD_PS3_PT2_iSC_SC_
	.globl	_Z39paged_attention_ll4mi_QKV_mfma16_kernelI14__hip_bfloat16S0_LN4vllm18Fp8KVCacheDataTypeE0EhLi32ELi64ELi256ELb1ELi1EEvPKT_PKT0_S8_ifPKiSA_SA_iPKfiiiPfSD_PS3_PT2_iSC_SC_
	.p2align	8
	.type	_Z39paged_attention_ll4mi_QKV_mfma16_kernelI14__hip_bfloat16S0_LN4vllm18Fp8KVCacheDataTypeE0EhLi32ELi64ELi256ELb1ELi1EEvPKT_PKT0_S8_ifPKiSA_SA_iPKfiiiPfSD_PS3_PT2_iSC_SC_,@function
_Z39paged_attention_ll4mi_QKV_mfma16_kernelI14__hip_bfloat16S0_LN4vllm18Fp8KVCacheDataTypeE0EhLi32ELi64ELi256ELb1ELi1EEvPKT_PKT0_S8_ifPKiSA_SA_iPKfiiiPfSD_PS3_PT2_iSC_SC_: ; @_Z39paged_attention_ll4mi_QKV_mfma16_kernelI14__hip_bfloat16S0_LN4vllm18Fp8KVCacheDataTypeE0EhLi32ELi64ELi256ELb1ELi1EEvPKT_PKT0_S8_ifPKiSA_SA_iPKfiiiPfSD_PS3_PT2_iSC_SC_
; %bb.0:
	s_load_dwordx2 s[6:7], s[0:1], 0x30
	s_mov_b32 s30, s3
	s_mov_b64 s[10:11], 0
	s_waitcnt lgkmcnt(0)
	s_cmp_lg_u64 s[6:7], 0
	s_cselect_b64 s[8:9], -1, 0
	s_and_b64 vcc, exec, s[8:9]
	s_cbranch_vccz .LBB512_7
; %bb.1:
	s_add_i32 s12, s2, 1
	s_mov_b32 s13, 0
	s_lshl_b64 s[14:15], s[12:13], 2
	s_add_u32 s14, s6, s14
	s_mov_b32 s3, s13
	s_addc_u32 s15, s7, s15
	s_lshl_b64 s[12:13], s[2:3], 2
	s_add_u32 s12, s6, s12
	s_addc_u32 s13, s7, s13
	s_load_dword s5, s[14:15], 0x0
	s_load_dword s16, s[12:13], 0x0
	s_waitcnt lgkmcnt(0)
	s_sub_i32 s5, s5, s16
	s_cmp_eq_u32 s5, 1
	s_cselect_b64 s[12:13], -1, 0
	s_andn2_b64 vcc, exec, s[10:11]
	s_cbranch_vccnz .LBB512_3
.LBB512_2:
	s_mov_b32 s3, 0
	s_mov_b64 s[12:13], -1
.LBB512_3:
	s_andn2_b64 vcc, exec, s[12:13]
	s_cbranch_vccnz .LBB512_21
; %bb.4:
	s_load_dwordx2 s[10:11], s[0:1], 0x28
	s_lshl_b64 s[12:13], s[2:3], 2
	s_waitcnt lgkmcnt(0)
	s_add_u32 s10, s10, s12
	s_addc_u32 s11, s11, s13
	s_load_dword s31, s[10:11], 0x0
	s_lshl_b32 s16, s30, 8
	s_waitcnt lgkmcnt(0)
	s_cmp_ge_i32 s16, s31
	s_cbranch_scc1 .LBB512_21
; %bb.5:
	s_load_dwordx2 s[10:11], s[0:1], 0x20
	s_load_dword s5, s[0:1], 0x38
	s_add_i32 s14, s31, 31
	s_ashr_i32 s15, s14, 31
	v_and_b32_e32 v1, 0xcf, v0
	s_lshr_b32 s15, s15, 27
	v_add_u32_e32 v1, s16, v1
	s_add_i32 s14, s14, s15
	v_ashrrev_i32_e32 v2, 31, v1
	s_ashr_i32 s17, s14, 5
	v_lshrrev_b32_e32 v6, 27, v2
	s_add_i32 s17, s17, -1
	s_waitcnt lgkmcnt(0)
	s_mul_i32 s14, s2, s5
	s_mov_b32 s15, 0
	v_add_u32_e32 v2, v1, v6
	s_lshl_b64 s[14:15], s[14:15], 2
	v_ashrrev_i32_e32 v2, 5, v2
	v_mov_b32_e32 v7, s17
	v_cmp_gt_i32_e32 vcc, s31, v1
	s_add_u32 s10, s10, s14
	s_addc_u32 s11, s11, s15
	v_cndmask_b32_e32 v2, v7, v2, vcc
	v_ashrrev_i32_e32 v3, 31, v2
	v_lshl_add_u64 v[4:5], v[2:3], 2, s[10:11]
	v_or_b32_e32 v2, 16, v1
	v_add_u32_e32 v3, v2, v6
	v_ashrrev_i32_e32 v3, 5, v3
	v_cmp_gt_i32_e32 vcc, s31, v2
	s_nop 1
	v_cndmask_b32_e32 v2, v7, v3, vcc
	v_ashrrev_i32_e32 v3, 31, v2
	v_lshl_add_u64 v[8:9], v[2:3], 2, s[10:11]
	v_or_b32_e32 v2, 32, v1
	v_add_u32_e32 v3, v2, v6
	v_ashrrev_i32_e32 v3, 5, v3
	v_cmp_gt_i32_e32 vcc, s31, v2
	v_or_b32_e32 v1, 48, v1
	s_nop 0
	v_cndmask_b32_e32 v2, v7, v3, vcc
	v_ashrrev_i32_e32 v3, 31, v2
	v_lshl_add_u64 v[12:13], v[2:3], 2, s[10:11]
	v_add_u32_e32 v2, v1, v6
	v_ashrrev_i32_e32 v2, 5, v2
	v_cmp_gt_i32_e32 vcc, s31, v1
	s_nop 1
	v_cndmask_b32_e32 v2, v7, v2, vcc
	v_ashrrev_i32_e32 v3, 31, v2
	v_lshl_add_u64 v[16:17], v[2:3], 2, s[10:11]
	global_load_dword v2, v[4:5], off
	global_load_dword v6, v[8:9], off
	global_load_dword v10, v[12:13], off
	global_load_dword v14, v[16:17], off
	s_andn2_b64 vcc, exec, s[8:9]
	s_cbranch_vccnz .LBB512_8
; %bb.6:
	s_add_u32 s6, s6, s12
	s_addc_u32 s7, s7, s13
	s_load_dword s5, s[6:7], 0x0
	s_branch .LBB512_9
.LBB512_7:
	s_mov_b64 s[12:13], 0
	s_branch .LBB512_2
.LBB512_8:
	s_mov_b32 s5, s2
.LBB512_9:
	s_load_dwordx2 s[14:15], s[0:1], 0x8
	s_load_dwordx4 s[44:47], s[0:1], 0x48
	v_lshrrev_b32_e32 v52, 6, v0
	v_bfe_u32 v1, v0, 4, 2
	v_lshl_or_b32 v3, v52, 2, v1
	v_and_b32_e32 v53, 15, v0
	v_cmp_ne_u32_e32 vcc, 0, v3
	v_cmp_lt_u32_e64 s[8:9], 7, v53
	v_lshlrev_b32_e32 v42, 3, v53
	v_cmp_gt_u32_e64 s[6:7], 8, v53
	s_or_b64 s[8:9], s[8:9], vcc
	s_and_saveexec_b64 s[12:13], s[8:9]
	s_xor_b64 s[8:9], exec, s[12:13]
; %bb.10:
	v_mov_b32_e32 v43, 0
; %bb.11:
	s_or_saveexec_b64 s[12:13], s[8:9]
	s_load_dwordx2 s[8:9], s[0:1], 0x10
	s_xor_b64 exec, exec, s[12:13]
	s_cbranch_execz .LBB512_13
; %bb.12:
	s_load_dwordx2 s[18:19], s[0:1], 0x0
	s_waitcnt lgkmcnt(0)
	s_ashr_i32 s20, s44, 31
	s_mul_hi_u32 s21, s5, s44
	s_mul_i32 s20, s5, s20
	s_add_i32 s21, s21, s20
	s_mul_i32 s20, s5, s44
	s_lshl_b64 s[20:21], s[20:21], 1
	s_add_u32 s5, s18, s20
	s_addc_u32 s20, s19, s21
	s_lshl_b32 s18, s4, 6
	s_ashr_i32 s19, s18, 31
	s_lshl_b64 s[18:19], s[18:19], 1
	s_add_u32 s18, s5, s18
	s_addc_u32 s19, s20, s19
	v_lshlrev_b32_e32 v3, 1, v42
	global_load_dwordx4 v[16:19], v3, s[18:19]
	v_and_b32_e32 v3, 3, v0
	v_lshlrev_b32_e32 v4, 9, v53
	v_lshlrev_b32_e32 v3, 9, v3
	s_movk_i32 s5, 0x1800
	v_mov_b32_e32 v43, 0
	v_and_or_b32 v3, v4, s5, v3
	s_waitcnt vmcnt(0)
	ds_write_b128 v3, v[16:19]
.LBB512_13:
	s_or_b64 exec, exec, s[12:13]
	s_waitcnt lgkmcnt(0)
	s_mul_i32 s12, s4, s46
	s_mov_b32 s13, 0
	s_lshl_b64 s[12:13], s[12:13], 1
	s_add_u32 s14, s14, s12
	s_addc_u32 s15, s15, s13
	s_waitcnt vmcnt(3)
	v_mad_i64_i32 v[2:3], s[18:19], v2, s45, 0
	v_lshl_add_u64 v[2:3], v[2:3], 1, s[14:15]
	v_lshlrev_b64 v[12:13], 1, v[42:43]
	v_lshlrev_b32_e32 v44, 9, v1
	v_lshl_add_u64 v[2:3], v[2:3], 0, v[12:13]
	v_mov_b32_e32 v45, 0
	v_lshl_add_u64 v[8:9], v[2:3], 0, v[44:45]
	s_barrier
	global_load_dwordx4 v[22:25], v[8:9], off
	global_load_dwordx4 v[2:5], v[8:9], off offset:2048
	s_waitcnt vmcnt(4)
	v_mad_i64_i32 v[6:7], s[18:19], v6, s45, 0
	v_mov_b32_e32 v8, 0x100
	v_lshl_add_u64 v[6:7], v[6:7], 1, s[14:15]
	v_lshl_or_b32 v16, v53, 4, v8
	v_mov_b32_e32 v17, v45
	s_waitcnt vmcnt(3)
	v_mad_i64_i32 v[10:11], s[18:19], v10, s45, 0
	v_lshl_add_u64 v[6:7], v[6:7], 0, v[16:17]
	v_lshl_add_u64 v[10:11], v[10:11], 1, s[14:15]
	s_waitcnt vmcnt(2)
	v_mad_i64_i32 v[14:15], s[18:19], v14, s45, 0
	v_lshl_add_u64 v[18:19], v[6:7], 0, v[44:45]
	v_lshl_add_u64 v[10:11], v[10:11], 0, v[12:13]
	;; [unrolled: 1-line block ×3, first 2 shown]
	global_load_dwordx4 v[26:29], v[18:19], off
	global_load_dwordx4 v[6:9], v[18:19], off offset:2048
	v_lshl_add_u64 v[18:19], v[10:11], 0, v[44:45]
	v_lshl_add_u64 v[14:15], v[14:15], 0, v[16:17]
	global_load_dwordx4 v[30:33], v[18:19], off
	global_load_dwordx4 v[10:13], v[18:19], off offset:2048
	v_lshl_add_u64 v[18:19], v[14:15], 0, v[44:45]
	global_load_dwordx4 v[34:37], v[18:19], off
	global_load_dwordx4 v[14:17], v[18:19], off offset:2048
	ds_read_b128 v[38:41], v44
	ds_read_b128 v[18:21], v44 offset:2048
	v_and_b32_e32 v54, 63, v0
	v_cmp_eq_u32_e32 vcc, 0, v53
	v_mov_b32_e32 v48, 0
	s_and_saveexec_b64 s[14:15], vcc
	s_cbranch_execz .LBB512_15
; %bb.14:
	s_load_dwordx2 s[18:19], s[0:1], 0x40
	s_ashr_i32 s5, s4, 31
	s_lshl_b64 s[20:21], s[4:5], 2
	s_waitcnt lgkmcnt(0)
	s_add_u32 s18, s18, s20
	s_addc_u32 s19, s19, s21
	s_load_dword s5, s[18:19], 0x0
	s_waitcnt lgkmcnt(0)
	v_mov_b32_e32 v48, s5
.LBB512_15:
	s_or_b64 exec, exec, s[14:15]
	s_ashr_i32 s5, s16, 31
	v_and_or_b32 v44, v0, 48, s16
	s_lshr_b32 s5, s5, 27
	v_add_u32_e32 v46, s5, v44
	v_or_b32_e32 v50, 64, v44
	v_ashrrev_i32_e32 v46, 5, v46
	v_mov_b32_e32 v49, s17
	v_cmp_gt_i32_e32 vcc, s31, v44
	v_add_u32_e32 v51, s5, v50
	s_waitcnt vmcnt(7) lgkmcnt(1)
	v_mfma_f32_16x16x16_bf16 v[56:59], v[22:23], v[38:39], 0
	v_cndmask_b32_e32 v46, v49, v46, vcc
	v_ashrrev_i32_e32 v22, 5, v51
	v_cmp_gt_i32_e32 vcc, s31, v50
	v_ashrrev_i32_e32 v47, 31, v46
	v_lshl_add_u64 v[46:47], v[46:47], 2, s[10:11]
	v_cndmask_b32_e32 v22, v49, v22, vcc
	v_ashrrev_i32_e32 v23, 31, v22
	v_lshl_add_u64 v[22:23], v[22:23], 2, s[10:11]
	global_load_dword v55, v[46:47], off
	global_load_dword v72, v[22:23], off
	s_waitcnt vmcnt(3)
	v_mfma_f32_16x16x16_bf16 v[68:71], v[34:35], v[38:39], 0
	v_or_b32_e32 v46, 0xc0, v44
	v_add_u32_e32 v50, s5, v46
	s_add_u32 s8, s8, s12
	v_mfma_f32_16x16x16_bf16 v[60:63], v[26:27], v[38:39], 0
	s_addc_u32 s9, s9, s13
	s_load_dword s14, s[0:1], 0x1c
	v_mfma_f32_16x16x16_bf16 v[64:67], v[30:31], v[38:39], 0
	v_and_b32_e32 v31, 0xc0, v0
	v_or_b32_e32 v38, 0x80, v44
	v_add_u32_e32 v34, s16, v31
	v_mfma_f32_16x16x16_bf16 v[22:25], v[24:25], v[40:41], v[56:59]
	v_and_b32_e32 v30, 16, v0
	v_add_u32_e32 v47, s5, v38
	v_lshlrev_b32_e32 v44, 1, v30
	v_lshl_or_b32 v56, v1, 2, v34
	v_mfma_f32_16x16x16_bf16 v[34:37], v[36:37], v[40:41], v[68:71]
	v_cmp_gt_i32_e32 vcc, s31, v38
	v_lshlrev_b32_e32 v39, 6, v53
	v_or_b32_e32 v57, 1, v56
	v_mfma_f32_16x16x16_bf16 v[26:29], v[28:29], v[40:41], v[60:63]
	v_cmp_gt_i32_e64 s[34:35], s31, v56
	v_cmp_gt_i32_e64 s[36:37], s31, v57
	s_mov_b32 s5, 0xff7fffff
	v_mfma_f32_16x16x16_bf16 v[30:33], v[32:33], v[40:41], v[64:67]
	v_ashrrev_i32_e32 v40, 5, v47
	v_ashrrev_i32_e32 v41, 5, v50
	v_cndmask_b32_e32 v38, v49, v40, vcc
	v_cmp_gt_i32_e32 vcc, s31, v46
	s_waitcnt lgkmcnt(0)
	v_mfma_f32_16x16x16_bf16 v[22:25], v[2:3], v[18:19], v[22:25]
	v_lshl_add_u64 v[2:3], s[8:9], 0, v[44:45]
	v_cndmask_b32_e32 v40, v49, v41, vcc
	v_lshl_or_b32 v44, v52, 10, v39
	v_ashrrev_i32_e32 v39, 31, v38
	v_ashrrev_i32_e32 v41, 31, v40
	s_waitcnt vmcnt(2)
	v_mfma_f32_16x16x16_bf16 v[34:37], v[14:15], v[18:19], v[34:37]
	v_lshl_add_u64 v[14:15], v[38:39], 2, s[10:11]
	v_subrev_u32_e32 v49, s31, v57
	v_cvt_f32_i32_e32 v58, v49
	v_mfma_f32_16x16x16_bf16 v[26:29], v[6:7], v[18:19], v[26:29]
	v_mfma_f32_16x16x16_bf16 v[30:33], v[10:11], v[18:19], v[30:33]
	v_lshl_add_u64 v[18:19], v[40:41], 2, s[10:11]
	global_load_dword v59, v[14:15], off
	global_load_dword v60, v[18:19], off
	v_lshl_add_u64 v[10:11], v[2:3], 0, v[44:45]
	v_mfma_f32_16x16x16_bf16 v[2:5], v[4:5], v[20:21], v[22:25]
	v_add_u32_e32 v44, 1, v49
	v_add_u32_e32 v45, 3, v49
	v_add_u32_e32 v18, 18, v49
	v_mfma_f32_16x16x16_bf16 v[14:17], v[16:17], v[20:21], v[34:37]
	v_add_u32_e32 v22, 2, v49
	s_nop 1
	v_pk_mul_f32 v[50:51], s[14:15], v[4:5] op_sel_hi:[0,1]
	v_cvt_f32_i32_e32 v18, v18
	v_mfma_f32_16x16x16_bf16 v[6:9], v[8:9], v[20:21], v[26:29]
	v_add_u32_e32 v19, 19, v49
	v_pk_mul_f32 v[34:35], s[14:15], v[16:17] op_sel_hi:[0,1]
	v_pk_mul_f32 v[36:37], s[14:15], v[14:15] op_sel_hi:[0,1]
	v_cvt_f32_i32_e32 v27, v22
	v_mfma_f32_16x16x16_bf16 v[22:25], v[12:13], v[20:21], v[30:33]
	v_pk_mul_f32 v[12:13], s[14:15], v[2:3] op_sel_hi:[0,1]
	v_cvt_f32_i32_e32 v26, v44
	v_cvt_f32_i32_e32 v28, v45
	v_pk_mul_f32 v[44:45], s[14:15], v[8:9] op_sel_hi:[0,1]
	v_pk_mul_f32 v[46:47], s[14:15], v[6:7] op_sel_hi:[0,1]
	v_cvt_f32_i32_e32 v19, v19
	v_fma_f32 v44, v48, v18, v44
	v_add_u32_e32 v18, 34, v49
	v_cvt_f32_i32_e32 v18, v18
	v_fmac_f32_e32 v45, v48, v19
	v_add_u32_e32 v19, 35, v49
	v_cvt_f32_i32_e32 v19, v19
	v_pk_mul_f32 v[40:41], s[14:15], v[22:23] op_sel_hi:[0,1]
	v_pk_mul_f32 v[38:39], s[14:15], v[24:25] op_sel_hi:[0,1]
	v_fma_f32 v38, v48, v18, v38
	v_add_u32_e32 v18, 50, v49
	s_waitcnt vmcnt(3)
	v_mad_i64_i32 v[2:3], s[8:9], v55, s45, 0
	s_waitcnt vmcnt(2)
	v_mad_i64_i32 v[4:5], s[8:9], v72, s45, 0
	v_lshl_add_u64 v[16:17], v[2:3], 1, v[10:11]
	v_lshl_add_u64 v[14:15], v[4:5], 1, v[10:11]
	global_load_dwordx4 v[6:9], v[16:17], off
	global_load_dwordx4 v[2:5], v[16:17], off offset:16
	v_add_u32_e32 v16, 16, v49
	v_cvt_f32_i32_e32 v16, v16
	v_add_u32_e32 v17, 17, v49
	v_cvt_f32_i32_e32 v17, v17
	v_fmac_f32_e32 v39, v48, v19
	v_fma_f32 v46, v48, v16, v46
	v_add_u32_e32 v16, 32, v49
	v_fmac_f32_e32 v47, v48, v17
	v_cvt_f32_i32_e32 v16, v16
	v_add_u32_e32 v17, 33, v49
	v_cvt_f32_i32_e32 v17, v17
	v_cvt_f32_i32_e32 v18, v18
	v_fma_f32 v40, v48, v16, v40
	v_add_u32_e32 v16, 48, v49
	v_fmac_f32_e32 v41, v48, v17
	v_cvt_f32_i32_e32 v16, v16
	v_add_u32_e32 v17, 49, v49
	v_cvt_f32_i32_e32 v17, v17
	v_add_u32_e32 v19, 51, v49
	v_cvt_f32_i32_e32 v19, v19
	v_fma_f32 v12, v48, v58, v12
	v_fmac_f32_e32 v13, v48, v26
	v_fma_f32 v36, v48, v16, v36
	v_mov_b32_e32 v16, 0xff7fffff
	v_fmac_f32_e32 v37, v48, v17
	v_fma_f32 v34, v48, v18, v34
	v_cndmask_b32_e64 v17, v16, v12, s[34:35]
	v_cndmask_b32_e64 v18, v16, v13, s[36:37]
	v_fmac_f32_e32 v35, v48, v19
	v_max3_f32 v17, v17, s5, v18
	v_or_b32_e32 v18, 2, v56
	v_or_b32_e32 v19, 3, v56
	v_fma_f32 v50, v48, v27, v50
	v_fmac_f32_e32 v51, v48, v28
	v_cmp_gt_i32_e64 s[38:39], s31, v18
	v_cmp_gt_i32_e64 s[40:41], s31, v19
	global_load_dwordx4 v[30:33], v[14:15], off
	global_load_dwordx4 v[26:29], v[14:15], off offset:16
	v_cndmask_b32_e64 v18, v16, v50, s[38:39]
	v_cndmask_b32_e64 v19, v16, v51, s[40:41]
	v_max3_f32 v17, v17, v18, v19
	v_or_b32_e32 v18, 16, v56
	v_or_b32_e32 v19, 17, v56
	v_cmp_gt_i32_e64 s[26:27], s31, v18
	v_cmp_gt_i32_e64 s[28:29], s31, v19
	s_nop 0
	v_cndmask_b32_e64 v18, v16, v46, s[26:27]
	v_cndmask_b32_e64 v19, v16, v47, s[28:29]
	v_max3_f32 v17, v17, v18, v19
	v_or_b32_e32 v18, 18, v56
	v_or_b32_e32 v19, 19, v56
	v_cmp_gt_i32_e64 s[22:23], s31, v18
	v_cmp_gt_i32_e64 s[24:25], s31, v19
	s_nop 0
	;; [unrolled: 8-line block ×5, first 2 shown]
	v_cndmask_b32_e64 v18, v16, v36, s[10:11]
	v_cndmask_b32_e64 v19, v16, v37, s[12:13]
	v_max3_f32 v17, v17, v18, v19
	v_or_b32_e32 v18, 50, v56
	v_or_b32_e32 v19, 51, v56
	v_cmp_gt_i32_e32 vcc, s31, v18
	v_cmp_gt_i32_e64 s[8:9], s31, v19
	s_nop 0
	v_cndmask_b32_e32 v18, v16, v34, vcc
	v_cndmask_b32_e64 v16, v16, v35, s[8:9]
	v_max3_f32 v16, v17, v18, v16
	v_mbcnt_lo_u32_b32 v17, -1, 0
	v_mbcnt_hi_u32_b32 v17, -1, v17
	v_and_b32_e32 v18, 64, v17
	v_add_u32_e32 v18, 64, v18
	v_xor_b32_e32 v19, 32, v17
	v_cmp_lt_i32_e64 s[42:43], v19, v18
	s_nop 1
	v_cndmask_b32_e64 v19, v17, v19, s[42:43]
	v_lshlrev_b32_e32 v56, 2, v19
	ds_bpermute_b32 v19, v56, v16
	s_waitcnt vmcnt(5)
	v_mad_i64_i32 v[14:15], s[42:43], v59, s45, 0
	v_lshl_add_u64 v[14:15], v[14:15], 1, v[10:11]
	s_waitcnt lgkmcnt(0)
	v_max_f32_e32 v19, v19, v19
	v_max_f32_e32 v16, v16, v19
	v_xor_b32_e32 v19, 16, v17
	v_cmp_lt_i32_e64 s[42:43], v19, v18
	s_nop 1
	v_cndmask_b32_e64 v17, v17, v19, s[42:43]
	v_lshlrev_b32_e32 v58, 2, v17
	ds_bpermute_b32 v17, v58, v16
	global_load_dwordx4 v[22:25], v[14:15], off
	global_load_dwordx4 v[18:21], v[14:15], off offset:16
	s_waitcnt vmcnt(6)
	v_mad_i64_i32 v[14:15], s[42:43], v60, s45, 0
	v_lshl_add_u64 v[10:11], v[14:15], 1, v[10:11]
	s_waitcnt lgkmcnt(0)
	v_max_f32_e32 v14, v17, v17
	v_max_f32_e32 v55, v16, v14
	v_sub_f32_e32 v12, v12, v55
	v_mul_f32_e32 v12, 0x3fb8aa3b, v12
	v_exp_f32_e32 v48, v12
	v_sub_f32_e32 v12, v13, v55
	v_mul_f32_e32 v12, 0x3fb8aa3b, v12
	v_exp_f32_e32 v49, v12
	global_load_dwordx4 v[14:17], v[10:11], off
	s_nop 0
	global_load_dwordx4 v[10:13], v[10:11], off offset:16
	v_sub_f32_e32 v50, v50, v55
	v_mul_f32_e32 v50, 0x3fb8aa3b, v50
	v_sub_f32_e32 v51, v51, v55
	v_exp_f32_e32 v50, v50
	v_mul_f32_e32 v51, 0x3fb8aa3b, v51
	v_sub_f32_e32 v46, v46, v55
	v_exp_f32_e32 v51, v51
	v_mul_f32_e32 v46, 0x3fb8aa3b, v46
	v_sub_f32_e32 v47, v47, v55
	v_cndmask_b32_e64 v48, 0, v48, s[34:35]
	v_exp_f32_e32 v46, v46
	v_mul_f32_e32 v47, 0x3fb8aa3b, v47
	v_sub_f32_e32 v44, v44, v55
	v_add_f32_e32 v57, 0, v48
	v_cndmask_b32_e64 v49, 0, v49, s[36:37]
	v_exp_f32_e32 v47, v47
	v_mul_f32_e32 v44, 0x3fb8aa3b, v44
	v_sub_f32_e32 v45, v45, v55
	v_add_f32_e32 v57, v57, v49
	;; [unrolled: 5-line block ×10, first 2 shown]
	v_cndmask_b32_e64 v38, 0, v38, s[14:15]
	v_exp_f32_e32 v34, v34
	v_mul_f32_e32 v35, 0x3fb8aa3b, v35
	v_add_f32_e32 v57, v57, v38
	v_cndmask_b32_e64 v39, 0, v39, s[16:17]
	v_exp_f32_e32 v35, v35
	v_add_f32_e32 v57, v57, v39
	v_cndmask_b32_e64 v36, 0, v36, s[10:11]
	v_add_f32_e32 v57, v57, v36
	v_cndmask_b32_e64 v37, 0, v37, s[12:13]
	v_add_f32_e32 v57, v57, v37
	v_cndmask_b32_e32 v34, 0, v34, vcc
	v_add_f32_e32 v57, v57, v34
	v_cndmask_b32_e64 v35, 0, v35, s[8:9]
	v_add_f32_e32 v57, v57, v35
	ds_bpermute_b32 v56, v56, v57
	v_cmp_gt_u32_e64 s[8:9], 16, v54
	s_waitcnt lgkmcnt(0)
	s_barrier
	v_add_f32_e32 v57, v57, v56
	ds_bpermute_b32 v58, v58, v57
	v_lshlrev_b32_e32 v56, 2, v53
	s_and_saveexec_b64 s[10:11], s[8:9]
	s_cbranch_execz .LBB512_17
; %bb.16:
	s_waitcnt lgkmcnt(0)
	v_add_f32_e32 v54, v57, v58
	v_lshl_or_b32 v57, v52, 6, v56
	ds_write2st64_b32 v57, v55, v54 offset1:1
.LBB512_17:
	s_or_b64 exec, exec, s[10:11]
	s_load_dwordx2 s[10:11], s[0:1], 0x94
	s_waitcnt lgkmcnt(0)
	s_barrier
	ds_read2_b32 v[58:59], v56 offset1:16
	ds_read2_b32 v[60:61], v56 offset0:32 offset1:48
	ds_read2_b32 v[62:63], v56 offset0:64 offset1:80
	;; [unrolled: 1-line block ×3, first 2 shown]
	s_mov_b32 s14, 0x7060302
	s_waitcnt lgkmcnt(3)
	v_max3_f32 v54, v58, s5, v59
	s_waitcnt lgkmcnt(2)
	v_max3_f32 v54, v54, v60, v61
	v_sub_f32_e32 v55, v58, v54
	v_mul_f32_e32 v55, 0x3fb8aa3b, v55
	v_exp_f32_e32 v58, v55
	v_sub_f32_e32 v55, v59, v54
	v_mul_f32_e32 v55, 0x3fb8aa3b, v55
	v_exp_f32_e32 v59, v55
	;; [unrolled: 3-line block ×4, first 2 shown]
	s_waitcnt lgkmcnt(1)
	v_fma_f32 v55, v58, v62, 0
	v_fmac_f32_e32 v55, v59, v63
	s_waitcnt lgkmcnt(0)
	v_fmac_f32_e32 v55, v60, v56
	v_fmac_f32_e32 v55, v61, v57
	v_add_f32_e32 v57, 0x358637bd, v55
	v_div_scale_f32 v62, s[12:13], v57, v57, 1.0
	v_rcp_f32_e32 v63, v62
	s_movk_i32 s5, 0x7fff
	v_mov_b32_e32 v56, 0
	v_fma_f32 v64, -v62, v63, 1.0
	v_fmac_f32_e32 v63, v64, v63
	v_div_scale_f32 v64, vcc, 1.0, v57, 1.0
	v_mul_f32_e32 v65, v64, v63
	v_fma_f32 v66, -v62, v65, v64
	v_fmac_f32_e32 v65, v66, v63
	v_fma_f32 v62, -v62, v65, v64
	v_div_fmas_f32 v62, v62, v63, v65
	v_cmp_eq_u32_e32 vcc, 1, v52
	v_div_fixup_f32 v57, v62, v57, 1.0
	s_barrier
	v_cndmask_b32_e32 v58, v58, v59, vcc
	v_cmp_eq_u32_e32 vcc, 2, v52
	s_nop 1
	v_cndmask_b32_e32 v58, v58, v60, vcc
	v_cmp_eq_u32_e32 vcc, 3, v52
	s_nop 1
	v_cndmask_b32_e32 v58, v58, v61, vcc
	v_mul_f32_e32 v58, v58, v57
	v_pk_mul_f32 v[48:49], v[58:59], v[48:49] op_sel_hi:[0,1]
	v_pk_mul_f32 v[50:51], v[58:59], v[50:51] op_sel_hi:[0,1]
	v_bfe_u32 v57, v49, 16, 1
	v_bfe_u32 v59, v48, 16, 1
	v_add3_u32 v48, v48, v59, s5
	v_add3_u32 v49, v49, v57, s5
	v_perm_b32 v60, v49, v48, s14
	v_bfe_u32 v48, v51, 16, 1
	v_bfe_u32 v49, v50, 16, 1
	v_add3_u32 v49, v50, v49, s5
	v_add3_u32 v48, v51, v48, s5
	v_perm_b32 v61, v48, v49, s14
	v_lshlrev_b32_e32 v48, 3, v1
	v_lshlrev_b32_e32 v49, 5, v53
	;; [unrolled: 1-line block ×3, first 2 shown]
	v_pk_mul_f32 v[46:47], v[58:59], v[46:47] op_sel_hi:[0,1]
	v_or3_b32 v48, v50, v49, v48
	v_bfe_u32 v50, v47, 16, 1
	v_bfe_u32 v51, v46, 16, 1
	v_pk_mul_f32 v[44:45], v[58:59], v[44:45] op_sel_hi:[0,1]
	v_add3_u32 v46, v46, v51, s5
	v_add3_u32 v47, v47, v50, s5
	v_perm_b32 v46, v47, v46, s14
	v_bfe_u32 v47, v45, 16, 1
	v_bfe_u32 v50, v44, 16, 1
	v_add3_u32 v44, v44, v50, s5
	v_add3_u32 v45, v45, v47, s5
	v_pk_mul_f32 v[40:41], v[58:59], v[40:41] op_sel_hi:[0,1]
	v_perm_b32 v47, v45, v44, s14
	v_bfe_u32 v44, v41, 16, 1
	v_bfe_u32 v45, v40, 16, 1
	v_pk_mul_f32 v[38:39], v[58:59], v[38:39] op_sel_hi:[0,1]
	v_add3_u32 v40, v40, v45, s5
	v_add3_u32 v41, v41, v44, s5
	v_perm_b32 v40, v41, v40, s14
	v_bfe_u32 v41, v39, 16, 1
	v_bfe_u32 v44, v38, 16, 1
	v_add3_u32 v38, v38, v44, s5
	v_add3_u32 v39, v39, v41, s5
	v_pk_mul_f32 v[36:37], v[58:59], v[36:37] op_sel_hi:[0,1]
	v_perm_b32 v41, v39, v38, s14
	v_bfe_u32 v38, v37, 16, 1
	v_bfe_u32 v39, v36, 16, 1
	v_pk_mul_f32 v[34:35], v[58:59], v[34:35] op_sel_hi:[0,1]
	v_add3_u32 v36, v36, v39, s5
	v_add3_u32 v37, v37, v38, s5
	v_perm_b32 v36, v37, v36, s14
	v_bfe_u32 v37, v35, 16, 1
	v_bfe_u32 v38, v34, 16, 1
	v_add3_u32 v34, v34, v38, s5
	v_add3_u32 v35, v35, v37, s5
	v_perm_b32 v37, v35, v34, s14
	v_cmp_eq_u32_e32 vcc, 0, v0
	ds_write2st64_b64 v48, v[60:61], v[46:47] offset1:1
	ds_write2st64_b64 v48, v[40:41], v[36:37] offset0:2 offset1:3
	s_and_saveexec_b64 s[12:13], vcc
	s_cbranch_execz .LBB512_19
; %bb.18:
	s_mul_i32 s3, s3, s11
	s_mul_hi_u32 s15, s2, s11
	s_add_i32 s15, s15, s3
	s_mul_i32 s3, s2, s11
	s_add_u32 s3, s3, s4
	s_addc_u32 s15, s15, 0
	s_load_dwordx4 s[16:19], s[0:1], 0x58
	s_mul_i32 s15, s15, s10
	s_mul_hi_u32 s20, s3, s10
	s_add_i32 s15, s20, s15
	s_mul_i32 s3, s3, s10
	s_add_u32 s20, s3, s30
	s_addc_u32 s21, s15, 0
	s_lshl_b64 s[20:21], s[20:21], 2
	s_waitcnt lgkmcnt(0)
	s_add_u32 s18, s18, s20
	s_addc_u32 s19, s19, s21
	s_add_u32 s16, s16, s20
	s_addc_u32 s17, s17, s21
	global_store_dword v56, v54, s[18:19]
	global_store_dword v56, v55, s[16:17]
.LBB512_19:
	s_or_b64 exec, exec, s[12:13]
	v_lshl_or_b32 v49, v1, 9, v49
	s_waitcnt lgkmcnt(0)
	s_barrier
	ds_read_b128 v[34:37], v49
	ds_read_b128 v[38:41], v49 offset:16
	s_waitcnt vmcnt(7) lgkmcnt(1)
	v_mfma_f32_16x16x16_bf16 v[44:47], v[6:7], v[34:35], 0
	v_cmp_gt_u32_e32 vcc, 64, v0
	s_and_b64 s[6:7], s[6:7], vcc
	s_mov_b32 s3, 0
	v_mfma_f32_16x16x16_bf16 v[6:9], v[8:9], v[36:37], v[44:47]
	s_and_b64 s[6:7], s[6:7], s[8:9]
	s_waitcnt vmcnt(6) lgkmcnt(0)
	v_mfma_f32_16x16x16_bf16 v[6:9], v[2:3], v[38:39], v[6:9]
	v_mfma_f32_16x16x16_bf16 v[2:5], v[4:5], v[40:41], v[6:9]
	s_nop 5
	ds_read_b128 v[6:9], v49 offset:2048
	ds_read_b128 v[34:37], v49 offset:2064
	s_waitcnt vmcnt(5) lgkmcnt(1)
	v_mfma_f32_16x16x16_bf16 v[2:5], v[30:31], v[6:7], v[2:5]
	v_mfma_f32_16x16x16_bf16 v[2:5], v[32:33], v[8:9], v[2:5]
	s_waitcnt vmcnt(4) lgkmcnt(0)
	v_mfma_f32_16x16x16_bf16 v[2:5], v[26:27], v[34:35], v[2:5]
	v_mfma_f32_16x16x16_bf16 v[2:5], v[28:29], v[36:37], v[2:5]
	ds_read_b128 v[6:9], v49 offset:4096
	ds_read_b128 v[26:29], v49 offset:4112
	s_waitcnt vmcnt(3) lgkmcnt(1)
	v_mfma_f32_16x16x16_bf16 v[2:5], v[22:23], v[6:7], v[2:5]
	v_mfma_f32_16x16x16_bf16 v[2:5], v[24:25], v[8:9], v[2:5]
	s_waitcnt vmcnt(2) lgkmcnt(0)
	v_mfma_f32_16x16x16_bf16 v[2:5], v[18:19], v[26:27], v[2:5]
	v_mfma_f32_16x16x16_bf16 v[2:5], v[20:21], v[28:29], v[2:5]
	ds_read_b128 v[6:9], v49 offset:6144
	ds_read_b128 v[18:21], v49 offset:6160
	s_waitcnt lgkmcnt(0)
	s_barrier
	s_waitcnt vmcnt(1)
	v_mfma_f32_16x16x16_bf16 v[2:5], v[14:15], v[6:7], v[2:5]
	v_mfma_f32_16x16x16_bf16 v[2:5], v[16:17], v[8:9], v[2:5]
	s_waitcnt vmcnt(0)
	v_mfma_f32_16x16x16_bf16 v[2:5], v[10:11], v[18:19], v[2:5]
	v_mfma_f32_16x16x16_bf16 v[2:5], v[12:13], v[20:21], v[2:5]
	s_nop 6
	v_bfe_u32 v6, v3, 16, 1
	v_bfe_u32 v7, v2, 16, 1
	;; [unrolled: 1-line block ×4, first 2 shown]
	v_add3_u32 v2, v2, v7, s5
	v_add3_u32 v3, v3, v6, s5
	;; [unrolled: 1-line block ×4, first 2 shown]
	v_perm_b32 v2, v3, v2, s14
	v_perm_b32 v3, v5, v4, s14
	ds_write_b64 v48, v[2:3]
	s_waitcnt lgkmcnt(0)
	s_barrier
	s_and_saveexec_b64 s[8:9], s[6:7]
	s_cbranch_execz .LBB512_21
; %bb.20:
	s_load_dwordx2 s[0:1], s[0:1], 0x68
	s_mul_i32 s2, s11, s2
	s_lshl_b32 s5, s10, 6
	s_mul_hi_u32 s7, s2, s5
	s_mul_i32 s6, s2, s5
	s_lshl_b64 s[6:7], s[6:7], 1
	s_waitcnt lgkmcnt(0)
	s_add_u32 s6, s0, s6
	v_lshlrev_b32_e32 v2, 10, v0
	v_lshlrev_b32_e32 v0, 4, v0
	s_addc_u32 s7, s1, s7
	s_lshl_b32 s2, s30, 6
	v_and_b32_e32 v2, 0x1800, v2
	v_lshlrev_b32_e32 v1, 5, v1
	v_and_b32_e32 v0, 16, v0
	s_lshl_b64 s[0:1], s[2:3], 1
	v_or3_b32 v0, v2, v1, v0
	s_add_u32 s2, s6, s0
	ds_read_b128 v[0:3], v0
	s_addc_u32 s3, s7, s1
	s_mul_hi_u32 s1, s5, s4
	s_mul_i32 s0, s5, s4
	s_lshl_b64 s[0:1], s[0:1], 1
	s_add_u32 s0, s2, s0
	s_addc_u32 s1, s3, s1
	v_lshl_add_u64 v[4:5], v[42:43], 1, s[0:1]
	s_waitcnt lgkmcnt(0)
	global_store_dwordx4 v[4:5], v[0:3], off
.LBB512_21:
	s_endpgm
	.section	.rodata,"a",@progbits
	.p2align	6, 0x0
	.amdhsa_kernel _Z39paged_attention_ll4mi_QKV_mfma16_kernelI14__hip_bfloat16S0_LN4vllm18Fp8KVCacheDataTypeE0EhLi32ELi64ELi256ELb1ELi1EEvPKT_PKT0_S8_ifPKiSA_SA_iPKfiiiPfSD_PS3_PT2_iSC_SC_
		.amdhsa_group_segment_fixed_size 8192
		.amdhsa_private_segment_fixed_size 0
		.amdhsa_kernarg_size 400
		.amdhsa_user_sgpr_count 2
		.amdhsa_user_sgpr_dispatch_ptr 0
		.amdhsa_user_sgpr_queue_ptr 0
		.amdhsa_user_sgpr_kernarg_segment_ptr 1
		.amdhsa_user_sgpr_dispatch_id 0
		.amdhsa_user_sgpr_kernarg_preload_length 0
		.amdhsa_user_sgpr_kernarg_preload_offset 0
		.amdhsa_user_sgpr_private_segment_size 0
		.amdhsa_uses_dynamic_stack 0
		.amdhsa_enable_private_segment 0
		.amdhsa_system_sgpr_workgroup_id_x 1
		.amdhsa_system_sgpr_workgroup_id_y 1
		.amdhsa_system_sgpr_workgroup_id_z 1
		.amdhsa_system_sgpr_workgroup_info 0
		.amdhsa_system_vgpr_workitem_id 0
		.amdhsa_next_free_vgpr 73
		.amdhsa_next_free_sgpr 48
		.amdhsa_accum_offset 76
		.amdhsa_reserve_vcc 1
		.amdhsa_float_round_mode_32 0
		.amdhsa_float_round_mode_16_64 0
		.amdhsa_float_denorm_mode_32 3
		.amdhsa_float_denorm_mode_16_64 3
		.amdhsa_dx10_clamp 1
		.amdhsa_ieee_mode 1
		.amdhsa_fp16_overflow 0
		.amdhsa_tg_split 0
		.amdhsa_exception_fp_ieee_invalid_op 0
		.amdhsa_exception_fp_denorm_src 0
		.amdhsa_exception_fp_ieee_div_zero 0
		.amdhsa_exception_fp_ieee_overflow 0
		.amdhsa_exception_fp_ieee_underflow 0
		.amdhsa_exception_fp_ieee_inexact 0
		.amdhsa_exception_int_div_zero 0
	.end_amdhsa_kernel
	.section	.text._Z39paged_attention_ll4mi_QKV_mfma16_kernelI14__hip_bfloat16S0_LN4vllm18Fp8KVCacheDataTypeE0EhLi32ELi64ELi256ELb1ELi1EEvPKT_PKT0_S8_ifPKiSA_SA_iPKfiiiPfSD_PS3_PT2_iSC_SC_,"axG",@progbits,_Z39paged_attention_ll4mi_QKV_mfma16_kernelI14__hip_bfloat16S0_LN4vllm18Fp8KVCacheDataTypeE0EhLi32ELi64ELi256ELb1ELi1EEvPKT_PKT0_S8_ifPKiSA_SA_iPKfiiiPfSD_PS3_PT2_iSC_SC_,comdat
.Lfunc_end512:
	.size	_Z39paged_attention_ll4mi_QKV_mfma16_kernelI14__hip_bfloat16S0_LN4vllm18Fp8KVCacheDataTypeE0EhLi32ELi64ELi256ELb1ELi1EEvPKT_PKT0_S8_ifPKiSA_SA_iPKfiiiPfSD_PS3_PT2_iSC_SC_, .Lfunc_end512-_Z39paged_attention_ll4mi_QKV_mfma16_kernelI14__hip_bfloat16S0_LN4vllm18Fp8KVCacheDataTypeE0EhLi32ELi64ELi256ELb1ELi1EEvPKT_PKT0_S8_ifPKiSA_SA_iPKfiiiPfSD_PS3_PT2_iSC_SC_
                                        ; -- End function
	.section	.AMDGPU.csdata,"",@progbits
; Kernel info:
; codeLenInByte = 4288
; NumSgprs: 54
; NumVgprs: 73
; NumAgprs: 0
; TotalNumVgprs: 73
; ScratchSize: 0
; MemoryBound: 0
; FloatMode: 240
; IeeeMode: 1
; LDSByteSize: 8192 bytes/workgroup (compile time only)
; SGPRBlocks: 6
; VGPRBlocks: 9
; NumSGPRsForWavesPerEU: 54
; NumVGPRsForWavesPerEU: 73
; AccumOffset: 76
; Occupancy: 6
; WaveLimiterHint : 1
; COMPUTE_PGM_RSRC2:SCRATCH_EN: 0
; COMPUTE_PGM_RSRC2:USER_SGPR: 2
; COMPUTE_PGM_RSRC2:TRAP_HANDLER: 0
; COMPUTE_PGM_RSRC2:TGID_X_EN: 1
; COMPUTE_PGM_RSRC2:TGID_Y_EN: 1
; COMPUTE_PGM_RSRC2:TGID_Z_EN: 1
; COMPUTE_PGM_RSRC2:TIDIG_COMP_CNT: 0
; COMPUTE_PGM_RSRC3_GFX90A:ACCUM_OFFSET: 18
; COMPUTE_PGM_RSRC3_GFX90A:TG_SPLIT: 0
	.section	.text._Z39paged_attention_ll4mi_QKV_mfma16_kernelI14__hip_bfloat16S0_LN4vllm18Fp8KVCacheDataTypeE0EhLi32ELi64ELi256ELb1ELi2EEvPKT_PKT0_S8_ifPKiSA_SA_iPKfiiiPfSD_PS3_PT2_iSC_SC_,"axG",@progbits,_Z39paged_attention_ll4mi_QKV_mfma16_kernelI14__hip_bfloat16S0_LN4vllm18Fp8KVCacheDataTypeE0EhLi32ELi64ELi256ELb1ELi2EEvPKT_PKT0_S8_ifPKiSA_SA_iPKfiiiPfSD_PS3_PT2_iSC_SC_,comdat
	.protected	_Z39paged_attention_ll4mi_QKV_mfma16_kernelI14__hip_bfloat16S0_LN4vllm18Fp8KVCacheDataTypeE0EhLi32ELi64ELi256ELb1ELi2EEvPKT_PKT0_S8_ifPKiSA_SA_iPKfiiiPfSD_PS3_PT2_iSC_SC_ ; -- Begin function _Z39paged_attention_ll4mi_QKV_mfma16_kernelI14__hip_bfloat16S0_LN4vllm18Fp8KVCacheDataTypeE0EhLi32ELi64ELi256ELb1ELi2EEvPKT_PKT0_S8_ifPKiSA_SA_iPKfiiiPfSD_PS3_PT2_iSC_SC_
	.globl	_Z39paged_attention_ll4mi_QKV_mfma16_kernelI14__hip_bfloat16S0_LN4vllm18Fp8KVCacheDataTypeE0EhLi32ELi64ELi256ELb1ELi2EEvPKT_PKT0_S8_ifPKiSA_SA_iPKfiiiPfSD_PS3_PT2_iSC_SC_
	.p2align	8
	.type	_Z39paged_attention_ll4mi_QKV_mfma16_kernelI14__hip_bfloat16S0_LN4vllm18Fp8KVCacheDataTypeE0EhLi32ELi64ELi256ELb1ELi2EEvPKT_PKT0_S8_ifPKiSA_SA_iPKfiiiPfSD_PS3_PT2_iSC_SC_,@function
_Z39paged_attention_ll4mi_QKV_mfma16_kernelI14__hip_bfloat16S0_LN4vllm18Fp8KVCacheDataTypeE0EhLi32ELi64ELi256ELb1ELi2EEvPKT_PKT0_S8_ifPKiSA_SA_iPKfiiiPfSD_PS3_PT2_iSC_SC_: ; @_Z39paged_attention_ll4mi_QKV_mfma16_kernelI14__hip_bfloat16S0_LN4vllm18Fp8KVCacheDataTypeE0EhLi32ELi64ELi256ELb1ELi2EEvPKT_PKT0_S8_ifPKiSA_SA_iPKfiiiPfSD_PS3_PT2_iSC_SC_
; %bb.0:
	s_load_dwordx2 s[6:7], s[0:1], 0x30
	s_mov_b32 s28, s3
	s_mov_b64 s[8:9], 0
	s_waitcnt lgkmcnt(0)
	s_cmp_lg_u64 s[6:7], 0
	s_cselect_b64 s[10:11], -1, 0
	s_and_b64 vcc, exec, s[10:11]
	s_cbranch_vccz .LBB513_7
; %bb.1:
	s_add_i32 s12, s2, 1
	s_mov_b32 s13, 0
	s_lshl_b64 s[14:15], s[12:13], 2
	s_add_u32 s14, s6, s14
	s_mov_b32 s3, s13
	s_addc_u32 s15, s7, s15
	s_lshl_b64 s[12:13], s[2:3], 2
	s_add_u32 s12, s6, s12
	s_addc_u32 s13, s7, s13
	s_load_dword s5, s[14:15], 0x0
	s_load_dword s16, s[12:13], 0x0
	s_waitcnt lgkmcnt(0)
	s_sub_i32 s5, s5, s16
	s_cmp_eq_u32 s5, 1
	s_cselect_b64 s[12:13], -1, 0
	s_andn2_b64 vcc, exec, s[8:9]
	s_cbranch_vccnz .LBB513_3
.LBB513_2:
	s_mov_b32 s3, 0
	s_mov_b64 s[12:13], -1
.LBB513_3:
	s_andn2_b64 vcc, exec, s[12:13]
	s_cbranch_vccnz .LBB513_21
; %bb.4:
	s_load_dwordx2 s[8:9], s[0:1], 0x28
	s_lshl_b64 s[12:13], s[2:3], 2
	s_waitcnt lgkmcnt(0)
	s_add_u32 s8, s8, s12
	s_addc_u32 s9, s9, s13
	s_load_dword s33, s[8:9], 0x0
	s_lshl_b32 s14, s28, 8
	s_waitcnt lgkmcnt(0)
	s_cmp_ge_i32 s14, s33
	s_cbranch_scc1 .LBB513_21
; %bb.5:
	s_load_dwordx2 s[8:9], s[0:1], 0x20
	s_load_dword s5, s[0:1], 0x38
	s_add_i32 s15, s33, 31
	s_ashr_i32 s16, s15, 31
	v_and_b32_e32 v1, 0xcf, v0
	s_lshr_b32 s16, s16, 27
	v_add_u32_e32 v1, s14, v1
	s_add_i32 s15, s15, s16
	v_ashrrev_i32_e32 v2, 31, v1
	s_ashr_i32 s15, s15, 5
	v_lshrrev_b32_e32 v6, 27, v2
	s_add_i32 s15, s15, -1
	s_waitcnt lgkmcnt(0)
	s_mul_i32 s16, s2, s5
	s_mov_b32 s17, 0
	v_add_u32_e32 v2, v1, v6
	s_lshl_b64 s[16:17], s[16:17], 2
	v_ashrrev_i32_e32 v2, 5, v2
	v_mov_b32_e32 v7, s15
	v_cmp_gt_i32_e32 vcc, s33, v1
	s_add_u32 s8, s8, s16
	s_addc_u32 s9, s9, s17
	v_cndmask_b32_e32 v2, v7, v2, vcc
	v_ashrrev_i32_e32 v3, 31, v2
	v_lshl_add_u64 v[4:5], v[2:3], 2, s[8:9]
	v_or_b32_e32 v2, 16, v1
	v_add_u32_e32 v3, v2, v6
	v_ashrrev_i32_e32 v3, 5, v3
	v_cmp_gt_i32_e32 vcc, s33, v2
	s_nop 1
	v_cndmask_b32_e32 v2, v7, v3, vcc
	v_ashrrev_i32_e32 v3, 31, v2
	v_lshl_add_u64 v[8:9], v[2:3], 2, s[8:9]
	v_or_b32_e32 v2, 32, v1
	v_add_u32_e32 v3, v2, v6
	v_ashrrev_i32_e32 v3, 5, v3
	v_cmp_gt_i32_e32 vcc, s33, v2
	v_or_b32_e32 v1, 48, v1
	s_nop 0
	v_cndmask_b32_e32 v2, v7, v3, vcc
	v_ashrrev_i32_e32 v3, 31, v2
	v_lshl_add_u64 v[12:13], v[2:3], 2, s[8:9]
	v_add_u32_e32 v2, v1, v6
	v_ashrrev_i32_e32 v2, 5, v2
	v_cmp_gt_i32_e32 vcc, s33, v1
	s_nop 1
	v_cndmask_b32_e32 v2, v7, v2, vcc
	v_ashrrev_i32_e32 v3, 31, v2
	v_lshl_add_u64 v[16:17], v[2:3], 2, s[8:9]
	global_load_dword v2, v[4:5], off
	global_load_dword v6, v[8:9], off
	;; [unrolled: 1-line block ×4, first 2 shown]
	s_andn2_b64 vcc, exec, s[10:11]
	s_cbranch_vccnz .LBB513_8
; %bb.6:
	s_add_u32 s6, s6, s12
	s_addc_u32 s7, s7, s13
	s_load_dword s5, s[6:7], 0x0
	s_branch .LBB513_9
.LBB513_7:
	s_mov_b64 s[12:13], 0
	s_branch .LBB513_2
.LBB513_8:
	s_mov_b32 s5, s2
.LBB513_9:
	s_load_dwordx2 s[10:11], s[0:1], 0x8
	s_load_dwordx4 s[44:47], s[0:1], 0x48
	v_lshrrev_b32_e32 v53, 6, v0
	v_bfe_u32 v1, v0, 4, 2
	v_lshl_or_b32 v3, v53, 2, v1
	v_and_b32_e32 v54, 15, v0
	v_cmp_lt_u32_e32 vcc, 1, v3
	v_cmp_lt_u32_e64 s[6:7], 7, v54
	v_lshlrev_b32_e32 v42, 3, v54
	v_cmp_gt_u32_e64 s[30:31], 8, v54
	s_or_b64 s[6:7], s[6:7], vcc
	s_and_saveexec_b64 s[12:13], s[6:7]
	s_xor_b64 s[6:7], exec, s[12:13]
; %bb.10:
	v_mov_b32_e32 v43, 0
                                        ; implicit-def: $vgpr3
; %bb.11:
	s_or_saveexec_b64 s[12:13], s[6:7]
	s_load_dwordx2 s[6:7], s[0:1], 0x10
	s_lshl_b32 s29, s4, 1
	s_xor_b64 exec, exec, s[12:13]
	s_cbranch_execz .LBB513_13
; %bb.12:
	s_load_dwordx2 s[16:17], s[0:1], 0x0
	s_waitcnt lgkmcnt(0)
	s_ashr_i32 s18, s44, 31
	s_mul_hi_u32 s19, s5, s44
	s_mul_i32 s18, s5, s18
	s_add_i32 s19, s19, s18
	s_mul_i32 s18, s5, s44
	s_lshl_b64 s[18:19], s[18:19], 1
	s_add_u32 s16, s16, s18
	v_add_lshl_u32 v4, v1, s29, 6
	s_addc_u32 s17, s17, s19
	v_ashrrev_i32_e32 v5, 31, v4
	v_mov_b32_e32 v43, 0
	v_lshl_add_u64 v[4:5], v[4:5], 1, s[16:17]
	v_lshlrev_b32_e32 v8, 1, v42
	v_mov_b32_e32 v9, v43
	v_lshl_add_u64 v[4:5], v[4:5], 0, v[8:9]
	global_load_dwordx4 v[16:19], v[4:5], off
	v_and_b32_e32 v4, 3, v0
	v_lshlrev_b32_e32 v5, 9, v54
	v_lshlrev_b32_e32 v3, 5, v3
	;; [unrolled: 1-line block ×3, first 2 shown]
	v_and_b32_e32 v5, 0x1800, v5
	v_or3_b32 v3, v5, v4, v3
	s_waitcnt vmcnt(0)
	ds_write_b128 v3, v[16:19]
.LBB513_13:
	s_or_b64 exec, exec, s[12:13]
	s_waitcnt lgkmcnt(0)
	s_mul_i32 s4, s4, s46
	s_mov_b32 s5, 0
	s_lshl_b64 s[4:5], s[4:5], 1
	s_add_u32 s10, s10, s4
	s_addc_u32 s11, s11, s5
	s_waitcnt vmcnt(3)
	v_mad_i64_i32 v[2:3], s[12:13], v2, s45, 0
	v_lshl_add_u64 v[2:3], v[2:3], 1, s[10:11]
	v_lshlrev_b64 v[12:13], 1, v[42:43]
	v_lshlrev_b32_e32 v44, 9, v1
	v_lshl_add_u64 v[2:3], v[2:3], 0, v[12:13]
	v_mov_b32_e32 v45, 0
	v_lshl_add_u64 v[8:9], v[2:3], 0, v[44:45]
	s_barrier
	global_load_dwordx4 v[22:25], v[8:9], off
	global_load_dwordx4 v[2:5], v[8:9], off offset:2048
	s_waitcnt vmcnt(4)
	v_mad_i64_i32 v[6:7], s[12:13], v6, s45, 0
	v_mov_b32_e32 v8, 0x100
	v_lshl_add_u64 v[6:7], v[6:7], 1, s[10:11]
	v_lshl_or_b32 v16, v54, 4, v8
	v_mov_b32_e32 v17, v45
	s_waitcnt vmcnt(3)
	v_mad_i64_i32 v[10:11], s[12:13], v10, s45, 0
	v_lshl_add_u64 v[6:7], v[6:7], 0, v[16:17]
	v_lshl_add_u64 v[10:11], v[10:11], 1, s[10:11]
	s_waitcnt vmcnt(2)
	v_mad_i64_i32 v[14:15], s[12:13], v14, s45, 0
	v_lshl_add_u64 v[18:19], v[6:7], 0, v[44:45]
	v_lshl_add_u64 v[10:11], v[10:11], 0, v[12:13]
	;; [unrolled: 1-line block ×3, first 2 shown]
	global_load_dwordx4 v[26:29], v[18:19], off
	global_load_dwordx4 v[6:9], v[18:19], off offset:2048
	v_lshl_add_u64 v[18:19], v[10:11], 0, v[44:45]
	v_lshl_add_u64 v[14:15], v[14:15], 0, v[16:17]
	global_load_dwordx4 v[30:33], v[18:19], off
	global_load_dwordx4 v[10:13], v[18:19], off offset:2048
	v_lshl_add_u64 v[18:19], v[14:15], 0, v[44:45]
	global_load_dwordx4 v[34:37], v[18:19], off
	global_load_dwordx4 v[14:17], v[18:19], off offset:2048
	v_and_b32_e32 v18, 1, v0
	v_lshl_or_b32 v18, v18, 5, v44
	ds_read_b128 v[38:41], v18
	ds_read_b128 v[18:21], v18 offset:2048
	v_and_b32_e32 v52, 63, v0
	v_cmp_gt_u32_e32 vcc, 2, v54
	v_mov_b32_e32 v48, 0
	s_and_saveexec_b64 s[10:11], vcc
	s_cbranch_execz .LBB513_15
; %bb.14:
	s_load_dwordx2 s[12:13], s[0:1], 0x40
	v_or_b32_e32 v46, s29, v54
	v_ashrrev_i32_e32 v47, 31, v46
	s_waitcnt lgkmcnt(0)
	v_lshl_add_u64 v[46:47], v[46:47], 2, s[12:13]
	global_load_dword v48, v[46:47], off
.LBB513_15:
	s_or_b64 exec, exec, s[10:11]
	s_ashr_i32 s10, s14, 31
	v_and_or_b32 v44, v0, 48, s14
	s_lshr_b32 s11, s10, 27
	v_add_u32_e32 v46, s11, v44
	v_or_b32_e32 v50, 64, v44
	v_ashrrev_i32_e32 v46, 5, v46
	v_mov_b32_e32 v49, s15
	v_cmp_gt_i32_e32 vcc, s33, v44
	v_add_u32_e32 v51, s11, v50
	s_waitcnt vmcnt(7) lgkmcnt(1)
	v_mfma_f32_16x16x16_bf16 v[56:59], v[22:23], v[38:39], 0
	v_cndmask_b32_e32 v46, v49, v46, vcc
	v_ashrrev_i32_e32 v22, 5, v51
	v_cmp_gt_i32_e32 vcc, s33, v50
	v_ashrrev_i32_e32 v47, 31, v46
	v_lshl_add_u64 v[46:47], v[46:47], 2, s[8:9]
	v_cndmask_b32_e32 v22, v49, v22, vcc
	v_ashrrev_i32_e32 v23, 31, v22
	v_lshl_add_u64 v[22:23], v[22:23], 2, s[8:9]
	global_load_dword v55, v[46:47], off
	global_load_dword v72, v[22:23], off
	s_waitcnt vmcnt(3)
	v_mfma_f32_16x16x16_bf16 v[68:71], v[34:35], v[38:39], 0
	v_or_b32_e32 v46, 0xc0, v44
	v_add_u32_e32 v50, s11, v46
	s_add_u32 s4, s6, s4
	v_mfma_f32_16x16x16_bf16 v[60:63], v[26:27], v[38:39], 0
	s_addc_u32 s5, s7, s5
	s_load_dword s10, s[0:1], 0x1c
	s_mov_b32 s42, 0xff7fffff
	v_mfma_f32_16x16x16_bf16 v[64:67], v[30:31], v[38:39], 0
	v_and_b32_e32 v31, 0xc0, v0
	v_or_b32_e32 v38, 0x80, v44
	v_add_u32_e32 v34, s14, v31
	v_mfma_f32_16x16x16_bf16 v[22:25], v[24:25], v[40:41], v[56:59]
	v_and_b32_e32 v30, 16, v0
	v_add_u32_e32 v47, s11, v38
	v_lshlrev_b32_e32 v44, 1, v30
	v_lshl_or_b32 v56, v1, 2, v34
	v_mfma_f32_16x16x16_bf16 v[34:37], v[36:37], v[40:41], v[68:71]
	v_cmp_gt_i32_e32 vcc, s33, v38
	v_lshlrev_b32_e32 v39, 6, v54
	v_or_b32_e32 v57, 1, v56
	v_mfma_f32_16x16x16_bf16 v[26:29], v[28:29], v[40:41], v[60:63]
	v_cmp_gt_i32_e64 s[34:35], s33, v57
	v_mfma_f32_16x16x16_bf16 v[30:33], v[32:33], v[40:41], v[64:67]
	v_ashrrev_i32_e32 v40, 5, v47
	v_ashrrev_i32_e32 v41, 5, v50
	v_cndmask_b32_e32 v38, v49, v40, vcc
	v_cmp_gt_i32_e32 vcc, s33, v46
	s_waitcnt lgkmcnt(0)
	v_mfma_f32_16x16x16_bf16 v[22:25], v[2:3], v[18:19], v[22:25]
	v_lshl_add_u64 v[2:3], s[4:5], 0, v[44:45]
	v_cndmask_b32_e32 v40, v49, v41, vcc
	v_lshl_or_b32 v44, v53, 10, v39
	v_ashrrev_i32_e32 v39, 31, v38
	v_ashrrev_i32_e32 v41, 31, v40
	s_waitcnt vmcnt(2)
	v_mfma_f32_16x16x16_bf16 v[34:37], v[14:15], v[18:19], v[34:37]
	v_lshl_add_u64 v[14:15], v[38:39], 2, s[8:9]
	v_subrev_u32_e32 v49, s33, v57
	v_cvt_f32_i32_e32 v58, v49
	v_mfma_f32_16x16x16_bf16 v[26:29], v[6:7], v[18:19], v[26:29]
	v_mfma_f32_16x16x16_bf16 v[30:33], v[10:11], v[18:19], v[30:33]
	v_lshl_add_u64 v[18:19], v[40:41], 2, s[8:9]
	global_load_dword v59, v[14:15], off
	global_load_dword v60, v[18:19], off
	v_lshl_add_u64 v[10:11], v[2:3], 0, v[44:45]
	v_mfma_f32_16x16x16_bf16 v[2:5], v[4:5], v[20:21], v[22:25]
	v_add_u32_e32 v44, 1, v49
	v_add_u32_e32 v45, 3, v49
	;; [unrolled: 1-line block ×3, first 2 shown]
	v_mfma_f32_16x16x16_bf16 v[14:17], v[16:17], v[20:21], v[34:37]
	v_add_u32_e32 v22, 2, v49
	s_nop 1
	v_pk_mul_f32 v[50:51], s[10:11], v[4:5] op_sel_hi:[0,1]
	v_cvt_f32_i32_e32 v18, v18
	v_mfma_f32_16x16x16_bf16 v[6:9], v[8:9], v[20:21], v[26:29]
	v_add_u32_e32 v19, 19, v49
	v_pk_mul_f32 v[34:35], s[10:11], v[16:17] op_sel_hi:[0,1]
	v_pk_mul_f32 v[36:37], s[10:11], v[14:15] op_sel_hi:[0,1]
	v_cvt_f32_i32_e32 v27, v22
	v_mfma_f32_16x16x16_bf16 v[22:25], v[12:13], v[20:21], v[30:33]
	v_pk_mul_f32 v[12:13], s[10:11], v[2:3] op_sel_hi:[0,1]
	v_cvt_f32_i32_e32 v26, v44
	v_cvt_f32_i32_e32 v28, v45
	v_pk_mul_f32 v[44:45], s[10:11], v[8:9] op_sel_hi:[0,1]
	v_pk_mul_f32 v[46:47], s[10:11], v[6:7] op_sel_hi:[0,1]
	v_cvt_f32_i32_e32 v19, v19
	v_fma_f32 v44, v48, v18, v44
	v_add_u32_e32 v18, 34, v49
	v_cvt_f32_i32_e32 v18, v18
	v_fmac_f32_e32 v45, v48, v19
	v_add_u32_e32 v19, 35, v49
	v_cvt_f32_i32_e32 v19, v19
	v_pk_mul_f32 v[40:41], s[10:11], v[22:23] op_sel_hi:[0,1]
	v_pk_mul_f32 v[38:39], s[10:11], v[24:25] op_sel_hi:[0,1]
	v_fma_f32 v38, v48, v18, v38
	v_add_u32_e32 v18, 50, v49
	s_waitcnt vmcnt(3)
	v_mad_i64_i32 v[2:3], s[4:5], v55, s45, 0
	s_waitcnt vmcnt(2)
	v_mad_i64_i32 v[4:5], s[4:5], v72, s45, 0
	v_lshl_add_u64 v[16:17], v[2:3], 1, v[10:11]
	v_lshl_add_u64 v[14:15], v[4:5], 1, v[10:11]
	global_load_dwordx4 v[6:9], v[16:17], off
	global_load_dwordx4 v[2:5], v[16:17], off offset:16
	v_add_u32_e32 v16, 16, v49
	v_cvt_f32_i32_e32 v16, v16
	v_add_u32_e32 v17, 17, v49
	v_cvt_f32_i32_e32 v17, v17
	v_fmac_f32_e32 v39, v48, v19
	v_fma_f32 v46, v48, v16, v46
	v_add_u32_e32 v16, 32, v49
	v_fmac_f32_e32 v47, v48, v17
	v_cvt_f32_i32_e32 v16, v16
	v_add_u32_e32 v17, 33, v49
	v_cvt_f32_i32_e32 v17, v17
	v_cvt_f32_i32_e32 v18, v18
	v_fma_f32 v40, v48, v16, v40
	v_add_u32_e32 v16, 48, v49
	v_fmac_f32_e32 v41, v48, v17
	v_cvt_f32_i32_e32 v16, v16
	v_add_u32_e32 v17, 49, v49
	v_cvt_f32_i32_e32 v17, v17
	v_add_u32_e32 v19, 51, v49
	v_cvt_f32_i32_e32 v19, v19
	v_fma_f32 v12, v48, v58, v12
	v_fmac_f32_e32 v13, v48, v26
	v_fma_f32 v36, v48, v16, v36
	v_mov_b32_e32 v16, 0xff7fffff
	v_cmp_gt_i32_e64 s[4:5], s33, v56
	v_fmac_f32_e32 v37, v48, v17
	v_fma_f32 v34, v48, v18, v34
	v_cndmask_b32_e64 v17, v16, v12, s[4:5]
	v_cndmask_b32_e64 v18, v16, v13, s[34:35]
	v_fmac_f32_e32 v35, v48, v19
	v_max3_f32 v17, v17, s42, v18
	v_or_b32_e32 v18, 2, v56
	v_or_b32_e32 v19, 3, v56
	v_fma_f32 v50, v48, v27, v50
	v_fmac_f32_e32 v51, v48, v28
	v_cmp_gt_i32_e64 s[36:37], s33, v18
	v_cmp_gt_i32_e64 s[38:39], s33, v19
	global_load_dwordx4 v[30:33], v[14:15], off
	global_load_dwordx4 v[26:29], v[14:15], off offset:16
	v_cndmask_b32_e64 v18, v16, v50, s[36:37]
	v_cndmask_b32_e64 v19, v16, v51, s[38:39]
	v_max3_f32 v17, v17, v18, v19
	v_or_b32_e32 v18, 16, v56
	v_or_b32_e32 v19, 17, v56
	v_cmp_gt_i32_e64 s[24:25], s33, v18
	v_cmp_gt_i32_e64 s[26:27], s33, v19
	s_nop 0
	v_cndmask_b32_e64 v18, v16, v46, s[24:25]
	v_cndmask_b32_e64 v19, v16, v47, s[26:27]
	v_max3_f32 v17, v17, v18, v19
	v_or_b32_e32 v18, 18, v56
	v_or_b32_e32 v19, 19, v56
	v_cmp_gt_i32_e64 s[20:21], s33, v18
	v_cmp_gt_i32_e64 s[22:23], s33, v19
	s_nop 0
	;; [unrolled: 8-line block ×5, first 2 shown]
	v_cndmask_b32_e64 v18, v16, v36, s[8:9]
	v_cndmask_b32_e64 v19, v16, v37, s[10:11]
	v_max3_f32 v17, v17, v18, v19
	v_or_b32_e32 v18, 50, v56
	v_or_b32_e32 v19, 51, v56
	v_cmp_gt_i32_e32 vcc, s33, v18
	v_cmp_gt_i32_e64 s[6:7], s33, v19
	s_nop 0
	v_cndmask_b32_e32 v18, v16, v34, vcc
	v_cndmask_b32_e64 v16, v16, v35, s[6:7]
	v_max3_f32 v16, v17, v18, v16
	v_mbcnt_lo_u32_b32 v17, -1, 0
	v_mbcnt_hi_u32_b32 v17, -1, v17
	v_and_b32_e32 v18, 64, v17
	v_add_u32_e32 v18, 64, v18
	v_xor_b32_e32 v19, 32, v17
	v_cmp_lt_i32_e64 s[40:41], v19, v18
	s_nop 1
	v_cndmask_b32_e64 v19, v17, v19, s[40:41]
	v_lshlrev_b32_e32 v56, 2, v19
	ds_bpermute_b32 v19, v56, v16
	s_waitcnt vmcnt(5)
	v_mad_i64_i32 v[14:15], s[40:41], v59, s45, 0
	v_lshl_add_u64 v[14:15], v[14:15], 1, v[10:11]
	s_waitcnt lgkmcnt(0)
	v_max_f32_e32 v19, v19, v19
	v_max_f32_e32 v16, v16, v19
	v_xor_b32_e32 v19, 16, v17
	v_cmp_lt_i32_e64 s[40:41], v19, v18
	s_nop 1
	v_cndmask_b32_e64 v17, v17, v19, s[40:41]
	v_lshlrev_b32_e32 v58, 2, v17
	ds_bpermute_b32 v17, v58, v16
	global_load_dwordx4 v[22:25], v[14:15], off
	global_load_dwordx4 v[18:21], v[14:15], off offset:16
	s_waitcnt vmcnt(6)
	v_mad_i64_i32 v[14:15], s[40:41], v60, s45, 0
	v_lshl_add_u64 v[10:11], v[14:15], 1, v[10:11]
	s_waitcnt lgkmcnt(0)
	v_max_f32_e32 v14, v17, v17
	v_max_f32_e32 v55, v16, v14
	v_sub_f32_e32 v12, v12, v55
	v_mul_f32_e32 v12, 0x3fb8aa3b, v12
	v_exp_f32_e32 v48, v12
	v_sub_f32_e32 v12, v13, v55
	v_mul_f32_e32 v12, 0x3fb8aa3b, v12
	v_exp_f32_e32 v49, v12
	global_load_dwordx4 v[14:17], v[10:11], off
	s_nop 0
	global_load_dwordx4 v[10:13], v[10:11], off offset:16
	v_sub_f32_e32 v50, v50, v55
	v_mul_f32_e32 v50, 0x3fb8aa3b, v50
	v_sub_f32_e32 v51, v51, v55
	v_exp_f32_e32 v50, v50
	v_mul_f32_e32 v51, 0x3fb8aa3b, v51
	v_sub_f32_e32 v46, v46, v55
	v_exp_f32_e32 v51, v51
	v_mul_f32_e32 v46, 0x3fb8aa3b, v46
	v_sub_f32_e32 v47, v47, v55
	v_cndmask_b32_e64 v48, 0, v48, s[4:5]
	v_exp_f32_e32 v46, v46
	v_mul_f32_e32 v47, 0x3fb8aa3b, v47
	v_sub_f32_e32 v44, v44, v55
	v_add_f32_e32 v57, 0, v48
	v_cndmask_b32_e64 v49, 0, v49, s[34:35]
	v_exp_f32_e32 v47, v47
	v_mul_f32_e32 v44, 0x3fb8aa3b, v44
	v_sub_f32_e32 v45, v45, v55
	v_add_f32_e32 v57, v57, v49
	;; [unrolled: 5-line block ×10, first 2 shown]
	v_cndmask_b32_e64 v38, 0, v38, s[12:13]
	v_exp_f32_e32 v34, v34
	v_mul_f32_e32 v35, 0x3fb8aa3b, v35
	v_add_f32_e32 v57, v57, v38
	v_cndmask_b32_e64 v39, 0, v39, s[14:15]
	v_exp_f32_e32 v35, v35
	v_add_f32_e32 v57, v57, v39
	v_cndmask_b32_e64 v36, 0, v36, s[8:9]
	v_add_f32_e32 v57, v57, v36
	v_cndmask_b32_e64 v37, 0, v37, s[10:11]
	v_add_f32_e32 v57, v57, v37
	v_cndmask_b32_e32 v34, 0, v34, vcc
	v_add_f32_e32 v57, v57, v34
	v_cndmask_b32_e64 v35, 0, v35, s[6:7]
	v_add_f32_e32 v57, v57, v35
	ds_bpermute_b32 v56, v56, v57
	s_load_dword s7, s[0:1], 0x98
	v_cmp_gt_u32_e32 vcc, 16, v52
	s_waitcnt lgkmcnt(0)
	s_barrier
	v_add_f32_e32 v57, v57, v56
	ds_bpermute_b32 v58, v58, v57
	v_lshlrev_b32_e32 v56, 2, v54
	s_waitcnt lgkmcnt(0)
	s_and_saveexec_b64 s[4:5], vcc
	s_cbranch_execz .LBB513_17
; %bb.16:
	v_add_f32_e32 v57, v57, v58
	v_lshl_or_b32 v58, v53, 6, v56
	ds_write2st64_b32 v58, v55, v57 offset1:1
.LBB513_17:
	s_or_b64 exec, exec, s[4:5]
	s_load_dword s6, s[0:1], 0x94
	s_waitcnt lgkmcnt(0)
	s_barrier
	ds_read2_b32 v[58:59], v56 offset1:16
	ds_read2_b32 v[60:61], v56 offset0:32 offset1:48
	ds_read2_b32 v[62:63], v56 offset0:64 offset1:80
	s_movk_i32 s8, 0x7fff
	s_mov_b32 s9, 0x7060302
	s_waitcnt lgkmcnt(2)
	v_max3_f32 v55, v58, s42, v59
	s_waitcnt lgkmcnt(1)
	v_max3_f32 v55, v55, v60, v61
	v_sub_f32_e32 v57, v58, v55
	v_sub_f32_e32 v58, v59, v55
	v_mul_f32_e32 v58, 0x3fb8aa3b, v58
	v_mul_f32_e32 v57, 0x3fb8aa3b, v57
	v_exp_f32_e32 v64, v58
	v_sub_f32_e32 v58, v60, v55
	v_exp_f32_e32 v57, v57
	v_mul_f32_e32 v58, 0x3fb8aa3b, v58
	v_exp_f32_e32 v60, v58
	ds_read2_b32 v[58:59], v56 offset0:96 offset1:112
	v_sub_f32_e32 v56, v61, v55
	v_mul_f32_e32 v56, 0x3fb8aa3b, v56
	v_exp_f32_e32 v61, v56
	s_waitcnt lgkmcnt(1)
	v_fma_f32 v56, v57, v62, 0
	v_fmac_f32_e32 v56, v64, v63
	s_waitcnt lgkmcnt(0)
	v_fmac_f32_e32 v56, v60, v58
	v_fmac_f32_e32 v56, v61, v59
	v_add_f32_e32 v58, 0x358637bd, v56
	v_div_scale_f32 v59, s[4:5], v58, v58, 1.0
	v_rcp_f32_e32 v62, v59
	s_lshl_b32 s7, s7, 1
	s_barrier
	v_fma_f32 v63, -v59, v62, 1.0
	v_fmac_f32_e32 v62, v63, v62
	v_div_scale_f32 v63, vcc, 1.0, v58, 1.0
	v_mul_f32_e32 v65, v63, v62
	v_fma_f32 v66, -v59, v65, v63
	v_fmac_f32_e32 v65, v66, v62
	v_fma_f32 v59, -v59, v65, v63
	v_div_fmas_f32 v59, v59, v62, v65
	v_cmp_eq_u32_e32 vcc, 1, v53
	v_div_fixup_f32 v58, v59, v58, 1.0
	s_nop 0
	v_cndmask_b32_e32 v57, v57, v64, vcc
	v_cmp_eq_u32_e32 vcc, 2, v53
	s_nop 1
	v_cndmask_b32_e32 v57, v57, v60, vcc
	v_cmp_eq_u32_e32 vcc, 3, v53
	s_nop 1
	v_cndmask_b32_e32 v57, v57, v61, vcc
	v_mul_f32_e32 v58, v57, v58
	v_pk_mul_f32 v[48:49], v[58:59], v[48:49] op_sel_hi:[0,1]
	v_pk_mul_f32 v[50:51], v[58:59], v[50:51] op_sel_hi:[0,1]
	v_bfe_u32 v57, v49, 16, 1
	v_bfe_u32 v59, v48, 16, 1
	v_add3_u32 v48, v48, v59, s8
	v_add3_u32 v49, v49, v57, s8
	v_perm_b32 v60, v49, v48, s9
	v_bfe_u32 v48, v51, 16, 1
	v_bfe_u32 v49, v50, 16, 1
	v_add3_u32 v49, v50, v49, s8
	v_add3_u32 v48, v51, v48, s8
	v_perm_b32 v61, v48, v49, s9
	v_lshlrev_b32_e32 v48, 3, v1
	v_lshlrev_b32_e32 v49, 5, v54
	;; [unrolled: 1-line block ×3, first 2 shown]
	v_pk_mul_f32 v[46:47], v[58:59], v[46:47] op_sel_hi:[0,1]
	v_or3_b32 v48, v50, v49, v48
	v_bfe_u32 v50, v47, 16, 1
	v_bfe_u32 v51, v46, 16, 1
	v_pk_mul_f32 v[44:45], v[58:59], v[44:45] op_sel_hi:[0,1]
	v_add3_u32 v46, v46, v51, s8
	v_add3_u32 v47, v47, v50, s8
	v_perm_b32 v46, v47, v46, s9
	v_bfe_u32 v47, v45, 16, 1
	v_bfe_u32 v50, v44, 16, 1
	v_add3_u32 v44, v44, v50, s8
	v_add3_u32 v45, v45, v47, s8
	v_pk_mul_f32 v[40:41], v[58:59], v[40:41] op_sel_hi:[0,1]
	v_perm_b32 v47, v45, v44, s9
	v_bfe_u32 v44, v41, 16, 1
	v_bfe_u32 v45, v40, 16, 1
	v_pk_mul_f32 v[38:39], v[58:59], v[38:39] op_sel_hi:[0,1]
	v_add3_u32 v40, v40, v45, s8
	v_add3_u32 v41, v41, v44, s8
	v_perm_b32 v40, v41, v40, s9
	v_bfe_u32 v41, v39, 16, 1
	v_bfe_u32 v44, v38, 16, 1
	v_add3_u32 v38, v38, v44, s8
	v_add3_u32 v39, v39, v41, s8
	v_pk_mul_f32 v[36:37], v[58:59], v[36:37] op_sel_hi:[0,1]
	v_perm_b32 v41, v39, v38, s9
	v_bfe_u32 v38, v37, 16, 1
	v_bfe_u32 v39, v36, 16, 1
	v_pk_mul_f32 v[34:35], v[58:59], v[34:35] op_sel_hi:[0,1]
	v_add3_u32 v36, v36, v39, s8
	v_add3_u32 v37, v37, v38, s8
	v_perm_b32 v36, v37, v36, s9
	v_bfe_u32 v37, v35, 16, 1
	v_bfe_u32 v38, v34, 16, 1
	v_add3_u32 v34, v34, v38, s8
	v_add3_u32 v35, v35, v37, s8
	v_perm_b32 v37, v35, v34, s9
	v_cmp_gt_u32_e32 vcc, 2, v0
	ds_write2st64_b64 v48, v[60:61], v[46:47] offset1:1
	ds_write2st64_b64 v48, v[40:41], v[36:37] offset0:2 offset1:3
	s_and_saveexec_b64 s[4:5], vcc
	s_cbranch_execz .LBB513_19
; %bb.18:
	v_or_b32_e32 v34, s29, v0
	v_mov_b32_e32 v35, 0
	v_mov_b32_e32 v36, s7
	v_mad_u64_u32 v[36:37], s[10:11], s2, v36, v[34:35]
	v_mov_b32_e32 v34, s28
	s_load_dwordx4 s[12:15], s[0:1], 0x58
	s_mul_i32 s3, s3, s7
	v_mad_u64_u32 v[34:35], s[10:11], v36, s6, v[34:35]
	v_add_u32_e32 v37, s3, v37
	v_mov_b32_e32 v36, v35
	v_mad_u64_u32 v[36:37], s[10:11], v37, s6, v[36:37]
	v_mov_b32_e32 v35, v36
	v_lshlrev_b64 v[34:35], 2, v[34:35]
	s_waitcnt lgkmcnt(0)
	v_lshl_add_u64 v[36:37], s[14:15], 0, v[34:35]
	v_lshl_add_u64 v[34:35], s[12:13], 0, v[34:35]
	global_store_dword v[36:37], v55, off
	global_store_dword v[34:35], v56, off
.LBB513_19:
	s_or_b64 exec, exec, s[4:5]
	v_lshl_or_b32 v49, v1, 9, v49
	s_waitcnt lgkmcnt(0)
	s_barrier
	ds_read_b128 v[34:37], v49
	ds_read_b128 v[38:41], v49 offset:16
	s_waitcnt vmcnt(7) lgkmcnt(1)
	v_mfma_f32_16x16x16_bf16 v[44:47], v[6:7], v[34:35], 0
	v_cmp_gt_u32_e32 vcc, 64, v0
	v_cmp_gt_u32_e64 s[4:5], 32, v52
	s_and_b64 s[4:5], s[4:5], vcc
	v_mfma_f32_16x16x16_bf16 v[6:9], v[8:9], v[36:37], v[44:47]
	s_mov_b32 s3, 0
	s_and_b64 s[4:5], s[4:5], s[30:31]
	s_waitcnt vmcnt(6) lgkmcnt(0)
	v_mfma_f32_16x16x16_bf16 v[6:9], v[2:3], v[38:39], v[6:9]
	v_mfma_f32_16x16x16_bf16 v[2:5], v[4:5], v[40:41], v[6:9]
	s_nop 5
	ds_read_b128 v[6:9], v49 offset:2048
	ds_read_b128 v[34:37], v49 offset:2064
	s_waitcnt vmcnt(5) lgkmcnt(1)
	v_mfma_f32_16x16x16_bf16 v[2:5], v[30:31], v[6:7], v[2:5]
	v_mfma_f32_16x16x16_bf16 v[2:5], v[32:33], v[8:9], v[2:5]
	s_waitcnt vmcnt(4) lgkmcnt(0)
	v_mfma_f32_16x16x16_bf16 v[2:5], v[26:27], v[34:35], v[2:5]
	v_mfma_f32_16x16x16_bf16 v[2:5], v[28:29], v[36:37], v[2:5]
	ds_read_b128 v[6:9], v49 offset:4096
	ds_read_b128 v[26:29], v49 offset:4112
	s_waitcnt vmcnt(3) lgkmcnt(1)
	v_mfma_f32_16x16x16_bf16 v[2:5], v[22:23], v[6:7], v[2:5]
	v_mfma_f32_16x16x16_bf16 v[2:5], v[24:25], v[8:9], v[2:5]
	s_waitcnt vmcnt(2) lgkmcnt(0)
	v_mfma_f32_16x16x16_bf16 v[2:5], v[18:19], v[26:27], v[2:5]
	v_mfma_f32_16x16x16_bf16 v[2:5], v[20:21], v[28:29], v[2:5]
	ds_read_b128 v[6:9], v49 offset:6144
	ds_read_b128 v[18:21], v49 offset:6160
	s_waitcnt lgkmcnt(0)
	s_barrier
	s_waitcnt vmcnt(1)
	v_mfma_f32_16x16x16_bf16 v[2:5], v[14:15], v[6:7], v[2:5]
	v_mfma_f32_16x16x16_bf16 v[2:5], v[16:17], v[8:9], v[2:5]
	s_waitcnt vmcnt(0)
	v_mfma_f32_16x16x16_bf16 v[2:5], v[10:11], v[18:19], v[2:5]
	v_mfma_f32_16x16x16_bf16 v[2:5], v[12:13], v[20:21], v[2:5]
	s_nop 6
	v_bfe_u32 v6, v3, 16, 1
	v_bfe_u32 v7, v2, 16, 1
	v_bfe_u32 v8, v5, 16, 1
	v_bfe_u32 v9, v4, 16, 1
	v_add3_u32 v2, v2, v7, s8
	v_add3_u32 v3, v3, v6, s8
	;; [unrolled: 1-line block ×4, first 2 shown]
	v_perm_b32 v2, v3, v2, s9
	v_perm_b32 v3, v5, v4, s9
	ds_write_b64 v48, v[2:3]
	s_waitcnt lgkmcnt(0)
	s_barrier
	s_and_saveexec_b64 s[8:9], s[4:5]
	s_cbranch_execz .LBB513_21
; %bb.20:
	s_load_dwordx2 s[0:1], s[0:1], 0x68
	s_mul_i32 s2, s7, s2
	s_lshl_b32 s6, s6, 6
	s_mul_hi_u32 s5, s2, s6
	s_mul_i32 s4, s2, s6
	v_lshlrev_b32_e32 v2, 10, v0
	v_lshlrev_b32_e32 v0, 4, v0
	s_lshl_b64 s[4:5], s[4:5], 1
	v_and_b32_e32 v2, 0x1800, v2
	v_lshlrev_b32_e32 v3, 5, v1
	v_and_b32_e32 v0, 16, v0
	s_waitcnt lgkmcnt(0)
	s_add_u32 s4, s0, s4
	v_or3_b32 v0, v2, v3, v0
	s_addc_u32 s5, s1, s5
	s_lshl_b32 s2, s28, 6
	ds_read_b128 v[2:5], v0
	s_lshl_b64 s[0:1], s[2:3], 1
	s_add_u32 s0, s4, s0
	v_or_b32_e32 v0, s29, v1
	s_addc_u32 s1, s5, s1
	v_mad_u64_u32 v[0:1], s[2:3], s6, v0, 0
	v_lshl_add_u64 v[0:1], v[0:1], 1, s[0:1]
	v_lshl_add_u64 v[0:1], v[42:43], 1, v[0:1]
	s_waitcnt lgkmcnt(0)
	global_store_dwordx4 v[0:1], v[2:5], off
.LBB513_21:
	s_endpgm
	.section	.rodata,"a",@progbits
	.p2align	6, 0x0
	.amdhsa_kernel _Z39paged_attention_ll4mi_QKV_mfma16_kernelI14__hip_bfloat16S0_LN4vllm18Fp8KVCacheDataTypeE0EhLi32ELi64ELi256ELb1ELi2EEvPKT_PKT0_S8_ifPKiSA_SA_iPKfiiiPfSD_PS3_PT2_iSC_SC_
		.amdhsa_group_segment_fixed_size 8192
		.amdhsa_private_segment_fixed_size 0
		.amdhsa_kernarg_size 400
		.amdhsa_user_sgpr_count 2
		.amdhsa_user_sgpr_dispatch_ptr 0
		.amdhsa_user_sgpr_queue_ptr 0
		.amdhsa_user_sgpr_kernarg_segment_ptr 1
		.amdhsa_user_sgpr_dispatch_id 0
		.amdhsa_user_sgpr_kernarg_preload_length 0
		.amdhsa_user_sgpr_kernarg_preload_offset 0
		.amdhsa_user_sgpr_private_segment_size 0
		.amdhsa_uses_dynamic_stack 0
		.amdhsa_enable_private_segment 0
		.amdhsa_system_sgpr_workgroup_id_x 1
		.amdhsa_system_sgpr_workgroup_id_y 1
		.amdhsa_system_sgpr_workgroup_id_z 1
		.amdhsa_system_sgpr_workgroup_info 0
		.amdhsa_system_vgpr_workitem_id 0
		.amdhsa_next_free_vgpr 73
		.amdhsa_next_free_sgpr 48
		.amdhsa_accum_offset 76
		.amdhsa_reserve_vcc 1
		.amdhsa_float_round_mode_32 0
		.amdhsa_float_round_mode_16_64 0
		.amdhsa_float_denorm_mode_32 3
		.amdhsa_float_denorm_mode_16_64 3
		.amdhsa_dx10_clamp 1
		.amdhsa_ieee_mode 1
		.amdhsa_fp16_overflow 0
		.amdhsa_tg_split 0
		.amdhsa_exception_fp_ieee_invalid_op 0
		.amdhsa_exception_fp_denorm_src 0
		.amdhsa_exception_fp_ieee_div_zero 0
		.amdhsa_exception_fp_ieee_overflow 0
		.amdhsa_exception_fp_ieee_underflow 0
		.amdhsa_exception_fp_ieee_inexact 0
		.amdhsa_exception_int_div_zero 0
	.end_amdhsa_kernel
	.section	.text._Z39paged_attention_ll4mi_QKV_mfma16_kernelI14__hip_bfloat16S0_LN4vllm18Fp8KVCacheDataTypeE0EhLi32ELi64ELi256ELb1ELi2EEvPKT_PKT0_S8_ifPKiSA_SA_iPKfiiiPfSD_PS3_PT2_iSC_SC_,"axG",@progbits,_Z39paged_attention_ll4mi_QKV_mfma16_kernelI14__hip_bfloat16S0_LN4vllm18Fp8KVCacheDataTypeE0EhLi32ELi64ELi256ELb1ELi2EEvPKT_PKT0_S8_ifPKiSA_SA_iPKfiiiPfSD_PS3_PT2_iSC_SC_,comdat
.Lfunc_end513:
	.size	_Z39paged_attention_ll4mi_QKV_mfma16_kernelI14__hip_bfloat16S0_LN4vllm18Fp8KVCacheDataTypeE0EhLi32ELi64ELi256ELb1ELi2EEvPKT_PKT0_S8_ifPKiSA_SA_iPKfiiiPfSD_PS3_PT2_iSC_SC_, .Lfunc_end513-_Z39paged_attention_ll4mi_QKV_mfma16_kernelI14__hip_bfloat16S0_LN4vllm18Fp8KVCacheDataTypeE0EhLi32ELi64ELi256ELb1ELi2EEvPKT_PKT0_S8_ifPKiSA_SA_iPKfiiiPfSD_PS3_PT2_iSC_SC_
                                        ; -- End function
	.section	.AMDGPU.csdata,"",@progbits
; Kernel info:
; codeLenInByte = 4344
; NumSgprs: 54
; NumVgprs: 73
; NumAgprs: 0
; TotalNumVgprs: 73
; ScratchSize: 0
; MemoryBound: 0
; FloatMode: 240
; IeeeMode: 1
; LDSByteSize: 8192 bytes/workgroup (compile time only)
; SGPRBlocks: 6
; VGPRBlocks: 9
; NumSGPRsForWavesPerEU: 54
; NumVGPRsForWavesPerEU: 73
; AccumOffset: 76
; Occupancy: 6
; WaveLimiterHint : 1
; COMPUTE_PGM_RSRC2:SCRATCH_EN: 0
; COMPUTE_PGM_RSRC2:USER_SGPR: 2
; COMPUTE_PGM_RSRC2:TRAP_HANDLER: 0
; COMPUTE_PGM_RSRC2:TGID_X_EN: 1
; COMPUTE_PGM_RSRC2:TGID_Y_EN: 1
; COMPUTE_PGM_RSRC2:TGID_Z_EN: 1
; COMPUTE_PGM_RSRC2:TIDIG_COMP_CNT: 0
; COMPUTE_PGM_RSRC3_GFX90A:ACCUM_OFFSET: 18
; COMPUTE_PGM_RSRC3_GFX90A:TG_SPLIT: 0
	.section	.text._Z39paged_attention_ll4mi_QKV_mfma16_kernelI14__hip_bfloat16S0_LN4vllm18Fp8KVCacheDataTypeE0EhLi32ELi64ELi256ELb1ELi3EEvPKT_PKT0_S8_ifPKiSA_SA_iPKfiiiPfSD_PS3_PT2_iSC_SC_,"axG",@progbits,_Z39paged_attention_ll4mi_QKV_mfma16_kernelI14__hip_bfloat16S0_LN4vllm18Fp8KVCacheDataTypeE0EhLi32ELi64ELi256ELb1ELi3EEvPKT_PKT0_S8_ifPKiSA_SA_iPKfiiiPfSD_PS3_PT2_iSC_SC_,comdat
	.protected	_Z39paged_attention_ll4mi_QKV_mfma16_kernelI14__hip_bfloat16S0_LN4vllm18Fp8KVCacheDataTypeE0EhLi32ELi64ELi256ELb1ELi3EEvPKT_PKT0_S8_ifPKiSA_SA_iPKfiiiPfSD_PS3_PT2_iSC_SC_ ; -- Begin function _Z39paged_attention_ll4mi_QKV_mfma16_kernelI14__hip_bfloat16S0_LN4vllm18Fp8KVCacheDataTypeE0EhLi32ELi64ELi256ELb1ELi3EEvPKT_PKT0_S8_ifPKiSA_SA_iPKfiiiPfSD_PS3_PT2_iSC_SC_
	.globl	_Z39paged_attention_ll4mi_QKV_mfma16_kernelI14__hip_bfloat16S0_LN4vllm18Fp8KVCacheDataTypeE0EhLi32ELi64ELi256ELb1ELi3EEvPKT_PKT0_S8_ifPKiSA_SA_iPKfiiiPfSD_PS3_PT2_iSC_SC_
	.p2align	8
	.type	_Z39paged_attention_ll4mi_QKV_mfma16_kernelI14__hip_bfloat16S0_LN4vllm18Fp8KVCacheDataTypeE0EhLi32ELi64ELi256ELb1ELi3EEvPKT_PKT0_S8_ifPKiSA_SA_iPKfiiiPfSD_PS3_PT2_iSC_SC_,@function
_Z39paged_attention_ll4mi_QKV_mfma16_kernelI14__hip_bfloat16S0_LN4vllm18Fp8KVCacheDataTypeE0EhLi32ELi64ELi256ELb1ELi3EEvPKT_PKT0_S8_ifPKiSA_SA_iPKfiiiPfSD_PS3_PT2_iSC_SC_: ; @_Z39paged_attention_ll4mi_QKV_mfma16_kernelI14__hip_bfloat16S0_LN4vllm18Fp8KVCacheDataTypeE0EhLi32ELi64ELi256ELb1ELi3EEvPKT_PKT0_S8_ifPKiSA_SA_iPKfiiiPfSD_PS3_PT2_iSC_SC_
; %bb.0:
	s_load_dwordx2 s[6:7], s[0:1], 0x30
	s_mov_b32 s28, s3
	s_mov_b64 s[8:9], 0
	s_waitcnt lgkmcnt(0)
	s_cmp_lg_u64 s[6:7], 0
	s_cselect_b64 s[10:11], -1, 0
	s_and_b64 vcc, exec, s[10:11]
	s_cbranch_vccz .LBB514_7
; %bb.1:
	s_add_i32 s12, s2, 1
	s_mov_b32 s13, 0
	s_lshl_b64 s[14:15], s[12:13], 2
	s_add_u32 s14, s6, s14
	s_mov_b32 s3, s13
	s_addc_u32 s15, s7, s15
	s_lshl_b64 s[12:13], s[2:3], 2
	s_add_u32 s12, s6, s12
	s_addc_u32 s13, s7, s13
	s_load_dword s5, s[14:15], 0x0
	s_load_dword s16, s[12:13], 0x0
	s_waitcnt lgkmcnt(0)
	s_sub_i32 s5, s5, s16
	s_cmp_eq_u32 s5, 1
	s_cselect_b64 s[12:13], -1, 0
	s_andn2_b64 vcc, exec, s[8:9]
	s_cbranch_vccnz .LBB514_3
.LBB514_2:
	s_mov_b32 s3, 0
	s_mov_b64 s[12:13], -1
.LBB514_3:
	s_andn2_b64 vcc, exec, s[12:13]
	s_cbranch_vccnz .LBB514_21
; %bb.4:
	s_load_dwordx2 s[8:9], s[0:1], 0x28
	s_lshl_b64 s[12:13], s[2:3], 2
	s_waitcnt lgkmcnt(0)
	s_add_u32 s8, s8, s12
	s_addc_u32 s9, s9, s13
	s_load_dword s29, s[8:9], 0x0
	s_lshl_b32 s14, s28, 8
	s_waitcnt lgkmcnt(0)
	s_cmp_ge_i32 s14, s29
	s_cbranch_scc1 .LBB514_21
; %bb.5:
	s_load_dwordx2 s[8:9], s[0:1], 0x20
	s_load_dword s5, s[0:1], 0x38
	s_add_i32 s15, s29, 31
	s_ashr_i32 s16, s15, 31
	v_and_b32_e32 v1, 0xcf, v0
	s_lshr_b32 s16, s16, 27
	v_add_u32_e32 v1, s14, v1
	s_add_i32 s15, s15, s16
	v_ashrrev_i32_e32 v2, 31, v1
	s_ashr_i32 s15, s15, 5
	v_lshrrev_b32_e32 v6, 27, v2
	s_add_i32 s15, s15, -1
	s_waitcnt lgkmcnt(0)
	s_mul_i32 s16, s2, s5
	s_mov_b32 s17, 0
	v_add_u32_e32 v2, v1, v6
	s_lshl_b64 s[16:17], s[16:17], 2
	v_ashrrev_i32_e32 v2, 5, v2
	v_mov_b32_e32 v7, s15
	v_cmp_gt_i32_e32 vcc, s29, v1
	s_add_u32 s8, s8, s16
	s_addc_u32 s9, s9, s17
	v_cndmask_b32_e32 v2, v7, v2, vcc
	v_ashrrev_i32_e32 v3, 31, v2
	v_lshl_add_u64 v[4:5], v[2:3], 2, s[8:9]
	v_or_b32_e32 v2, 16, v1
	v_add_u32_e32 v3, v2, v6
	v_ashrrev_i32_e32 v3, 5, v3
	v_cmp_gt_i32_e32 vcc, s29, v2
	s_nop 1
	v_cndmask_b32_e32 v2, v7, v3, vcc
	v_ashrrev_i32_e32 v3, 31, v2
	v_lshl_add_u64 v[8:9], v[2:3], 2, s[8:9]
	v_or_b32_e32 v2, 32, v1
	v_add_u32_e32 v3, v2, v6
	v_ashrrev_i32_e32 v3, 5, v3
	v_cmp_gt_i32_e32 vcc, s29, v2
	v_or_b32_e32 v1, 48, v1
	s_nop 0
	v_cndmask_b32_e32 v2, v7, v3, vcc
	v_ashrrev_i32_e32 v3, 31, v2
	v_lshl_add_u64 v[12:13], v[2:3], 2, s[8:9]
	v_add_u32_e32 v2, v1, v6
	v_ashrrev_i32_e32 v2, 5, v2
	v_cmp_gt_i32_e32 vcc, s29, v1
	s_nop 1
	v_cndmask_b32_e32 v2, v7, v2, vcc
	v_ashrrev_i32_e32 v3, 31, v2
	v_lshl_add_u64 v[16:17], v[2:3], 2, s[8:9]
	global_load_dword v2, v[4:5], off
	global_load_dword v6, v[8:9], off
	;; [unrolled: 1-line block ×4, first 2 shown]
	s_andn2_b64 vcc, exec, s[10:11]
	s_cbranch_vccnz .LBB514_8
; %bb.6:
	s_add_u32 s6, s6, s12
	s_addc_u32 s7, s7, s13
	s_load_dword s5, s[6:7], 0x0
	s_branch .LBB514_9
.LBB514_7:
	s_mov_b64 s[12:13], 0
	s_branch .LBB514_2
.LBB514_8:
	s_mov_b32 s5, s2
.LBB514_9:
	s_load_dwordx2 s[10:11], s[0:1], 0x8
	s_load_dwordx4 s[44:47], s[0:1], 0x48
	v_lshrrev_b32_e32 v45, 6, v0
	v_bfe_u32 v1, v0, 4, 2
	v_lshl_or_b32 v3, v45, 2, v1
	v_and_b32_e32 v44, 15, v0
	v_cmp_lt_u32_e32 vcc, 2, v3
	v_cmp_lt_u32_e64 s[6:7], 7, v44
	s_mul_i32 s42, s4, 3
	v_lshlrev_b32_e32 v42, 3, v44
	v_cmp_gt_u32_e64 s[30:31], 8, v44
	s_or_b64 s[6:7], s[6:7], vcc
	s_and_saveexec_b64 s[12:13], s[6:7]
	s_xor_b64 s[6:7], exec, s[12:13]
; %bb.10:
	v_mov_b32_e32 v43, 0
                                        ; implicit-def: $vgpr3
; %bb.11:
	s_or_saveexec_b64 s[12:13], s[6:7]
	s_load_dwordx2 s[6:7], s[0:1], 0x10
	v_add_u32_e32 v54, s42, v1
	s_xor_b64 exec, exec, s[12:13]
	s_cbranch_execz .LBB514_13
; %bb.12:
	s_load_dwordx2 s[16:17], s[0:1], 0x0
	s_waitcnt lgkmcnt(0)
	s_ashr_i32 s18, s44, 31
	s_mul_hi_u32 s19, s5, s44
	s_mul_i32 s18, s5, s18
	s_add_i32 s19, s19, s18
	s_mul_i32 s18, s5, s44
	s_lshl_b64 s[18:19], s[18:19], 1
	s_add_u32 s16, s16, s18
	v_lshlrev_b32_e32 v4, 6, v54
	s_addc_u32 s17, s17, s19
	v_ashrrev_i32_e32 v5, 31, v4
	v_mov_b32_e32 v43, 0
	v_lshl_add_u64 v[4:5], v[4:5], 1, s[16:17]
	v_lshlrev_b32_e32 v8, 1, v42
	v_mov_b32_e32 v9, v43
	v_lshl_add_u64 v[4:5], v[4:5], 0, v[8:9]
	global_load_dwordx4 v[16:19], v[4:5], off
	v_and_b32_e32 v4, 3, v0
	v_lshlrev_b32_e32 v5, 9, v44
	v_lshlrev_b32_e32 v3, 5, v3
	;; [unrolled: 1-line block ×3, first 2 shown]
	v_and_b32_e32 v5, 0x1800, v5
	v_or3_b32 v3, v5, v4, v3
	s_waitcnt vmcnt(0)
	ds_write_b128 v3, v[16:19]
.LBB514_13:
	s_or_b64 exec, exec, s[12:13]
	s_waitcnt lgkmcnt(0)
	s_mul_i32 s4, s4, s46
	s_mov_b32 s5, 0
	s_lshl_b64 s[4:5], s[4:5], 1
	s_add_u32 s10, s10, s4
	s_addc_u32 s11, s11, s5
	s_waitcnt vmcnt(3)
	v_mad_i64_i32 v[2:3], s[12:13], v2, s45, 0
	v_lshl_add_u64 v[2:3], v[2:3], 1, s[10:11]
	v_lshlrev_b64 v[12:13], 1, v[42:43]
	v_lshlrev_b32_e32 v46, 9, v1
	v_lshl_add_u64 v[2:3], v[2:3], 0, v[12:13]
	v_mov_b32_e32 v47, 0
	v_lshl_add_u64 v[8:9], v[2:3], 0, v[46:47]
	s_barrier
	global_load_dwordx4 v[22:25], v[8:9], off
	global_load_dwordx4 v[2:5], v[8:9], off offset:2048
	s_waitcnt vmcnt(4)
	v_mad_i64_i32 v[6:7], s[12:13], v6, s45, 0
	v_mov_b32_e32 v8, 0x100
	v_lshl_add_u64 v[6:7], v[6:7], 1, s[10:11]
	v_lshl_or_b32 v16, v44, 4, v8
	v_mov_b32_e32 v17, v47
	s_waitcnt vmcnt(3)
	v_mad_i64_i32 v[10:11], s[12:13], v10, s45, 0
	v_lshl_add_u64 v[6:7], v[6:7], 0, v[16:17]
	v_lshl_add_u64 v[10:11], v[10:11], 1, s[10:11]
	s_waitcnt vmcnt(2)
	v_mad_i64_i32 v[14:15], s[12:13], v14, s45, 0
	v_lshl_add_u64 v[18:19], v[6:7], 0, v[46:47]
	v_lshl_add_u64 v[10:11], v[10:11], 0, v[12:13]
	;; [unrolled: 1-line block ×3, first 2 shown]
	global_load_dwordx4 v[26:29], v[18:19], off
	global_load_dwordx4 v[6:9], v[18:19], off offset:2048
	v_lshl_add_u64 v[18:19], v[10:11], 0, v[46:47]
	v_lshl_add_u64 v[14:15], v[14:15], 0, v[16:17]
	global_load_dwordx4 v[30:33], v[18:19], off
	global_load_dwordx4 v[10:13], v[18:19], off offset:2048
	v_lshl_add_u64 v[18:19], v[14:15], 0, v[46:47]
	global_load_dwordx4 v[34:37], v[18:19], off
	global_load_dwordx4 v[14:17], v[18:19], off offset:2048
	v_mul_lo_u16_e32 v18, 0x56, v44
	v_mov_b32_e32 v19, 3
	v_mul_lo_u16_sdwa v18, v18, v19 dst_sel:DWORD dst_unused:UNUSED_PAD src0_sel:BYTE_1 src1_sel:DWORD
	v_sub_u16_e32 v18, v44, v18
	v_and_b32_e32 v18, 0xff, v18
	v_lshl_add_u32 v18, v18, 5, v46
	ds_read_b128 v[38:41], v18
	ds_read_b128 v[18:21], v18 offset:2048
	v_and_b32_e32 v55, 63, v0
	v_cmp_gt_u32_e32 vcc, 3, v44
	v_mov_b32_e32 v50, 0
	s_and_saveexec_b64 s[10:11], vcc
	s_cbranch_execz .LBB514_15
; %bb.14:
	s_load_dwordx2 s[12:13], s[0:1], 0x40
	v_add_u32_e32 v48, s42, v44
	v_ashrrev_i32_e32 v49, 31, v48
	s_waitcnt lgkmcnt(0)
	v_lshl_add_u64 v[48:49], v[48:49], 2, s[12:13]
	global_load_dword v50, v[48:49], off
.LBB514_15:
	s_or_b64 exec, exec, s[10:11]
	s_ashr_i32 s10, s14, 31
	v_and_or_b32 v46, v0, 48, s14
	s_lshr_b32 s11, s10, 27
	v_add_u32_e32 v48, s11, v46
	v_or_b32_e32 v52, 64, v46
	v_ashrrev_i32_e32 v48, 5, v48
	v_mov_b32_e32 v51, s15
	v_cmp_gt_i32_e32 vcc, s29, v46
	v_add_u32_e32 v53, s11, v52
	s_waitcnt vmcnt(7) lgkmcnt(1)
	v_mfma_f32_16x16x16_bf16 v[56:59], v[22:23], v[38:39], 0
	v_cndmask_b32_e32 v48, v51, v48, vcc
	v_ashrrev_i32_e32 v22, 5, v53
	v_cmp_gt_i32_e32 vcc, s29, v52
	v_ashrrev_i32_e32 v49, 31, v48
	v_lshl_add_u64 v[48:49], v[48:49], 2, s[8:9]
	v_cndmask_b32_e32 v22, v51, v22, vcc
	v_ashrrev_i32_e32 v23, 31, v22
	v_lshl_add_u64 v[22:23], v[22:23], 2, s[8:9]
	global_load_dword v72, v[48:49], off
	global_load_dword v73, v[22:23], off
	s_waitcnt vmcnt(3)
	v_mfma_f32_16x16x16_bf16 v[68:71], v[34:35], v[38:39], 0
	v_or_b32_e32 v48, 0xc0, v46
	v_add_u32_e32 v52, s11, v48
	s_add_u32 s4, s6, s4
	v_mfma_f32_16x16x16_bf16 v[60:63], v[26:27], v[38:39], 0
	s_addc_u32 s5, s7, s5
	s_load_dword s10, s[0:1], 0x1c
	s_mov_b32 s33, 0xff7fffff
	v_mfma_f32_16x16x16_bf16 v[64:67], v[30:31], v[38:39], 0
	v_and_b32_e32 v31, 0xc0, v0
	v_or_b32_e32 v38, 0x80, v46
	v_add_u32_e32 v34, s14, v31
	v_mfma_f32_16x16x16_bf16 v[22:25], v[24:25], v[40:41], v[56:59]
	v_and_b32_e32 v30, 16, v0
	v_add_u32_e32 v49, s11, v38
	v_lshlrev_b32_e32 v46, 1, v30
	v_lshl_or_b32 v56, v1, 2, v34
	v_mfma_f32_16x16x16_bf16 v[34:37], v[36:37], v[40:41], v[68:71]
	v_cmp_gt_i32_e32 vcc, s29, v38
	v_lshlrev_b32_e32 v39, 6, v44
	v_or_b32_e32 v57, 1, v56
	v_mfma_f32_16x16x16_bf16 v[26:29], v[28:29], v[40:41], v[60:63]
	v_cmp_gt_i32_e64 s[34:35], s29, v57
	v_mfma_f32_16x16x16_bf16 v[30:33], v[32:33], v[40:41], v[64:67]
	v_ashrrev_i32_e32 v40, 5, v49
	v_ashrrev_i32_e32 v41, 5, v52
	v_cndmask_b32_e32 v38, v51, v40, vcc
	v_cmp_gt_i32_e32 vcc, s29, v48
	s_waitcnt lgkmcnt(0)
	v_mfma_f32_16x16x16_bf16 v[22:25], v[2:3], v[18:19], v[22:25]
	v_lshl_add_u64 v[2:3], s[4:5], 0, v[46:47]
	v_cndmask_b32_e32 v40, v51, v41, vcc
	v_lshl_or_b32 v46, v45, 10, v39
	v_ashrrev_i32_e32 v39, 31, v38
	v_ashrrev_i32_e32 v41, 31, v40
	s_waitcnt vmcnt(2)
	v_mfma_f32_16x16x16_bf16 v[34:37], v[14:15], v[18:19], v[34:37]
	v_lshl_add_u64 v[14:15], v[38:39], 2, s[8:9]
	v_subrev_u32_e32 v51, s29, v57
	v_cvt_f32_i32_e32 v58, v51
	v_mfma_f32_16x16x16_bf16 v[26:29], v[6:7], v[18:19], v[26:29]
	v_mfma_f32_16x16x16_bf16 v[30:33], v[10:11], v[18:19], v[30:33]
	v_lshl_add_u64 v[18:19], v[40:41], 2, s[8:9]
	global_load_dword v59, v[14:15], off
	global_load_dword v60, v[18:19], off
	v_lshl_add_u64 v[10:11], v[2:3], 0, v[46:47]
	v_mfma_f32_16x16x16_bf16 v[2:5], v[4:5], v[20:21], v[22:25]
	v_add_u32_e32 v46, 1, v51
	v_add_u32_e32 v47, 3, v51
	;; [unrolled: 1-line block ×3, first 2 shown]
	v_mfma_f32_16x16x16_bf16 v[14:17], v[16:17], v[20:21], v[34:37]
	v_add_u32_e32 v22, 2, v51
	s_nop 1
	v_pk_mul_f32 v[52:53], s[10:11], v[4:5] op_sel_hi:[0,1]
	v_cvt_f32_i32_e32 v18, v18
	v_mfma_f32_16x16x16_bf16 v[6:9], v[8:9], v[20:21], v[26:29]
	v_add_u32_e32 v19, 19, v51
	v_pk_mul_f32 v[34:35], s[10:11], v[16:17] op_sel_hi:[0,1]
	v_pk_mul_f32 v[36:37], s[10:11], v[14:15] op_sel_hi:[0,1]
	v_cvt_f32_i32_e32 v27, v22
	v_mfma_f32_16x16x16_bf16 v[22:25], v[12:13], v[20:21], v[30:33]
	v_pk_mul_f32 v[12:13], s[10:11], v[2:3] op_sel_hi:[0,1]
	v_cvt_f32_i32_e32 v26, v46
	v_cvt_f32_i32_e32 v28, v47
	v_pk_mul_f32 v[46:47], s[10:11], v[8:9] op_sel_hi:[0,1]
	v_pk_mul_f32 v[48:49], s[10:11], v[6:7] op_sel_hi:[0,1]
	v_cvt_f32_i32_e32 v19, v19
	v_fma_f32 v46, v50, v18, v46
	v_add_u32_e32 v18, 34, v51
	v_cvt_f32_i32_e32 v18, v18
	v_fmac_f32_e32 v47, v50, v19
	v_add_u32_e32 v19, 35, v51
	v_cvt_f32_i32_e32 v19, v19
	v_pk_mul_f32 v[40:41], s[10:11], v[22:23] op_sel_hi:[0,1]
	v_pk_mul_f32 v[38:39], s[10:11], v[24:25] op_sel_hi:[0,1]
	v_fma_f32 v38, v50, v18, v38
	v_add_u32_e32 v18, 50, v51
	s_waitcnt vmcnt(3)
	v_mad_i64_i32 v[2:3], s[4:5], v72, s45, 0
	s_waitcnt vmcnt(2)
	v_mad_i64_i32 v[4:5], s[4:5], v73, s45, 0
	v_lshl_add_u64 v[16:17], v[2:3], 1, v[10:11]
	v_lshl_add_u64 v[14:15], v[4:5], 1, v[10:11]
	global_load_dwordx4 v[6:9], v[16:17], off
	global_load_dwordx4 v[2:5], v[16:17], off offset:16
	v_add_u32_e32 v16, 16, v51
	v_cvt_f32_i32_e32 v16, v16
	v_add_u32_e32 v17, 17, v51
	v_cvt_f32_i32_e32 v17, v17
	v_fmac_f32_e32 v39, v50, v19
	v_fma_f32 v48, v50, v16, v48
	v_add_u32_e32 v16, 32, v51
	v_fmac_f32_e32 v49, v50, v17
	v_cvt_f32_i32_e32 v16, v16
	v_add_u32_e32 v17, 33, v51
	v_cvt_f32_i32_e32 v17, v17
	v_cvt_f32_i32_e32 v18, v18
	v_fma_f32 v40, v50, v16, v40
	v_add_u32_e32 v16, 48, v51
	v_fmac_f32_e32 v41, v50, v17
	v_cvt_f32_i32_e32 v16, v16
	v_add_u32_e32 v17, 49, v51
	v_cvt_f32_i32_e32 v17, v17
	v_add_u32_e32 v19, 51, v51
	v_cvt_f32_i32_e32 v19, v19
	v_fma_f32 v12, v50, v58, v12
	v_fmac_f32_e32 v13, v50, v26
	v_fma_f32 v36, v50, v16, v36
	v_mov_b32_e32 v16, 0xff7fffff
	v_cmp_gt_i32_e64 s[4:5], s29, v56
	v_fmac_f32_e32 v37, v50, v17
	v_fma_f32 v34, v50, v18, v34
	v_cndmask_b32_e64 v17, v16, v12, s[4:5]
	v_cndmask_b32_e64 v18, v16, v13, s[34:35]
	v_fmac_f32_e32 v35, v50, v19
	v_max3_f32 v17, v17, s33, v18
	v_or_b32_e32 v18, 2, v56
	v_or_b32_e32 v19, 3, v56
	v_fma_f32 v52, v50, v27, v52
	v_fmac_f32_e32 v53, v50, v28
	v_cmp_gt_i32_e64 s[36:37], s29, v18
	v_cmp_gt_i32_e64 s[38:39], s29, v19
	global_load_dwordx4 v[30:33], v[14:15], off
	global_load_dwordx4 v[26:29], v[14:15], off offset:16
	v_cndmask_b32_e64 v18, v16, v52, s[36:37]
	v_cndmask_b32_e64 v19, v16, v53, s[38:39]
	v_max3_f32 v17, v17, v18, v19
	v_or_b32_e32 v18, 16, v56
	v_or_b32_e32 v19, 17, v56
	v_cmp_gt_i32_e64 s[24:25], s29, v18
	v_cmp_gt_i32_e64 s[26:27], s29, v19
	s_nop 0
	v_cndmask_b32_e64 v18, v16, v48, s[24:25]
	v_cndmask_b32_e64 v19, v16, v49, s[26:27]
	v_max3_f32 v17, v17, v18, v19
	v_or_b32_e32 v18, 18, v56
	v_or_b32_e32 v19, 19, v56
	v_cmp_gt_i32_e64 s[20:21], s29, v18
	v_cmp_gt_i32_e64 s[22:23], s29, v19
	s_nop 0
	;; [unrolled: 8-line block ×5, first 2 shown]
	v_cndmask_b32_e64 v18, v16, v36, s[8:9]
	v_cndmask_b32_e64 v19, v16, v37, s[10:11]
	v_max3_f32 v17, v17, v18, v19
	v_or_b32_e32 v18, 50, v56
	v_or_b32_e32 v19, 51, v56
	v_cmp_gt_i32_e32 vcc, s29, v18
	v_cmp_gt_i32_e64 s[6:7], s29, v19
	s_nop 0
	v_cndmask_b32_e32 v18, v16, v34, vcc
	v_cndmask_b32_e64 v16, v16, v35, s[6:7]
	v_max3_f32 v16, v17, v18, v16
	v_mbcnt_lo_u32_b32 v17, -1, 0
	v_mbcnt_hi_u32_b32 v17, -1, v17
	v_and_b32_e32 v18, 64, v17
	v_add_u32_e32 v18, 64, v18
	v_xor_b32_e32 v19, 32, v17
	v_cmp_lt_i32_e64 s[40:41], v19, v18
	s_nop 1
	v_cndmask_b32_e64 v19, v17, v19, s[40:41]
	v_lshlrev_b32_e32 v57, 2, v19
	ds_bpermute_b32 v19, v57, v16
	s_waitcnt vmcnt(5)
	v_mad_i64_i32 v[14:15], s[40:41], v59, s45, 0
	v_lshl_add_u64 v[14:15], v[14:15], 1, v[10:11]
	s_waitcnt lgkmcnt(0)
	v_max_f32_e32 v19, v19, v19
	v_max_f32_e32 v16, v16, v19
	v_xor_b32_e32 v19, 16, v17
	v_cmp_lt_i32_e64 s[40:41], v19, v18
	s_nop 1
	v_cndmask_b32_e64 v17, v17, v19, s[40:41]
	v_lshlrev_b32_e32 v59, 2, v17
	ds_bpermute_b32 v17, v59, v16
	global_load_dwordx4 v[22:25], v[14:15], off
	global_load_dwordx4 v[18:21], v[14:15], off offset:16
	s_waitcnt vmcnt(6)
	v_mad_i64_i32 v[14:15], s[40:41], v60, s45, 0
	v_lshl_add_u64 v[10:11], v[14:15], 1, v[10:11]
	s_waitcnt lgkmcnt(0)
	v_max_f32_e32 v14, v17, v17
	v_max_f32_e32 v56, v16, v14
	v_sub_f32_e32 v12, v12, v56
	v_mul_f32_e32 v12, 0x3fb8aa3b, v12
	v_exp_f32_e32 v50, v12
	v_sub_f32_e32 v12, v13, v56
	v_mul_f32_e32 v12, 0x3fb8aa3b, v12
	v_exp_f32_e32 v51, v12
	global_load_dwordx4 v[14:17], v[10:11], off
	s_nop 0
	global_load_dwordx4 v[10:13], v[10:11], off offset:16
	v_sub_f32_e32 v52, v52, v56
	v_mul_f32_e32 v52, 0x3fb8aa3b, v52
	v_sub_f32_e32 v53, v53, v56
	v_exp_f32_e32 v52, v52
	v_mul_f32_e32 v53, 0x3fb8aa3b, v53
	v_sub_f32_e32 v48, v48, v56
	v_exp_f32_e32 v53, v53
	v_mul_f32_e32 v48, 0x3fb8aa3b, v48
	v_sub_f32_e32 v49, v49, v56
	v_cndmask_b32_e64 v50, 0, v50, s[4:5]
	v_exp_f32_e32 v48, v48
	v_mul_f32_e32 v49, 0x3fb8aa3b, v49
	v_sub_f32_e32 v46, v46, v56
	v_add_f32_e32 v58, 0, v50
	v_cndmask_b32_e64 v51, 0, v51, s[34:35]
	v_exp_f32_e32 v49, v49
	v_mul_f32_e32 v46, 0x3fb8aa3b, v46
	v_sub_f32_e32 v47, v47, v56
	v_add_f32_e32 v58, v58, v51
	;; [unrolled: 5-line block ×10, first 2 shown]
	v_cndmask_b32_e64 v38, 0, v38, s[12:13]
	v_exp_f32_e32 v34, v34
	v_mul_f32_e32 v35, 0x3fb8aa3b, v35
	v_add_f32_e32 v58, v58, v38
	v_cndmask_b32_e64 v39, 0, v39, s[14:15]
	v_exp_f32_e32 v35, v35
	v_add_f32_e32 v58, v58, v39
	v_cndmask_b32_e64 v36, 0, v36, s[8:9]
	v_add_f32_e32 v58, v58, v36
	v_cndmask_b32_e64 v37, 0, v37, s[10:11]
	v_add_f32_e32 v58, v58, v37
	v_cndmask_b32_e32 v34, 0, v34, vcc
	v_add_f32_e32 v58, v58, v34
	v_cndmask_b32_e64 v35, 0, v35, s[6:7]
	v_add_f32_e32 v58, v58, v35
	ds_bpermute_b32 v57, v57, v58
	s_load_dword s7, s[0:1], 0x98
	v_cmp_gt_u32_e32 vcc, 16, v55
	s_waitcnt lgkmcnt(0)
	s_barrier
	v_add_f32_e32 v58, v58, v57
	ds_bpermute_b32 v59, v59, v58
	v_lshlrev_b32_e32 v57, 2, v44
	s_waitcnt lgkmcnt(0)
	s_and_saveexec_b64 s[4:5], vcc
	s_cbranch_execz .LBB514_17
; %bb.16:
	v_add_f32_e32 v55, v58, v59
	v_lshl_or_b32 v58, v45, 6, v57
	ds_write2st64_b32 v58, v56, v55 offset1:1
.LBB514_17:
	s_or_b64 exec, exec, s[4:5]
	s_load_dword s6, s[0:1], 0x94
	s_waitcnt lgkmcnt(0)
	s_barrier
	ds_read2_b32 v[58:59], v57 offset1:16
	ds_read2_b32 v[60:61], v57 offset0:32 offset1:48
	ds_read2_b32 v[62:63], v57 offset0:64 offset1:80
	s_movk_i32 s8, 0x7fff
	s_mov_b32 s9, 0x7060302
	s_waitcnt lgkmcnt(2)
	v_max3_f32 v55, v58, s33, v59
	s_waitcnt lgkmcnt(1)
	v_max3_f32 v55, v55, v60, v61
	v_sub_f32_e32 v56, v58, v55
	v_mul_f32_e32 v56, 0x3fb8aa3b, v56
	v_exp_f32_e32 v64, v56
	v_sub_f32_e32 v56, v59, v55
	v_mul_f32_e32 v56, 0x3fb8aa3b, v56
	v_exp_f32_e32 v65, v56
	;; [unrolled: 3-line block ×3, first 2 shown]
	ds_read2_b32 v[58:59], v57 offset0:96 offset1:112
	v_sub_f32_e32 v56, v61, v55
	v_mul_f32_e32 v56, 0x3fb8aa3b, v56
	v_exp_f32_e32 v57, v56
	s_waitcnt lgkmcnt(1)
	v_fma_f32 v56, v64, v62, 0
	v_fmac_f32_e32 v56, v65, v63
	s_waitcnt lgkmcnt(0)
	v_fmac_f32_e32 v56, v60, v58
	v_fmac_f32_e32 v56, v57, v59
	v_add_f32_e32 v58, 0x358637bd, v56
	v_div_scale_f32 v59, s[4:5], v58, v58, 1.0
	v_rcp_f32_e32 v61, v59
	s_mul_i32 s7, s7, 3
	s_barrier
	v_fma_f32 v62, -v59, v61, 1.0
	v_fmac_f32_e32 v61, v62, v61
	v_div_scale_f32 v62, vcc, 1.0, v58, 1.0
	v_mul_f32_e32 v63, v62, v61
	v_fma_f32 v66, -v59, v63, v62
	v_fmac_f32_e32 v63, v66, v61
	v_fma_f32 v59, -v59, v63, v62
	v_div_fmas_f32 v59, v59, v61, v63
	v_cmp_eq_u32_e32 vcc, 1, v45
	v_div_fixup_f32 v58, v59, v58, 1.0
	s_nop 0
	v_cndmask_b32_e32 v59, v64, v65, vcc
	v_cmp_eq_u32_e32 vcc, 2, v45
	s_nop 1
	v_cndmask_b32_e32 v59, v59, v60, vcc
	v_cmp_eq_u32_e32 vcc, 3, v45
	v_lshlrev_b32_e32 v45, 11, v45
	s_nop 0
	v_cndmask_b32_e32 v57, v59, v57, vcc
	v_mul_f32_e32 v58, v57, v58
	v_pk_mul_f32 v[50:51], v[58:59], v[50:51] op_sel_hi:[0,1]
	v_pk_mul_f32 v[52:53], v[58:59], v[52:53] op_sel_hi:[0,1]
	v_bfe_u32 v57, v51, 16, 1
	v_bfe_u32 v59, v50, 16, 1
	v_add3_u32 v50, v50, v59, s8
	v_add3_u32 v51, v51, v57, s8
	v_perm_b32 v60, v51, v50, s9
	v_bfe_u32 v50, v53, 16, 1
	v_bfe_u32 v51, v52, 16, 1
	v_add3_u32 v51, v52, v51, s8
	v_add3_u32 v50, v53, v50, s8
	v_perm_b32 v61, v50, v51, s9
	v_lshlrev_b32_e32 v50, 3, v1
	v_lshlrev_b32_e32 v51, 5, v44
	v_pk_mul_f32 v[48:49], v[58:59], v[48:49] op_sel_hi:[0,1]
	v_or3_b32 v50, v45, v51, v50
	v_bfe_u32 v45, v49, 16, 1
	v_bfe_u32 v52, v48, 16, 1
	v_pk_mul_f32 v[46:47], v[58:59], v[46:47] op_sel_hi:[0,1]
	v_add3_u32 v48, v48, v52, s8
	v_add3_u32 v45, v49, v45, s8
	v_perm_b32 v48, v45, v48, s9
	v_bfe_u32 v45, v47, 16, 1
	v_bfe_u32 v49, v46, 16, 1
	v_add3_u32 v46, v46, v49, s8
	v_add3_u32 v45, v47, v45, s8
	v_pk_mul_f32 v[40:41], v[58:59], v[40:41] op_sel_hi:[0,1]
	v_perm_b32 v49, v45, v46, s9
	v_bfe_u32 v45, v41, 16, 1
	v_bfe_u32 v46, v40, 16, 1
	v_pk_mul_f32 v[38:39], v[58:59], v[38:39] op_sel_hi:[0,1]
	v_add3_u32 v40, v40, v46, s8
	v_add3_u32 v41, v41, v45, s8
	v_perm_b32 v40, v41, v40, s9
	v_bfe_u32 v41, v39, 16, 1
	v_bfe_u32 v45, v38, 16, 1
	v_add3_u32 v38, v38, v45, s8
	v_add3_u32 v39, v39, v41, s8
	v_pk_mul_f32 v[36:37], v[58:59], v[36:37] op_sel_hi:[0,1]
	v_perm_b32 v41, v39, v38, s9
	v_bfe_u32 v38, v37, 16, 1
	v_bfe_u32 v39, v36, 16, 1
	v_pk_mul_f32 v[34:35], v[58:59], v[34:35] op_sel_hi:[0,1]
	v_add3_u32 v36, v36, v39, s8
	v_add3_u32 v37, v37, v38, s8
	v_perm_b32 v36, v37, v36, s9
	v_bfe_u32 v37, v35, 16, 1
	v_bfe_u32 v38, v34, 16, 1
	v_add3_u32 v34, v34, v38, s8
	v_add3_u32 v35, v35, v37, s8
	v_perm_b32 v37, v35, v34, s9
	v_cmp_gt_u32_e32 vcc, 3, v0
	ds_write2st64_b64 v50, v[60:61], v[48:49] offset1:1
	ds_write2st64_b64 v50, v[40:41], v[36:37] offset0:2 offset1:3
	s_and_saveexec_b64 s[4:5], vcc
	s_cbranch_execz .LBB514_19
; %bb.18:
	s_mov_b32 s43, 0
	v_mov_b32_e32 v45, 0
	v_lshl_add_u64 v[34:35], s[42:43], 0, v[44:45]
	v_mov_b32_e32 v36, s7
	v_mad_u64_u32 v[34:35], s[10:11], s2, v36, v[34:35]
	s_mul_i32 s3, s3, s7
	v_mov_b32_e32 v44, s28
	s_load_dwordx4 s[12:15], s[0:1], 0x58
	v_add_u32_e32 v37, s3, v35
	v_mad_u64_u32 v[34:35], s[10:11], v34, s6, v[44:45]
	v_mov_b32_e32 v36, v35
	v_mad_u64_u32 v[36:37], s[10:11], v37, s6, v[36:37]
	v_mov_b32_e32 v35, v36
	v_lshlrev_b64 v[34:35], 2, v[34:35]
	s_waitcnt lgkmcnt(0)
	v_lshl_add_u64 v[36:37], s[14:15], 0, v[34:35]
	v_lshl_add_u64 v[34:35], s[12:13], 0, v[34:35]
	global_store_dword v[36:37], v55, off
	global_store_dword v[34:35], v56, off
.LBB514_19:
	s_or_b64 exec, exec, s[4:5]
	v_lshl_or_b32 v48, v1, 9, v51
	s_waitcnt lgkmcnt(0)
	s_barrier
	ds_read_b128 v[34:37], v48
	ds_read_b128 v[38:41], v48 offset:16
	s_waitcnt vmcnt(7) lgkmcnt(1)
	v_mfma_f32_16x16x16_bf16 v[44:47], v[6:7], v[34:35], 0
	v_cmp_gt_u32_e32 vcc, 64, v0
	v_cmp_ne_u32_e64 s[4:5], 3, v1
	s_and_b64 s[4:5], s[4:5], vcc
	v_mfma_f32_16x16x16_bf16 v[6:9], v[8:9], v[36:37], v[44:47]
	s_mov_b32 s3, 0
	s_and_b64 s[4:5], s[4:5], s[30:31]
	s_waitcnt vmcnt(6) lgkmcnt(0)
	v_mfma_f32_16x16x16_bf16 v[6:9], v[2:3], v[38:39], v[6:9]
	v_mfma_f32_16x16x16_bf16 v[2:5], v[4:5], v[40:41], v[6:9]
	s_nop 5
	ds_read_b128 v[6:9], v48 offset:2048
	ds_read_b128 v[34:37], v48 offset:2064
	s_waitcnt vmcnt(5) lgkmcnt(1)
	v_mfma_f32_16x16x16_bf16 v[2:5], v[30:31], v[6:7], v[2:5]
	v_mfma_f32_16x16x16_bf16 v[2:5], v[32:33], v[8:9], v[2:5]
	s_waitcnt vmcnt(4) lgkmcnt(0)
	v_mfma_f32_16x16x16_bf16 v[2:5], v[26:27], v[34:35], v[2:5]
	v_mfma_f32_16x16x16_bf16 v[2:5], v[28:29], v[36:37], v[2:5]
	ds_read_b128 v[6:9], v48 offset:4096
	ds_read_b128 v[26:29], v48 offset:4112
	s_waitcnt vmcnt(3) lgkmcnt(1)
	v_mfma_f32_16x16x16_bf16 v[2:5], v[22:23], v[6:7], v[2:5]
	v_mfma_f32_16x16x16_bf16 v[2:5], v[24:25], v[8:9], v[2:5]
	s_waitcnt vmcnt(2) lgkmcnt(0)
	v_mfma_f32_16x16x16_bf16 v[2:5], v[18:19], v[26:27], v[2:5]
	v_mfma_f32_16x16x16_bf16 v[2:5], v[20:21], v[28:29], v[2:5]
	ds_read_b128 v[6:9], v48 offset:6144
	ds_read_b128 v[18:21], v48 offset:6160
	s_waitcnt lgkmcnt(0)
	s_barrier
	s_waitcnt vmcnt(1)
	v_mfma_f32_16x16x16_bf16 v[2:5], v[14:15], v[6:7], v[2:5]
	v_mfma_f32_16x16x16_bf16 v[2:5], v[16:17], v[8:9], v[2:5]
	s_waitcnt vmcnt(0)
	v_mfma_f32_16x16x16_bf16 v[2:5], v[10:11], v[18:19], v[2:5]
	v_mfma_f32_16x16x16_bf16 v[2:5], v[12:13], v[20:21], v[2:5]
	s_nop 6
	v_bfe_u32 v6, v3, 16, 1
	v_bfe_u32 v7, v2, 16, 1
	v_bfe_u32 v8, v5, 16, 1
	v_bfe_u32 v9, v4, 16, 1
	v_add3_u32 v2, v2, v7, s8
	v_add3_u32 v3, v3, v6, s8
	;; [unrolled: 1-line block ×4, first 2 shown]
	v_perm_b32 v2, v3, v2, s9
	v_perm_b32 v3, v5, v4, s9
	ds_write_b64 v50, v[2:3]
	s_waitcnt lgkmcnt(0)
	s_barrier
	s_and_saveexec_b64 s[8:9], s[4:5]
	s_cbranch_execz .LBB514_21
; %bb.20:
	s_load_dwordx2 s[0:1], s[0:1], 0x68
	s_mul_i32 s2, s7, s2
	s_lshl_b32 s6, s6, 6
	s_mul_hi_u32 s5, s2, s6
	s_mul_i32 s4, s2, s6
	v_lshlrev_b32_e32 v2, 10, v0
	v_lshlrev_b32_e32 v0, 4, v0
	s_lshl_b64 s[4:5], s[4:5], 1
	v_and_b32_e32 v2, 0x1800, v2
	v_lshlrev_b32_e32 v1, 5, v1
	v_and_b32_e32 v0, 16, v0
	s_waitcnt lgkmcnt(0)
	s_add_u32 s4, s0, s4
	v_or3_b32 v0, v2, v1, v0
	s_addc_u32 s5, s1, s5
	s_lshl_b32 s2, s28, 6
	ds_read_b128 v[0:3], v0
	s_lshl_b64 s[0:1], s[2:3], 1
	s_add_u32 s0, s4, s0
	s_addc_u32 s1, s5, s1
	v_mad_u64_u32 v[4:5], s[2:3], s6, v54, 0
	v_lshl_add_u64 v[4:5], v[4:5], 1, s[0:1]
	v_lshl_add_u64 v[4:5], v[42:43], 1, v[4:5]
	s_waitcnt lgkmcnt(0)
	global_store_dwordx4 v[4:5], v[0:3], off
.LBB514_21:
	s_endpgm
	.section	.rodata,"a",@progbits
	.p2align	6, 0x0
	.amdhsa_kernel _Z39paged_attention_ll4mi_QKV_mfma16_kernelI14__hip_bfloat16S0_LN4vllm18Fp8KVCacheDataTypeE0EhLi32ELi64ELi256ELb1ELi3EEvPKT_PKT0_S8_ifPKiSA_SA_iPKfiiiPfSD_PS3_PT2_iSC_SC_
		.amdhsa_group_segment_fixed_size 8192
		.amdhsa_private_segment_fixed_size 0
		.amdhsa_kernarg_size 400
		.amdhsa_user_sgpr_count 2
		.amdhsa_user_sgpr_dispatch_ptr 0
		.amdhsa_user_sgpr_queue_ptr 0
		.amdhsa_user_sgpr_kernarg_segment_ptr 1
		.amdhsa_user_sgpr_dispatch_id 0
		.amdhsa_user_sgpr_kernarg_preload_length 0
		.amdhsa_user_sgpr_kernarg_preload_offset 0
		.amdhsa_user_sgpr_private_segment_size 0
		.amdhsa_uses_dynamic_stack 0
		.amdhsa_enable_private_segment 0
		.amdhsa_system_sgpr_workgroup_id_x 1
		.amdhsa_system_sgpr_workgroup_id_y 1
		.amdhsa_system_sgpr_workgroup_id_z 1
		.amdhsa_system_sgpr_workgroup_info 0
		.amdhsa_system_vgpr_workitem_id 0
		.amdhsa_next_free_vgpr 74
		.amdhsa_next_free_sgpr 48
		.amdhsa_accum_offset 76
		.amdhsa_reserve_vcc 1
		.amdhsa_float_round_mode_32 0
		.amdhsa_float_round_mode_16_64 0
		.amdhsa_float_denorm_mode_32 3
		.amdhsa_float_denorm_mode_16_64 3
		.amdhsa_dx10_clamp 1
		.amdhsa_ieee_mode 1
		.amdhsa_fp16_overflow 0
		.amdhsa_tg_split 0
		.amdhsa_exception_fp_ieee_invalid_op 0
		.amdhsa_exception_fp_denorm_src 0
		.amdhsa_exception_fp_ieee_div_zero 0
		.amdhsa_exception_fp_ieee_overflow 0
		.amdhsa_exception_fp_ieee_underflow 0
		.amdhsa_exception_fp_ieee_inexact 0
		.amdhsa_exception_int_div_zero 0
	.end_amdhsa_kernel
	.section	.text._Z39paged_attention_ll4mi_QKV_mfma16_kernelI14__hip_bfloat16S0_LN4vllm18Fp8KVCacheDataTypeE0EhLi32ELi64ELi256ELb1ELi3EEvPKT_PKT0_S8_ifPKiSA_SA_iPKfiiiPfSD_PS3_PT2_iSC_SC_,"axG",@progbits,_Z39paged_attention_ll4mi_QKV_mfma16_kernelI14__hip_bfloat16S0_LN4vllm18Fp8KVCacheDataTypeE0EhLi32ELi64ELi256ELb1ELi3EEvPKT_PKT0_S8_ifPKiSA_SA_iPKfiiiPfSD_PS3_PT2_iSC_SC_,comdat
.Lfunc_end514:
	.size	_Z39paged_attention_ll4mi_QKV_mfma16_kernelI14__hip_bfloat16S0_LN4vllm18Fp8KVCacheDataTypeE0EhLi32ELi64ELi256ELb1ELi3EEvPKT_PKT0_S8_ifPKiSA_SA_iPKfiiiPfSD_PS3_PT2_iSC_SC_, .Lfunc_end514-_Z39paged_attention_ll4mi_QKV_mfma16_kernelI14__hip_bfloat16S0_LN4vllm18Fp8KVCacheDataTypeE0EhLi32ELi64ELi256ELb1ELi3EEvPKT_PKT0_S8_ifPKiSA_SA_iPKfiiiPfSD_PS3_PT2_iSC_SC_
                                        ; -- End function
	.section	.AMDGPU.csdata,"",@progbits
; Kernel info:
; codeLenInByte = 4376
; NumSgprs: 54
; NumVgprs: 74
; NumAgprs: 0
; TotalNumVgprs: 74
; ScratchSize: 0
; MemoryBound: 0
; FloatMode: 240
; IeeeMode: 1
; LDSByteSize: 8192 bytes/workgroup (compile time only)
; SGPRBlocks: 6
; VGPRBlocks: 9
; NumSGPRsForWavesPerEU: 54
; NumVGPRsForWavesPerEU: 74
; AccumOffset: 76
; Occupancy: 6
; WaveLimiterHint : 1
; COMPUTE_PGM_RSRC2:SCRATCH_EN: 0
; COMPUTE_PGM_RSRC2:USER_SGPR: 2
; COMPUTE_PGM_RSRC2:TRAP_HANDLER: 0
; COMPUTE_PGM_RSRC2:TGID_X_EN: 1
; COMPUTE_PGM_RSRC2:TGID_Y_EN: 1
; COMPUTE_PGM_RSRC2:TGID_Z_EN: 1
; COMPUTE_PGM_RSRC2:TIDIG_COMP_CNT: 0
; COMPUTE_PGM_RSRC3_GFX90A:ACCUM_OFFSET: 18
; COMPUTE_PGM_RSRC3_GFX90A:TG_SPLIT: 0
	.section	.text._Z39paged_attention_ll4mi_QKV_mfma16_kernelI14__hip_bfloat16S0_LN4vllm18Fp8KVCacheDataTypeE0EhLi32ELi64ELi256ELb1ELi4EEvPKT_PKT0_S8_ifPKiSA_SA_iPKfiiiPfSD_PS3_PT2_iSC_SC_,"axG",@progbits,_Z39paged_attention_ll4mi_QKV_mfma16_kernelI14__hip_bfloat16S0_LN4vllm18Fp8KVCacheDataTypeE0EhLi32ELi64ELi256ELb1ELi4EEvPKT_PKT0_S8_ifPKiSA_SA_iPKfiiiPfSD_PS3_PT2_iSC_SC_,comdat
	.protected	_Z39paged_attention_ll4mi_QKV_mfma16_kernelI14__hip_bfloat16S0_LN4vllm18Fp8KVCacheDataTypeE0EhLi32ELi64ELi256ELb1ELi4EEvPKT_PKT0_S8_ifPKiSA_SA_iPKfiiiPfSD_PS3_PT2_iSC_SC_ ; -- Begin function _Z39paged_attention_ll4mi_QKV_mfma16_kernelI14__hip_bfloat16S0_LN4vllm18Fp8KVCacheDataTypeE0EhLi32ELi64ELi256ELb1ELi4EEvPKT_PKT0_S8_ifPKiSA_SA_iPKfiiiPfSD_PS3_PT2_iSC_SC_
	.globl	_Z39paged_attention_ll4mi_QKV_mfma16_kernelI14__hip_bfloat16S0_LN4vllm18Fp8KVCacheDataTypeE0EhLi32ELi64ELi256ELb1ELi4EEvPKT_PKT0_S8_ifPKiSA_SA_iPKfiiiPfSD_PS3_PT2_iSC_SC_
	.p2align	8
	.type	_Z39paged_attention_ll4mi_QKV_mfma16_kernelI14__hip_bfloat16S0_LN4vllm18Fp8KVCacheDataTypeE0EhLi32ELi64ELi256ELb1ELi4EEvPKT_PKT0_S8_ifPKiSA_SA_iPKfiiiPfSD_PS3_PT2_iSC_SC_,@function
_Z39paged_attention_ll4mi_QKV_mfma16_kernelI14__hip_bfloat16S0_LN4vllm18Fp8KVCacheDataTypeE0EhLi32ELi64ELi256ELb1ELi4EEvPKT_PKT0_S8_ifPKiSA_SA_iPKfiiiPfSD_PS3_PT2_iSC_SC_: ; @_Z39paged_attention_ll4mi_QKV_mfma16_kernelI14__hip_bfloat16S0_LN4vllm18Fp8KVCacheDataTypeE0EhLi32ELi64ELi256ELb1ELi4EEvPKT_PKT0_S8_ifPKiSA_SA_iPKfiiiPfSD_PS3_PT2_iSC_SC_
; %bb.0:
	s_load_dwordx2 s[6:7], s[0:1], 0x30
	s_mov_b32 s26, s3
	s_mov_b64 s[8:9], 0
	s_waitcnt lgkmcnt(0)
	s_cmp_lg_u64 s[6:7], 0
	s_cselect_b64 s[10:11], -1, 0
	s_and_b64 vcc, exec, s[10:11]
	s_cbranch_vccz .LBB515_7
; %bb.1:
	s_add_i32 s12, s2, 1
	s_mov_b32 s13, 0
	s_lshl_b64 s[14:15], s[12:13], 2
	s_add_u32 s14, s6, s14
	s_mov_b32 s3, s13
	s_addc_u32 s15, s7, s15
	s_lshl_b64 s[12:13], s[2:3], 2
	s_add_u32 s12, s6, s12
	s_addc_u32 s13, s7, s13
	s_load_dword s5, s[14:15], 0x0
	s_load_dword s16, s[12:13], 0x0
	s_waitcnt lgkmcnt(0)
	s_sub_i32 s5, s5, s16
	s_cmp_eq_u32 s5, 1
	s_cselect_b64 s[12:13], -1, 0
	s_andn2_b64 vcc, exec, s[8:9]
	s_cbranch_vccnz .LBB515_3
.LBB515_2:
	s_mov_b32 s3, 0
	s_mov_b64 s[12:13], -1
.LBB515_3:
	s_andn2_b64 vcc, exec, s[12:13]
	s_cbranch_vccnz .LBB515_21
; %bb.4:
	s_load_dwordx2 s[8:9], s[0:1], 0x28
	s_lshl_b64 s[12:13], s[2:3], 2
	s_waitcnt lgkmcnt(0)
	s_add_u32 s8, s8, s12
	s_addc_u32 s9, s9, s13
	s_load_dword s33, s[8:9], 0x0
	s_lshl_b32 s14, s26, 8
	s_waitcnt lgkmcnt(0)
	s_cmp_ge_i32 s14, s33
	s_cbranch_scc1 .LBB515_21
; %bb.5:
	s_load_dwordx2 s[8:9], s[0:1], 0x20
	s_load_dword s5, s[0:1], 0x38
	s_add_i32 s15, s33, 31
	s_ashr_i32 s16, s15, 31
	v_and_b32_e32 v1, 0xcf, v0
	s_lshr_b32 s16, s16, 27
	v_add_u32_e32 v1, s14, v1
	s_add_i32 s15, s15, s16
	v_ashrrev_i32_e32 v2, 31, v1
	s_ashr_i32 s15, s15, 5
	v_lshrrev_b32_e32 v6, 27, v2
	s_add_i32 s15, s15, -1
	s_waitcnt lgkmcnt(0)
	s_mul_i32 s16, s2, s5
	s_mov_b32 s17, 0
	v_add_u32_e32 v2, v1, v6
	s_lshl_b64 s[16:17], s[16:17], 2
	v_ashrrev_i32_e32 v2, 5, v2
	v_mov_b32_e32 v7, s15
	v_cmp_gt_i32_e32 vcc, s33, v1
	s_add_u32 s8, s8, s16
	s_addc_u32 s9, s9, s17
	v_cndmask_b32_e32 v2, v7, v2, vcc
	v_ashrrev_i32_e32 v3, 31, v2
	v_lshl_add_u64 v[4:5], v[2:3], 2, s[8:9]
	v_or_b32_e32 v2, 16, v1
	v_add_u32_e32 v3, v2, v6
	v_ashrrev_i32_e32 v3, 5, v3
	v_cmp_gt_i32_e32 vcc, s33, v2
	s_nop 1
	v_cndmask_b32_e32 v2, v7, v3, vcc
	v_ashrrev_i32_e32 v3, 31, v2
	v_lshl_add_u64 v[8:9], v[2:3], 2, s[8:9]
	v_or_b32_e32 v2, 32, v1
	v_add_u32_e32 v3, v2, v6
	v_ashrrev_i32_e32 v3, 5, v3
	v_cmp_gt_i32_e32 vcc, s33, v2
	v_or_b32_e32 v1, 48, v1
	s_nop 0
	v_cndmask_b32_e32 v2, v7, v3, vcc
	v_ashrrev_i32_e32 v3, 31, v2
	v_lshl_add_u64 v[12:13], v[2:3], 2, s[8:9]
	v_add_u32_e32 v2, v1, v6
	v_ashrrev_i32_e32 v2, 5, v2
	v_cmp_gt_i32_e32 vcc, s33, v1
	s_nop 1
	v_cndmask_b32_e32 v2, v7, v2, vcc
	v_ashrrev_i32_e32 v3, 31, v2
	v_lshl_add_u64 v[16:17], v[2:3], 2, s[8:9]
	global_load_dword v2, v[4:5], off
	global_load_dword v6, v[8:9], off
	;; [unrolled: 1-line block ×4, first 2 shown]
	s_andn2_b64 vcc, exec, s[10:11]
	s_cbranch_vccnz .LBB515_8
; %bb.6:
	s_add_u32 s6, s6, s12
	s_addc_u32 s7, s7, s13
	s_load_dword s5, s[6:7], 0x0
	s_branch .LBB515_9
.LBB515_7:
	s_mov_b64 s[12:13], 0
	s_branch .LBB515_2
.LBB515_8:
	s_mov_b32 s5, s2
.LBB515_9:
	s_load_dwordx2 s[10:11], s[0:1], 0x8
	s_load_dwordx4 s[40:43], s[0:1], 0x48
	v_and_b32_e32 v54, 15, v0
	v_cmp_gt_u32_e32 vcc, 64, v0
	v_cmp_gt_u32_e64 s[6:7], 8, v54
	s_and_b64 s[44:45], vcc, s[6:7]
	v_bfe_u32 v53, v0, 4, 2
	s_lshl_b32 s27, s4, 2
	v_lshlrev_b32_e32 v42, 3, v54
	s_xor_b64 s[6:7], s[44:45], -1
	s_and_saveexec_b64 s[12:13], s[6:7]
	s_xor_b64 s[6:7], exec, s[12:13]
; %bb.10:
	v_mov_b32_e32 v43, 0
; %bb.11:
	s_or_saveexec_b64 s[12:13], s[6:7]
	s_load_dwordx2 s[6:7], s[0:1], 0x10
	v_lshrrev_b32_e32 v55, 6, v0
	v_or_b32_e32 v1, s27, v53
	v_and_b32_e32 v18, 3, v0
	v_lshlrev_b32_e32 v52, 5, v53
	s_xor_b64 exec, exec, s[12:13]
	s_cbranch_execz .LBB515_13
; %bb.12:
	s_load_dwordx2 s[16:17], s[0:1], 0x0
	s_waitcnt lgkmcnt(0)
	s_ashr_i32 s18, s40, 31
	s_mul_hi_u32 s19, s5, s40
	s_mul_i32 s18, s5, s18
	s_add_i32 s19, s19, s18
	s_mul_i32 s18, s5, s40
	s_lshl_b64 s[18:19], s[18:19], 1
	s_add_u32 s16, s16, s18
	v_lshlrev_b32_e32 v4, 6, v1
	s_addc_u32 s17, s17, s19
	v_ashrrev_i32_e32 v5, 31, v4
	v_mov_b32_e32 v43, 0
	v_lshl_add_u64 v[4:5], v[4:5], 1, s[16:17]
	v_lshlrev_b32_e32 v8, 1, v42
	v_mov_b32_e32 v9, v43
	v_lshl_add_u64 v[4:5], v[4:5], 0, v[8:9]
	global_load_dwordx4 v[20:23], v[4:5], off
	v_lshlrev_b32_e32 v5, 9, v54
	v_lshl_or_b32 v3, v55, 7, v52
	v_lshlrev_b32_e32 v4, 9, v18
	v_and_b32_e32 v5, 0x1800, v5
	v_or3_b32 v3, v5, v4, v3
	s_waitcnt vmcnt(0)
	ds_write_b128 v3, v[20:23]
.LBB515_13:
	s_or_b64 exec, exec, s[12:13]
	s_waitcnt lgkmcnt(0)
	s_mul_i32 s4, s4, s42
	s_mov_b32 s5, 0
	s_lshl_b64 s[4:5], s[4:5], 1
	s_add_u32 s10, s10, s4
	s_addc_u32 s11, s11, s5
	s_waitcnt vmcnt(3)
	v_mad_i64_i32 v[2:3], s[12:13], v2, s41, 0
	v_lshl_add_u64 v[2:3], v[2:3], 1, s[10:11]
	v_lshlrev_b64 v[12:13], 1, v[42:43]
	v_lshlrev_b32_e32 v44, 9, v53
	v_lshl_add_u64 v[2:3], v[2:3], 0, v[12:13]
	v_mov_b32_e32 v45, 0
	v_lshl_add_u64 v[8:9], v[2:3], 0, v[44:45]
	s_barrier
	global_load_dwordx4 v[22:25], v[8:9], off
	global_load_dwordx4 v[2:5], v[8:9], off offset:2048
	s_waitcnt vmcnt(4)
	v_mad_i64_i32 v[6:7], s[12:13], v6, s41, 0
	v_mov_b32_e32 v8, 0x100
	v_lshl_add_u64 v[6:7], v[6:7], 1, s[10:11]
	v_lshl_or_b32 v16, v54, 4, v8
	v_mov_b32_e32 v17, v45
	s_waitcnt vmcnt(3)
	v_mad_i64_i32 v[10:11], s[12:13], v10, s41, 0
	v_lshl_add_u64 v[6:7], v[6:7], 0, v[16:17]
	v_lshl_add_u64 v[10:11], v[10:11], 1, s[10:11]
	s_waitcnt vmcnt(2)
	v_mad_i64_i32 v[14:15], s[12:13], v14, s41, 0
	v_lshl_add_u64 v[20:21], v[6:7], 0, v[44:45]
	v_lshl_add_u64 v[10:11], v[10:11], 0, v[12:13]
	;; [unrolled: 1-line block ×3, first 2 shown]
	global_load_dwordx4 v[26:29], v[20:21], off
	global_load_dwordx4 v[6:9], v[20:21], off offset:2048
	v_lshl_add_u64 v[20:21], v[10:11], 0, v[44:45]
	v_lshl_add_u64 v[14:15], v[14:15], 0, v[16:17]
	global_load_dwordx4 v[30:33], v[20:21], off
	global_load_dwordx4 v[10:13], v[20:21], off offset:2048
	v_lshl_add_u64 v[20:21], v[14:15], 0, v[44:45]
	global_load_dwordx4 v[34:37], v[20:21], off
	global_load_dwordx4 v[14:17], v[20:21], off offset:2048
	v_lshl_or_b32 v18, v18, 5, v44
	ds_read_b128 v[38:41], v18
	ds_read_b128 v[18:21], v18 offset:2048
	v_and_b32_e32 v56, 63, v0
	v_cmp_gt_u32_e32 vcc, 4, v54
	v_mov_b32_e32 v48, 0
	s_and_saveexec_b64 s[10:11], vcc
	s_cbranch_execz .LBB515_15
; %bb.14:
	s_load_dwordx2 s[12:13], s[0:1], 0x40
	v_or_b32_e32 v46, s27, v54
	v_ashrrev_i32_e32 v47, 31, v46
	s_waitcnt lgkmcnt(0)
	v_lshl_add_u64 v[46:47], v[46:47], 2, s[12:13]
	global_load_dword v48, v[46:47], off
.LBB515_15:
	s_or_b64 exec, exec, s[10:11]
	s_ashr_i32 s10, s14, 31
	v_and_or_b32 v44, v0, 48, s14
	s_lshr_b32 s11, s10, 27
	v_add_u32_e32 v46, s11, v44
	v_or_b32_e32 v50, 64, v44
	v_ashrrev_i32_e32 v46, 5, v46
	v_mov_b32_e32 v49, s15
	v_cmp_gt_i32_e32 vcc, s33, v44
	v_add_u32_e32 v51, s11, v50
	s_waitcnt vmcnt(7) lgkmcnt(1)
	v_mfma_f32_16x16x16_bf16 v[58:61], v[22:23], v[38:39], 0
	v_cndmask_b32_e32 v46, v49, v46, vcc
	v_ashrrev_i32_e32 v22, 5, v51
	v_cmp_gt_i32_e32 vcc, s33, v50
	v_ashrrev_i32_e32 v47, 31, v46
	v_lshl_add_u64 v[46:47], v[46:47], 2, s[8:9]
	v_cndmask_b32_e32 v22, v49, v22, vcc
	v_ashrrev_i32_e32 v23, 31, v22
	v_lshl_add_u64 v[22:23], v[22:23], 2, s[8:9]
	global_load_dword v57, v[46:47], off
	global_load_dword v74, v[22:23], off
	s_waitcnt vmcnt(3)
	v_mfma_f32_16x16x16_bf16 v[70:73], v[34:35], v[38:39], 0
	v_or_b32_e32 v46, 0xc0, v44
	v_add_u32_e32 v50, s11, v46
	s_add_u32 s4, s6, s4
	v_mfma_f32_16x16x16_bf16 v[62:65], v[26:27], v[38:39], 0
	s_addc_u32 s5, s7, s5
	s_load_dword s10, s[0:1], 0x1c
	s_mov_b32 s40, 0xff7fffff
	v_mfma_f32_16x16x16_bf16 v[66:69], v[30:31], v[38:39], 0
	v_and_b32_e32 v31, 0xc0, v0
	v_or_b32_e32 v38, 0x80, v44
	v_add_u32_e32 v34, s14, v31
	v_mfma_f32_16x16x16_bf16 v[22:25], v[24:25], v[40:41], v[58:61]
	v_and_b32_e32 v30, 16, v0
	v_add_u32_e32 v47, s11, v38
	v_lshlrev_b32_e32 v44, 1, v30
	v_lshl_or_b32 v58, v53, 2, v34
	v_mfma_f32_16x16x16_bf16 v[34:37], v[36:37], v[40:41], v[70:73]
	v_cmp_gt_i32_e32 vcc, s33, v38
	v_lshlrev_b32_e32 v39, 6, v54
	v_or_b32_e32 v59, 1, v58
	v_mfma_f32_16x16x16_bf16 v[26:29], v[28:29], v[40:41], v[62:65]
	v_cmp_gt_i32_e64 s[28:29], s33, v58
	v_cmp_gt_i32_e64 s[30:31], s33, v59
	v_mfma_f32_16x16x16_bf16 v[30:33], v[32:33], v[40:41], v[66:69]
	v_ashrrev_i32_e32 v40, 5, v47
	v_ashrrev_i32_e32 v41, 5, v50
	v_cndmask_b32_e32 v38, v49, v40, vcc
	v_cmp_gt_i32_e32 vcc, s33, v46
	s_waitcnt lgkmcnt(0)
	v_mfma_f32_16x16x16_bf16 v[22:25], v[2:3], v[18:19], v[22:25]
	v_lshl_add_u64 v[2:3], s[4:5], 0, v[44:45]
	v_cndmask_b32_e32 v40, v49, v41, vcc
	v_lshl_or_b32 v44, v55, 10, v39
	v_ashrrev_i32_e32 v39, 31, v38
	v_ashrrev_i32_e32 v41, 31, v40
	s_waitcnt vmcnt(2)
	v_mfma_f32_16x16x16_bf16 v[34:37], v[14:15], v[18:19], v[34:37]
	v_lshl_add_u64 v[14:15], v[38:39], 2, s[8:9]
	v_subrev_u32_e32 v49, s33, v59
	v_cvt_f32_i32_e32 v60, v49
	v_mfma_f32_16x16x16_bf16 v[26:29], v[6:7], v[18:19], v[26:29]
	v_mfma_f32_16x16x16_bf16 v[30:33], v[10:11], v[18:19], v[30:33]
	v_lshl_add_u64 v[18:19], v[40:41], 2, s[8:9]
	global_load_dword v61, v[14:15], off
	global_load_dword v62, v[18:19], off
	v_lshl_add_u64 v[10:11], v[2:3], 0, v[44:45]
	v_mfma_f32_16x16x16_bf16 v[2:5], v[4:5], v[20:21], v[22:25]
	v_add_u32_e32 v44, 1, v49
	v_add_u32_e32 v45, 3, v49
	;; [unrolled: 1-line block ×3, first 2 shown]
	v_mfma_f32_16x16x16_bf16 v[14:17], v[16:17], v[20:21], v[34:37]
	v_add_u32_e32 v22, 2, v49
	s_nop 1
	v_pk_mul_f32 v[50:51], s[10:11], v[4:5] op_sel_hi:[0,1]
	v_cvt_f32_i32_e32 v18, v18
	v_mfma_f32_16x16x16_bf16 v[6:9], v[8:9], v[20:21], v[26:29]
	v_add_u32_e32 v19, 19, v49
	v_pk_mul_f32 v[34:35], s[10:11], v[16:17] op_sel_hi:[0,1]
	v_pk_mul_f32 v[36:37], s[10:11], v[14:15] op_sel_hi:[0,1]
	v_cvt_f32_i32_e32 v27, v22
	v_mfma_f32_16x16x16_bf16 v[22:25], v[12:13], v[20:21], v[30:33]
	v_pk_mul_f32 v[12:13], s[10:11], v[2:3] op_sel_hi:[0,1]
	v_cvt_f32_i32_e32 v26, v44
	v_cvt_f32_i32_e32 v28, v45
	v_pk_mul_f32 v[44:45], s[10:11], v[8:9] op_sel_hi:[0,1]
	v_pk_mul_f32 v[46:47], s[10:11], v[6:7] op_sel_hi:[0,1]
	v_cvt_f32_i32_e32 v19, v19
	v_fma_f32 v44, v48, v18, v44
	v_add_u32_e32 v18, 34, v49
	v_cvt_f32_i32_e32 v18, v18
	v_fmac_f32_e32 v45, v48, v19
	v_add_u32_e32 v19, 35, v49
	v_cvt_f32_i32_e32 v19, v19
	v_pk_mul_f32 v[40:41], s[10:11], v[22:23] op_sel_hi:[0,1]
	v_pk_mul_f32 v[38:39], s[10:11], v[24:25] op_sel_hi:[0,1]
	v_fma_f32 v38, v48, v18, v38
	v_add_u32_e32 v18, 50, v49
	s_waitcnt vmcnt(3)
	v_mad_i64_i32 v[2:3], s[4:5], v57, s41, 0
	s_waitcnt vmcnt(2)
	v_mad_i64_i32 v[4:5], s[4:5], v74, s41, 0
	v_lshl_add_u64 v[16:17], v[2:3], 1, v[10:11]
	v_lshl_add_u64 v[14:15], v[4:5], 1, v[10:11]
	global_load_dwordx4 v[6:9], v[16:17], off
	global_load_dwordx4 v[2:5], v[16:17], off offset:16
	v_add_u32_e32 v16, 16, v49
	v_cvt_f32_i32_e32 v16, v16
	v_add_u32_e32 v17, 17, v49
	v_cvt_f32_i32_e32 v17, v17
	v_fmac_f32_e32 v39, v48, v19
	v_fma_f32 v46, v48, v16, v46
	v_add_u32_e32 v16, 32, v49
	v_fmac_f32_e32 v47, v48, v17
	v_cvt_f32_i32_e32 v16, v16
	v_add_u32_e32 v17, 33, v49
	v_cvt_f32_i32_e32 v17, v17
	v_cvt_f32_i32_e32 v18, v18
	v_fma_f32 v40, v48, v16, v40
	v_add_u32_e32 v16, 48, v49
	v_fmac_f32_e32 v41, v48, v17
	v_cvt_f32_i32_e32 v16, v16
	v_add_u32_e32 v17, 49, v49
	v_cvt_f32_i32_e32 v17, v17
	v_add_u32_e32 v19, 51, v49
	v_cvt_f32_i32_e32 v19, v19
	v_fma_f32 v12, v48, v60, v12
	v_fmac_f32_e32 v13, v48, v26
	v_fma_f32 v36, v48, v16, v36
	v_mov_b32_e32 v16, 0xff7fffff
	v_fmac_f32_e32 v37, v48, v17
	v_fma_f32 v34, v48, v18, v34
	v_cndmask_b32_e64 v17, v16, v12, s[28:29]
	v_cndmask_b32_e64 v18, v16, v13, s[30:31]
	v_fmac_f32_e32 v35, v48, v19
	v_max3_f32 v17, v17, s40, v18
	v_or_b32_e32 v18, 2, v58
	v_or_b32_e32 v19, 3, v58
	v_fma_f32 v50, v48, v27, v50
	v_fmac_f32_e32 v51, v48, v28
	v_cmp_gt_i32_e64 s[34:35], s33, v18
	v_cmp_gt_i32_e64 s[36:37], s33, v19
	global_load_dwordx4 v[30:33], v[14:15], off
	global_load_dwordx4 v[26:29], v[14:15], off offset:16
	v_cndmask_b32_e64 v18, v16, v50, s[34:35]
	v_cndmask_b32_e64 v19, v16, v51, s[36:37]
	v_max3_f32 v17, v17, v18, v19
	v_or_b32_e32 v18, 16, v58
	v_or_b32_e32 v19, 17, v58
	v_cmp_gt_i32_e64 s[22:23], s33, v18
	v_cmp_gt_i32_e64 s[24:25], s33, v19
	s_nop 0
	v_cndmask_b32_e64 v18, v16, v46, s[22:23]
	v_cndmask_b32_e64 v19, v16, v47, s[24:25]
	v_max3_f32 v17, v17, v18, v19
	v_or_b32_e32 v18, 18, v58
	v_or_b32_e32 v19, 19, v58
	v_cmp_gt_i32_e64 s[18:19], s33, v18
	v_cmp_gt_i32_e64 s[20:21], s33, v19
	s_nop 0
	;; [unrolled: 8-line block ×5, first 2 shown]
	v_cndmask_b32_e64 v18, v16, v36, s[6:7]
	v_cndmask_b32_e64 v19, v16, v37, s[8:9]
	v_max3_f32 v17, v17, v18, v19
	v_or_b32_e32 v18, 50, v58
	v_or_b32_e32 v19, 51, v58
	v_cmp_gt_i32_e32 vcc, s33, v18
	v_cmp_gt_i32_e64 s[4:5], s33, v19
	s_nop 0
	v_cndmask_b32_e32 v18, v16, v34, vcc
	v_cndmask_b32_e64 v16, v16, v35, s[4:5]
	v_max3_f32 v16, v17, v18, v16
	v_mbcnt_lo_u32_b32 v17, -1, 0
	v_mbcnt_hi_u32_b32 v17, -1, v17
	v_and_b32_e32 v18, 64, v17
	v_add_u32_e32 v18, 64, v18
	v_xor_b32_e32 v19, 32, v17
	v_cmp_lt_i32_e64 s[38:39], v19, v18
	s_nop 1
	v_cndmask_b32_e64 v19, v17, v19, s[38:39]
	v_lshlrev_b32_e32 v58, 2, v19
	ds_bpermute_b32 v19, v58, v16
	s_waitcnt vmcnt(5)
	v_mad_i64_i32 v[14:15], s[38:39], v61, s41, 0
	v_lshl_add_u64 v[14:15], v[14:15], 1, v[10:11]
	s_waitcnt lgkmcnt(0)
	v_max_f32_e32 v19, v19, v19
	v_max_f32_e32 v16, v16, v19
	v_xor_b32_e32 v19, 16, v17
	v_cmp_lt_i32_e64 s[38:39], v19, v18
	s_nop 1
	v_cndmask_b32_e64 v17, v17, v19, s[38:39]
	v_lshlrev_b32_e32 v60, 2, v17
	ds_bpermute_b32 v17, v60, v16
	global_load_dwordx4 v[22:25], v[14:15], off
	global_load_dwordx4 v[18:21], v[14:15], off offset:16
	s_waitcnt vmcnt(6)
	v_mad_i64_i32 v[14:15], s[38:39], v62, s41, 0
	v_lshl_add_u64 v[10:11], v[14:15], 1, v[10:11]
	s_waitcnt lgkmcnt(0)
	v_max_f32_e32 v14, v17, v17
	v_max_f32_e32 v57, v16, v14
	v_sub_f32_e32 v12, v12, v57
	v_mul_f32_e32 v12, 0x3fb8aa3b, v12
	v_exp_f32_e32 v48, v12
	v_sub_f32_e32 v12, v13, v57
	v_mul_f32_e32 v12, 0x3fb8aa3b, v12
	v_exp_f32_e32 v49, v12
	global_load_dwordx4 v[14:17], v[10:11], off
	s_nop 0
	global_load_dwordx4 v[10:13], v[10:11], off offset:16
	v_sub_f32_e32 v50, v50, v57
	v_mul_f32_e32 v50, 0x3fb8aa3b, v50
	v_sub_f32_e32 v51, v51, v57
	v_exp_f32_e32 v50, v50
	v_mul_f32_e32 v51, 0x3fb8aa3b, v51
	v_sub_f32_e32 v46, v46, v57
	v_exp_f32_e32 v51, v51
	v_mul_f32_e32 v46, 0x3fb8aa3b, v46
	v_sub_f32_e32 v47, v47, v57
	v_cndmask_b32_e64 v48, 0, v48, s[28:29]
	v_exp_f32_e32 v46, v46
	v_mul_f32_e32 v47, 0x3fb8aa3b, v47
	v_sub_f32_e32 v44, v44, v57
	v_add_f32_e32 v59, 0, v48
	v_cndmask_b32_e64 v49, 0, v49, s[30:31]
	v_exp_f32_e32 v47, v47
	v_mul_f32_e32 v44, 0x3fb8aa3b, v44
	v_sub_f32_e32 v45, v45, v57
	v_add_f32_e32 v59, v59, v49
	v_cndmask_b32_e64 v50, 0, v50, s[34:35]
	v_exp_f32_e32 v44, v44
	v_mul_f32_e32 v45, 0x3fb8aa3b, v45
	v_sub_f32_e32 v40, v40, v57
	v_add_f32_e32 v59, v59, v50
	v_cndmask_b32_e64 v51, 0, v51, s[36:37]
	v_exp_f32_e32 v45, v45
	v_mul_f32_e32 v40, 0x3fb8aa3b, v40
	v_sub_f32_e32 v41, v41, v57
	v_add_f32_e32 v59, v59, v51
	v_cndmask_b32_e64 v46, 0, v46, s[22:23]
	v_exp_f32_e32 v40, v40
	v_mul_f32_e32 v41, 0x3fb8aa3b, v41
	v_sub_f32_e32 v38, v38, v57
	v_add_f32_e32 v59, v59, v46
	v_cndmask_b32_e64 v47, 0, v47, s[24:25]
	v_exp_f32_e32 v41, v41
	v_mul_f32_e32 v38, 0x3fb8aa3b, v38
	v_sub_f32_e32 v39, v39, v57
	v_add_f32_e32 v59, v59, v47
	v_cndmask_b32_e64 v44, 0, v44, s[18:19]
	v_exp_f32_e32 v38, v38
	v_mul_f32_e32 v39, 0x3fb8aa3b, v39
	v_sub_f32_e32 v36, v36, v57
	v_add_f32_e32 v59, v59, v44
	v_cndmask_b32_e64 v45, 0, v45, s[20:21]
	v_exp_f32_e32 v39, v39
	v_mul_f32_e32 v36, 0x3fb8aa3b, v36
	v_sub_f32_e32 v37, v37, v57
	v_add_f32_e32 v59, v59, v45
	v_cndmask_b32_e64 v40, 0, v40, s[14:15]
	v_exp_f32_e32 v36, v36
	v_mul_f32_e32 v37, 0x3fb8aa3b, v37
	v_sub_f32_e32 v34, v34, v57
	v_add_f32_e32 v59, v59, v40
	v_cndmask_b32_e64 v41, 0, v41, s[16:17]
	v_exp_f32_e32 v37, v37
	v_mul_f32_e32 v34, 0x3fb8aa3b, v34
	v_sub_f32_e32 v35, v35, v57
	v_add_f32_e32 v59, v59, v41
	v_cndmask_b32_e64 v38, 0, v38, s[10:11]
	v_exp_f32_e32 v34, v34
	v_mul_f32_e32 v35, 0x3fb8aa3b, v35
	v_add_f32_e32 v59, v59, v38
	v_cndmask_b32_e64 v39, 0, v39, s[12:13]
	v_exp_f32_e32 v35, v35
	v_add_f32_e32 v59, v59, v39
	v_cndmask_b32_e64 v36, 0, v36, s[6:7]
	v_add_f32_e32 v59, v59, v36
	v_cndmask_b32_e64 v37, 0, v37, s[8:9]
	v_add_f32_e32 v59, v59, v37
	v_cndmask_b32_e32 v34, 0, v34, vcc
	v_add_f32_e32 v59, v59, v34
	v_cndmask_b32_e64 v35, 0, v35, s[4:5]
	v_add_f32_e32 v59, v59, v35
	ds_bpermute_b32 v58, v58, v59
	s_load_dword s7, s[0:1], 0x98
	v_cmp_gt_u32_e32 vcc, 16, v56
	s_waitcnt lgkmcnt(0)
	s_barrier
	v_add_f32_e32 v59, v59, v58
	ds_bpermute_b32 v60, v60, v59
	v_lshlrev_b32_e32 v58, 2, v54
	s_waitcnt lgkmcnt(0)
	s_and_saveexec_b64 s[4:5], vcc
	s_cbranch_execz .LBB515_17
; %bb.16:
	v_add_f32_e32 v56, v59, v60
	v_lshl_or_b32 v59, v55, 6, v58
	ds_write2st64_b32 v59, v57, v56 offset1:1
.LBB515_17:
	s_or_b64 exec, exec, s[4:5]
	s_load_dword s6, s[0:1], 0x94
	s_waitcnt lgkmcnt(0)
	s_barrier
	ds_read2_b32 v[60:61], v58 offset1:16
	ds_read2_b32 v[62:63], v58 offset0:32 offset1:48
	ds_read2_b32 v[64:65], v58 offset0:64 offset1:80
	;; [unrolled: 1-line block ×3, first 2 shown]
	s_movk_i32 s8, 0x7fff
	s_waitcnt lgkmcnt(3)
	v_max3_f32 v56, v60, s40, v61
	s_waitcnt lgkmcnt(2)
	v_max3_f32 v56, v56, v62, v63
	v_sub_f32_e32 v57, v60, v56
	v_mul_f32_e32 v57, 0x3fb8aa3b, v57
	v_exp_f32_e32 v60, v57
	v_sub_f32_e32 v57, v61, v56
	v_mul_f32_e32 v57, 0x3fb8aa3b, v57
	v_exp_f32_e32 v61, v57
	;; [unrolled: 3-line block ×4, first 2 shown]
	s_waitcnt lgkmcnt(1)
	v_fma_f32 v57, v60, v64, 0
	v_fmac_f32_e32 v57, v61, v65
	s_waitcnt lgkmcnt(0)
	v_fmac_f32_e32 v57, v62, v58
	v_fmac_f32_e32 v57, v63, v59
	v_add_f32_e32 v58, 0x358637bd, v57
	v_div_scale_f32 v59, s[4:5], v58, v58, 1.0
	v_rcp_f32_e32 v64, v59
	s_mov_b32 s9, 0x7060302
	s_lshl_b32 s7, s7, 2
	v_fma_f32 v65, -v59, v64, 1.0
	v_fmac_f32_e32 v64, v65, v64
	v_div_scale_f32 v65, vcc, 1.0, v58, 1.0
	v_mul_f32_e32 v66, v65, v64
	v_fma_f32 v67, -v59, v66, v65
	v_fmac_f32_e32 v66, v67, v64
	v_fma_f32 v59, -v59, v66, v65
	v_div_fmas_f32 v59, v59, v64, v66
	v_cmp_eq_u32_e32 vcc, 1, v55
	v_div_fixup_f32 v58, v59, v58, 1.0
	s_barrier
	v_cndmask_b32_e32 v59, v60, v61, vcc
	v_cmp_eq_u32_e32 vcc, 2, v55
	s_nop 1
	v_cndmask_b32_e32 v59, v59, v62, vcc
	v_cmp_eq_u32_e32 vcc, 3, v55
	s_nop 1
	v_cndmask_b32_e32 v59, v59, v63, vcc
	v_mul_f32_e32 v58, v59, v58
	v_pk_mul_f32 v[48:49], v[58:59], v[48:49] op_sel_hi:[0,1]
	v_pk_mul_f32 v[50:51], v[58:59], v[50:51] op_sel_hi:[0,1]
	v_bfe_u32 v59, v49, 16, 1
	v_bfe_u32 v60, v48, 16, 1
	v_add3_u32 v48, v48, v60, s8
	v_add3_u32 v49, v49, v59, s8
	v_perm_b32 v60, v49, v48, s9
	v_bfe_u32 v48, v51, 16, 1
	v_bfe_u32 v49, v50, 16, 1
	v_add3_u32 v49, v50, v49, s8
	v_add3_u32 v48, v51, v48, s8
	v_perm_b32 v61, v48, v49, s9
	v_lshlrev_b32_e32 v48, 3, v53
	v_lshlrev_b32_e32 v49, 5, v54
	;; [unrolled: 1-line block ×3, first 2 shown]
	v_pk_mul_f32 v[46:47], v[58:59], v[46:47] op_sel_hi:[0,1]
	v_or3_b32 v48, v50, v49, v48
	v_bfe_u32 v50, v47, 16, 1
	v_bfe_u32 v51, v46, 16, 1
	v_pk_mul_f32 v[44:45], v[58:59], v[44:45] op_sel_hi:[0,1]
	v_add3_u32 v46, v46, v51, s8
	v_add3_u32 v47, v47, v50, s8
	v_perm_b32 v46, v47, v46, s9
	v_bfe_u32 v47, v45, 16, 1
	v_bfe_u32 v50, v44, 16, 1
	v_add3_u32 v44, v44, v50, s8
	v_add3_u32 v45, v45, v47, s8
	v_pk_mul_f32 v[40:41], v[58:59], v[40:41] op_sel_hi:[0,1]
	v_perm_b32 v47, v45, v44, s9
	v_bfe_u32 v44, v41, 16, 1
	v_bfe_u32 v45, v40, 16, 1
	v_pk_mul_f32 v[38:39], v[58:59], v[38:39] op_sel_hi:[0,1]
	v_add3_u32 v40, v40, v45, s8
	v_add3_u32 v41, v41, v44, s8
	v_perm_b32 v40, v41, v40, s9
	v_bfe_u32 v41, v39, 16, 1
	v_bfe_u32 v44, v38, 16, 1
	v_add3_u32 v38, v38, v44, s8
	v_add3_u32 v39, v39, v41, s8
	v_pk_mul_f32 v[36:37], v[58:59], v[36:37] op_sel_hi:[0,1]
	v_perm_b32 v41, v39, v38, s9
	v_bfe_u32 v38, v37, 16, 1
	v_bfe_u32 v39, v36, 16, 1
	v_pk_mul_f32 v[34:35], v[58:59], v[34:35] op_sel_hi:[0,1]
	v_add3_u32 v36, v36, v39, s8
	v_add3_u32 v37, v37, v38, s8
	v_perm_b32 v36, v37, v36, s9
	v_bfe_u32 v37, v35, 16, 1
	v_bfe_u32 v38, v34, 16, 1
	v_add3_u32 v34, v34, v38, s8
	v_add3_u32 v35, v35, v37, s8
	v_perm_b32 v37, v35, v34, s9
	v_cmp_gt_u32_e32 vcc, 4, v0
	ds_write2st64_b64 v48, v[60:61], v[46:47] offset1:1
	ds_write2st64_b64 v48, v[40:41], v[36:37] offset0:2 offset1:3
	s_and_saveexec_b64 s[4:5], vcc
	s_cbranch_execz .LBB515_19
; %bb.18:
	v_or_b32_e32 v34, s27, v0
	v_mov_b32_e32 v35, 0
	v_mov_b32_e32 v36, s7
	v_mad_u64_u32 v[36:37], s[10:11], s2, v36, v[34:35]
	v_mov_b32_e32 v34, s26
	s_load_dwordx4 s[12:15], s[0:1], 0x58
	s_mul_i32 s3, s3, s7
	v_mad_u64_u32 v[34:35], s[10:11], v36, s6, v[34:35]
	v_add_u32_e32 v37, s3, v37
	v_mov_b32_e32 v36, v35
	v_mad_u64_u32 v[36:37], s[10:11], v37, s6, v[36:37]
	v_mov_b32_e32 v35, v36
	v_lshlrev_b64 v[34:35], 2, v[34:35]
	s_waitcnt lgkmcnt(0)
	v_lshl_add_u64 v[36:37], s[14:15], 0, v[34:35]
	v_lshl_add_u64 v[34:35], s[12:13], 0, v[34:35]
	global_store_dword v[36:37], v56, off
	global_store_dword v[34:35], v57, off
.LBB515_19:
	s_or_b64 exec, exec, s[4:5]
	v_lshl_or_b32 v49, v53, 9, v49
	s_waitcnt lgkmcnt(0)
	s_barrier
	ds_read_b128 v[34:37], v49
	ds_read_b128 v[38:41], v49 offset:16
	s_waitcnt vmcnt(7) lgkmcnt(1)
	v_mfma_f32_16x16x16_bf16 v[44:47], v[6:7], v[34:35], 0
	s_mov_b32 s3, 0
	v_mfma_f32_16x16x16_bf16 v[6:9], v[8:9], v[36:37], v[44:47]
	s_waitcnt vmcnt(6) lgkmcnt(0)
	v_mfma_f32_16x16x16_bf16 v[6:9], v[2:3], v[38:39], v[6:9]
	v_mfma_f32_16x16x16_bf16 v[2:5], v[4:5], v[40:41], v[6:9]
	s_nop 5
	ds_read_b128 v[6:9], v49 offset:2048
	ds_read_b128 v[34:37], v49 offset:2064
	s_waitcnt vmcnt(5) lgkmcnt(1)
	v_mfma_f32_16x16x16_bf16 v[2:5], v[30:31], v[6:7], v[2:5]
	v_mfma_f32_16x16x16_bf16 v[2:5], v[32:33], v[8:9], v[2:5]
	s_waitcnt vmcnt(4) lgkmcnt(0)
	v_mfma_f32_16x16x16_bf16 v[2:5], v[26:27], v[34:35], v[2:5]
	v_mfma_f32_16x16x16_bf16 v[2:5], v[28:29], v[36:37], v[2:5]
	ds_read_b128 v[6:9], v49 offset:4096
	ds_read_b128 v[26:29], v49 offset:4112
	s_waitcnt vmcnt(3) lgkmcnt(1)
	v_mfma_f32_16x16x16_bf16 v[2:5], v[22:23], v[6:7], v[2:5]
	v_mfma_f32_16x16x16_bf16 v[2:5], v[24:25], v[8:9], v[2:5]
	s_waitcnt vmcnt(2) lgkmcnt(0)
	v_mfma_f32_16x16x16_bf16 v[2:5], v[18:19], v[26:27], v[2:5]
	v_mfma_f32_16x16x16_bf16 v[2:5], v[20:21], v[28:29], v[2:5]
	ds_read_b128 v[6:9], v49 offset:6144
	ds_read_b128 v[18:21], v49 offset:6160
	s_waitcnt lgkmcnt(0)
	s_barrier
	s_waitcnt vmcnt(1)
	v_mfma_f32_16x16x16_bf16 v[2:5], v[14:15], v[6:7], v[2:5]
	v_mfma_f32_16x16x16_bf16 v[2:5], v[16:17], v[8:9], v[2:5]
	s_waitcnt vmcnt(0)
	v_mfma_f32_16x16x16_bf16 v[2:5], v[10:11], v[18:19], v[2:5]
	v_mfma_f32_16x16x16_bf16 v[2:5], v[12:13], v[20:21], v[2:5]
	s_nop 6
	v_bfe_u32 v6, v3, 16, 1
	v_bfe_u32 v7, v2, 16, 1
	;; [unrolled: 1-line block ×4, first 2 shown]
	v_add3_u32 v2, v2, v7, s8
	v_add3_u32 v3, v3, v6, s8
	;; [unrolled: 1-line block ×4, first 2 shown]
	v_perm_b32 v2, v3, v2, s9
	v_perm_b32 v3, v5, v4, s9
	ds_write_b64 v48, v[2:3]
	s_waitcnt lgkmcnt(0)
	s_barrier
	s_and_saveexec_b64 s[4:5], s[44:45]
	s_cbranch_execz .LBB515_21
; %bb.20:
	s_load_dwordx2 s[0:1], s[0:1], 0x68
	s_lshl_b32 s6, s6, 6
	s_mul_i32 s2, s7, s2
	s_mul_hi_u32 s5, s2, s6
	s_mul_i32 s4, s2, s6
	v_lshlrev_b32_e32 v2, 10, v0
	v_lshlrev_b32_e32 v0, 4, v0
	s_lshl_b64 s[4:5], s[4:5], 1
	v_and_b32_e32 v2, 0x1800, v2
	v_and_b32_e32 v0, 16, v0
	s_waitcnt lgkmcnt(0)
	s_add_u32 s4, s0, s4
	v_or3_b32 v0, v2, v52, v0
	s_addc_u32 s5, s1, s5
	s_lshl_b32 s2, s26, 6
	ds_read_b128 v[2:5], v0
	s_lshl_b64 s[0:1], s[2:3], 1
	s_add_u32 s0, s4, s0
	s_addc_u32 s1, s5, s1
	v_mad_u64_u32 v[0:1], s[2:3], s6, v1, 0
	v_lshl_add_u64 v[0:1], v[0:1], 1, s[0:1]
	v_lshl_add_u64 v[0:1], v[42:43], 1, v[0:1]
	s_waitcnt lgkmcnt(0)
	global_store_dwordx4 v[0:1], v[2:5], off
.LBB515_21:
	s_endpgm
	.section	.rodata,"a",@progbits
	.p2align	6, 0x0
	.amdhsa_kernel _Z39paged_attention_ll4mi_QKV_mfma16_kernelI14__hip_bfloat16S0_LN4vllm18Fp8KVCacheDataTypeE0EhLi32ELi64ELi256ELb1ELi4EEvPKT_PKT0_S8_ifPKiSA_SA_iPKfiiiPfSD_PS3_PT2_iSC_SC_
		.amdhsa_group_segment_fixed_size 8192
		.amdhsa_private_segment_fixed_size 0
		.amdhsa_kernarg_size 400
		.amdhsa_user_sgpr_count 2
		.amdhsa_user_sgpr_dispatch_ptr 0
		.amdhsa_user_sgpr_queue_ptr 0
		.amdhsa_user_sgpr_kernarg_segment_ptr 1
		.amdhsa_user_sgpr_dispatch_id 0
		.amdhsa_user_sgpr_kernarg_preload_length 0
		.amdhsa_user_sgpr_kernarg_preload_offset 0
		.amdhsa_user_sgpr_private_segment_size 0
		.amdhsa_uses_dynamic_stack 0
		.amdhsa_enable_private_segment 0
		.amdhsa_system_sgpr_workgroup_id_x 1
		.amdhsa_system_sgpr_workgroup_id_y 1
		.amdhsa_system_sgpr_workgroup_id_z 1
		.amdhsa_system_sgpr_workgroup_info 0
		.amdhsa_system_vgpr_workitem_id 0
		.amdhsa_next_free_vgpr 75
		.amdhsa_next_free_sgpr 46
		.amdhsa_accum_offset 76
		.amdhsa_reserve_vcc 1
		.amdhsa_float_round_mode_32 0
		.amdhsa_float_round_mode_16_64 0
		.amdhsa_float_denorm_mode_32 3
		.amdhsa_float_denorm_mode_16_64 3
		.amdhsa_dx10_clamp 1
		.amdhsa_ieee_mode 1
		.amdhsa_fp16_overflow 0
		.amdhsa_tg_split 0
		.amdhsa_exception_fp_ieee_invalid_op 0
		.amdhsa_exception_fp_denorm_src 0
		.amdhsa_exception_fp_ieee_div_zero 0
		.amdhsa_exception_fp_ieee_overflow 0
		.amdhsa_exception_fp_ieee_underflow 0
		.amdhsa_exception_fp_ieee_inexact 0
		.amdhsa_exception_int_div_zero 0
	.end_amdhsa_kernel
	.section	.text._Z39paged_attention_ll4mi_QKV_mfma16_kernelI14__hip_bfloat16S0_LN4vllm18Fp8KVCacheDataTypeE0EhLi32ELi64ELi256ELb1ELi4EEvPKT_PKT0_S8_ifPKiSA_SA_iPKfiiiPfSD_PS3_PT2_iSC_SC_,"axG",@progbits,_Z39paged_attention_ll4mi_QKV_mfma16_kernelI14__hip_bfloat16S0_LN4vllm18Fp8KVCacheDataTypeE0EhLi32ELi64ELi256ELb1ELi4EEvPKT_PKT0_S8_ifPKiSA_SA_iPKfiiiPfSD_PS3_PT2_iSC_SC_,comdat
.Lfunc_end515:
	.size	_Z39paged_attention_ll4mi_QKV_mfma16_kernelI14__hip_bfloat16S0_LN4vllm18Fp8KVCacheDataTypeE0EhLi32ELi64ELi256ELb1ELi4EEvPKT_PKT0_S8_ifPKiSA_SA_iPKfiiiPfSD_PS3_PT2_iSC_SC_, .Lfunc_end515-_Z39paged_attention_ll4mi_QKV_mfma16_kernelI14__hip_bfloat16S0_LN4vllm18Fp8KVCacheDataTypeE0EhLi32ELi64ELi256ELb1ELi4EEvPKT_PKT0_S8_ifPKiSA_SA_iPKfiiiPfSD_PS3_PT2_iSC_SC_
                                        ; -- End function
	.section	.AMDGPU.csdata,"",@progbits
; Kernel info:
; codeLenInByte = 4304
; NumSgprs: 52
; NumVgprs: 75
; NumAgprs: 0
; TotalNumVgprs: 75
; ScratchSize: 0
; MemoryBound: 0
; FloatMode: 240
; IeeeMode: 1
; LDSByteSize: 8192 bytes/workgroup (compile time only)
; SGPRBlocks: 6
; VGPRBlocks: 9
; NumSGPRsForWavesPerEU: 52
; NumVGPRsForWavesPerEU: 75
; AccumOffset: 76
; Occupancy: 6
; WaveLimiterHint : 1
; COMPUTE_PGM_RSRC2:SCRATCH_EN: 0
; COMPUTE_PGM_RSRC2:USER_SGPR: 2
; COMPUTE_PGM_RSRC2:TRAP_HANDLER: 0
; COMPUTE_PGM_RSRC2:TGID_X_EN: 1
; COMPUTE_PGM_RSRC2:TGID_Y_EN: 1
; COMPUTE_PGM_RSRC2:TGID_Z_EN: 1
; COMPUTE_PGM_RSRC2:TIDIG_COMP_CNT: 0
; COMPUTE_PGM_RSRC3_GFX90A:ACCUM_OFFSET: 18
; COMPUTE_PGM_RSRC3_GFX90A:TG_SPLIT: 0
	.section	.text._Z38paged_attention_ll4mi_QKV_mfma4_kernelI14__hip_bfloat16S0_LN4vllm18Fp8KVCacheDataTypeE0EhLi32ELi64ELi256ELb0ELi1EEvPKT_PKT0_S8_ifPKiSA_SA_iPKfiiiPfSD_PS3_PT2_iSC_SC_,"axG",@progbits,_Z38paged_attention_ll4mi_QKV_mfma4_kernelI14__hip_bfloat16S0_LN4vllm18Fp8KVCacheDataTypeE0EhLi32ELi64ELi256ELb0ELi1EEvPKT_PKT0_S8_ifPKiSA_SA_iPKfiiiPfSD_PS3_PT2_iSC_SC_,comdat
	.protected	_Z38paged_attention_ll4mi_QKV_mfma4_kernelI14__hip_bfloat16S0_LN4vllm18Fp8KVCacheDataTypeE0EhLi32ELi64ELi256ELb0ELi1EEvPKT_PKT0_S8_ifPKiSA_SA_iPKfiiiPfSD_PS3_PT2_iSC_SC_ ; -- Begin function _Z38paged_attention_ll4mi_QKV_mfma4_kernelI14__hip_bfloat16S0_LN4vllm18Fp8KVCacheDataTypeE0EhLi32ELi64ELi256ELb0ELi1EEvPKT_PKT0_S8_ifPKiSA_SA_iPKfiiiPfSD_PS3_PT2_iSC_SC_
	.globl	_Z38paged_attention_ll4mi_QKV_mfma4_kernelI14__hip_bfloat16S0_LN4vllm18Fp8KVCacheDataTypeE0EhLi32ELi64ELi256ELb0ELi1EEvPKT_PKT0_S8_ifPKiSA_SA_iPKfiiiPfSD_PS3_PT2_iSC_SC_
	.p2align	8
	.type	_Z38paged_attention_ll4mi_QKV_mfma4_kernelI14__hip_bfloat16S0_LN4vllm18Fp8KVCacheDataTypeE0EhLi32ELi64ELi256ELb0ELi1EEvPKT_PKT0_S8_ifPKiSA_SA_iPKfiiiPfSD_PS3_PT2_iSC_SC_,@function
_Z38paged_attention_ll4mi_QKV_mfma4_kernelI14__hip_bfloat16S0_LN4vllm18Fp8KVCacheDataTypeE0EhLi32ELi64ELi256ELb0ELi1EEvPKT_PKT0_S8_ifPKiSA_SA_iPKfiiiPfSD_PS3_PT2_iSC_SC_: ; @_Z38paged_attention_ll4mi_QKV_mfma4_kernelI14__hip_bfloat16S0_LN4vllm18Fp8KVCacheDataTypeE0EhLi32ELi64ELi256ELb0ELi1EEvPKT_PKT0_S8_ifPKiSA_SA_iPKfiiiPfSD_PS3_PT2_iSC_SC_
; %bb.0:
	s_load_dwordx2 s[16:17], s[0:1], 0x30
	s_mov_b32 s20, s3
	s_mov_b64 s[6:7], 0
	s_waitcnt lgkmcnt(0)
	s_cmp_lg_u64 s[16:17], 0
	s_cselect_b64 s[18:19], -1, 0
	s_and_b64 vcc, exec, s[18:19]
	s_cbranch_vccz .LBB516_10
; %bb.1:
	s_add_i32 s8, s2, 1
	s_mov_b32 s9, 0
	s_lshl_b64 s[10:11], s[8:9], 2
	s_add_u32 s10, s16, s10
	s_mov_b32 s3, s9
	s_addc_u32 s11, s17, s11
	s_lshl_b64 s[8:9], s[2:3], 2
	s_add_u32 s8, s16, s8
	s_addc_u32 s9, s17, s9
	s_load_dword s5, s[10:11], 0x0
	s_load_dword s12, s[8:9], 0x0
	s_waitcnt lgkmcnt(0)
	s_sub_i32 s5, s5, s12
	s_cmp_eq_u32 s5, 1
	s_cselect_b64 s[8:9], -1, 0
	s_andn2_b64 vcc, exec, s[6:7]
	s_cbranch_vccnz .LBB516_3
.LBB516_2:
	s_mov_b32 s3, 0
	s_mov_b64 s[8:9], -1
.LBB516_3:
	s_andn2_b64 vcc, exec, s[8:9]
	s_cbranch_vccnz .LBB516_23
; %bb.4:
	s_load_dword s5, s[0:1], 0x9c
	s_load_dwordx2 s[6:7], s[0:1], 0x28
	s_add_u32 s24, s0, 0x90
	s_addc_u32 s25, s1, 0
	s_lshl_b64 s[28:29], s[2:3], 2
	s_waitcnt lgkmcnt(0)
	s_and_b32 s5, s5, 0xffff
	s_add_u32 s6, s6, s28
	s_addc_u32 s7, s7, s29
	s_load_dword s3, s[6:7], 0x0
	s_mul_i32 s10, s20, s5
	s_waitcnt lgkmcnt(0)
	s_cmp_ge_i32 s10, s3
	s_cbranch_scc1 .LBB516_23
; %bb.5:
	v_and_b32_e32 v2, 0xc0, v0
	v_add_u32_e32 v2, s10, v2
	v_lshrrev_b32_e32 v1, 6, v0
	v_cmp_gt_i32_e64 s[6:7], s3, v2
	v_cmp_le_i32_e32 vcc, s3, v2
                                        ; implicit-def: $sgpr21
                                        ; implicit-def: $sgpr11
	s_and_saveexec_b64 s[8:9], vcc
	s_xor_b64 s[8:9], exec, s[8:9]
	s_cbranch_execz .LBB516_7
; %bb.6:
	v_mul_u32_u24_e32 v2, 20, v1
	v_or_b32_e32 v2, 0xa00, v2
	v_mov_b32_e32 v3, 0xa50
	v_mov_b32_e32 v4, 0xff7fffff
	v_mad_u32_u24 v3, v1, 20, v3
	ds_write2_b32 v2, v4, v4 offset1:1
	v_mov_b32_e32 v2, 0
	ds_write2_b32 v3, v2, v2 offset1:1
	v_mov_b32_e32 v3, 0xa08
	s_mov_b32 s11, 0xff7fffff
	s_mov_b32 s21, 0
	v_mad_u32_u24 v3, v1, 20, v3
	v_mov_b32_e32 v5, 0xa58
	v_mad_u32_u24 v5, v1, 20, v5
	ds_write2_b32 v3, v4, v4 offset1:1
	ds_write2_b32 v5, v2, v2 offset1:1
                                        ; implicit-def: $vgpr2
.LBB516_7:
	s_or_saveexec_b64 s[26:27], s[8:9]
	s_load_dwordx2 s[22:23], s[0:1], 0x68
	s_load_dwordx4 s[12:15], s[0:1], 0x58
	s_load_dword s5, s[24:25], 0x4
	v_and_b32_e32 v40, 63, v0
	v_and_b32_e32 v39, 3, v0
	v_mov_b32_e32 v37, s21
	v_mov_b32_e32 v41, s11
	;; [unrolled: 1-line block ×5, first 2 shown]
                                        ; implicit-def: $vgpr3
                                        ; implicit-def: $vgpr7
                                        ; implicit-def: $vgpr11
                                        ; implicit-def: $vgpr15
                                        ; implicit-def: $vgpr19
                                        ; implicit-def: $vgpr23
                                        ; implicit-def: $vgpr27
                                        ; implicit-def: $vgpr31
	s_xor_b64 exec, exec, s[26:27]
	s_cbranch_execz .LBB516_17
; %bb.8:
	s_add_i32 s21, s3, 31
	s_load_dwordx2 s[8:9], s[0:1], 0x20
	s_load_dword s11, s[0:1], 0x38
	s_ashr_i32 s30, s21, 31
	s_lshr_b32 s30, s30, 27
	v_add_u32_e32 v38, s10, v0
	s_add_i32 s21, s21, s30
	v_ashrrev_i32_e32 v3, 31, v38
	s_ashr_i32 s21, s21, 5
	v_lshrrev_b32_e32 v3, 27, v3
	s_add_i32 s21, s21, -1
	v_add_u32_e32 v3, v38, v3
	s_waitcnt lgkmcnt(0)
	s_mul_i32 s30, s2, s11
	s_mov_b32 s31, 0
	v_ashrrev_i32_e32 v3, 5, v3
	v_mov_b32_e32 v4, s21
	v_cmp_gt_i32_e32 vcc, s3, v38
	s_lshl_b64 s[30:31], s[30:31], 2
	s_add_u32 s8, s8, s30
	v_cndmask_b32_e32 v4, v4, v3, vcc
	v_ashrrev_i32_e32 v3, 31, v2
	v_lshrrev_b32_e32 v3, 27, v3
	s_addc_u32 s9, s9, s31
	v_ashrrev_i32_e32 v5, 31, v4
	v_add_u32_e32 v2, v2, v3
	v_lshl_add_u64 v[6:7], v[4:5], 2, s[8:9]
	v_ashrrev_i32_e32 v4, 5, v2
	v_min_i32_e32 v2, s21, v4
	v_ashrrev_i32_e32 v3, 31, v2
	v_lshl_add_u64 v[8:9], v[2:3], 2, s[8:9]
	v_add_u32_e32 v2, 1, v4
	v_min_i32_e32 v2, s21, v2
	v_ashrrev_i32_e32 v3, 31, v2
	v_lshl_add_u64 v[10:11], v[2:3], 2, s[8:9]
	global_load_dword v2, v[6:7], off
	global_load_dword v5, v[8:9], off
	;; [unrolled: 1-line block ×3, first 2 shown]
	s_load_dwordx4 s[8:11], s[0:1], 0x8
	s_andn2_b64 vcc, exec, s[18:19]
	s_cbranch_vccnz .LBB516_11
; %bb.9:
	s_add_u32 s16, s16, s28
	s_addc_u32 s17, s17, s29
	s_load_dword s21, s[16:17], 0x0
	s_branch .LBB516_12
.LBB516_10:
	s_mov_b64 s[8:9], 0
	s_branch .LBB516_2
.LBB516_11:
	s_mov_b32 s21, s2
.LBB516_12:
	s_load_dwordx4 s[16:19], s[0:1], 0x48
	v_cmp_eq_u32_e32 vcc, 0, v39
	s_mov_b32 s29, 0
	v_mov_b32_e32 v41, 0
	v_mov_b32_e32 v3, 0
	;; [unrolled: 1-line block ×6, first 2 shown]
	s_and_saveexec_b64 s[30:31], vcc
	s_cbranch_execz .LBB516_14
; %bb.13:
	s_load_dwordx2 s[34:35], s[0:1], 0x0
	s_waitcnt lgkmcnt(0)
	s_ashr_i32 s19, s16, 31
	s_mul_hi_u32 s28, s21, s16
	s_mul_i32 s19, s21, s19
	s_add_i32 s37, s28, s19
	s_mul_i32 s36, s21, s16
	s_lshl_b64 s[36:37], s[36:37], 1
	s_add_u32 s16, s34, s36
	s_addc_u32 s19, s35, s37
	s_lshl_b32 s28, s4, 6
	s_lshl_b64 s[34:35], s[28:29], 1
	s_add_u32 s34, s16, s34
	s_addc_u32 s35, s19, s35
	v_lshlrev_b32_e32 v6, 2, v40
	global_load_dwordx4 v[34:37], v6, s[34:35]
	v_mov_b32_e32 v41, 1.0
.LBB516_14:
	s_or_b64 exec, exec, s[30:31]
	s_waitcnt lgkmcnt(0)
	s_mul_i32 s28, s4, s18
	s_lshl_b64 s[18:19], s[28:29], 1
	s_add_u32 s8, s18, s8
	s_waitcnt vmcnt(2)
	v_mad_i64_i32 v[6:7], s[30:31], v2, s17, 0
	s_addc_u32 s9, s19, s9
	v_and_b32_e32 v2, 31, v0
	v_lshl_add_u64 v[6:7], v[6:7], 1, s[8:9]
	v_lshlrev_b32_e32 v2, 4, v2
	v_lshl_add_u64 v[30:31], v[6:7], 0, v[2:3]
	global_load_dwordx4 v[6:9], v[30:31], off
	global_load_dwordx4 v[10:13], v[30:31], off offset:512
	global_load_dwordx4 v[14:17], v[30:31], off offset:1024
	;; [unrolled: 1-line block ×7, first 2 shown]
	s_waitcnt vmcnt(9)
	v_mul_hi_i32 v2, v5, s17
	s_add_u32 s8, s10, s18
	s_waitcnt vmcnt(8)
	v_mul_hi_i32 v30, v4, s17
	v_ashrrev_i32_e32 v32, 31, v2
	s_addc_u32 s9, s11, s19
	v_lshlrev_b32_e32 v2, 6, v40
	v_ashrrev_i32_e32 v33, 31, v30
	v_lshl_add_u64 v[30:31], s[8:9], 0, v[2:3]
	v_lshrrev_b32_e32 v2, 29, v32
	s_load_dword s0, s[0:1], 0x1c
	v_cmp_eq_u32_e32 vcc, 1, v39
	v_and_b32_e32 v55, -4, v38
	v_or_b32_e32 v38, 3, v38
	v_cndmask_b32_e64 v52, 0, 1.0, vcc
	v_cmp_eq_u32_e32 vcc, 2, v39
	v_cmp_gt_i32_e64 s[10:11], s3, v38
	v_lshlrev_b32_e32 v56, 2, v0
	v_cndmask_b32_e64 v53, 0, 1.0, vcc
	v_cmp_eq_u32_e32 vcc, 3, v39
	s_waitcnt vmcnt(7)
	v_mfma_f32_4x4x4_16b_bf16 a[0:3], v[34:35], v[6:7], 0 cbsz:4
	v_mad_i64_i32 v[6:7], s[8:9], v5, s17, v[2:3]
	s_nop 0
	v_mfma_f32_4x4x4_16b_bf16 a[0:3], v[36:37], v[8:9], a[0:3] cbsz:4
	v_lshrrev_b32_e32 v2, 29, v33
	v_mad_i64_i32 v[2:3], s[8:9], v4, s17, v[2:3]
	s_waitcnt vmcnt(6)
	v_mfma_f32_4x4x4_16b_bf16 a[0:3], v[34:35], v[10:11], a[0:3] cbsz:4 abid:1
	v_lshlrev_b64 v[6:7], 1, v[6:7]
	v_lshlrev_b64 v[32:33], 1, v[2:3]
	v_mfma_f32_4x4x4_16b_bf16 a[0:3], v[36:37], v[12:13], a[0:3] cbsz:4 abid:1
	v_and_b32_e32 v6, -16, v6
	v_and_b32_e32 v32, -16, v32
	s_waitcnt vmcnt(5)
	v_mfma_f32_4x4x4_16b_bf16 a[0:3], v[34:35], v[14:15], a[0:3] cbsz:4 abid:2
	v_lshl_add_u64 v[50:51], v[30:31], 0, v[32:33]
	v_cndmask_b32_e64 v54, 0, 1.0, vcc
	v_mfma_f32_4x4x4_16b_bf16 a[0:3], v[36:37], v[16:17], a[0:3] cbsz:4 abid:2
	v_cmp_gt_i32_e32 vcc, s3, v55
	s_waitcnt vmcnt(4)
	v_mfma_f32_4x4x4_16b_bf16 a[0:3], v[34:35], v[18:19], a[0:3] cbsz:4 abid:3
	v_lshl_add_u64 v[18:19], v[30:31], 0, v[6:7]
	global_load_dwordx4 v[2:5], v[18:19], off
	global_load_dwordx4 v[6:9], v[18:19], off offset:16
	v_mfma_f32_4x4x4_16b_bf16 a[0:3], v[36:37], v[20:21], a[0:3] cbsz:4 abid:3
	global_load_dwordx4 v[10:13], v[18:19], off offset:32
	global_load_dwordx4 v[14:17], v[18:19], off offset:48
	s_waitcnt vmcnt(7)
	v_mfma_f32_4x4x4_16b_bf16 a[0:3], v[34:35], v[22:23], a[0:3] cbsz:4 abid:4
	s_nop 1
	v_mfma_f32_4x4x4_16b_bf16 a[0:3], v[36:37], v[24:25], a[0:3] cbsz:4 abid:4
	global_load_dwordx4 v[18:21], v[50:51], off
	global_load_dwordx4 v[22:25], v[50:51], off offset:16
	s_waitcnt vmcnt(8)
	v_mfma_f32_4x4x4_16b_bf16 a[0:3], v[34:35], v[26:27], a[0:3] cbsz:4 abid:5
	s_nop 1
	v_mfma_f32_4x4x4_16b_bf16 a[0:3], v[36:37], v[28:29], a[0:3] cbsz:4 abid:5
	global_load_dwordx4 v[26:29], v[50:51], off offset:32
	global_load_dwordx4 v[30:33], v[50:51], off offset:48
	s_waitcnt vmcnt(9)
	v_mfma_f32_4x4x4_16b_bf16 a[0:3], v[34:35], v[42:43], a[0:3] cbsz:4 abid:6
	v_mov_b32_e32 v42, 0xff7fffff
	v_and_or_b32 v43, v56, 48, v39
	v_mfma_f32_4x4x4_16b_bf16 a[0:3], v[36:37], v[44:45], a[0:3] cbsz:4 abid:6
	v_lshlrev_b32_e32 v43, 2, v43
	s_waitcnt vmcnt(8)
	v_mfma_f32_4x4x4_16b_bf16 a[0:3], v[34:35], v[46:47], a[0:3] cbsz:4 abid:7
	s_nop 1
	v_mfma_f32_4x4x4_16b_bf16 a[0:3], v[36:37], v[48:49], a[0:3] cbsz:4 abid:7
	s_nop 4
	v_accvgpr_read_b32 v35, a1
	v_accvgpr_read_b32 v34, a0
	s_waitcnt lgkmcnt(0)
	v_pk_mul_f32 v[34:35], s[0:1], v[34:35] op_sel_hi:[0,1]
	v_accvgpr_read_b32 v37, a3
	v_accvgpr_read_b32 v36, a2
	v_pk_mul_f32 v[36:37], s[0:1], v[36:37] op_sel_hi:[0,1]
	v_mfma_f32_4x4x1_16b_f32 a[0:3], v34, v41, 0
	v_or_b32_e32 v34, 1, v55
	s_nop 0
	v_mfma_f32_4x4x1_16b_f32 a[0:3], v35, v52, a[0:3]
	v_cmp_gt_i32_e64 s[0:1], s3, v34
	v_or_b32_e32 v35, 2, v55
	v_mfma_f32_4x4x1_16b_f32 a[0:3], v36, v53, a[0:3]
	v_cmp_gt_i32_e64 s[8:9], s3, v35
	s_nop 0
	v_mfma_f32_4x4x1_16b_f32 a[0:3], v37, v54, a[0:3]
	s_nop 3
	v_accvgpr_read_b32 v36, a0
	v_max_f32_e32 v41, v36, v36
	v_accvgpr_read_b32 v37, a1
	v_max_f32_e32 v41, 0xff7fffff, v41
	v_max_f32_e32 v46, v37, v37
	v_cndmask_b32_e32 v41, v42, v41, vcc
	v_accvgpr_read_b32 v44, a2
	v_max_f32_e32 v42, v41, v46
	v_max_f32_e32 v47, v44, v44
	v_cndmask_b32_e64 v34, v41, v42, s[0:1]
	v_accvgpr_read_b32 v45, a3
	v_max_f32_e32 v41, v34, v47
	v_max_f32_e32 v48, v45, v45
	v_cndmask_b32_e64 v34, v34, v41, s[8:9]
	v_max_f32_e32 v35, v34, v48
	v_cndmask_b32_e64 v34, v34, v35, s[10:11]
	;;#ASMSTART
	v_nop
 v_nop
 v_max_f32_dpp v34, v34, v34 row_ror:4
	;;#ASMEND
	s_nop 0
	;;#ASMSTART
	v_nop
 v_nop
 v_max_f32_dpp v34, v34, v34 row_ror:8
	;;#ASMEND
	ds_bpermute_b32 v34, v43, v34
	s_waitcnt lgkmcnt(0)
	;;#ASMSTART
	v_nop
 v_nop
 v_max_f32_dpp v34, v34, v34 row_ror:4
	;;#ASMEND
	s_nop 0
	;;#ASMSTART
	v_nop
 v_nop
 v_max_f32_dpp v41, v34, v34 row_ror:8
	;;#ASMEND
	s_nop 0
	v_sub_f32_e32 v34, v36, v41
	v_sub_f32_e32 v35, v37, v41
	v_mul_f32_e32 v34, 0x3fb8aa3b, v34
	v_sub_f32_e32 v36, v44, v41
	v_mul_f32_e32 v35, 0x3fb8aa3b, v35
	v_exp_f32_e32 v34, v34
	v_sub_f32_e32 v37, v45, v41
	v_mul_f32_e32 v36, 0x3fb8aa3b, v36
	v_exp_f32_e32 v35, v35
	v_mul_f32_e32 v37, 0x3fb8aa3b, v37
	v_exp_f32_e32 v36, v36
	v_exp_f32_e32 v37, v37
	v_cndmask_b32_e32 v34, 0, v34, vcc
	v_cndmask_b32_e64 v35, 0, v35, s[0:1]
	v_add_f32_e32 v38, 0, v34
	v_cndmask_b32_e64 v36, 0, v36, s[8:9]
	v_add_f32_e32 v38, v38, v35
	;; [unrolled: 2-line block ×3, first 2 shown]
	v_add_f32_e32 v38, v38, v37
	;;#ASMSTART
	v_nop
 v_nop
 v_add_f32_dpp v38, v38, v38 row_ror:4
	;;#ASMEND
	v_cmp_gt_u32_e32 vcc, 4, v40
	;;#ASMSTART
	v_nop
 v_nop
 v_add_f32_dpp v38, v38, v38 row_ror:8
	;;#ASMEND
	ds_bpermute_b32 v38, v43, v38
	s_waitcnt lgkmcnt(0)
	;;#ASMSTART
	v_nop
 v_nop
 v_add_f32_dpp v38, v38, v38 row_ror:4
	;;#ASMEND
	s_nop 0
	;;#ASMSTART
	v_nop
 v_nop
 v_add_f32_dpp v38, v38, v38 row_ror:8
	;;#ASMEND
	s_and_saveexec_b64 s[0:1], vcc
	s_cbranch_execz .LBB516_16
; %bb.15:
	v_mul_u32_u24_e32 v42, 20, v1
	v_lshl_add_u32 v42, v39, 2, v42
	v_add_u32_e32 v42, 0x800, v42
	ds_write2_b32 v42, v41, v38 offset0:128 offset1:148
.LBB516_16:
	s_or_b64 exec, exec, s[0:1]
.LBB516_17:
	s_or_b64 exec, exec, s[26:27]
	s_waitcnt lgkmcnt(0)
	s_barrier
	s_load_dword s0, s[24:25], 0x8
	v_lshlrev_b32_e32 v38, 2, v39
	v_add_u32_e32 v43, 0x800, v38
	ds_read2_b32 v[44:45], v43 offset0:128 offset1:133
	ds_read2_b32 v[46:47], v43 offset0:138 offset1:143
	s_mul_i32 s1, s5, s2
	s_waitcnt lgkmcnt(0)
	s_mul_i32 s0, s1, s0
	s_mov_b32 s1, 0xff7fffff
	v_max3_f32 v38, v44, s1, v45
	v_max3_f32 v42, v38, v46, v47
	v_sub_f32_e32 v38, v44, v42
	v_sub_f32_e32 v44, v45, v42
	v_mul_f32_e32 v44, 0x3fb8aa3b, v44
	ds_read2_b32 v[48:49], v43 offset0:148 offset1:153
	v_mul_f32_e32 v38, 0x3fb8aa3b, v38
	v_exp_f32_e32 v51, v44
	ds_read2_b32 v[44:45], v43 offset0:158 offset1:163
	v_sub_f32_e32 v43, v46, v42
	v_exp_f32_e32 v50, v38
	v_mul_f32_e32 v43, 0x3fb8aa3b, v43
	v_exp_f32_e32 v46, v43
	v_sub_f32_e32 v43, v47, v42
	v_mul_f32_e32 v43, 0x3fb8aa3b, v43
	v_exp_f32_e32 v47, v43
	s_waitcnt lgkmcnt(1)
	v_fma_f32 v43, v50, v48, 0
	v_fmac_f32_e32 v43, v51, v49
	s_waitcnt lgkmcnt(0)
	v_fmac_f32_e32 v43, v46, v44
	v_mov_b32_e32 v38, 0
	v_fmac_f32_e32 v43, v47, v45
	s_mov_b32 s1, 0
	v_cmp_eq_u32_e32 vcc, 0, v39
	s_and_saveexec_b64 s[2:3], vcc
	s_cbranch_execz .LBB516_19
; %bb.18:
	s_lshl_b64 s[8:9], s[0:1], 2
	s_add_u32 s12, s12, s8
	s_mov_b32 s21, s1
	s_addc_u32 s13, s13, s9
	s_lshl_b64 s[10:11], s[20:21], 2
	s_add_u32 s12, s12, s10
	s_addc_u32 s13, s13, s11
	s_add_u32 s8, s14, s8
	s_addc_u32 s9, s15, s9
	;; [unrolled: 2-line block ×3, first 2 shown]
	s_mul_i32 s8, s5, s4
	s_mov_b32 s9, s1
	s_lshl_b64 s[8:9], s[8:9], 2
	s_add_u32 s10, s12, s8
	s_addc_u32 s11, s13, s9
	s_add_u32 s8, s14, s8
	s_addc_u32 s9, s15, s9
	global_store_dword v38, v42, s[8:9]
	global_store_dword v38, v43, s[10:11]
.LBB516_19:
	s_or_b64 exec, exec, s[2:3]
	v_mov_b32_e32 v39, 0
	s_and_saveexec_b64 s[2:3], s[6:7]
	s_cbranch_execz .LBB516_21
; %bb.20:
	v_add_f32_e32 v38, 0x358637bd, v43
	v_div_scale_f32 v39, s[6:7], v38, v38, 1.0
	v_rcp_f32_e32 v43, v39
	v_div_scale_f32 v44, vcc, 1.0, v38, 1.0
	v_sub_f32_e32 v41, v41, v42
	v_fma_f32 v45, -v39, v43, 1.0
	v_fmac_f32_e32 v43, v45, v43
	v_mul_f32_e32 v45, v44, v43
	v_fma_f32 v46, -v39, v45, v44
	v_mul_f32_e32 v41, 0x3fb8aa3b, v41
	v_fmac_f32_e32 v45, v46, v43
	v_exp_f32_e32 v41, v41
	v_fma_f32 v39, -v39, v45, v44
	v_div_fmas_f32 v39, v39, v43, v45
	v_div_fixup_f32 v38, v39, v38, 1.0
	v_mul_f32_e32 v38, v41, v38
	v_pk_mul_f32 v[34:35], v[34:35], v[38:39] op_sel_hi:[1,0]
	v_pk_mul_f32 v[36:37], v[36:37], v[38:39] op_sel_hi:[1,0]
	v_bfe_u32 v38, v35, 16, 1
	v_bfe_u32 v39, v34, 16, 1
	s_movk_i32 s1, 0x7fff
	v_add3_u32 v34, v34, v39, s1
	v_add3_u32 v35, v35, v38, s1
	s_mov_b32 s6, 0x7060302
	v_perm_b32 v34, v35, v34, s6
	v_bfe_u32 v35, v37, 16, 1
	v_bfe_u32 v38, v36, 16, 1
	v_add3_u32 v36, v36, v38, s1
	v_add3_u32 v35, v37, v35, s1
	v_perm_b32 v35, v35, v36, s6
	s_waitcnt vmcnt(7)
	s_nop 0
	v_mfma_f32_4x4x4_16b_bf16 a[0:3], v[34:35], v[2:3], 0 cbsz:4
	s_nop 1
	v_mfma_f32_4x4x4_16b_bf16 a[0:3], v[34:35], v[4:5], a[0:3] cbsz:4 abid:1
	s_waitcnt vmcnt(6)
	s_nop 0
	v_mfma_f32_4x4x4_16b_bf16 a[0:3], v[34:35], v[6:7], a[0:3] cbsz:4 abid:2
	s_nop 1
	v_mfma_f32_4x4x4_16b_bf16 a[0:3], v[34:35], v[8:9], a[0:3] cbsz:4 abid:3
	s_waitcnt vmcnt(5)
	s_nop 0
	v_mfma_f32_4x4x4_16b_bf16 a[0:3], v[34:35], v[10:11], a[0:3] cbsz:4 abid:4
	;; [unrolled: 5-line block ×7, first 2 shown]
	s_nop 1
	v_mfma_f32_4x4x4_16b_bf16 a[0:3], v[34:35], v[32:33], a[0:3] cbsz:4 abid:15
	s_nop 4
	v_accvgpr_read_b32 v5, a1
	v_accvgpr_read_b32 v2, a2
	;; [unrolled: 1-line block ×4, first 2 shown]
	v_bfe_u32 v6, v5, 16, 1
	v_bfe_u32 v7, v4, 16, 1
	;; [unrolled: 1-line block ×3, first 2 shown]
	v_add3_u32 v5, v5, v6, s1
	v_bfe_u32 v6, v2, 16, 1
	v_add3_u32 v4, v4, v7, s1
	v_add3_u32 v2, v2, v6, s1
	;; [unrolled: 1-line block ×3, first 2 shown]
	v_perm_b32 v39, v3, v2, s6
	v_perm_b32 v38, v5, v4, s6
.LBB516_21:
	s_or_b64 exec, exec, s[2:3]
	v_lshlrev_b32_e32 v1, 3, v1
	v_mad_u32_u24 v1, v40, 40, v1
	v_cmp_gt_u32_e32 vcc, 64, v0
	ds_write_b64 v1, v[38:39]
	s_waitcnt lgkmcnt(0)
	s_barrier
	s_and_saveexec_b64 s[2:3], vcc
	s_cbranch_execz .LBB516_23
; %bb.22:
	s_waitcnt vmcnt(6)
	v_mul_u32_u24_e32 v6, 40, v40
	ds_read2_b64 v[2:5], v6 offset1:1
	ds_read2_b64 v[6:9], v6 offset0:2 offset1:3
	s_lshl_b32 s0, s0, 6
	s_mov_b32 s1, 0
	s_lshl_b64 s[2:3], s[0:1], 1
	s_waitcnt lgkmcnt(1)
	v_lshlrev_b32_e32 v2, 16, v2
	v_add_f32_e32 v2, 0, v2
	s_add_u32 s2, s22, s2
	v_and_b32_e32 v2, 0xffff0000, v2
	v_lshlrev_b32_e32 v3, 16, v4
	s_addc_u32 s3, s23, s3
	s_lshl_b32 s0, s20, 6
	v_add_f32_e32 v2, v2, v3
	s_lshl_b64 s[0:1], s[0:1], 1
	v_and_b32_e32 v2, 0xffff0000, v2
	s_waitcnt lgkmcnt(0)
	v_lshlrev_b32_e32 v3, 16, v6
	s_add_u32 s0, s2, s0
	s_mul_i32 s4, s4, s5
	v_add_f32_e32 v2, v2, v3
	s_addc_u32 s1, s3, s1
	v_lshl_or_b32 v0, s4, 6, v0
	v_mov_b32_e32 v1, 0
	v_and_b32_e32 v2, 0xffff0000, v2
	v_lshlrev_b32_e32 v3, 16, v8
	v_lshl_add_u64 v[0:1], v[0:1], 1, s[0:1]
	v_add_f32_e32 v2, v2, v3
	global_store_short_d16_hi v[0:1], v2, off
.LBB516_23:
	s_endpgm
	.section	.rodata,"a",@progbits
	.p2align	6, 0x0
	.amdhsa_kernel _Z38paged_attention_ll4mi_QKV_mfma4_kernelI14__hip_bfloat16S0_LN4vllm18Fp8KVCacheDataTypeE0EhLi32ELi64ELi256ELb0ELi1EEvPKT_PKT0_S8_ifPKiSA_SA_iPKfiiiPfSD_PS3_PT2_iSC_SC_
		.amdhsa_group_segment_fixed_size 2720
		.amdhsa_private_segment_fixed_size 0
		.amdhsa_kernarg_size 400
		.amdhsa_user_sgpr_count 2
		.amdhsa_user_sgpr_dispatch_ptr 0
		.amdhsa_user_sgpr_queue_ptr 0
		.amdhsa_user_sgpr_kernarg_segment_ptr 1
		.amdhsa_user_sgpr_dispatch_id 0
		.amdhsa_user_sgpr_kernarg_preload_length 0
		.amdhsa_user_sgpr_kernarg_preload_offset 0
		.amdhsa_user_sgpr_private_segment_size 0
		.amdhsa_uses_dynamic_stack 0
		.amdhsa_enable_private_segment 0
		.amdhsa_system_sgpr_workgroup_id_x 1
		.amdhsa_system_sgpr_workgroup_id_y 1
		.amdhsa_system_sgpr_workgroup_id_z 1
		.amdhsa_system_sgpr_workgroup_info 0
		.amdhsa_system_vgpr_workitem_id 0
		.amdhsa_next_free_vgpr 64
		.amdhsa_next_free_sgpr 38
		.amdhsa_accum_offset 60
		.amdhsa_reserve_vcc 1
		.amdhsa_float_round_mode_32 0
		.amdhsa_float_round_mode_16_64 0
		.amdhsa_float_denorm_mode_32 3
		.amdhsa_float_denorm_mode_16_64 3
		.amdhsa_dx10_clamp 1
		.amdhsa_ieee_mode 1
		.amdhsa_fp16_overflow 0
		.amdhsa_tg_split 0
		.amdhsa_exception_fp_ieee_invalid_op 0
		.amdhsa_exception_fp_denorm_src 0
		.amdhsa_exception_fp_ieee_div_zero 0
		.amdhsa_exception_fp_ieee_overflow 0
		.amdhsa_exception_fp_ieee_underflow 0
		.amdhsa_exception_fp_ieee_inexact 0
		.amdhsa_exception_int_div_zero 0
	.end_amdhsa_kernel
	.section	.text._Z38paged_attention_ll4mi_QKV_mfma4_kernelI14__hip_bfloat16S0_LN4vllm18Fp8KVCacheDataTypeE0EhLi32ELi64ELi256ELb0ELi1EEvPKT_PKT0_S8_ifPKiSA_SA_iPKfiiiPfSD_PS3_PT2_iSC_SC_,"axG",@progbits,_Z38paged_attention_ll4mi_QKV_mfma4_kernelI14__hip_bfloat16S0_LN4vllm18Fp8KVCacheDataTypeE0EhLi32ELi64ELi256ELb0ELi1EEvPKT_PKT0_S8_ifPKiSA_SA_iPKfiiiPfSD_PS3_PT2_iSC_SC_,comdat
.Lfunc_end516:
	.size	_Z38paged_attention_ll4mi_QKV_mfma4_kernelI14__hip_bfloat16S0_LN4vllm18Fp8KVCacheDataTypeE0EhLi32ELi64ELi256ELb0ELi1EEvPKT_PKT0_S8_ifPKiSA_SA_iPKfiiiPfSD_PS3_PT2_iSC_SC_, .Lfunc_end516-_Z38paged_attention_ll4mi_QKV_mfma4_kernelI14__hip_bfloat16S0_LN4vllm18Fp8KVCacheDataTypeE0EhLi32ELi64ELi256ELb0ELi1EEvPKT_PKT0_S8_ifPKiSA_SA_iPKfiiiPfSD_PS3_PT2_iSC_SC_
                                        ; -- End function
	.section	.AMDGPU.csdata,"",@progbits
; Kernel info:
; codeLenInByte = 3020
; NumSgprs: 44
; NumVgprs: 57
; NumAgprs: 4
; TotalNumVgprs: 64
; ScratchSize: 0
; MemoryBound: 0
; FloatMode: 240
; IeeeMode: 1
; LDSByteSize: 2720 bytes/workgroup (compile time only)
; SGPRBlocks: 5
; VGPRBlocks: 7
; NumSGPRsForWavesPerEU: 44
; NumVGPRsForWavesPerEU: 64
; AccumOffset: 60
; Occupancy: 8
; WaveLimiterHint : 1
; COMPUTE_PGM_RSRC2:SCRATCH_EN: 0
; COMPUTE_PGM_RSRC2:USER_SGPR: 2
; COMPUTE_PGM_RSRC2:TRAP_HANDLER: 0
; COMPUTE_PGM_RSRC2:TGID_X_EN: 1
; COMPUTE_PGM_RSRC2:TGID_Y_EN: 1
; COMPUTE_PGM_RSRC2:TGID_Z_EN: 1
; COMPUTE_PGM_RSRC2:TIDIG_COMP_CNT: 0
; COMPUTE_PGM_RSRC3_GFX90A:ACCUM_OFFSET: 14
; COMPUTE_PGM_RSRC3_GFX90A:TG_SPLIT: 0
	.section	.text._Z38paged_attention_ll4mi_QKV_mfma4_kernelI14__hip_bfloat16S0_LN4vllm18Fp8KVCacheDataTypeE0EhLi32ELi64ELi256ELb0ELi2EEvPKT_PKT0_S8_ifPKiSA_SA_iPKfiiiPfSD_PS3_PT2_iSC_SC_,"axG",@progbits,_Z38paged_attention_ll4mi_QKV_mfma4_kernelI14__hip_bfloat16S0_LN4vllm18Fp8KVCacheDataTypeE0EhLi32ELi64ELi256ELb0ELi2EEvPKT_PKT0_S8_ifPKiSA_SA_iPKfiiiPfSD_PS3_PT2_iSC_SC_,comdat
	.protected	_Z38paged_attention_ll4mi_QKV_mfma4_kernelI14__hip_bfloat16S0_LN4vllm18Fp8KVCacheDataTypeE0EhLi32ELi64ELi256ELb0ELi2EEvPKT_PKT0_S8_ifPKiSA_SA_iPKfiiiPfSD_PS3_PT2_iSC_SC_ ; -- Begin function _Z38paged_attention_ll4mi_QKV_mfma4_kernelI14__hip_bfloat16S0_LN4vllm18Fp8KVCacheDataTypeE0EhLi32ELi64ELi256ELb0ELi2EEvPKT_PKT0_S8_ifPKiSA_SA_iPKfiiiPfSD_PS3_PT2_iSC_SC_
	.globl	_Z38paged_attention_ll4mi_QKV_mfma4_kernelI14__hip_bfloat16S0_LN4vllm18Fp8KVCacheDataTypeE0EhLi32ELi64ELi256ELb0ELi2EEvPKT_PKT0_S8_ifPKiSA_SA_iPKfiiiPfSD_PS3_PT2_iSC_SC_
	.p2align	8
	.type	_Z38paged_attention_ll4mi_QKV_mfma4_kernelI14__hip_bfloat16S0_LN4vllm18Fp8KVCacheDataTypeE0EhLi32ELi64ELi256ELb0ELi2EEvPKT_PKT0_S8_ifPKiSA_SA_iPKfiiiPfSD_PS3_PT2_iSC_SC_,@function
_Z38paged_attention_ll4mi_QKV_mfma4_kernelI14__hip_bfloat16S0_LN4vllm18Fp8KVCacheDataTypeE0EhLi32ELi64ELi256ELb0ELi2EEvPKT_PKT0_S8_ifPKiSA_SA_iPKfiiiPfSD_PS3_PT2_iSC_SC_: ; @_Z38paged_attention_ll4mi_QKV_mfma4_kernelI14__hip_bfloat16S0_LN4vllm18Fp8KVCacheDataTypeE0EhLi32ELi64ELi256ELb0ELi2EEvPKT_PKT0_S8_ifPKiSA_SA_iPKfiiiPfSD_PS3_PT2_iSC_SC_
; %bb.0:
	s_load_dwordx2 s[16:17], s[0:1], 0x30
	s_mov_b32 s20, s3
	s_mov_b64 s[6:7], 0
	s_waitcnt lgkmcnt(0)
	s_cmp_lg_u64 s[16:17], 0
	s_cselect_b64 s[18:19], -1, 0
	s_and_b64 vcc, exec, s[18:19]
	s_cbranch_vccz .LBB517_10
; %bb.1:
	s_add_i32 s8, s2, 1
	s_mov_b32 s9, 0
	s_lshl_b64 s[10:11], s[8:9], 2
	s_add_u32 s10, s16, s10
	s_mov_b32 s3, s9
	s_addc_u32 s11, s17, s11
	s_lshl_b64 s[8:9], s[2:3], 2
	s_add_u32 s8, s16, s8
	s_addc_u32 s9, s17, s9
	s_load_dword s5, s[10:11], 0x0
	s_load_dword s12, s[8:9], 0x0
	s_waitcnt lgkmcnt(0)
	s_sub_i32 s5, s5, s12
	s_cmp_eq_u32 s5, 1
	s_cselect_b64 s[8:9], -1, 0
	s_andn2_b64 vcc, exec, s[6:7]
	s_cbranch_vccnz .LBB517_3
.LBB517_2:
	s_mov_b32 s3, 0
	s_mov_b64 s[8:9], -1
.LBB517_3:
	s_andn2_b64 vcc, exec, s[8:9]
	s_cbranch_vccnz .LBB517_23
; %bb.4:
	s_load_dword s5, s[0:1], 0x9c
	s_load_dwordx2 s[6:7], s[0:1], 0x28
	s_add_u32 s24, s0, 0x90
	s_addc_u32 s25, s1, 0
	s_lshl_b64 s[28:29], s[2:3], 2
	s_waitcnt lgkmcnt(0)
	s_and_b32 s5, s5, 0xffff
	s_add_u32 s6, s6, s28
	s_addc_u32 s7, s7, s29
	s_load_dword s3, s[6:7], 0x0
	s_mul_i32 s10, s20, s5
	s_waitcnt lgkmcnt(0)
	s_cmp_ge_i32 s10, s3
	s_cbranch_scc1 .LBB517_23
; %bb.5:
	v_and_b32_e32 v2, 0xc0, v0
	v_add_u32_e32 v2, s10, v2
	v_lshrrev_b32_e32 v1, 6, v0
	v_cmp_gt_i32_e64 s[6:7], s3, v2
	v_cmp_le_i32_e32 vcc, s3, v2
                                        ; implicit-def: $sgpr21
                                        ; implicit-def: $sgpr11
	s_and_saveexec_b64 s[8:9], vcc
	s_xor_b64 s[8:9], exec, s[8:9]
	s_cbranch_execz .LBB517_7
; %bb.6:
	v_mul_u32_u24_e32 v2, 20, v1
	v_or_b32_e32 v2, 0xa00, v2
	v_mov_b32_e32 v3, 0xa50
	v_mov_b32_e32 v4, 0xff7fffff
	v_mad_u32_u24 v3, v1, 20, v3
	ds_write2_b32 v2, v4, v4 offset1:1
	v_mov_b32_e32 v2, 0
	ds_write2_b32 v3, v2, v2 offset1:1
	v_mov_b32_e32 v3, 0xa08
	s_mov_b32 s11, 0xff7fffff
	s_mov_b32 s21, 0
	v_mad_u32_u24 v3, v1, 20, v3
	v_mov_b32_e32 v5, 0xa58
	v_mad_u32_u24 v5, v1, 20, v5
	ds_write2_b32 v3, v4, v4 offset1:1
	ds_write2_b32 v5, v2, v2 offset1:1
                                        ; implicit-def: $vgpr2
.LBB517_7:
	s_or_saveexec_b64 s[26:27], s[8:9]
	s_load_dwordx2 s[22:23], s[0:1], 0x68
	s_load_dwordx4 s[12:15], s[0:1], 0x58
	s_load_dword s5, s[24:25], 0x4
	v_and_b32_e32 v40, 63, v0
	v_and_b32_e32 v38, 3, v0
	v_mov_b32_e32 v37, s21
	v_mov_b32_e32 v41, s11
	;; [unrolled: 1-line block ×5, first 2 shown]
                                        ; implicit-def: $vgpr3
                                        ; implicit-def: $vgpr7
                                        ; implicit-def: $vgpr11
                                        ; implicit-def: $vgpr15
                                        ; implicit-def: $vgpr19
                                        ; implicit-def: $vgpr23
                                        ; implicit-def: $vgpr27
                                        ; implicit-def: $vgpr31
	s_xor_b64 exec, exec, s[26:27]
	s_cbranch_execz .LBB517_17
; %bb.8:
	s_add_i32 s21, s3, 31
	s_load_dwordx2 s[8:9], s[0:1], 0x20
	s_load_dword s11, s[0:1], 0x38
	s_ashr_i32 s30, s21, 31
	s_lshr_b32 s30, s30, 27
	v_add_u32_e32 v39, s10, v0
	s_add_i32 s21, s21, s30
	v_ashrrev_i32_e32 v3, 31, v39
	s_ashr_i32 s21, s21, 5
	v_lshrrev_b32_e32 v3, 27, v3
	s_add_i32 s21, s21, -1
	v_add_u32_e32 v3, v39, v3
	s_waitcnt lgkmcnt(0)
	s_mul_i32 s30, s2, s11
	s_mov_b32 s31, 0
	v_ashrrev_i32_e32 v3, 5, v3
	v_mov_b32_e32 v4, s21
	v_cmp_gt_i32_e32 vcc, s3, v39
	s_lshl_b64 s[30:31], s[30:31], 2
	s_add_u32 s8, s8, s30
	v_cndmask_b32_e32 v4, v4, v3, vcc
	v_ashrrev_i32_e32 v3, 31, v2
	v_lshrrev_b32_e32 v3, 27, v3
	s_addc_u32 s9, s9, s31
	v_ashrrev_i32_e32 v5, 31, v4
	v_add_u32_e32 v2, v2, v3
	v_lshl_add_u64 v[6:7], v[4:5], 2, s[8:9]
	v_ashrrev_i32_e32 v4, 5, v2
	v_min_i32_e32 v2, s21, v4
	v_ashrrev_i32_e32 v3, 31, v2
	v_lshl_add_u64 v[8:9], v[2:3], 2, s[8:9]
	v_add_u32_e32 v2, 1, v4
	v_min_i32_e32 v2, s21, v2
	v_ashrrev_i32_e32 v3, 31, v2
	v_lshl_add_u64 v[10:11], v[2:3], 2, s[8:9]
	global_load_dword v2, v[6:7], off
	global_load_dword v5, v[8:9], off
	;; [unrolled: 1-line block ×3, first 2 shown]
	s_load_dwordx4 s[8:11], s[0:1], 0x8
	s_andn2_b64 vcc, exec, s[18:19]
	s_cbranch_vccnz .LBB517_11
; %bb.9:
	s_add_u32 s16, s16, s28
	s_addc_u32 s17, s17, s29
	s_load_dword s21, s[16:17], 0x0
	s_branch .LBB517_12
.LBB517_10:
	s_mov_b64 s[8:9], 0
	s_branch .LBB517_2
.LBB517_11:
	s_mov_b32 s21, s2
.LBB517_12:
	s_load_dwordx4 s[16:19], s[0:1], 0x48
	v_cmp_gt_u32_e32 vcc, 2, v38
	s_mov_b32 s29, 0
	v_mov_b32_e32 v3, 0
	v_mov_b32_e32 v34, 0
	;; [unrolled: 1-line block ×5, first 2 shown]
	s_and_saveexec_b64 s[30:31], vcc
	s_cbranch_execz .LBB517_14
; %bb.13:
	s_load_dwordx2 s[34:35], s[0:1], 0x0
	s_waitcnt lgkmcnt(0)
	s_ashr_i32 s19, s16, 31
	s_mul_hi_u32 s28, s21, s16
	s_mul_i32 s19, s21, s19
	s_add_i32 s37, s28, s19
	s_mul_i32 s36, s21, s16
	s_lshl_b64 s[36:37], s[36:37], 1
	s_add_u32 s16, s34, s36
	s_addc_u32 s19, s35, s37
	s_lshl_b32 s28, s4, 7
	s_lshl_b64 s[34:35], s[28:29], 1
	s_add_u32 s34, s16, s34
	v_lshlrev_b32_e32 v6, 3, v38
	v_lshrrev_b32_e32 v7, 2, v40
	s_addc_u32 s35, s19, s35
	v_add_lshl_u32 v6, v6, v7, 4
	global_load_dwordx4 v[34:37], v6, s[34:35]
.LBB517_14:
	s_or_b64 exec, exec, s[30:31]
	s_waitcnt lgkmcnt(0)
	s_mul_i32 s28, s4, s18
	s_lshl_b64 s[18:19], s[28:29], 1
	s_add_u32 s8, s18, s8
	s_waitcnt vmcnt(2)
	v_mad_i64_i32 v[6:7], s[30:31], v2, s17, 0
	s_addc_u32 s9, s19, s9
	v_and_b32_e32 v2, 31, v0
	v_lshl_add_u64 v[6:7], v[6:7], 1, s[8:9]
	v_lshlrev_b32_e32 v2, 4, v2
	v_lshl_add_u64 v[30:31], v[6:7], 0, v[2:3]
	global_load_dwordx4 v[6:9], v[30:31], off
	global_load_dwordx4 v[10:13], v[30:31], off offset:512
	global_load_dwordx4 v[14:17], v[30:31], off offset:1024
	;; [unrolled: 1-line block ×7, first 2 shown]
	s_waitcnt vmcnt(9)
	v_mul_hi_i32 v2, v5, s17
	s_add_u32 s8, s10, s18
	s_waitcnt vmcnt(8)
	v_mul_hi_i32 v30, v4, s17
	v_ashrrev_i32_e32 v32, 31, v2
	s_addc_u32 s9, s11, s19
	v_lshlrev_b32_e32 v2, 6, v40
	v_ashrrev_i32_e32 v33, 31, v30
	v_lshl_add_u64 v[30:31], s[8:9], 0, v[2:3]
	v_lshrrev_b32_e32 v2, 29, v32
	s_load_dword s0, s[0:1], 0x1c
	v_cmp_eq_u32_e32 vcc, 0, v38
	v_and_b32_e32 v55, -4, v39
	v_or_b32_e32 v39, 3, v39
	v_cndmask_b32_e64 v41, 0, 1.0, vcc
	v_cmp_eq_u32_e32 vcc, 1, v38
	v_cmp_gt_i32_e64 s[10:11], s3, v39
	v_lshlrev_b32_e32 v56, 2, v0
	v_cndmask_b32_e64 v52, 0, 1.0, vcc
	v_cmp_eq_u32_e32 vcc, 2, v38
	s_waitcnt vmcnt(7)
	v_mfma_f32_4x4x4_16b_bf16 a[0:3], v[34:35], v[6:7], 0 cbsz:4
	v_mad_i64_i32 v[6:7], s[8:9], v5, s17, v[2:3]
	s_nop 0
	v_mfma_f32_4x4x4_16b_bf16 a[0:3], v[36:37], v[8:9], a[0:3] cbsz:4
	v_lshrrev_b32_e32 v2, 29, v33
	v_mad_i64_i32 v[2:3], s[8:9], v4, s17, v[2:3]
	s_waitcnt vmcnt(6)
	v_mfma_f32_4x4x4_16b_bf16 a[0:3], v[34:35], v[10:11], a[0:3] cbsz:4 abid:1
	v_lshlrev_b64 v[6:7], 1, v[6:7]
	v_lshlrev_b64 v[32:33], 1, v[2:3]
	v_mfma_f32_4x4x4_16b_bf16 a[0:3], v[36:37], v[12:13], a[0:3] cbsz:4 abid:1
	v_and_b32_e32 v6, -16, v6
	v_and_b32_e32 v32, -16, v32
	s_waitcnt vmcnt(5)
	v_mfma_f32_4x4x4_16b_bf16 a[0:3], v[34:35], v[14:15], a[0:3] cbsz:4 abid:2
	v_lshl_add_u64 v[50:51], v[30:31], 0, v[32:33]
	v_cndmask_b32_e64 v53, 0, 1.0, vcc
	v_mfma_f32_4x4x4_16b_bf16 a[0:3], v[36:37], v[16:17], a[0:3] cbsz:4 abid:2
	v_cmp_eq_u32_e32 vcc, 3, v38
	s_waitcnt vmcnt(4)
	v_mfma_f32_4x4x4_16b_bf16 a[0:3], v[34:35], v[18:19], a[0:3] cbsz:4 abid:3
	v_lshl_add_u64 v[18:19], v[30:31], 0, v[6:7]
	global_load_dwordx4 v[2:5], v[18:19], off
	global_load_dwordx4 v[6:9], v[18:19], off offset:16
	v_mfma_f32_4x4x4_16b_bf16 a[0:3], v[36:37], v[20:21], a[0:3] cbsz:4 abid:3
	global_load_dwordx4 v[10:13], v[18:19], off offset:32
	global_load_dwordx4 v[14:17], v[18:19], off offset:48
	s_waitcnt vmcnt(7)
	v_mfma_f32_4x4x4_16b_bf16 a[0:3], v[34:35], v[22:23], a[0:3] cbsz:4 abid:4
	v_cndmask_b32_e64 v54, 0, 1.0, vcc
	v_cmp_gt_i32_e32 vcc, s3, v55
	v_mfma_f32_4x4x4_16b_bf16 a[0:3], v[36:37], v[24:25], a[0:3] cbsz:4 abid:4
	global_load_dwordx4 v[18:21], v[50:51], off
	global_load_dwordx4 v[22:25], v[50:51], off offset:16
	s_waitcnt vmcnt(8)
	v_mfma_f32_4x4x4_16b_bf16 a[0:3], v[34:35], v[26:27], a[0:3] cbsz:4 abid:5
	s_nop 1
	v_mfma_f32_4x4x4_16b_bf16 a[0:3], v[36:37], v[28:29], a[0:3] cbsz:4 abid:5
	global_load_dwordx4 v[26:29], v[50:51], off offset:32
	global_load_dwordx4 v[30:33], v[50:51], off offset:48
	s_waitcnt vmcnt(9)
	v_mfma_f32_4x4x4_16b_bf16 a[0:3], v[34:35], v[42:43], a[0:3] cbsz:4 abid:6
	v_mov_b32_e32 v42, 0xff7fffff
	v_and_or_b32 v43, v56, 48, v38
	v_mfma_f32_4x4x4_16b_bf16 a[0:3], v[36:37], v[44:45], a[0:3] cbsz:4 abid:6
	v_lshlrev_b32_e32 v43, 2, v43
	s_waitcnt vmcnt(8)
	v_mfma_f32_4x4x4_16b_bf16 a[0:3], v[34:35], v[46:47], a[0:3] cbsz:4 abid:7
	s_nop 1
	v_mfma_f32_4x4x4_16b_bf16 a[0:3], v[36:37], v[48:49], a[0:3] cbsz:4 abid:7
	s_nop 4
	v_accvgpr_read_b32 v35, a1
	v_accvgpr_read_b32 v34, a0
	s_waitcnt lgkmcnt(0)
	v_pk_mul_f32 v[34:35], s[0:1], v[34:35] op_sel_hi:[0,1]
	v_accvgpr_read_b32 v37, a3
	v_accvgpr_read_b32 v36, a2
	v_pk_mul_f32 v[36:37], s[0:1], v[36:37] op_sel_hi:[0,1]
	v_mfma_f32_4x4x1_16b_f32 a[0:3], v34, v41, 0
	v_or_b32_e32 v34, 1, v55
	s_nop 0
	v_mfma_f32_4x4x1_16b_f32 a[0:3], v35, v52, a[0:3]
	v_cmp_gt_i32_e64 s[0:1], s3, v34
	v_or_b32_e32 v35, 2, v55
	v_mfma_f32_4x4x1_16b_f32 a[0:3], v36, v53, a[0:3]
	v_cmp_gt_i32_e64 s[8:9], s3, v35
	s_nop 0
	v_mfma_f32_4x4x1_16b_f32 a[0:3], v37, v54, a[0:3]
	s_nop 3
	v_accvgpr_read_b32 v36, a0
	v_max_f32_e32 v41, v36, v36
	v_accvgpr_read_b32 v37, a1
	v_max_f32_e32 v41, 0xff7fffff, v41
	v_max_f32_e32 v46, v37, v37
	v_cndmask_b32_e32 v41, v42, v41, vcc
	v_accvgpr_read_b32 v44, a2
	v_max_f32_e32 v42, v41, v46
	v_max_f32_e32 v47, v44, v44
	v_cndmask_b32_e64 v34, v41, v42, s[0:1]
	v_accvgpr_read_b32 v45, a3
	v_max_f32_e32 v41, v34, v47
	v_max_f32_e32 v48, v45, v45
	v_cndmask_b32_e64 v34, v34, v41, s[8:9]
	v_max_f32_e32 v35, v34, v48
	v_cndmask_b32_e64 v34, v34, v35, s[10:11]
	;;#ASMSTART
	v_nop
 v_nop
 v_max_f32_dpp v34, v34, v34 row_ror:4
	;;#ASMEND
	s_nop 0
	;;#ASMSTART
	v_nop
 v_nop
 v_max_f32_dpp v34, v34, v34 row_ror:8
	;;#ASMEND
	ds_bpermute_b32 v34, v43, v34
	s_waitcnt lgkmcnt(0)
	;;#ASMSTART
	v_nop
 v_nop
 v_max_f32_dpp v34, v34, v34 row_ror:4
	;;#ASMEND
	s_nop 0
	;;#ASMSTART
	v_nop
 v_nop
 v_max_f32_dpp v41, v34, v34 row_ror:8
	;;#ASMEND
	s_nop 0
	v_sub_f32_e32 v34, v36, v41
	v_sub_f32_e32 v35, v37, v41
	v_mul_f32_e32 v34, 0x3fb8aa3b, v34
	v_sub_f32_e32 v36, v44, v41
	v_mul_f32_e32 v35, 0x3fb8aa3b, v35
	v_exp_f32_e32 v34, v34
	v_sub_f32_e32 v37, v45, v41
	v_mul_f32_e32 v36, 0x3fb8aa3b, v36
	v_exp_f32_e32 v35, v35
	v_mul_f32_e32 v37, 0x3fb8aa3b, v37
	v_exp_f32_e32 v36, v36
	v_exp_f32_e32 v37, v37
	v_cndmask_b32_e32 v34, 0, v34, vcc
	v_cndmask_b32_e64 v35, 0, v35, s[0:1]
	v_add_f32_e32 v39, 0, v34
	v_cndmask_b32_e64 v36, 0, v36, s[8:9]
	v_add_f32_e32 v39, v39, v35
	;; [unrolled: 2-line block ×3, first 2 shown]
	v_add_f32_e32 v39, v39, v37
	;;#ASMSTART
	v_nop
 v_nop
 v_add_f32_dpp v39, v39, v39 row_ror:4
	;;#ASMEND
	v_cmp_gt_u32_e32 vcc, 4, v40
	;;#ASMSTART
	v_nop
 v_nop
 v_add_f32_dpp v39, v39, v39 row_ror:8
	;;#ASMEND
	ds_bpermute_b32 v39, v43, v39
	s_waitcnt lgkmcnt(0)
	;;#ASMSTART
	v_nop
 v_nop
 v_add_f32_dpp v39, v39, v39 row_ror:4
	;;#ASMEND
	s_nop 0
	;;#ASMSTART
	v_nop
 v_nop
 v_add_f32_dpp v39, v39, v39 row_ror:8
	;;#ASMEND
	s_and_saveexec_b64 s[0:1], vcc
	s_cbranch_execz .LBB517_16
; %bb.15:
	v_mul_u32_u24_e32 v42, 20, v1
	v_lshl_add_u32 v42, v38, 2, v42
	v_add_u32_e32 v42, 0x800, v42
	ds_write2_b32 v42, v41, v39 offset0:128 offset1:148
.LBB517_16:
	s_or_b64 exec, exec, s[0:1]
.LBB517_17:
	s_or_b64 exec, exec, s[26:27]
	s_waitcnt lgkmcnt(0)
	s_barrier
	s_load_dword s0, s[24:25], 0x8
	v_lshlrev_b32_e32 v39, 2, v38
	v_add_u32_e32 v39, 0x800, v39
	ds_read2_b32 v[44:45], v39 offset0:128 offset1:133
	ds_read2_b32 v[46:47], v39 offset0:138 offset1:143
	s_mul_i32 s1, s2, s5
	s_waitcnt lgkmcnt(0)
	s_mul_i32 s1, s1, s0
	s_lshl_b32 s0, s1, 1
	s_mov_b32 s1, 0xff7fffff
	v_max3_f32 v42, v44, s1, v45
	v_max3_f32 v42, v42, v46, v47
	v_sub_f32_e32 v43, v44, v42
	v_sub_f32_e32 v44, v45, v42
	ds_read2_b32 v[48:49], v39 offset0:148 offset1:153
	v_mul_f32_e32 v43, 0x3fb8aa3b, v43
	v_mul_f32_e32 v44, 0x3fb8aa3b, v44
	v_exp_f32_e32 v43, v43
	v_exp_f32_e32 v50, v44
	ds_read2_b32 v[44:45], v39 offset0:158 offset1:163
	v_sub_f32_e32 v39, v46, v42
	v_mul_f32_e32 v39, 0x3fb8aa3b, v39
	v_sub_f32_e32 v46, v47, v42
	v_exp_f32_e32 v39, v39
	v_mul_f32_e32 v46, 0x3fb8aa3b, v46
	v_exp_f32_e32 v46, v46
	s_waitcnt lgkmcnt(1)
	v_fma_f32 v43, v43, v48, 0
	v_fmac_f32_e32 v43, v50, v49
	s_waitcnt lgkmcnt(0)
	v_fmac_f32_e32 v43, v39, v44
	s_lshl_b32 s4, s4, 1
	v_fmac_f32_e32 v43, v46, v45
	v_cmp_gt_u32_e32 vcc, 2, v38
	s_and_saveexec_b64 s[2:3], vcc
	s_cbranch_execz .LBB517_19
; %bb.18:
	s_mov_b32 s1, 0
	s_lshl_b64 s[8:9], s[0:1], 2
	s_add_u32 s12, s12, s8
	s_mov_b32 s21, s1
	s_addc_u32 s13, s13, s9
	s_lshl_b64 s[10:11], s[20:21], 2
	s_add_u32 s12, s12, s10
	s_addc_u32 s13, s13, s11
	s_add_u32 s1, s14, s8
	s_addc_u32 s9, s15, s9
	v_or_b32_e32 v38, s4, v38
	s_add_u32 s8, s1, s10
	v_mul_lo_u32 v38, s5, v38
	v_mov_b32_e32 v39, 0
	s_addc_u32 s9, s9, s11
	v_lshlrev_b64 v[38:39], 2, v[38:39]
	v_lshl_add_u64 v[44:45], s[12:13], 0, v[38:39]
	v_lshl_add_u64 v[38:39], s[8:9], 0, v[38:39]
	global_store_dword v[38:39], v42, off
	global_store_dword v[44:45], v43, off
.LBB517_19:
	s_or_b64 exec, exec, s[2:3]
	v_mov_b32_e32 v38, 0
	v_mov_b32_e32 v39, 0
	s_and_saveexec_b64 s[2:3], s[6:7]
	s_cbranch_execz .LBB517_21
; %bb.20:
	v_add_f32_e32 v38, 0x358637bd, v43
	v_div_scale_f32 v39, s[6:7], v38, v38, 1.0
	v_rcp_f32_e32 v43, v39
	v_div_scale_f32 v44, vcc, 1.0, v38, 1.0
	v_sub_f32_e32 v41, v41, v42
	v_fma_f32 v45, -v39, v43, 1.0
	v_fmac_f32_e32 v43, v45, v43
	v_mul_f32_e32 v45, v44, v43
	v_fma_f32 v46, -v39, v45, v44
	v_mul_f32_e32 v41, 0x3fb8aa3b, v41
	v_fmac_f32_e32 v45, v46, v43
	v_exp_f32_e32 v41, v41
	v_fma_f32 v39, -v39, v45, v44
	v_div_fmas_f32 v39, v39, v43, v45
	v_div_fixup_f32 v38, v39, v38, 1.0
	v_mul_f32_e32 v38, v41, v38
	v_pk_mul_f32 v[34:35], v[34:35], v[38:39] op_sel_hi:[1,0]
	v_pk_mul_f32 v[36:37], v[36:37], v[38:39] op_sel_hi:[1,0]
	v_bfe_u32 v38, v35, 16, 1
	v_bfe_u32 v39, v34, 16, 1
	s_movk_i32 s1, 0x7fff
	v_add3_u32 v34, v34, v39, s1
	v_add3_u32 v35, v35, v38, s1
	s_mov_b32 s6, 0x7060302
	v_perm_b32 v34, v35, v34, s6
	v_bfe_u32 v35, v37, 16, 1
	v_bfe_u32 v38, v36, 16, 1
	v_add3_u32 v36, v36, v38, s1
	v_add3_u32 v35, v37, v35, s1
	v_perm_b32 v35, v35, v36, s6
	s_waitcnt vmcnt(7)
	s_nop 0
	v_mfma_f32_4x4x4_16b_bf16 a[0:3], v[34:35], v[2:3], 0 cbsz:4
	s_nop 1
	v_mfma_f32_4x4x4_16b_bf16 a[0:3], v[34:35], v[4:5], a[0:3] cbsz:4 abid:1
	s_waitcnt vmcnt(6)
	s_nop 0
	v_mfma_f32_4x4x4_16b_bf16 a[0:3], v[34:35], v[6:7], a[0:3] cbsz:4 abid:2
	s_nop 1
	v_mfma_f32_4x4x4_16b_bf16 a[0:3], v[34:35], v[8:9], a[0:3] cbsz:4 abid:3
	s_waitcnt vmcnt(5)
	s_nop 0
	v_mfma_f32_4x4x4_16b_bf16 a[0:3], v[34:35], v[10:11], a[0:3] cbsz:4 abid:4
	;; [unrolled: 5-line block ×7, first 2 shown]
	s_nop 1
	v_mfma_f32_4x4x4_16b_bf16 a[0:3], v[34:35], v[32:33], a[0:3] cbsz:4 abid:15
	s_nop 4
	v_accvgpr_read_b32 v5, a1
	v_accvgpr_read_b32 v2, a2
	;; [unrolled: 1-line block ×4, first 2 shown]
	v_bfe_u32 v6, v5, 16, 1
	v_bfe_u32 v7, v4, 16, 1
	;; [unrolled: 1-line block ×3, first 2 shown]
	v_add3_u32 v5, v5, v6, s1
	v_bfe_u32 v6, v2, 16, 1
	v_add3_u32 v4, v4, v7, s1
	v_add3_u32 v2, v2, v6, s1
	;; [unrolled: 1-line block ×3, first 2 shown]
	v_perm_b32 v39, v3, v2, s6
	v_perm_b32 v38, v5, v4, s6
.LBB517_21:
	s_or_b64 exec, exec, s[2:3]
	v_lshlrev_b32_e32 v1, 3, v1
	v_mad_u32_u24 v1, v40, 40, v1
	v_cmp_gt_u32_e32 vcc, 64, v0
	ds_write_b64 v1, v[38:39]
	s_waitcnt lgkmcnt(0)
	s_barrier
	s_and_saveexec_b64 s[2:3], vcc
	s_cbranch_execz .LBB517_23
; %bb.22:
	v_mul_u32_u24_e32 v1, 40, v40
	s_waitcnt vmcnt(7)
	ds_read2_b64 v[2:5], v1 offset1:1
	s_waitcnt vmcnt(6)
	ds_read2_b64 v[6:9], v1 offset0:2 offset1:3
	s_mov_b32 s1, 0
	s_lshl_b32 s0, s0, 6
	s_lshl_b64 s[2:3], s[0:1], 1
	s_waitcnt lgkmcnt(1)
	v_and_b32_e32 v1, 0xffff0000, v2
	v_add_f32_e32 v1, 0, v1
	v_and_b32_e32 v3, 0xffff0000, v4
	v_and_b32_e32 v1, 0xffff0000, v1
	v_add_f32_e32 v1, v1, v3
	s_waitcnt lgkmcnt(0)
	v_and_b32_e32 v5, 0xffff0000, v6
	v_and_b32_e32 v1, 0xffff0000, v1
	v_add_f32_e32 v1, v1, v5
	v_and_b32_e32 v1, 0xffff0000, v1
	v_and_b32_e32 v3, 0xffff0000, v8
	v_add_f32_e32 v7, v1, v3
	v_lshlrev_b32_e32 v1, 16, v2
	s_add_u32 s2, s22, s2
	v_add_f32_e32 v1, 0, v1
	s_addc_u32 s3, s23, s3
	s_lshl_b32 s0, s20, 6
	v_and_b32_e32 v1, 0xffff0000, v1
	v_lshlrev_b32_e32 v2, 16, v4
	s_lshl_b64 s[0:1], s[0:1], 1
	v_add_f32_e32 v1, v1, v2
	s_add_u32 s0, s2, s0
	v_and_b32_e32 v1, 0xffff0000, v1
	v_lshlrev_b32_e32 v2, 16, v6
	s_addc_u32 s1, s3, s1
	s_lshl_b32 s2, s5, 6
	v_add_f32_e32 v1, v1, v2
	v_and_b32_e32 v1, 0xffff0000, v1
	v_lshlrev_b32_e32 v2, 16, v8
	s_mul_i32 s3, s2, s4
	v_add_f32_e32 v1, v1, v2
	v_or_b32_e32 v2, s3, v0
	v_mov_b32_e32 v3, 0
	s_add_i32 s3, s3, s2
	v_lshl_add_u64 v[4:5], v[2:3], 1, s[0:1]
	v_or_b32_e32 v2, s3, v0
	global_store_short_d16_hi v[4:5], v1, off
	v_lshl_add_u64 v[0:1], v[2:3], 1, s[0:1]
	global_store_short_d16_hi v[0:1], v7, off
.LBB517_23:
	s_endpgm
	.section	.rodata,"a",@progbits
	.p2align	6, 0x0
	.amdhsa_kernel _Z38paged_attention_ll4mi_QKV_mfma4_kernelI14__hip_bfloat16S0_LN4vllm18Fp8KVCacheDataTypeE0EhLi32ELi64ELi256ELb0ELi2EEvPKT_PKT0_S8_ifPKiSA_SA_iPKfiiiPfSD_PS3_PT2_iSC_SC_
		.amdhsa_group_segment_fixed_size 2720
		.amdhsa_private_segment_fixed_size 0
		.amdhsa_kernarg_size 400
		.amdhsa_user_sgpr_count 2
		.amdhsa_user_sgpr_dispatch_ptr 0
		.amdhsa_user_sgpr_queue_ptr 0
		.amdhsa_user_sgpr_kernarg_segment_ptr 1
		.amdhsa_user_sgpr_dispatch_id 0
		.amdhsa_user_sgpr_kernarg_preload_length 0
		.amdhsa_user_sgpr_kernarg_preload_offset 0
		.amdhsa_user_sgpr_private_segment_size 0
		.amdhsa_uses_dynamic_stack 0
		.amdhsa_enable_private_segment 0
		.amdhsa_system_sgpr_workgroup_id_x 1
		.amdhsa_system_sgpr_workgroup_id_y 1
		.amdhsa_system_sgpr_workgroup_id_z 1
		.amdhsa_system_sgpr_workgroup_info 0
		.amdhsa_system_vgpr_workitem_id 0
		.amdhsa_next_free_vgpr 64
		.amdhsa_next_free_sgpr 38
		.amdhsa_accum_offset 60
		.amdhsa_reserve_vcc 1
		.amdhsa_float_round_mode_32 0
		.amdhsa_float_round_mode_16_64 0
		.amdhsa_float_denorm_mode_32 3
		.amdhsa_float_denorm_mode_16_64 3
		.amdhsa_dx10_clamp 1
		.amdhsa_ieee_mode 1
		.amdhsa_fp16_overflow 0
		.amdhsa_tg_split 0
		.amdhsa_exception_fp_ieee_invalid_op 0
		.amdhsa_exception_fp_denorm_src 0
		.amdhsa_exception_fp_ieee_div_zero 0
		.amdhsa_exception_fp_ieee_overflow 0
		.amdhsa_exception_fp_ieee_underflow 0
		.amdhsa_exception_fp_ieee_inexact 0
		.amdhsa_exception_int_div_zero 0
	.end_amdhsa_kernel
	.section	.text._Z38paged_attention_ll4mi_QKV_mfma4_kernelI14__hip_bfloat16S0_LN4vllm18Fp8KVCacheDataTypeE0EhLi32ELi64ELi256ELb0ELi2EEvPKT_PKT0_S8_ifPKiSA_SA_iPKfiiiPfSD_PS3_PT2_iSC_SC_,"axG",@progbits,_Z38paged_attention_ll4mi_QKV_mfma4_kernelI14__hip_bfloat16S0_LN4vllm18Fp8KVCacheDataTypeE0EhLi32ELi64ELi256ELb0ELi2EEvPKT_PKT0_S8_ifPKiSA_SA_iPKfiiiPfSD_PS3_PT2_iSC_SC_,comdat
.Lfunc_end517:
	.size	_Z38paged_attention_ll4mi_QKV_mfma4_kernelI14__hip_bfloat16S0_LN4vllm18Fp8KVCacheDataTypeE0EhLi32ELi64ELi256ELb0ELi2EEvPKT_PKT0_S8_ifPKiSA_SA_iPKfiiiPfSD_PS3_PT2_iSC_SC_, .Lfunc_end517-_Z38paged_attention_ll4mi_QKV_mfma4_kernelI14__hip_bfloat16S0_LN4vllm18Fp8KVCacheDataTypeE0EhLi32ELi64ELi256ELb0ELi2EEvPKT_PKT0_S8_ifPKiSA_SA_iPKfiiiPfSD_PS3_PT2_iSC_SC_
                                        ; -- End function
	.section	.AMDGPU.csdata,"",@progbits
; Kernel info:
; codeLenInByte = 3152
; NumSgprs: 44
; NumVgprs: 57
; NumAgprs: 4
; TotalNumVgprs: 64
; ScratchSize: 0
; MemoryBound: 0
; FloatMode: 240
; IeeeMode: 1
; LDSByteSize: 2720 bytes/workgroup (compile time only)
; SGPRBlocks: 5
; VGPRBlocks: 7
; NumSGPRsForWavesPerEU: 44
; NumVGPRsForWavesPerEU: 64
; AccumOffset: 60
; Occupancy: 8
; WaveLimiterHint : 1
; COMPUTE_PGM_RSRC2:SCRATCH_EN: 0
; COMPUTE_PGM_RSRC2:USER_SGPR: 2
; COMPUTE_PGM_RSRC2:TRAP_HANDLER: 0
; COMPUTE_PGM_RSRC2:TGID_X_EN: 1
; COMPUTE_PGM_RSRC2:TGID_Y_EN: 1
; COMPUTE_PGM_RSRC2:TGID_Z_EN: 1
; COMPUTE_PGM_RSRC2:TIDIG_COMP_CNT: 0
; COMPUTE_PGM_RSRC3_GFX90A:ACCUM_OFFSET: 14
; COMPUTE_PGM_RSRC3_GFX90A:TG_SPLIT: 0
	.section	.text._Z38paged_attention_ll4mi_QKV_mfma4_kernelI14__hip_bfloat16S0_LN4vllm18Fp8KVCacheDataTypeE0EhLi32ELi64ELi256ELb0ELi3EEvPKT_PKT0_S8_ifPKiSA_SA_iPKfiiiPfSD_PS3_PT2_iSC_SC_,"axG",@progbits,_Z38paged_attention_ll4mi_QKV_mfma4_kernelI14__hip_bfloat16S0_LN4vllm18Fp8KVCacheDataTypeE0EhLi32ELi64ELi256ELb0ELi3EEvPKT_PKT0_S8_ifPKiSA_SA_iPKfiiiPfSD_PS3_PT2_iSC_SC_,comdat
	.protected	_Z38paged_attention_ll4mi_QKV_mfma4_kernelI14__hip_bfloat16S0_LN4vllm18Fp8KVCacheDataTypeE0EhLi32ELi64ELi256ELb0ELi3EEvPKT_PKT0_S8_ifPKiSA_SA_iPKfiiiPfSD_PS3_PT2_iSC_SC_ ; -- Begin function _Z38paged_attention_ll4mi_QKV_mfma4_kernelI14__hip_bfloat16S0_LN4vllm18Fp8KVCacheDataTypeE0EhLi32ELi64ELi256ELb0ELi3EEvPKT_PKT0_S8_ifPKiSA_SA_iPKfiiiPfSD_PS3_PT2_iSC_SC_
	.globl	_Z38paged_attention_ll4mi_QKV_mfma4_kernelI14__hip_bfloat16S0_LN4vllm18Fp8KVCacheDataTypeE0EhLi32ELi64ELi256ELb0ELi3EEvPKT_PKT0_S8_ifPKiSA_SA_iPKfiiiPfSD_PS3_PT2_iSC_SC_
	.p2align	8
	.type	_Z38paged_attention_ll4mi_QKV_mfma4_kernelI14__hip_bfloat16S0_LN4vllm18Fp8KVCacheDataTypeE0EhLi32ELi64ELi256ELb0ELi3EEvPKT_PKT0_S8_ifPKiSA_SA_iPKfiiiPfSD_PS3_PT2_iSC_SC_,@function
_Z38paged_attention_ll4mi_QKV_mfma4_kernelI14__hip_bfloat16S0_LN4vllm18Fp8KVCacheDataTypeE0EhLi32ELi64ELi256ELb0ELi3EEvPKT_PKT0_S8_ifPKiSA_SA_iPKfiiiPfSD_PS3_PT2_iSC_SC_: ; @_Z38paged_attention_ll4mi_QKV_mfma4_kernelI14__hip_bfloat16S0_LN4vllm18Fp8KVCacheDataTypeE0EhLi32ELi64ELi256ELb0ELi3EEvPKT_PKT0_S8_ifPKiSA_SA_iPKfiiiPfSD_PS3_PT2_iSC_SC_
; %bb.0:
	s_load_dwordx2 s[16:17], s[0:1], 0x30
	s_mov_b32 s20, s3
	s_mov_b64 s[6:7], 0
	s_waitcnt lgkmcnt(0)
	s_cmp_lg_u64 s[16:17], 0
	s_cselect_b64 s[18:19], -1, 0
	s_and_b64 vcc, exec, s[18:19]
	s_cbranch_vccz .LBB518_10
; %bb.1:
	s_add_i32 s8, s2, 1
	s_mov_b32 s9, 0
	s_lshl_b64 s[10:11], s[8:9], 2
	s_add_u32 s10, s16, s10
	s_mov_b32 s3, s9
	s_addc_u32 s11, s17, s11
	s_lshl_b64 s[8:9], s[2:3], 2
	s_add_u32 s8, s16, s8
	s_addc_u32 s9, s17, s9
	s_load_dword s5, s[10:11], 0x0
	s_load_dword s12, s[8:9], 0x0
	s_waitcnt lgkmcnt(0)
	s_sub_i32 s5, s5, s12
	s_cmp_eq_u32 s5, 1
	s_cselect_b64 s[8:9], -1, 0
	s_andn2_b64 vcc, exec, s[6:7]
	s_cbranch_vccnz .LBB518_3
.LBB518_2:
	s_mov_b32 s3, 0
	s_mov_b64 s[8:9], -1
.LBB518_3:
	s_andn2_b64 vcc, exec, s[8:9]
	s_cbranch_vccnz .LBB518_23
; %bb.4:
	s_load_dword s5, s[0:1], 0x9c
	s_load_dwordx2 s[6:7], s[0:1], 0x28
	s_add_u32 s24, s0, 0x90
	s_addc_u32 s25, s1, 0
	s_lshl_b64 s[28:29], s[2:3], 2
	s_waitcnt lgkmcnt(0)
	s_and_b32 s5, s5, 0xffff
	s_add_u32 s6, s6, s28
	s_addc_u32 s7, s7, s29
	s_load_dword s3, s[6:7], 0x0
	s_mul_i32 s10, s20, s5
	s_waitcnt lgkmcnt(0)
	s_cmp_ge_i32 s10, s3
	s_cbranch_scc1 .LBB518_23
; %bb.5:
	v_and_b32_e32 v2, 0xc0, v0
	v_add_u32_e32 v2, s10, v2
	v_lshrrev_b32_e32 v1, 6, v0
	v_cmp_gt_i32_e64 s[6:7], s3, v2
	v_cmp_le_i32_e32 vcc, s3, v2
                                        ; implicit-def: $sgpr21
                                        ; implicit-def: $sgpr11
	s_and_saveexec_b64 s[8:9], vcc
	s_xor_b64 s[8:9], exec, s[8:9]
	s_cbranch_execz .LBB518_7
; %bb.6:
	v_mul_u32_u24_e32 v2, 20, v1
	v_or_b32_e32 v2, 0xa00, v2
	v_mov_b32_e32 v3, 0xa50
	v_mov_b32_e32 v4, 0xff7fffff
	v_mad_u32_u24 v3, v1, 20, v3
	ds_write2_b32 v2, v4, v4 offset1:1
	v_mov_b32_e32 v2, 0
	ds_write2_b32 v3, v2, v2 offset1:1
	v_mov_b32_e32 v3, 0xa08
	s_mov_b32 s11, 0xff7fffff
	s_mov_b32 s21, 0
	v_mad_u32_u24 v3, v1, 20, v3
	v_mov_b32_e32 v5, 0xa58
	v_mad_u32_u24 v5, v1, 20, v5
	ds_write2_b32 v3, v4, v4 offset1:1
	ds_write2_b32 v5, v2, v2 offset1:1
                                        ; implicit-def: $vgpr2
.LBB518_7:
	s_or_saveexec_b64 s[26:27], s[8:9]
	s_load_dwordx2 s[22:23], s[0:1], 0x68
	s_load_dwordx4 s[12:15], s[0:1], 0x58
	s_load_dword s5, s[24:25], 0x4
	v_and_b32_e32 v40, 63, v0
	v_and_b32_e32 v38, 3, v0
	v_mov_b32_e32 v37, s21
	v_mov_b32_e32 v41, s11
	;; [unrolled: 1-line block ×5, first 2 shown]
                                        ; implicit-def: $vgpr3
                                        ; implicit-def: $vgpr7
                                        ; implicit-def: $vgpr11
                                        ; implicit-def: $vgpr15
                                        ; implicit-def: $vgpr19
                                        ; implicit-def: $vgpr23
                                        ; implicit-def: $vgpr27
                                        ; implicit-def: $vgpr31
	s_xor_b64 exec, exec, s[26:27]
	s_cbranch_execz .LBB518_17
; %bb.8:
	s_add_i32 s21, s3, 31
	s_load_dwordx2 s[8:9], s[0:1], 0x20
	s_load_dword s11, s[0:1], 0x38
	s_ashr_i32 s30, s21, 31
	s_lshr_b32 s30, s30, 27
	v_add_u32_e32 v39, s10, v0
	s_add_i32 s21, s21, s30
	v_ashrrev_i32_e32 v3, 31, v39
	s_ashr_i32 s21, s21, 5
	v_lshrrev_b32_e32 v3, 27, v3
	s_add_i32 s21, s21, -1
	v_add_u32_e32 v3, v39, v3
	s_waitcnt lgkmcnt(0)
	s_mul_i32 s30, s2, s11
	s_mov_b32 s31, 0
	v_ashrrev_i32_e32 v3, 5, v3
	v_mov_b32_e32 v4, s21
	v_cmp_gt_i32_e32 vcc, s3, v39
	s_lshl_b64 s[30:31], s[30:31], 2
	s_add_u32 s8, s8, s30
	v_cndmask_b32_e32 v4, v4, v3, vcc
	v_ashrrev_i32_e32 v3, 31, v2
	v_lshrrev_b32_e32 v3, 27, v3
	s_addc_u32 s9, s9, s31
	v_ashrrev_i32_e32 v5, 31, v4
	v_add_u32_e32 v2, v2, v3
	v_lshl_add_u64 v[6:7], v[4:5], 2, s[8:9]
	v_ashrrev_i32_e32 v4, 5, v2
	v_min_i32_e32 v2, s21, v4
	v_ashrrev_i32_e32 v3, 31, v2
	v_lshl_add_u64 v[8:9], v[2:3], 2, s[8:9]
	v_add_u32_e32 v2, 1, v4
	v_min_i32_e32 v2, s21, v2
	v_ashrrev_i32_e32 v3, 31, v2
	v_lshl_add_u64 v[10:11], v[2:3], 2, s[8:9]
	global_load_dword v2, v[6:7], off
	global_load_dword v5, v[8:9], off
	;; [unrolled: 1-line block ×3, first 2 shown]
	s_load_dwordx4 s[8:11], s[0:1], 0x8
	s_andn2_b64 vcc, exec, s[18:19]
	s_cbranch_vccnz .LBB518_11
; %bb.9:
	s_add_u32 s16, s16, s28
	s_addc_u32 s17, s17, s29
	s_load_dword s21, s[16:17], 0x0
	s_branch .LBB518_12
.LBB518_10:
	s_mov_b64 s[8:9], 0
	s_branch .LBB518_2
.LBB518_11:
	s_mov_b32 s21, s2
.LBB518_12:
	s_load_dwordx4 s[16:19], s[0:1], 0x48
	v_cmp_ne_u32_e32 vcc, 3, v38
	s_mov_b32 s29, 0
	v_mov_b32_e32 v41, 1.0
	v_mov_b32_e32 v3, 0
	v_mov_b32_e32 v34, 0
	;; [unrolled: 1-line block ×5, first 2 shown]
	s_and_saveexec_b64 s[30:31], vcc
	s_cbranch_execz .LBB518_14
; %bb.13:
	s_load_dwordx2 s[34:35], s[0:1], 0x0
	s_waitcnt lgkmcnt(0)
	s_ashr_i32 s19, s16, 31
	s_mul_hi_u32 s28, s21, s16
	s_mul_i32 s19, s21, s19
	s_add_i32 s37, s28, s19
	s_mul_i32 s36, s21, s16
	s_lshl_b64 s[36:37], s[36:37], 1
	s_add_u32 s16, s34, s36
	s_mul_i32 s28, s4, 0xc0
	s_addc_u32 s19, s35, s37
	s_lshl_b64 s[34:35], s[28:29], 1
	s_add_u32 s34, s16, s34
	v_lshlrev_b32_e32 v6, 3, v38
	v_lshrrev_b32_e32 v7, 2, v40
	s_addc_u32 s35, s19, s35
	v_add_lshl_u32 v6, v6, v7, 4
	global_load_dwordx4 v[34:37], v6, s[34:35]
	v_mov_b32_e32 v41, 0
.LBB518_14:
	s_or_b64 exec, exec, s[30:31]
	s_waitcnt lgkmcnt(0)
	s_mul_i32 s28, s4, s18
	s_lshl_b64 s[18:19], s[28:29], 1
	s_add_u32 s8, s18, s8
	s_waitcnt vmcnt(2)
	v_mad_i64_i32 v[6:7], s[30:31], v2, s17, 0
	s_addc_u32 s9, s19, s9
	v_and_b32_e32 v2, 31, v0
	v_lshl_add_u64 v[6:7], v[6:7], 1, s[8:9]
	v_lshlrev_b32_e32 v2, 4, v2
	v_lshl_add_u64 v[30:31], v[6:7], 0, v[2:3]
	global_load_dwordx4 v[6:9], v[30:31], off
	global_load_dwordx4 v[10:13], v[30:31], off offset:512
	global_load_dwordx4 v[14:17], v[30:31], off offset:1024
	;; [unrolled: 1-line block ×7, first 2 shown]
	s_waitcnt vmcnt(9)
	v_mul_hi_i32 v2, v5, s17
	s_add_u32 s8, s10, s18
	s_waitcnt vmcnt(8)
	v_mul_hi_i32 v30, v4, s17
	v_ashrrev_i32_e32 v32, 31, v2
	s_addc_u32 s9, s11, s19
	v_lshlrev_b32_e32 v2, 6, v40
	v_ashrrev_i32_e32 v33, 31, v30
	v_lshl_add_u64 v[30:31], s[8:9], 0, v[2:3]
	v_lshrrev_b32_e32 v2, 29, v32
	s_load_dword s0, s[0:1], 0x1c
	v_cmp_eq_u32_e32 vcc, 0, v38
	v_and_b32_e32 v55, -4, v39
	v_or_b32_e32 v39, 3, v39
	v_cndmask_b32_e64 v52, 0, 1.0, vcc
	v_cmp_eq_u32_e32 vcc, 1, v38
	v_cmp_gt_i32_e64 s[10:11], s3, v39
	v_lshlrev_b32_e32 v56, 2, v0
	v_cndmask_b32_e64 v53, 0, 1.0, vcc
	v_cmp_eq_u32_e32 vcc, 2, v38
	s_waitcnt vmcnt(7)
	v_mfma_f32_4x4x4_16b_bf16 a[0:3], v[34:35], v[6:7], 0 cbsz:4
	v_mad_i64_i32 v[6:7], s[8:9], v5, s17, v[2:3]
	s_nop 0
	v_mfma_f32_4x4x4_16b_bf16 a[0:3], v[36:37], v[8:9], a[0:3] cbsz:4
	v_lshrrev_b32_e32 v2, 29, v33
	v_mad_i64_i32 v[2:3], s[8:9], v4, s17, v[2:3]
	s_waitcnt vmcnt(6)
	v_mfma_f32_4x4x4_16b_bf16 a[0:3], v[34:35], v[10:11], a[0:3] cbsz:4 abid:1
	v_lshlrev_b64 v[6:7], 1, v[6:7]
	v_lshlrev_b64 v[32:33], 1, v[2:3]
	v_mfma_f32_4x4x4_16b_bf16 a[0:3], v[36:37], v[12:13], a[0:3] cbsz:4 abid:1
	v_and_b32_e32 v6, -16, v6
	v_and_b32_e32 v32, -16, v32
	s_waitcnt vmcnt(5)
	v_mfma_f32_4x4x4_16b_bf16 a[0:3], v[34:35], v[14:15], a[0:3] cbsz:4 abid:2
	v_lshl_add_u64 v[50:51], v[30:31], 0, v[32:33]
	v_cndmask_b32_e64 v54, 0, 1.0, vcc
	v_mfma_f32_4x4x4_16b_bf16 a[0:3], v[36:37], v[16:17], a[0:3] cbsz:4 abid:2
	v_cmp_gt_i32_e32 vcc, s3, v55
	s_waitcnt vmcnt(4)
	v_mfma_f32_4x4x4_16b_bf16 a[0:3], v[34:35], v[18:19], a[0:3] cbsz:4 abid:3
	v_lshl_add_u64 v[18:19], v[30:31], 0, v[6:7]
	global_load_dwordx4 v[2:5], v[18:19], off
	global_load_dwordx4 v[6:9], v[18:19], off offset:16
	v_mfma_f32_4x4x4_16b_bf16 a[0:3], v[36:37], v[20:21], a[0:3] cbsz:4 abid:3
	global_load_dwordx4 v[10:13], v[18:19], off offset:32
	global_load_dwordx4 v[14:17], v[18:19], off offset:48
	s_waitcnt vmcnt(7)
	v_mfma_f32_4x4x4_16b_bf16 a[0:3], v[34:35], v[22:23], a[0:3] cbsz:4 abid:4
	s_nop 1
	v_mfma_f32_4x4x4_16b_bf16 a[0:3], v[36:37], v[24:25], a[0:3] cbsz:4 abid:4
	global_load_dwordx4 v[18:21], v[50:51], off
	global_load_dwordx4 v[22:25], v[50:51], off offset:16
	s_waitcnt vmcnt(8)
	v_mfma_f32_4x4x4_16b_bf16 a[0:3], v[34:35], v[26:27], a[0:3] cbsz:4 abid:5
	s_nop 1
	v_mfma_f32_4x4x4_16b_bf16 a[0:3], v[36:37], v[28:29], a[0:3] cbsz:4 abid:5
	global_load_dwordx4 v[26:29], v[50:51], off offset:32
	global_load_dwordx4 v[30:33], v[50:51], off offset:48
	s_waitcnt vmcnt(9)
	v_mfma_f32_4x4x4_16b_bf16 a[0:3], v[34:35], v[42:43], a[0:3] cbsz:4 abid:6
	v_mov_b32_e32 v42, 0xff7fffff
	v_and_or_b32 v43, v56, 48, v38
	v_mfma_f32_4x4x4_16b_bf16 a[0:3], v[36:37], v[44:45], a[0:3] cbsz:4 abid:6
	v_lshlrev_b32_e32 v43, 2, v43
	s_waitcnt vmcnt(8)
	v_mfma_f32_4x4x4_16b_bf16 a[0:3], v[34:35], v[46:47], a[0:3] cbsz:4 abid:7
	s_nop 1
	v_mfma_f32_4x4x4_16b_bf16 a[0:3], v[36:37], v[48:49], a[0:3] cbsz:4 abid:7
	s_nop 4
	v_accvgpr_read_b32 v35, a1
	v_accvgpr_read_b32 v34, a0
	s_waitcnt lgkmcnt(0)
	v_pk_mul_f32 v[34:35], s[0:1], v[34:35] op_sel_hi:[0,1]
	v_accvgpr_read_b32 v37, a3
	v_accvgpr_read_b32 v36, a2
	v_pk_mul_f32 v[36:37], s[0:1], v[36:37] op_sel_hi:[0,1]
	v_mfma_f32_4x4x1_16b_f32 a[0:3], v34, v52, 0
	v_or_b32_e32 v34, 1, v55
	s_nop 0
	v_mfma_f32_4x4x1_16b_f32 a[0:3], v35, v53, a[0:3]
	v_cmp_gt_i32_e64 s[0:1], s3, v34
	v_or_b32_e32 v35, 2, v55
	v_mfma_f32_4x4x1_16b_f32 a[0:3], v36, v54, a[0:3]
	v_cmp_gt_i32_e64 s[8:9], s3, v35
	s_nop 0
	v_mfma_f32_4x4x1_16b_f32 a[0:3], v37, v41, a[0:3]
	s_nop 3
	v_accvgpr_read_b32 v36, a0
	v_max_f32_e32 v41, v36, v36
	v_accvgpr_read_b32 v37, a1
	v_max_f32_e32 v41, 0xff7fffff, v41
	v_max_f32_e32 v46, v37, v37
	v_cndmask_b32_e32 v41, v42, v41, vcc
	v_accvgpr_read_b32 v44, a2
	v_max_f32_e32 v42, v41, v46
	v_max_f32_e32 v47, v44, v44
	v_cndmask_b32_e64 v34, v41, v42, s[0:1]
	v_accvgpr_read_b32 v45, a3
	v_max_f32_e32 v41, v34, v47
	v_max_f32_e32 v48, v45, v45
	v_cndmask_b32_e64 v34, v34, v41, s[8:9]
	v_max_f32_e32 v35, v34, v48
	v_cndmask_b32_e64 v34, v34, v35, s[10:11]
	;;#ASMSTART
	v_nop
 v_nop
 v_max_f32_dpp v34, v34, v34 row_ror:4
	;;#ASMEND
	s_nop 0
	;;#ASMSTART
	v_nop
 v_nop
 v_max_f32_dpp v34, v34, v34 row_ror:8
	;;#ASMEND
	ds_bpermute_b32 v34, v43, v34
	s_waitcnt lgkmcnt(0)
	;;#ASMSTART
	v_nop
 v_nop
 v_max_f32_dpp v34, v34, v34 row_ror:4
	;;#ASMEND
	s_nop 0
	;;#ASMSTART
	v_nop
 v_nop
 v_max_f32_dpp v41, v34, v34 row_ror:8
	;;#ASMEND
	s_nop 0
	v_sub_f32_e32 v34, v36, v41
	v_sub_f32_e32 v35, v37, v41
	v_mul_f32_e32 v34, 0x3fb8aa3b, v34
	v_sub_f32_e32 v36, v44, v41
	v_mul_f32_e32 v35, 0x3fb8aa3b, v35
	v_exp_f32_e32 v34, v34
	v_sub_f32_e32 v37, v45, v41
	v_mul_f32_e32 v36, 0x3fb8aa3b, v36
	v_exp_f32_e32 v35, v35
	v_mul_f32_e32 v37, 0x3fb8aa3b, v37
	v_exp_f32_e32 v36, v36
	v_exp_f32_e32 v37, v37
	v_cndmask_b32_e32 v34, 0, v34, vcc
	v_cndmask_b32_e64 v35, 0, v35, s[0:1]
	v_add_f32_e32 v39, 0, v34
	v_cndmask_b32_e64 v36, 0, v36, s[8:9]
	v_add_f32_e32 v39, v39, v35
	;; [unrolled: 2-line block ×3, first 2 shown]
	v_add_f32_e32 v39, v39, v37
	;;#ASMSTART
	v_nop
 v_nop
 v_add_f32_dpp v39, v39, v39 row_ror:4
	;;#ASMEND
	v_cmp_gt_u32_e32 vcc, 4, v40
	;;#ASMSTART
	v_nop
 v_nop
 v_add_f32_dpp v39, v39, v39 row_ror:8
	;;#ASMEND
	ds_bpermute_b32 v39, v43, v39
	s_waitcnt lgkmcnt(0)
	;;#ASMSTART
	v_nop
 v_nop
 v_add_f32_dpp v39, v39, v39 row_ror:4
	;;#ASMEND
	s_nop 0
	;;#ASMSTART
	v_nop
 v_nop
 v_add_f32_dpp v39, v39, v39 row_ror:8
	;;#ASMEND
	s_and_saveexec_b64 s[0:1], vcc
	s_cbranch_execz .LBB518_16
; %bb.15:
	v_mul_u32_u24_e32 v42, 20, v1
	v_lshl_add_u32 v42, v38, 2, v42
	v_add_u32_e32 v42, 0x800, v42
	ds_write2_b32 v42, v41, v39 offset0:128 offset1:148
.LBB518_16:
	s_or_b64 exec, exec, s[0:1]
.LBB518_17:
	s_or_b64 exec, exec, s[26:27]
	s_waitcnt lgkmcnt(0)
	s_barrier
	s_load_dword s0, s[24:25], 0x8
	v_lshlrev_b32_e32 v39, 2, v38
	v_add_u32_e32 v39, 0x800, v39
	ds_read2_b32 v[44:45], v39 offset0:128 offset1:133
	ds_read2_b32 v[46:47], v39 offset0:138 offset1:143
	s_mul_i32 s1, s2, s5
	s_waitcnt lgkmcnt(0)
	s_mul_i32 s0, s1, s0
	s_mov_b32 s1, 0xff7fffff
	v_max3_f32 v42, v44, s1, v45
	v_max3_f32 v42, v42, v46, v47
	v_sub_f32_e32 v43, v44, v42
	v_sub_f32_e32 v44, v45, v42
	ds_read2_b32 v[48:49], v39 offset0:148 offset1:153
	v_mul_f32_e32 v43, 0x3fb8aa3b, v43
	v_mul_f32_e32 v44, 0x3fb8aa3b, v44
	v_exp_f32_e32 v43, v43
	v_exp_f32_e32 v50, v44
	ds_read2_b32 v[44:45], v39 offset0:158 offset1:163
	v_sub_f32_e32 v39, v46, v42
	v_mul_f32_e32 v39, 0x3fb8aa3b, v39
	v_sub_f32_e32 v46, v47, v42
	v_exp_f32_e32 v39, v39
	v_mul_f32_e32 v46, 0x3fb8aa3b, v46
	v_exp_f32_e32 v46, v46
	s_waitcnt lgkmcnt(1)
	v_fma_f32 v43, v43, v48, 0
	v_fmac_f32_e32 v43, v50, v49
	s_waitcnt lgkmcnt(0)
	v_fmac_f32_e32 v43, v39, v44
	s_mul_i32 s4, s4, 3
	s_mul_i32 s0, s0, 3
	v_fmac_f32_e32 v43, v46, v45
	v_cmp_ne_u32_e32 vcc, 3, v38
	s_and_saveexec_b64 s[2:3], vcc
	s_cbranch_execz .LBB518_19
; %bb.18:
	s_mov_b32 s1, 0
	s_lshl_b64 s[8:9], s[0:1], 2
	s_add_u32 s12, s12, s8
	s_mov_b32 s21, s1
	s_addc_u32 s13, s13, s9
	s_lshl_b64 s[10:11], s[20:21], 2
	s_add_u32 s12, s12, s10
	s_addc_u32 s13, s13, s11
	s_add_u32 s1, s14, s8
	s_addc_u32 s9, s15, s9
	v_add_u32_e32 v38, s4, v38
	s_add_u32 s8, s1, s10
	v_mul_lo_u32 v38, s5, v38
	v_mov_b32_e32 v39, 0
	s_addc_u32 s9, s9, s11
	v_lshlrev_b64 v[38:39], 2, v[38:39]
	v_lshl_add_u64 v[44:45], s[12:13], 0, v[38:39]
	v_lshl_add_u64 v[38:39], s[8:9], 0, v[38:39]
	global_store_dword v[38:39], v42, off
	global_store_dword v[44:45], v43, off
.LBB518_19:
	s_or_b64 exec, exec, s[2:3]
	v_mov_b32_e32 v38, 0
	v_mov_b32_e32 v39, 0
	s_and_saveexec_b64 s[2:3], s[6:7]
	s_cbranch_execz .LBB518_21
; %bb.20:
	v_add_f32_e32 v38, 0x358637bd, v43
	v_div_scale_f32 v39, s[6:7], v38, v38, 1.0
	v_rcp_f32_e32 v43, v39
	v_div_scale_f32 v44, vcc, 1.0, v38, 1.0
	v_sub_f32_e32 v41, v41, v42
	v_fma_f32 v45, -v39, v43, 1.0
	v_fmac_f32_e32 v43, v45, v43
	v_mul_f32_e32 v45, v44, v43
	v_fma_f32 v46, -v39, v45, v44
	v_mul_f32_e32 v41, 0x3fb8aa3b, v41
	v_fmac_f32_e32 v45, v46, v43
	v_exp_f32_e32 v41, v41
	v_fma_f32 v39, -v39, v45, v44
	v_div_fmas_f32 v39, v39, v43, v45
	v_div_fixup_f32 v38, v39, v38, 1.0
	v_mul_f32_e32 v38, v41, v38
	v_pk_mul_f32 v[34:35], v[34:35], v[38:39] op_sel_hi:[1,0]
	v_pk_mul_f32 v[36:37], v[36:37], v[38:39] op_sel_hi:[1,0]
	v_bfe_u32 v38, v35, 16, 1
	v_bfe_u32 v39, v34, 16, 1
	s_movk_i32 s1, 0x7fff
	v_add3_u32 v34, v34, v39, s1
	v_add3_u32 v35, v35, v38, s1
	s_mov_b32 s6, 0x7060302
	v_perm_b32 v34, v35, v34, s6
	v_bfe_u32 v35, v37, 16, 1
	v_bfe_u32 v38, v36, 16, 1
	v_add3_u32 v36, v36, v38, s1
	v_add3_u32 v35, v37, v35, s1
	v_perm_b32 v35, v35, v36, s6
	s_waitcnt vmcnt(7)
	s_nop 0
	v_mfma_f32_4x4x4_16b_bf16 a[0:3], v[34:35], v[2:3], 0 cbsz:4
	s_nop 1
	v_mfma_f32_4x4x4_16b_bf16 a[0:3], v[34:35], v[4:5], a[0:3] cbsz:4 abid:1
	s_waitcnt vmcnt(6)
	s_nop 0
	v_mfma_f32_4x4x4_16b_bf16 a[0:3], v[34:35], v[6:7], a[0:3] cbsz:4 abid:2
	s_nop 1
	v_mfma_f32_4x4x4_16b_bf16 a[0:3], v[34:35], v[8:9], a[0:3] cbsz:4 abid:3
	s_waitcnt vmcnt(5)
	s_nop 0
	v_mfma_f32_4x4x4_16b_bf16 a[0:3], v[34:35], v[10:11], a[0:3] cbsz:4 abid:4
	;; [unrolled: 5-line block ×7, first 2 shown]
	s_nop 1
	v_mfma_f32_4x4x4_16b_bf16 a[0:3], v[34:35], v[32:33], a[0:3] cbsz:4 abid:15
	s_nop 4
	v_accvgpr_read_b32 v5, a1
	v_accvgpr_read_b32 v2, a2
	;; [unrolled: 1-line block ×4, first 2 shown]
	v_bfe_u32 v6, v5, 16, 1
	v_bfe_u32 v7, v4, 16, 1
	;; [unrolled: 1-line block ×3, first 2 shown]
	v_add3_u32 v5, v5, v6, s1
	v_bfe_u32 v6, v2, 16, 1
	v_add3_u32 v4, v4, v7, s1
	v_add3_u32 v2, v2, v6, s1
	;; [unrolled: 1-line block ×3, first 2 shown]
	v_perm_b32 v39, v3, v2, s6
	v_perm_b32 v38, v5, v4, s6
.LBB518_21:
	s_or_b64 exec, exec, s[2:3]
	v_lshlrev_b32_e32 v1, 3, v1
	v_mad_u32_u24 v1, v40, 40, v1
	v_cmp_gt_u32_e32 vcc, 64, v0
	ds_write_b64 v1, v[38:39]
	s_waitcnt lgkmcnt(0)
	s_barrier
	s_and_saveexec_b64 s[2:3], vcc
	s_cbranch_execz .LBB518_23
; %bb.22:
	v_mul_u32_u24_e32 v1, 40, v40
	s_waitcnt vmcnt(7)
	ds_read2_b64 v[2:5], v1 offset1:1
	s_waitcnt vmcnt(6)
	ds_read2_b64 v[6:9], v1 offset0:2 offset1:3
	s_mov_b32 s1, 0
	s_lshl_b32 s0, s0, 6
	s_lshl_b64 s[2:3], s[0:1], 1
	s_waitcnt lgkmcnt(1)
	v_and_b32_e32 v1, 0xffff0000, v2
	v_lshlrev_b32_e32 v3, 16, v3
	v_add_f32_e32 v1, 0, v1
	v_add_f32_e32 v3, 0, v3
	v_and_b32_e32 v1, 0xffff0000, v1
	s_waitcnt vmcnt(5)
	v_and_b32_e32 v10, 0xffff0000, v4
	v_and_b32_e32 v3, 0xffff0000, v3
	v_add_f32_e32 v1, v1, v10
	v_lshlrev_b32_e32 v5, 16, v5
	v_and_b32_e32 v1, 0xffff0000, v1
	v_add_f32_e32 v3, v3, v5
	s_waitcnt lgkmcnt(0)
	v_and_b32_e32 v5, 0xffff0000, v6
	v_and_b32_e32 v3, 0xffff0000, v3
	v_add_f32_e32 v1, v1, v5
	v_lshlrev_b32_e32 v5, 16, v7
	v_and_b32_e32 v1, 0xffff0000, v1
	v_add_f32_e32 v3, v3, v5
	v_and_b32_e32 v5, 0xffff0000, v8
	v_lshlrev_b32_e32 v2, 16, v2
	v_and_b32_e32 v3, 0xffff0000, v3
	v_add_f32_e32 v1, v1, v5
	v_lshlrev_b32_e32 v5, 16, v9
	s_add_u32 s2, s22, s2
	v_add_f32_e32 v2, 0, v2
	v_add_f32_e32 v7, v3, v5
	s_addc_u32 s3, s23, s3
	s_lshl_b32 s0, s20, 6
	v_and_b32_e32 v2, 0xffff0000, v2
	v_lshlrev_b32_e32 v3, 16, v4
	s_lshl_b64 s[0:1], s[0:1], 1
	v_add_f32_e32 v2, v2, v3
	s_add_u32 s0, s2, s0
	v_and_b32_e32 v2, 0xffff0000, v2
	v_lshlrev_b32_e32 v3, 16, v6
	s_addc_u32 s1, s3, s1
	s_lshl_b32 s2, s5, 6
	v_add_f32_e32 v2, v2, v3
	v_and_b32_e32 v2, 0xffff0000, v2
	v_lshlrev_b32_e32 v3, 16, v8
	s_mul_i32 s3, s2, s4
	v_add_f32_e32 v6, v2, v3
	v_or_b32_e32 v2, s3, v0
	v_mov_b32_e32 v3, 0
	s_add_i32 s3, s3, s2
	v_lshl_add_u64 v[4:5], v[2:3], 1, s[0:1]
	v_or_b32_e32 v2, s3, v0
	s_add_i32 s3, s3, s2
	global_store_short_d16_hi v[4:5], v6, off
	v_lshl_add_u64 v[4:5], v[2:3], 1, s[0:1]
	v_or_b32_e32 v2, s3, v0
	global_store_short_d16_hi v[4:5], v1, off
	v_lshl_add_u64 v[0:1], v[2:3], 1, s[0:1]
	global_store_short_d16_hi v[0:1], v7, off
.LBB518_23:
	s_endpgm
	.section	.rodata,"a",@progbits
	.p2align	6, 0x0
	.amdhsa_kernel _Z38paged_attention_ll4mi_QKV_mfma4_kernelI14__hip_bfloat16S0_LN4vllm18Fp8KVCacheDataTypeE0EhLi32ELi64ELi256ELb0ELi3EEvPKT_PKT0_S8_ifPKiSA_SA_iPKfiiiPfSD_PS3_PT2_iSC_SC_
		.amdhsa_group_segment_fixed_size 2720
		.amdhsa_private_segment_fixed_size 0
		.amdhsa_kernarg_size 400
		.amdhsa_user_sgpr_count 2
		.amdhsa_user_sgpr_dispatch_ptr 0
		.amdhsa_user_sgpr_queue_ptr 0
		.amdhsa_user_sgpr_kernarg_segment_ptr 1
		.amdhsa_user_sgpr_dispatch_id 0
		.amdhsa_user_sgpr_kernarg_preload_length 0
		.amdhsa_user_sgpr_kernarg_preload_offset 0
		.amdhsa_user_sgpr_private_segment_size 0
		.amdhsa_uses_dynamic_stack 0
		.amdhsa_enable_private_segment 0
		.amdhsa_system_sgpr_workgroup_id_x 1
		.amdhsa_system_sgpr_workgroup_id_y 1
		.amdhsa_system_sgpr_workgroup_id_z 1
		.amdhsa_system_sgpr_workgroup_info 0
		.amdhsa_system_vgpr_workitem_id 0
		.amdhsa_next_free_vgpr 64
		.amdhsa_next_free_sgpr 38
		.amdhsa_accum_offset 60
		.amdhsa_reserve_vcc 1
		.amdhsa_float_round_mode_32 0
		.amdhsa_float_round_mode_16_64 0
		.amdhsa_float_denorm_mode_32 3
		.amdhsa_float_denorm_mode_16_64 3
		.amdhsa_dx10_clamp 1
		.amdhsa_ieee_mode 1
		.amdhsa_fp16_overflow 0
		.amdhsa_tg_split 0
		.amdhsa_exception_fp_ieee_invalid_op 0
		.amdhsa_exception_fp_denorm_src 0
		.amdhsa_exception_fp_ieee_div_zero 0
		.amdhsa_exception_fp_ieee_overflow 0
		.amdhsa_exception_fp_ieee_underflow 0
		.amdhsa_exception_fp_ieee_inexact 0
		.amdhsa_exception_int_div_zero 0
	.end_amdhsa_kernel
	.section	.text._Z38paged_attention_ll4mi_QKV_mfma4_kernelI14__hip_bfloat16S0_LN4vllm18Fp8KVCacheDataTypeE0EhLi32ELi64ELi256ELb0ELi3EEvPKT_PKT0_S8_ifPKiSA_SA_iPKfiiiPfSD_PS3_PT2_iSC_SC_,"axG",@progbits,_Z38paged_attention_ll4mi_QKV_mfma4_kernelI14__hip_bfloat16S0_LN4vllm18Fp8KVCacheDataTypeE0EhLi32ELi64ELi256ELb0ELi3EEvPKT_PKT0_S8_ifPKiSA_SA_iPKfiiiPfSD_PS3_PT2_iSC_SC_,comdat
.Lfunc_end518:
	.size	_Z38paged_attention_ll4mi_QKV_mfma4_kernelI14__hip_bfloat16S0_LN4vllm18Fp8KVCacheDataTypeE0EhLi32ELi64ELi256ELb0ELi3EEvPKT_PKT0_S8_ifPKiSA_SA_iPKfiiiPfSD_PS3_PT2_iSC_SC_, .Lfunc_end518-_Z38paged_attention_ll4mi_QKV_mfma4_kernelI14__hip_bfloat16S0_LN4vllm18Fp8KVCacheDataTypeE0EhLi32ELi64ELi256ELb0ELi3EEvPKT_PKT0_S8_ifPKiSA_SA_iPKfiiiPfSD_PS3_PT2_iSC_SC_
                                        ; -- End function
	.section	.AMDGPU.csdata,"",@progbits
; Kernel info:
; codeLenInByte = 3240
; NumSgprs: 44
; NumVgprs: 57
; NumAgprs: 4
; TotalNumVgprs: 64
; ScratchSize: 0
; MemoryBound: 0
; FloatMode: 240
; IeeeMode: 1
; LDSByteSize: 2720 bytes/workgroup (compile time only)
; SGPRBlocks: 5
; VGPRBlocks: 7
; NumSGPRsForWavesPerEU: 44
; NumVGPRsForWavesPerEU: 64
; AccumOffset: 60
; Occupancy: 8
; WaveLimiterHint : 1
; COMPUTE_PGM_RSRC2:SCRATCH_EN: 0
; COMPUTE_PGM_RSRC2:USER_SGPR: 2
; COMPUTE_PGM_RSRC2:TRAP_HANDLER: 0
; COMPUTE_PGM_RSRC2:TGID_X_EN: 1
; COMPUTE_PGM_RSRC2:TGID_Y_EN: 1
; COMPUTE_PGM_RSRC2:TGID_Z_EN: 1
; COMPUTE_PGM_RSRC2:TIDIG_COMP_CNT: 0
; COMPUTE_PGM_RSRC3_GFX90A:ACCUM_OFFSET: 14
; COMPUTE_PGM_RSRC3_GFX90A:TG_SPLIT: 0
	.section	.text._Z38paged_attention_ll4mi_QKV_mfma4_kernelI14__hip_bfloat16S0_LN4vllm18Fp8KVCacheDataTypeE0EhLi32ELi64ELi256ELb0ELi4EEvPKT_PKT0_S8_ifPKiSA_SA_iPKfiiiPfSD_PS3_PT2_iSC_SC_,"axG",@progbits,_Z38paged_attention_ll4mi_QKV_mfma4_kernelI14__hip_bfloat16S0_LN4vllm18Fp8KVCacheDataTypeE0EhLi32ELi64ELi256ELb0ELi4EEvPKT_PKT0_S8_ifPKiSA_SA_iPKfiiiPfSD_PS3_PT2_iSC_SC_,comdat
	.protected	_Z38paged_attention_ll4mi_QKV_mfma4_kernelI14__hip_bfloat16S0_LN4vllm18Fp8KVCacheDataTypeE0EhLi32ELi64ELi256ELb0ELi4EEvPKT_PKT0_S8_ifPKiSA_SA_iPKfiiiPfSD_PS3_PT2_iSC_SC_ ; -- Begin function _Z38paged_attention_ll4mi_QKV_mfma4_kernelI14__hip_bfloat16S0_LN4vllm18Fp8KVCacheDataTypeE0EhLi32ELi64ELi256ELb0ELi4EEvPKT_PKT0_S8_ifPKiSA_SA_iPKfiiiPfSD_PS3_PT2_iSC_SC_
	.globl	_Z38paged_attention_ll4mi_QKV_mfma4_kernelI14__hip_bfloat16S0_LN4vllm18Fp8KVCacheDataTypeE0EhLi32ELi64ELi256ELb0ELi4EEvPKT_PKT0_S8_ifPKiSA_SA_iPKfiiiPfSD_PS3_PT2_iSC_SC_
	.p2align	8
	.type	_Z38paged_attention_ll4mi_QKV_mfma4_kernelI14__hip_bfloat16S0_LN4vllm18Fp8KVCacheDataTypeE0EhLi32ELi64ELi256ELb0ELi4EEvPKT_PKT0_S8_ifPKiSA_SA_iPKfiiiPfSD_PS3_PT2_iSC_SC_,@function
_Z38paged_attention_ll4mi_QKV_mfma4_kernelI14__hip_bfloat16S0_LN4vllm18Fp8KVCacheDataTypeE0EhLi32ELi64ELi256ELb0ELi4EEvPKT_PKT0_S8_ifPKiSA_SA_iPKfiiiPfSD_PS3_PT2_iSC_SC_: ; @_Z38paged_attention_ll4mi_QKV_mfma4_kernelI14__hip_bfloat16S0_LN4vllm18Fp8KVCacheDataTypeE0EhLi32ELi64ELi256ELb0ELi4EEvPKT_PKT0_S8_ifPKiSA_SA_iPKfiiiPfSD_PS3_PT2_iSC_SC_
; %bb.0:
	s_load_dwordx2 s[8:9], s[0:1], 0x30
	s_mov_b32 s20, s3
	s_mov_b64 s[6:7], 0
	s_waitcnt lgkmcnt(0)
	s_cmp_lg_u64 s[8:9], 0
	s_cselect_b64 s[10:11], -1, 0
	s_and_b64 vcc, exec, s[10:11]
	s_cbranch_vccz .LBB519_18
; %bb.1:
	s_add_i32 s12, s2, 1
	s_mov_b32 s13, 0
	s_lshl_b64 s[14:15], s[12:13], 2
	s_add_u32 s14, s8, s14
	s_mov_b32 s3, s13
	s_addc_u32 s15, s9, s15
	s_lshl_b64 s[12:13], s[2:3], 2
	s_add_u32 s12, s8, s12
	s_addc_u32 s13, s9, s13
	s_load_dword s5, s[14:15], 0x0
	s_load_dword s16, s[12:13], 0x0
	s_mov_b64 s[30:31], s[2:3]
	s_waitcnt lgkmcnt(0)
	s_sub_i32 s5, s5, s16
	s_cmp_eq_u32 s5, 1
	s_cselect_b64 s[12:13], -1, 0
	s_andn2_b64 vcc, exec, s[6:7]
	s_cbranch_vccnz .LBB519_3
.LBB519_2:
	s_mov_b32 s3, 0
	s_mov_b64 s[12:13], -1
	s_mov_b64 s[30:31], s[2:3]
.LBB519_3:
	s_andn2_b64 vcc, exec, s[12:13]
	s_cbranch_vccnz .LBB519_17
; %bb.4:
	s_load_dword s3, s[0:1], 0x9c
	s_load_dwordx2 s[6:7], s[0:1], 0x28
	s_add_u32 s24, s0, 0x90
	s_addc_u32 s25, s1, 0
	s_lshl_b64 s[34:35], s[30:31], 2
	s_waitcnt lgkmcnt(0)
	s_and_b32 s5, s3, 0xffff
	s_add_u32 s6, s6, s34
	s_addc_u32 s7, s7, s35
	s_load_dword s3, s[6:7], 0x0
	s_mul_i32 s16, s20, s5
	s_waitcnt lgkmcnt(0)
	s_cmp_ge_i32 s16, s3
	s_cbranch_scc1 .LBB519_17
; %bb.5:
	v_and_b32_e32 v2, 0xc0, v0
	v_add_u32_e32 v2, s16, v2
	v_lshrrev_b32_e32 v1, 6, v0
	v_cmp_gt_i32_e64 s[6:7], s3, v2
	v_cmp_le_i32_e32 vcc, s3, v2
                                        ; implicit-def: $sgpr18
                                        ; implicit-def: $sgpr17
	s_and_saveexec_b64 s[12:13], vcc
	s_xor_b64 s[12:13], exec, s[12:13]
	s_cbranch_execz .LBB519_7
; %bb.6:
	v_mul_u32_u24_e32 v2, 20, v1
	v_or_b32_e32 v2, 0xa00, v2
	v_mov_b32_e32 v3, 0xa50
	v_mov_b32_e32 v4, 0xff7fffff
	v_mad_u32_u24 v3, v1, 20, v3
	ds_write2_b32 v2, v4, v4 offset1:1
	v_mov_b32_e32 v2, 0
	ds_write2_b32 v3, v2, v2 offset1:1
	v_mov_b32_e32 v3, 0xa08
	s_mov_b32 s17, 0xff7fffff
	s_mov_b32 s18, 0
	v_mad_u32_u24 v3, v1, 20, v3
	v_mov_b32_e32 v5, 0xa58
	v_mad_u32_u24 v5, v1, 20, v5
	ds_write2_b32 v3, v4, v4 offset1:1
	ds_write2_b32 v5, v2, v2 offset1:1
                                        ; implicit-def: $vgpr2
.LBB519_7:
	s_or_saveexec_b64 s[26:27], s[12:13]
	s_load_dwordx2 s[22:23], s[0:1], 0x68
	s_load_dwordx4 s[12:15], s[0:1], 0x58
	s_load_dword s5, s[24:25], 0x4
	v_and_b32_e32 v40, 63, v0
	v_and_b32_e32 v38, 3, v0
	v_mov_b32_e32 v37, s18
	v_mov_b32_e32 v41, s17
	;; [unrolled: 1-line block ×5, first 2 shown]
                                        ; implicit-def: $vgpr3
                                        ; implicit-def: $vgpr7
                                        ; implicit-def: $vgpr11
                                        ; implicit-def: $vgpr15
                                        ; implicit-def: $vgpr19
                                        ; implicit-def: $vgpr23
                                        ; implicit-def: $vgpr27
                                        ; implicit-def: $vgpr31
	s_xor_b64 exec, exec, s[26:27]
	s_cbranch_execz .LBB519_13
; %bb.8:
	s_add_i32 s21, s3, 31
	s_load_dwordx2 s[18:19], s[0:1], 0x20
	s_load_dword s17, s[0:1], 0x38
	s_ashr_i32 s28, s21, 31
	s_lshr_b32 s28, s28, 27
	v_add_u32_e32 v34, s16, v0
	s_add_i32 s21, s21, s28
	v_ashrrev_i32_e32 v3, 31, v34
	s_ashr_i32 s21, s21, 5
	v_lshrrev_b32_e32 v3, 27, v3
	s_add_i32 s21, s21, -1
	v_add_u32_e32 v3, v34, v3
	s_waitcnt lgkmcnt(0)
	s_mul_i32 s36, s2, s17
	s_mov_b32 s37, 0
	v_ashrrev_i32_e32 v3, 5, v3
	v_mov_b32_e32 v4, s21
	v_cmp_gt_i32_e32 vcc, s3, v34
	s_lshl_b64 s[28:29], s[36:37], 2
	s_add_u32 s18, s18, s28
	v_cndmask_b32_e32 v4, v4, v3, vcc
	v_ashrrev_i32_e32 v3, 31, v2
	v_lshrrev_b32_e32 v3, 27, v3
	s_addc_u32 s19, s19, s29
	v_ashrrev_i32_e32 v5, 31, v4
	v_add_u32_e32 v2, v2, v3
	v_lshl_add_u64 v[6:7], v[4:5], 2, s[18:19]
	v_ashrrev_i32_e32 v4, 5, v2
	v_min_i32_e32 v2, s21, v4
	v_ashrrev_i32_e32 v3, 31, v2
	v_lshl_add_u64 v[8:9], v[2:3], 2, s[18:19]
	v_add_u32_e32 v2, 1, v4
	v_min_i32_e32 v2, s21, v2
	v_ashrrev_i32_e32 v3, 31, v2
	v_lshl_add_u64 v[10:11], v[2:3], 2, s[18:19]
	global_load_dword v4, v[6:7], off
	global_load_dword v3, v[8:9], off
	global_load_dword v2, v[10:11], off
	s_load_dwordx4 s[16:19], s[0:1], 0x0
	s_load_dwordx2 s[28:29], s[0:1], 0x10
	s_andn2_b64 vcc, exec, s[10:11]
	s_cbranch_vccnz .LBB519_10
; %bb.9:
	s_add_u32 s8, s8, s34
	s_addc_u32 s9, s9, s35
	s_load_dword s36, s[8:9], 0x0
	s_waitcnt lgkmcnt(0)
	s_mov_b64 s[30:31], s[36:37]
.LBB519_10:
	s_load_dwordx4 s[8:11], s[0:1], 0x48
	v_lshrrev_b32_e32 v5, 2, v40
	v_lshlrev_b32_e32 v6, 3, v38
	v_add_lshl_u32 v5, v6, v5, 4
	v_and_b32_e32 v6, 31, v0
	s_waitcnt lgkmcnt(0)
	s_ashr_i32 s11, s8, 31
	s_mul_hi_u32 s21, s30, s8
	s_mul_i32 s31, s31, s8
	s_mul_i32 s34, s30, s8
	;; [unrolled: 1-line block ×3, first 2 shown]
	s_add_i32 s8, s21, s8
	s_add_i32 s35, s8, s31
	s_lshl_b64 s[30:31], s[34:35], 1
	s_add_u32 s8, s16, s30
	s_addc_u32 s11, s17, s31
	s_lshl_b32 s36, s4, 8
	s_lshl_b64 s[16:17], s[36:37], 1
	s_add_u32 s16, s8, s16
	s_addc_u32 s17, s11, s17
	global_load_dwordx4 v[42:45], v5, s[16:17]
	s_mul_i32 s36, s4, s10
	s_waitcnt vmcnt(3)
	v_mad_i64_i32 v[4:5], s[16:17], v4, s9, 0
	s_lshl_b64 s[10:11], s[36:37], 1
	s_add_u32 s16, s10, s18
	s_addc_u32 s17, s11, s19
	v_lshl_add_u64 v[4:5], v[4:5], 1, s[16:17]
	v_lshlrev_b32_e32 v28, 4, v6
	v_mov_b32_e32 v29, 0
	v_lshl_add_u64 v[30:31], v[4:5], 0, v[28:29]
	global_load_dwordx4 v[4:7], v[30:31], off
	global_load_dwordx4 v[8:11], v[30:31], off offset:512
	global_load_dwordx4 v[12:15], v[30:31], off offset:1024
	;; [unrolled: 1-line block ×7, first 2 shown]
	s_waitcnt vmcnt(10)
	v_mul_hi_i32 v28, v3, s9
	s_add_u32 s10, s28, s10
	s_waitcnt vmcnt(9)
	v_mul_hi_i32 v30, v2, s9
	v_ashrrev_i32_e32 v32, 31, v28
	s_addc_u32 s11, s29, s11
	v_lshlrev_b32_e32 v28, 6, v40
	v_ashrrev_i32_e32 v33, 31, v30
	v_lshl_add_u64 v[30:31], s[10:11], 0, v[28:29]
	v_lshrrev_b32_e32 v28, 29, v32
	s_load_dword s0, s[0:1], 0x1c
	v_and_b32_e32 v56, -4, v34
	v_cmp_eq_u32_e32 vcc, 0, v38
	v_lshlrev_b32_e32 v57, 2, v0
	s_waitcnt vmcnt(7)
	v_mfma_f32_4x4x4_16b_bf16 a[0:3], v[42:43], v[4:5], 0 cbsz:4
	v_mad_i64_i32 v[4:5], s[10:11], v3, s9, v[28:29]
	s_nop 0
	v_mfma_f32_4x4x4_16b_bf16 a[0:3], v[44:45], v[6:7], a[0:3] cbsz:4
	v_lshrrev_b32_e32 v28, 29, v33
	v_mad_i64_i32 v[2:3], s[8:9], v2, s9, v[28:29]
	s_waitcnt vmcnt(6)
	v_mfma_f32_4x4x4_16b_bf16 a[0:3], v[42:43], v[8:9], a[0:3] cbsz:4 abid:1
	v_lshlrev_b64 v[4:5], 1, v[4:5]
	v_lshlrev_b64 v[28:29], 1, v[2:3]
	v_mfma_f32_4x4x4_16b_bf16 a[0:3], v[44:45], v[10:11], a[0:3] cbsz:4 abid:1
	v_and_b32_e32 v4, -16, v4
	v_and_b32_e32 v28, -16, v28
	s_waitcnt vmcnt(5)
	v_mfma_f32_4x4x4_16b_bf16 a[0:3], v[42:43], v[12:13], a[0:3] cbsz:4 abid:2
	v_lshl_add_u64 v[32:33], v[30:31], 0, v[4:5]
	v_lshl_add_u64 v[36:37], v[30:31], 0, v[28:29]
	v_mfma_f32_4x4x4_16b_bf16 a[0:3], v[44:45], v[14:15], a[0:3] cbsz:4 abid:2
	global_load_dwordx4 v[2:5], v[32:33], off
	global_load_dwordx4 v[6:9], v[32:33], off offset:16
	s_waitcnt vmcnt(6)
	v_mfma_f32_4x4x4_16b_bf16 a[0:3], v[42:43], v[16:17], a[0:3] cbsz:4 abid:3
	global_load_dwordx4 v[10:13], v[32:33], off offset:32
	global_load_dwordx4 v[14:17], v[32:33], off offset:48
	v_mfma_f32_4x4x4_16b_bf16 a[0:3], v[44:45], v[18:19], a[0:3] cbsz:4 abid:3
	v_cndmask_b32_e64 v39, 0, 1.0, vcc
	v_cmp_eq_u32_e32 vcc, 1, v38
	s_waitcnt vmcnt(7)
	v_mfma_f32_4x4x4_16b_bf16 a[0:3], v[42:43], v[20:21], a[0:3] cbsz:4 abid:4
	v_cndmask_b32_e64 v41, 0, 1.0, vcc
	s_nop 0
	v_mfma_f32_4x4x4_16b_bf16 a[0:3], v[44:45], v[22:23], a[0:3] cbsz:4 abid:4
	v_cmp_eq_u32_e32 vcc, 2, v38
	s_waitcnt vmcnt(6)
	v_mfma_f32_4x4x4_16b_bf16 a[0:3], v[42:43], v[24:25], a[0:3] cbsz:4 abid:5
	global_load_dwordx4 v[18:21], v[36:37], off
	global_load_dwordx4 v[22:25], v[36:37], off offset:16
	v_mfma_f32_4x4x4_16b_bf16 a[0:3], v[44:45], v[26:27], a[0:3] cbsz:4 abid:5
	global_load_dwordx4 v[26:29], v[36:37], off offset:32
	global_load_dwordx4 v[30:33], v[36:37], off offset:48
	s_waitcnt vmcnt(9)
	v_mfma_f32_4x4x4_16b_bf16 a[0:3], v[42:43], v[46:47], a[0:3] cbsz:4 abid:6
	v_cndmask_b32_e64 v54, 0, 1.0, vcc
	v_cmp_eq_u32_e32 vcc, 3, v38
	v_mfma_f32_4x4x4_16b_bf16 a[0:3], v[44:45], v[48:49], a[0:3] cbsz:4 abid:6
	v_mov_b32_e32 v46, 0xff7fffff
	v_cndmask_b32_e64 v55, 0, 1.0, vcc
	s_waitcnt vmcnt(8)
	v_mfma_f32_4x4x4_16b_bf16 a[0:3], v[42:43], v[50:51], a[0:3] cbsz:4 abid:7
	v_or_b32_e32 v42, 3, v34
	v_cmp_gt_i32_e32 vcc, s3, v56
	v_mfma_f32_4x4x4_16b_bf16 a[0:3], v[44:45], v[52:53], a[0:3] cbsz:4 abid:7
	v_and_or_b32 v43, v57, 48, v38
	v_cmp_gt_i32_e64 s[10:11], s3, v42
	s_nop 2
	v_accvgpr_read_b32 v35, a1
	v_accvgpr_read_b32 v34, a0
	s_waitcnt lgkmcnt(0)
	v_pk_mul_f32 v[34:35], s[0:1], v[34:35] op_sel_hi:[0,1]
	v_accvgpr_read_b32 v37, a3
	v_accvgpr_read_b32 v36, a2
	v_pk_mul_f32 v[36:37], s[0:1], v[36:37] op_sel_hi:[0,1]
	v_mfma_f32_4x4x1_16b_f32 a[0:3], v34, v39, 0
	v_or_b32_e32 v34, 1, v56
	s_nop 0
	v_mfma_f32_4x4x1_16b_f32 a[0:3], v35, v41, a[0:3]
	v_lshlrev_b32_e32 v39, 2, v43
	v_cmp_gt_i32_e64 s[0:1], s3, v34
	v_mfma_f32_4x4x1_16b_f32 a[0:3], v36, v54, a[0:3]
	v_or_b32_e32 v35, 2, v56
	v_cmp_gt_i32_e64 s[8:9], s3, v35
	v_mfma_f32_4x4x1_16b_f32 a[0:3], v37, v55, a[0:3]
	s_nop 3
	v_accvgpr_read_b32 v36, a0
	v_max_f32_e32 v41, v36, v36
	v_accvgpr_read_b32 v37, a1
	v_max_f32_e32 v41, 0xff7fffff, v41
	v_max_f32_e32 v45, v37, v37
	v_cndmask_b32_e32 v41, v46, v41, vcc
	v_accvgpr_read_b32 v43, a2
	v_max_f32_e32 v45, v41, v45
	v_max_f32_e32 v47, v43, v43
	v_cndmask_b32_e64 v34, v41, v45, s[0:1]
	v_accvgpr_read_b32 v44, a3
	v_max_f32_e32 v41, v34, v47
	v_max_f32_e32 v48, v44, v44
	v_cndmask_b32_e64 v34, v34, v41, s[8:9]
	v_max_f32_e32 v35, v34, v48
	v_cndmask_b32_e64 v34, v34, v35, s[10:11]
	;;#ASMSTART
	v_nop
 v_nop
 v_max_f32_dpp v34, v34, v34 row_ror:4
	;;#ASMEND
	s_nop 0
	;;#ASMSTART
	v_nop
 v_nop
 v_max_f32_dpp v34, v34, v34 row_ror:8
	;;#ASMEND
	ds_bpermute_b32 v34, v39, v34
	s_waitcnt lgkmcnt(0)
	;;#ASMSTART
	v_nop
 v_nop
 v_max_f32_dpp v34, v34, v34 row_ror:4
	;;#ASMEND
	s_nop 0
	;;#ASMSTART
	v_nop
 v_nop
 v_max_f32_dpp v41, v34, v34 row_ror:8
	;;#ASMEND
	s_nop 0
	v_sub_f32_e32 v34, v36, v41
	v_sub_f32_e32 v35, v37, v41
	v_mul_f32_e32 v34, 0x3fb8aa3b, v34
	v_sub_f32_e32 v36, v43, v41
	v_mul_f32_e32 v35, 0x3fb8aa3b, v35
	v_exp_f32_e32 v34, v34
	v_sub_f32_e32 v37, v44, v41
	v_mul_f32_e32 v36, 0x3fb8aa3b, v36
	v_exp_f32_e32 v35, v35
	v_mul_f32_e32 v37, 0x3fb8aa3b, v37
	v_exp_f32_e32 v36, v36
	v_exp_f32_e32 v37, v37
	v_cndmask_b32_e32 v34, 0, v34, vcc
	v_cndmask_b32_e64 v35, 0, v35, s[0:1]
	v_add_f32_e32 v42, 0, v34
	v_cndmask_b32_e64 v36, 0, v36, s[8:9]
	v_add_f32_e32 v42, v42, v35
	;; [unrolled: 2-line block ×3, first 2 shown]
	v_add_f32_e32 v42, v42, v37
	;;#ASMSTART
	v_nop
 v_nop
 v_add_f32_dpp v42, v42, v42 row_ror:4
	;;#ASMEND
	v_cmp_gt_u32_e32 vcc, 4, v40
	;;#ASMSTART
	v_nop
 v_nop
 v_add_f32_dpp v42, v42, v42 row_ror:8
	;;#ASMEND
	ds_bpermute_b32 v39, v39, v42
	s_waitcnt lgkmcnt(0)
	;;#ASMSTART
	v_nop
 v_nop
 v_add_f32_dpp v39, v39, v39 row_ror:4
	;;#ASMEND
	s_nop 0
	;;#ASMSTART
	v_nop
 v_nop
 v_add_f32_dpp v39, v39, v39 row_ror:8
	;;#ASMEND
	s_and_saveexec_b64 s[0:1], vcc
	s_cbranch_execz .LBB519_12
; %bb.11:
	v_mul_u32_u24_e32 v42, 20, v1
	v_lshl_add_u32 v42, v38, 2, v42
	v_add_u32_e32 v42, 0x800, v42
	ds_write2_b32 v42, v41, v39 offset0:128 offset1:148
.LBB519_12:
	s_or_b64 exec, exec, s[0:1]
.LBB519_13:
	s_or_b64 exec, exec, s[26:27]
	v_lshlrev_b32_e32 v39, 2, v38
	v_add_u32_e32 v39, 0x800, v39
	s_waitcnt lgkmcnt(0)
	s_barrier
	s_load_dword s0, s[24:25], 0x8
	ds_read2_b32 v[44:45], v39 offset0:128 offset1:133
	ds_read2_b32 v[46:47], v39 offset0:138 offset1:143
	s_mov_b32 s8, 0xff7fffff
	s_mul_i32 s1, s2, s5
	s_lshl_b32 s4, s4, 2
	s_waitcnt lgkmcnt(0)
	v_max3_f32 v42, v44, s8, v45
	s_mul_i32 s1, s1, s0
	v_max3_f32 v42, v42, v46, v47
	s_lshl_b32 s0, s1, 2
	s_mov_b32 s1, 0
	v_sub_f32_e32 v43, v44, v42
	v_sub_f32_e32 v44, v45, v42
	s_lshl_b64 s[2:3], s[0:1], 2
	ds_read2_b32 v[48:49], v39 offset0:148 offset1:153
	v_mul_f32_e32 v43, 0x3fb8aa3b, v43
	v_mul_f32_e32 v44, 0x3fb8aa3b, v44
	s_mov_b32 s21, s1
	s_add_u32 s1, s12, s2
	v_exp_f32_e32 v43, v43
	v_exp_f32_e32 v50, v44
	ds_read2_b32 v[44:45], v39 offset0:158 offset1:163
	v_sub_f32_e32 v39, v46, v42
	s_addc_u32 s10, s13, s3
	v_mul_f32_e32 v39, 0x3fb8aa3b, v39
	v_sub_f32_e32 v46, v47, v42
	s_add_u32 s8, s14, s2
	v_exp_f32_e32 v39, v39
	v_mul_f32_e32 v46, 0x3fb8aa3b, v46
	s_addc_u32 s9, s15, s3
	s_lshl_b64 s[2:3], s[20:21], 2
	v_exp_f32_e32 v46, v46
	s_add_u32 s8, s8, s2
	s_waitcnt lgkmcnt(1)
	v_fma_f32 v43, v43, v48, 0
	s_addc_u32 s9, s9, s3
	v_fmac_f32_e32 v43, v50, v49
	v_or_b32_e32 v38, s4, v38
	s_waitcnt lgkmcnt(0)
	v_fmac_f32_e32 v43, v39, v44
	s_add_u32 s2, s1, s2
	v_mul_lo_u32 v38, s5, v38
	v_mov_b32_e32 v39, 0
	v_fmac_f32_e32 v43, v46, v45
	s_addc_u32 s3, s10, s3
	v_lshlrev_b64 v[44:45], 2, v[38:39]
	v_lshl_add_u64 v[46:47], s[8:9], 0, v[44:45]
	v_lshl_add_u64 v[44:45], s[2:3], 0, v[44:45]
	v_mov_b32_e32 v38, v39
	global_store_dword v[46:47], v42, off
	global_store_dword v[44:45], v43, off
	s_and_saveexec_b64 s[2:3], s[6:7]
	s_cbranch_execz .LBB519_15
; %bb.14:
	v_add_f32_e32 v38, 0x358637bd, v43
	v_div_scale_f32 v39, s[6:7], v38, v38, 1.0
	v_rcp_f32_e32 v43, v39
	v_div_scale_f32 v44, vcc, 1.0, v38, 1.0
	v_sub_f32_e32 v41, v41, v42
	v_fma_f32 v45, -v39, v43, 1.0
	v_fmac_f32_e32 v43, v45, v43
	v_mul_f32_e32 v45, v44, v43
	v_fma_f32 v46, -v39, v45, v44
	v_mul_f32_e32 v41, 0x3fb8aa3b, v41
	v_fmac_f32_e32 v45, v46, v43
	v_exp_f32_e32 v41, v41
	v_fma_f32 v39, -v39, v45, v44
	v_div_fmas_f32 v39, v39, v43, v45
	v_div_fixup_f32 v38, v39, v38, 1.0
	v_mul_f32_e32 v38, v41, v38
	v_pk_mul_f32 v[34:35], v[34:35], v[38:39] op_sel_hi:[1,0]
	v_pk_mul_f32 v[36:37], v[36:37], v[38:39] op_sel_hi:[1,0]
	v_bfe_u32 v38, v35, 16, 1
	v_bfe_u32 v39, v34, 16, 1
	s_movk_i32 s1, 0x7fff
	v_add3_u32 v34, v34, v39, s1
	v_add3_u32 v35, v35, v38, s1
	s_mov_b32 s6, 0x7060302
	v_perm_b32 v34, v35, v34, s6
	v_bfe_u32 v35, v37, 16, 1
	v_bfe_u32 v38, v36, 16, 1
	v_add3_u32 v36, v36, v38, s1
	v_add3_u32 v35, v37, v35, s1
	v_perm_b32 v35, v35, v36, s6
	s_waitcnt vmcnt(9)
	s_nop 0
	v_mfma_f32_4x4x4_16b_bf16 a[0:3], v[34:35], v[2:3], 0 cbsz:4
	s_nop 1
	v_mfma_f32_4x4x4_16b_bf16 a[0:3], v[34:35], v[4:5], a[0:3] cbsz:4 abid:1
	s_waitcnt vmcnt(8)
	s_nop 0
	v_mfma_f32_4x4x4_16b_bf16 a[0:3], v[34:35], v[6:7], a[0:3] cbsz:4 abid:2
	s_nop 1
	v_mfma_f32_4x4x4_16b_bf16 a[0:3], v[34:35], v[8:9], a[0:3] cbsz:4 abid:3
	s_waitcnt vmcnt(7)
	s_nop 0
	v_mfma_f32_4x4x4_16b_bf16 a[0:3], v[34:35], v[10:11], a[0:3] cbsz:4 abid:4
	;; [unrolled: 5-line block ×7, first 2 shown]
	s_nop 1
	v_mfma_f32_4x4x4_16b_bf16 a[0:3], v[34:35], v[32:33], a[0:3] cbsz:4 abid:15
	s_nop 4
	v_accvgpr_read_b32 v5, a1
	v_accvgpr_read_b32 v2, a2
	;; [unrolled: 1-line block ×4, first 2 shown]
	v_bfe_u32 v6, v5, 16, 1
	v_bfe_u32 v7, v4, 16, 1
	;; [unrolled: 1-line block ×3, first 2 shown]
	v_add3_u32 v5, v5, v6, s1
	v_bfe_u32 v6, v2, 16, 1
	v_add3_u32 v4, v4, v7, s1
	v_add3_u32 v2, v2, v6, s1
	;; [unrolled: 1-line block ×3, first 2 shown]
	v_perm_b32 v39, v3, v2, s6
	v_perm_b32 v38, v5, v4, s6
.LBB519_15:
	s_or_b64 exec, exec, s[2:3]
	v_lshlrev_b32_e32 v1, 3, v1
	v_mad_u32_u24 v1, v40, 40, v1
	v_cmp_gt_u32_e32 vcc, 64, v0
	ds_write_b64 v1, v[38:39]
	s_waitcnt lgkmcnt(0)
	s_barrier
	s_and_saveexec_b64 s[2:3], vcc
	s_cbranch_execz .LBB519_17
; %bb.16:
	v_mul_u32_u24_e32 v1, 40, v40
	s_waitcnt vmcnt(9)
	ds_read2_b64 v[2:5], v1 offset1:1
	s_waitcnt vmcnt(8)
	ds_read2_b64 v[6:9], v1 offset0:2 offset1:3
	s_mov_b32 s1, 0
	s_lshl_b32 s0, s0, 6
	s_lshl_b64 s[2:3], s[0:1], 1
	s_waitcnt lgkmcnt(1)
	v_lshlrev_b32_e32 v1, 16, v2
	v_and_b32_e32 v2, 0xffff0000, v2
	v_add_f32_e32 v1, 0, v1
	v_add_f32_e32 v2, 0, v2
	s_waitcnt vmcnt(7)
	v_lshlrev_b32_e32 v10, 16, v3
	v_and_b32_e32 v3, 0xffff0000, v3
	v_and_b32_e32 v1, 0xffff0000, v1
	;; [unrolled: 1-line block ×3, first 2 shown]
	v_add_f32_e32 v3, 0, v3
	v_lshlrev_b32_e32 v11, 16, v4
	v_and_b32_e32 v4, 0xffff0000, v4
	v_add_f32_e32 v10, 0, v10
	v_and_b32_e32 v3, 0xffff0000, v3
	v_add_f32_e32 v1, v1, v11
	v_add_f32_e32 v2, v2, v4
	v_lshlrev_b32_e32 v4, 16, v5
	v_and_b32_e32 v5, 0xffff0000, v5
	v_and_b32_e32 v10, 0xffff0000, v10
	;; [unrolled: 1-line block ×3, first 2 shown]
	v_add_f32_e32 v3, v3, v5
	s_waitcnt lgkmcnt(0)
	v_lshlrev_b32_e32 v5, 16, v6
	v_and_b32_e32 v2, 0xffff0000, v2
	v_add_f32_e32 v4, v10, v4
	v_add_f32_e32 v1, v1, v5
	v_and_b32_e32 v5, 0xffff0000, v6
	v_and_b32_e32 v4, 0xffff0000, v4
	v_add_f32_e32 v2, v2, v5
	v_lshlrev_b32_e32 v5, 16, v7
	s_add_u32 s2, s22, s2
	v_and_b32_e32 v3, 0xffff0000, v3
	v_add_f32_e32 v4, v4, v5
	v_and_b32_e32 v5, 0xffff0000, v7
	s_addc_u32 s3, s23, s3
	s_lshl_b32 s0, s20, 6
	v_and_b32_e32 v1, 0xffff0000, v1
	v_add_f32_e32 v3, v3, v5
	v_lshlrev_b32_e32 v5, 16, v8
	s_lshl_b64 s[0:1], s[0:1], 1
	v_and_b32_e32 v2, 0xffff0000, v2
	v_add_f32_e32 v1, v1, v5
	v_and_b32_e32 v5, 0xffff0000, v8
	s_add_u32 s0, s2, s0
	v_and_b32_e32 v4, 0xffff0000, v4
	v_add_f32_e32 v6, v2, v5
	v_lshlrev_b32_e32 v2, 16, v9
	s_addc_u32 s1, s3, s1
	s_lshl_b32 s2, s5, 6
	v_and_b32_e32 v3, 0xffff0000, v3
	v_add_f32_e32 v7, v4, v2
	v_and_b32_e32 v2, 0xffff0000, v9
	s_mul_i32 s3, s2, s4
	v_add_f32_e32 v8, v3, v2
	v_or_b32_e32 v2, s3, v0
	v_mov_b32_e32 v3, 0
	s_add_i32 s3, s3, s2
	v_lshl_add_u64 v[4:5], v[2:3], 1, s[0:1]
	v_or_b32_e32 v2, s3, v0
	s_add_i32 s3, s3, s2
	global_store_short_d16_hi v[4:5], v1, off
	v_lshl_add_u64 v[4:5], v[2:3], 1, s[0:1]
	v_or_b32_e32 v2, s3, v0
	s_add_i32 s3, s3, s2
	global_store_short_d16_hi v[4:5], v6, off
	v_lshl_add_u64 v[4:5], v[2:3], 1, s[0:1]
	v_or_b32_e32 v2, s3, v0
	v_lshl_add_u64 v[0:1], v[2:3], 1, s[0:1]
	global_store_short_d16_hi v[4:5], v7, off
	global_store_short_d16_hi v[0:1], v8, off
.LBB519_17:
	s_endpgm
.LBB519_18:
	s_mov_b64 s[12:13], 0
                                        ; implicit-def: $sgpr30_sgpr31
	s_branch .LBB519_2
	.section	.rodata,"a",@progbits
	.p2align	6, 0x0
	.amdhsa_kernel _Z38paged_attention_ll4mi_QKV_mfma4_kernelI14__hip_bfloat16S0_LN4vllm18Fp8KVCacheDataTypeE0EhLi32ELi64ELi256ELb0ELi4EEvPKT_PKT0_S8_ifPKiSA_SA_iPKfiiiPfSD_PS3_PT2_iSC_SC_
		.amdhsa_group_segment_fixed_size 2720
		.amdhsa_private_segment_fixed_size 0
		.amdhsa_kernarg_size 400
		.amdhsa_user_sgpr_count 2
		.amdhsa_user_sgpr_dispatch_ptr 0
		.amdhsa_user_sgpr_queue_ptr 0
		.amdhsa_user_sgpr_kernarg_segment_ptr 1
		.amdhsa_user_sgpr_dispatch_id 0
		.amdhsa_user_sgpr_kernarg_preload_length 0
		.amdhsa_user_sgpr_kernarg_preload_offset 0
		.amdhsa_user_sgpr_private_segment_size 0
		.amdhsa_uses_dynamic_stack 0
		.amdhsa_enable_private_segment 0
		.amdhsa_system_sgpr_workgroup_id_x 1
		.amdhsa_system_sgpr_workgroup_id_y 1
		.amdhsa_system_sgpr_workgroup_id_z 1
		.amdhsa_system_sgpr_workgroup_info 0
		.amdhsa_system_vgpr_workitem_id 0
		.amdhsa_next_free_vgpr 64
		.amdhsa_next_free_sgpr 38
		.amdhsa_accum_offset 60
		.amdhsa_reserve_vcc 1
		.amdhsa_float_round_mode_32 0
		.amdhsa_float_round_mode_16_64 0
		.amdhsa_float_denorm_mode_32 3
		.amdhsa_float_denorm_mode_16_64 3
		.amdhsa_dx10_clamp 1
		.amdhsa_ieee_mode 1
		.amdhsa_fp16_overflow 0
		.amdhsa_tg_split 0
		.amdhsa_exception_fp_ieee_invalid_op 0
		.amdhsa_exception_fp_denorm_src 0
		.amdhsa_exception_fp_ieee_div_zero 0
		.amdhsa_exception_fp_ieee_overflow 0
		.amdhsa_exception_fp_ieee_underflow 0
		.amdhsa_exception_fp_ieee_inexact 0
		.amdhsa_exception_int_div_zero 0
	.end_amdhsa_kernel
	.section	.text._Z38paged_attention_ll4mi_QKV_mfma4_kernelI14__hip_bfloat16S0_LN4vllm18Fp8KVCacheDataTypeE0EhLi32ELi64ELi256ELb0ELi4EEvPKT_PKT0_S8_ifPKiSA_SA_iPKfiiiPfSD_PS3_PT2_iSC_SC_,"axG",@progbits,_Z38paged_attention_ll4mi_QKV_mfma4_kernelI14__hip_bfloat16S0_LN4vllm18Fp8KVCacheDataTypeE0EhLi32ELi64ELi256ELb0ELi4EEvPKT_PKT0_S8_ifPKiSA_SA_iPKfiiiPfSD_PS3_PT2_iSC_SC_,comdat
.Lfunc_end519:
	.size	_Z38paged_attention_ll4mi_QKV_mfma4_kernelI14__hip_bfloat16S0_LN4vllm18Fp8KVCacheDataTypeE0EhLi32ELi64ELi256ELb0ELi4EEvPKT_PKT0_S8_ifPKiSA_SA_iPKfiiiPfSD_PS3_PT2_iSC_SC_, .Lfunc_end519-_Z38paged_attention_ll4mi_QKV_mfma4_kernelI14__hip_bfloat16S0_LN4vllm18Fp8KVCacheDataTypeE0EhLi32ELi64ELi256ELb0ELi4EEvPKT_PKT0_S8_ifPKiSA_SA_iPKfiiiPfSD_PS3_PT2_iSC_SC_
                                        ; -- End function
	.section	.AMDGPU.csdata,"",@progbits
; Kernel info:
; codeLenInByte = 3280
; NumSgprs: 44
; NumVgprs: 58
; NumAgprs: 4
; TotalNumVgprs: 64
; ScratchSize: 0
; MemoryBound: 0
; FloatMode: 240
; IeeeMode: 1
; LDSByteSize: 2720 bytes/workgroup (compile time only)
; SGPRBlocks: 5
; VGPRBlocks: 7
; NumSGPRsForWavesPerEU: 44
; NumVGPRsForWavesPerEU: 64
; AccumOffset: 60
; Occupancy: 8
; WaveLimiterHint : 1
; COMPUTE_PGM_RSRC2:SCRATCH_EN: 0
; COMPUTE_PGM_RSRC2:USER_SGPR: 2
; COMPUTE_PGM_RSRC2:TRAP_HANDLER: 0
; COMPUTE_PGM_RSRC2:TGID_X_EN: 1
; COMPUTE_PGM_RSRC2:TGID_Y_EN: 1
; COMPUTE_PGM_RSRC2:TGID_Z_EN: 1
; COMPUTE_PGM_RSRC2:TIDIG_COMP_CNT: 0
; COMPUTE_PGM_RSRC3_GFX90A:ACCUM_OFFSET: 14
; COMPUTE_PGM_RSRC3_GFX90A:TG_SPLIT: 0
	.section	.text._Z39paged_attention_ll4mi_QKV_mfma16_kernelI14__hip_bfloat16S0_LN4vllm18Fp8KVCacheDataTypeE0EhLi32ELi64ELi256ELb0ELi5EEvPKT_PKT0_S8_ifPKiSA_SA_iPKfiiiPfSD_PS3_PT2_iSC_SC_,"axG",@progbits,_Z39paged_attention_ll4mi_QKV_mfma16_kernelI14__hip_bfloat16S0_LN4vllm18Fp8KVCacheDataTypeE0EhLi32ELi64ELi256ELb0ELi5EEvPKT_PKT0_S8_ifPKiSA_SA_iPKfiiiPfSD_PS3_PT2_iSC_SC_,comdat
	.protected	_Z39paged_attention_ll4mi_QKV_mfma16_kernelI14__hip_bfloat16S0_LN4vllm18Fp8KVCacheDataTypeE0EhLi32ELi64ELi256ELb0ELi5EEvPKT_PKT0_S8_ifPKiSA_SA_iPKfiiiPfSD_PS3_PT2_iSC_SC_ ; -- Begin function _Z39paged_attention_ll4mi_QKV_mfma16_kernelI14__hip_bfloat16S0_LN4vllm18Fp8KVCacheDataTypeE0EhLi32ELi64ELi256ELb0ELi5EEvPKT_PKT0_S8_ifPKiSA_SA_iPKfiiiPfSD_PS3_PT2_iSC_SC_
	.globl	_Z39paged_attention_ll4mi_QKV_mfma16_kernelI14__hip_bfloat16S0_LN4vllm18Fp8KVCacheDataTypeE0EhLi32ELi64ELi256ELb0ELi5EEvPKT_PKT0_S8_ifPKiSA_SA_iPKfiiiPfSD_PS3_PT2_iSC_SC_
	.p2align	8
	.type	_Z39paged_attention_ll4mi_QKV_mfma16_kernelI14__hip_bfloat16S0_LN4vllm18Fp8KVCacheDataTypeE0EhLi32ELi64ELi256ELb0ELi5EEvPKT_PKT0_S8_ifPKiSA_SA_iPKfiiiPfSD_PS3_PT2_iSC_SC_,@function
_Z39paged_attention_ll4mi_QKV_mfma16_kernelI14__hip_bfloat16S0_LN4vllm18Fp8KVCacheDataTypeE0EhLi32ELi64ELi256ELb0ELi5EEvPKT_PKT0_S8_ifPKiSA_SA_iPKfiiiPfSD_PS3_PT2_iSC_SC_: ; @_Z39paged_attention_ll4mi_QKV_mfma16_kernelI14__hip_bfloat16S0_LN4vllm18Fp8KVCacheDataTypeE0EhLi32ELi64ELi256ELb0ELi5EEvPKT_PKT0_S8_ifPKiSA_SA_iPKfiiiPfSD_PS3_PT2_iSC_SC_
; %bb.0:
	s_load_dwordx2 s[6:7], s[0:1], 0x30
	s_mov_b32 s28, s3
	s_mov_b64 s[10:11], 0
	s_waitcnt lgkmcnt(0)
	s_cmp_lg_u64 s[6:7], 0
	s_cselect_b64 s[8:9], -1, 0
	s_and_b64 vcc, exec, s[8:9]
	s_cbranch_vccz .LBB520_7
; %bb.1:
	s_add_i32 s12, s2, 1
	s_mov_b32 s13, 0
	s_lshl_b64 s[14:15], s[12:13], 2
	s_add_u32 s14, s6, s14
	s_mov_b32 s3, s13
	s_addc_u32 s15, s7, s15
	s_lshl_b64 s[12:13], s[2:3], 2
	s_add_u32 s12, s6, s12
	s_addc_u32 s13, s7, s13
	s_load_dword s5, s[14:15], 0x0
	s_load_dword s16, s[12:13], 0x0
	s_waitcnt lgkmcnt(0)
	s_sub_i32 s5, s5, s16
	s_cmp_eq_u32 s5, 1
	s_cselect_b64 s[12:13], -1, 0
	s_andn2_b64 vcc, exec, s[10:11]
	s_cbranch_vccnz .LBB520_3
.LBB520_2:
	s_mov_b32 s3, 0
	s_mov_b64 s[12:13], -1
.LBB520_3:
	s_andn2_b64 vcc, exec, s[12:13]
	s_cbranch_vccnz .LBB520_20
; %bb.4:
	s_load_dwordx2 s[12:13], s[0:1], 0x28
	s_lshl_b64 s[10:11], s[2:3], 2
	s_waitcnt lgkmcnt(0)
	s_add_u32 s12, s12, s10
	s_addc_u32 s13, s13, s11
	s_load_dword s33, s[12:13], 0x0
	s_lshl_b32 s14, s28, 8
	s_waitcnt lgkmcnt(0)
	s_cmp_ge_i32 s14, s33
	s_cbranch_scc1 .LBB520_20
; %bb.5:
	s_load_dwordx2 s[12:13], s[0:1], 0x20
	s_load_dword s5, s[0:1], 0x38
	s_add_i32 s15, s33, 31
	s_ashr_i32 s16, s15, 31
	v_and_b32_e32 v1, 0xcf, v0
	s_lshr_b32 s16, s16, 27
	v_add_u32_e32 v1, s14, v1
	s_add_i32 s15, s15, s16
	v_ashrrev_i32_e32 v2, 31, v1
	s_ashr_i32 s15, s15, 5
	v_lshrrev_b32_e32 v10, 27, v2
	s_add_i32 s15, s15, -1
	s_waitcnt lgkmcnt(0)
	s_mul_i32 s16, s2, s5
	s_mov_b32 s17, 0
	v_add_u32_e32 v2, v1, v10
	s_lshl_b64 s[16:17], s[16:17], 2
	v_ashrrev_i32_e32 v2, 5, v2
	v_mov_b32_e32 v11, s15
	v_cmp_gt_i32_e32 vcc, s33, v1
	s_add_u32 s12, s12, s16
	s_addc_u32 s13, s13, s17
	v_cndmask_b32_e32 v2, v11, v2, vcc
	v_ashrrev_i32_e32 v3, 31, v2
	v_lshl_add_u64 v[4:5], v[2:3], 2, s[12:13]
	v_or_b32_e32 v2, 16, v1
	v_add_u32_e32 v3, v2, v10
	v_ashrrev_i32_e32 v3, 5, v3
	v_cmp_gt_i32_e32 vcc, s33, v2
	s_nop 1
	v_cndmask_b32_e32 v2, v11, v3, vcc
	v_ashrrev_i32_e32 v3, 31, v2
	v_lshl_add_u64 v[6:7], v[2:3], 2, s[12:13]
	v_or_b32_e32 v2, 32, v1
	v_add_u32_e32 v3, v2, v10
	v_ashrrev_i32_e32 v3, 5, v3
	v_cmp_gt_i32_e32 vcc, s33, v2
	v_or_b32_e32 v1, 48, v1
	s_nop 0
	v_cndmask_b32_e32 v2, v11, v3, vcc
	v_ashrrev_i32_e32 v3, 31, v2
	v_lshl_add_u64 v[8:9], v[2:3], 2, s[12:13]
	v_add_u32_e32 v2, v1, v10
	v_ashrrev_i32_e32 v2, 5, v2
	v_cmp_gt_i32_e32 vcc, s33, v1
	s_nop 1
	v_cndmask_b32_e32 v2, v11, v2, vcc
	v_ashrrev_i32_e32 v3, 31, v2
	v_lshl_add_u64 v[12:13], v[2:3], 2, s[12:13]
	global_load_dword v3, v[4:5], off
	global_load_dword v2, v[6:7], off
	;; [unrolled: 1-line block ×4, first 2 shown]
	s_andn2_b64 vcc, exec, s[8:9]
	s_cbranch_vccnz .LBB520_8
; %bb.6:
	s_add_u32 s6, s6, s10
	s_addc_u32 s7, s7, s11
	s_load_dword s5, s[6:7], 0x0
	s_branch .LBB520_9
.LBB520_7:
	s_mov_b64 s[12:13], 0
	s_branch .LBB520_2
.LBB520_8:
	s_mov_b32 s5, s2
.LBB520_9:
	s_load_dwordx4 s[8:11], s[0:1], 0x8
	s_load_dwordx4 s[44:47], s[0:1], 0x48
	v_lshrrev_b32_e32 v1, 6, v0
	v_bfe_u32 v54, v0, 4, 2
	v_lshl_or_b32 v4, v1, 2, v54
	v_and_b32_e32 v36, 15, v0
	v_cmp_lt_u32_e32 vcc, 4, v4
	v_cmp_lt_u32_e64 s[6:7], 7, v36
	v_lshlrev_b32_e32 v34, 3, v36
	v_cmp_gt_u32_e64 s[30:31], 8, v36
	s_or_b64 s[6:7], s[6:7], vcc
	s_and_saveexec_b64 s[16:17], s[6:7]
	s_xor_b64 s[6:7], exec, s[16:17]
; %bb.10:
	v_mov_b32_e32 v35, 0
                                        ; implicit-def: $vgpr4
; %bb.11:
	s_or_saveexec_b64 s[6:7], s[6:7]
	v_and_b32_e32 v37, 63, v0
	s_mul_i32 s42, s4, 5
	s_xor_b64 exec, exec, s[6:7]
	s_cbranch_execz .LBB520_13
; %bb.12:
	s_load_dwordx2 s[16:17], s[0:1], 0x0
	s_waitcnt lgkmcnt(0)
	s_ashr_i32 s18, s44, 31
	s_mul_hi_u32 s19, s5, s44
	s_mul_i32 s18, s5, s18
	s_add_i32 s19, s19, s18
	s_mul_i32 s18, s5, s44
	s_lshl_b64 s[18:19], s[18:19], 1
	s_add_u32 s16, s16, s18
	v_add_lshl_u32 v6, v4, s42, 6
	s_addc_u32 s17, s17, s19
	v_ashrrev_i32_e32 v7, 31, v6
	v_mov_b32_e32 v35, 0
	v_lshl_add_u64 v[6:7], v[6:7], 1, s[16:17]
	v_lshlrev_b32_e32 v8, 1, v34
	v_mov_b32_e32 v9, v35
	v_lshl_add_u64 v[6:7], v[6:7], 0, v[8:9]
	global_load_dwordx4 v[6:9], v[6:7], off
	v_and_b32_e32 v5, 3, v0
	v_lshlrev_b32_e32 v11, 9, v36
	v_lshlrev_b32_e32 v4, 5, v4
	;; [unrolled: 1-line block ×3, first 2 shown]
	v_and_b32_e32 v11, 0x1800, v11
	v_or3_b32 v4, v11, v5, v4
	s_waitcnt vmcnt(0)
	ds_write_b128 v4, v[6:9]
.LBB520_13:
	s_or_b64 exec, exec, s[6:7]
	s_waitcnt lgkmcnt(0)
	s_mul_i32 s4, s4, s46
	s_mov_b32 s5, 0
	s_lshl_b64 s[4:5], s[4:5], 1
	s_add_u32 s8, s8, s4
	s_addc_u32 s9, s9, s5
	s_waitcnt vmcnt(3)
	v_mad_i64_i32 v[4:5], s[16:17], v3, s45, 0
	v_lshl_add_u64 v[4:5], v[4:5], 1, s[8:9]
	v_lshlrev_b64 v[12:13], 1, v[34:35]
	v_lshlrev_b32_e32 v38, 9, v54
	v_lshl_add_u64 v[4:5], v[4:5], 0, v[12:13]
	v_mov_b32_e32 v39, 0
	v_lshl_add_u64 v[14:15], v[4:5], 0, v[38:39]
	s_waitcnt vmcnt(2)
	v_mad_i64_i32 v[2:3], s[16:17], v2, s45, 0
	v_mov_b32_e32 v4, 0x100
	v_lshl_add_u64 v[2:3], v[2:3], 1, s[8:9]
	v_lshl_or_b32 v30, v36, 4, v4
	v_mov_b32_e32 v31, v39
	s_load_dword s29, s[0:1], 0x98
	s_load_dword s6, s[0:1], 0x1c
	s_waitcnt lgkmcnt(0)
	s_barrier
	v_lshl_add_u64 v[2:3], v[2:3], 0, v[30:31]
	global_load_dwordx4 v[6:9], v[14:15], off
	global_load_dwordx4 v[22:25], v[14:15], off offset:2048
	v_lshl_add_u64 v[18:19], v[2:3], 0, v[38:39]
	global_load_dwordx4 v[2:5], v[18:19], off
	global_load_dwordx4 v[26:29], v[18:19], off offset:2048
	s_waitcnt vmcnt(5)
	v_mad_i64_i32 v[10:11], s[16:17], v10, s45, 0
	v_lshl_add_u64 v[10:11], v[10:11], 1, s[8:9]
	v_lshl_add_u64 v[10:11], v[10:11], 0, v[12:13]
	;; [unrolled: 1-line block ×3, first 2 shown]
	global_load_dwordx4 v[10:13], v[32:33], off
	v_mul_lo_u16_e32 v20, 52, v36
	v_mov_b32_e32 v21, 5
	s_waitcnt vmcnt(5)
	v_mad_i64_i32 v[16:17], s[16:17], v16, s45, 0
	v_mul_lo_u16_sdwa v14, v20, v21 dst_sel:DWORD dst_unused:UNUSED_PAD src0_sel:BYTE_1 src1_sel:DWORD
	v_sub_u16_e32 v14, v36, v14
	v_lshl_add_u64 v[40:41], v[16:17], 1, s[8:9]
	v_and_b32_e32 v14, 0xff, v14
	v_lshl_add_u64 v[30:31], v[40:41], 0, v[30:31]
	v_lshl_add_u32 v14, v14, 5, v38
	v_lshl_add_u64 v[40:41], v[30:31], 0, v[38:39]
	ds_read_b128 v[18:21], v14
	ds_read_b128 v[14:17], v14 offset:2048
	global_load_dwordx4 v[30:33], v[32:33], off offset:2048
	s_ashr_i32 s7, s14, 31
	global_load_dwordx4 v[46:49], v[40:41], off
	global_load_dwordx4 v[60:63], v[40:41], off offset:2048
	v_and_or_b32 v55, v0, 48, s14
	s_lshr_b32 s7, s7, 27
	v_add_u32_e32 v42, s7, v55
	v_mov_b32_e32 v64, s15
	v_or_b32_e32 v50, 64, v55
	v_ashrrev_i32_e32 v38, 5, v42
	v_cmp_gt_i32_e32 vcc, s33, v55
	v_add_u32_e32 v43, s7, v50
	v_ashrrev_i32_e32 v51, 5, v43
	v_cndmask_b32_e32 v42, v64, v38, vcc
	v_ashrrev_i32_e32 v43, 31, v42
	v_lshl_add_u64 v[42:43], v[42:43], 2, s[12:13]
	v_cmp_gt_i32_e32 vcc, s33, v50
	global_load_dword v65, v[42:43], off
	v_or_b32_e32 v40, 0x80, v55
	v_and_b32_e32 v38, 16, v0
	s_add_u32 s4, s10, s4
	v_lshlrev_b32_e32 v41, 6, v36
	s_addc_u32 s5, s11, s5
	v_lshlrev_b32_e32 v38, 1, v38
	s_mov_b32 s43, 0xff7fffff
	s_waitcnt vmcnt(8) lgkmcnt(1)
	v_mfma_f32_16x16x16_bf16 v[42:45], v[6:7], v[18:19], 0
	v_cndmask_b32_e32 v6, v64, v51, vcc
	v_ashrrev_i32_e32 v7, 31, v6
	v_cmp_gt_i32_e32 vcc, s33, v40
	s_waitcnt vmcnt(6)
	v_mfma_f32_16x16x16_bf16 v[50:53], v[2:3], v[18:19], 0
	v_lshl_add_u64 v[2:3], v[6:7], 2, s[12:13]
	global_load_dword v66, v[2:3], off
	v_mfma_f32_16x16x16_bf16 v[6:9], v[8:9], v[20:21], v[42:45]
	v_mfma_f32_16x16x16_bf16 v[2:5], v[4:5], v[20:21], v[50:53]
	s_nop 1
	v_or_b32_e32 v42, 0xc0, v55
	v_add_u32_e32 v43, s7, v40
	v_add_u32_e32 v44, s7, v42
	s_waitcnt lgkmcnt(0)
	v_mfma_f32_16x16x16_bf16 v[6:9], v[22:23], v[14:15], v[6:9]
	v_ashrrev_i32_e32 v43, 5, v43
	v_ashrrev_i32_e32 v44, 5, v44
	v_cndmask_b32_e32 v40, v64, v43, vcc
	s_waitcnt vmcnt(5)
	v_mfma_f32_16x16x16_bf16 v[56:59], v[10:11], v[18:19], 0
	v_cmp_gt_i32_e32 vcc, s33, v42
	v_mfma_f32_16x16x16_bf16 v[2:5], v[26:27], v[14:15], v[2:5]
	s_nop 0
	v_cndmask_b32_e32 v42, v64, v44, vcc
	v_lshl_add_u64 v[44:45], s[4:5], 0, v[38:39]
	v_lshl_or_b32 v38, v1, 10, v41
	v_ashrrev_i32_e32 v41, 31, v40
	v_mfma_f32_16x16x16_bf16 v[22:25], v[24:25], v[16:17], v[6:9]
	v_ashrrev_i32_e32 v43, 31, v42
	s_nop 1
	v_lshl_add_u64 v[6:7], v[40:41], 2, s[12:13]
	v_mfma_f32_16x16x16_bf16 v[10:13], v[12:13], v[20:21], v[56:59]
	s_nop 1
	v_pk_mul_f32 v[50:51], s[6:7], v[24:25] op_sel_hi:[0,1]
	v_mfma_f32_16x16x16_bf16 v[26:29], v[28:29], v[16:17], v[2:5]
	s_nop 2
	v_lshl_add_u64 v[2:3], v[42:43], 2, s[12:13]
	global_load_dword v55, v[6:7], off
	global_load_dword v58, v[2:3], off
	s_waitcnt vmcnt(6)
	v_mfma_f32_16x16x16_bf16 v[2:5], v[30:31], v[14:15], v[10:13]
	s_waitcnt vmcnt(3)
	v_mad_i64_i32 v[6:7], s[4:5], v65, s45, 0
	v_pk_mul_f32 v[42:43], s[6:7], v[26:27] op_sel_hi:[0,1]
	v_lshl_add_u64 v[10:11], v[44:45], 0, v[38:39]
	v_mfma_f32_16x16x16_bf16 v[38:41], v[46:47], v[18:19], 0
	v_pk_mul_f32 v[52:53], s[6:7], v[28:29] op_sel_hi:[0,1]
	s_waitcnt vmcnt(2)
	v_mad_i64_i32 v[12:13], s[4:5], v66, s45, 0
	v_mfma_f32_16x16x16_bf16 v[18:21], v[48:49], v[20:21], v[38:41]
	v_lshl_add_u64 v[56:57], v[12:13], 1, v[10:11]
	v_pk_mul_f32 v[12:13], s[6:7], v[22:23] op_sel_hi:[0,1]
	v_mfma_f32_16x16x16_bf16 v[18:21], v[60:61], v[14:15], v[18:21]
	v_mfma_f32_16x16x16_bf16 v[30:33], v[32:33], v[16:17], v[2:5]
	;; [unrolled: 1-line block ×3, first 2 shown]
	s_nop 1
	v_lshl_add_u64 v[2:3], v[6:7], 1, v[10:11]
	s_nop 2
	v_pk_mul_f32 v[46:47], s[6:7], v[30:31] op_sel_hi:[0,1]
	v_pk_mul_f32 v[48:49], s[6:7], v[32:33] op_sel_hi:[0,1]
	global_load_dwordx4 v[6:9], v[2:3], off
	s_nop 0
	global_load_dwordx4 v[2:5], v[2:3], off offset:16
	v_pk_mul_f32 v[44:45], s[6:7], v[14:15] op_sel_hi:[0,1]
	v_and_b32_e32 v14, 0xc0, v0
	v_add_u32_e32 v14, s14, v14
	v_lshl_or_b32 v14, v54, 2, v14
	v_pk_mul_f32 v[38:39], s[6:7], v[16:17] op_sel_hi:[0,1]
	v_or_b32_e32 v17, 1, v14
	v_mov_b32_e32 v15, 0xff7fffff
	v_cmp_gt_i32_e64 s[4:5], s33, v14
	v_cmp_gt_i32_e64 s[34:35], s33, v17
	v_or_b32_e32 v18, 3, v14
	v_cndmask_b32_e64 v16, v15, v12, s[4:5]
	v_cndmask_b32_e64 v17, v15, v13, s[34:35]
	v_max3_f32 v16, v16, s43, v17
	v_or_b32_e32 v17, 2, v14
	v_cmp_gt_i32_e64 s[36:37], s33, v17
	v_cmp_gt_i32_e64 s[38:39], s33, v18
	global_load_dwordx4 v[30:33], v[56:57], off
	global_load_dwordx4 v[26:29], v[56:57], off offset:16
	v_cndmask_b32_e64 v17, v15, v50, s[36:37]
	v_cndmask_b32_e64 v18, v15, v51, s[38:39]
	v_max3_f32 v16, v16, v17, v18
	v_or_b32_e32 v17, 16, v14
	v_or_b32_e32 v18, 17, v14
	v_cmp_gt_i32_e64 s[24:25], s33, v17
	v_cmp_gt_i32_e64 s[26:27], s33, v18
	s_nop 0
	v_cndmask_b32_e64 v17, v15, v42, s[24:25]
	v_cndmask_b32_e64 v18, v15, v43, s[26:27]
	v_max3_f32 v16, v16, v17, v18
	v_or_b32_e32 v17, 18, v14
	v_or_b32_e32 v18, 19, v14
	v_cmp_gt_i32_e64 s[20:21], s33, v17
	v_cmp_gt_i32_e64 s[22:23], s33, v18
	s_nop 0
	;; [unrolled: 8-line block ×5, first 2 shown]
	v_cndmask_b32_e64 v17, v15, v44, s[8:9]
	v_cndmask_b32_e64 v18, v15, v45, s[10:11]
	v_max3_f32 v16, v16, v17, v18
	v_or_b32_e32 v17, 50, v14
	v_or_b32_e32 v14, 51, v14
	v_cmp_gt_i32_e32 vcc, s33, v17
	v_cmp_gt_i32_e64 s[6:7], s33, v14
	s_nop 0
	v_cndmask_b32_e32 v17, v15, v38, vcc
	v_cndmask_b32_e64 v14, v15, v39, s[6:7]
	v_max3_f32 v16, v16, v17, v14
	v_mbcnt_lo_u32_b32 v14, -1, 0
	v_mbcnt_hi_u32_b32 v17, -1, v14
	v_and_b32_e32 v14, 64, v17
	v_add_u32_e32 v18, 64, v14
	v_xor_b32_e32 v14, 32, v17
	v_cmp_lt_i32_e64 s[40:41], v14, v18
	s_nop 1
	v_cndmask_b32_e64 v14, v17, v14, s[40:41]
	v_lshlrev_b32_e32 v59, 2, v14
	ds_bpermute_b32 v19, v59, v16
	s_waitcnt vmcnt(5)
	v_mad_i64_i32 v[14:15], s[40:41], v55, s45, 0
	v_lshl_add_u64 v[14:15], v[14:15], 1, v[10:11]
	s_waitcnt lgkmcnt(0)
	v_max_f32_e32 v19, v19, v19
	v_max_f32_e32 v16, v16, v19
	v_xor_b32_e32 v19, 16, v17
	v_cmp_lt_i32_e64 s[40:41], v19, v18
	s_nop 1
	v_cndmask_b32_e64 v17, v17, v19, s[40:41]
	v_lshlrev_b32_e32 v57, 2, v17
	ds_bpermute_b32 v17, v57, v16
	global_load_dwordx4 v[22:25], v[14:15], off
	global_load_dwordx4 v[18:21], v[14:15], off offset:16
	s_waitcnt vmcnt(6)
	v_mad_i64_i32 v[14:15], s[40:41], v58, s45, 0
	v_lshl_add_u64 v[10:11], v[14:15], 1, v[10:11]
	s_waitcnt lgkmcnt(0)
	v_max_f32_e32 v14, v17, v17
	v_max_f32_e32 v55, v16, v14
	v_sub_f32_e32 v12, v12, v55
	v_mul_f32_e32 v12, 0x3fb8aa3b, v12
	v_exp_f32_e32 v40, v12
	v_sub_f32_e32 v12, v13, v55
	v_mul_f32_e32 v12, 0x3fb8aa3b, v12
	v_exp_f32_e32 v41, v12
	global_load_dwordx4 v[14:17], v[10:11], off
	s_nop 0
	global_load_dwordx4 v[10:13], v[10:11], off offset:16
	v_sub_f32_e32 v50, v50, v55
	v_mul_f32_e32 v50, 0x3fb8aa3b, v50
	v_sub_f32_e32 v51, v51, v55
	v_exp_f32_e32 v50, v50
	v_mul_f32_e32 v51, 0x3fb8aa3b, v51
	v_sub_f32_e32 v42, v42, v55
	v_exp_f32_e32 v51, v51
	v_mul_f32_e32 v42, 0x3fb8aa3b, v42
	v_sub_f32_e32 v43, v43, v55
	v_cndmask_b32_e64 v40, 0, v40, s[4:5]
	v_exp_f32_e32 v42, v42
	v_mul_f32_e32 v43, 0x3fb8aa3b, v43
	v_sub_f32_e32 v52, v52, v55
	v_add_f32_e32 v56, 0, v40
	v_cndmask_b32_e64 v41, 0, v41, s[34:35]
	v_exp_f32_e32 v43, v43
	v_mul_f32_e32 v52, 0x3fb8aa3b, v52
	v_sub_f32_e32 v53, v53, v55
	v_add_f32_e32 v56, v56, v41
	;; [unrolled: 5-line block ×10, first 2 shown]
	v_cndmask_b32_e64 v48, 0, v48, s[12:13]
	v_exp_f32_e32 v38, v38
	v_mul_f32_e32 v39, 0x3fb8aa3b, v39
	v_add_f32_e32 v56, v56, v48
	v_cndmask_b32_e64 v49, 0, v49, s[14:15]
	v_exp_f32_e32 v39, v39
	v_add_f32_e32 v56, v56, v49
	v_cndmask_b32_e64 v44, 0, v44, s[8:9]
	v_add_f32_e32 v56, v56, v44
	v_cndmask_b32_e64 v45, 0, v45, s[10:11]
	v_add_f32_e32 v56, v56, v45
	v_cndmask_b32_e32 v38, 0, v38, vcc
	v_add_f32_e32 v56, v56, v38
	v_cndmask_b32_e64 v39, 0, v39, s[6:7]
	v_add_f32_e32 v56, v56, v39
	ds_bpermute_b32 v58, v59, v56
	v_cmp_gt_u32_e64 s[6:7], 16, v37
	v_lshlrev_b32_e32 v37, 2, v36
	s_waitcnt lgkmcnt(0)
	s_barrier
	v_add_f32_e32 v56, v56, v58
	ds_bpermute_b32 v57, v57, v56
	s_waitcnt lgkmcnt(0)
	s_and_saveexec_b64 s[4:5], s[6:7]
	s_cbranch_execz .LBB520_15
; %bb.14:
	v_add_f32_e32 v56, v56, v57
	v_lshl_or_b32 v57, v1, 6, v37
	ds_write2st64_b32 v57, v55, v56 offset1:1
.LBB520_15:
	s_or_b64 exec, exec, s[4:5]
	s_load_dword s8, s[0:1], 0x94
	s_waitcnt lgkmcnt(0)
	s_barrier
	ds_read2_b32 v[56:57], v37 offset1:16
	ds_read2_b32 v[58:59], v37 offset0:32 offset1:48
	ds_read2_b32 v[60:61], v37 offset0:64 offset1:80
	;; [unrolled: 1-line block ×3, first 2 shown]
	s_movk_i32 s10, 0x7fff
	s_waitcnt lgkmcnt(3)
	v_max3_f32 v55, v56, s43, v57
	s_waitcnt lgkmcnt(2)
	v_max3_f32 v55, v55, v58, v59
	v_sub_f32_e32 v56, v56, v55
	v_mul_f32_e32 v56, 0x3fb8aa3b, v56
	v_exp_f32_e32 v64, v56
	v_sub_f32_e32 v56, v57, v55
	v_mul_f32_e32 v56, 0x3fb8aa3b, v56
	v_exp_f32_e32 v57, v56
	v_sub_f32_e32 v56, v58, v55
	v_mul_f32_e32 v56, 0x3fb8aa3b, v56
	v_sub_f32_e32 v37, v59, v55
	v_exp_f32_e32 v58, v56
	v_mul_f32_e32 v37, 0x3fb8aa3b, v37
	v_exp_f32_e32 v37, v37
	s_waitcnt lgkmcnt(1)
	v_fma_f32 v56, v64, v60, 0
	v_fmac_f32_e32 v56, v57, v61
	s_waitcnt lgkmcnt(0)
	v_fmac_f32_e32 v56, v58, v62
	v_fmac_f32_e32 v56, v37, v63
	v_add_f32_e32 v59, 0x358637bd, v56
	v_div_scale_f32 v60, s[4:5], v59, v59, 1.0
	v_rcp_f32_e32 v61, v60
	s_mov_b32 s11, 0x7060302
	s_barrier
	v_fma_f32 v62, -v60, v61, 1.0
	v_fmac_f32_e32 v61, v62, v61
	v_div_scale_f32 v62, vcc, 1.0, v59, 1.0
	v_mul_f32_e32 v63, v62, v61
	v_fma_f32 v65, -v60, v63, v62
	v_fmac_f32_e32 v63, v65, v61
	v_fma_f32 v60, -v60, v63, v62
	v_div_fmas_f32 v60, v60, v61, v63
	v_cmp_eq_u32_e32 vcc, 1, v1
	v_div_fixup_f32 v59, v60, v59, 1.0
	s_nop 0
	v_cndmask_b32_e32 v57, v64, v57, vcc
	v_cmp_eq_u32_e32 vcc, 2, v1
	s_mul_i32 s9, s29, 5
	s_nop 0
	v_cndmask_b32_e32 v57, v57, v58, vcc
	v_cmp_eq_u32_e32 vcc, 3, v1
	v_lshlrev_b32_e32 v1, 11, v1
	s_nop 0
	v_cndmask_b32_e32 v37, v57, v37, vcc
	v_mul_f32_e32 v58, v37, v59
	v_pk_mul_f32 v[40:41], v[58:59], v[40:41] op_sel_hi:[0,1]
	v_bfe_u32 v37, v41, 16, 1
	v_bfe_u32 v57, v40, 16, 1
	v_pk_mul_f32 v[50:51], v[58:59], v[50:51] op_sel_hi:[0,1]
	v_add3_u32 v40, v40, v57, s10
	v_add3_u32 v37, v41, v37, s10
	v_perm_b32 v60, v37, v40, s11
	v_bfe_u32 v37, v51, 16, 1
	v_bfe_u32 v40, v50, 16, 1
	v_add3_u32 v40, v50, v40, s10
	v_add3_u32 v37, v51, v37, s10
	v_perm_b32 v61, v37, v40, s11
	v_lshlrev_b32_e32 v37, 3, v54
	v_lshlrev_b32_e32 v40, 5, v36
	v_pk_mul_f32 v[42:43], v[58:59], v[42:43] op_sel_hi:[0,1]
	v_or3_b32 v1, v1, v40, v37
	v_bfe_u32 v37, v43, 16, 1
	v_bfe_u32 v41, v42, 16, 1
	v_pk_mul_f32 v[50:51], v[58:59], v[52:53] op_sel_hi:[0,1]
	v_add3_u32 v41, v42, v41, s10
	v_add3_u32 v37, v43, v37, s10
	v_perm_b32 v42, v37, v41, s11
	v_bfe_u32 v37, v51, 16, 1
	v_bfe_u32 v41, v50, 16, 1
	v_add3_u32 v41, v50, v41, s10
	v_add3_u32 v37, v51, v37, s10
	v_pk_mul_f32 v[46:47], v[58:59], v[46:47] op_sel_hi:[0,1]
	v_perm_b32 v43, v37, v41, s11
	v_bfe_u32 v37, v47, 16, 1
	v_bfe_u32 v41, v46, 16, 1
	ds_write2st64_b64 v1, v[60:61], v[42:43] offset1:1
	v_pk_mul_f32 v[42:43], v[58:59], v[48:49] op_sel_hi:[0,1]
	v_add3_u32 v41, v46, v41, s10
	v_add3_u32 v37, v47, v37, s10
	v_perm_b32 v46, v37, v41, s11
	v_bfe_u32 v37, v43, 16, 1
	v_bfe_u32 v41, v42, 16, 1
	v_add3_u32 v41, v42, v41, s10
	v_add3_u32 v37, v43, v37, s10
	v_pk_mul_f32 v[42:43], v[58:59], v[44:45] op_sel_hi:[0,1]
	v_perm_b32 v47, v37, v41, s11
	v_bfe_u32 v37, v43, 16, 1
	v_bfe_u32 v41, v42, 16, 1
	v_pk_mul_f32 v[38:39], v[58:59], v[38:39] op_sel_hi:[0,1]
	v_add3_u32 v41, v42, v41, s10
	v_add3_u32 v37, v43, v37, s10
	v_perm_b32 v42, v37, v41, s11
	v_bfe_u32 v37, v39, 16, 1
	v_bfe_u32 v41, v38, 16, 1
	v_add3_u32 v38, v38, v41, s10
	v_add3_u32 v37, v39, v37, s10
	v_perm_b32 v43, v37, v38, s11
	v_cmp_gt_u32_e32 vcc, 5, v0
	ds_write2st64_b64 v1, v[46:47], v[42:43] offset0:2 offset1:3
	s_and_saveexec_b64 s[4:5], vcc
	s_cbranch_execz .LBB520_17
; %bb.16:
	s_mov_b32 s43, 0
	v_mov_b32_e32 v37, 0
	v_lshl_add_u64 v[38:39], s[42:43], 0, v[36:37]
	v_mov_b32_e32 v36, s9
	v_mad_u64_u32 v[38:39], s[16:17], s2, v36, v[38:39]
	v_mov_b32_e32 v36, s28
	s_load_dwordx4 s[12:15], s[0:1], 0x58
	s_mul_i32 s3, s3, s9
	v_mad_u64_u32 v[36:37], s[16:17], v38, s8, v[36:37]
	v_add_u32_e32 v39, s3, v39
	v_mov_b32_e32 v38, v37
	v_mad_u64_u32 v[38:39], s[16:17], v39, s8, v[38:39]
	v_mov_b32_e32 v37, v38
	v_lshlrev_b64 v[36:37], 2, v[36:37]
	s_waitcnt lgkmcnt(0)
	v_lshl_add_u64 v[38:39], s[14:15], 0, v[36:37]
	v_lshl_add_u64 v[36:37], s[12:13], 0, v[36:37]
	global_store_dword v[38:39], v55, off
	global_store_dword v[36:37], v56, off
.LBB520_17:
	s_or_b64 exec, exec, s[4:5]
	v_lshl_or_b32 v48, v54, 9, v40
	s_waitcnt lgkmcnt(0)
	s_barrier
	ds_read_b128 v[36:39], v48
	ds_read_b128 v[40:43], v48 offset:16
	s_waitcnt vmcnt(7) lgkmcnt(1)
	v_mfma_f32_16x16x16_bf16 v[44:47], v[6:7], v[36:37], 0
	v_cmp_gt_u32_e32 vcc, 64, v0
	s_mov_b32 s3, 0
	s_and_b64 s[4:5], vcc, s[30:31]
	v_mfma_f32_16x16x16_bf16 v[6:9], v[8:9], v[38:39], v[44:47]
	s_waitcnt vmcnt(6) lgkmcnt(0)
	v_mfma_f32_16x16x16_bf16 v[6:9], v[2:3], v[40:41], v[6:9]
	v_mfma_f32_16x16x16_bf16 v[2:5], v[4:5], v[42:43], v[6:9]
	s_nop 5
	ds_read_b128 v[6:9], v48 offset:2048
	ds_read_b128 v[36:39], v48 offset:2064
	s_waitcnt vmcnt(5) lgkmcnt(1)
	v_mfma_f32_16x16x16_bf16 v[2:5], v[30:31], v[6:7], v[2:5]
	v_mfma_f32_16x16x16_bf16 v[2:5], v[32:33], v[8:9], v[2:5]
	s_waitcnt vmcnt(4) lgkmcnt(0)
	v_mfma_f32_16x16x16_bf16 v[2:5], v[26:27], v[36:37], v[2:5]
	v_mfma_f32_16x16x16_bf16 v[2:5], v[28:29], v[38:39], v[2:5]
	ds_read_b128 v[6:9], v48 offset:4096
	ds_read_b128 v[26:29], v48 offset:4112
	s_waitcnt vmcnt(3) lgkmcnt(1)
	v_mfma_f32_16x16x16_bf16 v[2:5], v[22:23], v[6:7], v[2:5]
	v_mfma_f32_16x16x16_bf16 v[2:5], v[24:25], v[8:9], v[2:5]
	s_waitcnt vmcnt(2) lgkmcnt(0)
	v_mfma_f32_16x16x16_bf16 v[2:5], v[18:19], v[26:27], v[2:5]
	v_mfma_f32_16x16x16_bf16 v[2:5], v[20:21], v[28:29], v[2:5]
	ds_read_b128 v[6:9], v48 offset:6144
	ds_read_b128 v[18:21], v48 offset:6160
	s_waitcnt lgkmcnt(0)
	s_barrier
	s_waitcnt vmcnt(1)
	v_mfma_f32_16x16x16_bf16 v[2:5], v[14:15], v[6:7], v[2:5]
	v_mfma_f32_16x16x16_bf16 v[2:5], v[16:17], v[8:9], v[2:5]
	s_waitcnt vmcnt(0)
	v_mfma_f32_16x16x16_bf16 v[2:5], v[10:11], v[18:19], v[2:5]
	v_mfma_f32_16x16x16_bf16 v[2:5], v[12:13], v[20:21], v[2:5]
	s_nop 6
	v_bfe_u32 v6, v3, 16, 1
	v_bfe_u32 v7, v2, 16, 1
	;; [unrolled: 1-line block ×4, first 2 shown]
	v_add3_u32 v2, v2, v7, s10
	v_add3_u32 v3, v3, v6, s10
	v_add3_u32 v4, v4, v9, s10
	v_add3_u32 v5, v5, v8, s10
	v_perm_b32 v2, v3, v2, s11
	v_perm_b32 v3, v5, v4, s11
	ds_write_b64 v1, v[2:3]
	s_waitcnt lgkmcnt(0)
	s_barrier
	s_and_saveexec_b64 s[10:11], s[4:5]
	s_cbranch_execz .LBB520_20
; %bb.18:
	s_load_dwordx2 s[4:5], s[0:1], 0x68
	s_lshl_b32 s0, s8, 6
	s_mul_i32 s1, s9, s2
	s_mul_hi_u32 s9, s1, s0
	s_mul_i32 s8, s1, s0
	v_lshlrev_b32_e32 v1, 10, v0
	v_lshlrev_b32_e32 v0, 4, v0
	s_lshl_b64 s[8:9], s[8:9], 1
	v_and_b32_e32 v1, 0x1800, v1
	v_lshlrev_b32_e32 v2, 5, v54
	v_and_b32_e32 v0, 16, v0
	s_waitcnt lgkmcnt(0)
	s_add_u32 s1, s4, s8
	v_or3_b32 v2, v1, v2, v0
	s_addc_u32 s4, s5, s9
	s_lshl_b32 s2, s28, 6
	s_lshl_b64 s[2:3], s[2:3], 1
	ds_read_b128 v[4:7], v2
	s_add_u32 s2, s1, s2
	s_addc_u32 s3, s4, s3
	v_add_u32_e32 v3, s42, v54
	v_lshl_add_u64 v[0:1], v[34:35], 1, s[2:3]
	v_mad_u64_u32 v[8:9], s[2:3], v3, s0, 0
	v_lshl_add_u64 v[8:9], v[8:9], 1, v[0:1]
	s_waitcnt lgkmcnt(0)
	global_store_dwordx4 v[8:9], v[4:7], off
	s_and_b64 exec, exec, s[6:7]
	s_cbranch_execz .LBB520_20
; %bb.19:
	ds_read_b128 v[2:5], v2 offset:128
	v_add3_u32 v6, s42, v54, 4
	v_mad_u64_u32 v[6:7], s[0:1], v6, s0, 0
	v_lshl_add_u64 v[0:1], v[6:7], 1, v[0:1]
	s_waitcnt lgkmcnt(0)
	global_store_dwordx4 v[0:1], v[2:5], off
.LBB520_20:
	s_endpgm
	.section	.rodata,"a",@progbits
	.p2align	6, 0x0
	.amdhsa_kernel _Z39paged_attention_ll4mi_QKV_mfma16_kernelI14__hip_bfloat16S0_LN4vllm18Fp8KVCacheDataTypeE0EhLi32ELi64ELi256ELb0ELi5EEvPKT_PKT0_S8_ifPKiSA_SA_iPKfiiiPfSD_PS3_PT2_iSC_SC_
		.amdhsa_group_segment_fixed_size 8192
		.amdhsa_private_segment_fixed_size 0
		.amdhsa_kernarg_size 400
		.amdhsa_user_sgpr_count 2
		.amdhsa_user_sgpr_dispatch_ptr 0
		.amdhsa_user_sgpr_queue_ptr 0
		.amdhsa_user_sgpr_kernarg_segment_ptr 1
		.amdhsa_user_sgpr_dispatch_id 0
		.amdhsa_user_sgpr_kernarg_preload_length 0
		.amdhsa_user_sgpr_kernarg_preload_offset 0
		.amdhsa_user_sgpr_private_segment_size 0
		.amdhsa_uses_dynamic_stack 0
		.amdhsa_enable_private_segment 0
		.amdhsa_system_sgpr_workgroup_id_x 1
		.amdhsa_system_sgpr_workgroup_id_y 1
		.amdhsa_system_sgpr_workgroup_id_z 1
		.amdhsa_system_sgpr_workgroup_info 0
		.amdhsa_system_vgpr_workitem_id 0
		.amdhsa_next_free_vgpr 67
		.amdhsa_next_free_sgpr 48
		.amdhsa_accum_offset 68
		.amdhsa_reserve_vcc 1
		.amdhsa_float_round_mode_32 0
		.amdhsa_float_round_mode_16_64 0
		.amdhsa_float_denorm_mode_32 3
		.amdhsa_float_denorm_mode_16_64 3
		.amdhsa_dx10_clamp 1
		.amdhsa_ieee_mode 1
		.amdhsa_fp16_overflow 0
		.amdhsa_tg_split 0
		.amdhsa_exception_fp_ieee_invalid_op 0
		.amdhsa_exception_fp_denorm_src 0
		.amdhsa_exception_fp_ieee_div_zero 0
		.amdhsa_exception_fp_ieee_overflow 0
		.amdhsa_exception_fp_ieee_underflow 0
		.amdhsa_exception_fp_ieee_inexact 0
		.amdhsa_exception_int_div_zero 0
	.end_amdhsa_kernel
	.section	.text._Z39paged_attention_ll4mi_QKV_mfma16_kernelI14__hip_bfloat16S0_LN4vllm18Fp8KVCacheDataTypeE0EhLi32ELi64ELi256ELb0ELi5EEvPKT_PKT0_S8_ifPKiSA_SA_iPKfiiiPfSD_PS3_PT2_iSC_SC_,"axG",@progbits,_Z39paged_attention_ll4mi_QKV_mfma16_kernelI14__hip_bfloat16S0_LN4vllm18Fp8KVCacheDataTypeE0EhLi32ELi64ELi256ELb0ELi5EEvPKT_PKT0_S8_ifPKiSA_SA_iPKfiiiPfSD_PS3_PT2_iSC_SC_,comdat
.Lfunc_end520:
	.size	_Z39paged_attention_ll4mi_QKV_mfma16_kernelI14__hip_bfloat16S0_LN4vllm18Fp8KVCacheDataTypeE0EhLi32ELi64ELi256ELb0ELi5EEvPKT_PKT0_S8_ifPKiSA_SA_iPKfiiiPfSD_PS3_PT2_iSC_SC_, .Lfunc_end520-_Z39paged_attention_ll4mi_QKV_mfma16_kernelI14__hip_bfloat16S0_LN4vllm18Fp8KVCacheDataTypeE0EhLi32ELi64ELi256ELb0ELi5EEvPKT_PKT0_S8_ifPKiSA_SA_iPKfiiiPfSD_PS3_PT2_iSC_SC_
                                        ; -- End function
	.section	.AMDGPU.csdata,"",@progbits
; Kernel info:
; codeLenInByte = 4168
; NumSgprs: 54
; NumVgprs: 67
; NumAgprs: 0
; TotalNumVgprs: 67
; ScratchSize: 0
; MemoryBound: 0
; FloatMode: 240
; IeeeMode: 1
; LDSByteSize: 8192 bytes/workgroup (compile time only)
; SGPRBlocks: 6
; VGPRBlocks: 8
; NumSGPRsForWavesPerEU: 54
; NumVGPRsForWavesPerEU: 67
; AccumOffset: 68
; Occupancy: 7
; WaveLimiterHint : 1
; COMPUTE_PGM_RSRC2:SCRATCH_EN: 0
; COMPUTE_PGM_RSRC2:USER_SGPR: 2
; COMPUTE_PGM_RSRC2:TRAP_HANDLER: 0
; COMPUTE_PGM_RSRC2:TGID_X_EN: 1
; COMPUTE_PGM_RSRC2:TGID_Y_EN: 1
; COMPUTE_PGM_RSRC2:TGID_Z_EN: 1
; COMPUTE_PGM_RSRC2:TIDIG_COMP_CNT: 0
; COMPUTE_PGM_RSRC3_GFX90A:ACCUM_OFFSET: 16
; COMPUTE_PGM_RSRC3_GFX90A:TG_SPLIT: 0
	.section	.text._Z39paged_attention_ll4mi_QKV_mfma16_kernelI14__hip_bfloat16S0_LN4vllm18Fp8KVCacheDataTypeE0EhLi32ELi64ELi256ELb0ELi6EEvPKT_PKT0_S8_ifPKiSA_SA_iPKfiiiPfSD_PS3_PT2_iSC_SC_,"axG",@progbits,_Z39paged_attention_ll4mi_QKV_mfma16_kernelI14__hip_bfloat16S0_LN4vllm18Fp8KVCacheDataTypeE0EhLi32ELi64ELi256ELb0ELi6EEvPKT_PKT0_S8_ifPKiSA_SA_iPKfiiiPfSD_PS3_PT2_iSC_SC_,comdat
	.protected	_Z39paged_attention_ll4mi_QKV_mfma16_kernelI14__hip_bfloat16S0_LN4vllm18Fp8KVCacheDataTypeE0EhLi32ELi64ELi256ELb0ELi6EEvPKT_PKT0_S8_ifPKiSA_SA_iPKfiiiPfSD_PS3_PT2_iSC_SC_ ; -- Begin function _Z39paged_attention_ll4mi_QKV_mfma16_kernelI14__hip_bfloat16S0_LN4vllm18Fp8KVCacheDataTypeE0EhLi32ELi64ELi256ELb0ELi6EEvPKT_PKT0_S8_ifPKiSA_SA_iPKfiiiPfSD_PS3_PT2_iSC_SC_
	.globl	_Z39paged_attention_ll4mi_QKV_mfma16_kernelI14__hip_bfloat16S0_LN4vllm18Fp8KVCacheDataTypeE0EhLi32ELi64ELi256ELb0ELi6EEvPKT_PKT0_S8_ifPKiSA_SA_iPKfiiiPfSD_PS3_PT2_iSC_SC_
	.p2align	8
	.type	_Z39paged_attention_ll4mi_QKV_mfma16_kernelI14__hip_bfloat16S0_LN4vllm18Fp8KVCacheDataTypeE0EhLi32ELi64ELi256ELb0ELi6EEvPKT_PKT0_S8_ifPKiSA_SA_iPKfiiiPfSD_PS3_PT2_iSC_SC_,@function
_Z39paged_attention_ll4mi_QKV_mfma16_kernelI14__hip_bfloat16S0_LN4vllm18Fp8KVCacheDataTypeE0EhLi32ELi64ELi256ELb0ELi6EEvPKT_PKT0_S8_ifPKiSA_SA_iPKfiiiPfSD_PS3_PT2_iSC_SC_: ; @_Z39paged_attention_ll4mi_QKV_mfma16_kernelI14__hip_bfloat16S0_LN4vllm18Fp8KVCacheDataTypeE0EhLi32ELi64ELi256ELb0ELi6EEvPKT_PKT0_S8_ifPKiSA_SA_iPKfiiiPfSD_PS3_PT2_iSC_SC_
; %bb.0:
	s_load_dwordx2 s[6:7], s[0:1], 0x30
	s_mov_b32 s28, s3
	s_mov_b64 s[10:11], 0
	s_waitcnt lgkmcnt(0)
	s_cmp_lg_u64 s[6:7], 0
	s_cselect_b64 s[8:9], -1, 0
	s_and_b64 vcc, exec, s[8:9]
	s_cbranch_vccz .LBB521_7
; %bb.1:
	s_add_i32 s12, s2, 1
	s_mov_b32 s13, 0
	s_lshl_b64 s[14:15], s[12:13], 2
	s_add_u32 s14, s6, s14
	s_mov_b32 s3, s13
	s_addc_u32 s15, s7, s15
	s_lshl_b64 s[12:13], s[2:3], 2
	s_add_u32 s12, s6, s12
	s_addc_u32 s13, s7, s13
	s_load_dword s5, s[14:15], 0x0
	s_load_dword s16, s[12:13], 0x0
	s_waitcnt lgkmcnt(0)
	s_sub_i32 s5, s5, s16
	s_cmp_eq_u32 s5, 1
	s_cselect_b64 s[12:13], -1, 0
	s_andn2_b64 vcc, exec, s[10:11]
	s_cbranch_vccnz .LBB521_3
.LBB521_2:
	s_mov_b32 s3, 0
	s_mov_b64 s[12:13], -1
.LBB521_3:
	s_andn2_b64 vcc, exec, s[12:13]
	s_cbranch_vccnz .LBB521_20
; %bb.4:
	s_load_dwordx2 s[12:13], s[0:1], 0x28
	s_lshl_b64 s[10:11], s[2:3], 2
	s_waitcnt lgkmcnt(0)
	s_add_u32 s12, s12, s10
	s_addc_u32 s13, s13, s11
	s_load_dword s33, s[12:13], 0x0
	s_lshl_b32 s14, s28, 8
	s_waitcnt lgkmcnt(0)
	s_cmp_ge_i32 s14, s33
	s_cbranch_scc1 .LBB521_20
; %bb.5:
	s_load_dwordx2 s[12:13], s[0:1], 0x20
	s_load_dword s5, s[0:1], 0x38
	s_add_i32 s15, s33, 31
	s_ashr_i32 s16, s15, 31
	v_and_b32_e32 v1, 0xcf, v0
	s_lshr_b32 s16, s16, 27
	v_add_u32_e32 v1, s14, v1
	s_add_i32 s15, s15, s16
	v_ashrrev_i32_e32 v2, 31, v1
	s_ashr_i32 s15, s15, 5
	v_lshrrev_b32_e32 v10, 27, v2
	s_add_i32 s15, s15, -1
	s_waitcnt lgkmcnt(0)
	s_mul_i32 s16, s2, s5
	s_mov_b32 s17, 0
	v_add_u32_e32 v2, v1, v10
	s_lshl_b64 s[16:17], s[16:17], 2
	v_ashrrev_i32_e32 v2, 5, v2
	v_mov_b32_e32 v11, s15
	v_cmp_gt_i32_e32 vcc, s33, v1
	s_add_u32 s12, s12, s16
	s_addc_u32 s13, s13, s17
	v_cndmask_b32_e32 v2, v11, v2, vcc
	v_ashrrev_i32_e32 v3, 31, v2
	v_lshl_add_u64 v[4:5], v[2:3], 2, s[12:13]
	v_or_b32_e32 v2, 16, v1
	v_add_u32_e32 v3, v2, v10
	v_ashrrev_i32_e32 v3, 5, v3
	v_cmp_gt_i32_e32 vcc, s33, v2
	s_nop 1
	v_cndmask_b32_e32 v2, v11, v3, vcc
	v_ashrrev_i32_e32 v3, 31, v2
	v_lshl_add_u64 v[6:7], v[2:3], 2, s[12:13]
	v_or_b32_e32 v2, 32, v1
	v_add_u32_e32 v3, v2, v10
	v_ashrrev_i32_e32 v3, 5, v3
	v_cmp_gt_i32_e32 vcc, s33, v2
	v_or_b32_e32 v1, 48, v1
	s_nop 0
	v_cndmask_b32_e32 v2, v11, v3, vcc
	v_ashrrev_i32_e32 v3, 31, v2
	v_lshl_add_u64 v[8:9], v[2:3], 2, s[12:13]
	v_add_u32_e32 v2, v1, v10
	v_ashrrev_i32_e32 v2, 5, v2
	v_cmp_gt_i32_e32 vcc, s33, v1
	s_nop 1
	v_cndmask_b32_e32 v2, v11, v2, vcc
	v_ashrrev_i32_e32 v3, 31, v2
	v_lshl_add_u64 v[12:13], v[2:3], 2, s[12:13]
	global_load_dword v3, v[4:5], off
	global_load_dword v2, v[6:7], off
	;; [unrolled: 1-line block ×4, first 2 shown]
	s_andn2_b64 vcc, exec, s[8:9]
	s_cbranch_vccnz .LBB521_8
; %bb.6:
	s_add_u32 s6, s6, s10
	s_addc_u32 s7, s7, s11
	s_load_dword s5, s[6:7], 0x0
	s_branch .LBB521_9
.LBB521_7:
	s_mov_b64 s[12:13], 0
	s_branch .LBB521_2
.LBB521_8:
	s_mov_b32 s5, s2
.LBB521_9:
	s_load_dwordx4 s[8:11], s[0:1], 0x8
	s_load_dwordx4 s[44:47], s[0:1], 0x48
	v_lshrrev_b32_e32 v1, 6, v0
	v_bfe_u32 v54, v0, 4, 2
	v_lshl_or_b32 v4, v1, 2, v54
	v_and_b32_e32 v36, 15, v0
	v_cmp_lt_u32_e32 vcc, 5, v4
	v_cmp_lt_u32_e64 s[6:7], 7, v36
	v_lshlrev_b32_e32 v34, 3, v36
	v_cmp_gt_u32_e64 s[30:31], 8, v36
	s_or_b64 s[6:7], s[6:7], vcc
	s_and_saveexec_b64 s[16:17], s[6:7]
	s_xor_b64 s[6:7], exec, s[16:17]
; %bb.10:
	v_mov_b32_e32 v35, 0
                                        ; implicit-def: $vgpr4
; %bb.11:
	s_or_saveexec_b64 s[6:7], s[6:7]
	v_and_b32_e32 v37, 63, v0
	s_mul_i32 s42, s4, 6
	s_xor_b64 exec, exec, s[6:7]
	s_cbranch_execz .LBB521_13
; %bb.12:
	s_load_dwordx2 s[16:17], s[0:1], 0x0
	s_waitcnt lgkmcnt(0)
	s_ashr_i32 s18, s44, 31
	s_mul_hi_u32 s19, s5, s44
	s_mul_i32 s18, s5, s18
	s_add_i32 s19, s19, s18
	s_mul_i32 s18, s5, s44
	s_lshl_b64 s[18:19], s[18:19], 1
	s_add_u32 s16, s16, s18
	v_add_lshl_u32 v6, v4, s42, 6
	s_addc_u32 s17, s17, s19
	v_ashrrev_i32_e32 v7, 31, v6
	v_mov_b32_e32 v35, 0
	v_lshl_add_u64 v[6:7], v[6:7], 1, s[16:17]
	v_lshlrev_b32_e32 v8, 1, v34
	v_mov_b32_e32 v9, v35
	v_lshl_add_u64 v[6:7], v[6:7], 0, v[8:9]
	global_load_dwordx4 v[6:9], v[6:7], off
	v_and_b32_e32 v5, 3, v0
	v_lshlrev_b32_e32 v11, 9, v36
	v_lshlrev_b32_e32 v4, 5, v4
	;; [unrolled: 1-line block ×3, first 2 shown]
	v_and_b32_e32 v11, 0x1800, v11
	v_or3_b32 v4, v11, v5, v4
	s_waitcnt vmcnt(0)
	ds_write_b128 v4, v[6:9]
.LBB521_13:
	s_or_b64 exec, exec, s[6:7]
	s_waitcnt lgkmcnt(0)
	s_mul_i32 s4, s4, s46
	s_mov_b32 s5, 0
	s_lshl_b64 s[4:5], s[4:5], 1
	s_add_u32 s8, s8, s4
	s_addc_u32 s9, s9, s5
	s_waitcnt vmcnt(3)
	v_mad_i64_i32 v[4:5], s[16:17], v3, s45, 0
	v_lshl_add_u64 v[4:5], v[4:5], 1, s[8:9]
	v_lshlrev_b64 v[12:13], 1, v[34:35]
	v_lshlrev_b32_e32 v38, 9, v54
	v_lshl_add_u64 v[4:5], v[4:5], 0, v[12:13]
	v_mov_b32_e32 v39, 0
	v_lshl_add_u64 v[14:15], v[4:5], 0, v[38:39]
	s_waitcnt vmcnt(2)
	v_mad_i64_i32 v[2:3], s[16:17], v2, s45, 0
	v_mov_b32_e32 v4, 0x100
	v_lshl_add_u64 v[2:3], v[2:3], 1, s[8:9]
	v_lshl_or_b32 v30, v36, 4, v4
	v_mov_b32_e32 v31, v39
	s_load_dword s29, s[0:1], 0x98
	s_load_dword s6, s[0:1], 0x1c
	s_waitcnt lgkmcnt(0)
	s_barrier
	v_lshl_add_u64 v[2:3], v[2:3], 0, v[30:31]
	global_load_dwordx4 v[6:9], v[14:15], off
	global_load_dwordx4 v[22:25], v[14:15], off offset:2048
	v_lshl_add_u64 v[18:19], v[2:3], 0, v[38:39]
	global_load_dwordx4 v[2:5], v[18:19], off
	global_load_dwordx4 v[26:29], v[18:19], off offset:2048
	s_waitcnt vmcnt(5)
	v_mad_i64_i32 v[10:11], s[16:17], v10, s45, 0
	v_lshl_add_u64 v[10:11], v[10:11], 1, s[8:9]
	v_lshl_add_u64 v[10:11], v[10:11], 0, v[12:13]
	;; [unrolled: 1-line block ×3, first 2 shown]
	global_load_dwordx4 v[10:13], v[32:33], off
	v_mul_lo_u16_e32 v20, 43, v36
	v_mov_b32_e32 v21, 6
	s_waitcnt vmcnt(5)
	v_mad_i64_i32 v[16:17], s[16:17], v16, s45, 0
	v_mul_lo_u16_sdwa v14, v20, v21 dst_sel:DWORD dst_unused:UNUSED_PAD src0_sel:BYTE_1 src1_sel:DWORD
	v_sub_u16_e32 v14, v36, v14
	v_lshl_add_u64 v[40:41], v[16:17], 1, s[8:9]
	v_and_b32_e32 v14, 0xff, v14
	v_lshl_add_u64 v[30:31], v[40:41], 0, v[30:31]
	v_lshl_add_u32 v14, v14, 5, v38
	v_lshl_add_u64 v[40:41], v[30:31], 0, v[38:39]
	ds_read_b128 v[18:21], v14
	ds_read_b128 v[14:17], v14 offset:2048
	global_load_dwordx4 v[30:33], v[32:33], off offset:2048
	s_ashr_i32 s7, s14, 31
	global_load_dwordx4 v[46:49], v[40:41], off
	global_load_dwordx4 v[60:63], v[40:41], off offset:2048
	v_and_or_b32 v55, v0, 48, s14
	s_lshr_b32 s7, s7, 27
	v_add_u32_e32 v42, s7, v55
	v_mov_b32_e32 v64, s15
	v_or_b32_e32 v50, 64, v55
	v_ashrrev_i32_e32 v38, 5, v42
	v_cmp_gt_i32_e32 vcc, s33, v55
	v_add_u32_e32 v43, s7, v50
	v_ashrrev_i32_e32 v51, 5, v43
	v_cndmask_b32_e32 v42, v64, v38, vcc
	v_ashrrev_i32_e32 v43, 31, v42
	v_lshl_add_u64 v[42:43], v[42:43], 2, s[12:13]
	v_cmp_gt_i32_e32 vcc, s33, v50
	global_load_dword v65, v[42:43], off
	v_or_b32_e32 v40, 0x80, v55
	v_and_b32_e32 v38, 16, v0
	s_add_u32 s4, s10, s4
	v_lshlrev_b32_e32 v41, 6, v36
	s_addc_u32 s5, s11, s5
	v_lshlrev_b32_e32 v38, 1, v38
	s_mov_b32 s43, 0xff7fffff
	s_waitcnt vmcnt(8) lgkmcnt(1)
	v_mfma_f32_16x16x16_bf16 v[42:45], v[6:7], v[18:19], 0
	v_cndmask_b32_e32 v6, v64, v51, vcc
	v_ashrrev_i32_e32 v7, 31, v6
	v_cmp_gt_i32_e32 vcc, s33, v40
	s_waitcnt vmcnt(6)
	v_mfma_f32_16x16x16_bf16 v[50:53], v[2:3], v[18:19], 0
	v_lshl_add_u64 v[2:3], v[6:7], 2, s[12:13]
	global_load_dword v66, v[2:3], off
	v_mfma_f32_16x16x16_bf16 v[6:9], v[8:9], v[20:21], v[42:45]
	v_mfma_f32_16x16x16_bf16 v[2:5], v[4:5], v[20:21], v[50:53]
	s_nop 1
	v_or_b32_e32 v42, 0xc0, v55
	v_add_u32_e32 v43, s7, v40
	v_add_u32_e32 v44, s7, v42
	s_waitcnt lgkmcnt(0)
	v_mfma_f32_16x16x16_bf16 v[6:9], v[22:23], v[14:15], v[6:9]
	v_ashrrev_i32_e32 v43, 5, v43
	v_ashrrev_i32_e32 v44, 5, v44
	v_cndmask_b32_e32 v40, v64, v43, vcc
	s_waitcnt vmcnt(5)
	v_mfma_f32_16x16x16_bf16 v[56:59], v[10:11], v[18:19], 0
	v_cmp_gt_i32_e32 vcc, s33, v42
	v_mfma_f32_16x16x16_bf16 v[2:5], v[26:27], v[14:15], v[2:5]
	s_nop 0
	v_cndmask_b32_e32 v42, v64, v44, vcc
	v_lshl_add_u64 v[44:45], s[4:5], 0, v[38:39]
	v_lshl_or_b32 v38, v1, 10, v41
	v_ashrrev_i32_e32 v41, 31, v40
	v_mfma_f32_16x16x16_bf16 v[22:25], v[24:25], v[16:17], v[6:9]
	v_ashrrev_i32_e32 v43, 31, v42
	s_nop 1
	v_lshl_add_u64 v[6:7], v[40:41], 2, s[12:13]
	v_mfma_f32_16x16x16_bf16 v[10:13], v[12:13], v[20:21], v[56:59]
	s_nop 1
	v_pk_mul_f32 v[50:51], s[6:7], v[24:25] op_sel_hi:[0,1]
	v_mfma_f32_16x16x16_bf16 v[26:29], v[28:29], v[16:17], v[2:5]
	s_nop 2
	v_lshl_add_u64 v[2:3], v[42:43], 2, s[12:13]
	global_load_dword v55, v[6:7], off
	global_load_dword v58, v[2:3], off
	s_waitcnt vmcnt(6)
	v_mfma_f32_16x16x16_bf16 v[2:5], v[30:31], v[14:15], v[10:13]
	s_waitcnt vmcnt(3)
	v_mad_i64_i32 v[6:7], s[4:5], v65, s45, 0
	v_pk_mul_f32 v[42:43], s[6:7], v[26:27] op_sel_hi:[0,1]
	v_lshl_add_u64 v[10:11], v[44:45], 0, v[38:39]
	v_mfma_f32_16x16x16_bf16 v[38:41], v[46:47], v[18:19], 0
	v_pk_mul_f32 v[52:53], s[6:7], v[28:29] op_sel_hi:[0,1]
	s_waitcnt vmcnt(2)
	v_mad_i64_i32 v[12:13], s[4:5], v66, s45, 0
	v_mfma_f32_16x16x16_bf16 v[18:21], v[48:49], v[20:21], v[38:41]
	v_lshl_add_u64 v[56:57], v[12:13], 1, v[10:11]
	v_pk_mul_f32 v[12:13], s[6:7], v[22:23] op_sel_hi:[0,1]
	v_mfma_f32_16x16x16_bf16 v[18:21], v[60:61], v[14:15], v[18:21]
	v_mfma_f32_16x16x16_bf16 v[30:33], v[32:33], v[16:17], v[2:5]
	;; [unrolled: 1-line block ×3, first 2 shown]
	s_nop 1
	v_lshl_add_u64 v[2:3], v[6:7], 1, v[10:11]
	s_nop 2
	v_pk_mul_f32 v[46:47], s[6:7], v[30:31] op_sel_hi:[0,1]
	v_pk_mul_f32 v[48:49], s[6:7], v[32:33] op_sel_hi:[0,1]
	global_load_dwordx4 v[6:9], v[2:3], off
	s_nop 0
	global_load_dwordx4 v[2:5], v[2:3], off offset:16
	v_pk_mul_f32 v[44:45], s[6:7], v[14:15] op_sel_hi:[0,1]
	v_and_b32_e32 v14, 0xc0, v0
	v_add_u32_e32 v14, s14, v14
	v_lshl_or_b32 v14, v54, 2, v14
	v_pk_mul_f32 v[38:39], s[6:7], v[16:17] op_sel_hi:[0,1]
	v_or_b32_e32 v17, 1, v14
	v_mov_b32_e32 v15, 0xff7fffff
	v_cmp_gt_i32_e64 s[4:5], s33, v14
	v_cmp_gt_i32_e64 s[34:35], s33, v17
	v_or_b32_e32 v18, 3, v14
	v_cndmask_b32_e64 v16, v15, v12, s[4:5]
	v_cndmask_b32_e64 v17, v15, v13, s[34:35]
	v_max3_f32 v16, v16, s43, v17
	v_or_b32_e32 v17, 2, v14
	v_cmp_gt_i32_e64 s[36:37], s33, v17
	v_cmp_gt_i32_e64 s[38:39], s33, v18
	global_load_dwordx4 v[30:33], v[56:57], off
	global_load_dwordx4 v[26:29], v[56:57], off offset:16
	v_cndmask_b32_e64 v17, v15, v50, s[36:37]
	v_cndmask_b32_e64 v18, v15, v51, s[38:39]
	v_max3_f32 v16, v16, v17, v18
	v_or_b32_e32 v17, 16, v14
	v_or_b32_e32 v18, 17, v14
	v_cmp_gt_i32_e64 s[24:25], s33, v17
	v_cmp_gt_i32_e64 s[26:27], s33, v18
	s_nop 0
	v_cndmask_b32_e64 v17, v15, v42, s[24:25]
	v_cndmask_b32_e64 v18, v15, v43, s[26:27]
	v_max3_f32 v16, v16, v17, v18
	v_or_b32_e32 v17, 18, v14
	v_or_b32_e32 v18, 19, v14
	v_cmp_gt_i32_e64 s[20:21], s33, v17
	v_cmp_gt_i32_e64 s[22:23], s33, v18
	s_nop 0
	;; [unrolled: 8-line block ×5, first 2 shown]
	v_cndmask_b32_e64 v17, v15, v44, s[8:9]
	v_cndmask_b32_e64 v18, v15, v45, s[10:11]
	v_max3_f32 v16, v16, v17, v18
	v_or_b32_e32 v17, 50, v14
	v_or_b32_e32 v14, 51, v14
	v_cmp_gt_i32_e32 vcc, s33, v17
	v_cmp_gt_i32_e64 s[6:7], s33, v14
	s_nop 0
	v_cndmask_b32_e32 v17, v15, v38, vcc
	v_cndmask_b32_e64 v14, v15, v39, s[6:7]
	v_max3_f32 v16, v16, v17, v14
	v_mbcnt_lo_u32_b32 v14, -1, 0
	v_mbcnt_hi_u32_b32 v17, -1, v14
	v_and_b32_e32 v14, 64, v17
	v_add_u32_e32 v18, 64, v14
	v_xor_b32_e32 v14, 32, v17
	v_cmp_lt_i32_e64 s[40:41], v14, v18
	s_nop 1
	v_cndmask_b32_e64 v14, v17, v14, s[40:41]
	v_lshlrev_b32_e32 v59, 2, v14
	ds_bpermute_b32 v19, v59, v16
	s_waitcnt vmcnt(5)
	v_mad_i64_i32 v[14:15], s[40:41], v55, s45, 0
	v_lshl_add_u64 v[14:15], v[14:15], 1, v[10:11]
	s_waitcnt lgkmcnt(0)
	v_max_f32_e32 v19, v19, v19
	v_max_f32_e32 v16, v16, v19
	v_xor_b32_e32 v19, 16, v17
	v_cmp_lt_i32_e64 s[40:41], v19, v18
	s_nop 1
	v_cndmask_b32_e64 v17, v17, v19, s[40:41]
	v_lshlrev_b32_e32 v57, 2, v17
	ds_bpermute_b32 v17, v57, v16
	global_load_dwordx4 v[22:25], v[14:15], off
	global_load_dwordx4 v[18:21], v[14:15], off offset:16
	s_waitcnt vmcnt(6)
	v_mad_i64_i32 v[14:15], s[40:41], v58, s45, 0
	v_lshl_add_u64 v[10:11], v[14:15], 1, v[10:11]
	s_waitcnt lgkmcnt(0)
	v_max_f32_e32 v14, v17, v17
	v_max_f32_e32 v55, v16, v14
	v_sub_f32_e32 v12, v12, v55
	v_mul_f32_e32 v12, 0x3fb8aa3b, v12
	v_exp_f32_e32 v40, v12
	v_sub_f32_e32 v12, v13, v55
	v_mul_f32_e32 v12, 0x3fb8aa3b, v12
	v_exp_f32_e32 v41, v12
	global_load_dwordx4 v[14:17], v[10:11], off
	s_nop 0
	global_load_dwordx4 v[10:13], v[10:11], off offset:16
	v_sub_f32_e32 v50, v50, v55
	v_mul_f32_e32 v50, 0x3fb8aa3b, v50
	v_sub_f32_e32 v51, v51, v55
	v_exp_f32_e32 v50, v50
	v_mul_f32_e32 v51, 0x3fb8aa3b, v51
	v_sub_f32_e32 v42, v42, v55
	v_exp_f32_e32 v51, v51
	v_mul_f32_e32 v42, 0x3fb8aa3b, v42
	v_sub_f32_e32 v43, v43, v55
	v_cndmask_b32_e64 v40, 0, v40, s[4:5]
	v_exp_f32_e32 v42, v42
	v_mul_f32_e32 v43, 0x3fb8aa3b, v43
	v_sub_f32_e32 v52, v52, v55
	v_add_f32_e32 v56, 0, v40
	v_cndmask_b32_e64 v41, 0, v41, s[34:35]
	v_exp_f32_e32 v43, v43
	v_mul_f32_e32 v52, 0x3fb8aa3b, v52
	v_sub_f32_e32 v53, v53, v55
	v_add_f32_e32 v56, v56, v41
	;; [unrolled: 5-line block ×10, first 2 shown]
	v_cndmask_b32_e64 v48, 0, v48, s[12:13]
	v_exp_f32_e32 v38, v38
	v_mul_f32_e32 v39, 0x3fb8aa3b, v39
	v_add_f32_e32 v56, v56, v48
	v_cndmask_b32_e64 v49, 0, v49, s[14:15]
	v_exp_f32_e32 v39, v39
	v_add_f32_e32 v56, v56, v49
	v_cndmask_b32_e64 v44, 0, v44, s[8:9]
	v_add_f32_e32 v56, v56, v44
	v_cndmask_b32_e64 v45, 0, v45, s[10:11]
	v_add_f32_e32 v56, v56, v45
	v_cndmask_b32_e32 v38, 0, v38, vcc
	v_add_f32_e32 v56, v56, v38
	v_cndmask_b32_e64 v39, 0, v39, s[6:7]
	v_add_f32_e32 v56, v56, v39
	ds_bpermute_b32 v58, v59, v56
	v_cmp_gt_u32_e32 vcc, 16, v37
	v_lshlrev_b32_e32 v37, 2, v36
	s_waitcnt lgkmcnt(0)
	s_barrier
	v_add_f32_e32 v56, v56, v58
	ds_bpermute_b32 v57, v57, v56
	s_waitcnt lgkmcnt(0)
	s_and_saveexec_b64 s[4:5], vcc
	s_cbranch_execz .LBB521_15
; %bb.14:
	v_add_f32_e32 v56, v56, v57
	v_lshl_or_b32 v57, v1, 6, v37
	ds_write2st64_b32 v57, v55, v56 offset1:1
.LBB521_15:
	s_or_b64 exec, exec, s[4:5]
	s_load_dword s6, s[0:1], 0x94
	s_waitcnt lgkmcnt(0)
	s_barrier
	ds_read2_b32 v[56:57], v37 offset1:16
	ds_read2_b32 v[58:59], v37 offset0:32 offset1:48
	ds_read2_b32 v[60:61], v37 offset0:64 offset1:80
	;; [unrolled: 1-line block ×3, first 2 shown]
	s_movk_i32 s8, 0x7fff
	s_waitcnt lgkmcnt(3)
	v_max3_f32 v55, v56, s43, v57
	s_waitcnt lgkmcnt(2)
	v_max3_f32 v55, v55, v58, v59
	v_sub_f32_e32 v56, v56, v55
	v_mul_f32_e32 v56, 0x3fb8aa3b, v56
	v_exp_f32_e32 v64, v56
	v_sub_f32_e32 v56, v57, v55
	v_mul_f32_e32 v56, 0x3fb8aa3b, v56
	v_exp_f32_e32 v57, v56
	v_sub_f32_e32 v56, v58, v55
	v_mul_f32_e32 v56, 0x3fb8aa3b, v56
	v_sub_f32_e32 v37, v59, v55
	v_exp_f32_e32 v58, v56
	v_mul_f32_e32 v37, 0x3fb8aa3b, v37
	v_exp_f32_e32 v37, v37
	s_waitcnt lgkmcnt(1)
	v_fma_f32 v56, v64, v60, 0
	v_fmac_f32_e32 v56, v57, v61
	s_waitcnt lgkmcnt(0)
	v_fmac_f32_e32 v56, v58, v62
	v_fmac_f32_e32 v56, v37, v63
	v_add_f32_e32 v59, 0x358637bd, v56
	v_div_scale_f32 v60, s[4:5], v59, v59, 1.0
	v_rcp_f32_e32 v61, v60
	s_mov_b32 s9, 0x7060302
	s_barrier
	v_fma_f32 v62, -v60, v61, 1.0
	v_fmac_f32_e32 v61, v62, v61
	v_div_scale_f32 v62, vcc, 1.0, v59, 1.0
	v_mul_f32_e32 v63, v62, v61
	v_fma_f32 v65, -v60, v63, v62
	v_fmac_f32_e32 v63, v65, v61
	v_fma_f32 v60, -v60, v63, v62
	v_div_fmas_f32 v60, v60, v61, v63
	v_cmp_eq_u32_e32 vcc, 1, v1
	v_div_fixup_f32 v59, v60, v59, 1.0
	s_nop 0
	v_cndmask_b32_e32 v57, v64, v57, vcc
	v_cmp_eq_u32_e32 vcc, 2, v1
	s_mul_i32 s7, s29, 6
	s_nop 0
	v_cndmask_b32_e32 v57, v57, v58, vcc
	v_cmp_eq_u32_e32 vcc, 3, v1
	v_lshlrev_b32_e32 v1, 11, v1
	s_nop 0
	v_cndmask_b32_e32 v37, v57, v37, vcc
	v_mul_f32_e32 v58, v37, v59
	v_pk_mul_f32 v[40:41], v[58:59], v[40:41] op_sel_hi:[0,1]
	v_bfe_u32 v37, v41, 16, 1
	v_bfe_u32 v57, v40, 16, 1
	v_pk_mul_f32 v[50:51], v[58:59], v[50:51] op_sel_hi:[0,1]
	v_add3_u32 v40, v40, v57, s8
	v_add3_u32 v37, v41, v37, s8
	v_perm_b32 v60, v37, v40, s9
	v_bfe_u32 v37, v51, 16, 1
	v_bfe_u32 v40, v50, 16, 1
	v_add3_u32 v40, v50, v40, s8
	v_add3_u32 v37, v51, v37, s8
	v_perm_b32 v61, v37, v40, s9
	v_lshlrev_b32_e32 v37, 3, v54
	v_lshlrev_b32_e32 v40, 5, v36
	v_pk_mul_f32 v[42:43], v[58:59], v[42:43] op_sel_hi:[0,1]
	v_or3_b32 v1, v1, v40, v37
	v_bfe_u32 v37, v43, 16, 1
	v_bfe_u32 v41, v42, 16, 1
	v_pk_mul_f32 v[50:51], v[58:59], v[52:53] op_sel_hi:[0,1]
	v_add3_u32 v41, v42, v41, s8
	v_add3_u32 v37, v43, v37, s8
	v_perm_b32 v42, v37, v41, s9
	v_bfe_u32 v37, v51, 16, 1
	v_bfe_u32 v41, v50, 16, 1
	v_add3_u32 v41, v50, v41, s8
	v_add3_u32 v37, v51, v37, s8
	v_pk_mul_f32 v[46:47], v[58:59], v[46:47] op_sel_hi:[0,1]
	v_perm_b32 v43, v37, v41, s9
	v_bfe_u32 v37, v47, 16, 1
	v_bfe_u32 v41, v46, 16, 1
	ds_write2st64_b64 v1, v[60:61], v[42:43] offset1:1
	v_pk_mul_f32 v[42:43], v[58:59], v[48:49] op_sel_hi:[0,1]
	v_add3_u32 v41, v46, v41, s8
	v_add3_u32 v37, v47, v37, s8
	v_perm_b32 v46, v37, v41, s9
	v_bfe_u32 v37, v43, 16, 1
	v_bfe_u32 v41, v42, 16, 1
	v_add3_u32 v41, v42, v41, s8
	v_add3_u32 v37, v43, v37, s8
	v_pk_mul_f32 v[42:43], v[58:59], v[44:45] op_sel_hi:[0,1]
	v_perm_b32 v47, v37, v41, s9
	v_bfe_u32 v37, v43, 16, 1
	v_bfe_u32 v41, v42, 16, 1
	v_pk_mul_f32 v[38:39], v[58:59], v[38:39] op_sel_hi:[0,1]
	v_add3_u32 v41, v42, v41, s8
	v_add3_u32 v37, v43, v37, s8
	v_perm_b32 v42, v37, v41, s9
	v_bfe_u32 v37, v39, 16, 1
	v_bfe_u32 v41, v38, 16, 1
	v_add3_u32 v38, v38, v41, s8
	v_add3_u32 v37, v39, v37, s8
	v_perm_b32 v43, v37, v38, s9
	v_cmp_gt_u32_e32 vcc, 6, v0
	ds_write2st64_b64 v1, v[46:47], v[42:43] offset0:2 offset1:3
	s_and_saveexec_b64 s[4:5], vcc
	s_cbranch_execz .LBB521_17
; %bb.16:
	s_mov_b32 s43, 0
	v_mov_b32_e32 v37, 0
	v_lshl_add_u64 v[38:39], s[42:43], 0, v[36:37]
	v_mov_b32_e32 v36, s7
	v_mad_u64_u32 v[38:39], s[10:11], s2, v36, v[38:39]
	v_mov_b32_e32 v36, s28
	s_load_dwordx4 s[12:15], s[0:1], 0x58
	s_mul_i32 s3, s3, s7
	v_mad_u64_u32 v[36:37], s[10:11], v38, s6, v[36:37]
	v_add_u32_e32 v39, s3, v39
	v_mov_b32_e32 v38, v37
	v_mad_u64_u32 v[38:39], s[10:11], v39, s6, v[38:39]
	v_mov_b32_e32 v37, v38
	v_lshlrev_b64 v[36:37], 2, v[36:37]
	s_waitcnt lgkmcnt(0)
	v_lshl_add_u64 v[38:39], s[14:15], 0, v[36:37]
	v_lshl_add_u64 v[36:37], s[12:13], 0, v[36:37]
	global_store_dword v[38:39], v55, off
	global_store_dword v[36:37], v56, off
.LBB521_17:
	s_or_b64 exec, exec, s[4:5]
	v_lshl_or_b32 v48, v54, 9, v40
	s_waitcnt lgkmcnt(0)
	s_barrier
	ds_read_b128 v[36:39], v48
	ds_read_b128 v[40:43], v48 offset:16
	s_waitcnt vmcnt(7) lgkmcnt(1)
	v_mfma_f32_16x16x16_bf16 v[44:47], v[6:7], v[36:37], 0
	v_cmp_gt_u32_e32 vcc, 64, v0
	s_mov_b32 s3, 0
	s_and_b64 s[4:5], vcc, s[30:31]
	v_mfma_f32_16x16x16_bf16 v[6:9], v[8:9], v[38:39], v[44:47]
	s_waitcnt vmcnt(6) lgkmcnt(0)
	v_mfma_f32_16x16x16_bf16 v[6:9], v[2:3], v[40:41], v[6:9]
	v_mfma_f32_16x16x16_bf16 v[2:5], v[4:5], v[42:43], v[6:9]
	s_nop 5
	ds_read_b128 v[6:9], v48 offset:2048
	ds_read_b128 v[36:39], v48 offset:2064
	s_waitcnt vmcnt(5) lgkmcnt(1)
	v_mfma_f32_16x16x16_bf16 v[2:5], v[30:31], v[6:7], v[2:5]
	v_mfma_f32_16x16x16_bf16 v[2:5], v[32:33], v[8:9], v[2:5]
	s_waitcnt vmcnt(4) lgkmcnt(0)
	v_mfma_f32_16x16x16_bf16 v[2:5], v[26:27], v[36:37], v[2:5]
	v_mfma_f32_16x16x16_bf16 v[2:5], v[28:29], v[38:39], v[2:5]
	ds_read_b128 v[6:9], v48 offset:4096
	ds_read_b128 v[26:29], v48 offset:4112
	s_waitcnt vmcnt(3) lgkmcnt(1)
	v_mfma_f32_16x16x16_bf16 v[2:5], v[22:23], v[6:7], v[2:5]
	v_mfma_f32_16x16x16_bf16 v[2:5], v[24:25], v[8:9], v[2:5]
	s_waitcnt vmcnt(2) lgkmcnt(0)
	v_mfma_f32_16x16x16_bf16 v[2:5], v[18:19], v[26:27], v[2:5]
	v_mfma_f32_16x16x16_bf16 v[2:5], v[20:21], v[28:29], v[2:5]
	ds_read_b128 v[6:9], v48 offset:6144
	ds_read_b128 v[18:21], v48 offset:6160
	s_waitcnt lgkmcnt(0)
	s_barrier
	s_waitcnt vmcnt(1)
	v_mfma_f32_16x16x16_bf16 v[2:5], v[14:15], v[6:7], v[2:5]
	v_mfma_f32_16x16x16_bf16 v[2:5], v[16:17], v[8:9], v[2:5]
	s_waitcnt vmcnt(0)
	v_mfma_f32_16x16x16_bf16 v[2:5], v[10:11], v[18:19], v[2:5]
	v_mfma_f32_16x16x16_bf16 v[2:5], v[12:13], v[20:21], v[2:5]
	s_nop 6
	v_bfe_u32 v6, v3, 16, 1
	v_bfe_u32 v7, v2, 16, 1
	;; [unrolled: 1-line block ×4, first 2 shown]
	v_add3_u32 v2, v2, v7, s8
	v_add3_u32 v3, v3, v6, s8
	;; [unrolled: 1-line block ×4, first 2 shown]
	v_perm_b32 v2, v3, v2, s9
	v_perm_b32 v3, v5, v4, s9
	ds_write_b64 v1, v[2:3]
	s_waitcnt lgkmcnt(0)
	s_barrier
	s_and_saveexec_b64 s[8:9], s[4:5]
	s_cbranch_execz .LBB521_20
; %bb.18:
	s_load_dwordx2 s[4:5], s[0:1], 0x68
	s_lshl_b32 s0, s6, 6
	s_mul_i32 s1, s7, s2
	s_mul_hi_u32 s7, s1, s0
	s_mul_i32 s6, s1, s0
	v_lshlrev_b32_e32 v1, 10, v0
	v_lshlrev_b32_e32 v0, 4, v0
	s_lshl_b64 s[6:7], s[6:7], 1
	v_and_b32_e32 v1, 0x1800, v1
	v_lshlrev_b32_e32 v3, 5, v54
	v_and_b32_e32 v0, 16, v0
	s_waitcnt lgkmcnt(0)
	s_add_u32 s1, s4, s6
	v_or3_b32 v3, v1, v3, v0
	s_addc_u32 s4, s5, s7
	s_lshl_b32 s2, s28, 6
	s_lshl_b64 s[2:3], s[2:3], 1
	ds_read_b128 v[4:7], v3
	s_add_u32 s2, s1, s2
	s_addc_u32 s3, s4, s3
	v_add_u32_e32 v8, s42, v54
	v_or_b32_e32 v2, 4, v54
	v_lshl_add_u64 v[0:1], v[34:35], 1, s[2:3]
	v_mad_u64_u32 v[8:9], s[2:3], v8, s0, 0
	v_lshl_add_u64 v[8:9], v[8:9], 1, v[0:1]
	v_cmp_gt_u32_e32 vcc, 6, v2
	s_waitcnt lgkmcnt(0)
	global_store_dwordx4 v[8:9], v[4:7], off
	s_and_b64 exec, exec, vcc
	s_cbranch_execz .LBB521_20
; %bb.19:
	ds_read_b128 v[4:7], v3 offset:128
	v_add_u32_e32 v2, s42, v2
	v_mad_u64_u32 v[2:3], s[0:1], v2, s0, 0
	v_lshl_add_u64 v[0:1], v[2:3], 1, v[0:1]
	s_waitcnt lgkmcnt(0)
	global_store_dwordx4 v[0:1], v[4:7], off
.LBB521_20:
	s_endpgm
	.section	.rodata,"a",@progbits
	.p2align	6, 0x0
	.amdhsa_kernel _Z39paged_attention_ll4mi_QKV_mfma16_kernelI14__hip_bfloat16S0_LN4vllm18Fp8KVCacheDataTypeE0EhLi32ELi64ELi256ELb0ELi6EEvPKT_PKT0_S8_ifPKiSA_SA_iPKfiiiPfSD_PS3_PT2_iSC_SC_
		.amdhsa_group_segment_fixed_size 8192
		.amdhsa_private_segment_fixed_size 0
		.amdhsa_kernarg_size 400
		.amdhsa_user_sgpr_count 2
		.amdhsa_user_sgpr_dispatch_ptr 0
		.amdhsa_user_sgpr_queue_ptr 0
		.amdhsa_user_sgpr_kernarg_segment_ptr 1
		.amdhsa_user_sgpr_dispatch_id 0
		.amdhsa_user_sgpr_kernarg_preload_length 0
		.amdhsa_user_sgpr_kernarg_preload_offset 0
		.amdhsa_user_sgpr_private_segment_size 0
		.amdhsa_uses_dynamic_stack 0
		.amdhsa_enable_private_segment 0
		.amdhsa_system_sgpr_workgroup_id_x 1
		.amdhsa_system_sgpr_workgroup_id_y 1
		.amdhsa_system_sgpr_workgroup_id_z 1
		.amdhsa_system_sgpr_workgroup_info 0
		.amdhsa_system_vgpr_workitem_id 0
		.amdhsa_next_free_vgpr 67
		.amdhsa_next_free_sgpr 48
		.amdhsa_accum_offset 68
		.amdhsa_reserve_vcc 1
		.amdhsa_float_round_mode_32 0
		.amdhsa_float_round_mode_16_64 0
		.amdhsa_float_denorm_mode_32 3
		.amdhsa_float_denorm_mode_16_64 3
		.amdhsa_dx10_clamp 1
		.amdhsa_ieee_mode 1
		.amdhsa_fp16_overflow 0
		.amdhsa_tg_split 0
		.amdhsa_exception_fp_ieee_invalid_op 0
		.amdhsa_exception_fp_denorm_src 0
		.amdhsa_exception_fp_ieee_div_zero 0
		.amdhsa_exception_fp_ieee_overflow 0
		.amdhsa_exception_fp_ieee_underflow 0
		.amdhsa_exception_fp_ieee_inexact 0
		.amdhsa_exception_int_div_zero 0
	.end_amdhsa_kernel
	.section	.text._Z39paged_attention_ll4mi_QKV_mfma16_kernelI14__hip_bfloat16S0_LN4vllm18Fp8KVCacheDataTypeE0EhLi32ELi64ELi256ELb0ELi6EEvPKT_PKT0_S8_ifPKiSA_SA_iPKfiiiPfSD_PS3_PT2_iSC_SC_,"axG",@progbits,_Z39paged_attention_ll4mi_QKV_mfma16_kernelI14__hip_bfloat16S0_LN4vllm18Fp8KVCacheDataTypeE0EhLi32ELi64ELi256ELb0ELi6EEvPKT_PKT0_S8_ifPKiSA_SA_iPKfiiiPfSD_PS3_PT2_iSC_SC_,comdat
.Lfunc_end521:
	.size	_Z39paged_attention_ll4mi_QKV_mfma16_kernelI14__hip_bfloat16S0_LN4vllm18Fp8KVCacheDataTypeE0EhLi32ELi64ELi256ELb0ELi6EEvPKT_PKT0_S8_ifPKiSA_SA_iPKfiiiPfSD_PS3_PT2_iSC_SC_, .Lfunc_end521-_Z39paged_attention_ll4mi_QKV_mfma16_kernelI14__hip_bfloat16S0_LN4vllm18Fp8KVCacheDataTypeE0EhLi32ELi64ELi256ELb0ELi6EEvPKT_PKT0_S8_ifPKiSA_SA_iPKfiiiPfSD_PS3_PT2_iSC_SC_
                                        ; -- End function
	.section	.AMDGPU.csdata,"",@progbits
; Kernel info:
; codeLenInByte = 4168
; NumSgprs: 54
; NumVgprs: 67
; NumAgprs: 0
; TotalNumVgprs: 67
; ScratchSize: 0
; MemoryBound: 0
; FloatMode: 240
; IeeeMode: 1
; LDSByteSize: 8192 bytes/workgroup (compile time only)
; SGPRBlocks: 6
; VGPRBlocks: 8
; NumSGPRsForWavesPerEU: 54
; NumVGPRsForWavesPerEU: 67
; AccumOffset: 68
; Occupancy: 7
; WaveLimiterHint : 1
; COMPUTE_PGM_RSRC2:SCRATCH_EN: 0
; COMPUTE_PGM_RSRC2:USER_SGPR: 2
; COMPUTE_PGM_RSRC2:TRAP_HANDLER: 0
; COMPUTE_PGM_RSRC2:TGID_X_EN: 1
; COMPUTE_PGM_RSRC2:TGID_Y_EN: 1
; COMPUTE_PGM_RSRC2:TGID_Z_EN: 1
; COMPUTE_PGM_RSRC2:TIDIG_COMP_CNT: 0
; COMPUTE_PGM_RSRC3_GFX90A:ACCUM_OFFSET: 16
; COMPUTE_PGM_RSRC3_GFX90A:TG_SPLIT: 0
	.section	.text._Z39paged_attention_ll4mi_QKV_mfma16_kernelI14__hip_bfloat16S0_LN4vllm18Fp8KVCacheDataTypeE0EhLi32ELi64ELi256ELb0ELi7EEvPKT_PKT0_S8_ifPKiSA_SA_iPKfiiiPfSD_PS3_PT2_iSC_SC_,"axG",@progbits,_Z39paged_attention_ll4mi_QKV_mfma16_kernelI14__hip_bfloat16S0_LN4vllm18Fp8KVCacheDataTypeE0EhLi32ELi64ELi256ELb0ELi7EEvPKT_PKT0_S8_ifPKiSA_SA_iPKfiiiPfSD_PS3_PT2_iSC_SC_,comdat
	.protected	_Z39paged_attention_ll4mi_QKV_mfma16_kernelI14__hip_bfloat16S0_LN4vllm18Fp8KVCacheDataTypeE0EhLi32ELi64ELi256ELb0ELi7EEvPKT_PKT0_S8_ifPKiSA_SA_iPKfiiiPfSD_PS3_PT2_iSC_SC_ ; -- Begin function _Z39paged_attention_ll4mi_QKV_mfma16_kernelI14__hip_bfloat16S0_LN4vllm18Fp8KVCacheDataTypeE0EhLi32ELi64ELi256ELb0ELi7EEvPKT_PKT0_S8_ifPKiSA_SA_iPKfiiiPfSD_PS3_PT2_iSC_SC_
	.globl	_Z39paged_attention_ll4mi_QKV_mfma16_kernelI14__hip_bfloat16S0_LN4vllm18Fp8KVCacheDataTypeE0EhLi32ELi64ELi256ELb0ELi7EEvPKT_PKT0_S8_ifPKiSA_SA_iPKfiiiPfSD_PS3_PT2_iSC_SC_
	.p2align	8
	.type	_Z39paged_attention_ll4mi_QKV_mfma16_kernelI14__hip_bfloat16S0_LN4vllm18Fp8KVCacheDataTypeE0EhLi32ELi64ELi256ELb0ELi7EEvPKT_PKT0_S8_ifPKiSA_SA_iPKfiiiPfSD_PS3_PT2_iSC_SC_,@function
_Z39paged_attention_ll4mi_QKV_mfma16_kernelI14__hip_bfloat16S0_LN4vllm18Fp8KVCacheDataTypeE0EhLi32ELi64ELi256ELb0ELi7EEvPKT_PKT0_S8_ifPKiSA_SA_iPKfiiiPfSD_PS3_PT2_iSC_SC_: ; @_Z39paged_attention_ll4mi_QKV_mfma16_kernelI14__hip_bfloat16S0_LN4vllm18Fp8KVCacheDataTypeE0EhLi32ELi64ELi256ELb0ELi7EEvPKT_PKT0_S8_ifPKiSA_SA_iPKfiiiPfSD_PS3_PT2_iSC_SC_
; %bb.0:
	s_load_dwordx2 s[6:7], s[0:1], 0x30
	s_mov_b32 s28, s3
	s_mov_b64 s[10:11], 0
	s_waitcnt lgkmcnt(0)
	s_cmp_lg_u64 s[6:7], 0
	s_cselect_b64 s[8:9], -1, 0
	s_and_b64 vcc, exec, s[8:9]
	s_cbranch_vccz .LBB522_7
; %bb.1:
	s_add_i32 s12, s2, 1
	s_mov_b32 s13, 0
	s_lshl_b64 s[14:15], s[12:13], 2
	s_add_u32 s14, s6, s14
	s_mov_b32 s3, s13
	s_addc_u32 s15, s7, s15
	s_lshl_b64 s[12:13], s[2:3], 2
	s_add_u32 s12, s6, s12
	s_addc_u32 s13, s7, s13
	s_load_dword s5, s[14:15], 0x0
	s_load_dword s16, s[12:13], 0x0
	s_waitcnt lgkmcnt(0)
	s_sub_i32 s5, s5, s16
	s_cmp_eq_u32 s5, 1
	s_cselect_b64 s[12:13], -1, 0
	s_andn2_b64 vcc, exec, s[10:11]
	s_cbranch_vccnz .LBB522_3
.LBB522_2:
	s_mov_b32 s3, 0
	s_mov_b64 s[12:13], -1
.LBB522_3:
	s_andn2_b64 vcc, exec, s[12:13]
	s_cbranch_vccnz .LBB522_20
; %bb.4:
	s_load_dwordx2 s[12:13], s[0:1], 0x28
	s_lshl_b64 s[10:11], s[2:3], 2
	s_waitcnt lgkmcnt(0)
	s_add_u32 s12, s12, s10
	s_addc_u32 s13, s13, s11
	s_load_dword s33, s[12:13], 0x0
	s_lshl_b32 s14, s28, 8
	s_waitcnt lgkmcnt(0)
	s_cmp_ge_i32 s14, s33
	s_cbranch_scc1 .LBB522_20
; %bb.5:
	s_load_dwordx2 s[12:13], s[0:1], 0x20
	s_load_dword s5, s[0:1], 0x38
	s_add_i32 s15, s33, 31
	s_ashr_i32 s16, s15, 31
	v_and_b32_e32 v1, 0xcf, v0
	s_lshr_b32 s16, s16, 27
	v_add_u32_e32 v1, s14, v1
	s_add_i32 s15, s15, s16
	v_ashrrev_i32_e32 v2, 31, v1
	s_ashr_i32 s15, s15, 5
	v_lshrrev_b32_e32 v10, 27, v2
	s_add_i32 s15, s15, -1
	s_waitcnt lgkmcnt(0)
	s_mul_i32 s16, s2, s5
	s_mov_b32 s17, 0
	v_add_u32_e32 v2, v1, v10
	s_lshl_b64 s[16:17], s[16:17], 2
	v_ashrrev_i32_e32 v2, 5, v2
	v_mov_b32_e32 v11, s15
	v_cmp_gt_i32_e32 vcc, s33, v1
	s_add_u32 s12, s12, s16
	s_addc_u32 s13, s13, s17
	v_cndmask_b32_e32 v2, v11, v2, vcc
	v_ashrrev_i32_e32 v3, 31, v2
	v_lshl_add_u64 v[4:5], v[2:3], 2, s[12:13]
	v_or_b32_e32 v2, 16, v1
	v_add_u32_e32 v3, v2, v10
	v_ashrrev_i32_e32 v3, 5, v3
	v_cmp_gt_i32_e32 vcc, s33, v2
	s_nop 1
	v_cndmask_b32_e32 v2, v11, v3, vcc
	v_ashrrev_i32_e32 v3, 31, v2
	v_lshl_add_u64 v[6:7], v[2:3], 2, s[12:13]
	v_or_b32_e32 v2, 32, v1
	v_add_u32_e32 v3, v2, v10
	v_ashrrev_i32_e32 v3, 5, v3
	v_cmp_gt_i32_e32 vcc, s33, v2
	v_or_b32_e32 v1, 48, v1
	s_nop 0
	v_cndmask_b32_e32 v2, v11, v3, vcc
	v_ashrrev_i32_e32 v3, 31, v2
	v_lshl_add_u64 v[8:9], v[2:3], 2, s[12:13]
	v_add_u32_e32 v2, v1, v10
	v_ashrrev_i32_e32 v2, 5, v2
	v_cmp_gt_i32_e32 vcc, s33, v1
	s_nop 1
	v_cndmask_b32_e32 v2, v11, v2, vcc
	v_ashrrev_i32_e32 v3, 31, v2
	v_lshl_add_u64 v[12:13], v[2:3], 2, s[12:13]
	global_load_dword v3, v[4:5], off
	global_load_dword v2, v[6:7], off
	;; [unrolled: 1-line block ×4, first 2 shown]
	s_andn2_b64 vcc, exec, s[8:9]
	s_cbranch_vccnz .LBB522_8
; %bb.6:
	s_add_u32 s6, s6, s10
	s_addc_u32 s7, s7, s11
	s_load_dword s5, s[6:7], 0x0
	s_branch .LBB522_9
.LBB522_7:
	s_mov_b64 s[12:13], 0
	s_branch .LBB522_2
.LBB522_8:
	s_mov_b32 s5, s2
.LBB522_9:
	s_load_dwordx4 s[8:11], s[0:1], 0x8
	s_load_dwordx4 s[44:47], s[0:1], 0x48
	v_lshrrev_b32_e32 v1, 6, v0
	v_bfe_u32 v54, v0, 4, 2
	v_lshl_or_b32 v4, v1, 2, v54
	v_and_b32_e32 v36, 15, v0
	v_cmp_lt_u32_e32 vcc, 6, v4
	v_cmp_lt_u32_e64 s[6:7], 7, v36
	v_lshlrev_b32_e32 v34, 3, v36
	v_cmp_gt_u32_e64 s[30:31], 8, v36
	s_or_b64 s[6:7], s[6:7], vcc
	s_and_saveexec_b64 s[16:17], s[6:7]
	s_xor_b64 s[6:7], exec, s[16:17]
; %bb.10:
	v_mov_b32_e32 v35, 0
                                        ; implicit-def: $vgpr4
; %bb.11:
	s_or_saveexec_b64 s[6:7], s[6:7]
	v_and_b32_e32 v37, 63, v0
	s_mul_i32 s42, s4, 7
	s_xor_b64 exec, exec, s[6:7]
	s_cbranch_execz .LBB522_13
; %bb.12:
	s_load_dwordx2 s[16:17], s[0:1], 0x0
	s_waitcnt lgkmcnt(0)
	s_ashr_i32 s18, s44, 31
	s_mul_hi_u32 s19, s5, s44
	s_mul_i32 s18, s5, s18
	s_add_i32 s19, s19, s18
	s_mul_i32 s18, s5, s44
	s_lshl_b64 s[18:19], s[18:19], 1
	s_add_u32 s16, s16, s18
	v_add_lshl_u32 v6, v4, s42, 6
	s_addc_u32 s17, s17, s19
	v_ashrrev_i32_e32 v7, 31, v6
	v_mov_b32_e32 v35, 0
	v_lshl_add_u64 v[6:7], v[6:7], 1, s[16:17]
	v_lshlrev_b32_e32 v8, 1, v34
	v_mov_b32_e32 v9, v35
	v_lshl_add_u64 v[6:7], v[6:7], 0, v[8:9]
	global_load_dwordx4 v[6:9], v[6:7], off
	v_and_b32_e32 v5, 3, v0
	v_lshlrev_b32_e32 v11, 9, v36
	v_lshlrev_b32_e32 v4, 5, v4
	;; [unrolled: 1-line block ×3, first 2 shown]
	v_and_b32_e32 v11, 0x1800, v11
	v_or3_b32 v4, v11, v5, v4
	s_waitcnt vmcnt(0)
	ds_write_b128 v4, v[6:9]
.LBB522_13:
	s_or_b64 exec, exec, s[6:7]
	s_waitcnt lgkmcnt(0)
	s_mul_i32 s4, s4, s46
	s_mov_b32 s5, 0
	s_lshl_b64 s[4:5], s[4:5], 1
	s_add_u32 s8, s8, s4
	s_addc_u32 s9, s9, s5
	s_waitcnt vmcnt(3)
	v_mad_i64_i32 v[4:5], s[16:17], v3, s45, 0
	v_lshl_add_u64 v[4:5], v[4:5], 1, s[8:9]
	v_lshlrev_b64 v[12:13], 1, v[34:35]
	v_lshlrev_b32_e32 v38, 9, v54
	v_lshl_add_u64 v[4:5], v[4:5], 0, v[12:13]
	v_mov_b32_e32 v39, 0
	v_lshl_add_u64 v[14:15], v[4:5], 0, v[38:39]
	s_waitcnt vmcnt(2)
	v_mad_i64_i32 v[2:3], s[16:17], v2, s45, 0
	v_mov_b32_e32 v4, 0x100
	v_lshl_add_u64 v[2:3], v[2:3], 1, s[8:9]
	v_lshl_or_b32 v30, v36, 4, v4
	v_mov_b32_e32 v31, v39
	s_load_dword s29, s[0:1], 0x98
	s_load_dword s6, s[0:1], 0x1c
	s_waitcnt lgkmcnt(0)
	s_barrier
	v_lshl_add_u64 v[2:3], v[2:3], 0, v[30:31]
	global_load_dwordx4 v[6:9], v[14:15], off
	global_load_dwordx4 v[22:25], v[14:15], off offset:2048
	v_lshl_add_u64 v[18:19], v[2:3], 0, v[38:39]
	global_load_dwordx4 v[2:5], v[18:19], off
	global_load_dwordx4 v[26:29], v[18:19], off offset:2048
	s_waitcnt vmcnt(5)
	v_mad_i64_i32 v[10:11], s[16:17], v10, s45, 0
	v_lshl_add_u64 v[10:11], v[10:11], 1, s[8:9]
	v_lshl_add_u64 v[10:11], v[10:11], 0, v[12:13]
	;; [unrolled: 1-line block ×3, first 2 shown]
	global_load_dwordx4 v[10:13], v[32:33], off
	v_mul_lo_u16_e32 v20, 37, v36
	v_mov_b32_e32 v21, 7
	s_waitcnt vmcnt(5)
	v_mad_i64_i32 v[16:17], s[16:17], v16, s45, 0
	v_mul_lo_u16_sdwa v14, v20, v21 dst_sel:DWORD dst_unused:UNUSED_PAD src0_sel:BYTE_1 src1_sel:DWORD
	v_sub_u16_e32 v14, v36, v14
	v_lshl_add_u64 v[40:41], v[16:17], 1, s[8:9]
	v_and_b32_e32 v14, 0xff, v14
	v_lshl_add_u64 v[30:31], v[40:41], 0, v[30:31]
	v_lshl_add_u32 v14, v14, 5, v38
	v_lshl_add_u64 v[40:41], v[30:31], 0, v[38:39]
	ds_read_b128 v[18:21], v14
	ds_read_b128 v[14:17], v14 offset:2048
	global_load_dwordx4 v[30:33], v[32:33], off offset:2048
	s_ashr_i32 s7, s14, 31
	global_load_dwordx4 v[46:49], v[40:41], off
	global_load_dwordx4 v[60:63], v[40:41], off offset:2048
	v_and_or_b32 v55, v0, 48, s14
	s_lshr_b32 s7, s7, 27
	v_add_u32_e32 v42, s7, v55
	v_mov_b32_e32 v64, s15
	v_or_b32_e32 v50, 64, v55
	v_ashrrev_i32_e32 v38, 5, v42
	v_cmp_gt_i32_e32 vcc, s33, v55
	v_add_u32_e32 v43, s7, v50
	v_ashrrev_i32_e32 v51, 5, v43
	v_cndmask_b32_e32 v42, v64, v38, vcc
	v_ashrrev_i32_e32 v43, 31, v42
	v_lshl_add_u64 v[42:43], v[42:43], 2, s[12:13]
	v_cmp_gt_i32_e32 vcc, s33, v50
	global_load_dword v65, v[42:43], off
	v_or_b32_e32 v40, 0x80, v55
	v_and_b32_e32 v38, 16, v0
	s_add_u32 s4, s10, s4
	v_lshlrev_b32_e32 v41, 6, v36
	s_addc_u32 s5, s11, s5
	v_lshlrev_b32_e32 v38, 1, v38
	s_mov_b32 s43, 0xff7fffff
	s_waitcnt vmcnt(8) lgkmcnt(1)
	v_mfma_f32_16x16x16_bf16 v[42:45], v[6:7], v[18:19], 0
	v_cndmask_b32_e32 v6, v64, v51, vcc
	v_ashrrev_i32_e32 v7, 31, v6
	v_cmp_gt_i32_e32 vcc, s33, v40
	s_waitcnt vmcnt(6)
	v_mfma_f32_16x16x16_bf16 v[50:53], v[2:3], v[18:19], 0
	v_lshl_add_u64 v[2:3], v[6:7], 2, s[12:13]
	global_load_dword v66, v[2:3], off
	v_mfma_f32_16x16x16_bf16 v[6:9], v[8:9], v[20:21], v[42:45]
	v_mfma_f32_16x16x16_bf16 v[2:5], v[4:5], v[20:21], v[50:53]
	s_nop 1
	v_or_b32_e32 v42, 0xc0, v55
	v_add_u32_e32 v43, s7, v40
	v_add_u32_e32 v44, s7, v42
	s_waitcnt lgkmcnt(0)
	v_mfma_f32_16x16x16_bf16 v[6:9], v[22:23], v[14:15], v[6:9]
	v_ashrrev_i32_e32 v43, 5, v43
	v_ashrrev_i32_e32 v44, 5, v44
	v_cndmask_b32_e32 v40, v64, v43, vcc
	s_waitcnt vmcnt(5)
	v_mfma_f32_16x16x16_bf16 v[56:59], v[10:11], v[18:19], 0
	v_cmp_gt_i32_e32 vcc, s33, v42
	v_mfma_f32_16x16x16_bf16 v[2:5], v[26:27], v[14:15], v[2:5]
	s_nop 0
	v_cndmask_b32_e32 v42, v64, v44, vcc
	v_lshl_add_u64 v[44:45], s[4:5], 0, v[38:39]
	v_lshl_or_b32 v38, v1, 10, v41
	v_ashrrev_i32_e32 v41, 31, v40
	v_mfma_f32_16x16x16_bf16 v[22:25], v[24:25], v[16:17], v[6:9]
	v_ashrrev_i32_e32 v43, 31, v42
	s_nop 1
	v_lshl_add_u64 v[6:7], v[40:41], 2, s[12:13]
	v_mfma_f32_16x16x16_bf16 v[10:13], v[12:13], v[20:21], v[56:59]
	s_nop 1
	v_pk_mul_f32 v[50:51], s[6:7], v[24:25] op_sel_hi:[0,1]
	v_mfma_f32_16x16x16_bf16 v[26:29], v[28:29], v[16:17], v[2:5]
	s_nop 2
	v_lshl_add_u64 v[2:3], v[42:43], 2, s[12:13]
	global_load_dword v55, v[6:7], off
	global_load_dword v58, v[2:3], off
	s_waitcnt vmcnt(6)
	v_mfma_f32_16x16x16_bf16 v[2:5], v[30:31], v[14:15], v[10:13]
	s_waitcnt vmcnt(3)
	v_mad_i64_i32 v[6:7], s[4:5], v65, s45, 0
	v_pk_mul_f32 v[42:43], s[6:7], v[26:27] op_sel_hi:[0,1]
	v_lshl_add_u64 v[10:11], v[44:45], 0, v[38:39]
	v_mfma_f32_16x16x16_bf16 v[38:41], v[46:47], v[18:19], 0
	v_pk_mul_f32 v[52:53], s[6:7], v[28:29] op_sel_hi:[0,1]
	s_waitcnt vmcnt(2)
	v_mad_i64_i32 v[12:13], s[4:5], v66, s45, 0
	v_mfma_f32_16x16x16_bf16 v[18:21], v[48:49], v[20:21], v[38:41]
	v_lshl_add_u64 v[56:57], v[12:13], 1, v[10:11]
	v_pk_mul_f32 v[12:13], s[6:7], v[22:23] op_sel_hi:[0,1]
	v_mfma_f32_16x16x16_bf16 v[18:21], v[60:61], v[14:15], v[18:21]
	v_mfma_f32_16x16x16_bf16 v[30:33], v[32:33], v[16:17], v[2:5]
	;; [unrolled: 1-line block ×3, first 2 shown]
	s_nop 1
	v_lshl_add_u64 v[2:3], v[6:7], 1, v[10:11]
	s_nop 2
	v_pk_mul_f32 v[46:47], s[6:7], v[30:31] op_sel_hi:[0,1]
	v_pk_mul_f32 v[48:49], s[6:7], v[32:33] op_sel_hi:[0,1]
	global_load_dwordx4 v[6:9], v[2:3], off
	s_nop 0
	global_load_dwordx4 v[2:5], v[2:3], off offset:16
	v_pk_mul_f32 v[44:45], s[6:7], v[14:15] op_sel_hi:[0,1]
	v_and_b32_e32 v14, 0xc0, v0
	v_add_u32_e32 v14, s14, v14
	v_lshl_or_b32 v14, v54, 2, v14
	v_pk_mul_f32 v[38:39], s[6:7], v[16:17] op_sel_hi:[0,1]
	v_or_b32_e32 v17, 1, v14
	v_mov_b32_e32 v15, 0xff7fffff
	v_cmp_gt_i32_e64 s[4:5], s33, v14
	v_cmp_gt_i32_e64 s[34:35], s33, v17
	v_or_b32_e32 v18, 3, v14
	v_cndmask_b32_e64 v16, v15, v12, s[4:5]
	v_cndmask_b32_e64 v17, v15, v13, s[34:35]
	v_max3_f32 v16, v16, s43, v17
	v_or_b32_e32 v17, 2, v14
	v_cmp_gt_i32_e64 s[36:37], s33, v17
	v_cmp_gt_i32_e64 s[38:39], s33, v18
	global_load_dwordx4 v[30:33], v[56:57], off
	global_load_dwordx4 v[26:29], v[56:57], off offset:16
	v_cndmask_b32_e64 v17, v15, v50, s[36:37]
	v_cndmask_b32_e64 v18, v15, v51, s[38:39]
	v_max3_f32 v16, v16, v17, v18
	v_or_b32_e32 v17, 16, v14
	v_or_b32_e32 v18, 17, v14
	v_cmp_gt_i32_e64 s[24:25], s33, v17
	v_cmp_gt_i32_e64 s[26:27], s33, v18
	s_nop 0
	v_cndmask_b32_e64 v17, v15, v42, s[24:25]
	v_cndmask_b32_e64 v18, v15, v43, s[26:27]
	v_max3_f32 v16, v16, v17, v18
	v_or_b32_e32 v17, 18, v14
	v_or_b32_e32 v18, 19, v14
	v_cmp_gt_i32_e64 s[20:21], s33, v17
	v_cmp_gt_i32_e64 s[22:23], s33, v18
	s_nop 0
	;; [unrolled: 8-line block ×5, first 2 shown]
	v_cndmask_b32_e64 v17, v15, v44, s[8:9]
	v_cndmask_b32_e64 v18, v15, v45, s[10:11]
	v_max3_f32 v16, v16, v17, v18
	v_or_b32_e32 v17, 50, v14
	v_or_b32_e32 v14, 51, v14
	v_cmp_gt_i32_e32 vcc, s33, v17
	v_cmp_gt_i32_e64 s[6:7], s33, v14
	s_nop 0
	v_cndmask_b32_e32 v17, v15, v38, vcc
	v_cndmask_b32_e64 v14, v15, v39, s[6:7]
	v_max3_f32 v16, v16, v17, v14
	v_mbcnt_lo_u32_b32 v14, -1, 0
	v_mbcnt_hi_u32_b32 v17, -1, v14
	v_and_b32_e32 v14, 64, v17
	v_add_u32_e32 v18, 64, v14
	v_xor_b32_e32 v14, 32, v17
	v_cmp_lt_i32_e64 s[40:41], v14, v18
	s_nop 1
	v_cndmask_b32_e64 v14, v17, v14, s[40:41]
	v_lshlrev_b32_e32 v59, 2, v14
	ds_bpermute_b32 v19, v59, v16
	s_waitcnt vmcnt(5)
	v_mad_i64_i32 v[14:15], s[40:41], v55, s45, 0
	v_lshl_add_u64 v[14:15], v[14:15], 1, v[10:11]
	s_waitcnt lgkmcnt(0)
	v_max_f32_e32 v19, v19, v19
	v_max_f32_e32 v16, v16, v19
	v_xor_b32_e32 v19, 16, v17
	v_cmp_lt_i32_e64 s[40:41], v19, v18
	s_nop 1
	v_cndmask_b32_e64 v17, v17, v19, s[40:41]
	v_lshlrev_b32_e32 v57, 2, v17
	ds_bpermute_b32 v17, v57, v16
	global_load_dwordx4 v[22:25], v[14:15], off
	global_load_dwordx4 v[18:21], v[14:15], off offset:16
	s_waitcnt vmcnt(6)
	v_mad_i64_i32 v[14:15], s[40:41], v58, s45, 0
	v_lshl_add_u64 v[10:11], v[14:15], 1, v[10:11]
	s_waitcnt lgkmcnt(0)
	v_max_f32_e32 v14, v17, v17
	v_max_f32_e32 v55, v16, v14
	v_sub_f32_e32 v12, v12, v55
	v_mul_f32_e32 v12, 0x3fb8aa3b, v12
	v_exp_f32_e32 v40, v12
	v_sub_f32_e32 v12, v13, v55
	v_mul_f32_e32 v12, 0x3fb8aa3b, v12
	v_exp_f32_e32 v41, v12
	global_load_dwordx4 v[14:17], v[10:11], off
	s_nop 0
	global_load_dwordx4 v[10:13], v[10:11], off offset:16
	v_sub_f32_e32 v50, v50, v55
	v_mul_f32_e32 v50, 0x3fb8aa3b, v50
	v_sub_f32_e32 v51, v51, v55
	v_exp_f32_e32 v50, v50
	v_mul_f32_e32 v51, 0x3fb8aa3b, v51
	v_sub_f32_e32 v42, v42, v55
	v_exp_f32_e32 v51, v51
	v_mul_f32_e32 v42, 0x3fb8aa3b, v42
	v_sub_f32_e32 v43, v43, v55
	v_cndmask_b32_e64 v40, 0, v40, s[4:5]
	v_exp_f32_e32 v42, v42
	v_mul_f32_e32 v43, 0x3fb8aa3b, v43
	v_sub_f32_e32 v52, v52, v55
	v_add_f32_e32 v56, 0, v40
	v_cndmask_b32_e64 v41, 0, v41, s[34:35]
	v_exp_f32_e32 v43, v43
	v_mul_f32_e32 v52, 0x3fb8aa3b, v52
	v_sub_f32_e32 v53, v53, v55
	v_add_f32_e32 v56, v56, v41
	;; [unrolled: 5-line block ×10, first 2 shown]
	v_cndmask_b32_e64 v48, 0, v48, s[12:13]
	v_exp_f32_e32 v38, v38
	v_mul_f32_e32 v39, 0x3fb8aa3b, v39
	v_add_f32_e32 v56, v56, v48
	v_cndmask_b32_e64 v49, 0, v49, s[14:15]
	v_exp_f32_e32 v39, v39
	v_add_f32_e32 v56, v56, v49
	v_cndmask_b32_e64 v44, 0, v44, s[8:9]
	v_add_f32_e32 v56, v56, v44
	v_cndmask_b32_e64 v45, 0, v45, s[10:11]
	v_add_f32_e32 v56, v56, v45
	v_cndmask_b32_e32 v38, 0, v38, vcc
	v_add_f32_e32 v56, v56, v38
	v_cndmask_b32_e64 v39, 0, v39, s[6:7]
	v_add_f32_e32 v56, v56, v39
	ds_bpermute_b32 v58, v59, v56
	v_cmp_gt_u32_e32 vcc, 16, v37
	v_lshlrev_b32_e32 v37, 2, v36
	s_waitcnt lgkmcnt(0)
	s_barrier
	v_add_f32_e32 v56, v56, v58
	ds_bpermute_b32 v57, v57, v56
	s_waitcnt lgkmcnt(0)
	s_and_saveexec_b64 s[4:5], vcc
	s_cbranch_execz .LBB522_15
; %bb.14:
	v_add_f32_e32 v56, v56, v57
	v_lshl_or_b32 v57, v1, 6, v37
	ds_write2st64_b32 v57, v55, v56 offset1:1
.LBB522_15:
	s_or_b64 exec, exec, s[4:5]
	s_load_dword s6, s[0:1], 0x94
	s_waitcnt lgkmcnt(0)
	s_barrier
	ds_read2_b32 v[56:57], v37 offset1:16
	ds_read2_b32 v[58:59], v37 offset0:32 offset1:48
	ds_read2_b32 v[60:61], v37 offset0:64 offset1:80
	;; [unrolled: 1-line block ×3, first 2 shown]
	s_movk_i32 s8, 0x7fff
	s_waitcnt lgkmcnt(3)
	v_max3_f32 v55, v56, s43, v57
	s_waitcnt lgkmcnt(2)
	v_max3_f32 v55, v55, v58, v59
	v_sub_f32_e32 v56, v56, v55
	v_mul_f32_e32 v56, 0x3fb8aa3b, v56
	v_exp_f32_e32 v64, v56
	v_sub_f32_e32 v56, v57, v55
	v_mul_f32_e32 v56, 0x3fb8aa3b, v56
	v_exp_f32_e32 v57, v56
	v_sub_f32_e32 v56, v58, v55
	v_mul_f32_e32 v56, 0x3fb8aa3b, v56
	v_sub_f32_e32 v37, v59, v55
	v_exp_f32_e32 v58, v56
	v_mul_f32_e32 v37, 0x3fb8aa3b, v37
	v_exp_f32_e32 v37, v37
	s_waitcnt lgkmcnt(1)
	v_fma_f32 v56, v64, v60, 0
	v_fmac_f32_e32 v56, v57, v61
	s_waitcnt lgkmcnt(0)
	v_fmac_f32_e32 v56, v58, v62
	v_fmac_f32_e32 v56, v37, v63
	v_add_f32_e32 v59, 0x358637bd, v56
	v_div_scale_f32 v60, s[4:5], v59, v59, 1.0
	v_rcp_f32_e32 v61, v60
	s_mov_b32 s9, 0x7060302
	s_barrier
	v_fma_f32 v62, -v60, v61, 1.0
	v_fmac_f32_e32 v61, v62, v61
	v_div_scale_f32 v62, vcc, 1.0, v59, 1.0
	v_mul_f32_e32 v63, v62, v61
	v_fma_f32 v65, -v60, v63, v62
	v_fmac_f32_e32 v63, v65, v61
	v_fma_f32 v60, -v60, v63, v62
	v_div_fmas_f32 v60, v60, v61, v63
	v_cmp_eq_u32_e32 vcc, 1, v1
	v_div_fixup_f32 v59, v60, v59, 1.0
	s_nop 0
	v_cndmask_b32_e32 v57, v64, v57, vcc
	v_cmp_eq_u32_e32 vcc, 2, v1
	s_mul_i32 s7, s29, 7
	s_nop 0
	v_cndmask_b32_e32 v57, v57, v58, vcc
	v_cmp_eq_u32_e32 vcc, 3, v1
	v_lshlrev_b32_e32 v1, 11, v1
	s_nop 0
	v_cndmask_b32_e32 v37, v57, v37, vcc
	v_mul_f32_e32 v58, v37, v59
	v_pk_mul_f32 v[40:41], v[58:59], v[40:41] op_sel_hi:[0,1]
	v_bfe_u32 v37, v41, 16, 1
	v_bfe_u32 v57, v40, 16, 1
	v_pk_mul_f32 v[50:51], v[58:59], v[50:51] op_sel_hi:[0,1]
	v_add3_u32 v40, v40, v57, s8
	v_add3_u32 v37, v41, v37, s8
	v_perm_b32 v60, v37, v40, s9
	v_bfe_u32 v37, v51, 16, 1
	v_bfe_u32 v40, v50, 16, 1
	v_add3_u32 v40, v50, v40, s8
	v_add3_u32 v37, v51, v37, s8
	v_perm_b32 v61, v37, v40, s9
	v_lshlrev_b32_e32 v37, 3, v54
	v_lshlrev_b32_e32 v40, 5, v36
	v_pk_mul_f32 v[42:43], v[58:59], v[42:43] op_sel_hi:[0,1]
	v_or3_b32 v1, v1, v40, v37
	v_bfe_u32 v37, v43, 16, 1
	v_bfe_u32 v41, v42, 16, 1
	v_pk_mul_f32 v[50:51], v[58:59], v[52:53] op_sel_hi:[0,1]
	v_add3_u32 v41, v42, v41, s8
	v_add3_u32 v37, v43, v37, s8
	v_perm_b32 v42, v37, v41, s9
	v_bfe_u32 v37, v51, 16, 1
	v_bfe_u32 v41, v50, 16, 1
	v_add3_u32 v41, v50, v41, s8
	v_add3_u32 v37, v51, v37, s8
	v_pk_mul_f32 v[46:47], v[58:59], v[46:47] op_sel_hi:[0,1]
	v_perm_b32 v43, v37, v41, s9
	v_bfe_u32 v37, v47, 16, 1
	v_bfe_u32 v41, v46, 16, 1
	ds_write2st64_b64 v1, v[60:61], v[42:43] offset1:1
	v_pk_mul_f32 v[42:43], v[58:59], v[48:49] op_sel_hi:[0,1]
	v_add3_u32 v41, v46, v41, s8
	v_add3_u32 v37, v47, v37, s8
	v_perm_b32 v46, v37, v41, s9
	v_bfe_u32 v37, v43, 16, 1
	v_bfe_u32 v41, v42, 16, 1
	v_add3_u32 v41, v42, v41, s8
	v_add3_u32 v37, v43, v37, s8
	v_pk_mul_f32 v[42:43], v[58:59], v[44:45] op_sel_hi:[0,1]
	v_perm_b32 v47, v37, v41, s9
	v_bfe_u32 v37, v43, 16, 1
	v_bfe_u32 v41, v42, 16, 1
	v_pk_mul_f32 v[38:39], v[58:59], v[38:39] op_sel_hi:[0,1]
	v_add3_u32 v41, v42, v41, s8
	v_add3_u32 v37, v43, v37, s8
	v_perm_b32 v42, v37, v41, s9
	v_bfe_u32 v37, v39, 16, 1
	v_bfe_u32 v41, v38, 16, 1
	v_add3_u32 v38, v38, v41, s8
	v_add3_u32 v37, v39, v37, s8
	v_perm_b32 v43, v37, v38, s9
	v_cmp_gt_u32_e32 vcc, 7, v0
	ds_write2st64_b64 v1, v[46:47], v[42:43] offset0:2 offset1:3
	s_and_saveexec_b64 s[4:5], vcc
	s_cbranch_execz .LBB522_17
; %bb.16:
	s_mov_b32 s43, 0
	v_mov_b32_e32 v37, 0
	v_lshl_add_u64 v[38:39], s[42:43], 0, v[36:37]
	v_mov_b32_e32 v36, s7
	v_mad_u64_u32 v[38:39], s[10:11], s2, v36, v[38:39]
	v_mov_b32_e32 v36, s28
	s_load_dwordx4 s[12:15], s[0:1], 0x58
	s_mul_i32 s3, s3, s7
	v_mad_u64_u32 v[36:37], s[10:11], v38, s6, v[36:37]
	v_add_u32_e32 v39, s3, v39
	v_mov_b32_e32 v38, v37
	v_mad_u64_u32 v[38:39], s[10:11], v39, s6, v[38:39]
	v_mov_b32_e32 v37, v38
	v_lshlrev_b64 v[36:37], 2, v[36:37]
	s_waitcnt lgkmcnt(0)
	v_lshl_add_u64 v[38:39], s[14:15], 0, v[36:37]
	v_lshl_add_u64 v[36:37], s[12:13], 0, v[36:37]
	global_store_dword v[38:39], v55, off
	global_store_dword v[36:37], v56, off
.LBB522_17:
	s_or_b64 exec, exec, s[4:5]
	v_lshl_or_b32 v48, v54, 9, v40
	s_waitcnt lgkmcnt(0)
	s_barrier
	ds_read_b128 v[36:39], v48
	ds_read_b128 v[40:43], v48 offset:16
	s_waitcnt vmcnt(7) lgkmcnt(1)
	v_mfma_f32_16x16x16_bf16 v[44:47], v[6:7], v[36:37], 0
	v_cmp_gt_u32_e32 vcc, 64, v0
	s_mov_b32 s3, 0
	s_and_b64 s[4:5], vcc, s[30:31]
	v_mfma_f32_16x16x16_bf16 v[6:9], v[8:9], v[38:39], v[44:47]
	s_waitcnt vmcnt(6) lgkmcnt(0)
	v_mfma_f32_16x16x16_bf16 v[6:9], v[2:3], v[40:41], v[6:9]
	v_mfma_f32_16x16x16_bf16 v[2:5], v[4:5], v[42:43], v[6:9]
	s_nop 5
	ds_read_b128 v[6:9], v48 offset:2048
	ds_read_b128 v[36:39], v48 offset:2064
	s_waitcnt vmcnt(5) lgkmcnt(1)
	v_mfma_f32_16x16x16_bf16 v[2:5], v[30:31], v[6:7], v[2:5]
	v_mfma_f32_16x16x16_bf16 v[2:5], v[32:33], v[8:9], v[2:5]
	s_waitcnt vmcnt(4) lgkmcnt(0)
	v_mfma_f32_16x16x16_bf16 v[2:5], v[26:27], v[36:37], v[2:5]
	v_mfma_f32_16x16x16_bf16 v[2:5], v[28:29], v[38:39], v[2:5]
	ds_read_b128 v[6:9], v48 offset:4096
	ds_read_b128 v[26:29], v48 offset:4112
	s_waitcnt vmcnt(3) lgkmcnt(1)
	v_mfma_f32_16x16x16_bf16 v[2:5], v[22:23], v[6:7], v[2:5]
	v_mfma_f32_16x16x16_bf16 v[2:5], v[24:25], v[8:9], v[2:5]
	s_waitcnt vmcnt(2) lgkmcnt(0)
	v_mfma_f32_16x16x16_bf16 v[2:5], v[18:19], v[26:27], v[2:5]
	v_mfma_f32_16x16x16_bf16 v[2:5], v[20:21], v[28:29], v[2:5]
	ds_read_b128 v[6:9], v48 offset:6144
	ds_read_b128 v[18:21], v48 offset:6160
	s_waitcnt lgkmcnt(0)
	s_barrier
	s_waitcnt vmcnt(1)
	v_mfma_f32_16x16x16_bf16 v[2:5], v[14:15], v[6:7], v[2:5]
	v_mfma_f32_16x16x16_bf16 v[2:5], v[16:17], v[8:9], v[2:5]
	s_waitcnt vmcnt(0)
	v_mfma_f32_16x16x16_bf16 v[2:5], v[10:11], v[18:19], v[2:5]
	v_mfma_f32_16x16x16_bf16 v[2:5], v[12:13], v[20:21], v[2:5]
	s_nop 6
	v_bfe_u32 v6, v3, 16, 1
	v_bfe_u32 v7, v2, 16, 1
	;; [unrolled: 1-line block ×4, first 2 shown]
	v_add3_u32 v2, v2, v7, s8
	v_add3_u32 v3, v3, v6, s8
	;; [unrolled: 1-line block ×4, first 2 shown]
	v_perm_b32 v2, v3, v2, s9
	v_perm_b32 v3, v5, v4, s9
	ds_write_b64 v1, v[2:3]
	s_waitcnt lgkmcnt(0)
	s_barrier
	s_and_saveexec_b64 s[8:9], s[4:5]
	s_cbranch_execz .LBB522_20
; %bb.18:
	s_load_dwordx2 s[4:5], s[0:1], 0x68
	s_lshl_b32 s0, s6, 6
	s_mul_i32 s1, s7, s2
	s_mul_hi_u32 s7, s1, s0
	s_mul_i32 s6, s1, s0
	v_lshlrev_b32_e32 v1, 10, v0
	v_lshlrev_b32_e32 v0, 4, v0
	s_lshl_b64 s[6:7], s[6:7], 1
	v_and_b32_e32 v1, 0x1800, v1
	v_lshlrev_b32_e32 v2, 5, v54
	v_and_b32_e32 v0, 16, v0
	s_waitcnt lgkmcnt(0)
	s_add_u32 s1, s4, s6
	v_or3_b32 v2, v1, v2, v0
	s_addc_u32 s4, s5, s7
	s_lshl_b32 s2, s28, 6
	s_lshl_b64 s[2:3], s[2:3], 1
	ds_read_b128 v[4:7], v2
	s_add_u32 s2, s1, s2
	s_addc_u32 s3, s4, s3
	v_add_u32_e32 v3, s42, v54
	v_lshl_add_u64 v[0:1], v[34:35], 1, s[2:3]
	v_mad_u64_u32 v[8:9], s[2:3], v3, s0, 0
	v_lshl_add_u64 v[8:9], v[8:9], 1, v[0:1]
	v_cmp_ne_u32_e32 vcc, 3, v54
	s_waitcnt lgkmcnt(0)
	global_store_dwordx4 v[8:9], v[4:7], off
	s_and_b64 exec, exec, vcc
	s_cbranch_execz .LBB522_20
; %bb.19:
	ds_read_b128 v[2:5], v2 offset:128
	v_add3_u32 v6, s42, v54, 4
	v_mad_u64_u32 v[6:7], s[0:1], v6, s0, 0
	v_lshl_add_u64 v[0:1], v[6:7], 1, v[0:1]
	s_waitcnt lgkmcnt(0)
	global_store_dwordx4 v[0:1], v[2:5], off
.LBB522_20:
	s_endpgm
	.section	.rodata,"a",@progbits
	.p2align	6, 0x0
	.amdhsa_kernel _Z39paged_attention_ll4mi_QKV_mfma16_kernelI14__hip_bfloat16S0_LN4vllm18Fp8KVCacheDataTypeE0EhLi32ELi64ELi256ELb0ELi7EEvPKT_PKT0_S8_ifPKiSA_SA_iPKfiiiPfSD_PS3_PT2_iSC_SC_
		.amdhsa_group_segment_fixed_size 8192
		.amdhsa_private_segment_fixed_size 0
		.amdhsa_kernarg_size 400
		.amdhsa_user_sgpr_count 2
		.amdhsa_user_sgpr_dispatch_ptr 0
		.amdhsa_user_sgpr_queue_ptr 0
		.amdhsa_user_sgpr_kernarg_segment_ptr 1
		.amdhsa_user_sgpr_dispatch_id 0
		.amdhsa_user_sgpr_kernarg_preload_length 0
		.amdhsa_user_sgpr_kernarg_preload_offset 0
		.amdhsa_user_sgpr_private_segment_size 0
		.amdhsa_uses_dynamic_stack 0
		.amdhsa_enable_private_segment 0
		.amdhsa_system_sgpr_workgroup_id_x 1
		.amdhsa_system_sgpr_workgroup_id_y 1
		.amdhsa_system_sgpr_workgroup_id_z 1
		.amdhsa_system_sgpr_workgroup_info 0
		.amdhsa_system_vgpr_workitem_id 0
		.amdhsa_next_free_vgpr 67
		.amdhsa_next_free_sgpr 48
		.amdhsa_accum_offset 68
		.amdhsa_reserve_vcc 1
		.amdhsa_float_round_mode_32 0
		.amdhsa_float_round_mode_16_64 0
		.amdhsa_float_denorm_mode_32 3
		.amdhsa_float_denorm_mode_16_64 3
		.amdhsa_dx10_clamp 1
		.amdhsa_ieee_mode 1
		.amdhsa_fp16_overflow 0
		.amdhsa_tg_split 0
		.amdhsa_exception_fp_ieee_invalid_op 0
		.amdhsa_exception_fp_denorm_src 0
		.amdhsa_exception_fp_ieee_div_zero 0
		.amdhsa_exception_fp_ieee_overflow 0
		.amdhsa_exception_fp_ieee_underflow 0
		.amdhsa_exception_fp_ieee_inexact 0
		.amdhsa_exception_int_div_zero 0
	.end_amdhsa_kernel
	.section	.text._Z39paged_attention_ll4mi_QKV_mfma16_kernelI14__hip_bfloat16S0_LN4vllm18Fp8KVCacheDataTypeE0EhLi32ELi64ELi256ELb0ELi7EEvPKT_PKT0_S8_ifPKiSA_SA_iPKfiiiPfSD_PS3_PT2_iSC_SC_,"axG",@progbits,_Z39paged_attention_ll4mi_QKV_mfma16_kernelI14__hip_bfloat16S0_LN4vllm18Fp8KVCacheDataTypeE0EhLi32ELi64ELi256ELb0ELi7EEvPKT_PKT0_S8_ifPKiSA_SA_iPKfiiiPfSD_PS3_PT2_iSC_SC_,comdat
.Lfunc_end522:
	.size	_Z39paged_attention_ll4mi_QKV_mfma16_kernelI14__hip_bfloat16S0_LN4vllm18Fp8KVCacheDataTypeE0EhLi32ELi64ELi256ELb0ELi7EEvPKT_PKT0_S8_ifPKiSA_SA_iPKfiiiPfSD_PS3_PT2_iSC_SC_, .Lfunc_end522-_Z39paged_attention_ll4mi_QKV_mfma16_kernelI14__hip_bfloat16S0_LN4vllm18Fp8KVCacheDataTypeE0EhLi32ELi64ELi256ELb0ELi7EEvPKT_PKT0_S8_ifPKiSA_SA_iPKfiiiPfSD_PS3_PT2_iSC_SC_
                                        ; -- End function
	.section	.AMDGPU.csdata,"",@progbits
; Kernel info:
; codeLenInByte = 4168
; NumSgprs: 54
; NumVgprs: 67
; NumAgprs: 0
; TotalNumVgprs: 67
; ScratchSize: 0
; MemoryBound: 0
; FloatMode: 240
; IeeeMode: 1
; LDSByteSize: 8192 bytes/workgroup (compile time only)
; SGPRBlocks: 6
; VGPRBlocks: 8
; NumSGPRsForWavesPerEU: 54
; NumVGPRsForWavesPerEU: 67
; AccumOffset: 68
; Occupancy: 7
; WaveLimiterHint : 1
; COMPUTE_PGM_RSRC2:SCRATCH_EN: 0
; COMPUTE_PGM_RSRC2:USER_SGPR: 2
; COMPUTE_PGM_RSRC2:TRAP_HANDLER: 0
; COMPUTE_PGM_RSRC2:TGID_X_EN: 1
; COMPUTE_PGM_RSRC2:TGID_Y_EN: 1
; COMPUTE_PGM_RSRC2:TGID_Z_EN: 1
; COMPUTE_PGM_RSRC2:TIDIG_COMP_CNT: 0
; COMPUTE_PGM_RSRC3_GFX90A:ACCUM_OFFSET: 16
; COMPUTE_PGM_RSRC3_GFX90A:TG_SPLIT: 0
	.section	.text._Z39paged_attention_ll4mi_QKV_mfma16_kernelI14__hip_bfloat16S0_LN4vllm18Fp8KVCacheDataTypeE0EhLi32ELi64ELi256ELb0ELi8EEvPKT_PKT0_S8_ifPKiSA_SA_iPKfiiiPfSD_PS3_PT2_iSC_SC_,"axG",@progbits,_Z39paged_attention_ll4mi_QKV_mfma16_kernelI14__hip_bfloat16S0_LN4vllm18Fp8KVCacheDataTypeE0EhLi32ELi64ELi256ELb0ELi8EEvPKT_PKT0_S8_ifPKiSA_SA_iPKfiiiPfSD_PS3_PT2_iSC_SC_,comdat
	.protected	_Z39paged_attention_ll4mi_QKV_mfma16_kernelI14__hip_bfloat16S0_LN4vllm18Fp8KVCacheDataTypeE0EhLi32ELi64ELi256ELb0ELi8EEvPKT_PKT0_S8_ifPKiSA_SA_iPKfiiiPfSD_PS3_PT2_iSC_SC_ ; -- Begin function _Z39paged_attention_ll4mi_QKV_mfma16_kernelI14__hip_bfloat16S0_LN4vllm18Fp8KVCacheDataTypeE0EhLi32ELi64ELi256ELb0ELi8EEvPKT_PKT0_S8_ifPKiSA_SA_iPKfiiiPfSD_PS3_PT2_iSC_SC_
	.globl	_Z39paged_attention_ll4mi_QKV_mfma16_kernelI14__hip_bfloat16S0_LN4vllm18Fp8KVCacheDataTypeE0EhLi32ELi64ELi256ELb0ELi8EEvPKT_PKT0_S8_ifPKiSA_SA_iPKfiiiPfSD_PS3_PT2_iSC_SC_
	.p2align	8
	.type	_Z39paged_attention_ll4mi_QKV_mfma16_kernelI14__hip_bfloat16S0_LN4vllm18Fp8KVCacheDataTypeE0EhLi32ELi64ELi256ELb0ELi8EEvPKT_PKT0_S8_ifPKiSA_SA_iPKfiiiPfSD_PS3_PT2_iSC_SC_,@function
_Z39paged_attention_ll4mi_QKV_mfma16_kernelI14__hip_bfloat16S0_LN4vllm18Fp8KVCacheDataTypeE0EhLi32ELi64ELi256ELb0ELi8EEvPKT_PKT0_S8_ifPKiSA_SA_iPKfiiiPfSD_PS3_PT2_iSC_SC_: ; @_Z39paged_attention_ll4mi_QKV_mfma16_kernelI14__hip_bfloat16S0_LN4vllm18Fp8KVCacheDataTypeE0EhLi32ELi64ELi256ELb0ELi8EEvPKT_PKT0_S8_ifPKiSA_SA_iPKfiiiPfSD_PS3_PT2_iSC_SC_
; %bb.0:
	s_load_dwordx2 s[6:7], s[0:1], 0x30
	s_mov_b32 s28, s3
	s_mov_b64 s[10:11], 0
	s_waitcnt lgkmcnt(0)
	s_cmp_lg_u64 s[6:7], 0
	s_cselect_b64 s[8:9], -1, 0
	s_and_b64 vcc, exec, s[8:9]
	s_cbranch_vccz .LBB523_7
; %bb.1:
	s_add_i32 s12, s2, 1
	s_mov_b32 s13, 0
	s_lshl_b64 s[14:15], s[12:13], 2
	s_add_u32 s14, s6, s14
	s_mov_b32 s3, s13
	s_addc_u32 s15, s7, s15
	s_lshl_b64 s[12:13], s[2:3], 2
	s_add_u32 s12, s6, s12
	s_addc_u32 s13, s7, s13
	s_load_dword s5, s[14:15], 0x0
	s_load_dword s16, s[12:13], 0x0
	s_waitcnt lgkmcnt(0)
	s_sub_i32 s5, s5, s16
	s_cmp_eq_u32 s5, 1
	s_cselect_b64 s[12:13], -1, 0
	s_andn2_b64 vcc, exec, s[10:11]
	s_cbranch_vccnz .LBB523_3
.LBB523_2:
	s_mov_b32 s3, 0
	s_mov_b64 s[12:13], -1
.LBB523_3:
	s_andn2_b64 vcc, exec, s[12:13]
	s_cbranch_vccnz .LBB523_19
; %bb.4:
	s_load_dwordx2 s[12:13], s[0:1], 0x28
	s_lshl_b64 s[10:11], s[2:3], 2
	s_waitcnt lgkmcnt(0)
	s_add_u32 s12, s12, s10
	s_addc_u32 s13, s13, s11
	s_load_dword s40, s[12:13], 0x0
	s_lshl_b32 s14, s28, 8
	s_waitcnt lgkmcnt(0)
	s_cmp_ge_i32 s14, s40
	s_cbranch_scc1 .LBB523_19
; %bb.5:
	s_load_dwordx2 s[12:13], s[0:1], 0x20
	s_load_dword s5, s[0:1], 0x38
	s_add_i32 s15, s40, 31
	s_ashr_i32 s16, s15, 31
	v_and_b32_e32 v1, 0xcf, v0
	s_lshr_b32 s16, s16, 27
	v_add_u32_e32 v1, s14, v1
	s_add_i32 s15, s15, s16
	v_ashrrev_i32_e32 v2, 31, v1
	s_ashr_i32 s15, s15, 5
	v_lshrrev_b32_e32 v10, 27, v2
	s_add_i32 s15, s15, -1
	s_waitcnt lgkmcnt(0)
	s_mul_i32 s16, s2, s5
	s_mov_b32 s17, 0
	v_add_u32_e32 v2, v1, v10
	s_lshl_b64 s[16:17], s[16:17], 2
	v_ashrrev_i32_e32 v2, 5, v2
	v_mov_b32_e32 v11, s15
	v_cmp_gt_i32_e32 vcc, s40, v1
	s_add_u32 s12, s12, s16
	s_addc_u32 s13, s13, s17
	v_cndmask_b32_e32 v2, v11, v2, vcc
	v_ashrrev_i32_e32 v3, 31, v2
	v_lshl_add_u64 v[4:5], v[2:3], 2, s[12:13]
	v_or_b32_e32 v2, 16, v1
	v_add_u32_e32 v3, v2, v10
	v_ashrrev_i32_e32 v3, 5, v3
	v_cmp_gt_i32_e32 vcc, s40, v2
	s_nop 1
	v_cndmask_b32_e32 v2, v11, v3, vcc
	v_ashrrev_i32_e32 v3, 31, v2
	v_lshl_add_u64 v[6:7], v[2:3], 2, s[12:13]
	v_or_b32_e32 v2, 32, v1
	v_add_u32_e32 v3, v2, v10
	v_ashrrev_i32_e32 v3, 5, v3
	v_cmp_gt_i32_e32 vcc, s40, v2
	v_or_b32_e32 v1, 48, v1
	s_nop 0
	v_cndmask_b32_e32 v2, v11, v3, vcc
	v_ashrrev_i32_e32 v3, 31, v2
	v_lshl_add_u64 v[8:9], v[2:3], 2, s[12:13]
	v_add_u32_e32 v2, v1, v10
	v_ashrrev_i32_e32 v2, 5, v2
	v_cmp_gt_i32_e32 vcc, s40, v1
	s_nop 1
	v_cndmask_b32_e32 v2, v11, v2, vcc
	v_ashrrev_i32_e32 v3, 31, v2
	v_lshl_add_u64 v[12:13], v[2:3], 2, s[12:13]
	global_load_dword v3, v[4:5], off
	global_load_dword v2, v[6:7], off
	;; [unrolled: 1-line block ×4, first 2 shown]
	s_andn2_b64 vcc, exec, s[8:9]
	s_cbranch_vccnz .LBB523_8
; %bb.6:
	s_add_u32 s6, s6, s10
	s_addc_u32 s7, s7, s11
	s_load_dword s5, s[6:7], 0x0
	s_branch .LBB523_9
.LBB523_7:
	s_mov_b64 s[12:13], 0
	s_branch .LBB523_2
.LBB523_8:
	s_mov_b32 s5, s2
.LBB523_9:
	s_load_dwordx4 s[8:11], s[0:1], 0x8
	s_load_dwordx4 s[44:47], s[0:1], 0x48
	v_and_b32_e32 v52, 15, v0
	s_movk_i32 s6, 0x7f
	v_cmp_lt_u32_e32 vcc, s6, v0
	v_cmp_lt_u32_e64 s[6:7], 7, v52
	v_lshlrev_b32_e32 v34, 3, v52
	v_cmp_gt_u32_e64 s[30:31], 8, v52
	s_or_b64 s[6:7], vcc, s[6:7]
	s_and_saveexec_b64 s[16:17], s[6:7]
	s_xor_b64 s[6:7], exec, s[16:17]
; %bb.10:
	v_mov_b32_e32 v35, 0
; %bb.11:
	s_or_saveexec_b64 s[6:7], s[6:7]
	v_lshrrev_b32_e32 v53, 6, v0
	v_and_b32_e32 v54, 63, v0
	s_lshl_b32 s29, s4, 3
	v_bfe_u32 v1, v0, 4, 2
	s_xor_b64 exec, exec, s[6:7]
	s_cbranch_execz .LBB523_13
; %bb.12:
	s_load_dwordx2 s[16:17], s[0:1], 0x0
	s_waitcnt lgkmcnt(0)
	s_ashr_i32 s18, s44, 31
	s_mul_hi_u32 s19, s5, s44
	s_mul_i32 s18, s5, s18
	s_add_i32 s19, s19, s18
	s_mul_i32 s18, s5, s44
	v_lshl_or_b32 v8, v53, 2, v1
	s_lshl_b64 s[18:19], s[18:19], 1
	s_add_u32 s16, s16, s18
	v_add_lshl_u32 v4, v8, s29, 6
	s_addc_u32 s17, s17, s19
	v_ashrrev_i32_e32 v5, 31, v4
	v_mov_b32_e32 v35, 0
	v_lshl_add_u64 v[4:5], v[4:5], 1, s[16:17]
	v_lshlrev_b32_e32 v6, 1, v34
	v_mov_b32_e32 v7, v35
	v_lshl_add_u64 v[4:5], v[4:5], 0, v[6:7]
	global_load_dwordx4 v[4:7], v[4:5], off
	v_and_b32_e32 v9, 3, v0
	v_lshlrev_b32_e32 v11, 9, v52
	v_lshlrev_b32_e32 v8, 5, v8
	v_lshlrev_b32_e32 v9, 9, v9
	v_and_b32_e32 v11, 0x1800, v11
	v_or3_b32 v8, v11, v9, v8
	s_waitcnt vmcnt(0)
	ds_write_b128 v8, v[4:7]
.LBB523_13:
	s_or_b64 exec, exec, s[6:7]
	s_waitcnt lgkmcnt(0)
	s_mul_i32 s4, s4, s46
	s_mov_b32 s5, 0
	s_lshl_b64 s[4:5], s[4:5], 1
	s_add_u32 s8, s8, s4
	s_addc_u32 s9, s9, s5
	s_waitcnt vmcnt(3)
	v_mad_i64_i32 v[4:5], s[16:17], v3, s45, 0
	v_lshl_add_u64 v[4:5], v[4:5], 1, s[8:9]
	v_lshlrev_b64 v[12:13], 1, v[34:35]
	v_lshlrev_b32_e32 v36, 9, v1
	v_lshl_add_u64 v[4:5], v[4:5], 0, v[12:13]
	v_mov_b32_e32 v37, 0
	v_lshl_add_u64 v[20:21], v[4:5], 0, v[36:37]
	s_waitcnt vmcnt(2)
	v_mad_i64_i32 v[2:3], s[16:17], v2, s45, 0
	v_mov_b32_e32 v4, 0x100
	v_lshl_add_u64 v[2:3], v[2:3], 1, s[8:9]
	v_lshl_or_b32 v38, v52, 4, v4
	v_mov_b32_e32 v39, v37
	s_load_dword s33, s[0:1], 0x98
	s_load_dword s6, s[0:1], 0x1c
	s_waitcnt lgkmcnt(0)
	s_barrier
	v_lshl_add_u64 v[2:3], v[2:3], 0, v[38:39]
	global_load_dwordx4 v[6:9], v[20:21], off
	v_lshl_add_u64 v[22:23], v[2:3], 0, v[36:37]
	global_load_dwordx4 v[2:5], v[22:23], off
	global_load_dwordx4 v[26:29], v[22:23], off offset:2048
	s_waitcnt vmcnt(4)
	v_mad_i64_i32 v[10:11], s[16:17], v10, s45, 0
	v_lshl_add_u64 v[10:11], v[10:11], 1, s[8:9]
	v_lshl_add_u64 v[10:11], v[10:11], 0, v[12:13]
	;; [unrolled: 1-line block ×3, first 2 shown]
	global_load_dwordx4 v[10:13], v[20:21], off offset:2048
	global_load_dwordx4 v[14:17], v[24:25], off
	global_load_dwordx4 v[30:33], v[24:25], off offset:2048
	s_waitcnt vmcnt(6)
	v_mad_i64_i32 v[40:41], s[16:17], v18, s45, 0
	v_lshl_add_u64 v[40:41], v[40:41], 1, s[8:9]
	v_and_b32_e32 v19, 7, v0
	v_lshl_add_u64 v[38:39], v[40:41], 0, v[38:39]
	v_lshl_or_b32 v18, v19, 5, v36
	v_lshl_add_u64 v[38:39], v[38:39], 0, v[36:37]
	ds_read_b128 v[22:25], v18
	ds_read_b128 v[18:21], v18 offset:2048
	global_load_dwordx4 v[44:47], v[38:39], off
	global_load_dwordx4 v[60:63], v[38:39], off offset:2048
	s_ashr_i32 s7, s14, 31
	v_and_or_b32 v55, v0, 48, s14
	s_lshr_b32 s7, s7, 27
	v_add_u32_e32 v40, s7, v55
	v_mov_b32_e32 v64, s15
	v_or_b32_e32 v48, 64, v55
	v_ashrrev_i32_e32 v36, 5, v40
	v_cmp_gt_i32_e32 vcc, s40, v55
	v_add_u32_e32 v41, s7, v48
	v_ashrrev_i32_e32 v49, 5, v41
	v_cndmask_b32_e32 v40, v64, v36, vcc
	v_ashrrev_i32_e32 v41, 31, v40
	v_lshl_add_u64 v[40:41], v[40:41], 2, s[12:13]
	v_cmp_gt_i32_e32 vcc, s40, v48
	global_load_dword v65, v[40:41], off
	v_or_b32_e32 v39, 0x80, v55
	v_and_b32_e32 v36, 16, v0
	s_add_u32 s4, s10, s4
	v_lshlrev_b32_e32 v38, 6, v52
	s_addc_u32 s5, s11, s5
	v_lshlrev_b32_e32 v36, 1, v36
	s_mov_b32 s42, 0xff7fffff
	s_waitcnt vmcnt(8) lgkmcnt(1)
	v_mfma_f32_16x16x16_bf16 v[40:43], v[6:7], v[22:23], 0
	v_cndmask_b32_e32 v6, v64, v49, vcc
	v_ashrrev_i32_e32 v7, 31, v6
	v_cmp_gt_i32_e32 vcc, s40, v39
	s_waitcnt vmcnt(7)
	v_mfma_f32_16x16x16_bf16 v[48:51], v[2:3], v[22:23], 0
	v_lshl_add_u64 v[2:3], v[6:7], 2, s[12:13]
	global_load_dword v66, v[2:3], off
	v_mfma_f32_16x16x16_bf16 v[6:9], v[8:9], v[24:25], v[40:43]
	v_mfma_f32_16x16x16_bf16 v[2:5], v[4:5], v[24:25], v[48:51]
	s_nop 1
	v_or_b32_e32 v40, 0xc0, v55
	v_add_u32_e32 v41, s7, v39
	v_add_u32_e32 v42, s7, v40
	s_waitcnt vmcnt(6) lgkmcnt(0)
	v_mfma_f32_16x16x16_bf16 v[6:9], v[10:11], v[18:19], v[6:9]
	v_ashrrev_i32_e32 v41, 5, v41
	v_ashrrev_i32_e32 v43, 5, v42
	v_cndmask_b32_e32 v42, v64, v41, vcc
	s_waitcnt vmcnt(5)
	v_mfma_f32_16x16x16_bf16 v[56:59], v[14:15], v[22:23], 0
	v_cmp_gt_i32_e32 vcc, s40, v40
	v_lshl_add_u64 v[10:11], s[4:5], 0, v[36:37]
	v_lshl_or_b32 v36, v53, 10, v38
	v_mfma_f32_16x16x16_bf16 v[2:5], v[26:27], v[18:19], v[2:5]
	v_cndmask_b32_e32 v26, v64, v43, vcc
	v_ashrrev_i32_e32 v43, 31, v42
	v_ashrrev_i32_e32 v27, 31, v26
	v_mfma_f32_16x16x16_bf16 v[38:41], v[12:13], v[20:21], v[6:9]
	v_lshl_add_u64 v[10:11], v[10:11], 0, v[36:37]
	s_waitcnt vmcnt(0)
	v_mad_i64_i32 v[12:13], s[4:5], v66, s45, 0
	v_lshl_add_u64 v[6:7], v[42:43], 2, s[12:13]
	v_mfma_f32_16x16x16_bf16 v[14:17], v[16:17], v[24:25], v[56:59]
	v_lshl_add_u64 v[8:9], v[26:27], 2, s[12:13]
	global_load_dword v55, v[6:7], off
	s_nop 0
	global_load_dword v58, v[8:9], off
	v_lshl_add_u64 v[56:57], v[12:13], 1, v[10:11]
	v_mfma_f32_16x16x16_bf16 v[14:17], v[30:31], v[18:19], v[14:17]
	v_pk_mul_f32 v[12:13], s[6:7], v[38:39] op_sel_hi:[0,1]
	v_pk_mul_f32 v[48:49], s[6:7], v[40:41] op_sel_hi:[0,1]
	v_mfma_f32_16x16x16_bf16 v[14:17], v[32:33], v[20:21], v[14:17]
	v_mfma_f32_16x16x16_bf16 v[30:33], v[44:45], v[22:23], 0
	;; [unrolled: 1-line block ×3, first 2 shown]
	s_nop 4
	v_pk_mul_f32 v[46:47], s[6:7], v[16:17] op_sel_hi:[0,1]
	v_pk_mul_f32 v[44:45], s[6:7], v[14:15] op_sel_hi:[0,1]
	v_mfma_f32_16x16x16_bf16 v[22:25], v[60:61], v[18:19], v[22:25]
	v_mfma_f32_16x16x16_bf16 v[14:17], v[62:63], v[20:21], v[22:25]
	;; [unrolled: 1-line block ×3, first 2 shown]
	s_nop 5
	v_pk_mul_f32 v[42:43], s[6:7], v[14:15] op_sel_hi:[0,1]
	v_and_b32_e32 v14, 0xc0, v0
	v_add_u32_e32 v14, s14, v14
	v_lshl_or_b32 v14, v1, 2, v14
	v_mad_i64_i32 v[2:3], s[4:5], v65, s45, 0
	v_pk_mul_f32 v[36:37], s[6:7], v[16:17] op_sel_hi:[0,1]
	v_or_b32_e32 v17, 1, v14
	v_mov_b32_e32 v15, 0xff7fffff
	v_cmp_gt_i32_e64 s[4:5], s40, v14
	v_cmp_gt_i32_e64 s[34:35], s40, v17
	v_or_b32_e32 v18, 3, v14
	v_cndmask_b32_e64 v16, v15, v12, s[4:5]
	v_cndmask_b32_e64 v17, v15, v13, s[34:35]
	v_max3_f32 v16, v16, s42, v17
	v_or_b32_e32 v17, 2, v14
	v_cmp_gt_i32_e64 s[36:37], s40, v17
	v_cmp_gt_i32_e64 s[38:39], s40, v18
	v_pk_mul_f32 v[40:41], s[6:7], v[26:27] op_sel_hi:[0,1]
	v_cndmask_b32_e64 v17, v15, v48, s[36:37]
	v_cndmask_b32_e64 v18, v15, v49, s[38:39]
	v_max3_f32 v16, v16, v17, v18
	v_or_b32_e32 v17, 16, v14
	v_or_b32_e32 v18, 17, v14
	v_cmp_gt_i32_e64 s[24:25], s40, v17
	v_cmp_gt_i32_e64 s[26:27], s40, v18
	v_pk_mul_f32 v[50:51], s[6:7], v[28:29] op_sel_hi:[0,1]
	v_cndmask_b32_e64 v17, v15, v40, s[24:25]
	v_cndmask_b32_e64 v18, v15, v41, s[26:27]
	v_max3_f32 v16, v16, v17, v18
	v_or_b32_e32 v17, 18, v14
	v_or_b32_e32 v18, 19, v14
	v_cmp_gt_i32_e64 s[20:21], s40, v17
	v_cmp_gt_i32_e64 s[22:23], s40, v18
	v_lshl_add_u64 v[2:3], v[2:3], 1, v[10:11]
	v_cndmask_b32_e64 v17, v15, v50, s[20:21]
	v_cndmask_b32_e64 v18, v15, v51, s[22:23]
	v_max3_f32 v16, v16, v17, v18
	v_or_b32_e32 v17, 32, v14
	v_or_b32_e32 v18, 33, v14
	v_cmp_gt_i32_e64 s[16:17], s40, v17
	v_cmp_gt_i32_e64 s[18:19], s40, v18
	global_load_dwordx4 v[6:9], v[2:3], off
	s_nop 0
	global_load_dwordx4 v[2:5], v[2:3], off offset:16
	v_cndmask_b32_e64 v17, v15, v44, s[16:17]
	v_cndmask_b32_e64 v18, v15, v45, s[18:19]
	v_max3_f32 v16, v16, v17, v18
	v_or_b32_e32 v17, 34, v14
	v_or_b32_e32 v18, 35, v14
	v_cmp_gt_i32_e64 s[12:13], s40, v17
	v_cmp_gt_i32_e64 s[14:15], s40, v18
	global_load_dwordx4 v[30:33], v[56:57], off
	global_load_dwordx4 v[26:29], v[56:57], off offset:16
	v_cndmask_b32_e64 v17, v15, v46, s[12:13]
	v_cndmask_b32_e64 v18, v15, v47, s[14:15]
	v_max3_f32 v16, v16, v17, v18
	v_or_b32_e32 v17, 48, v14
	v_or_b32_e32 v18, 49, v14
	v_cmp_gt_i32_e64 s[8:9], s40, v17
	v_cmp_gt_i32_e64 s[10:11], s40, v18
	s_nop 0
	v_cndmask_b32_e64 v17, v15, v42, s[8:9]
	v_cndmask_b32_e64 v18, v15, v43, s[10:11]
	v_max3_f32 v16, v16, v17, v18
	v_or_b32_e32 v17, 50, v14
	v_or_b32_e32 v14, 51, v14
	v_cmp_gt_i32_e32 vcc, s40, v17
	v_cmp_gt_i32_e64 s[6:7], s40, v14
	s_nop 0
	v_cndmask_b32_e32 v17, v15, v36, vcc
	v_cndmask_b32_e64 v14, v15, v37, s[6:7]
	v_max3_f32 v16, v16, v17, v14
	v_mbcnt_lo_u32_b32 v14, -1, 0
	v_mbcnt_hi_u32_b32 v17, -1, v14
	v_and_b32_e32 v14, 64, v17
	v_add_u32_e32 v18, 64, v14
	v_xor_b32_e32 v14, 32, v17
	v_cmp_lt_i32_e64 s[40:41], v14, v18
	s_nop 1
	v_cndmask_b32_e64 v14, v17, v14, s[40:41]
	v_lshlrev_b32_e32 v59, 2, v14
	ds_bpermute_b32 v19, v59, v16
	s_waitcnt vmcnt(5)
	v_mad_i64_i32 v[14:15], s[40:41], v55, s45, 0
	v_lshl_add_u64 v[14:15], v[14:15], 1, v[10:11]
	s_waitcnt lgkmcnt(0)
	v_max_f32_e32 v19, v19, v19
	v_max_f32_e32 v16, v16, v19
	v_xor_b32_e32 v19, 16, v17
	v_cmp_lt_i32_e64 s[40:41], v19, v18
	s_nop 1
	v_cndmask_b32_e64 v17, v17, v19, s[40:41]
	v_lshlrev_b32_e32 v56, 2, v17
	ds_bpermute_b32 v17, v56, v16
	global_load_dwordx4 v[22:25], v[14:15], off
	global_load_dwordx4 v[18:21], v[14:15], off offset:16
	s_waitcnt vmcnt(6)
	v_mad_i64_i32 v[14:15], s[40:41], v58, s45, 0
	v_lshl_add_u64 v[10:11], v[14:15], 1, v[10:11]
	s_waitcnt lgkmcnt(0)
	v_max_f32_e32 v14, v17, v17
	v_max_f32_e32 v55, v16, v14
	v_sub_f32_e32 v12, v12, v55
	v_mul_f32_e32 v12, 0x3fb8aa3b, v12
	v_exp_f32_e32 v38, v12
	v_sub_f32_e32 v12, v13, v55
	v_mul_f32_e32 v12, 0x3fb8aa3b, v12
	v_exp_f32_e32 v39, v12
	global_load_dwordx4 v[14:17], v[10:11], off
	s_nop 0
	global_load_dwordx4 v[10:13], v[10:11], off offset:16
	v_sub_f32_e32 v48, v48, v55
	v_mul_f32_e32 v48, 0x3fb8aa3b, v48
	v_sub_f32_e32 v49, v49, v55
	v_exp_f32_e32 v48, v48
	v_mul_f32_e32 v49, 0x3fb8aa3b, v49
	v_sub_f32_e32 v40, v40, v55
	v_exp_f32_e32 v49, v49
	v_mul_f32_e32 v40, 0x3fb8aa3b, v40
	v_sub_f32_e32 v41, v41, v55
	v_cndmask_b32_e64 v38, 0, v38, s[4:5]
	v_exp_f32_e32 v40, v40
	v_mul_f32_e32 v41, 0x3fb8aa3b, v41
	v_sub_f32_e32 v50, v50, v55
	v_add_f32_e32 v57, 0, v38
	v_cndmask_b32_e64 v39, 0, v39, s[34:35]
	v_exp_f32_e32 v41, v41
	v_mul_f32_e32 v50, 0x3fb8aa3b, v50
	v_sub_f32_e32 v51, v51, v55
	v_add_f32_e32 v57, v57, v39
	;; [unrolled: 5-line block ×10, first 2 shown]
	v_cndmask_b32_e64 v46, 0, v46, s[12:13]
	v_exp_f32_e32 v36, v36
	v_mul_f32_e32 v37, 0x3fb8aa3b, v37
	v_add_f32_e32 v57, v57, v46
	v_cndmask_b32_e64 v47, 0, v47, s[14:15]
	v_exp_f32_e32 v37, v37
	v_add_f32_e32 v57, v57, v47
	v_cndmask_b32_e64 v42, 0, v42, s[8:9]
	v_add_f32_e32 v57, v57, v42
	v_cndmask_b32_e64 v43, 0, v43, s[10:11]
	v_add_f32_e32 v57, v57, v43
	v_cndmask_b32_e32 v36, 0, v36, vcc
	v_add_f32_e32 v57, v57, v36
	v_cndmask_b32_e64 v37, 0, v37, s[6:7]
	v_add_f32_e32 v57, v57, v37
	ds_bpermute_b32 v58, v59, v57
	v_cmp_gt_u32_e32 vcc, 16, v54
	s_waitcnt lgkmcnt(0)
	s_barrier
	v_add_f32_e32 v57, v57, v58
	ds_bpermute_b32 v58, v56, v57
	v_lshlrev_b32_e32 v56, 2, v52
	s_and_saveexec_b64 s[4:5], vcc
	s_cbranch_execz .LBB523_15
; %bb.14:
	s_waitcnt lgkmcnt(0)
	v_add_f32_e32 v54, v57, v58
	v_lshl_or_b32 v57, v53, 6, v56
	ds_write2st64_b32 v57, v55, v54 offset1:1
.LBB523_15:
	s_or_b64 exec, exec, s[4:5]
	s_load_dword s6, s[0:1], 0x94
	s_waitcnt lgkmcnt(0)
	s_barrier
	ds_read2_b32 v[58:59], v56 offset1:16
	ds_read2_b32 v[60:61], v56 offset0:32 offset1:48
	ds_read2_b32 v[62:63], v56 offset0:64 offset1:80
	;; [unrolled: 1-line block ×3, first 2 shown]
	s_movk_i32 s8, 0x7fff
	s_waitcnt lgkmcnt(3)
	v_max3_f32 v54, v58, s42, v59
	s_waitcnt lgkmcnt(2)
	v_max3_f32 v54, v54, v60, v61
	v_sub_f32_e32 v55, v58, v54
	v_mul_f32_e32 v55, 0x3fb8aa3b, v55
	v_exp_f32_e32 v58, v55
	v_sub_f32_e32 v55, v59, v54
	v_mul_f32_e32 v55, 0x3fb8aa3b, v55
	v_exp_f32_e32 v59, v55
	;; [unrolled: 3-line block ×4, first 2 shown]
	s_waitcnt lgkmcnt(1)
	v_fma_f32 v55, v58, v62, 0
	v_fmac_f32_e32 v55, v59, v63
	s_waitcnt lgkmcnt(0)
	v_fmac_f32_e32 v55, v60, v56
	v_fmac_f32_e32 v55, v61, v57
	v_add_f32_e32 v56, 0x358637bd, v55
	v_div_scale_f32 v57, s[4:5], v56, v56, 1.0
	v_rcp_f32_e32 v62, v57
	s_mov_b32 s9, 0x7060302
	s_barrier
	v_fma_f32 v63, -v57, v62, 1.0
	v_fmac_f32_e32 v62, v63, v62
	v_div_scale_f32 v63, vcc, 1.0, v56, 1.0
	v_mul_f32_e32 v64, v63, v62
	v_fma_f32 v65, -v57, v64, v63
	v_fmac_f32_e32 v64, v65, v62
	v_fma_f32 v57, -v57, v64, v63
	v_div_fmas_f32 v57, v57, v62, v64
	v_cmp_eq_u32_e32 vcc, 1, v53
	v_div_fixup_f32 v56, v57, v56, 1.0
	s_nop 0
	v_cndmask_b32_e32 v57, v58, v59, vcc
	v_cmp_eq_u32_e32 vcc, 2, v53
	s_lshl_b32 s7, s33, 3
	s_nop 0
	v_cndmask_b32_e32 v57, v57, v60, vcc
	v_cmp_eq_u32_e32 vcc, 3, v53
	s_nop 1
	v_cndmask_b32_e32 v57, v57, v61, vcc
	v_mul_f32_e32 v56, v57, v56
	v_pk_mul_f32 v[38:39], v[56:57], v[38:39] op_sel_hi:[0,1]
	v_pk_mul_f32 v[48:49], v[56:57], v[48:49] op_sel_hi:[0,1]
	v_bfe_u32 v57, v39, 16, 1
	v_bfe_u32 v58, v38, 16, 1
	v_add3_u32 v38, v38, v58, s8
	v_add3_u32 v39, v39, v57, s8
	v_perm_b32 v58, v39, v38, s9
	v_bfe_u32 v38, v49, 16, 1
	v_bfe_u32 v39, v48, 16, 1
	v_add3_u32 v39, v48, v39, s8
	v_add3_u32 v38, v49, v38, s8
	v_perm_b32 v59, v38, v39, s9
	v_lshlrev_b32_e32 v38, 3, v1
	v_lshlrev_b32_e32 v39, 5, v52
	;; [unrolled: 1-line block ×3, first 2 shown]
	v_pk_mul_f32 v[40:41], v[56:57], v[40:41] op_sel_hi:[0,1]
	v_or3_b32 v38, v48, v39, v38
	v_pk_mul_f32 v[48:49], v[56:57], v[50:51] op_sel_hi:[0,1]
	v_bfe_u32 v50, v41, 16, 1
	v_bfe_u32 v51, v40, 16, 1
	v_add3_u32 v40, v40, v51, s8
	v_add3_u32 v41, v41, v50, s8
	v_perm_b32 v40, v41, v40, s9
	v_bfe_u32 v41, v49, 16, 1
	v_bfe_u32 v50, v48, 16, 1
	v_add3_u32 v48, v48, v50, s8
	v_add3_u32 v41, v49, v41, s8
	v_perm_b32 v41, v41, v48, s9
	v_pk_mul_f32 v[44:45], v[56:57], v[44:45] op_sel_hi:[0,1]
	ds_write2st64_b64 v38, v[58:59], v[40:41] offset1:1
	v_pk_mul_f32 v[40:41], v[56:57], v[46:47] op_sel_hi:[0,1]
	v_bfe_u32 v46, v45, 16, 1
	v_bfe_u32 v47, v44, 16, 1
	v_add3_u32 v44, v44, v47, s8
	v_add3_u32 v45, v45, v46, s8
	v_perm_b32 v44, v45, v44, s9
	v_bfe_u32 v45, v41, 16, 1
	v_bfe_u32 v46, v40, 16, 1
	v_add3_u32 v40, v40, v46, s8
	v_add3_u32 v41, v41, v45, s8
	v_perm_b32 v45, v41, v40, s9
	v_pk_mul_f32 v[40:41], v[56:57], v[42:43] op_sel_hi:[0,1]
	v_bfe_u32 v42, v41, 16, 1
	v_bfe_u32 v43, v40, 16, 1
	v_pk_mul_f32 v[36:37], v[56:57], v[36:37] op_sel_hi:[0,1]
	v_add3_u32 v40, v40, v43, s8
	v_add3_u32 v41, v41, v42, s8
	v_perm_b32 v40, v41, v40, s9
	v_bfe_u32 v41, v37, 16, 1
	v_bfe_u32 v42, v36, 16, 1
	v_add3_u32 v36, v36, v42, s8
	v_add3_u32 v37, v37, v41, s8
	v_perm_b32 v41, v37, v36, s9
	v_cmp_gt_u32_e32 vcc, 8, v0
	ds_write2st64_b64 v38, v[44:45], v[40:41] offset0:2 offset1:3
	s_and_saveexec_b64 s[4:5], vcc
	s_cbranch_execz .LBB523_17
; %bb.16:
	v_or_b32_e32 v36, s29, v0
	v_mov_b32_e32 v37, 0
	v_mov_b32_e32 v40, s7
	v_mad_u64_u32 v[40:41], s[10:11], s2, v40, v[36:37]
	v_mov_b32_e32 v36, s28
	s_load_dwordx4 s[12:15], s[0:1], 0x58
	s_mul_i32 s3, s3, s7
	v_mad_u64_u32 v[36:37], s[10:11], v40, s6, v[36:37]
	v_add_u32_e32 v41, s3, v41
	v_mov_b32_e32 v40, v37
	v_mad_u64_u32 v[40:41], s[10:11], v41, s6, v[40:41]
	v_mov_b32_e32 v37, v40
	v_lshlrev_b64 v[36:37], 2, v[36:37]
	s_waitcnt lgkmcnt(0)
	v_lshl_add_u64 v[40:41], s[14:15], 0, v[36:37]
	v_lshl_add_u64 v[36:37], s[12:13], 0, v[36:37]
	global_store_dword v[40:41], v54, off
	global_store_dword v[36:37], v55, off
.LBB523_17:
	s_or_b64 exec, exec, s[4:5]
	v_lshl_or_b32 v36, v1, 9, v39
	s_waitcnt lgkmcnt(0)
	s_barrier
	ds_read_b128 v[40:43], v36
	ds_read_b128 v[44:47], v36 offset:16
	s_waitcnt vmcnt(7) lgkmcnt(1)
	v_mfma_f32_16x16x16_bf16 v[48:51], v[6:7], v[40:41], 0
	v_cmp_gt_u32_e32 vcc, 64, v0
	s_mov_b32 s3, 0
	s_and_b64 s[4:5], vcc, s[30:31]
	v_mfma_f32_16x16x16_bf16 v[6:9], v[8:9], v[42:43], v[48:51]
	s_waitcnt vmcnt(6) lgkmcnt(0)
	v_mfma_f32_16x16x16_bf16 v[6:9], v[2:3], v[44:45], v[6:9]
	v_mfma_f32_16x16x16_bf16 v[2:5], v[4:5], v[46:47], v[6:9]
	s_nop 5
	ds_read_b128 v[6:9], v36 offset:2048
	ds_read_b128 v[40:43], v36 offset:2064
	s_waitcnt vmcnt(5) lgkmcnt(1)
	v_mfma_f32_16x16x16_bf16 v[2:5], v[30:31], v[6:7], v[2:5]
	v_mfma_f32_16x16x16_bf16 v[2:5], v[32:33], v[8:9], v[2:5]
	s_waitcnt vmcnt(4) lgkmcnt(0)
	v_mfma_f32_16x16x16_bf16 v[2:5], v[26:27], v[40:41], v[2:5]
	v_mfma_f32_16x16x16_bf16 v[2:5], v[28:29], v[42:43], v[2:5]
	ds_read_b128 v[6:9], v36 offset:4096
	ds_read_b128 v[26:29], v36 offset:4112
	s_waitcnt vmcnt(3) lgkmcnt(1)
	v_mfma_f32_16x16x16_bf16 v[2:5], v[22:23], v[6:7], v[2:5]
	v_mfma_f32_16x16x16_bf16 v[2:5], v[24:25], v[8:9], v[2:5]
	s_waitcnt vmcnt(2) lgkmcnt(0)
	v_mfma_f32_16x16x16_bf16 v[2:5], v[18:19], v[26:27], v[2:5]
	v_mfma_f32_16x16x16_bf16 v[2:5], v[20:21], v[28:29], v[2:5]
	ds_read_b128 v[6:9], v36 offset:6144
	ds_read_b128 v[18:21], v36 offset:6160
	s_waitcnt lgkmcnt(0)
	s_barrier
	s_waitcnt vmcnt(1)
	v_mfma_f32_16x16x16_bf16 v[2:5], v[14:15], v[6:7], v[2:5]
	v_mfma_f32_16x16x16_bf16 v[2:5], v[16:17], v[8:9], v[2:5]
	s_waitcnt vmcnt(0)
	v_mfma_f32_16x16x16_bf16 v[2:5], v[10:11], v[18:19], v[2:5]
	v_mfma_f32_16x16x16_bf16 v[2:5], v[12:13], v[20:21], v[2:5]
	s_nop 6
	v_bfe_u32 v6, v3, 16, 1
	v_bfe_u32 v7, v2, 16, 1
	v_bfe_u32 v8, v5, 16, 1
	v_bfe_u32 v9, v4, 16, 1
	v_add3_u32 v2, v2, v7, s8
	v_add3_u32 v3, v3, v6, s8
	;; [unrolled: 1-line block ×4, first 2 shown]
	v_perm_b32 v2, v3, v2, s9
	v_perm_b32 v3, v5, v4, s9
	ds_write_b64 v38, v[2:3]
	s_waitcnt lgkmcnt(0)
	s_barrier
	s_and_saveexec_b64 s[8:9], s[4:5]
	s_cbranch_execz .LBB523_19
; %bb.18:
	s_load_dwordx2 s[0:1], s[0:1], 0x68
	s_lshl_b32 s6, s6, 6
	s_mul_i32 s2, s7, s2
	s_mul_hi_u32 s5, s2, s6
	s_mul_i32 s4, s2, s6
	s_lshl_b64 s[4:5], s[4:5], 1
	v_lshlrev_b32_e32 v2, 10, v0
	v_lshlrev_b32_e32 v0, 4, v0
	s_waitcnt lgkmcnt(0)
	s_add_u32 s4, s0, s4
	v_and_b32_e32 v2, 0x1800, v2
	v_lshlrev_b32_e32 v3, 5, v1
	v_and_b32_e32 v0, 16, v0
	s_addc_u32 s5, s1, s5
	s_lshl_b32 s2, s28, 6
	v_or3_b32 v0, v2, v3, v0
	s_lshl_b64 s[0:1], s[2:3], 1
	ds_read_b128 v[2:5], v0
	ds_read_b128 v[6:9], v0 offset:128
	s_add_u32 s0, s4, s0
	s_addc_u32 s1, s5, s1
	v_or_b32_e32 v12, s29, v1
	v_lshl_add_u64 v[10:11], v[34:35], 1, s[0:1]
	v_mad_u64_u32 v[0:1], s[0:1], v12, s6, 0
	v_lshl_add_u64 v[0:1], v[0:1], 1, v[10:11]
	s_waitcnt lgkmcnt(1)
	global_store_dwordx4 v[0:1], v[2:5], off
	v_or_b32_e32 v0, 4, v12
	v_mad_u64_u32 v[0:1], s[0:1], v0, s6, 0
	v_lshl_add_u64 v[0:1], v[0:1], 1, v[10:11]
	s_waitcnt lgkmcnt(0)
	global_store_dwordx4 v[0:1], v[6:9], off
.LBB523_19:
	s_endpgm
	.section	.rodata,"a",@progbits
	.p2align	6, 0x0
	.amdhsa_kernel _Z39paged_attention_ll4mi_QKV_mfma16_kernelI14__hip_bfloat16S0_LN4vllm18Fp8KVCacheDataTypeE0EhLi32ELi64ELi256ELb0ELi8EEvPKT_PKT0_S8_ifPKiSA_SA_iPKfiiiPfSD_PS3_PT2_iSC_SC_
		.amdhsa_group_segment_fixed_size 8192
		.amdhsa_private_segment_fixed_size 0
		.amdhsa_kernarg_size 400
		.amdhsa_user_sgpr_count 2
		.amdhsa_user_sgpr_dispatch_ptr 0
		.amdhsa_user_sgpr_queue_ptr 0
		.amdhsa_user_sgpr_kernarg_segment_ptr 1
		.amdhsa_user_sgpr_dispatch_id 0
		.amdhsa_user_sgpr_kernarg_preload_length 0
		.amdhsa_user_sgpr_kernarg_preload_offset 0
		.amdhsa_user_sgpr_private_segment_size 0
		.amdhsa_uses_dynamic_stack 0
		.amdhsa_enable_private_segment 0
		.amdhsa_system_sgpr_workgroup_id_x 1
		.amdhsa_system_sgpr_workgroup_id_y 1
		.amdhsa_system_sgpr_workgroup_id_z 1
		.amdhsa_system_sgpr_workgroup_info 0
		.amdhsa_system_vgpr_workitem_id 0
		.amdhsa_next_free_vgpr 67
		.amdhsa_next_free_sgpr 48
		.amdhsa_accum_offset 68
		.amdhsa_reserve_vcc 1
		.amdhsa_float_round_mode_32 0
		.amdhsa_float_round_mode_16_64 0
		.amdhsa_float_denorm_mode_32 3
		.amdhsa_float_denorm_mode_16_64 3
		.amdhsa_dx10_clamp 1
		.amdhsa_ieee_mode 1
		.amdhsa_fp16_overflow 0
		.amdhsa_tg_split 0
		.amdhsa_exception_fp_ieee_invalid_op 0
		.amdhsa_exception_fp_denorm_src 0
		.amdhsa_exception_fp_ieee_div_zero 0
		.amdhsa_exception_fp_ieee_overflow 0
		.amdhsa_exception_fp_ieee_underflow 0
		.amdhsa_exception_fp_ieee_inexact 0
		.amdhsa_exception_int_div_zero 0
	.end_amdhsa_kernel
	.section	.text._Z39paged_attention_ll4mi_QKV_mfma16_kernelI14__hip_bfloat16S0_LN4vllm18Fp8KVCacheDataTypeE0EhLi32ELi64ELi256ELb0ELi8EEvPKT_PKT0_S8_ifPKiSA_SA_iPKfiiiPfSD_PS3_PT2_iSC_SC_,"axG",@progbits,_Z39paged_attention_ll4mi_QKV_mfma16_kernelI14__hip_bfloat16S0_LN4vllm18Fp8KVCacheDataTypeE0EhLi32ELi64ELi256ELb0ELi8EEvPKT_PKT0_S8_ifPKiSA_SA_iPKfiiiPfSD_PS3_PT2_iSC_SC_,comdat
.Lfunc_end523:
	.size	_Z39paged_attention_ll4mi_QKV_mfma16_kernelI14__hip_bfloat16S0_LN4vllm18Fp8KVCacheDataTypeE0EhLi32ELi64ELi256ELb0ELi8EEvPKT_PKT0_S8_ifPKiSA_SA_iPKfiiiPfSD_PS3_PT2_iSC_SC_, .Lfunc_end523-_Z39paged_attention_ll4mi_QKV_mfma16_kernelI14__hip_bfloat16S0_LN4vllm18Fp8KVCacheDataTypeE0EhLi32ELi64ELi256ELb0ELi8EEvPKT_PKT0_S8_ifPKiSA_SA_iPKfiiiPfSD_PS3_PT2_iSC_SC_
                                        ; -- End function
	.section	.AMDGPU.csdata,"",@progbits
; Kernel info:
; codeLenInByte = 4088
; NumSgprs: 54
; NumVgprs: 67
; NumAgprs: 0
; TotalNumVgprs: 67
; ScratchSize: 0
; MemoryBound: 0
; FloatMode: 240
; IeeeMode: 1
; LDSByteSize: 8192 bytes/workgroup (compile time only)
; SGPRBlocks: 6
; VGPRBlocks: 8
; NumSGPRsForWavesPerEU: 54
; NumVGPRsForWavesPerEU: 67
; AccumOffset: 68
; Occupancy: 7
; WaveLimiterHint : 1
; COMPUTE_PGM_RSRC2:SCRATCH_EN: 0
; COMPUTE_PGM_RSRC2:USER_SGPR: 2
; COMPUTE_PGM_RSRC2:TRAP_HANDLER: 0
; COMPUTE_PGM_RSRC2:TGID_X_EN: 1
; COMPUTE_PGM_RSRC2:TGID_Y_EN: 1
; COMPUTE_PGM_RSRC2:TGID_Z_EN: 1
; COMPUTE_PGM_RSRC2:TIDIG_COMP_CNT: 0
; COMPUTE_PGM_RSRC3_GFX90A:ACCUM_OFFSET: 16
; COMPUTE_PGM_RSRC3_GFX90A:TG_SPLIT: 0
	.section	.text._Z39paged_attention_ll4mi_QKV_mfma16_kernelI14__hip_bfloat16S0_LN4vllm18Fp8KVCacheDataTypeE0EhLi32ELi64ELi256ELb0ELi9EEvPKT_PKT0_S8_ifPKiSA_SA_iPKfiiiPfSD_PS3_PT2_iSC_SC_,"axG",@progbits,_Z39paged_attention_ll4mi_QKV_mfma16_kernelI14__hip_bfloat16S0_LN4vllm18Fp8KVCacheDataTypeE0EhLi32ELi64ELi256ELb0ELi9EEvPKT_PKT0_S8_ifPKiSA_SA_iPKfiiiPfSD_PS3_PT2_iSC_SC_,comdat
	.protected	_Z39paged_attention_ll4mi_QKV_mfma16_kernelI14__hip_bfloat16S0_LN4vllm18Fp8KVCacheDataTypeE0EhLi32ELi64ELi256ELb0ELi9EEvPKT_PKT0_S8_ifPKiSA_SA_iPKfiiiPfSD_PS3_PT2_iSC_SC_ ; -- Begin function _Z39paged_attention_ll4mi_QKV_mfma16_kernelI14__hip_bfloat16S0_LN4vllm18Fp8KVCacheDataTypeE0EhLi32ELi64ELi256ELb0ELi9EEvPKT_PKT0_S8_ifPKiSA_SA_iPKfiiiPfSD_PS3_PT2_iSC_SC_
	.globl	_Z39paged_attention_ll4mi_QKV_mfma16_kernelI14__hip_bfloat16S0_LN4vllm18Fp8KVCacheDataTypeE0EhLi32ELi64ELi256ELb0ELi9EEvPKT_PKT0_S8_ifPKiSA_SA_iPKfiiiPfSD_PS3_PT2_iSC_SC_
	.p2align	8
	.type	_Z39paged_attention_ll4mi_QKV_mfma16_kernelI14__hip_bfloat16S0_LN4vllm18Fp8KVCacheDataTypeE0EhLi32ELi64ELi256ELb0ELi9EEvPKT_PKT0_S8_ifPKiSA_SA_iPKfiiiPfSD_PS3_PT2_iSC_SC_,@function
_Z39paged_attention_ll4mi_QKV_mfma16_kernelI14__hip_bfloat16S0_LN4vllm18Fp8KVCacheDataTypeE0EhLi32ELi64ELi256ELb0ELi9EEvPKT_PKT0_S8_ifPKiSA_SA_iPKfiiiPfSD_PS3_PT2_iSC_SC_: ; @_Z39paged_attention_ll4mi_QKV_mfma16_kernelI14__hip_bfloat16S0_LN4vllm18Fp8KVCacheDataTypeE0EhLi32ELi64ELi256ELb0ELi9EEvPKT_PKT0_S8_ifPKiSA_SA_iPKfiiiPfSD_PS3_PT2_iSC_SC_
; %bb.0:
	s_load_dwordx2 s[6:7], s[0:1], 0x30
	s_mov_b32 s28, s3
	s_mov_b64 s[10:11], 0
	s_waitcnt lgkmcnt(0)
	s_cmp_lg_u64 s[6:7], 0
	s_cselect_b64 s[8:9], -1, 0
	s_and_b64 vcc, exec, s[8:9]
	s_cbranch_vccz .LBB524_7
; %bb.1:
	s_add_i32 s12, s2, 1
	s_mov_b32 s13, 0
	s_lshl_b64 s[14:15], s[12:13], 2
	s_add_u32 s14, s6, s14
	s_mov_b32 s3, s13
	s_addc_u32 s15, s7, s15
	s_lshl_b64 s[12:13], s[2:3], 2
	s_add_u32 s12, s6, s12
	s_addc_u32 s13, s7, s13
	s_load_dword s5, s[14:15], 0x0
	s_load_dword s16, s[12:13], 0x0
	s_waitcnt lgkmcnt(0)
	s_sub_i32 s5, s5, s16
	s_cmp_eq_u32 s5, 1
	s_cselect_b64 s[12:13], -1, 0
	s_andn2_b64 vcc, exec, s[10:11]
	s_cbranch_vccnz .LBB524_3
.LBB524_2:
	s_mov_b32 s3, 0
	s_mov_b64 s[12:13], -1
.LBB524_3:
	s_andn2_b64 vcc, exec, s[12:13]
	s_cbranch_vccnz .LBB524_20
; %bb.4:
	s_load_dwordx2 s[12:13], s[0:1], 0x28
	s_lshl_b64 s[10:11], s[2:3], 2
	s_waitcnt lgkmcnt(0)
	s_add_u32 s12, s12, s10
	s_addc_u32 s13, s13, s11
	s_load_dword s33, s[12:13], 0x0
	s_lshl_b32 s14, s28, 8
	s_waitcnt lgkmcnt(0)
	s_cmp_ge_i32 s14, s33
	s_cbranch_scc1 .LBB524_20
; %bb.5:
	s_load_dwordx2 s[12:13], s[0:1], 0x20
	s_load_dword s5, s[0:1], 0x38
	s_add_i32 s15, s33, 31
	s_ashr_i32 s16, s15, 31
	v_and_b32_e32 v1, 0xcf, v0
	s_lshr_b32 s16, s16, 27
	v_add_u32_e32 v1, s14, v1
	s_add_i32 s15, s15, s16
	v_ashrrev_i32_e32 v2, 31, v1
	s_ashr_i32 s15, s15, 5
	v_lshrrev_b32_e32 v10, 27, v2
	s_add_i32 s15, s15, -1
	s_waitcnt lgkmcnt(0)
	s_mul_i32 s16, s2, s5
	s_mov_b32 s17, 0
	v_add_u32_e32 v2, v1, v10
	s_lshl_b64 s[16:17], s[16:17], 2
	v_ashrrev_i32_e32 v2, 5, v2
	v_mov_b32_e32 v11, s15
	v_cmp_gt_i32_e32 vcc, s33, v1
	s_add_u32 s12, s12, s16
	s_addc_u32 s13, s13, s17
	v_cndmask_b32_e32 v2, v11, v2, vcc
	v_ashrrev_i32_e32 v3, 31, v2
	v_lshl_add_u64 v[4:5], v[2:3], 2, s[12:13]
	v_or_b32_e32 v2, 16, v1
	v_add_u32_e32 v3, v2, v10
	v_ashrrev_i32_e32 v3, 5, v3
	v_cmp_gt_i32_e32 vcc, s33, v2
	s_nop 1
	v_cndmask_b32_e32 v2, v11, v3, vcc
	v_ashrrev_i32_e32 v3, 31, v2
	v_lshl_add_u64 v[6:7], v[2:3], 2, s[12:13]
	v_or_b32_e32 v2, 32, v1
	v_add_u32_e32 v3, v2, v10
	v_ashrrev_i32_e32 v3, 5, v3
	v_cmp_gt_i32_e32 vcc, s33, v2
	v_or_b32_e32 v1, 48, v1
	s_nop 0
	v_cndmask_b32_e32 v2, v11, v3, vcc
	v_ashrrev_i32_e32 v3, 31, v2
	v_lshl_add_u64 v[8:9], v[2:3], 2, s[12:13]
	v_add_u32_e32 v2, v1, v10
	v_ashrrev_i32_e32 v2, 5, v2
	v_cmp_gt_i32_e32 vcc, s33, v1
	s_nop 1
	v_cndmask_b32_e32 v2, v11, v2, vcc
	v_ashrrev_i32_e32 v3, 31, v2
	v_lshl_add_u64 v[12:13], v[2:3], 2, s[12:13]
	global_load_dword v3, v[4:5], off
	global_load_dword v2, v[6:7], off
	;; [unrolled: 1-line block ×4, first 2 shown]
	s_andn2_b64 vcc, exec, s[8:9]
	s_cbranch_vccnz .LBB524_8
; %bb.6:
	s_add_u32 s6, s6, s10
	s_addc_u32 s7, s7, s11
	s_load_dword s5, s[6:7], 0x0
	s_branch .LBB524_9
.LBB524_7:
	s_mov_b64 s[12:13], 0
	s_branch .LBB524_2
.LBB524_8:
	s_mov_b32 s5, s2
.LBB524_9:
	s_load_dwordx4 s[8:11], s[0:1], 0x8
	s_load_dwordx4 s[44:47], s[0:1], 0x48
	v_lshrrev_b32_e32 v1, 6, v0
	v_bfe_u32 v54, v0, 4, 2
	v_lshl_or_b32 v4, v1, 2, v54
	v_and_b32_e32 v36, 15, v0
	v_cmp_lt_u32_e32 vcc, 8, v4
	v_cmp_lt_u32_e64 s[6:7], 7, v36
	v_lshlrev_b32_e32 v34, 3, v36
	v_cmp_gt_u32_e64 s[30:31], 8, v36
	s_or_b64 s[6:7], s[6:7], vcc
	s_and_saveexec_b64 s[16:17], s[6:7]
	s_xor_b64 s[6:7], exec, s[16:17]
; %bb.10:
	v_mov_b32_e32 v35, 0
                                        ; implicit-def: $vgpr4
; %bb.11:
	s_or_saveexec_b64 s[6:7], s[6:7]
	v_and_b32_e32 v37, 63, v0
	s_mul_i32 s42, s4, 9
	s_xor_b64 exec, exec, s[6:7]
	s_cbranch_execz .LBB524_13
; %bb.12:
	s_load_dwordx2 s[16:17], s[0:1], 0x0
	s_waitcnt lgkmcnt(0)
	s_ashr_i32 s18, s44, 31
	s_mul_hi_u32 s19, s5, s44
	s_mul_i32 s18, s5, s18
	s_add_i32 s19, s19, s18
	s_mul_i32 s18, s5, s44
	s_lshl_b64 s[18:19], s[18:19], 1
	s_add_u32 s16, s16, s18
	v_add_lshl_u32 v6, v4, s42, 6
	s_addc_u32 s17, s17, s19
	v_ashrrev_i32_e32 v7, 31, v6
	v_mov_b32_e32 v35, 0
	v_lshl_add_u64 v[6:7], v[6:7], 1, s[16:17]
	v_lshlrev_b32_e32 v8, 1, v34
	v_mov_b32_e32 v9, v35
	v_lshl_add_u64 v[6:7], v[6:7], 0, v[8:9]
	global_load_dwordx4 v[6:9], v[6:7], off
	v_and_b32_e32 v5, 3, v0
	v_lshlrev_b32_e32 v11, 9, v36
	v_lshlrev_b32_e32 v4, 5, v4
	;; [unrolled: 1-line block ×3, first 2 shown]
	v_and_b32_e32 v11, 0x1800, v11
	v_or3_b32 v4, v11, v5, v4
	s_waitcnt vmcnt(0)
	ds_write_b128 v4, v[6:9]
.LBB524_13:
	s_or_b64 exec, exec, s[6:7]
	s_waitcnt lgkmcnt(0)
	s_mul_i32 s4, s4, s46
	s_mov_b32 s5, 0
	s_lshl_b64 s[4:5], s[4:5], 1
	s_add_u32 s8, s8, s4
	s_addc_u32 s9, s9, s5
	s_waitcnt vmcnt(3)
	v_mad_i64_i32 v[4:5], s[16:17], v3, s45, 0
	v_lshl_add_u64 v[4:5], v[4:5], 1, s[8:9]
	v_lshlrev_b64 v[12:13], 1, v[34:35]
	v_lshlrev_b32_e32 v38, 9, v54
	v_lshl_add_u64 v[4:5], v[4:5], 0, v[12:13]
	v_mov_b32_e32 v39, 0
	v_lshl_add_u64 v[14:15], v[4:5], 0, v[38:39]
	s_waitcnt vmcnt(2)
	v_mad_i64_i32 v[2:3], s[16:17], v2, s45, 0
	v_mov_b32_e32 v4, 0x100
	v_lshl_add_u64 v[2:3], v[2:3], 1, s[8:9]
	v_lshl_or_b32 v40, v36, 4, v4
	v_mov_b32_e32 v41, v39
	s_load_dword s29, s[0:1], 0x98
	s_load_dword s6, s[0:1], 0x1c
	s_waitcnt lgkmcnt(0)
	s_barrier
	v_lshl_add_u64 v[2:3], v[2:3], 0, v[40:41]
	global_load_dwordx4 v[6:9], v[14:15], off
	global_load_dwordx4 v[22:25], v[14:15], off offset:2048
	v_lshl_add_u64 v[18:19], v[2:3], 0, v[38:39]
	global_load_dwordx4 v[2:5], v[18:19], off
	global_load_dwordx4 v[26:29], v[18:19], off offset:2048
	s_waitcnt vmcnt(5)
	v_mad_i64_i32 v[10:11], s[16:17], v10, s45, 0
	v_lshl_add_u64 v[10:11], v[10:11], 1, s[8:9]
	v_lshl_add_u64 v[10:11], v[10:11], 0, v[12:13]
	;; [unrolled: 1-line block ×3, first 2 shown]
	global_load_dwordx4 v[10:13], v[20:21], off
	global_load_dwordx4 v[30:33], v[20:21], off offset:2048
	s_waitcnt vmcnt(6)
	v_mad_i64_i32 v[42:43], s[16:17], v16, s45, 0
	v_add_u32_e32 v17, -9, v36
	v_cmp_gt_u32_e32 vcc, 9, v36
	v_lshl_add_u64 v[42:43], v[42:43], 1, s[8:9]
	v_lshl_add_u64 v[40:41], v[42:43], 0, v[40:41]
	v_cndmask_b32_e32 v14, v17, v36, vcc
	v_lshl_add_u32 v14, v14, 5, v38
	v_lshl_add_u64 v[40:41], v[40:41], 0, v[38:39]
	ds_read_b128 v[18:21], v14
	ds_read_b128 v[14:17], v14 offset:2048
	global_load_dwordx4 v[46:49], v[40:41], off
	global_load_dwordx4 v[60:63], v[40:41], off offset:2048
	s_ashr_i32 s7, s14, 31
	v_and_or_b32 v55, v0, 48, s14
	s_lshr_b32 s7, s7, 27
	v_add_u32_e32 v42, s7, v55
	v_mov_b32_e32 v64, s15
	v_or_b32_e32 v50, 64, v55
	v_ashrrev_i32_e32 v38, 5, v42
	v_cmp_gt_i32_e32 vcc, s33, v55
	v_add_u32_e32 v43, s7, v50
	v_ashrrev_i32_e32 v51, 5, v43
	v_cndmask_b32_e32 v42, v64, v38, vcc
	v_ashrrev_i32_e32 v43, 31, v42
	v_lshl_add_u64 v[42:43], v[42:43], 2, s[12:13]
	v_cmp_gt_i32_e32 vcc, s33, v50
	global_load_dword v65, v[42:43], off
	v_or_b32_e32 v40, 0x80, v55
	v_or_b32_e32 v41, 0xc0, v55
	v_and_b32_e32 v38, 16, v0
	s_add_u32 s4, s10, s4
	s_addc_u32 s5, s11, s5
	v_lshlrev_b32_e32 v38, 1, v38
	s_mov_b32 s43, 0xff7fffff
	s_waitcnt vmcnt(8) lgkmcnt(1)
	v_mfma_f32_16x16x16_bf16 v[42:45], v[6:7], v[18:19], 0
	v_cndmask_b32_e32 v6, v64, v51, vcc
	v_ashrrev_i32_e32 v7, 31, v6
	v_cmp_gt_i32_e32 vcc, s33, v40
	s_waitcnt vmcnt(6)
	v_mfma_f32_16x16x16_bf16 v[50:53], v[2:3], v[18:19], 0
	v_lshl_add_u64 v[2:3], v[6:7], 2, s[12:13]
	global_load_dword v66, v[2:3], off
	v_mfma_f32_16x16x16_bf16 v[6:9], v[8:9], v[20:21], v[42:45]
	v_mfma_f32_16x16x16_bf16 v[2:5], v[4:5], v[20:21], v[50:53]
	s_nop 1
	v_add_u32_e32 v42, s7, v40
	v_add_u32_e32 v43, s7, v41
	v_ashrrev_i32_e32 v42, 5, v42
	s_waitcnt lgkmcnt(0)
	v_mfma_f32_16x16x16_bf16 v[6:9], v[22:23], v[14:15], v[6:9]
	v_lshlrev_b32_e32 v45, 6, v36
	v_ashrrev_i32_e32 v43, 5, v43
	v_cndmask_b32_e32 v44, v64, v42, vcc
	s_waitcnt vmcnt(5)
	v_mfma_f32_16x16x16_bf16 v[56:59], v[10:11], v[18:19], 0
	v_cmp_gt_i32_e32 vcc, s33, v41
	v_lshl_add_u64 v[50:51], s[4:5], 0, v[38:39]
	v_lshl_or_b32 v38, v1, 10, v45
	v_mfma_f32_16x16x16_bf16 v[2:5], v[26:27], v[14:15], v[2:5]
	v_cndmask_b32_e32 v26, v64, v43, vcc
	v_ashrrev_i32_e32 v45, 31, v44
	v_ashrrev_i32_e32 v27, 31, v26
	v_mfma_f32_16x16x16_bf16 v[22:25], v[24:25], v[16:17], v[6:9]
	s_nop 2
	v_lshl_add_u64 v[6:7], v[44:45], 2, s[12:13]
	v_mfma_f32_16x16x16_bf16 v[10:13], v[12:13], v[20:21], v[56:59]
	v_lshl_add_u64 v[8:9], v[26:27], 2, s[12:13]
	global_load_dword v55, v[6:7], off
	s_nop 0
	global_load_dword v58, v[8:9], off
	s_waitcnt vmcnt(6)
	v_mfma_f32_16x16x16_bf16 v[40:43], v[30:31], v[14:15], v[10:13]
	s_nop 2
	v_lshl_add_u64 v[10:11], v[50:51], 0, v[38:39]
	v_mfma_f32_16x16x16_bf16 v[30:33], v[32:33], v[16:17], v[40:43]
	v_pk_mul_f32 v[50:51], s[6:7], v[24:25] op_sel_hi:[0,1]
	s_waitcnt vmcnt(2)
	v_mad_i64_i32 v[12:13], s[4:5], v66, s45, 0
	v_mfma_f32_16x16x16_bf16 v[38:41], v[46:47], v[18:19], 0
	v_lshl_add_u64 v[56:57], v[12:13], 1, v[10:11]
	v_pk_mul_f32 v[12:13], s[6:7], v[22:23] op_sel_hi:[0,1]
	s_nop 0
	v_pk_mul_f32 v[46:47], s[6:7], v[30:31] op_sel_hi:[0,1]
	v_mfma_f32_16x16x16_bf16 v[18:21], v[48:49], v[20:21], v[38:41]
	v_pk_mul_f32 v[48:49], s[6:7], v[32:33] op_sel_hi:[0,1]
	v_mfma_f32_16x16x16_bf16 v[18:21], v[60:61], v[14:15], v[18:21]
	v_mfma_f32_16x16x16_bf16 v[26:29], v[28:29], v[16:17], v[2:5]
	;; [unrolled: 1-line block ×3, first 2 shown]
	s_nop 1
	v_mad_i64_i32 v[2:3], s[4:5], v65, s45, 0
	s_nop 2
	v_pk_mul_f32 v[42:43], s[6:7], v[26:27] op_sel_hi:[0,1]
	v_pk_mul_f32 v[52:53], s[6:7], v[28:29] op_sel_hi:[0,1]
	v_lshl_add_u64 v[2:3], v[2:3], 1, v[10:11]
	v_pk_mul_f32 v[44:45], s[6:7], v[14:15] op_sel_hi:[0,1]
	v_and_b32_e32 v14, 0xc0, v0
	v_add_u32_e32 v14, s14, v14
	v_lshl_or_b32 v14, v54, 2, v14
	v_pk_mul_f32 v[38:39], s[6:7], v[16:17] op_sel_hi:[0,1]
	v_or_b32_e32 v17, 1, v14
	v_mov_b32_e32 v15, 0xff7fffff
	v_cmp_gt_i32_e64 s[4:5], s33, v14
	v_cmp_gt_i32_e64 s[34:35], s33, v17
	v_or_b32_e32 v18, 3, v14
	v_cndmask_b32_e64 v16, v15, v12, s[4:5]
	v_cndmask_b32_e64 v17, v15, v13, s[34:35]
	v_max3_f32 v16, v16, s43, v17
	v_or_b32_e32 v17, 2, v14
	v_cmp_gt_i32_e64 s[36:37], s33, v17
	v_cmp_gt_i32_e64 s[38:39], s33, v18
	global_load_dwordx4 v[6:9], v[2:3], off
	s_nop 0
	global_load_dwordx4 v[2:5], v[2:3], off offset:16
	v_cndmask_b32_e64 v17, v15, v50, s[36:37]
	v_cndmask_b32_e64 v18, v15, v51, s[38:39]
	v_max3_f32 v16, v16, v17, v18
	v_or_b32_e32 v17, 16, v14
	v_or_b32_e32 v18, 17, v14
	v_cmp_gt_i32_e64 s[24:25], s33, v17
	v_cmp_gt_i32_e64 s[26:27], s33, v18
	global_load_dwordx4 v[30:33], v[56:57], off
	global_load_dwordx4 v[26:29], v[56:57], off offset:16
	v_cndmask_b32_e64 v17, v15, v42, s[24:25]
	v_cndmask_b32_e64 v18, v15, v43, s[26:27]
	v_max3_f32 v16, v16, v17, v18
	v_or_b32_e32 v17, 18, v14
	v_or_b32_e32 v18, 19, v14
	v_cmp_gt_i32_e64 s[20:21], s33, v17
	v_cmp_gt_i32_e64 s[22:23], s33, v18
	s_nop 0
	v_cndmask_b32_e64 v17, v15, v52, s[20:21]
	v_cndmask_b32_e64 v18, v15, v53, s[22:23]
	v_max3_f32 v16, v16, v17, v18
	v_or_b32_e32 v17, 32, v14
	v_or_b32_e32 v18, 33, v14
	v_cmp_gt_i32_e64 s[16:17], s33, v17
	v_cmp_gt_i32_e64 s[18:19], s33, v18
	s_nop 0
	;; [unrolled: 8-line block ×4, first 2 shown]
	v_cndmask_b32_e64 v17, v15, v44, s[8:9]
	v_cndmask_b32_e64 v18, v15, v45, s[10:11]
	v_max3_f32 v16, v16, v17, v18
	v_or_b32_e32 v17, 50, v14
	v_or_b32_e32 v14, 51, v14
	v_cmp_gt_i32_e32 vcc, s33, v17
	v_cmp_gt_i32_e64 s[6:7], s33, v14
	s_nop 0
	v_cndmask_b32_e32 v17, v15, v38, vcc
	v_cndmask_b32_e64 v14, v15, v39, s[6:7]
	v_max3_f32 v16, v16, v17, v14
	v_mbcnt_lo_u32_b32 v14, -1, 0
	v_mbcnt_hi_u32_b32 v17, -1, v14
	v_and_b32_e32 v14, 64, v17
	v_add_u32_e32 v18, 64, v14
	v_xor_b32_e32 v14, 32, v17
	v_cmp_lt_i32_e64 s[40:41], v14, v18
	s_nop 1
	v_cndmask_b32_e64 v14, v17, v14, s[40:41]
	v_lshlrev_b32_e32 v59, 2, v14
	ds_bpermute_b32 v19, v59, v16
	s_waitcnt vmcnt(5)
	v_mad_i64_i32 v[14:15], s[40:41], v55, s45, 0
	v_lshl_add_u64 v[14:15], v[14:15], 1, v[10:11]
	s_waitcnt lgkmcnt(0)
	v_max_f32_e32 v19, v19, v19
	v_max_f32_e32 v16, v16, v19
	v_xor_b32_e32 v19, 16, v17
	v_cmp_lt_i32_e64 s[40:41], v19, v18
	s_nop 1
	v_cndmask_b32_e64 v17, v17, v19, s[40:41]
	v_lshlrev_b32_e32 v57, 2, v17
	ds_bpermute_b32 v17, v57, v16
	global_load_dwordx4 v[22:25], v[14:15], off
	global_load_dwordx4 v[18:21], v[14:15], off offset:16
	s_waitcnt vmcnt(6)
	v_mad_i64_i32 v[14:15], s[40:41], v58, s45, 0
	v_lshl_add_u64 v[10:11], v[14:15], 1, v[10:11]
	s_waitcnt lgkmcnt(0)
	v_max_f32_e32 v14, v17, v17
	v_max_f32_e32 v55, v16, v14
	v_sub_f32_e32 v12, v12, v55
	v_mul_f32_e32 v12, 0x3fb8aa3b, v12
	v_exp_f32_e32 v40, v12
	v_sub_f32_e32 v12, v13, v55
	v_mul_f32_e32 v12, 0x3fb8aa3b, v12
	v_exp_f32_e32 v41, v12
	global_load_dwordx4 v[14:17], v[10:11], off
	s_nop 0
	global_load_dwordx4 v[10:13], v[10:11], off offset:16
	v_sub_f32_e32 v50, v50, v55
	v_mul_f32_e32 v50, 0x3fb8aa3b, v50
	v_sub_f32_e32 v51, v51, v55
	v_exp_f32_e32 v50, v50
	v_mul_f32_e32 v51, 0x3fb8aa3b, v51
	v_sub_f32_e32 v42, v42, v55
	v_exp_f32_e32 v51, v51
	v_mul_f32_e32 v42, 0x3fb8aa3b, v42
	v_sub_f32_e32 v43, v43, v55
	v_cndmask_b32_e64 v40, 0, v40, s[4:5]
	v_exp_f32_e32 v42, v42
	v_mul_f32_e32 v43, 0x3fb8aa3b, v43
	v_sub_f32_e32 v52, v52, v55
	v_add_f32_e32 v56, 0, v40
	v_cndmask_b32_e64 v41, 0, v41, s[34:35]
	v_exp_f32_e32 v43, v43
	v_mul_f32_e32 v52, 0x3fb8aa3b, v52
	v_sub_f32_e32 v53, v53, v55
	v_add_f32_e32 v56, v56, v41
	;; [unrolled: 5-line block ×10, first 2 shown]
	v_cndmask_b32_e64 v48, 0, v48, s[12:13]
	v_exp_f32_e32 v38, v38
	v_mul_f32_e32 v39, 0x3fb8aa3b, v39
	v_add_f32_e32 v56, v56, v48
	v_cndmask_b32_e64 v49, 0, v49, s[14:15]
	v_exp_f32_e32 v39, v39
	v_add_f32_e32 v56, v56, v49
	v_cndmask_b32_e64 v44, 0, v44, s[8:9]
	v_add_f32_e32 v56, v56, v44
	v_cndmask_b32_e64 v45, 0, v45, s[10:11]
	v_add_f32_e32 v56, v56, v45
	v_cndmask_b32_e32 v38, 0, v38, vcc
	v_add_f32_e32 v56, v56, v38
	v_cndmask_b32_e64 v39, 0, v39, s[6:7]
	v_add_f32_e32 v56, v56, v39
	ds_bpermute_b32 v58, v59, v56
	v_cmp_gt_u32_e64 s[6:7], 16, v37
	v_lshlrev_b32_e32 v37, 2, v36
	s_waitcnt lgkmcnt(0)
	s_barrier
	v_add_f32_e32 v56, v56, v58
	ds_bpermute_b32 v57, v57, v56
	s_waitcnt lgkmcnt(0)
	s_and_saveexec_b64 s[4:5], s[6:7]
	s_cbranch_execz .LBB524_15
; %bb.14:
	v_add_f32_e32 v56, v56, v57
	v_lshl_or_b32 v57, v1, 6, v37
	ds_write2st64_b32 v57, v55, v56 offset1:1
.LBB524_15:
	s_or_b64 exec, exec, s[4:5]
	s_load_dword s8, s[0:1], 0x94
	s_waitcnt lgkmcnt(0)
	s_barrier
	ds_read2_b32 v[56:57], v37 offset1:16
	ds_read2_b32 v[58:59], v37 offset0:32 offset1:48
	ds_read2_b32 v[60:61], v37 offset0:64 offset1:80
	;; [unrolled: 1-line block ×3, first 2 shown]
	s_movk_i32 s10, 0x7fff
	s_waitcnt lgkmcnt(3)
	v_max3_f32 v55, v56, s43, v57
	s_waitcnt lgkmcnt(2)
	v_max3_f32 v55, v55, v58, v59
	v_sub_f32_e32 v56, v56, v55
	v_mul_f32_e32 v56, 0x3fb8aa3b, v56
	v_exp_f32_e32 v64, v56
	v_sub_f32_e32 v56, v57, v55
	v_mul_f32_e32 v56, 0x3fb8aa3b, v56
	v_exp_f32_e32 v57, v56
	v_sub_f32_e32 v56, v58, v55
	v_mul_f32_e32 v56, 0x3fb8aa3b, v56
	v_sub_f32_e32 v37, v59, v55
	v_exp_f32_e32 v58, v56
	v_mul_f32_e32 v37, 0x3fb8aa3b, v37
	v_exp_f32_e32 v37, v37
	s_waitcnt lgkmcnt(1)
	v_fma_f32 v56, v64, v60, 0
	v_fmac_f32_e32 v56, v57, v61
	s_waitcnt lgkmcnt(0)
	v_fmac_f32_e32 v56, v58, v62
	v_fmac_f32_e32 v56, v37, v63
	v_add_f32_e32 v59, 0x358637bd, v56
	v_div_scale_f32 v60, s[4:5], v59, v59, 1.0
	v_rcp_f32_e32 v61, v60
	s_mov_b32 s11, 0x7060302
	s_barrier
	v_fma_f32 v62, -v60, v61, 1.0
	v_fmac_f32_e32 v61, v62, v61
	v_div_scale_f32 v62, vcc, 1.0, v59, 1.0
	v_mul_f32_e32 v63, v62, v61
	v_fma_f32 v65, -v60, v63, v62
	v_fmac_f32_e32 v63, v65, v61
	v_fma_f32 v60, -v60, v63, v62
	v_div_fmas_f32 v60, v60, v61, v63
	v_cmp_eq_u32_e32 vcc, 1, v1
	v_div_fixup_f32 v59, v60, v59, 1.0
	s_nop 0
	v_cndmask_b32_e32 v57, v64, v57, vcc
	v_cmp_eq_u32_e32 vcc, 2, v1
	s_mul_i32 s9, s29, 9
	s_nop 0
	v_cndmask_b32_e32 v57, v57, v58, vcc
	v_cmp_eq_u32_e32 vcc, 3, v1
	v_lshlrev_b32_e32 v1, 11, v1
	s_nop 0
	v_cndmask_b32_e32 v37, v57, v37, vcc
	v_mul_f32_e32 v58, v37, v59
	v_pk_mul_f32 v[40:41], v[58:59], v[40:41] op_sel_hi:[0,1]
	v_bfe_u32 v37, v41, 16, 1
	v_bfe_u32 v57, v40, 16, 1
	v_pk_mul_f32 v[50:51], v[58:59], v[50:51] op_sel_hi:[0,1]
	v_add3_u32 v40, v40, v57, s10
	v_add3_u32 v37, v41, v37, s10
	v_perm_b32 v60, v37, v40, s11
	v_bfe_u32 v37, v51, 16, 1
	v_bfe_u32 v40, v50, 16, 1
	v_add3_u32 v40, v50, v40, s10
	v_add3_u32 v37, v51, v37, s10
	v_perm_b32 v61, v37, v40, s11
	v_lshlrev_b32_e32 v37, 3, v54
	v_lshlrev_b32_e32 v40, 5, v36
	v_pk_mul_f32 v[42:43], v[58:59], v[42:43] op_sel_hi:[0,1]
	v_or3_b32 v1, v1, v40, v37
	v_bfe_u32 v37, v43, 16, 1
	v_bfe_u32 v41, v42, 16, 1
	v_pk_mul_f32 v[50:51], v[58:59], v[52:53] op_sel_hi:[0,1]
	v_add3_u32 v41, v42, v41, s10
	v_add3_u32 v37, v43, v37, s10
	v_perm_b32 v42, v37, v41, s11
	v_bfe_u32 v37, v51, 16, 1
	v_bfe_u32 v41, v50, 16, 1
	v_add3_u32 v41, v50, v41, s10
	v_add3_u32 v37, v51, v37, s10
	v_pk_mul_f32 v[46:47], v[58:59], v[46:47] op_sel_hi:[0,1]
	v_perm_b32 v43, v37, v41, s11
	v_bfe_u32 v37, v47, 16, 1
	v_bfe_u32 v41, v46, 16, 1
	ds_write2st64_b64 v1, v[60:61], v[42:43] offset1:1
	v_pk_mul_f32 v[42:43], v[58:59], v[48:49] op_sel_hi:[0,1]
	v_add3_u32 v41, v46, v41, s10
	v_add3_u32 v37, v47, v37, s10
	v_perm_b32 v46, v37, v41, s11
	v_bfe_u32 v37, v43, 16, 1
	v_bfe_u32 v41, v42, 16, 1
	v_add3_u32 v41, v42, v41, s10
	v_add3_u32 v37, v43, v37, s10
	v_pk_mul_f32 v[42:43], v[58:59], v[44:45] op_sel_hi:[0,1]
	v_perm_b32 v47, v37, v41, s11
	v_bfe_u32 v37, v43, 16, 1
	v_bfe_u32 v41, v42, 16, 1
	v_pk_mul_f32 v[38:39], v[58:59], v[38:39] op_sel_hi:[0,1]
	v_add3_u32 v41, v42, v41, s10
	v_add3_u32 v37, v43, v37, s10
	v_perm_b32 v42, v37, v41, s11
	v_bfe_u32 v37, v39, 16, 1
	v_bfe_u32 v41, v38, 16, 1
	v_add3_u32 v38, v38, v41, s10
	v_add3_u32 v37, v39, v37, s10
	v_perm_b32 v43, v37, v38, s11
	v_cmp_gt_u32_e32 vcc, 9, v0
	ds_write2st64_b64 v1, v[46:47], v[42:43] offset0:2 offset1:3
	s_and_saveexec_b64 s[4:5], vcc
	s_cbranch_execz .LBB524_17
; %bb.16:
	s_mov_b32 s43, 0
	v_mov_b32_e32 v37, 0
	v_lshl_add_u64 v[38:39], s[42:43], 0, v[36:37]
	v_mov_b32_e32 v36, s9
	v_mad_u64_u32 v[38:39], s[16:17], s2, v36, v[38:39]
	v_mov_b32_e32 v36, s28
	s_load_dwordx4 s[12:15], s[0:1], 0x58
	s_mul_i32 s3, s3, s9
	v_mad_u64_u32 v[36:37], s[16:17], v38, s8, v[36:37]
	v_add_u32_e32 v39, s3, v39
	v_mov_b32_e32 v38, v37
	v_mad_u64_u32 v[38:39], s[16:17], v39, s8, v[38:39]
	v_mov_b32_e32 v37, v38
	v_lshlrev_b64 v[36:37], 2, v[36:37]
	s_waitcnt lgkmcnt(0)
	v_lshl_add_u64 v[38:39], s[14:15], 0, v[36:37]
	v_lshl_add_u64 v[36:37], s[12:13], 0, v[36:37]
	global_store_dword v[38:39], v55, off
	global_store_dword v[36:37], v56, off
.LBB524_17:
	s_or_b64 exec, exec, s[4:5]
	v_lshl_or_b32 v48, v54, 9, v40
	s_waitcnt lgkmcnt(0)
	s_barrier
	ds_read_b128 v[36:39], v48
	ds_read_b128 v[40:43], v48 offset:16
	s_waitcnt vmcnt(7) lgkmcnt(1)
	v_mfma_f32_16x16x16_bf16 v[44:47], v[6:7], v[36:37], 0
	v_cmp_gt_u32_e32 vcc, 64, v0
	s_mov_b32 s3, 0
	s_and_b64 s[4:5], vcc, s[30:31]
	v_mfma_f32_16x16x16_bf16 v[6:9], v[8:9], v[38:39], v[44:47]
	s_waitcnt vmcnt(6) lgkmcnt(0)
	v_mfma_f32_16x16x16_bf16 v[6:9], v[2:3], v[40:41], v[6:9]
	v_mfma_f32_16x16x16_bf16 v[2:5], v[4:5], v[42:43], v[6:9]
	s_nop 5
	ds_read_b128 v[6:9], v48 offset:2048
	ds_read_b128 v[36:39], v48 offset:2064
	s_waitcnt vmcnt(5) lgkmcnt(1)
	v_mfma_f32_16x16x16_bf16 v[2:5], v[30:31], v[6:7], v[2:5]
	v_mfma_f32_16x16x16_bf16 v[2:5], v[32:33], v[8:9], v[2:5]
	s_waitcnt vmcnt(4) lgkmcnt(0)
	v_mfma_f32_16x16x16_bf16 v[2:5], v[26:27], v[36:37], v[2:5]
	v_mfma_f32_16x16x16_bf16 v[2:5], v[28:29], v[38:39], v[2:5]
	ds_read_b128 v[6:9], v48 offset:4096
	ds_read_b128 v[26:29], v48 offset:4112
	s_waitcnt vmcnt(3) lgkmcnt(1)
	v_mfma_f32_16x16x16_bf16 v[2:5], v[22:23], v[6:7], v[2:5]
	v_mfma_f32_16x16x16_bf16 v[2:5], v[24:25], v[8:9], v[2:5]
	s_waitcnt vmcnt(2) lgkmcnt(0)
	v_mfma_f32_16x16x16_bf16 v[2:5], v[18:19], v[26:27], v[2:5]
	v_mfma_f32_16x16x16_bf16 v[2:5], v[20:21], v[28:29], v[2:5]
	ds_read_b128 v[6:9], v48 offset:6144
	ds_read_b128 v[18:21], v48 offset:6160
	s_waitcnt lgkmcnt(0)
	s_barrier
	s_waitcnt vmcnt(1)
	v_mfma_f32_16x16x16_bf16 v[2:5], v[14:15], v[6:7], v[2:5]
	v_mfma_f32_16x16x16_bf16 v[2:5], v[16:17], v[8:9], v[2:5]
	s_waitcnt vmcnt(0)
	v_mfma_f32_16x16x16_bf16 v[2:5], v[10:11], v[18:19], v[2:5]
	v_mfma_f32_16x16x16_bf16 v[2:5], v[12:13], v[20:21], v[2:5]
	s_nop 6
	v_bfe_u32 v6, v3, 16, 1
	v_bfe_u32 v7, v2, 16, 1
	;; [unrolled: 1-line block ×4, first 2 shown]
	v_add3_u32 v2, v2, v7, s10
	v_add3_u32 v3, v3, v6, s10
	;; [unrolled: 1-line block ×4, first 2 shown]
	v_perm_b32 v2, v3, v2, s11
	v_perm_b32 v3, v5, v4, s11
	ds_write_b64 v1, v[2:3]
	s_waitcnt lgkmcnt(0)
	s_barrier
	s_and_saveexec_b64 s[10:11], s[4:5]
	s_cbranch_execz .LBB524_20
; %bb.18:
	s_load_dwordx2 s[4:5], s[0:1], 0x68
	s_lshl_b32 s0, s8, 6
	s_mul_i32 s1, s9, s2
	s_mul_hi_u32 s9, s1, s0
	s_mul_i32 s8, s1, s0
	v_lshlrev_b32_e32 v1, 10, v0
	v_lshlrev_b32_e32 v0, 4, v0
	s_lshl_b64 s[8:9], s[8:9], 1
	v_and_b32_e32 v1, 0x1800, v1
	v_lshlrev_b32_e32 v2, 5, v54
	v_and_b32_e32 v0, 16, v0
	s_waitcnt lgkmcnt(0)
	s_add_u32 s1, s4, s8
	v_or3_b32 v2, v1, v2, v0
	s_addc_u32 s4, s5, s9
	s_lshl_b32 s2, s28, 6
	s_lshl_b64 s[2:3], s[2:3], 1
	ds_read_b128 v[4:7], v2 offset:128
	ds_read_b128 v[8:11], v2
	s_add_u32 s2, s1, s2
	s_addc_u32 s3, s4, s3
	v_add_u32_e32 v3, s42, v54
	v_lshl_add_u64 v[0:1], v[34:35], 1, s[2:3]
	v_mad_u64_u32 v[12:13], s[2:3], v3, s0, 0
	v_lshl_add_u64 v[12:13], v[12:13], 1, v[0:1]
	v_add_u32_e32 v3, 4, v3
	s_waitcnt lgkmcnt(0)
	global_store_dwordx4 v[12:13], v[8:11], off
	s_nop 1
	v_mad_u64_u32 v[8:9], s[2:3], v3, s0, 0
	v_lshl_add_u64 v[8:9], v[8:9], 1, v[0:1]
	global_store_dwordx4 v[8:9], v[4:7], off
	s_and_b64 exec, exec, s[6:7]
	s_cbranch_execz .LBB524_20
; %bb.19:
	ds_read_b128 v[2:5], v2 offset:256
	v_add3_u32 v6, s42, v54, 8
	v_mad_u64_u32 v[6:7], s[0:1], v6, s0, 0
	v_lshl_add_u64 v[0:1], v[6:7], 1, v[0:1]
	s_waitcnt lgkmcnt(0)
	global_store_dwordx4 v[0:1], v[2:5], off
.LBB524_20:
	s_endpgm
	.section	.rodata,"a",@progbits
	.p2align	6, 0x0
	.amdhsa_kernel _Z39paged_attention_ll4mi_QKV_mfma16_kernelI14__hip_bfloat16S0_LN4vllm18Fp8KVCacheDataTypeE0EhLi32ELi64ELi256ELb0ELi9EEvPKT_PKT0_S8_ifPKiSA_SA_iPKfiiiPfSD_PS3_PT2_iSC_SC_
		.amdhsa_group_segment_fixed_size 8192
		.amdhsa_private_segment_fixed_size 0
		.amdhsa_kernarg_size 400
		.amdhsa_user_sgpr_count 2
		.amdhsa_user_sgpr_dispatch_ptr 0
		.amdhsa_user_sgpr_queue_ptr 0
		.amdhsa_user_sgpr_kernarg_segment_ptr 1
		.amdhsa_user_sgpr_dispatch_id 0
		.amdhsa_user_sgpr_kernarg_preload_length 0
		.amdhsa_user_sgpr_kernarg_preload_offset 0
		.amdhsa_user_sgpr_private_segment_size 0
		.amdhsa_uses_dynamic_stack 0
		.amdhsa_enable_private_segment 0
		.amdhsa_system_sgpr_workgroup_id_x 1
		.amdhsa_system_sgpr_workgroup_id_y 1
		.amdhsa_system_sgpr_workgroup_id_z 1
		.amdhsa_system_sgpr_workgroup_info 0
		.amdhsa_system_vgpr_workitem_id 0
		.amdhsa_next_free_vgpr 67
		.amdhsa_next_free_sgpr 48
		.amdhsa_accum_offset 68
		.amdhsa_reserve_vcc 1
		.amdhsa_float_round_mode_32 0
		.amdhsa_float_round_mode_16_64 0
		.amdhsa_float_denorm_mode_32 3
		.amdhsa_float_denorm_mode_16_64 3
		.amdhsa_dx10_clamp 1
		.amdhsa_ieee_mode 1
		.amdhsa_fp16_overflow 0
		.amdhsa_tg_split 0
		.amdhsa_exception_fp_ieee_invalid_op 0
		.amdhsa_exception_fp_denorm_src 0
		.amdhsa_exception_fp_ieee_div_zero 0
		.amdhsa_exception_fp_ieee_overflow 0
		.amdhsa_exception_fp_ieee_underflow 0
		.amdhsa_exception_fp_ieee_inexact 0
		.amdhsa_exception_int_div_zero 0
	.end_amdhsa_kernel
	.section	.text._Z39paged_attention_ll4mi_QKV_mfma16_kernelI14__hip_bfloat16S0_LN4vllm18Fp8KVCacheDataTypeE0EhLi32ELi64ELi256ELb0ELi9EEvPKT_PKT0_S8_ifPKiSA_SA_iPKfiiiPfSD_PS3_PT2_iSC_SC_,"axG",@progbits,_Z39paged_attention_ll4mi_QKV_mfma16_kernelI14__hip_bfloat16S0_LN4vllm18Fp8KVCacheDataTypeE0EhLi32ELi64ELi256ELb0ELi9EEvPKT_PKT0_S8_ifPKiSA_SA_iPKfiiiPfSD_PS3_PT2_iSC_SC_,comdat
.Lfunc_end524:
	.size	_Z39paged_attention_ll4mi_QKV_mfma16_kernelI14__hip_bfloat16S0_LN4vllm18Fp8KVCacheDataTypeE0EhLi32ELi64ELi256ELb0ELi9EEvPKT_PKT0_S8_ifPKiSA_SA_iPKfiiiPfSD_PS3_PT2_iSC_SC_, .Lfunc_end524-_Z39paged_attention_ll4mi_QKV_mfma16_kernelI14__hip_bfloat16S0_LN4vllm18Fp8KVCacheDataTypeE0EhLi32ELi64ELi256ELb0ELi9EEvPKT_PKT0_S8_ifPKiSA_SA_iPKfiiiPfSD_PS3_PT2_iSC_SC_
                                        ; -- End function
	.section	.AMDGPU.csdata,"",@progbits
; Kernel info:
; codeLenInByte = 4184
; NumSgprs: 54
; NumVgprs: 67
; NumAgprs: 0
; TotalNumVgprs: 67
; ScratchSize: 0
; MemoryBound: 0
; FloatMode: 240
; IeeeMode: 1
; LDSByteSize: 8192 bytes/workgroup (compile time only)
; SGPRBlocks: 6
; VGPRBlocks: 8
; NumSGPRsForWavesPerEU: 54
; NumVGPRsForWavesPerEU: 67
; AccumOffset: 68
; Occupancy: 7
; WaveLimiterHint : 1
; COMPUTE_PGM_RSRC2:SCRATCH_EN: 0
; COMPUTE_PGM_RSRC2:USER_SGPR: 2
; COMPUTE_PGM_RSRC2:TRAP_HANDLER: 0
; COMPUTE_PGM_RSRC2:TGID_X_EN: 1
; COMPUTE_PGM_RSRC2:TGID_Y_EN: 1
; COMPUTE_PGM_RSRC2:TGID_Z_EN: 1
; COMPUTE_PGM_RSRC2:TIDIG_COMP_CNT: 0
; COMPUTE_PGM_RSRC3_GFX90A:ACCUM_OFFSET: 16
; COMPUTE_PGM_RSRC3_GFX90A:TG_SPLIT: 0
	.section	.text._Z39paged_attention_ll4mi_QKV_mfma16_kernelI14__hip_bfloat16S0_LN4vllm18Fp8KVCacheDataTypeE0EhLi32ELi64ELi256ELb0ELi10EEvPKT_PKT0_S8_ifPKiSA_SA_iPKfiiiPfSD_PS3_PT2_iSC_SC_,"axG",@progbits,_Z39paged_attention_ll4mi_QKV_mfma16_kernelI14__hip_bfloat16S0_LN4vllm18Fp8KVCacheDataTypeE0EhLi32ELi64ELi256ELb0ELi10EEvPKT_PKT0_S8_ifPKiSA_SA_iPKfiiiPfSD_PS3_PT2_iSC_SC_,comdat
	.protected	_Z39paged_attention_ll4mi_QKV_mfma16_kernelI14__hip_bfloat16S0_LN4vllm18Fp8KVCacheDataTypeE0EhLi32ELi64ELi256ELb0ELi10EEvPKT_PKT0_S8_ifPKiSA_SA_iPKfiiiPfSD_PS3_PT2_iSC_SC_ ; -- Begin function _Z39paged_attention_ll4mi_QKV_mfma16_kernelI14__hip_bfloat16S0_LN4vllm18Fp8KVCacheDataTypeE0EhLi32ELi64ELi256ELb0ELi10EEvPKT_PKT0_S8_ifPKiSA_SA_iPKfiiiPfSD_PS3_PT2_iSC_SC_
	.globl	_Z39paged_attention_ll4mi_QKV_mfma16_kernelI14__hip_bfloat16S0_LN4vllm18Fp8KVCacheDataTypeE0EhLi32ELi64ELi256ELb0ELi10EEvPKT_PKT0_S8_ifPKiSA_SA_iPKfiiiPfSD_PS3_PT2_iSC_SC_
	.p2align	8
	.type	_Z39paged_attention_ll4mi_QKV_mfma16_kernelI14__hip_bfloat16S0_LN4vllm18Fp8KVCacheDataTypeE0EhLi32ELi64ELi256ELb0ELi10EEvPKT_PKT0_S8_ifPKiSA_SA_iPKfiiiPfSD_PS3_PT2_iSC_SC_,@function
_Z39paged_attention_ll4mi_QKV_mfma16_kernelI14__hip_bfloat16S0_LN4vllm18Fp8KVCacheDataTypeE0EhLi32ELi64ELi256ELb0ELi10EEvPKT_PKT0_S8_ifPKiSA_SA_iPKfiiiPfSD_PS3_PT2_iSC_SC_: ; @_Z39paged_attention_ll4mi_QKV_mfma16_kernelI14__hip_bfloat16S0_LN4vllm18Fp8KVCacheDataTypeE0EhLi32ELi64ELi256ELb0ELi10EEvPKT_PKT0_S8_ifPKiSA_SA_iPKfiiiPfSD_PS3_PT2_iSC_SC_
; %bb.0:
	s_load_dwordx2 s[6:7], s[0:1], 0x30
	s_mov_b32 s28, s3
	s_mov_b64 s[10:11], 0
	s_waitcnt lgkmcnt(0)
	s_cmp_lg_u64 s[6:7], 0
	s_cselect_b64 s[8:9], -1, 0
	s_and_b64 vcc, exec, s[8:9]
	s_cbranch_vccz .LBB525_7
; %bb.1:
	s_add_i32 s12, s2, 1
	s_mov_b32 s13, 0
	s_lshl_b64 s[14:15], s[12:13], 2
	s_add_u32 s14, s6, s14
	s_mov_b32 s3, s13
	s_addc_u32 s15, s7, s15
	s_lshl_b64 s[12:13], s[2:3], 2
	s_add_u32 s12, s6, s12
	s_addc_u32 s13, s7, s13
	s_load_dword s5, s[14:15], 0x0
	s_load_dword s16, s[12:13], 0x0
	s_waitcnt lgkmcnt(0)
	s_sub_i32 s5, s5, s16
	s_cmp_eq_u32 s5, 1
	s_cselect_b64 s[12:13], -1, 0
	s_andn2_b64 vcc, exec, s[10:11]
	s_cbranch_vccnz .LBB525_3
.LBB525_2:
	s_mov_b32 s3, 0
	s_mov_b64 s[12:13], -1
.LBB525_3:
	s_andn2_b64 vcc, exec, s[12:13]
	s_cbranch_vccnz .LBB525_20
; %bb.4:
	s_load_dwordx2 s[12:13], s[0:1], 0x28
	s_lshl_b64 s[10:11], s[2:3], 2
	s_waitcnt lgkmcnt(0)
	s_add_u32 s12, s12, s10
	s_addc_u32 s13, s13, s11
	s_load_dword s33, s[12:13], 0x0
	s_lshl_b32 s14, s28, 8
	s_waitcnt lgkmcnt(0)
	s_cmp_ge_i32 s14, s33
	s_cbranch_scc1 .LBB525_20
; %bb.5:
	s_load_dwordx2 s[12:13], s[0:1], 0x20
	s_load_dword s5, s[0:1], 0x38
	s_add_i32 s15, s33, 31
	s_ashr_i32 s16, s15, 31
	v_and_b32_e32 v1, 0xcf, v0
	s_lshr_b32 s16, s16, 27
	v_add_u32_e32 v1, s14, v1
	s_add_i32 s15, s15, s16
	v_ashrrev_i32_e32 v2, 31, v1
	s_ashr_i32 s15, s15, 5
	v_lshrrev_b32_e32 v10, 27, v2
	s_add_i32 s15, s15, -1
	s_waitcnt lgkmcnt(0)
	s_mul_i32 s16, s2, s5
	s_mov_b32 s17, 0
	v_add_u32_e32 v2, v1, v10
	s_lshl_b64 s[16:17], s[16:17], 2
	v_ashrrev_i32_e32 v2, 5, v2
	v_mov_b32_e32 v11, s15
	v_cmp_gt_i32_e32 vcc, s33, v1
	s_add_u32 s12, s12, s16
	s_addc_u32 s13, s13, s17
	v_cndmask_b32_e32 v2, v11, v2, vcc
	v_ashrrev_i32_e32 v3, 31, v2
	v_lshl_add_u64 v[4:5], v[2:3], 2, s[12:13]
	v_or_b32_e32 v2, 16, v1
	v_add_u32_e32 v3, v2, v10
	v_ashrrev_i32_e32 v3, 5, v3
	v_cmp_gt_i32_e32 vcc, s33, v2
	s_nop 1
	v_cndmask_b32_e32 v2, v11, v3, vcc
	v_ashrrev_i32_e32 v3, 31, v2
	v_lshl_add_u64 v[6:7], v[2:3], 2, s[12:13]
	v_or_b32_e32 v2, 32, v1
	v_add_u32_e32 v3, v2, v10
	v_ashrrev_i32_e32 v3, 5, v3
	v_cmp_gt_i32_e32 vcc, s33, v2
	v_or_b32_e32 v1, 48, v1
	s_nop 0
	v_cndmask_b32_e32 v2, v11, v3, vcc
	v_ashrrev_i32_e32 v3, 31, v2
	v_lshl_add_u64 v[8:9], v[2:3], 2, s[12:13]
	v_add_u32_e32 v2, v1, v10
	v_ashrrev_i32_e32 v2, 5, v2
	v_cmp_gt_i32_e32 vcc, s33, v1
	s_nop 1
	v_cndmask_b32_e32 v2, v11, v2, vcc
	v_ashrrev_i32_e32 v3, 31, v2
	v_lshl_add_u64 v[12:13], v[2:3], 2, s[12:13]
	global_load_dword v3, v[4:5], off
	global_load_dword v2, v[6:7], off
	;; [unrolled: 1-line block ×4, first 2 shown]
	s_andn2_b64 vcc, exec, s[8:9]
	s_cbranch_vccnz .LBB525_8
; %bb.6:
	s_add_u32 s6, s6, s10
	s_addc_u32 s7, s7, s11
	s_load_dword s5, s[6:7], 0x0
	s_branch .LBB525_9
.LBB525_7:
	s_mov_b64 s[12:13], 0
	s_branch .LBB525_2
.LBB525_8:
	s_mov_b32 s5, s2
.LBB525_9:
	s_load_dwordx4 s[8:11], s[0:1], 0x8
	s_load_dwordx4 s[44:47], s[0:1], 0x48
	v_lshrrev_b32_e32 v1, 6, v0
	v_bfe_u32 v54, v0, 4, 2
	v_lshl_or_b32 v4, v1, 2, v54
	v_and_b32_e32 v36, 15, v0
	v_cmp_lt_u32_e32 vcc, 9, v4
	v_cmp_lt_u32_e64 s[6:7], 7, v36
	v_lshlrev_b32_e32 v34, 3, v36
	v_cmp_gt_u32_e64 s[30:31], 8, v36
	s_or_b64 s[6:7], s[6:7], vcc
	s_and_saveexec_b64 s[16:17], s[6:7]
	s_xor_b64 s[6:7], exec, s[16:17]
; %bb.10:
	v_mov_b32_e32 v35, 0
                                        ; implicit-def: $vgpr4
; %bb.11:
	s_or_saveexec_b64 s[6:7], s[6:7]
	v_and_b32_e32 v37, 63, v0
	s_mul_i32 s42, s4, 10
	s_xor_b64 exec, exec, s[6:7]
	s_cbranch_execz .LBB525_13
; %bb.12:
	s_load_dwordx2 s[16:17], s[0:1], 0x0
	s_waitcnt lgkmcnt(0)
	s_ashr_i32 s18, s44, 31
	s_mul_hi_u32 s19, s5, s44
	s_mul_i32 s18, s5, s18
	s_add_i32 s19, s19, s18
	s_mul_i32 s18, s5, s44
	s_lshl_b64 s[18:19], s[18:19], 1
	s_add_u32 s16, s16, s18
	v_add_lshl_u32 v6, v4, s42, 6
	s_addc_u32 s17, s17, s19
	v_ashrrev_i32_e32 v7, 31, v6
	v_mov_b32_e32 v35, 0
	v_lshl_add_u64 v[6:7], v[6:7], 1, s[16:17]
	v_lshlrev_b32_e32 v8, 1, v34
	v_mov_b32_e32 v9, v35
	v_lshl_add_u64 v[6:7], v[6:7], 0, v[8:9]
	global_load_dwordx4 v[6:9], v[6:7], off
	v_and_b32_e32 v5, 3, v0
	v_lshlrev_b32_e32 v11, 9, v36
	v_lshlrev_b32_e32 v4, 5, v4
	;; [unrolled: 1-line block ×3, first 2 shown]
	v_and_b32_e32 v11, 0x1800, v11
	v_or3_b32 v4, v11, v5, v4
	s_waitcnt vmcnt(0)
	ds_write_b128 v4, v[6:9]
.LBB525_13:
	s_or_b64 exec, exec, s[6:7]
	s_waitcnt lgkmcnt(0)
	s_mul_i32 s4, s4, s46
	s_mov_b32 s5, 0
	s_lshl_b64 s[4:5], s[4:5], 1
	s_add_u32 s8, s8, s4
	s_addc_u32 s9, s9, s5
	s_waitcnt vmcnt(3)
	v_mad_i64_i32 v[4:5], s[16:17], v3, s45, 0
	v_lshl_add_u64 v[4:5], v[4:5], 1, s[8:9]
	v_lshlrev_b64 v[12:13], 1, v[34:35]
	v_lshlrev_b32_e32 v38, 9, v54
	v_lshl_add_u64 v[4:5], v[4:5], 0, v[12:13]
	v_mov_b32_e32 v39, 0
	v_lshl_add_u64 v[14:15], v[4:5], 0, v[38:39]
	s_waitcnt vmcnt(2)
	v_mad_i64_i32 v[2:3], s[16:17], v2, s45, 0
	v_mov_b32_e32 v4, 0x100
	v_lshl_add_u64 v[2:3], v[2:3], 1, s[8:9]
	v_lshl_or_b32 v40, v36, 4, v4
	v_mov_b32_e32 v41, v39
	s_load_dword s29, s[0:1], 0x98
	s_load_dword s6, s[0:1], 0x1c
	s_waitcnt lgkmcnt(0)
	s_barrier
	v_lshl_add_u64 v[2:3], v[2:3], 0, v[40:41]
	global_load_dwordx4 v[6:9], v[14:15], off
	global_load_dwordx4 v[22:25], v[14:15], off offset:2048
	v_lshl_add_u64 v[18:19], v[2:3], 0, v[38:39]
	global_load_dwordx4 v[2:5], v[18:19], off
	global_load_dwordx4 v[26:29], v[18:19], off offset:2048
	s_waitcnt vmcnt(5)
	v_mad_i64_i32 v[10:11], s[16:17], v10, s45, 0
	v_lshl_add_u64 v[10:11], v[10:11], 1, s[8:9]
	v_lshl_add_u64 v[10:11], v[10:11], 0, v[12:13]
	;; [unrolled: 1-line block ×3, first 2 shown]
	global_load_dwordx4 v[10:13], v[20:21], off
	global_load_dwordx4 v[30:33], v[20:21], off offset:2048
	s_waitcnt vmcnt(6)
	v_mad_i64_i32 v[42:43], s[16:17], v16, s45, 0
	v_add_u32_e32 v17, -10, v36
	v_cmp_gt_u32_e32 vcc, 10, v36
	v_lshl_add_u64 v[42:43], v[42:43], 1, s[8:9]
	v_lshl_add_u64 v[40:41], v[42:43], 0, v[40:41]
	v_cndmask_b32_e32 v14, v17, v36, vcc
	v_lshl_add_u32 v14, v14, 5, v38
	v_lshl_add_u64 v[40:41], v[40:41], 0, v[38:39]
	ds_read_b128 v[18:21], v14
	ds_read_b128 v[14:17], v14 offset:2048
	global_load_dwordx4 v[46:49], v[40:41], off
	global_load_dwordx4 v[60:63], v[40:41], off offset:2048
	s_ashr_i32 s7, s14, 31
	v_and_or_b32 v55, v0, 48, s14
	s_lshr_b32 s7, s7, 27
	v_add_u32_e32 v42, s7, v55
	v_mov_b32_e32 v64, s15
	v_or_b32_e32 v50, 64, v55
	v_ashrrev_i32_e32 v38, 5, v42
	v_cmp_gt_i32_e32 vcc, s33, v55
	v_add_u32_e32 v43, s7, v50
	v_ashrrev_i32_e32 v51, 5, v43
	v_cndmask_b32_e32 v42, v64, v38, vcc
	v_ashrrev_i32_e32 v43, 31, v42
	v_lshl_add_u64 v[42:43], v[42:43], 2, s[12:13]
	v_cmp_gt_i32_e32 vcc, s33, v50
	global_load_dword v65, v[42:43], off
	v_or_b32_e32 v40, 0x80, v55
	v_or_b32_e32 v41, 0xc0, v55
	v_and_b32_e32 v38, 16, v0
	s_add_u32 s4, s10, s4
	s_addc_u32 s5, s11, s5
	v_lshlrev_b32_e32 v38, 1, v38
	s_mov_b32 s43, 0xff7fffff
	s_waitcnt vmcnt(8) lgkmcnt(1)
	v_mfma_f32_16x16x16_bf16 v[42:45], v[6:7], v[18:19], 0
	v_cndmask_b32_e32 v6, v64, v51, vcc
	v_ashrrev_i32_e32 v7, 31, v6
	v_cmp_gt_i32_e32 vcc, s33, v40
	s_waitcnt vmcnt(6)
	v_mfma_f32_16x16x16_bf16 v[50:53], v[2:3], v[18:19], 0
	v_lshl_add_u64 v[2:3], v[6:7], 2, s[12:13]
	global_load_dword v66, v[2:3], off
	v_mfma_f32_16x16x16_bf16 v[6:9], v[8:9], v[20:21], v[42:45]
	v_mfma_f32_16x16x16_bf16 v[2:5], v[4:5], v[20:21], v[50:53]
	s_nop 1
	v_add_u32_e32 v42, s7, v40
	v_add_u32_e32 v43, s7, v41
	v_ashrrev_i32_e32 v42, 5, v42
	s_waitcnt lgkmcnt(0)
	v_mfma_f32_16x16x16_bf16 v[6:9], v[22:23], v[14:15], v[6:9]
	v_lshlrev_b32_e32 v45, 6, v36
	v_ashrrev_i32_e32 v43, 5, v43
	v_cndmask_b32_e32 v44, v64, v42, vcc
	s_waitcnt vmcnt(5)
	v_mfma_f32_16x16x16_bf16 v[56:59], v[10:11], v[18:19], 0
	v_cmp_gt_i32_e32 vcc, s33, v41
	v_lshl_add_u64 v[50:51], s[4:5], 0, v[38:39]
	v_lshl_or_b32 v38, v1, 10, v45
	v_mfma_f32_16x16x16_bf16 v[2:5], v[26:27], v[14:15], v[2:5]
	v_cndmask_b32_e32 v26, v64, v43, vcc
	v_ashrrev_i32_e32 v45, 31, v44
	v_ashrrev_i32_e32 v27, 31, v26
	v_mfma_f32_16x16x16_bf16 v[22:25], v[24:25], v[16:17], v[6:9]
	s_nop 2
	v_lshl_add_u64 v[6:7], v[44:45], 2, s[12:13]
	v_mfma_f32_16x16x16_bf16 v[10:13], v[12:13], v[20:21], v[56:59]
	v_lshl_add_u64 v[8:9], v[26:27], 2, s[12:13]
	global_load_dword v55, v[6:7], off
	s_nop 0
	global_load_dword v58, v[8:9], off
	s_waitcnt vmcnt(6)
	v_mfma_f32_16x16x16_bf16 v[40:43], v[30:31], v[14:15], v[10:13]
	s_nop 2
	v_lshl_add_u64 v[10:11], v[50:51], 0, v[38:39]
	v_mfma_f32_16x16x16_bf16 v[30:33], v[32:33], v[16:17], v[40:43]
	v_pk_mul_f32 v[50:51], s[6:7], v[24:25] op_sel_hi:[0,1]
	s_waitcnt vmcnt(2)
	v_mad_i64_i32 v[12:13], s[4:5], v66, s45, 0
	v_mfma_f32_16x16x16_bf16 v[38:41], v[46:47], v[18:19], 0
	v_lshl_add_u64 v[56:57], v[12:13], 1, v[10:11]
	v_pk_mul_f32 v[12:13], s[6:7], v[22:23] op_sel_hi:[0,1]
	s_nop 0
	v_pk_mul_f32 v[46:47], s[6:7], v[30:31] op_sel_hi:[0,1]
	v_mfma_f32_16x16x16_bf16 v[18:21], v[48:49], v[20:21], v[38:41]
	v_pk_mul_f32 v[48:49], s[6:7], v[32:33] op_sel_hi:[0,1]
	v_mfma_f32_16x16x16_bf16 v[18:21], v[60:61], v[14:15], v[18:21]
	v_mfma_f32_16x16x16_bf16 v[26:29], v[28:29], v[16:17], v[2:5]
	;; [unrolled: 1-line block ×3, first 2 shown]
	s_nop 1
	v_mad_i64_i32 v[2:3], s[4:5], v65, s45, 0
	s_nop 2
	v_pk_mul_f32 v[42:43], s[6:7], v[26:27] op_sel_hi:[0,1]
	v_pk_mul_f32 v[52:53], s[6:7], v[28:29] op_sel_hi:[0,1]
	v_lshl_add_u64 v[2:3], v[2:3], 1, v[10:11]
	v_pk_mul_f32 v[44:45], s[6:7], v[14:15] op_sel_hi:[0,1]
	v_and_b32_e32 v14, 0xc0, v0
	v_add_u32_e32 v14, s14, v14
	v_lshl_or_b32 v14, v54, 2, v14
	v_pk_mul_f32 v[38:39], s[6:7], v[16:17] op_sel_hi:[0,1]
	v_or_b32_e32 v17, 1, v14
	v_mov_b32_e32 v15, 0xff7fffff
	v_cmp_gt_i32_e64 s[4:5], s33, v14
	v_cmp_gt_i32_e64 s[34:35], s33, v17
	v_or_b32_e32 v18, 3, v14
	v_cndmask_b32_e64 v16, v15, v12, s[4:5]
	v_cndmask_b32_e64 v17, v15, v13, s[34:35]
	v_max3_f32 v16, v16, s43, v17
	v_or_b32_e32 v17, 2, v14
	v_cmp_gt_i32_e64 s[36:37], s33, v17
	v_cmp_gt_i32_e64 s[38:39], s33, v18
	global_load_dwordx4 v[6:9], v[2:3], off
	s_nop 0
	global_load_dwordx4 v[2:5], v[2:3], off offset:16
	v_cndmask_b32_e64 v17, v15, v50, s[36:37]
	v_cndmask_b32_e64 v18, v15, v51, s[38:39]
	v_max3_f32 v16, v16, v17, v18
	v_or_b32_e32 v17, 16, v14
	v_or_b32_e32 v18, 17, v14
	v_cmp_gt_i32_e64 s[24:25], s33, v17
	v_cmp_gt_i32_e64 s[26:27], s33, v18
	global_load_dwordx4 v[30:33], v[56:57], off
	global_load_dwordx4 v[26:29], v[56:57], off offset:16
	v_cndmask_b32_e64 v17, v15, v42, s[24:25]
	v_cndmask_b32_e64 v18, v15, v43, s[26:27]
	v_max3_f32 v16, v16, v17, v18
	v_or_b32_e32 v17, 18, v14
	v_or_b32_e32 v18, 19, v14
	v_cmp_gt_i32_e64 s[20:21], s33, v17
	v_cmp_gt_i32_e64 s[22:23], s33, v18
	s_nop 0
	v_cndmask_b32_e64 v17, v15, v52, s[20:21]
	v_cndmask_b32_e64 v18, v15, v53, s[22:23]
	v_max3_f32 v16, v16, v17, v18
	v_or_b32_e32 v17, 32, v14
	v_or_b32_e32 v18, 33, v14
	v_cmp_gt_i32_e64 s[16:17], s33, v17
	v_cmp_gt_i32_e64 s[18:19], s33, v18
	s_nop 0
	;; [unrolled: 8-line block ×4, first 2 shown]
	v_cndmask_b32_e64 v17, v15, v44, s[8:9]
	v_cndmask_b32_e64 v18, v15, v45, s[10:11]
	v_max3_f32 v16, v16, v17, v18
	v_or_b32_e32 v17, 50, v14
	v_or_b32_e32 v14, 51, v14
	v_cmp_gt_i32_e32 vcc, s33, v17
	v_cmp_gt_i32_e64 s[6:7], s33, v14
	s_nop 0
	v_cndmask_b32_e32 v17, v15, v38, vcc
	v_cndmask_b32_e64 v14, v15, v39, s[6:7]
	v_max3_f32 v16, v16, v17, v14
	v_mbcnt_lo_u32_b32 v14, -1, 0
	v_mbcnt_hi_u32_b32 v17, -1, v14
	v_and_b32_e32 v14, 64, v17
	v_add_u32_e32 v18, 64, v14
	v_xor_b32_e32 v14, 32, v17
	v_cmp_lt_i32_e64 s[40:41], v14, v18
	s_nop 1
	v_cndmask_b32_e64 v14, v17, v14, s[40:41]
	v_lshlrev_b32_e32 v59, 2, v14
	ds_bpermute_b32 v19, v59, v16
	s_waitcnt vmcnt(5)
	v_mad_i64_i32 v[14:15], s[40:41], v55, s45, 0
	v_lshl_add_u64 v[14:15], v[14:15], 1, v[10:11]
	s_waitcnt lgkmcnt(0)
	v_max_f32_e32 v19, v19, v19
	v_max_f32_e32 v16, v16, v19
	v_xor_b32_e32 v19, 16, v17
	v_cmp_lt_i32_e64 s[40:41], v19, v18
	s_nop 1
	v_cndmask_b32_e64 v17, v17, v19, s[40:41]
	v_lshlrev_b32_e32 v57, 2, v17
	ds_bpermute_b32 v17, v57, v16
	global_load_dwordx4 v[22:25], v[14:15], off
	global_load_dwordx4 v[18:21], v[14:15], off offset:16
	s_waitcnt vmcnt(6)
	v_mad_i64_i32 v[14:15], s[40:41], v58, s45, 0
	v_lshl_add_u64 v[10:11], v[14:15], 1, v[10:11]
	s_waitcnt lgkmcnt(0)
	v_max_f32_e32 v14, v17, v17
	v_max_f32_e32 v55, v16, v14
	v_sub_f32_e32 v12, v12, v55
	v_mul_f32_e32 v12, 0x3fb8aa3b, v12
	v_exp_f32_e32 v40, v12
	v_sub_f32_e32 v12, v13, v55
	v_mul_f32_e32 v12, 0x3fb8aa3b, v12
	v_exp_f32_e32 v41, v12
	global_load_dwordx4 v[14:17], v[10:11], off
	s_nop 0
	global_load_dwordx4 v[10:13], v[10:11], off offset:16
	v_sub_f32_e32 v50, v50, v55
	v_mul_f32_e32 v50, 0x3fb8aa3b, v50
	v_sub_f32_e32 v51, v51, v55
	v_exp_f32_e32 v50, v50
	v_mul_f32_e32 v51, 0x3fb8aa3b, v51
	v_sub_f32_e32 v42, v42, v55
	v_exp_f32_e32 v51, v51
	v_mul_f32_e32 v42, 0x3fb8aa3b, v42
	v_sub_f32_e32 v43, v43, v55
	v_cndmask_b32_e64 v40, 0, v40, s[4:5]
	v_exp_f32_e32 v42, v42
	v_mul_f32_e32 v43, 0x3fb8aa3b, v43
	v_sub_f32_e32 v52, v52, v55
	v_add_f32_e32 v56, 0, v40
	v_cndmask_b32_e64 v41, 0, v41, s[34:35]
	v_exp_f32_e32 v43, v43
	v_mul_f32_e32 v52, 0x3fb8aa3b, v52
	v_sub_f32_e32 v53, v53, v55
	v_add_f32_e32 v56, v56, v41
	;; [unrolled: 5-line block ×10, first 2 shown]
	v_cndmask_b32_e64 v48, 0, v48, s[12:13]
	v_exp_f32_e32 v38, v38
	v_mul_f32_e32 v39, 0x3fb8aa3b, v39
	v_add_f32_e32 v56, v56, v48
	v_cndmask_b32_e64 v49, 0, v49, s[14:15]
	v_exp_f32_e32 v39, v39
	v_add_f32_e32 v56, v56, v49
	v_cndmask_b32_e64 v44, 0, v44, s[8:9]
	v_add_f32_e32 v56, v56, v44
	v_cndmask_b32_e64 v45, 0, v45, s[10:11]
	v_add_f32_e32 v56, v56, v45
	v_cndmask_b32_e32 v38, 0, v38, vcc
	v_add_f32_e32 v56, v56, v38
	v_cndmask_b32_e64 v39, 0, v39, s[6:7]
	v_add_f32_e32 v56, v56, v39
	ds_bpermute_b32 v58, v59, v56
	v_cmp_gt_u32_e32 vcc, 16, v37
	v_lshlrev_b32_e32 v37, 2, v36
	s_waitcnt lgkmcnt(0)
	s_barrier
	v_add_f32_e32 v56, v56, v58
	ds_bpermute_b32 v57, v57, v56
	s_waitcnt lgkmcnt(0)
	s_and_saveexec_b64 s[4:5], vcc
	s_cbranch_execz .LBB525_15
; %bb.14:
	v_add_f32_e32 v56, v56, v57
	v_lshl_or_b32 v57, v1, 6, v37
	ds_write2st64_b32 v57, v55, v56 offset1:1
.LBB525_15:
	s_or_b64 exec, exec, s[4:5]
	s_load_dword s6, s[0:1], 0x94
	s_waitcnt lgkmcnt(0)
	s_barrier
	ds_read2_b32 v[56:57], v37 offset1:16
	ds_read2_b32 v[58:59], v37 offset0:32 offset1:48
	ds_read2_b32 v[60:61], v37 offset0:64 offset1:80
	;; [unrolled: 1-line block ×3, first 2 shown]
	s_movk_i32 s8, 0x7fff
	s_waitcnt lgkmcnt(3)
	v_max3_f32 v55, v56, s43, v57
	s_waitcnt lgkmcnt(2)
	v_max3_f32 v55, v55, v58, v59
	v_sub_f32_e32 v56, v56, v55
	v_mul_f32_e32 v56, 0x3fb8aa3b, v56
	v_exp_f32_e32 v64, v56
	v_sub_f32_e32 v56, v57, v55
	v_mul_f32_e32 v56, 0x3fb8aa3b, v56
	v_exp_f32_e32 v57, v56
	v_sub_f32_e32 v56, v58, v55
	v_mul_f32_e32 v56, 0x3fb8aa3b, v56
	v_sub_f32_e32 v37, v59, v55
	v_exp_f32_e32 v58, v56
	v_mul_f32_e32 v37, 0x3fb8aa3b, v37
	v_exp_f32_e32 v37, v37
	s_waitcnt lgkmcnt(1)
	v_fma_f32 v56, v64, v60, 0
	v_fmac_f32_e32 v56, v57, v61
	s_waitcnt lgkmcnt(0)
	v_fmac_f32_e32 v56, v58, v62
	v_fmac_f32_e32 v56, v37, v63
	v_add_f32_e32 v59, 0x358637bd, v56
	v_div_scale_f32 v60, s[4:5], v59, v59, 1.0
	v_rcp_f32_e32 v61, v60
	s_mov_b32 s9, 0x7060302
	s_barrier
	v_fma_f32 v62, -v60, v61, 1.0
	v_fmac_f32_e32 v61, v62, v61
	v_div_scale_f32 v62, vcc, 1.0, v59, 1.0
	v_mul_f32_e32 v63, v62, v61
	v_fma_f32 v65, -v60, v63, v62
	v_fmac_f32_e32 v63, v65, v61
	v_fma_f32 v60, -v60, v63, v62
	v_div_fmas_f32 v60, v60, v61, v63
	v_cmp_eq_u32_e32 vcc, 1, v1
	v_div_fixup_f32 v59, v60, v59, 1.0
	s_nop 0
	v_cndmask_b32_e32 v57, v64, v57, vcc
	v_cmp_eq_u32_e32 vcc, 2, v1
	s_mul_i32 s7, s29, 10
	s_nop 0
	v_cndmask_b32_e32 v57, v57, v58, vcc
	v_cmp_eq_u32_e32 vcc, 3, v1
	v_lshlrev_b32_e32 v1, 11, v1
	s_nop 0
	v_cndmask_b32_e32 v37, v57, v37, vcc
	v_mul_f32_e32 v58, v37, v59
	v_pk_mul_f32 v[40:41], v[58:59], v[40:41] op_sel_hi:[0,1]
	v_bfe_u32 v37, v41, 16, 1
	v_bfe_u32 v57, v40, 16, 1
	v_pk_mul_f32 v[50:51], v[58:59], v[50:51] op_sel_hi:[0,1]
	v_add3_u32 v40, v40, v57, s8
	v_add3_u32 v37, v41, v37, s8
	v_perm_b32 v60, v37, v40, s9
	v_bfe_u32 v37, v51, 16, 1
	v_bfe_u32 v40, v50, 16, 1
	v_add3_u32 v40, v50, v40, s8
	v_add3_u32 v37, v51, v37, s8
	v_perm_b32 v61, v37, v40, s9
	v_lshlrev_b32_e32 v37, 3, v54
	v_lshlrev_b32_e32 v40, 5, v36
	v_pk_mul_f32 v[42:43], v[58:59], v[42:43] op_sel_hi:[0,1]
	v_or3_b32 v1, v1, v40, v37
	v_bfe_u32 v37, v43, 16, 1
	v_bfe_u32 v41, v42, 16, 1
	v_pk_mul_f32 v[50:51], v[58:59], v[52:53] op_sel_hi:[0,1]
	v_add3_u32 v41, v42, v41, s8
	v_add3_u32 v37, v43, v37, s8
	v_perm_b32 v42, v37, v41, s9
	v_bfe_u32 v37, v51, 16, 1
	v_bfe_u32 v41, v50, 16, 1
	v_add3_u32 v41, v50, v41, s8
	v_add3_u32 v37, v51, v37, s8
	v_pk_mul_f32 v[46:47], v[58:59], v[46:47] op_sel_hi:[0,1]
	v_perm_b32 v43, v37, v41, s9
	v_bfe_u32 v37, v47, 16, 1
	v_bfe_u32 v41, v46, 16, 1
	ds_write2st64_b64 v1, v[60:61], v[42:43] offset1:1
	v_pk_mul_f32 v[42:43], v[58:59], v[48:49] op_sel_hi:[0,1]
	v_add3_u32 v41, v46, v41, s8
	v_add3_u32 v37, v47, v37, s8
	v_perm_b32 v46, v37, v41, s9
	v_bfe_u32 v37, v43, 16, 1
	v_bfe_u32 v41, v42, 16, 1
	v_add3_u32 v41, v42, v41, s8
	v_add3_u32 v37, v43, v37, s8
	v_pk_mul_f32 v[42:43], v[58:59], v[44:45] op_sel_hi:[0,1]
	v_perm_b32 v47, v37, v41, s9
	v_bfe_u32 v37, v43, 16, 1
	v_bfe_u32 v41, v42, 16, 1
	v_pk_mul_f32 v[38:39], v[58:59], v[38:39] op_sel_hi:[0,1]
	v_add3_u32 v41, v42, v41, s8
	v_add3_u32 v37, v43, v37, s8
	v_perm_b32 v42, v37, v41, s9
	v_bfe_u32 v37, v39, 16, 1
	v_bfe_u32 v41, v38, 16, 1
	v_add3_u32 v38, v38, v41, s8
	v_add3_u32 v37, v39, v37, s8
	v_perm_b32 v43, v37, v38, s9
	v_cmp_gt_u32_e32 vcc, 10, v0
	ds_write2st64_b64 v1, v[46:47], v[42:43] offset0:2 offset1:3
	s_and_saveexec_b64 s[4:5], vcc
	s_cbranch_execz .LBB525_17
; %bb.16:
	s_mov_b32 s43, 0
	v_mov_b32_e32 v37, 0
	v_lshl_add_u64 v[38:39], s[42:43], 0, v[36:37]
	v_mov_b32_e32 v36, s7
	v_mad_u64_u32 v[38:39], s[10:11], s2, v36, v[38:39]
	v_mov_b32_e32 v36, s28
	s_load_dwordx4 s[12:15], s[0:1], 0x58
	s_mul_i32 s3, s3, s7
	v_mad_u64_u32 v[36:37], s[10:11], v38, s6, v[36:37]
	v_add_u32_e32 v39, s3, v39
	v_mov_b32_e32 v38, v37
	v_mad_u64_u32 v[38:39], s[10:11], v39, s6, v[38:39]
	v_mov_b32_e32 v37, v38
	v_lshlrev_b64 v[36:37], 2, v[36:37]
	s_waitcnt lgkmcnt(0)
	v_lshl_add_u64 v[38:39], s[14:15], 0, v[36:37]
	v_lshl_add_u64 v[36:37], s[12:13], 0, v[36:37]
	global_store_dword v[38:39], v55, off
	global_store_dword v[36:37], v56, off
.LBB525_17:
	s_or_b64 exec, exec, s[4:5]
	v_lshl_or_b32 v48, v54, 9, v40
	s_waitcnt lgkmcnt(0)
	s_barrier
	ds_read_b128 v[36:39], v48
	ds_read_b128 v[40:43], v48 offset:16
	s_waitcnt vmcnt(7) lgkmcnt(1)
	v_mfma_f32_16x16x16_bf16 v[44:47], v[6:7], v[36:37], 0
	v_cmp_gt_u32_e32 vcc, 64, v0
	s_mov_b32 s3, 0
	s_and_b64 s[4:5], vcc, s[30:31]
	v_mfma_f32_16x16x16_bf16 v[6:9], v[8:9], v[38:39], v[44:47]
	s_waitcnt vmcnt(6) lgkmcnt(0)
	v_mfma_f32_16x16x16_bf16 v[6:9], v[2:3], v[40:41], v[6:9]
	v_mfma_f32_16x16x16_bf16 v[2:5], v[4:5], v[42:43], v[6:9]
	s_nop 5
	ds_read_b128 v[6:9], v48 offset:2048
	ds_read_b128 v[36:39], v48 offset:2064
	s_waitcnt vmcnt(5) lgkmcnt(1)
	v_mfma_f32_16x16x16_bf16 v[2:5], v[30:31], v[6:7], v[2:5]
	v_mfma_f32_16x16x16_bf16 v[2:5], v[32:33], v[8:9], v[2:5]
	s_waitcnt vmcnt(4) lgkmcnt(0)
	v_mfma_f32_16x16x16_bf16 v[2:5], v[26:27], v[36:37], v[2:5]
	v_mfma_f32_16x16x16_bf16 v[2:5], v[28:29], v[38:39], v[2:5]
	ds_read_b128 v[6:9], v48 offset:4096
	ds_read_b128 v[26:29], v48 offset:4112
	s_waitcnt vmcnt(3) lgkmcnt(1)
	v_mfma_f32_16x16x16_bf16 v[2:5], v[22:23], v[6:7], v[2:5]
	v_mfma_f32_16x16x16_bf16 v[2:5], v[24:25], v[8:9], v[2:5]
	s_waitcnt vmcnt(2) lgkmcnt(0)
	v_mfma_f32_16x16x16_bf16 v[2:5], v[18:19], v[26:27], v[2:5]
	v_mfma_f32_16x16x16_bf16 v[2:5], v[20:21], v[28:29], v[2:5]
	ds_read_b128 v[6:9], v48 offset:6144
	ds_read_b128 v[18:21], v48 offset:6160
	s_waitcnt lgkmcnt(0)
	s_barrier
	s_waitcnt vmcnt(1)
	v_mfma_f32_16x16x16_bf16 v[2:5], v[14:15], v[6:7], v[2:5]
	v_mfma_f32_16x16x16_bf16 v[2:5], v[16:17], v[8:9], v[2:5]
	s_waitcnt vmcnt(0)
	v_mfma_f32_16x16x16_bf16 v[2:5], v[10:11], v[18:19], v[2:5]
	v_mfma_f32_16x16x16_bf16 v[2:5], v[12:13], v[20:21], v[2:5]
	s_nop 6
	v_bfe_u32 v6, v3, 16, 1
	v_bfe_u32 v7, v2, 16, 1
	v_bfe_u32 v8, v5, 16, 1
	v_bfe_u32 v9, v4, 16, 1
	v_add3_u32 v2, v2, v7, s8
	v_add3_u32 v3, v3, v6, s8
	;; [unrolled: 1-line block ×4, first 2 shown]
	v_perm_b32 v2, v3, v2, s9
	v_perm_b32 v3, v5, v4, s9
	ds_write_b64 v1, v[2:3]
	s_waitcnt lgkmcnt(0)
	s_barrier
	s_and_saveexec_b64 s[8:9], s[4:5]
	s_cbranch_execz .LBB525_20
; %bb.18:
	s_load_dwordx2 s[4:5], s[0:1], 0x68
	s_lshl_b32 s0, s6, 6
	s_mul_i32 s1, s7, s2
	s_mul_hi_u32 s7, s1, s0
	s_mul_i32 s6, s1, s0
	v_lshlrev_b32_e32 v1, 10, v0
	v_lshlrev_b32_e32 v0, 4, v0
	s_lshl_b64 s[6:7], s[6:7], 1
	v_and_b32_e32 v1, 0x1800, v1
	v_lshlrev_b32_e32 v2, 5, v54
	v_and_b32_e32 v0, 16, v0
	s_waitcnt lgkmcnt(0)
	s_add_u32 s1, s4, s6
	v_or3_b32 v2, v1, v2, v0
	s_addc_u32 s4, s5, s7
	s_lshl_b32 s2, s28, 6
	s_lshl_b64 s[2:3], s[2:3], 1
	ds_read_b128 v[4:7], v2 offset:128
	ds_read_b128 v[8:11], v2
	s_add_u32 s2, s1, s2
	s_addc_u32 s3, s4, s3
	v_add_u32_e32 v14, s42, v54
	v_lshl_add_u64 v[0:1], v[34:35], 1, s[2:3]
	v_mad_u64_u32 v[12:13], s[2:3], v14, s0, 0
	v_lshl_add_u64 v[12:13], v[12:13], 1, v[0:1]
	s_waitcnt lgkmcnt(0)
	global_store_dwordx4 v[12:13], v[8:11], off
	v_or_b32_e32 v3, 8, v54
	v_cmp_gt_u32_e32 vcc, 10, v3
	v_add_u32_e32 v8, 4, v14
	v_mad_u64_u32 v[8:9], s[2:3], v8, s0, 0
	v_lshl_add_u64 v[8:9], v[8:9], 1, v[0:1]
	global_store_dwordx4 v[8:9], v[4:7], off
	s_and_b64 exec, exec, vcc
	s_cbranch_execz .LBB525_20
; %bb.19:
	ds_read_b128 v[4:7], v2 offset:256
	v_add_u32_e32 v2, s42, v3
	v_mad_u64_u32 v[2:3], s[0:1], v2, s0, 0
	v_lshl_add_u64 v[0:1], v[2:3], 1, v[0:1]
	s_waitcnt lgkmcnt(0)
	global_store_dwordx4 v[0:1], v[4:7], off
.LBB525_20:
	s_endpgm
	.section	.rodata,"a",@progbits
	.p2align	6, 0x0
	.amdhsa_kernel _Z39paged_attention_ll4mi_QKV_mfma16_kernelI14__hip_bfloat16S0_LN4vllm18Fp8KVCacheDataTypeE0EhLi32ELi64ELi256ELb0ELi10EEvPKT_PKT0_S8_ifPKiSA_SA_iPKfiiiPfSD_PS3_PT2_iSC_SC_
		.amdhsa_group_segment_fixed_size 8192
		.amdhsa_private_segment_fixed_size 0
		.amdhsa_kernarg_size 400
		.amdhsa_user_sgpr_count 2
		.amdhsa_user_sgpr_dispatch_ptr 0
		.amdhsa_user_sgpr_queue_ptr 0
		.amdhsa_user_sgpr_kernarg_segment_ptr 1
		.amdhsa_user_sgpr_dispatch_id 0
		.amdhsa_user_sgpr_kernarg_preload_length 0
		.amdhsa_user_sgpr_kernarg_preload_offset 0
		.amdhsa_user_sgpr_private_segment_size 0
		.amdhsa_uses_dynamic_stack 0
		.amdhsa_enable_private_segment 0
		.amdhsa_system_sgpr_workgroup_id_x 1
		.amdhsa_system_sgpr_workgroup_id_y 1
		.amdhsa_system_sgpr_workgroup_id_z 1
		.amdhsa_system_sgpr_workgroup_info 0
		.amdhsa_system_vgpr_workitem_id 0
		.amdhsa_next_free_vgpr 67
		.amdhsa_next_free_sgpr 48
		.amdhsa_accum_offset 68
		.amdhsa_reserve_vcc 1
		.amdhsa_float_round_mode_32 0
		.amdhsa_float_round_mode_16_64 0
		.amdhsa_float_denorm_mode_32 3
		.amdhsa_float_denorm_mode_16_64 3
		.amdhsa_dx10_clamp 1
		.amdhsa_ieee_mode 1
		.amdhsa_fp16_overflow 0
		.amdhsa_tg_split 0
		.amdhsa_exception_fp_ieee_invalid_op 0
		.amdhsa_exception_fp_denorm_src 0
		.amdhsa_exception_fp_ieee_div_zero 0
		.amdhsa_exception_fp_ieee_overflow 0
		.amdhsa_exception_fp_ieee_underflow 0
		.amdhsa_exception_fp_ieee_inexact 0
		.amdhsa_exception_int_div_zero 0
	.end_amdhsa_kernel
	.section	.text._Z39paged_attention_ll4mi_QKV_mfma16_kernelI14__hip_bfloat16S0_LN4vllm18Fp8KVCacheDataTypeE0EhLi32ELi64ELi256ELb0ELi10EEvPKT_PKT0_S8_ifPKiSA_SA_iPKfiiiPfSD_PS3_PT2_iSC_SC_,"axG",@progbits,_Z39paged_attention_ll4mi_QKV_mfma16_kernelI14__hip_bfloat16S0_LN4vllm18Fp8KVCacheDataTypeE0EhLi32ELi64ELi256ELb0ELi10EEvPKT_PKT0_S8_ifPKiSA_SA_iPKfiiiPfSD_PS3_PT2_iSC_SC_,comdat
.Lfunc_end525:
	.size	_Z39paged_attention_ll4mi_QKV_mfma16_kernelI14__hip_bfloat16S0_LN4vllm18Fp8KVCacheDataTypeE0EhLi32ELi64ELi256ELb0ELi10EEvPKT_PKT0_S8_ifPKiSA_SA_iPKfiiiPfSD_PS3_PT2_iSC_SC_, .Lfunc_end525-_Z39paged_attention_ll4mi_QKV_mfma16_kernelI14__hip_bfloat16S0_LN4vllm18Fp8KVCacheDataTypeE0EhLi32ELi64ELi256ELb0ELi10EEvPKT_PKT0_S8_ifPKiSA_SA_iPKfiiiPfSD_PS3_PT2_iSC_SC_
                                        ; -- End function
	.section	.AMDGPU.csdata,"",@progbits
; Kernel info:
; codeLenInByte = 4180
; NumSgprs: 54
; NumVgprs: 67
; NumAgprs: 0
; TotalNumVgprs: 67
; ScratchSize: 0
; MemoryBound: 0
; FloatMode: 240
; IeeeMode: 1
; LDSByteSize: 8192 bytes/workgroup (compile time only)
; SGPRBlocks: 6
; VGPRBlocks: 8
; NumSGPRsForWavesPerEU: 54
; NumVGPRsForWavesPerEU: 67
; AccumOffset: 68
; Occupancy: 7
; WaveLimiterHint : 1
; COMPUTE_PGM_RSRC2:SCRATCH_EN: 0
; COMPUTE_PGM_RSRC2:USER_SGPR: 2
; COMPUTE_PGM_RSRC2:TRAP_HANDLER: 0
; COMPUTE_PGM_RSRC2:TGID_X_EN: 1
; COMPUTE_PGM_RSRC2:TGID_Y_EN: 1
; COMPUTE_PGM_RSRC2:TGID_Z_EN: 1
; COMPUTE_PGM_RSRC2:TIDIG_COMP_CNT: 0
; COMPUTE_PGM_RSRC3_GFX90A:ACCUM_OFFSET: 16
; COMPUTE_PGM_RSRC3_GFX90A:TG_SPLIT: 0
	.section	.text._Z39paged_attention_ll4mi_QKV_mfma16_kernelI14__hip_bfloat16S0_LN4vllm18Fp8KVCacheDataTypeE0EhLi32ELi64ELi256ELb0ELi11EEvPKT_PKT0_S8_ifPKiSA_SA_iPKfiiiPfSD_PS3_PT2_iSC_SC_,"axG",@progbits,_Z39paged_attention_ll4mi_QKV_mfma16_kernelI14__hip_bfloat16S0_LN4vllm18Fp8KVCacheDataTypeE0EhLi32ELi64ELi256ELb0ELi11EEvPKT_PKT0_S8_ifPKiSA_SA_iPKfiiiPfSD_PS3_PT2_iSC_SC_,comdat
	.protected	_Z39paged_attention_ll4mi_QKV_mfma16_kernelI14__hip_bfloat16S0_LN4vllm18Fp8KVCacheDataTypeE0EhLi32ELi64ELi256ELb0ELi11EEvPKT_PKT0_S8_ifPKiSA_SA_iPKfiiiPfSD_PS3_PT2_iSC_SC_ ; -- Begin function _Z39paged_attention_ll4mi_QKV_mfma16_kernelI14__hip_bfloat16S0_LN4vllm18Fp8KVCacheDataTypeE0EhLi32ELi64ELi256ELb0ELi11EEvPKT_PKT0_S8_ifPKiSA_SA_iPKfiiiPfSD_PS3_PT2_iSC_SC_
	.globl	_Z39paged_attention_ll4mi_QKV_mfma16_kernelI14__hip_bfloat16S0_LN4vllm18Fp8KVCacheDataTypeE0EhLi32ELi64ELi256ELb0ELi11EEvPKT_PKT0_S8_ifPKiSA_SA_iPKfiiiPfSD_PS3_PT2_iSC_SC_
	.p2align	8
	.type	_Z39paged_attention_ll4mi_QKV_mfma16_kernelI14__hip_bfloat16S0_LN4vllm18Fp8KVCacheDataTypeE0EhLi32ELi64ELi256ELb0ELi11EEvPKT_PKT0_S8_ifPKiSA_SA_iPKfiiiPfSD_PS3_PT2_iSC_SC_,@function
_Z39paged_attention_ll4mi_QKV_mfma16_kernelI14__hip_bfloat16S0_LN4vllm18Fp8KVCacheDataTypeE0EhLi32ELi64ELi256ELb0ELi11EEvPKT_PKT0_S8_ifPKiSA_SA_iPKfiiiPfSD_PS3_PT2_iSC_SC_: ; @_Z39paged_attention_ll4mi_QKV_mfma16_kernelI14__hip_bfloat16S0_LN4vllm18Fp8KVCacheDataTypeE0EhLi32ELi64ELi256ELb0ELi11EEvPKT_PKT0_S8_ifPKiSA_SA_iPKfiiiPfSD_PS3_PT2_iSC_SC_
; %bb.0:
	s_load_dwordx2 s[6:7], s[0:1], 0x30
	s_mov_b32 s28, s3
	s_mov_b64 s[10:11], 0
	s_waitcnt lgkmcnt(0)
	s_cmp_lg_u64 s[6:7], 0
	s_cselect_b64 s[8:9], -1, 0
	s_and_b64 vcc, exec, s[8:9]
	s_cbranch_vccz .LBB526_7
; %bb.1:
	s_add_i32 s12, s2, 1
	s_mov_b32 s13, 0
	s_lshl_b64 s[14:15], s[12:13], 2
	s_add_u32 s14, s6, s14
	s_mov_b32 s3, s13
	s_addc_u32 s15, s7, s15
	s_lshl_b64 s[12:13], s[2:3], 2
	s_add_u32 s12, s6, s12
	s_addc_u32 s13, s7, s13
	s_load_dword s5, s[14:15], 0x0
	s_load_dword s16, s[12:13], 0x0
	s_waitcnt lgkmcnt(0)
	s_sub_i32 s5, s5, s16
	s_cmp_eq_u32 s5, 1
	s_cselect_b64 s[12:13], -1, 0
	s_andn2_b64 vcc, exec, s[10:11]
	s_cbranch_vccnz .LBB526_3
.LBB526_2:
	s_mov_b32 s3, 0
	s_mov_b64 s[12:13], -1
.LBB526_3:
	s_andn2_b64 vcc, exec, s[12:13]
	s_cbranch_vccnz .LBB526_20
; %bb.4:
	s_load_dwordx2 s[12:13], s[0:1], 0x28
	s_lshl_b64 s[10:11], s[2:3], 2
	s_waitcnt lgkmcnt(0)
	s_add_u32 s12, s12, s10
	s_addc_u32 s13, s13, s11
	s_load_dword s33, s[12:13], 0x0
	s_lshl_b32 s14, s28, 8
	s_waitcnt lgkmcnt(0)
	s_cmp_ge_i32 s14, s33
	s_cbranch_scc1 .LBB526_20
; %bb.5:
	s_load_dwordx2 s[12:13], s[0:1], 0x20
	s_load_dword s5, s[0:1], 0x38
	s_add_i32 s15, s33, 31
	s_ashr_i32 s16, s15, 31
	v_and_b32_e32 v1, 0xcf, v0
	s_lshr_b32 s16, s16, 27
	v_add_u32_e32 v1, s14, v1
	s_add_i32 s15, s15, s16
	v_ashrrev_i32_e32 v2, 31, v1
	s_ashr_i32 s15, s15, 5
	v_lshrrev_b32_e32 v10, 27, v2
	s_add_i32 s15, s15, -1
	s_waitcnt lgkmcnt(0)
	s_mul_i32 s16, s2, s5
	s_mov_b32 s17, 0
	v_add_u32_e32 v2, v1, v10
	s_lshl_b64 s[16:17], s[16:17], 2
	v_ashrrev_i32_e32 v2, 5, v2
	v_mov_b32_e32 v11, s15
	v_cmp_gt_i32_e32 vcc, s33, v1
	s_add_u32 s12, s12, s16
	s_addc_u32 s13, s13, s17
	v_cndmask_b32_e32 v2, v11, v2, vcc
	v_ashrrev_i32_e32 v3, 31, v2
	v_lshl_add_u64 v[4:5], v[2:3], 2, s[12:13]
	v_or_b32_e32 v2, 16, v1
	v_add_u32_e32 v3, v2, v10
	v_ashrrev_i32_e32 v3, 5, v3
	v_cmp_gt_i32_e32 vcc, s33, v2
	s_nop 1
	v_cndmask_b32_e32 v2, v11, v3, vcc
	v_ashrrev_i32_e32 v3, 31, v2
	v_lshl_add_u64 v[6:7], v[2:3], 2, s[12:13]
	v_or_b32_e32 v2, 32, v1
	v_add_u32_e32 v3, v2, v10
	v_ashrrev_i32_e32 v3, 5, v3
	v_cmp_gt_i32_e32 vcc, s33, v2
	v_or_b32_e32 v1, 48, v1
	s_nop 0
	v_cndmask_b32_e32 v2, v11, v3, vcc
	v_ashrrev_i32_e32 v3, 31, v2
	v_lshl_add_u64 v[8:9], v[2:3], 2, s[12:13]
	v_add_u32_e32 v2, v1, v10
	v_ashrrev_i32_e32 v2, 5, v2
	v_cmp_gt_i32_e32 vcc, s33, v1
	s_nop 1
	v_cndmask_b32_e32 v2, v11, v2, vcc
	v_ashrrev_i32_e32 v3, 31, v2
	v_lshl_add_u64 v[12:13], v[2:3], 2, s[12:13]
	global_load_dword v3, v[4:5], off
	global_load_dword v2, v[6:7], off
	;; [unrolled: 1-line block ×4, first 2 shown]
	s_andn2_b64 vcc, exec, s[8:9]
	s_cbranch_vccnz .LBB526_8
; %bb.6:
	s_add_u32 s6, s6, s10
	s_addc_u32 s7, s7, s11
	s_load_dword s5, s[6:7], 0x0
	s_branch .LBB526_9
.LBB526_7:
	s_mov_b64 s[12:13], 0
	s_branch .LBB526_2
.LBB526_8:
	s_mov_b32 s5, s2
.LBB526_9:
	s_load_dwordx4 s[8:11], s[0:1], 0x8
	s_load_dwordx4 s[44:47], s[0:1], 0x48
	v_lshrrev_b32_e32 v1, 6, v0
	v_bfe_u32 v54, v0, 4, 2
	v_lshl_or_b32 v4, v1, 2, v54
	v_and_b32_e32 v36, 15, v0
	v_cmp_lt_u32_e32 vcc, 10, v4
	v_cmp_lt_u32_e64 s[6:7], 7, v36
	v_lshlrev_b32_e32 v34, 3, v36
	v_cmp_gt_u32_e64 s[30:31], 8, v36
	s_or_b64 s[6:7], s[6:7], vcc
	s_and_saveexec_b64 s[16:17], s[6:7]
	s_xor_b64 s[6:7], exec, s[16:17]
; %bb.10:
	v_mov_b32_e32 v35, 0
                                        ; implicit-def: $vgpr4
; %bb.11:
	s_or_saveexec_b64 s[6:7], s[6:7]
	v_and_b32_e32 v37, 63, v0
	s_mul_i32 s42, s4, 11
	s_xor_b64 exec, exec, s[6:7]
	s_cbranch_execz .LBB526_13
; %bb.12:
	s_load_dwordx2 s[16:17], s[0:1], 0x0
	s_waitcnt lgkmcnt(0)
	s_ashr_i32 s18, s44, 31
	s_mul_hi_u32 s19, s5, s44
	s_mul_i32 s18, s5, s18
	s_add_i32 s19, s19, s18
	s_mul_i32 s18, s5, s44
	s_lshl_b64 s[18:19], s[18:19], 1
	s_add_u32 s16, s16, s18
	v_add_lshl_u32 v6, v4, s42, 6
	s_addc_u32 s17, s17, s19
	v_ashrrev_i32_e32 v7, 31, v6
	v_mov_b32_e32 v35, 0
	v_lshl_add_u64 v[6:7], v[6:7], 1, s[16:17]
	v_lshlrev_b32_e32 v8, 1, v34
	v_mov_b32_e32 v9, v35
	v_lshl_add_u64 v[6:7], v[6:7], 0, v[8:9]
	global_load_dwordx4 v[6:9], v[6:7], off
	v_and_b32_e32 v5, 3, v0
	v_lshlrev_b32_e32 v11, 9, v36
	v_lshlrev_b32_e32 v4, 5, v4
	;; [unrolled: 1-line block ×3, first 2 shown]
	v_and_b32_e32 v11, 0x1800, v11
	v_or3_b32 v4, v11, v5, v4
	s_waitcnt vmcnt(0)
	ds_write_b128 v4, v[6:9]
.LBB526_13:
	s_or_b64 exec, exec, s[6:7]
	s_waitcnt lgkmcnt(0)
	s_mul_i32 s4, s4, s46
	s_mov_b32 s5, 0
	s_lshl_b64 s[4:5], s[4:5], 1
	s_add_u32 s8, s8, s4
	s_addc_u32 s9, s9, s5
	s_waitcnt vmcnt(3)
	v_mad_i64_i32 v[4:5], s[16:17], v3, s45, 0
	v_lshl_add_u64 v[4:5], v[4:5], 1, s[8:9]
	v_lshlrev_b64 v[12:13], 1, v[34:35]
	v_lshlrev_b32_e32 v38, 9, v54
	v_lshl_add_u64 v[4:5], v[4:5], 0, v[12:13]
	v_mov_b32_e32 v39, 0
	v_lshl_add_u64 v[14:15], v[4:5], 0, v[38:39]
	s_waitcnt vmcnt(2)
	v_mad_i64_i32 v[2:3], s[16:17], v2, s45, 0
	v_mov_b32_e32 v4, 0x100
	v_lshl_add_u64 v[2:3], v[2:3], 1, s[8:9]
	v_lshl_or_b32 v40, v36, 4, v4
	v_mov_b32_e32 v41, v39
	s_load_dword s29, s[0:1], 0x98
	s_load_dword s6, s[0:1], 0x1c
	s_waitcnt lgkmcnt(0)
	s_barrier
	v_lshl_add_u64 v[2:3], v[2:3], 0, v[40:41]
	global_load_dwordx4 v[6:9], v[14:15], off
	global_load_dwordx4 v[22:25], v[14:15], off offset:2048
	v_lshl_add_u64 v[18:19], v[2:3], 0, v[38:39]
	global_load_dwordx4 v[2:5], v[18:19], off
	global_load_dwordx4 v[26:29], v[18:19], off offset:2048
	s_waitcnt vmcnt(5)
	v_mad_i64_i32 v[10:11], s[16:17], v10, s45, 0
	v_lshl_add_u64 v[10:11], v[10:11], 1, s[8:9]
	v_lshl_add_u64 v[10:11], v[10:11], 0, v[12:13]
	;; [unrolled: 1-line block ×3, first 2 shown]
	global_load_dwordx4 v[10:13], v[20:21], off
	global_load_dwordx4 v[30:33], v[20:21], off offset:2048
	s_waitcnt vmcnt(6)
	v_mad_i64_i32 v[42:43], s[16:17], v16, s45, 0
	v_add_u32_e32 v17, -11, v36
	v_cmp_gt_u32_e32 vcc, 11, v36
	v_lshl_add_u64 v[42:43], v[42:43], 1, s[8:9]
	v_lshl_add_u64 v[40:41], v[42:43], 0, v[40:41]
	v_cndmask_b32_e32 v14, v17, v36, vcc
	v_lshl_add_u32 v14, v14, 5, v38
	v_lshl_add_u64 v[40:41], v[40:41], 0, v[38:39]
	ds_read_b128 v[18:21], v14
	ds_read_b128 v[14:17], v14 offset:2048
	global_load_dwordx4 v[46:49], v[40:41], off
	global_load_dwordx4 v[60:63], v[40:41], off offset:2048
	s_ashr_i32 s7, s14, 31
	v_and_or_b32 v55, v0, 48, s14
	s_lshr_b32 s7, s7, 27
	v_add_u32_e32 v42, s7, v55
	v_mov_b32_e32 v64, s15
	v_or_b32_e32 v50, 64, v55
	v_ashrrev_i32_e32 v38, 5, v42
	v_cmp_gt_i32_e32 vcc, s33, v55
	v_add_u32_e32 v43, s7, v50
	v_ashrrev_i32_e32 v51, 5, v43
	v_cndmask_b32_e32 v42, v64, v38, vcc
	v_ashrrev_i32_e32 v43, 31, v42
	v_lshl_add_u64 v[42:43], v[42:43], 2, s[12:13]
	v_cmp_gt_i32_e32 vcc, s33, v50
	global_load_dword v65, v[42:43], off
	v_or_b32_e32 v40, 0x80, v55
	v_or_b32_e32 v41, 0xc0, v55
	v_and_b32_e32 v38, 16, v0
	s_add_u32 s4, s10, s4
	s_addc_u32 s5, s11, s5
	v_lshlrev_b32_e32 v38, 1, v38
	s_mov_b32 s43, 0xff7fffff
	s_waitcnt vmcnt(8) lgkmcnt(1)
	v_mfma_f32_16x16x16_bf16 v[42:45], v[6:7], v[18:19], 0
	v_cndmask_b32_e32 v6, v64, v51, vcc
	v_ashrrev_i32_e32 v7, 31, v6
	v_cmp_gt_i32_e32 vcc, s33, v40
	s_waitcnt vmcnt(6)
	v_mfma_f32_16x16x16_bf16 v[50:53], v[2:3], v[18:19], 0
	v_lshl_add_u64 v[2:3], v[6:7], 2, s[12:13]
	global_load_dword v66, v[2:3], off
	v_mfma_f32_16x16x16_bf16 v[6:9], v[8:9], v[20:21], v[42:45]
	v_mfma_f32_16x16x16_bf16 v[2:5], v[4:5], v[20:21], v[50:53]
	s_nop 1
	v_add_u32_e32 v42, s7, v40
	v_add_u32_e32 v43, s7, v41
	v_ashrrev_i32_e32 v42, 5, v42
	s_waitcnt lgkmcnt(0)
	v_mfma_f32_16x16x16_bf16 v[6:9], v[22:23], v[14:15], v[6:9]
	v_lshlrev_b32_e32 v45, 6, v36
	v_ashrrev_i32_e32 v43, 5, v43
	v_cndmask_b32_e32 v44, v64, v42, vcc
	s_waitcnt vmcnt(5)
	v_mfma_f32_16x16x16_bf16 v[56:59], v[10:11], v[18:19], 0
	v_cmp_gt_i32_e32 vcc, s33, v41
	v_lshl_add_u64 v[50:51], s[4:5], 0, v[38:39]
	v_lshl_or_b32 v38, v1, 10, v45
	v_mfma_f32_16x16x16_bf16 v[2:5], v[26:27], v[14:15], v[2:5]
	v_cndmask_b32_e32 v26, v64, v43, vcc
	v_ashrrev_i32_e32 v45, 31, v44
	v_ashrrev_i32_e32 v27, 31, v26
	v_mfma_f32_16x16x16_bf16 v[22:25], v[24:25], v[16:17], v[6:9]
	s_nop 2
	v_lshl_add_u64 v[6:7], v[44:45], 2, s[12:13]
	v_mfma_f32_16x16x16_bf16 v[10:13], v[12:13], v[20:21], v[56:59]
	v_lshl_add_u64 v[8:9], v[26:27], 2, s[12:13]
	global_load_dword v55, v[6:7], off
	s_nop 0
	global_load_dword v58, v[8:9], off
	s_waitcnt vmcnt(6)
	v_mfma_f32_16x16x16_bf16 v[40:43], v[30:31], v[14:15], v[10:13]
	s_nop 2
	v_lshl_add_u64 v[10:11], v[50:51], 0, v[38:39]
	v_mfma_f32_16x16x16_bf16 v[30:33], v[32:33], v[16:17], v[40:43]
	v_pk_mul_f32 v[50:51], s[6:7], v[24:25] op_sel_hi:[0,1]
	s_waitcnt vmcnt(2)
	v_mad_i64_i32 v[12:13], s[4:5], v66, s45, 0
	v_mfma_f32_16x16x16_bf16 v[38:41], v[46:47], v[18:19], 0
	v_lshl_add_u64 v[56:57], v[12:13], 1, v[10:11]
	v_pk_mul_f32 v[12:13], s[6:7], v[22:23] op_sel_hi:[0,1]
	s_nop 0
	v_pk_mul_f32 v[46:47], s[6:7], v[30:31] op_sel_hi:[0,1]
	v_mfma_f32_16x16x16_bf16 v[18:21], v[48:49], v[20:21], v[38:41]
	v_pk_mul_f32 v[48:49], s[6:7], v[32:33] op_sel_hi:[0,1]
	v_mfma_f32_16x16x16_bf16 v[18:21], v[60:61], v[14:15], v[18:21]
	v_mfma_f32_16x16x16_bf16 v[26:29], v[28:29], v[16:17], v[2:5]
	;; [unrolled: 1-line block ×3, first 2 shown]
	s_nop 1
	v_mad_i64_i32 v[2:3], s[4:5], v65, s45, 0
	s_nop 2
	v_pk_mul_f32 v[42:43], s[6:7], v[26:27] op_sel_hi:[0,1]
	v_pk_mul_f32 v[52:53], s[6:7], v[28:29] op_sel_hi:[0,1]
	v_lshl_add_u64 v[2:3], v[2:3], 1, v[10:11]
	v_pk_mul_f32 v[44:45], s[6:7], v[14:15] op_sel_hi:[0,1]
	v_and_b32_e32 v14, 0xc0, v0
	v_add_u32_e32 v14, s14, v14
	v_lshl_or_b32 v14, v54, 2, v14
	v_pk_mul_f32 v[38:39], s[6:7], v[16:17] op_sel_hi:[0,1]
	v_or_b32_e32 v17, 1, v14
	v_mov_b32_e32 v15, 0xff7fffff
	v_cmp_gt_i32_e64 s[4:5], s33, v14
	v_cmp_gt_i32_e64 s[34:35], s33, v17
	v_or_b32_e32 v18, 3, v14
	v_cndmask_b32_e64 v16, v15, v12, s[4:5]
	v_cndmask_b32_e64 v17, v15, v13, s[34:35]
	v_max3_f32 v16, v16, s43, v17
	v_or_b32_e32 v17, 2, v14
	v_cmp_gt_i32_e64 s[36:37], s33, v17
	v_cmp_gt_i32_e64 s[38:39], s33, v18
	global_load_dwordx4 v[6:9], v[2:3], off
	s_nop 0
	global_load_dwordx4 v[2:5], v[2:3], off offset:16
	v_cndmask_b32_e64 v17, v15, v50, s[36:37]
	v_cndmask_b32_e64 v18, v15, v51, s[38:39]
	v_max3_f32 v16, v16, v17, v18
	v_or_b32_e32 v17, 16, v14
	v_or_b32_e32 v18, 17, v14
	v_cmp_gt_i32_e64 s[24:25], s33, v17
	v_cmp_gt_i32_e64 s[26:27], s33, v18
	global_load_dwordx4 v[30:33], v[56:57], off
	global_load_dwordx4 v[26:29], v[56:57], off offset:16
	v_cndmask_b32_e64 v17, v15, v42, s[24:25]
	v_cndmask_b32_e64 v18, v15, v43, s[26:27]
	v_max3_f32 v16, v16, v17, v18
	v_or_b32_e32 v17, 18, v14
	v_or_b32_e32 v18, 19, v14
	v_cmp_gt_i32_e64 s[20:21], s33, v17
	v_cmp_gt_i32_e64 s[22:23], s33, v18
	s_nop 0
	v_cndmask_b32_e64 v17, v15, v52, s[20:21]
	v_cndmask_b32_e64 v18, v15, v53, s[22:23]
	v_max3_f32 v16, v16, v17, v18
	v_or_b32_e32 v17, 32, v14
	v_or_b32_e32 v18, 33, v14
	v_cmp_gt_i32_e64 s[16:17], s33, v17
	v_cmp_gt_i32_e64 s[18:19], s33, v18
	s_nop 0
	;; [unrolled: 8-line block ×4, first 2 shown]
	v_cndmask_b32_e64 v17, v15, v44, s[8:9]
	v_cndmask_b32_e64 v18, v15, v45, s[10:11]
	v_max3_f32 v16, v16, v17, v18
	v_or_b32_e32 v17, 50, v14
	v_or_b32_e32 v14, 51, v14
	v_cmp_gt_i32_e32 vcc, s33, v17
	v_cmp_gt_i32_e64 s[6:7], s33, v14
	s_nop 0
	v_cndmask_b32_e32 v17, v15, v38, vcc
	v_cndmask_b32_e64 v14, v15, v39, s[6:7]
	v_max3_f32 v16, v16, v17, v14
	v_mbcnt_lo_u32_b32 v14, -1, 0
	v_mbcnt_hi_u32_b32 v17, -1, v14
	v_and_b32_e32 v14, 64, v17
	v_add_u32_e32 v18, 64, v14
	v_xor_b32_e32 v14, 32, v17
	v_cmp_lt_i32_e64 s[40:41], v14, v18
	s_nop 1
	v_cndmask_b32_e64 v14, v17, v14, s[40:41]
	v_lshlrev_b32_e32 v59, 2, v14
	ds_bpermute_b32 v19, v59, v16
	s_waitcnt vmcnt(5)
	v_mad_i64_i32 v[14:15], s[40:41], v55, s45, 0
	v_lshl_add_u64 v[14:15], v[14:15], 1, v[10:11]
	s_waitcnt lgkmcnt(0)
	v_max_f32_e32 v19, v19, v19
	v_max_f32_e32 v16, v16, v19
	v_xor_b32_e32 v19, 16, v17
	v_cmp_lt_i32_e64 s[40:41], v19, v18
	s_nop 1
	v_cndmask_b32_e64 v17, v17, v19, s[40:41]
	v_lshlrev_b32_e32 v57, 2, v17
	ds_bpermute_b32 v17, v57, v16
	global_load_dwordx4 v[22:25], v[14:15], off
	global_load_dwordx4 v[18:21], v[14:15], off offset:16
	s_waitcnt vmcnt(6)
	v_mad_i64_i32 v[14:15], s[40:41], v58, s45, 0
	v_lshl_add_u64 v[10:11], v[14:15], 1, v[10:11]
	s_waitcnt lgkmcnt(0)
	v_max_f32_e32 v14, v17, v17
	v_max_f32_e32 v55, v16, v14
	v_sub_f32_e32 v12, v12, v55
	v_mul_f32_e32 v12, 0x3fb8aa3b, v12
	v_exp_f32_e32 v40, v12
	v_sub_f32_e32 v12, v13, v55
	v_mul_f32_e32 v12, 0x3fb8aa3b, v12
	v_exp_f32_e32 v41, v12
	global_load_dwordx4 v[14:17], v[10:11], off
	s_nop 0
	global_load_dwordx4 v[10:13], v[10:11], off offset:16
	v_sub_f32_e32 v50, v50, v55
	v_mul_f32_e32 v50, 0x3fb8aa3b, v50
	v_sub_f32_e32 v51, v51, v55
	v_exp_f32_e32 v50, v50
	v_mul_f32_e32 v51, 0x3fb8aa3b, v51
	v_sub_f32_e32 v42, v42, v55
	v_exp_f32_e32 v51, v51
	v_mul_f32_e32 v42, 0x3fb8aa3b, v42
	v_sub_f32_e32 v43, v43, v55
	v_cndmask_b32_e64 v40, 0, v40, s[4:5]
	v_exp_f32_e32 v42, v42
	v_mul_f32_e32 v43, 0x3fb8aa3b, v43
	v_sub_f32_e32 v52, v52, v55
	v_add_f32_e32 v56, 0, v40
	v_cndmask_b32_e64 v41, 0, v41, s[34:35]
	v_exp_f32_e32 v43, v43
	v_mul_f32_e32 v52, 0x3fb8aa3b, v52
	v_sub_f32_e32 v53, v53, v55
	v_add_f32_e32 v56, v56, v41
	v_cndmask_b32_e64 v50, 0, v50, s[36:37]
	v_exp_f32_e32 v52, v52
	v_mul_f32_e32 v53, 0x3fb8aa3b, v53
	v_sub_f32_e32 v46, v46, v55
	v_add_f32_e32 v56, v56, v50
	v_cndmask_b32_e64 v51, 0, v51, s[38:39]
	v_exp_f32_e32 v53, v53
	v_mul_f32_e32 v46, 0x3fb8aa3b, v46
	v_sub_f32_e32 v47, v47, v55
	v_add_f32_e32 v56, v56, v51
	v_cndmask_b32_e64 v42, 0, v42, s[24:25]
	v_exp_f32_e32 v46, v46
	v_mul_f32_e32 v47, 0x3fb8aa3b, v47
	v_sub_f32_e32 v48, v48, v55
	v_add_f32_e32 v56, v56, v42
	v_cndmask_b32_e64 v43, 0, v43, s[26:27]
	v_exp_f32_e32 v47, v47
	v_mul_f32_e32 v48, 0x3fb8aa3b, v48
	v_sub_f32_e32 v49, v49, v55
	v_add_f32_e32 v56, v56, v43
	v_cndmask_b32_e64 v52, 0, v52, s[20:21]
	v_exp_f32_e32 v48, v48
	v_mul_f32_e32 v49, 0x3fb8aa3b, v49
	v_sub_f32_e32 v44, v44, v55
	v_add_f32_e32 v56, v56, v52
	v_cndmask_b32_e64 v53, 0, v53, s[22:23]
	v_exp_f32_e32 v49, v49
	v_mul_f32_e32 v44, 0x3fb8aa3b, v44
	v_sub_f32_e32 v45, v45, v55
	v_add_f32_e32 v56, v56, v53
	v_cndmask_b32_e64 v46, 0, v46, s[16:17]
	v_exp_f32_e32 v44, v44
	v_mul_f32_e32 v45, 0x3fb8aa3b, v45
	v_sub_f32_e32 v38, v38, v55
	v_add_f32_e32 v56, v56, v46
	v_cndmask_b32_e64 v47, 0, v47, s[18:19]
	v_exp_f32_e32 v45, v45
	v_mul_f32_e32 v38, 0x3fb8aa3b, v38
	v_sub_f32_e32 v39, v39, v55
	v_add_f32_e32 v56, v56, v47
	v_cndmask_b32_e64 v48, 0, v48, s[12:13]
	v_exp_f32_e32 v38, v38
	v_mul_f32_e32 v39, 0x3fb8aa3b, v39
	v_add_f32_e32 v56, v56, v48
	v_cndmask_b32_e64 v49, 0, v49, s[14:15]
	v_exp_f32_e32 v39, v39
	v_add_f32_e32 v56, v56, v49
	v_cndmask_b32_e64 v44, 0, v44, s[8:9]
	v_add_f32_e32 v56, v56, v44
	v_cndmask_b32_e64 v45, 0, v45, s[10:11]
	v_add_f32_e32 v56, v56, v45
	v_cndmask_b32_e32 v38, 0, v38, vcc
	v_add_f32_e32 v56, v56, v38
	v_cndmask_b32_e64 v39, 0, v39, s[6:7]
	v_add_f32_e32 v56, v56, v39
	ds_bpermute_b32 v58, v59, v56
	v_cmp_gt_u32_e32 vcc, 16, v37
	v_lshlrev_b32_e32 v37, 2, v36
	s_waitcnt lgkmcnt(0)
	s_barrier
	v_add_f32_e32 v56, v56, v58
	ds_bpermute_b32 v57, v57, v56
	s_waitcnt lgkmcnt(0)
	s_and_saveexec_b64 s[4:5], vcc
	s_cbranch_execz .LBB526_15
; %bb.14:
	v_add_f32_e32 v56, v56, v57
	v_lshl_or_b32 v57, v1, 6, v37
	ds_write2st64_b32 v57, v55, v56 offset1:1
.LBB526_15:
	s_or_b64 exec, exec, s[4:5]
	s_load_dword s6, s[0:1], 0x94
	s_waitcnt lgkmcnt(0)
	s_barrier
	ds_read2_b32 v[56:57], v37 offset1:16
	ds_read2_b32 v[58:59], v37 offset0:32 offset1:48
	ds_read2_b32 v[60:61], v37 offset0:64 offset1:80
	;; [unrolled: 1-line block ×3, first 2 shown]
	s_movk_i32 s8, 0x7fff
	s_waitcnt lgkmcnt(3)
	v_max3_f32 v55, v56, s43, v57
	s_waitcnt lgkmcnt(2)
	v_max3_f32 v55, v55, v58, v59
	v_sub_f32_e32 v56, v56, v55
	v_mul_f32_e32 v56, 0x3fb8aa3b, v56
	v_exp_f32_e32 v64, v56
	v_sub_f32_e32 v56, v57, v55
	v_mul_f32_e32 v56, 0x3fb8aa3b, v56
	v_exp_f32_e32 v57, v56
	v_sub_f32_e32 v56, v58, v55
	v_mul_f32_e32 v56, 0x3fb8aa3b, v56
	v_sub_f32_e32 v37, v59, v55
	v_exp_f32_e32 v58, v56
	v_mul_f32_e32 v37, 0x3fb8aa3b, v37
	v_exp_f32_e32 v37, v37
	s_waitcnt lgkmcnt(1)
	v_fma_f32 v56, v64, v60, 0
	v_fmac_f32_e32 v56, v57, v61
	s_waitcnt lgkmcnt(0)
	v_fmac_f32_e32 v56, v58, v62
	v_fmac_f32_e32 v56, v37, v63
	v_add_f32_e32 v59, 0x358637bd, v56
	v_div_scale_f32 v60, s[4:5], v59, v59, 1.0
	v_rcp_f32_e32 v61, v60
	s_mov_b32 s9, 0x7060302
	s_barrier
	v_fma_f32 v62, -v60, v61, 1.0
	v_fmac_f32_e32 v61, v62, v61
	v_div_scale_f32 v62, vcc, 1.0, v59, 1.0
	v_mul_f32_e32 v63, v62, v61
	v_fma_f32 v65, -v60, v63, v62
	v_fmac_f32_e32 v63, v65, v61
	v_fma_f32 v60, -v60, v63, v62
	v_div_fmas_f32 v60, v60, v61, v63
	v_cmp_eq_u32_e32 vcc, 1, v1
	v_div_fixup_f32 v59, v60, v59, 1.0
	s_nop 0
	v_cndmask_b32_e32 v57, v64, v57, vcc
	v_cmp_eq_u32_e32 vcc, 2, v1
	s_mul_i32 s7, s29, 11
	s_nop 0
	v_cndmask_b32_e32 v57, v57, v58, vcc
	v_cmp_eq_u32_e32 vcc, 3, v1
	v_lshlrev_b32_e32 v1, 11, v1
	s_nop 0
	v_cndmask_b32_e32 v37, v57, v37, vcc
	v_mul_f32_e32 v58, v37, v59
	v_pk_mul_f32 v[40:41], v[58:59], v[40:41] op_sel_hi:[0,1]
	v_bfe_u32 v37, v41, 16, 1
	v_bfe_u32 v57, v40, 16, 1
	v_pk_mul_f32 v[50:51], v[58:59], v[50:51] op_sel_hi:[0,1]
	v_add3_u32 v40, v40, v57, s8
	v_add3_u32 v37, v41, v37, s8
	v_perm_b32 v60, v37, v40, s9
	v_bfe_u32 v37, v51, 16, 1
	v_bfe_u32 v40, v50, 16, 1
	v_add3_u32 v40, v50, v40, s8
	v_add3_u32 v37, v51, v37, s8
	v_perm_b32 v61, v37, v40, s9
	v_lshlrev_b32_e32 v37, 3, v54
	v_lshlrev_b32_e32 v40, 5, v36
	v_pk_mul_f32 v[42:43], v[58:59], v[42:43] op_sel_hi:[0,1]
	v_or3_b32 v1, v1, v40, v37
	v_bfe_u32 v37, v43, 16, 1
	v_bfe_u32 v41, v42, 16, 1
	v_pk_mul_f32 v[50:51], v[58:59], v[52:53] op_sel_hi:[0,1]
	v_add3_u32 v41, v42, v41, s8
	v_add3_u32 v37, v43, v37, s8
	v_perm_b32 v42, v37, v41, s9
	v_bfe_u32 v37, v51, 16, 1
	v_bfe_u32 v41, v50, 16, 1
	v_add3_u32 v41, v50, v41, s8
	v_add3_u32 v37, v51, v37, s8
	v_pk_mul_f32 v[46:47], v[58:59], v[46:47] op_sel_hi:[0,1]
	v_perm_b32 v43, v37, v41, s9
	v_bfe_u32 v37, v47, 16, 1
	v_bfe_u32 v41, v46, 16, 1
	ds_write2st64_b64 v1, v[60:61], v[42:43] offset1:1
	v_pk_mul_f32 v[42:43], v[58:59], v[48:49] op_sel_hi:[0,1]
	v_add3_u32 v41, v46, v41, s8
	v_add3_u32 v37, v47, v37, s8
	v_perm_b32 v46, v37, v41, s9
	v_bfe_u32 v37, v43, 16, 1
	v_bfe_u32 v41, v42, 16, 1
	v_add3_u32 v41, v42, v41, s8
	v_add3_u32 v37, v43, v37, s8
	v_pk_mul_f32 v[42:43], v[58:59], v[44:45] op_sel_hi:[0,1]
	v_perm_b32 v47, v37, v41, s9
	v_bfe_u32 v37, v43, 16, 1
	v_bfe_u32 v41, v42, 16, 1
	v_pk_mul_f32 v[38:39], v[58:59], v[38:39] op_sel_hi:[0,1]
	v_add3_u32 v41, v42, v41, s8
	v_add3_u32 v37, v43, v37, s8
	v_perm_b32 v42, v37, v41, s9
	v_bfe_u32 v37, v39, 16, 1
	v_bfe_u32 v41, v38, 16, 1
	v_add3_u32 v38, v38, v41, s8
	v_add3_u32 v37, v39, v37, s8
	v_perm_b32 v43, v37, v38, s9
	v_cmp_gt_u32_e32 vcc, 11, v0
	ds_write2st64_b64 v1, v[46:47], v[42:43] offset0:2 offset1:3
	s_and_saveexec_b64 s[4:5], vcc
	s_cbranch_execz .LBB526_17
; %bb.16:
	s_mov_b32 s43, 0
	v_mov_b32_e32 v37, 0
	v_lshl_add_u64 v[38:39], s[42:43], 0, v[36:37]
	v_mov_b32_e32 v36, s7
	v_mad_u64_u32 v[38:39], s[10:11], s2, v36, v[38:39]
	v_mov_b32_e32 v36, s28
	s_load_dwordx4 s[12:15], s[0:1], 0x58
	s_mul_i32 s3, s3, s7
	v_mad_u64_u32 v[36:37], s[10:11], v38, s6, v[36:37]
	v_add_u32_e32 v39, s3, v39
	v_mov_b32_e32 v38, v37
	v_mad_u64_u32 v[38:39], s[10:11], v39, s6, v[38:39]
	v_mov_b32_e32 v37, v38
	v_lshlrev_b64 v[36:37], 2, v[36:37]
	s_waitcnt lgkmcnt(0)
	v_lshl_add_u64 v[38:39], s[14:15], 0, v[36:37]
	v_lshl_add_u64 v[36:37], s[12:13], 0, v[36:37]
	global_store_dword v[38:39], v55, off
	global_store_dword v[36:37], v56, off
.LBB526_17:
	s_or_b64 exec, exec, s[4:5]
	v_lshl_or_b32 v48, v54, 9, v40
	s_waitcnt lgkmcnt(0)
	s_barrier
	ds_read_b128 v[36:39], v48
	ds_read_b128 v[40:43], v48 offset:16
	s_waitcnt vmcnt(7) lgkmcnt(1)
	v_mfma_f32_16x16x16_bf16 v[44:47], v[6:7], v[36:37], 0
	v_cmp_gt_u32_e32 vcc, 64, v0
	s_mov_b32 s3, 0
	s_and_b64 s[4:5], vcc, s[30:31]
	v_mfma_f32_16x16x16_bf16 v[6:9], v[8:9], v[38:39], v[44:47]
	s_waitcnt vmcnt(6) lgkmcnt(0)
	v_mfma_f32_16x16x16_bf16 v[6:9], v[2:3], v[40:41], v[6:9]
	v_mfma_f32_16x16x16_bf16 v[2:5], v[4:5], v[42:43], v[6:9]
	s_nop 5
	ds_read_b128 v[6:9], v48 offset:2048
	ds_read_b128 v[36:39], v48 offset:2064
	s_waitcnt vmcnt(5) lgkmcnt(1)
	v_mfma_f32_16x16x16_bf16 v[2:5], v[30:31], v[6:7], v[2:5]
	v_mfma_f32_16x16x16_bf16 v[2:5], v[32:33], v[8:9], v[2:5]
	s_waitcnt vmcnt(4) lgkmcnt(0)
	v_mfma_f32_16x16x16_bf16 v[2:5], v[26:27], v[36:37], v[2:5]
	v_mfma_f32_16x16x16_bf16 v[2:5], v[28:29], v[38:39], v[2:5]
	ds_read_b128 v[6:9], v48 offset:4096
	ds_read_b128 v[26:29], v48 offset:4112
	s_waitcnt vmcnt(3) lgkmcnt(1)
	v_mfma_f32_16x16x16_bf16 v[2:5], v[22:23], v[6:7], v[2:5]
	v_mfma_f32_16x16x16_bf16 v[2:5], v[24:25], v[8:9], v[2:5]
	s_waitcnt vmcnt(2) lgkmcnt(0)
	v_mfma_f32_16x16x16_bf16 v[2:5], v[18:19], v[26:27], v[2:5]
	v_mfma_f32_16x16x16_bf16 v[2:5], v[20:21], v[28:29], v[2:5]
	ds_read_b128 v[6:9], v48 offset:6144
	ds_read_b128 v[18:21], v48 offset:6160
	s_waitcnt lgkmcnt(0)
	s_barrier
	s_waitcnt vmcnt(1)
	v_mfma_f32_16x16x16_bf16 v[2:5], v[14:15], v[6:7], v[2:5]
	v_mfma_f32_16x16x16_bf16 v[2:5], v[16:17], v[8:9], v[2:5]
	s_waitcnt vmcnt(0)
	v_mfma_f32_16x16x16_bf16 v[2:5], v[10:11], v[18:19], v[2:5]
	v_mfma_f32_16x16x16_bf16 v[2:5], v[12:13], v[20:21], v[2:5]
	s_nop 6
	v_bfe_u32 v6, v3, 16, 1
	v_bfe_u32 v7, v2, 16, 1
	;; [unrolled: 1-line block ×4, first 2 shown]
	v_add3_u32 v2, v2, v7, s8
	v_add3_u32 v3, v3, v6, s8
	;; [unrolled: 1-line block ×4, first 2 shown]
	v_perm_b32 v2, v3, v2, s9
	v_perm_b32 v3, v5, v4, s9
	ds_write_b64 v1, v[2:3]
	s_waitcnt lgkmcnt(0)
	s_barrier
	s_and_saveexec_b64 s[8:9], s[4:5]
	s_cbranch_execz .LBB526_20
; %bb.18:
	s_load_dwordx2 s[4:5], s[0:1], 0x68
	s_lshl_b32 s0, s6, 6
	s_mul_i32 s1, s7, s2
	s_mul_hi_u32 s7, s1, s0
	s_mul_i32 s6, s1, s0
	v_lshlrev_b32_e32 v1, 10, v0
	v_lshlrev_b32_e32 v0, 4, v0
	s_lshl_b64 s[6:7], s[6:7], 1
	v_and_b32_e32 v1, 0x1800, v1
	v_lshlrev_b32_e32 v2, 5, v54
	v_and_b32_e32 v0, 16, v0
	s_waitcnt lgkmcnt(0)
	s_add_u32 s1, s4, s6
	v_or3_b32 v2, v1, v2, v0
	s_addc_u32 s4, s5, s7
	s_lshl_b32 s2, s28, 6
	s_lshl_b64 s[2:3], s[2:3], 1
	ds_read_b128 v[4:7], v2 offset:128
	ds_read_b128 v[8:11], v2
	s_add_u32 s2, s1, s2
	s_addc_u32 s3, s4, s3
	v_add_u32_e32 v3, s42, v54
	v_lshl_add_u64 v[0:1], v[34:35], 1, s[2:3]
	v_mad_u64_u32 v[12:13], s[2:3], v3, s0, 0
	v_lshl_add_u64 v[12:13], v[12:13], 1, v[0:1]
	v_add_u32_e32 v3, 4, v3
	s_waitcnt lgkmcnt(0)
	global_store_dwordx4 v[12:13], v[8:11], off
	v_cmp_ne_u32_e32 vcc, 3, v54
	s_nop 0
	v_mad_u64_u32 v[8:9], s[2:3], v3, s0, 0
	v_lshl_add_u64 v[8:9], v[8:9], 1, v[0:1]
	global_store_dwordx4 v[8:9], v[4:7], off
	s_and_b64 exec, exec, vcc
	s_cbranch_execz .LBB526_20
; %bb.19:
	ds_read_b128 v[2:5], v2 offset:256
	v_add3_u32 v6, s42, v54, 8
	v_mad_u64_u32 v[6:7], s[0:1], v6, s0, 0
	v_lshl_add_u64 v[0:1], v[6:7], 1, v[0:1]
	s_waitcnt lgkmcnt(0)
	global_store_dwordx4 v[0:1], v[2:5], off
.LBB526_20:
	s_endpgm
	.section	.rodata,"a",@progbits
	.p2align	6, 0x0
	.amdhsa_kernel _Z39paged_attention_ll4mi_QKV_mfma16_kernelI14__hip_bfloat16S0_LN4vllm18Fp8KVCacheDataTypeE0EhLi32ELi64ELi256ELb0ELi11EEvPKT_PKT0_S8_ifPKiSA_SA_iPKfiiiPfSD_PS3_PT2_iSC_SC_
		.amdhsa_group_segment_fixed_size 8192
		.amdhsa_private_segment_fixed_size 0
		.amdhsa_kernarg_size 400
		.amdhsa_user_sgpr_count 2
		.amdhsa_user_sgpr_dispatch_ptr 0
		.amdhsa_user_sgpr_queue_ptr 0
		.amdhsa_user_sgpr_kernarg_segment_ptr 1
		.amdhsa_user_sgpr_dispatch_id 0
		.amdhsa_user_sgpr_kernarg_preload_length 0
		.amdhsa_user_sgpr_kernarg_preload_offset 0
		.amdhsa_user_sgpr_private_segment_size 0
		.amdhsa_uses_dynamic_stack 0
		.amdhsa_enable_private_segment 0
		.amdhsa_system_sgpr_workgroup_id_x 1
		.amdhsa_system_sgpr_workgroup_id_y 1
		.amdhsa_system_sgpr_workgroup_id_z 1
		.amdhsa_system_sgpr_workgroup_info 0
		.amdhsa_system_vgpr_workitem_id 0
		.amdhsa_next_free_vgpr 67
		.amdhsa_next_free_sgpr 48
		.amdhsa_accum_offset 68
		.amdhsa_reserve_vcc 1
		.amdhsa_float_round_mode_32 0
		.amdhsa_float_round_mode_16_64 0
		.amdhsa_float_denorm_mode_32 3
		.amdhsa_float_denorm_mode_16_64 3
		.amdhsa_dx10_clamp 1
		.amdhsa_ieee_mode 1
		.amdhsa_fp16_overflow 0
		.amdhsa_tg_split 0
		.amdhsa_exception_fp_ieee_invalid_op 0
		.amdhsa_exception_fp_denorm_src 0
		.amdhsa_exception_fp_ieee_div_zero 0
		.amdhsa_exception_fp_ieee_overflow 0
		.amdhsa_exception_fp_ieee_underflow 0
		.amdhsa_exception_fp_ieee_inexact 0
		.amdhsa_exception_int_div_zero 0
	.end_amdhsa_kernel
	.section	.text._Z39paged_attention_ll4mi_QKV_mfma16_kernelI14__hip_bfloat16S0_LN4vllm18Fp8KVCacheDataTypeE0EhLi32ELi64ELi256ELb0ELi11EEvPKT_PKT0_S8_ifPKiSA_SA_iPKfiiiPfSD_PS3_PT2_iSC_SC_,"axG",@progbits,_Z39paged_attention_ll4mi_QKV_mfma16_kernelI14__hip_bfloat16S0_LN4vllm18Fp8KVCacheDataTypeE0EhLi32ELi64ELi256ELb0ELi11EEvPKT_PKT0_S8_ifPKiSA_SA_iPKfiiiPfSD_PS3_PT2_iSC_SC_,comdat
.Lfunc_end526:
	.size	_Z39paged_attention_ll4mi_QKV_mfma16_kernelI14__hip_bfloat16S0_LN4vllm18Fp8KVCacheDataTypeE0EhLi32ELi64ELi256ELb0ELi11EEvPKT_PKT0_S8_ifPKiSA_SA_iPKfiiiPfSD_PS3_PT2_iSC_SC_, .Lfunc_end526-_Z39paged_attention_ll4mi_QKV_mfma16_kernelI14__hip_bfloat16S0_LN4vllm18Fp8KVCacheDataTypeE0EhLi32ELi64ELi256ELb0ELi11EEvPKT_PKT0_S8_ifPKiSA_SA_iPKfiiiPfSD_PS3_PT2_iSC_SC_
                                        ; -- End function
	.section	.AMDGPU.csdata,"",@progbits
; Kernel info:
; codeLenInByte = 4184
; NumSgprs: 54
; NumVgprs: 67
; NumAgprs: 0
; TotalNumVgprs: 67
; ScratchSize: 0
; MemoryBound: 0
; FloatMode: 240
; IeeeMode: 1
; LDSByteSize: 8192 bytes/workgroup (compile time only)
; SGPRBlocks: 6
; VGPRBlocks: 8
; NumSGPRsForWavesPerEU: 54
; NumVGPRsForWavesPerEU: 67
; AccumOffset: 68
; Occupancy: 7
; WaveLimiterHint : 1
; COMPUTE_PGM_RSRC2:SCRATCH_EN: 0
; COMPUTE_PGM_RSRC2:USER_SGPR: 2
; COMPUTE_PGM_RSRC2:TRAP_HANDLER: 0
; COMPUTE_PGM_RSRC2:TGID_X_EN: 1
; COMPUTE_PGM_RSRC2:TGID_Y_EN: 1
; COMPUTE_PGM_RSRC2:TGID_Z_EN: 1
; COMPUTE_PGM_RSRC2:TIDIG_COMP_CNT: 0
; COMPUTE_PGM_RSRC3_GFX90A:ACCUM_OFFSET: 16
; COMPUTE_PGM_RSRC3_GFX90A:TG_SPLIT: 0
	.section	.text._Z39paged_attention_ll4mi_QKV_mfma16_kernelI14__hip_bfloat16S0_LN4vllm18Fp8KVCacheDataTypeE0EhLi32ELi64ELi256ELb0ELi12EEvPKT_PKT0_S8_ifPKiSA_SA_iPKfiiiPfSD_PS3_PT2_iSC_SC_,"axG",@progbits,_Z39paged_attention_ll4mi_QKV_mfma16_kernelI14__hip_bfloat16S0_LN4vllm18Fp8KVCacheDataTypeE0EhLi32ELi64ELi256ELb0ELi12EEvPKT_PKT0_S8_ifPKiSA_SA_iPKfiiiPfSD_PS3_PT2_iSC_SC_,comdat
	.protected	_Z39paged_attention_ll4mi_QKV_mfma16_kernelI14__hip_bfloat16S0_LN4vllm18Fp8KVCacheDataTypeE0EhLi32ELi64ELi256ELb0ELi12EEvPKT_PKT0_S8_ifPKiSA_SA_iPKfiiiPfSD_PS3_PT2_iSC_SC_ ; -- Begin function _Z39paged_attention_ll4mi_QKV_mfma16_kernelI14__hip_bfloat16S0_LN4vllm18Fp8KVCacheDataTypeE0EhLi32ELi64ELi256ELb0ELi12EEvPKT_PKT0_S8_ifPKiSA_SA_iPKfiiiPfSD_PS3_PT2_iSC_SC_
	.globl	_Z39paged_attention_ll4mi_QKV_mfma16_kernelI14__hip_bfloat16S0_LN4vllm18Fp8KVCacheDataTypeE0EhLi32ELi64ELi256ELb0ELi12EEvPKT_PKT0_S8_ifPKiSA_SA_iPKfiiiPfSD_PS3_PT2_iSC_SC_
	.p2align	8
	.type	_Z39paged_attention_ll4mi_QKV_mfma16_kernelI14__hip_bfloat16S0_LN4vllm18Fp8KVCacheDataTypeE0EhLi32ELi64ELi256ELb0ELi12EEvPKT_PKT0_S8_ifPKiSA_SA_iPKfiiiPfSD_PS3_PT2_iSC_SC_,@function
_Z39paged_attention_ll4mi_QKV_mfma16_kernelI14__hip_bfloat16S0_LN4vllm18Fp8KVCacheDataTypeE0EhLi32ELi64ELi256ELb0ELi12EEvPKT_PKT0_S8_ifPKiSA_SA_iPKfiiiPfSD_PS3_PT2_iSC_SC_: ; @_Z39paged_attention_ll4mi_QKV_mfma16_kernelI14__hip_bfloat16S0_LN4vllm18Fp8KVCacheDataTypeE0EhLi32ELi64ELi256ELb0ELi12EEvPKT_PKT0_S8_ifPKiSA_SA_iPKfiiiPfSD_PS3_PT2_iSC_SC_
; %bb.0:
	s_load_dwordx2 s[6:7], s[0:1], 0x30
	s_mov_b32 s28, s3
	s_mov_b64 s[10:11], 0
	s_waitcnt lgkmcnt(0)
	s_cmp_lg_u64 s[6:7], 0
	s_cselect_b64 s[8:9], -1, 0
	s_and_b64 vcc, exec, s[8:9]
	s_cbranch_vccz .LBB527_7
; %bb.1:
	s_add_i32 s12, s2, 1
	s_mov_b32 s13, 0
	s_lshl_b64 s[14:15], s[12:13], 2
	s_add_u32 s14, s6, s14
	s_mov_b32 s3, s13
	s_addc_u32 s15, s7, s15
	s_lshl_b64 s[12:13], s[2:3], 2
	s_add_u32 s12, s6, s12
	s_addc_u32 s13, s7, s13
	s_load_dword s5, s[14:15], 0x0
	s_load_dword s16, s[12:13], 0x0
	s_waitcnt lgkmcnt(0)
	s_sub_i32 s5, s5, s16
	s_cmp_eq_u32 s5, 1
	s_cselect_b64 s[12:13], -1, 0
	s_andn2_b64 vcc, exec, s[10:11]
	s_cbranch_vccnz .LBB527_3
.LBB527_2:
	s_mov_b32 s3, 0
	s_mov_b64 s[12:13], -1
.LBB527_3:
	s_andn2_b64 vcc, exec, s[12:13]
	s_cbranch_vccnz .LBB527_19
; %bb.4:
	s_load_dwordx2 s[12:13], s[0:1], 0x28
	s_lshl_b64 s[10:11], s[2:3], 2
	s_waitcnt lgkmcnt(0)
	s_add_u32 s12, s12, s10
	s_addc_u32 s13, s13, s11
	s_load_dword s33, s[12:13], 0x0
	s_lshl_b32 s14, s28, 8
	s_waitcnt lgkmcnt(0)
	s_cmp_ge_i32 s14, s33
	s_cbranch_scc1 .LBB527_19
; %bb.5:
	s_load_dwordx2 s[12:13], s[0:1], 0x20
	s_load_dword s5, s[0:1], 0x38
	s_add_i32 s15, s33, 31
	s_ashr_i32 s16, s15, 31
	v_and_b32_e32 v1, 0xcf, v0
	s_lshr_b32 s16, s16, 27
	v_add_u32_e32 v1, s14, v1
	s_add_i32 s15, s15, s16
	v_ashrrev_i32_e32 v2, 31, v1
	s_ashr_i32 s15, s15, 5
	v_lshrrev_b32_e32 v10, 27, v2
	s_add_i32 s15, s15, -1
	s_waitcnt lgkmcnt(0)
	s_mul_i32 s16, s2, s5
	s_mov_b32 s17, 0
	v_add_u32_e32 v2, v1, v10
	s_lshl_b64 s[16:17], s[16:17], 2
	v_ashrrev_i32_e32 v2, 5, v2
	v_mov_b32_e32 v11, s15
	v_cmp_gt_i32_e32 vcc, s33, v1
	s_add_u32 s12, s12, s16
	s_addc_u32 s13, s13, s17
	v_cndmask_b32_e32 v2, v11, v2, vcc
	v_ashrrev_i32_e32 v3, 31, v2
	v_lshl_add_u64 v[4:5], v[2:3], 2, s[12:13]
	v_or_b32_e32 v2, 16, v1
	v_add_u32_e32 v3, v2, v10
	v_ashrrev_i32_e32 v3, 5, v3
	v_cmp_gt_i32_e32 vcc, s33, v2
	s_nop 1
	v_cndmask_b32_e32 v2, v11, v3, vcc
	v_ashrrev_i32_e32 v3, 31, v2
	v_lshl_add_u64 v[6:7], v[2:3], 2, s[12:13]
	v_or_b32_e32 v2, 32, v1
	v_add_u32_e32 v3, v2, v10
	v_ashrrev_i32_e32 v3, 5, v3
	v_cmp_gt_i32_e32 vcc, s33, v2
	v_or_b32_e32 v1, 48, v1
	s_nop 0
	v_cndmask_b32_e32 v2, v11, v3, vcc
	v_ashrrev_i32_e32 v3, 31, v2
	v_lshl_add_u64 v[8:9], v[2:3], 2, s[12:13]
	v_add_u32_e32 v2, v1, v10
	v_ashrrev_i32_e32 v2, 5, v2
	v_cmp_gt_i32_e32 vcc, s33, v1
	s_nop 1
	v_cndmask_b32_e32 v2, v11, v2, vcc
	v_ashrrev_i32_e32 v3, 31, v2
	v_lshl_add_u64 v[12:13], v[2:3], 2, s[12:13]
	global_load_dword v3, v[4:5], off
	global_load_dword v2, v[6:7], off
	;; [unrolled: 1-line block ×4, first 2 shown]
	s_andn2_b64 vcc, exec, s[8:9]
	s_cbranch_vccnz .LBB527_8
; %bb.6:
	s_add_u32 s6, s6, s10
	s_addc_u32 s7, s7, s11
	s_load_dword s5, s[6:7], 0x0
	s_branch .LBB527_9
.LBB527_7:
	s_mov_b64 s[12:13], 0
	s_branch .LBB527_2
.LBB527_8:
	s_mov_b32 s5, s2
.LBB527_9:
	s_load_dwordx4 s[8:11], s[0:1], 0x8
	s_load_dwordx4 s[44:47], s[0:1], 0x48
	v_and_b32_e32 v36, 15, v0
	s_movk_i32 s6, 0xbf
	v_cmp_lt_u32_e32 vcc, s6, v0
	v_cmp_lt_u32_e64 s[6:7], 7, v36
	v_lshlrev_b32_e32 v34, 3, v36
	v_cmp_gt_u32_e64 s[30:31], 8, v36
	s_or_b64 s[6:7], vcc, s[6:7]
	s_and_saveexec_b64 s[16:17], s[6:7]
	s_xor_b64 s[6:7], exec, s[16:17]
; %bb.10:
	v_mov_b32_e32 v35, 0
; %bb.11:
	s_or_saveexec_b64 s[6:7], s[6:7]
	v_lshrrev_b32_e32 v37, 6, v0
	v_and_b32_e32 v54, 63, v0
	v_bfe_u32 v1, v0, 4, 2
	s_mul_i32 s42, s4, 12
	s_xor_b64 exec, exec, s[6:7]
	s_cbranch_execz .LBB527_13
; %bb.12:
	s_load_dwordx2 s[16:17], s[0:1], 0x0
	s_waitcnt lgkmcnt(0)
	s_ashr_i32 s18, s44, 31
	s_mul_hi_u32 s19, s5, s44
	s_mul_i32 s18, s5, s18
	s_add_i32 s19, s19, s18
	s_mul_i32 s18, s5, s44
	v_lshl_or_b32 v8, v37, 2, v1
	s_lshl_b64 s[18:19], s[18:19], 1
	s_add_u32 s16, s16, s18
	v_add_lshl_u32 v4, v8, s42, 6
	s_addc_u32 s17, s17, s19
	v_ashrrev_i32_e32 v5, 31, v4
	v_mov_b32_e32 v35, 0
	v_lshl_add_u64 v[4:5], v[4:5], 1, s[16:17]
	v_lshlrev_b32_e32 v6, 1, v34
	v_mov_b32_e32 v7, v35
	v_lshl_add_u64 v[4:5], v[4:5], 0, v[6:7]
	global_load_dwordx4 v[4:7], v[4:5], off
	v_and_b32_e32 v9, 3, v0
	v_lshlrev_b32_e32 v11, 9, v36
	v_lshlrev_b32_e32 v8, 5, v8
	;; [unrolled: 1-line block ×3, first 2 shown]
	v_and_b32_e32 v11, 0x1800, v11
	v_or3_b32 v8, v11, v9, v8
	s_waitcnt vmcnt(0)
	ds_write_b128 v8, v[4:7]
.LBB527_13:
	s_or_b64 exec, exec, s[6:7]
	s_waitcnt lgkmcnt(0)
	s_mul_i32 s4, s4, s46
	s_mov_b32 s5, 0
	s_lshl_b64 s[4:5], s[4:5], 1
	s_add_u32 s8, s8, s4
	s_addc_u32 s9, s9, s5
	s_waitcnt vmcnt(3)
	v_mad_i64_i32 v[4:5], s[16:17], v3, s45, 0
	v_lshl_add_u64 v[4:5], v[4:5], 1, s[8:9]
	v_lshlrev_b64 v[12:13], 1, v[34:35]
	v_lshlrev_b32_e32 v38, 9, v1
	v_lshl_add_u64 v[4:5], v[4:5], 0, v[12:13]
	v_mov_b32_e32 v39, 0
	v_lshl_add_u64 v[14:15], v[4:5], 0, v[38:39]
	s_waitcnt vmcnt(2)
	v_mad_i64_i32 v[2:3], s[16:17], v2, s45, 0
	v_mov_b32_e32 v4, 0x100
	v_lshl_add_u64 v[2:3], v[2:3], 1, s[8:9]
	v_lshl_or_b32 v40, v36, 4, v4
	v_mov_b32_e32 v41, v39
	s_load_dword s29, s[0:1], 0x98
	s_load_dword s6, s[0:1], 0x1c
	s_waitcnt lgkmcnt(0)
	s_barrier
	v_lshl_add_u64 v[2:3], v[2:3], 0, v[40:41]
	global_load_dwordx4 v[6:9], v[14:15], off
	global_load_dwordx4 v[22:25], v[14:15], off offset:2048
	v_lshl_add_u64 v[18:19], v[2:3], 0, v[38:39]
	global_load_dwordx4 v[2:5], v[18:19], off
	global_load_dwordx4 v[26:29], v[18:19], off offset:2048
	s_waitcnt vmcnt(5)
	v_mad_i64_i32 v[10:11], s[16:17], v10, s45, 0
	v_lshl_add_u64 v[10:11], v[10:11], 1, s[8:9]
	v_lshl_add_u64 v[10:11], v[10:11], 0, v[12:13]
	;; [unrolled: 1-line block ×3, first 2 shown]
	global_load_dwordx4 v[10:13], v[20:21], off
	global_load_dwordx4 v[30:33], v[20:21], off offset:2048
	s_waitcnt vmcnt(6)
	v_mad_i64_i32 v[42:43], s[16:17], v16, s45, 0
	v_add_u32_e32 v17, -12, v36
	v_cmp_gt_u32_e32 vcc, 12, v36
	v_lshl_add_u64 v[42:43], v[42:43], 1, s[8:9]
	v_lshl_add_u64 v[40:41], v[42:43], 0, v[40:41]
	v_cndmask_b32_e32 v14, v17, v36, vcc
	v_lshl_add_u32 v14, v14, 5, v38
	v_lshl_add_u64 v[40:41], v[40:41], 0, v[38:39]
	ds_read_b128 v[18:21], v14
	ds_read_b128 v[14:17], v14 offset:2048
	global_load_dwordx4 v[46:49], v[40:41], off
	global_load_dwordx4 v[60:63], v[40:41], off offset:2048
	s_ashr_i32 s7, s14, 31
	v_and_or_b32 v55, v0, 48, s14
	s_lshr_b32 s7, s7, 27
	v_add_u32_e32 v42, s7, v55
	v_mov_b32_e32 v64, s15
	v_or_b32_e32 v50, 64, v55
	v_ashrrev_i32_e32 v38, 5, v42
	v_cmp_gt_i32_e32 vcc, s33, v55
	v_add_u32_e32 v43, s7, v50
	v_ashrrev_i32_e32 v51, 5, v43
	v_cndmask_b32_e32 v42, v64, v38, vcc
	v_ashrrev_i32_e32 v43, 31, v42
	v_lshl_add_u64 v[42:43], v[42:43], 2, s[12:13]
	v_cmp_gt_i32_e32 vcc, s33, v50
	global_load_dword v65, v[42:43], off
	v_or_b32_e32 v40, 0x80, v55
	v_or_b32_e32 v41, 0xc0, v55
	v_and_b32_e32 v38, 16, v0
	s_add_u32 s4, s10, s4
	s_addc_u32 s5, s11, s5
	v_lshlrev_b32_e32 v38, 1, v38
	s_mov_b32 s43, 0xff7fffff
	s_waitcnt vmcnt(8) lgkmcnt(1)
	v_mfma_f32_16x16x16_bf16 v[42:45], v[6:7], v[18:19], 0
	v_cndmask_b32_e32 v6, v64, v51, vcc
	v_ashrrev_i32_e32 v7, 31, v6
	v_cmp_gt_i32_e32 vcc, s33, v40
	s_waitcnt vmcnt(6)
	v_mfma_f32_16x16x16_bf16 v[50:53], v[2:3], v[18:19], 0
	v_lshl_add_u64 v[2:3], v[6:7], 2, s[12:13]
	global_load_dword v66, v[2:3], off
	v_mfma_f32_16x16x16_bf16 v[6:9], v[8:9], v[20:21], v[42:45]
	v_mfma_f32_16x16x16_bf16 v[2:5], v[4:5], v[20:21], v[50:53]
	s_nop 1
	v_add_u32_e32 v42, s7, v40
	v_add_u32_e32 v43, s7, v41
	v_ashrrev_i32_e32 v42, 5, v42
	s_waitcnt lgkmcnt(0)
	v_mfma_f32_16x16x16_bf16 v[6:9], v[22:23], v[14:15], v[6:9]
	v_lshlrev_b32_e32 v45, 6, v36
	v_ashrrev_i32_e32 v43, 5, v43
	v_cndmask_b32_e32 v44, v64, v42, vcc
	s_waitcnt vmcnt(5)
	v_mfma_f32_16x16x16_bf16 v[56:59], v[10:11], v[18:19], 0
	v_cmp_gt_i32_e32 vcc, s33, v41
	v_lshl_add_u64 v[50:51], s[4:5], 0, v[38:39]
	v_lshl_or_b32 v38, v37, 10, v45
	v_mfma_f32_16x16x16_bf16 v[2:5], v[26:27], v[14:15], v[2:5]
	v_cndmask_b32_e32 v26, v64, v43, vcc
	v_ashrrev_i32_e32 v45, 31, v44
	v_ashrrev_i32_e32 v27, 31, v26
	v_mfma_f32_16x16x16_bf16 v[22:25], v[24:25], v[16:17], v[6:9]
	s_nop 2
	v_lshl_add_u64 v[6:7], v[44:45], 2, s[12:13]
	v_mfma_f32_16x16x16_bf16 v[10:13], v[12:13], v[20:21], v[56:59]
	v_lshl_add_u64 v[8:9], v[26:27], 2, s[12:13]
	global_load_dword v55, v[6:7], off
	s_nop 0
	global_load_dword v58, v[8:9], off
	s_waitcnt vmcnt(6)
	v_mfma_f32_16x16x16_bf16 v[40:43], v[30:31], v[14:15], v[10:13]
	s_nop 2
	v_lshl_add_u64 v[10:11], v[50:51], 0, v[38:39]
	v_mfma_f32_16x16x16_bf16 v[30:33], v[32:33], v[16:17], v[40:43]
	v_pk_mul_f32 v[50:51], s[6:7], v[24:25] op_sel_hi:[0,1]
	s_waitcnt vmcnt(2)
	v_mad_i64_i32 v[12:13], s[4:5], v66, s45, 0
	v_mfma_f32_16x16x16_bf16 v[38:41], v[46:47], v[18:19], 0
	v_lshl_add_u64 v[56:57], v[12:13], 1, v[10:11]
	v_pk_mul_f32 v[12:13], s[6:7], v[22:23] op_sel_hi:[0,1]
	s_nop 0
	v_pk_mul_f32 v[46:47], s[6:7], v[30:31] op_sel_hi:[0,1]
	v_mfma_f32_16x16x16_bf16 v[18:21], v[48:49], v[20:21], v[38:41]
	v_pk_mul_f32 v[48:49], s[6:7], v[32:33] op_sel_hi:[0,1]
	v_mfma_f32_16x16x16_bf16 v[18:21], v[60:61], v[14:15], v[18:21]
	v_mfma_f32_16x16x16_bf16 v[26:29], v[28:29], v[16:17], v[2:5]
	;; [unrolled: 1-line block ×3, first 2 shown]
	s_nop 1
	v_mad_i64_i32 v[2:3], s[4:5], v65, s45, 0
	s_nop 2
	v_pk_mul_f32 v[42:43], s[6:7], v[26:27] op_sel_hi:[0,1]
	v_pk_mul_f32 v[52:53], s[6:7], v[28:29] op_sel_hi:[0,1]
	v_lshl_add_u64 v[2:3], v[2:3], 1, v[10:11]
	v_pk_mul_f32 v[44:45], s[6:7], v[14:15] op_sel_hi:[0,1]
	v_and_b32_e32 v14, 0xc0, v0
	v_add_u32_e32 v14, s14, v14
	v_lshl_or_b32 v14, v1, 2, v14
	v_pk_mul_f32 v[38:39], s[6:7], v[16:17] op_sel_hi:[0,1]
	v_or_b32_e32 v17, 1, v14
	v_mov_b32_e32 v15, 0xff7fffff
	v_cmp_gt_i32_e64 s[4:5], s33, v14
	v_cmp_gt_i32_e64 s[34:35], s33, v17
	v_or_b32_e32 v18, 3, v14
	v_cndmask_b32_e64 v16, v15, v12, s[4:5]
	v_cndmask_b32_e64 v17, v15, v13, s[34:35]
	v_max3_f32 v16, v16, s43, v17
	v_or_b32_e32 v17, 2, v14
	v_cmp_gt_i32_e64 s[36:37], s33, v17
	v_cmp_gt_i32_e64 s[38:39], s33, v18
	global_load_dwordx4 v[6:9], v[2:3], off
	s_nop 0
	global_load_dwordx4 v[2:5], v[2:3], off offset:16
	v_cndmask_b32_e64 v17, v15, v50, s[36:37]
	v_cndmask_b32_e64 v18, v15, v51, s[38:39]
	v_max3_f32 v16, v16, v17, v18
	v_or_b32_e32 v17, 16, v14
	v_or_b32_e32 v18, 17, v14
	v_cmp_gt_i32_e64 s[24:25], s33, v17
	v_cmp_gt_i32_e64 s[26:27], s33, v18
	global_load_dwordx4 v[30:33], v[56:57], off
	global_load_dwordx4 v[26:29], v[56:57], off offset:16
	v_cndmask_b32_e64 v17, v15, v42, s[24:25]
	v_cndmask_b32_e64 v18, v15, v43, s[26:27]
	v_max3_f32 v16, v16, v17, v18
	v_or_b32_e32 v17, 18, v14
	v_or_b32_e32 v18, 19, v14
	v_cmp_gt_i32_e64 s[20:21], s33, v17
	v_cmp_gt_i32_e64 s[22:23], s33, v18
	s_nop 0
	v_cndmask_b32_e64 v17, v15, v52, s[20:21]
	v_cndmask_b32_e64 v18, v15, v53, s[22:23]
	v_max3_f32 v16, v16, v17, v18
	v_or_b32_e32 v17, 32, v14
	v_or_b32_e32 v18, 33, v14
	v_cmp_gt_i32_e64 s[16:17], s33, v17
	v_cmp_gt_i32_e64 s[18:19], s33, v18
	s_nop 0
	;; [unrolled: 8-line block ×4, first 2 shown]
	v_cndmask_b32_e64 v17, v15, v44, s[8:9]
	v_cndmask_b32_e64 v18, v15, v45, s[10:11]
	v_max3_f32 v16, v16, v17, v18
	v_or_b32_e32 v17, 50, v14
	v_or_b32_e32 v14, 51, v14
	v_cmp_gt_i32_e32 vcc, s33, v17
	v_cmp_gt_i32_e64 s[6:7], s33, v14
	s_nop 0
	v_cndmask_b32_e32 v17, v15, v38, vcc
	v_cndmask_b32_e64 v14, v15, v39, s[6:7]
	v_max3_f32 v16, v16, v17, v14
	v_mbcnt_lo_u32_b32 v14, -1, 0
	v_mbcnt_hi_u32_b32 v17, -1, v14
	v_and_b32_e32 v14, 64, v17
	v_add_u32_e32 v18, 64, v14
	v_xor_b32_e32 v14, 32, v17
	v_cmp_lt_i32_e64 s[40:41], v14, v18
	s_nop 1
	v_cndmask_b32_e64 v14, v17, v14, s[40:41]
	v_lshlrev_b32_e32 v59, 2, v14
	ds_bpermute_b32 v19, v59, v16
	s_waitcnt vmcnt(5)
	v_mad_i64_i32 v[14:15], s[40:41], v55, s45, 0
	v_lshl_add_u64 v[14:15], v[14:15], 1, v[10:11]
	s_waitcnt lgkmcnt(0)
	v_max_f32_e32 v19, v19, v19
	v_max_f32_e32 v16, v16, v19
	v_xor_b32_e32 v19, 16, v17
	v_cmp_lt_i32_e64 s[40:41], v19, v18
	s_nop 1
	v_cndmask_b32_e64 v17, v17, v19, s[40:41]
	v_lshlrev_b32_e32 v56, 2, v17
	ds_bpermute_b32 v17, v56, v16
	global_load_dwordx4 v[22:25], v[14:15], off
	global_load_dwordx4 v[18:21], v[14:15], off offset:16
	s_waitcnt vmcnt(6)
	v_mad_i64_i32 v[14:15], s[40:41], v58, s45, 0
	v_lshl_add_u64 v[10:11], v[14:15], 1, v[10:11]
	s_waitcnt lgkmcnt(0)
	v_max_f32_e32 v14, v17, v17
	v_max_f32_e32 v55, v16, v14
	v_sub_f32_e32 v12, v12, v55
	v_mul_f32_e32 v12, 0x3fb8aa3b, v12
	v_exp_f32_e32 v40, v12
	v_sub_f32_e32 v12, v13, v55
	v_mul_f32_e32 v12, 0x3fb8aa3b, v12
	v_exp_f32_e32 v41, v12
	global_load_dwordx4 v[14:17], v[10:11], off
	s_nop 0
	global_load_dwordx4 v[10:13], v[10:11], off offset:16
	v_sub_f32_e32 v50, v50, v55
	v_mul_f32_e32 v50, 0x3fb8aa3b, v50
	v_sub_f32_e32 v51, v51, v55
	v_exp_f32_e32 v50, v50
	v_mul_f32_e32 v51, 0x3fb8aa3b, v51
	v_sub_f32_e32 v42, v42, v55
	v_exp_f32_e32 v51, v51
	v_mul_f32_e32 v42, 0x3fb8aa3b, v42
	v_sub_f32_e32 v43, v43, v55
	v_cndmask_b32_e64 v40, 0, v40, s[4:5]
	v_exp_f32_e32 v42, v42
	v_mul_f32_e32 v43, 0x3fb8aa3b, v43
	v_sub_f32_e32 v52, v52, v55
	v_add_f32_e32 v57, 0, v40
	v_cndmask_b32_e64 v41, 0, v41, s[34:35]
	v_exp_f32_e32 v43, v43
	v_mul_f32_e32 v52, 0x3fb8aa3b, v52
	v_sub_f32_e32 v53, v53, v55
	v_add_f32_e32 v57, v57, v41
	;; [unrolled: 5-line block ×10, first 2 shown]
	v_cndmask_b32_e64 v48, 0, v48, s[12:13]
	v_exp_f32_e32 v38, v38
	v_mul_f32_e32 v39, 0x3fb8aa3b, v39
	v_add_f32_e32 v57, v57, v48
	v_cndmask_b32_e64 v49, 0, v49, s[14:15]
	v_exp_f32_e32 v39, v39
	v_add_f32_e32 v57, v57, v49
	v_cndmask_b32_e64 v44, 0, v44, s[8:9]
	v_add_f32_e32 v57, v57, v44
	v_cndmask_b32_e64 v45, 0, v45, s[10:11]
	v_add_f32_e32 v57, v57, v45
	v_cndmask_b32_e32 v38, 0, v38, vcc
	v_add_f32_e32 v57, v57, v38
	v_cndmask_b32_e64 v39, 0, v39, s[6:7]
	v_add_f32_e32 v57, v57, v39
	ds_bpermute_b32 v58, v59, v57
	v_cmp_gt_u32_e32 vcc, 16, v54
	s_waitcnt lgkmcnt(0)
	s_barrier
	v_add_f32_e32 v57, v57, v58
	ds_bpermute_b32 v58, v56, v57
	v_lshlrev_b32_e32 v56, 2, v36
	s_and_saveexec_b64 s[4:5], vcc
	s_cbranch_execz .LBB527_15
; %bb.14:
	s_waitcnt lgkmcnt(0)
	v_add_f32_e32 v54, v57, v58
	v_lshl_or_b32 v57, v37, 6, v56
	ds_write2st64_b32 v57, v55, v54 offset1:1
.LBB527_15:
	s_or_b64 exec, exec, s[4:5]
	s_load_dword s6, s[0:1], 0x94
	s_waitcnt lgkmcnt(0)
	s_barrier
	ds_read2_b32 v[58:59], v56 offset1:16
	ds_read2_b32 v[60:61], v56 offset0:32 offset1:48
	ds_read2_b32 v[62:63], v56 offset0:64 offset1:80
	;; [unrolled: 1-line block ×3, first 2 shown]
	s_movk_i32 s8, 0x7fff
	s_waitcnt lgkmcnt(3)
	v_max3_f32 v54, v58, s43, v59
	s_waitcnt lgkmcnt(2)
	v_max3_f32 v54, v54, v60, v61
	v_sub_f32_e32 v55, v58, v54
	v_mul_f32_e32 v55, 0x3fb8aa3b, v55
	v_exp_f32_e32 v58, v55
	v_sub_f32_e32 v55, v59, v54
	v_mul_f32_e32 v55, 0x3fb8aa3b, v55
	v_exp_f32_e32 v59, v55
	;; [unrolled: 3-line block ×4, first 2 shown]
	s_waitcnt lgkmcnt(1)
	v_fma_f32 v55, v58, v62, 0
	v_fmac_f32_e32 v55, v59, v63
	s_waitcnt lgkmcnt(0)
	v_fmac_f32_e32 v55, v60, v56
	v_fmac_f32_e32 v55, v61, v57
	v_add_f32_e32 v56, 0x358637bd, v55
	v_div_scale_f32 v57, s[4:5], v56, v56, 1.0
	v_rcp_f32_e32 v62, v57
	s_mov_b32 s9, 0x7060302
	s_barrier
	v_fma_f32 v63, -v57, v62, 1.0
	v_fmac_f32_e32 v62, v63, v62
	v_div_scale_f32 v63, vcc, 1.0, v56, 1.0
	v_mul_f32_e32 v64, v63, v62
	v_fma_f32 v65, -v57, v64, v63
	v_fmac_f32_e32 v64, v65, v62
	v_fma_f32 v57, -v57, v64, v63
	v_div_fmas_f32 v57, v57, v62, v64
	v_cmp_eq_u32_e32 vcc, 1, v37
	v_div_fixup_f32 v56, v57, v56, 1.0
	s_nop 0
	v_cndmask_b32_e32 v57, v58, v59, vcc
	v_cmp_eq_u32_e32 vcc, 2, v37
	s_mul_i32 s7, s29, 12
	s_nop 0
	v_cndmask_b32_e32 v57, v57, v60, vcc
	v_cmp_eq_u32_e32 vcc, 3, v37
	v_lshlrev_b32_e32 v37, 11, v37
	s_nop 0
	v_cndmask_b32_e32 v57, v57, v61, vcc
	v_mul_f32_e32 v56, v57, v56
	v_pk_mul_f32 v[40:41], v[56:57], v[40:41] op_sel_hi:[0,1]
	v_pk_mul_f32 v[50:51], v[56:57], v[50:51] op_sel_hi:[0,1]
	v_bfe_u32 v57, v41, 16, 1
	v_bfe_u32 v58, v40, 16, 1
	v_add3_u32 v40, v40, v58, s8
	v_add3_u32 v41, v41, v57, s8
	v_perm_b32 v58, v41, v40, s9
	v_bfe_u32 v40, v51, 16, 1
	v_bfe_u32 v41, v50, 16, 1
	v_add3_u32 v41, v50, v41, s8
	v_add3_u32 v40, v51, v40, s8
	v_perm_b32 v59, v40, v41, s9
	v_lshlrev_b32_e32 v40, 3, v1
	v_lshlrev_b32_e32 v41, 5, v36
	v_pk_mul_f32 v[42:43], v[56:57], v[42:43] op_sel_hi:[0,1]
	v_or3_b32 v40, v37, v41, v40
	v_pk_mul_f32 v[50:51], v[56:57], v[52:53] op_sel_hi:[0,1]
	v_bfe_u32 v37, v43, 16, 1
	v_bfe_u32 v52, v42, 16, 1
	v_add3_u32 v42, v42, v52, s8
	v_add3_u32 v37, v43, v37, s8
	v_perm_b32 v42, v37, v42, s9
	v_bfe_u32 v37, v51, 16, 1
	v_bfe_u32 v43, v50, 16, 1
	v_add3_u32 v43, v50, v43, s8
	v_add3_u32 v37, v51, v37, s8
	v_perm_b32 v43, v37, v43, s9
	v_pk_mul_f32 v[46:47], v[56:57], v[46:47] op_sel_hi:[0,1]
	ds_write2st64_b64 v40, v[58:59], v[42:43] offset1:1
	v_pk_mul_f32 v[42:43], v[56:57], v[48:49] op_sel_hi:[0,1]
	v_bfe_u32 v37, v47, 16, 1
	v_bfe_u32 v48, v46, 16, 1
	v_add3_u32 v46, v46, v48, s8
	v_add3_u32 v37, v47, v37, s8
	v_perm_b32 v46, v37, v46, s9
	v_bfe_u32 v37, v43, 16, 1
	v_bfe_u32 v47, v42, 16, 1
	v_add3_u32 v42, v42, v47, s8
	v_add3_u32 v37, v43, v37, s8
	v_perm_b32 v47, v37, v42, s9
	v_pk_mul_f32 v[42:43], v[56:57], v[44:45] op_sel_hi:[0,1]
	v_bfe_u32 v37, v43, 16, 1
	v_bfe_u32 v44, v42, 16, 1
	v_pk_mul_f32 v[38:39], v[56:57], v[38:39] op_sel_hi:[0,1]
	v_add3_u32 v42, v42, v44, s8
	v_add3_u32 v37, v43, v37, s8
	v_perm_b32 v42, v37, v42, s9
	v_bfe_u32 v37, v39, 16, 1
	v_bfe_u32 v43, v38, 16, 1
	v_add3_u32 v38, v38, v43, s8
	v_add3_u32 v37, v39, v37, s8
	v_perm_b32 v43, v37, v38, s9
	v_cmp_gt_u32_e32 vcc, 12, v0
	ds_write2st64_b64 v40, v[46:47], v[42:43] offset0:2 offset1:3
	s_and_saveexec_b64 s[4:5], vcc
	s_cbranch_execz .LBB527_17
; %bb.16:
	s_mov_b32 s43, 0
	v_mov_b32_e32 v37, 0
	v_lshl_add_u64 v[38:39], s[42:43], 0, v[36:37]
	v_mov_b32_e32 v36, s7
	v_mad_u64_u32 v[38:39], s[10:11], s2, v36, v[38:39]
	v_mov_b32_e32 v36, s28
	s_load_dwordx4 s[12:15], s[0:1], 0x58
	s_mul_i32 s3, s3, s7
	v_mad_u64_u32 v[36:37], s[10:11], v38, s6, v[36:37]
	v_add_u32_e32 v39, s3, v39
	v_mov_b32_e32 v38, v37
	v_mad_u64_u32 v[38:39], s[10:11], v39, s6, v[38:39]
	v_mov_b32_e32 v37, v38
	v_lshlrev_b64 v[36:37], 2, v[36:37]
	s_waitcnt lgkmcnt(0)
	v_lshl_add_u64 v[38:39], s[14:15], 0, v[36:37]
	v_lshl_add_u64 v[36:37], s[12:13], 0, v[36:37]
	global_store_dword v[38:39], v54, off
	global_store_dword v[36:37], v55, off
.LBB527_17:
	s_or_b64 exec, exec, s[4:5]
	v_lshl_or_b32 v41, v1, 9, v41
	s_waitcnt lgkmcnt(0)
	s_barrier
	ds_read_b128 v[36:39], v41
	ds_read_b128 v[42:45], v41 offset:16
	s_waitcnt vmcnt(7) lgkmcnt(1)
	v_mfma_f32_16x16x16_bf16 v[46:49], v[6:7], v[36:37], 0
	v_cmp_gt_u32_e32 vcc, 64, v0
	s_mov_b32 s3, 0
	s_and_b64 s[4:5], vcc, s[30:31]
	v_mfma_f32_16x16x16_bf16 v[6:9], v[8:9], v[38:39], v[46:49]
	s_waitcnt vmcnt(6) lgkmcnt(0)
	v_mfma_f32_16x16x16_bf16 v[6:9], v[2:3], v[42:43], v[6:9]
	v_mfma_f32_16x16x16_bf16 v[2:5], v[4:5], v[44:45], v[6:9]
	s_nop 5
	ds_read_b128 v[6:9], v41 offset:2048
	ds_read_b128 v[36:39], v41 offset:2064
	s_waitcnt vmcnt(5) lgkmcnt(1)
	v_mfma_f32_16x16x16_bf16 v[2:5], v[30:31], v[6:7], v[2:5]
	v_mfma_f32_16x16x16_bf16 v[2:5], v[32:33], v[8:9], v[2:5]
	s_waitcnt vmcnt(4) lgkmcnt(0)
	v_mfma_f32_16x16x16_bf16 v[2:5], v[26:27], v[36:37], v[2:5]
	v_mfma_f32_16x16x16_bf16 v[2:5], v[28:29], v[38:39], v[2:5]
	ds_read_b128 v[6:9], v41 offset:4096
	ds_read_b128 v[26:29], v41 offset:4112
	s_waitcnt vmcnt(3) lgkmcnt(1)
	v_mfma_f32_16x16x16_bf16 v[2:5], v[22:23], v[6:7], v[2:5]
	v_mfma_f32_16x16x16_bf16 v[2:5], v[24:25], v[8:9], v[2:5]
	s_waitcnt vmcnt(2) lgkmcnt(0)
	v_mfma_f32_16x16x16_bf16 v[2:5], v[18:19], v[26:27], v[2:5]
	v_mfma_f32_16x16x16_bf16 v[2:5], v[20:21], v[28:29], v[2:5]
	ds_read_b128 v[6:9], v41 offset:6144
	ds_read_b128 v[18:21], v41 offset:6160
	s_waitcnt lgkmcnt(0)
	s_barrier
	s_waitcnt vmcnt(1)
	v_mfma_f32_16x16x16_bf16 v[2:5], v[14:15], v[6:7], v[2:5]
	v_mfma_f32_16x16x16_bf16 v[2:5], v[16:17], v[8:9], v[2:5]
	s_waitcnt vmcnt(0)
	v_mfma_f32_16x16x16_bf16 v[2:5], v[10:11], v[18:19], v[2:5]
	v_mfma_f32_16x16x16_bf16 v[2:5], v[12:13], v[20:21], v[2:5]
	s_nop 6
	v_bfe_u32 v6, v3, 16, 1
	v_bfe_u32 v7, v2, 16, 1
	;; [unrolled: 1-line block ×4, first 2 shown]
	v_add3_u32 v2, v2, v7, s8
	v_add3_u32 v3, v3, v6, s8
	;; [unrolled: 1-line block ×4, first 2 shown]
	v_perm_b32 v2, v3, v2, s9
	v_perm_b32 v3, v5, v4, s9
	ds_write_b64 v40, v[2:3]
	s_waitcnt lgkmcnt(0)
	s_barrier
	s_and_saveexec_b64 s[8:9], s[4:5]
	s_cbranch_execz .LBB527_19
; %bb.18:
	s_load_dwordx2 s[0:1], s[0:1], 0x68
	s_lshl_b32 s6, s6, 6
	s_mul_i32 s2, s7, s2
	s_mul_hi_u32 s5, s2, s6
	s_mul_i32 s4, s2, s6
	s_lshl_b64 s[4:5], s[4:5], 1
	s_waitcnt lgkmcnt(0)
	s_add_u32 s4, s0, s4
	v_lshlrev_b32_e32 v2, 10, v0
	v_lshlrev_b32_e32 v0, 4, v0
	s_addc_u32 s5, s1, s5
	s_lshl_b32 s2, s28, 6
	v_and_b32_e32 v2, 0x1800, v2
	v_lshlrev_b32_e32 v3, 5, v1
	v_and_b32_e32 v0, 16, v0
	s_lshl_b64 s[0:1], s[2:3], 1
	v_or3_b32 v0, v2, v3, v0
	s_add_u32 s0, s4, s0
	ds_read_b128 v[2:5], v0
	ds_read_b128 v[6:9], v0 offset:128
	ds_read_b128 v[10:13], v0 offset:256
	s_addc_u32 s1, s5, s1
	v_or_b32_e32 v16, s42, v1
	v_lshl_add_u64 v[0:1], v[34:35], 1, s[0:1]
	v_mad_u64_u32 v[14:15], s[0:1], v16, s6, 0
	v_lshl_add_u64 v[14:15], v[14:15], 1, v[0:1]
	s_waitcnt lgkmcnt(2)
	global_store_dwordx4 v[14:15], v[2:5], off
	s_nop 1
	v_add_u32_e32 v2, 4, v16
	v_mad_u64_u32 v[2:3], s[0:1], v2, s6, 0
	v_lshl_add_u64 v[2:3], v[2:3], 1, v[0:1]
	s_waitcnt lgkmcnt(1)
	global_store_dwordx4 v[2:3], v[6:9], off
	v_add_u32_e32 v2, 8, v16
	v_mad_u64_u32 v[2:3], s[0:1], v2, s6, 0
	v_lshl_add_u64 v[0:1], v[2:3], 1, v[0:1]
	s_waitcnt lgkmcnt(0)
	global_store_dwordx4 v[0:1], v[10:13], off
.LBB527_19:
	s_endpgm
	.section	.rodata,"a",@progbits
	.p2align	6, 0x0
	.amdhsa_kernel _Z39paged_attention_ll4mi_QKV_mfma16_kernelI14__hip_bfloat16S0_LN4vllm18Fp8KVCacheDataTypeE0EhLi32ELi64ELi256ELb0ELi12EEvPKT_PKT0_S8_ifPKiSA_SA_iPKfiiiPfSD_PS3_PT2_iSC_SC_
		.amdhsa_group_segment_fixed_size 8192
		.amdhsa_private_segment_fixed_size 0
		.amdhsa_kernarg_size 400
		.amdhsa_user_sgpr_count 2
		.amdhsa_user_sgpr_dispatch_ptr 0
		.amdhsa_user_sgpr_queue_ptr 0
		.amdhsa_user_sgpr_kernarg_segment_ptr 1
		.amdhsa_user_sgpr_dispatch_id 0
		.amdhsa_user_sgpr_kernarg_preload_length 0
		.amdhsa_user_sgpr_kernarg_preload_offset 0
		.amdhsa_user_sgpr_private_segment_size 0
		.amdhsa_uses_dynamic_stack 0
		.amdhsa_enable_private_segment 0
		.amdhsa_system_sgpr_workgroup_id_x 1
		.amdhsa_system_sgpr_workgroup_id_y 1
		.amdhsa_system_sgpr_workgroup_id_z 1
		.amdhsa_system_sgpr_workgroup_info 0
		.amdhsa_system_vgpr_workitem_id 0
		.amdhsa_next_free_vgpr 67
		.amdhsa_next_free_sgpr 48
		.amdhsa_accum_offset 68
		.amdhsa_reserve_vcc 1
		.amdhsa_float_round_mode_32 0
		.amdhsa_float_round_mode_16_64 0
		.amdhsa_float_denorm_mode_32 3
		.amdhsa_float_denorm_mode_16_64 3
		.amdhsa_dx10_clamp 1
		.amdhsa_ieee_mode 1
		.amdhsa_fp16_overflow 0
		.amdhsa_tg_split 0
		.amdhsa_exception_fp_ieee_invalid_op 0
		.amdhsa_exception_fp_denorm_src 0
		.amdhsa_exception_fp_ieee_div_zero 0
		.amdhsa_exception_fp_ieee_overflow 0
		.amdhsa_exception_fp_ieee_underflow 0
		.amdhsa_exception_fp_ieee_inexact 0
		.amdhsa_exception_int_div_zero 0
	.end_amdhsa_kernel
	.section	.text._Z39paged_attention_ll4mi_QKV_mfma16_kernelI14__hip_bfloat16S0_LN4vllm18Fp8KVCacheDataTypeE0EhLi32ELi64ELi256ELb0ELi12EEvPKT_PKT0_S8_ifPKiSA_SA_iPKfiiiPfSD_PS3_PT2_iSC_SC_,"axG",@progbits,_Z39paged_attention_ll4mi_QKV_mfma16_kernelI14__hip_bfloat16S0_LN4vllm18Fp8KVCacheDataTypeE0EhLi32ELi64ELi256ELb0ELi12EEvPKT_PKT0_S8_ifPKiSA_SA_iPKfiiiPfSD_PS3_PT2_iSC_SC_,comdat
.Lfunc_end527:
	.size	_Z39paged_attention_ll4mi_QKV_mfma16_kernelI14__hip_bfloat16S0_LN4vllm18Fp8KVCacheDataTypeE0EhLi32ELi64ELi256ELb0ELi12EEvPKT_PKT0_S8_ifPKiSA_SA_iPKfiiiPfSD_PS3_PT2_iSC_SC_, .Lfunc_end527-_Z39paged_attention_ll4mi_QKV_mfma16_kernelI14__hip_bfloat16S0_LN4vllm18Fp8KVCacheDataTypeE0EhLi32ELi64ELi256ELb0ELi12EEvPKT_PKT0_S8_ifPKiSA_SA_iPKfiiiPfSD_PS3_PT2_iSC_SC_
                                        ; -- End function
	.section	.AMDGPU.csdata,"",@progbits
; Kernel info:
; codeLenInByte = 4176
; NumSgprs: 54
; NumVgprs: 67
; NumAgprs: 0
; TotalNumVgprs: 67
; ScratchSize: 0
; MemoryBound: 0
; FloatMode: 240
; IeeeMode: 1
; LDSByteSize: 8192 bytes/workgroup (compile time only)
; SGPRBlocks: 6
; VGPRBlocks: 8
; NumSGPRsForWavesPerEU: 54
; NumVGPRsForWavesPerEU: 67
; AccumOffset: 68
; Occupancy: 7
; WaveLimiterHint : 1
; COMPUTE_PGM_RSRC2:SCRATCH_EN: 0
; COMPUTE_PGM_RSRC2:USER_SGPR: 2
; COMPUTE_PGM_RSRC2:TRAP_HANDLER: 0
; COMPUTE_PGM_RSRC2:TGID_X_EN: 1
; COMPUTE_PGM_RSRC2:TGID_Y_EN: 1
; COMPUTE_PGM_RSRC2:TGID_Z_EN: 1
; COMPUTE_PGM_RSRC2:TIDIG_COMP_CNT: 0
; COMPUTE_PGM_RSRC3_GFX90A:ACCUM_OFFSET: 16
; COMPUTE_PGM_RSRC3_GFX90A:TG_SPLIT: 0
	.section	.text._Z39paged_attention_ll4mi_QKV_mfma16_kernelI14__hip_bfloat16S0_LN4vllm18Fp8KVCacheDataTypeE0EhLi32ELi64ELi256ELb0ELi13EEvPKT_PKT0_S8_ifPKiSA_SA_iPKfiiiPfSD_PS3_PT2_iSC_SC_,"axG",@progbits,_Z39paged_attention_ll4mi_QKV_mfma16_kernelI14__hip_bfloat16S0_LN4vllm18Fp8KVCacheDataTypeE0EhLi32ELi64ELi256ELb0ELi13EEvPKT_PKT0_S8_ifPKiSA_SA_iPKfiiiPfSD_PS3_PT2_iSC_SC_,comdat
	.protected	_Z39paged_attention_ll4mi_QKV_mfma16_kernelI14__hip_bfloat16S0_LN4vllm18Fp8KVCacheDataTypeE0EhLi32ELi64ELi256ELb0ELi13EEvPKT_PKT0_S8_ifPKiSA_SA_iPKfiiiPfSD_PS3_PT2_iSC_SC_ ; -- Begin function _Z39paged_attention_ll4mi_QKV_mfma16_kernelI14__hip_bfloat16S0_LN4vllm18Fp8KVCacheDataTypeE0EhLi32ELi64ELi256ELb0ELi13EEvPKT_PKT0_S8_ifPKiSA_SA_iPKfiiiPfSD_PS3_PT2_iSC_SC_
	.globl	_Z39paged_attention_ll4mi_QKV_mfma16_kernelI14__hip_bfloat16S0_LN4vllm18Fp8KVCacheDataTypeE0EhLi32ELi64ELi256ELb0ELi13EEvPKT_PKT0_S8_ifPKiSA_SA_iPKfiiiPfSD_PS3_PT2_iSC_SC_
	.p2align	8
	.type	_Z39paged_attention_ll4mi_QKV_mfma16_kernelI14__hip_bfloat16S0_LN4vllm18Fp8KVCacheDataTypeE0EhLi32ELi64ELi256ELb0ELi13EEvPKT_PKT0_S8_ifPKiSA_SA_iPKfiiiPfSD_PS3_PT2_iSC_SC_,@function
_Z39paged_attention_ll4mi_QKV_mfma16_kernelI14__hip_bfloat16S0_LN4vllm18Fp8KVCacheDataTypeE0EhLi32ELi64ELi256ELb0ELi13EEvPKT_PKT0_S8_ifPKiSA_SA_iPKfiiiPfSD_PS3_PT2_iSC_SC_: ; @_Z39paged_attention_ll4mi_QKV_mfma16_kernelI14__hip_bfloat16S0_LN4vllm18Fp8KVCacheDataTypeE0EhLi32ELi64ELi256ELb0ELi13EEvPKT_PKT0_S8_ifPKiSA_SA_iPKfiiiPfSD_PS3_PT2_iSC_SC_
; %bb.0:
	s_load_dwordx2 s[6:7], s[0:1], 0x30
	s_mov_b32 s28, s3
	s_mov_b64 s[10:11], 0
	s_waitcnt lgkmcnt(0)
	s_cmp_lg_u64 s[6:7], 0
	s_cselect_b64 s[8:9], -1, 0
	s_and_b64 vcc, exec, s[8:9]
	s_cbranch_vccz .LBB528_7
; %bb.1:
	s_add_i32 s12, s2, 1
	s_mov_b32 s13, 0
	s_lshl_b64 s[14:15], s[12:13], 2
	s_add_u32 s14, s6, s14
	s_mov_b32 s3, s13
	s_addc_u32 s15, s7, s15
	s_lshl_b64 s[12:13], s[2:3], 2
	s_add_u32 s12, s6, s12
	s_addc_u32 s13, s7, s13
	s_load_dword s5, s[14:15], 0x0
	s_load_dword s16, s[12:13], 0x0
	s_waitcnt lgkmcnt(0)
	s_sub_i32 s5, s5, s16
	s_cmp_eq_u32 s5, 1
	s_cselect_b64 s[12:13], -1, 0
	s_andn2_b64 vcc, exec, s[10:11]
	s_cbranch_vccnz .LBB528_3
.LBB528_2:
	s_mov_b32 s3, 0
	s_mov_b64 s[12:13], -1
.LBB528_3:
	s_andn2_b64 vcc, exec, s[12:13]
	s_cbranch_vccnz .LBB528_20
; %bb.4:
	s_load_dwordx2 s[12:13], s[0:1], 0x28
	s_lshl_b64 s[10:11], s[2:3], 2
	s_waitcnt lgkmcnt(0)
	s_add_u32 s12, s12, s10
	s_addc_u32 s13, s13, s11
	s_load_dword s33, s[12:13], 0x0
	s_lshl_b32 s14, s28, 8
	s_waitcnt lgkmcnt(0)
	s_cmp_ge_i32 s14, s33
	s_cbranch_scc1 .LBB528_20
; %bb.5:
	s_load_dwordx2 s[12:13], s[0:1], 0x20
	s_load_dword s5, s[0:1], 0x38
	s_add_i32 s15, s33, 31
	s_ashr_i32 s16, s15, 31
	v_and_b32_e32 v1, 0xcf, v0
	s_lshr_b32 s16, s16, 27
	v_add_u32_e32 v1, s14, v1
	s_add_i32 s15, s15, s16
	v_ashrrev_i32_e32 v2, 31, v1
	s_ashr_i32 s15, s15, 5
	v_lshrrev_b32_e32 v10, 27, v2
	s_add_i32 s15, s15, -1
	s_waitcnt lgkmcnt(0)
	s_mul_i32 s16, s2, s5
	s_mov_b32 s17, 0
	v_add_u32_e32 v2, v1, v10
	s_lshl_b64 s[16:17], s[16:17], 2
	v_ashrrev_i32_e32 v2, 5, v2
	v_mov_b32_e32 v11, s15
	v_cmp_gt_i32_e32 vcc, s33, v1
	s_add_u32 s12, s12, s16
	s_addc_u32 s13, s13, s17
	v_cndmask_b32_e32 v2, v11, v2, vcc
	v_ashrrev_i32_e32 v3, 31, v2
	v_lshl_add_u64 v[4:5], v[2:3], 2, s[12:13]
	v_or_b32_e32 v2, 16, v1
	v_add_u32_e32 v3, v2, v10
	v_ashrrev_i32_e32 v3, 5, v3
	v_cmp_gt_i32_e32 vcc, s33, v2
	s_nop 1
	v_cndmask_b32_e32 v2, v11, v3, vcc
	v_ashrrev_i32_e32 v3, 31, v2
	v_lshl_add_u64 v[6:7], v[2:3], 2, s[12:13]
	v_or_b32_e32 v2, 32, v1
	v_add_u32_e32 v3, v2, v10
	v_ashrrev_i32_e32 v3, 5, v3
	v_cmp_gt_i32_e32 vcc, s33, v2
	v_or_b32_e32 v1, 48, v1
	s_nop 0
	v_cndmask_b32_e32 v2, v11, v3, vcc
	v_ashrrev_i32_e32 v3, 31, v2
	v_lshl_add_u64 v[8:9], v[2:3], 2, s[12:13]
	v_add_u32_e32 v2, v1, v10
	v_ashrrev_i32_e32 v2, 5, v2
	v_cmp_gt_i32_e32 vcc, s33, v1
	s_nop 1
	v_cndmask_b32_e32 v2, v11, v2, vcc
	v_ashrrev_i32_e32 v3, 31, v2
	v_lshl_add_u64 v[12:13], v[2:3], 2, s[12:13]
	global_load_dword v3, v[4:5], off
	global_load_dword v2, v[6:7], off
	;; [unrolled: 1-line block ×4, first 2 shown]
	s_andn2_b64 vcc, exec, s[8:9]
	s_cbranch_vccnz .LBB528_8
; %bb.6:
	s_add_u32 s6, s6, s10
	s_addc_u32 s7, s7, s11
	s_load_dword s5, s[6:7], 0x0
	s_branch .LBB528_9
.LBB528_7:
	s_mov_b64 s[12:13], 0
	s_branch .LBB528_2
.LBB528_8:
	s_mov_b32 s5, s2
.LBB528_9:
	s_load_dwordx4 s[8:11], s[0:1], 0x8
	s_load_dwordx4 s[44:47], s[0:1], 0x48
	v_lshrrev_b32_e32 v1, 6, v0
	v_bfe_u32 v54, v0, 4, 2
	v_lshl_or_b32 v4, v1, 2, v54
	v_and_b32_e32 v36, 15, v0
	v_cmp_lt_u32_e32 vcc, 12, v4
	v_cmp_lt_u32_e64 s[6:7], 7, v36
	v_lshlrev_b32_e32 v34, 3, v36
	v_cmp_gt_u32_e64 s[30:31], 8, v36
	s_or_b64 s[6:7], s[6:7], vcc
	s_and_saveexec_b64 s[16:17], s[6:7]
	s_xor_b64 s[6:7], exec, s[16:17]
; %bb.10:
	v_mov_b32_e32 v35, 0
                                        ; implicit-def: $vgpr4
; %bb.11:
	s_or_saveexec_b64 s[6:7], s[6:7]
	v_and_b32_e32 v37, 63, v0
	s_mul_i32 s42, s4, 13
	s_xor_b64 exec, exec, s[6:7]
	s_cbranch_execz .LBB528_13
; %bb.12:
	s_load_dwordx2 s[16:17], s[0:1], 0x0
	s_waitcnt lgkmcnt(0)
	s_ashr_i32 s18, s44, 31
	s_mul_hi_u32 s19, s5, s44
	s_mul_i32 s18, s5, s18
	s_add_i32 s19, s19, s18
	s_mul_i32 s18, s5, s44
	s_lshl_b64 s[18:19], s[18:19], 1
	s_add_u32 s16, s16, s18
	v_add_lshl_u32 v6, v4, s42, 6
	s_addc_u32 s17, s17, s19
	v_ashrrev_i32_e32 v7, 31, v6
	v_mov_b32_e32 v35, 0
	v_lshl_add_u64 v[6:7], v[6:7], 1, s[16:17]
	v_lshlrev_b32_e32 v8, 1, v34
	v_mov_b32_e32 v9, v35
	v_lshl_add_u64 v[6:7], v[6:7], 0, v[8:9]
	global_load_dwordx4 v[6:9], v[6:7], off
	v_and_b32_e32 v5, 3, v0
	v_lshlrev_b32_e32 v11, 9, v36
	v_lshlrev_b32_e32 v4, 5, v4
	;; [unrolled: 1-line block ×3, first 2 shown]
	v_and_b32_e32 v11, 0x1800, v11
	v_or3_b32 v4, v11, v5, v4
	s_waitcnt vmcnt(0)
	ds_write_b128 v4, v[6:9]
.LBB528_13:
	s_or_b64 exec, exec, s[6:7]
	s_waitcnt lgkmcnt(0)
	s_mul_i32 s4, s4, s46
	s_mov_b32 s5, 0
	s_lshl_b64 s[4:5], s[4:5], 1
	s_add_u32 s8, s8, s4
	s_addc_u32 s9, s9, s5
	s_waitcnt vmcnt(3)
	v_mad_i64_i32 v[4:5], s[16:17], v3, s45, 0
	v_lshl_add_u64 v[4:5], v[4:5], 1, s[8:9]
	v_lshlrev_b64 v[12:13], 1, v[34:35]
	v_lshlrev_b32_e32 v38, 9, v54
	v_lshl_add_u64 v[4:5], v[4:5], 0, v[12:13]
	v_mov_b32_e32 v39, 0
	v_lshl_add_u64 v[14:15], v[4:5], 0, v[38:39]
	s_waitcnt vmcnt(2)
	v_mad_i64_i32 v[2:3], s[16:17], v2, s45, 0
	v_mov_b32_e32 v4, 0x100
	v_lshl_add_u64 v[2:3], v[2:3], 1, s[8:9]
	v_lshl_or_b32 v40, v36, 4, v4
	v_mov_b32_e32 v41, v39
	s_load_dword s29, s[0:1], 0x98
	s_load_dword s6, s[0:1], 0x1c
	s_waitcnt lgkmcnt(0)
	s_barrier
	v_lshl_add_u64 v[2:3], v[2:3], 0, v[40:41]
	global_load_dwordx4 v[6:9], v[14:15], off
	global_load_dwordx4 v[22:25], v[14:15], off offset:2048
	v_lshl_add_u64 v[18:19], v[2:3], 0, v[38:39]
	global_load_dwordx4 v[2:5], v[18:19], off
	global_load_dwordx4 v[26:29], v[18:19], off offset:2048
	s_waitcnt vmcnt(5)
	v_mad_i64_i32 v[10:11], s[16:17], v10, s45, 0
	v_lshl_add_u64 v[10:11], v[10:11], 1, s[8:9]
	v_lshl_add_u64 v[10:11], v[10:11], 0, v[12:13]
	;; [unrolled: 1-line block ×3, first 2 shown]
	global_load_dwordx4 v[10:13], v[20:21], off
	global_load_dwordx4 v[30:33], v[20:21], off offset:2048
	s_waitcnt vmcnt(6)
	v_mad_i64_i32 v[42:43], s[16:17], v16, s45, 0
	v_add_u32_e32 v17, -13, v36
	v_cmp_gt_u32_e32 vcc, 13, v36
	v_lshl_add_u64 v[42:43], v[42:43], 1, s[8:9]
	v_lshl_add_u64 v[40:41], v[42:43], 0, v[40:41]
	v_cndmask_b32_e32 v14, v17, v36, vcc
	v_lshl_add_u32 v14, v14, 5, v38
	v_lshl_add_u64 v[40:41], v[40:41], 0, v[38:39]
	ds_read_b128 v[18:21], v14
	ds_read_b128 v[14:17], v14 offset:2048
	global_load_dwordx4 v[46:49], v[40:41], off
	global_load_dwordx4 v[60:63], v[40:41], off offset:2048
	s_ashr_i32 s7, s14, 31
	v_and_or_b32 v55, v0, 48, s14
	s_lshr_b32 s7, s7, 27
	v_add_u32_e32 v42, s7, v55
	v_mov_b32_e32 v64, s15
	v_or_b32_e32 v50, 64, v55
	v_ashrrev_i32_e32 v38, 5, v42
	v_cmp_gt_i32_e32 vcc, s33, v55
	v_add_u32_e32 v43, s7, v50
	v_ashrrev_i32_e32 v51, 5, v43
	v_cndmask_b32_e32 v42, v64, v38, vcc
	v_ashrrev_i32_e32 v43, 31, v42
	v_lshl_add_u64 v[42:43], v[42:43], 2, s[12:13]
	v_cmp_gt_i32_e32 vcc, s33, v50
	global_load_dword v65, v[42:43], off
	v_or_b32_e32 v40, 0x80, v55
	v_or_b32_e32 v41, 0xc0, v55
	v_and_b32_e32 v38, 16, v0
	s_add_u32 s4, s10, s4
	s_addc_u32 s5, s11, s5
	v_lshlrev_b32_e32 v38, 1, v38
	s_mov_b32 s43, 0xff7fffff
	s_waitcnt vmcnt(8) lgkmcnt(1)
	v_mfma_f32_16x16x16_bf16 v[42:45], v[6:7], v[18:19], 0
	v_cndmask_b32_e32 v6, v64, v51, vcc
	v_ashrrev_i32_e32 v7, 31, v6
	v_cmp_gt_i32_e32 vcc, s33, v40
	s_waitcnt vmcnt(6)
	v_mfma_f32_16x16x16_bf16 v[50:53], v[2:3], v[18:19], 0
	v_lshl_add_u64 v[2:3], v[6:7], 2, s[12:13]
	global_load_dword v66, v[2:3], off
	v_mfma_f32_16x16x16_bf16 v[6:9], v[8:9], v[20:21], v[42:45]
	v_mfma_f32_16x16x16_bf16 v[2:5], v[4:5], v[20:21], v[50:53]
	s_nop 1
	v_add_u32_e32 v42, s7, v40
	v_add_u32_e32 v43, s7, v41
	v_ashrrev_i32_e32 v42, 5, v42
	s_waitcnt lgkmcnt(0)
	v_mfma_f32_16x16x16_bf16 v[6:9], v[22:23], v[14:15], v[6:9]
	v_lshlrev_b32_e32 v45, 6, v36
	v_ashrrev_i32_e32 v43, 5, v43
	v_cndmask_b32_e32 v44, v64, v42, vcc
	s_waitcnt vmcnt(5)
	v_mfma_f32_16x16x16_bf16 v[56:59], v[10:11], v[18:19], 0
	v_cmp_gt_i32_e32 vcc, s33, v41
	v_lshl_add_u64 v[50:51], s[4:5], 0, v[38:39]
	v_lshl_or_b32 v38, v1, 10, v45
	v_mfma_f32_16x16x16_bf16 v[2:5], v[26:27], v[14:15], v[2:5]
	v_cndmask_b32_e32 v26, v64, v43, vcc
	v_ashrrev_i32_e32 v45, 31, v44
	v_ashrrev_i32_e32 v27, 31, v26
	v_mfma_f32_16x16x16_bf16 v[22:25], v[24:25], v[16:17], v[6:9]
	s_nop 2
	v_lshl_add_u64 v[6:7], v[44:45], 2, s[12:13]
	v_mfma_f32_16x16x16_bf16 v[10:13], v[12:13], v[20:21], v[56:59]
	v_lshl_add_u64 v[8:9], v[26:27], 2, s[12:13]
	global_load_dword v55, v[6:7], off
	s_nop 0
	global_load_dword v58, v[8:9], off
	s_waitcnt vmcnt(6)
	v_mfma_f32_16x16x16_bf16 v[40:43], v[30:31], v[14:15], v[10:13]
	s_nop 2
	v_lshl_add_u64 v[10:11], v[50:51], 0, v[38:39]
	v_mfma_f32_16x16x16_bf16 v[30:33], v[32:33], v[16:17], v[40:43]
	v_pk_mul_f32 v[50:51], s[6:7], v[24:25] op_sel_hi:[0,1]
	s_waitcnt vmcnt(2)
	v_mad_i64_i32 v[12:13], s[4:5], v66, s45, 0
	v_mfma_f32_16x16x16_bf16 v[38:41], v[46:47], v[18:19], 0
	v_lshl_add_u64 v[56:57], v[12:13], 1, v[10:11]
	v_pk_mul_f32 v[12:13], s[6:7], v[22:23] op_sel_hi:[0,1]
	s_nop 0
	v_pk_mul_f32 v[46:47], s[6:7], v[30:31] op_sel_hi:[0,1]
	v_mfma_f32_16x16x16_bf16 v[18:21], v[48:49], v[20:21], v[38:41]
	v_pk_mul_f32 v[48:49], s[6:7], v[32:33] op_sel_hi:[0,1]
	v_mfma_f32_16x16x16_bf16 v[18:21], v[60:61], v[14:15], v[18:21]
	v_mfma_f32_16x16x16_bf16 v[26:29], v[28:29], v[16:17], v[2:5]
	;; [unrolled: 1-line block ×3, first 2 shown]
	s_nop 1
	v_mad_i64_i32 v[2:3], s[4:5], v65, s45, 0
	s_nop 2
	v_pk_mul_f32 v[42:43], s[6:7], v[26:27] op_sel_hi:[0,1]
	v_pk_mul_f32 v[52:53], s[6:7], v[28:29] op_sel_hi:[0,1]
	v_lshl_add_u64 v[2:3], v[2:3], 1, v[10:11]
	v_pk_mul_f32 v[44:45], s[6:7], v[14:15] op_sel_hi:[0,1]
	v_and_b32_e32 v14, 0xc0, v0
	v_add_u32_e32 v14, s14, v14
	v_lshl_or_b32 v14, v54, 2, v14
	v_pk_mul_f32 v[38:39], s[6:7], v[16:17] op_sel_hi:[0,1]
	v_or_b32_e32 v17, 1, v14
	v_mov_b32_e32 v15, 0xff7fffff
	v_cmp_gt_i32_e64 s[4:5], s33, v14
	v_cmp_gt_i32_e64 s[34:35], s33, v17
	v_or_b32_e32 v18, 3, v14
	v_cndmask_b32_e64 v16, v15, v12, s[4:5]
	v_cndmask_b32_e64 v17, v15, v13, s[34:35]
	v_max3_f32 v16, v16, s43, v17
	v_or_b32_e32 v17, 2, v14
	v_cmp_gt_i32_e64 s[36:37], s33, v17
	v_cmp_gt_i32_e64 s[38:39], s33, v18
	global_load_dwordx4 v[6:9], v[2:3], off
	s_nop 0
	global_load_dwordx4 v[2:5], v[2:3], off offset:16
	v_cndmask_b32_e64 v17, v15, v50, s[36:37]
	v_cndmask_b32_e64 v18, v15, v51, s[38:39]
	v_max3_f32 v16, v16, v17, v18
	v_or_b32_e32 v17, 16, v14
	v_or_b32_e32 v18, 17, v14
	v_cmp_gt_i32_e64 s[24:25], s33, v17
	v_cmp_gt_i32_e64 s[26:27], s33, v18
	global_load_dwordx4 v[30:33], v[56:57], off
	global_load_dwordx4 v[26:29], v[56:57], off offset:16
	v_cndmask_b32_e64 v17, v15, v42, s[24:25]
	v_cndmask_b32_e64 v18, v15, v43, s[26:27]
	v_max3_f32 v16, v16, v17, v18
	v_or_b32_e32 v17, 18, v14
	v_or_b32_e32 v18, 19, v14
	v_cmp_gt_i32_e64 s[20:21], s33, v17
	v_cmp_gt_i32_e64 s[22:23], s33, v18
	s_nop 0
	v_cndmask_b32_e64 v17, v15, v52, s[20:21]
	v_cndmask_b32_e64 v18, v15, v53, s[22:23]
	v_max3_f32 v16, v16, v17, v18
	v_or_b32_e32 v17, 32, v14
	v_or_b32_e32 v18, 33, v14
	v_cmp_gt_i32_e64 s[16:17], s33, v17
	v_cmp_gt_i32_e64 s[18:19], s33, v18
	s_nop 0
	;; [unrolled: 8-line block ×4, first 2 shown]
	v_cndmask_b32_e64 v17, v15, v44, s[8:9]
	v_cndmask_b32_e64 v18, v15, v45, s[10:11]
	v_max3_f32 v16, v16, v17, v18
	v_or_b32_e32 v17, 50, v14
	v_or_b32_e32 v14, 51, v14
	v_cmp_gt_i32_e32 vcc, s33, v17
	v_cmp_gt_i32_e64 s[6:7], s33, v14
	s_nop 0
	v_cndmask_b32_e32 v17, v15, v38, vcc
	v_cndmask_b32_e64 v14, v15, v39, s[6:7]
	v_max3_f32 v16, v16, v17, v14
	v_mbcnt_lo_u32_b32 v14, -1, 0
	v_mbcnt_hi_u32_b32 v17, -1, v14
	v_and_b32_e32 v14, 64, v17
	v_add_u32_e32 v18, 64, v14
	v_xor_b32_e32 v14, 32, v17
	v_cmp_lt_i32_e64 s[40:41], v14, v18
	s_nop 1
	v_cndmask_b32_e64 v14, v17, v14, s[40:41]
	v_lshlrev_b32_e32 v59, 2, v14
	ds_bpermute_b32 v19, v59, v16
	s_waitcnt vmcnt(5)
	v_mad_i64_i32 v[14:15], s[40:41], v55, s45, 0
	v_lshl_add_u64 v[14:15], v[14:15], 1, v[10:11]
	s_waitcnt lgkmcnt(0)
	v_max_f32_e32 v19, v19, v19
	v_max_f32_e32 v16, v16, v19
	v_xor_b32_e32 v19, 16, v17
	v_cmp_lt_i32_e64 s[40:41], v19, v18
	s_nop 1
	v_cndmask_b32_e64 v17, v17, v19, s[40:41]
	v_lshlrev_b32_e32 v57, 2, v17
	ds_bpermute_b32 v17, v57, v16
	global_load_dwordx4 v[22:25], v[14:15], off
	global_load_dwordx4 v[18:21], v[14:15], off offset:16
	s_waitcnt vmcnt(6)
	v_mad_i64_i32 v[14:15], s[40:41], v58, s45, 0
	v_lshl_add_u64 v[10:11], v[14:15], 1, v[10:11]
	s_waitcnt lgkmcnt(0)
	v_max_f32_e32 v14, v17, v17
	v_max_f32_e32 v55, v16, v14
	v_sub_f32_e32 v12, v12, v55
	v_mul_f32_e32 v12, 0x3fb8aa3b, v12
	v_exp_f32_e32 v40, v12
	v_sub_f32_e32 v12, v13, v55
	v_mul_f32_e32 v12, 0x3fb8aa3b, v12
	v_exp_f32_e32 v41, v12
	global_load_dwordx4 v[14:17], v[10:11], off
	s_nop 0
	global_load_dwordx4 v[10:13], v[10:11], off offset:16
	v_sub_f32_e32 v50, v50, v55
	v_mul_f32_e32 v50, 0x3fb8aa3b, v50
	v_sub_f32_e32 v51, v51, v55
	v_exp_f32_e32 v50, v50
	v_mul_f32_e32 v51, 0x3fb8aa3b, v51
	v_sub_f32_e32 v42, v42, v55
	v_exp_f32_e32 v51, v51
	v_mul_f32_e32 v42, 0x3fb8aa3b, v42
	v_sub_f32_e32 v43, v43, v55
	v_cndmask_b32_e64 v40, 0, v40, s[4:5]
	v_exp_f32_e32 v42, v42
	v_mul_f32_e32 v43, 0x3fb8aa3b, v43
	v_sub_f32_e32 v52, v52, v55
	v_add_f32_e32 v56, 0, v40
	v_cndmask_b32_e64 v41, 0, v41, s[34:35]
	v_exp_f32_e32 v43, v43
	v_mul_f32_e32 v52, 0x3fb8aa3b, v52
	v_sub_f32_e32 v53, v53, v55
	v_add_f32_e32 v56, v56, v41
	v_cndmask_b32_e64 v50, 0, v50, s[36:37]
	v_exp_f32_e32 v52, v52
	v_mul_f32_e32 v53, 0x3fb8aa3b, v53
	v_sub_f32_e32 v46, v46, v55
	v_add_f32_e32 v56, v56, v50
	v_cndmask_b32_e64 v51, 0, v51, s[38:39]
	v_exp_f32_e32 v53, v53
	v_mul_f32_e32 v46, 0x3fb8aa3b, v46
	v_sub_f32_e32 v47, v47, v55
	v_add_f32_e32 v56, v56, v51
	v_cndmask_b32_e64 v42, 0, v42, s[24:25]
	v_exp_f32_e32 v46, v46
	v_mul_f32_e32 v47, 0x3fb8aa3b, v47
	v_sub_f32_e32 v48, v48, v55
	v_add_f32_e32 v56, v56, v42
	v_cndmask_b32_e64 v43, 0, v43, s[26:27]
	v_exp_f32_e32 v47, v47
	v_mul_f32_e32 v48, 0x3fb8aa3b, v48
	v_sub_f32_e32 v49, v49, v55
	v_add_f32_e32 v56, v56, v43
	v_cndmask_b32_e64 v52, 0, v52, s[20:21]
	v_exp_f32_e32 v48, v48
	v_mul_f32_e32 v49, 0x3fb8aa3b, v49
	v_sub_f32_e32 v44, v44, v55
	v_add_f32_e32 v56, v56, v52
	v_cndmask_b32_e64 v53, 0, v53, s[22:23]
	v_exp_f32_e32 v49, v49
	v_mul_f32_e32 v44, 0x3fb8aa3b, v44
	v_sub_f32_e32 v45, v45, v55
	v_add_f32_e32 v56, v56, v53
	v_cndmask_b32_e64 v46, 0, v46, s[16:17]
	v_exp_f32_e32 v44, v44
	v_mul_f32_e32 v45, 0x3fb8aa3b, v45
	v_sub_f32_e32 v38, v38, v55
	v_add_f32_e32 v56, v56, v46
	v_cndmask_b32_e64 v47, 0, v47, s[18:19]
	v_exp_f32_e32 v45, v45
	v_mul_f32_e32 v38, 0x3fb8aa3b, v38
	v_sub_f32_e32 v39, v39, v55
	v_add_f32_e32 v56, v56, v47
	v_cndmask_b32_e64 v48, 0, v48, s[12:13]
	v_exp_f32_e32 v38, v38
	v_mul_f32_e32 v39, 0x3fb8aa3b, v39
	v_add_f32_e32 v56, v56, v48
	v_cndmask_b32_e64 v49, 0, v49, s[14:15]
	v_exp_f32_e32 v39, v39
	v_add_f32_e32 v56, v56, v49
	v_cndmask_b32_e64 v44, 0, v44, s[8:9]
	v_add_f32_e32 v56, v56, v44
	v_cndmask_b32_e64 v45, 0, v45, s[10:11]
	v_add_f32_e32 v56, v56, v45
	v_cndmask_b32_e32 v38, 0, v38, vcc
	v_add_f32_e32 v56, v56, v38
	v_cndmask_b32_e64 v39, 0, v39, s[6:7]
	v_add_f32_e32 v56, v56, v39
	ds_bpermute_b32 v58, v59, v56
	v_cmp_gt_u32_e64 s[6:7], 16, v37
	v_lshlrev_b32_e32 v37, 2, v36
	s_waitcnt lgkmcnt(0)
	s_barrier
	v_add_f32_e32 v56, v56, v58
	ds_bpermute_b32 v57, v57, v56
	s_waitcnt lgkmcnt(0)
	s_and_saveexec_b64 s[4:5], s[6:7]
	s_cbranch_execz .LBB528_15
; %bb.14:
	v_add_f32_e32 v56, v56, v57
	v_lshl_or_b32 v57, v1, 6, v37
	ds_write2st64_b32 v57, v55, v56 offset1:1
.LBB528_15:
	s_or_b64 exec, exec, s[4:5]
	s_load_dword s8, s[0:1], 0x94
	s_waitcnt lgkmcnt(0)
	s_barrier
	ds_read2_b32 v[56:57], v37 offset1:16
	ds_read2_b32 v[58:59], v37 offset0:32 offset1:48
	ds_read2_b32 v[60:61], v37 offset0:64 offset1:80
	;; [unrolled: 1-line block ×3, first 2 shown]
	s_movk_i32 s10, 0x7fff
	s_waitcnt lgkmcnt(3)
	v_max3_f32 v55, v56, s43, v57
	s_waitcnt lgkmcnt(2)
	v_max3_f32 v55, v55, v58, v59
	v_sub_f32_e32 v56, v56, v55
	v_mul_f32_e32 v56, 0x3fb8aa3b, v56
	v_exp_f32_e32 v64, v56
	v_sub_f32_e32 v56, v57, v55
	v_mul_f32_e32 v56, 0x3fb8aa3b, v56
	v_exp_f32_e32 v57, v56
	v_sub_f32_e32 v56, v58, v55
	v_mul_f32_e32 v56, 0x3fb8aa3b, v56
	v_sub_f32_e32 v37, v59, v55
	v_exp_f32_e32 v58, v56
	v_mul_f32_e32 v37, 0x3fb8aa3b, v37
	v_exp_f32_e32 v37, v37
	s_waitcnt lgkmcnt(1)
	v_fma_f32 v56, v64, v60, 0
	v_fmac_f32_e32 v56, v57, v61
	s_waitcnt lgkmcnt(0)
	v_fmac_f32_e32 v56, v58, v62
	v_fmac_f32_e32 v56, v37, v63
	v_add_f32_e32 v59, 0x358637bd, v56
	v_div_scale_f32 v60, s[4:5], v59, v59, 1.0
	v_rcp_f32_e32 v61, v60
	s_mov_b32 s11, 0x7060302
	s_barrier
	v_fma_f32 v62, -v60, v61, 1.0
	v_fmac_f32_e32 v61, v62, v61
	v_div_scale_f32 v62, vcc, 1.0, v59, 1.0
	v_mul_f32_e32 v63, v62, v61
	v_fma_f32 v65, -v60, v63, v62
	v_fmac_f32_e32 v63, v65, v61
	v_fma_f32 v60, -v60, v63, v62
	v_div_fmas_f32 v60, v60, v61, v63
	v_cmp_eq_u32_e32 vcc, 1, v1
	v_div_fixup_f32 v59, v60, v59, 1.0
	s_nop 0
	v_cndmask_b32_e32 v57, v64, v57, vcc
	v_cmp_eq_u32_e32 vcc, 2, v1
	s_mul_i32 s9, s29, 13
	s_nop 0
	v_cndmask_b32_e32 v57, v57, v58, vcc
	v_cmp_eq_u32_e32 vcc, 3, v1
	v_lshlrev_b32_e32 v1, 11, v1
	s_nop 0
	v_cndmask_b32_e32 v37, v57, v37, vcc
	v_mul_f32_e32 v58, v37, v59
	v_pk_mul_f32 v[40:41], v[58:59], v[40:41] op_sel_hi:[0,1]
	v_bfe_u32 v37, v41, 16, 1
	v_bfe_u32 v57, v40, 16, 1
	v_pk_mul_f32 v[50:51], v[58:59], v[50:51] op_sel_hi:[0,1]
	v_add3_u32 v40, v40, v57, s10
	v_add3_u32 v37, v41, v37, s10
	v_perm_b32 v60, v37, v40, s11
	v_bfe_u32 v37, v51, 16, 1
	v_bfe_u32 v40, v50, 16, 1
	v_add3_u32 v40, v50, v40, s10
	v_add3_u32 v37, v51, v37, s10
	v_perm_b32 v61, v37, v40, s11
	v_lshlrev_b32_e32 v37, 3, v54
	v_lshlrev_b32_e32 v40, 5, v36
	v_pk_mul_f32 v[42:43], v[58:59], v[42:43] op_sel_hi:[0,1]
	v_or3_b32 v1, v1, v40, v37
	v_bfe_u32 v37, v43, 16, 1
	v_bfe_u32 v41, v42, 16, 1
	v_pk_mul_f32 v[50:51], v[58:59], v[52:53] op_sel_hi:[0,1]
	v_add3_u32 v41, v42, v41, s10
	v_add3_u32 v37, v43, v37, s10
	v_perm_b32 v42, v37, v41, s11
	v_bfe_u32 v37, v51, 16, 1
	v_bfe_u32 v41, v50, 16, 1
	v_add3_u32 v41, v50, v41, s10
	v_add3_u32 v37, v51, v37, s10
	v_pk_mul_f32 v[46:47], v[58:59], v[46:47] op_sel_hi:[0,1]
	v_perm_b32 v43, v37, v41, s11
	v_bfe_u32 v37, v47, 16, 1
	v_bfe_u32 v41, v46, 16, 1
	ds_write2st64_b64 v1, v[60:61], v[42:43] offset1:1
	v_pk_mul_f32 v[42:43], v[58:59], v[48:49] op_sel_hi:[0,1]
	v_add3_u32 v41, v46, v41, s10
	v_add3_u32 v37, v47, v37, s10
	v_perm_b32 v46, v37, v41, s11
	v_bfe_u32 v37, v43, 16, 1
	v_bfe_u32 v41, v42, 16, 1
	v_add3_u32 v41, v42, v41, s10
	v_add3_u32 v37, v43, v37, s10
	v_pk_mul_f32 v[42:43], v[58:59], v[44:45] op_sel_hi:[0,1]
	v_perm_b32 v47, v37, v41, s11
	v_bfe_u32 v37, v43, 16, 1
	v_bfe_u32 v41, v42, 16, 1
	v_pk_mul_f32 v[38:39], v[58:59], v[38:39] op_sel_hi:[0,1]
	v_add3_u32 v41, v42, v41, s10
	v_add3_u32 v37, v43, v37, s10
	v_perm_b32 v42, v37, v41, s11
	v_bfe_u32 v37, v39, 16, 1
	v_bfe_u32 v41, v38, 16, 1
	v_add3_u32 v38, v38, v41, s10
	v_add3_u32 v37, v39, v37, s10
	v_perm_b32 v43, v37, v38, s11
	v_cmp_gt_u32_e32 vcc, 13, v0
	ds_write2st64_b64 v1, v[46:47], v[42:43] offset0:2 offset1:3
	s_and_saveexec_b64 s[4:5], vcc
	s_cbranch_execz .LBB528_17
; %bb.16:
	s_mov_b32 s43, 0
	v_mov_b32_e32 v37, 0
	v_lshl_add_u64 v[38:39], s[42:43], 0, v[36:37]
	v_mov_b32_e32 v36, s9
	v_mad_u64_u32 v[38:39], s[16:17], s2, v36, v[38:39]
	v_mov_b32_e32 v36, s28
	s_load_dwordx4 s[12:15], s[0:1], 0x58
	s_mul_i32 s3, s3, s9
	v_mad_u64_u32 v[36:37], s[16:17], v38, s8, v[36:37]
	v_add_u32_e32 v39, s3, v39
	v_mov_b32_e32 v38, v37
	v_mad_u64_u32 v[38:39], s[16:17], v39, s8, v[38:39]
	v_mov_b32_e32 v37, v38
	v_lshlrev_b64 v[36:37], 2, v[36:37]
	s_waitcnt lgkmcnt(0)
	v_lshl_add_u64 v[38:39], s[14:15], 0, v[36:37]
	v_lshl_add_u64 v[36:37], s[12:13], 0, v[36:37]
	global_store_dword v[38:39], v55, off
	global_store_dword v[36:37], v56, off
.LBB528_17:
	s_or_b64 exec, exec, s[4:5]
	v_lshl_or_b32 v48, v54, 9, v40
	s_waitcnt lgkmcnt(0)
	s_barrier
	ds_read_b128 v[36:39], v48
	ds_read_b128 v[40:43], v48 offset:16
	s_waitcnt vmcnt(7) lgkmcnt(1)
	v_mfma_f32_16x16x16_bf16 v[44:47], v[6:7], v[36:37], 0
	v_cmp_gt_u32_e32 vcc, 64, v0
	s_mov_b32 s3, 0
	s_and_b64 s[4:5], vcc, s[30:31]
	v_mfma_f32_16x16x16_bf16 v[6:9], v[8:9], v[38:39], v[44:47]
	s_waitcnt vmcnt(6) lgkmcnt(0)
	v_mfma_f32_16x16x16_bf16 v[6:9], v[2:3], v[40:41], v[6:9]
	v_mfma_f32_16x16x16_bf16 v[2:5], v[4:5], v[42:43], v[6:9]
	s_nop 5
	ds_read_b128 v[6:9], v48 offset:2048
	ds_read_b128 v[36:39], v48 offset:2064
	s_waitcnt vmcnt(5) lgkmcnt(1)
	v_mfma_f32_16x16x16_bf16 v[2:5], v[30:31], v[6:7], v[2:5]
	v_mfma_f32_16x16x16_bf16 v[2:5], v[32:33], v[8:9], v[2:5]
	s_waitcnt vmcnt(4) lgkmcnt(0)
	v_mfma_f32_16x16x16_bf16 v[2:5], v[26:27], v[36:37], v[2:5]
	v_mfma_f32_16x16x16_bf16 v[2:5], v[28:29], v[38:39], v[2:5]
	ds_read_b128 v[6:9], v48 offset:4096
	ds_read_b128 v[26:29], v48 offset:4112
	s_waitcnt vmcnt(3) lgkmcnt(1)
	v_mfma_f32_16x16x16_bf16 v[2:5], v[22:23], v[6:7], v[2:5]
	v_mfma_f32_16x16x16_bf16 v[2:5], v[24:25], v[8:9], v[2:5]
	s_waitcnt vmcnt(2) lgkmcnt(0)
	v_mfma_f32_16x16x16_bf16 v[2:5], v[18:19], v[26:27], v[2:5]
	v_mfma_f32_16x16x16_bf16 v[2:5], v[20:21], v[28:29], v[2:5]
	ds_read_b128 v[6:9], v48 offset:6144
	ds_read_b128 v[18:21], v48 offset:6160
	s_waitcnt lgkmcnt(0)
	s_barrier
	s_waitcnt vmcnt(1)
	v_mfma_f32_16x16x16_bf16 v[2:5], v[14:15], v[6:7], v[2:5]
	v_mfma_f32_16x16x16_bf16 v[2:5], v[16:17], v[8:9], v[2:5]
	s_waitcnt vmcnt(0)
	v_mfma_f32_16x16x16_bf16 v[2:5], v[10:11], v[18:19], v[2:5]
	v_mfma_f32_16x16x16_bf16 v[2:5], v[12:13], v[20:21], v[2:5]
	s_nop 6
	v_bfe_u32 v6, v3, 16, 1
	v_bfe_u32 v7, v2, 16, 1
	;; [unrolled: 1-line block ×4, first 2 shown]
	v_add3_u32 v2, v2, v7, s10
	v_add3_u32 v3, v3, v6, s10
	;; [unrolled: 1-line block ×4, first 2 shown]
	v_perm_b32 v2, v3, v2, s11
	v_perm_b32 v3, v5, v4, s11
	ds_write_b64 v1, v[2:3]
	s_waitcnt lgkmcnt(0)
	s_barrier
	s_and_saveexec_b64 s[10:11], s[4:5]
	s_cbranch_execz .LBB528_20
; %bb.18:
	s_load_dwordx2 s[4:5], s[0:1], 0x68
	s_lshl_b32 s0, s8, 6
	s_mul_i32 s1, s9, s2
	s_mul_hi_u32 s9, s1, s0
	s_mul_i32 s8, s1, s0
	v_lshlrev_b32_e32 v1, 10, v0
	v_lshlrev_b32_e32 v0, 4, v0
	s_lshl_b64 s[8:9], s[8:9], 1
	v_and_b32_e32 v1, 0x1800, v1
	v_lshlrev_b32_e32 v2, 5, v54
	v_and_b32_e32 v0, 16, v0
	s_waitcnt lgkmcnt(0)
	s_add_u32 s1, s4, s8
	v_or3_b32 v2, v1, v2, v0
	s_addc_u32 s4, s5, s9
	s_lshl_b32 s2, s28, 6
	ds_read_b128 v[4:7], v2 offset:256
	s_lshl_b64 s[2:3], s[2:3], 1
	ds_read_b128 v[8:11], v2 offset:128
	ds_read_b128 v[12:15], v2
	s_add_u32 s2, s1, s2
	s_addc_u32 s3, s4, s3
	v_add_u32_e32 v3, s42, v54
	v_lshl_add_u64 v[0:1], v[34:35], 1, s[2:3]
	v_mad_u64_u32 v[16:17], s[2:3], v3, s0, 0
	v_lshl_add_u64 v[16:17], v[16:17], 1, v[0:1]
	s_waitcnt lgkmcnt(0)
	global_store_dwordx4 v[16:17], v[12:15], off
	s_nop 1
	v_add_u32_e32 v12, 4, v3
	v_mad_u64_u32 v[12:13], s[2:3], v12, s0, 0
	v_lshl_add_u64 v[12:13], v[12:13], 1, v[0:1]
	v_add_u32_e32 v3, 8, v3
	global_store_dwordx4 v[12:13], v[8:11], off
	s_nop 1
	v_mad_u64_u32 v[8:9], s[2:3], v3, s0, 0
	v_lshl_add_u64 v[8:9], v[8:9], 1, v[0:1]
	global_store_dwordx4 v[8:9], v[4:7], off
	s_and_b64 exec, exec, s[6:7]
	s_cbranch_execz .LBB528_20
; %bb.19:
	ds_read_b128 v[2:5], v2 offset:384
	v_add3_u32 v6, s42, v54, 12
	v_mad_u64_u32 v[6:7], s[0:1], v6, s0, 0
	v_lshl_add_u64 v[0:1], v[6:7], 1, v[0:1]
	s_waitcnt lgkmcnt(0)
	global_store_dwordx4 v[0:1], v[2:5], off
.LBB528_20:
	s_endpgm
	.section	.rodata,"a",@progbits
	.p2align	6, 0x0
	.amdhsa_kernel _Z39paged_attention_ll4mi_QKV_mfma16_kernelI14__hip_bfloat16S0_LN4vllm18Fp8KVCacheDataTypeE0EhLi32ELi64ELi256ELb0ELi13EEvPKT_PKT0_S8_ifPKiSA_SA_iPKfiiiPfSD_PS3_PT2_iSC_SC_
		.amdhsa_group_segment_fixed_size 8192
		.amdhsa_private_segment_fixed_size 0
		.amdhsa_kernarg_size 400
		.amdhsa_user_sgpr_count 2
		.amdhsa_user_sgpr_dispatch_ptr 0
		.amdhsa_user_sgpr_queue_ptr 0
		.amdhsa_user_sgpr_kernarg_segment_ptr 1
		.amdhsa_user_sgpr_dispatch_id 0
		.amdhsa_user_sgpr_kernarg_preload_length 0
		.amdhsa_user_sgpr_kernarg_preload_offset 0
		.amdhsa_user_sgpr_private_segment_size 0
		.amdhsa_uses_dynamic_stack 0
		.amdhsa_enable_private_segment 0
		.amdhsa_system_sgpr_workgroup_id_x 1
		.amdhsa_system_sgpr_workgroup_id_y 1
		.amdhsa_system_sgpr_workgroup_id_z 1
		.amdhsa_system_sgpr_workgroup_info 0
		.amdhsa_system_vgpr_workitem_id 0
		.amdhsa_next_free_vgpr 67
		.amdhsa_next_free_sgpr 48
		.amdhsa_accum_offset 68
		.amdhsa_reserve_vcc 1
		.amdhsa_float_round_mode_32 0
		.amdhsa_float_round_mode_16_64 0
		.amdhsa_float_denorm_mode_32 3
		.amdhsa_float_denorm_mode_16_64 3
		.amdhsa_dx10_clamp 1
		.amdhsa_ieee_mode 1
		.amdhsa_fp16_overflow 0
		.amdhsa_tg_split 0
		.amdhsa_exception_fp_ieee_invalid_op 0
		.amdhsa_exception_fp_denorm_src 0
		.amdhsa_exception_fp_ieee_div_zero 0
		.amdhsa_exception_fp_ieee_overflow 0
		.amdhsa_exception_fp_ieee_underflow 0
		.amdhsa_exception_fp_ieee_inexact 0
		.amdhsa_exception_int_div_zero 0
	.end_amdhsa_kernel
	.section	.text._Z39paged_attention_ll4mi_QKV_mfma16_kernelI14__hip_bfloat16S0_LN4vllm18Fp8KVCacheDataTypeE0EhLi32ELi64ELi256ELb0ELi13EEvPKT_PKT0_S8_ifPKiSA_SA_iPKfiiiPfSD_PS3_PT2_iSC_SC_,"axG",@progbits,_Z39paged_attention_ll4mi_QKV_mfma16_kernelI14__hip_bfloat16S0_LN4vllm18Fp8KVCacheDataTypeE0EhLi32ELi64ELi256ELb0ELi13EEvPKT_PKT0_S8_ifPKiSA_SA_iPKfiiiPfSD_PS3_PT2_iSC_SC_,comdat
.Lfunc_end528:
	.size	_Z39paged_attention_ll4mi_QKV_mfma16_kernelI14__hip_bfloat16S0_LN4vllm18Fp8KVCacheDataTypeE0EhLi32ELi64ELi256ELb0ELi13EEvPKT_PKT0_S8_ifPKiSA_SA_iPKfiiiPfSD_PS3_PT2_iSC_SC_, .Lfunc_end528-_Z39paged_attention_ll4mi_QKV_mfma16_kernelI14__hip_bfloat16S0_LN4vllm18Fp8KVCacheDataTypeE0EhLi32ELi64ELi256ELb0ELi13EEvPKT_PKT0_S8_ifPKiSA_SA_iPKfiiiPfSD_PS3_PT2_iSC_SC_
                                        ; -- End function
	.section	.AMDGPU.csdata,"",@progbits
; Kernel info:
; codeLenInByte = 4224
; NumSgprs: 54
; NumVgprs: 67
; NumAgprs: 0
; TotalNumVgprs: 67
; ScratchSize: 0
; MemoryBound: 0
; FloatMode: 240
; IeeeMode: 1
; LDSByteSize: 8192 bytes/workgroup (compile time only)
; SGPRBlocks: 6
; VGPRBlocks: 8
; NumSGPRsForWavesPerEU: 54
; NumVGPRsForWavesPerEU: 67
; AccumOffset: 68
; Occupancy: 7
; WaveLimiterHint : 1
; COMPUTE_PGM_RSRC2:SCRATCH_EN: 0
; COMPUTE_PGM_RSRC2:USER_SGPR: 2
; COMPUTE_PGM_RSRC2:TRAP_HANDLER: 0
; COMPUTE_PGM_RSRC2:TGID_X_EN: 1
; COMPUTE_PGM_RSRC2:TGID_Y_EN: 1
; COMPUTE_PGM_RSRC2:TGID_Z_EN: 1
; COMPUTE_PGM_RSRC2:TIDIG_COMP_CNT: 0
; COMPUTE_PGM_RSRC3_GFX90A:ACCUM_OFFSET: 16
; COMPUTE_PGM_RSRC3_GFX90A:TG_SPLIT: 0
	.section	.text._Z39paged_attention_ll4mi_QKV_mfma16_kernelI14__hip_bfloat16S0_LN4vllm18Fp8KVCacheDataTypeE0EhLi32ELi64ELi256ELb0ELi14EEvPKT_PKT0_S8_ifPKiSA_SA_iPKfiiiPfSD_PS3_PT2_iSC_SC_,"axG",@progbits,_Z39paged_attention_ll4mi_QKV_mfma16_kernelI14__hip_bfloat16S0_LN4vllm18Fp8KVCacheDataTypeE0EhLi32ELi64ELi256ELb0ELi14EEvPKT_PKT0_S8_ifPKiSA_SA_iPKfiiiPfSD_PS3_PT2_iSC_SC_,comdat
	.protected	_Z39paged_attention_ll4mi_QKV_mfma16_kernelI14__hip_bfloat16S0_LN4vllm18Fp8KVCacheDataTypeE0EhLi32ELi64ELi256ELb0ELi14EEvPKT_PKT0_S8_ifPKiSA_SA_iPKfiiiPfSD_PS3_PT2_iSC_SC_ ; -- Begin function _Z39paged_attention_ll4mi_QKV_mfma16_kernelI14__hip_bfloat16S0_LN4vllm18Fp8KVCacheDataTypeE0EhLi32ELi64ELi256ELb0ELi14EEvPKT_PKT0_S8_ifPKiSA_SA_iPKfiiiPfSD_PS3_PT2_iSC_SC_
	.globl	_Z39paged_attention_ll4mi_QKV_mfma16_kernelI14__hip_bfloat16S0_LN4vllm18Fp8KVCacheDataTypeE0EhLi32ELi64ELi256ELb0ELi14EEvPKT_PKT0_S8_ifPKiSA_SA_iPKfiiiPfSD_PS3_PT2_iSC_SC_
	.p2align	8
	.type	_Z39paged_attention_ll4mi_QKV_mfma16_kernelI14__hip_bfloat16S0_LN4vllm18Fp8KVCacheDataTypeE0EhLi32ELi64ELi256ELb0ELi14EEvPKT_PKT0_S8_ifPKiSA_SA_iPKfiiiPfSD_PS3_PT2_iSC_SC_,@function
_Z39paged_attention_ll4mi_QKV_mfma16_kernelI14__hip_bfloat16S0_LN4vllm18Fp8KVCacheDataTypeE0EhLi32ELi64ELi256ELb0ELi14EEvPKT_PKT0_S8_ifPKiSA_SA_iPKfiiiPfSD_PS3_PT2_iSC_SC_: ; @_Z39paged_attention_ll4mi_QKV_mfma16_kernelI14__hip_bfloat16S0_LN4vllm18Fp8KVCacheDataTypeE0EhLi32ELi64ELi256ELb0ELi14EEvPKT_PKT0_S8_ifPKiSA_SA_iPKfiiiPfSD_PS3_PT2_iSC_SC_
; %bb.0:
	s_load_dwordx2 s[6:7], s[0:1], 0x30
	s_mov_b32 s28, s3
	s_mov_b64 s[10:11], 0
	s_waitcnt lgkmcnt(0)
	s_cmp_lg_u64 s[6:7], 0
	s_cselect_b64 s[8:9], -1, 0
	s_and_b64 vcc, exec, s[8:9]
	s_cbranch_vccz .LBB529_7
; %bb.1:
	s_add_i32 s12, s2, 1
	s_mov_b32 s13, 0
	s_lshl_b64 s[14:15], s[12:13], 2
	s_add_u32 s14, s6, s14
	s_mov_b32 s3, s13
	s_addc_u32 s15, s7, s15
	s_lshl_b64 s[12:13], s[2:3], 2
	s_add_u32 s12, s6, s12
	s_addc_u32 s13, s7, s13
	s_load_dword s5, s[14:15], 0x0
	s_load_dword s16, s[12:13], 0x0
	s_waitcnt lgkmcnt(0)
	s_sub_i32 s5, s5, s16
	s_cmp_eq_u32 s5, 1
	s_cselect_b64 s[12:13], -1, 0
	s_andn2_b64 vcc, exec, s[10:11]
	s_cbranch_vccnz .LBB529_3
.LBB529_2:
	s_mov_b32 s3, 0
	s_mov_b64 s[12:13], -1
.LBB529_3:
	s_andn2_b64 vcc, exec, s[12:13]
	s_cbranch_vccnz .LBB529_20
; %bb.4:
	s_load_dwordx2 s[12:13], s[0:1], 0x28
	s_lshl_b64 s[10:11], s[2:3], 2
	s_waitcnt lgkmcnt(0)
	s_add_u32 s12, s12, s10
	s_addc_u32 s13, s13, s11
	s_load_dword s33, s[12:13], 0x0
	s_lshl_b32 s14, s28, 8
	s_waitcnt lgkmcnt(0)
	s_cmp_ge_i32 s14, s33
	s_cbranch_scc1 .LBB529_20
; %bb.5:
	s_load_dwordx2 s[12:13], s[0:1], 0x20
	s_load_dword s5, s[0:1], 0x38
	s_add_i32 s15, s33, 31
	s_ashr_i32 s16, s15, 31
	v_and_b32_e32 v1, 0xcf, v0
	s_lshr_b32 s16, s16, 27
	v_add_u32_e32 v1, s14, v1
	s_add_i32 s15, s15, s16
	v_ashrrev_i32_e32 v2, 31, v1
	s_ashr_i32 s15, s15, 5
	v_lshrrev_b32_e32 v10, 27, v2
	s_add_i32 s15, s15, -1
	s_waitcnt lgkmcnt(0)
	s_mul_i32 s16, s2, s5
	s_mov_b32 s17, 0
	v_add_u32_e32 v2, v1, v10
	s_lshl_b64 s[16:17], s[16:17], 2
	v_ashrrev_i32_e32 v2, 5, v2
	v_mov_b32_e32 v11, s15
	v_cmp_gt_i32_e32 vcc, s33, v1
	s_add_u32 s12, s12, s16
	s_addc_u32 s13, s13, s17
	v_cndmask_b32_e32 v2, v11, v2, vcc
	v_ashrrev_i32_e32 v3, 31, v2
	v_lshl_add_u64 v[4:5], v[2:3], 2, s[12:13]
	v_or_b32_e32 v2, 16, v1
	v_add_u32_e32 v3, v2, v10
	v_ashrrev_i32_e32 v3, 5, v3
	v_cmp_gt_i32_e32 vcc, s33, v2
	s_nop 1
	v_cndmask_b32_e32 v2, v11, v3, vcc
	v_ashrrev_i32_e32 v3, 31, v2
	v_lshl_add_u64 v[6:7], v[2:3], 2, s[12:13]
	v_or_b32_e32 v2, 32, v1
	v_add_u32_e32 v3, v2, v10
	v_ashrrev_i32_e32 v3, 5, v3
	v_cmp_gt_i32_e32 vcc, s33, v2
	v_or_b32_e32 v1, 48, v1
	s_nop 0
	v_cndmask_b32_e32 v2, v11, v3, vcc
	v_ashrrev_i32_e32 v3, 31, v2
	v_lshl_add_u64 v[8:9], v[2:3], 2, s[12:13]
	v_add_u32_e32 v2, v1, v10
	v_ashrrev_i32_e32 v2, 5, v2
	v_cmp_gt_i32_e32 vcc, s33, v1
	s_nop 1
	v_cndmask_b32_e32 v2, v11, v2, vcc
	v_ashrrev_i32_e32 v3, 31, v2
	v_lshl_add_u64 v[12:13], v[2:3], 2, s[12:13]
	global_load_dword v3, v[4:5], off
	global_load_dword v2, v[6:7], off
	;; [unrolled: 1-line block ×4, first 2 shown]
	s_andn2_b64 vcc, exec, s[8:9]
	s_cbranch_vccnz .LBB529_8
; %bb.6:
	s_add_u32 s6, s6, s10
	s_addc_u32 s7, s7, s11
	s_load_dword s5, s[6:7], 0x0
	s_branch .LBB529_9
.LBB529_7:
	s_mov_b64 s[12:13], 0
	s_branch .LBB529_2
.LBB529_8:
	s_mov_b32 s5, s2
.LBB529_9:
	s_load_dwordx4 s[8:11], s[0:1], 0x8
	s_load_dwordx4 s[44:47], s[0:1], 0x48
	v_lshrrev_b32_e32 v1, 6, v0
	v_bfe_u32 v54, v0, 4, 2
	v_lshl_or_b32 v4, v1, 2, v54
	v_and_b32_e32 v36, 15, v0
	v_cmp_lt_u32_e32 vcc, 13, v4
	v_cmp_lt_u32_e64 s[6:7], 7, v36
	v_lshlrev_b32_e32 v34, 3, v36
	v_cmp_gt_u32_e64 s[30:31], 8, v36
	s_or_b64 s[6:7], s[6:7], vcc
	s_and_saveexec_b64 s[16:17], s[6:7]
	s_xor_b64 s[6:7], exec, s[16:17]
; %bb.10:
	v_mov_b32_e32 v35, 0
                                        ; implicit-def: $vgpr4
; %bb.11:
	s_or_saveexec_b64 s[6:7], s[6:7]
	v_and_b32_e32 v37, 63, v0
	s_mul_i32 s42, s4, 14
	s_xor_b64 exec, exec, s[6:7]
	s_cbranch_execz .LBB529_13
; %bb.12:
	s_load_dwordx2 s[16:17], s[0:1], 0x0
	s_waitcnt lgkmcnt(0)
	s_ashr_i32 s18, s44, 31
	s_mul_hi_u32 s19, s5, s44
	s_mul_i32 s18, s5, s18
	s_add_i32 s19, s19, s18
	s_mul_i32 s18, s5, s44
	s_lshl_b64 s[18:19], s[18:19], 1
	s_add_u32 s16, s16, s18
	v_add_lshl_u32 v6, v4, s42, 6
	s_addc_u32 s17, s17, s19
	v_ashrrev_i32_e32 v7, 31, v6
	v_mov_b32_e32 v35, 0
	v_lshl_add_u64 v[6:7], v[6:7], 1, s[16:17]
	v_lshlrev_b32_e32 v8, 1, v34
	v_mov_b32_e32 v9, v35
	v_lshl_add_u64 v[6:7], v[6:7], 0, v[8:9]
	global_load_dwordx4 v[6:9], v[6:7], off
	v_and_b32_e32 v5, 3, v0
	v_lshlrev_b32_e32 v11, 9, v36
	v_lshlrev_b32_e32 v4, 5, v4
	;; [unrolled: 1-line block ×3, first 2 shown]
	v_and_b32_e32 v11, 0x1800, v11
	v_or3_b32 v4, v11, v5, v4
	s_waitcnt vmcnt(0)
	ds_write_b128 v4, v[6:9]
.LBB529_13:
	s_or_b64 exec, exec, s[6:7]
	s_waitcnt lgkmcnt(0)
	s_mul_i32 s4, s4, s46
	s_mov_b32 s5, 0
	s_lshl_b64 s[4:5], s[4:5], 1
	s_add_u32 s8, s8, s4
	s_addc_u32 s9, s9, s5
	s_waitcnt vmcnt(3)
	v_mad_i64_i32 v[4:5], s[16:17], v3, s45, 0
	v_lshl_add_u64 v[4:5], v[4:5], 1, s[8:9]
	v_lshlrev_b64 v[12:13], 1, v[34:35]
	v_lshlrev_b32_e32 v38, 9, v54
	v_lshl_add_u64 v[4:5], v[4:5], 0, v[12:13]
	v_mov_b32_e32 v39, 0
	v_lshl_add_u64 v[14:15], v[4:5], 0, v[38:39]
	s_waitcnt vmcnt(2)
	v_mad_i64_i32 v[2:3], s[16:17], v2, s45, 0
	v_mov_b32_e32 v4, 0x100
	v_lshl_add_u64 v[2:3], v[2:3], 1, s[8:9]
	v_lshl_or_b32 v40, v36, 4, v4
	v_mov_b32_e32 v41, v39
	s_load_dword s29, s[0:1], 0x98
	s_load_dword s6, s[0:1], 0x1c
	s_waitcnt lgkmcnt(0)
	s_barrier
	v_lshl_add_u64 v[2:3], v[2:3], 0, v[40:41]
	global_load_dwordx4 v[6:9], v[14:15], off
	global_load_dwordx4 v[22:25], v[14:15], off offset:2048
	v_lshl_add_u64 v[18:19], v[2:3], 0, v[38:39]
	global_load_dwordx4 v[2:5], v[18:19], off
	global_load_dwordx4 v[26:29], v[18:19], off offset:2048
	s_waitcnt vmcnt(5)
	v_mad_i64_i32 v[10:11], s[16:17], v10, s45, 0
	v_lshl_add_u64 v[10:11], v[10:11], 1, s[8:9]
	v_lshl_add_u64 v[10:11], v[10:11], 0, v[12:13]
	;; [unrolled: 1-line block ×3, first 2 shown]
	global_load_dwordx4 v[10:13], v[20:21], off
	global_load_dwordx4 v[30:33], v[20:21], off offset:2048
	s_waitcnt vmcnt(6)
	v_mad_i64_i32 v[42:43], s[16:17], v16, s45, 0
	v_add_u32_e32 v17, -14, v36
	v_cmp_gt_u32_e32 vcc, 14, v36
	v_lshl_add_u64 v[42:43], v[42:43], 1, s[8:9]
	v_lshl_add_u64 v[40:41], v[42:43], 0, v[40:41]
	v_cndmask_b32_e32 v14, v17, v36, vcc
	v_lshl_add_u32 v14, v14, 5, v38
	v_lshl_add_u64 v[40:41], v[40:41], 0, v[38:39]
	ds_read_b128 v[18:21], v14
	ds_read_b128 v[14:17], v14 offset:2048
	global_load_dwordx4 v[46:49], v[40:41], off
	global_load_dwordx4 v[60:63], v[40:41], off offset:2048
	s_ashr_i32 s7, s14, 31
	v_and_or_b32 v55, v0, 48, s14
	s_lshr_b32 s7, s7, 27
	v_add_u32_e32 v42, s7, v55
	v_mov_b32_e32 v64, s15
	v_or_b32_e32 v50, 64, v55
	v_ashrrev_i32_e32 v38, 5, v42
	v_cmp_gt_i32_e32 vcc, s33, v55
	v_add_u32_e32 v43, s7, v50
	v_ashrrev_i32_e32 v51, 5, v43
	v_cndmask_b32_e32 v42, v64, v38, vcc
	v_ashrrev_i32_e32 v43, 31, v42
	v_lshl_add_u64 v[42:43], v[42:43], 2, s[12:13]
	v_cmp_gt_i32_e32 vcc, s33, v50
	global_load_dword v65, v[42:43], off
	v_or_b32_e32 v40, 0x80, v55
	v_or_b32_e32 v41, 0xc0, v55
	v_and_b32_e32 v38, 16, v0
	s_add_u32 s4, s10, s4
	s_addc_u32 s5, s11, s5
	v_lshlrev_b32_e32 v38, 1, v38
	s_mov_b32 s43, 0xff7fffff
	s_waitcnt vmcnt(8) lgkmcnt(1)
	v_mfma_f32_16x16x16_bf16 v[42:45], v[6:7], v[18:19], 0
	v_cndmask_b32_e32 v6, v64, v51, vcc
	v_ashrrev_i32_e32 v7, 31, v6
	v_cmp_gt_i32_e32 vcc, s33, v40
	s_waitcnt vmcnt(6)
	v_mfma_f32_16x16x16_bf16 v[50:53], v[2:3], v[18:19], 0
	v_lshl_add_u64 v[2:3], v[6:7], 2, s[12:13]
	global_load_dword v66, v[2:3], off
	v_mfma_f32_16x16x16_bf16 v[6:9], v[8:9], v[20:21], v[42:45]
	v_mfma_f32_16x16x16_bf16 v[2:5], v[4:5], v[20:21], v[50:53]
	s_nop 1
	v_add_u32_e32 v42, s7, v40
	v_add_u32_e32 v43, s7, v41
	v_ashrrev_i32_e32 v42, 5, v42
	s_waitcnt lgkmcnt(0)
	v_mfma_f32_16x16x16_bf16 v[6:9], v[22:23], v[14:15], v[6:9]
	v_lshlrev_b32_e32 v45, 6, v36
	v_ashrrev_i32_e32 v43, 5, v43
	v_cndmask_b32_e32 v44, v64, v42, vcc
	s_waitcnt vmcnt(5)
	v_mfma_f32_16x16x16_bf16 v[56:59], v[10:11], v[18:19], 0
	v_cmp_gt_i32_e32 vcc, s33, v41
	v_lshl_add_u64 v[50:51], s[4:5], 0, v[38:39]
	v_lshl_or_b32 v38, v1, 10, v45
	v_mfma_f32_16x16x16_bf16 v[2:5], v[26:27], v[14:15], v[2:5]
	v_cndmask_b32_e32 v26, v64, v43, vcc
	v_ashrrev_i32_e32 v45, 31, v44
	v_ashrrev_i32_e32 v27, 31, v26
	v_mfma_f32_16x16x16_bf16 v[22:25], v[24:25], v[16:17], v[6:9]
	s_nop 2
	v_lshl_add_u64 v[6:7], v[44:45], 2, s[12:13]
	v_mfma_f32_16x16x16_bf16 v[10:13], v[12:13], v[20:21], v[56:59]
	v_lshl_add_u64 v[8:9], v[26:27], 2, s[12:13]
	global_load_dword v55, v[6:7], off
	s_nop 0
	global_load_dword v58, v[8:9], off
	s_waitcnt vmcnt(6)
	v_mfma_f32_16x16x16_bf16 v[40:43], v[30:31], v[14:15], v[10:13]
	s_nop 2
	v_lshl_add_u64 v[10:11], v[50:51], 0, v[38:39]
	v_mfma_f32_16x16x16_bf16 v[30:33], v[32:33], v[16:17], v[40:43]
	v_pk_mul_f32 v[50:51], s[6:7], v[24:25] op_sel_hi:[0,1]
	s_waitcnt vmcnt(2)
	v_mad_i64_i32 v[12:13], s[4:5], v66, s45, 0
	v_mfma_f32_16x16x16_bf16 v[38:41], v[46:47], v[18:19], 0
	v_lshl_add_u64 v[56:57], v[12:13], 1, v[10:11]
	v_pk_mul_f32 v[12:13], s[6:7], v[22:23] op_sel_hi:[0,1]
	s_nop 0
	v_pk_mul_f32 v[46:47], s[6:7], v[30:31] op_sel_hi:[0,1]
	v_mfma_f32_16x16x16_bf16 v[18:21], v[48:49], v[20:21], v[38:41]
	v_pk_mul_f32 v[48:49], s[6:7], v[32:33] op_sel_hi:[0,1]
	v_mfma_f32_16x16x16_bf16 v[18:21], v[60:61], v[14:15], v[18:21]
	v_mfma_f32_16x16x16_bf16 v[26:29], v[28:29], v[16:17], v[2:5]
	;; [unrolled: 1-line block ×3, first 2 shown]
	s_nop 1
	v_mad_i64_i32 v[2:3], s[4:5], v65, s45, 0
	s_nop 2
	v_pk_mul_f32 v[42:43], s[6:7], v[26:27] op_sel_hi:[0,1]
	v_pk_mul_f32 v[52:53], s[6:7], v[28:29] op_sel_hi:[0,1]
	v_lshl_add_u64 v[2:3], v[2:3], 1, v[10:11]
	v_pk_mul_f32 v[44:45], s[6:7], v[14:15] op_sel_hi:[0,1]
	v_and_b32_e32 v14, 0xc0, v0
	v_add_u32_e32 v14, s14, v14
	v_lshl_or_b32 v14, v54, 2, v14
	v_pk_mul_f32 v[38:39], s[6:7], v[16:17] op_sel_hi:[0,1]
	v_or_b32_e32 v17, 1, v14
	v_mov_b32_e32 v15, 0xff7fffff
	v_cmp_gt_i32_e64 s[4:5], s33, v14
	v_cmp_gt_i32_e64 s[34:35], s33, v17
	v_or_b32_e32 v18, 3, v14
	v_cndmask_b32_e64 v16, v15, v12, s[4:5]
	v_cndmask_b32_e64 v17, v15, v13, s[34:35]
	v_max3_f32 v16, v16, s43, v17
	v_or_b32_e32 v17, 2, v14
	v_cmp_gt_i32_e64 s[36:37], s33, v17
	v_cmp_gt_i32_e64 s[38:39], s33, v18
	global_load_dwordx4 v[6:9], v[2:3], off
	s_nop 0
	global_load_dwordx4 v[2:5], v[2:3], off offset:16
	v_cndmask_b32_e64 v17, v15, v50, s[36:37]
	v_cndmask_b32_e64 v18, v15, v51, s[38:39]
	v_max3_f32 v16, v16, v17, v18
	v_or_b32_e32 v17, 16, v14
	v_or_b32_e32 v18, 17, v14
	v_cmp_gt_i32_e64 s[24:25], s33, v17
	v_cmp_gt_i32_e64 s[26:27], s33, v18
	global_load_dwordx4 v[30:33], v[56:57], off
	global_load_dwordx4 v[26:29], v[56:57], off offset:16
	v_cndmask_b32_e64 v17, v15, v42, s[24:25]
	v_cndmask_b32_e64 v18, v15, v43, s[26:27]
	v_max3_f32 v16, v16, v17, v18
	v_or_b32_e32 v17, 18, v14
	v_or_b32_e32 v18, 19, v14
	v_cmp_gt_i32_e64 s[20:21], s33, v17
	v_cmp_gt_i32_e64 s[22:23], s33, v18
	s_nop 0
	v_cndmask_b32_e64 v17, v15, v52, s[20:21]
	v_cndmask_b32_e64 v18, v15, v53, s[22:23]
	v_max3_f32 v16, v16, v17, v18
	v_or_b32_e32 v17, 32, v14
	v_or_b32_e32 v18, 33, v14
	v_cmp_gt_i32_e64 s[16:17], s33, v17
	v_cmp_gt_i32_e64 s[18:19], s33, v18
	s_nop 0
	;; [unrolled: 8-line block ×4, first 2 shown]
	v_cndmask_b32_e64 v17, v15, v44, s[8:9]
	v_cndmask_b32_e64 v18, v15, v45, s[10:11]
	v_max3_f32 v16, v16, v17, v18
	v_or_b32_e32 v17, 50, v14
	v_or_b32_e32 v14, 51, v14
	v_cmp_gt_i32_e32 vcc, s33, v17
	v_cmp_gt_i32_e64 s[6:7], s33, v14
	s_nop 0
	v_cndmask_b32_e32 v17, v15, v38, vcc
	v_cndmask_b32_e64 v14, v15, v39, s[6:7]
	v_max3_f32 v16, v16, v17, v14
	v_mbcnt_lo_u32_b32 v14, -1, 0
	v_mbcnt_hi_u32_b32 v17, -1, v14
	v_and_b32_e32 v14, 64, v17
	v_add_u32_e32 v18, 64, v14
	v_xor_b32_e32 v14, 32, v17
	v_cmp_lt_i32_e64 s[40:41], v14, v18
	s_nop 1
	v_cndmask_b32_e64 v14, v17, v14, s[40:41]
	v_lshlrev_b32_e32 v59, 2, v14
	ds_bpermute_b32 v19, v59, v16
	s_waitcnt vmcnt(5)
	v_mad_i64_i32 v[14:15], s[40:41], v55, s45, 0
	v_lshl_add_u64 v[14:15], v[14:15], 1, v[10:11]
	s_waitcnt lgkmcnt(0)
	v_max_f32_e32 v19, v19, v19
	v_max_f32_e32 v16, v16, v19
	v_xor_b32_e32 v19, 16, v17
	v_cmp_lt_i32_e64 s[40:41], v19, v18
	s_nop 1
	v_cndmask_b32_e64 v17, v17, v19, s[40:41]
	v_lshlrev_b32_e32 v57, 2, v17
	ds_bpermute_b32 v17, v57, v16
	global_load_dwordx4 v[22:25], v[14:15], off
	global_load_dwordx4 v[18:21], v[14:15], off offset:16
	s_waitcnt vmcnt(6)
	v_mad_i64_i32 v[14:15], s[40:41], v58, s45, 0
	v_lshl_add_u64 v[10:11], v[14:15], 1, v[10:11]
	s_waitcnt lgkmcnt(0)
	v_max_f32_e32 v14, v17, v17
	v_max_f32_e32 v55, v16, v14
	v_sub_f32_e32 v12, v12, v55
	v_mul_f32_e32 v12, 0x3fb8aa3b, v12
	v_exp_f32_e32 v40, v12
	v_sub_f32_e32 v12, v13, v55
	v_mul_f32_e32 v12, 0x3fb8aa3b, v12
	v_exp_f32_e32 v41, v12
	global_load_dwordx4 v[14:17], v[10:11], off
	s_nop 0
	global_load_dwordx4 v[10:13], v[10:11], off offset:16
	v_sub_f32_e32 v50, v50, v55
	v_mul_f32_e32 v50, 0x3fb8aa3b, v50
	v_sub_f32_e32 v51, v51, v55
	v_exp_f32_e32 v50, v50
	v_mul_f32_e32 v51, 0x3fb8aa3b, v51
	v_sub_f32_e32 v42, v42, v55
	v_exp_f32_e32 v51, v51
	v_mul_f32_e32 v42, 0x3fb8aa3b, v42
	v_sub_f32_e32 v43, v43, v55
	v_cndmask_b32_e64 v40, 0, v40, s[4:5]
	v_exp_f32_e32 v42, v42
	v_mul_f32_e32 v43, 0x3fb8aa3b, v43
	v_sub_f32_e32 v52, v52, v55
	v_add_f32_e32 v56, 0, v40
	v_cndmask_b32_e64 v41, 0, v41, s[34:35]
	v_exp_f32_e32 v43, v43
	v_mul_f32_e32 v52, 0x3fb8aa3b, v52
	v_sub_f32_e32 v53, v53, v55
	v_add_f32_e32 v56, v56, v41
	;; [unrolled: 5-line block ×10, first 2 shown]
	v_cndmask_b32_e64 v48, 0, v48, s[12:13]
	v_exp_f32_e32 v38, v38
	v_mul_f32_e32 v39, 0x3fb8aa3b, v39
	v_add_f32_e32 v56, v56, v48
	v_cndmask_b32_e64 v49, 0, v49, s[14:15]
	v_exp_f32_e32 v39, v39
	v_add_f32_e32 v56, v56, v49
	v_cndmask_b32_e64 v44, 0, v44, s[8:9]
	v_add_f32_e32 v56, v56, v44
	v_cndmask_b32_e64 v45, 0, v45, s[10:11]
	v_add_f32_e32 v56, v56, v45
	v_cndmask_b32_e32 v38, 0, v38, vcc
	v_add_f32_e32 v56, v56, v38
	v_cndmask_b32_e64 v39, 0, v39, s[6:7]
	v_add_f32_e32 v56, v56, v39
	ds_bpermute_b32 v58, v59, v56
	v_cmp_gt_u32_e32 vcc, 16, v37
	v_lshlrev_b32_e32 v37, 2, v36
	s_waitcnt lgkmcnt(0)
	s_barrier
	v_add_f32_e32 v56, v56, v58
	ds_bpermute_b32 v57, v57, v56
	s_waitcnt lgkmcnt(0)
	s_and_saveexec_b64 s[4:5], vcc
	s_cbranch_execz .LBB529_15
; %bb.14:
	v_add_f32_e32 v56, v56, v57
	v_lshl_or_b32 v57, v1, 6, v37
	ds_write2st64_b32 v57, v55, v56 offset1:1
.LBB529_15:
	s_or_b64 exec, exec, s[4:5]
	s_load_dword s6, s[0:1], 0x94
	s_waitcnt lgkmcnt(0)
	s_barrier
	ds_read2_b32 v[56:57], v37 offset1:16
	ds_read2_b32 v[58:59], v37 offset0:32 offset1:48
	ds_read2_b32 v[60:61], v37 offset0:64 offset1:80
	;; [unrolled: 1-line block ×3, first 2 shown]
	s_movk_i32 s8, 0x7fff
	s_waitcnt lgkmcnt(3)
	v_max3_f32 v55, v56, s43, v57
	s_waitcnt lgkmcnt(2)
	v_max3_f32 v55, v55, v58, v59
	v_sub_f32_e32 v56, v56, v55
	v_mul_f32_e32 v56, 0x3fb8aa3b, v56
	v_exp_f32_e32 v64, v56
	v_sub_f32_e32 v56, v57, v55
	v_mul_f32_e32 v56, 0x3fb8aa3b, v56
	v_exp_f32_e32 v57, v56
	v_sub_f32_e32 v56, v58, v55
	v_mul_f32_e32 v56, 0x3fb8aa3b, v56
	v_sub_f32_e32 v37, v59, v55
	v_exp_f32_e32 v58, v56
	v_mul_f32_e32 v37, 0x3fb8aa3b, v37
	v_exp_f32_e32 v37, v37
	s_waitcnt lgkmcnt(1)
	v_fma_f32 v56, v64, v60, 0
	v_fmac_f32_e32 v56, v57, v61
	s_waitcnt lgkmcnt(0)
	v_fmac_f32_e32 v56, v58, v62
	v_fmac_f32_e32 v56, v37, v63
	v_add_f32_e32 v59, 0x358637bd, v56
	v_div_scale_f32 v60, s[4:5], v59, v59, 1.0
	v_rcp_f32_e32 v61, v60
	s_mov_b32 s9, 0x7060302
	s_barrier
	v_fma_f32 v62, -v60, v61, 1.0
	v_fmac_f32_e32 v61, v62, v61
	v_div_scale_f32 v62, vcc, 1.0, v59, 1.0
	v_mul_f32_e32 v63, v62, v61
	v_fma_f32 v65, -v60, v63, v62
	v_fmac_f32_e32 v63, v65, v61
	v_fma_f32 v60, -v60, v63, v62
	v_div_fmas_f32 v60, v60, v61, v63
	v_cmp_eq_u32_e32 vcc, 1, v1
	v_div_fixup_f32 v59, v60, v59, 1.0
	s_nop 0
	v_cndmask_b32_e32 v57, v64, v57, vcc
	v_cmp_eq_u32_e32 vcc, 2, v1
	s_mul_i32 s7, s29, 14
	s_nop 0
	v_cndmask_b32_e32 v57, v57, v58, vcc
	v_cmp_eq_u32_e32 vcc, 3, v1
	v_lshlrev_b32_e32 v1, 11, v1
	s_nop 0
	v_cndmask_b32_e32 v37, v57, v37, vcc
	v_mul_f32_e32 v58, v37, v59
	v_pk_mul_f32 v[40:41], v[58:59], v[40:41] op_sel_hi:[0,1]
	v_bfe_u32 v37, v41, 16, 1
	v_bfe_u32 v57, v40, 16, 1
	v_pk_mul_f32 v[50:51], v[58:59], v[50:51] op_sel_hi:[0,1]
	v_add3_u32 v40, v40, v57, s8
	v_add3_u32 v37, v41, v37, s8
	v_perm_b32 v60, v37, v40, s9
	v_bfe_u32 v37, v51, 16, 1
	v_bfe_u32 v40, v50, 16, 1
	v_add3_u32 v40, v50, v40, s8
	v_add3_u32 v37, v51, v37, s8
	v_perm_b32 v61, v37, v40, s9
	v_lshlrev_b32_e32 v37, 3, v54
	v_lshlrev_b32_e32 v40, 5, v36
	v_pk_mul_f32 v[42:43], v[58:59], v[42:43] op_sel_hi:[0,1]
	v_or3_b32 v1, v1, v40, v37
	v_bfe_u32 v37, v43, 16, 1
	v_bfe_u32 v41, v42, 16, 1
	v_pk_mul_f32 v[50:51], v[58:59], v[52:53] op_sel_hi:[0,1]
	v_add3_u32 v41, v42, v41, s8
	v_add3_u32 v37, v43, v37, s8
	v_perm_b32 v42, v37, v41, s9
	v_bfe_u32 v37, v51, 16, 1
	v_bfe_u32 v41, v50, 16, 1
	v_add3_u32 v41, v50, v41, s8
	v_add3_u32 v37, v51, v37, s8
	v_pk_mul_f32 v[46:47], v[58:59], v[46:47] op_sel_hi:[0,1]
	v_perm_b32 v43, v37, v41, s9
	v_bfe_u32 v37, v47, 16, 1
	v_bfe_u32 v41, v46, 16, 1
	ds_write2st64_b64 v1, v[60:61], v[42:43] offset1:1
	v_pk_mul_f32 v[42:43], v[58:59], v[48:49] op_sel_hi:[0,1]
	v_add3_u32 v41, v46, v41, s8
	v_add3_u32 v37, v47, v37, s8
	v_perm_b32 v46, v37, v41, s9
	v_bfe_u32 v37, v43, 16, 1
	v_bfe_u32 v41, v42, 16, 1
	v_add3_u32 v41, v42, v41, s8
	v_add3_u32 v37, v43, v37, s8
	v_pk_mul_f32 v[42:43], v[58:59], v[44:45] op_sel_hi:[0,1]
	v_perm_b32 v47, v37, v41, s9
	v_bfe_u32 v37, v43, 16, 1
	v_bfe_u32 v41, v42, 16, 1
	v_pk_mul_f32 v[38:39], v[58:59], v[38:39] op_sel_hi:[0,1]
	v_add3_u32 v41, v42, v41, s8
	v_add3_u32 v37, v43, v37, s8
	v_perm_b32 v42, v37, v41, s9
	v_bfe_u32 v37, v39, 16, 1
	v_bfe_u32 v41, v38, 16, 1
	v_add3_u32 v38, v38, v41, s8
	v_add3_u32 v37, v39, v37, s8
	v_perm_b32 v43, v37, v38, s9
	v_cmp_gt_u32_e32 vcc, 14, v0
	ds_write2st64_b64 v1, v[46:47], v[42:43] offset0:2 offset1:3
	s_and_saveexec_b64 s[4:5], vcc
	s_cbranch_execz .LBB529_17
; %bb.16:
	s_mov_b32 s43, 0
	v_mov_b32_e32 v37, 0
	v_lshl_add_u64 v[38:39], s[42:43], 0, v[36:37]
	v_mov_b32_e32 v36, s7
	v_mad_u64_u32 v[38:39], s[10:11], s2, v36, v[38:39]
	v_mov_b32_e32 v36, s28
	s_load_dwordx4 s[12:15], s[0:1], 0x58
	s_mul_i32 s3, s3, s7
	v_mad_u64_u32 v[36:37], s[10:11], v38, s6, v[36:37]
	v_add_u32_e32 v39, s3, v39
	v_mov_b32_e32 v38, v37
	v_mad_u64_u32 v[38:39], s[10:11], v39, s6, v[38:39]
	v_mov_b32_e32 v37, v38
	v_lshlrev_b64 v[36:37], 2, v[36:37]
	s_waitcnt lgkmcnt(0)
	v_lshl_add_u64 v[38:39], s[14:15], 0, v[36:37]
	v_lshl_add_u64 v[36:37], s[12:13], 0, v[36:37]
	global_store_dword v[38:39], v55, off
	global_store_dword v[36:37], v56, off
.LBB529_17:
	s_or_b64 exec, exec, s[4:5]
	v_lshl_or_b32 v48, v54, 9, v40
	s_waitcnt lgkmcnt(0)
	s_barrier
	ds_read_b128 v[36:39], v48
	ds_read_b128 v[40:43], v48 offset:16
	s_waitcnt vmcnt(7) lgkmcnt(1)
	v_mfma_f32_16x16x16_bf16 v[44:47], v[6:7], v[36:37], 0
	v_cmp_gt_u32_e32 vcc, 64, v0
	s_mov_b32 s3, 0
	s_and_b64 s[4:5], vcc, s[30:31]
	v_mfma_f32_16x16x16_bf16 v[6:9], v[8:9], v[38:39], v[44:47]
	s_waitcnt vmcnt(6) lgkmcnt(0)
	v_mfma_f32_16x16x16_bf16 v[6:9], v[2:3], v[40:41], v[6:9]
	v_mfma_f32_16x16x16_bf16 v[2:5], v[4:5], v[42:43], v[6:9]
	s_nop 5
	ds_read_b128 v[6:9], v48 offset:2048
	ds_read_b128 v[36:39], v48 offset:2064
	s_waitcnt vmcnt(5) lgkmcnt(1)
	v_mfma_f32_16x16x16_bf16 v[2:5], v[30:31], v[6:7], v[2:5]
	v_mfma_f32_16x16x16_bf16 v[2:5], v[32:33], v[8:9], v[2:5]
	s_waitcnt vmcnt(4) lgkmcnt(0)
	v_mfma_f32_16x16x16_bf16 v[2:5], v[26:27], v[36:37], v[2:5]
	v_mfma_f32_16x16x16_bf16 v[2:5], v[28:29], v[38:39], v[2:5]
	ds_read_b128 v[6:9], v48 offset:4096
	ds_read_b128 v[26:29], v48 offset:4112
	s_waitcnt vmcnt(3) lgkmcnt(1)
	v_mfma_f32_16x16x16_bf16 v[2:5], v[22:23], v[6:7], v[2:5]
	v_mfma_f32_16x16x16_bf16 v[2:5], v[24:25], v[8:9], v[2:5]
	s_waitcnt vmcnt(2) lgkmcnt(0)
	v_mfma_f32_16x16x16_bf16 v[2:5], v[18:19], v[26:27], v[2:5]
	v_mfma_f32_16x16x16_bf16 v[2:5], v[20:21], v[28:29], v[2:5]
	ds_read_b128 v[6:9], v48 offset:6144
	ds_read_b128 v[18:21], v48 offset:6160
	s_waitcnt lgkmcnt(0)
	s_barrier
	s_waitcnt vmcnt(1)
	v_mfma_f32_16x16x16_bf16 v[2:5], v[14:15], v[6:7], v[2:5]
	v_mfma_f32_16x16x16_bf16 v[2:5], v[16:17], v[8:9], v[2:5]
	s_waitcnt vmcnt(0)
	v_mfma_f32_16x16x16_bf16 v[2:5], v[10:11], v[18:19], v[2:5]
	v_mfma_f32_16x16x16_bf16 v[2:5], v[12:13], v[20:21], v[2:5]
	s_nop 6
	v_bfe_u32 v6, v3, 16, 1
	v_bfe_u32 v7, v2, 16, 1
	;; [unrolled: 1-line block ×4, first 2 shown]
	v_add3_u32 v2, v2, v7, s8
	v_add3_u32 v3, v3, v6, s8
	;; [unrolled: 1-line block ×4, first 2 shown]
	v_perm_b32 v2, v3, v2, s9
	v_perm_b32 v3, v5, v4, s9
	ds_write_b64 v1, v[2:3]
	s_waitcnt lgkmcnt(0)
	s_barrier
	s_and_saveexec_b64 s[8:9], s[4:5]
	s_cbranch_execz .LBB529_20
; %bb.18:
	s_load_dwordx2 s[4:5], s[0:1], 0x68
	s_lshl_b32 s0, s6, 6
	s_mul_i32 s1, s7, s2
	s_mul_hi_u32 s7, s1, s0
	s_mul_i32 s6, s1, s0
	v_lshlrev_b32_e32 v1, 10, v0
	v_lshlrev_b32_e32 v0, 4, v0
	s_lshl_b64 s[6:7], s[6:7], 1
	v_and_b32_e32 v1, 0x1800, v1
	v_lshlrev_b32_e32 v2, 5, v54
	v_and_b32_e32 v0, 16, v0
	s_waitcnt lgkmcnt(0)
	s_add_u32 s1, s4, s6
	v_or3_b32 v2, v1, v2, v0
	s_addc_u32 s4, s5, s7
	s_lshl_b32 s2, s28, 6
	ds_read_b128 v[4:7], v2 offset:256
	s_lshl_b64 s[2:3], s[2:3], 1
	ds_read_b128 v[8:11], v2 offset:128
	ds_read_b128 v[12:15], v2
	s_add_u32 s2, s1, s2
	s_addc_u32 s3, s4, s3
	v_add_u32_e32 v18, s42, v54
	v_lshl_add_u64 v[0:1], v[34:35], 1, s[2:3]
	v_mad_u64_u32 v[16:17], s[2:3], v18, s0, 0
	v_lshl_add_u64 v[16:17], v[16:17], 1, v[0:1]
	s_waitcnt lgkmcnt(0)
	global_store_dwordx4 v[16:17], v[12:15], off
	v_or_b32_e32 v3, 12, v54
	v_cmp_gt_u32_e32 vcc, 14, v3
	v_add_u32_e32 v12, 4, v18
	v_mad_u64_u32 v[12:13], s[2:3], v12, s0, 0
	v_lshl_add_u64 v[12:13], v[12:13], 1, v[0:1]
	global_store_dwordx4 v[12:13], v[8:11], off
	s_nop 1
	v_add_u32_e32 v8, 8, v18
	v_mad_u64_u32 v[8:9], s[2:3], v8, s0, 0
	v_lshl_add_u64 v[8:9], v[8:9], 1, v[0:1]
	global_store_dwordx4 v[8:9], v[4:7], off
	s_and_b64 exec, exec, vcc
	s_cbranch_execz .LBB529_20
; %bb.19:
	ds_read_b128 v[4:7], v2 offset:384
	v_add_u32_e32 v2, s42, v3
	v_mad_u64_u32 v[2:3], s[0:1], v2, s0, 0
	v_lshl_add_u64 v[0:1], v[2:3], 1, v[0:1]
	s_waitcnt lgkmcnt(0)
	global_store_dwordx4 v[0:1], v[4:7], off
.LBB529_20:
	s_endpgm
	.section	.rodata,"a",@progbits
	.p2align	6, 0x0
	.amdhsa_kernel _Z39paged_attention_ll4mi_QKV_mfma16_kernelI14__hip_bfloat16S0_LN4vllm18Fp8KVCacheDataTypeE0EhLi32ELi64ELi256ELb0ELi14EEvPKT_PKT0_S8_ifPKiSA_SA_iPKfiiiPfSD_PS3_PT2_iSC_SC_
		.amdhsa_group_segment_fixed_size 8192
		.amdhsa_private_segment_fixed_size 0
		.amdhsa_kernarg_size 400
		.amdhsa_user_sgpr_count 2
		.amdhsa_user_sgpr_dispatch_ptr 0
		.amdhsa_user_sgpr_queue_ptr 0
		.amdhsa_user_sgpr_kernarg_segment_ptr 1
		.amdhsa_user_sgpr_dispatch_id 0
		.amdhsa_user_sgpr_kernarg_preload_length 0
		.amdhsa_user_sgpr_kernarg_preload_offset 0
		.amdhsa_user_sgpr_private_segment_size 0
		.amdhsa_uses_dynamic_stack 0
		.amdhsa_enable_private_segment 0
		.amdhsa_system_sgpr_workgroup_id_x 1
		.amdhsa_system_sgpr_workgroup_id_y 1
		.amdhsa_system_sgpr_workgroup_id_z 1
		.amdhsa_system_sgpr_workgroup_info 0
		.amdhsa_system_vgpr_workitem_id 0
		.amdhsa_next_free_vgpr 67
		.amdhsa_next_free_sgpr 48
		.amdhsa_accum_offset 68
		.amdhsa_reserve_vcc 1
		.amdhsa_float_round_mode_32 0
		.amdhsa_float_round_mode_16_64 0
		.amdhsa_float_denorm_mode_32 3
		.amdhsa_float_denorm_mode_16_64 3
		.amdhsa_dx10_clamp 1
		.amdhsa_ieee_mode 1
		.amdhsa_fp16_overflow 0
		.amdhsa_tg_split 0
		.amdhsa_exception_fp_ieee_invalid_op 0
		.amdhsa_exception_fp_denorm_src 0
		.amdhsa_exception_fp_ieee_div_zero 0
		.amdhsa_exception_fp_ieee_overflow 0
		.amdhsa_exception_fp_ieee_underflow 0
		.amdhsa_exception_fp_ieee_inexact 0
		.amdhsa_exception_int_div_zero 0
	.end_amdhsa_kernel
	.section	.text._Z39paged_attention_ll4mi_QKV_mfma16_kernelI14__hip_bfloat16S0_LN4vllm18Fp8KVCacheDataTypeE0EhLi32ELi64ELi256ELb0ELi14EEvPKT_PKT0_S8_ifPKiSA_SA_iPKfiiiPfSD_PS3_PT2_iSC_SC_,"axG",@progbits,_Z39paged_attention_ll4mi_QKV_mfma16_kernelI14__hip_bfloat16S0_LN4vllm18Fp8KVCacheDataTypeE0EhLi32ELi64ELi256ELb0ELi14EEvPKT_PKT0_S8_ifPKiSA_SA_iPKfiiiPfSD_PS3_PT2_iSC_SC_,comdat
.Lfunc_end529:
	.size	_Z39paged_attention_ll4mi_QKV_mfma16_kernelI14__hip_bfloat16S0_LN4vllm18Fp8KVCacheDataTypeE0EhLi32ELi64ELi256ELb0ELi14EEvPKT_PKT0_S8_ifPKiSA_SA_iPKfiiiPfSD_PS3_PT2_iSC_SC_, .Lfunc_end529-_Z39paged_attention_ll4mi_QKV_mfma16_kernelI14__hip_bfloat16S0_LN4vllm18Fp8KVCacheDataTypeE0EhLi32ELi64ELi256ELb0ELi14EEvPKT_PKT0_S8_ifPKiSA_SA_iPKfiiiPfSD_PS3_PT2_iSC_SC_
                                        ; -- End function
	.section	.AMDGPU.csdata,"",@progbits
; Kernel info:
; codeLenInByte = 4220
; NumSgprs: 54
; NumVgprs: 67
; NumAgprs: 0
; TotalNumVgprs: 67
; ScratchSize: 0
; MemoryBound: 0
; FloatMode: 240
; IeeeMode: 1
; LDSByteSize: 8192 bytes/workgroup (compile time only)
; SGPRBlocks: 6
; VGPRBlocks: 8
; NumSGPRsForWavesPerEU: 54
; NumVGPRsForWavesPerEU: 67
; AccumOffset: 68
; Occupancy: 7
; WaveLimiterHint : 1
; COMPUTE_PGM_RSRC2:SCRATCH_EN: 0
; COMPUTE_PGM_RSRC2:USER_SGPR: 2
; COMPUTE_PGM_RSRC2:TRAP_HANDLER: 0
; COMPUTE_PGM_RSRC2:TGID_X_EN: 1
; COMPUTE_PGM_RSRC2:TGID_Y_EN: 1
; COMPUTE_PGM_RSRC2:TGID_Z_EN: 1
; COMPUTE_PGM_RSRC2:TIDIG_COMP_CNT: 0
; COMPUTE_PGM_RSRC3_GFX90A:ACCUM_OFFSET: 16
; COMPUTE_PGM_RSRC3_GFX90A:TG_SPLIT: 0
	.section	.text._Z39paged_attention_ll4mi_QKV_mfma16_kernelI14__hip_bfloat16S0_LN4vllm18Fp8KVCacheDataTypeE0EhLi32ELi64ELi256ELb0ELi15EEvPKT_PKT0_S8_ifPKiSA_SA_iPKfiiiPfSD_PS3_PT2_iSC_SC_,"axG",@progbits,_Z39paged_attention_ll4mi_QKV_mfma16_kernelI14__hip_bfloat16S0_LN4vllm18Fp8KVCacheDataTypeE0EhLi32ELi64ELi256ELb0ELi15EEvPKT_PKT0_S8_ifPKiSA_SA_iPKfiiiPfSD_PS3_PT2_iSC_SC_,comdat
	.protected	_Z39paged_attention_ll4mi_QKV_mfma16_kernelI14__hip_bfloat16S0_LN4vllm18Fp8KVCacheDataTypeE0EhLi32ELi64ELi256ELb0ELi15EEvPKT_PKT0_S8_ifPKiSA_SA_iPKfiiiPfSD_PS3_PT2_iSC_SC_ ; -- Begin function _Z39paged_attention_ll4mi_QKV_mfma16_kernelI14__hip_bfloat16S0_LN4vllm18Fp8KVCacheDataTypeE0EhLi32ELi64ELi256ELb0ELi15EEvPKT_PKT0_S8_ifPKiSA_SA_iPKfiiiPfSD_PS3_PT2_iSC_SC_
	.globl	_Z39paged_attention_ll4mi_QKV_mfma16_kernelI14__hip_bfloat16S0_LN4vllm18Fp8KVCacheDataTypeE0EhLi32ELi64ELi256ELb0ELi15EEvPKT_PKT0_S8_ifPKiSA_SA_iPKfiiiPfSD_PS3_PT2_iSC_SC_
	.p2align	8
	.type	_Z39paged_attention_ll4mi_QKV_mfma16_kernelI14__hip_bfloat16S0_LN4vllm18Fp8KVCacheDataTypeE0EhLi32ELi64ELi256ELb0ELi15EEvPKT_PKT0_S8_ifPKiSA_SA_iPKfiiiPfSD_PS3_PT2_iSC_SC_,@function
_Z39paged_attention_ll4mi_QKV_mfma16_kernelI14__hip_bfloat16S0_LN4vllm18Fp8KVCacheDataTypeE0EhLi32ELi64ELi256ELb0ELi15EEvPKT_PKT0_S8_ifPKiSA_SA_iPKfiiiPfSD_PS3_PT2_iSC_SC_: ; @_Z39paged_attention_ll4mi_QKV_mfma16_kernelI14__hip_bfloat16S0_LN4vllm18Fp8KVCacheDataTypeE0EhLi32ELi64ELi256ELb0ELi15EEvPKT_PKT0_S8_ifPKiSA_SA_iPKfiiiPfSD_PS3_PT2_iSC_SC_
; %bb.0:
	s_load_dwordx2 s[6:7], s[0:1], 0x30
	s_mov_b32 s28, s3
	s_mov_b64 s[10:11], 0
	s_waitcnt lgkmcnt(0)
	s_cmp_lg_u64 s[6:7], 0
	s_cselect_b64 s[8:9], -1, 0
	s_and_b64 vcc, exec, s[8:9]
	s_cbranch_vccz .LBB530_7
; %bb.1:
	s_add_i32 s12, s2, 1
	s_mov_b32 s13, 0
	s_lshl_b64 s[14:15], s[12:13], 2
	s_add_u32 s14, s6, s14
	s_mov_b32 s3, s13
	s_addc_u32 s15, s7, s15
	s_lshl_b64 s[12:13], s[2:3], 2
	s_add_u32 s12, s6, s12
	s_addc_u32 s13, s7, s13
	s_load_dword s5, s[14:15], 0x0
	s_load_dword s16, s[12:13], 0x0
	s_waitcnt lgkmcnt(0)
	s_sub_i32 s5, s5, s16
	s_cmp_eq_u32 s5, 1
	s_cselect_b64 s[12:13], -1, 0
	s_andn2_b64 vcc, exec, s[10:11]
	s_cbranch_vccnz .LBB530_3
.LBB530_2:
	s_mov_b32 s3, 0
	s_mov_b64 s[12:13], -1
.LBB530_3:
	s_andn2_b64 vcc, exec, s[12:13]
	s_cbranch_vccnz .LBB530_20
; %bb.4:
	s_load_dwordx2 s[12:13], s[0:1], 0x28
	s_lshl_b64 s[10:11], s[2:3], 2
	s_waitcnt lgkmcnt(0)
	s_add_u32 s12, s12, s10
	s_addc_u32 s13, s13, s11
	s_load_dword s33, s[12:13], 0x0
	s_lshl_b32 s14, s28, 8
	s_waitcnt lgkmcnt(0)
	s_cmp_ge_i32 s14, s33
	s_cbranch_scc1 .LBB530_20
; %bb.5:
	s_load_dwordx2 s[12:13], s[0:1], 0x20
	s_load_dword s5, s[0:1], 0x38
	s_add_i32 s15, s33, 31
	s_ashr_i32 s16, s15, 31
	v_and_b32_e32 v1, 0xcf, v0
	s_lshr_b32 s16, s16, 27
	v_add_u32_e32 v1, s14, v1
	s_add_i32 s15, s15, s16
	v_ashrrev_i32_e32 v2, 31, v1
	s_ashr_i32 s15, s15, 5
	v_lshrrev_b32_e32 v6, 27, v2
	s_add_i32 s15, s15, -1
	s_waitcnt lgkmcnt(0)
	s_mul_i32 s16, s2, s5
	s_mov_b32 s17, 0
	v_add_u32_e32 v2, v1, v6
	s_lshl_b64 s[16:17], s[16:17], 2
	v_ashrrev_i32_e32 v2, 5, v2
	v_mov_b32_e32 v7, s15
	v_cmp_gt_i32_e32 vcc, s33, v1
	s_add_u32 s12, s12, s16
	s_addc_u32 s13, s13, s17
	v_cndmask_b32_e32 v2, v7, v2, vcc
	v_ashrrev_i32_e32 v3, 31, v2
	v_lshl_add_u64 v[4:5], v[2:3], 2, s[12:13]
	v_or_b32_e32 v2, 16, v1
	v_add_u32_e32 v3, v2, v6
	v_ashrrev_i32_e32 v3, 5, v3
	v_cmp_gt_i32_e32 vcc, s33, v2
	s_nop 1
	v_cndmask_b32_e32 v2, v7, v3, vcc
	v_ashrrev_i32_e32 v3, 31, v2
	v_lshl_add_u64 v[8:9], v[2:3], 2, s[12:13]
	v_or_b32_e32 v2, 32, v1
	v_add_u32_e32 v3, v2, v6
	v_ashrrev_i32_e32 v3, 5, v3
	v_cmp_gt_i32_e32 vcc, s33, v2
	v_or_b32_e32 v1, 48, v1
	s_nop 0
	v_cndmask_b32_e32 v2, v7, v3, vcc
	v_ashrrev_i32_e32 v3, 31, v2
	v_lshl_add_u64 v[12:13], v[2:3], 2, s[12:13]
	v_add_u32_e32 v2, v1, v6
	v_ashrrev_i32_e32 v2, 5, v2
	v_cmp_gt_i32_e32 vcc, s33, v1
	s_nop 1
	v_cndmask_b32_e32 v2, v7, v2, vcc
	v_ashrrev_i32_e32 v3, 31, v2
	v_lshl_add_u64 v[14:15], v[2:3], 2, s[12:13]
	global_load_dword v2, v[4:5], off
	global_load_dword v6, v[8:9], off
	;; [unrolled: 1-line block ×4, first 2 shown]
	s_andn2_b64 vcc, exec, s[8:9]
	s_cbranch_vccnz .LBB530_8
; %bb.6:
	s_add_u32 s6, s6, s10
	s_addc_u32 s7, s7, s11
	s_load_dword s5, s[6:7], 0x0
	s_branch .LBB530_9
.LBB530_7:
	s_mov_b64 s[12:13], 0
	s_branch .LBB530_2
.LBB530_8:
	s_mov_b32 s5, s2
.LBB530_9:
	s_load_dwordx4 s[8:11], s[0:1], 0x8
	s_load_dwordx4 s[44:47], s[0:1], 0x48
	v_lshrrev_b32_e32 v1, 6, v0
	v_bfe_u32 v54, v0, 4, 2
	v_lshl_or_b32 v3, v1, 2, v54
	v_and_b32_e32 v36, 15, v0
	v_cmp_lt_u32_e32 vcc, 14, v3
	v_cmp_lt_u32_e64 s[6:7], 7, v36
	v_lshlrev_b32_e32 v34, 3, v36
	v_cmp_gt_u32_e64 s[30:31], 8, v36
	s_or_b64 s[6:7], s[6:7], vcc
	s_and_saveexec_b64 s[16:17], s[6:7]
	s_xor_b64 s[6:7], exec, s[16:17]
; %bb.10:
	v_mov_b32_e32 v35, 0
                                        ; implicit-def: $vgpr3
; %bb.11:
	s_or_saveexec_b64 s[6:7], s[6:7]
	v_and_b32_e32 v37, 63, v0
	s_mul_i32 s42, s4, 15
	s_xor_b64 exec, exec, s[6:7]
	s_cbranch_execz .LBB530_13
; %bb.12:
	s_load_dwordx2 s[16:17], s[0:1], 0x0
	s_waitcnt lgkmcnt(0)
	s_ashr_i32 s18, s44, 31
	s_mul_hi_u32 s19, s5, s44
	s_mul_i32 s18, s5, s18
	s_add_i32 s19, s19, s18
	s_mul_i32 s18, s5, s44
	s_lshl_b64 s[18:19], s[18:19], 1
	s_add_u32 s16, s16, s18
	v_add_lshl_u32 v4, v3, s42, 6
	s_addc_u32 s17, s17, s19
	v_ashrrev_i32_e32 v5, 31, v4
	v_mov_b32_e32 v35, 0
	v_lshl_add_u64 v[4:5], v[4:5], 1, s[16:17]
	v_lshlrev_b32_e32 v8, 1, v34
	v_mov_b32_e32 v9, v35
	v_lshl_add_u64 v[4:5], v[4:5], 0, v[8:9]
	global_load_dwordx4 v[12:15], v[4:5], off
	v_and_b32_e32 v4, 3, v0
	v_lshlrev_b32_e32 v5, 9, v36
	v_lshlrev_b32_e32 v3, 5, v3
	;; [unrolled: 1-line block ×3, first 2 shown]
	v_and_b32_e32 v5, 0x1800, v5
	v_or3_b32 v3, v5, v4, v3
	s_waitcnt vmcnt(0)
	ds_write_b128 v3, v[12:15]
.LBB530_13:
	s_or_b64 exec, exec, s[6:7]
	s_waitcnt lgkmcnt(0)
	s_mov_b32 s5, 0
	s_mul_i32 s4, s4, s46
	s_lshl_b64 s[4:5], s[4:5], 1
	s_add_u32 s8, s8, s4
	s_addc_u32 s9, s9, s5
	s_waitcnt vmcnt(3)
	v_mad_i64_i32 v[2:3], s[16:17], v2, s45, 0
	v_lshl_add_u64 v[2:3], v[2:3], 1, s[8:9]
	v_lshlrev_b64 v[12:13], 1, v[34:35]
	v_mov_b32_e32 v39, 0
	v_lshlrev_b32_e32 v38, 9, v54
	v_lshl_add_u64 v[2:3], v[2:3], 0, v[12:13]
	v_lshl_add_u64 v[20:21], v[2:3], 0, v[38:39]
	s_load_dword s29, s[0:1], 0x98
	s_load_dword s6, s[0:1], 0x1c
	s_waitcnt lgkmcnt(0)
	s_barrier
	global_load_dwordx4 v[2:5], v[20:21], off
	s_waitcnt vmcnt(3)
	v_mad_i64_i32 v[6:7], s[16:17], v6, s45, 0
	v_mov_b32_e32 v8, 0x100
	v_lshl_add_u64 v[6:7], v[6:7], 1, s[8:9]
	v_lshl_or_b32 v40, v36, 4, v8
	v_mov_b32_e32 v41, v39
	v_lshl_add_u64 v[6:7], v[6:7], 0, v[40:41]
	v_lshl_add_u64 v[22:23], v[6:7], 0, v[38:39]
	global_load_dwordx4 v[6:9], v[22:23], off
	global_load_dwordx4 v[26:29], v[22:23], off offset:2048
	s_waitcnt vmcnt(4)
	v_mad_i64_i32 v[10:11], s[16:17], v10, s45, 0
	v_lshl_add_u64 v[10:11], v[10:11], 1, s[8:9]
	v_lshl_add_u64 v[10:11], v[10:11], 0, v[12:13]
	;; [unrolled: 1-line block ×3, first 2 shown]
	global_load_dwordx4 v[10:13], v[20:21], off offset:2048
	global_load_dwordx4 v[14:17], v[24:25], off
	global_load_dwordx4 v[30:33], v[24:25], off offset:2048
	s_waitcnt vmcnt(6)
	v_mad_i64_i32 v[42:43], s[16:17], v18, s45, 0
	v_cmp_ne_u32_e32 vcc, 15, v36
	v_lshl_add_u64 v[42:43], v[42:43], 1, s[8:9]
	v_lshl_add_u64 v[40:41], v[42:43], 0, v[40:41]
	v_cndmask_b32_e32 v19, 0, v36, vcc
	v_lshl_or_b32 v18, v19, 5, v38
	v_lshl_add_u64 v[40:41], v[40:41], 0, v[38:39]
	ds_read_b128 v[22:25], v18
	ds_read_b128 v[18:21], v18 offset:2048
	global_load_dwordx4 v[46:49], v[40:41], off
	global_load_dwordx4 v[60:63], v[40:41], off offset:2048
	s_ashr_i32 s7, s14, 31
	v_and_or_b32 v55, v0, 48, s14
	s_lshr_b32 s7, s7, 27
	v_add_u32_e32 v42, s7, v55
	v_mov_b32_e32 v64, s15
	v_or_b32_e32 v50, 64, v55
	v_ashrrev_i32_e32 v38, 5, v42
	v_cmp_gt_i32_e32 vcc, s33, v55
	v_add_u32_e32 v43, s7, v50
	v_ashrrev_i32_e32 v51, 5, v43
	v_cndmask_b32_e32 v42, v64, v38, vcc
	v_ashrrev_i32_e32 v43, 31, v42
	v_lshl_add_u64 v[42:43], v[42:43], 2, s[12:13]
	v_cmp_gt_i32_e32 vcc, s33, v50
	global_load_dword v65, v[42:43], off
	v_or_b32_e32 v41, 0x80, v55
	v_and_b32_e32 v38, 16, v0
	s_add_u32 s4, s10, s4
	v_lshlrev_b32_e32 v40, 6, v36
	s_addc_u32 s5, s11, s5
	v_lshlrev_b32_e32 v38, 1, v38
	s_mov_b32 s43, 0xff7fffff
	s_waitcnt vmcnt(8) lgkmcnt(1)
	v_mfma_f32_16x16x16_bf16 v[42:45], v[2:3], v[22:23], 0
	v_cndmask_b32_e32 v2, v64, v51, vcc
	v_ashrrev_i32_e32 v3, 31, v2
	v_lshl_add_u64 v[2:3], v[2:3], 2, s[12:13]
	global_load_dword v66, v[2:3], off
	s_waitcnt vmcnt(8)
	v_mfma_f32_16x16x16_bf16 v[50:53], v[6:7], v[22:23], 0
	v_cmp_gt_i32_e32 vcc, s33, v41
	v_mfma_f32_16x16x16_bf16 v[2:5], v[4:5], v[24:25], v[42:45]
	v_mfma_f32_16x16x16_bf16 v[6:9], v[8:9], v[24:25], v[50:53]
	s_nop 1
	v_or_b32_e32 v42, 0xc0, v55
	v_add_u32_e32 v43, s7, v41
	v_add_u32_e32 v44, s7, v42
	s_waitcnt vmcnt(6) lgkmcnt(0)
	v_mfma_f32_16x16x16_bf16 v[2:5], v[10:11], v[18:19], v[2:5]
	v_ashrrev_i32_e32 v43, 5, v43
	v_ashrrev_i32_e32 v45, 5, v44
	v_cndmask_b32_e32 v44, v64, v43, vcc
	s_waitcnt vmcnt(5)
	v_mfma_f32_16x16x16_bf16 v[56:59], v[14:15], v[22:23], 0
	v_cmp_gt_i32_e32 vcc, s33, v42
	v_lshl_add_u64 v[10:11], s[4:5], 0, v[38:39]
	v_lshl_or_b32 v38, v1, 10, v40
	v_mfma_f32_16x16x16_bf16 v[6:9], v[26:27], v[18:19], v[6:9]
	v_cndmask_b32_e32 v26, v64, v45, vcc
	v_ashrrev_i32_e32 v45, 31, v44
	v_ashrrev_i32_e32 v27, 31, v26
	v_mfma_f32_16x16x16_bf16 v[40:43], v[12:13], v[20:21], v[2:5]
	v_lshl_add_u64 v[10:11], v[10:11], 0, v[38:39]
	s_waitcnt vmcnt(0)
	v_mad_i64_i32 v[12:13], s[4:5], v66, s45, 0
	v_lshl_add_u64 v[2:3], v[44:45], 2, s[12:13]
	v_mfma_f32_16x16x16_bf16 v[14:17], v[16:17], v[24:25], v[56:59]
	v_lshl_add_u64 v[4:5], v[26:27], 2, s[12:13]
	global_load_dword v55, v[2:3], off
	s_nop 0
	global_load_dword v58, v[4:5], off
	v_mad_i64_i32 v[2:3], s[4:5], v65, s45, 0
	v_mfma_f32_16x16x16_bf16 v[14:17], v[30:31], v[18:19], v[14:17]
	v_lshl_add_u64 v[56:57], v[12:13], 1, v[10:11]
	v_pk_mul_f32 v[12:13], s[6:7], v[40:41] op_sel_hi:[0,1]
	v_pk_mul_f32 v[50:51], s[6:7], v[42:43] op_sel_hi:[0,1]
	v_mfma_f32_16x16x16_bf16 v[14:17], v[32:33], v[20:21], v[14:17]
	v_lshl_add_u64 v[2:3], v[2:3], 1, v[10:11]
	v_mfma_f32_16x16x16_bf16 v[30:33], v[46:47], v[22:23], 0
	v_mfma_f32_16x16x16_bf16 v[22:25], v[48:49], v[24:25], v[30:33]
	s_nop 3
	v_pk_mul_f32 v[48:49], s[6:7], v[16:17] op_sel_hi:[0,1]
	v_pk_mul_f32 v[46:47], s[6:7], v[14:15] op_sel_hi:[0,1]
	v_mfma_f32_16x16x16_bf16 v[22:25], v[60:61], v[18:19], v[22:25]
	v_mfma_f32_16x16x16_bf16 v[14:17], v[62:63], v[20:21], v[22:25]
	;; [unrolled: 1-line block ×3, first 2 shown]
	s_nop 2
	global_load_dwordx4 v[6:9], v[2:3], off
	s_nop 0
	global_load_dwordx4 v[2:5], v[2:3], off offset:16
	v_pk_mul_f32 v[44:45], s[6:7], v[14:15] op_sel_hi:[0,1]
	v_and_b32_e32 v14, 0xc0, v0
	v_add_u32_e32 v14, s14, v14
	v_lshl_or_b32 v14, v54, 2, v14
	v_pk_mul_f32 v[38:39], s[6:7], v[16:17] op_sel_hi:[0,1]
	v_or_b32_e32 v17, 1, v14
	v_mov_b32_e32 v15, 0xff7fffff
	v_cmp_gt_i32_e64 s[4:5], s33, v14
	v_cmp_gt_i32_e64 s[34:35], s33, v17
	v_or_b32_e32 v18, 3, v14
	v_cndmask_b32_e64 v16, v15, v12, s[4:5]
	v_cndmask_b32_e64 v17, v15, v13, s[34:35]
	v_max3_f32 v16, v16, s43, v17
	v_or_b32_e32 v17, 2, v14
	v_cmp_gt_i32_e64 s[36:37], s33, v17
	v_cmp_gt_i32_e64 s[38:39], s33, v18
	v_pk_mul_f32 v[42:43], s[6:7], v[26:27] op_sel_hi:[0,1]
	v_cndmask_b32_e64 v17, v15, v50, s[36:37]
	v_cndmask_b32_e64 v18, v15, v51, s[38:39]
	v_max3_f32 v16, v16, v17, v18
	v_or_b32_e32 v17, 16, v14
	v_or_b32_e32 v18, 17, v14
	v_cmp_gt_i32_e64 s[24:25], s33, v17
	v_cmp_gt_i32_e64 s[26:27], s33, v18
	v_pk_mul_f32 v[52:53], s[6:7], v[28:29] op_sel_hi:[0,1]
	v_cndmask_b32_e64 v17, v15, v42, s[24:25]
	v_cndmask_b32_e64 v18, v15, v43, s[26:27]
	v_max3_f32 v16, v16, v17, v18
	v_or_b32_e32 v17, 18, v14
	v_or_b32_e32 v18, 19, v14
	v_cmp_gt_i32_e64 s[20:21], s33, v17
	v_cmp_gt_i32_e64 s[22:23], s33, v18
	global_load_dwordx4 v[30:33], v[56:57], off
	global_load_dwordx4 v[26:29], v[56:57], off offset:16
	v_cndmask_b32_e64 v17, v15, v52, s[20:21]
	v_cndmask_b32_e64 v18, v15, v53, s[22:23]
	v_max3_f32 v16, v16, v17, v18
	v_or_b32_e32 v17, 32, v14
	v_or_b32_e32 v18, 33, v14
	v_cmp_gt_i32_e64 s[16:17], s33, v17
	v_cmp_gt_i32_e64 s[18:19], s33, v18
	s_nop 0
	v_cndmask_b32_e64 v17, v15, v46, s[16:17]
	v_cndmask_b32_e64 v18, v15, v47, s[18:19]
	v_max3_f32 v16, v16, v17, v18
	v_or_b32_e32 v17, 34, v14
	v_or_b32_e32 v18, 35, v14
	v_cmp_gt_i32_e64 s[12:13], s33, v17
	v_cmp_gt_i32_e64 s[14:15], s33, v18
	s_nop 0
	;; [unrolled: 8-line block ×3, first 2 shown]
	v_cndmask_b32_e64 v17, v15, v44, s[8:9]
	v_cndmask_b32_e64 v18, v15, v45, s[10:11]
	v_max3_f32 v16, v16, v17, v18
	v_or_b32_e32 v17, 50, v14
	v_or_b32_e32 v14, 51, v14
	v_cmp_gt_i32_e32 vcc, s33, v17
	v_cmp_gt_i32_e64 s[6:7], s33, v14
	s_nop 0
	v_cndmask_b32_e32 v17, v15, v38, vcc
	v_cndmask_b32_e64 v14, v15, v39, s[6:7]
	v_max3_f32 v16, v16, v17, v14
	v_mbcnt_lo_u32_b32 v14, -1, 0
	v_mbcnt_hi_u32_b32 v17, -1, v14
	v_and_b32_e32 v14, 64, v17
	v_add_u32_e32 v18, 64, v14
	v_xor_b32_e32 v14, 32, v17
	v_cmp_lt_i32_e64 s[40:41], v14, v18
	s_nop 1
	v_cndmask_b32_e64 v14, v17, v14, s[40:41]
	v_lshlrev_b32_e32 v59, 2, v14
	ds_bpermute_b32 v19, v59, v16
	s_waitcnt vmcnt(5)
	v_mad_i64_i32 v[14:15], s[40:41], v55, s45, 0
	v_lshl_add_u64 v[14:15], v[14:15], 1, v[10:11]
	s_waitcnt lgkmcnt(0)
	v_max_f32_e32 v19, v19, v19
	v_max_f32_e32 v16, v16, v19
	v_xor_b32_e32 v19, 16, v17
	v_cmp_lt_i32_e64 s[40:41], v19, v18
	s_nop 1
	v_cndmask_b32_e64 v17, v17, v19, s[40:41]
	v_lshlrev_b32_e32 v57, 2, v17
	ds_bpermute_b32 v17, v57, v16
	global_load_dwordx4 v[22:25], v[14:15], off
	global_load_dwordx4 v[18:21], v[14:15], off offset:16
	s_waitcnt vmcnt(6)
	v_mad_i64_i32 v[14:15], s[40:41], v58, s45, 0
	v_lshl_add_u64 v[10:11], v[14:15], 1, v[10:11]
	s_waitcnt lgkmcnt(0)
	v_max_f32_e32 v14, v17, v17
	v_max_f32_e32 v55, v16, v14
	v_sub_f32_e32 v12, v12, v55
	v_mul_f32_e32 v12, 0x3fb8aa3b, v12
	v_exp_f32_e32 v40, v12
	v_sub_f32_e32 v12, v13, v55
	v_mul_f32_e32 v12, 0x3fb8aa3b, v12
	v_exp_f32_e32 v41, v12
	global_load_dwordx4 v[14:17], v[10:11], off
	s_nop 0
	global_load_dwordx4 v[10:13], v[10:11], off offset:16
	v_sub_f32_e32 v50, v50, v55
	v_mul_f32_e32 v50, 0x3fb8aa3b, v50
	v_sub_f32_e32 v51, v51, v55
	v_exp_f32_e32 v50, v50
	v_mul_f32_e32 v51, 0x3fb8aa3b, v51
	v_sub_f32_e32 v42, v42, v55
	v_exp_f32_e32 v51, v51
	v_mul_f32_e32 v42, 0x3fb8aa3b, v42
	v_sub_f32_e32 v43, v43, v55
	v_cndmask_b32_e64 v40, 0, v40, s[4:5]
	v_exp_f32_e32 v42, v42
	v_mul_f32_e32 v43, 0x3fb8aa3b, v43
	v_sub_f32_e32 v52, v52, v55
	v_add_f32_e32 v56, 0, v40
	v_cndmask_b32_e64 v41, 0, v41, s[34:35]
	v_exp_f32_e32 v43, v43
	v_mul_f32_e32 v52, 0x3fb8aa3b, v52
	v_sub_f32_e32 v53, v53, v55
	v_add_f32_e32 v56, v56, v41
	;; [unrolled: 5-line block ×10, first 2 shown]
	v_cndmask_b32_e64 v48, 0, v48, s[12:13]
	v_exp_f32_e32 v38, v38
	v_mul_f32_e32 v39, 0x3fb8aa3b, v39
	v_add_f32_e32 v56, v56, v48
	v_cndmask_b32_e64 v49, 0, v49, s[14:15]
	v_exp_f32_e32 v39, v39
	v_add_f32_e32 v56, v56, v49
	v_cndmask_b32_e64 v44, 0, v44, s[8:9]
	v_add_f32_e32 v56, v56, v44
	v_cndmask_b32_e64 v45, 0, v45, s[10:11]
	v_add_f32_e32 v56, v56, v45
	v_cndmask_b32_e32 v38, 0, v38, vcc
	v_add_f32_e32 v56, v56, v38
	v_cndmask_b32_e64 v39, 0, v39, s[6:7]
	v_add_f32_e32 v56, v56, v39
	ds_bpermute_b32 v58, v59, v56
	v_cmp_gt_u32_e32 vcc, 16, v37
	v_lshlrev_b32_e32 v37, 2, v36
	s_waitcnt lgkmcnt(0)
	s_barrier
	v_add_f32_e32 v56, v56, v58
	ds_bpermute_b32 v57, v57, v56
	s_waitcnt lgkmcnt(0)
	s_and_saveexec_b64 s[4:5], vcc
	s_cbranch_execz .LBB530_15
; %bb.14:
	v_add_f32_e32 v56, v56, v57
	v_lshl_or_b32 v57, v1, 6, v37
	ds_write2st64_b32 v57, v55, v56 offset1:1
.LBB530_15:
	s_or_b64 exec, exec, s[4:5]
	s_load_dword s6, s[0:1], 0x94
	s_waitcnt lgkmcnt(0)
	s_barrier
	ds_read2_b32 v[56:57], v37 offset1:16
	ds_read2_b32 v[58:59], v37 offset0:32 offset1:48
	ds_read2_b32 v[60:61], v37 offset0:64 offset1:80
	;; [unrolled: 1-line block ×3, first 2 shown]
	s_movk_i32 s8, 0x7fff
	s_waitcnt lgkmcnt(3)
	v_max3_f32 v55, v56, s43, v57
	s_waitcnt lgkmcnt(2)
	v_max3_f32 v55, v55, v58, v59
	v_sub_f32_e32 v56, v56, v55
	v_mul_f32_e32 v56, 0x3fb8aa3b, v56
	v_exp_f32_e32 v64, v56
	v_sub_f32_e32 v56, v57, v55
	v_mul_f32_e32 v56, 0x3fb8aa3b, v56
	v_exp_f32_e32 v57, v56
	v_sub_f32_e32 v56, v58, v55
	v_mul_f32_e32 v56, 0x3fb8aa3b, v56
	v_sub_f32_e32 v37, v59, v55
	v_exp_f32_e32 v58, v56
	v_mul_f32_e32 v37, 0x3fb8aa3b, v37
	v_exp_f32_e32 v37, v37
	s_waitcnt lgkmcnt(1)
	v_fma_f32 v56, v64, v60, 0
	v_fmac_f32_e32 v56, v57, v61
	s_waitcnt lgkmcnt(0)
	v_fmac_f32_e32 v56, v58, v62
	v_fmac_f32_e32 v56, v37, v63
	v_add_f32_e32 v59, 0x358637bd, v56
	v_div_scale_f32 v60, s[4:5], v59, v59, 1.0
	v_rcp_f32_e32 v61, v60
	s_mov_b32 s9, 0x7060302
	s_barrier
	v_fma_f32 v62, -v60, v61, 1.0
	v_fmac_f32_e32 v61, v62, v61
	v_div_scale_f32 v62, vcc, 1.0, v59, 1.0
	v_mul_f32_e32 v63, v62, v61
	v_fma_f32 v65, -v60, v63, v62
	v_fmac_f32_e32 v63, v65, v61
	v_fma_f32 v60, -v60, v63, v62
	v_div_fmas_f32 v60, v60, v61, v63
	v_cmp_eq_u32_e32 vcc, 1, v1
	v_div_fixup_f32 v59, v60, v59, 1.0
	s_nop 0
	v_cndmask_b32_e32 v57, v64, v57, vcc
	v_cmp_eq_u32_e32 vcc, 2, v1
	s_mul_i32 s7, s29, 15
	s_nop 0
	v_cndmask_b32_e32 v57, v57, v58, vcc
	v_cmp_eq_u32_e32 vcc, 3, v1
	v_lshlrev_b32_e32 v1, 11, v1
	s_nop 0
	v_cndmask_b32_e32 v37, v57, v37, vcc
	v_mul_f32_e32 v58, v37, v59
	v_pk_mul_f32 v[40:41], v[58:59], v[40:41] op_sel_hi:[0,1]
	v_bfe_u32 v37, v41, 16, 1
	v_bfe_u32 v57, v40, 16, 1
	v_pk_mul_f32 v[50:51], v[58:59], v[50:51] op_sel_hi:[0,1]
	v_add3_u32 v40, v40, v57, s8
	v_add3_u32 v37, v41, v37, s8
	v_perm_b32 v60, v37, v40, s9
	v_bfe_u32 v37, v51, 16, 1
	v_bfe_u32 v40, v50, 16, 1
	v_add3_u32 v40, v50, v40, s8
	v_add3_u32 v37, v51, v37, s8
	v_perm_b32 v61, v37, v40, s9
	v_lshlrev_b32_e32 v37, 3, v54
	v_lshlrev_b32_e32 v40, 5, v36
	v_pk_mul_f32 v[42:43], v[58:59], v[42:43] op_sel_hi:[0,1]
	v_or3_b32 v1, v1, v40, v37
	v_bfe_u32 v37, v43, 16, 1
	v_bfe_u32 v41, v42, 16, 1
	v_pk_mul_f32 v[50:51], v[58:59], v[52:53] op_sel_hi:[0,1]
	v_add3_u32 v41, v42, v41, s8
	v_add3_u32 v37, v43, v37, s8
	v_perm_b32 v42, v37, v41, s9
	v_bfe_u32 v37, v51, 16, 1
	v_bfe_u32 v41, v50, 16, 1
	v_add3_u32 v41, v50, v41, s8
	v_add3_u32 v37, v51, v37, s8
	v_pk_mul_f32 v[46:47], v[58:59], v[46:47] op_sel_hi:[0,1]
	v_perm_b32 v43, v37, v41, s9
	v_bfe_u32 v37, v47, 16, 1
	v_bfe_u32 v41, v46, 16, 1
	ds_write2st64_b64 v1, v[60:61], v[42:43] offset1:1
	v_pk_mul_f32 v[42:43], v[58:59], v[48:49] op_sel_hi:[0,1]
	v_add3_u32 v41, v46, v41, s8
	v_add3_u32 v37, v47, v37, s8
	v_perm_b32 v46, v37, v41, s9
	v_bfe_u32 v37, v43, 16, 1
	v_bfe_u32 v41, v42, 16, 1
	v_add3_u32 v41, v42, v41, s8
	v_add3_u32 v37, v43, v37, s8
	v_pk_mul_f32 v[42:43], v[58:59], v[44:45] op_sel_hi:[0,1]
	v_perm_b32 v47, v37, v41, s9
	v_bfe_u32 v37, v43, 16, 1
	v_bfe_u32 v41, v42, 16, 1
	v_pk_mul_f32 v[38:39], v[58:59], v[38:39] op_sel_hi:[0,1]
	v_add3_u32 v41, v42, v41, s8
	v_add3_u32 v37, v43, v37, s8
	v_perm_b32 v42, v37, v41, s9
	v_bfe_u32 v37, v39, 16, 1
	v_bfe_u32 v41, v38, 16, 1
	v_add3_u32 v38, v38, v41, s8
	v_add3_u32 v37, v39, v37, s8
	v_perm_b32 v43, v37, v38, s9
	v_cmp_gt_u32_e32 vcc, 15, v0
	ds_write2st64_b64 v1, v[46:47], v[42:43] offset0:2 offset1:3
	s_and_saveexec_b64 s[4:5], vcc
	s_cbranch_execz .LBB530_17
; %bb.16:
	s_mov_b32 s43, 0
	v_mov_b32_e32 v37, 0
	v_lshl_add_u64 v[38:39], s[42:43], 0, v[36:37]
	v_mov_b32_e32 v36, s7
	v_mad_u64_u32 v[38:39], s[10:11], s2, v36, v[38:39]
	v_mov_b32_e32 v36, s28
	s_load_dwordx4 s[12:15], s[0:1], 0x58
	s_mul_i32 s3, s3, s7
	v_mad_u64_u32 v[36:37], s[10:11], v38, s6, v[36:37]
	v_add_u32_e32 v39, s3, v39
	v_mov_b32_e32 v38, v37
	v_mad_u64_u32 v[38:39], s[10:11], v39, s6, v[38:39]
	v_mov_b32_e32 v37, v38
	v_lshlrev_b64 v[36:37], 2, v[36:37]
	s_waitcnt lgkmcnt(0)
	v_lshl_add_u64 v[38:39], s[14:15], 0, v[36:37]
	v_lshl_add_u64 v[36:37], s[12:13], 0, v[36:37]
	global_store_dword v[38:39], v55, off
	global_store_dword v[36:37], v56, off
.LBB530_17:
	s_or_b64 exec, exec, s[4:5]
	v_lshl_or_b32 v48, v54, 9, v40
	s_waitcnt lgkmcnt(0)
	s_barrier
	ds_read_b128 v[36:39], v48
	ds_read_b128 v[40:43], v48 offset:16
	s_waitcnt vmcnt(7) lgkmcnt(1)
	v_mfma_f32_16x16x16_bf16 v[44:47], v[6:7], v[36:37], 0
	v_cmp_gt_u32_e32 vcc, 64, v0
	s_mov_b32 s3, 0
	s_and_b64 s[4:5], vcc, s[30:31]
	v_mfma_f32_16x16x16_bf16 v[6:9], v[8:9], v[38:39], v[44:47]
	s_waitcnt vmcnt(6) lgkmcnt(0)
	v_mfma_f32_16x16x16_bf16 v[6:9], v[2:3], v[40:41], v[6:9]
	v_mfma_f32_16x16x16_bf16 v[2:5], v[4:5], v[42:43], v[6:9]
	s_nop 5
	ds_read_b128 v[6:9], v48 offset:2048
	ds_read_b128 v[36:39], v48 offset:2064
	s_waitcnt vmcnt(5) lgkmcnt(1)
	v_mfma_f32_16x16x16_bf16 v[2:5], v[30:31], v[6:7], v[2:5]
	v_mfma_f32_16x16x16_bf16 v[2:5], v[32:33], v[8:9], v[2:5]
	s_waitcnt vmcnt(4) lgkmcnt(0)
	v_mfma_f32_16x16x16_bf16 v[2:5], v[26:27], v[36:37], v[2:5]
	v_mfma_f32_16x16x16_bf16 v[2:5], v[28:29], v[38:39], v[2:5]
	ds_read_b128 v[6:9], v48 offset:4096
	ds_read_b128 v[26:29], v48 offset:4112
	s_waitcnt vmcnt(3) lgkmcnt(1)
	v_mfma_f32_16x16x16_bf16 v[2:5], v[22:23], v[6:7], v[2:5]
	v_mfma_f32_16x16x16_bf16 v[2:5], v[24:25], v[8:9], v[2:5]
	s_waitcnt vmcnt(2) lgkmcnt(0)
	v_mfma_f32_16x16x16_bf16 v[2:5], v[18:19], v[26:27], v[2:5]
	v_mfma_f32_16x16x16_bf16 v[2:5], v[20:21], v[28:29], v[2:5]
	ds_read_b128 v[6:9], v48 offset:6144
	ds_read_b128 v[18:21], v48 offset:6160
	s_waitcnt lgkmcnt(0)
	s_barrier
	s_waitcnt vmcnt(1)
	v_mfma_f32_16x16x16_bf16 v[2:5], v[14:15], v[6:7], v[2:5]
	v_mfma_f32_16x16x16_bf16 v[2:5], v[16:17], v[8:9], v[2:5]
	s_waitcnt vmcnt(0)
	v_mfma_f32_16x16x16_bf16 v[2:5], v[10:11], v[18:19], v[2:5]
	v_mfma_f32_16x16x16_bf16 v[2:5], v[12:13], v[20:21], v[2:5]
	s_nop 6
	v_bfe_u32 v6, v3, 16, 1
	v_bfe_u32 v7, v2, 16, 1
	;; [unrolled: 1-line block ×4, first 2 shown]
	v_add3_u32 v2, v2, v7, s8
	v_add3_u32 v3, v3, v6, s8
	;; [unrolled: 1-line block ×4, first 2 shown]
	v_perm_b32 v2, v3, v2, s9
	v_perm_b32 v3, v5, v4, s9
	ds_write_b64 v1, v[2:3]
	s_waitcnt lgkmcnt(0)
	s_barrier
	s_and_saveexec_b64 s[8:9], s[4:5]
	s_cbranch_execz .LBB530_20
; %bb.18:
	s_load_dwordx2 s[4:5], s[0:1], 0x68
	s_lshl_b32 s0, s6, 6
	s_mul_i32 s1, s7, s2
	s_mul_hi_u32 s7, s1, s0
	s_mul_i32 s6, s1, s0
	v_lshlrev_b32_e32 v1, 10, v0
	v_lshlrev_b32_e32 v0, 4, v0
	s_lshl_b64 s[6:7], s[6:7], 1
	v_and_b32_e32 v1, 0x1800, v1
	v_lshlrev_b32_e32 v2, 5, v54
	v_and_b32_e32 v0, 16, v0
	s_waitcnt lgkmcnt(0)
	s_add_u32 s1, s4, s6
	v_or3_b32 v2, v1, v2, v0
	s_addc_u32 s4, s5, s7
	s_lshl_b32 s2, s28, 6
	ds_read_b128 v[4:7], v2 offset:256
	s_lshl_b64 s[2:3], s[2:3], 1
	ds_read_b128 v[8:11], v2 offset:128
	ds_read_b128 v[12:15], v2
	s_add_u32 s2, s1, s2
	s_addc_u32 s3, s4, s3
	v_add_u32_e32 v3, s42, v54
	v_lshl_add_u64 v[0:1], v[34:35], 1, s[2:3]
	v_mad_u64_u32 v[16:17], s[2:3], v3, s0, 0
	v_lshl_add_u64 v[16:17], v[16:17], 1, v[0:1]
	s_waitcnt lgkmcnt(0)
	global_store_dwordx4 v[16:17], v[12:15], off
	v_cmp_ne_u32_e32 vcc, 3, v54
	s_nop 0
	v_add_u32_e32 v12, 4, v3
	v_mad_u64_u32 v[12:13], s[2:3], v12, s0, 0
	v_lshl_add_u64 v[12:13], v[12:13], 1, v[0:1]
	v_add_u32_e32 v3, 8, v3
	global_store_dwordx4 v[12:13], v[8:11], off
	s_nop 1
	v_mad_u64_u32 v[8:9], s[2:3], v3, s0, 0
	v_lshl_add_u64 v[8:9], v[8:9], 1, v[0:1]
	global_store_dwordx4 v[8:9], v[4:7], off
	s_and_b64 exec, exec, vcc
	s_cbranch_execz .LBB530_20
; %bb.19:
	ds_read_b128 v[2:5], v2 offset:384
	v_add3_u32 v6, s42, v54, 12
	v_mad_u64_u32 v[6:7], s[0:1], v6, s0, 0
	v_lshl_add_u64 v[0:1], v[6:7], 1, v[0:1]
	s_waitcnt lgkmcnt(0)
	global_store_dwordx4 v[0:1], v[2:5], off
.LBB530_20:
	s_endpgm
	.section	.rodata,"a",@progbits
	.p2align	6, 0x0
	.amdhsa_kernel _Z39paged_attention_ll4mi_QKV_mfma16_kernelI14__hip_bfloat16S0_LN4vllm18Fp8KVCacheDataTypeE0EhLi32ELi64ELi256ELb0ELi15EEvPKT_PKT0_S8_ifPKiSA_SA_iPKfiiiPfSD_PS3_PT2_iSC_SC_
		.amdhsa_group_segment_fixed_size 8192
		.amdhsa_private_segment_fixed_size 0
		.amdhsa_kernarg_size 400
		.amdhsa_user_sgpr_count 2
		.amdhsa_user_sgpr_dispatch_ptr 0
		.amdhsa_user_sgpr_queue_ptr 0
		.amdhsa_user_sgpr_kernarg_segment_ptr 1
		.amdhsa_user_sgpr_dispatch_id 0
		.amdhsa_user_sgpr_kernarg_preload_length 0
		.amdhsa_user_sgpr_kernarg_preload_offset 0
		.amdhsa_user_sgpr_private_segment_size 0
		.amdhsa_uses_dynamic_stack 0
		.amdhsa_enable_private_segment 0
		.amdhsa_system_sgpr_workgroup_id_x 1
		.amdhsa_system_sgpr_workgroup_id_y 1
		.amdhsa_system_sgpr_workgroup_id_z 1
		.amdhsa_system_sgpr_workgroup_info 0
		.amdhsa_system_vgpr_workitem_id 0
		.amdhsa_next_free_vgpr 67
		.amdhsa_next_free_sgpr 48
		.amdhsa_accum_offset 68
		.amdhsa_reserve_vcc 1
		.amdhsa_float_round_mode_32 0
		.amdhsa_float_round_mode_16_64 0
		.amdhsa_float_denorm_mode_32 3
		.amdhsa_float_denorm_mode_16_64 3
		.amdhsa_dx10_clamp 1
		.amdhsa_ieee_mode 1
		.amdhsa_fp16_overflow 0
		.amdhsa_tg_split 0
		.amdhsa_exception_fp_ieee_invalid_op 0
		.amdhsa_exception_fp_denorm_src 0
		.amdhsa_exception_fp_ieee_div_zero 0
		.amdhsa_exception_fp_ieee_overflow 0
		.amdhsa_exception_fp_ieee_underflow 0
		.amdhsa_exception_fp_ieee_inexact 0
		.amdhsa_exception_int_div_zero 0
	.end_amdhsa_kernel
	.section	.text._Z39paged_attention_ll4mi_QKV_mfma16_kernelI14__hip_bfloat16S0_LN4vllm18Fp8KVCacheDataTypeE0EhLi32ELi64ELi256ELb0ELi15EEvPKT_PKT0_S8_ifPKiSA_SA_iPKfiiiPfSD_PS3_PT2_iSC_SC_,"axG",@progbits,_Z39paged_attention_ll4mi_QKV_mfma16_kernelI14__hip_bfloat16S0_LN4vllm18Fp8KVCacheDataTypeE0EhLi32ELi64ELi256ELb0ELi15EEvPKT_PKT0_S8_ifPKiSA_SA_iPKfiiiPfSD_PS3_PT2_iSC_SC_,comdat
.Lfunc_end530:
	.size	_Z39paged_attention_ll4mi_QKV_mfma16_kernelI14__hip_bfloat16S0_LN4vllm18Fp8KVCacheDataTypeE0EhLi32ELi64ELi256ELb0ELi15EEvPKT_PKT0_S8_ifPKiSA_SA_iPKfiiiPfSD_PS3_PT2_iSC_SC_, .Lfunc_end530-_Z39paged_attention_ll4mi_QKV_mfma16_kernelI14__hip_bfloat16S0_LN4vllm18Fp8KVCacheDataTypeE0EhLi32ELi64ELi256ELb0ELi15EEvPKT_PKT0_S8_ifPKiSA_SA_iPKfiiiPfSD_PS3_PT2_iSC_SC_
                                        ; -- End function
	.section	.AMDGPU.csdata,"",@progbits
; Kernel info:
; codeLenInByte = 4200
; NumSgprs: 54
; NumVgprs: 67
; NumAgprs: 0
; TotalNumVgprs: 67
; ScratchSize: 0
; MemoryBound: 0
; FloatMode: 240
; IeeeMode: 1
; LDSByteSize: 8192 bytes/workgroup (compile time only)
; SGPRBlocks: 6
; VGPRBlocks: 8
; NumSGPRsForWavesPerEU: 54
; NumVGPRsForWavesPerEU: 67
; AccumOffset: 68
; Occupancy: 7
; WaveLimiterHint : 1
; COMPUTE_PGM_RSRC2:SCRATCH_EN: 0
; COMPUTE_PGM_RSRC2:USER_SGPR: 2
; COMPUTE_PGM_RSRC2:TRAP_HANDLER: 0
; COMPUTE_PGM_RSRC2:TGID_X_EN: 1
; COMPUTE_PGM_RSRC2:TGID_Y_EN: 1
; COMPUTE_PGM_RSRC2:TGID_Z_EN: 1
; COMPUTE_PGM_RSRC2:TIDIG_COMP_CNT: 0
; COMPUTE_PGM_RSRC3_GFX90A:ACCUM_OFFSET: 16
; COMPUTE_PGM_RSRC3_GFX90A:TG_SPLIT: 0
	.section	.text._Z39paged_attention_ll4mi_QKV_mfma16_kernelI14__hip_bfloat16S0_LN4vllm18Fp8KVCacheDataTypeE0EhLi32ELi64ELi256ELb0ELi16EEvPKT_PKT0_S8_ifPKiSA_SA_iPKfiiiPfSD_PS3_PT2_iSC_SC_,"axG",@progbits,_Z39paged_attention_ll4mi_QKV_mfma16_kernelI14__hip_bfloat16S0_LN4vllm18Fp8KVCacheDataTypeE0EhLi32ELi64ELi256ELb0ELi16EEvPKT_PKT0_S8_ifPKiSA_SA_iPKfiiiPfSD_PS3_PT2_iSC_SC_,comdat
	.protected	_Z39paged_attention_ll4mi_QKV_mfma16_kernelI14__hip_bfloat16S0_LN4vllm18Fp8KVCacheDataTypeE0EhLi32ELi64ELi256ELb0ELi16EEvPKT_PKT0_S8_ifPKiSA_SA_iPKfiiiPfSD_PS3_PT2_iSC_SC_ ; -- Begin function _Z39paged_attention_ll4mi_QKV_mfma16_kernelI14__hip_bfloat16S0_LN4vllm18Fp8KVCacheDataTypeE0EhLi32ELi64ELi256ELb0ELi16EEvPKT_PKT0_S8_ifPKiSA_SA_iPKfiiiPfSD_PS3_PT2_iSC_SC_
	.globl	_Z39paged_attention_ll4mi_QKV_mfma16_kernelI14__hip_bfloat16S0_LN4vllm18Fp8KVCacheDataTypeE0EhLi32ELi64ELi256ELb0ELi16EEvPKT_PKT0_S8_ifPKiSA_SA_iPKfiiiPfSD_PS3_PT2_iSC_SC_
	.p2align	8
	.type	_Z39paged_attention_ll4mi_QKV_mfma16_kernelI14__hip_bfloat16S0_LN4vllm18Fp8KVCacheDataTypeE0EhLi32ELi64ELi256ELb0ELi16EEvPKT_PKT0_S8_ifPKiSA_SA_iPKfiiiPfSD_PS3_PT2_iSC_SC_,@function
_Z39paged_attention_ll4mi_QKV_mfma16_kernelI14__hip_bfloat16S0_LN4vllm18Fp8KVCacheDataTypeE0EhLi32ELi64ELi256ELb0ELi16EEvPKT_PKT0_S8_ifPKiSA_SA_iPKfiiiPfSD_PS3_PT2_iSC_SC_: ; @_Z39paged_attention_ll4mi_QKV_mfma16_kernelI14__hip_bfloat16S0_LN4vllm18Fp8KVCacheDataTypeE0EhLi32ELi64ELi256ELb0ELi16EEvPKT_PKT0_S8_ifPKiSA_SA_iPKfiiiPfSD_PS3_PT2_iSC_SC_
; %bb.0:
	s_load_dwordx2 s[6:7], s[0:1], 0x30
	s_mov_b32 s28, s3
	s_mov_b64 s[10:11], 0
	s_waitcnt lgkmcnt(0)
	s_cmp_lg_u64 s[6:7], 0
	s_cselect_b64 s[8:9], -1, 0
	s_and_b64 vcc, exec, s[8:9]
	s_cbranch_vccz .LBB531_7
; %bb.1:
	s_add_i32 s12, s2, 1
	s_mov_b32 s13, 0
	s_lshl_b64 s[14:15], s[12:13], 2
	s_add_u32 s14, s6, s14
	s_mov_b32 s3, s13
	s_addc_u32 s15, s7, s15
	s_lshl_b64 s[12:13], s[2:3], 2
	s_add_u32 s12, s6, s12
	s_addc_u32 s13, s7, s13
	s_load_dword s5, s[14:15], 0x0
	s_load_dword s16, s[12:13], 0x0
	s_waitcnt lgkmcnt(0)
	s_sub_i32 s5, s5, s16
	s_cmp_eq_u32 s5, 1
	s_cselect_b64 s[12:13], -1, 0
	s_andn2_b64 vcc, exec, s[10:11]
	s_cbranch_vccnz .LBB531_3
.LBB531_2:
	s_mov_b32 s3, 0
	s_mov_b64 s[12:13], -1
.LBB531_3:
	s_andn2_b64 vcc, exec, s[12:13]
	s_cbranch_vccnz .LBB531_19
; %bb.4:
	s_load_dwordx2 s[12:13], s[0:1], 0x28
	s_lshl_b64 s[10:11], s[2:3], 2
	s_waitcnt lgkmcnt(0)
	s_add_u32 s12, s12, s10
	s_addc_u32 s13, s13, s11
	s_load_dword s40, s[12:13], 0x0
	s_lshl_b32 s14, s28, 8
	s_waitcnt lgkmcnt(0)
	s_cmp_ge_i32 s14, s40
	s_cbranch_scc1 .LBB531_19
; %bb.5:
	s_load_dwordx2 s[12:13], s[0:1], 0x20
	s_load_dword s5, s[0:1], 0x38
	s_add_i32 s15, s40, 31
	s_ashr_i32 s16, s15, 31
	v_and_b32_e32 v1, 0xcf, v0
	s_lshr_b32 s16, s16, 27
	v_add_u32_e32 v1, s14, v1
	s_add_i32 s15, s15, s16
	v_ashrrev_i32_e32 v2, 31, v1
	s_ashr_i32 s15, s15, 5
	v_lshrrev_b32_e32 v10, 27, v2
	s_add_i32 s15, s15, -1
	s_waitcnt lgkmcnt(0)
	s_mul_i32 s16, s2, s5
	s_mov_b32 s17, 0
	v_add_u32_e32 v2, v1, v10
	s_lshl_b64 s[16:17], s[16:17], 2
	v_ashrrev_i32_e32 v2, 5, v2
	v_mov_b32_e32 v11, s15
	v_cmp_gt_i32_e32 vcc, s40, v1
	s_add_u32 s12, s12, s16
	s_addc_u32 s13, s13, s17
	v_cndmask_b32_e32 v2, v11, v2, vcc
	v_ashrrev_i32_e32 v3, 31, v2
	v_lshl_add_u64 v[4:5], v[2:3], 2, s[12:13]
	v_or_b32_e32 v2, 16, v1
	v_add_u32_e32 v3, v2, v10
	v_ashrrev_i32_e32 v3, 5, v3
	v_cmp_gt_i32_e32 vcc, s40, v2
	s_nop 1
	v_cndmask_b32_e32 v2, v11, v3, vcc
	v_ashrrev_i32_e32 v3, 31, v2
	v_lshl_add_u64 v[6:7], v[2:3], 2, s[12:13]
	v_or_b32_e32 v2, 32, v1
	v_add_u32_e32 v3, v2, v10
	v_ashrrev_i32_e32 v3, 5, v3
	v_cmp_gt_i32_e32 vcc, s40, v2
	v_or_b32_e32 v1, 48, v1
	s_nop 0
	v_cndmask_b32_e32 v2, v11, v3, vcc
	v_ashrrev_i32_e32 v3, 31, v2
	v_lshl_add_u64 v[8:9], v[2:3], 2, s[12:13]
	v_add_u32_e32 v2, v1, v10
	v_ashrrev_i32_e32 v2, 5, v2
	v_cmp_gt_i32_e32 vcc, s40, v1
	s_nop 1
	v_cndmask_b32_e32 v2, v11, v2, vcc
	v_ashrrev_i32_e32 v3, 31, v2
	v_lshl_add_u64 v[12:13], v[2:3], 2, s[12:13]
	global_load_dword v3, v[4:5], off
	global_load_dword v2, v[6:7], off
	;; [unrolled: 1-line block ×4, first 2 shown]
	s_andn2_b64 vcc, exec, s[8:9]
	s_cbranch_vccnz .LBB531_8
; %bb.6:
	s_add_u32 s6, s6, s10
	s_addc_u32 s7, s7, s11
	s_load_dword s5, s[6:7], 0x0
	s_branch .LBB531_9
.LBB531_7:
	s_mov_b64 s[12:13], 0
	s_branch .LBB531_2
.LBB531_8:
	s_mov_b32 s5, s2
.LBB531_9:
	s_load_dwordx4 s[8:11], s[0:1], 0x8
	s_load_dwordx4 s[44:47], s[0:1], 0x48
	v_and_b32_e32 v53, 15, v0
	s_movk_i32 s6, 0xff
	v_cmp_lt_u32_e32 vcc, s6, v0
	v_cmp_lt_u32_e64 s[6:7], 7, v53
	v_lshlrev_b32_e32 v34, 3, v53
	v_cmp_gt_u32_e64 s[30:31], 8, v53
	s_or_b64 s[6:7], vcc, s[6:7]
	s_and_saveexec_b64 s[16:17], s[6:7]
	s_xor_b64 s[6:7], exec, s[16:17]
; %bb.10:
	v_mov_b32_e32 v35, 0
; %bb.11:
	s_or_saveexec_b64 s[6:7], s[6:7]
	v_lshrrev_b32_e32 v54, 6, v0
	v_and_b32_e32 v55, 63, v0
	s_lshl_b32 s29, s4, 4
	v_bfe_u32 v1, v0, 4, 2
	s_xor_b64 exec, exec, s[6:7]
	s_cbranch_execz .LBB531_13
; %bb.12:
	s_load_dwordx2 s[16:17], s[0:1], 0x0
	s_waitcnt lgkmcnt(0)
	s_ashr_i32 s18, s44, 31
	s_mul_hi_u32 s19, s5, s44
	s_mul_i32 s18, s5, s18
	s_add_i32 s19, s19, s18
	s_mul_i32 s18, s5, s44
	v_lshl_or_b32 v8, v54, 2, v1
	s_lshl_b64 s[18:19], s[18:19], 1
	s_add_u32 s16, s16, s18
	v_add_lshl_u32 v4, v8, s29, 6
	s_addc_u32 s17, s17, s19
	v_ashrrev_i32_e32 v5, 31, v4
	v_mov_b32_e32 v35, 0
	v_lshl_add_u64 v[4:5], v[4:5], 1, s[16:17]
	v_lshlrev_b32_e32 v6, 1, v34
	v_mov_b32_e32 v7, v35
	v_lshl_add_u64 v[4:5], v[4:5], 0, v[6:7]
	global_load_dwordx4 v[4:7], v[4:5], off
	v_and_b32_e32 v9, 3, v0
	v_lshlrev_b32_e32 v11, 9, v53
	v_lshlrev_b32_e32 v8, 5, v8
	;; [unrolled: 1-line block ×3, first 2 shown]
	v_and_b32_e32 v11, 0x1800, v11
	v_or3_b32 v8, v11, v9, v8
	s_waitcnt vmcnt(0)
	ds_write_b128 v8, v[4:7]
.LBB531_13:
	s_or_b64 exec, exec, s[6:7]
	s_waitcnt lgkmcnt(0)
	s_mul_i32 s4, s4, s46
	s_mov_b32 s5, 0
	s_lshl_b64 s[4:5], s[4:5], 1
	s_add_u32 s8, s8, s4
	s_addc_u32 s9, s9, s5
	s_waitcnt vmcnt(3)
	v_mad_i64_i32 v[4:5], s[16:17], v3, s45, 0
	v_lshl_add_u64 v[4:5], v[4:5], 1, s[8:9]
	v_lshlrev_b64 v[12:13], 1, v[34:35]
	v_lshlrev_b32_e32 v36, 9, v1
	v_lshl_add_u64 v[4:5], v[4:5], 0, v[12:13]
	v_mov_b32_e32 v37, 0
	v_lshl_add_u64 v[20:21], v[4:5], 0, v[36:37]
	s_waitcnt vmcnt(2)
	v_mad_i64_i32 v[2:3], s[16:17], v2, s45, 0
	v_mov_b32_e32 v4, 0x100
	v_lshl_add_u64 v[2:3], v[2:3], 1, s[8:9]
	v_lshl_or_b32 v38, v53, 4, v4
	v_mov_b32_e32 v39, v37
	s_load_dword s33, s[0:1], 0x98
	s_load_dword s6, s[0:1], 0x1c
	s_waitcnt lgkmcnt(0)
	s_barrier
	v_lshl_add_u64 v[2:3], v[2:3], 0, v[38:39]
	global_load_dwordx4 v[6:9], v[20:21], off
	v_lshl_add_u64 v[22:23], v[2:3], 0, v[36:37]
	global_load_dwordx4 v[2:5], v[22:23], off
	s_waitcnt vmcnt(3)
	v_mad_i64_i32 v[10:11], s[16:17], v10, s45, 0
	v_lshl_add_u64 v[10:11], v[10:11], 1, s[8:9]
	v_lshl_add_u64 v[10:11], v[10:11], 0, v[12:13]
	;; [unrolled: 1-line block ×3, first 2 shown]
	global_load_dwordx4 v[14:17], v[24:25], off
	global_load_dwordx4 v[10:13], v[20:21], off offset:2048
	global_load_dwordx4 v[26:29], v[22:23], off offset:2048
	;; [unrolled: 1-line block ×3, first 2 shown]
	s_waitcnt vmcnt(6)
	v_mad_i64_i32 v[40:41], s[16:17], v18, s45, 0
	v_lshl_add_u64 v[40:41], v[40:41], 1, s[8:9]
	v_lshl_add_u64 v[38:39], v[40:41], 0, v[38:39]
	v_lshl_or_b32 v52, v53, 5, v36
	v_lshl_add_u64 v[38:39], v[38:39], 0, v[36:37]
	ds_read_b128 v[22:25], v52
	ds_read_b128 v[18:21], v52 offset:2048
	global_load_dwordx4 v[44:47], v[38:39], off
	global_load_dwordx4 v[60:63], v[38:39], off offset:2048
	s_ashr_i32 s7, s14, 31
	v_and_or_b32 v64, v0, 48, s14
	s_lshr_b32 s7, s7, 27
	v_add_u32_e32 v40, s7, v64
	v_mov_b32_e32 v65, s15
	v_or_b32_e32 v48, 64, v64
	v_ashrrev_i32_e32 v36, 5, v40
	v_cmp_gt_i32_e32 vcc, s40, v64
	v_add_u32_e32 v41, s7, v48
	v_ashrrev_i32_e32 v49, 5, v41
	v_cndmask_b32_e32 v40, v65, v36, vcc
	v_ashrrev_i32_e32 v41, 31, v40
	v_lshl_add_u64 v[40:41], v[40:41], 2, s[12:13]
	v_cmp_gt_i32_e32 vcc, s40, v48
	global_load_dword v66, v[40:41], off
	v_or_b32_e32 v39, 0x80, v64
	v_and_b32_e32 v36, 16, v0
	s_add_u32 s4, s10, s4
	v_lshlrev_b32_e32 v38, 6, v53
	s_addc_u32 s5, s11, s5
	v_lshlrev_b32_e32 v36, 1, v36
	s_mov_b32 s42, 0xff7fffff
	s_waitcnt vmcnt(6) lgkmcnt(1)
	v_mfma_f32_16x16x16_bf16 v[56:59], v[14:15], v[22:23], 0
	v_mfma_f32_16x16x16_bf16 v[40:43], v[6:7], v[22:23], 0
	v_cndmask_b32_e32 v6, v65, v49, vcc
	v_ashrrev_i32_e32 v7, 31, v6
	v_cmp_gt_i32_e32 vcc, s40, v39
	v_mfma_f32_16x16x16_bf16 v[48:51], v[2:3], v[22:23], 0
	v_lshl_add_u64 v[2:3], v[6:7], 2, s[12:13]
	global_load_dword v67, v[2:3], off
	v_mfma_f32_16x16x16_bf16 v[6:9], v[8:9], v[24:25], v[40:43]
	v_mfma_f32_16x16x16_bf16 v[2:5], v[4:5], v[24:25], v[48:51]
	s_nop 1
	v_or_b32_e32 v40, 0xc0, v64
	v_add_u32_e32 v41, s7, v39
	v_add_u32_e32 v42, s7, v40
	s_waitcnt vmcnt(6) lgkmcnt(0)
	v_mfma_f32_16x16x16_bf16 v[6:9], v[10:11], v[18:19], v[6:9]
	v_ashrrev_i32_e32 v41, 5, v41
	v_ashrrev_i32_e32 v43, 5, v42
	v_cndmask_b32_e32 v42, v65, v41, vcc
	v_cmp_gt_i32_e32 vcc, s40, v40
	s_waitcnt vmcnt(5)
	v_mfma_f32_16x16x16_bf16 v[2:5], v[26:27], v[18:19], v[2:5]
	v_lshl_add_u64 v[10:11], s[4:5], 0, v[36:37]
	v_cndmask_b32_e32 v26, v65, v43, vcc
	v_ashrrev_i32_e32 v43, 31, v42
	v_lshl_or_b32 v36, v54, 10, v38
	v_ashrrev_i32_e32 v27, 31, v26
	v_mfma_f32_16x16x16_bf16 v[38:41], v[12:13], v[20:21], v[6:9]
	v_lshl_add_u64 v[10:11], v[10:11], 0, v[36:37]
	s_waitcnt vmcnt(0)
	v_mad_i64_i32 v[12:13], s[4:5], v67, s45, 0
	v_lshl_add_u64 v[6:7], v[42:43], 2, s[12:13]
	v_mfma_f32_16x16x16_bf16 v[14:17], v[16:17], v[24:25], v[56:59]
	v_lshl_add_u64 v[8:9], v[26:27], 2, s[12:13]
	s_nop 1
	global_load_dword v58, v[6:7], off
	global_load_dword v59, v[8:9], off
	v_lshl_add_u64 v[56:57], v[12:13], 1, v[10:11]
	v_mfma_f32_16x16x16_bf16 v[14:17], v[30:31], v[18:19], v[14:17]
	v_pk_mul_f32 v[12:13], s[6:7], v[38:39] op_sel_hi:[0,1]
	v_pk_mul_f32 v[48:49], s[6:7], v[40:41] op_sel_hi:[0,1]
	v_mfma_f32_16x16x16_bf16 v[14:17], v[32:33], v[20:21], v[14:17]
	v_mfma_f32_16x16x16_bf16 v[30:33], v[44:45], v[22:23], 0
	;; [unrolled: 1-line block ×3, first 2 shown]
	s_nop 4
	v_pk_mul_f32 v[46:47], s[6:7], v[16:17] op_sel_hi:[0,1]
	v_pk_mul_f32 v[44:45], s[6:7], v[14:15] op_sel_hi:[0,1]
	v_mfma_f32_16x16x16_bf16 v[22:25], v[60:61], v[18:19], v[22:25]
	v_mfma_f32_16x16x16_bf16 v[14:17], v[62:63], v[20:21], v[22:25]
	;; [unrolled: 1-line block ×3, first 2 shown]
	s_nop 5
	v_pk_mul_f32 v[42:43], s[6:7], v[14:15] op_sel_hi:[0,1]
	v_and_b32_e32 v14, 0xc0, v0
	v_add_u32_e32 v14, s14, v14
	v_lshl_or_b32 v14, v1, 2, v14
	v_mad_i64_i32 v[2:3], s[4:5], v66, s45, 0
	v_pk_mul_f32 v[36:37], s[6:7], v[16:17] op_sel_hi:[0,1]
	v_or_b32_e32 v17, 1, v14
	v_mov_b32_e32 v15, 0xff7fffff
	v_cmp_gt_i32_e64 s[4:5], s40, v14
	v_cmp_gt_i32_e64 s[34:35], s40, v17
	v_or_b32_e32 v18, 3, v14
	v_cndmask_b32_e64 v16, v15, v12, s[4:5]
	v_cndmask_b32_e64 v17, v15, v13, s[34:35]
	v_max3_f32 v16, v16, s42, v17
	v_or_b32_e32 v17, 2, v14
	v_cmp_gt_i32_e64 s[36:37], s40, v17
	v_cmp_gt_i32_e64 s[38:39], s40, v18
	v_pk_mul_f32 v[40:41], s[6:7], v[26:27] op_sel_hi:[0,1]
	v_cndmask_b32_e64 v17, v15, v48, s[36:37]
	v_cndmask_b32_e64 v18, v15, v49, s[38:39]
	v_max3_f32 v16, v16, v17, v18
	v_or_b32_e32 v17, 16, v14
	v_or_b32_e32 v18, 17, v14
	v_cmp_gt_i32_e64 s[24:25], s40, v17
	v_cmp_gt_i32_e64 s[26:27], s40, v18
	v_pk_mul_f32 v[50:51], s[6:7], v[28:29] op_sel_hi:[0,1]
	v_cndmask_b32_e64 v17, v15, v40, s[24:25]
	v_cndmask_b32_e64 v18, v15, v41, s[26:27]
	v_max3_f32 v16, v16, v17, v18
	v_or_b32_e32 v17, 18, v14
	v_or_b32_e32 v18, 19, v14
	v_cmp_gt_i32_e64 s[20:21], s40, v17
	v_cmp_gt_i32_e64 s[22:23], s40, v18
	v_lshl_add_u64 v[2:3], v[2:3], 1, v[10:11]
	v_cndmask_b32_e64 v17, v15, v50, s[20:21]
	v_cndmask_b32_e64 v18, v15, v51, s[22:23]
	v_max3_f32 v16, v16, v17, v18
	v_or_b32_e32 v17, 32, v14
	v_or_b32_e32 v18, 33, v14
	v_cmp_gt_i32_e64 s[16:17], s40, v17
	v_cmp_gt_i32_e64 s[18:19], s40, v18
	global_load_dwordx4 v[6:9], v[2:3], off
	s_nop 0
	global_load_dwordx4 v[2:5], v[2:3], off offset:16
	v_cndmask_b32_e64 v17, v15, v44, s[16:17]
	v_cndmask_b32_e64 v18, v15, v45, s[18:19]
	v_max3_f32 v16, v16, v17, v18
	v_or_b32_e32 v17, 34, v14
	v_or_b32_e32 v18, 35, v14
	v_cmp_gt_i32_e64 s[12:13], s40, v17
	v_cmp_gt_i32_e64 s[14:15], s40, v18
	global_load_dwordx4 v[30:33], v[56:57], off
	global_load_dwordx4 v[26:29], v[56:57], off offset:16
	v_cndmask_b32_e64 v17, v15, v46, s[12:13]
	v_cndmask_b32_e64 v18, v15, v47, s[14:15]
	v_max3_f32 v16, v16, v17, v18
	v_or_b32_e32 v17, 48, v14
	v_or_b32_e32 v18, 49, v14
	v_cmp_gt_i32_e64 s[8:9], s40, v17
	v_cmp_gt_i32_e64 s[10:11], s40, v18
	s_nop 0
	v_cndmask_b32_e64 v17, v15, v42, s[8:9]
	v_cndmask_b32_e64 v18, v15, v43, s[10:11]
	v_max3_f32 v16, v16, v17, v18
	v_or_b32_e32 v17, 50, v14
	v_or_b32_e32 v14, 51, v14
	v_cmp_gt_i32_e32 vcc, s40, v17
	v_cmp_gt_i32_e64 s[6:7], s40, v14
	s_nop 0
	v_cndmask_b32_e32 v17, v15, v36, vcc
	v_cndmask_b32_e64 v14, v15, v37, s[6:7]
	v_max3_f32 v16, v16, v17, v14
	v_mbcnt_lo_u32_b32 v14, -1, 0
	v_mbcnt_hi_u32_b32 v17, -1, v14
	v_and_b32_e32 v14, 64, v17
	v_add_u32_e32 v18, 64, v14
	v_xor_b32_e32 v14, 32, v17
	v_cmp_lt_i32_e64 s[40:41], v14, v18
	s_nop 1
	v_cndmask_b32_e64 v14, v17, v14, s[40:41]
	v_lshlrev_b32_e32 v60, 2, v14
	ds_bpermute_b32 v19, v60, v16
	s_waitcnt vmcnt(5)
	v_mad_i64_i32 v[14:15], s[40:41], v58, s45, 0
	v_lshl_add_u64 v[14:15], v[14:15], 1, v[10:11]
	s_waitcnt lgkmcnt(0)
	v_max_f32_e32 v19, v19, v19
	v_max_f32_e32 v16, v16, v19
	v_xor_b32_e32 v19, 16, v17
	v_cmp_lt_i32_e64 s[40:41], v19, v18
	s_nop 1
	v_cndmask_b32_e64 v17, v17, v19, s[40:41]
	v_lshlrev_b32_e32 v57, 2, v17
	ds_bpermute_b32 v17, v57, v16
	global_load_dwordx4 v[22:25], v[14:15], off
	global_load_dwordx4 v[18:21], v[14:15], off offset:16
	s_waitcnt vmcnt(6)
	v_mad_i64_i32 v[14:15], s[40:41], v59, s45, 0
	v_lshl_add_u64 v[10:11], v[14:15], 1, v[10:11]
	s_waitcnt lgkmcnt(0)
	v_max_f32_e32 v14, v17, v17
	v_max_f32_e32 v56, v16, v14
	v_sub_f32_e32 v12, v12, v56
	v_mul_f32_e32 v12, 0x3fb8aa3b, v12
	v_exp_f32_e32 v38, v12
	v_sub_f32_e32 v12, v13, v56
	v_mul_f32_e32 v12, 0x3fb8aa3b, v12
	v_exp_f32_e32 v39, v12
	global_load_dwordx4 v[14:17], v[10:11], off
	s_nop 0
	global_load_dwordx4 v[10:13], v[10:11], off offset:16
	v_sub_f32_e32 v48, v48, v56
	v_mul_f32_e32 v48, 0x3fb8aa3b, v48
	v_sub_f32_e32 v49, v49, v56
	v_exp_f32_e32 v48, v48
	v_mul_f32_e32 v49, 0x3fb8aa3b, v49
	v_sub_f32_e32 v40, v40, v56
	v_exp_f32_e32 v49, v49
	v_mul_f32_e32 v40, 0x3fb8aa3b, v40
	v_sub_f32_e32 v41, v41, v56
	v_cndmask_b32_e64 v38, 0, v38, s[4:5]
	v_exp_f32_e32 v40, v40
	v_mul_f32_e32 v41, 0x3fb8aa3b, v41
	v_sub_f32_e32 v50, v50, v56
	v_add_f32_e32 v58, 0, v38
	v_cndmask_b32_e64 v39, 0, v39, s[34:35]
	v_exp_f32_e32 v41, v41
	v_mul_f32_e32 v50, 0x3fb8aa3b, v50
	v_sub_f32_e32 v51, v51, v56
	v_add_f32_e32 v58, v58, v39
	;; [unrolled: 5-line block ×10, first 2 shown]
	v_cndmask_b32_e64 v46, 0, v46, s[12:13]
	v_exp_f32_e32 v36, v36
	v_mul_f32_e32 v37, 0x3fb8aa3b, v37
	v_add_f32_e32 v58, v58, v46
	v_cndmask_b32_e64 v47, 0, v47, s[14:15]
	v_exp_f32_e32 v37, v37
	v_add_f32_e32 v58, v58, v47
	v_cndmask_b32_e64 v42, 0, v42, s[8:9]
	v_add_f32_e32 v58, v58, v42
	v_cndmask_b32_e64 v43, 0, v43, s[10:11]
	v_add_f32_e32 v58, v58, v43
	v_cndmask_b32_e32 v36, 0, v36, vcc
	v_add_f32_e32 v58, v58, v36
	v_cndmask_b32_e64 v37, 0, v37, s[6:7]
	v_add_f32_e32 v58, v58, v37
	ds_bpermute_b32 v59, v60, v58
	v_cmp_gt_u32_e32 vcc, 16, v55
	s_waitcnt lgkmcnt(0)
	s_barrier
	v_add_f32_e32 v58, v58, v59
	ds_bpermute_b32 v59, v57, v58
	v_lshlrev_b32_e32 v57, 2, v53
	s_and_saveexec_b64 s[4:5], vcc
	s_cbranch_execz .LBB531_15
; %bb.14:
	s_waitcnt lgkmcnt(0)
	v_add_f32_e32 v55, v58, v59
	v_lshl_or_b32 v58, v54, 6, v57
	ds_write2st64_b32 v58, v56, v55 offset1:1
.LBB531_15:
	s_or_b64 exec, exec, s[4:5]
	s_load_dword s6, s[0:1], 0x94
	s_waitcnt lgkmcnt(0)
	s_barrier
	ds_read2_b32 v[58:59], v57 offset1:16
	ds_read2_b32 v[60:61], v57 offset0:32 offset1:48
	ds_read2_b32 v[62:63], v57 offset0:64 offset1:80
	s_movk_i32 s8, 0x7fff
	s_mov_b32 s9, 0x7060302
	s_waitcnt lgkmcnt(2)
	v_max3_f32 v55, v58, s42, v59
	s_waitcnt lgkmcnt(1)
	v_max3_f32 v55, v55, v60, v61
	v_sub_f32_e32 v56, v58, v55
	v_mul_f32_e32 v56, 0x3fb8aa3b, v56
	v_exp_f32_e32 v64, v56
	v_sub_f32_e32 v56, v59, v55
	v_mul_f32_e32 v56, 0x3fb8aa3b, v56
	v_exp_f32_e32 v65, v56
	;; [unrolled: 3-line block ×3, first 2 shown]
	ds_read2_b32 v[58:59], v57 offset0:96 offset1:112
	v_sub_f32_e32 v56, v61, v55
	v_mul_f32_e32 v56, 0x3fb8aa3b, v56
	v_exp_f32_e32 v57, v56
	s_waitcnt lgkmcnt(1)
	v_fma_f32 v56, v64, v62, 0
	v_fmac_f32_e32 v56, v65, v63
	s_waitcnt lgkmcnt(0)
	v_fmac_f32_e32 v56, v60, v58
	v_fmac_f32_e32 v56, v57, v59
	v_add_f32_e32 v58, 0x358637bd, v56
	v_div_scale_f32 v59, s[4:5], v58, v58, 1.0
	v_rcp_f32_e32 v61, v59
	s_barrier
	v_fma_f32 v62, -v59, v61, 1.0
	v_fmac_f32_e32 v61, v62, v61
	v_div_scale_f32 v62, vcc, 1.0, v58, 1.0
	v_mul_f32_e32 v63, v62, v61
	v_fma_f32 v66, -v59, v63, v62
	v_fmac_f32_e32 v63, v66, v61
	v_fma_f32 v59, -v59, v63, v62
	v_div_fmas_f32 v59, v59, v61, v63
	v_cmp_eq_u32_e32 vcc, 1, v54
	v_div_fixup_f32 v58, v59, v58, 1.0
	s_lshl_b32 s7, s33, 4
	v_cndmask_b32_e32 v59, v64, v65, vcc
	v_cmp_eq_u32_e32 vcc, 2, v54
	s_nop 1
	v_cndmask_b32_e32 v59, v59, v60, vcc
	v_cmp_eq_u32_e32 vcc, 3, v54
	s_nop 1
	v_cndmask_b32_e32 v57, v59, v57, vcc
	v_mul_f32_e32 v58, v57, v58
	v_pk_mul_f32 v[38:39], v[58:59], v[38:39] op_sel_hi:[0,1]
	v_pk_mul_f32 v[48:49], v[58:59], v[48:49] op_sel_hi:[0,1]
	v_bfe_u32 v57, v39, 16, 1
	v_bfe_u32 v59, v38, 16, 1
	v_add3_u32 v38, v38, v59, s8
	v_add3_u32 v39, v39, v57, s8
	v_perm_b32 v60, v39, v38, s9
	v_bfe_u32 v38, v49, 16, 1
	v_bfe_u32 v39, v48, 16, 1
	v_add3_u32 v39, v48, v39, s8
	v_add3_u32 v38, v49, v38, s8
	v_perm_b32 v61, v38, v39, s9
	v_lshlrev_b32_e32 v38, 3, v1
	v_lshlrev_b32_e32 v39, 5, v53
	;; [unrolled: 1-line block ×3, first 2 shown]
	v_pk_mul_f32 v[40:41], v[58:59], v[40:41] op_sel_hi:[0,1]
	v_or3_b32 v38, v48, v39, v38
	v_pk_mul_f32 v[48:49], v[58:59], v[50:51] op_sel_hi:[0,1]
	v_bfe_u32 v39, v41, 16, 1
	v_bfe_u32 v50, v40, 16, 1
	v_add3_u32 v40, v40, v50, s8
	v_add3_u32 v39, v41, v39, s8
	v_perm_b32 v40, v39, v40, s9
	v_bfe_u32 v39, v49, 16, 1
	v_bfe_u32 v41, v48, 16, 1
	v_add3_u32 v41, v48, v41, s8
	v_add3_u32 v39, v49, v39, s8
	v_perm_b32 v41, v39, v41, s9
	v_pk_mul_f32 v[44:45], v[58:59], v[44:45] op_sel_hi:[0,1]
	ds_write2st64_b64 v38, v[60:61], v[40:41] offset1:1
	v_pk_mul_f32 v[40:41], v[58:59], v[46:47] op_sel_hi:[0,1]
	v_bfe_u32 v39, v45, 16, 1
	v_bfe_u32 v46, v44, 16, 1
	v_add3_u32 v44, v44, v46, s8
	v_add3_u32 v39, v45, v39, s8
	v_perm_b32 v44, v39, v44, s9
	v_bfe_u32 v39, v41, 16, 1
	v_bfe_u32 v45, v40, 16, 1
	v_add3_u32 v40, v40, v45, s8
	v_add3_u32 v39, v41, v39, s8
	v_perm_b32 v45, v39, v40, s9
	v_pk_mul_f32 v[40:41], v[58:59], v[42:43] op_sel_hi:[0,1]
	v_bfe_u32 v39, v41, 16, 1
	v_bfe_u32 v42, v40, 16, 1
	v_pk_mul_f32 v[36:37], v[58:59], v[36:37] op_sel_hi:[0,1]
	v_add3_u32 v40, v40, v42, s8
	v_add3_u32 v39, v41, v39, s8
	v_perm_b32 v40, v39, v40, s9
	v_bfe_u32 v39, v37, 16, 1
	v_bfe_u32 v41, v36, 16, 1
	v_add3_u32 v36, v36, v41, s8
	v_add3_u32 v37, v37, v39, s8
	v_perm_b32 v41, v37, v36, s9
	v_cmp_gt_u32_e32 vcc, 16, v0
	ds_write2st64_b64 v38, v[44:45], v[40:41] offset0:2 offset1:3
	s_and_saveexec_b64 s[4:5], vcc
	s_cbranch_execz .LBB531_17
; %bb.16:
	v_or_b32_e32 v36, s29, v0
	v_mov_b32_e32 v37, 0
	v_mov_b32_e32 v39, s7
	v_mad_u64_u32 v[40:41], s[10:11], s2, v39, v[36:37]
	v_mov_b32_e32 v36, s28
	s_load_dwordx4 s[12:15], s[0:1], 0x58
	s_mul_i32 s3, s3, s7
	v_mad_u64_u32 v[36:37], s[10:11], v40, s6, v[36:37]
	v_add_u32_e32 v39, s3, v41
	v_mov_b32_e32 v40, v37
	v_mad_u64_u32 v[40:41], s[10:11], v39, s6, v[40:41]
	v_mov_b32_e32 v37, v40
	v_lshlrev_b64 v[36:37], 2, v[36:37]
	s_waitcnt lgkmcnt(0)
	v_lshl_add_u64 v[40:41], s[14:15], 0, v[36:37]
	v_lshl_add_u64 v[36:37], s[12:13], 0, v[36:37]
	global_store_dword v[40:41], v55, off
	global_store_dword v[36:37], v56, off
.LBB531_17:
	s_or_b64 exec, exec, s[4:5]
	s_waitcnt lgkmcnt(0)
	s_barrier
	ds_read_b128 v[40:43], v52
	ds_read_b128 v[44:47], v52 offset:16
	s_waitcnt vmcnt(7) lgkmcnt(1)
	v_mfma_f32_16x16x16_bf16 v[48:51], v[6:7], v[40:41], 0
	v_cmp_gt_u32_e32 vcc, 64, v0
	s_mov_b32 s3, 0
	s_and_b64 s[4:5], vcc, s[30:31]
	v_mfma_f32_16x16x16_bf16 v[6:9], v[8:9], v[42:43], v[48:51]
	s_waitcnt vmcnt(6) lgkmcnt(0)
	v_mfma_f32_16x16x16_bf16 v[6:9], v[2:3], v[44:45], v[6:9]
	v_mfma_f32_16x16x16_bf16 v[2:5], v[4:5], v[46:47], v[6:9]
	s_nop 5
	ds_read_b128 v[6:9], v52 offset:2048
	ds_read_b128 v[40:43], v52 offset:2064
	s_waitcnt vmcnt(5) lgkmcnt(1)
	v_mfma_f32_16x16x16_bf16 v[2:5], v[30:31], v[6:7], v[2:5]
	v_mfma_f32_16x16x16_bf16 v[2:5], v[32:33], v[8:9], v[2:5]
	s_waitcnt vmcnt(4) lgkmcnt(0)
	v_mfma_f32_16x16x16_bf16 v[2:5], v[26:27], v[40:41], v[2:5]
	v_mfma_f32_16x16x16_bf16 v[2:5], v[28:29], v[42:43], v[2:5]
	ds_read_b128 v[6:9], v52 offset:4096
	ds_read_b128 v[26:29], v52 offset:4112
	s_waitcnt vmcnt(3) lgkmcnt(1)
	v_mfma_f32_16x16x16_bf16 v[2:5], v[22:23], v[6:7], v[2:5]
	v_mfma_f32_16x16x16_bf16 v[2:5], v[24:25], v[8:9], v[2:5]
	s_waitcnt vmcnt(2) lgkmcnt(0)
	v_mfma_f32_16x16x16_bf16 v[2:5], v[18:19], v[26:27], v[2:5]
	v_mfma_f32_16x16x16_bf16 v[2:5], v[20:21], v[28:29], v[2:5]
	ds_read_b128 v[6:9], v52 offset:6144
	ds_read_b128 v[18:21], v52 offset:6160
	s_waitcnt lgkmcnt(0)
	s_barrier
	s_waitcnt vmcnt(1)
	v_mfma_f32_16x16x16_bf16 v[2:5], v[14:15], v[6:7], v[2:5]
	v_mfma_f32_16x16x16_bf16 v[2:5], v[16:17], v[8:9], v[2:5]
	s_waitcnt vmcnt(0)
	v_mfma_f32_16x16x16_bf16 v[2:5], v[10:11], v[18:19], v[2:5]
	v_mfma_f32_16x16x16_bf16 v[2:5], v[12:13], v[20:21], v[2:5]
	s_nop 6
	v_bfe_u32 v6, v3, 16, 1
	v_bfe_u32 v7, v2, 16, 1
	;; [unrolled: 1-line block ×4, first 2 shown]
	v_add3_u32 v2, v2, v7, s8
	v_add3_u32 v3, v3, v6, s8
	;; [unrolled: 1-line block ×4, first 2 shown]
	v_perm_b32 v2, v3, v2, s9
	v_perm_b32 v3, v5, v4, s9
	ds_write_b64 v38, v[2:3]
	s_waitcnt lgkmcnt(0)
	s_barrier
	s_and_saveexec_b64 s[8:9], s[4:5]
	s_cbranch_execz .LBB531_19
; %bb.18:
	s_load_dwordx2 s[0:1], s[0:1], 0x68
	s_lshl_b32 s6, s6, 6
	s_mul_i32 s2, s7, s2
	s_mul_hi_u32 s5, s2, s6
	s_mul_i32 s4, s2, s6
	s_lshl_b64 s[4:5], s[4:5], 1
	s_waitcnt lgkmcnt(0)
	s_add_u32 s4, s0, s4
	s_addc_u32 s5, s1, s5
	s_lshl_b32 s2, s28, 6
	v_lshlrev_b32_e32 v2, 10, v0
	v_lshlrev_b32_e32 v0, 4, v0
	s_lshl_b64 s[0:1], s[2:3], 1
	v_and_b32_e32 v2, 0x1800, v2
	v_lshlrev_b32_e32 v3, 5, v1
	v_and_b32_e32 v0, 16, v0
	s_add_u32 s0, s4, s0
	v_or3_b32 v0, v2, v3, v0
	s_addc_u32 s1, s5, s1
	v_or_b32_e32 v20, s29, v1
	ds_read_b128 v[2:5], v0
	ds_read_b128 v[6:9], v0 offset:128
	ds_read_b128 v[10:13], v0 offset:256
	;; [unrolled: 1-line block ×3, first 2 shown]
	v_lshl_add_u64 v[18:19], v[34:35], 1, s[0:1]
	v_mad_u64_u32 v[0:1], s[0:1], v20, s6, 0
	v_lshl_add_u64 v[0:1], v[0:1], 1, v[18:19]
	s_waitcnt lgkmcnt(3)
	global_store_dwordx4 v[0:1], v[2:5], off
	v_or_b32_e32 v0, 4, v20
	v_mad_u64_u32 v[0:1], s[0:1], v0, s6, 0
	v_lshl_add_u64 v[0:1], v[0:1], 1, v[18:19]
	s_waitcnt lgkmcnt(2)
	global_store_dwordx4 v[0:1], v[6:9], off
	v_or_b32_e32 v0, 8, v20
	;; [unrolled: 5-line block ×3, first 2 shown]
	v_mad_u64_u32 v[0:1], s[0:1], v0, s6, 0
	v_lshl_add_u64 v[0:1], v[0:1], 1, v[18:19]
	s_waitcnt lgkmcnt(0)
	global_store_dwordx4 v[0:1], v[14:17], off
.LBB531_19:
	s_endpgm
	.section	.rodata,"a",@progbits
	.p2align	6, 0x0
	.amdhsa_kernel _Z39paged_attention_ll4mi_QKV_mfma16_kernelI14__hip_bfloat16S0_LN4vllm18Fp8KVCacheDataTypeE0EhLi32ELi64ELi256ELb0ELi16EEvPKT_PKT0_S8_ifPKiSA_SA_iPKfiiiPfSD_PS3_PT2_iSC_SC_
		.amdhsa_group_segment_fixed_size 8192
		.amdhsa_private_segment_fixed_size 0
		.amdhsa_kernarg_size 400
		.amdhsa_user_sgpr_count 2
		.amdhsa_user_sgpr_dispatch_ptr 0
		.amdhsa_user_sgpr_queue_ptr 0
		.amdhsa_user_sgpr_kernarg_segment_ptr 1
		.amdhsa_user_sgpr_dispatch_id 0
		.amdhsa_user_sgpr_kernarg_preload_length 0
		.amdhsa_user_sgpr_kernarg_preload_offset 0
		.amdhsa_user_sgpr_private_segment_size 0
		.amdhsa_uses_dynamic_stack 0
		.amdhsa_enable_private_segment 0
		.amdhsa_system_sgpr_workgroup_id_x 1
		.amdhsa_system_sgpr_workgroup_id_y 1
		.amdhsa_system_sgpr_workgroup_id_z 1
		.amdhsa_system_sgpr_workgroup_info 0
		.amdhsa_system_vgpr_workitem_id 0
		.amdhsa_next_free_vgpr 68
		.amdhsa_next_free_sgpr 48
		.amdhsa_accum_offset 68
		.amdhsa_reserve_vcc 1
		.amdhsa_float_round_mode_32 0
		.amdhsa_float_round_mode_16_64 0
		.amdhsa_float_denorm_mode_32 3
		.amdhsa_float_denorm_mode_16_64 3
		.amdhsa_dx10_clamp 1
		.amdhsa_ieee_mode 1
		.amdhsa_fp16_overflow 0
		.amdhsa_tg_split 0
		.amdhsa_exception_fp_ieee_invalid_op 0
		.amdhsa_exception_fp_denorm_src 0
		.amdhsa_exception_fp_ieee_div_zero 0
		.amdhsa_exception_fp_ieee_overflow 0
		.amdhsa_exception_fp_ieee_underflow 0
		.amdhsa_exception_fp_ieee_inexact 0
		.amdhsa_exception_int_div_zero 0
	.end_amdhsa_kernel
	.section	.text._Z39paged_attention_ll4mi_QKV_mfma16_kernelI14__hip_bfloat16S0_LN4vllm18Fp8KVCacheDataTypeE0EhLi32ELi64ELi256ELb0ELi16EEvPKT_PKT0_S8_ifPKiSA_SA_iPKfiiiPfSD_PS3_PT2_iSC_SC_,"axG",@progbits,_Z39paged_attention_ll4mi_QKV_mfma16_kernelI14__hip_bfloat16S0_LN4vllm18Fp8KVCacheDataTypeE0EhLi32ELi64ELi256ELb0ELi16EEvPKT_PKT0_S8_ifPKiSA_SA_iPKfiiiPfSD_PS3_PT2_iSC_SC_,comdat
.Lfunc_end531:
	.size	_Z39paged_attention_ll4mi_QKV_mfma16_kernelI14__hip_bfloat16S0_LN4vllm18Fp8KVCacheDataTypeE0EhLi32ELi64ELi256ELb0ELi16EEvPKT_PKT0_S8_ifPKiSA_SA_iPKfiiiPfSD_PS3_PT2_iSC_SC_, .Lfunc_end531-_Z39paged_attention_ll4mi_QKV_mfma16_kernelI14__hip_bfloat16S0_LN4vllm18Fp8KVCacheDataTypeE0EhLi32ELi64ELi256ELb0ELi16EEvPKT_PKT0_S8_ifPKiSA_SA_iPKfiiiPfSD_PS3_PT2_iSC_SC_
                                        ; -- End function
	.section	.AMDGPU.csdata,"",@progbits
; Kernel info:
; codeLenInByte = 4148
; NumSgprs: 54
; NumVgprs: 68
; NumAgprs: 0
; TotalNumVgprs: 68
; ScratchSize: 0
; MemoryBound: 0
; FloatMode: 240
; IeeeMode: 1
; LDSByteSize: 8192 bytes/workgroup (compile time only)
; SGPRBlocks: 6
; VGPRBlocks: 8
; NumSGPRsForWavesPerEU: 54
; NumVGPRsForWavesPerEU: 68
; AccumOffset: 68
; Occupancy: 7
; WaveLimiterHint : 1
; COMPUTE_PGM_RSRC2:SCRATCH_EN: 0
; COMPUTE_PGM_RSRC2:USER_SGPR: 2
; COMPUTE_PGM_RSRC2:TRAP_HANDLER: 0
; COMPUTE_PGM_RSRC2:TGID_X_EN: 1
; COMPUTE_PGM_RSRC2:TGID_Y_EN: 1
; COMPUTE_PGM_RSRC2:TGID_Z_EN: 1
; COMPUTE_PGM_RSRC2:TIDIG_COMP_CNT: 0
; COMPUTE_PGM_RSRC3_GFX90A:ACCUM_OFFSET: 16
; COMPUTE_PGM_RSRC3_GFX90A:TG_SPLIT: 0
	.section	.text._Z39paged_attention_ll4mi_QKV_mfma16_kernelI14__hip_bfloat16S0_LN4vllm18Fp8KVCacheDataTypeE0EhLi32ELi64ELi256ELb0ELi1EEvPKT_PKT0_S8_ifPKiSA_SA_iPKfiiiPfSD_PS3_PT2_iSC_SC_,"axG",@progbits,_Z39paged_attention_ll4mi_QKV_mfma16_kernelI14__hip_bfloat16S0_LN4vllm18Fp8KVCacheDataTypeE0EhLi32ELi64ELi256ELb0ELi1EEvPKT_PKT0_S8_ifPKiSA_SA_iPKfiiiPfSD_PS3_PT2_iSC_SC_,comdat
	.protected	_Z39paged_attention_ll4mi_QKV_mfma16_kernelI14__hip_bfloat16S0_LN4vllm18Fp8KVCacheDataTypeE0EhLi32ELi64ELi256ELb0ELi1EEvPKT_PKT0_S8_ifPKiSA_SA_iPKfiiiPfSD_PS3_PT2_iSC_SC_ ; -- Begin function _Z39paged_attention_ll4mi_QKV_mfma16_kernelI14__hip_bfloat16S0_LN4vllm18Fp8KVCacheDataTypeE0EhLi32ELi64ELi256ELb0ELi1EEvPKT_PKT0_S8_ifPKiSA_SA_iPKfiiiPfSD_PS3_PT2_iSC_SC_
	.globl	_Z39paged_attention_ll4mi_QKV_mfma16_kernelI14__hip_bfloat16S0_LN4vllm18Fp8KVCacheDataTypeE0EhLi32ELi64ELi256ELb0ELi1EEvPKT_PKT0_S8_ifPKiSA_SA_iPKfiiiPfSD_PS3_PT2_iSC_SC_
	.p2align	8
	.type	_Z39paged_attention_ll4mi_QKV_mfma16_kernelI14__hip_bfloat16S0_LN4vllm18Fp8KVCacheDataTypeE0EhLi32ELi64ELi256ELb0ELi1EEvPKT_PKT0_S8_ifPKiSA_SA_iPKfiiiPfSD_PS3_PT2_iSC_SC_,@function
_Z39paged_attention_ll4mi_QKV_mfma16_kernelI14__hip_bfloat16S0_LN4vllm18Fp8KVCacheDataTypeE0EhLi32ELi64ELi256ELb0ELi1EEvPKT_PKT0_S8_ifPKiSA_SA_iPKfiiiPfSD_PS3_PT2_iSC_SC_: ; @_Z39paged_attention_ll4mi_QKV_mfma16_kernelI14__hip_bfloat16S0_LN4vllm18Fp8KVCacheDataTypeE0EhLi32ELi64ELi256ELb0ELi1EEvPKT_PKT0_S8_ifPKiSA_SA_iPKfiiiPfSD_PS3_PT2_iSC_SC_
; %bb.0:
	s_load_dwordx2 s[6:7], s[0:1], 0x30
	s_mov_b32 s5, s3
	s_mov_b64 s[10:11], 0
	s_waitcnt lgkmcnt(0)
	s_cmp_lg_u64 s[6:7], 0
	s_cselect_b64 s[8:9], -1, 0
	s_and_b64 vcc, exec, s[8:9]
	s_cbranch_vccz .LBB532_7
; %bb.1:
	s_add_i32 s12, s2, 1
	s_mov_b32 s13, 0
	s_lshl_b64 s[14:15], s[12:13], 2
	s_add_u32 s14, s6, s14
	s_mov_b32 s3, s13
	s_addc_u32 s15, s7, s15
	s_lshl_b64 s[12:13], s[2:3], 2
	s_add_u32 s12, s6, s12
	s_addc_u32 s13, s7, s13
	s_load_dword s16, s[14:15], 0x0
	s_load_dword s17, s[12:13], 0x0
	s_waitcnt lgkmcnt(0)
	s_sub_i32 s12, s16, s17
	s_cmp_eq_u32 s12, 1
	s_cselect_b64 s[12:13], -1, 0
	s_andn2_b64 vcc, exec, s[10:11]
	s_cbranch_vccnz .LBB532_3
.LBB532_2:
	s_mov_b32 s3, 0
	s_mov_b64 s[12:13], -1
.LBB532_3:
	s_andn2_b64 vcc, exec, s[12:13]
	s_cbranch_vccnz .LBB532_19
; %bb.4:
	s_load_dwordx2 s[12:13], s[0:1], 0x28
	s_lshl_b64 s[10:11], s[2:3], 2
	s_waitcnt lgkmcnt(0)
	s_add_u32 s12, s12, s10
	s_addc_u32 s13, s13, s11
	s_load_dword s33, s[12:13], 0x0
	s_lshl_b32 s14, s5, 8
	s_waitcnt lgkmcnt(0)
	s_cmp_ge_i32 s14, s33
	s_cbranch_scc1 .LBB532_19
; %bb.5:
	s_load_dwordx2 s[12:13], s[0:1], 0x20
	s_load_dword s16, s[0:1], 0x38
	s_add_i32 s15, s33, 31
	s_ashr_i32 s17, s15, 31
	v_and_b32_e32 v1, 0xcf, v0
	s_lshr_b32 s17, s17, 27
	v_add_u32_e32 v1, s14, v1
	s_add_i32 s15, s15, s17
	v_ashrrev_i32_e32 v2, 31, v1
	s_ashr_i32 s15, s15, 5
	v_lshrrev_b32_e32 v10, 27, v2
	s_add_i32 s15, s15, -1
	s_waitcnt lgkmcnt(0)
	s_mul_i32 s16, s2, s16
	s_mov_b32 s17, 0
	v_add_u32_e32 v2, v1, v10
	s_lshl_b64 s[16:17], s[16:17], 2
	v_ashrrev_i32_e32 v2, 5, v2
	v_mov_b32_e32 v11, s15
	v_cmp_gt_i32_e32 vcc, s33, v1
	s_add_u32 s12, s12, s16
	s_addc_u32 s13, s13, s17
	v_cndmask_b32_e32 v2, v11, v2, vcc
	v_ashrrev_i32_e32 v3, 31, v2
	v_lshl_add_u64 v[4:5], v[2:3], 2, s[12:13]
	v_or_b32_e32 v2, 16, v1
	v_add_u32_e32 v3, v2, v10
	v_ashrrev_i32_e32 v3, 5, v3
	v_cmp_gt_i32_e32 vcc, s33, v2
	s_nop 1
	v_cndmask_b32_e32 v2, v11, v3, vcc
	v_ashrrev_i32_e32 v3, 31, v2
	v_lshl_add_u64 v[6:7], v[2:3], 2, s[12:13]
	v_or_b32_e32 v2, 32, v1
	v_add_u32_e32 v3, v2, v10
	v_ashrrev_i32_e32 v3, 5, v3
	v_cmp_gt_i32_e32 vcc, s33, v2
	v_or_b32_e32 v1, 48, v1
	s_nop 0
	v_cndmask_b32_e32 v2, v11, v3, vcc
	v_ashrrev_i32_e32 v3, 31, v2
	v_lshl_add_u64 v[8:9], v[2:3], 2, s[12:13]
	v_add_u32_e32 v2, v1, v10
	v_ashrrev_i32_e32 v2, 5, v2
	v_cmp_gt_i32_e32 vcc, s33, v1
	s_nop 1
	v_cndmask_b32_e32 v2, v11, v2, vcc
	v_ashrrev_i32_e32 v3, 31, v2
	v_lshl_add_u64 v[12:13], v[2:3], 2, s[12:13]
	global_load_dword v3, v[4:5], off
	global_load_dword v2, v[6:7], off
	;; [unrolled: 1-line block ×4, first 2 shown]
	s_andn2_b64 vcc, exec, s[8:9]
	s_cbranch_vccnz .LBB532_8
; %bb.6:
	s_add_u32 s6, s6, s10
	s_addc_u32 s7, s7, s11
	s_load_dword s16, s[6:7], 0x0
	s_branch .LBB532_9
.LBB532_7:
	s_mov_b64 s[12:13], 0
	s_branch .LBB532_2
.LBB532_8:
	s_mov_b32 s16, s2
.LBB532_9:
	s_load_dwordx4 s[8:11], s[0:1], 0x8
	s_load_dwordx4 s[44:47], s[0:1], 0x48
	v_lshrrev_b32_e32 v54, 6, v0
	v_bfe_u32 v1, v0, 4, 2
	v_lshl_or_b32 v4, v54, 2, v1
	v_and_b32_e32 v55, 15, v0
	v_cmp_ne_u32_e32 vcc, 0, v4
	v_cmp_lt_u32_e64 s[6:7], 7, v55
	v_lshlrev_b32_e32 v34, 3, v55
	v_cmp_gt_u32_e64 s[28:29], 8, v55
	s_or_b64 s[6:7], s[6:7], vcc
	s_and_saveexec_b64 s[18:19], s[6:7]
	s_xor_b64 s[6:7], exec, s[18:19]
; %bb.10:
	v_mov_b32_e32 v35, 0
; %bb.11:
	s_or_saveexec_b64 s[6:7], s[6:7]
	v_and_b32_e32 v56, 63, v0
	s_xor_b64 exec, exec, s[6:7]
	s_cbranch_execz .LBB532_13
; %bb.12:
	s_load_dwordx2 s[18:19], s[0:1], 0x0
	s_waitcnt lgkmcnt(0)
	s_ashr_i32 s17, s44, 31
	s_mul_hi_u32 s20, s16, s44
	s_mul_i32 s17, s16, s17
	s_add_i32 s17, s20, s17
	s_mul_i32 s16, s16, s44
	s_lshl_b64 s[16:17], s[16:17], 1
	s_add_u32 s18, s18, s16
	s_addc_u32 s19, s19, s17
	s_lshl_b32 s16, s4, 6
	s_ashr_i32 s17, s16, 31
	s_lshl_b64 s[16:17], s[16:17], 1
	s_add_u32 s16, s18, s16
	s_addc_u32 s17, s19, s17
	v_lshlrev_b32_e32 v4, 1, v34
	global_load_dwordx4 v[4:7], v4, s[16:17]
	v_and_b32_e32 v8, 3, v0
	v_lshlrev_b32_e32 v9, 9, v55
	v_lshlrev_b32_e32 v8, 9, v8
	s_movk_i32 s16, 0x1800
	v_mov_b32_e32 v35, 0
	v_and_or_b32 v8, v9, s16, v8
	s_waitcnt vmcnt(0)
	ds_write_b128 v8, v[4:7]
.LBB532_13:
	s_or_b64 exec, exec, s[6:7]
	s_waitcnt lgkmcnt(0)
	s_mul_i32 s6, s4, s46
	s_mov_b32 s7, 0
	s_lshl_b64 s[6:7], s[6:7], 1
	s_add_u32 s8, s8, s6
	s_addc_u32 s9, s9, s7
	s_waitcnt vmcnt(3)
	v_mad_i64_i32 v[4:5], s[16:17], v3, s45, 0
	v_lshl_add_u64 v[4:5], v[4:5], 1, s[8:9]
	v_lshlrev_b64 v[12:13], 1, v[34:35]
	v_lshlrev_b32_e32 v36, 9, v1
	v_lshl_add_u64 v[4:5], v[4:5], 0, v[12:13]
	v_mov_b32_e32 v37, 0
	v_lshl_add_u64 v[20:21], v[4:5], 0, v[36:37]
	s_waitcnt vmcnt(2)
	v_mad_i64_i32 v[2:3], s[16:17], v2, s45, 0
	v_mov_b32_e32 v4, 0x100
	v_lshl_add_u64 v[2:3], v[2:3], 1, s[8:9]
	v_lshl_or_b32 v38, v55, 4, v4
	v_mov_b32_e32 v39, v37
	s_barrier
	v_lshl_add_u64 v[2:3], v[2:3], 0, v[38:39]
	global_load_dwordx4 v[6:9], v[20:21], off
	v_lshl_add_u64 v[22:23], v[2:3], 0, v[36:37]
	global_load_dwordx4 v[2:5], v[22:23], off
	s_waitcnt vmcnt(3)
	v_mad_i64_i32 v[10:11], s[16:17], v10, s45, 0
	v_lshl_add_u64 v[10:11], v[10:11], 1, s[8:9]
	v_lshl_add_u64 v[10:11], v[10:11], 0, v[12:13]
	;; [unrolled: 1-line block ×3, first 2 shown]
	global_load_dwordx4 v[14:17], v[30:31], off
	global_load_dwordx4 v[10:13], v[20:21], off offset:2048
	global_load_dwordx4 v[26:29], v[22:23], off offset:2048
	s_waitcnt vmcnt(5)
	v_mad_i64_i32 v[40:41], s[16:17], v18, s45, 0
	ds_read_b128 v[22:25], v36
	ds_read_b128 v[18:21], v36 offset:2048
	global_load_dwordx4 v[30:33], v[30:31], off offset:2048
	v_lshl_add_u64 v[40:41], v[40:41], 1, s[8:9]
	v_lshl_add_u64 v[38:39], v[40:41], 0, v[38:39]
	;; [unrolled: 1-line block ×3, first 2 shown]
	global_load_dwordx4 v[44:47], v[38:39], off
	global_load_dwordx4 v[62:65], v[38:39], off offset:2048
	v_mov_b32_e32 v53, s15
	s_ashr_i32 s15, s14, 31
	v_and_or_b32 v52, v0, 48, s14
	s_lshr_b32 s9, s15, 27
	v_add_u32_e32 v40, s9, v52
	v_or_b32_e32 v48, 64, v52
	v_ashrrev_i32_e32 v36, 5, v40
	v_cmp_gt_i32_e32 vcc, s33, v52
	v_add_u32_e32 v41, s9, v48
	v_ashrrev_i32_e32 v49, 5, v41
	v_cndmask_b32_e32 v40, v53, v36, vcc
	v_ashrrev_i32_e32 v41, 31, v40
	v_lshl_add_u64 v[40:41], v[40:41], 2, s[12:13]
	v_cmp_gt_i32_e32 vcc, s33, v48
	global_load_dword v57, v[40:41], off
	v_or_b32_e32 v39, 0x80, v52
	v_and_b32_e32 v36, 16, v0
	s_add_u32 s6, s10, s6
	v_lshlrev_b32_e32 v38, 6, v55
	s_addc_u32 s7, s11, s7
	v_lshlrev_b32_e32 v36, 1, v36
	s_load_dword s8, s[0:1], 0x1c
	s_mov_b32 s42, 0xff7fffff
	s_waitcnt vmcnt(6) lgkmcnt(0)
	v_mfma_f32_16x16x16_bf16 v[58:61], v[14:15], v[22:23], 0
	v_mfma_f32_16x16x16_bf16 v[40:43], v[6:7], v[22:23], 0
	v_cndmask_b32_e32 v6, v53, v49, vcc
	v_ashrrev_i32_e32 v7, 31, v6
	v_cmp_gt_i32_e32 vcc, s33, v39
	v_mfma_f32_16x16x16_bf16 v[48:51], v[2:3], v[22:23], 0
	v_lshl_add_u64 v[2:3], v[6:7], 2, s[12:13]
	global_load_dword v66, v[2:3], off
	v_mfma_f32_16x16x16_bf16 v[6:9], v[8:9], v[24:25], v[40:43]
	v_mfma_f32_16x16x16_bf16 v[2:5], v[4:5], v[24:25], v[48:51]
	s_nop 1
	v_or_b32_e32 v40, 0xc0, v52
	v_add_u32_e32 v41, s9, v39
	v_add_u32_e32 v42, s9, v40
	s_waitcnt vmcnt(6)
	v_mfma_f32_16x16x16_bf16 v[6:9], v[10:11], v[18:19], v[6:9]
	v_ashrrev_i32_e32 v41, 5, v41
	v_ashrrev_i32_e32 v43, 5, v42
	v_cndmask_b32_e32 v42, v53, v41, vcc
	v_cmp_gt_i32_e32 vcc, s33, v40
	s_waitcnt vmcnt(5)
	v_mfma_f32_16x16x16_bf16 v[2:5], v[26:27], v[18:19], v[2:5]
	v_lshl_add_u64 v[10:11], s[6:7], 0, v[36:37]
	v_cndmask_b32_e32 v26, v53, v43, vcc
	v_ashrrev_i32_e32 v43, 31, v42
	v_lshl_or_b32 v36, v54, 10, v38
	v_ashrrev_i32_e32 v27, 31, v26
	v_mfma_f32_16x16x16_bf16 v[38:41], v[12:13], v[20:21], v[6:9]
	v_lshl_add_u64 v[10:11], v[10:11], 0, v[36:37]
	s_waitcnt vmcnt(0)
	v_mad_i64_i32 v[12:13], s[6:7], v66, s45, 0
	v_lshl_add_u64 v[6:7], v[42:43], 2, s[12:13]
	v_mfma_f32_16x16x16_bf16 v[14:17], v[16:17], v[24:25], v[58:61]
	v_lshl_add_u64 v[8:9], v[26:27], 2, s[12:13]
	global_load_dword v36, v[6:7], off
	s_nop 0
	global_load_dword v60, v[8:9], off
	v_lshl_add_u64 v[58:59], v[12:13], 1, v[10:11]
	v_mfma_f32_16x16x16_bf16 v[14:17], v[30:31], v[18:19], v[14:17]
	v_pk_mul_f32 v[12:13], s[8:9], v[38:39] op_sel_hi:[0,1]
	v_pk_mul_f32 v[50:51], s[8:9], v[40:41] op_sel_hi:[0,1]
	v_mfma_f32_16x16x16_bf16 v[14:17], v[32:33], v[20:21], v[14:17]
	v_mfma_f32_16x16x16_bf16 v[30:33], v[44:45], v[22:23], 0
	;; [unrolled: 1-line block ×3, first 2 shown]
	s_nop 4
	v_pk_mul_f32 v[48:49], s[8:9], v[16:17] op_sel_hi:[0,1]
	v_pk_mul_f32 v[46:47], s[8:9], v[14:15] op_sel_hi:[0,1]
	v_mfma_f32_16x16x16_bf16 v[22:25], v[62:63], v[18:19], v[22:25]
	v_mfma_f32_16x16x16_bf16 v[14:17], v[64:65], v[20:21], v[22:25]
	v_mfma_f32_16x16x16_bf16 v[26:29], v[28:29], v[20:21], v[2:5]
	s_nop 5
	v_pk_mul_f32 v[44:45], s[8:9], v[14:15] op_sel_hi:[0,1]
	v_and_b32_e32 v14, 0xc0, v0
	v_add_u32_e32 v14, s14, v14
	v_lshl_or_b32 v14, v1, 2, v14
	v_pk_mul_f32 v[38:39], s[8:9], v[16:17] op_sel_hi:[0,1]
	v_or_b32_e32 v17, 1, v14
	v_mov_b32_e32 v15, 0xff7fffff
	v_cmp_gt_i32_e64 s[30:31], s33, v14
	v_cmp_gt_i32_e64 s[34:35], s33, v17
	v_or_b32_e32 v18, 3, v14
	v_cndmask_b32_e64 v16, v15, v12, s[30:31]
	v_cndmask_b32_e64 v17, v15, v13, s[34:35]
	v_max3_f32 v16, v16, s42, v17
	v_or_b32_e32 v17, 2, v14
	v_cmp_gt_i32_e64 s[36:37], s33, v17
	v_cmp_gt_i32_e64 s[38:39], s33, v18
	v_pk_mul_f32 v[42:43], s[8:9], v[26:27] op_sel_hi:[0,1]
	v_cndmask_b32_e64 v17, v15, v50, s[36:37]
	v_cndmask_b32_e64 v18, v15, v51, s[38:39]
	v_max3_f32 v16, v16, v17, v18
	v_or_b32_e32 v17, 16, v14
	v_or_b32_e32 v18, 17, v14
	v_cmp_gt_i32_e64 s[24:25], s33, v17
	v_cmp_gt_i32_e64 s[26:27], s33, v18
	v_pk_mul_f32 v[52:53], s[8:9], v[28:29] op_sel_hi:[0,1]
	v_cndmask_b32_e64 v17, v15, v42, s[24:25]
	v_cndmask_b32_e64 v18, v15, v43, s[26:27]
	v_max3_f32 v16, v16, v17, v18
	v_or_b32_e32 v17, 18, v14
	v_or_b32_e32 v18, 19, v14
	v_cmp_gt_i32_e64 s[20:21], s33, v17
	v_cmp_gt_i32_e64 s[22:23], s33, v18
	v_mad_i64_i32 v[2:3], s[6:7], v57, s45, 0
	v_cndmask_b32_e64 v17, v15, v52, s[20:21]
	v_cndmask_b32_e64 v18, v15, v53, s[22:23]
	v_max3_f32 v16, v16, v17, v18
	v_or_b32_e32 v17, 32, v14
	v_or_b32_e32 v18, 33, v14
	v_cmp_gt_i32_e64 s[16:17], s33, v17
	v_cmp_gt_i32_e64 s[18:19], s33, v18
	v_lshl_add_u64 v[2:3], v[2:3], 1, v[10:11]
	v_cndmask_b32_e64 v17, v15, v46, s[16:17]
	v_cndmask_b32_e64 v18, v15, v47, s[18:19]
	v_max3_f32 v16, v16, v17, v18
	v_or_b32_e32 v17, 34, v14
	v_or_b32_e32 v18, 35, v14
	v_cmp_gt_i32_e64 s[12:13], s33, v17
	v_cmp_gt_i32_e64 s[14:15], s33, v18
	global_load_dwordx4 v[6:9], v[2:3], off
	s_nop 0
	global_load_dwordx4 v[2:5], v[2:3], off offset:16
	v_cndmask_b32_e64 v17, v15, v48, s[12:13]
	v_cndmask_b32_e64 v18, v15, v49, s[14:15]
	v_max3_f32 v16, v16, v17, v18
	v_or_b32_e32 v17, 48, v14
	v_or_b32_e32 v18, 49, v14
	v_cmp_gt_i32_e64 s[8:9], s33, v17
	v_cmp_gt_i32_e64 s[10:11], s33, v18
	global_load_dwordx4 v[30:33], v[58:59], off
	global_load_dwordx4 v[26:29], v[58:59], off offset:16
	v_cndmask_b32_e64 v17, v15, v44, s[8:9]
	v_cndmask_b32_e64 v18, v15, v45, s[10:11]
	v_max3_f32 v16, v16, v17, v18
	v_or_b32_e32 v17, 50, v14
	v_or_b32_e32 v14, 51, v14
	v_cmp_gt_i32_e32 vcc, s33, v17
	v_cmp_gt_i32_e64 s[6:7], s33, v14
	s_nop 0
	v_cndmask_b32_e32 v17, v15, v38, vcc
	v_cndmask_b32_e64 v14, v15, v39, s[6:7]
	v_max3_f32 v16, v16, v17, v14
	v_mbcnt_lo_u32_b32 v14, -1, 0
	v_mbcnt_hi_u32_b32 v17, -1, v14
	v_and_b32_e32 v14, 64, v17
	v_add_u32_e32 v18, 64, v14
	v_xor_b32_e32 v14, 32, v17
	v_cmp_lt_i32_e64 s[40:41], v14, v18
	s_nop 1
	v_cndmask_b32_e64 v14, v17, v14, s[40:41]
	v_lshlrev_b32_e32 v57, 2, v14
	ds_bpermute_b32 v19, v57, v16
	s_waitcnt vmcnt(5)
	v_mad_i64_i32 v[14:15], s[40:41], v36, s45, 0
	v_lshl_add_u64 v[14:15], v[14:15], 1, v[10:11]
	s_waitcnt lgkmcnt(0)
	v_max_f32_e32 v19, v19, v19
	v_max_f32_e32 v16, v16, v19
	v_xor_b32_e32 v19, 16, v17
	v_cmp_lt_i32_e64 s[40:41], v19, v18
	s_nop 1
	v_cndmask_b32_e64 v17, v17, v19, s[40:41]
	v_lshlrev_b32_e32 v59, 2, v17
	ds_bpermute_b32 v17, v59, v16
	global_load_dwordx4 v[22:25], v[14:15], off
	global_load_dwordx4 v[18:21], v[14:15], off offset:16
	s_waitcnt vmcnt(6)
	v_mad_i64_i32 v[14:15], s[40:41], v60, s45, 0
	v_lshl_add_u64 v[10:11], v[14:15], 1, v[10:11]
	s_waitcnt lgkmcnt(0)
	v_max_f32_e32 v14, v17, v17
	v_max_f32_e32 v36, v16, v14
	v_sub_f32_e32 v12, v12, v36
	v_mul_f32_e32 v12, 0x3fb8aa3b, v12
	v_exp_f32_e32 v40, v12
	v_sub_f32_e32 v12, v13, v36
	v_mul_f32_e32 v12, 0x3fb8aa3b, v12
	v_exp_f32_e32 v41, v12
	global_load_dwordx4 v[14:17], v[10:11], off
	s_nop 0
	global_load_dwordx4 v[10:13], v[10:11], off offset:16
	v_sub_f32_e32 v50, v50, v36
	v_mul_f32_e32 v50, 0x3fb8aa3b, v50
	v_sub_f32_e32 v51, v51, v36
	v_exp_f32_e32 v50, v50
	v_mul_f32_e32 v51, 0x3fb8aa3b, v51
	v_sub_f32_e32 v42, v42, v36
	v_exp_f32_e32 v51, v51
	v_mul_f32_e32 v42, 0x3fb8aa3b, v42
	v_sub_f32_e32 v43, v43, v36
	v_cndmask_b32_e64 v40, 0, v40, s[30:31]
	v_exp_f32_e32 v42, v42
	v_mul_f32_e32 v43, 0x3fb8aa3b, v43
	v_sub_f32_e32 v52, v52, v36
	v_add_f32_e32 v58, 0, v40
	v_cndmask_b32_e64 v41, 0, v41, s[34:35]
	v_exp_f32_e32 v43, v43
	v_mul_f32_e32 v52, 0x3fb8aa3b, v52
	v_sub_f32_e32 v53, v53, v36
	v_add_f32_e32 v58, v58, v41
	;; [unrolled: 5-line block ×10, first 2 shown]
	v_cndmask_b32_e64 v48, 0, v48, s[12:13]
	v_exp_f32_e32 v38, v38
	v_mul_f32_e32 v39, 0x3fb8aa3b, v39
	v_add_f32_e32 v58, v58, v48
	v_cndmask_b32_e64 v49, 0, v49, s[14:15]
	v_exp_f32_e32 v39, v39
	v_add_f32_e32 v58, v58, v49
	v_cndmask_b32_e64 v44, 0, v44, s[8:9]
	v_add_f32_e32 v58, v58, v44
	v_cndmask_b32_e64 v45, 0, v45, s[10:11]
	v_add_f32_e32 v58, v58, v45
	v_cndmask_b32_e32 v38, 0, v38, vcc
	v_add_f32_e32 v58, v58, v38
	v_cndmask_b32_e64 v39, 0, v39, s[6:7]
	v_add_f32_e32 v58, v58, v39
	ds_bpermute_b32 v57, v57, v58
	v_cmp_gt_u32_e64 s[6:7], 16, v56
	s_waitcnt lgkmcnt(0)
	s_barrier
	v_add_f32_e32 v58, v58, v57
	ds_bpermute_b32 v59, v59, v58
	v_lshlrev_b32_e32 v57, 2, v55
	s_and_saveexec_b64 s[8:9], s[6:7]
	s_cbranch_execz .LBB532_15
; %bb.14:
	s_waitcnt lgkmcnt(0)
	v_add_f32_e32 v56, v58, v59
	v_lshl_or_b32 v58, v54, 6, v57
	ds_write2st64_b32 v58, v36, v56 offset1:1
.LBB532_15:
	s_or_b64 exec, exec, s[8:9]
	s_load_dwordx2 s[8:9], s[0:1], 0x94
	s_waitcnt lgkmcnt(0)
	s_barrier
	ds_read2_b32 v[58:59], v57 offset1:16
	ds_read2_b32 v[60:61], v57 offset0:32 offset1:48
	ds_read2_b32 v[62:63], v57 offset0:64 offset1:80
	s_movk_i32 s12, 0x7fff
	s_mov_b32 s13, 0x7060302
	s_waitcnt lgkmcnt(2)
	v_max3_f32 v36, v58, s42, v59
	s_waitcnt lgkmcnt(1)
	v_max3_f32 v56, v36, v60, v61
	v_sub_f32_e32 v36, v58, v56
	v_sub_f32_e32 v58, v59, v56
	v_mul_f32_e32 v58, 0x3fb8aa3b, v58
	v_mul_f32_e32 v36, 0x3fb8aa3b, v36
	v_exp_f32_e32 v64, v58
	v_sub_f32_e32 v58, v60, v56
	v_exp_f32_e32 v36, v36
	v_mul_f32_e32 v58, 0x3fb8aa3b, v58
	v_exp_f32_e32 v60, v58
	ds_read2_b32 v[58:59], v57 offset0:96 offset1:112
	v_sub_f32_e32 v57, v61, v56
	v_mul_f32_e32 v57, 0x3fb8aa3b, v57
	v_exp_f32_e32 v61, v57
	s_waitcnt lgkmcnt(1)
	v_fma_f32 v57, v36, v62, 0
	v_fmac_f32_e32 v57, v64, v63
	s_waitcnt lgkmcnt(0)
	v_fmac_f32_e32 v57, v60, v58
	v_fmac_f32_e32 v57, v61, v59
	v_add_f32_e32 v58, 0x358637bd, v57
	v_div_scale_f32 v59, s[10:11], v58, v58, 1.0
	v_rcp_f32_e32 v62, v59
	s_barrier
	v_fma_f32 v63, -v59, v62, 1.0
	v_fmac_f32_e32 v62, v63, v62
	v_div_scale_f32 v63, vcc, 1.0, v58, 1.0
	v_mul_f32_e32 v65, v63, v62
	v_fma_f32 v66, -v59, v65, v63
	v_fmac_f32_e32 v65, v66, v62
	v_fma_f32 v59, -v59, v65, v63
	v_div_fmas_f32 v59, v59, v62, v65
	v_cmp_eq_u32_e32 vcc, 1, v54
	v_div_fixup_f32 v58, v59, v58, 1.0
	s_nop 0
	v_cndmask_b32_e32 v36, v36, v64, vcc
	v_cmp_eq_u32_e32 vcc, 2, v54
	s_nop 1
	v_cndmask_b32_e32 v36, v36, v60, vcc
	v_cmp_eq_u32_e32 vcc, 3, v54
	s_nop 1
	v_cndmask_b32_e32 v36, v36, v61, vcc
	v_mul_f32_e32 v58, v36, v58
	v_pk_mul_f32 v[40:41], v[58:59], v[40:41] op_sel_hi:[0,1]
	v_pk_mul_f32 v[50:51], v[58:59], v[50:51] op_sel_hi:[0,1]
	v_bfe_u32 v36, v41, 16, 1
	v_bfe_u32 v59, v40, 16, 1
	v_add3_u32 v40, v40, v59, s12
	v_add3_u32 v36, v41, v36, s12
	v_perm_b32 v60, v36, v40, s13
	v_bfe_u32 v36, v51, 16, 1
	v_bfe_u32 v40, v50, 16, 1
	v_add3_u32 v40, v50, v40, s12
	v_add3_u32 v36, v51, v36, s12
	v_perm_b32 v61, v36, v40, s13
	v_lshlrev_b32_e32 v36, 3, v1
	v_lshlrev_b32_e32 v40, 5, v55
	;; [unrolled: 1-line block ×3, first 2 shown]
	v_pk_mul_f32 v[42:43], v[58:59], v[42:43] op_sel_hi:[0,1]
	v_or3_b32 v36, v41, v40, v36
	v_pk_mul_f32 v[50:51], v[58:59], v[52:53] op_sel_hi:[0,1]
	v_bfe_u32 v41, v43, 16, 1
	v_bfe_u32 v52, v42, 16, 1
	v_add3_u32 v42, v42, v52, s12
	v_add3_u32 v41, v43, v41, s12
	v_perm_b32 v42, v41, v42, s13
	v_bfe_u32 v41, v51, 16, 1
	v_bfe_u32 v43, v50, 16, 1
	v_add3_u32 v43, v50, v43, s12
	v_add3_u32 v41, v51, v41, s12
	v_perm_b32 v43, v41, v43, s13
	v_pk_mul_f32 v[46:47], v[58:59], v[46:47] op_sel_hi:[0,1]
	ds_write2st64_b64 v36, v[60:61], v[42:43] offset1:1
	v_pk_mul_f32 v[42:43], v[58:59], v[48:49] op_sel_hi:[0,1]
	v_bfe_u32 v41, v47, 16, 1
	v_bfe_u32 v48, v46, 16, 1
	v_add3_u32 v46, v46, v48, s12
	v_add3_u32 v41, v47, v41, s12
	v_perm_b32 v46, v41, v46, s13
	v_bfe_u32 v41, v43, 16, 1
	v_bfe_u32 v47, v42, 16, 1
	v_add3_u32 v42, v42, v47, s12
	v_add3_u32 v41, v43, v41, s12
	v_perm_b32 v47, v41, v42, s13
	v_pk_mul_f32 v[42:43], v[58:59], v[44:45] op_sel_hi:[0,1]
	v_bfe_u32 v41, v43, 16, 1
	v_bfe_u32 v44, v42, 16, 1
	v_pk_mul_f32 v[38:39], v[58:59], v[38:39] op_sel_hi:[0,1]
	v_add3_u32 v42, v42, v44, s12
	v_add3_u32 v41, v43, v41, s12
	v_perm_b32 v42, v41, v42, s13
	v_bfe_u32 v41, v39, 16, 1
	v_bfe_u32 v43, v38, 16, 1
	v_add3_u32 v38, v38, v43, s12
	v_add3_u32 v39, v39, v41, s12
	v_perm_b32 v43, v39, v38, s13
	v_cmp_eq_u32_e32 vcc, 0, v0
	ds_write2st64_b64 v36, v[46:47], v[42:43] offset0:2 offset1:3
	s_and_saveexec_b64 s[10:11], vcc
	s_cbranch_execz .LBB532_17
; %bb.16:
	s_mul_i32 s3, s3, s9
	s_mul_hi_u32 s14, s2, s9
	s_add_i32 s14, s14, s3
	s_mul_i32 s3, s2, s9
	s_add_u32 s3, s3, s4
	s_addc_u32 s14, s14, 0
	s_load_dwordx4 s[16:19], s[0:1], 0x58
	s_mul_i32 s14, s14, s8
	s_mul_hi_u32 s15, s3, s8
	s_add_i32 s15, s15, s14
	s_mul_i32 s3, s3, s8
	s_add_u32 s14, s3, s5
	s_addc_u32 s15, s15, 0
	s_lshl_b64 s[14:15], s[14:15], 2
	s_waitcnt lgkmcnt(0)
	s_add_u32 s18, s18, s14
	s_addc_u32 s19, s19, s15
	s_add_u32 s14, s16, s14
	s_addc_u32 s15, s17, s15
	global_store_dword v37, v56, s[18:19]
	global_store_dword v37, v57, s[14:15]
.LBB532_17:
	s_or_b64 exec, exec, s[10:11]
	v_lshl_or_b32 v37, v1, 9, v40
	s_waitcnt lgkmcnt(0)
	s_barrier
	ds_read_b128 v[38:41], v37
	ds_read_b128 v[42:45], v37 offset:16
	s_waitcnt vmcnt(7) lgkmcnt(1)
	v_mfma_f32_16x16x16_bf16 v[46:49], v[6:7], v[38:39], 0
	v_cmp_gt_u32_e32 vcc, 64, v0
	s_and_b64 s[10:11], s[28:29], vcc
	s_mov_b32 s3, 0
	v_mfma_f32_16x16x16_bf16 v[6:9], v[8:9], v[40:41], v[46:49]
	s_and_b64 s[6:7], s[10:11], s[6:7]
	s_waitcnt vmcnt(6) lgkmcnt(0)
	v_mfma_f32_16x16x16_bf16 v[6:9], v[2:3], v[42:43], v[6:9]
	v_mfma_f32_16x16x16_bf16 v[2:5], v[4:5], v[44:45], v[6:9]
	s_nop 5
	ds_read_b128 v[6:9], v37 offset:2048
	ds_read_b128 v[38:41], v37 offset:2064
	s_waitcnt vmcnt(5) lgkmcnt(1)
	v_mfma_f32_16x16x16_bf16 v[2:5], v[30:31], v[6:7], v[2:5]
	v_mfma_f32_16x16x16_bf16 v[2:5], v[32:33], v[8:9], v[2:5]
	s_waitcnt vmcnt(4) lgkmcnt(0)
	v_mfma_f32_16x16x16_bf16 v[2:5], v[26:27], v[38:39], v[2:5]
	v_mfma_f32_16x16x16_bf16 v[2:5], v[28:29], v[40:41], v[2:5]
	ds_read_b128 v[6:9], v37 offset:4096
	ds_read_b128 v[26:29], v37 offset:4112
	s_waitcnt vmcnt(3) lgkmcnt(1)
	v_mfma_f32_16x16x16_bf16 v[2:5], v[22:23], v[6:7], v[2:5]
	v_mfma_f32_16x16x16_bf16 v[2:5], v[24:25], v[8:9], v[2:5]
	s_waitcnt vmcnt(2) lgkmcnt(0)
	v_mfma_f32_16x16x16_bf16 v[2:5], v[18:19], v[26:27], v[2:5]
	v_mfma_f32_16x16x16_bf16 v[2:5], v[20:21], v[28:29], v[2:5]
	ds_read_b128 v[6:9], v37 offset:6144
	ds_read_b128 v[18:21], v37 offset:6160
	s_waitcnt lgkmcnt(0)
	s_barrier
	s_waitcnt vmcnt(1)
	v_mfma_f32_16x16x16_bf16 v[2:5], v[14:15], v[6:7], v[2:5]
	v_mfma_f32_16x16x16_bf16 v[2:5], v[16:17], v[8:9], v[2:5]
	s_waitcnt vmcnt(0)
	v_mfma_f32_16x16x16_bf16 v[2:5], v[10:11], v[18:19], v[2:5]
	v_mfma_f32_16x16x16_bf16 v[2:5], v[12:13], v[20:21], v[2:5]
	s_nop 6
	v_bfe_u32 v6, v3, 16, 1
	v_bfe_u32 v7, v2, 16, 1
	;; [unrolled: 1-line block ×4, first 2 shown]
	v_add3_u32 v2, v2, v7, s12
	v_add3_u32 v3, v3, v6, s12
	;; [unrolled: 1-line block ×4, first 2 shown]
	v_perm_b32 v2, v3, v2, s13
	v_perm_b32 v3, v5, v4, s13
	ds_write_b64 v36, v[2:3]
	s_waitcnt lgkmcnt(0)
	s_barrier
	s_and_saveexec_b64 s[10:11], s[6:7]
	s_cbranch_execz .LBB532_19
; %bb.18:
	s_load_dwordx2 s[0:1], s[0:1], 0x68
	s_mul_i32 s2, s9, s2
	s_lshl_b32 s8, s8, 6
	s_mul_hi_u32 s7, s2, s8
	s_mul_i32 s6, s2, s8
	s_lshl_b64 s[6:7], s[6:7], 1
	s_waitcnt lgkmcnt(0)
	s_add_u32 s6, s0, s6
	v_lshlrev_b32_e32 v2, 10, v0
	v_lshlrev_b32_e32 v0, 4, v0
	s_addc_u32 s7, s1, s7
	s_lshl_b32 s2, s5, 6
	v_and_b32_e32 v2, 0x1800, v2
	v_lshlrev_b32_e32 v1, 5, v1
	v_and_b32_e32 v0, 16, v0
	s_lshl_b64 s[0:1], s[2:3], 1
	v_or3_b32 v0, v2, v1, v0
	s_add_u32 s2, s6, s0
	ds_read_b128 v[0:3], v0
	s_addc_u32 s3, s7, s1
	s_mul_hi_u32 s1, s8, s4
	s_mul_i32 s0, s8, s4
	s_lshl_b64 s[0:1], s[0:1], 1
	s_add_u32 s0, s2, s0
	s_addc_u32 s1, s3, s1
	v_lshl_add_u64 v[4:5], v[34:35], 1, s[0:1]
	s_waitcnt lgkmcnt(0)
	global_store_dwordx4 v[4:5], v[0:3], off
.LBB532_19:
	s_endpgm
	.section	.rodata,"a",@progbits
	.p2align	6, 0x0
	.amdhsa_kernel _Z39paged_attention_ll4mi_QKV_mfma16_kernelI14__hip_bfloat16S0_LN4vllm18Fp8KVCacheDataTypeE0EhLi32ELi64ELi256ELb0ELi1EEvPKT_PKT0_S8_ifPKiSA_SA_iPKfiiiPfSD_PS3_PT2_iSC_SC_
		.amdhsa_group_segment_fixed_size 8192
		.amdhsa_private_segment_fixed_size 0
		.amdhsa_kernarg_size 400
		.amdhsa_user_sgpr_count 2
		.amdhsa_user_sgpr_dispatch_ptr 0
		.amdhsa_user_sgpr_queue_ptr 0
		.amdhsa_user_sgpr_kernarg_segment_ptr 1
		.amdhsa_user_sgpr_dispatch_id 0
		.amdhsa_user_sgpr_kernarg_preload_length 0
		.amdhsa_user_sgpr_kernarg_preload_offset 0
		.amdhsa_user_sgpr_private_segment_size 0
		.amdhsa_uses_dynamic_stack 0
		.amdhsa_enable_private_segment 0
		.amdhsa_system_sgpr_workgroup_id_x 1
		.amdhsa_system_sgpr_workgroup_id_y 1
		.amdhsa_system_sgpr_workgroup_id_z 1
		.amdhsa_system_sgpr_workgroup_info 0
		.amdhsa_system_vgpr_workitem_id 0
		.amdhsa_next_free_vgpr 67
		.amdhsa_next_free_sgpr 48
		.amdhsa_accum_offset 68
		.amdhsa_reserve_vcc 1
		.amdhsa_float_round_mode_32 0
		.amdhsa_float_round_mode_16_64 0
		.amdhsa_float_denorm_mode_32 3
		.amdhsa_float_denorm_mode_16_64 3
		.amdhsa_dx10_clamp 1
		.amdhsa_ieee_mode 1
		.amdhsa_fp16_overflow 0
		.amdhsa_tg_split 0
		.amdhsa_exception_fp_ieee_invalid_op 0
		.amdhsa_exception_fp_denorm_src 0
		.amdhsa_exception_fp_ieee_div_zero 0
		.amdhsa_exception_fp_ieee_overflow 0
		.amdhsa_exception_fp_ieee_underflow 0
		.amdhsa_exception_fp_ieee_inexact 0
		.amdhsa_exception_int_div_zero 0
	.end_amdhsa_kernel
	.section	.text._Z39paged_attention_ll4mi_QKV_mfma16_kernelI14__hip_bfloat16S0_LN4vllm18Fp8KVCacheDataTypeE0EhLi32ELi64ELi256ELb0ELi1EEvPKT_PKT0_S8_ifPKiSA_SA_iPKfiiiPfSD_PS3_PT2_iSC_SC_,"axG",@progbits,_Z39paged_attention_ll4mi_QKV_mfma16_kernelI14__hip_bfloat16S0_LN4vllm18Fp8KVCacheDataTypeE0EhLi32ELi64ELi256ELb0ELi1EEvPKT_PKT0_S8_ifPKiSA_SA_iPKfiiiPfSD_PS3_PT2_iSC_SC_,comdat
.Lfunc_end532:
	.size	_Z39paged_attention_ll4mi_QKV_mfma16_kernelI14__hip_bfloat16S0_LN4vllm18Fp8KVCacheDataTypeE0EhLi32ELi64ELi256ELb0ELi1EEvPKT_PKT0_S8_ifPKiSA_SA_iPKfiiiPfSD_PS3_PT2_iSC_SC_, .Lfunc_end532-_Z39paged_attention_ll4mi_QKV_mfma16_kernelI14__hip_bfloat16S0_LN4vllm18Fp8KVCacheDataTypeE0EhLi32ELi64ELi256ELb0ELi1EEvPKT_PKT0_S8_ifPKiSA_SA_iPKfiiiPfSD_PS3_PT2_iSC_SC_
                                        ; -- End function
	.section	.AMDGPU.csdata,"",@progbits
; Kernel info:
; codeLenInByte = 3980
; NumSgprs: 54
; NumVgprs: 67
; NumAgprs: 0
; TotalNumVgprs: 67
; ScratchSize: 0
; MemoryBound: 0
; FloatMode: 240
; IeeeMode: 1
; LDSByteSize: 8192 bytes/workgroup (compile time only)
; SGPRBlocks: 6
; VGPRBlocks: 8
; NumSGPRsForWavesPerEU: 54
; NumVGPRsForWavesPerEU: 67
; AccumOffset: 68
; Occupancy: 7
; WaveLimiterHint : 1
; COMPUTE_PGM_RSRC2:SCRATCH_EN: 0
; COMPUTE_PGM_RSRC2:USER_SGPR: 2
; COMPUTE_PGM_RSRC2:TRAP_HANDLER: 0
; COMPUTE_PGM_RSRC2:TGID_X_EN: 1
; COMPUTE_PGM_RSRC2:TGID_Y_EN: 1
; COMPUTE_PGM_RSRC2:TGID_Z_EN: 1
; COMPUTE_PGM_RSRC2:TIDIG_COMP_CNT: 0
; COMPUTE_PGM_RSRC3_GFX90A:ACCUM_OFFSET: 16
; COMPUTE_PGM_RSRC3_GFX90A:TG_SPLIT: 0
	.section	.text._Z39paged_attention_ll4mi_QKV_mfma16_kernelI14__hip_bfloat16S0_LN4vllm18Fp8KVCacheDataTypeE0EhLi32ELi64ELi256ELb0ELi2EEvPKT_PKT0_S8_ifPKiSA_SA_iPKfiiiPfSD_PS3_PT2_iSC_SC_,"axG",@progbits,_Z39paged_attention_ll4mi_QKV_mfma16_kernelI14__hip_bfloat16S0_LN4vllm18Fp8KVCacheDataTypeE0EhLi32ELi64ELi256ELb0ELi2EEvPKT_PKT0_S8_ifPKiSA_SA_iPKfiiiPfSD_PS3_PT2_iSC_SC_,comdat
	.protected	_Z39paged_attention_ll4mi_QKV_mfma16_kernelI14__hip_bfloat16S0_LN4vllm18Fp8KVCacheDataTypeE0EhLi32ELi64ELi256ELb0ELi2EEvPKT_PKT0_S8_ifPKiSA_SA_iPKfiiiPfSD_PS3_PT2_iSC_SC_ ; -- Begin function _Z39paged_attention_ll4mi_QKV_mfma16_kernelI14__hip_bfloat16S0_LN4vllm18Fp8KVCacheDataTypeE0EhLi32ELi64ELi256ELb0ELi2EEvPKT_PKT0_S8_ifPKiSA_SA_iPKfiiiPfSD_PS3_PT2_iSC_SC_
	.globl	_Z39paged_attention_ll4mi_QKV_mfma16_kernelI14__hip_bfloat16S0_LN4vllm18Fp8KVCacheDataTypeE0EhLi32ELi64ELi256ELb0ELi2EEvPKT_PKT0_S8_ifPKiSA_SA_iPKfiiiPfSD_PS3_PT2_iSC_SC_
	.p2align	8
	.type	_Z39paged_attention_ll4mi_QKV_mfma16_kernelI14__hip_bfloat16S0_LN4vllm18Fp8KVCacheDataTypeE0EhLi32ELi64ELi256ELb0ELi2EEvPKT_PKT0_S8_ifPKiSA_SA_iPKfiiiPfSD_PS3_PT2_iSC_SC_,@function
_Z39paged_attention_ll4mi_QKV_mfma16_kernelI14__hip_bfloat16S0_LN4vllm18Fp8KVCacheDataTypeE0EhLi32ELi64ELi256ELb0ELi2EEvPKT_PKT0_S8_ifPKiSA_SA_iPKfiiiPfSD_PS3_PT2_iSC_SC_: ; @_Z39paged_attention_ll4mi_QKV_mfma16_kernelI14__hip_bfloat16S0_LN4vllm18Fp8KVCacheDataTypeE0EhLi32ELi64ELi256ELb0ELi2EEvPKT_PKT0_S8_ifPKiSA_SA_iPKfiiiPfSD_PS3_PT2_iSC_SC_
; %bb.0:
	s_load_dwordx2 s[6:7], s[0:1], 0x30
	s_mov_b32 s28, s3
	s_mov_b64 s[10:11], 0
	s_waitcnt lgkmcnt(0)
	s_cmp_lg_u64 s[6:7], 0
	s_cselect_b64 s[8:9], -1, 0
	s_and_b64 vcc, exec, s[8:9]
	s_cbranch_vccz .LBB533_7
; %bb.1:
	s_add_i32 s12, s2, 1
	s_mov_b32 s13, 0
	s_lshl_b64 s[14:15], s[12:13], 2
	s_add_u32 s14, s6, s14
	s_mov_b32 s3, s13
	s_addc_u32 s15, s7, s15
	s_lshl_b64 s[12:13], s[2:3], 2
	s_add_u32 s12, s6, s12
	s_addc_u32 s13, s7, s13
	s_load_dword s5, s[14:15], 0x0
	s_load_dword s16, s[12:13], 0x0
	s_waitcnt lgkmcnt(0)
	s_sub_i32 s5, s5, s16
	s_cmp_eq_u32 s5, 1
	s_cselect_b64 s[12:13], -1, 0
	s_andn2_b64 vcc, exec, s[10:11]
	s_cbranch_vccnz .LBB533_3
.LBB533_2:
	s_mov_b32 s3, 0
	s_mov_b64 s[12:13], -1
.LBB533_3:
	s_andn2_b64 vcc, exec, s[12:13]
	s_cbranch_vccnz .LBB533_19
; %bb.4:
	s_load_dwordx2 s[12:13], s[0:1], 0x28
	s_lshl_b64 s[10:11], s[2:3], 2
	s_waitcnt lgkmcnt(0)
	s_add_u32 s12, s12, s10
	s_addc_u32 s13, s13, s11
	s_load_dword s40, s[12:13], 0x0
	s_lshl_b32 s14, s28, 8
	s_waitcnt lgkmcnt(0)
	s_cmp_ge_i32 s14, s40
	s_cbranch_scc1 .LBB533_19
; %bb.5:
	s_load_dwordx2 s[12:13], s[0:1], 0x20
	s_load_dword s5, s[0:1], 0x38
	s_add_i32 s15, s40, 31
	s_ashr_i32 s16, s15, 31
	v_and_b32_e32 v1, 0xcf, v0
	s_lshr_b32 s16, s16, 27
	v_add_u32_e32 v1, s14, v1
	s_add_i32 s15, s15, s16
	v_ashrrev_i32_e32 v2, 31, v1
	s_ashr_i32 s15, s15, 5
	v_lshrrev_b32_e32 v10, 27, v2
	s_add_i32 s15, s15, -1
	s_waitcnt lgkmcnt(0)
	s_mul_i32 s16, s2, s5
	s_mov_b32 s17, 0
	v_add_u32_e32 v2, v1, v10
	s_lshl_b64 s[16:17], s[16:17], 2
	v_ashrrev_i32_e32 v2, 5, v2
	v_mov_b32_e32 v11, s15
	v_cmp_gt_i32_e32 vcc, s40, v1
	s_add_u32 s12, s12, s16
	s_addc_u32 s13, s13, s17
	v_cndmask_b32_e32 v2, v11, v2, vcc
	v_ashrrev_i32_e32 v3, 31, v2
	v_lshl_add_u64 v[4:5], v[2:3], 2, s[12:13]
	v_or_b32_e32 v2, 16, v1
	v_add_u32_e32 v3, v2, v10
	v_ashrrev_i32_e32 v3, 5, v3
	v_cmp_gt_i32_e32 vcc, s40, v2
	s_nop 1
	v_cndmask_b32_e32 v2, v11, v3, vcc
	v_ashrrev_i32_e32 v3, 31, v2
	v_lshl_add_u64 v[6:7], v[2:3], 2, s[12:13]
	v_or_b32_e32 v2, 32, v1
	v_add_u32_e32 v3, v2, v10
	v_ashrrev_i32_e32 v3, 5, v3
	v_cmp_gt_i32_e32 vcc, s40, v2
	v_or_b32_e32 v1, 48, v1
	s_nop 0
	v_cndmask_b32_e32 v2, v11, v3, vcc
	v_ashrrev_i32_e32 v3, 31, v2
	v_lshl_add_u64 v[8:9], v[2:3], 2, s[12:13]
	v_add_u32_e32 v2, v1, v10
	v_ashrrev_i32_e32 v2, 5, v2
	v_cmp_gt_i32_e32 vcc, s40, v1
	s_nop 1
	v_cndmask_b32_e32 v2, v11, v2, vcc
	v_ashrrev_i32_e32 v3, 31, v2
	v_lshl_add_u64 v[12:13], v[2:3], 2, s[12:13]
	global_load_dword v3, v[4:5], off
	global_load_dword v2, v[6:7], off
	;; [unrolled: 1-line block ×4, first 2 shown]
	s_andn2_b64 vcc, exec, s[8:9]
	s_cbranch_vccnz .LBB533_8
; %bb.6:
	s_add_u32 s6, s6, s10
	s_addc_u32 s7, s7, s11
	s_load_dword s5, s[6:7], 0x0
	s_branch .LBB533_9
.LBB533_7:
	s_mov_b64 s[12:13], 0
	s_branch .LBB533_2
.LBB533_8:
	s_mov_b32 s5, s2
.LBB533_9:
	s_load_dwordx4 s[8:11], s[0:1], 0x8
	s_load_dwordx4 s[44:47], s[0:1], 0x48
	v_lshrrev_b32_e32 v53, 6, v0
	v_bfe_u32 v1, v0, 4, 2
	v_lshl_or_b32 v4, v53, 2, v1
	v_and_b32_e32 v54, 15, v0
	v_cmp_lt_u32_e32 vcc, 1, v4
	v_cmp_lt_u32_e64 s[6:7], 7, v54
	v_lshlrev_b32_e32 v34, 3, v54
	v_cmp_gt_u32_e64 s[30:31], 8, v54
	s_or_b64 s[6:7], s[6:7], vcc
	s_and_saveexec_b64 s[16:17], s[6:7]
	s_xor_b64 s[6:7], exec, s[16:17]
; %bb.10:
	v_mov_b32_e32 v35, 0
                                        ; implicit-def: $vgpr4
; %bb.11:
	s_or_saveexec_b64 s[6:7], s[6:7]
	s_lshl_b32 s29, s4, 1
	v_and_b32_e32 v52, 63, v0
	s_xor_b64 exec, exec, s[6:7]
	s_cbranch_execz .LBB533_13
; %bb.12:
	s_load_dwordx2 s[16:17], s[0:1], 0x0
	s_waitcnt lgkmcnt(0)
	s_ashr_i32 s18, s44, 31
	s_mul_hi_u32 s19, s5, s44
	s_mul_i32 s18, s5, s18
	s_add_i32 s19, s19, s18
	s_mul_i32 s18, s5, s44
	s_lshl_b64 s[18:19], s[18:19], 1
	s_add_u32 s16, s16, s18
	v_add_lshl_u32 v6, v1, s29, 6
	s_addc_u32 s17, s17, s19
	v_ashrrev_i32_e32 v7, 31, v6
	v_mov_b32_e32 v35, 0
	v_lshl_add_u64 v[6:7], v[6:7], 1, s[16:17]
	v_lshlrev_b32_e32 v8, 1, v34
	v_mov_b32_e32 v9, v35
	v_lshl_add_u64 v[6:7], v[6:7], 0, v[8:9]
	global_load_dwordx4 v[6:9], v[6:7], off
	v_and_b32_e32 v5, 3, v0
	v_lshlrev_b32_e32 v11, 9, v54
	v_lshlrev_b32_e32 v4, 5, v4
	;; [unrolled: 1-line block ×3, first 2 shown]
	v_and_b32_e32 v11, 0x1800, v11
	v_or3_b32 v4, v11, v5, v4
	s_waitcnt vmcnt(0)
	ds_write_b128 v4, v[6:9]
.LBB533_13:
	s_or_b64 exec, exec, s[6:7]
	s_waitcnt lgkmcnt(0)
	s_mul_i32 s4, s4, s46
	s_mov_b32 s5, 0
	s_lshl_b64 s[4:5], s[4:5], 1
	s_add_u32 s8, s8, s4
	s_addc_u32 s9, s9, s5
	s_waitcnt vmcnt(3)
	v_mad_i64_i32 v[4:5], s[16:17], v3, s45, 0
	v_lshl_add_u64 v[4:5], v[4:5], 1, s[8:9]
	v_lshlrev_b64 v[12:13], 1, v[34:35]
	v_lshlrev_b32_e32 v36, 9, v1
	v_lshl_add_u64 v[4:5], v[4:5], 0, v[12:13]
	v_mov_b32_e32 v37, 0
	v_lshl_add_u64 v[20:21], v[4:5], 0, v[36:37]
	s_waitcnt vmcnt(2)
	v_mad_i64_i32 v[2:3], s[16:17], v2, s45, 0
	v_mov_b32_e32 v4, 0x100
	v_lshl_add_u64 v[2:3], v[2:3], 1, s[8:9]
	v_lshl_or_b32 v38, v54, 4, v4
	v_mov_b32_e32 v39, v37
	s_load_dword s33, s[0:1], 0x98
	s_load_dword s6, s[0:1], 0x1c
	s_waitcnt lgkmcnt(0)
	s_barrier
	v_lshl_add_u64 v[2:3], v[2:3], 0, v[38:39]
	global_load_dwordx4 v[6:9], v[20:21], off
	v_lshl_add_u64 v[22:23], v[2:3], 0, v[36:37]
	global_load_dwordx4 v[2:5], v[22:23], off
	global_load_dwordx4 v[26:29], v[22:23], off offset:2048
	s_waitcnt vmcnt(4)
	v_mad_i64_i32 v[10:11], s[16:17], v10, s45, 0
	v_lshl_add_u64 v[10:11], v[10:11], 1, s[8:9]
	v_lshl_add_u64 v[10:11], v[10:11], 0, v[12:13]
	;; [unrolled: 1-line block ×3, first 2 shown]
	global_load_dwordx4 v[10:13], v[20:21], off offset:2048
	global_load_dwordx4 v[14:17], v[24:25], off
	global_load_dwordx4 v[30:33], v[24:25], off offset:2048
	s_waitcnt vmcnt(6)
	v_mad_i64_i32 v[40:41], s[16:17], v18, s45, 0
	v_lshl_add_u64 v[40:41], v[40:41], 1, s[8:9]
	v_and_b32_e32 v19, 1, v0
	v_lshl_add_u64 v[38:39], v[40:41], 0, v[38:39]
	v_lshl_or_b32 v18, v19, 5, v36
	v_lshl_add_u64 v[38:39], v[38:39], 0, v[36:37]
	ds_read_b128 v[22:25], v18
	ds_read_b128 v[18:21], v18 offset:2048
	global_load_dwordx4 v[44:47], v[38:39], off
	global_load_dwordx4 v[60:63], v[38:39], off offset:2048
	s_ashr_i32 s7, s14, 31
	v_and_or_b32 v55, v0, 48, s14
	s_lshr_b32 s7, s7, 27
	v_add_u32_e32 v40, s7, v55
	v_mov_b32_e32 v64, s15
	v_or_b32_e32 v48, 64, v55
	v_ashrrev_i32_e32 v36, 5, v40
	v_cmp_gt_i32_e32 vcc, s40, v55
	v_add_u32_e32 v41, s7, v48
	v_ashrrev_i32_e32 v49, 5, v41
	v_cndmask_b32_e32 v40, v64, v36, vcc
	v_ashrrev_i32_e32 v41, 31, v40
	v_lshl_add_u64 v[40:41], v[40:41], 2, s[12:13]
	v_cmp_gt_i32_e32 vcc, s40, v48
	global_load_dword v65, v[40:41], off
	v_or_b32_e32 v39, 0x80, v55
	v_and_b32_e32 v36, 16, v0
	s_add_u32 s4, s10, s4
	v_lshlrev_b32_e32 v38, 6, v54
	s_addc_u32 s5, s11, s5
	v_lshlrev_b32_e32 v36, 1, v36
	s_mov_b32 s42, 0xff7fffff
	s_waitcnt vmcnt(8) lgkmcnt(1)
	v_mfma_f32_16x16x16_bf16 v[40:43], v[6:7], v[22:23], 0
	v_cndmask_b32_e32 v6, v64, v49, vcc
	v_ashrrev_i32_e32 v7, 31, v6
	v_cmp_gt_i32_e32 vcc, s40, v39
	s_waitcnt vmcnt(7)
	v_mfma_f32_16x16x16_bf16 v[48:51], v[2:3], v[22:23], 0
	v_lshl_add_u64 v[2:3], v[6:7], 2, s[12:13]
	global_load_dword v66, v[2:3], off
	v_mfma_f32_16x16x16_bf16 v[6:9], v[8:9], v[24:25], v[40:43]
	v_mfma_f32_16x16x16_bf16 v[2:5], v[4:5], v[24:25], v[48:51]
	s_nop 1
	v_or_b32_e32 v40, 0xc0, v55
	v_add_u32_e32 v41, s7, v39
	v_add_u32_e32 v42, s7, v40
	s_waitcnt vmcnt(6) lgkmcnt(0)
	v_mfma_f32_16x16x16_bf16 v[6:9], v[10:11], v[18:19], v[6:9]
	v_ashrrev_i32_e32 v41, 5, v41
	v_ashrrev_i32_e32 v43, 5, v42
	v_cndmask_b32_e32 v42, v64, v41, vcc
	s_waitcnt vmcnt(5)
	v_mfma_f32_16x16x16_bf16 v[56:59], v[14:15], v[22:23], 0
	v_cmp_gt_i32_e32 vcc, s40, v40
	v_lshl_add_u64 v[10:11], s[4:5], 0, v[36:37]
	v_lshl_or_b32 v36, v53, 10, v38
	v_mfma_f32_16x16x16_bf16 v[2:5], v[26:27], v[18:19], v[2:5]
	v_cndmask_b32_e32 v26, v64, v43, vcc
	v_ashrrev_i32_e32 v43, 31, v42
	v_ashrrev_i32_e32 v27, 31, v26
	v_mfma_f32_16x16x16_bf16 v[38:41], v[12:13], v[20:21], v[6:9]
	v_lshl_add_u64 v[10:11], v[10:11], 0, v[36:37]
	s_waitcnt vmcnt(0)
	v_mad_i64_i32 v[12:13], s[4:5], v66, s45, 0
	v_lshl_add_u64 v[6:7], v[42:43], 2, s[12:13]
	v_mfma_f32_16x16x16_bf16 v[14:17], v[16:17], v[24:25], v[56:59]
	v_lshl_add_u64 v[8:9], v[26:27], 2, s[12:13]
	global_load_dword v55, v[6:7], off
	s_nop 0
	global_load_dword v58, v[8:9], off
	v_lshl_add_u64 v[56:57], v[12:13], 1, v[10:11]
	v_mfma_f32_16x16x16_bf16 v[14:17], v[30:31], v[18:19], v[14:17]
	v_pk_mul_f32 v[12:13], s[6:7], v[38:39] op_sel_hi:[0,1]
	v_pk_mul_f32 v[48:49], s[6:7], v[40:41] op_sel_hi:[0,1]
	v_mfma_f32_16x16x16_bf16 v[14:17], v[32:33], v[20:21], v[14:17]
	v_mfma_f32_16x16x16_bf16 v[30:33], v[44:45], v[22:23], 0
	;; [unrolled: 1-line block ×3, first 2 shown]
	s_nop 4
	v_pk_mul_f32 v[46:47], s[6:7], v[16:17] op_sel_hi:[0,1]
	v_pk_mul_f32 v[44:45], s[6:7], v[14:15] op_sel_hi:[0,1]
	v_mfma_f32_16x16x16_bf16 v[22:25], v[60:61], v[18:19], v[22:25]
	v_mfma_f32_16x16x16_bf16 v[14:17], v[62:63], v[20:21], v[22:25]
	;; [unrolled: 1-line block ×3, first 2 shown]
	s_nop 5
	v_pk_mul_f32 v[42:43], s[6:7], v[14:15] op_sel_hi:[0,1]
	v_and_b32_e32 v14, 0xc0, v0
	v_add_u32_e32 v14, s14, v14
	v_lshl_or_b32 v14, v1, 2, v14
	v_mad_i64_i32 v[2:3], s[4:5], v65, s45, 0
	v_pk_mul_f32 v[36:37], s[6:7], v[16:17] op_sel_hi:[0,1]
	v_or_b32_e32 v17, 1, v14
	v_mov_b32_e32 v15, 0xff7fffff
	v_cmp_gt_i32_e64 s[4:5], s40, v14
	v_cmp_gt_i32_e64 s[34:35], s40, v17
	v_or_b32_e32 v18, 3, v14
	v_cndmask_b32_e64 v16, v15, v12, s[4:5]
	v_cndmask_b32_e64 v17, v15, v13, s[34:35]
	v_max3_f32 v16, v16, s42, v17
	v_or_b32_e32 v17, 2, v14
	v_cmp_gt_i32_e64 s[36:37], s40, v17
	v_cmp_gt_i32_e64 s[38:39], s40, v18
	v_pk_mul_f32 v[40:41], s[6:7], v[26:27] op_sel_hi:[0,1]
	v_cndmask_b32_e64 v17, v15, v48, s[36:37]
	v_cndmask_b32_e64 v18, v15, v49, s[38:39]
	v_max3_f32 v16, v16, v17, v18
	v_or_b32_e32 v17, 16, v14
	v_or_b32_e32 v18, 17, v14
	v_cmp_gt_i32_e64 s[24:25], s40, v17
	v_cmp_gt_i32_e64 s[26:27], s40, v18
	v_pk_mul_f32 v[50:51], s[6:7], v[28:29] op_sel_hi:[0,1]
	v_cndmask_b32_e64 v17, v15, v40, s[24:25]
	v_cndmask_b32_e64 v18, v15, v41, s[26:27]
	v_max3_f32 v16, v16, v17, v18
	v_or_b32_e32 v17, 18, v14
	v_or_b32_e32 v18, 19, v14
	v_cmp_gt_i32_e64 s[20:21], s40, v17
	v_cmp_gt_i32_e64 s[22:23], s40, v18
	v_lshl_add_u64 v[2:3], v[2:3], 1, v[10:11]
	v_cndmask_b32_e64 v17, v15, v50, s[20:21]
	v_cndmask_b32_e64 v18, v15, v51, s[22:23]
	v_max3_f32 v16, v16, v17, v18
	v_or_b32_e32 v17, 32, v14
	v_or_b32_e32 v18, 33, v14
	v_cmp_gt_i32_e64 s[16:17], s40, v17
	v_cmp_gt_i32_e64 s[18:19], s40, v18
	global_load_dwordx4 v[6:9], v[2:3], off
	s_nop 0
	global_load_dwordx4 v[2:5], v[2:3], off offset:16
	v_cndmask_b32_e64 v17, v15, v44, s[16:17]
	v_cndmask_b32_e64 v18, v15, v45, s[18:19]
	v_max3_f32 v16, v16, v17, v18
	v_or_b32_e32 v17, 34, v14
	v_or_b32_e32 v18, 35, v14
	v_cmp_gt_i32_e64 s[12:13], s40, v17
	v_cmp_gt_i32_e64 s[14:15], s40, v18
	global_load_dwordx4 v[30:33], v[56:57], off
	global_load_dwordx4 v[26:29], v[56:57], off offset:16
	v_cndmask_b32_e64 v17, v15, v46, s[12:13]
	v_cndmask_b32_e64 v18, v15, v47, s[14:15]
	v_max3_f32 v16, v16, v17, v18
	v_or_b32_e32 v17, 48, v14
	v_or_b32_e32 v18, 49, v14
	v_cmp_gt_i32_e64 s[8:9], s40, v17
	v_cmp_gt_i32_e64 s[10:11], s40, v18
	s_nop 0
	v_cndmask_b32_e64 v17, v15, v42, s[8:9]
	v_cndmask_b32_e64 v18, v15, v43, s[10:11]
	v_max3_f32 v16, v16, v17, v18
	v_or_b32_e32 v17, 50, v14
	v_or_b32_e32 v14, 51, v14
	v_cmp_gt_i32_e32 vcc, s40, v17
	v_cmp_gt_i32_e64 s[6:7], s40, v14
	s_nop 0
	v_cndmask_b32_e32 v17, v15, v36, vcc
	v_cndmask_b32_e64 v14, v15, v37, s[6:7]
	v_max3_f32 v16, v16, v17, v14
	v_mbcnt_lo_u32_b32 v14, -1, 0
	v_mbcnt_hi_u32_b32 v17, -1, v14
	v_and_b32_e32 v14, 64, v17
	v_add_u32_e32 v18, 64, v14
	v_xor_b32_e32 v14, 32, v17
	v_cmp_lt_i32_e64 s[40:41], v14, v18
	s_nop 1
	v_cndmask_b32_e64 v14, v17, v14, s[40:41]
	v_lshlrev_b32_e32 v59, 2, v14
	ds_bpermute_b32 v19, v59, v16
	s_waitcnt vmcnt(5)
	v_mad_i64_i32 v[14:15], s[40:41], v55, s45, 0
	v_lshl_add_u64 v[14:15], v[14:15], 1, v[10:11]
	s_waitcnt lgkmcnt(0)
	v_max_f32_e32 v19, v19, v19
	v_max_f32_e32 v16, v16, v19
	v_xor_b32_e32 v19, 16, v17
	v_cmp_lt_i32_e64 s[40:41], v19, v18
	s_nop 1
	v_cndmask_b32_e64 v17, v17, v19, s[40:41]
	v_lshlrev_b32_e32 v56, 2, v17
	ds_bpermute_b32 v17, v56, v16
	global_load_dwordx4 v[22:25], v[14:15], off
	global_load_dwordx4 v[18:21], v[14:15], off offset:16
	s_waitcnt vmcnt(6)
	v_mad_i64_i32 v[14:15], s[40:41], v58, s45, 0
	v_lshl_add_u64 v[10:11], v[14:15], 1, v[10:11]
	s_waitcnt lgkmcnt(0)
	v_max_f32_e32 v14, v17, v17
	v_max_f32_e32 v55, v16, v14
	v_sub_f32_e32 v12, v12, v55
	v_mul_f32_e32 v12, 0x3fb8aa3b, v12
	v_exp_f32_e32 v38, v12
	v_sub_f32_e32 v12, v13, v55
	v_mul_f32_e32 v12, 0x3fb8aa3b, v12
	v_exp_f32_e32 v39, v12
	global_load_dwordx4 v[14:17], v[10:11], off
	s_nop 0
	global_load_dwordx4 v[10:13], v[10:11], off offset:16
	v_sub_f32_e32 v48, v48, v55
	v_mul_f32_e32 v48, 0x3fb8aa3b, v48
	v_sub_f32_e32 v49, v49, v55
	v_exp_f32_e32 v48, v48
	v_mul_f32_e32 v49, 0x3fb8aa3b, v49
	v_sub_f32_e32 v40, v40, v55
	v_exp_f32_e32 v49, v49
	v_mul_f32_e32 v40, 0x3fb8aa3b, v40
	v_sub_f32_e32 v41, v41, v55
	v_cndmask_b32_e64 v38, 0, v38, s[4:5]
	v_exp_f32_e32 v40, v40
	v_mul_f32_e32 v41, 0x3fb8aa3b, v41
	v_sub_f32_e32 v50, v50, v55
	v_add_f32_e32 v57, 0, v38
	v_cndmask_b32_e64 v39, 0, v39, s[34:35]
	v_exp_f32_e32 v41, v41
	v_mul_f32_e32 v50, 0x3fb8aa3b, v50
	v_sub_f32_e32 v51, v51, v55
	v_add_f32_e32 v57, v57, v39
	;; [unrolled: 5-line block ×10, first 2 shown]
	v_cndmask_b32_e64 v46, 0, v46, s[12:13]
	v_exp_f32_e32 v36, v36
	v_mul_f32_e32 v37, 0x3fb8aa3b, v37
	v_add_f32_e32 v57, v57, v46
	v_cndmask_b32_e64 v47, 0, v47, s[14:15]
	v_exp_f32_e32 v37, v37
	v_add_f32_e32 v57, v57, v47
	v_cndmask_b32_e64 v42, 0, v42, s[8:9]
	v_add_f32_e32 v57, v57, v42
	v_cndmask_b32_e64 v43, 0, v43, s[10:11]
	v_add_f32_e32 v57, v57, v43
	v_cndmask_b32_e32 v36, 0, v36, vcc
	v_add_f32_e32 v57, v57, v36
	v_cndmask_b32_e64 v37, 0, v37, s[6:7]
	v_add_f32_e32 v57, v57, v37
	ds_bpermute_b32 v58, v59, v57
	v_cmp_gt_u32_e32 vcc, 16, v52
	s_waitcnt lgkmcnt(0)
	s_barrier
	v_add_f32_e32 v57, v57, v58
	ds_bpermute_b32 v58, v56, v57
	v_lshlrev_b32_e32 v56, 2, v54
	s_and_saveexec_b64 s[4:5], vcc
	s_cbranch_execz .LBB533_15
; %bb.14:
	s_waitcnt lgkmcnt(0)
	v_add_f32_e32 v57, v57, v58
	v_lshl_or_b32 v58, v53, 6, v56
	ds_write2st64_b32 v58, v55, v57 offset1:1
.LBB533_15:
	s_or_b64 exec, exec, s[4:5]
	s_load_dword s6, s[0:1], 0x94
	s_waitcnt lgkmcnt(0)
	s_barrier
	ds_read2_b32 v[58:59], v56 offset1:16
	ds_read2_b32 v[60:61], v56 offset0:32 offset1:48
	ds_read2_b32 v[62:63], v56 offset0:64 offset1:80
	s_movk_i32 s8, 0x7fff
	s_mov_b32 s9, 0x7060302
	s_waitcnt lgkmcnt(2)
	v_max3_f32 v55, v58, s42, v59
	s_waitcnt lgkmcnt(1)
	v_max3_f32 v55, v55, v60, v61
	v_sub_f32_e32 v57, v58, v55
	v_sub_f32_e32 v58, v59, v55
	v_mul_f32_e32 v58, 0x3fb8aa3b, v58
	v_mul_f32_e32 v57, 0x3fb8aa3b, v57
	v_exp_f32_e32 v64, v58
	v_sub_f32_e32 v58, v60, v55
	v_exp_f32_e32 v57, v57
	v_mul_f32_e32 v58, 0x3fb8aa3b, v58
	v_exp_f32_e32 v60, v58
	ds_read2_b32 v[58:59], v56 offset0:96 offset1:112
	v_sub_f32_e32 v56, v61, v55
	v_mul_f32_e32 v56, 0x3fb8aa3b, v56
	v_exp_f32_e32 v61, v56
	s_waitcnt lgkmcnt(1)
	v_fma_f32 v56, v57, v62, 0
	v_fmac_f32_e32 v56, v64, v63
	s_waitcnt lgkmcnt(0)
	v_fmac_f32_e32 v56, v60, v58
	v_fmac_f32_e32 v56, v61, v59
	v_add_f32_e32 v58, 0x358637bd, v56
	v_div_scale_f32 v59, s[4:5], v58, v58, 1.0
	v_rcp_f32_e32 v62, v59
	s_barrier
	v_fma_f32 v63, -v59, v62, 1.0
	v_fmac_f32_e32 v62, v63, v62
	v_div_scale_f32 v63, vcc, 1.0, v58, 1.0
	v_mul_f32_e32 v65, v63, v62
	v_fma_f32 v66, -v59, v65, v63
	v_fmac_f32_e32 v65, v66, v62
	v_fma_f32 v59, -v59, v65, v63
	v_div_fmas_f32 v59, v59, v62, v65
	v_cmp_eq_u32_e32 vcc, 1, v53
	v_div_fixup_f32 v58, v59, v58, 1.0
	s_lshl_b32 s7, s33, 1
	v_cndmask_b32_e32 v57, v57, v64, vcc
	v_cmp_eq_u32_e32 vcc, 2, v53
	s_nop 1
	v_cndmask_b32_e32 v57, v57, v60, vcc
	v_cmp_eq_u32_e32 vcc, 3, v53
	s_nop 1
	v_cndmask_b32_e32 v57, v57, v61, vcc
	v_mul_f32_e32 v58, v57, v58
	v_pk_mul_f32 v[38:39], v[58:59], v[38:39] op_sel_hi:[0,1]
	v_pk_mul_f32 v[48:49], v[58:59], v[48:49] op_sel_hi:[0,1]
	v_bfe_u32 v57, v39, 16, 1
	v_bfe_u32 v59, v38, 16, 1
	v_add3_u32 v38, v38, v59, s8
	v_add3_u32 v39, v39, v57, s8
	v_perm_b32 v60, v39, v38, s9
	v_bfe_u32 v38, v49, 16, 1
	v_bfe_u32 v39, v48, 16, 1
	v_add3_u32 v39, v48, v39, s8
	v_add3_u32 v38, v49, v38, s8
	v_perm_b32 v61, v38, v39, s9
	v_lshlrev_b32_e32 v38, 3, v1
	v_lshlrev_b32_e32 v39, 5, v54
	;; [unrolled: 1-line block ×3, first 2 shown]
	v_pk_mul_f32 v[40:41], v[58:59], v[40:41] op_sel_hi:[0,1]
	v_or3_b32 v38, v48, v39, v38
	v_pk_mul_f32 v[48:49], v[58:59], v[50:51] op_sel_hi:[0,1]
	v_bfe_u32 v50, v41, 16, 1
	v_bfe_u32 v51, v40, 16, 1
	v_add3_u32 v40, v40, v51, s8
	v_add3_u32 v41, v41, v50, s8
	v_perm_b32 v40, v41, v40, s9
	v_bfe_u32 v41, v49, 16, 1
	v_bfe_u32 v50, v48, 16, 1
	v_add3_u32 v48, v48, v50, s8
	v_add3_u32 v41, v49, v41, s8
	v_perm_b32 v41, v41, v48, s9
	v_pk_mul_f32 v[44:45], v[58:59], v[44:45] op_sel_hi:[0,1]
	ds_write2st64_b64 v38, v[60:61], v[40:41] offset1:1
	v_pk_mul_f32 v[40:41], v[58:59], v[46:47] op_sel_hi:[0,1]
	v_bfe_u32 v46, v45, 16, 1
	v_bfe_u32 v47, v44, 16, 1
	v_add3_u32 v44, v44, v47, s8
	v_add3_u32 v45, v45, v46, s8
	v_perm_b32 v44, v45, v44, s9
	v_bfe_u32 v45, v41, 16, 1
	v_bfe_u32 v46, v40, 16, 1
	v_add3_u32 v40, v40, v46, s8
	v_add3_u32 v41, v41, v45, s8
	v_perm_b32 v45, v41, v40, s9
	v_pk_mul_f32 v[40:41], v[58:59], v[42:43] op_sel_hi:[0,1]
	v_bfe_u32 v42, v41, 16, 1
	v_bfe_u32 v43, v40, 16, 1
	v_pk_mul_f32 v[36:37], v[58:59], v[36:37] op_sel_hi:[0,1]
	v_add3_u32 v40, v40, v43, s8
	v_add3_u32 v41, v41, v42, s8
	v_perm_b32 v40, v41, v40, s9
	v_bfe_u32 v41, v37, 16, 1
	v_bfe_u32 v42, v36, 16, 1
	v_add3_u32 v36, v36, v42, s8
	v_add3_u32 v37, v37, v41, s8
	v_perm_b32 v41, v37, v36, s9
	v_cmp_gt_u32_e32 vcc, 2, v0
	ds_write2st64_b64 v38, v[44:45], v[40:41] offset0:2 offset1:3
	s_and_saveexec_b64 s[4:5], vcc
	s_cbranch_execz .LBB533_17
; %bb.16:
	v_or_b32_e32 v36, s29, v0
	v_mov_b32_e32 v37, 0
	v_mov_b32_e32 v40, s7
	v_mad_u64_u32 v[40:41], s[10:11], s2, v40, v[36:37]
	v_mov_b32_e32 v36, s28
	s_load_dwordx4 s[12:15], s[0:1], 0x58
	s_mul_i32 s3, s3, s7
	v_mad_u64_u32 v[36:37], s[10:11], v40, s6, v[36:37]
	v_add_u32_e32 v41, s3, v41
	v_mov_b32_e32 v40, v37
	v_mad_u64_u32 v[40:41], s[10:11], v41, s6, v[40:41]
	v_mov_b32_e32 v37, v40
	v_lshlrev_b64 v[36:37], 2, v[36:37]
	s_waitcnt lgkmcnt(0)
	v_lshl_add_u64 v[40:41], s[14:15], 0, v[36:37]
	v_lshl_add_u64 v[36:37], s[12:13], 0, v[36:37]
	global_store_dword v[40:41], v55, off
	global_store_dword v[36:37], v56, off
.LBB533_17:
	s_or_b64 exec, exec, s[4:5]
	v_lshl_or_b32 v36, v1, 9, v39
	s_waitcnt lgkmcnt(0)
	s_barrier
	ds_read_b128 v[40:43], v36
	ds_read_b128 v[44:47], v36 offset:16
	s_waitcnt vmcnt(7) lgkmcnt(1)
	v_mfma_f32_16x16x16_bf16 v[48:51], v[6:7], v[40:41], 0
	v_cmp_gt_u32_e32 vcc, 64, v0
	v_cmp_gt_u32_e64 s[4:5], 32, v52
	s_and_b64 s[4:5], s[4:5], vcc
	v_mfma_f32_16x16x16_bf16 v[6:9], v[8:9], v[42:43], v[48:51]
	s_mov_b32 s3, 0
	s_and_b64 s[4:5], s[4:5], s[30:31]
	s_waitcnt vmcnt(6) lgkmcnt(0)
	v_mfma_f32_16x16x16_bf16 v[6:9], v[2:3], v[44:45], v[6:9]
	v_mfma_f32_16x16x16_bf16 v[2:5], v[4:5], v[46:47], v[6:9]
	s_nop 5
	ds_read_b128 v[6:9], v36 offset:2048
	ds_read_b128 v[40:43], v36 offset:2064
	s_waitcnt vmcnt(5) lgkmcnt(1)
	v_mfma_f32_16x16x16_bf16 v[2:5], v[30:31], v[6:7], v[2:5]
	v_mfma_f32_16x16x16_bf16 v[2:5], v[32:33], v[8:9], v[2:5]
	s_waitcnt vmcnt(4) lgkmcnt(0)
	v_mfma_f32_16x16x16_bf16 v[2:5], v[26:27], v[40:41], v[2:5]
	v_mfma_f32_16x16x16_bf16 v[2:5], v[28:29], v[42:43], v[2:5]
	ds_read_b128 v[6:9], v36 offset:4096
	ds_read_b128 v[26:29], v36 offset:4112
	s_waitcnt vmcnt(3) lgkmcnt(1)
	v_mfma_f32_16x16x16_bf16 v[2:5], v[22:23], v[6:7], v[2:5]
	v_mfma_f32_16x16x16_bf16 v[2:5], v[24:25], v[8:9], v[2:5]
	s_waitcnt vmcnt(2) lgkmcnt(0)
	v_mfma_f32_16x16x16_bf16 v[2:5], v[18:19], v[26:27], v[2:5]
	v_mfma_f32_16x16x16_bf16 v[2:5], v[20:21], v[28:29], v[2:5]
	ds_read_b128 v[6:9], v36 offset:6144
	ds_read_b128 v[18:21], v36 offset:6160
	s_waitcnt lgkmcnt(0)
	s_barrier
	s_waitcnt vmcnt(1)
	v_mfma_f32_16x16x16_bf16 v[2:5], v[14:15], v[6:7], v[2:5]
	v_mfma_f32_16x16x16_bf16 v[2:5], v[16:17], v[8:9], v[2:5]
	s_waitcnt vmcnt(0)
	v_mfma_f32_16x16x16_bf16 v[2:5], v[10:11], v[18:19], v[2:5]
	v_mfma_f32_16x16x16_bf16 v[2:5], v[12:13], v[20:21], v[2:5]
	s_nop 6
	v_bfe_u32 v6, v3, 16, 1
	v_bfe_u32 v7, v2, 16, 1
	;; [unrolled: 1-line block ×4, first 2 shown]
	v_add3_u32 v2, v2, v7, s8
	v_add3_u32 v3, v3, v6, s8
	;; [unrolled: 1-line block ×4, first 2 shown]
	v_perm_b32 v2, v3, v2, s9
	v_perm_b32 v3, v5, v4, s9
	ds_write_b64 v38, v[2:3]
	s_waitcnt lgkmcnt(0)
	s_barrier
	s_and_saveexec_b64 s[8:9], s[4:5]
	s_cbranch_execz .LBB533_19
; %bb.18:
	s_load_dwordx2 s[0:1], s[0:1], 0x68
	s_mul_i32 s2, s7, s2
	s_lshl_b32 s6, s6, 6
	s_mul_hi_u32 s5, s2, s6
	s_mul_i32 s4, s2, s6
	v_lshlrev_b32_e32 v2, 10, v0
	v_lshlrev_b32_e32 v0, 4, v0
	s_lshl_b64 s[4:5], s[4:5], 1
	v_and_b32_e32 v2, 0x1800, v2
	v_lshlrev_b32_e32 v3, 5, v1
	v_and_b32_e32 v0, 16, v0
	s_waitcnt lgkmcnt(0)
	s_add_u32 s4, s0, s4
	v_or3_b32 v0, v2, v3, v0
	s_addc_u32 s5, s1, s5
	s_lshl_b32 s2, s28, 6
	ds_read_b128 v[2:5], v0
	s_lshl_b64 s[0:1], s[2:3], 1
	s_add_u32 s0, s4, s0
	v_or_b32_e32 v0, s29, v1
	s_addc_u32 s1, s5, s1
	v_mad_u64_u32 v[0:1], s[2:3], s6, v0, 0
	v_lshl_add_u64 v[0:1], v[0:1], 1, s[0:1]
	v_lshl_add_u64 v[0:1], v[34:35], 1, v[0:1]
	s_waitcnt lgkmcnt(0)
	global_store_dwordx4 v[0:1], v[2:5], off
.LBB533_19:
	s_endpgm
	.section	.rodata,"a",@progbits
	.p2align	6, 0x0
	.amdhsa_kernel _Z39paged_attention_ll4mi_QKV_mfma16_kernelI14__hip_bfloat16S0_LN4vllm18Fp8KVCacheDataTypeE0EhLi32ELi64ELi256ELb0ELi2EEvPKT_PKT0_S8_ifPKiSA_SA_iPKfiiiPfSD_PS3_PT2_iSC_SC_
		.amdhsa_group_segment_fixed_size 8192
		.amdhsa_private_segment_fixed_size 0
		.amdhsa_kernarg_size 400
		.amdhsa_user_sgpr_count 2
		.amdhsa_user_sgpr_dispatch_ptr 0
		.amdhsa_user_sgpr_queue_ptr 0
		.amdhsa_user_sgpr_kernarg_segment_ptr 1
		.amdhsa_user_sgpr_dispatch_id 0
		.amdhsa_user_sgpr_kernarg_preload_length 0
		.amdhsa_user_sgpr_kernarg_preload_offset 0
		.amdhsa_user_sgpr_private_segment_size 0
		.amdhsa_uses_dynamic_stack 0
		.amdhsa_enable_private_segment 0
		.amdhsa_system_sgpr_workgroup_id_x 1
		.amdhsa_system_sgpr_workgroup_id_y 1
		.amdhsa_system_sgpr_workgroup_id_z 1
		.amdhsa_system_sgpr_workgroup_info 0
		.amdhsa_system_vgpr_workitem_id 0
		.amdhsa_next_free_vgpr 67
		.amdhsa_next_free_sgpr 48
		.amdhsa_accum_offset 68
		.amdhsa_reserve_vcc 1
		.amdhsa_float_round_mode_32 0
		.amdhsa_float_round_mode_16_64 0
		.amdhsa_float_denorm_mode_32 3
		.amdhsa_float_denorm_mode_16_64 3
		.amdhsa_dx10_clamp 1
		.amdhsa_ieee_mode 1
		.amdhsa_fp16_overflow 0
		.amdhsa_tg_split 0
		.amdhsa_exception_fp_ieee_invalid_op 0
		.amdhsa_exception_fp_denorm_src 0
		.amdhsa_exception_fp_ieee_div_zero 0
		.amdhsa_exception_fp_ieee_overflow 0
		.amdhsa_exception_fp_ieee_underflow 0
		.amdhsa_exception_fp_ieee_inexact 0
		.amdhsa_exception_int_div_zero 0
	.end_amdhsa_kernel
	.section	.text._Z39paged_attention_ll4mi_QKV_mfma16_kernelI14__hip_bfloat16S0_LN4vllm18Fp8KVCacheDataTypeE0EhLi32ELi64ELi256ELb0ELi2EEvPKT_PKT0_S8_ifPKiSA_SA_iPKfiiiPfSD_PS3_PT2_iSC_SC_,"axG",@progbits,_Z39paged_attention_ll4mi_QKV_mfma16_kernelI14__hip_bfloat16S0_LN4vllm18Fp8KVCacheDataTypeE0EhLi32ELi64ELi256ELb0ELi2EEvPKT_PKT0_S8_ifPKiSA_SA_iPKfiiiPfSD_PS3_PT2_iSC_SC_,comdat
.Lfunc_end533:
	.size	_Z39paged_attention_ll4mi_QKV_mfma16_kernelI14__hip_bfloat16S0_LN4vllm18Fp8KVCacheDataTypeE0EhLi32ELi64ELi256ELb0ELi2EEvPKT_PKT0_S8_ifPKiSA_SA_iPKfiiiPfSD_PS3_PT2_iSC_SC_, .Lfunc_end533-_Z39paged_attention_ll4mi_QKV_mfma16_kernelI14__hip_bfloat16S0_LN4vllm18Fp8KVCacheDataTypeE0EhLi32ELi64ELi256ELb0ELi2EEvPKT_PKT0_S8_ifPKiSA_SA_iPKfiiiPfSD_PS3_PT2_iSC_SC_
                                        ; -- End function
	.section	.AMDGPU.csdata,"",@progbits
; Kernel info:
; codeLenInByte = 4052
; NumSgprs: 54
; NumVgprs: 67
; NumAgprs: 0
; TotalNumVgprs: 67
; ScratchSize: 0
; MemoryBound: 0
; FloatMode: 240
; IeeeMode: 1
; LDSByteSize: 8192 bytes/workgroup (compile time only)
; SGPRBlocks: 6
; VGPRBlocks: 8
; NumSGPRsForWavesPerEU: 54
; NumVGPRsForWavesPerEU: 67
; AccumOffset: 68
; Occupancy: 7
; WaveLimiterHint : 1
; COMPUTE_PGM_RSRC2:SCRATCH_EN: 0
; COMPUTE_PGM_RSRC2:USER_SGPR: 2
; COMPUTE_PGM_RSRC2:TRAP_HANDLER: 0
; COMPUTE_PGM_RSRC2:TGID_X_EN: 1
; COMPUTE_PGM_RSRC2:TGID_Y_EN: 1
; COMPUTE_PGM_RSRC2:TGID_Z_EN: 1
; COMPUTE_PGM_RSRC2:TIDIG_COMP_CNT: 0
; COMPUTE_PGM_RSRC3_GFX90A:ACCUM_OFFSET: 16
; COMPUTE_PGM_RSRC3_GFX90A:TG_SPLIT: 0
	.section	.text._Z39paged_attention_ll4mi_QKV_mfma16_kernelI14__hip_bfloat16S0_LN4vllm18Fp8KVCacheDataTypeE0EhLi32ELi64ELi256ELb0ELi3EEvPKT_PKT0_S8_ifPKiSA_SA_iPKfiiiPfSD_PS3_PT2_iSC_SC_,"axG",@progbits,_Z39paged_attention_ll4mi_QKV_mfma16_kernelI14__hip_bfloat16S0_LN4vllm18Fp8KVCacheDataTypeE0EhLi32ELi64ELi256ELb0ELi3EEvPKT_PKT0_S8_ifPKiSA_SA_iPKfiiiPfSD_PS3_PT2_iSC_SC_,comdat
	.protected	_Z39paged_attention_ll4mi_QKV_mfma16_kernelI14__hip_bfloat16S0_LN4vllm18Fp8KVCacheDataTypeE0EhLi32ELi64ELi256ELb0ELi3EEvPKT_PKT0_S8_ifPKiSA_SA_iPKfiiiPfSD_PS3_PT2_iSC_SC_ ; -- Begin function _Z39paged_attention_ll4mi_QKV_mfma16_kernelI14__hip_bfloat16S0_LN4vllm18Fp8KVCacheDataTypeE0EhLi32ELi64ELi256ELb0ELi3EEvPKT_PKT0_S8_ifPKiSA_SA_iPKfiiiPfSD_PS3_PT2_iSC_SC_
	.globl	_Z39paged_attention_ll4mi_QKV_mfma16_kernelI14__hip_bfloat16S0_LN4vllm18Fp8KVCacheDataTypeE0EhLi32ELi64ELi256ELb0ELi3EEvPKT_PKT0_S8_ifPKiSA_SA_iPKfiiiPfSD_PS3_PT2_iSC_SC_
	.p2align	8
	.type	_Z39paged_attention_ll4mi_QKV_mfma16_kernelI14__hip_bfloat16S0_LN4vllm18Fp8KVCacheDataTypeE0EhLi32ELi64ELi256ELb0ELi3EEvPKT_PKT0_S8_ifPKiSA_SA_iPKfiiiPfSD_PS3_PT2_iSC_SC_,@function
_Z39paged_attention_ll4mi_QKV_mfma16_kernelI14__hip_bfloat16S0_LN4vllm18Fp8KVCacheDataTypeE0EhLi32ELi64ELi256ELb0ELi3EEvPKT_PKT0_S8_ifPKiSA_SA_iPKfiiiPfSD_PS3_PT2_iSC_SC_: ; @_Z39paged_attention_ll4mi_QKV_mfma16_kernelI14__hip_bfloat16S0_LN4vllm18Fp8KVCacheDataTypeE0EhLi32ELi64ELi256ELb0ELi3EEvPKT_PKT0_S8_ifPKiSA_SA_iPKfiiiPfSD_PS3_PT2_iSC_SC_
; %bb.0:
	s_load_dwordx2 s[6:7], s[0:1], 0x30
	s_mov_b32 s28, s3
	s_mov_b64 s[10:11], 0
	s_waitcnt lgkmcnt(0)
	s_cmp_lg_u64 s[6:7], 0
	s_cselect_b64 s[8:9], -1, 0
	s_and_b64 vcc, exec, s[8:9]
	s_cbranch_vccz .LBB534_7
; %bb.1:
	s_add_i32 s12, s2, 1
	s_mov_b32 s13, 0
	s_lshl_b64 s[14:15], s[12:13], 2
	s_add_u32 s14, s6, s14
	s_mov_b32 s3, s13
	s_addc_u32 s15, s7, s15
	s_lshl_b64 s[12:13], s[2:3], 2
	s_add_u32 s12, s6, s12
	s_addc_u32 s13, s7, s13
	s_load_dword s5, s[14:15], 0x0
	s_load_dword s16, s[12:13], 0x0
	s_waitcnt lgkmcnt(0)
	s_sub_i32 s5, s5, s16
	s_cmp_eq_u32 s5, 1
	s_cselect_b64 s[12:13], -1, 0
	s_andn2_b64 vcc, exec, s[10:11]
	s_cbranch_vccnz .LBB534_3
.LBB534_2:
	s_mov_b32 s3, 0
	s_mov_b64 s[12:13], -1
.LBB534_3:
	s_andn2_b64 vcc, exec, s[12:13]
	s_cbranch_vccnz .LBB534_19
; %bb.4:
	s_load_dwordx2 s[12:13], s[0:1], 0x28
	s_lshl_b64 s[10:11], s[2:3], 2
	s_waitcnt lgkmcnt(0)
	s_add_u32 s12, s12, s10
	s_addc_u32 s13, s13, s11
	s_load_dword s33, s[12:13], 0x0
	s_lshl_b32 s14, s28, 8
	s_waitcnt lgkmcnt(0)
	s_cmp_ge_i32 s14, s33
	s_cbranch_scc1 .LBB534_19
; %bb.5:
	s_load_dwordx2 s[12:13], s[0:1], 0x20
	s_load_dword s5, s[0:1], 0x38
	s_add_i32 s15, s33, 31
	s_ashr_i32 s16, s15, 31
	v_and_b32_e32 v1, 0xcf, v0
	s_lshr_b32 s16, s16, 27
	v_add_u32_e32 v1, s14, v1
	s_add_i32 s15, s15, s16
	v_ashrrev_i32_e32 v2, 31, v1
	s_ashr_i32 s15, s15, 5
	v_lshrrev_b32_e32 v10, 27, v2
	s_add_i32 s15, s15, -1
	s_waitcnt lgkmcnt(0)
	s_mul_i32 s16, s2, s5
	s_mov_b32 s17, 0
	v_add_u32_e32 v2, v1, v10
	s_lshl_b64 s[16:17], s[16:17], 2
	v_ashrrev_i32_e32 v2, 5, v2
	v_mov_b32_e32 v11, s15
	v_cmp_gt_i32_e32 vcc, s33, v1
	s_add_u32 s12, s12, s16
	s_addc_u32 s13, s13, s17
	v_cndmask_b32_e32 v2, v11, v2, vcc
	v_ashrrev_i32_e32 v3, 31, v2
	v_lshl_add_u64 v[4:5], v[2:3], 2, s[12:13]
	v_or_b32_e32 v2, 16, v1
	v_add_u32_e32 v3, v2, v10
	v_ashrrev_i32_e32 v3, 5, v3
	v_cmp_gt_i32_e32 vcc, s33, v2
	s_nop 1
	v_cndmask_b32_e32 v2, v11, v3, vcc
	v_ashrrev_i32_e32 v3, 31, v2
	v_lshl_add_u64 v[6:7], v[2:3], 2, s[12:13]
	v_or_b32_e32 v2, 32, v1
	v_add_u32_e32 v3, v2, v10
	v_ashrrev_i32_e32 v3, 5, v3
	v_cmp_gt_i32_e32 vcc, s33, v2
	v_or_b32_e32 v1, 48, v1
	s_nop 0
	v_cndmask_b32_e32 v2, v11, v3, vcc
	v_ashrrev_i32_e32 v3, 31, v2
	v_lshl_add_u64 v[8:9], v[2:3], 2, s[12:13]
	v_add_u32_e32 v2, v1, v10
	v_ashrrev_i32_e32 v2, 5, v2
	v_cmp_gt_i32_e32 vcc, s33, v1
	s_nop 1
	v_cndmask_b32_e32 v2, v11, v2, vcc
	v_ashrrev_i32_e32 v3, 31, v2
	v_lshl_add_u64 v[12:13], v[2:3], 2, s[12:13]
	global_load_dword v3, v[4:5], off
	global_load_dword v2, v[6:7], off
	;; [unrolled: 1-line block ×4, first 2 shown]
	s_andn2_b64 vcc, exec, s[8:9]
	s_cbranch_vccnz .LBB534_8
; %bb.6:
	s_add_u32 s6, s6, s10
	s_addc_u32 s7, s7, s11
	s_load_dword s5, s[6:7], 0x0
	s_branch .LBB534_9
.LBB534_7:
	s_mov_b64 s[12:13], 0
	s_branch .LBB534_2
.LBB534_8:
	s_mov_b32 s5, s2
.LBB534_9:
	s_load_dwordx4 s[8:11], s[0:1], 0x8
	s_load_dwordx4 s[44:47], s[0:1], 0x48
	v_lshrrev_b32_e32 v37, 6, v0
	v_bfe_u32 v1, v0, 4, 2
	v_lshl_or_b32 v4, v37, 2, v1
	v_and_b32_e32 v36, 15, v0
	v_cmp_lt_u32_e32 vcc, 2, v4
	v_cmp_lt_u32_e64 s[6:7], 7, v36
	s_mul_i32 s42, s4, 3
	v_lshlrev_b32_e32 v34, 3, v36
	v_cmp_gt_u32_e64 s[30:31], 8, v36
	s_or_b64 s[6:7], s[6:7], vcc
	s_and_saveexec_b64 s[16:17], s[6:7]
	s_xor_b64 s[6:7], exec, s[16:17]
; %bb.10:
	v_mov_b32_e32 v35, 0
                                        ; implicit-def: $vgpr4
; %bb.11:
	s_or_saveexec_b64 s[6:7], s[6:7]
	v_and_b32_e32 v55, 63, v0
	v_add_u32_e32 v54, s42, v1
	s_xor_b64 exec, exec, s[6:7]
	s_cbranch_execz .LBB534_13
; %bb.12:
	s_load_dwordx2 s[16:17], s[0:1], 0x0
	s_waitcnt lgkmcnt(0)
	s_ashr_i32 s18, s44, 31
	s_mul_hi_u32 s19, s5, s44
	s_mul_i32 s18, s5, s18
	s_add_i32 s19, s19, s18
	s_mul_i32 s18, s5, s44
	s_lshl_b64 s[18:19], s[18:19], 1
	s_add_u32 s16, s16, s18
	v_lshlrev_b32_e32 v6, 6, v54
	s_addc_u32 s17, s17, s19
	v_ashrrev_i32_e32 v7, 31, v6
	v_mov_b32_e32 v35, 0
	v_lshl_add_u64 v[6:7], v[6:7], 1, s[16:17]
	v_lshlrev_b32_e32 v8, 1, v34
	v_mov_b32_e32 v9, v35
	v_lshl_add_u64 v[6:7], v[6:7], 0, v[8:9]
	global_load_dwordx4 v[6:9], v[6:7], off
	v_and_b32_e32 v5, 3, v0
	v_lshlrev_b32_e32 v11, 9, v36
	v_lshlrev_b32_e32 v4, 5, v4
	;; [unrolled: 1-line block ×3, first 2 shown]
	v_and_b32_e32 v11, 0x1800, v11
	v_or3_b32 v4, v11, v5, v4
	s_waitcnt vmcnt(0)
	ds_write_b128 v4, v[6:9]
.LBB534_13:
	s_or_b64 exec, exec, s[6:7]
	s_waitcnt lgkmcnt(0)
	s_mul_i32 s4, s4, s46
	s_mov_b32 s5, 0
	s_lshl_b64 s[4:5], s[4:5], 1
	s_add_u32 s8, s8, s4
	s_addc_u32 s9, s9, s5
	s_waitcnt vmcnt(3)
	v_mad_i64_i32 v[4:5], s[16:17], v3, s45, 0
	v_lshl_add_u64 v[4:5], v[4:5], 1, s[8:9]
	v_lshlrev_b64 v[12:13], 1, v[34:35]
	v_lshlrev_b32_e32 v38, 9, v1
	v_lshl_add_u64 v[4:5], v[4:5], 0, v[12:13]
	v_mov_b32_e32 v39, 0
	v_lshl_add_u64 v[14:15], v[4:5], 0, v[38:39]
	s_waitcnt vmcnt(2)
	v_mad_i64_i32 v[2:3], s[16:17], v2, s45, 0
	v_mov_b32_e32 v4, 0x100
	v_lshl_add_u64 v[2:3], v[2:3], 1, s[8:9]
	v_lshl_or_b32 v30, v36, 4, v4
	v_mov_b32_e32 v31, v39
	s_load_dword s29, s[0:1], 0x98
	s_load_dword s6, s[0:1], 0x1c
	s_waitcnt lgkmcnt(0)
	s_barrier
	v_lshl_add_u64 v[2:3], v[2:3], 0, v[30:31]
	global_load_dwordx4 v[6:9], v[14:15], off
	global_load_dwordx4 v[22:25], v[14:15], off offset:2048
	v_lshl_add_u64 v[18:19], v[2:3], 0, v[38:39]
	global_load_dwordx4 v[2:5], v[18:19], off
	global_load_dwordx4 v[26:29], v[18:19], off offset:2048
	s_waitcnt vmcnt(5)
	v_mad_i64_i32 v[10:11], s[16:17], v10, s45, 0
	v_lshl_add_u64 v[10:11], v[10:11], 1, s[8:9]
	v_lshl_add_u64 v[10:11], v[10:11], 0, v[12:13]
	;; [unrolled: 1-line block ×3, first 2 shown]
	global_load_dwordx4 v[10:13], v[32:33], off
	v_mul_lo_u16_e32 v20, 0x56, v36
	v_mov_b32_e32 v21, 3
	s_waitcnt vmcnt(5)
	v_mad_i64_i32 v[16:17], s[16:17], v16, s45, 0
	v_mul_lo_u16_sdwa v14, v20, v21 dst_sel:DWORD dst_unused:UNUSED_PAD src0_sel:BYTE_1 src1_sel:DWORD
	v_sub_u16_e32 v14, v36, v14
	v_lshl_add_u64 v[40:41], v[16:17], 1, s[8:9]
	v_and_b32_e32 v14, 0xff, v14
	v_lshl_add_u64 v[30:31], v[40:41], 0, v[30:31]
	v_lshl_add_u32 v14, v14, 5, v38
	v_lshl_add_u64 v[40:41], v[30:31], 0, v[38:39]
	ds_read_b128 v[18:21], v14
	ds_read_b128 v[14:17], v14 offset:2048
	global_load_dwordx4 v[30:33], v[32:33], off offset:2048
	s_ashr_i32 s7, s14, 31
	global_load_dwordx4 v[46:49], v[40:41], off
	global_load_dwordx4 v[60:63], v[40:41], off offset:2048
	v_and_or_b32 v64, v0, 48, s14
	s_lshr_b32 s7, s7, 27
	v_add_u32_e32 v42, s7, v64
	v_mov_b32_e32 v65, s15
	v_or_b32_e32 v50, 64, v64
	v_ashrrev_i32_e32 v38, 5, v42
	v_cmp_gt_i32_e32 vcc, s33, v64
	v_add_u32_e32 v43, s7, v50
	v_ashrrev_i32_e32 v51, 5, v43
	v_cndmask_b32_e32 v42, v65, v38, vcc
	v_ashrrev_i32_e32 v43, 31, v42
	v_lshl_add_u64 v[42:43], v[42:43], 2, s[12:13]
	v_cmp_gt_i32_e32 vcc, s33, v50
	global_load_dword v66, v[42:43], off
	v_or_b32_e32 v40, 0x80, v64
	v_and_b32_e32 v38, 16, v0
	s_add_u32 s4, s10, s4
	v_lshlrev_b32_e32 v41, 6, v36
	s_addc_u32 s5, s11, s5
	v_lshlrev_b32_e32 v38, 1, v38
	s_mov_b32 s43, 0xff7fffff
	s_waitcnt vmcnt(8) lgkmcnt(1)
	v_mfma_f32_16x16x16_bf16 v[42:45], v[6:7], v[18:19], 0
	v_cndmask_b32_e32 v6, v65, v51, vcc
	v_ashrrev_i32_e32 v7, 31, v6
	v_cmp_gt_i32_e32 vcc, s33, v40
	s_waitcnt vmcnt(6)
	v_mfma_f32_16x16x16_bf16 v[50:53], v[2:3], v[18:19], 0
	v_lshl_add_u64 v[2:3], v[6:7], 2, s[12:13]
	global_load_dword v67, v[2:3], off
	v_mfma_f32_16x16x16_bf16 v[6:9], v[8:9], v[20:21], v[42:45]
	v_mfma_f32_16x16x16_bf16 v[2:5], v[4:5], v[20:21], v[50:53]
	s_nop 1
	v_or_b32_e32 v42, 0xc0, v64
	v_add_u32_e32 v43, s7, v40
	v_add_u32_e32 v44, s7, v42
	s_waitcnt lgkmcnt(0)
	v_mfma_f32_16x16x16_bf16 v[6:9], v[22:23], v[14:15], v[6:9]
	v_ashrrev_i32_e32 v43, 5, v43
	v_ashrrev_i32_e32 v44, 5, v44
	v_cndmask_b32_e32 v40, v65, v43, vcc
	s_waitcnt vmcnt(5)
	v_mfma_f32_16x16x16_bf16 v[56:59], v[10:11], v[18:19], 0
	v_cmp_gt_i32_e32 vcc, s33, v42
	v_mfma_f32_16x16x16_bf16 v[2:5], v[26:27], v[14:15], v[2:5]
	s_nop 0
	v_cndmask_b32_e32 v42, v65, v44, vcc
	v_lshl_add_u64 v[44:45], s[4:5], 0, v[38:39]
	v_lshl_or_b32 v38, v37, 10, v41
	v_ashrrev_i32_e32 v41, 31, v40
	v_mfma_f32_16x16x16_bf16 v[22:25], v[24:25], v[16:17], v[6:9]
	v_ashrrev_i32_e32 v43, 31, v42
	s_nop 1
	v_lshl_add_u64 v[6:7], v[40:41], 2, s[12:13]
	v_mfma_f32_16x16x16_bf16 v[10:13], v[12:13], v[20:21], v[56:59]
	s_nop 1
	v_pk_mul_f32 v[50:51], s[6:7], v[24:25] op_sel_hi:[0,1]
	v_mfma_f32_16x16x16_bf16 v[26:29], v[28:29], v[16:17], v[2:5]
	s_nop 2
	v_lshl_add_u64 v[2:3], v[42:43], 2, s[12:13]
	global_load_dword v58, v[6:7], off
	global_load_dword v59, v[2:3], off
	s_waitcnt vmcnt(6)
	v_mfma_f32_16x16x16_bf16 v[2:5], v[30:31], v[14:15], v[10:13]
	s_waitcnt vmcnt(3)
	v_mad_i64_i32 v[6:7], s[4:5], v66, s45, 0
	v_pk_mul_f32 v[42:43], s[6:7], v[26:27] op_sel_hi:[0,1]
	v_lshl_add_u64 v[10:11], v[44:45], 0, v[38:39]
	v_mfma_f32_16x16x16_bf16 v[38:41], v[46:47], v[18:19], 0
	v_pk_mul_f32 v[52:53], s[6:7], v[28:29] op_sel_hi:[0,1]
	s_waitcnt vmcnt(2)
	v_mad_i64_i32 v[12:13], s[4:5], v67, s45, 0
	v_mfma_f32_16x16x16_bf16 v[18:21], v[48:49], v[20:21], v[38:41]
	v_lshl_add_u64 v[56:57], v[12:13], 1, v[10:11]
	v_pk_mul_f32 v[12:13], s[6:7], v[22:23] op_sel_hi:[0,1]
	v_mfma_f32_16x16x16_bf16 v[18:21], v[60:61], v[14:15], v[18:21]
	v_mfma_f32_16x16x16_bf16 v[30:33], v[32:33], v[16:17], v[2:5]
	;; [unrolled: 1-line block ×3, first 2 shown]
	s_nop 1
	v_lshl_add_u64 v[2:3], v[6:7], 1, v[10:11]
	s_nop 2
	v_pk_mul_f32 v[46:47], s[6:7], v[30:31] op_sel_hi:[0,1]
	v_pk_mul_f32 v[48:49], s[6:7], v[32:33] op_sel_hi:[0,1]
	global_load_dwordx4 v[6:9], v[2:3], off
	s_nop 0
	global_load_dwordx4 v[2:5], v[2:3], off offset:16
	v_pk_mul_f32 v[44:45], s[6:7], v[14:15] op_sel_hi:[0,1]
	v_and_b32_e32 v14, 0xc0, v0
	v_add_u32_e32 v14, s14, v14
	v_lshl_or_b32 v14, v1, 2, v14
	v_pk_mul_f32 v[38:39], s[6:7], v[16:17] op_sel_hi:[0,1]
	v_or_b32_e32 v17, 1, v14
	v_mov_b32_e32 v15, 0xff7fffff
	v_cmp_gt_i32_e64 s[4:5], s33, v14
	v_cmp_gt_i32_e64 s[34:35], s33, v17
	v_or_b32_e32 v18, 3, v14
	v_cndmask_b32_e64 v16, v15, v12, s[4:5]
	v_cndmask_b32_e64 v17, v15, v13, s[34:35]
	v_max3_f32 v16, v16, s43, v17
	v_or_b32_e32 v17, 2, v14
	v_cmp_gt_i32_e64 s[36:37], s33, v17
	v_cmp_gt_i32_e64 s[38:39], s33, v18
	global_load_dwordx4 v[30:33], v[56:57], off
	global_load_dwordx4 v[26:29], v[56:57], off offset:16
	v_cndmask_b32_e64 v17, v15, v50, s[36:37]
	v_cndmask_b32_e64 v18, v15, v51, s[38:39]
	v_max3_f32 v16, v16, v17, v18
	v_or_b32_e32 v17, 16, v14
	v_or_b32_e32 v18, 17, v14
	v_cmp_gt_i32_e64 s[24:25], s33, v17
	v_cmp_gt_i32_e64 s[26:27], s33, v18
	s_nop 0
	v_cndmask_b32_e64 v17, v15, v42, s[24:25]
	v_cndmask_b32_e64 v18, v15, v43, s[26:27]
	v_max3_f32 v16, v16, v17, v18
	v_or_b32_e32 v17, 18, v14
	v_or_b32_e32 v18, 19, v14
	v_cmp_gt_i32_e64 s[20:21], s33, v17
	v_cmp_gt_i32_e64 s[22:23], s33, v18
	s_nop 0
	;; [unrolled: 8-line block ×5, first 2 shown]
	v_cndmask_b32_e64 v17, v15, v44, s[8:9]
	v_cndmask_b32_e64 v18, v15, v45, s[10:11]
	v_max3_f32 v16, v16, v17, v18
	v_or_b32_e32 v17, 50, v14
	v_or_b32_e32 v14, 51, v14
	v_cmp_gt_i32_e32 vcc, s33, v17
	v_cmp_gt_i32_e64 s[6:7], s33, v14
	s_nop 0
	v_cndmask_b32_e32 v17, v15, v38, vcc
	v_cndmask_b32_e64 v14, v15, v39, s[6:7]
	v_max3_f32 v16, v16, v17, v14
	v_mbcnt_lo_u32_b32 v14, -1, 0
	v_mbcnt_hi_u32_b32 v17, -1, v14
	v_and_b32_e32 v14, 64, v17
	v_add_u32_e32 v18, 64, v14
	v_xor_b32_e32 v14, 32, v17
	v_cmp_lt_i32_e64 s[40:41], v14, v18
	s_nop 1
	v_cndmask_b32_e64 v14, v17, v14, s[40:41]
	v_lshlrev_b32_e32 v60, 2, v14
	ds_bpermute_b32 v19, v60, v16
	s_waitcnt vmcnt(5)
	v_mad_i64_i32 v[14:15], s[40:41], v58, s45, 0
	v_lshl_add_u64 v[14:15], v[14:15], 1, v[10:11]
	s_waitcnt lgkmcnt(0)
	v_max_f32_e32 v19, v19, v19
	v_max_f32_e32 v16, v16, v19
	v_xor_b32_e32 v19, 16, v17
	v_cmp_lt_i32_e64 s[40:41], v19, v18
	s_nop 1
	v_cndmask_b32_e64 v17, v17, v19, s[40:41]
	v_lshlrev_b32_e32 v57, 2, v17
	ds_bpermute_b32 v17, v57, v16
	global_load_dwordx4 v[22:25], v[14:15], off
	global_load_dwordx4 v[18:21], v[14:15], off offset:16
	s_waitcnt vmcnt(6)
	v_mad_i64_i32 v[14:15], s[40:41], v59, s45, 0
	v_lshl_add_u64 v[10:11], v[14:15], 1, v[10:11]
	s_waitcnt lgkmcnt(0)
	v_max_f32_e32 v14, v17, v17
	v_max_f32_e32 v56, v16, v14
	v_sub_f32_e32 v12, v12, v56
	v_mul_f32_e32 v12, 0x3fb8aa3b, v12
	v_exp_f32_e32 v40, v12
	v_sub_f32_e32 v12, v13, v56
	v_mul_f32_e32 v12, 0x3fb8aa3b, v12
	v_exp_f32_e32 v41, v12
	global_load_dwordx4 v[14:17], v[10:11], off
	s_nop 0
	global_load_dwordx4 v[10:13], v[10:11], off offset:16
	v_sub_f32_e32 v50, v50, v56
	v_mul_f32_e32 v50, 0x3fb8aa3b, v50
	v_sub_f32_e32 v51, v51, v56
	v_exp_f32_e32 v50, v50
	v_mul_f32_e32 v51, 0x3fb8aa3b, v51
	v_sub_f32_e32 v42, v42, v56
	v_exp_f32_e32 v51, v51
	v_mul_f32_e32 v42, 0x3fb8aa3b, v42
	v_sub_f32_e32 v43, v43, v56
	v_cndmask_b32_e64 v40, 0, v40, s[4:5]
	v_exp_f32_e32 v42, v42
	v_mul_f32_e32 v43, 0x3fb8aa3b, v43
	v_sub_f32_e32 v52, v52, v56
	v_add_f32_e32 v58, 0, v40
	v_cndmask_b32_e64 v41, 0, v41, s[34:35]
	v_exp_f32_e32 v43, v43
	v_mul_f32_e32 v52, 0x3fb8aa3b, v52
	v_sub_f32_e32 v53, v53, v56
	v_add_f32_e32 v58, v58, v41
	;; [unrolled: 5-line block ×10, first 2 shown]
	v_cndmask_b32_e64 v48, 0, v48, s[12:13]
	v_exp_f32_e32 v38, v38
	v_mul_f32_e32 v39, 0x3fb8aa3b, v39
	v_add_f32_e32 v58, v58, v48
	v_cndmask_b32_e64 v49, 0, v49, s[14:15]
	v_exp_f32_e32 v39, v39
	v_add_f32_e32 v58, v58, v49
	v_cndmask_b32_e64 v44, 0, v44, s[8:9]
	v_add_f32_e32 v58, v58, v44
	v_cndmask_b32_e64 v45, 0, v45, s[10:11]
	v_add_f32_e32 v58, v58, v45
	v_cndmask_b32_e32 v38, 0, v38, vcc
	v_add_f32_e32 v58, v58, v38
	v_cndmask_b32_e64 v39, 0, v39, s[6:7]
	v_add_f32_e32 v58, v58, v39
	ds_bpermute_b32 v59, v60, v58
	v_cmp_gt_u32_e32 vcc, 16, v55
	s_waitcnt lgkmcnt(0)
	s_barrier
	v_add_f32_e32 v58, v58, v59
	ds_bpermute_b32 v59, v57, v58
	v_lshlrev_b32_e32 v57, 2, v36
	s_and_saveexec_b64 s[4:5], vcc
	s_cbranch_execz .LBB534_15
; %bb.14:
	s_waitcnt lgkmcnt(0)
	v_add_f32_e32 v55, v58, v59
	v_lshl_or_b32 v58, v37, 6, v57
	ds_write2st64_b32 v58, v56, v55 offset1:1
.LBB534_15:
	s_or_b64 exec, exec, s[4:5]
	s_load_dword s6, s[0:1], 0x94
	s_waitcnt lgkmcnt(0)
	s_barrier
	ds_read2_b32 v[58:59], v57 offset1:16
	ds_read2_b32 v[60:61], v57 offset0:32 offset1:48
	ds_read2_b32 v[62:63], v57 offset0:64 offset1:80
	s_movk_i32 s8, 0x7fff
	s_mov_b32 s9, 0x7060302
	s_waitcnt lgkmcnt(2)
	v_max3_f32 v55, v58, s43, v59
	s_waitcnt lgkmcnt(1)
	v_max3_f32 v55, v55, v60, v61
	v_sub_f32_e32 v56, v58, v55
	v_mul_f32_e32 v56, 0x3fb8aa3b, v56
	v_exp_f32_e32 v64, v56
	v_sub_f32_e32 v56, v59, v55
	v_mul_f32_e32 v56, 0x3fb8aa3b, v56
	v_exp_f32_e32 v65, v56
	;; [unrolled: 3-line block ×3, first 2 shown]
	ds_read2_b32 v[58:59], v57 offset0:96 offset1:112
	v_sub_f32_e32 v56, v61, v55
	v_mul_f32_e32 v56, 0x3fb8aa3b, v56
	v_exp_f32_e32 v57, v56
	s_waitcnt lgkmcnt(1)
	v_fma_f32 v56, v64, v62, 0
	v_fmac_f32_e32 v56, v65, v63
	s_waitcnt lgkmcnt(0)
	v_fmac_f32_e32 v56, v60, v58
	v_fmac_f32_e32 v56, v57, v59
	v_add_f32_e32 v58, 0x358637bd, v56
	v_div_scale_f32 v59, s[4:5], v58, v58, 1.0
	v_rcp_f32_e32 v61, v59
	s_barrier
	v_fma_f32 v62, -v59, v61, 1.0
	v_fmac_f32_e32 v61, v62, v61
	v_div_scale_f32 v62, vcc, 1.0, v58, 1.0
	v_mul_f32_e32 v63, v62, v61
	v_fma_f32 v66, -v59, v63, v62
	v_fmac_f32_e32 v63, v66, v61
	v_fma_f32 v59, -v59, v63, v62
	v_div_fmas_f32 v59, v59, v61, v63
	v_cmp_eq_u32_e32 vcc, 1, v37
	v_div_fixup_f32 v58, v59, v58, 1.0
	s_mul_i32 s7, s29, 3
	v_cndmask_b32_e32 v59, v64, v65, vcc
	v_cmp_eq_u32_e32 vcc, 2, v37
	s_nop 1
	v_cndmask_b32_e32 v59, v59, v60, vcc
	v_cmp_eq_u32_e32 vcc, 3, v37
	v_lshlrev_b32_e32 v37, 11, v37
	s_nop 0
	v_cndmask_b32_e32 v57, v59, v57, vcc
	v_mul_f32_e32 v58, v57, v58
	v_pk_mul_f32 v[40:41], v[58:59], v[40:41] op_sel_hi:[0,1]
	v_pk_mul_f32 v[50:51], v[58:59], v[50:51] op_sel_hi:[0,1]
	v_bfe_u32 v57, v41, 16, 1
	v_bfe_u32 v59, v40, 16, 1
	v_add3_u32 v40, v40, v59, s8
	v_add3_u32 v41, v41, v57, s8
	v_perm_b32 v60, v41, v40, s9
	v_bfe_u32 v40, v51, 16, 1
	v_bfe_u32 v41, v50, 16, 1
	v_add3_u32 v41, v50, v41, s8
	v_add3_u32 v40, v51, v40, s8
	v_perm_b32 v61, v40, v41, s9
	v_lshlrev_b32_e32 v40, 3, v1
	v_lshlrev_b32_e32 v41, 5, v36
	v_pk_mul_f32 v[42:43], v[58:59], v[42:43] op_sel_hi:[0,1]
	v_or3_b32 v40, v37, v41, v40
	v_pk_mul_f32 v[50:51], v[58:59], v[52:53] op_sel_hi:[0,1]
	v_bfe_u32 v37, v43, 16, 1
	v_bfe_u32 v52, v42, 16, 1
	v_add3_u32 v42, v42, v52, s8
	v_add3_u32 v37, v43, v37, s8
	v_perm_b32 v42, v37, v42, s9
	v_bfe_u32 v37, v51, 16, 1
	v_bfe_u32 v43, v50, 16, 1
	v_add3_u32 v43, v50, v43, s8
	v_add3_u32 v37, v51, v37, s8
	v_perm_b32 v43, v37, v43, s9
	v_pk_mul_f32 v[46:47], v[58:59], v[46:47] op_sel_hi:[0,1]
	ds_write2st64_b64 v40, v[60:61], v[42:43] offset1:1
	v_pk_mul_f32 v[42:43], v[58:59], v[48:49] op_sel_hi:[0,1]
	v_bfe_u32 v37, v47, 16, 1
	v_bfe_u32 v48, v46, 16, 1
	v_add3_u32 v46, v46, v48, s8
	v_add3_u32 v37, v47, v37, s8
	v_perm_b32 v46, v37, v46, s9
	v_bfe_u32 v37, v43, 16, 1
	v_bfe_u32 v47, v42, 16, 1
	v_add3_u32 v42, v42, v47, s8
	v_add3_u32 v37, v43, v37, s8
	v_perm_b32 v47, v37, v42, s9
	v_pk_mul_f32 v[42:43], v[58:59], v[44:45] op_sel_hi:[0,1]
	v_bfe_u32 v37, v43, 16, 1
	v_bfe_u32 v44, v42, 16, 1
	v_pk_mul_f32 v[38:39], v[58:59], v[38:39] op_sel_hi:[0,1]
	v_add3_u32 v42, v42, v44, s8
	v_add3_u32 v37, v43, v37, s8
	v_perm_b32 v42, v37, v42, s9
	v_bfe_u32 v37, v39, 16, 1
	v_bfe_u32 v43, v38, 16, 1
	v_add3_u32 v38, v38, v43, s8
	v_add3_u32 v37, v39, v37, s8
	v_perm_b32 v43, v37, v38, s9
	v_cmp_gt_u32_e32 vcc, 3, v0
	ds_write2st64_b64 v40, v[46:47], v[42:43] offset0:2 offset1:3
	s_and_saveexec_b64 s[4:5], vcc
	s_cbranch_execz .LBB534_17
; %bb.16:
	s_mov_b32 s43, 0
	v_mov_b32_e32 v37, 0
	v_lshl_add_u64 v[38:39], s[42:43], 0, v[36:37]
	v_mov_b32_e32 v36, s7
	v_mad_u64_u32 v[38:39], s[10:11], s2, v36, v[38:39]
	v_mov_b32_e32 v36, s28
	s_load_dwordx4 s[12:15], s[0:1], 0x58
	s_mul_i32 s3, s3, s7
	v_mad_u64_u32 v[36:37], s[10:11], v38, s6, v[36:37]
	v_add_u32_e32 v39, s3, v39
	v_mov_b32_e32 v38, v37
	v_mad_u64_u32 v[38:39], s[10:11], v39, s6, v[38:39]
	v_mov_b32_e32 v37, v38
	v_lshlrev_b64 v[36:37], 2, v[36:37]
	s_waitcnt lgkmcnt(0)
	v_lshl_add_u64 v[38:39], s[14:15], 0, v[36:37]
	v_lshl_add_u64 v[36:37], s[12:13], 0, v[36:37]
	global_store_dword v[38:39], v55, off
	global_store_dword v[36:37], v56, off
.LBB534_17:
	s_or_b64 exec, exec, s[4:5]
	v_lshl_or_b32 v41, v1, 9, v41
	s_waitcnt lgkmcnt(0)
	s_barrier
	ds_read_b128 v[36:39], v41
	ds_read_b128 v[42:45], v41 offset:16
	s_waitcnt vmcnt(7) lgkmcnt(1)
	v_mfma_f32_16x16x16_bf16 v[46:49], v[6:7], v[36:37], 0
	v_cmp_gt_u32_e32 vcc, 64, v0
	v_cmp_ne_u32_e64 s[4:5], 3, v1
	s_and_b64 s[4:5], s[4:5], vcc
	v_mfma_f32_16x16x16_bf16 v[6:9], v[8:9], v[38:39], v[46:49]
	s_mov_b32 s3, 0
	s_and_b64 s[4:5], s[4:5], s[30:31]
	s_waitcnt vmcnt(6) lgkmcnt(0)
	v_mfma_f32_16x16x16_bf16 v[6:9], v[2:3], v[42:43], v[6:9]
	v_mfma_f32_16x16x16_bf16 v[2:5], v[4:5], v[44:45], v[6:9]
	s_nop 5
	ds_read_b128 v[6:9], v41 offset:2048
	ds_read_b128 v[36:39], v41 offset:2064
	s_waitcnt vmcnt(5) lgkmcnt(1)
	v_mfma_f32_16x16x16_bf16 v[2:5], v[30:31], v[6:7], v[2:5]
	v_mfma_f32_16x16x16_bf16 v[2:5], v[32:33], v[8:9], v[2:5]
	s_waitcnt vmcnt(4) lgkmcnt(0)
	v_mfma_f32_16x16x16_bf16 v[2:5], v[26:27], v[36:37], v[2:5]
	v_mfma_f32_16x16x16_bf16 v[2:5], v[28:29], v[38:39], v[2:5]
	ds_read_b128 v[6:9], v41 offset:4096
	ds_read_b128 v[26:29], v41 offset:4112
	s_waitcnt vmcnt(3) lgkmcnt(1)
	v_mfma_f32_16x16x16_bf16 v[2:5], v[22:23], v[6:7], v[2:5]
	v_mfma_f32_16x16x16_bf16 v[2:5], v[24:25], v[8:9], v[2:5]
	s_waitcnt vmcnt(2) lgkmcnt(0)
	v_mfma_f32_16x16x16_bf16 v[2:5], v[18:19], v[26:27], v[2:5]
	v_mfma_f32_16x16x16_bf16 v[2:5], v[20:21], v[28:29], v[2:5]
	ds_read_b128 v[6:9], v41 offset:6144
	ds_read_b128 v[18:21], v41 offset:6160
	s_waitcnt lgkmcnt(0)
	s_barrier
	s_waitcnt vmcnt(1)
	v_mfma_f32_16x16x16_bf16 v[2:5], v[14:15], v[6:7], v[2:5]
	v_mfma_f32_16x16x16_bf16 v[2:5], v[16:17], v[8:9], v[2:5]
	s_waitcnt vmcnt(0)
	v_mfma_f32_16x16x16_bf16 v[2:5], v[10:11], v[18:19], v[2:5]
	v_mfma_f32_16x16x16_bf16 v[2:5], v[12:13], v[20:21], v[2:5]
	s_nop 6
	v_bfe_u32 v6, v3, 16, 1
	v_bfe_u32 v7, v2, 16, 1
	;; [unrolled: 1-line block ×4, first 2 shown]
	v_add3_u32 v2, v2, v7, s8
	v_add3_u32 v3, v3, v6, s8
	;; [unrolled: 1-line block ×4, first 2 shown]
	v_perm_b32 v2, v3, v2, s9
	v_perm_b32 v3, v5, v4, s9
	ds_write_b64 v40, v[2:3]
	s_waitcnt lgkmcnt(0)
	s_barrier
	s_and_saveexec_b64 s[8:9], s[4:5]
	s_cbranch_execz .LBB534_19
; %bb.18:
	s_load_dwordx2 s[0:1], s[0:1], 0x68
	s_mul_i32 s2, s7, s2
	s_lshl_b32 s6, s6, 6
	s_mul_hi_u32 s5, s2, s6
	s_mul_i32 s4, s2, s6
	v_lshlrev_b32_e32 v2, 10, v0
	v_lshlrev_b32_e32 v0, 4, v0
	s_lshl_b64 s[4:5], s[4:5], 1
	v_and_b32_e32 v2, 0x1800, v2
	v_lshlrev_b32_e32 v1, 5, v1
	v_and_b32_e32 v0, 16, v0
	s_waitcnt lgkmcnt(0)
	s_add_u32 s4, s0, s4
	v_or3_b32 v0, v2, v1, v0
	s_addc_u32 s5, s1, s5
	s_lshl_b32 s2, s28, 6
	ds_read_b128 v[0:3], v0
	s_lshl_b64 s[0:1], s[2:3], 1
	s_add_u32 s0, s4, s0
	s_addc_u32 s1, s5, s1
	v_mad_u64_u32 v[4:5], s[2:3], s6, v54, 0
	v_lshl_add_u64 v[4:5], v[4:5], 1, s[0:1]
	v_lshl_add_u64 v[4:5], v[34:35], 1, v[4:5]
	s_waitcnt lgkmcnt(0)
	global_store_dwordx4 v[4:5], v[0:3], off
.LBB534_19:
	s_endpgm
	.section	.rodata,"a",@progbits
	.p2align	6, 0x0
	.amdhsa_kernel _Z39paged_attention_ll4mi_QKV_mfma16_kernelI14__hip_bfloat16S0_LN4vllm18Fp8KVCacheDataTypeE0EhLi32ELi64ELi256ELb0ELi3EEvPKT_PKT0_S8_ifPKiSA_SA_iPKfiiiPfSD_PS3_PT2_iSC_SC_
		.amdhsa_group_segment_fixed_size 8192
		.amdhsa_private_segment_fixed_size 0
		.amdhsa_kernarg_size 400
		.amdhsa_user_sgpr_count 2
		.amdhsa_user_sgpr_dispatch_ptr 0
		.amdhsa_user_sgpr_queue_ptr 0
		.amdhsa_user_sgpr_kernarg_segment_ptr 1
		.amdhsa_user_sgpr_dispatch_id 0
		.amdhsa_user_sgpr_kernarg_preload_length 0
		.amdhsa_user_sgpr_kernarg_preload_offset 0
		.amdhsa_user_sgpr_private_segment_size 0
		.amdhsa_uses_dynamic_stack 0
		.amdhsa_enable_private_segment 0
		.amdhsa_system_sgpr_workgroup_id_x 1
		.amdhsa_system_sgpr_workgroup_id_y 1
		.amdhsa_system_sgpr_workgroup_id_z 1
		.amdhsa_system_sgpr_workgroup_info 0
		.amdhsa_system_vgpr_workitem_id 0
		.amdhsa_next_free_vgpr 68
		.amdhsa_next_free_sgpr 48
		.amdhsa_accum_offset 68
		.amdhsa_reserve_vcc 1
		.amdhsa_float_round_mode_32 0
		.amdhsa_float_round_mode_16_64 0
		.amdhsa_float_denorm_mode_32 3
		.amdhsa_float_denorm_mode_16_64 3
		.amdhsa_dx10_clamp 1
		.amdhsa_ieee_mode 1
		.amdhsa_fp16_overflow 0
		.amdhsa_tg_split 0
		.amdhsa_exception_fp_ieee_invalid_op 0
		.amdhsa_exception_fp_denorm_src 0
		.amdhsa_exception_fp_ieee_div_zero 0
		.amdhsa_exception_fp_ieee_overflow 0
		.amdhsa_exception_fp_ieee_underflow 0
		.amdhsa_exception_fp_ieee_inexact 0
		.amdhsa_exception_int_div_zero 0
	.end_amdhsa_kernel
	.section	.text._Z39paged_attention_ll4mi_QKV_mfma16_kernelI14__hip_bfloat16S0_LN4vllm18Fp8KVCacheDataTypeE0EhLi32ELi64ELi256ELb0ELi3EEvPKT_PKT0_S8_ifPKiSA_SA_iPKfiiiPfSD_PS3_PT2_iSC_SC_,"axG",@progbits,_Z39paged_attention_ll4mi_QKV_mfma16_kernelI14__hip_bfloat16S0_LN4vllm18Fp8KVCacheDataTypeE0EhLi32ELi64ELi256ELb0ELi3EEvPKT_PKT0_S8_ifPKiSA_SA_iPKfiiiPfSD_PS3_PT2_iSC_SC_,comdat
.Lfunc_end534:
	.size	_Z39paged_attention_ll4mi_QKV_mfma16_kernelI14__hip_bfloat16S0_LN4vllm18Fp8KVCacheDataTypeE0EhLi32ELi64ELi256ELb0ELi3EEvPKT_PKT0_S8_ifPKiSA_SA_iPKfiiiPfSD_PS3_PT2_iSC_SC_, .Lfunc_end534-_Z39paged_attention_ll4mi_QKV_mfma16_kernelI14__hip_bfloat16S0_LN4vllm18Fp8KVCacheDataTypeE0EhLi32ELi64ELi256ELb0ELi3EEvPKT_PKT0_S8_ifPKiSA_SA_iPKfiiiPfSD_PS3_PT2_iSC_SC_
                                        ; -- End function
	.section	.AMDGPU.csdata,"",@progbits
; Kernel info:
; codeLenInByte = 4120
; NumSgprs: 54
; NumVgprs: 68
; NumAgprs: 0
; TotalNumVgprs: 68
; ScratchSize: 0
; MemoryBound: 0
; FloatMode: 240
; IeeeMode: 1
; LDSByteSize: 8192 bytes/workgroup (compile time only)
; SGPRBlocks: 6
; VGPRBlocks: 8
; NumSGPRsForWavesPerEU: 54
; NumVGPRsForWavesPerEU: 68
; AccumOffset: 68
; Occupancy: 7
; WaveLimiterHint : 1
; COMPUTE_PGM_RSRC2:SCRATCH_EN: 0
; COMPUTE_PGM_RSRC2:USER_SGPR: 2
; COMPUTE_PGM_RSRC2:TRAP_HANDLER: 0
; COMPUTE_PGM_RSRC2:TGID_X_EN: 1
; COMPUTE_PGM_RSRC2:TGID_Y_EN: 1
; COMPUTE_PGM_RSRC2:TGID_Z_EN: 1
; COMPUTE_PGM_RSRC2:TIDIG_COMP_CNT: 0
; COMPUTE_PGM_RSRC3_GFX90A:ACCUM_OFFSET: 16
; COMPUTE_PGM_RSRC3_GFX90A:TG_SPLIT: 0
	.section	.text._Z39paged_attention_ll4mi_QKV_mfma16_kernelI14__hip_bfloat16S0_LN4vllm18Fp8KVCacheDataTypeE0EhLi32ELi64ELi256ELb0ELi4EEvPKT_PKT0_S8_ifPKiSA_SA_iPKfiiiPfSD_PS3_PT2_iSC_SC_,"axG",@progbits,_Z39paged_attention_ll4mi_QKV_mfma16_kernelI14__hip_bfloat16S0_LN4vllm18Fp8KVCacheDataTypeE0EhLi32ELi64ELi256ELb0ELi4EEvPKT_PKT0_S8_ifPKiSA_SA_iPKfiiiPfSD_PS3_PT2_iSC_SC_,comdat
	.protected	_Z39paged_attention_ll4mi_QKV_mfma16_kernelI14__hip_bfloat16S0_LN4vllm18Fp8KVCacheDataTypeE0EhLi32ELi64ELi256ELb0ELi4EEvPKT_PKT0_S8_ifPKiSA_SA_iPKfiiiPfSD_PS3_PT2_iSC_SC_ ; -- Begin function _Z39paged_attention_ll4mi_QKV_mfma16_kernelI14__hip_bfloat16S0_LN4vllm18Fp8KVCacheDataTypeE0EhLi32ELi64ELi256ELb0ELi4EEvPKT_PKT0_S8_ifPKiSA_SA_iPKfiiiPfSD_PS3_PT2_iSC_SC_
	.globl	_Z39paged_attention_ll4mi_QKV_mfma16_kernelI14__hip_bfloat16S0_LN4vllm18Fp8KVCacheDataTypeE0EhLi32ELi64ELi256ELb0ELi4EEvPKT_PKT0_S8_ifPKiSA_SA_iPKfiiiPfSD_PS3_PT2_iSC_SC_
	.p2align	8
	.type	_Z39paged_attention_ll4mi_QKV_mfma16_kernelI14__hip_bfloat16S0_LN4vllm18Fp8KVCacheDataTypeE0EhLi32ELi64ELi256ELb0ELi4EEvPKT_PKT0_S8_ifPKiSA_SA_iPKfiiiPfSD_PS3_PT2_iSC_SC_,@function
_Z39paged_attention_ll4mi_QKV_mfma16_kernelI14__hip_bfloat16S0_LN4vllm18Fp8KVCacheDataTypeE0EhLi32ELi64ELi256ELb0ELi4EEvPKT_PKT0_S8_ifPKiSA_SA_iPKfiiiPfSD_PS3_PT2_iSC_SC_: ; @_Z39paged_attention_ll4mi_QKV_mfma16_kernelI14__hip_bfloat16S0_LN4vllm18Fp8KVCacheDataTypeE0EhLi32ELi64ELi256ELb0ELi4EEvPKT_PKT0_S8_ifPKiSA_SA_iPKfiiiPfSD_PS3_PT2_iSC_SC_
; %bb.0:
	s_load_dwordx2 s[6:7], s[0:1], 0x30
	s_mov_b32 s26, s3
	s_mov_b64 s[10:11], 0
	s_waitcnt lgkmcnt(0)
	s_cmp_lg_u64 s[6:7], 0
	s_cselect_b64 s[8:9], -1, 0
	s_and_b64 vcc, exec, s[8:9]
	s_cbranch_vccz .LBB535_7
; %bb.1:
	s_add_i32 s12, s2, 1
	s_mov_b32 s13, 0
	s_lshl_b64 s[14:15], s[12:13], 2
	s_add_u32 s14, s6, s14
	s_mov_b32 s3, s13
	s_addc_u32 s15, s7, s15
	s_lshl_b64 s[12:13], s[2:3], 2
	s_add_u32 s12, s6, s12
	s_addc_u32 s13, s7, s13
	s_load_dword s5, s[14:15], 0x0
	s_load_dword s16, s[12:13], 0x0
	s_waitcnt lgkmcnt(0)
	s_sub_i32 s5, s5, s16
	s_cmp_eq_u32 s5, 1
	s_cselect_b64 s[12:13], -1, 0
	s_andn2_b64 vcc, exec, s[10:11]
	s_cbranch_vccnz .LBB535_3
.LBB535_2:
	s_mov_b32 s3, 0
	s_mov_b64 s[12:13], -1
.LBB535_3:
	s_andn2_b64 vcc, exec, s[12:13]
	s_cbranch_vccnz .LBB535_19
; %bb.4:
	s_load_dwordx2 s[12:13], s[0:1], 0x28
	s_lshl_b64 s[10:11], s[2:3], 2
	s_waitcnt lgkmcnt(0)
	s_add_u32 s12, s12, s10
	s_addc_u32 s13, s13, s11
	s_load_dword s38, s[12:13], 0x0
	s_lshl_b32 s14, s26, 8
	s_waitcnt lgkmcnt(0)
	s_cmp_ge_i32 s14, s38
	s_cbranch_scc1 .LBB535_19
; %bb.5:
	s_load_dwordx2 s[12:13], s[0:1], 0x20
	s_load_dword s5, s[0:1], 0x38
	s_add_i32 s15, s38, 31
	s_ashr_i32 s16, s15, 31
	v_and_b32_e32 v1, 0xcf, v0
	s_lshr_b32 s16, s16, 27
	v_add_u32_e32 v1, s14, v1
	s_add_i32 s15, s15, s16
	v_ashrrev_i32_e32 v2, 31, v1
	s_ashr_i32 s15, s15, 5
	v_lshrrev_b32_e32 v10, 27, v2
	s_add_i32 s15, s15, -1
	s_waitcnt lgkmcnt(0)
	s_mul_i32 s16, s2, s5
	s_mov_b32 s17, 0
	v_add_u32_e32 v2, v1, v10
	s_lshl_b64 s[16:17], s[16:17], 2
	v_ashrrev_i32_e32 v2, 5, v2
	v_mov_b32_e32 v11, s15
	v_cmp_gt_i32_e32 vcc, s38, v1
	s_add_u32 s12, s12, s16
	s_addc_u32 s13, s13, s17
	v_cndmask_b32_e32 v2, v11, v2, vcc
	v_ashrrev_i32_e32 v3, 31, v2
	v_lshl_add_u64 v[4:5], v[2:3], 2, s[12:13]
	v_or_b32_e32 v2, 16, v1
	v_add_u32_e32 v3, v2, v10
	v_ashrrev_i32_e32 v3, 5, v3
	v_cmp_gt_i32_e32 vcc, s38, v2
	s_nop 1
	v_cndmask_b32_e32 v2, v11, v3, vcc
	v_ashrrev_i32_e32 v3, 31, v2
	v_lshl_add_u64 v[6:7], v[2:3], 2, s[12:13]
	v_or_b32_e32 v2, 32, v1
	v_add_u32_e32 v3, v2, v10
	v_ashrrev_i32_e32 v3, 5, v3
	v_cmp_gt_i32_e32 vcc, s38, v2
	v_or_b32_e32 v1, 48, v1
	s_nop 0
	v_cndmask_b32_e32 v2, v11, v3, vcc
	v_ashrrev_i32_e32 v3, 31, v2
	v_lshl_add_u64 v[8:9], v[2:3], 2, s[12:13]
	v_add_u32_e32 v2, v1, v10
	v_ashrrev_i32_e32 v2, 5, v2
	v_cmp_gt_i32_e32 vcc, s38, v1
	s_nop 1
	v_cndmask_b32_e32 v2, v11, v2, vcc
	v_ashrrev_i32_e32 v3, 31, v2
	v_lshl_add_u64 v[12:13], v[2:3], 2, s[12:13]
	global_load_dword v3, v[4:5], off
	global_load_dword v2, v[6:7], off
	;; [unrolled: 1-line block ×4, first 2 shown]
	s_andn2_b64 vcc, exec, s[8:9]
	s_cbranch_vccnz .LBB535_8
; %bb.6:
	s_add_u32 s6, s6, s10
	s_addc_u32 s7, s7, s11
	s_load_dword s5, s[6:7], 0x0
	s_branch .LBB535_9
.LBB535_7:
	s_mov_b64 s[12:13], 0
	s_branch .LBB535_2
.LBB535_8:
	s_mov_b32 s5, s2
.LBB535_9:
	s_load_dwordx4 s[8:11], s[0:1], 0x8
	s_load_dwordx4 s[40:43], s[0:1], 0x48
	v_and_b32_e32 v54, 15, v0
	v_cmp_gt_u32_e32 vcc, 64, v0
	v_cmp_gt_u32_e64 s[6:7], 8, v54
	s_and_b64 s[44:45], vcc, s[6:7]
	v_bfe_u32 v53, v0, 4, 2
	s_lshl_b32 s27, s4, 2
	v_lshlrev_b32_e32 v34, 3, v54
	s_xor_b64 s[6:7], s[44:45], -1
	s_and_saveexec_b64 s[16:17], s[6:7]
	s_xor_b64 s[6:7], exec, s[16:17]
; %bb.10:
	v_mov_b32_e32 v35, 0
; %bb.11:
	s_or_saveexec_b64 s[6:7], s[6:7]
	v_lshrrev_b32_e32 v55, 6, v0
	v_and_b32_e32 v56, 63, v0
	v_or_b32_e32 v1, s27, v53
	v_and_b32_e32 v19, 3, v0
	v_lshlrev_b32_e32 v52, 5, v53
	s_xor_b64 exec, exec, s[6:7]
	s_cbranch_execz .LBB535_13
; %bb.12:
	s_load_dwordx2 s[16:17], s[0:1], 0x0
	s_waitcnt lgkmcnt(0)
	s_ashr_i32 s18, s40, 31
	s_mul_hi_u32 s19, s5, s40
	s_mul_i32 s18, s5, s18
	s_add_i32 s19, s19, s18
	s_mul_i32 s18, s5, s40
	s_lshl_b64 s[18:19], s[18:19], 1
	s_add_u32 s16, s16, s18
	v_lshlrev_b32_e32 v4, 6, v1
	s_addc_u32 s17, s17, s19
	v_ashrrev_i32_e32 v5, 31, v4
	v_mov_b32_e32 v35, 0
	v_lshl_add_u64 v[4:5], v[4:5], 1, s[16:17]
	v_lshlrev_b32_e32 v6, 1, v34
	v_mov_b32_e32 v7, v35
	v_lshl_add_u64 v[4:5], v[4:5], 0, v[6:7]
	global_load_dwordx4 v[4:7], v[4:5], off
	v_lshlrev_b32_e32 v11, 9, v54
	v_lshl_or_b32 v8, v55, 7, v52
	v_lshlrev_b32_e32 v9, 9, v19
	v_and_b32_e32 v11, 0x1800, v11
	v_or3_b32 v8, v11, v9, v8
	s_waitcnt vmcnt(0)
	ds_write_b128 v8, v[4:7]
.LBB535_13:
	s_or_b64 exec, exec, s[6:7]
	s_waitcnt lgkmcnt(0)
	s_mul_i32 s4, s4, s42
	s_mov_b32 s5, 0
	s_lshl_b64 s[4:5], s[4:5], 1
	s_add_u32 s8, s8, s4
	s_addc_u32 s9, s9, s5
	s_waitcnt vmcnt(3)
	v_mad_i64_i32 v[4:5], s[16:17], v3, s41, 0
	v_lshl_add_u64 v[4:5], v[4:5], 1, s[8:9]
	v_lshlrev_b64 v[12:13], 1, v[34:35]
	v_lshlrev_b32_e32 v36, 9, v53
	v_lshl_add_u64 v[4:5], v[4:5], 0, v[12:13]
	v_mov_b32_e32 v37, 0
	v_lshl_add_u64 v[20:21], v[4:5], 0, v[36:37]
	s_waitcnt vmcnt(2)
	v_mad_i64_i32 v[2:3], s[16:17], v2, s41, 0
	v_mov_b32_e32 v4, 0x100
	v_lshl_add_u64 v[2:3], v[2:3], 1, s[8:9]
	v_lshl_or_b32 v38, v54, 4, v4
	v_mov_b32_e32 v39, v37
	s_load_dword s33, s[0:1], 0x98
	s_load_dword s6, s[0:1], 0x1c
	s_waitcnt lgkmcnt(0)
	s_barrier
	v_lshl_add_u64 v[2:3], v[2:3], 0, v[38:39]
	global_load_dwordx4 v[6:9], v[20:21], off
	v_lshl_add_u64 v[22:23], v[2:3], 0, v[36:37]
	global_load_dwordx4 v[2:5], v[22:23], off
	s_waitcnt vmcnt(3)
	v_mad_i64_i32 v[10:11], s[16:17], v10, s41, 0
	v_lshl_add_u64 v[10:11], v[10:11], 1, s[8:9]
	v_lshl_add_u64 v[10:11], v[10:11], 0, v[12:13]
	;; [unrolled: 1-line block ×3, first 2 shown]
	global_load_dwordx4 v[14:17], v[24:25], off
	global_load_dwordx4 v[10:13], v[20:21], off offset:2048
	global_load_dwordx4 v[26:29], v[22:23], off offset:2048
	global_load_dwordx4 v[30:33], v[24:25], off offset:2048
	s_waitcnt vmcnt(6)
	v_mad_i64_i32 v[40:41], s[16:17], v18, s41, 0
	v_lshl_add_u64 v[40:41], v[40:41], 1, s[8:9]
	v_lshl_add_u64 v[38:39], v[40:41], 0, v[38:39]
	v_lshl_or_b32 v18, v19, 5, v36
	v_lshl_add_u64 v[38:39], v[38:39], 0, v[36:37]
	ds_read_b128 v[22:25], v18
	ds_read_b128 v[18:21], v18 offset:2048
	global_load_dwordx4 v[44:47], v[38:39], off
	global_load_dwordx4 v[62:65], v[38:39], off offset:2048
	s_ashr_i32 s7, s14, 31
	v_and_or_b32 v57, v0, 48, s14
	s_lshr_b32 s7, s7, 27
	v_add_u32_e32 v40, s7, v57
	v_mov_b32_e32 v66, s15
	v_or_b32_e32 v48, 64, v57
	v_ashrrev_i32_e32 v36, 5, v40
	v_cmp_gt_i32_e32 vcc, s38, v57
	v_add_u32_e32 v41, s7, v48
	v_ashrrev_i32_e32 v49, 5, v41
	v_cndmask_b32_e32 v40, v66, v36, vcc
	v_ashrrev_i32_e32 v41, 31, v40
	v_lshl_add_u64 v[40:41], v[40:41], 2, s[12:13]
	v_cmp_gt_i32_e32 vcc, s38, v48
	global_load_dword v67, v[40:41], off
	v_or_b32_e32 v39, 0x80, v57
	v_and_b32_e32 v36, 16, v0
	s_add_u32 s4, s10, s4
	v_lshlrev_b32_e32 v38, 6, v54
	s_addc_u32 s5, s11, s5
	v_lshlrev_b32_e32 v36, 1, v36
	s_mov_b32 s40, 0xff7fffff
	s_waitcnt vmcnt(6) lgkmcnt(1)
	v_mfma_f32_16x16x16_bf16 v[58:61], v[14:15], v[22:23], 0
	v_mfma_f32_16x16x16_bf16 v[40:43], v[6:7], v[22:23], 0
	v_cndmask_b32_e32 v6, v66, v49, vcc
	v_ashrrev_i32_e32 v7, 31, v6
	v_cmp_gt_i32_e32 vcc, s38, v39
	v_mfma_f32_16x16x16_bf16 v[48:51], v[2:3], v[22:23], 0
	v_lshl_add_u64 v[2:3], v[6:7], 2, s[12:13]
	global_load_dword v68, v[2:3], off
	v_mfma_f32_16x16x16_bf16 v[6:9], v[8:9], v[24:25], v[40:43]
	v_mfma_f32_16x16x16_bf16 v[2:5], v[4:5], v[24:25], v[48:51]
	s_nop 1
	v_or_b32_e32 v40, 0xc0, v57
	v_add_u32_e32 v41, s7, v39
	v_add_u32_e32 v42, s7, v40
	s_waitcnt vmcnt(6) lgkmcnt(0)
	v_mfma_f32_16x16x16_bf16 v[6:9], v[10:11], v[18:19], v[6:9]
	v_ashrrev_i32_e32 v41, 5, v41
	v_ashrrev_i32_e32 v43, 5, v42
	v_cndmask_b32_e32 v42, v66, v41, vcc
	v_cmp_gt_i32_e32 vcc, s38, v40
	s_waitcnt vmcnt(5)
	v_mfma_f32_16x16x16_bf16 v[2:5], v[26:27], v[18:19], v[2:5]
	v_lshl_add_u64 v[10:11], s[4:5], 0, v[36:37]
	v_cndmask_b32_e32 v26, v66, v43, vcc
	v_ashrrev_i32_e32 v43, 31, v42
	v_lshl_or_b32 v36, v55, 10, v38
	v_ashrrev_i32_e32 v27, 31, v26
	v_mfma_f32_16x16x16_bf16 v[38:41], v[12:13], v[20:21], v[6:9]
	v_lshl_add_u64 v[10:11], v[10:11], 0, v[36:37]
	s_waitcnt vmcnt(0)
	v_mad_i64_i32 v[12:13], s[4:5], v68, s41, 0
	v_lshl_add_u64 v[6:7], v[42:43], 2, s[12:13]
	v_mfma_f32_16x16x16_bf16 v[14:17], v[16:17], v[24:25], v[58:61]
	v_lshl_add_u64 v[8:9], v[26:27], 2, s[12:13]
	global_load_dword v57, v[6:7], off
	s_nop 0
	global_load_dword v60, v[8:9], off
	v_lshl_add_u64 v[58:59], v[12:13], 1, v[10:11]
	v_mfma_f32_16x16x16_bf16 v[14:17], v[30:31], v[18:19], v[14:17]
	v_pk_mul_f32 v[12:13], s[6:7], v[38:39] op_sel_hi:[0,1]
	v_pk_mul_f32 v[48:49], s[6:7], v[40:41] op_sel_hi:[0,1]
	v_mfma_f32_16x16x16_bf16 v[14:17], v[32:33], v[20:21], v[14:17]
	v_mfma_f32_16x16x16_bf16 v[30:33], v[44:45], v[22:23], 0
	;; [unrolled: 1-line block ×3, first 2 shown]
	s_nop 4
	v_pk_mul_f32 v[46:47], s[6:7], v[16:17] op_sel_hi:[0,1]
	v_pk_mul_f32 v[44:45], s[6:7], v[14:15] op_sel_hi:[0,1]
	v_mfma_f32_16x16x16_bf16 v[22:25], v[62:63], v[18:19], v[22:25]
	v_mfma_f32_16x16x16_bf16 v[14:17], v[64:65], v[20:21], v[22:25]
	;; [unrolled: 1-line block ×3, first 2 shown]
	s_nop 5
	v_pk_mul_f32 v[42:43], s[6:7], v[14:15] op_sel_hi:[0,1]
	v_and_b32_e32 v14, 0xc0, v0
	v_add_u32_e32 v14, s14, v14
	v_lshl_or_b32 v14, v53, 2, v14
	v_pk_mul_f32 v[36:37], s[6:7], v[16:17] op_sel_hi:[0,1]
	v_or_b32_e32 v17, 1, v14
	v_mov_b32_e32 v15, 0xff7fffff
	v_cmp_gt_i32_e64 s[28:29], s38, v14
	v_cmp_gt_i32_e64 s[30:31], s38, v17
	v_or_b32_e32 v18, 3, v14
	v_cndmask_b32_e64 v16, v15, v12, s[28:29]
	v_cndmask_b32_e64 v17, v15, v13, s[30:31]
	v_max3_f32 v16, v16, s40, v17
	v_or_b32_e32 v17, 2, v14
	v_cmp_gt_i32_e64 s[34:35], s38, v17
	v_cmp_gt_i32_e64 s[36:37], s38, v18
	v_pk_mul_f32 v[40:41], s[6:7], v[26:27] op_sel_hi:[0,1]
	v_cndmask_b32_e64 v17, v15, v48, s[34:35]
	v_cndmask_b32_e64 v18, v15, v49, s[36:37]
	v_max3_f32 v16, v16, v17, v18
	v_or_b32_e32 v17, 16, v14
	v_or_b32_e32 v18, 17, v14
	v_cmp_gt_i32_e64 s[22:23], s38, v17
	v_cmp_gt_i32_e64 s[24:25], s38, v18
	v_pk_mul_f32 v[50:51], s[6:7], v[28:29] op_sel_hi:[0,1]
	v_cndmask_b32_e64 v17, v15, v40, s[22:23]
	v_cndmask_b32_e64 v18, v15, v41, s[24:25]
	v_max3_f32 v16, v16, v17, v18
	v_or_b32_e32 v17, 18, v14
	v_or_b32_e32 v18, 19, v14
	v_cmp_gt_i32_e64 s[18:19], s38, v17
	v_cmp_gt_i32_e64 s[20:21], s38, v18
	v_mad_i64_i32 v[2:3], s[4:5], v67, s41, 0
	v_cndmask_b32_e64 v17, v15, v50, s[18:19]
	v_cndmask_b32_e64 v18, v15, v51, s[20:21]
	v_max3_f32 v16, v16, v17, v18
	v_or_b32_e32 v17, 32, v14
	v_or_b32_e32 v18, 33, v14
	v_cmp_gt_i32_e64 s[14:15], s38, v17
	v_cmp_gt_i32_e64 s[16:17], s38, v18
	v_lshl_add_u64 v[2:3], v[2:3], 1, v[10:11]
	v_cndmask_b32_e64 v17, v15, v44, s[14:15]
	v_cndmask_b32_e64 v18, v15, v45, s[16:17]
	v_max3_f32 v16, v16, v17, v18
	v_or_b32_e32 v17, 34, v14
	v_or_b32_e32 v18, 35, v14
	v_cmp_gt_i32_e64 s[10:11], s38, v17
	v_cmp_gt_i32_e64 s[12:13], s38, v18
	global_load_dwordx4 v[6:9], v[2:3], off
	s_nop 0
	global_load_dwordx4 v[2:5], v[2:3], off offset:16
	v_cndmask_b32_e64 v17, v15, v46, s[10:11]
	v_cndmask_b32_e64 v18, v15, v47, s[12:13]
	v_max3_f32 v16, v16, v17, v18
	v_or_b32_e32 v17, 48, v14
	v_or_b32_e32 v18, 49, v14
	v_cmp_gt_i32_e64 s[6:7], s38, v17
	v_cmp_gt_i32_e64 s[8:9], s38, v18
	global_load_dwordx4 v[30:33], v[58:59], off
	global_load_dwordx4 v[26:29], v[58:59], off offset:16
	v_cndmask_b32_e64 v17, v15, v42, s[6:7]
	v_cndmask_b32_e64 v18, v15, v43, s[8:9]
	v_max3_f32 v16, v16, v17, v18
	v_or_b32_e32 v17, 50, v14
	v_or_b32_e32 v14, 51, v14
	v_cmp_gt_i32_e32 vcc, s38, v17
	v_cmp_gt_i32_e64 s[4:5], s38, v14
	s_nop 0
	v_cndmask_b32_e32 v17, v15, v36, vcc
	v_cndmask_b32_e64 v14, v15, v37, s[4:5]
	v_max3_f32 v16, v16, v17, v14
	v_mbcnt_lo_u32_b32 v14, -1, 0
	v_mbcnt_hi_u32_b32 v17, -1, v14
	v_and_b32_e32 v14, 64, v17
	v_add_u32_e32 v18, 64, v14
	v_xor_b32_e32 v14, 32, v17
	v_cmp_lt_i32_e64 s[38:39], v14, v18
	s_nop 1
	v_cndmask_b32_e64 v14, v17, v14, s[38:39]
	v_lshlrev_b32_e32 v61, 2, v14
	ds_bpermute_b32 v19, v61, v16
	s_waitcnt vmcnt(5)
	v_mad_i64_i32 v[14:15], s[38:39], v57, s41, 0
	v_lshl_add_u64 v[14:15], v[14:15], 1, v[10:11]
	s_waitcnt lgkmcnt(0)
	v_max_f32_e32 v19, v19, v19
	v_max_f32_e32 v16, v16, v19
	v_xor_b32_e32 v19, 16, v17
	v_cmp_lt_i32_e64 s[38:39], v19, v18
	s_nop 1
	v_cndmask_b32_e64 v17, v17, v19, s[38:39]
	v_lshlrev_b32_e32 v58, 2, v17
	ds_bpermute_b32 v17, v58, v16
	global_load_dwordx4 v[22:25], v[14:15], off
	global_load_dwordx4 v[18:21], v[14:15], off offset:16
	s_waitcnt vmcnt(6)
	v_mad_i64_i32 v[14:15], s[38:39], v60, s41, 0
	v_lshl_add_u64 v[10:11], v[14:15], 1, v[10:11]
	s_waitcnt lgkmcnt(0)
	v_max_f32_e32 v14, v17, v17
	v_max_f32_e32 v57, v16, v14
	v_sub_f32_e32 v12, v12, v57
	v_mul_f32_e32 v12, 0x3fb8aa3b, v12
	v_exp_f32_e32 v38, v12
	v_sub_f32_e32 v12, v13, v57
	v_mul_f32_e32 v12, 0x3fb8aa3b, v12
	v_exp_f32_e32 v39, v12
	global_load_dwordx4 v[14:17], v[10:11], off
	s_nop 0
	global_load_dwordx4 v[10:13], v[10:11], off offset:16
	v_sub_f32_e32 v48, v48, v57
	v_mul_f32_e32 v48, 0x3fb8aa3b, v48
	v_sub_f32_e32 v49, v49, v57
	v_exp_f32_e32 v48, v48
	v_mul_f32_e32 v49, 0x3fb8aa3b, v49
	v_sub_f32_e32 v40, v40, v57
	v_exp_f32_e32 v49, v49
	v_mul_f32_e32 v40, 0x3fb8aa3b, v40
	v_sub_f32_e32 v41, v41, v57
	v_cndmask_b32_e64 v38, 0, v38, s[28:29]
	v_exp_f32_e32 v40, v40
	v_mul_f32_e32 v41, 0x3fb8aa3b, v41
	v_sub_f32_e32 v50, v50, v57
	v_add_f32_e32 v59, 0, v38
	v_cndmask_b32_e64 v39, 0, v39, s[30:31]
	v_exp_f32_e32 v41, v41
	v_mul_f32_e32 v50, 0x3fb8aa3b, v50
	v_sub_f32_e32 v51, v51, v57
	v_add_f32_e32 v59, v59, v39
	;; [unrolled: 5-line block ×10, first 2 shown]
	v_cndmask_b32_e64 v46, 0, v46, s[10:11]
	v_exp_f32_e32 v36, v36
	v_mul_f32_e32 v37, 0x3fb8aa3b, v37
	v_add_f32_e32 v59, v59, v46
	v_cndmask_b32_e64 v47, 0, v47, s[12:13]
	v_exp_f32_e32 v37, v37
	v_add_f32_e32 v59, v59, v47
	v_cndmask_b32_e64 v42, 0, v42, s[6:7]
	v_add_f32_e32 v59, v59, v42
	v_cndmask_b32_e64 v43, 0, v43, s[8:9]
	v_add_f32_e32 v59, v59, v43
	v_cndmask_b32_e32 v36, 0, v36, vcc
	v_add_f32_e32 v59, v59, v36
	v_cndmask_b32_e64 v37, 0, v37, s[4:5]
	v_add_f32_e32 v59, v59, v37
	ds_bpermute_b32 v60, v61, v59
	v_cmp_gt_u32_e32 vcc, 16, v56
	s_waitcnt lgkmcnt(0)
	s_barrier
	v_add_f32_e32 v59, v59, v60
	ds_bpermute_b32 v60, v58, v59
	v_lshlrev_b32_e32 v58, 2, v54
	s_and_saveexec_b64 s[4:5], vcc
	s_cbranch_execz .LBB535_15
; %bb.14:
	s_waitcnt lgkmcnt(0)
	v_add_f32_e32 v56, v59, v60
	v_lshl_or_b32 v59, v55, 6, v58
	ds_write2st64_b32 v59, v57, v56 offset1:1
.LBB535_15:
	s_or_b64 exec, exec, s[4:5]
	s_load_dword s6, s[0:1], 0x94
	s_waitcnt lgkmcnt(0)
	s_barrier
	ds_read2_b32 v[60:61], v58 offset1:16
	ds_read2_b32 v[62:63], v58 offset0:32 offset1:48
	ds_read2_b32 v[64:65], v58 offset0:64 offset1:80
	;; [unrolled: 1-line block ×3, first 2 shown]
	s_movk_i32 s8, 0x7fff
	s_waitcnt lgkmcnt(3)
	v_max3_f32 v56, v60, s40, v61
	s_waitcnt lgkmcnt(2)
	v_max3_f32 v56, v56, v62, v63
	v_sub_f32_e32 v57, v60, v56
	v_mul_f32_e32 v57, 0x3fb8aa3b, v57
	v_exp_f32_e32 v60, v57
	v_sub_f32_e32 v57, v61, v56
	v_mul_f32_e32 v57, 0x3fb8aa3b, v57
	v_exp_f32_e32 v61, v57
	;; [unrolled: 3-line block ×4, first 2 shown]
	s_waitcnt lgkmcnt(1)
	v_fma_f32 v57, v60, v64, 0
	v_fmac_f32_e32 v57, v61, v65
	s_waitcnt lgkmcnt(0)
	v_fmac_f32_e32 v57, v62, v58
	v_fmac_f32_e32 v57, v63, v59
	v_add_f32_e32 v58, 0x358637bd, v57
	v_div_scale_f32 v59, s[4:5], v58, v58, 1.0
	v_rcp_f32_e32 v64, v59
	s_mov_b32 s9, 0x7060302
	s_barrier
	v_fma_f32 v65, -v59, v64, 1.0
	v_fmac_f32_e32 v64, v65, v64
	v_div_scale_f32 v65, vcc, 1.0, v58, 1.0
	v_mul_f32_e32 v66, v65, v64
	v_fma_f32 v67, -v59, v66, v65
	v_fmac_f32_e32 v66, v67, v64
	v_fma_f32 v59, -v59, v66, v65
	v_div_fmas_f32 v59, v59, v64, v66
	v_cmp_eq_u32_e32 vcc, 1, v55
	v_div_fixup_f32 v58, v59, v58, 1.0
	s_nop 0
	v_cndmask_b32_e32 v59, v60, v61, vcc
	v_cmp_eq_u32_e32 vcc, 2, v55
	s_lshl_b32 s7, s33, 2
	s_nop 0
	v_cndmask_b32_e32 v59, v59, v62, vcc
	v_cmp_eq_u32_e32 vcc, 3, v55
	s_nop 1
	v_cndmask_b32_e32 v59, v59, v63, vcc
	v_mul_f32_e32 v58, v59, v58
	v_pk_mul_f32 v[38:39], v[58:59], v[38:39] op_sel_hi:[0,1]
	v_pk_mul_f32 v[48:49], v[58:59], v[48:49] op_sel_hi:[0,1]
	v_bfe_u32 v59, v39, 16, 1
	v_bfe_u32 v60, v38, 16, 1
	v_add3_u32 v38, v38, v60, s8
	v_add3_u32 v39, v39, v59, s8
	v_perm_b32 v60, v39, v38, s9
	v_bfe_u32 v38, v49, 16, 1
	v_bfe_u32 v39, v48, 16, 1
	v_add3_u32 v39, v48, v39, s8
	v_add3_u32 v38, v49, v38, s8
	v_perm_b32 v61, v38, v39, s9
	v_lshlrev_b32_e32 v38, 3, v53
	v_lshlrev_b32_e32 v39, 5, v54
	;; [unrolled: 1-line block ×3, first 2 shown]
	v_pk_mul_f32 v[40:41], v[58:59], v[40:41] op_sel_hi:[0,1]
	v_or3_b32 v38, v48, v39, v38
	v_pk_mul_f32 v[48:49], v[58:59], v[50:51] op_sel_hi:[0,1]
	v_bfe_u32 v50, v41, 16, 1
	v_bfe_u32 v51, v40, 16, 1
	v_add3_u32 v40, v40, v51, s8
	v_add3_u32 v41, v41, v50, s8
	v_perm_b32 v40, v41, v40, s9
	v_bfe_u32 v41, v49, 16, 1
	v_bfe_u32 v50, v48, 16, 1
	v_add3_u32 v48, v48, v50, s8
	v_add3_u32 v41, v49, v41, s8
	v_perm_b32 v41, v41, v48, s9
	v_pk_mul_f32 v[44:45], v[58:59], v[44:45] op_sel_hi:[0,1]
	ds_write2st64_b64 v38, v[60:61], v[40:41] offset1:1
	v_pk_mul_f32 v[40:41], v[58:59], v[46:47] op_sel_hi:[0,1]
	v_bfe_u32 v46, v45, 16, 1
	v_bfe_u32 v47, v44, 16, 1
	v_add3_u32 v44, v44, v47, s8
	v_add3_u32 v45, v45, v46, s8
	v_perm_b32 v44, v45, v44, s9
	v_bfe_u32 v45, v41, 16, 1
	v_bfe_u32 v46, v40, 16, 1
	v_add3_u32 v40, v40, v46, s8
	v_add3_u32 v41, v41, v45, s8
	v_perm_b32 v45, v41, v40, s9
	v_pk_mul_f32 v[40:41], v[58:59], v[42:43] op_sel_hi:[0,1]
	v_bfe_u32 v42, v41, 16, 1
	v_bfe_u32 v43, v40, 16, 1
	v_pk_mul_f32 v[36:37], v[58:59], v[36:37] op_sel_hi:[0,1]
	v_add3_u32 v40, v40, v43, s8
	v_add3_u32 v41, v41, v42, s8
	v_perm_b32 v40, v41, v40, s9
	v_bfe_u32 v41, v37, 16, 1
	v_bfe_u32 v42, v36, 16, 1
	v_add3_u32 v36, v36, v42, s8
	v_add3_u32 v37, v37, v41, s8
	v_perm_b32 v41, v37, v36, s9
	v_cmp_gt_u32_e32 vcc, 4, v0
	ds_write2st64_b64 v38, v[44:45], v[40:41] offset0:2 offset1:3
	s_and_saveexec_b64 s[4:5], vcc
	s_cbranch_execz .LBB535_17
; %bb.16:
	v_or_b32_e32 v36, s27, v0
	v_mov_b32_e32 v37, 0
	v_mov_b32_e32 v40, s7
	v_mad_u64_u32 v[40:41], s[10:11], s2, v40, v[36:37]
	v_mov_b32_e32 v36, s26
	s_load_dwordx4 s[12:15], s[0:1], 0x58
	s_mul_i32 s3, s3, s7
	v_mad_u64_u32 v[36:37], s[10:11], v40, s6, v[36:37]
	v_add_u32_e32 v41, s3, v41
	v_mov_b32_e32 v40, v37
	v_mad_u64_u32 v[40:41], s[10:11], v41, s6, v[40:41]
	v_mov_b32_e32 v37, v40
	v_lshlrev_b64 v[36:37], 2, v[36:37]
	s_waitcnt lgkmcnt(0)
	v_lshl_add_u64 v[40:41], s[14:15], 0, v[36:37]
	v_lshl_add_u64 v[36:37], s[12:13], 0, v[36:37]
	global_store_dword v[40:41], v56, off
	global_store_dword v[36:37], v57, off
.LBB535_17:
	s_or_b64 exec, exec, s[4:5]
	v_lshl_or_b32 v36, v53, 9, v39
	s_waitcnt lgkmcnt(0)
	s_barrier
	ds_read_b128 v[40:43], v36
	ds_read_b128 v[44:47], v36 offset:16
	s_waitcnt vmcnt(7) lgkmcnt(1)
	v_mfma_f32_16x16x16_bf16 v[48:51], v[6:7], v[40:41], 0
	s_mov_b32 s3, 0
	v_mfma_f32_16x16x16_bf16 v[6:9], v[8:9], v[42:43], v[48:51]
	s_waitcnt vmcnt(6) lgkmcnt(0)
	v_mfma_f32_16x16x16_bf16 v[6:9], v[2:3], v[44:45], v[6:9]
	v_mfma_f32_16x16x16_bf16 v[2:5], v[4:5], v[46:47], v[6:9]
	s_nop 5
	ds_read_b128 v[6:9], v36 offset:2048
	ds_read_b128 v[40:43], v36 offset:2064
	s_waitcnt vmcnt(5) lgkmcnt(1)
	v_mfma_f32_16x16x16_bf16 v[2:5], v[30:31], v[6:7], v[2:5]
	v_mfma_f32_16x16x16_bf16 v[2:5], v[32:33], v[8:9], v[2:5]
	s_waitcnt vmcnt(4) lgkmcnt(0)
	v_mfma_f32_16x16x16_bf16 v[2:5], v[26:27], v[40:41], v[2:5]
	v_mfma_f32_16x16x16_bf16 v[2:5], v[28:29], v[42:43], v[2:5]
	ds_read_b128 v[6:9], v36 offset:4096
	ds_read_b128 v[26:29], v36 offset:4112
	s_waitcnt vmcnt(3) lgkmcnt(1)
	v_mfma_f32_16x16x16_bf16 v[2:5], v[22:23], v[6:7], v[2:5]
	v_mfma_f32_16x16x16_bf16 v[2:5], v[24:25], v[8:9], v[2:5]
	s_waitcnt vmcnt(2) lgkmcnt(0)
	v_mfma_f32_16x16x16_bf16 v[2:5], v[18:19], v[26:27], v[2:5]
	v_mfma_f32_16x16x16_bf16 v[2:5], v[20:21], v[28:29], v[2:5]
	ds_read_b128 v[6:9], v36 offset:6144
	ds_read_b128 v[18:21], v36 offset:6160
	s_waitcnt lgkmcnt(0)
	s_barrier
	s_waitcnt vmcnt(1)
	v_mfma_f32_16x16x16_bf16 v[2:5], v[14:15], v[6:7], v[2:5]
	v_mfma_f32_16x16x16_bf16 v[2:5], v[16:17], v[8:9], v[2:5]
	s_waitcnt vmcnt(0)
	v_mfma_f32_16x16x16_bf16 v[2:5], v[10:11], v[18:19], v[2:5]
	v_mfma_f32_16x16x16_bf16 v[2:5], v[12:13], v[20:21], v[2:5]
	s_nop 6
	v_bfe_u32 v6, v3, 16, 1
	v_bfe_u32 v7, v2, 16, 1
	;; [unrolled: 1-line block ×4, first 2 shown]
	v_add3_u32 v2, v2, v7, s8
	v_add3_u32 v3, v3, v6, s8
	v_add3_u32 v4, v4, v9, s8
	v_add3_u32 v5, v5, v8, s8
	v_perm_b32 v2, v3, v2, s9
	v_perm_b32 v3, v5, v4, s9
	ds_write_b64 v38, v[2:3]
	s_waitcnt lgkmcnt(0)
	s_barrier
	s_and_saveexec_b64 s[4:5], s[44:45]
	s_cbranch_execz .LBB535_19
; %bb.18:
	s_load_dwordx2 s[0:1], s[0:1], 0x68
	s_lshl_b32 s6, s6, 6
	s_mul_i32 s2, s7, s2
	s_mul_hi_u32 s5, s2, s6
	s_mul_i32 s4, s2, s6
	v_lshlrev_b32_e32 v2, 10, v0
	v_lshlrev_b32_e32 v0, 4, v0
	s_lshl_b64 s[4:5], s[4:5], 1
	v_and_b32_e32 v2, 0x1800, v2
	v_and_b32_e32 v0, 16, v0
	s_waitcnt lgkmcnt(0)
	s_add_u32 s4, s0, s4
	v_or3_b32 v0, v2, v52, v0
	s_addc_u32 s5, s1, s5
	s_lshl_b32 s2, s26, 6
	ds_read_b128 v[2:5], v0
	s_lshl_b64 s[0:1], s[2:3], 1
	s_add_u32 s0, s4, s0
	s_addc_u32 s1, s5, s1
	v_mad_u64_u32 v[0:1], s[2:3], s6, v1, 0
	v_lshl_add_u64 v[0:1], v[0:1], 1, s[0:1]
	v_lshl_add_u64 v[0:1], v[34:35], 1, v[0:1]
	s_waitcnt lgkmcnt(0)
	global_store_dwordx4 v[0:1], v[2:5], off
.LBB535_19:
	s_endpgm
	.section	.rodata,"a",@progbits
	.p2align	6, 0x0
	.amdhsa_kernel _Z39paged_attention_ll4mi_QKV_mfma16_kernelI14__hip_bfloat16S0_LN4vllm18Fp8KVCacheDataTypeE0EhLi32ELi64ELi256ELb0ELi4EEvPKT_PKT0_S8_ifPKiSA_SA_iPKfiiiPfSD_PS3_PT2_iSC_SC_
		.amdhsa_group_segment_fixed_size 8192
		.amdhsa_private_segment_fixed_size 0
		.amdhsa_kernarg_size 400
		.amdhsa_user_sgpr_count 2
		.amdhsa_user_sgpr_dispatch_ptr 0
		.amdhsa_user_sgpr_queue_ptr 0
		.amdhsa_user_sgpr_kernarg_segment_ptr 1
		.amdhsa_user_sgpr_dispatch_id 0
		.amdhsa_user_sgpr_kernarg_preload_length 0
		.amdhsa_user_sgpr_kernarg_preload_offset 0
		.amdhsa_user_sgpr_private_segment_size 0
		.amdhsa_uses_dynamic_stack 0
		.amdhsa_enable_private_segment 0
		.amdhsa_system_sgpr_workgroup_id_x 1
		.amdhsa_system_sgpr_workgroup_id_y 1
		.amdhsa_system_sgpr_workgroup_id_z 1
		.amdhsa_system_sgpr_workgroup_info 0
		.amdhsa_system_vgpr_workitem_id 0
		.amdhsa_next_free_vgpr 69
		.amdhsa_next_free_sgpr 46
		.amdhsa_accum_offset 72
		.amdhsa_reserve_vcc 1
		.amdhsa_float_round_mode_32 0
		.amdhsa_float_round_mode_16_64 0
		.amdhsa_float_denorm_mode_32 3
		.amdhsa_float_denorm_mode_16_64 3
		.amdhsa_dx10_clamp 1
		.amdhsa_ieee_mode 1
		.amdhsa_fp16_overflow 0
		.amdhsa_tg_split 0
		.amdhsa_exception_fp_ieee_invalid_op 0
		.amdhsa_exception_fp_denorm_src 0
		.amdhsa_exception_fp_ieee_div_zero 0
		.amdhsa_exception_fp_ieee_overflow 0
		.amdhsa_exception_fp_ieee_underflow 0
		.amdhsa_exception_fp_ieee_inexact 0
		.amdhsa_exception_int_div_zero 0
	.end_amdhsa_kernel
	.section	.text._Z39paged_attention_ll4mi_QKV_mfma16_kernelI14__hip_bfloat16S0_LN4vllm18Fp8KVCacheDataTypeE0EhLi32ELi64ELi256ELb0ELi4EEvPKT_PKT0_S8_ifPKiSA_SA_iPKfiiiPfSD_PS3_PT2_iSC_SC_,"axG",@progbits,_Z39paged_attention_ll4mi_QKV_mfma16_kernelI14__hip_bfloat16S0_LN4vllm18Fp8KVCacheDataTypeE0EhLi32ELi64ELi256ELb0ELi4EEvPKT_PKT0_S8_ifPKiSA_SA_iPKfiiiPfSD_PS3_PT2_iSC_SC_,comdat
.Lfunc_end535:
	.size	_Z39paged_attention_ll4mi_QKV_mfma16_kernelI14__hip_bfloat16S0_LN4vllm18Fp8KVCacheDataTypeE0EhLi32ELi64ELi256ELb0ELi4EEvPKT_PKT0_S8_ifPKiSA_SA_iPKfiiiPfSD_PS3_PT2_iSC_SC_, .Lfunc_end535-_Z39paged_attention_ll4mi_QKV_mfma16_kernelI14__hip_bfloat16S0_LN4vllm18Fp8KVCacheDataTypeE0EhLi32ELi64ELi256ELb0ELi4EEvPKT_PKT0_S8_ifPKiSA_SA_iPKfiiiPfSD_PS3_PT2_iSC_SC_
                                        ; -- End function
	.section	.AMDGPU.csdata,"",@progbits
; Kernel info:
; codeLenInByte = 4012
; NumSgprs: 52
; NumVgprs: 69
; NumAgprs: 0
; TotalNumVgprs: 69
; ScratchSize: 0
; MemoryBound: 0
; FloatMode: 240
; IeeeMode: 1
; LDSByteSize: 8192 bytes/workgroup (compile time only)
; SGPRBlocks: 6
; VGPRBlocks: 8
; NumSGPRsForWavesPerEU: 52
; NumVGPRsForWavesPerEU: 69
; AccumOffset: 72
; Occupancy: 7
; WaveLimiterHint : 1
; COMPUTE_PGM_RSRC2:SCRATCH_EN: 0
; COMPUTE_PGM_RSRC2:USER_SGPR: 2
; COMPUTE_PGM_RSRC2:TRAP_HANDLER: 0
; COMPUTE_PGM_RSRC2:TGID_X_EN: 1
; COMPUTE_PGM_RSRC2:TGID_Y_EN: 1
; COMPUTE_PGM_RSRC2:TGID_Z_EN: 1
; COMPUTE_PGM_RSRC2:TIDIG_COMP_CNT: 0
; COMPUTE_PGM_RSRC3_GFX90A:ACCUM_OFFSET: 17
; COMPUTE_PGM_RSRC3_GFX90A:TG_SPLIT: 0
	.section	.text._Z38paged_attention_ll4mi_QKV_mfma4_kernelI14__hip_bfloat16S0_LN4vllm18Fp8KVCacheDataTypeE0ES0_Li32ELi64ELi256ELb1ELi1EEvPKT_PKT0_S8_ifPKiSA_SA_iPKfiiiPfSD_PS3_PT2_iSC_SC_,"axG",@progbits,_Z38paged_attention_ll4mi_QKV_mfma4_kernelI14__hip_bfloat16S0_LN4vllm18Fp8KVCacheDataTypeE0ES0_Li32ELi64ELi256ELb1ELi1EEvPKT_PKT0_S8_ifPKiSA_SA_iPKfiiiPfSD_PS3_PT2_iSC_SC_,comdat
	.protected	_Z38paged_attention_ll4mi_QKV_mfma4_kernelI14__hip_bfloat16S0_LN4vllm18Fp8KVCacheDataTypeE0ES0_Li32ELi64ELi256ELb1ELi1EEvPKT_PKT0_S8_ifPKiSA_SA_iPKfiiiPfSD_PS3_PT2_iSC_SC_ ; -- Begin function _Z38paged_attention_ll4mi_QKV_mfma4_kernelI14__hip_bfloat16S0_LN4vllm18Fp8KVCacheDataTypeE0ES0_Li32ELi64ELi256ELb1ELi1EEvPKT_PKT0_S8_ifPKiSA_SA_iPKfiiiPfSD_PS3_PT2_iSC_SC_
	.globl	_Z38paged_attention_ll4mi_QKV_mfma4_kernelI14__hip_bfloat16S0_LN4vllm18Fp8KVCacheDataTypeE0ES0_Li32ELi64ELi256ELb1ELi1EEvPKT_PKT0_S8_ifPKiSA_SA_iPKfiiiPfSD_PS3_PT2_iSC_SC_
	.p2align	8
	.type	_Z38paged_attention_ll4mi_QKV_mfma4_kernelI14__hip_bfloat16S0_LN4vllm18Fp8KVCacheDataTypeE0ES0_Li32ELi64ELi256ELb1ELi1EEvPKT_PKT0_S8_ifPKiSA_SA_iPKfiiiPfSD_PS3_PT2_iSC_SC_,@function
_Z38paged_attention_ll4mi_QKV_mfma4_kernelI14__hip_bfloat16S0_LN4vllm18Fp8KVCacheDataTypeE0ES0_Li32ELi64ELi256ELb1ELi1EEvPKT_PKT0_S8_ifPKiSA_SA_iPKfiiiPfSD_PS3_PT2_iSC_SC_: ; @_Z38paged_attention_ll4mi_QKV_mfma4_kernelI14__hip_bfloat16S0_LN4vllm18Fp8KVCacheDataTypeE0ES0_Li32ELi64ELi256ELb1ELi1EEvPKT_PKT0_S8_ifPKiSA_SA_iPKfiiiPfSD_PS3_PT2_iSC_SC_
; %bb.0:
	s_load_dwordx2 s[8:9], s[0:1], 0x30
	s_mov_b32 s16, s3
	s_mov_b64 s[6:7], 0
	s_waitcnt lgkmcnt(0)
	s_cmp_lg_u64 s[8:9], 0
	s_cselect_b64 s[10:11], -1, 0
	s_and_b64 vcc, exec, s[10:11]
	s_cbranch_vccz .LBB536_10
; %bb.1:
	s_add_i32 s12, s2, 1
	s_mov_b32 s13, 0
	s_lshl_b64 s[14:15], s[12:13], 2
	s_add_u32 s14, s8, s14
	s_mov_b32 s3, s13
	s_addc_u32 s15, s9, s15
	s_lshl_b64 s[12:13], s[2:3], 2
	s_add_u32 s12, s8, s12
	s_addc_u32 s13, s9, s13
	s_load_dword s5, s[14:15], 0x0
	s_load_dword s17, s[12:13], 0x0
	s_waitcnt lgkmcnt(0)
	s_sub_i32 s5, s5, s17
	s_cmp_eq_u32 s5, 1
	s_cselect_b64 s[12:13], -1, 0
	s_andn2_b64 vcc, exec, s[6:7]
	s_cbranch_vccnz .LBB536_3
.LBB536_2:
	s_mov_b32 s3, 0
	s_mov_b64 s[12:13], -1
.LBB536_3:
	s_andn2_b64 vcc, exec, s[12:13]
	s_cbranch_vccnz .LBB536_25
; %bb.4:
	s_load_dword s5, s[0:1], 0x9c
	s_load_dwordx2 s[6:7], s[0:1], 0x28
	s_add_u32 s20, s0, 0x90
	s_addc_u32 s21, s1, 0
	s_lshl_b64 s[24:25], s[2:3], 2
	s_waitcnt lgkmcnt(0)
	s_and_b32 s5, s5, 0xffff
	s_add_u32 s6, s6, s24
	s_addc_u32 s7, s7, s25
	s_load_dword s3, s[6:7], 0x0
	s_mul_i32 s5, s16, s5
	s_waitcnt lgkmcnt(0)
	s_cmp_ge_i32 s5, s3
	s_cbranch_scc1 .LBB536_25
; %bb.5:
	v_and_b32_e32 v2, 0xc0, v0
	v_add_u32_e32 v2, s5, v2
	v_lshrrev_b32_e32 v1, 6, v0
	v_cmp_gt_i32_e64 s[6:7], s3, v2
	v_cmp_le_i32_e32 vcc, s3, v2
                                        ; implicit-def: $sgpr26
                                        ; implicit-def: $sgpr17
	s_and_saveexec_b64 s[12:13], vcc
	s_xor_b64 s[12:13], exec, s[12:13]
	s_cbranch_execz .LBB536_7
; %bb.6:
	v_mul_u32_u24_e32 v2, 20, v1
	v_or_b32_e32 v2, 0xa00, v2
	v_mov_b32_e32 v3, 0xa50
	v_mov_b32_e32 v4, 0xff7fffff
	v_mad_u32_u24 v3, v1, 20, v3
	ds_write2_b32 v2, v4, v4 offset1:1
	v_mov_b32_e32 v2, 0
	ds_write2_b32 v3, v2, v2 offset1:1
	v_mov_b32_e32 v3, 0xa08
	s_mov_b32 s17, 0xff7fffff
	s_mov_b32 s26, 0
	v_mad_u32_u24 v3, v1, 20, v3
	v_mov_b32_e32 v5, 0xa58
	v_mad_u32_u24 v5, v1, 20, v5
	ds_write2_b32 v3, v4, v4 offset1:1
	ds_write2_b32 v5, v2, v2 offset1:1
                                        ; implicit-def: $vgpr2
.LBB536_7:
	s_or_saveexec_b64 s[22:23], s[12:13]
	s_load_dwordx2 s[18:19], s[0:1], 0x68
	s_load_dwordx4 s[12:15], s[0:1], 0x58
	s_load_dword s33, s[20:21], 0x4
	v_and_b32_e32 v46, 63, v0
	v_and_b32_e32 v47, 3, v0
	v_mov_b32_e32 v37, s26
	v_mov_b32_e32 v40, s17
	;; [unrolled: 1-line block ×5, first 2 shown]
                                        ; implicit-def: $vgpr3
                                        ; implicit-def: $vgpr7
                                        ; implicit-def: $vgpr11
                                        ; implicit-def: $vgpr15
                                        ; implicit-def: $vgpr19
                                        ; implicit-def: $vgpr23
                                        ; implicit-def: $vgpr27
                                        ; implicit-def: $vgpr31
	s_xor_b64 exec, exec, s[22:23]
	s_cbranch_execz .LBB536_19
; %bb.8:
	s_add_i32 s28, s3, 31
	s_ashr_i32 s29, s28, 31
	s_lshr_b32 s29, s29, 27
	v_add_u32_e32 v48, s5, v0
	s_add_i32 s28, s28, s29
	v_ashrrev_i32_e32 v3, 31, v48
	s_load_dwordx2 s[26:27], s[0:1], 0x20
	s_load_dword s17, s[0:1], 0x38
	s_ashr_i32 s28, s28, 5
	v_lshrrev_b32_e32 v3, 27, v3
	s_add_i32 s30, s28, -1
	v_add_u32_e32 v3, v48, v3
	v_ashrrev_i32_e32 v3, 5, v3
	v_mov_b32_e32 v4, s30
	v_cmp_gt_i32_e32 vcc, s3, v48
	s_waitcnt lgkmcnt(0)
	s_mul_i32 s28, s2, s17
	s_mov_b32 s29, 0
	v_cndmask_b32_e32 v4, v4, v3, vcc
	v_ashrrev_i32_e32 v3, 31, v2
	v_lshrrev_b32_e32 v3, 27, v3
	v_add_u32_e32 v2, v2, v3
	s_lshl_b64 s[28:29], s[28:29], 2
	v_ashrrev_i32_e32 v8, 5, v2
	s_add_u32 s26, s26, s28
	v_min_i32_e32 v2, s30, v8
	s_addc_u32 s27, s27, s29
	v_ashrrev_i32_e32 v3, 31, v2
	v_lshl_add_u64 v[6:7], v[2:3], 2, s[26:27]
	v_add_u32_e32 v2, 1, v8
	v_ashrrev_i32_e32 v5, 31, v4
	v_min_i32_e32 v2, s30, v2
	v_lshl_add_u64 v[4:5], v[4:5], 2, s[26:27]
	v_ashrrev_i32_e32 v3, 31, v2
	v_lshl_add_u64 v[8:9], v[2:3], 2, s[26:27]
	global_load_dword v2, v[4:5], off
	global_load_dword v14, v[6:7], off
	;; [unrolled: 1-line block ×3, first 2 shown]
	s_load_dwordx2 s[28:29], s[0:1], 0x8
	s_andn2_b64 vcc, exec, s[10:11]
	s_cbranch_vccnz .LBB536_11
; %bb.9:
	s_add_u32 s8, s8, s24
	s_addc_u32 s9, s9, s25
	s_load_dword s5, s[8:9], 0x0
	s_branch .LBB536_12
.LBB536_10:
	s_mov_b64 s[12:13], 0
	s_branch .LBB536_2
.LBB536_11:
	s_mov_b32 s5, s2
.LBB536_12:
	s_load_dwordx2 s[24:25], s[0:1], 0x10
	s_load_dwordx4 s[8:11], s[0:1], 0x48
	v_cmp_eq_u32_e32 vcc, 0, v47
	s_mov_b32 s27, 0
	v_mov_b32_e32 v45, 0
	v_mov_b32_e32 v24, 0
	;; [unrolled: 1-line block ×5, first 2 shown]
	s_and_saveexec_b64 s[30:31], vcc
	s_cbranch_execz .LBB536_14
; %bb.13:
	s_load_dwordx2 s[34:35], s[0:1], 0x0
	s_waitcnt lgkmcnt(0)
	s_ashr_i32 s11, s8, 31
	s_mul_hi_u32 s17, s5, s8
	s_mul_i32 s11, s5, s11
	s_add_i32 s37, s17, s11
	s_mul_i32 s36, s5, s8
	s_lshl_b64 s[36:37], s[36:37], 1
	s_add_u32 s5, s34, s36
	s_addc_u32 s8, s35, s37
	s_lshl_b32 s26, s4, 6
	s_lshl_b64 s[34:35], s[26:27], 1
	s_add_u32 s34, s5, s34
	s_addc_u32 s35, s8, s35
	v_lshlrev_b32_e32 v3, 2, v46
	global_load_dwordx4 v[24:27], v3, s[34:35]
.LBB536_14:
	s_or_b64 exec, exec, s[30:31]
	s_waitcnt lgkmcnt(0)
	s_mul_i32 s26, s4, s10
	s_lshl_b64 s[10:11], s[26:27], 1
	s_add_u32 s28, s10, s28
	s_waitcnt vmcnt(2)
	v_mad_i64_i32 v[2:3], s[30:31], v2, s9, 0
	s_addc_u32 s29, s11, s29
	v_and_b32_e32 v4, 31, v0
	v_lshl_add_u64 v[2:3], v[2:3], 1, s[28:29]
	v_lshlrev_b32_e32 v44, 4, v4
	v_lshl_add_u64 v[16:17], v[2:3], 0, v[44:45]
	global_load_dwordx4 v[10:13], v[16:17], off
	global_load_dwordx4 v[6:9], v[16:17], off offset:512
	global_load_dwordx4 v[2:5], v[16:17], off offset:1024
	;; [unrolled: 1-line block ×7, first 2 shown]
	v_mov_b32_e32 v44, 0
	s_and_saveexec_b64 s[28:29], vcc
	s_cbranch_execz .LBB536_16
; %bb.15:
	s_load_dwordx2 s[30:31], s[0:1], 0x40
	s_mov_b32 s5, s27
	s_lshl_b64 s[26:27], s[4:5], 2
	v_mov_b32_e32 v45, 1.0
	s_waitcnt lgkmcnt(0)
	s_add_u32 s26, s30, s26
	s_addc_u32 s27, s31, s27
	s_load_dword s5, s[26:27], 0x0
	s_waitcnt lgkmcnt(0)
	v_mov_b32_e32 v44, s5
.LBB536_16:
	s_or_b64 exec, exec, s[28:29]
	s_waitcnt vmcnt(7)
	v_mfma_f32_4x4x4_16b_bf16 a[0:3], v[24:25], v[10:11], 0 cbsz:4
	s_add_u32 s10, s24, s10
	v_mul_hi_i32 v15, v14, s9
	v_mfma_f32_4x4x4_16b_bf16 a[0:3], v[26:27], v[12:13], a[0:3] cbsz:4
	s_addc_u32 s11, s25, s11
	v_lshlrev_b32_e32 v50, 6, v46
	s_waitcnt vmcnt(6)
	v_mfma_f32_4x4x4_16b_bf16 a[0:3], v[24:25], v[6:7], a[0:3] cbsz:4 abid:1
	v_mov_b32_e32 v51, 0
	v_ashrrev_i32_e32 v15, 31, v15
	v_mfma_f32_4x4x4_16b_bf16 a[0:3], v[26:27], v[8:9], a[0:3] cbsz:4 abid:1
	v_mul_hi_i32 v23, v22, s9
	v_lshl_add_u64 v[52:53], s[10:11], 0, v[50:51]
	s_waitcnt vmcnt(5)
	v_mfma_f32_4x4x4_16b_bf16 a[0:3], v[24:25], v[2:3], a[0:3] cbsz:4 abid:2
	v_lshrrev_b32_e32 v50, 29, v15
	v_ashrrev_i32_e32 v23, 31, v23
	v_mfma_f32_4x4x4_16b_bf16 a[0:3], v[26:27], v[4:5], a[0:3] cbsz:4 abid:2
	s_load_dword s0, s[0:1], 0x1c
	v_mad_i64_i32 v[10:11], s[10:11], v14, s9, v[50:51]
	s_waitcnt vmcnt(4)
	v_mfma_f32_4x4x4_16b_bf16 a[0:3], v[24:25], v[40:41], a[0:3] cbsz:4 abid:3
	v_lshrrev_b32_e32 v50, 29, v23
	v_mad_i64_i32 v[22:23], s[8:9], v22, s9, v[50:51]
	v_mfma_f32_4x4x4_16b_bf16 a[0:3], v[26:27], v[42:43], a[0:3] cbsz:4 abid:3
	v_lshlrev_b64 v[6:7], 1, v[10:11]
	v_lshlrev_b64 v[22:23], 1, v[22:23]
	s_waitcnt vmcnt(3)
	v_mfma_f32_4x4x4_16b_bf16 a[0:3], v[24:25], v[36:37], a[0:3] cbsz:4 abid:4
	v_and_b32_e32 v6, -16, v6
	v_and_b32_e32 v22, -16, v22
	v_mfma_f32_4x4x4_16b_bf16 a[0:3], v[26:27], v[38:39], a[0:3] cbsz:4 abid:4
	v_lshl_add_u64 v[54:55], v[52:53], 0, v[6:7]
	global_load_dwordx4 v[2:5], v[54:55], off
	global_load_dwordx4 v[6:9], v[54:55], off offset:16
	s_waitcnt vmcnt(4)
	v_mfma_f32_4x4x4_16b_bf16 a[0:3], v[24:25], v[32:33], a[0:3] cbsz:4 abid:5
	global_load_dwordx4 v[10:13], v[54:55], off offset:32
	global_load_dwordx4 v[14:17], v[54:55], off offset:48
	v_mfma_f32_4x4x4_16b_bf16 a[0:3], v[26:27], v[34:35], a[0:3] cbsz:4 abid:5
	v_lshl_add_u64 v[34:35], v[52:53], 0, v[22:23]
	v_cmp_eq_u32_e32 vcc, 1, v47
	s_waitcnt vmcnt(5)
	v_mfma_f32_4x4x4_16b_bf16 a[0:3], v[24:25], v[18:19], a[0:3] cbsz:4 abid:6
	v_mov_b32_e32 v41, 0xff7fffff
	s_nop 0
	v_mfma_f32_4x4x4_16b_bf16 a[0:3], v[26:27], v[20:21], a[0:3] cbsz:4 abid:6
	s_waitcnt vmcnt(4)
	s_nop 0
	v_mfma_f32_4x4x4_16b_bf16 a[0:3], v[24:25], v[28:29], a[0:3] cbsz:4 abid:7
	global_load_dwordx4 v[18:21], v[34:35], off
	global_load_dwordx4 v[22:25], v[34:35], off offset:16
	v_mfma_f32_4x4x4_16b_bf16 a[0:3], v[26:27], v[30:31], a[0:3] cbsz:4 abid:7
	s_nop 4
	v_accvgpr_read_b32 v27, a1
	v_accvgpr_read_b32 v26, a0
	s_waitcnt lgkmcnt(0)
	v_pk_mul_f32 v[36:37], s[0:1], v[26:27] op_sel_hi:[0,1]
	global_load_dwordx4 v[26:29], v[34:35], off offset:32
	global_load_dwordx4 v[30:33], v[34:35], off offset:48
	v_accvgpr_read_b32 v35, a3
	v_accvgpr_read_b32 v34, a2
	v_pk_mul_f32 v[34:35], s[0:1], v[34:35] op_sel_hi:[0,1]
	v_mfma_f32_4x4x1_16b_f32 a[0:3], v36, v45, 0
	v_cndmask_b32_e64 v36, 0, 1.0, vcc
	v_cmp_eq_u32_e32 vcc, 2, v47
	s_nop 0
	v_mfma_f32_4x4x1_16b_f32 a[0:3], v37, v36, a[0:3]
	v_cndmask_b32_e64 v36, 0, 1.0, vcc
	v_cmp_eq_u32_e32 vcc, 3, v47
	s_nop 0
	v_mfma_f32_4x4x1_16b_f32 a[0:3], v34, v36, a[0:3]
	v_cndmask_b32_e64 v34, 0, 1.0, vcc
	s_nop 1
	v_mfma_f32_4x4x1_16b_f32 a[0:3], v35, v34, a[0:3]
	v_and_b32_e32 v34, -4, v48
	v_subrev_u32_e32 v35, s3, v34
	v_add_u32_e32 v36, 1, v35
	v_cvt_f32_i32_e32 v36, v36
	v_add_u32_e32 v37, 2, v35
	v_cvt_f32_i32_e32 v37, v37
	v_accvgpr_read_b32 v38, a0
	v_fma_f32 v36, v44, v36, v38
	v_accvgpr_read_b32 v38, a1
	v_fma_f32 v37, v44, v37, v38
	v_add_u32_e32 v38, 3, v35
	v_cvt_f32_i32_e32 v38, v38
	v_add_u32_e32 v35, 4, v35
	v_max_f32_e32 v40, 0xff7fffff, v36
	v_cmp_gt_i32_e32 vcc, s3, v34
	v_cvt_f32_i32_e32 v35, v35
	v_accvgpr_read_b32 v39, a2
	v_cndmask_b32_e32 v40, v41, v40, vcc
	v_or_b32_e32 v41, 1, v34
	v_max_f32_e32 v42, v40, v37
	v_cmp_gt_i32_e64 s[0:1], s3, v41
	v_fma_f32 v38, v44, v38, v39
	v_or_b32_e32 v34, 2, v34
	v_cndmask_b32_e64 v40, v40, v42, s[0:1]
	v_accvgpr_read_b32 v39, a3
	v_max_f32_e32 v41, v40, v38
	v_cmp_gt_i32_e64 s[8:9], s3, v34
	v_fmac_f32_e32 v39, v44, v35
	v_lshlrev_b32_e32 v35, 2, v0
	v_cndmask_b32_e64 v34, v40, v41, s[8:9]
	v_or_b32_e32 v40, 3, v48
	v_max_f32_e32 v41, v34, v39
	v_cmp_gt_i32_e64 s[10:11], s3, v40
	v_and_or_b32 v35, v35, 48, v47
	s_nop 0
	v_cndmask_b32_e64 v34, v34, v41, s[10:11]
	;;#ASMSTART
	v_nop
 v_nop
 v_max_f32_dpp v34, v34, v34 row_ror:4
	;;#ASMEND
	v_lshlrev_b32_e32 v41, 2, v35
	;;#ASMSTART
	v_nop
 v_nop
 v_max_f32_dpp v34, v34, v34 row_ror:8
	;;#ASMEND
	ds_bpermute_b32 v34, v41, v34
	s_waitcnt lgkmcnt(0)
	;;#ASMSTART
	v_nop
 v_nop
 v_max_f32_dpp v34, v34, v34 row_ror:4
	;;#ASMEND
	s_nop 0
	;;#ASMSTART
	v_nop
 v_nop
 v_max_f32_dpp v40, v34, v34 row_ror:8
	;;#ASMEND
	s_nop 0
	v_sub_f32_e32 v34, v36, v40
	v_mul_f32_e32 v34, 0x3fb8aa3b, v34
	v_sub_f32_e32 v35, v37, v40
	v_exp_f32_e32 v34, v34
	v_mul_f32_e32 v35, 0x3fb8aa3b, v35
	v_sub_f32_e32 v37, v38, v40
	v_exp_f32_e32 v35, v35
	;; [unrolled: 3-line block ×3, first 2 shown]
	v_mul_f32_e32 v38, 0x3fb8aa3b, v38
	v_exp_f32_e32 v38, v38
	v_cndmask_b32_e32 v34, 0, v34, vcc
	v_add_f32_e32 v36, 0, v34
	v_cndmask_b32_e64 v35, 0, v35, s[0:1]
	v_add_f32_e32 v39, v36, v35
	v_cndmask_b32_e64 v36, 0, v37, s[8:9]
	;; [unrolled: 2-line block ×3, first 2 shown]
	v_add_f32_e32 v38, v39, v37
	;;#ASMSTART
	v_nop
 v_nop
 v_add_f32_dpp v38, v38, v38 row_ror:4
	;;#ASMEND
	v_cmp_gt_u32_e32 vcc, 4, v46
	;;#ASMSTART
	v_nop
 v_nop
 v_add_f32_dpp v38, v38, v38 row_ror:8
	;;#ASMEND
	ds_bpermute_b32 v38, v41, v38
	s_waitcnt lgkmcnt(0)
	;;#ASMSTART
	v_nop
 v_nop
 v_add_f32_dpp v38, v38, v38 row_ror:4
	;;#ASMEND
	s_nop 0
	;;#ASMSTART
	v_nop
 v_nop
 v_add_f32_dpp v38, v38, v38 row_ror:8
	;;#ASMEND
	s_and_saveexec_b64 s[0:1], vcc
	s_cbranch_execz .LBB536_18
; %bb.17:
	v_mul_u32_u24_e32 v39, 20, v1
	v_lshl_add_u32 v39, v47, 2, v39
	v_add_u32_e32 v39, 0x800, v39
	ds_write2_b32 v39, v40, v38 offset0:128 offset1:148
.LBB536_18:
	s_or_b64 exec, exec, s[0:1]
.LBB536_19:
	s_or_b64 exec, exec, s[22:23]
	s_waitcnt lgkmcnt(0)
	s_barrier
	s_load_dword s0, s[20:21], 0x8
	v_lshlrev_b32_e32 v38, 2, v47
	v_add_u32_e32 v48, 0x800, v38
	ds_read2_b32 v[38:39], v48 offset0:128 offset1:133
	ds_read2_b32 v[42:43], v48 offset0:138 offset1:143
	s_mul_i32 s1, s33, s2
	s_waitcnt lgkmcnt(0)
	s_mul_i32 s0, s1, s0
	s_mov_b32 s1, 0xff7fffff
	v_max3_f32 v41, v38, s1, v39
	v_max3_f32 v41, v41, v42, v43
	v_sub_f32_e32 v38, v38, v41
	ds_read2_b32 v[44:45], v48 offset0:148 offset1:153
	v_mul_f32_e32 v38, 0x3fb8aa3b, v38
	v_sub_f32_e32 v39, v39, v41
	v_sub_f32_e32 v42, v42, v41
	v_exp_f32_e32 v50, v38
	v_mul_f32_e32 v39, 0x3fb8aa3b, v39
	v_mul_f32_e32 v42, 0x3fb8aa3b, v42
	v_exp_f32_e32 v39, v39
	ds_read2_b32 v[48:49], v48 offset0:158 offset1:163
	v_exp_f32_e32 v51, v42
	v_sub_f32_e32 v42, v43, v41
	v_mul_f32_e32 v42, 0x3fb8aa3b, v42
	v_exp_f32_e32 v43, v42
	s_waitcnt lgkmcnt(1)
	v_fma_f32 v42, v50, v44, 0
	v_fmac_f32_e32 v42, v39, v45
	s_waitcnt lgkmcnt(0)
	v_fmac_f32_e32 v42, v51, v48
	v_mov_b32_e32 v38, 0
	v_fmac_f32_e32 v42, v43, v49
	s_mov_b32 s1, 0
	v_cmp_eq_u32_e32 vcc, 0, v47
	s_and_saveexec_b64 s[2:3], vcc
	s_cbranch_execz .LBB536_21
; %bb.20:
	s_lshl_b64 s[8:9], s[0:1], 2
	s_add_u32 s5, s12, s8
	s_mov_b32 s17, s1
	s_addc_u32 s12, s13, s9
	s_lshl_b64 s[10:11], s[16:17], 2
	s_add_u32 s5, s5, s10
	s_addc_u32 s12, s12, s11
	s_add_u32 s8, s14, s8
	s_addc_u32 s9, s15, s9
	;; [unrolled: 2-line block ×3, first 2 shown]
	s_mul_i32 s8, s33, s4
	s_mov_b32 s9, s1
	s_lshl_b64 s[8:9], s[8:9], 2
	s_add_u32 s10, s5, s8
	s_addc_u32 s11, s12, s9
	s_add_u32 s8, s13, s8
	s_addc_u32 s9, s14, s9
	global_store_dword v38, v41, s[8:9]
	global_store_dword v38, v42, s[10:11]
.LBB536_21:
	s_or_b64 exec, exec, s[2:3]
	v_mov_b32_e32 v39, 0
	s_and_saveexec_b64 s[2:3], s[6:7]
	s_cbranch_execz .LBB536_23
; %bb.22:
	v_add_f32_e32 v38, 0x358637bd, v42
	v_div_scale_f32 v39, s[6:7], v38, v38, 1.0
	v_rcp_f32_e32 v42, v39
	v_div_scale_f32 v43, vcc, 1.0, v38, 1.0
	v_sub_f32_e32 v40, v40, v41
	v_fma_f32 v44, -v39, v42, 1.0
	v_fmac_f32_e32 v42, v44, v42
	v_mul_f32_e32 v44, v43, v42
	v_fma_f32 v45, -v39, v44, v43
	v_mul_f32_e32 v40, 0x3fb8aa3b, v40
	v_fmac_f32_e32 v44, v45, v42
	v_exp_f32_e32 v40, v40
	v_fma_f32 v39, -v39, v44, v43
	v_div_fmas_f32 v39, v39, v42, v44
	v_div_fixup_f32 v38, v39, v38, 1.0
	v_mul_f32_e32 v38, v40, v38
	v_pk_mul_f32 v[34:35], v[34:35], v[38:39] op_sel_hi:[1,0]
	v_pk_mul_f32 v[36:37], v[36:37], v[38:39] op_sel_hi:[1,0]
	v_bfe_u32 v38, v35, 16, 1
	v_bfe_u32 v39, v34, 16, 1
	s_movk_i32 s1, 0x7fff
	v_add3_u32 v34, v34, v39, s1
	v_add3_u32 v35, v35, v38, s1
	s_mov_b32 s5, 0x7060302
	v_perm_b32 v34, v35, v34, s5
	v_bfe_u32 v35, v37, 16, 1
	v_bfe_u32 v38, v36, 16, 1
	v_add3_u32 v36, v36, v38, s1
	v_add3_u32 v35, v37, v35, s1
	v_perm_b32 v35, v35, v36, s5
	s_waitcnt vmcnt(7)
	s_nop 0
	v_mfma_f32_4x4x4_16b_bf16 a[0:3], v[34:35], v[2:3], 0 cbsz:4
	s_nop 1
	v_mfma_f32_4x4x4_16b_bf16 a[0:3], v[34:35], v[4:5], a[0:3] cbsz:4 abid:1
	s_waitcnt vmcnt(6)
	s_nop 0
	v_mfma_f32_4x4x4_16b_bf16 a[0:3], v[34:35], v[6:7], a[0:3] cbsz:4 abid:2
	s_nop 1
	v_mfma_f32_4x4x4_16b_bf16 a[0:3], v[34:35], v[8:9], a[0:3] cbsz:4 abid:3
	s_waitcnt vmcnt(5)
	s_nop 0
	v_mfma_f32_4x4x4_16b_bf16 a[0:3], v[34:35], v[10:11], a[0:3] cbsz:4 abid:4
	;; [unrolled: 5-line block ×7, first 2 shown]
	s_nop 1
	v_mfma_f32_4x4x4_16b_bf16 a[0:3], v[34:35], v[32:33], a[0:3] cbsz:4 abid:15
	s_nop 4
	v_accvgpr_read_b32 v5, a1
	v_accvgpr_read_b32 v2, a2
	;; [unrolled: 1-line block ×4, first 2 shown]
	v_bfe_u32 v6, v5, 16, 1
	v_bfe_u32 v7, v4, 16, 1
	;; [unrolled: 1-line block ×3, first 2 shown]
	v_add3_u32 v5, v5, v6, s1
	v_bfe_u32 v6, v2, 16, 1
	v_add3_u32 v4, v4, v7, s1
	v_add3_u32 v2, v2, v6, s1
	;; [unrolled: 1-line block ×3, first 2 shown]
	v_perm_b32 v39, v3, v2, s5
	v_perm_b32 v38, v5, v4, s5
.LBB536_23:
	s_or_b64 exec, exec, s[2:3]
	v_lshlrev_b32_e32 v1, 3, v1
	v_mad_u32_u24 v1, v46, 40, v1
	v_cmp_gt_u32_e32 vcc, 64, v0
	ds_write_b64 v1, v[38:39]
	s_waitcnt lgkmcnt(0)
	s_barrier
	s_and_saveexec_b64 s[2:3], vcc
	s_cbranch_execz .LBB536_25
; %bb.24:
	s_waitcnt vmcnt(6)
	v_mul_u32_u24_e32 v6, 40, v46
	ds_read2_b64 v[2:5], v6 offset1:1
	ds_read2_b64 v[6:9], v6 offset0:2 offset1:3
	s_lshl_b32 s0, s0, 6
	s_mov_b32 s1, 0
	s_lshl_b64 s[2:3], s[0:1], 1
	s_waitcnt lgkmcnt(1)
	v_lshlrev_b32_e32 v2, 16, v2
	v_add_f32_e32 v2, 0, v2
	s_add_u32 s2, s18, s2
	v_and_b32_e32 v2, 0xffff0000, v2
	v_lshlrev_b32_e32 v3, 16, v4
	s_addc_u32 s3, s19, s3
	s_lshl_b32 s0, s16, 6
	v_add_f32_e32 v2, v2, v3
	s_lshl_b64 s[0:1], s[0:1], 1
	v_and_b32_e32 v2, 0xffff0000, v2
	s_waitcnt lgkmcnt(0)
	v_lshlrev_b32_e32 v3, 16, v6
	s_add_u32 s0, s2, s0
	s_mul_i32 s2, s4, s33
	v_add_f32_e32 v2, v2, v3
	s_addc_u32 s1, s3, s1
	v_lshl_or_b32 v0, s2, 6, v0
	v_mov_b32_e32 v1, 0
	v_and_b32_e32 v2, 0xffff0000, v2
	v_lshlrev_b32_e32 v3, 16, v8
	v_lshl_add_u64 v[0:1], v[0:1], 1, s[0:1]
	v_add_f32_e32 v2, v2, v3
	global_store_short_d16_hi v[0:1], v2, off
.LBB536_25:
	s_endpgm
	.section	.rodata,"a",@progbits
	.p2align	6, 0x0
	.amdhsa_kernel _Z38paged_attention_ll4mi_QKV_mfma4_kernelI14__hip_bfloat16S0_LN4vllm18Fp8KVCacheDataTypeE0ES0_Li32ELi64ELi256ELb1ELi1EEvPKT_PKT0_S8_ifPKiSA_SA_iPKfiiiPfSD_PS3_PT2_iSC_SC_
		.amdhsa_group_segment_fixed_size 2720
		.amdhsa_private_segment_fixed_size 0
		.amdhsa_kernarg_size 400
		.amdhsa_user_sgpr_count 2
		.amdhsa_user_sgpr_dispatch_ptr 0
		.amdhsa_user_sgpr_queue_ptr 0
		.amdhsa_user_sgpr_kernarg_segment_ptr 1
		.amdhsa_user_sgpr_dispatch_id 0
		.amdhsa_user_sgpr_kernarg_preload_length 0
		.amdhsa_user_sgpr_kernarg_preload_offset 0
		.amdhsa_user_sgpr_private_segment_size 0
		.amdhsa_uses_dynamic_stack 0
		.amdhsa_enable_private_segment 0
		.amdhsa_system_sgpr_workgroup_id_x 1
		.amdhsa_system_sgpr_workgroup_id_y 1
		.amdhsa_system_sgpr_workgroup_id_z 1
		.amdhsa_system_sgpr_workgroup_info 0
		.amdhsa_system_vgpr_workitem_id 0
		.amdhsa_next_free_vgpr 60
		.amdhsa_next_free_sgpr 38
		.amdhsa_accum_offset 56
		.amdhsa_reserve_vcc 1
		.amdhsa_float_round_mode_32 0
		.amdhsa_float_round_mode_16_64 0
		.amdhsa_float_denorm_mode_32 3
		.amdhsa_float_denorm_mode_16_64 3
		.amdhsa_dx10_clamp 1
		.amdhsa_ieee_mode 1
		.amdhsa_fp16_overflow 0
		.amdhsa_tg_split 0
		.amdhsa_exception_fp_ieee_invalid_op 0
		.amdhsa_exception_fp_denorm_src 0
		.amdhsa_exception_fp_ieee_div_zero 0
		.amdhsa_exception_fp_ieee_overflow 0
		.amdhsa_exception_fp_ieee_underflow 0
		.amdhsa_exception_fp_ieee_inexact 0
		.amdhsa_exception_int_div_zero 0
	.end_amdhsa_kernel
	.section	.text._Z38paged_attention_ll4mi_QKV_mfma4_kernelI14__hip_bfloat16S0_LN4vllm18Fp8KVCacheDataTypeE0ES0_Li32ELi64ELi256ELb1ELi1EEvPKT_PKT0_S8_ifPKiSA_SA_iPKfiiiPfSD_PS3_PT2_iSC_SC_,"axG",@progbits,_Z38paged_attention_ll4mi_QKV_mfma4_kernelI14__hip_bfloat16S0_LN4vllm18Fp8KVCacheDataTypeE0ES0_Li32ELi64ELi256ELb1ELi1EEvPKT_PKT0_S8_ifPKiSA_SA_iPKfiiiPfSD_PS3_PT2_iSC_SC_,comdat
.Lfunc_end536:
	.size	_Z38paged_attention_ll4mi_QKV_mfma4_kernelI14__hip_bfloat16S0_LN4vllm18Fp8KVCacheDataTypeE0ES0_Li32ELi64ELi256ELb1ELi1EEvPKT_PKT0_S8_ifPKiSA_SA_iPKfiiiPfSD_PS3_PT2_iSC_SC_, .Lfunc_end536-_Z38paged_attention_ll4mi_QKV_mfma4_kernelI14__hip_bfloat16S0_LN4vllm18Fp8KVCacheDataTypeE0ES0_Li32ELi64ELi256ELb1ELi1EEvPKT_PKT0_S8_ifPKiSA_SA_iPKfiiiPfSD_PS3_PT2_iSC_SC_
                                        ; -- End function
	.section	.AMDGPU.csdata,"",@progbits
; Kernel info:
; codeLenInByte = 3120
; NumSgprs: 44
; NumVgprs: 56
; NumAgprs: 4
; TotalNumVgprs: 60
; ScratchSize: 0
; MemoryBound: 0
; FloatMode: 240
; IeeeMode: 1
; LDSByteSize: 2720 bytes/workgroup (compile time only)
; SGPRBlocks: 5
; VGPRBlocks: 7
; NumSGPRsForWavesPerEU: 44
; NumVGPRsForWavesPerEU: 60
; AccumOffset: 56
; Occupancy: 8
; WaveLimiterHint : 1
; COMPUTE_PGM_RSRC2:SCRATCH_EN: 0
; COMPUTE_PGM_RSRC2:USER_SGPR: 2
; COMPUTE_PGM_RSRC2:TRAP_HANDLER: 0
; COMPUTE_PGM_RSRC2:TGID_X_EN: 1
; COMPUTE_PGM_RSRC2:TGID_Y_EN: 1
; COMPUTE_PGM_RSRC2:TGID_Z_EN: 1
; COMPUTE_PGM_RSRC2:TIDIG_COMP_CNT: 0
; COMPUTE_PGM_RSRC3_GFX90A:ACCUM_OFFSET: 13
; COMPUTE_PGM_RSRC3_GFX90A:TG_SPLIT: 0
	.section	.text._Z38paged_attention_ll4mi_QKV_mfma4_kernelI14__hip_bfloat16S0_LN4vllm18Fp8KVCacheDataTypeE0ES0_Li32ELi64ELi256ELb1ELi2EEvPKT_PKT0_S8_ifPKiSA_SA_iPKfiiiPfSD_PS3_PT2_iSC_SC_,"axG",@progbits,_Z38paged_attention_ll4mi_QKV_mfma4_kernelI14__hip_bfloat16S0_LN4vllm18Fp8KVCacheDataTypeE0ES0_Li32ELi64ELi256ELb1ELi2EEvPKT_PKT0_S8_ifPKiSA_SA_iPKfiiiPfSD_PS3_PT2_iSC_SC_,comdat
	.protected	_Z38paged_attention_ll4mi_QKV_mfma4_kernelI14__hip_bfloat16S0_LN4vllm18Fp8KVCacheDataTypeE0ES0_Li32ELi64ELi256ELb1ELi2EEvPKT_PKT0_S8_ifPKiSA_SA_iPKfiiiPfSD_PS3_PT2_iSC_SC_ ; -- Begin function _Z38paged_attention_ll4mi_QKV_mfma4_kernelI14__hip_bfloat16S0_LN4vllm18Fp8KVCacheDataTypeE0ES0_Li32ELi64ELi256ELb1ELi2EEvPKT_PKT0_S8_ifPKiSA_SA_iPKfiiiPfSD_PS3_PT2_iSC_SC_
	.globl	_Z38paged_attention_ll4mi_QKV_mfma4_kernelI14__hip_bfloat16S0_LN4vllm18Fp8KVCacheDataTypeE0ES0_Li32ELi64ELi256ELb1ELi2EEvPKT_PKT0_S8_ifPKiSA_SA_iPKfiiiPfSD_PS3_PT2_iSC_SC_
	.p2align	8
	.type	_Z38paged_attention_ll4mi_QKV_mfma4_kernelI14__hip_bfloat16S0_LN4vllm18Fp8KVCacheDataTypeE0ES0_Li32ELi64ELi256ELb1ELi2EEvPKT_PKT0_S8_ifPKiSA_SA_iPKfiiiPfSD_PS3_PT2_iSC_SC_,@function
_Z38paged_attention_ll4mi_QKV_mfma4_kernelI14__hip_bfloat16S0_LN4vllm18Fp8KVCacheDataTypeE0ES0_Li32ELi64ELi256ELb1ELi2EEvPKT_PKT0_S8_ifPKiSA_SA_iPKfiiiPfSD_PS3_PT2_iSC_SC_: ; @_Z38paged_attention_ll4mi_QKV_mfma4_kernelI14__hip_bfloat16S0_LN4vllm18Fp8KVCacheDataTypeE0ES0_Li32ELi64ELi256ELb1ELi2EEvPKT_PKT0_S8_ifPKiSA_SA_iPKfiiiPfSD_PS3_PT2_iSC_SC_
; %bb.0:
	s_load_dwordx2 s[8:9], s[0:1], 0x30
	s_mov_b32 s16, s3
	s_mov_b64 s[6:7], 0
	s_waitcnt lgkmcnt(0)
	s_cmp_lg_u64 s[8:9], 0
	s_cselect_b64 s[10:11], -1, 0
	s_and_b64 vcc, exec, s[10:11]
	s_cbranch_vccz .LBB537_10
; %bb.1:
	s_add_i32 s12, s2, 1
	s_mov_b32 s13, 0
	s_lshl_b64 s[14:15], s[12:13], 2
	s_add_u32 s14, s8, s14
	s_mov_b32 s3, s13
	s_addc_u32 s15, s9, s15
	s_lshl_b64 s[12:13], s[2:3], 2
	s_add_u32 s12, s8, s12
	s_addc_u32 s13, s9, s13
	s_load_dword s5, s[14:15], 0x0
	s_load_dword s17, s[12:13], 0x0
	s_waitcnt lgkmcnt(0)
	s_sub_i32 s5, s5, s17
	s_cmp_eq_u32 s5, 1
	s_cselect_b64 s[12:13], -1, 0
	s_andn2_b64 vcc, exec, s[6:7]
	s_cbranch_vccnz .LBB537_3
.LBB537_2:
	s_mov_b32 s3, 0
	s_mov_b64 s[12:13], -1
.LBB537_3:
	s_andn2_b64 vcc, exec, s[12:13]
	s_cbranch_vccnz .LBB537_25
; %bb.4:
	s_load_dword s5, s[0:1], 0x9c
	s_load_dwordx2 s[6:7], s[0:1], 0x28
	s_add_u32 s20, s0, 0x90
	s_addc_u32 s21, s1, 0
	s_lshl_b64 s[24:25], s[2:3], 2
	s_waitcnt lgkmcnt(0)
	s_and_b32 s5, s5, 0xffff
	s_add_u32 s6, s6, s24
	s_addc_u32 s7, s7, s25
	s_load_dword s3, s[6:7], 0x0
	s_mul_i32 s5, s16, s5
	s_waitcnt lgkmcnt(0)
	s_cmp_ge_i32 s5, s3
	s_cbranch_scc1 .LBB537_25
; %bb.5:
	v_and_b32_e32 v2, 0xc0, v0
	v_add_u32_e32 v2, s5, v2
	v_lshrrev_b32_e32 v1, 6, v0
	v_cmp_gt_i32_e64 s[6:7], s3, v2
	v_cmp_le_i32_e32 vcc, s3, v2
                                        ; implicit-def: $sgpr26
                                        ; implicit-def: $sgpr17
	s_and_saveexec_b64 s[12:13], vcc
	s_xor_b64 s[12:13], exec, s[12:13]
	s_cbranch_execz .LBB537_7
; %bb.6:
	v_mul_u32_u24_e32 v2, 20, v1
	v_or_b32_e32 v2, 0xa00, v2
	v_mov_b32_e32 v3, 0xa50
	v_mov_b32_e32 v4, 0xff7fffff
	v_mad_u32_u24 v3, v1, 20, v3
	ds_write2_b32 v2, v4, v4 offset1:1
	v_mov_b32_e32 v2, 0
	ds_write2_b32 v3, v2, v2 offset1:1
	v_mov_b32_e32 v3, 0xa08
	s_mov_b32 s17, 0xff7fffff
	s_mov_b32 s26, 0
	v_mad_u32_u24 v3, v1, 20, v3
	v_mov_b32_e32 v5, 0xa58
	v_mad_u32_u24 v5, v1, 20, v5
	ds_write2_b32 v3, v4, v4 offset1:1
	ds_write2_b32 v5, v2, v2 offset1:1
                                        ; implicit-def: $vgpr2
.LBB537_7:
	s_or_saveexec_b64 s[22:23], s[12:13]
	s_load_dwordx2 s[18:19], s[0:1], 0x68
	s_load_dwordx4 s[12:15], s[0:1], 0x58
	s_load_dword s34, s[20:21], 0x4
	v_and_b32_e32 v44, 63, v0
	v_and_b32_e32 v45, 3, v0
	s_lshl_b32 s33, s4, 1
	v_mov_b32_e32 v37, s26
	v_mov_b32_e32 v40, s17
	;; [unrolled: 1-line block ×5, first 2 shown]
                                        ; implicit-def: $vgpr3
                                        ; implicit-def: $vgpr7
                                        ; implicit-def: $vgpr11
                                        ; implicit-def: $vgpr15
                                        ; implicit-def: $vgpr19
                                        ; implicit-def: $vgpr23
                                        ; implicit-def: $vgpr27
                                        ; implicit-def: $vgpr31
	s_xor_b64 exec, exec, s[22:23]
	s_cbranch_execz .LBB537_19
; %bb.8:
	s_add_i32 s28, s3, 31
	s_ashr_i32 s29, s28, 31
	s_lshr_b32 s29, s29, 27
	v_add_u32_e32 v46, s5, v0
	s_add_i32 s28, s28, s29
	v_ashrrev_i32_e32 v3, 31, v46
	s_load_dwordx2 s[26:27], s[0:1], 0x20
	s_load_dword s17, s[0:1], 0x38
	s_ashr_i32 s28, s28, 5
	v_lshrrev_b32_e32 v3, 27, v3
	s_add_i32 s30, s28, -1
	v_add_u32_e32 v3, v46, v3
	v_ashrrev_i32_e32 v3, 5, v3
	v_mov_b32_e32 v4, s30
	v_cmp_gt_i32_e32 vcc, s3, v46
	s_waitcnt lgkmcnt(0)
	s_mul_i32 s28, s2, s17
	s_mov_b32 s29, 0
	v_cndmask_b32_e32 v4, v4, v3, vcc
	v_ashrrev_i32_e32 v3, 31, v2
	v_lshrrev_b32_e32 v3, 27, v3
	v_add_u32_e32 v2, v2, v3
	s_lshl_b64 s[28:29], s[28:29], 2
	v_ashrrev_i32_e32 v8, 5, v2
	s_add_u32 s26, s26, s28
	v_min_i32_e32 v2, s30, v8
	s_addc_u32 s27, s27, s29
	v_ashrrev_i32_e32 v3, 31, v2
	v_lshl_add_u64 v[6:7], v[2:3], 2, s[26:27]
	v_add_u32_e32 v2, 1, v8
	v_ashrrev_i32_e32 v5, 31, v4
	v_min_i32_e32 v2, s30, v2
	v_lshl_add_u64 v[4:5], v[4:5], 2, s[26:27]
	v_ashrrev_i32_e32 v3, 31, v2
	v_lshl_add_u64 v[8:9], v[2:3], 2, s[26:27]
	global_load_dword v2, v[4:5], off
	global_load_dword v16, v[6:7], off
	;; [unrolled: 1-line block ×3, first 2 shown]
	s_load_dwordx2 s[26:27], s[0:1], 0x8
	s_andn2_b64 vcc, exec, s[10:11]
	s_cbranch_vccnz .LBB537_11
; %bb.9:
	s_add_u32 s8, s8, s24
	s_addc_u32 s9, s9, s25
	s_load_dword s5, s[8:9], 0x0
	s_branch .LBB537_12
.LBB537_10:
	s_mov_b64 s[12:13], 0
	s_branch .LBB537_2
.LBB537_11:
	s_mov_b32 s5, s2
.LBB537_12:
	s_load_dwordx2 s[24:25], s[0:1], 0x10
	s_load_dwordx4 s[8:11], s[0:1], 0x48
	v_cmp_gt_u32_e32 vcc, 2, v45
	s_mov_b32 s29, 0
	v_mov_b32_e32 v7, 0
	v_mov_b32_e32 v32, 0
	;; [unrolled: 1-line block ×5, first 2 shown]
	s_and_saveexec_b64 s[30:31], vcc
	s_cbranch_execz .LBB537_14
; %bb.13:
	s_load_dwordx2 s[36:37], s[0:1], 0x0
	s_waitcnt lgkmcnt(0)
	s_ashr_i32 s11, s8, 31
	s_mul_hi_u32 s17, s5, s8
	s_mul_i32 s11, s5, s11
	s_add_i32 s39, s17, s11
	s_mul_i32 s38, s5, s8
	s_lshl_b64 s[38:39], s[38:39], 1
	s_add_u32 s5, s36, s38
	s_addc_u32 s8, s37, s39
	s_lshl_b32 s28, s4, 7
	s_lshl_b64 s[36:37], s[28:29], 1
	s_add_u32 s36, s5, s36
	v_lshlrev_b32_e32 v3, 3, v45
	v_lshrrev_b32_e32 v4, 2, v44
	s_addc_u32 s37, s8, s37
	v_add_lshl_u32 v3, v3, v4, 4
	global_load_dwordx4 v[32:35], v3, s[36:37]
.LBB537_14:
	s_or_b64 exec, exec, s[30:31]
	s_waitcnt lgkmcnt(0)
	s_mul_i32 s28, s4, s10
	s_lshl_b64 s[4:5], s[28:29], 1
	s_add_u32 s10, s4, s26
	s_waitcnt vmcnt(2)
	v_mad_i64_i32 v[2:3], s[30:31], v2, s9, 0
	s_addc_u32 s11, s5, s27
	v_and_b32_e32 v4, 31, v0
	v_lshl_add_u64 v[2:3], v[2:3], 1, s[10:11]
	v_lshlrev_b32_e32 v6, 4, v4
	v_lshl_add_u64 v[48:49], v[2:3], 0, v[6:7]
	global_load_dwordx4 v[12:15], v[48:49], off
	global_load_dwordx4 v[2:5], v[48:49], off offset:512
	global_load_dwordx4 v[8:11], v[48:49], off offset:1024
	;; [unrolled: 1-line block ×7, first 2 shown]
	v_mov_b32_e32 v47, 0
	s_and_saveexec_b64 s[10:11], vcc
	s_cbranch_execz .LBB537_16
; %bb.15:
	s_load_dwordx2 s[26:27], s[0:1], 0x40
	v_or_b32_e32 v48, s33, v45
	v_mov_b32_e32 v49, 0
	s_waitcnt lgkmcnt(0)
	v_lshl_add_u64 v[48:49], v[48:49], 2, s[26:27]
	global_load_dword v47, v[48:49], off
.LBB537_16:
	s_or_b64 exec, exec, s[10:11]
	s_waitcnt vmcnt(7)
	v_mfma_f32_4x4x4_16b_bf16 a[0:3], v[32:33], v[12:13], 0 cbsz:4
	s_add_u32 s4, s24, s4
	s_addc_u32 s5, s25, s5
	v_mfma_f32_4x4x4_16b_bf16 a[0:3], v[34:35], v[14:15], a[0:3] cbsz:4
	v_lshlrev_b32_e32 v6, 6, v44
	v_lshl_add_u64 v[48:49], s[4:5], 0, v[6:7]
	s_waitcnt vmcnt(6)
	v_mfma_f32_4x4x4_16b_bf16 a[0:3], v[32:33], v[2:3], a[0:3] cbsz:4 abid:1
	v_mul_hi_i32 v6, v16, s9
	v_ashrrev_i32_e32 v6, 31, v6
	v_mfma_f32_4x4x4_16b_bf16 a[0:3], v[34:35], v[4:5], a[0:3] cbsz:4 abid:1
	v_mul_hi_i32 v31, v30, s9
	v_lshrrev_b32_e32 v50, 29, v6
	s_waitcnt vmcnt(5)
	v_mfma_f32_4x4x4_16b_bf16 a[0:3], v[32:33], v[8:9], a[0:3] cbsz:4 abid:2
	v_mov_b32_e32 v51, 0
	v_ashrrev_i32_e32 v31, 31, v31
	v_mfma_f32_4x4x4_16b_bf16 a[0:3], v[34:35], v[10:11], a[0:3] cbsz:4 abid:2
	v_mad_i64_i32 v[6:7], s[4:5], v16, s9, v[50:51]
	s_waitcnt vmcnt(4)
	v_mfma_f32_4x4x4_16b_bf16 a[0:3], v[32:33], v[40:41], a[0:3] cbsz:4 abid:3
	v_lshrrev_b32_e32 v50, 29, v31
	v_lshlrev_b64 v[6:7], 1, v[6:7]
	v_mfma_f32_4x4x4_16b_bf16 a[0:3], v[34:35], v[42:43], a[0:3] cbsz:4 abid:3
	v_and_b32_e32 v6, -16, v6
	v_lshl_add_u64 v[52:53], v[48:49], 0, v[6:7]
	s_waitcnt vmcnt(3)
	v_mfma_f32_4x4x4_16b_bf16 a[0:3], v[32:33], v[26:27], a[0:3] cbsz:4 abid:4
	v_mad_i64_i32 v[26:27], s[4:5], v30, s9, v[50:51]
	s_nop 0
	v_mfma_f32_4x4x4_16b_bf16 a[0:3], v[34:35], v[28:29], a[0:3] cbsz:4 abid:4
	global_load_dwordx4 v[2:5], v[52:53], off
	global_load_dwordx4 v[6:9], v[52:53], off offset:16
	s_waitcnt vmcnt(4)
	v_mfma_f32_4x4x4_16b_bf16 a[0:3], v[32:33], v[22:23], a[0:3] cbsz:4 abid:5
	v_lshlrev_b64 v[22:23], 1, v[26:27]
	v_and_b32_e32 v22, -16, v22
	v_mfma_f32_4x4x4_16b_bf16 a[0:3], v[34:35], v[24:25], a[0:3] cbsz:4 abid:5
	v_lshl_add_u64 v[40:41], v[48:49], 0, v[22:23]
	global_load_dwordx4 v[10:13], v[52:53], off offset:32
	global_load_dwordx4 v[14:17], v[52:53], off offset:48
	s_waitcnt vmcnt(5)
	v_mfma_f32_4x4x4_16b_bf16 a[0:3], v[32:33], v[18:19], a[0:3] cbsz:4 abid:6
	s_load_dword s0, s[0:1], 0x1c
	v_cmp_eq_u32_e32 vcc, 0, v45
	v_mfma_f32_4x4x4_16b_bf16 a[0:3], v[34:35], v[20:21], a[0:3] cbsz:4 abid:6
	global_load_dwordx4 v[18:21], v[40:41], off
	global_load_dwordx4 v[22:25], v[40:41], off offset:16
	s_waitcnt vmcnt(6)
	v_mfma_f32_4x4x4_16b_bf16 a[0:3], v[32:33], v[36:37], a[0:3] cbsz:4 abid:7
	global_load_dwordx4 v[26:29], v[40:41], off offset:32
	global_load_dwordx4 v[30:33], v[40:41], off offset:48
	v_mfma_f32_4x4x4_16b_bf16 a[0:3], v[34:35], v[38:39], a[0:3] cbsz:4 abid:7
	v_cndmask_b32_e64 v38, 0, 1.0, vcc
	v_cmp_eq_u32_e32 vcc, 1, v45
	v_mov_b32_e32 v41, 0xff7fffff
	s_nop 1
	v_accvgpr_read_b32 v37, a1
	v_accvgpr_read_b32 v36, a0
	s_waitcnt lgkmcnt(0)
	v_pk_mul_f32 v[36:37], s[0:1], v[36:37] op_sel_hi:[0,1]
	v_accvgpr_read_b32 v35, a3
	v_accvgpr_read_b32 v34, a2
	v_pk_mul_f32 v[34:35], s[0:1], v[34:35] op_sel_hi:[0,1]
	v_mfma_f32_4x4x1_16b_f32 a[0:3], v36, v38, 0
	v_cndmask_b32_e64 v36, 0, 1.0, vcc
	v_cmp_eq_u32_e32 vcc, 2, v45
	s_nop 0
	v_mfma_f32_4x4x1_16b_f32 a[0:3], v37, v36, a[0:3]
	v_cndmask_b32_e64 v36, 0, 1.0, vcc
	v_cmp_eq_u32_e32 vcc, 3, v45
	s_nop 0
	v_mfma_f32_4x4x1_16b_f32 a[0:3], v34, v36, a[0:3]
	v_cndmask_b32_e64 v34, 0, 1.0, vcc
	s_nop 1
	v_mfma_f32_4x4x1_16b_f32 a[0:3], v35, v34, a[0:3]
	v_and_b32_e32 v34, -4, v46
	v_subrev_u32_e32 v35, s3, v34
	v_add_u32_e32 v36, 1, v35
	v_cvt_f32_i32_e32 v36, v36
	v_add_u32_e32 v37, 2, v35
	v_cvt_f32_i32_e32 v37, v37
	v_accvgpr_read_b32 v38, a0
	v_fma_f32 v36, v47, v36, v38
	v_accvgpr_read_b32 v38, a1
	v_fma_f32 v37, v47, v37, v38
	v_add_u32_e32 v38, 3, v35
	v_cvt_f32_i32_e32 v38, v38
	v_add_u32_e32 v35, 4, v35
	v_max_f32_e32 v40, 0xff7fffff, v36
	v_cmp_gt_i32_e32 vcc, s3, v34
	v_cvt_f32_i32_e32 v35, v35
	v_accvgpr_read_b32 v39, a2
	v_cndmask_b32_e32 v40, v41, v40, vcc
	v_or_b32_e32 v41, 1, v34
	v_max_f32_e32 v42, v40, v37
	v_cmp_gt_i32_e64 s[0:1], s3, v41
	v_fma_f32 v38, v47, v38, v39
	v_or_b32_e32 v34, 2, v34
	v_cndmask_b32_e64 v40, v40, v42, s[0:1]
	v_accvgpr_read_b32 v39, a3
	v_max_f32_e32 v41, v40, v38
	v_cmp_gt_i32_e64 s[4:5], s3, v34
	v_fmac_f32_e32 v39, v47, v35
	v_lshlrev_b32_e32 v35, 2, v0
	v_cndmask_b32_e64 v34, v40, v41, s[4:5]
	v_or_b32_e32 v40, 3, v46
	v_max_f32_e32 v41, v34, v39
	v_cmp_gt_i32_e64 s[8:9], s3, v40
	v_and_or_b32 v35, v35, 48, v45
	s_nop 0
	v_cndmask_b32_e64 v34, v34, v41, s[8:9]
	;;#ASMSTART
	v_nop
 v_nop
 v_max_f32_dpp v34, v34, v34 row_ror:4
	;;#ASMEND
	v_lshlrev_b32_e32 v41, 2, v35
	;;#ASMSTART
	v_nop
 v_nop
 v_max_f32_dpp v34, v34, v34 row_ror:8
	;;#ASMEND
	ds_bpermute_b32 v34, v41, v34
	s_waitcnt lgkmcnt(0)
	;;#ASMSTART
	v_nop
 v_nop
 v_max_f32_dpp v34, v34, v34 row_ror:4
	;;#ASMEND
	s_nop 0
	;;#ASMSTART
	v_nop
 v_nop
 v_max_f32_dpp v40, v34, v34 row_ror:8
	;;#ASMEND
	s_nop 0
	v_sub_f32_e32 v34, v36, v40
	v_mul_f32_e32 v34, 0x3fb8aa3b, v34
	v_sub_f32_e32 v35, v37, v40
	v_exp_f32_e32 v34, v34
	v_mul_f32_e32 v35, 0x3fb8aa3b, v35
	v_sub_f32_e32 v37, v38, v40
	v_exp_f32_e32 v35, v35
	;; [unrolled: 3-line block ×3, first 2 shown]
	v_mul_f32_e32 v38, 0x3fb8aa3b, v38
	v_exp_f32_e32 v38, v38
	v_cndmask_b32_e32 v34, 0, v34, vcc
	v_add_f32_e32 v36, 0, v34
	v_cndmask_b32_e64 v35, 0, v35, s[0:1]
	v_add_f32_e32 v39, v36, v35
	v_cndmask_b32_e64 v36, 0, v37, s[4:5]
	;; [unrolled: 2-line block ×3, first 2 shown]
	v_add_f32_e32 v38, v39, v37
	;;#ASMSTART
	v_nop
 v_nop
 v_add_f32_dpp v38, v38, v38 row_ror:4
	;;#ASMEND
	v_cmp_gt_u32_e32 vcc, 4, v44
	;;#ASMSTART
	v_nop
 v_nop
 v_add_f32_dpp v38, v38, v38 row_ror:8
	;;#ASMEND
	ds_bpermute_b32 v38, v41, v38
	s_waitcnt lgkmcnt(0)
	;;#ASMSTART
	v_nop
 v_nop
 v_add_f32_dpp v38, v38, v38 row_ror:4
	;;#ASMEND
	s_nop 0
	;;#ASMSTART
	v_nop
 v_nop
 v_add_f32_dpp v38, v38, v38 row_ror:8
	;;#ASMEND
	s_and_saveexec_b64 s[0:1], vcc
	s_cbranch_execz .LBB537_18
; %bb.17:
	v_mul_u32_u24_e32 v39, 20, v1
	v_lshl_add_u32 v39, v45, 2, v39
	v_add_u32_e32 v39, 0x800, v39
	ds_write2_b32 v39, v40, v38 offset0:128 offset1:148
.LBB537_18:
	s_or_b64 exec, exec, s[0:1]
.LBB537_19:
	s_or_b64 exec, exec, s[22:23]
	s_waitcnt lgkmcnt(0)
	s_barrier
	s_load_dword s0, s[20:21], 0x8
	v_lshlrev_b32_e32 v38, 2, v45
	v_add_u32_e32 v48, 0x800, v38
	ds_read2_b32 v[38:39], v48 offset0:128 offset1:133
	ds_read2_b32 v[42:43], v48 offset0:138 offset1:143
	s_mul_i32 s1, s2, s34
	s_waitcnt lgkmcnt(0)
	s_mul_i32 s1, s1, s0
	s_lshl_b32 s0, s1, 1
	s_mov_b32 s1, 0xff7fffff
	v_max3_f32 v41, v38, s1, v39
	v_max3_f32 v41, v41, v42, v43
	v_sub_f32_e32 v38, v38, v41
	v_mul_f32_e32 v38, 0x3fb8aa3b, v38
	ds_read2_b32 v[46:47], v48 offset0:148 offset1:153
	v_exp_f32_e32 v49, v38
	v_sub_f32_e32 v38, v39, v41
	v_sub_f32_e32 v42, v42, v41
	v_mul_f32_e32 v38, 0x3fb8aa3b, v38
	v_mul_f32_e32 v42, 0x3fb8aa3b, v42
	v_exp_f32_e32 v50, v38
	ds_read2_b32 v[38:39], v48 offset0:158 offset1:163
	v_exp_f32_e32 v48, v42
	v_sub_f32_e32 v42, v43, v41
	v_mul_f32_e32 v42, 0x3fb8aa3b, v42
	v_exp_f32_e32 v43, v42
	s_waitcnt lgkmcnt(1)
	v_fma_f32 v42, v49, v46, 0
	v_fmac_f32_e32 v42, v50, v47
	s_waitcnt lgkmcnt(0)
	v_fmac_f32_e32 v42, v48, v38
	v_fmac_f32_e32 v42, v43, v39
	v_cmp_gt_u32_e32 vcc, 2, v45
	s_and_saveexec_b64 s[2:3], vcc
	s_cbranch_execz .LBB537_21
; %bb.20:
	s_mov_b32 s1, 0
	s_lshl_b64 s[4:5], s[0:1], 2
	s_add_u32 s10, s12, s4
	s_mov_b32 s17, s1
	s_addc_u32 s11, s13, s5
	s_lshl_b64 s[8:9], s[16:17], 2
	s_add_u32 s10, s10, s8
	s_addc_u32 s11, s11, s9
	s_add_u32 s1, s14, s4
	s_addc_u32 s5, s15, s5
	v_or_b32_e32 v38, s33, v45
	s_add_u32 s4, s1, s8
	v_mul_lo_u32 v38, s34, v38
	v_mov_b32_e32 v39, 0
	s_addc_u32 s5, s5, s9
	v_lshlrev_b64 v[38:39], 2, v[38:39]
	v_lshl_add_u64 v[46:47], s[10:11], 0, v[38:39]
	v_lshl_add_u64 v[38:39], s[4:5], 0, v[38:39]
	global_store_dword v[38:39], v41, off
	global_store_dword v[46:47], v42, off
.LBB537_21:
	s_or_b64 exec, exec, s[2:3]
	v_mov_b32_e32 v38, 0
	v_mov_b32_e32 v39, 0
	s_and_saveexec_b64 s[2:3], s[6:7]
	s_cbranch_execz .LBB537_23
; %bb.22:
	v_add_f32_e32 v38, 0x358637bd, v42
	v_div_scale_f32 v39, s[4:5], v38, v38, 1.0
	v_rcp_f32_e32 v42, v39
	v_div_scale_f32 v43, vcc, 1.0, v38, 1.0
	v_sub_f32_e32 v40, v40, v41
	v_fma_f32 v45, -v39, v42, 1.0
	v_fmac_f32_e32 v42, v45, v42
	v_mul_f32_e32 v45, v43, v42
	v_fma_f32 v46, -v39, v45, v43
	v_mul_f32_e32 v40, 0x3fb8aa3b, v40
	v_fmac_f32_e32 v45, v46, v42
	v_exp_f32_e32 v40, v40
	v_fma_f32 v39, -v39, v45, v43
	v_div_fmas_f32 v39, v39, v42, v45
	v_div_fixup_f32 v38, v39, v38, 1.0
	v_mul_f32_e32 v38, v40, v38
	v_pk_mul_f32 v[34:35], v[34:35], v[38:39] op_sel_hi:[1,0]
	v_pk_mul_f32 v[36:37], v[36:37], v[38:39] op_sel_hi:[1,0]
	v_bfe_u32 v38, v35, 16, 1
	v_bfe_u32 v39, v34, 16, 1
	s_movk_i32 s1, 0x7fff
	v_add3_u32 v34, v34, v39, s1
	v_add3_u32 v35, v35, v38, s1
	s_mov_b32 s4, 0x7060302
	v_perm_b32 v34, v35, v34, s4
	v_bfe_u32 v35, v37, 16, 1
	v_bfe_u32 v38, v36, 16, 1
	v_add3_u32 v36, v36, v38, s1
	v_add3_u32 v35, v37, v35, s1
	v_perm_b32 v35, v35, v36, s4
	s_waitcnt vmcnt(7)
	s_nop 0
	v_mfma_f32_4x4x4_16b_bf16 a[0:3], v[34:35], v[2:3], 0 cbsz:4
	s_nop 1
	v_mfma_f32_4x4x4_16b_bf16 a[0:3], v[34:35], v[4:5], a[0:3] cbsz:4 abid:1
	s_waitcnt vmcnt(6)
	s_nop 0
	v_mfma_f32_4x4x4_16b_bf16 a[0:3], v[34:35], v[6:7], a[0:3] cbsz:4 abid:2
	s_nop 1
	v_mfma_f32_4x4x4_16b_bf16 a[0:3], v[34:35], v[8:9], a[0:3] cbsz:4 abid:3
	s_waitcnt vmcnt(5)
	s_nop 0
	v_mfma_f32_4x4x4_16b_bf16 a[0:3], v[34:35], v[10:11], a[0:3] cbsz:4 abid:4
	;; [unrolled: 5-line block ×7, first 2 shown]
	s_nop 1
	v_mfma_f32_4x4x4_16b_bf16 a[0:3], v[34:35], v[32:33], a[0:3] cbsz:4 abid:15
	s_nop 4
	v_accvgpr_read_b32 v5, a1
	v_accvgpr_read_b32 v2, a2
	v_accvgpr_read_b32 v3, a3
	v_accvgpr_read_b32 v4, a0
	v_bfe_u32 v6, v5, 16, 1
	v_bfe_u32 v7, v4, 16, 1
	;; [unrolled: 1-line block ×3, first 2 shown]
	v_add3_u32 v5, v5, v6, s1
	v_bfe_u32 v6, v2, 16, 1
	v_add3_u32 v4, v4, v7, s1
	v_add3_u32 v2, v2, v6, s1
	;; [unrolled: 1-line block ×3, first 2 shown]
	v_perm_b32 v39, v3, v2, s4
	v_perm_b32 v38, v5, v4, s4
.LBB537_23:
	s_or_b64 exec, exec, s[2:3]
	v_lshlrev_b32_e32 v1, 3, v1
	v_mad_u32_u24 v1, v44, 40, v1
	v_cmp_gt_u32_e32 vcc, 64, v0
	ds_write_b64 v1, v[38:39]
	s_waitcnt lgkmcnt(0)
	s_barrier
	s_and_saveexec_b64 s[2:3], vcc
	s_cbranch_execz .LBB537_25
; %bb.24:
	v_mul_u32_u24_e32 v1, 40, v44
	s_waitcnt vmcnt(7)
	ds_read2_b64 v[2:5], v1 offset1:1
	s_waitcnt vmcnt(6)
	ds_read2_b64 v[6:9], v1 offset0:2 offset1:3
	s_mov_b32 s1, 0
	s_lshl_b32 s0, s0, 6
	s_lshl_b64 s[2:3], s[0:1], 1
	s_waitcnt lgkmcnt(1)
	v_and_b32_e32 v1, 0xffff0000, v2
	v_add_f32_e32 v1, 0, v1
	v_and_b32_e32 v3, 0xffff0000, v4
	v_and_b32_e32 v1, 0xffff0000, v1
	v_add_f32_e32 v1, v1, v3
	s_waitcnt lgkmcnt(0)
	v_and_b32_e32 v5, 0xffff0000, v6
	v_and_b32_e32 v1, 0xffff0000, v1
	v_add_f32_e32 v1, v1, v5
	v_and_b32_e32 v1, 0xffff0000, v1
	v_and_b32_e32 v3, 0xffff0000, v8
	v_add_f32_e32 v7, v1, v3
	v_lshlrev_b32_e32 v1, 16, v2
	s_add_u32 s2, s18, s2
	v_add_f32_e32 v1, 0, v1
	s_addc_u32 s3, s19, s3
	s_lshl_b32 s0, s16, 6
	v_and_b32_e32 v1, 0xffff0000, v1
	v_lshlrev_b32_e32 v2, 16, v4
	s_lshl_b64 s[0:1], s[0:1], 1
	v_add_f32_e32 v1, v1, v2
	s_add_u32 s0, s2, s0
	v_and_b32_e32 v1, 0xffff0000, v1
	v_lshlrev_b32_e32 v2, 16, v6
	s_addc_u32 s1, s3, s1
	s_lshl_b32 s2, s34, 6
	v_add_f32_e32 v1, v1, v2
	v_and_b32_e32 v1, 0xffff0000, v1
	v_lshlrev_b32_e32 v2, 16, v8
	s_mul_i32 s3, s2, s33
	v_add_f32_e32 v1, v1, v2
	v_or_b32_e32 v2, s3, v0
	v_mov_b32_e32 v3, 0
	s_add_i32 s3, s3, s2
	v_lshl_add_u64 v[4:5], v[2:3], 1, s[0:1]
	v_or_b32_e32 v2, s3, v0
	global_store_short_d16_hi v[4:5], v1, off
	v_lshl_add_u64 v[0:1], v[2:3], 1, s[0:1]
	global_store_short_d16_hi v[0:1], v7, off
.LBB537_25:
	s_endpgm
	.section	.rodata,"a",@progbits
	.p2align	6, 0x0
	.amdhsa_kernel _Z38paged_attention_ll4mi_QKV_mfma4_kernelI14__hip_bfloat16S0_LN4vllm18Fp8KVCacheDataTypeE0ES0_Li32ELi64ELi256ELb1ELi2EEvPKT_PKT0_S8_ifPKiSA_SA_iPKfiiiPfSD_PS3_PT2_iSC_SC_
		.amdhsa_group_segment_fixed_size 2720
		.amdhsa_private_segment_fixed_size 0
		.amdhsa_kernarg_size 400
		.amdhsa_user_sgpr_count 2
		.amdhsa_user_sgpr_dispatch_ptr 0
		.amdhsa_user_sgpr_queue_ptr 0
		.amdhsa_user_sgpr_kernarg_segment_ptr 1
		.amdhsa_user_sgpr_dispatch_id 0
		.amdhsa_user_sgpr_kernarg_preload_length 0
		.amdhsa_user_sgpr_kernarg_preload_offset 0
		.amdhsa_user_sgpr_private_segment_size 0
		.amdhsa_uses_dynamic_stack 0
		.amdhsa_enable_private_segment 0
		.amdhsa_system_sgpr_workgroup_id_x 1
		.amdhsa_system_sgpr_workgroup_id_y 1
		.amdhsa_system_sgpr_workgroup_id_z 1
		.amdhsa_system_sgpr_workgroup_info 0
		.amdhsa_system_vgpr_workitem_id 0
		.amdhsa_next_free_vgpr 60
		.amdhsa_next_free_sgpr 40
		.amdhsa_accum_offset 56
		.amdhsa_reserve_vcc 1
		.amdhsa_float_round_mode_32 0
		.amdhsa_float_round_mode_16_64 0
		.amdhsa_float_denorm_mode_32 3
		.amdhsa_float_denorm_mode_16_64 3
		.amdhsa_dx10_clamp 1
		.amdhsa_ieee_mode 1
		.amdhsa_fp16_overflow 0
		.amdhsa_tg_split 0
		.amdhsa_exception_fp_ieee_invalid_op 0
		.amdhsa_exception_fp_denorm_src 0
		.amdhsa_exception_fp_ieee_div_zero 0
		.amdhsa_exception_fp_ieee_overflow 0
		.amdhsa_exception_fp_ieee_underflow 0
		.amdhsa_exception_fp_ieee_inexact 0
		.amdhsa_exception_int_div_zero 0
	.end_amdhsa_kernel
	.section	.text._Z38paged_attention_ll4mi_QKV_mfma4_kernelI14__hip_bfloat16S0_LN4vllm18Fp8KVCacheDataTypeE0ES0_Li32ELi64ELi256ELb1ELi2EEvPKT_PKT0_S8_ifPKiSA_SA_iPKfiiiPfSD_PS3_PT2_iSC_SC_,"axG",@progbits,_Z38paged_attention_ll4mi_QKV_mfma4_kernelI14__hip_bfloat16S0_LN4vllm18Fp8KVCacheDataTypeE0ES0_Li32ELi64ELi256ELb1ELi2EEvPKT_PKT0_S8_ifPKiSA_SA_iPKfiiiPfSD_PS3_PT2_iSC_SC_,comdat
.Lfunc_end537:
	.size	_Z38paged_attention_ll4mi_QKV_mfma4_kernelI14__hip_bfloat16S0_LN4vllm18Fp8KVCacheDataTypeE0ES0_Li32ELi64ELi256ELb1ELi2EEvPKT_PKT0_S8_ifPKiSA_SA_iPKfiiiPfSD_PS3_PT2_iSC_SC_, .Lfunc_end537-_Z38paged_attention_ll4mi_QKV_mfma4_kernelI14__hip_bfloat16S0_LN4vllm18Fp8KVCacheDataTypeE0ES0_Li32ELi64ELi256ELb1ELi2EEvPKT_PKT0_S8_ifPKiSA_SA_iPKfiiiPfSD_PS3_PT2_iSC_SC_
                                        ; -- End function
	.section	.AMDGPU.csdata,"",@progbits
; Kernel info:
; codeLenInByte = 3248
; NumSgprs: 46
; NumVgprs: 54
; NumAgprs: 4
; TotalNumVgprs: 60
; ScratchSize: 0
; MemoryBound: 0
; FloatMode: 240
; IeeeMode: 1
; LDSByteSize: 2720 bytes/workgroup (compile time only)
; SGPRBlocks: 5
; VGPRBlocks: 7
; NumSGPRsForWavesPerEU: 46
; NumVGPRsForWavesPerEU: 60
; AccumOffset: 56
; Occupancy: 8
; WaveLimiterHint : 1
; COMPUTE_PGM_RSRC2:SCRATCH_EN: 0
; COMPUTE_PGM_RSRC2:USER_SGPR: 2
; COMPUTE_PGM_RSRC2:TRAP_HANDLER: 0
; COMPUTE_PGM_RSRC2:TGID_X_EN: 1
; COMPUTE_PGM_RSRC2:TGID_Y_EN: 1
; COMPUTE_PGM_RSRC2:TGID_Z_EN: 1
; COMPUTE_PGM_RSRC2:TIDIG_COMP_CNT: 0
; COMPUTE_PGM_RSRC3_GFX90A:ACCUM_OFFSET: 13
; COMPUTE_PGM_RSRC3_GFX90A:TG_SPLIT: 0
	.section	.text._Z38paged_attention_ll4mi_QKV_mfma4_kernelI14__hip_bfloat16S0_LN4vllm18Fp8KVCacheDataTypeE0ES0_Li32ELi64ELi256ELb1ELi3EEvPKT_PKT0_S8_ifPKiSA_SA_iPKfiiiPfSD_PS3_PT2_iSC_SC_,"axG",@progbits,_Z38paged_attention_ll4mi_QKV_mfma4_kernelI14__hip_bfloat16S0_LN4vllm18Fp8KVCacheDataTypeE0ES0_Li32ELi64ELi256ELb1ELi3EEvPKT_PKT0_S8_ifPKiSA_SA_iPKfiiiPfSD_PS3_PT2_iSC_SC_,comdat
	.protected	_Z38paged_attention_ll4mi_QKV_mfma4_kernelI14__hip_bfloat16S0_LN4vllm18Fp8KVCacheDataTypeE0ES0_Li32ELi64ELi256ELb1ELi3EEvPKT_PKT0_S8_ifPKiSA_SA_iPKfiiiPfSD_PS3_PT2_iSC_SC_ ; -- Begin function _Z38paged_attention_ll4mi_QKV_mfma4_kernelI14__hip_bfloat16S0_LN4vllm18Fp8KVCacheDataTypeE0ES0_Li32ELi64ELi256ELb1ELi3EEvPKT_PKT0_S8_ifPKiSA_SA_iPKfiiiPfSD_PS3_PT2_iSC_SC_
	.globl	_Z38paged_attention_ll4mi_QKV_mfma4_kernelI14__hip_bfloat16S0_LN4vllm18Fp8KVCacheDataTypeE0ES0_Li32ELi64ELi256ELb1ELi3EEvPKT_PKT0_S8_ifPKiSA_SA_iPKfiiiPfSD_PS3_PT2_iSC_SC_
	.p2align	8
	.type	_Z38paged_attention_ll4mi_QKV_mfma4_kernelI14__hip_bfloat16S0_LN4vllm18Fp8KVCacheDataTypeE0ES0_Li32ELi64ELi256ELb1ELi3EEvPKT_PKT0_S8_ifPKiSA_SA_iPKfiiiPfSD_PS3_PT2_iSC_SC_,@function
_Z38paged_attention_ll4mi_QKV_mfma4_kernelI14__hip_bfloat16S0_LN4vllm18Fp8KVCacheDataTypeE0ES0_Li32ELi64ELi256ELb1ELi3EEvPKT_PKT0_S8_ifPKiSA_SA_iPKfiiiPfSD_PS3_PT2_iSC_SC_: ; @_Z38paged_attention_ll4mi_QKV_mfma4_kernelI14__hip_bfloat16S0_LN4vllm18Fp8KVCacheDataTypeE0ES0_Li32ELi64ELi256ELb1ELi3EEvPKT_PKT0_S8_ifPKiSA_SA_iPKfiiiPfSD_PS3_PT2_iSC_SC_
; %bb.0:
	s_load_dwordx2 s[8:9], s[0:1], 0x30
	s_mov_b32 s16, s3
	s_mov_b64 s[6:7], 0
	s_waitcnt lgkmcnt(0)
	s_cmp_lg_u64 s[8:9], 0
	s_cselect_b64 s[10:11], -1, 0
	s_and_b64 vcc, exec, s[10:11]
	s_cbranch_vccz .LBB538_10
; %bb.1:
	s_add_i32 s12, s2, 1
	s_mov_b32 s13, 0
	s_lshl_b64 s[14:15], s[12:13], 2
	s_add_u32 s14, s8, s14
	s_mov_b32 s3, s13
	s_addc_u32 s15, s9, s15
	s_lshl_b64 s[12:13], s[2:3], 2
	s_add_u32 s12, s8, s12
	s_addc_u32 s13, s9, s13
	s_load_dword s5, s[14:15], 0x0
	s_load_dword s17, s[12:13], 0x0
	s_waitcnt lgkmcnt(0)
	s_sub_i32 s5, s5, s17
	s_cmp_eq_u32 s5, 1
	s_cselect_b64 s[12:13], -1, 0
	s_andn2_b64 vcc, exec, s[6:7]
	s_cbranch_vccnz .LBB538_3
.LBB538_2:
	s_mov_b32 s3, 0
	s_mov_b64 s[12:13], -1
.LBB538_3:
	s_andn2_b64 vcc, exec, s[12:13]
	s_cbranch_vccnz .LBB538_25
; %bb.4:
	s_load_dword s5, s[0:1], 0x9c
	s_load_dwordx2 s[6:7], s[0:1], 0x28
	s_add_u32 s20, s0, 0x90
	s_addc_u32 s21, s1, 0
	s_lshl_b64 s[24:25], s[2:3], 2
	s_waitcnt lgkmcnt(0)
	s_and_b32 s5, s5, 0xffff
	s_add_u32 s6, s6, s24
	s_addc_u32 s7, s7, s25
	s_load_dword s3, s[6:7], 0x0
	s_mul_i32 s5, s16, s5
	s_waitcnt lgkmcnt(0)
	s_cmp_ge_i32 s5, s3
	s_cbranch_scc1 .LBB538_25
; %bb.5:
	v_and_b32_e32 v2, 0xc0, v0
	v_add_u32_e32 v2, s5, v2
	v_lshrrev_b32_e32 v1, 6, v0
	v_cmp_gt_i32_e64 s[6:7], s3, v2
	v_cmp_le_i32_e32 vcc, s3, v2
                                        ; implicit-def: $sgpr26
                                        ; implicit-def: $sgpr17
	s_and_saveexec_b64 s[12:13], vcc
	s_xor_b64 s[12:13], exec, s[12:13]
	s_cbranch_execz .LBB538_7
; %bb.6:
	v_mul_u32_u24_e32 v2, 20, v1
	v_or_b32_e32 v2, 0xa00, v2
	v_mov_b32_e32 v3, 0xa50
	v_mov_b32_e32 v4, 0xff7fffff
	v_mad_u32_u24 v3, v1, 20, v3
	ds_write2_b32 v2, v4, v4 offset1:1
	v_mov_b32_e32 v2, 0
	ds_write2_b32 v3, v2, v2 offset1:1
	v_mov_b32_e32 v3, 0xa08
	s_mov_b32 s17, 0xff7fffff
	s_mov_b32 s26, 0
	v_mad_u32_u24 v3, v1, 20, v3
	v_mov_b32_e32 v5, 0xa58
	v_mad_u32_u24 v5, v1, 20, v5
	ds_write2_b32 v3, v4, v4 offset1:1
	ds_write2_b32 v5, v2, v2 offset1:1
                                        ; implicit-def: $vgpr2
.LBB538_7:
	s_or_saveexec_b64 s[22:23], s[12:13]
	s_load_dwordx2 s[18:19], s[0:1], 0x68
	s_load_dwordx4 s[12:15], s[0:1], 0x58
	s_load_dword s34, s[20:21], 0x4
	v_and_b32_e32 v46, 63, v0
	v_and_b32_e32 v47, 3, v0
	s_mul_i32 s33, s4, 3
	v_mov_b32_e32 v37, s26
	v_mov_b32_e32 v40, s17
	;; [unrolled: 1-line block ×5, first 2 shown]
                                        ; implicit-def: $vgpr3
                                        ; implicit-def: $vgpr7
                                        ; implicit-def: $vgpr11
                                        ; implicit-def: $vgpr15
                                        ; implicit-def: $vgpr19
                                        ; implicit-def: $vgpr23
                                        ; implicit-def: $vgpr27
                                        ; implicit-def: $vgpr31
	s_xor_b64 exec, exec, s[22:23]
	s_cbranch_execz .LBB538_19
; %bb.8:
	s_add_i32 s28, s3, 31
	s_ashr_i32 s29, s28, 31
	s_lshr_b32 s29, s29, 27
	v_add_u32_e32 v48, s5, v0
	s_add_i32 s28, s28, s29
	v_ashrrev_i32_e32 v3, 31, v48
	s_load_dwordx2 s[26:27], s[0:1], 0x20
	s_load_dword s17, s[0:1], 0x38
	s_ashr_i32 s28, s28, 5
	v_lshrrev_b32_e32 v3, 27, v3
	s_add_i32 s30, s28, -1
	v_add_u32_e32 v3, v48, v3
	v_ashrrev_i32_e32 v3, 5, v3
	v_mov_b32_e32 v4, s30
	v_cmp_gt_i32_e32 vcc, s3, v48
	s_waitcnt lgkmcnt(0)
	s_mul_i32 s28, s2, s17
	s_mov_b32 s29, 0
	v_cndmask_b32_e32 v4, v4, v3, vcc
	v_ashrrev_i32_e32 v3, 31, v2
	v_lshrrev_b32_e32 v3, 27, v3
	v_add_u32_e32 v2, v2, v3
	s_lshl_b64 s[28:29], s[28:29], 2
	v_ashrrev_i32_e32 v8, 5, v2
	s_add_u32 s26, s26, s28
	v_min_i32_e32 v2, s30, v8
	s_addc_u32 s27, s27, s29
	v_ashrrev_i32_e32 v3, 31, v2
	v_lshl_add_u64 v[6:7], v[2:3], 2, s[26:27]
	v_add_u32_e32 v2, 1, v8
	v_ashrrev_i32_e32 v5, 31, v4
	v_min_i32_e32 v2, s30, v2
	v_lshl_add_u64 v[4:5], v[4:5], 2, s[26:27]
	v_ashrrev_i32_e32 v3, 31, v2
	v_lshl_add_u64 v[8:9], v[2:3], 2, s[26:27]
	global_load_dword v2, v[4:5], off
	global_load_dword v16, v[6:7], off
	;; [unrolled: 1-line block ×3, first 2 shown]
	s_load_dwordx2 s[26:27], s[0:1], 0x8
	s_andn2_b64 vcc, exec, s[10:11]
	s_cbranch_vccnz .LBB538_11
; %bb.9:
	s_add_u32 s8, s8, s24
	s_addc_u32 s9, s9, s25
	s_load_dword s5, s[8:9], 0x0
	s_branch .LBB538_12
.LBB538_10:
	s_mov_b64 s[12:13], 0
	s_branch .LBB538_2
.LBB538_11:
	s_mov_b32 s5, s2
.LBB538_12:
	s_load_dwordx2 s[24:25], s[0:1], 0x10
	s_load_dwordx4 s[8:11], s[0:1], 0x48
	v_cmp_ne_u32_e32 vcc, 3, v47
	s_mov_b32 s29, 0
	v_mov_b32_e32 v15, 0
	v_mov_b32_e32 v24, 0
	;; [unrolled: 1-line block ×5, first 2 shown]
	s_and_saveexec_b64 s[30:31], vcc
	s_cbranch_execz .LBB538_14
; %bb.13:
	s_load_dwordx2 s[36:37], s[0:1], 0x0
	s_waitcnt lgkmcnt(0)
	s_ashr_i32 s11, s8, 31
	s_mul_hi_u32 s17, s5, s8
	s_mul_i32 s11, s5, s11
	s_add_i32 s39, s17, s11
	s_mul_i32 s38, s5, s8
	s_lshl_b64 s[38:39], s[38:39], 1
	s_add_u32 s5, s36, s38
	s_mul_i32 s28, s4, 0xc0
	s_addc_u32 s8, s37, s39
	s_lshl_b64 s[36:37], s[28:29], 1
	s_add_u32 s36, s5, s36
	v_lshlrev_b32_e32 v3, 3, v47
	v_lshrrev_b32_e32 v4, 2, v46
	s_addc_u32 s37, s8, s37
	v_add_lshl_u32 v3, v3, v4, 4
	global_load_dwordx4 v[24:27], v3, s[36:37]
.LBB538_14:
	s_or_b64 exec, exec, s[30:31]
	s_waitcnt lgkmcnt(0)
	s_mul_i32 s28, s4, s10
	s_lshl_b64 s[4:5], s[28:29], 1
	s_add_u32 s10, s4, s26
	s_waitcnt vmcnt(2)
	v_mad_i64_i32 v[2:3], s[30:31], v2, s9, 0
	s_addc_u32 s11, s5, s27
	v_and_b32_e32 v4, 31, v0
	v_lshl_add_u64 v[2:3], v[2:3], 1, s[10:11]
	v_lshlrev_b32_e32 v14, 4, v4
	v_lshl_add_u64 v[44:45], v[2:3], 0, v[14:15]
	global_load_dwordx4 v[10:13], v[44:45], off
	global_load_dwordx4 v[6:9], v[44:45], off offset:512
	global_load_dwordx4 v[2:5], v[44:45], off offset:1024
	;; [unrolled: 1-line block ×7, first 2 shown]
	v_mov_b32_e32 v45, 1.0
	v_mov_b32_e32 v44, 0
	s_and_saveexec_b64 s[10:11], vcc
	s_cbranch_execz .LBB538_16
; %bb.15:
	s_load_dwordx2 s[26:27], s[0:1], 0x40
	v_add_u32_e32 v44, s33, v47
	v_mov_b32_e32 v45, 0
	s_waitcnt lgkmcnt(0)
	v_lshl_add_u64 v[50:51], v[44:45], 2, s[26:27]
	global_load_dword v44, v[50:51], off
.LBB538_16:
	s_or_b64 exec, exec, s[10:11]
	s_waitcnt vmcnt(7)
	v_mfma_f32_4x4x4_16b_bf16 a[0:3], v[24:25], v[10:11], 0 cbsz:4
	s_load_dword s0, s[0:1], 0x1c
	s_add_u32 s4, s24, s4
	v_mfma_f32_4x4x4_16b_bf16 a[0:3], v[26:27], v[12:13], a[0:3] cbsz:4
	s_addc_u32 s5, s25, s5
	v_lshlrev_b32_e32 v14, 6, v46
	s_waitcnt vmcnt(6)
	v_mfma_f32_4x4x4_16b_bf16 a[0:3], v[24:25], v[6:7], a[0:3] cbsz:4 abid:1
	v_lshl_add_u64 v[50:51], s[4:5], 0, v[14:15]
	v_mul_hi_i32 v14, v16, s9
	v_mfma_f32_4x4x4_16b_bf16 a[0:3], v[26:27], v[8:9], a[0:3] cbsz:4 abid:1
	v_ashrrev_i32_e32 v14, 31, v14
	v_mul_hi_i32 v23, v22, s9
	s_waitcnt vmcnt(5)
	v_mfma_f32_4x4x4_16b_bf16 a[0:3], v[24:25], v[2:3], a[0:3] cbsz:4 abid:2
	v_lshrrev_b32_e32 v52, 29, v14
	v_mov_b32_e32 v53, 0
	v_mfma_f32_4x4x4_16b_bf16 a[0:3], v[26:27], v[4:5], a[0:3] cbsz:4 abid:2
	v_ashrrev_i32_e32 v23, 31, v23
	v_cmp_eq_u32_e32 vcc, 0, v47
	s_waitcnt vmcnt(4)
	v_mfma_f32_4x4x4_16b_bf16 a[0:3], v[24:25], v[40:41], a[0:3] cbsz:4 abid:3
	v_mad_i64_i32 v[10:11], s[4:5], v16, s9, v[52:53]
	s_nop 0
	v_mfma_f32_4x4x4_16b_bf16 a[0:3], v[26:27], v[42:43], a[0:3] cbsz:4 abid:3
	v_lshrrev_b32_e32 v52, 29, v23
	v_mad_i64_i32 v[22:23], s[4:5], v22, s9, v[52:53]
	s_waitcnt vmcnt(3)
	v_mfma_f32_4x4x4_16b_bf16 a[0:3], v[24:25], v[36:37], a[0:3] cbsz:4 abid:4
	v_lshlrev_b64 v[6:7], 1, v[10:11]
	v_lshlrev_b64 v[22:23], 1, v[22:23]
	v_mfma_f32_4x4x4_16b_bf16 a[0:3], v[26:27], v[38:39], a[0:3] cbsz:4 abid:4
	v_and_b32_e32 v6, -16, v6
	v_and_b32_e32 v22, -16, v22
	s_waitcnt vmcnt(2)
	v_mfma_f32_4x4x4_16b_bf16 a[0:3], v[24:25], v[32:33], a[0:3] cbsz:4 abid:5
	v_lshl_add_u64 v[54:55], v[50:51], 0, v[6:7]
	global_load_dwordx4 v[2:5], v[54:55], off
	global_load_dwordx4 v[6:9], v[54:55], off offset:16
	v_mfma_f32_4x4x4_16b_bf16 a[0:3], v[26:27], v[34:35], a[0:3] cbsz:4 abid:5
	v_lshl_add_u64 v[34:35], v[50:51], 0, v[22:23]
	global_load_dwordx4 v[10:13], v[54:55], off offset:32
	global_load_dwordx4 v[14:17], v[54:55], off offset:48
	s_waitcnt vmcnt(5)
	v_mfma_f32_4x4x4_16b_bf16 a[0:3], v[24:25], v[18:19], a[0:3] cbsz:4 abid:6
	v_mov_b32_e32 v41, 0xff7fffff
	s_nop 0
	v_mfma_f32_4x4x4_16b_bf16 a[0:3], v[26:27], v[20:21], a[0:3] cbsz:4 abid:6
	s_waitcnt vmcnt(4)
	s_nop 0
	v_mfma_f32_4x4x4_16b_bf16 a[0:3], v[24:25], v[28:29], a[0:3] cbsz:4 abid:7
	global_load_dwordx4 v[18:21], v[34:35], off
	global_load_dwordx4 v[22:25], v[34:35], off offset:16
	v_mfma_f32_4x4x4_16b_bf16 a[0:3], v[26:27], v[30:31], a[0:3] cbsz:4 abid:7
	s_nop 4
	v_accvgpr_read_b32 v29, a1
	v_accvgpr_read_b32 v28, a0
	s_waitcnt lgkmcnt(0)
	v_pk_mul_f32 v[28:29], s[0:1], v[28:29] op_sel_hi:[0,1]
	v_accvgpr_read_b32 v27, a3
	v_accvgpr_read_b32 v26, a2
	v_pk_mul_f32 v[36:37], s[0:1], v[26:27] op_sel_hi:[0,1]
	v_cndmask_b32_e64 v26, 0, 1.0, vcc
	v_cmp_eq_u32_e32 vcc, 1, v47
	s_nop 0
	v_mfma_f32_4x4x1_16b_f32 a[0:3], v28, v26, 0
	v_cndmask_b32_e64 v26, 0, 1.0, vcc
	v_cmp_eq_u32_e32 vcc, 2, v47
	s_nop 0
	v_mfma_f32_4x4x1_16b_f32 a[0:3], v29, v26, a[0:3]
	v_cndmask_b32_e64 v26, 0, 1.0, vcc
	s_nop 1
	v_mfma_f32_4x4x1_16b_f32 a[0:3], v36, v26, a[0:3]
	global_load_dwordx4 v[26:29], v[34:35], off offset:32
	global_load_dwordx4 v[30:33], v[34:35], off offset:48
	v_and_b32_e32 v34, -4, v48
	v_subrev_u32_e32 v35, s3, v34
	v_add_u32_e32 v36, 1, v35
	v_mfma_f32_4x4x1_16b_f32 a[0:3], v37, v45, a[0:3]
	v_cvt_f32_i32_e32 v36, v36
	v_add_u32_e32 v37, 2, v35
	v_cvt_f32_i32_e32 v37, v37
	v_cmp_gt_i32_e32 vcc, s3, v34
	v_accvgpr_read_b32 v38, a0
	v_fma_f32 v36, v44, v36, v38
	v_accvgpr_read_b32 v38, a1
	v_fma_f32 v37, v44, v37, v38
	v_add_u32_e32 v38, 3, v35
	v_cvt_f32_i32_e32 v38, v38
	v_add_u32_e32 v35, 4, v35
	v_max_f32_e32 v40, 0xff7fffff, v36
	v_cvt_f32_i32_e32 v35, v35
	v_cndmask_b32_e32 v40, v41, v40, vcc
	v_or_b32_e32 v41, 1, v34
	v_accvgpr_read_b32 v39, a2
	v_max_f32_e32 v42, v40, v37
	v_cmp_gt_i32_e64 s[0:1], s3, v41
	v_fma_f32 v38, v44, v38, v39
	v_or_b32_e32 v34, 2, v34
	v_cndmask_b32_e64 v40, v40, v42, s[0:1]
	v_accvgpr_read_b32 v39, a3
	v_max_f32_e32 v41, v40, v38
	v_cmp_gt_i32_e64 s[4:5], s3, v34
	v_fmac_f32_e32 v39, v44, v35
	v_lshlrev_b32_e32 v35, 2, v0
	v_cndmask_b32_e64 v34, v40, v41, s[4:5]
	v_or_b32_e32 v40, 3, v48
	v_max_f32_e32 v41, v34, v39
	v_cmp_gt_i32_e64 s[8:9], s3, v40
	v_and_or_b32 v35, v35, 48, v47
	s_nop 0
	v_cndmask_b32_e64 v34, v34, v41, s[8:9]
	;;#ASMSTART
	v_nop
 v_nop
 v_max_f32_dpp v34, v34, v34 row_ror:4
	;;#ASMEND
	v_lshlrev_b32_e32 v41, 2, v35
	;;#ASMSTART
	v_nop
 v_nop
 v_max_f32_dpp v34, v34, v34 row_ror:8
	;;#ASMEND
	ds_bpermute_b32 v34, v41, v34
	s_waitcnt lgkmcnt(0)
	;;#ASMSTART
	v_nop
 v_nop
 v_max_f32_dpp v34, v34, v34 row_ror:4
	;;#ASMEND
	s_nop 0
	;;#ASMSTART
	v_nop
 v_nop
 v_max_f32_dpp v40, v34, v34 row_ror:8
	;;#ASMEND
	s_nop 0
	v_sub_f32_e32 v34, v36, v40
	v_mul_f32_e32 v34, 0x3fb8aa3b, v34
	v_sub_f32_e32 v35, v37, v40
	v_exp_f32_e32 v34, v34
	v_mul_f32_e32 v35, 0x3fb8aa3b, v35
	v_sub_f32_e32 v37, v38, v40
	v_exp_f32_e32 v35, v35
	;; [unrolled: 3-line block ×3, first 2 shown]
	v_mul_f32_e32 v38, 0x3fb8aa3b, v38
	v_exp_f32_e32 v38, v38
	v_cndmask_b32_e32 v34, 0, v34, vcc
	v_add_f32_e32 v36, 0, v34
	v_cndmask_b32_e64 v35, 0, v35, s[0:1]
	v_add_f32_e32 v39, v36, v35
	v_cndmask_b32_e64 v36, 0, v37, s[4:5]
	;; [unrolled: 2-line block ×3, first 2 shown]
	v_add_f32_e32 v38, v39, v37
	;;#ASMSTART
	v_nop
 v_nop
 v_add_f32_dpp v38, v38, v38 row_ror:4
	;;#ASMEND
	v_cmp_gt_u32_e32 vcc, 4, v46
	;;#ASMSTART
	v_nop
 v_nop
 v_add_f32_dpp v38, v38, v38 row_ror:8
	;;#ASMEND
	ds_bpermute_b32 v38, v41, v38
	s_waitcnt lgkmcnt(0)
	;;#ASMSTART
	v_nop
 v_nop
 v_add_f32_dpp v38, v38, v38 row_ror:4
	;;#ASMEND
	s_nop 0
	;;#ASMSTART
	v_nop
 v_nop
 v_add_f32_dpp v38, v38, v38 row_ror:8
	;;#ASMEND
	s_and_saveexec_b64 s[0:1], vcc
	s_cbranch_execz .LBB538_18
; %bb.17:
	v_mul_u32_u24_e32 v39, 20, v1
	v_lshl_add_u32 v39, v47, 2, v39
	v_add_u32_e32 v39, 0x800, v39
	ds_write2_b32 v39, v40, v38 offset0:128 offset1:148
.LBB538_18:
	s_or_b64 exec, exec, s[0:1]
.LBB538_19:
	s_or_b64 exec, exec, s[22:23]
	s_waitcnt lgkmcnt(0)
	s_barrier
	s_load_dword s0, s[20:21], 0x8
	v_lshlrev_b32_e32 v38, 2, v47
	v_add_u32_e32 v48, 0x800, v38
	ds_read2_b32 v[38:39], v48 offset0:128 offset1:133
	ds_read2_b32 v[42:43], v48 offset0:138 offset1:143
	s_mul_i32 s1, s2, s34
	s_waitcnt lgkmcnt(0)
	s_mul_i32 s0, s1, s0
	s_mov_b32 s1, 0xff7fffff
	v_max3_f32 v41, v38, s1, v39
	v_max3_f32 v41, v41, v42, v43
	v_sub_f32_e32 v38, v38, v41
	v_mul_f32_e32 v38, 0x3fb8aa3b, v38
	ds_read2_b32 v[44:45], v48 offset0:148 offset1:153
	v_exp_f32_e32 v49, v38
	v_sub_f32_e32 v38, v39, v41
	v_sub_f32_e32 v42, v42, v41
	v_mul_f32_e32 v38, 0x3fb8aa3b, v38
	v_mul_f32_e32 v42, 0x3fb8aa3b, v42
	v_exp_f32_e32 v50, v38
	ds_read2_b32 v[38:39], v48 offset0:158 offset1:163
	v_exp_f32_e32 v48, v42
	v_sub_f32_e32 v42, v43, v41
	v_mul_f32_e32 v42, 0x3fb8aa3b, v42
	v_exp_f32_e32 v43, v42
	s_waitcnt lgkmcnt(1)
	v_fma_f32 v42, v49, v44, 0
	v_fmac_f32_e32 v42, v50, v45
	s_waitcnt lgkmcnt(0)
	v_fmac_f32_e32 v42, v48, v38
	s_mul_i32 s0, s0, 3
	v_fmac_f32_e32 v42, v43, v39
	v_cmp_ne_u32_e32 vcc, 3, v47
	s_and_saveexec_b64 s[2:3], vcc
	s_cbranch_execz .LBB538_21
; %bb.20:
	s_mov_b32 s1, 0
	s_lshl_b64 s[4:5], s[0:1], 2
	s_add_u32 s10, s12, s4
	s_mov_b32 s17, s1
	s_addc_u32 s11, s13, s5
	s_lshl_b64 s[8:9], s[16:17], 2
	s_add_u32 s10, s10, s8
	s_addc_u32 s11, s11, s9
	s_add_u32 s1, s14, s4
	s_addc_u32 s5, s15, s5
	v_add_u32_e32 v38, s33, v47
	s_add_u32 s4, s1, s8
	v_mul_lo_u32 v38, s34, v38
	v_mov_b32_e32 v39, 0
	s_addc_u32 s5, s5, s9
	v_lshlrev_b64 v[38:39], 2, v[38:39]
	v_lshl_add_u64 v[44:45], s[10:11], 0, v[38:39]
	v_lshl_add_u64 v[38:39], s[4:5], 0, v[38:39]
	global_store_dword v[38:39], v41, off
	global_store_dword v[44:45], v42, off
.LBB538_21:
	s_or_b64 exec, exec, s[2:3]
	v_mov_b32_e32 v38, 0
	v_mov_b32_e32 v39, 0
	s_and_saveexec_b64 s[2:3], s[6:7]
	s_cbranch_execz .LBB538_23
; %bb.22:
	v_add_f32_e32 v38, 0x358637bd, v42
	v_div_scale_f32 v39, s[4:5], v38, v38, 1.0
	v_rcp_f32_e32 v42, v39
	v_div_scale_f32 v43, vcc, 1.0, v38, 1.0
	v_sub_f32_e32 v40, v40, v41
	v_fma_f32 v44, -v39, v42, 1.0
	v_fmac_f32_e32 v42, v44, v42
	v_mul_f32_e32 v44, v43, v42
	v_fma_f32 v45, -v39, v44, v43
	v_mul_f32_e32 v40, 0x3fb8aa3b, v40
	v_fmac_f32_e32 v44, v45, v42
	v_exp_f32_e32 v40, v40
	v_fma_f32 v39, -v39, v44, v43
	v_div_fmas_f32 v39, v39, v42, v44
	v_div_fixup_f32 v38, v39, v38, 1.0
	v_mul_f32_e32 v38, v40, v38
	v_pk_mul_f32 v[34:35], v[34:35], v[38:39] op_sel_hi:[1,0]
	v_pk_mul_f32 v[36:37], v[36:37], v[38:39] op_sel_hi:[1,0]
	v_bfe_u32 v38, v35, 16, 1
	v_bfe_u32 v39, v34, 16, 1
	s_movk_i32 s1, 0x7fff
	v_add3_u32 v34, v34, v39, s1
	v_add3_u32 v35, v35, v38, s1
	s_mov_b32 s4, 0x7060302
	v_perm_b32 v34, v35, v34, s4
	v_bfe_u32 v35, v37, 16, 1
	v_bfe_u32 v38, v36, 16, 1
	v_add3_u32 v36, v36, v38, s1
	v_add3_u32 v35, v37, v35, s1
	v_perm_b32 v35, v35, v36, s4
	s_waitcnt vmcnt(7)
	s_nop 0
	v_mfma_f32_4x4x4_16b_bf16 a[0:3], v[34:35], v[2:3], 0 cbsz:4
	s_nop 1
	v_mfma_f32_4x4x4_16b_bf16 a[0:3], v[34:35], v[4:5], a[0:3] cbsz:4 abid:1
	s_waitcnt vmcnt(6)
	s_nop 0
	v_mfma_f32_4x4x4_16b_bf16 a[0:3], v[34:35], v[6:7], a[0:3] cbsz:4 abid:2
	s_nop 1
	v_mfma_f32_4x4x4_16b_bf16 a[0:3], v[34:35], v[8:9], a[0:3] cbsz:4 abid:3
	s_waitcnt vmcnt(5)
	s_nop 0
	v_mfma_f32_4x4x4_16b_bf16 a[0:3], v[34:35], v[10:11], a[0:3] cbsz:4 abid:4
	;; [unrolled: 5-line block ×7, first 2 shown]
	s_nop 1
	v_mfma_f32_4x4x4_16b_bf16 a[0:3], v[34:35], v[32:33], a[0:3] cbsz:4 abid:15
	s_nop 4
	v_accvgpr_read_b32 v5, a1
	v_accvgpr_read_b32 v2, a2
	v_accvgpr_read_b32 v3, a3
	v_accvgpr_read_b32 v4, a0
	v_bfe_u32 v6, v5, 16, 1
	v_bfe_u32 v7, v4, 16, 1
	;; [unrolled: 1-line block ×3, first 2 shown]
	v_add3_u32 v5, v5, v6, s1
	v_bfe_u32 v6, v2, 16, 1
	v_add3_u32 v4, v4, v7, s1
	v_add3_u32 v2, v2, v6, s1
	;; [unrolled: 1-line block ×3, first 2 shown]
	v_perm_b32 v39, v3, v2, s4
	v_perm_b32 v38, v5, v4, s4
.LBB538_23:
	s_or_b64 exec, exec, s[2:3]
	v_lshlrev_b32_e32 v1, 3, v1
	v_mad_u32_u24 v1, v46, 40, v1
	v_cmp_gt_u32_e32 vcc, 64, v0
	ds_write_b64 v1, v[38:39]
	s_waitcnt lgkmcnt(0)
	s_barrier
	s_and_saveexec_b64 s[2:3], vcc
	s_cbranch_execz .LBB538_25
; %bb.24:
	v_mul_u32_u24_e32 v1, 40, v46
	s_waitcnt vmcnt(7)
	ds_read2_b64 v[2:5], v1 offset1:1
	s_waitcnt vmcnt(6)
	ds_read2_b64 v[6:9], v1 offset0:2 offset1:3
	s_mov_b32 s1, 0
	s_lshl_b32 s0, s0, 6
	s_lshl_b64 s[2:3], s[0:1], 1
	s_waitcnt lgkmcnt(1)
	v_and_b32_e32 v1, 0xffff0000, v2
	v_lshlrev_b32_e32 v3, 16, v3
	v_add_f32_e32 v1, 0, v1
	v_add_f32_e32 v3, 0, v3
	v_and_b32_e32 v1, 0xffff0000, v1
	s_waitcnt vmcnt(5)
	v_and_b32_e32 v10, 0xffff0000, v4
	v_and_b32_e32 v3, 0xffff0000, v3
	v_add_f32_e32 v1, v1, v10
	v_lshlrev_b32_e32 v5, 16, v5
	v_and_b32_e32 v1, 0xffff0000, v1
	v_add_f32_e32 v3, v3, v5
	s_waitcnt lgkmcnt(0)
	v_and_b32_e32 v5, 0xffff0000, v6
	v_and_b32_e32 v3, 0xffff0000, v3
	v_add_f32_e32 v1, v1, v5
	v_lshlrev_b32_e32 v5, 16, v7
	v_and_b32_e32 v1, 0xffff0000, v1
	v_add_f32_e32 v3, v3, v5
	v_and_b32_e32 v5, 0xffff0000, v8
	v_lshlrev_b32_e32 v2, 16, v2
	v_and_b32_e32 v3, 0xffff0000, v3
	v_add_f32_e32 v1, v1, v5
	v_lshlrev_b32_e32 v5, 16, v9
	s_add_u32 s2, s18, s2
	v_add_f32_e32 v2, 0, v2
	v_add_f32_e32 v7, v3, v5
	s_addc_u32 s3, s19, s3
	s_lshl_b32 s0, s16, 6
	v_and_b32_e32 v2, 0xffff0000, v2
	v_lshlrev_b32_e32 v3, 16, v4
	s_lshl_b64 s[0:1], s[0:1], 1
	v_add_f32_e32 v2, v2, v3
	s_add_u32 s0, s2, s0
	v_and_b32_e32 v2, 0xffff0000, v2
	v_lshlrev_b32_e32 v3, 16, v6
	s_addc_u32 s1, s3, s1
	s_lshl_b32 s2, s34, 6
	v_add_f32_e32 v2, v2, v3
	v_and_b32_e32 v2, 0xffff0000, v2
	v_lshlrev_b32_e32 v3, 16, v8
	s_mul_i32 s3, s2, s33
	v_add_f32_e32 v6, v2, v3
	v_or_b32_e32 v2, s3, v0
	v_mov_b32_e32 v3, 0
	s_add_i32 s3, s3, s2
	v_lshl_add_u64 v[4:5], v[2:3], 1, s[0:1]
	v_or_b32_e32 v2, s3, v0
	s_add_i32 s3, s3, s2
	global_store_short_d16_hi v[4:5], v6, off
	v_lshl_add_u64 v[4:5], v[2:3], 1, s[0:1]
	v_or_b32_e32 v2, s3, v0
	global_store_short_d16_hi v[4:5], v1, off
	v_lshl_add_u64 v[0:1], v[2:3], 1, s[0:1]
	global_store_short_d16_hi v[0:1], v7, off
.LBB538_25:
	s_endpgm
	.section	.rodata,"a",@progbits
	.p2align	6, 0x0
	.amdhsa_kernel _Z38paged_attention_ll4mi_QKV_mfma4_kernelI14__hip_bfloat16S0_LN4vllm18Fp8KVCacheDataTypeE0ES0_Li32ELi64ELi256ELb1ELi3EEvPKT_PKT0_S8_ifPKiSA_SA_iPKfiiiPfSD_PS3_PT2_iSC_SC_
		.amdhsa_group_segment_fixed_size 2720
		.amdhsa_private_segment_fixed_size 0
		.amdhsa_kernarg_size 400
		.amdhsa_user_sgpr_count 2
		.amdhsa_user_sgpr_dispatch_ptr 0
		.amdhsa_user_sgpr_queue_ptr 0
		.amdhsa_user_sgpr_kernarg_segment_ptr 1
		.amdhsa_user_sgpr_dispatch_id 0
		.amdhsa_user_sgpr_kernarg_preload_length 0
		.amdhsa_user_sgpr_kernarg_preload_offset 0
		.amdhsa_user_sgpr_private_segment_size 0
		.amdhsa_uses_dynamic_stack 0
		.amdhsa_enable_private_segment 0
		.amdhsa_system_sgpr_workgroup_id_x 1
		.amdhsa_system_sgpr_workgroup_id_y 1
		.amdhsa_system_sgpr_workgroup_id_z 1
		.amdhsa_system_sgpr_workgroup_info 0
		.amdhsa_system_vgpr_workitem_id 0
		.amdhsa_next_free_vgpr 60
		.amdhsa_next_free_sgpr 40
		.amdhsa_accum_offset 56
		.amdhsa_reserve_vcc 1
		.amdhsa_float_round_mode_32 0
		.amdhsa_float_round_mode_16_64 0
		.amdhsa_float_denorm_mode_32 3
		.amdhsa_float_denorm_mode_16_64 3
		.amdhsa_dx10_clamp 1
		.amdhsa_ieee_mode 1
		.amdhsa_fp16_overflow 0
		.amdhsa_tg_split 0
		.amdhsa_exception_fp_ieee_invalid_op 0
		.amdhsa_exception_fp_denorm_src 0
		.amdhsa_exception_fp_ieee_div_zero 0
		.amdhsa_exception_fp_ieee_overflow 0
		.amdhsa_exception_fp_ieee_underflow 0
		.amdhsa_exception_fp_ieee_inexact 0
		.amdhsa_exception_int_div_zero 0
	.end_amdhsa_kernel
	.section	.text._Z38paged_attention_ll4mi_QKV_mfma4_kernelI14__hip_bfloat16S0_LN4vllm18Fp8KVCacheDataTypeE0ES0_Li32ELi64ELi256ELb1ELi3EEvPKT_PKT0_S8_ifPKiSA_SA_iPKfiiiPfSD_PS3_PT2_iSC_SC_,"axG",@progbits,_Z38paged_attention_ll4mi_QKV_mfma4_kernelI14__hip_bfloat16S0_LN4vllm18Fp8KVCacheDataTypeE0ES0_Li32ELi64ELi256ELb1ELi3EEvPKT_PKT0_S8_ifPKiSA_SA_iPKfiiiPfSD_PS3_PT2_iSC_SC_,comdat
.Lfunc_end538:
	.size	_Z38paged_attention_ll4mi_QKV_mfma4_kernelI14__hip_bfloat16S0_LN4vllm18Fp8KVCacheDataTypeE0ES0_Li32ELi64ELi256ELb1ELi3EEvPKT_PKT0_S8_ifPKiSA_SA_iPKfiiiPfSD_PS3_PT2_iSC_SC_, .Lfunc_end538-_Z38paged_attention_ll4mi_QKV_mfma4_kernelI14__hip_bfloat16S0_LN4vllm18Fp8KVCacheDataTypeE0ES0_Li32ELi64ELi256ELb1ELi3EEvPKT_PKT0_S8_ifPKiSA_SA_iPKfiiiPfSD_PS3_PT2_iSC_SC_
                                        ; -- End function
	.section	.AMDGPU.csdata,"",@progbits
; Kernel info:
; codeLenInByte = 3336
; NumSgprs: 46
; NumVgprs: 56
; NumAgprs: 4
; TotalNumVgprs: 60
; ScratchSize: 0
; MemoryBound: 0
; FloatMode: 240
; IeeeMode: 1
; LDSByteSize: 2720 bytes/workgroup (compile time only)
; SGPRBlocks: 5
; VGPRBlocks: 7
; NumSGPRsForWavesPerEU: 46
; NumVGPRsForWavesPerEU: 60
; AccumOffset: 56
; Occupancy: 8
; WaveLimiterHint : 1
; COMPUTE_PGM_RSRC2:SCRATCH_EN: 0
; COMPUTE_PGM_RSRC2:USER_SGPR: 2
; COMPUTE_PGM_RSRC2:TRAP_HANDLER: 0
; COMPUTE_PGM_RSRC2:TGID_X_EN: 1
; COMPUTE_PGM_RSRC2:TGID_Y_EN: 1
; COMPUTE_PGM_RSRC2:TGID_Z_EN: 1
; COMPUTE_PGM_RSRC2:TIDIG_COMP_CNT: 0
; COMPUTE_PGM_RSRC3_GFX90A:ACCUM_OFFSET: 13
; COMPUTE_PGM_RSRC3_GFX90A:TG_SPLIT: 0
	.section	.text._Z38paged_attention_ll4mi_QKV_mfma4_kernelI14__hip_bfloat16S0_LN4vllm18Fp8KVCacheDataTypeE0ES0_Li32ELi64ELi256ELb1ELi4EEvPKT_PKT0_S8_ifPKiSA_SA_iPKfiiiPfSD_PS3_PT2_iSC_SC_,"axG",@progbits,_Z38paged_attention_ll4mi_QKV_mfma4_kernelI14__hip_bfloat16S0_LN4vllm18Fp8KVCacheDataTypeE0ES0_Li32ELi64ELi256ELb1ELi4EEvPKT_PKT0_S8_ifPKiSA_SA_iPKfiiiPfSD_PS3_PT2_iSC_SC_,comdat
	.protected	_Z38paged_attention_ll4mi_QKV_mfma4_kernelI14__hip_bfloat16S0_LN4vllm18Fp8KVCacheDataTypeE0ES0_Li32ELi64ELi256ELb1ELi4EEvPKT_PKT0_S8_ifPKiSA_SA_iPKfiiiPfSD_PS3_PT2_iSC_SC_ ; -- Begin function _Z38paged_attention_ll4mi_QKV_mfma4_kernelI14__hip_bfloat16S0_LN4vllm18Fp8KVCacheDataTypeE0ES0_Li32ELi64ELi256ELb1ELi4EEvPKT_PKT0_S8_ifPKiSA_SA_iPKfiiiPfSD_PS3_PT2_iSC_SC_
	.globl	_Z38paged_attention_ll4mi_QKV_mfma4_kernelI14__hip_bfloat16S0_LN4vllm18Fp8KVCacheDataTypeE0ES0_Li32ELi64ELi256ELb1ELi4EEvPKT_PKT0_S8_ifPKiSA_SA_iPKfiiiPfSD_PS3_PT2_iSC_SC_
	.p2align	8
	.type	_Z38paged_attention_ll4mi_QKV_mfma4_kernelI14__hip_bfloat16S0_LN4vllm18Fp8KVCacheDataTypeE0ES0_Li32ELi64ELi256ELb1ELi4EEvPKT_PKT0_S8_ifPKiSA_SA_iPKfiiiPfSD_PS3_PT2_iSC_SC_,@function
_Z38paged_attention_ll4mi_QKV_mfma4_kernelI14__hip_bfloat16S0_LN4vllm18Fp8KVCacheDataTypeE0ES0_Li32ELi64ELi256ELb1ELi4EEvPKT_PKT0_S8_ifPKiSA_SA_iPKfiiiPfSD_PS3_PT2_iSC_SC_: ; @_Z38paged_attention_ll4mi_QKV_mfma4_kernelI14__hip_bfloat16S0_LN4vllm18Fp8KVCacheDataTypeE0ES0_Li32ELi64ELi256ELb1ELi4EEvPKT_PKT0_S8_ifPKiSA_SA_iPKfiiiPfSD_PS3_PT2_iSC_SC_
; %bb.0:
	s_load_dwordx2 s[8:9], s[0:1], 0x30
	s_mov_b32 s20, s3
	s_mov_b64 s[6:7], 0
	s_waitcnt lgkmcnt(0)
	s_cmp_lg_u64 s[8:9], 0
	s_cselect_b64 s[10:11], -1, 0
	s_and_b64 vcc, exec, s[10:11]
	s_cbranch_vccz .LBB539_18
; %bb.1:
	s_add_i32 s12, s2, 1
	s_mov_b32 s13, 0
	s_lshl_b64 s[14:15], s[12:13], 2
	s_add_u32 s14, s8, s14
	s_mov_b32 s3, s13
	s_addc_u32 s15, s9, s15
	s_lshl_b64 s[12:13], s[2:3], 2
	s_add_u32 s12, s8, s12
	s_addc_u32 s13, s9, s13
	s_load_dword s5, s[14:15], 0x0
	s_load_dword s16, s[12:13], 0x0
	s_mov_b64 s[30:31], s[2:3]
	s_waitcnt lgkmcnt(0)
	s_sub_i32 s5, s5, s16
	s_cmp_eq_u32 s5, 1
	s_cselect_b64 s[12:13], -1, 0
	s_andn2_b64 vcc, exec, s[6:7]
	s_cbranch_vccnz .LBB539_3
.LBB539_2:
	s_mov_b32 s3, 0
	s_mov_b64 s[12:13], -1
	s_mov_b64 s[30:31], s[2:3]
.LBB539_3:
	s_andn2_b64 vcc, exec, s[12:13]
	s_cbranch_vccnz .LBB539_17
; %bb.4:
	s_load_dword s3, s[0:1], 0x9c
	s_load_dwordx2 s[6:7], s[0:1], 0x28
	s_add_u32 s24, s0, 0x90
	s_addc_u32 s25, s1, 0
	s_lshl_b64 s[36:37], s[30:31], 2
	s_waitcnt lgkmcnt(0)
	s_and_b32 s5, s3, 0xffff
	s_add_u32 s6, s6, s36
	s_addc_u32 s7, s7, s37
	s_load_dword s3, s[6:7], 0x0
	s_mul_i32 s5, s20, s5
	s_waitcnt lgkmcnt(0)
	s_cmp_ge_i32 s5, s3
	s_cbranch_scc1 .LBB539_17
; %bb.5:
	v_and_b32_e32 v2, 0xc0, v0
	v_and_b32_e32 v41, 3, v0
	s_lshl_b32 s33, s4, 2
	v_add_u32_e32 v4, s5, v2
	v_lshrrev_b32_e32 v1, 6, v0
	v_cmp_gt_i32_e64 s[6:7], s3, v4
	v_cmp_le_i32_e32 vcc, s3, v4
	v_or_b32_e32 v34, s33, v41
                                        ; implicit-def: $sgpr17
                                        ; implicit-def: $sgpr16
	s_and_saveexec_b64 s[12:13], vcc
	s_xor_b64 s[12:13], exec, s[12:13]
	s_cbranch_execz .LBB539_7
; %bb.6:
	v_mul_u32_u24_e32 v2, 20, v1
	v_or_b32_e32 v2, 0xa00, v2
	v_mov_b32_e32 v3, 0xa50
	v_mov_b32_e32 v4, 0xff7fffff
	v_mad_u32_u24 v3, v1, 20, v3
	ds_write2_b32 v2, v4, v4 offset1:1
	v_mov_b32_e32 v2, 0
	ds_write2_b32 v3, v2, v2 offset1:1
	v_mov_b32_e32 v3, 0xa08
	s_mov_b32 s16, 0xff7fffff
	s_mov_b32 s17, 0
	v_mad_u32_u24 v3, v1, 20, v3
	v_mov_b32_e32 v5, 0xa58
	v_or_b32_e32 v34, s33, v41
	v_mad_u32_u24 v5, v1, 20, v5
	ds_write2_b32 v3, v4, v4 offset1:1
	ds_write2_b32 v5, v2, v2 offset1:1
                                        ; implicit-def: $vgpr4
.LBB539_7:
	s_or_saveexec_b64 s[26:27], s[12:13]
	s_load_dwordx2 s[22:23], s[0:1], 0x68
	s_load_dwordx4 s[12:15], s[0:1], 0x58
	s_load_dword s40, s[24:25], 0x4
	v_and_b32_e32 v40, 63, v0
	v_mov_b32_e32 v39, s17
	v_mov_b32_e32 v42, s16
	;; [unrolled: 1-line block ×5, first 2 shown]
                                        ; implicit-def: $vgpr3
                                        ; implicit-def: $vgpr7
                                        ; implicit-def: $vgpr11
                                        ; implicit-def: $vgpr15
                                        ; implicit-def: $vgpr19
                                        ; implicit-def: $vgpr23
                                        ; implicit-def: $vgpr27
                                        ; implicit-def: $vgpr31
	s_xor_b64 exec, exec, s[26:27]
	s_cbranch_execz .LBB539_13
; %bb.8:
	s_add_i32 s19, s3, 31
	s_ashr_i32 s21, s19, 31
	s_lshr_b32 s21, s21, 27
	v_add_u32_e32 v2, s5, v0
	s_add_i32 s19, s19, s21
	v_ashrrev_i32_e32 v3, 31, v2
	s_load_dwordx2 s[16:17], s[0:1], 0x20
	s_load_dword s18, s[0:1], 0x38
	s_ashr_i32 s19, s19, 5
	v_lshrrev_b32_e32 v3, 27, v3
	s_add_i32 s21, s19, -1
	v_add_u32_e32 v3, v2, v3
	v_ashrrev_i32_e32 v3, 5, v3
	v_mov_b32_e32 v5, s21
	v_cmp_gt_i32_e32 vcc, s3, v2
	s_waitcnt lgkmcnt(0)
	s_mul_i32 s38, s2, s18
	s_mov_b32 s39, 0
	v_cndmask_b32_e32 v6, v5, v3, vcc
	v_ashrrev_i32_e32 v3, 31, v4
	v_lshrrev_b32_e32 v3, 27, v3
	v_add_u32_e32 v3, v4, v3
	s_lshl_b64 s[18:19], s[38:39], 2
	v_ashrrev_i32_e32 v3, 5, v3
	s_add_u32 s16, s16, s18
	v_min_i32_e32 v4, s21, v3
	s_addc_u32 s17, s17, s19
	v_ashrrev_i32_e32 v5, 31, v4
	v_add_u32_e32 v3, 1, v3
	v_ashrrev_i32_e32 v7, 31, v6
	v_lshl_add_u64 v[8:9], v[4:5], 2, s[16:17]
	v_min_i32_e32 v4, s21, v3
	v_lshl_add_u64 v[6:7], v[6:7], 2, s[16:17]
	v_ashrrev_i32_e32 v5, 31, v4
	v_lshl_add_u64 v[10:11], v[4:5], 2, s[16:17]
	global_load_dword v5, v[6:7], off
	global_load_dword v4, v[8:9], off
	;; [unrolled: 1-line block ×3, first 2 shown]
	s_load_dwordx2 s[34:35], s[0:1], 0x40
	s_load_dwordx4 s[16:19], s[0:1], 0x0
	s_load_dwordx2 s[28:29], s[0:1], 0x10
	s_andn2_b64 vcc, exec, s[10:11]
	s_cbranch_vccnz .LBB539_10
; %bb.9:
	s_add_u32 s8, s8, s36
	s_addc_u32 s9, s9, s37
	s_load_dword s38, s[8:9], 0x0
	s_waitcnt lgkmcnt(0)
	s_mov_b64 s[30:31], s[38:39]
.LBB539_10:
	s_load_dwordx4 s[8:11], s[0:1], 0x48
	v_lshrrev_b32_e32 v6, 2, v40
	v_lshlrev_b32_e32 v7, 3, v41
	v_add_lshl_u32 v6, v7, v6, 4
	v_mov_b32_e32 v31, 0
	s_waitcnt lgkmcnt(0)
	s_ashr_i32 s5, s8, 31
	s_mul_hi_u32 s11, s30, s8
	s_mul_i32 s5, s30, s5
	s_mul_i32 s21, s31, s8
	s_add_i32 s5, s11, s5
	s_mul_i32 s36, s30, s8
	s_add_i32 s37, s5, s21
	s_lshl_b64 s[30:31], s[36:37], 1
	s_add_u32 s5, s16, s30
	s_addc_u32 s8, s17, s31
	s_lshl_b32 s38, s4, 8
	s_lshl_b64 s[16:17], s[38:39], 1
	s_add_u32 s16, s5, s16
	s_addc_u32 s17, s8, s17
	global_load_dwordx4 v[36:39], v6, s[16:17]
	s_mul_i32 s38, s4, s10
	s_lshl_b64 s[4:5], s[38:39], 1
	s_add_u32 s10, s4, s18
	s_waitcnt vmcnt(3)
	v_mad_i64_i32 v[6:7], s[16:17], v5, s9, 0
	s_addc_u32 s11, s5, s19
	v_and_b32_e32 v5, 31, v0
	v_lshl_add_u64 v[6:7], v[6:7], 1, s[10:11]
	v_lshlrev_b32_e32 v30, 4, v5
	v_lshl_add_u64 v[32:33], v[6:7], 0, v[30:31]
	global_load_dwordx4 v[6:9], v[32:33], off
	global_load_dwordx4 v[10:13], v[32:33], off offset:512
	global_load_dwordx4 v[14:17], v[32:33], off offset:1024
	;; [unrolled: 1-line block ×7, first 2 shown]
	v_mov_b32_e32 v35, v31
	v_lshl_add_u64 v[32:33], v[34:35], 2, s[34:35]
	global_load_dword v35, v[32:33], off
	v_and_b32_e32 v56, -4, v2
	v_lshlrev_b32_e32 v5, 2, v0
	v_or_b32_e32 v58, 3, v2
	s_waitcnt vmcnt(11)
	v_mul_hi_i32 v2, v4, s9
	s_add_u32 s4, s28, s4
	v_and_or_b32 v60, v5, 48, v41
	s_waitcnt vmcnt(10)
	v_mul_hi_i32 v5, v3, s9
	v_ashrrev_i32_e32 v2, 31, v2
	s_addc_u32 s5, s29, s5
	v_lshlrev_b32_e32 v30, 6, v40
	v_ashrrev_i32_e32 v50, 31, v5
	v_lshl_add_u64 v[32:33], s[4:5], 0, v[30:31]
	v_lshrrev_b32_e32 v30, 29, v2
	v_mad_i64_i32 v[4:5], s[4:5], v4, s9, v[30:31]
	v_lshrrev_b32_e32 v30, 29, v50
	v_mad_i64_i32 v[2:3], s[4:5], v3, s9, v[30:31]
	v_lshlrev_b64 v[4:5], 1, v[4:5]
	v_lshlrev_b64 v[30:31], 1, v[2:3]
	v_and_b32_e32 v4, -16, v4
	v_and_b32_e32 v30, -16, v30
	v_lshl_add_u64 v[50:51], v[32:33], 0, v[30:31]
	s_load_dword s0, s[0:1], 0x1c
	v_cmp_eq_u32_e32 vcc, 0, v41
	v_subrev_u32_e32 v59, s3, v56
	v_add_u32_e32 v63, 1, v59
	v_cndmask_b32_e64 v52, 0, 1.0, vcc
	v_cmp_eq_u32_e32 vcc, 1, v41
	v_add_u32_e32 v64, 2, v59
	v_add_u32_e32 v65, 3, v59
	v_cndmask_b32_e64 v53, 0, 1.0, vcc
	v_cmp_eq_u32_e32 vcc, 2, v41
	v_mov_b32_e32 v57, 0xff7fffff
	v_or_b32_e32 v61, 1, v56
	v_cndmask_b32_e64 v54, 0, 1.0, vcc
	v_cmp_eq_u32_e32 vcc, 3, v41
	v_or_b32_e32 v62, 2, v56
	v_cmp_gt_i32_e64 s[4:5], s3, v62
	v_cndmask_b32_e64 v55, 0, 1.0, vcc
	v_cmp_gt_i32_e32 vcc, s3, v56
	v_cmp_gt_i32_e64 s[8:9], s3, v58
	s_waitcnt vmcnt(8)
	v_mfma_f32_4x4x4_16b_bf16 a[0:3], v[36:37], v[6:7], 0 cbsz:4
	s_nop 1
	v_mfma_f32_4x4x4_16b_bf16 a[0:3], v[38:39], v[8:9], a[0:3] cbsz:4
	s_waitcnt vmcnt(7)
	s_nop 0
	v_mfma_f32_4x4x4_16b_bf16 a[0:3], v[36:37], v[10:11], a[0:3] cbsz:4 abid:1
	s_nop 1
	v_mfma_f32_4x4x4_16b_bf16 a[0:3], v[38:39], v[12:13], a[0:3] cbsz:4 abid:1
	s_waitcnt vmcnt(6)
	s_nop 0
	v_mfma_f32_4x4x4_16b_bf16 a[0:3], v[36:37], v[14:15], a[0:3] cbsz:4 abid:2
	s_nop 1
	v_mfma_f32_4x4x4_16b_bf16 a[0:3], v[38:39], v[16:17], a[0:3] cbsz:4 abid:2
	s_waitcnt vmcnt(5)
	s_nop 0
	v_mfma_f32_4x4x4_16b_bf16 a[0:3], v[36:37], v[18:19], a[0:3] cbsz:4 abid:3
	v_lshl_add_u64 v[18:19], v[32:33], 0, v[4:5]
	global_load_dwordx4 v[2:5], v[18:19], off
	global_load_dwordx4 v[6:9], v[18:19], off offset:16
	v_mfma_f32_4x4x4_16b_bf16 a[0:3], v[38:39], v[20:21], a[0:3] cbsz:4 abid:3
	global_load_dwordx4 v[10:13], v[18:19], off offset:32
	global_load_dwordx4 v[14:17], v[18:19], off offset:48
	s_waitcnt vmcnt(8)
	v_mfma_f32_4x4x4_16b_bf16 a[0:3], v[36:37], v[22:23], a[0:3] cbsz:4 abid:4
	s_nop 1
	v_mfma_f32_4x4x4_16b_bf16 a[0:3], v[38:39], v[24:25], a[0:3] cbsz:4 abid:4
	global_load_dwordx4 v[18:21], v[50:51], off
	global_load_dwordx4 v[22:25], v[50:51], off offset:16
	s_waitcnt vmcnt(9)
	v_mfma_f32_4x4x4_16b_bf16 a[0:3], v[36:37], v[26:27], a[0:3] cbsz:4 abid:5
	s_nop 1
	v_mfma_f32_4x4x4_16b_bf16 a[0:3], v[38:39], v[28:29], a[0:3] cbsz:4 abid:5
	global_load_dwordx4 v[26:29], v[50:51], off offset:32
	global_load_dwordx4 v[30:33], v[50:51], off offset:48
	s_waitcnt vmcnt(10)
	v_mfma_f32_4x4x4_16b_bf16 a[0:3], v[36:37], v[42:43], a[0:3] cbsz:4 abid:6
	v_add_u32_e32 v42, 4, v59
	v_lshlrev_b32_e32 v43, 2, v60
	v_mfma_f32_4x4x4_16b_bf16 a[0:3], v[38:39], v[44:45], a[0:3] cbsz:4 abid:6
	v_cvt_f32_i32_e32 v44, v63
	s_waitcnt vmcnt(9)
	v_mfma_f32_4x4x4_16b_bf16 a[0:3], v[36:37], v[46:47], a[0:3] cbsz:4 abid:7
	s_nop 1
	v_mfma_f32_4x4x4_16b_bf16 a[0:3], v[38:39], v[48:49], a[0:3] cbsz:4 abid:7
	s_nop 4
	v_accvgpr_read_b32 v37, a1
	v_accvgpr_read_b32 v36, a0
	s_waitcnt lgkmcnt(0)
	v_pk_mul_f32 v[36:37], s[0:1], v[36:37] op_sel_hi:[0,1]
	v_accvgpr_read_b32 v39, a3
	v_accvgpr_read_b32 v38, a2
	v_pk_mul_f32 v[38:39], s[0:1], v[38:39] op_sel_hi:[0,1]
	v_mfma_f32_4x4x1_16b_f32 a[0:3], v36, v52, 0
	v_cvt_f32_i32_e32 v36, v64
	s_nop 0
	v_mfma_f32_4x4x1_16b_f32 a[0:3], v37, v53, a[0:3]
	v_cvt_f32_i32_e32 v37, v65
	v_cmp_gt_i32_e64 s[0:1], s3, v61
	v_mfma_f32_4x4x1_16b_f32 a[0:3], v38, v54, a[0:3]
	v_cvt_f32_i32_e32 v38, v42
	s_nop 0
	v_mfma_f32_4x4x1_16b_f32 a[0:3], v39, v55, a[0:3]
	s_nop 3
	v_accvgpr_read_b32 v39, a0
	v_accvgpr_read_b32 v42, a1
	;; [unrolled: 1-line block ×4, first 2 shown]
	s_waitcnt vmcnt(8)
	v_fma_f32 v39, v35, v44, v39
	v_fma_f32 v36, v35, v36, v42
	;; [unrolled: 1-line block ×3, first 2 shown]
	v_fmac_f32_e32 v46, v35, v38
	v_max_f32_e32 v35, 0xff7fffff, v39
	v_cndmask_b32_e32 v35, v57, v35, vcc
	v_max_f32_e32 v38, v35, v36
	v_cndmask_b32_e64 v35, v35, v38, s[0:1]
	v_max_f32_e32 v38, v35, v37
	v_cndmask_b32_e64 v35, v35, v38, s[4:5]
	;; [unrolled: 2-line block ×3, first 2 shown]
	;;#ASMSTART
	v_nop
 v_nop
 v_max_f32_dpp v35, v35, v35 row_ror:4
	;;#ASMEND
	s_nop 0
	;;#ASMSTART
	v_nop
 v_nop
 v_max_f32_dpp v35, v35, v35 row_ror:8
	;;#ASMEND
	ds_bpermute_b32 v35, v43, v35
	s_waitcnt lgkmcnt(0)
	;;#ASMSTART
	v_nop
 v_nop
 v_max_f32_dpp v35, v35, v35 row_ror:4
	;;#ASMEND
	s_nop 0
	;;#ASMSTART
	v_nop
 v_nop
 v_max_f32_dpp v42, v35, v35 row_ror:8
	;;#ASMEND
	s_nop 0
	v_sub_f32_e32 v35, v39, v42
	v_sub_f32_e32 v36, v36, v42
	v_mul_f32_e32 v35, 0x3fb8aa3b, v35
	v_sub_f32_e32 v37, v37, v42
	v_mul_f32_e32 v36, 0x3fb8aa3b, v36
	v_exp_f32_e32 v35, v35
	v_sub_f32_e32 v38, v46, v42
	v_mul_f32_e32 v37, 0x3fb8aa3b, v37
	v_exp_f32_e32 v39, v36
	v_mul_f32_e32 v38, 0x3fb8aa3b, v38
	v_exp_f32_e32 v44, v37
	v_exp_f32_e32 v45, v38
	v_cndmask_b32_e32 v36, 0, v35, vcc
	v_cndmask_b32_e64 v37, 0, v39, s[0:1]
	v_add_f32_e32 v35, 0, v36
	v_cndmask_b32_e64 v38, 0, v44, s[4:5]
	v_add_f32_e32 v35, v35, v37
	;; [unrolled: 2-line block ×3, first 2 shown]
	v_add_f32_e32 v35, v35, v39
	;;#ASMSTART
	v_nop
 v_nop
 v_add_f32_dpp v35, v35, v35 row_ror:4
	;;#ASMEND
	v_cmp_gt_u32_e32 vcc, 4, v40
	;;#ASMSTART
	v_nop
 v_nop
 v_add_f32_dpp v35, v35, v35 row_ror:8
	;;#ASMEND
	ds_bpermute_b32 v35, v43, v35
	s_waitcnt lgkmcnt(0)
	;;#ASMSTART
	v_nop
 v_nop
 v_add_f32_dpp v35, v35, v35 row_ror:4
	;;#ASMEND
	s_nop 0
	;;#ASMSTART
	v_nop
 v_nop
 v_add_f32_dpp v35, v35, v35 row_ror:8
	;;#ASMEND
	s_and_saveexec_b64 s[0:1], vcc
	s_cbranch_execz .LBB539_12
; %bb.11:
	v_mul_u32_u24_e32 v43, 20, v1
	v_lshl_add_u32 v43, v41, 2, v43
	v_add_u32_e32 v43, 0x800, v43
	ds_write2_b32 v43, v42, v35 offset0:128 offset1:148
.LBB539_12:
	s_or_b64 exec, exec, s[0:1]
.LBB539_13:
	s_or_b64 exec, exec, s[26:27]
	v_lshlrev_b32_e32 v35, 2, v41
	v_add_u32_e32 v35, 0x800, v35
	s_waitcnt lgkmcnt(0)
	s_barrier
	s_load_dword s0, s[24:25], 0x8
	ds_read2_b32 v[44:45], v35 offset0:128 offset1:133
	ds_read2_b32 v[46:47], v35 offset0:138 offset1:143
	s_mov_b32 s4, 0xff7fffff
	s_mul_i32 s1, s2, s40
	ds_read2_b32 v[48:49], v35 offset0:148 offset1:153
	s_waitcnt lgkmcnt(0)
	v_max3_f32 v41, v44, s4, v45
	s_mul_i32 s1, s1, s0
	v_max3_f32 v41, v41, v46, v47
	s_lshl_b32 s0, s1, 2
	s_mov_b32 s1, 0
	v_sub_f32_e32 v43, v44, v41
	v_sub_f32_e32 v44, v45, v41
	s_lshl_b64 s[2:3], s[0:1], 2
	v_mul_f32_e32 v43, 0x3fb8aa3b, v43
	v_mul_f32_e32 v44, 0x3fb8aa3b, v44
	s_mov_b32 s21, s1
	s_add_u32 s1, s12, s2
	v_exp_f32_e32 v43, v43
	v_exp_f32_e32 v50, v44
	ds_read2_b32 v[44:45], v35 offset0:158 offset1:163
	v_sub_f32_e32 v35, v46, v41
	s_addc_u32 s8, s13, s3
	v_mul_f32_e32 v35, 0x3fb8aa3b, v35
	v_sub_f32_e32 v46, v47, v41
	s_add_u32 s4, s14, s2
	v_exp_f32_e32 v35, v35
	v_mul_f32_e32 v46, 0x3fb8aa3b, v46
	s_addc_u32 s5, s15, s3
	s_lshl_b64 s[2:3], s[20:21], 2
	v_exp_f32_e32 v46, v46
	s_add_u32 s4, s4, s2
	v_fma_f32 v43, v43, v48, 0
	s_addc_u32 s5, s5, s3
	v_fmac_f32_e32 v43, v50, v49
	s_waitcnt lgkmcnt(0)
	v_fmac_f32_e32 v43, v35, v44
	s_add_u32 s2, s1, s2
	v_mul_lo_u32 v34, s40, v34
	v_mov_b32_e32 v35, 0
	v_fmac_f32_e32 v43, v46, v45
	s_addc_u32 s3, s8, s3
	v_lshlrev_b64 v[44:45], 2, v[34:35]
	v_lshl_add_u64 v[46:47], s[4:5], 0, v[44:45]
	v_lshl_add_u64 v[44:45], s[2:3], 0, v[44:45]
	v_mov_b32_e32 v34, v35
	global_store_dword v[46:47], v41, off
	global_store_dword v[44:45], v43, off
	s_and_saveexec_b64 s[2:3], s[6:7]
	s_cbranch_execz .LBB539_15
; %bb.14:
	v_add_f32_e32 v34, 0x358637bd, v43
	v_div_scale_f32 v35, s[4:5], v34, v34, 1.0
	v_rcp_f32_e32 v43, v35
	v_div_scale_f32 v44, vcc, 1.0, v34, 1.0
	v_sub_f32_e32 v41, v42, v41
	v_fma_f32 v45, -v35, v43, 1.0
	v_fmac_f32_e32 v43, v45, v43
	v_mul_f32_e32 v45, v44, v43
	v_fma_f32 v46, -v35, v45, v44
	v_mul_f32_e32 v41, 0x3fb8aa3b, v41
	v_fmac_f32_e32 v45, v46, v43
	v_exp_f32_e32 v41, v41
	v_fma_f32 v35, -v35, v45, v44
	v_div_fmas_f32 v35, v35, v43, v45
	v_div_fixup_f32 v34, v35, v34, 1.0
	v_mul_f32_e32 v34, v41, v34
	v_pk_mul_f32 v[38:39], v[38:39], v[34:35] op_sel_hi:[1,0]
	v_pk_mul_f32 v[34:35], v[36:37], v[34:35] op_sel_hi:[1,0]
	s_movk_i32 s1, 0x7fff
	v_bfe_u32 v36, v35, 16, 1
	v_bfe_u32 v37, v34, 16, 1
	v_add3_u32 v34, v34, v37, s1
	v_add3_u32 v35, v35, v36, s1
	s_mov_b32 s4, 0x7060302
	v_perm_b32 v34, v35, v34, s4
	v_bfe_u32 v35, v39, 16, 1
	v_bfe_u32 v36, v38, 16, 1
	v_add3_u32 v36, v38, v36, s1
	v_add3_u32 v35, v39, v35, s1
	v_perm_b32 v35, v35, v36, s4
	s_waitcnt vmcnt(9)
	s_nop 0
	v_mfma_f32_4x4x4_16b_bf16 a[0:3], v[34:35], v[2:3], 0 cbsz:4
	s_nop 1
	v_mfma_f32_4x4x4_16b_bf16 a[0:3], v[34:35], v[4:5], a[0:3] cbsz:4 abid:1
	s_waitcnt vmcnt(8)
	s_nop 0
	v_mfma_f32_4x4x4_16b_bf16 a[0:3], v[34:35], v[6:7], a[0:3] cbsz:4 abid:2
	s_nop 1
	v_mfma_f32_4x4x4_16b_bf16 a[0:3], v[34:35], v[8:9], a[0:3] cbsz:4 abid:3
	s_waitcnt vmcnt(7)
	s_nop 0
	v_mfma_f32_4x4x4_16b_bf16 a[0:3], v[34:35], v[10:11], a[0:3] cbsz:4 abid:4
	s_nop 1
	v_mfma_f32_4x4x4_16b_bf16 a[0:3], v[34:35], v[12:13], a[0:3] cbsz:4 abid:5
	s_waitcnt vmcnt(6)
	s_nop 0
	v_mfma_f32_4x4x4_16b_bf16 a[0:3], v[34:35], v[14:15], a[0:3] cbsz:4 abid:6
	s_nop 1
	v_mfma_f32_4x4x4_16b_bf16 a[0:3], v[34:35], v[16:17], a[0:3] cbsz:4 abid:7
	s_waitcnt vmcnt(5)
	s_nop 0
	v_mfma_f32_4x4x4_16b_bf16 a[0:3], v[34:35], v[18:19], a[0:3] cbsz:4 abid:8
	s_nop 1
	v_mfma_f32_4x4x4_16b_bf16 a[0:3], v[34:35], v[20:21], a[0:3] cbsz:4 abid:9
	s_waitcnt vmcnt(4)
	s_nop 0
	v_mfma_f32_4x4x4_16b_bf16 a[0:3], v[34:35], v[22:23], a[0:3] cbsz:4 abid:10
	s_nop 1
	v_mfma_f32_4x4x4_16b_bf16 a[0:3], v[34:35], v[24:25], a[0:3] cbsz:4 abid:11
	s_waitcnt vmcnt(3)
	s_nop 0
	v_mfma_f32_4x4x4_16b_bf16 a[0:3], v[34:35], v[26:27], a[0:3] cbsz:4 abid:12
	s_nop 1
	v_mfma_f32_4x4x4_16b_bf16 a[0:3], v[34:35], v[28:29], a[0:3] cbsz:4 abid:13
	s_waitcnt vmcnt(2)
	s_nop 0
	v_mfma_f32_4x4x4_16b_bf16 a[0:3], v[34:35], v[30:31], a[0:3] cbsz:4 abid:14
	s_nop 1
	v_mfma_f32_4x4x4_16b_bf16 a[0:3], v[34:35], v[32:33], a[0:3] cbsz:4 abid:15
	s_nop 4
	v_accvgpr_read_b32 v5, a1
	v_accvgpr_read_b32 v2, a2
	;; [unrolled: 1-line block ×4, first 2 shown]
	v_bfe_u32 v6, v5, 16, 1
	v_bfe_u32 v7, v4, 16, 1
	;; [unrolled: 1-line block ×3, first 2 shown]
	v_add3_u32 v5, v5, v6, s1
	v_bfe_u32 v6, v2, 16, 1
	v_add3_u32 v4, v4, v7, s1
	v_add3_u32 v2, v2, v6, s1
	;; [unrolled: 1-line block ×3, first 2 shown]
	v_perm_b32 v35, v3, v2, s4
	v_perm_b32 v34, v5, v4, s4
.LBB539_15:
	s_or_b64 exec, exec, s[2:3]
	v_lshlrev_b32_e32 v1, 3, v1
	v_mad_u32_u24 v1, v40, 40, v1
	v_cmp_gt_u32_e32 vcc, 64, v0
	ds_write_b64 v1, v[34:35]
	s_waitcnt lgkmcnt(0)
	s_barrier
	s_and_saveexec_b64 s[2:3], vcc
	s_cbranch_execz .LBB539_17
; %bb.16:
	v_mul_u32_u24_e32 v1, 40, v40
	s_waitcnt vmcnt(9)
	ds_read2_b64 v[2:5], v1 offset1:1
	s_waitcnt vmcnt(8)
	ds_read2_b64 v[6:9], v1 offset0:2 offset1:3
	s_mov_b32 s1, 0
	s_lshl_b32 s0, s0, 6
	s_lshl_b64 s[2:3], s[0:1], 1
	s_waitcnt lgkmcnt(1)
	v_lshlrev_b32_e32 v1, 16, v2
	v_and_b32_e32 v2, 0xffff0000, v2
	v_add_f32_e32 v1, 0, v1
	v_add_f32_e32 v2, 0, v2
	s_waitcnt vmcnt(7)
	v_lshlrev_b32_e32 v10, 16, v3
	v_and_b32_e32 v3, 0xffff0000, v3
	v_and_b32_e32 v1, 0xffff0000, v1
	;; [unrolled: 1-line block ×3, first 2 shown]
	v_add_f32_e32 v3, 0, v3
	v_lshlrev_b32_e32 v11, 16, v4
	v_and_b32_e32 v4, 0xffff0000, v4
	v_add_f32_e32 v10, 0, v10
	v_and_b32_e32 v3, 0xffff0000, v3
	v_add_f32_e32 v1, v1, v11
	v_add_f32_e32 v2, v2, v4
	v_lshlrev_b32_e32 v4, 16, v5
	v_and_b32_e32 v5, 0xffff0000, v5
	v_and_b32_e32 v10, 0xffff0000, v10
	;; [unrolled: 1-line block ×3, first 2 shown]
	v_add_f32_e32 v3, v3, v5
	s_waitcnt lgkmcnt(0)
	v_lshlrev_b32_e32 v5, 16, v6
	v_and_b32_e32 v2, 0xffff0000, v2
	v_add_f32_e32 v4, v10, v4
	v_add_f32_e32 v1, v1, v5
	v_and_b32_e32 v5, 0xffff0000, v6
	v_and_b32_e32 v4, 0xffff0000, v4
	v_add_f32_e32 v2, v2, v5
	v_lshlrev_b32_e32 v5, 16, v7
	s_add_u32 s2, s22, s2
	v_and_b32_e32 v3, 0xffff0000, v3
	v_add_f32_e32 v4, v4, v5
	v_and_b32_e32 v5, 0xffff0000, v7
	s_addc_u32 s3, s23, s3
	s_lshl_b32 s0, s20, 6
	v_and_b32_e32 v1, 0xffff0000, v1
	v_add_f32_e32 v3, v3, v5
	v_lshlrev_b32_e32 v5, 16, v8
	s_lshl_b64 s[0:1], s[0:1], 1
	v_and_b32_e32 v2, 0xffff0000, v2
	v_add_f32_e32 v1, v1, v5
	v_and_b32_e32 v5, 0xffff0000, v8
	s_add_u32 s0, s2, s0
	v_and_b32_e32 v4, 0xffff0000, v4
	v_add_f32_e32 v6, v2, v5
	v_lshlrev_b32_e32 v2, 16, v9
	s_addc_u32 s1, s3, s1
	s_lshl_b32 s2, s40, 6
	v_and_b32_e32 v3, 0xffff0000, v3
	v_add_f32_e32 v7, v4, v2
	v_and_b32_e32 v2, 0xffff0000, v9
	s_mul_i32 s3, s2, s33
	v_add_f32_e32 v8, v3, v2
	v_or_b32_e32 v2, s3, v0
	v_mov_b32_e32 v3, 0
	s_add_i32 s3, s3, s2
	v_lshl_add_u64 v[4:5], v[2:3], 1, s[0:1]
	v_or_b32_e32 v2, s3, v0
	s_add_i32 s3, s3, s2
	global_store_short_d16_hi v[4:5], v1, off
	v_lshl_add_u64 v[4:5], v[2:3], 1, s[0:1]
	v_or_b32_e32 v2, s3, v0
	s_add_i32 s3, s3, s2
	global_store_short_d16_hi v[4:5], v6, off
	v_lshl_add_u64 v[4:5], v[2:3], 1, s[0:1]
	v_or_b32_e32 v2, s3, v0
	v_lshl_add_u64 v[0:1], v[2:3], 1, s[0:1]
	global_store_short_d16_hi v[4:5], v7, off
	global_store_short_d16_hi v[0:1], v8, off
.LBB539_17:
	s_endpgm
.LBB539_18:
	s_mov_b64 s[12:13], 0
                                        ; implicit-def: $sgpr30_sgpr31
	s_branch .LBB539_2
	.section	.rodata,"a",@progbits
	.p2align	6, 0x0
	.amdhsa_kernel _Z38paged_attention_ll4mi_QKV_mfma4_kernelI14__hip_bfloat16S0_LN4vllm18Fp8KVCacheDataTypeE0ES0_Li32ELi64ELi256ELb1ELi4EEvPKT_PKT0_S8_ifPKiSA_SA_iPKfiiiPfSD_PS3_PT2_iSC_SC_
		.amdhsa_group_segment_fixed_size 2720
		.amdhsa_private_segment_fixed_size 0
		.amdhsa_kernarg_size 400
		.amdhsa_user_sgpr_count 2
		.amdhsa_user_sgpr_dispatch_ptr 0
		.amdhsa_user_sgpr_queue_ptr 0
		.amdhsa_user_sgpr_kernarg_segment_ptr 1
		.amdhsa_user_sgpr_dispatch_id 0
		.amdhsa_user_sgpr_kernarg_preload_length 0
		.amdhsa_user_sgpr_kernarg_preload_offset 0
		.amdhsa_user_sgpr_private_segment_size 0
		.amdhsa_uses_dynamic_stack 0
		.amdhsa_enable_private_segment 0
		.amdhsa_system_sgpr_workgroup_id_x 1
		.amdhsa_system_sgpr_workgroup_id_y 1
		.amdhsa_system_sgpr_workgroup_id_z 1
		.amdhsa_system_sgpr_workgroup_info 0
		.amdhsa_system_vgpr_workitem_id 0
		.amdhsa_next_free_vgpr 72
		.amdhsa_next_free_sgpr 41
		.amdhsa_accum_offset 68
		.amdhsa_reserve_vcc 1
		.amdhsa_float_round_mode_32 0
		.amdhsa_float_round_mode_16_64 0
		.amdhsa_float_denorm_mode_32 3
		.amdhsa_float_denorm_mode_16_64 3
		.amdhsa_dx10_clamp 1
		.amdhsa_ieee_mode 1
		.amdhsa_fp16_overflow 0
		.amdhsa_tg_split 0
		.amdhsa_exception_fp_ieee_invalid_op 0
		.amdhsa_exception_fp_denorm_src 0
		.amdhsa_exception_fp_ieee_div_zero 0
		.amdhsa_exception_fp_ieee_overflow 0
		.amdhsa_exception_fp_ieee_underflow 0
		.amdhsa_exception_fp_ieee_inexact 0
		.amdhsa_exception_int_div_zero 0
	.end_amdhsa_kernel
	.section	.text._Z38paged_attention_ll4mi_QKV_mfma4_kernelI14__hip_bfloat16S0_LN4vllm18Fp8KVCacheDataTypeE0ES0_Li32ELi64ELi256ELb1ELi4EEvPKT_PKT0_S8_ifPKiSA_SA_iPKfiiiPfSD_PS3_PT2_iSC_SC_,"axG",@progbits,_Z38paged_attention_ll4mi_QKV_mfma4_kernelI14__hip_bfloat16S0_LN4vllm18Fp8KVCacheDataTypeE0ES0_Li32ELi64ELi256ELb1ELi4EEvPKT_PKT0_S8_ifPKiSA_SA_iPKfiiiPfSD_PS3_PT2_iSC_SC_,comdat
.Lfunc_end539:
	.size	_Z38paged_attention_ll4mi_QKV_mfma4_kernelI14__hip_bfloat16S0_LN4vllm18Fp8KVCacheDataTypeE0ES0_Li32ELi64ELi256ELb1ELi4EEvPKT_PKT0_S8_ifPKiSA_SA_iPKfiiiPfSD_PS3_PT2_iSC_SC_, .Lfunc_end539-_Z38paged_attention_ll4mi_QKV_mfma4_kernelI14__hip_bfloat16S0_LN4vllm18Fp8KVCacheDataTypeE0ES0_Li32ELi64ELi256ELb1ELi4EEvPKT_PKT0_S8_ifPKiSA_SA_iPKfiiiPfSD_PS3_PT2_iSC_SC_
                                        ; -- End function
	.section	.AMDGPU.csdata,"",@progbits
; Kernel info:
; codeLenInByte = 3392
; NumSgprs: 47
; NumVgprs: 66
; NumAgprs: 4
; TotalNumVgprs: 72
; ScratchSize: 0
; MemoryBound: 0
; FloatMode: 240
; IeeeMode: 1
; LDSByteSize: 2720 bytes/workgroup (compile time only)
; SGPRBlocks: 5
; VGPRBlocks: 8
; NumSGPRsForWavesPerEU: 47
; NumVGPRsForWavesPerEU: 72
; AccumOffset: 68
; Occupancy: 7
; WaveLimiterHint : 1
; COMPUTE_PGM_RSRC2:SCRATCH_EN: 0
; COMPUTE_PGM_RSRC2:USER_SGPR: 2
; COMPUTE_PGM_RSRC2:TRAP_HANDLER: 0
; COMPUTE_PGM_RSRC2:TGID_X_EN: 1
; COMPUTE_PGM_RSRC2:TGID_Y_EN: 1
; COMPUTE_PGM_RSRC2:TGID_Z_EN: 1
; COMPUTE_PGM_RSRC2:TIDIG_COMP_CNT: 0
; COMPUTE_PGM_RSRC3_GFX90A:ACCUM_OFFSET: 16
; COMPUTE_PGM_RSRC3_GFX90A:TG_SPLIT: 0
	.section	.text._Z39paged_attention_ll4mi_QKV_mfma16_kernelI14__hip_bfloat16S0_LN4vllm18Fp8KVCacheDataTypeE0ES0_Li32ELi64ELi256ELb1ELi5EEvPKT_PKT0_S8_ifPKiSA_SA_iPKfiiiPfSD_PS3_PT2_iSC_SC_,"axG",@progbits,_Z39paged_attention_ll4mi_QKV_mfma16_kernelI14__hip_bfloat16S0_LN4vllm18Fp8KVCacheDataTypeE0ES0_Li32ELi64ELi256ELb1ELi5EEvPKT_PKT0_S8_ifPKiSA_SA_iPKfiiiPfSD_PS3_PT2_iSC_SC_,comdat
	.protected	_Z39paged_attention_ll4mi_QKV_mfma16_kernelI14__hip_bfloat16S0_LN4vllm18Fp8KVCacheDataTypeE0ES0_Li32ELi64ELi256ELb1ELi5EEvPKT_PKT0_S8_ifPKiSA_SA_iPKfiiiPfSD_PS3_PT2_iSC_SC_ ; -- Begin function _Z39paged_attention_ll4mi_QKV_mfma16_kernelI14__hip_bfloat16S0_LN4vllm18Fp8KVCacheDataTypeE0ES0_Li32ELi64ELi256ELb1ELi5EEvPKT_PKT0_S8_ifPKiSA_SA_iPKfiiiPfSD_PS3_PT2_iSC_SC_
	.globl	_Z39paged_attention_ll4mi_QKV_mfma16_kernelI14__hip_bfloat16S0_LN4vllm18Fp8KVCacheDataTypeE0ES0_Li32ELi64ELi256ELb1ELi5EEvPKT_PKT0_S8_ifPKiSA_SA_iPKfiiiPfSD_PS3_PT2_iSC_SC_
	.p2align	8
	.type	_Z39paged_attention_ll4mi_QKV_mfma16_kernelI14__hip_bfloat16S0_LN4vllm18Fp8KVCacheDataTypeE0ES0_Li32ELi64ELi256ELb1ELi5EEvPKT_PKT0_S8_ifPKiSA_SA_iPKfiiiPfSD_PS3_PT2_iSC_SC_,@function
_Z39paged_attention_ll4mi_QKV_mfma16_kernelI14__hip_bfloat16S0_LN4vllm18Fp8KVCacheDataTypeE0ES0_Li32ELi64ELi256ELb1ELi5EEvPKT_PKT0_S8_ifPKiSA_SA_iPKfiiiPfSD_PS3_PT2_iSC_SC_: ; @_Z39paged_attention_ll4mi_QKV_mfma16_kernelI14__hip_bfloat16S0_LN4vllm18Fp8KVCacheDataTypeE0ES0_Li32ELi64ELi256ELb1ELi5EEvPKT_PKT0_S8_ifPKiSA_SA_iPKfiiiPfSD_PS3_PT2_iSC_SC_
; %bb.0:
	s_load_dwordx2 s[6:7], s[0:1], 0x30
	s_mov_b32 s28, s3
	s_mov_b64 s[8:9], 0
	s_waitcnt lgkmcnt(0)
	s_cmp_lg_u64 s[6:7], 0
	s_cselect_b64 s[10:11], -1, 0
	s_and_b64 vcc, exec, s[10:11]
	s_cbranch_vccz .LBB540_7
; %bb.1:
	s_add_i32 s12, s2, 1
	s_mov_b32 s13, 0
	s_lshl_b64 s[14:15], s[12:13], 2
	s_add_u32 s14, s6, s14
	s_mov_b32 s3, s13
	s_addc_u32 s15, s7, s15
	s_lshl_b64 s[12:13], s[2:3], 2
	s_add_u32 s12, s6, s12
	s_addc_u32 s13, s7, s13
	s_load_dword s5, s[14:15], 0x0
	s_load_dword s16, s[12:13], 0x0
	s_waitcnt lgkmcnt(0)
	s_sub_i32 s5, s5, s16
	s_cmp_eq_u32 s5, 1
	s_cselect_b64 s[12:13], -1, 0
	s_andn2_b64 vcc, exec, s[8:9]
	s_cbranch_vccnz .LBB540_3
.LBB540_2:
	s_mov_b32 s3, 0
	s_mov_b64 s[12:13], -1
.LBB540_3:
	s_andn2_b64 vcc, exec, s[12:13]
	s_cbranch_vccnz .LBB540_22
; %bb.4:
	s_load_dwordx2 s[8:9], s[0:1], 0x28
	s_lshl_b64 s[12:13], s[2:3], 2
	s_waitcnt lgkmcnt(0)
	s_add_u32 s8, s8, s12
	s_addc_u32 s9, s9, s13
	s_load_dword s29, s[8:9], 0x0
	s_lshl_b32 s14, s28, 8
	s_waitcnt lgkmcnt(0)
	s_cmp_ge_i32 s14, s29
	s_cbranch_scc1 .LBB540_22
; %bb.5:
	s_load_dwordx2 s[8:9], s[0:1], 0x20
	s_load_dword s5, s[0:1], 0x38
	s_add_i32 s15, s29, 31
	s_ashr_i32 s16, s15, 31
	v_and_b32_e32 v1, 0xcf, v0
	s_lshr_b32 s16, s16, 27
	v_add_u32_e32 v1, s14, v1
	s_add_i32 s15, s15, s16
	v_ashrrev_i32_e32 v2, 31, v1
	s_ashr_i32 s15, s15, 5
	v_lshrrev_b32_e32 v6, 27, v2
	s_add_i32 s15, s15, -1
	s_waitcnt lgkmcnt(0)
	s_mul_i32 s16, s2, s5
	s_mov_b32 s17, 0
	v_add_u32_e32 v2, v1, v6
	s_lshl_b64 s[16:17], s[16:17], 2
	v_ashrrev_i32_e32 v2, 5, v2
	v_mov_b32_e32 v7, s15
	v_cmp_gt_i32_e32 vcc, s29, v1
	s_add_u32 s8, s8, s16
	s_addc_u32 s9, s9, s17
	v_cndmask_b32_e32 v2, v7, v2, vcc
	v_ashrrev_i32_e32 v3, 31, v2
	v_lshl_add_u64 v[4:5], v[2:3], 2, s[8:9]
	v_or_b32_e32 v2, 16, v1
	v_add_u32_e32 v3, v2, v6
	v_ashrrev_i32_e32 v3, 5, v3
	v_cmp_gt_i32_e32 vcc, s29, v2
	s_nop 1
	v_cndmask_b32_e32 v2, v7, v3, vcc
	v_ashrrev_i32_e32 v3, 31, v2
	v_lshl_add_u64 v[8:9], v[2:3], 2, s[8:9]
	v_or_b32_e32 v2, 32, v1
	v_add_u32_e32 v3, v2, v6
	v_ashrrev_i32_e32 v3, 5, v3
	v_cmp_gt_i32_e32 vcc, s29, v2
	v_or_b32_e32 v1, 48, v1
	s_nop 0
	v_cndmask_b32_e32 v2, v7, v3, vcc
	v_ashrrev_i32_e32 v3, 31, v2
	v_lshl_add_u64 v[12:13], v[2:3], 2, s[8:9]
	v_add_u32_e32 v2, v1, v6
	v_ashrrev_i32_e32 v2, 5, v2
	v_cmp_gt_i32_e32 vcc, s29, v1
	s_nop 1
	v_cndmask_b32_e32 v2, v7, v2, vcc
	v_ashrrev_i32_e32 v3, 31, v2
	v_lshl_add_u64 v[16:17], v[2:3], 2, s[8:9]
	global_load_dword v2, v[4:5], off
	global_load_dword v6, v[8:9], off
	;; [unrolled: 1-line block ×4, first 2 shown]
	s_andn2_b64 vcc, exec, s[10:11]
	s_cbranch_vccnz .LBB540_8
; %bb.6:
	s_add_u32 s6, s6, s12
	s_addc_u32 s7, s7, s13
	s_load_dword s5, s[6:7], 0x0
	s_branch .LBB540_9
.LBB540_7:
	s_mov_b64 s[12:13], 0
	s_branch .LBB540_2
.LBB540_8:
	s_mov_b32 s5, s2
.LBB540_9:
	s_load_dwordx2 s[10:11], s[0:1], 0x8
	s_load_dwordx4 s[44:47], s[0:1], 0x48
	v_lshrrev_b32_e32 v1, 6, v0
	v_bfe_u32 v54, v0, 4, 2
	v_lshl_or_b32 v3, v1, 2, v54
	v_and_b32_e32 v44, 15, v0
	v_cmp_lt_u32_e32 vcc, 4, v3
	v_cmp_lt_u32_e64 s[6:7], 7, v44
	v_lshlrev_b32_e32 v42, 3, v44
	v_cmp_gt_u32_e64 s[30:31], 8, v44
	s_or_b64 s[6:7], s[6:7], vcc
	s_and_saveexec_b64 s[12:13], s[6:7]
	s_xor_b64 s[6:7], exec, s[12:13]
; %bb.10:
	v_mov_b32_e32 v43, 0
                                        ; implicit-def: $vgpr3
; %bb.11:
	s_or_saveexec_b64 s[12:13], s[6:7]
	s_load_dwordx2 s[6:7], s[0:1], 0x10
	s_mul_i32 s42, s4, 5
	s_xor_b64 exec, exec, s[12:13]
	s_cbranch_execz .LBB540_13
; %bb.12:
	s_load_dwordx2 s[16:17], s[0:1], 0x0
	s_waitcnt lgkmcnt(0)
	s_ashr_i32 s18, s44, 31
	s_mul_hi_u32 s19, s5, s44
	s_mul_i32 s18, s5, s18
	s_add_i32 s19, s19, s18
	s_mul_i32 s18, s5, s44
	s_lshl_b64 s[18:19], s[18:19], 1
	s_add_u32 s16, s16, s18
	v_add_lshl_u32 v4, v3, s42, 6
	s_addc_u32 s17, s17, s19
	v_ashrrev_i32_e32 v5, 31, v4
	v_mov_b32_e32 v43, 0
	v_lshl_add_u64 v[4:5], v[4:5], 1, s[16:17]
	v_lshlrev_b32_e32 v8, 1, v42
	v_mov_b32_e32 v9, v43
	v_lshl_add_u64 v[4:5], v[4:5], 0, v[8:9]
	global_load_dwordx4 v[16:19], v[4:5], off
	v_and_b32_e32 v4, 3, v0
	v_lshlrev_b32_e32 v5, 9, v44
	v_lshlrev_b32_e32 v3, 5, v3
	v_lshlrev_b32_e32 v4, 9, v4
	v_and_b32_e32 v5, 0x1800, v5
	v_or3_b32 v3, v5, v4, v3
	s_waitcnt vmcnt(0)
	ds_write_b128 v3, v[16:19]
.LBB540_13:
	s_or_b64 exec, exec, s[12:13]
	s_waitcnt lgkmcnt(0)
	s_mul_i32 s4, s4, s46
	s_mov_b32 s5, 0
	s_lshl_b64 s[4:5], s[4:5], 1
	s_add_u32 s10, s10, s4
	s_addc_u32 s11, s11, s5
	s_waitcnt vmcnt(3)
	v_mad_i64_i32 v[2:3], s[12:13], v2, s45, 0
	v_lshl_add_u64 v[2:3], v[2:3], 1, s[10:11]
	v_lshlrev_b64 v[12:13], 1, v[42:43]
	v_lshlrev_b32_e32 v46, 9, v54
	v_lshl_add_u64 v[2:3], v[2:3], 0, v[12:13]
	v_mov_b32_e32 v47, 0
	v_lshl_add_u64 v[8:9], v[2:3], 0, v[46:47]
	s_barrier
	global_load_dwordx4 v[22:25], v[8:9], off
	global_load_dwordx4 v[2:5], v[8:9], off offset:2048
	s_waitcnt vmcnt(4)
	v_mad_i64_i32 v[6:7], s[12:13], v6, s45, 0
	v_mov_b32_e32 v8, 0x100
	v_lshl_add_u64 v[6:7], v[6:7], 1, s[10:11]
	v_lshl_or_b32 v16, v44, 4, v8
	v_mov_b32_e32 v17, v47
	s_waitcnt vmcnt(3)
	v_mad_i64_i32 v[10:11], s[12:13], v10, s45, 0
	v_lshl_add_u64 v[6:7], v[6:7], 0, v[16:17]
	v_lshl_add_u64 v[10:11], v[10:11], 1, s[10:11]
	s_waitcnt vmcnt(2)
	v_mad_i64_i32 v[14:15], s[12:13], v14, s45, 0
	v_lshl_add_u64 v[18:19], v[6:7], 0, v[46:47]
	v_lshl_add_u64 v[10:11], v[10:11], 0, v[12:13]
	;; [unrolled: 1-line block ×3, first 2 shown]
	global_load_dwordx4 v[26:29], v[18:19], off
	global_load_dwordx4 v[6:9], v[18:19], off offset:2048
	v_lshl_add_u64 v[18:19], v[10:11], 0, v[46:47]
	v_lshl_add_u64 v[14:15], v[14:15], 0, v[16:17]
	global_load_dwordx4 v[30:33], v[18:19], off
	global_load_dwordx4 v[10:13], v[18:19], off offset:2048
	v_lshl_add_u64 v[18:19], v[14:15], 0, v[46:47]
	global_load_dwordx4 v[34:37], v[18:19], off
	global_load_dwordx4 v[14:17], v[18:19], off offset:2048
	v_mul_lo_u16_e32 v18, 52, v44
	v_mov_b32_e32 v19, 5
	v_mul_lo_u16_sdwa v18, v18, v19 dst_sel:DWORD dst_unused:UNUSED_PAD src0_sel:BYTE_1 src1_sel:DWORD
	v_sub_u16_e32 v18, v44, v18
	v_and_b32_e32 v18, 0xff, v18
	v_lshl_add_u32 v18, v18, 5, v46
	ds_read_b128 v[38:41], v18
	ds_read_b128 v[18:21], v18 offset:2048
	v_and_b32_e32 v45, 63, v0
	v_cmp_gt_u32_e32 vcc, 5, v44
	v_mov_b32_e32 v50, 0
	s_and_saveexec_b64 s[10:11], vcc
	s_cbranch_execz .LBB540_15
; %bb.14:
	s_load_dwordx2 s[12:13], s[0:1], 0x40
	v_add_u32_e32 v48, s42, v44
	v_ashrrev_i32_e32 v49, 31, v48
	s_waitcnt lgkmcnt(0)
	v_lshl_add_u64 v[48:49], v[48:49], 2, s[12:13]
	global_load_dword v50, v[48:49], off
.LBB540_15:
	s_or_b64 exec, exec, s[10:11]
	s_ashr_i32 s10, s14, 31
	v_and_or_b32 v46, v0, 48, s14
	s_lshr_b32 s11, s10, 27
	v_add_u32_e32 v48, s11, v46
	v_or_b32_e32 v52, 64, v46
	v_ashrrev_i32_e32 v48, 5, v48
	v_mov_b32_e32 v51, s15
	v_cmp_gt_i32_e32 vcc, s29, v46
	v_add_u32_e32 v53, s11, v52
	s_waitcnt vmcnt(7) lgkmcnt(1)
	v_mfma_f32_16x16x16_bf16 v[56:59], v[22:23], v[38:39], 0
	v_cndmask_b32_e32 v48, v51, v48, vcc
	v_ashrrev_i32_e32 v22, 5, v53
	v_cmp_gt_i32_e32 vcc, s29, v52
	v_ashrrev_i32_e32 v49, 31, v48
	v_lshl_add_u64 v[48:49], v[48:49], 2, s[8:9]
	v_cndmask_b32_e32 v22, v51, v22, vcc
	v_ashrrev_i32_e32 v23, 31, v22
	v_lshl_add_u64 v[22:23], v[22:23], 2, s[8:9]
	global_load_dword v55, v[48:49], off
	global_load_dword v72, v[22:23], off
	s_waitcnt vmcnt(3)
	v_mfma_f32_16x16x16_bf16 v[68:71], v[34:35], v[38:39], 0
	v_or_b32_e32 v48, 0xc0, v46
	v_add_u32_e32 v52, s11, v48
	s_add_u32 s4, s6, s4
	v_mfma_f32_16x16x16_bf16 v[60:63], v[26:27], v[38:39], 0
	s_addc_u32 s5, s7, s5
	s_load_dword s10, s[0:1], 0x1c
	s_mov_b32 s33, 0xff7fffff
	v_mfma_f32_16x16x16_bf16 v[64:67], v[30:31], v[38:39], 0
	v_and_b32_e32 v31, 0xc0, v0
	v_or_b32_e32 v38, 0x80, v46
	v_add_u32_e32 v34, s14, v31
	v_mfma_f32_16x16x16_bf16 v[22:25], v[24:25], v[40:41], v[56:59]
	v_and_b32_e32 v30, 16, v0
	v_add_u32_e32 v49, s11, v38
	v_lshlrev_b32_e32 v46, 1, v30
	v_lshl_or_b32 v56, v54, 2, v34
	v_mfma_f32_16x16x16_bf16 v[34:37], v[36:37], v[40:41], v[68:71]
	v_cmp_gt_i32_e32 vcc, s29, v38
	v_lshlrev_b32_e32 v39, 6, v44
	v_or_b32_e32 v57, 1, v56
	v_mfma_f32_16x16x16_bf16 v[26:29], v[28:29], v[40:41], v[60:63]
	v_cmp_gt_i32_e64 s[34:35], s29, v57
	v_mfma_f32_16x16x16_bf16 v[30:33], v[32:33], v[40:41], v[64:67]
	v_ashrrev_i32_e32 v40, 5, v49
	v_ashrrev_i32_e32 v41, 5, v52
	v_cndmask_b32_e32 v38, v51, v40, vcc
	v_cmp_gt_i32_e32 vcc, s29, v48
	s_waitcnt lgkmcnt(0)
	v_mfma_f32_16x16x16_bf16 v[22:25], v[2:3], v[18:19], v[22:25]
	v_lshl_add_u64 v[2:3], s[4:5], 0, v[46:47]
	v_cndmask_b32_e32 v40, v51, v41, vcc
	v_lshl_or_b32 v46, v1, 10, v39
	v_ashrrev_i32_e32 v39, 31, v38
	v_ashrrev_i32_e32 v41, 31, v40
	s_waitcnt vmcnt(2)
	v_mfma_f32_16x16x16_bf16 v[34:37], v[14:15], v[18:19], v[34:37]
	v_lshl_add_u64 v[14:15], v[38:39], 2, s[8:9]
	v_subrev_u32_e32 v51, s29, v57
	v_cvt_f32_i32_e32 v58, v51
	v_mfma_f32_16x16x16_bf16 v[26:29], v[6:7], v[18:19], v[26:29]
	v_mfma_f32_16x16x16_bf16 v[30:33], v[10:11], v[18:19], v[30:33]
	v_lshl_add_u64 v[18:19], v[40:41], 2, s[8:9]
	global_load_dword v59, v[14:15], off
	global_load_dword v60, v[18:19], off
	v_lshl_add_u64 v[10:11], v[2:3], 0, v[46:47]
	v_mfma_f32_16x16x16_bf16 v[2:5], v[4:5], v[20:21], v[22:25]
	v_add_u32_e32 v46, 1, v51
	v_add_u32_e32 v47, 3, v51
	;; [unrolled: 1-line block ×3, first 2 shown]
	v_mfma_f32_16x16x16_bf16 v[14:17], v[16:17], v[20:21], v[34:37]
	v_add_u32_e32 v22, 2, v51
	s_nop 1
	v_pk_mul_f32 v[52:53], s[10:11], v[4:5] op_sel_hi:[0,1]
	v_cvt_f32_i32_e32 v18, v18
	v_mfma_f32_16x16x16_bf16 v[6:9], v[8:9], v[20:21], v[26:29]
	v_add_u32_e32 v19, 19, v51
	v_pk_mul_f32 v[34:35], s[10:11], v[16:17] op_sel_hi:[0,1]
	v_pk_mul_f32 v[36:37], s[10:11], v[14:15] op_sel_hi:[0,1]
	v_cvt_f32_i32_e32 v27, v22
	v_mfma_f32_16x16x16_bf16 v[22:25], v[12:13], v[20:21], v[30:33]
	v_pk_mul_f32 v[12:13], s[10:11], v[2:3] op_sel_hi:[0,1]
	v_cvt_f32_i32_e32 v26, v46
	v_cvt_f32_i32_e32 v28, v47
	v_pk_mul_f32 v[46:47], s[10:11], v[8:9] op_sel_hi:[0,1]
	v_pk_mul_f32 v[48:49], s[10:11], v[6:7] op_sel_hi:[0,1]
	v_cvt_f32_i32_e32 v19, v19
	v_fma_f32 v46, v50, v18, v46
	v_add_u32_e32 v18, 34, v51
	v_cvt_f32_i32_e32 v18, v18
	v_fmac_f32_e32 v47, v50, v19
	v_add_u32_e32 v19, 35, v51
	v_cvt_f32_i32_e32 v19, v19
	v_pk_mul_f32 v[40:41], s[10:11], v[22:23] op_sel_hi:[0,1]
	v_pk_mul_f32 v[38:39], s[10:11], v[24:25] op_sel_hi:[0,1]
	v_fma_f32 v38, v50, v18, v38
	v_add_u32_e32 v18, 50, v51
	s_waitcnt vmcnt(3)
	v_mad_i64_i32 v[2:3], s[4:5], v55, s45, 0
	s_waitcnt vmcnt(2)
	v_mad_i64_i32 v[4:5], s[4:5], v72, s45, 0
	v_lshl_add_u64 v[16:17], v[2:3], 1, v[10:11]
	v_lshl_add_u64 v[14:15], v[4:5], 1, v[10:11]
	global_load_dwordx4 v[6:9], v[16:17], off
	global_load_dwordx4 v[2:5], v[16:17], off offset:16
	v_add_u32_e32 v16, 16, v51
	v_cvt_f32_i32_e32 v16, v16
	v_add_u32_e32 v17, 17, v51
	v_cvt_f32_i32_e32 v17, v17
	v_fmac_f32_e32 v39, v50, v19
	v_fma_f32 v48, v50, v16, v48
	v_add_u32_e32 v16, 32, v51
	v_fmac_f32_e32 v49, v50, v17
	v_cvt_f32_i32_e32 v16, v16
	v_add_u32_e32 v17, 33, v51
	v_cvt_f32_i32_e32 v17, v17
	v_cvt_f32_i32_e32 v18, v18
	v_fma_f32 v40, v50, v16, v40
	v_add_u32_e32 v16, 48, v51
	v_fmac_f32_e32 v41, v50, v17
	v_cvt_f32_i32_e32 v16, v16
	v_add_u32_e32 v17, 49, v51
	v_cvt_f32_i32_e32 v17, v17
	v_add_u32_e32 v19, 51, v51
	v_cvt_f32_i32_e32 v19, v19
	v_fma_f32 v12, v50, v58, v12
	v_fmac_f32_e32 v13, v50, v26
	v_fma_f32 v36, v50, v16, v36
	v_mov_b32_e32 v16, 0xff7fffff
	v_cmp_gt_i32_e64 s[4:5], s29, v56
	v_fmac_f32_e32 v37, v50, v17
	v_fma_f32 v34, v50, v18, v34
	v_cndmask_b32_e64 v17, v16, v12, s[4:5]
	v_cndmask_b32_e64 v18, v16, v13, s[34:35]
	v_fmac_f32_e32 v35, v50, v19
	v_max3_f32 v17, v17, s33, v18
	v_or_b32_e32 v18, 2, v56
	v_or_b32_e32 v19, 3, v56
	v_fma_f32 v52, v50, v27, v52
	v_fmac_f32_e32 v53, v50, v28
	v_cmp_gt_i32_e64 s[36:37], s29, v18
	v_cmp_gt_i32_e64 s[38:39], s29, v19
	global_load_dwordx4 v[30:33], v[14:15], off
	global_load_dwordx4 v[26:29], v[14:15], off offset:16
	v_cndmask_b32_e64 v18, v16, v52, s[36:37]
	v_cndmask_b32_e64 v19, v16, v53, s[38:39]
	v_max3_f32 v17, v17, v18, v19
	v_or_b32_e32 v18, 16, v56
	v_or_b32_e32 v19, 17, v56
	v_cmp_gt_i32_e64 s[24:25], s29, v18
	v_cmp_gt_i32_e64 s[26:27], s29, v19
	s_nop 0
	v_cndmask_b32_e64 v18, v16, v48, s[24:25]
	v_cndmask_b32_e64 v19, v16, v49, s[26:27]
	v_max3_f32 v17, v17, v18, v19
	v_or_b32_e32 v18, 18, v56
	v_or_b32_e32 v19, 19, v56
	v_cmp_gt_i32_e64 s[20:21], s29, v18
	v_cmp_gt_i32_e64 s[22:23], s29, v19
	s_nop 0
	;; [unrolled: 8-line block ×5, first 2 shown]
	v_cndmask_b32_e64 v18, v16, v36, s[8:9]
	v_cndmask_b32_e64 v19, v16, v37, s[10:11]
	v_max3_f32 v17, v17, v18, v19
	v_or_b32_e32 v18, 50, v56
	v_or_b32_e32 v19, 51, v56
	v_cmp_gt_i32_e32 vcc, s29, v18
	v_cmp_gt_i32_e64 s[6:7], s29, v19
	s_nop 0
	v_cndmask_b32_e32 v18, v16, v34, vcc
	v_cndmask_b32_e64 v16, v16, v35, s[6:7]
	v_max3_f32 v16, v17, v18, v16
	v_mbcnt_lo_u32_b32 v17, -1, 0
	v_mbcnt_hi_u32_b32 v17, -1, v17
	v_and_b32_e32 v18, 64, v17
	v_add_u32_e32 v18, 64, v18
	v_xor_b32_e32 v19, 32, v17
	v_cmp_lt_i32_e64 s[40:41], v19, v18
	s_nop 1
	v_cndmask_b32_e64 v19, v17, v19, s[40:41]
	v_lshlrev_b32_e32 v56, 2, v19
	ds_bpermute_b32 v19, v56, v16
	s_waitcnt vmcnt(5)
	v_mad_i64_i32 v[14:15], s[40:41], v59, s45, 0
	v_lshl_add_u64 v[14:15], v[14:15], 1, v[10:11]
	s_waitcnt lgkmcnt(0)
	v_max_f32_e32 v19, v19, v19
	v_max_f32_e32 v16, v16, v19
	v_xor_b32_e32 v19, 16, v17
	v_cmp_lt_i32_e64 s[40:41], v19, v18
	s_nop 1
	v_cndmask_b32_e64 v17, v17, v19, s[40:41]
	v_lshlrev_b32_e32 v57, 2, v17
	ds_bpermute_b32 v17, v57, v16
	global_load_dwordx4 v[22:25], v[14:15], off
	global_load_dwordx4 v[18:21], v[14:15], off offset:16
	s_waitcnt vmcnt(6)
	v_mad_i64_i32 v[14:15], s[40:41], v60, s45, 0
	v_lshl_add_u64 v[10:11], v[14:15], 1, v[10:11]
	s_waitcnt lgkmcnt(0)
	v_max_f32_e32 v14, v17, v17
	v_max_f32_e32 v55, v16, v14
	v_sub_f32_e32 v12, v12, v55
	v_mul_f32_e32 v12, 0x3fb8aa3b, v12
	v_exp_f32_e32 v50, v12
	v_sub_f32_e32 v12, v13, v55
	v_mul_f32_e32 v12, 0x3fb8aa3b, v12
	v_exp_f32_e32 v51, v12
	global_load_dwordx4 v[14:17], v[10:11], off
	s_nop 0
	global_load_dwordx4 v[10:13], v[10:11], off offset:16
	v_sub_f32_e32 v52, v52, v55
	v_mul_f32_e32 v52, 0x3fb8aa3b, v52
	v_sub_f32_e32 v53, v53, v55
	v_exp_f32_e32 v52, v52
	v_mul_f32_e32 v53, 0x3fb8aa3b, v53
	v_sub_f32_e32 v48, v48, v55
	v_exp_f32_e32 v53, v53
	v_mul_f32_e32 v48, 0x3fb8aa3b, v48
	v_sub_f32_e32 v49, v49, v55
	v_cndmask_b32_e64 v50, 0, v50, s[4:5]
	v_exp_f32_e32 v48, v48
	v_mul_f32_e32 v49, 0x3fb8aa3b, v49
	v_sub_f32_e32 v46, v46, v55
	v_add_f32_e32 v58, 0, v50
	v_cndmask_b32_e64 v51, 0, v51, s[34:35]
	v_exp_f32_e32 v49, v49
	v_mul_f32_e32 v46, 0x3fb8aa3b, v46
	v_sub_f32_e32 v47, v47, v55
	v_add_f32_e32 v58, v58, v51
	;; [unrolled: 5-line block ×10, first 2 shown]
	v_cndmask_b32_e64 v38, 0, v38, s[12:13]
	v_exp_f32_e32 v34, v34
	v_mul_f32_e32 v35, 0x3fb8aa3b, v35
	v_add_f32_e32 v58, v58, v38
	v_cndmask_b32_e64 v39, 0, v39, s[14:15]
	v_exp_f32_e32 v35, v35
	v_add_f32_e32 v58, v58, v39
	v_cndmask_b32_e64 v36, 0, v36, s[8:9]
	v_add_f32_e32 v58, v58, v36
	v_cndmask_b32_e64 v37, 0, v37, s[10:11]
	v_add_f32_e32 v58, v58, v37
	v_cndmask_b32_e32 v34, 0, v34, vcc
	v_add_f32_e32 v58, v58, v34
	v_cndmask_b32_e64 v35, 0, v35, s[6:7]
	v_add_f32_e32 v58, v58, v35
	ds_bpermute_b32 v56, v56, v58
	s_load_dword s9, s[0:1], 0x98
	v_cmp_gt_u32_e64 s[6:7], 16, v45
	v_lshlrev_b32_e32 v45, 2, v44
	s_waitcnt lgkmcnt(0)
	v_add_f32_e32 v56, v58, v56
	ds_bpermute_b32 v57, v57, v56
	s_barrier
	s_waitcnt lgkmcnt(0)
	s_and_saveexec_b64 s[4:5], s[6:7]
	s_cbranch_execz .LBB540_17
; %bb.16:
	v_add_f32_e32 v56, v56, v57
	v_lshl_or_b32 v57, v1, 6, v45
	ds_write2st64_b32 v57, v55, v56 offset1:1
.LBB540_17:
	s_or_b64 exec, exec, s[4:5]
	s_load_dword s8, s[0:1], 0x94
	s_waitcnt lgkmcnt(0)
	s_barrier
	ds_read2_b32 v[56:57], v45 offset1:16
	ds_read2_b32 v[58:59], v45 offset0:32 offset1:48
	ds_read2_b32 v[60:61], v45 offset0:64 offset1:80
	;; [unrolled: 1-line block ×3, first 2 shown]
	s_movk_i32 s10, 0x7fff
	s_waitcnt lgkmcnt(3)
	v_max3_f32 v55, v56, s33, v57
	s_waitcnt lgkmcnt(2)
	v_max3_f32 v55, v55, v58, v59
	v_sub_f32_e32 v56, v56, v55
	v_mul_f32_e32 v56, 0x3fb8aa3b, v56
	v_exp_f32_e32 v64, v56
	v_sub_f32_e32 v56, v57, v55
	v_mul_f32_e32 v56, 0x3fb8aa3b, v56
	v_exp_f32_e32 v57, v56
	v_sub_f32_e32 v56, v58, v55
	v_mul_f32_e32 v56, 0x3fb8aa3b, v56
	v_sub_f32_e32 v45, v59, v55
	v_exp_f32_e32 v58, v56
	v_mul_f32_e32 v45, 0x3fb8aa3b, v45
	v_exp_f32_e32 v45, v45
	s_waitcnt lgkmcnt(1)
	v_fma_f32 v56, v64, v60, 0
	v_fmac_f32_e32 v56, v57, v61
	s_waitcnt lgkmcnt(0)
	v_fmac_f32_e32 v56, v58, v62
	v_fmac_f32_e32 v56, v45, v63
	v_add_f32_e32 v59, 0x358637bd, v56
	v_div_scale_f32 v60, s[4:5], v59, v59, 1.0
	v_rcp_f32_e32 v61, v60
	s_mov_b32 s11, 0x7060302
	s_mul_i32 s9, s9, 5
	v_fma_f32 v62, -v60, v61, 1.0
	v_fmac_f32_e32 v61, v62, v61
	v_div_scale_f32 v62, vcc, 1.0, v59, 1.0
	v_mul_f32_e32 v63, v62, v61
	v_fma_f32 v65, -v60, v63, v62
	v_fmac_f32_e32 v63, v65, v61
	v_fma_f32 v60, -v60, v63, v62
	v_div_fmas_f32 v60, v60, v61, v63
	v_cmp_eq_u32_e32 vcc, 1, v1
	v_div_fixup_f32 v59, v60, v59, 1.0
	s_barrier
	v_cndmask_b32_e32 v57, v64, v57, vcc
	v_cmp_eq_u32_e32 vcc, 2, v1
	s_nop 1
	v_cndmask_b32_e32 v57, v57, v58, vcc
	v_cmp_eq_u32_e32 vcc, 3, v1
	v_lshlrev_b32_e32 v1, 11, v1
	s_nop 0
	v_cndmask_b32_e32 v45, v57, v45, vcc
	v_mul_f32_e32 v58, v45, v59
	v_pk_mul_f32 v[50:51], v[58:59], v[50:51] op_sel_hi:[0,1]
	v_bfe_u32 v45, v51, 16, 1
	v_bfe_u32 v57, v50, 16, 1
	v_pk_mul_f32 v[52:53], v[58:59], v[52:53] op_sel_hi:[0,1]
	v_add3_u32 v50, v50, v57, s10
	v_add3_u32 v45, v51, v45, s10
	v_perm_b32 v60, v45, v50, s11
	v_bfe_u32 v45, v53, 16, 1
	v_bfe_u32 v50, v52, 16, 1
	v_add3_u32 v50, v52, v50, s10
	v_add3_u32 v45, v53, v45, s10
	v_perm_b32 v61, v45, v50, s11
	v_lshlrev_b32_e32 v45, 3, v54
	v_lshlrev_b32_e32 v50, 5, v44
	v_pk_mul_f32 v[48:49], v[58:59], v[48:49] op_sel_hi:[0,1]
	v_or3_b32 v1, v1, v50, v45
	v_bfe_u32 v45, v49, 16, 1
	v_bfe_u32 v51, v48, 16, 1
	v_pk_mul_f32 v[46:47], v[58:59], v[46:47] op_sel_hi:[0,1]
	v_add3_u32 v48, v48, v51, s10
	v_add3_u32 v45, v49, v45, s10
	v_perm_b32 v48, v45, v48, s11
	v_bfe_u32 v45, v47, 16, 1
	v_bfe_u32 v49, v46, 16, 1
	v_add3_u32 v46, v46, v49, s10
	v_add3_u32 v45, v47, v45, s10
	v_pk_mul_f32 v[40:41], v[58:59], v[40:41] op_sel_hi:[0,1]
	v_perm_b32 v49, v45, v46, s11
	v_bfe_u32 v45, v41, 16, 1
	v_bfe_u32 v46, v40, 16, 1
	v_pk_mul_f32 v[38:39], v[58:59], v[38:39] op_sel_hi:[0,1]
	v_add3_u32 v40, v40, v46, s10
	v_add3_u32 v41, v41, v45, s10
	v_perm_b32 v40, v41, v40, s11
	v_bfe_u32 v41, v39, 16, 1
	v_bfe_u32 v45, v38, 16, 1
	v_add3_u32 v38, v38, v45, s10
	v_add3_u32 v39, v39, v41, s10
	v_pk_mul_f32 v[36:37], v[58:59], v[36:37] op_sel_hi:[0,1]
	v_perm_b32 v41, v39, v38, s11
	v_bfe_u32 v38, v37, 16, 1
	v_bfe_u32 v39, v36, 16, 1
	v_pk_mul_f32 v[34:35], v[58:59], v[34:35] op_sel_hi:[0,1]
	v_add3_u32 v36, v36, v39, s10
	v_add3_u32 v37, v37, v38, s10
	v_perm_b32 v36, v37, v36, s11
	v_bfe_u32 v37, v35, 16, 1
	v_bfe_u32 v38, v34, 16, 1
	v_add3_u32 v34, v34, v38, s10
	v_add3_u32 v35, v35, v37, s10
	v_perm_b32 v37, v35, v34, s11
	v_cmp_gt_u32_e32 vcc, 5, v0
	ds_write2st64_b64 v1, v[60:61], v[48:49] offset1:1
	ds_write2st64_b64 v1, v[40:41], v[36:37] offset0:2 offset1:3
	s_and_saveexec_b64 s[4:5], vcc
	s_cbranch_execz .LBB540_19
; %bb.18:
	s_mov_b32 s43, 0
	v_mov_b32_e32 v45, 0
	v_lshl_add_u64 v[34:35], s[42:43], 0, v[44:45]
	v_mov_b32_e32 v36, s9
	v_mad_u64_u32 v[34:35], s[16:17], s2, v36, v[34:35]
	s_mul_i32 s3, s3, s9
	v_mov_b32_e32 v44, s28
	s_load_dwordx4 s[12:15], s[0:1], 0x58
	v_add_u32_e32 v37, s3, v35
	v_mad_u64_u32 v[34:35], s[16:17], v34, s8, v[44:45]
	v_mov_b32_e32 v36, v35
	v_mad_u64_u32 v[36:37], s[16:17], v37, s8, v[36:37]
	v_mov_b32_e32 v35, v36
	v_lshlrev_b64 v[34:35], 2, v[34:35]
	s_waitcnt lgkmcnt(0)
	v_lshl_add_u64 v[36:37], s[14:15], 0, v[34:35]
	v_lshl_add_u64 v[34:35], s[12:13], 0, v[34:35]
	global_store_dword v[36:37], v55, off
	global_store_dword v[34:35], v56, off
.LBB540_19:
	s_or_b64 exec, exec, s[4:5]
	v_lshl_or_b32 v48, v54, 9, v50
	s_waitcnt lgkmcnt(0)
	s_barrier
	ds_read_b128 v[34:37], v48
	ds_read_b128 v[38:41], v48 offset:16
	s_waitcnt vmcnt(7) lgkmcnt(1)
	v_mfma_f32_16x16x16_bf16 v[44:47], v[6:7], v[34:35], 0
	v_cmp_gt_u32_e32 vcc, 64, v0
	s_mov_b32 s3, 0
	s_and_b64 s[4:5], vcc, s[30:31]
	v_mfma_f32_16x16x16_bf16 v[6:9], v[8:9], v[36:37], v[44:47]
	s_waitcnt vmcnt(6) lgkmcnt(0)
	v_mfma_f32_16x16x16_bf16 v[6:9], v[2:3], v[38:39], v[6:9]
	v_mfma_f32_16x16x16_bf16 v[2:5], v[4:5], v[40:41], v[6:9]
	s_nop 5
	ds_read_b128 v[6:9], v48 offset:2048
	ds_read_b128 v[34:37], v48 offset:2064
	s_waitcnt vmcnt(5) lgkmcnt(1)
	v_mfma_f32_16x16x16_bf16 v[2:5], v[30:31], v[6:7], v[2:5]
	v_mfma_f32_16x16x16_bf16 v[2:5], v[32:33], v[8:9], v[2:5]
	s_waitcnt vmcnt(4) lgkmcnt(0)
	v_mfma_f32_16x16x16_bf16 v[2:5], v[26:27], v[34:35], v[2:5]
	v_mfma_f32_16x16x16_bf16 v[2:5], v[28:29], v[36:37], v[2:5]
	ds_read_b128 v[6:9], v48 offset:4096
	ds_read_b128 v[26:29], v48 offset:4112
	s_waitcnt vmcnt(3) lgkmcnt(1)
	v_mfma_f32_16x16x16_bf16 v[2:5], v[22:23], v[6:7], v[2:5]
	v_mfma_f32_16x16x16_bf16 v[2:5], v[24:25], v[8:9], v[2:5]
	s_waitcnt vmcnt(2) lgkmcnt(0)
	v_mfma_f32_16x16x16_bf16 v[2:5], v[18:19], v[26:27], v[2:5]
	v_mfma_f32_16x16x16_bf16 v[2:5], v[20:21], v[28:29], v[2:5]
	ds_read_b128 v[6:9], v48 offset:6144
	ds_read_b128 v[18:21], v48 offset:6160
	s_waitcnt lgkmcnt(0)
	s_barrier
	s_waitcnt vmcnt(1)
	v_mfma_f32_16x16x16_bf16 v[2:5], v[14:15], v[6:7], v[2:5]
	v_mfma_f32_16x16x16_bf16 v[2:5], v[16:17], v[8:9], v[2:5]
	s_waitcnt vmcnt(0)
	v_mfma_f32_16x16x16_bf16 v[2:5], v[10:11], v[18:19], v[2:5]
	v_mfma_f32_16x16x16_bf16 v[2:5], v[12:13], v[20:21], v[2:5]
	s_nop 6
	v_bfe_u32 v6, v3, 16, 1
	v_bfe_u32 v7, v2, 16, 1
	;; [unrolled: 1-line block ×4, first 2 shown]
	v_add3_u32 v2, v2, v7, s10
	v_add3_u32 v3, v3, v6, s10
	;; [unrolled: 1-line block ×4, first 2 shown]
	v_perm_b32 v2, v3, v2, s11
	v_perm_b32 v3, v5, v4, s11
	ds_write_b64 v1, v[2:3]
	s_waitcnt lgkmcnt(0)
	s_barrier
	s_and_saveexec_b64 s[10:11], s[4:5]
	s_cbranch_execz .LBB540_22
; %bb.20:
	s_load_dwordx2 s[4:5], s[0:1], 0x68
	s_lshl_b32 s0, s8, 6
	s_mul_i32 s1, s9, s2
	s_mul_hi_u32 s9, s1, s0
	s_mul_i32 s8, s1, s0
	v_lshlrev_b32_e32 v1, 10, v0
	v_lshlrev_b32_e32 v0, 4, v0
	s_lshl_b64 s[8:9], s[8:9], 1
	v_and_b32_e32 v1, 0x1800, v1
	v_lshlrev_b32_e32 v2, 5, v54
	v_and_b32_e32 v0, 16, v0
	s_waitcnt lgkmcnt(0)
	s_add_u32 s1, s4, s8
	v_or3_b32 v2, v1, v2, v0
	s_addc_u32 s4, s5, s9
	s_lshl_b32 s2, s28, 6
	s_lshl_b64 s[2:3], s[2:3], 1
	ds_read_b128 v[4:7], v2
	s_add_u32 s2, s1, s2
	s_addc_u32 s3, s4, s3
	v_add_u32_e32 v3, s42, v54
	v_lshl_add_u64 v[0:1], v[42:43], 1, s[2:3]
	v_mad_u64_u32 v[8:9], s[2:3], v3, s0, 0
	v_lshl_add_u64 v[8:9], v[8:9], 1, v[0:1]
	s_waitcnt lgkmcnt(0)
	global_store_dwordx4 v[8:9], v[4:7], off
	s_and_b64 exec, exec, s[6:7]
	s_cbranch_execz .LBB540_22
; %bb.21:
	ds_read_b128 v[2:5], v2 offset:128
	v_add3_u32 v6, s42, v54, 4
	v_mad_u64_u32 v[6:7], s[0:1], v6, s0, 0
	v_lshl_add_u64 v[0:1], v[6:7], 1, v[0:1]
	s_waitcnt lgkmcnt(0)
	global_store_dwordx4 v[0:1], v[2:5], off
.LBB540_22:
	s_endpgm
	.section	.rodata,"a",@progbits
	.p2align	6, 0x0
	.amdhsa_kernel _Z39paged_attention_ll4mi_QKV_mfma16_kernelI14__hip_bfloat16S0_LN4vllm18Fp8KVCacheDataTypeE0ES0_Li32ELi64ELi256ELb1ELi5EEvPKT_PKT0_S8_ifPKiSA_SA_iPKfiiiPfSD_PS3_PT2_iSC_SC_
		.amdhsa_group_segment_fixed_size 8192
		.amdhsa_private_segment_fixed_size 0
		.amdhsa_kernarg_size 400
		.amdhsa_user_sgpr_count 2
		.amdhsa_user_sgpr_dispatch_ptr 0
		.amdhsa_user_sgpr_queue_ptr 0
		.amdhsa_user_sgpr_kernarg_segment_ptr 1
		.amdhsa_user_sgpr_dispatch_id 0
		.amdhsa_user_sgpr_kernarg_preload_length 0
		.amdhsa_user_sgpr_kernarg_preload_offset 0
		.amdhsa_user_sgpr_private_segment_size 0
		.amdhsa_uses_dynamic_stack 0
		.amdhsa_enable_private_segment 0
		.amdhsa_system_sgpr_workgroup_id_x 1
		.amdhsa_system_sgpr_workgroup_id_y 1
		.amdhsa_system_sgpr_workgroup_id_z 1
		.amdhsa_system_sgpr_workgroup_info 0
		.amdhsa_system_vgpr_workitem_id 0
		.amdhsa_next_free_vgpr 73
		.amdhsa_next_free_sgpr 48
		.amdhsa_accum_offset 76
		.amdhsa_reserve_vcc 1
		.amdhsa_float_round_mode_32 0
		.amdhsa_float_round_mode_16_64 0
		.amdhsa_float_denorm_mode_32 3
		.amdhsa_float_denorm_mode_16_64 3
		.amdhsa_dx10_clamp 1
		.amdhsa_ieee_mode 1
		.amdhsa_fp16_overflow 0
		.amdhsa_tg_split 0
		.amdhsa_exception_fp_ieee_invalid_op 0
		.amdhsa_exception_fp_denorm_src 0
		.amdhsa_exception_fp_ieee_div_zero 0
		.amdhsa_exception_fp_ieee_overflow 0
		.amdhsa_exception_fp_ieee_underflow 0
		.amdhsa_exception_fp_ieee_inexact 0
		.amdhsa_exception_int_div_zero 0
	.end_amdhsa_kernel
	.section	.text._Z39paged_attention_ll4mi_QKV_mfma16_kernelI14__hip_bfloat16S0_LN4vllm18Fp8KVCacheDataTypeE0ES0_Li32ELi64ELi256ELb1ELi5EEvPKT_PKT0_S8_ifPKiSA_SA_iPKfiiiPfSD_PS3_PT2_iSC_SC_,"axG",@progbits,_Z39paged_attention_ll4mi_QKV_mfma16_kernelI14__hip_bfloat16S0_LN4vllm18Fp8KVCacheDataTypeE0ES0_Li32ELi64ELi256ELb1ELi5EEvPKT_PKT0_S8_ifPKiSA_SA_iPKfiiiPfSD_PS3_PT2_iSC_SC_,comdat
.Lfunc_end540:
	.size	_Z39paged_attention_ll4mi_QKV_mfma16_kernelI14__hip_bfloat16S0_LN4vllm18Fp8KVCacheDataTypeE0ES0_Li32ELi64ELi256ELb1ELi5EEvPKT_PKT0_S8_ifPKiSA_SA_iPKfiiiPfSD_PS3_PT2_iSC_SC_, .Lfunc_end540-_Z39paged_attention_ll4mi_QKV_mfma16_kernelI14__hip_bfloat16S0_LN4vllm18Fp8KVCacheDataTypeE0ES0_Li32ELi64ELi256ELb1ELi5EEvPKT_PKT0_S8_ifPKiSA_SA_iPKfiiiPfSD_PS3_PT2_iSC_SC_
                                        ; -- End function
	.section	.AMDGPU.csdata,"",@progbits
; Kernel info:
; codeLenInByte = 4416
; NumSgprs: 54
; NumVgprs: 73
; NumAgprs: 0
; TotalNumVgprs: 73
; ScratchSize: 0
; MemoryBound: 0
; FloatMode: 240
; IeeeMode: 1
; LDSByteSize: 8192 bytes/workgroup (compile time only)
; SGPRBlocks: 6
; VGPRBlocks: 9
; NumSGPRsForWavesPerEU: 54
; NumVGPRsForWavesPerEU: 73
; AccumOffset: 76
; Occupancy: 6
; WaveLimiterHint : 1
; COMPUTE_PGM_RSRC2:SCRATCH_EN: 0
; COMPUTE_PGM_RSRC2:USER_SGPR: 2
; COMPUTE_PGM_RSRC2:TRAP_HANDLER: 0
; COMPUTE_PGM_RSRC2:TGID_X_EN: 1
; COMPUTE_PGM_RSRC2:TGID_Y_EN: 1
; COMPUTE_PGM_RSRC2:TGID_Z_EN: 1
; COMPUTE_PGM_RSRC2:TIDIG_COMP_CNT: 0
; COMPUTE_PGM_RSRC3_GFX90A:ACCUM_OFFSET: 18
; COMPUTE_PGM_RSRC3_GFX90A:TG_SPLIT: 0
	.section	.text._Z39paged_attention_ll4mi_QKV_mfma16_kernelI14__hip_bfloat16S0_LN4vllm18Fp8KVCacheDataTypeE0ES0_Li32ELi64ELi256ELb1ELi6EEvPKT_PKT0_S8_ifPKiSA_SA_iPKfiiiPfSD_PS3_PT2_iSC_SC_,"axG",@progbits,_Z39paged_attention_ll4mi_QKV_mfma16_kernelI14__hip_bfloat16S0_LN4vllm18Fp8KVCacheDataTypeE0ES0_Li32ELi64ELi256ELb1ELi6EEvPKT_PKT0_S8_ifPKiSA_SA_iPKfiiiPfSD_PS3_PT2_iSC_SC_,comdat
	.protected	_Z39paged_attention_ll4mi_QKV_mfma16_kernelI14__hip_bfloat16S0_LN4vllm18Fp8KVCacheDataTypeE0ES0_Li32ELi64ELi256ELb1ELi6EEvPKT_PKT0_S8_ifPKiSA_SA_iPKfiiiPfSD_PS3_PT2_iSC_SC_ ; -- Begin function _Z39paged_attention_ll4mi_QKV_mfma16_kernelI14__hip_bfloat16S0_LN4vllm18Fp8KVCacheDataTypeE0ES0_Li32ELi64ELi256ELb1ELi6EEvPKT_PKT0_S8_ifPKiSA_SA_iPKfiiiPfSD_PS3_PT2_iSC_SC_
	.globl	_Z39paged_attention_ll4mi_QKV_mfma16_kernelI14__hip_bfloat16S0_LN4vllm18Fp8KVCacheDataTypeE0ES0_Li32ELi64ELi256ELb1ELi6EEvPKT_PKT0_S8_ifPKiSA_SA_iPKfiiiPfSD_PS3_PT2_iSC_SC_
	.p2align	8
	.type	_Z39paged_attention_ll4mi_QKV_mfma16_kernelI14__hip_bfloat16S0_LN4vllm18Fp8KVCacheDataTypeE0ES0_Li32ELi64ELi256ELb1ELi6EEvPKT_PKT0_S8_ifPKiSA_SA_iPKfiiiPfSD_PS3_PT2_iSC_SC_,@function
_Z39paged_attention_ll4mi_QKV_mfma16_kernelI14__hip_bfloat16S0_LN4vllm18Fp8KVCacheDataTypeE0ES0_Li32ELi64ELi256ELb1ELi6EEvPKT_PKT0_S8_ifPKiSA_SA_iPKfiiiPfSD_PS3_PT2_iSC_SC_: ; @_Z39paged_attention_ll4mi_QKV_mfma16_kernelI14__hip_bfloat16S0_LN4vllm18Fp8KVCacheDataTypeE0ES0_Li32ELi64ELi256ELb1ELi6EEvPKT_PKT0_S8_ifPKiSA_SA_iPKfiiiPfSD_PS3_PT2_iSC_SC_
; %bb.0:
	s_load_dwordx2 s[6:7], s[0:1], 0x30
	s_mov_b32 s28, s3
	s_mov_b64 s[8:9], 0
	s_waitcnt lgkmcnt(0)
	s_cmp_lg_u64 s[6:7], 0
	s_cselect_b64 s[10:11], -1, 0
	s_and_b64 vcc, exec, s[10:11]
	s_cbranch_vccz .LBB541_7
; %bb.1:
	s_add_i32 s12, s2, 1
	s_mov_b32 s13, 0
	s_lshl_b64 s[14:15], s[12:13], 2
	s_add_u32 s14, s6, s14
	s_mov_b32 s3, s13
	s_addc_u32 s15, s7, s15
	s_lshl_b64 s[12:13], s[2:3], 2
	s_add_u32 s12, s6, s12
	s_addc_u32 s13, s7, s13
	s_load_dword s5, s[14:15], 0x0
	s_load_dword s16, s[12:13], 0x0
	s_waitcnt lgkmcnt(0)
	s_sub_i32 s5, s5, s16
	s_cmp_eq_u32 s5, 1
	s_cselect_b64 s[12:13], -1, 0
	s_andn2_b64 vcc, exec, s[8:9]
	s_cbranch_vccnz .LBB541_3
.LBB541_2:
	s_mov_b32 s3, 0
	s_mov_b64 s[12:13], -1
.LBB541_3:
	s_andn2_b64 vcc, exec, s[12:13]
	s_cbranch_vccnz .LBB541_22
; %bb.4:
	s_load_dwordx2 s[8:9], s[0:1], 0x28
	s_lshl_b64 s[12:13], s[2:3], 2
	s_waitcnt lgkmcnt(0)
	s_add_u32 s8, s8, s12
	s_addc_u32 s9, s9, s13
	s_load_dword s29, s[8:9], 0x0
	s_lshl_b32 s14, s28, 8
	s_waitcnt lgkmcnt(0)
	s_cmp_ge_i32 s14, s29
	s_cbranch_scc1 .LBB541_22
; %bb.5:
	s_load_dwordx2 s[8:9], s[0:1], 0x20
	s_load_dword s5, s[0:1], 0x38
	s_add_i32 s15, s29, 31
	s_ashr_i32 s16, s15, 31
	v_and_b32_e32 v1, 0xcf, v0
	s_lshr_b32 s16, s16, 27
	v_add_u32_e32 v1, s14, v1
	s_add_i32 s15, s15, s16
	v_ashrrev_i32_e32 v2, 31, v1
	s_ashr_i32 s15, s15, 5
	v_lshrrev_b32_e32 v6, 27, v2
	s_add_i32 s15, s15, -1
	s_waitcnt lgkmcnt(0)
	s_mul_i32 s16, s2, s5
	s_mov_b32 s17, 0
	v_add_u32_e32 v2, v1, v6
	s_lshl_b64 s[16:17], s[16:17], 2
	v_ashrrev_i32_e32 v2, 5, v2
	v_mov_b32_e32 v7, s15
	v_cmp_gt_i32_e32 vcc, s29, v1
	s_add_u32 s8, s8, s16
	s_addc_u32 s9, s9, s17
	v_cndmask_b32_e32 v2, v7, v2, vcc
	v_ashrrev_i32_e32 v3, 31, v2
	v_lshl_add_u64 v[4:5], v[2:3], 2, s[8:9]
	v_or_b32_e32 v2, 16, v1
	v_add_u32_e32 v3, v2, v6
	v_ashrrev_i32_e32 v3, 5, v3
	v_cmp_gt_i32_e32 vcc, s29, v2
	s_nop 1
	v_cndmask_b32_e32 v2, v7, v3, vcc
	v_ashrrev_i32_e32 v3, 31, v2
	v_lshl_add_u64 v[8:9], v[2:3], 2, s[8:9]
	v_or_b32_e32 v2, 32, v1
	v_add_u32_e32 v3, v2, v6
	v_ashrrev_i32_e32 v3, 5, v3
	v_cmp_gt_i32_e32 vcc, s29, v2
	v_or_b32_e32 v1, 48, v1
	s_nop 0
	v_cndmask_b32_e32 v2, v7, v3, vcc
	v_ashrrev_i32_e32 v3, 31, v2
	v_lshl_add_u64 v[12:13], v[2:3], 2, s[8:9]
	v_add_u32_e32 v2, v1, v6
	v_ashrrev_i32_e32 v2, 5, v2
	v_cmp_gt_i32_e32 vcc, s29, v1
	s_nop 1
	v_cndmask_b32_e32 v2, v7, v2, vcc
	v_ashrrev_i32_e32 v3, 31, v2
	v_lshl_add_u64 v[16:17], v[2:3], 2, s[8:9]
	global_load_dword v2, v[4:5], off
	global_load_dword v6, v[8:9], off
	;; [unrolled: 1-line block ×4, first 2 shown]
	s_andn2_b64 vcc, exec, s[10:11]
	s_cbranch_vccnz .LBB541_8
; %bb.6:
	s_add_u32 s6, s6, s12
	s_addc_u32 s7, s7, s13
	s_load_dword s5, s[6:7], 0x0
	s_branch .LBB541_9
.LBB541_7:
	s_mov_b64 s[12:13], 0
	s_branch .LBB541_2
.LBB541_8:
	s_mov_b32 s5, s2
.LBB541_9:
	s_load_dwordx2 s[10:11], s[0:1], 0x8
	s_load_dwordx4 s[44:47], s[0:1], 0x48
	v_lshrrev_b32_e32 v1, 6, v0
	v_bfe_u32 v54, v0, 4, 2
	v_lshl_or_b32 v3, v1, 2, v54
	v_and_b32_e32 v44, 15, v0
	v_cmp_lt_u32_e32 vcc, 5, v3
	v_cmp_lt_u32_e64 s[6:7], 7, v44
	v_lshlrev_b32_e32 v42, 3, v44
	v_cmp_gt_u32_e64 s[30:31], 8, v44
	s_or_b64 s[6:7], s[6:7], vcc
	s_and_saveexec_b64 s[12:13], s[6:7]
	s_xor_b64 s[6:7], exec, s[12:13]
; %bb.10:
	v_mov_b32_e32 v43, 0
                                        ; implicit-def: $vgpr3
; %bb.11:
	s_or_saveexec_b64 s[12:13], s[6:7]
	s_load_dwordx2 s[6:7], s[0:1], 0x10
	s_mul_i32 s42, s4, 6
	s_xor_b64 exec, exec, s[12:13]
	s_cbranch_execz .LBB541_13
; %bb.12:
	s_load_dwordx2 s[16:17], s[0:1], 0x0
	s_waitcnt lgkmcnt(0)
	s_ashr_i32 s18, s44, 31
	s_mul_hi_u32 s19, s5, s44
	s_mul_i32 s18, s5, s18
	s_add_i32 s19, s19, s18
	s_mul_i32 s18, s5, s44
	s_lshl_b64 s[18:19], s[18:19], 1
	s_add_u32 s16, s16, s18
	v_add_lshl_u32 v4, v3, s42, 6
	s_addc_u32 s17, s17, s19
	v_ashrrev_i32_e32 v5, 31, v4
	v_mov_b32_e32 v43, 0
	v_lshl_add_u64 v[4:5], v[4:5], 1, s[16:17]
	v_lshlrev_b32_e32 v8, 1, v42
	v_mov_b32_e32 v9, v43
	v_lshl_add_u64 v[4:5], v[4:5], 0, v[8:9]
	global_load_dwordx4 v[16:19], v[4:5], off
	v_and_b32_e32 v4, 3, v0
	v_lshlrev_b32_e32 v5, 9, v44
	v_lshlrev_b32_e32 v3, 5, v3
	;; [unrolled: 1-line block ×3, first 2 shown]
	v_and_b32_e32 v5, 0x1800, v5
	v_or3_b32 v3, v5, v4, v3
	s_waitcnt vmcnt(0)
	ds_write_b128 v3, v[16:19]
.LBB541_13:
	s_or_b64 exec, exec, s[12:13]
	s_waitcnt lgkmcnt(0)
	s_mul_i32 s4, s4, s46
	s_mov_b32 s5, 0
	s_lshl_b64 s[4:5], s[4:5], 1
	s_add_u32 s10, s10, s4
	s_addc_u32 s11, s11, s5
	s_waitcnt vmcnt(3)
	v_mad_i64_i32 v[2:3], s[12:13], v2, s45, 0
	v_lshl_add_u64 v[2:3], v[2:3], 1, s[10:11]
	v_lshlrev_b64 v[12:13], 1, v[42:43]
	v_lshlrev_b32_e32 v46, 9, v54
	v_lshl_add_u64 v[2:3], v[2:3], 0, v[12:13]
	v_mov_b32_e32 v47, 0
	v_lshl_add_u64 v[8:9], v[2:3], 0, v[46:47]
	s_barrier
	global_load_dwordx4 v[22:25], v[8:9], off
	global_load_dwordx4 v[2:5], v[8:9], off offset:2048
	s_waitcnt vmcnt(4)
	v_mad_i64_i32 v[6:7], s[12:13], v6, s45, 0
	v_mov_b32_e32 v8, 0x100
	v_lshl_add_u64 v[6:7], v[6:7], 1, s[10:11]
	v_lshl_or_b32 v16, v44, 4, v8
	v_mov_b32_e32 v17, v47
	s_waitcnt vmcnt(3)
	v_mad_i64_i32 v[10:11], s[12:13], v10, s45, 0
	v_lshl_add_u64 v[6:7], v[6:7], 0, v[16:17]
	v_lshl_add_u64 v[10:11], v[10:11], 1, s[10:11]
	s_waitcnt vmcnt(2)
	v_mad_i64_i32 v[14:15], s[12:13], v14, s45, 0
	v_lshl_add_u64 v[18:19], v[6:7], 0, v[46:47]
	v_lshl_add_u64 v[10:11], v[10:11], 0, v[12:13]
	;; [unrolled: 1-line block ×3, first 2 shown]
	global_load_dwordx4 v[26:29], v[18:19], off
	global_load_dwordx4 v[6:9], v[18:19], off offset:2048
	v_lshl_add_u64 v[18:19], v[10:11], 0, v[46:47]
	v_lshl_add_u64 v[14:15], v[14:15], 0, v[16:17]
	global_load_dwordx4 v[30:33], v[18:19], off
	global_load_dwordx4 v[10:13], v[18:19], off offset:2048
	v_lshl_add_u64 v[18:19], v[14:15], 0, v[46:47]
	global_load_dwordx4 v[34:37], v[18:19], off
	global_load_dwordx4 v[14:17], v[18:19], off offset:2048
	v_mul_lo_u16_e32 v18, 43, v44
	v_mov_b32_e32 v19, 6
	v_mul_lo_u16_sdwa v18, v18, v19 dst_sel:DWORD dst_unused:UNUSED_PAD src0_sel:BYTE_1 src1_sel:DWORD
	v_sub_u16_e32 v18, v44, v18
	v_and_b32_e32 v18, 0xff, v18
	v_lshl_add_u32 v18, v18, 5, v46
	ds_read_b128 v[38:41], v18
	ds_read_b128 v[18:21], v18 offset:2048
	v_and_b32_e32 v45, 63, v0
	v_cmp_gt_u32_e32 vcc, 6, v44
	v_mov_b32_e32 v50, 0
	s_and_saveexec_b64 s[10:11], vcc
	s_cbranch_execz .LBB541_15
; %bb.14:
	s_load_dwordx2 s[12:13], s[0:1], 0x40
	v_add_u32_e32 v48, s42, v44
	v_ashrrev_i32_e32 v49, 31, v48
	s_waitcnt lgkmcnt(0)
	v_lshl_add_u64 v[48:49], v[48:49], 2, s[12:13]
	global_load_dword v50, v[48:49], off
.LBB541_15:
	s_or_b64 exec, exec, s[10:11]
	s_ashr_i32 s10, s14, 31
	v_and_or_b32 v46, v0, 48, s14
	s_lshr_b32 s11, s10, 27
	v_add_u32_e32 v48, s11, v46
	v_or_b32_e32 v52, 64, v46
	v_ashrrev_i32_e32 v48, 5, v48
	v_mov_b32_e32 v51, s15
	v_cmp_gt_i32_e32 vcc, s29, v46
	v_add_u32_e32 v53, s11, v52
	s_waitcnt vmcnt(7) lgkmcnt(1)
	v_mfma_f32_16x16x16_bf16 v[56:59], v[22:23], v[38:39], 0
	v_cndmask_b32_e32 v48, v51, v48, vcc
	v_ashrrev_i32_e32 v22, 5, v53
	v_cmp_gt_i32_e32 vcc, s29, v52
	v_ashrrev_i32_e32 v49, 31, v48
	v_lshl_add_u64 v[48:49], v[48:49], 2, s[8:9]
	v_cndmask_b32_e32 v22, v51, v22, vcc
	v_ashrrev_i32_e32 v23, 31, v22
	v_lshl_add_u64 v[22:23], v[22:23], 2, s[8:9]
	global_load_dword v55, v[48:49], off
	global_load_dword v72, v[22:23], off
	s_waitcnt vmcnt(3)
	v_mfma_f32_16x16x16_bf16 v[68:71], v[34:35], v[38:39], 0
	v_or_b32_e32 v48, 0xc0, v46
	v_add_u32_e32 v52, s11, v48
	s_add_u32 s4, s6, s4
	v_mfma_f32_16x16x16_bf16 v[60:63], v[26:27], v[38:39], 0
	s_addc_u32 s5, s7, s5
	s_load_dword s10, s[0:1], 0x1c
	s_mov_b32 s33, 0xff7fffff
	v_mfma_f32_16x16x16_bf16 v[64:67], v[30:31], v[38:39], 0
	v_and_b32_e32 v31, 0xc0, v0
	v_or_b32_e32 v38, 0x80, v46
	v_add_u32_e32 v34, s14, v31
	v_mfma_f32_16x16x16_bf16 v[22:25], v[24:25], v[40:41], v[56:59]
	v_and_b32_e32 v30, 16, v0
	v_add_u32_e32 v49, s11, v38
	v_lshlrev_b32_e32 v46, 1, v30
	v_lshl_or_b32 v56, v54, 2, v34
	v_mfma_f32_16x16x16_bf16 v[34:37], v[36:37], v[40:41], v[68:71]
	v_cmp_gt_i32_e32 vcc, s29, v38
	v_lshlrev_b32_e32 v39, 6, v44
	v_or_b32_e32 v57, 1, v56
	v_mfma_f32_16x16x16_bf16 v[26:29], v[28:29], v[40:41], v[60:63]
	v_cmp_gt_i32_e64 s[34:35], s29, v57
	v_mfma_f32_16x16x16_bf16 v[30:33], v[32:33], v[40:41], v[64:67]
	v_ashrrev_i32_e32 v40, 5, v49
	v_ashrrev_i32_e32 v41, 5, v52
	v_cndmask_b32_e32 v38, v51, v40, vcc
	v_cmp_gt_i32_e32 vcc, s29, v48
	s_waitcnt lgkmcnt(0)
	v_mfma_f32_16x16x16_bf16 v[22:25], v[2:3], v[18:19], v[22:25]
	v_lshl_add_u64 v[2:3], s[4:5], 0, v[46:47]
	v_cndmask_b32_e32 v40, v51, v41, vcc
	v_lshl_or_b32 v46, v1, 10, v39
	v_ashrrev_i32_e32 v39, 31, v38
	v_ashrrev_i32_e32 v41, 31, v40
	s_waitcnt vmcnt(2)
	v_mfma_f32_16x16x16_bf16 v[34:37], v[14:15], v[18:19], v[34:37]
	v_lshl_add_u64 v[14:15], v[38:39], 2, s[8:9]
	v_subrev_u32_e32 v51, s29, v57
	v_cvt_f32_i32_e32 v58, v51
	v_mfma_f32_16x16x16_bf16 v[26:29], v[6:7], v[18:19], v[26:29]
	v_mfma_f32_16x16x16_bf16 v[30:33], v[10:11], v[18:19], v[30:33]
	v_lshl_add_u64 v[18:19], v[40:41], 2, s[8:9]
	global_load_dword v59, v[14:15], off
	global_load_dword v60, v[18:19], off
	v_lshl_add_u64 v[10:11], v[2:3], 0, v[46:47]
	v_mfma_f32_16x16x16_bf16 v[2:5], v[4:5], v[20:21], v[22:25]
	v_add_u32_e32 v46, 1, v51
	v_add_u32_e32 v47, 3, v51
	;; [unrolled: 1-line block ×3, first 2 shown]
	v_mfma_f32_16x16x16_bf16 v[14:17], v[16:17], v[20:21], v[34:37]
	v_add_u32_e32 v22, 2, v51
	s_nop 1
	v_pk_mul_f32 v[52:53], s[10:11], v[4:5] op_sel_hi:[0,1]
	v_cvt_f32_i32_e32 v18, v18
	v_mfma_f32_16x16x16_bf16 v[6:9], v[8:9], v[20:21], v[26:29]
	v_add_u32_e32 v19, 19, v51
	v_pk_mul_f32 v[34:35], s[10:11], v[16:17] op_sel_hi:[0,1]
	v_pk_mul_f32 v[36:37], s[10:11], v[14:15] op_sel_hi:[0,1]
	v_cvt_f32_i32_e32 v27, v22
	v_mfma_f32_16x16x16_bf16 v[22:25], v[12:13], v[20:21], v[30:33]
	v_pk_mul_f32 v[12:13], s[10:11], v[2:3] op_sel_hi:[0,1]
	v_cvt_f32_i32_e32 v26, v46
	v_cvt_f32_i32_e32 v28, v47
	v_pk_mul_f32 v[46:47], s[10:11], v[8:9] op_sel_hi:[0,1]
	v_pk_mul_f32 v[48:49], s[10:11], v[6:7] op_sel_hi:[0,1]
	v_cvt_f32_i32_e32 v19, v19
	v_fma_f32 v46, v50, v18, v46
	v_add_u32_e32 v18, 34, v51
	v_cvt_f32_i32_e32 v18, v18
	v_fmac_f32_e32 v47, v50, v19
	v_add_u32_e32 v19, 35, v51
	v_cvt_f32_i32_e32 v19, v19
	v_pk_mul_f32 v[40:41], s[10:11], v[22:23] op_sel_hi:[0,1]
	v_pk_mul_f32 v[38:39], s[10:11], v[24:25] op_sel_hi:[0,1]
	v_fma_f32 v38, v50, v18, v38
	v_add_u32_e32 v18, 50, v51
	s_waitcnt vmcnt(3)
	v_mad_i64_i32 v[2:3], s[4:5], v55, s45, 0
	s_waitcnt vmcnt(2)
	v_mad_i64_i32 v[4:5], s[4:5], v72, s45, 0
	v_lshl_add_u64 v[16:17], v[2:3], 1, v[10:11]
	v_lshl_add_u64 v[14:15], v[4:5], 1, v[10:11]
	global_load_dwordx4 v[6:9], v[16:17], off
	global_load_dwordx4 v[2:5], v[16:17], off offset:16
	v_add_u32_e32 v16, 16, v51
	v_cvt_f32_i32_e32 v16, v16
	v_add_u32_e32 v17, 17, v51
	v_cvt_f32_i32_e32 v17, v17
	v_fmac_f32_e32 v39, v50, v19
	v_fma_f32 v48, v50, v16, v48
	v_add_u32_e32 v16, 32, v51
	v_fmac_f32_e32 v49, v50, v17
	v_cvt_f32_i32_e32 v16, v16
	v_add_u32_e32 v17, 33, v51
	v_cvt_f32_i32_e32 v17, v17
	v_cvt_f32_i32_e32 v18, v18
	v_fma_f32 v40, v50, v16, v40
	v_add_u32_e32 v16, 48, v51
	v_fmac_f32_e32 v41, v50, v17
	v_cvt_f32_i32_e32 v16, v16
	v_add_u32_e32 v17, 49, v51
	v_cvt_f32_i32_e32 v17, v17
	v_add_u32_e32 v19, 51, v51
	v_cvt_f32_i32_e32 v19, v19
	v_fma_f32 v12, v50, v58, v12
	v_fmac_f32_e32 v13, v50, v26
	v_fma_f32 v36, v50, v16, v36
	v_mov_b32_e32 v16, 0xff7fffff
	v_cmp_gt_i32_e64 s[4:5], s29, v56
	v_fmac_f32_e32 v37, v50, v17
	v_fma_f32 v34, v50, v18, v34
	v_cndmask_b32_e64 v17, v16, v12, s[4:5]
	v_cndmask_b32_e64 v18, v16, v13, s[34:35]
	v_fmac_f32_e32 v35, v50, v19
	v_max3_f32 v17, v17, s33, v18
	v_or_b32_e32 v18, 2, v56
	v_or_b32_e32 v19, 3, v56
	v_fma_f32 v52, v50, v27, v52
	v_fmac_f32_e32 v53, v50, v28
	v_cmp_gt_i32_e64 s[36:37], s29, v18
	v_cmp_gt_i32_e64 s[38:39], s29, v19
	global_load_dwordx4 v[30:33], v[14:15], off
	global_load_dwordx4 v[26:29], v[14:15], off offset:16
	v_cndmask_b32_e64 v18, v16, v52, s[36:37]
	v_cndmask_b32_e64 v19, v16, v53, s[38:39]
	v_max3_f32 v17, v17, v18, v19
	v_or_b32_e32 v18, 16, v56
	v_or_b32_e32 v19, 17, v56
	v_cmp_gt_i32_e64 s[24:25], s29, v18
	v_cmp_gt_i32_e64 s[26:27], s29, v19
	s_nop 0
	v_cndmask_b32_e64 v18, v16, v48, s[24:25]
	v_cndmask_b32_e64 v19, v16, v49, s[26:27]
	v_max3_f32 v17, v17, v18, v19
	v_or_b32_e32 v18, 18, v56
	v_or_b32_e32 v19, 19, v56
	v_cmp_gt_i32_e64 s[20:21], s29, v18
	v_cmp_gt_i32_e64 s[22:23], s29, v19
	s_nop 0
	;; [unrolled: 8-line block ×5, first 2 shown]
	v_cndmask_b32_e64 v18, v16, v36, s[8:9]
	v_cndmask_b32_e64 v19, v16, v37, s[10:11]
	v_max3_f32 v17, v17, v18, v19
	v_or_b32_e32 v18, 50, v56
	v_or_b32_e32 v19, 51, v56
	v_cmp_gt_i32_e32 vcc, s29, v18
	v_cmp_gt_i32_e64 s[6:7], s29, v19
	s_nop 0
	v_cndmask_b32_e32 v18, v16, v34, vcc
	v_cndmask_b32_e64 v16, v16, v35, s[6:7]
	v_max3_f32 v16, v17, v18, v16
	v_mbcnt_lo_u32_b32 v17, -1, 0
	v_mbcnt_hi_u32_b32 v17, -1, v17
	v_and_b32_e32 v18, 64, v17
	v_add_u32_e32 v18, 64, v18
	v_xor_b32_e32 v19, 32, v17
	v_cmp_lt_i32_e64 s[40:41], v19, v18
	s_nop 1
	v_cndmask_b32_e64 v19, v17, v19, s[40:41]
	v_lshlrev_b32_e32 v56, 2, v19
	ds_bpermute_b32 v19, v56, v16
	s_waitcnt vmcnt(5)
	v_mad_i64_i32 v[14:15], s[40:41], v59, s45, 0
	v_lshl_add_u64 v[14:15], v[14:15], 1, v[10:11]
	s_waitcnt lgkmcnt(0)
	v_max_f32_e32 v19, v19, v19
	v_max_f32_e32 v16, v16, v19
	v_xor_b32_e32 v19, 16, v17
	v_cmp_lt_i32_e64 s[40:41], v19, v18
	s_nop 1
	v_cndmask_b32_e64 v17, v17, v19, s[40:41]
	v_lshlrev_b32_e32 v57, 2, v17
	ds_bpermute_b32 v17, v57, v16
	global_load_dwordx4 v[22:25], v[14:15], off
	global_load_dwordx4 v[18:21], v[14:15], off offset:16
	s_waitcnt vmcnt(6)
	v_mad_i64_i32 v[14:15], s[40:41], v60, s45, 0
	v_lshl_add_u64 v[10:11], v[14:15], 1, v[10:11]
	s_waitcnt lgkmcnt(0)
	v_max_f32_e32 v14, v17, v17
	v_max_f32_e32 v55, v16, v14
	v_sub_f32_e32 v12, v12, v55
	v_mul_f32_e32 v12, 0x3fb8aa3b, v12
	v_exp_f32_e32 v50, v12
	v_sub_f32_e32 v12, v13, v55
	v_mul_f32_e32 v12, 0x3fb8aa3b, v12
	v_exp_f32_e32 v51, v12
	global_load_dwordx4 v[14:17], v[10:11], off
	s_nop 0
	global_load_dwordx4 v[10:13], v[10:11], off offset:16
	v_sub_f32_e32 v52, v52, v55
	v_mul_f32_e32 v52, 0x3fb8aa3b, v52
	v_sub_f32_e32 v53, v53, v55
	v_exp_f32_e32 v52, v52
	v_mul_f32_e32 v53, 0x3fb8aa3b, v53
	v_sub_f32_e32 v48, v48, v55
	v_exp_f32_e32 v53, v53
	v_mul_f32_e32 v48, 0x3fb8aa3b, v48
	v_sub_f32_e32 v49, v49, v55
	v_cndmask_b32_e64 v50, 0, v50, s[4:5]
	v_exp_f32_e32 v48, v48
	v_mul_f32_e32 v49, 0x3fb8aa3b, v49
	v_sub_f32_e32 v46, v46, v55
	v_add_f32_e32 v58, 0, v50
	v_cndmask_b32_e64 v51, 0, v51, s[34:35]
	v_exp_f32_e32 v49, v49
	v_mul_f32_e32 v46, 0x3fb8aa3b, v46
	v_sub_f32_e32 v47, v47, v55
	v_add_f32_e32 v58, v58, v51
	;; [unrolled: 5-line block ×10, first 2 shown]
	v_cndmask_b32_e64 v38, 0, v38, s[12:13]
	v_exp_f32_e32 v34, v34
	v_mul_f32_e32 v35, 0x3fb8aa3b, v35
	v_add_f32_e32 v58, v58, v38
	v_cndmask_b32_e64 v39, 0, v39, s[14:15]
	v_exp_f32_e32 v35, v35
	v_add_f32_e32 v58, v58, v39
	v_cndmask_b32_e64 v36, 0, v36, s[8:9]
	v_add_f32_e32 v58, v58, v36
	v_cndmask_b32_e64 v37, 0, v37, s[10:11]
	v_add_f32_e32 v58, v58, v37
	v_cndmask_b32_e32 v34, 0, v34, vcc
	v_add_f32_e32 v58, v58, v34
	v_cndmask_b32_e64 v35, 0, v35, s[6:7]
	v_add_f32_e32 v58, v58, v35
	ds_bpermute_b32 v56, v56, v58
	s_load_dword s7, s[0:1], 0x98
	v_cmp_gt_u32_e32 vcc, 16, v45
	v_lshlrev_b32_e32 v45, 2, v44
	s_waitcnt lgkmcnt(0)
	v_add_f32_e32 v56, v58, v56
	ds_bpermute_b32 v57, v57, v56
	s_barrier
	s_waitcnt lgkmcnt(0)
	s_and_saveexec_b64 s[4:5], vcc
	s_cbranch_execz .LBB541_17
; %bb.16:
	v_add_f32_e32 v56, v56, v57
	v_lshl_or_b32 v57, v1, 6, v45
	ds_write2st64_b32 v57, v55, v56 offset1:1
.LBB541_17:
	s_or_b64 exec, exec, s[4:5]
	s_load_dword s6, s[0:1], 0x94
	s_waitcnt lgkmcnt(0)
	s_barrier
	ds_read2_b32 v[56:57], v45 offset1:16
	ds_read2_b32 v[58:59], v45 offset0:32 offset1:48
	ds_read2_b32 v[60:61], v45 offset0:64 offset1:80
	;; [unrolled: 1-line block ×3, first 2 shown]
	s_movk_i32 s8, 0x7fff
	s_waitcnt lgkmcnt(3)
	v_max3_f32 v55, v56, s33, v57
	s_waitcnt lgkmcnt(2)
	v_max3_f32 v55, v55, v58, v59
	v_sub_f32_e32 v56, v56, v55
	v_mul_f32_e32 v56, 0x3fb8aa3b, v56
	v_exp_f32_e32 v64, v56
	v_sub_f32_e32 v56, v57, v55
	v_mul_f32_e32 v56, 0x3fb8aa3b, v56
	v_exp_f32_e32 v57, v56
	v_sub_f32_e32 v56, v58, v55
	v_mul_f32_e32 v56, 0x3fb8aa3b, v56
	v_sub_f32_e32 v45, v59, v55
	v_exp_f32_e32 v58, v56
	v_mul_f32_e32 v45, 0x3fb8aa3b, v45
	v_exp_f32_e32 v45, v45
	s_waitcnt lgkmcnt(1)
	v_fma_f32 v56, v64, v60, 0
	v_fmac_f32_e32 v56, v57, v61
	s_waitcnt lgkmcnt(0)
	v_fmac_f32_e32 v56, v58, v62
	v_fmac_f32_e32 v56, v45, v63
	v_add_f32_e32 v59, 0x358637bd, v56
	v_div_scale_f32 v60, s[4:5], v59, v59, 1.0
	v_rcp_f32_e32 v61, v60
	s_mov_b32 s9, 0x7060302
	s_mul_i32 s7, s7, 6
	v_fma_f32 v62, -v60, v61, 1.0
	v_fmac_f32_e32 v61, v62, v61
	v_div_scale_f32 v62, vcc, 1.0, v59, 1.0
	v_mul_f32_e32 v63, v62, v61
	v_fma_f32 v65, -v60, v63, v62
	v_fmac_f32_e32 v63, v65, v61
	v_fma_f32 v60, -v60, v63, v62
	v_div_fmas_f32 v60, v60, v61, v63
	v_cmp_eq_u32_e32 vcc, 1, v1
	v_div_fixup_f32 v59, v60, v59, 1.0
	s_barrier
	v_cndmask_b32_e32 v57, v64, v57, vcc
	v_cmp_eq_u32_e32 vcc, 2, v1
	s_nop 1
	v_cndmask_b32_e32 v57, v57, v58, vcc
	v_cmp_eq_u32_e32 vcc, 3, v1
	v_lshlrev_b32_e32 v1, 11, v1
	s_nop 0
	v_cndmask_b32_e32 v45, v57, v45, vcc
	v_mul_f32_e32 v58, v45, v59
	v_pk_mul_f32 v[50:51], v[58:59], v[50:51] op_sel_hi:[0,1]
	v_bfe_u32 v45, v51, 16, 1
	v_bfe_u32 v57, v50, 16, 1
	v_pk_mul_f32 v[52:53], v[58:59], v[52:53] op_sel_hi:[0,1]
	v_add3_u32 v50, v50, v57, s8
	v_add3_u32 v45, v51, v45, s8
	v_perm_b32 v60, v45, v50, s9
	v_bfe_u32 v45, v53, 16, 1
	v_bfe_u32 v50, v52, 16, 1
	v_add3_u32 v50, v52, v50, s8
	v_add3_u32 v45, v53, v45, s8
	v_perm_b32 v61, v45, v50, s9
	v_lshlrev_b32_e32 v45, 3, v54
	v_lshlrev_b32_e32 v50, 5, v44
	v_pk_mul_f32 v[48:49], v[58:59], v[48:49] op_sel_hi:[0,1]
	v_or3_b32 v1, v1, v50, v45
	v_bfe_u32 v45, v49, 16, 1
	v_bfe_u32 v51, v48, 16, 1
	v_pk_mul_f32 v[46:47], v[58:59], v[46:47] op_sel_hi:[0,1]
	v_add3_u32 v48, v48, v51, s8
	v_add3_u32 v45, v49, v45, s8
	v_perm_b32 v48, v45, v48, s9
	v_bfe_u32 v45, v47, 16, 1
	v_bfe_u32 v49, v46, 16, 1
	v_add3_u32 v46, v46, v49, s8
	v_add3_u32 v45, v47, v45, s8
	v_pk_mul_f32 v[40:41], v[58:59], v[40:41] op_sel_hi:[0,1]
	v_perm_b32 v49, v45, v46, s9
	v_bfe_u32 v45, v41, 16, 1
	v_bfe_u32 v46, v40, 16, 1
	v_pk_mul_f32 v[38:39], v[58:59], v[38:39] op_sel_hi:[0,1]
	v_add3_u32 v40, v40, v46, s8
	v_add3_u32 v41, v41, v45, s8
	v_perm_b32 v40, v41, v40, s9
	v_bfe_u32 v41, v39, 16, 1
	v_bfe_u32 v45, v38, 16, 1
	v_add3_u32 v38, v38, v45, s8
	v_add3_u32 v39, v39, v41, s8
	v_pk_mul_f32 v[36:37], v[58:59], v[36:37] op_sel_hi:[0,1]
	v_perm_b32 v41, v39, v38, s9
	v_bfe_u32 v38, v37, 16, 1
	v_bfe_u32 v39, v36, 16, 1
	v_pk_mul_f32 v[34:35], v[58:59], v[34:35] op_sel_hi:[0,1]
	v_add3_u32 v36, v36, v39, s8
	v_add3_u32 v37, v37, v38, s8
	v_perm_b32 v36, v37, v36, s9
	v_bfe_u32 v37, v35, 16, 1
	v_bfe_u32 v38, v34, 16, 1
	v_add3_u32 v34, v34, v38, s8
	v_add3_u32 v35, v35, v37, s8
	v_perm_b32 v37, v35, v34, s9
	v_cmp_gt_u32_e32 vcc, 6, v0
	ds_write2st64_b64 v1, v[60:61], v[48:49] offset1:1
	ds_write2st64_b64 v1, v[40:41], v[36:37] offset0:2 offset1:3
	s_and_saveexec_b64 s[4:5], vcc
	s_cbranch_execz .LBB541_19
; %bb.18:
	s_mov_b32 s43, 0
	v_mov_b32_e32 v45, 0
	v_lshl_add_u64 v[34:35], s[42:43], 0, v[44:45]
	v_mov_b32_e32 v36, s7
	v_mad_u64_u32 v[34:35], s[10:11], s2, v36, v[34:35]
	s_mul_i32 s3, s3, s7
	v_mov_b32_e32 v44, s28
	s_load_dwordx4 s[12:15], s[0:1], 0x58
	v_add_u32_e32 v37, s3, v35
	v_mad_u64_u32 v[34:35], s[10:11], v34, s6, v[44:45]
	v_mov_b32_e32 v36, v35
	v_mad_u64_u32 v[36:37], s[10:11], v37, s6, v[36:37]
	v_mov_b32_e32 v35, v36
	v_lshlrev_b64 v[34:35], 2, v[34:35]
	s_waitcnt lgkmcnt(0)
	v_lshl_add_u64 v[36:37], s[14:15], 0, v[34:35]
	v_lshl_add_u64 v[34:35], s[12:13], 0, v[34:35]
	global_store_dword v[36:37], v55, off
	global_store_dword v[34:35], v56, off
.LBB541_19:
	s_or_b64 exec, exec, s[4:5]
	v_lshl_or_b32 v48, v54, 9, v50
	s_waitcnt lgkmcnt(0)
	s_barrier
	ds_read_b128 v[34:37], v48
	ds_read_b128 v[38:41], v48 offset:16
	s_waitcnt vmcnt(7) lgkmcnt(1)
	v_mfma_f32_16x16x16_bf16 v[44:47], v[6:7], v[34:35], 0
	v_cmp_gt_u32_e32 vcc, 64, v0
	s_mov_b32 s3, 0
	s_and_b64 s[4:5], vcc, s[30:31]
	v_mfma_f32_16x16x16_bf16 v[6:9], v[8:9], v[36:37], v[44:47]
	s_waitcnt vmcnt(6) lgkmcnt(0)
	v_mfma_f32_16x16x16_bf16 v[6:9], v[2:3], v[38:39], v[6:9]
	v_mfma_f32_16x16x16_bf16 v[2:5], v[4:5], v[40:41], v[6:9]
	s_nop 5
	ds_read_b128 v[6:9], v48 offset:2048
	ds_read_b128 v[34:37], v48 offset:2064
	s_waitcnt vmcnt(5) lgkmcnt(1)
	v_mfma_f32_16x16x16_bf16 v[2:5], v[30:31], v[6:7], v[2:5]
	v_mfma_f32_16x16x16_bf16 v[2:5], v[32:33], v[8:9], v[2:5]
	s_waitcnt vmcnt(4) lgkmcnt(0)
	v_mfma_f32_16x16x16_bf16 v[2:5], v[26:27], v[34:35], v[2:5]
	v_mfma_f32_16x16x16_bf16 v[2:5], v[28:29], v[36:37], v[2:5]
	ds_read_b128 v[6:9], v48 offset:4096
	ds_read_b128 v[26:29], v48 offset:4112
	s_waitcnt vmcnt(3) lgkmcnt(1)
	v_mfma_f32_16x16x16_bf16 v[2:5], v[22:23], v[6:7], v[2:5]
	v_mfma_f32_16x16x16_bf16 v[2:5], v[24:25], v[8:9], v[2:5]
	s_waitcnt vmcnt(2) lgkmcnt(0)
	v_mfma_f32_16x16x16_bf16 v[2:5], v[18:19], v[26:27], v[2:5]
	v_mfma_f32_16x16x16_bf16 v[2:5], v[20:21], v[28:29], v[2:5]
	ds_read_b128 v[6:9], v48 offset:6144
	ds_read_b128 v[18:21], v48 offset:6160
	s_waitcnt lgkmcnt(0)
	s_barrier
	s_waitcnt vmcnt(1)
	v_mfma_f32_16x16x16_bf16 v[2:5], v[14:15], v[6:7], v[2:5]
	v_mfma_f32_16x16x16_bf16 v[2:5], v[16:17], v[8:9], v[2:5]
	s_waitcnt vmcnt(0)
	v_mfma_f32_16x16x16_bf16 v[2:5], v[10:11], v[18:19], v[2:5]
	v_mfma_f32_16x16x16_bf16 v[2:5], v[12:13], v[20:21], v[2:5]
	s_nop 6
	v_bfe_u32 v6, v3, 16, 1
	v_bfe_u32 v7, v2, 16, 1
	;; [unrolled: 1-line block ×4, first 2 shown]
	v_add3_u32 v2, v2, v7, s8
	v_add3_u32 v3, v3, v6, s8
	;; [unrolled: 1-line block ×4, first 2 shown]
	v_perm_b32 v2, v3, v2, s9
	v_perm_b32 v3, v5, v4, s9
	ds_write_b64 v1, v[2:3]
	s_waitcnt lgkmcnt(0)
	s_barrier
	s_and_saveexec_b64 s[8:9], s[4:5]
	s_cbranch_execz .LBB541_22
; %bb.20:
	s_load_dwordx2 s[4:5], s[0:1], 0x68
	s_lshl_b32 s0, s6, 6
	s_mul_i32 s1, s7, s2
	s_mul_hi_u32 s7, s1, s0
	s_mul_i32 s6, s1, s0
	v_lshlrev_b32_e32 v1, 10, v0
	v_lshlrev_b32_e32 v0, 4, v0
	s_lshl_b64 s[6:7], s[6:7], 1
	v_and_b32_e32 v1, 0x1800, v1
	v_lshlrev_b32_e32 v3, 5, v54
	v_and_b32_e32 v0, 16, v0
	s_waitcnt lgkmcnt(0)
	s_add_u32 s1, s4, s6
	v_or3_b32 v3, v1, v3, v0
	s_addc_u32 s4, s5, s7
	s_lshl_b32 s2, s28, 6
	s_lshl_b64 s[2:3], s[2:3], 1
	ds_read_b128 v[4:7], v3
	s_add_u32 s2, s1, s2
	s_addc_u32 s3, s4, s3
	v_add_u32_e32 v8, s42, v54
	v_or_b32_e32 v2, 4, v54
	v_lshl_add_u64 v[0:1], v[42:43], 1, s[2:3]
	v_mad_u64_u32 v[8:9], s[2:3], v8, s0, 0
	v_lshl_add_u64 v[8:9], v[8:9], 1, v[0:1]
	v_cmp_gt_u32_e32 vcc, 6, v2
	s_waitcnt lgkmcnt(0)
	global_store_dwordx4 v[8:9], v[4:7], off
	s_and_b64 exec, exec, vcc
	s_cbranch_execz .LBB541_22
; %bb.21:
	ds_read_b128 v[4:7], v3 offset:128
	v_add_u32_e32 v2, s42, v2
	v_mad_u64_u32 v[2:3], s[0:1], v2, s0, 0
	v_lshl_add_u64 v[0:1], v[2:3], 1, v[0:1]
	s_waitcnt lgkmcnt(0)
	global_store_dwordx4 v[0:1], v[4:7], off
.LBB541_22:
	s_endpgm
	.section	.rodata,"a",@progbits
	.p2align	6, 0x0
	.amdhsa_kernel _Z39paged_attention_ll4mi_QKV_mfma16_kernelI14__hip_bfloat16S0_LN4vllm18Fp8KVCacheDataTypeE0ES0_Li32ELi64ELi256ELb1ELi6EEvPKT_PKT0_S8_ifPKiSA_SA_iPKfiiiPfSD_PS3_PT2_iSC_SC_
		.amdhsa_group_segment_fixed_size 8192
		.amdhsa_private_segment_fixed_size 0
		.amdhsa_kernarg_size 400
		.amdhsa_user_sgpr_count 2
		.amdhsa_user_sgpr_dispatch_ptr 0
		.amdhsa_user_sgpr_queue_ptr 0
		.amdhsa_user_sgpr_kernarg_segment_ptr 1
		.amdhsa_user_sgpr_dispatch_id 0
		.amdhsa_user_sgpr_kernarg_preload_length 0
		.amdhsa_user_sgpr_kernarg_preload_offset 0
		.amdhsa_user_sgpr_private_segment_size 0
		.amdhsa_uses_dynamic_stack 0
		.amdhsa_enable_private_segment 0
		.amdhsa_system_sgpr_workgroup_id_x 1
		.amdhsa_system_sgpr_workgroup_id_y 1
		.amdhsa_system_sgpr_workgroup_id_z 1
		.amdhsa_system_sgpr_workgroup_info 0
		.amdhsa_system_vgpr_workitem_id 0
		.amdhsa_next_free_vgpr 73
		.amdhsa_next_free_sgpr 48
		.amdhsa_accum_offset 76
		.amdhsa_reserve_vcc 1
		.amdhsa_float_round_mode_32 0
		.amdhsa_float_round_mode_16_64 0
		.amdhsa_float_denorm_mode_32 3
		.amdhsa_float_denorm_mode_16_64 3
		.amdhsa_dx10_clamp 1
		.amdhsa_ieee_mode 1
		.amdhsa_fp16_overflow 0
		.amdhsa_tg_split 0
		.amdhsa_exception_fp_ieee_invalid_op 0
		.amdhsa_exception_fp_denorm_src 0
		.amdhsa_exception_fp_ieee_div_zero 0
		.amdhsa_exception_fp_ieee_overflow 0
		.amdhsa_exception_fp_ieee_underflow 0
		.amdhsa_exception_fp_ieee_inexact 0
		.amdhsa_exception_int_div_zero 0
	.end_amdhsa_kernel
	.section	.text._Z39paged_attention_ll4mi_QKV_mfma16_kernelI14__hip_bfloat16S0_LN4vllm18Fp8KVCacheDataTypeE0ES0_Li32ELi64ELi256ELb1ELi6EEvPKT_PKT0_S8_ifPKiSA_SA_iPKfiiiPfSD_PS3_PT2_iSC_SC_,"axG",@progbits,_Z39paged_attention_ll4mi_QKV_mfma16_kernelI14__hip_bfloat16S0_LN4vllm18Fp8KVCacheDataTypeE0ES0_Li32ELi64ELi256ELb1ELi6EEvPKT_PKT0_S8_ifPKiSA_SA_iPKfiiiPfSD_PS3_PT2_iSC_SC_,comdat
.Lfunc_end541:
	.size	_Z39paged_attention_ll4mi_QKV_mfma16_kernelI14__hip_bfloat16S0_LN4vllm18Fp8KVCacheDataTypeE0ES0_Li32ELi64ELi256ELb1ELi6EEvPKT_PKT0_S8_ifPKiSA_SA_iPKfiiiPfSD_PS3_PT2_iSC_SC_, .Lfunc_end541-_Z39paged_attention_ll4mi_QKV_mfma16_kernelI14__hip_bfloat16S0_LN4vllm18Fp8KVCacheDataTypeE0ES0_Li32ELi64ELi256ELb1ELi6EEvPKT_PKT0_S8_ifPKiSA_SA_iPKfiiiPfSD_PS3_PT2_iSC_SC_
                                        ; -- End function
	.section	.AMDGPU.csdata,"",@progbits
; Kernel info:
; codeLenInByte = 4416
; NumSgprs: 54
; NumVgprs: 73
; NumAgprs: 0
; TotalNumVgprs: 73
; ScratchSize: 0
; MemoryBound: 0
; FloatMode: 240
; IeeeMode: 1
; LDSByteSize: 8192 bytes/workgroup (compile time only)
; SGPRBlocks: 6
; VGPRBlocks: 9
; NumSGPRsForWavesPerEU: 54
; NumVGPRsForWavesPerEU: 73
; AccumOffset: 76
; Occupancy: 6
; WaveLimiterHint : 1
; COMPUTE_PGM_RSRC2:SCRATCH_EN: 0
; COMPUTE_PGM_RSRC2:USER_SGPR: 2
; COMPUTE_PGM_RSRC2:TRAP_HANDLER: 0
; COMPUTE_PGM_RSRC2:TGID_X_EN: 1
; COMPUTE_PGM_RSRC2:TGID_Y_EN: 1
; COMPUTE_PGM_RSRC2:TGID_Z_EN: 1
; COMPUTE_PGM_RSRC2:TIDIG_COMP_CNT: 0
; COMPUTE_PGM_RSRC3_GFX90A:ACCUM_OFFSET: 18
; COMPUTE_PGM_RSRC3_GFX90A:TG_SPLIT: 0
	.section	.text._Z39paged_attention_ll4mi_QKV_mfma16_kernelI14__hip_bfloat16S0_LN4vllm18Fp8KVCacheDataTypeE0ES0_Li32ELi64ELi256ELb1ELi7EEvPKT_PKT0_S8_ifPKiSA_SA_iPKfiiiPfSD_PS3_PT2_iSC_SC_,"axG",@progbits,_Z39paged_attention_ll4mi_QKV_mfma16_kernelI14__hip_bfloat16S0_LN4vllm18Fp8KVCacheDataTypeE0ES0_Li32ELi64ELi256ELb1ELi7EEvPKT_PKT0_S8_ifPKiSA_SA_iPKfiiiPfSD_PS3_PT2_iSC_SC_,comdat
	.protected	_Z39paged_attention_ll4mi_QKV_mfma16_kernelI14__hip_bfloat16S0_LN4vllm18Fp8KVCacheDataTypeE0ES0_Li32ELi64ELi256ELb1ELi7EEvPKT_PKT0_S8_ifPKiSA_SA_iPKfiiiPfSD_PS3_PT2_iSC_SC_ ; -- Begin function _Z39paged_attention_ll4mi_QKV_mfma16_kernelI14__hip_bfloat16S0_LN4vllm18Fp8KVCacheDataTypeE0ES0_Li32ELi64ELi256ELb1ELi7EEvPKT_PKT0_S8_ifPKiSA_SA_iPKfiiiPfSD_PS3_PT2_iSC_SC_
	.globl	_Z39paged_attention_ll4mi_QKV_mfma16_kernelI14__hip_bfloat16S0_LN4vllm18Fp8KVCacheDataTypeE0ES0_Li32ELi64ELi256ELb1ELi7EEvPKT_PKT0_S8_ifPKiSA_SA_iPKfiiiPfSD_PS3_PT2_iSC_SC_
	.p2align	8
	.type	_Z39paged_attention_ll4mi_QKV_mfma16_kernelI14__hip_bfloat16S0_LN4vllm18Fp8KVCacheDataTypeE0ES0_Li32ELi64ELi256ELb1ELi7EEvPKT_PKT0_S8_ifPKiSA_SA_iPKfiiiPfSD_PS3_PT2_iSC_SC_,@function
_Z39paged_attention_ll4mi_QKV_mfma16_kernelI14__hip_bfloat16S0_LN4vllm18Fp8KVCacheDataTypeE0ES0_Li32ELi64ELi256ELb1ELi7EEvPKT_PKT0_S8_ifPKiSA_SA_iPKfiiiPfSD_PS3_PT2_iSC_SC_: ; @_Z39paged_attention_ll4mi_QKV_mfma16_kernelI14__hip_bfloat16S0_LN4vllm18Fp8KVCacheDataTypeE0ES0_Li32ELi64ELi256ELb1ELi7EEvPKT_PKT0_S8_ifPKiSA_SA_iPKfiiiPfSD_PS3_PT2_iSC_SC_
; %bb.0:
	s_load_dwordx2 s[6:7], s[0:1], 0x30
	s_mov_b32 s28, s3
	s_mov_b64 s[8:9], 0
	s_waitcnt lgkmcnt(0)
	s_cmp_lg_u64 s[6:7], 0
	s_cselect_b64 s[10:11], -1, 0
	s_and_b64 vcc, exec, s[10:11]
	s_cbranch_vccz .LBB542_7
; %bb.1:
	s_add_i32 s12, s2, 1
	s_mov_b32 s13, 0
	s_lshl_b64 s[14:15], s[12:13], 2
	s_add_u32 s14, s6, s14
	s_mov_b32 s3, s13
	s_addc_u32 s15, s7, s15
	s_lshl_b64 s[12:13], s[2:3], 2
	s_add_u32 s12, s6, s12
	s_addc_u32 s13, s7, s13
	s_load_dword s5, s[14:15], 0x0
	s_load_dword s16, s[12:13], 0x0
	s_waitcnt lgkmcnt(0)
	s_sub_i32 s5, s5, s16
	s_cmp_eq_u32 s5, 1
	s_cselect_b64 s[12:13], -1, 0
	s_andn2_b64 vcc, exec, s[8:9]
	s_cbranch_vccnz .LBB542_3
.LBB542_2:
	s_mov_b32 s3, 0
	s_mov_b64 s[12:13], -1
.LBB542_3:
	s_andn2_b64 vcc, exec, s[12:13]
	s_cbranch_vccnz .LBB542_22
; %bb.4:
	s_load_dwordx2 s[8:9], s[0:1], 0x28
	s_lshl_b64 s[12:13], s[2:3], 2
	s_waitcnt lgkmcnt(0)
	s_add_u32 s8, s8, s12
	s_addc_u32 s9, s9, s13
	s_load_dword s29, s[8:9], 0x0
	s_lshl_b32 s14, s28, 8
	s_waitcnt lgkmcnt(0)
	s_cmp_ge_i32 s14, s29
	s_cbranch_scc1 .LBB542_22
; %bb.5:
	s_load_dwordx2 s[8:9], s[0:1], 0x20
	s_load_dword s5, s[0:1], 0x38
	s_add_i32 s15, s29, 31
	s_ashr_i32 s16, s15, 31
	v_and_b32_e32 v1, 0xcf, v0
	s_lshr_b32 s16, s16, 27
	v_add_u32_e32 v1, s14, v1
	s_add_i32 s15, s15, s16
	v_ashrrev_i32_e32 v2, 31, v1
	s_ashr_i32 s15, s15, 5
	v_lshrrev_b32_e32 v6, 27, v2
	s_add_i32 s15, s15, -1
	s_waitcnt lgkmcnt(0)
	s_mul_i32 s16, s2, s5
	s_mov_b32 s17, 0
	v_add_u32_e32 v2, v1, v6
	s_lshl_b64 s[16:17], s[16:17], 2
	v_ashrrev_i32_e32 v2, 5, v2
	v_mov_b32_e32 v7, s15
	v_cmp_gt_i32_e32 vcc, s29, v1
	s_add_u32 s8, s8, s16
	s_addc_u32 s9, s9, s17
	v_cndmask_b32_e32 v2, v7, v2, vcc
	v_ashrrev_i32_e32 v3, 31, v2
	v_lshl_add_u64 v[4:5], v[2:3], 2, s[8:9]
	v_or_b32_e32 v2, 16, v1
	v_add_u32_e32 v3, v2, v6
	v_ashrrev_i32_e32 v3, 5, v3
	v_cmp_gt_i32_e32 vcc, s29, v2
	s_nop 1
	v_cndmask_b32_e32 v2, v7, v3, vcc
	v_ashrrev_i32_e32 v3, 31, v2
	v_lshl_add_u64 v[8:9], v[2:3], 2, s[8:9]
	v_or_b32_e32 v2, 32, v1
	v_add_u32_e32 v3, v2, v6
	v_ashrrev_i32_e32 v3, 5, v3
	v_cmp_gt_i32_e32 vcc, s29, v2
	v_or_b32_e32 v1, 48, v1
	s_nop 0
	v_cndmask_b32_e32 v2, v7, v3, vcc
	v_ashrrev_i32_e32 v3, 31, v2
	v_lshl_add_u64 v[12:13], v[2:3], 2, s[8:9]
	v_add_u32_e32 v2, v1, v6
	v_ashrrev_i32_e32 v2, 5, v2
	v_cmp_gt_i32_e32 vcc, s29, v1
	s_nop 1
	v_cndmask_b32_e32 v2, v7, v2, vcc
	v_ashrrev_i32_e32 v3, 31, v2
	v_lshl_add_u64 v[16:17], v[2:3], 2, s[8:9]
	global_load_dword v2, v[4:5], off
	global_load_dword v6, v[8:9], off
	;; [unrolled: 1-line block ×4, first 2 shown]
	s_andn2_b64 vcc, exec, s[10:11]
	s_cbranch_vccnz .LBB542_8
; %bb.6:
	s_add_u32 s6, s6, s12
	s_addc_u32 s7, s7, s13
	s_load_dword s5, s[6:7], 0x0
	s_branch .LBB542_9
.LBB542_7:
	s_mov_b64 s[12:13], 0
	s_branch .LBB542_2
.LBB542_8:
	s_mov_b32 s5, s2
.LBB542_9:
	s_load_dwordx2 s[10:11], s[0:1], 0x8
	s_load_dwordx4 s[44:47], s[0:1], 0x48
	v_lshrrev_b32_e32 v1, 6, v0
	v_bfe_u32 v54, v0, 4, 2
	v_lshl_or_b32 v3, v1, 2, v54
	v_and_b32_e32 v44, 15, v0
	v_cmp_lt_u32_e32 vcc, 6, v3
	v_cmp_lt_u32_e64 s[6:7], 7, v44
	v_lshlrev_b32_e32 v42, 3, v44
	v_cmp_gt_u32_e64 s[30:31], 8, v44
	s_or_b64 s[6:7], s[6:7], vcc
	s_and_saveexec_b64 s[12:13], s[6:7]
	s_xor_b64 s[6:7], exec, s[12:13]
; %bb.10:
	v_mov_b32_e32 v43, 0
                                        ; implicit-def: $vgpr3
; %bb.11:
	s_or_saveexec_b64 s[12:13], s[6:7]
	s_load_dwordx2 s[6:7], s[0:1], 0x10
	s_mul_i32 s42, s4, 7
	s_xor_b64 exec, exec, s[12:13]
	s_cbranch_execz .LBB542_13
; %bb.12:
	s_load_dwordx2 s[16:17], s[0:1], 0x0
	s_waitcnt lgkmcnt(0)
	s_ashr_i32 s18, s44, 31
	s_mul_hi_u32 s19, s5, s44
	s_mul_i32 s18, s5, s18
	s_add_i32 s19, s19, s18
	s_mul_i32 s18, s5, s44
	s_lshl_b64 s[18:19], s[18:19], 1
	s_add_u32 s16, s16, s18
	v_add_lshl_u32 v4, v3, s42, 6
	s_addc_u32 s17, s17, s19
	v_ashrrev_i32_e32 v5, 31, v4
	v_mov_b32_e32 v43, 0
	v_lshl_add_u64 v[4:5], v[4:5], 1, s[16:17]
	v_lshlrev_b32_e32 v8, 1, v42
	v_mov_b32_e32 v9, v43
	v_lshl_add_u64 v[4:5], v[4:5], 0, v[8:9]
	global_load_dwordx4 v[16:19], v[4:5], off
	v_and_b32_e32 v4, 3, v0
	v_lshlrev_b32_e32 v5, 9, v44
	v_lshlrev_b32_e32 v3, 5, v3
	;; [unrolled: 1-line block ×3, first 2 shown]
	v_and_b32_e32 v5, 0x1800, v5
	v_or3_b32 v3, v5, v4, v3
	s_waitcnt vmcnt(0)
	ds_write_b128 v3, v[16:19]
.LBB542_13:
	s_or_b64 exec, exec, s[12:13]
	s_waitcnt lgkmcnt(0)
	s_mul_i32 s4, s4, s46
	s_mov_b32 s5, 0
	s_lshl_b64 s[4:5], s[4:5], 1
	s_add_u32 s10, s10, s4
	s_addc_u32 s11, s11, s5
	s_waitcnt vmcnt(3)
	v_mad_i64_i32 v[2:3], s[12:13], v2, s45, 0
	v_lshl_add_u64 v[2:3], v[2:3], 1, s[10:11]
	v_lshlrev_b64 v[12:13], 1, v[42:43]
	v_lshlrev_b32_e32 v46, 9, v54
	v_lshl_add_u64 v[2:3], v[2:3], 0, v[12:13]
	v_mov_b32_e32 v47, 0
	v_lshl_add_u64 v[8:9], v[2:3], 0, v[46:47]
	s_barrier
	global_load_dwordx4 v[22:25], v[8:9], off
	global_load_dwordx4 v[2:5], v[8:9], off offset:2048
	s_waitcnt vmcnt(4)
	v_mad_i64_i32 v[6:7], s[12:13], v6, s45, 0
	v_mov_b32_e32 v8, 0x100
	v_lshl_add_u64 v[6:7], v[6:7], 1, s[10:11]
	v_lshl_or_b32 v16, v44, 4, v8
	v_mov_b32_e32 v17, v47
	s_waitcnt vmcnt(3)
	v_mad_i64_i32 v[10:11], s[12:13], v10, s45, 0
	v_lshl_add_u64 v[6:7], v[6:7], 0, v[16:17]
	v_lshl_add_u64 v[10:11], v[10:11], 1, s[10:11]
	s_waitcnt vmcnt(2)
	v_mad_i64_i32 v[14:15], s[12:13], v14, s45, 0
	v_lshl_add_u64 v[18:19], v[6:7], 0, v[46:47]
	v_lshl_add_u64 v[10:11], v[10:11], 0, v[12:13]
	;; [unrolled: 1-line block ×3, first 2 shown]
	global_load_dwordx4 v[26:29], v[18:19], off
	global_load_dwordx4 v[6:9], v[18:19], off offset:2048
	v_lshl_add_u64 v[18:19], v[10:11], 0, v[46:47]
	v_lshl_add_u64 v[14:15], v[14:15], 0, v[16:17]
	global_load_dwordx4 v[30:33], v[18:19], off
	global_load_dwordx4 v[10:13], v[18:19], off offset:2048
	v_lshl_add_u64 v[18:19], v[14:15], 0, v[46:47]
	global_load_dwordx4 v[34:37], v[18:19], off
	global_load_dwordx4 v[14:17], v[18:19], off offset:2048
	v_mul_lo_u16_e32 v18, 37, v44
	v_mov_b32_e32 v19, 7
	v_mul_lo_u16_sdwa v18, v18, v19 dst_sel:DWORD dst_unused:UNUSED_PAD src0_sel:BYTE_1 src1_sel:DWORD
	v_sub_u16_e32 v18, v44, v18
	v_and_b32_e32 v18, 0xff, v18
	v_lshl_add_u32 v18, v18, 5, v46
	ds_read_b128 v[38:41], v18
	ds_read_b128 v[18:21], v18 offset:2048
	v_and_b32_e32 v45, 63, v0
	v_cmp_gt_u32_e32 vcc, 7, v44
	v_mov_b32_e32 v50, 0
	s_and_saveexec_b64 s[10:11], vcc
	s_cbranch_execz .LBB542_15
; %bb.14:
	s_load_dwordx2 s[12:13], s[0:1], 0x40
	v_add_u32_e32 v48, s42, v44
	v_ashrrev_i32_e32 v49, 31, v48
	s_waitcnt lgkmcnt(0)
	v_lshl_add_u64 v[48:49], v[48:49], 2, s[12:13]
	global_load_dword v50, v[48:49], off
.LBB542_15:
	s_or_b64 exec, exec, s[10:11]
	s_ashr_i32 s10, s14, 31
	v_and_or_b32 v46, v0, 48, s14
	s_lshr_b32 s11, s10, 27
	v_add_u32_e32 v48, s11, v46
	v_or_b32_e32 v52, 64, v46
	v_ashrrev_i32_e32 v48, 5, v48
	v_mov_b32_e32 v51, s15
	v_cmp_gt_i32_e32 vcc, s29, v46
	v_add_u32_e32 v53, s11, v52
	s_waitcnt vmcnt(7) lgkmcnt(1)
	v_mfma_f32_16x16x16_bf16 v[56:59], v[22:23], v[38:39], 0
	v_cndmask_b32_e32 v48, v51, v48, vcc
	v_ashrrev_i32_e32 v22, 5, v53
	v_cmp_gt_i32_e32 vcc, s29, v52
	v_ashrrev_i32_e32 v49, 31, v48
	v_lshl_add_u64 v[48:49], v[48:49], 2, s[8:9]
	v_cndmask_b32_e32 v22, v51, v22, vcc
	v_ashrrev_i32_e32 v23, 31, v22
	v_lshl_add_u64 v[22:23], v[22:23], 2, s[8:9]
	global_load_dword v55, v[48:49], off
	global_load_dword v72, v[22:23], off
	s_waitcnt vmcnt(3)
	v_mfma_f32_16x16x16_bf16 v[68:71], v[34:35], v[38:39], 0
	v_or_b32_e32 v48, 0xc0, v46
	v_add_u32_e32 v52, s11, v48
	s_add_u32 s4, s6, s4
	v_mfma_f32_16x16x16_bf16 v[60:63], v[26:27], v[38:39], 0
	s_addc_u32 s5, s7, s5
	s_load_dword s10, s[0:1], 0x1c
	s_mov_b32 s33, 0xff7fffff
	v_mfma_f32_16x16x16_bf16 v[64:67], v[30:31], v[38:39], 0
	v_and_b32_e32 v31, 0xc0, v0
	v_or_b32_e32 v38, 0x80, v46
	v_add_u32_e32 v34, s14, v31
	v_mfma_f32_16x16x16_bf16 v[22:25], v[24:25], v[40:41], v[56:59]
	v_and_b32_e32 v30, 16, v0
	v_add_u32_e32 v49, s11, v38
	v_lshlrev_b32_e32 v46, 1, v30
	v_lshl_or_b32 v56, v54, 2, v34
	v_mfma_f32_16x16x16_bf16 v[34:37], v[36:37], v[40:41], v[68:71]
	v_cmp_gt_i32_e32 vcc, s29, v38
	v_lshlrev_b32_e32 v39, 6, v44
	v_or_b32_e32 v57, 1, v56
	v_mfma_f32_16x16x16_bf16 v[26:29], v[28:29], v[40:41], v[60:63]
	v_cmp_gt_i32_e64 s[34:35], s29, v57
	v_mfma_f32_16x16x16_bf16 v[30:33], v[32:33], v[40:41], v[64:67]
	v_ashrrev_i32_e32 v40, 5, v49
	v_ashrrev_i32_e32 v41, 5, v52
	v_cndmask_b32_e32 v38, v51, v40, vcc
	v_cmp_gt_i32_e32 vcc, s29, v48
	s_waitcnt lgkmcnt(0)
	v_mfma_f32_16x16x16_bf16 v[22:25], v[2:3], v[18:19], v[22:25]
	v_lshl_add_u64 v[2:3], s[4:5], 0, v[46:47]
	v_cndmask_b32_e32 v40, v51, v41, vcc
	v_lshl_or_b32 v46, v1, 10, v39
	v_ashrrev_i32_e32 v39, 31, v38
	v_ashrrev_i32_e32 v41, 31, v40
	s_waitcnt vmcnt(2)
	v_mfma_f32_16x16x16_bf16 v[34:37], v[14:15], v[18:19], v[34:37]
	v_lshl_add_u64 v[14:15], v[38:39], 2, s[8:9]
	v_subrev_u32_e32 v51, s29, v57
	v_cvt_f32_i32_e32 v58, v51
	v_mfma_f32_16x16x16_bf16 v[26:29], v[6:7], v[18:19], v[26:29]
	v_mfma_f32_16x16x16_bf16 v[30:33], v[10:11], v[18:19], v[30:33]
	v_lshl_add_u64 v[18:19], v[40:41], 2, s[8:9]
	global_load_dword v59, v[14:15], off
	global_load_dword v60, v[18:19], off
	v_lshl_add_u64 v[10:11], v[2:3], 0, v[46:47]
	v_mfma_f32_16x16x16_bf16 v[2:5], v[4:5], v[20:21], v[22:25]
	v_add_u32_e32 v46, 1, v51
	v_add_u32_e32 v47, 3, v51
	;; [unrolled: 1-line block ×3, first 2 shown]
	v_mfma_f32_16x16x16_bf16 v[14:17], v[16:17], v[20:21], v[34:37]
	v_add_u32_e32 v22, 2, v51
	s_nop 1
	v_pk_mul_f32 v[52:53], s[10:11], v[4:5] op_sel_hi:[0,1]
	v_cvt_f32_i32_e32 v18, v18
	v_mfma_f32_16x16x16_bf16 v[6:9], v[8:9], v[20:21], v[26:29]
	v_add_u32_e32 v19, 19, v51
	v_pk_mul_f32 v[34:35], s[10:11], v[16:17] op_sel_hi:[0,1]
	v_pk_mul_f32 v[36:37], s[10:11], v[14:15] op_sel_hi:[0,1]
	v_cvt_f32_i32_e32 v27, v22
	v_mfma_f32_16x16x16_bf16 v[22:25], v[12:13], v[20:21], v[30:33]
	v_pk_mul_f32 v[12:13], s[10:11], v[2:3] op_sel_hi:[0,1]
	v_cvt_f32_i32_e32 v26, v46
	v_cvt_f32_i32_e32 v28, v47
	v_pk_mul_f32 v[46:47], s[10:11], v[8:9] op_sel_hi:[0,1]
	v_pk_mul_f32 v[48:49], s[10:11], v[6:7] op_sel_hi:[0,1]
	v_cvt_f32_i32_e32 v19, v19
	v_fma_f32 v46, v50, v18, v46
	v_add_u32_e32 v18, 34, v51
	v_cvt_f32_i32_e32 v18, v18
	v_fmac_f32_e32 v47, v50, v19
	v_add_u32_e32 v19, 35, v51
	v_cvt_f32_i32_e32 v19, v19
	v_pk_mul_f32 v[40:41], s[10:11], v[22:23] op_sel_hi:[0,1]
	v_pk_mul_f32 v[38:39], s[10:11], v[24:25] op_sel_hi:[0,1]
	v_fma_f32 v38, v50, v18, v38
	v_add_u32_e32 v18, 50, v51
	s_waitcnt vmcnt(3)
	v_mad_i64_i32 v[2:3], s[4:5], v55, s45, 0
	s_waitcnt vmcnt(2)
	v_mad_i64_i32 v[4:5], s[4:5], v72, s45, 0
	v_lshl_add_u64 v[16:17], v[2:3], 1, v[10:11]
	v_lshl_add_u64 v[14:15], v[4:5], 1, v[10:11]
	global_load_dwordx4 v[6:9], v[16:17], off
	global_load_dwordx4 v[2:5], v[16:17], off offset:16
	v_add_u32_e32 v16, 16, v51
	v_cvt_f32_i32_e32 v16, v16
	v_add_u32_e32 v17, 17, v51
	v_cvt_f32_i32_e32 v17, v17
	v_fmac_f32_e32 v39, v50, v19
	v_fma_f32 v48, v50, v16, v48
	v_add_u32_e32 v16, 32, v51
	v_fmac_f32_e32 v49, v50, v17
	v_cvt_f32_i32_e32 v16, v16
	v_add_u32_e32 v17, 33, v51
	v_cvt_f32_i32_e32 v17, v17
	v_cvt_f32_i32_e32 v18, v18
	v_fma_f32 v40, v50, v16, v40
	v_add_u32_e32 v16, 48, v51
	v_fmac_f32_e32 v41, v50, v17
	v_cvt_f32_i32_e32 v16, v16
	v_add_u32_e32 v17, 49, v51
	v_cvt_f32_i32_e32 v17, v17
	v_add_u32_e32 v19, 51, v51
	v_cvt_f32_i32_e32 v19, v19
	v_fma_f32 v12, v50, v58, v12
	v_fmac_f32_e32 v13, v50, v26
	v_fma_f32 v36, v50, v16, v36
	v_mov_b32_e32 v16, 0xff7fffff
	v_cmp_gt_i32_e64 s[4:5], s29, v56
	v_fmac_f32_e32 v37, v50, v17
	v_fma_f32 v34, v50, v18, v34
	v_cndmask_b32_e64 v17, v16, v12, s[4:5]
	v_cndmask_b32_e64 v18, v16, v13, s[34:35]
	v_fmac_f32_e32 v35, v50, v19
	v_max3_f32 v17, v17, s33, v18
	v_or_b32_e32 v18, 2, v56
	v_or_b32_e32 v19, 3, v56
	v_fma_f32 v52, v50, v27, v52
	v_fmac_f32_e32 v53, v50, v28
	v_cmp_gt_i32_e64 s[36:37], s29, v18
	v_cmp_gt_i32_e64 s[38:39], s29, v19
	global_load_dwordx4 v[30:33], v[14:15], off
	global_load_dwordx4 v[26:29], v[14:15], off offset:16
	v_cndmask_b32_e64 v18, v16, v52, s[36:37]
	v_cndmask_b32_e64 v19, v16, v53, s[38:39]
	v_max3_f32 v17, v17, v18, v19
	v_or_b32_e32 v18, 16, v56
	v_or_b32_e32 v19, 17, v56
	v_cmp_gt_i32_e64 s[24:25], s29, v18
	v_cmp_gt_i32_e64 s[26:27], s29, v19
	s_nop 0
	v_cndmask_b32_e64 v18, v16, v48, s[24:25]
	v_cndmask_b32_e64 v19, v16, v49, s[26:27]
	v_max3_f32 v17, v17, v18, v19
	v_or_b32_e32 v18, 18, v56
	v_or_b32_e32 v19, 19, v56
	v_cmp_gt_i32_e64 s[20:21], s29, v18
	v_cmp_gt_i32_e64 s[22:23], s29, v19
	s_nop 0
	v_cndmask_b32_e64 v18, v16, v46, s[20:21]
	v_cndmask_b32_e64 v19, v16, v47, s[22:23]
	v_max3_f32 v17, v17, v18, v19
	v_or_b32_e32 v18, 32, v56
	v_or_b32_e32 v19, 33, v56
	v_cmp_gt_i32_e64 s[16:17], s29, v18
	v_cmp_gt_i32_e64 s[18:19], s29, v19
	s_nop 0
	v_cndmask_b32_e64 v18, v16, v40, s[16:17]
	v_cndmask_b32_e64 v19, v16, v41, s[18:19]
	v_max3_f32 v17, v17, v18, v19
	v_or_b32_e32 v18, 34, v56
	v_or_b32_e32 v19, 35, v56
	v_cmp_gt_i32_e64 s[12:13], s29, v18
	v_cmp_gt_i32_e64 s[14:15], s29, v19
	s_nop 0
	v_cndmask_b32_e64 v18, v16, v38, s[12:13]
	v_cndmask_b32_e64 v19, v16, v39, s[14:15]
	v_max3_f32 v17, v17, v18, v19
	v_or_b32_e32 v18, 48, v56
	v_or_b32_e32 v19, 49, v56
	v_cmp_gt_i32_e64 s[8:9], s29, v18
	v_cmp_gt_i32_e64 s[10:11], s29, v19
	s_nop 0
	v_cndmask_b32_e64 v18, v16, v36, s[8:9]
	v_cndmask_b32_e64 v19, v16, v37, s[10:11]
	v_max3_f32 v17, v17, v18, v19
	v_or_b32_e32 v18, 50, v56
	v_or_b32_e32 v19, 51, v56
	v_cmp_gt_i32_e32 vcc, s29, v18
	v_cmp_gt_i32_e64 s[6:7], s29, v19
	s_nop 0
	v_cndmask_b32_e32 v18, v16, v34, vcc
	v_cndmask_b32_e64 v16, v16, v35, s[6:7]
	v_max3_f32 v16, v17, v18, v16
	v_mbcnt_lo_u32_b32 v17, -1, 0
	v_mbcnt_hi_u32_b32 v17, -1, v17
	v_and_b32_e32 v18, 64, v17
	v_add_u32_e32 v18, 64, v18
	v_xor_b32_e32 v19, 32, v17
	v_cmp_lt_i32_e64 s[40:41], v19, v18
	s_nop 1
	v_cndmask_b32_e64 v19, v17, v19, s[40:41]
	v_lshlrev_b32_e32 v56, 2, v19
	ds_bpermute_b32 v19, v56, v16
	s_waitcnt vmcnt(5)
	v_mad_i64_i32 v[14:15], s[40:41], v59, s45, 0
	v_lshl_add_u64 v[14:15], v[14:15], 1, v[10:11]
	s_waitcnt lgkmcnt(0)
	v_max_f32_e32 v19, v19, v19
	v_max_f32_e32 v16, v16, v19
	v_xor_b32_e32 v19, 16, v17
	v_cmp_lt_i32_e64 s[40:41], v19, v18
	s_nop 1
	v_cndmask_b32_e64 v17, v17, v19, s[40:41]
	v_lshlrev_b32_e32 v57, 2, v17
	ds_bpermute_b32 v17, v57, v16
	global_load_dwordx4 v[22:25], v[14:15], off
	global_load_dwordx4 v[18:21], v[14:15], off offset:16
	s_waitcnt vmcnt(6)
	v_mad_i64_i32 v[14:15], s[40:41], v60, s45, 0
	v_lshl_add_u64 v[10:11], v[14:15], 1, v[10:11]
	s_waitcnt lgkmcnt(0)
	v_max_f32_e32 v14, v17, v17
	v_max_f32_e32 v55, v16, v14
	v_sub_f32_e32 v12, v12, v55
	v_mul_f32_e32 v12, 0x3fb8aa3b, v12
	v_exp_f32_e32 v50, v12
	v_sub_f32_e32 v12, v13, v55
	v_mul_f32_e32 v12, 0x3fb8aa3b, v12
	v_exp_f32_e32 v51, v12
	global_load_dwordx4 v[14:17], v[10:11], off
	s_nop 0
	global_load_dwordx4 v[10:13], v[10:11], off offset:16
	v_sub_f32_e32 v52, v52, v55
	v_mul_f32_e32 v52, 0x3fb8aa3b, v52
	v_sub_f32_e32 v53, v53, v55
	v_exp_f32_e32 v52, v52
	v_mul_f32_e32 v53, 0x3fb8aa3b, v53
	v_sub_f32_e32 v48, v48, v55
	v_exp_f32_e32 v53, v53
	v_mul_f32_e32 v48, 0x3fb8aa3b, v48
	v_sub_f32_e32 v49, v49, v55
	v_cndmask_b32_e64 v50, 0, v50, s[4:5]
	v_exp_f32_e32 v48, v48
	v_mul_f32_e32 v49, 0x3fb8aa3b, v49
	v_sub_f32_e32 v46, v46, v55
	v_add_f32_e32 v58, 0, v50
	v_cndmask_b32_e64 v51, 0, v51, s[34:35]
	v_exp_f32_e32 v49, v49
	v_mul_f32_e32 v46, 0x3fb8aa3b, v46
	v_sub_f32_e32 v47, v47, v55
	v_add_f32_e32 v58, v58, v51
	;; [unrolled: 5-line block ×10, first 2 shown]
	v_cndmask_b32_e64 v38, 0, v38, s[12:13]
	v_exp_f32_e32 v34, v34
	v_mul_f32_e32 v35, 0x3fb8aa3b, v35
	v_add_f32_e32 v58, v58, v38
	v_cndmask_b32_e64 v39, 0, v39, s[14:15]
	v_exp_f32_e32 v35, v35
	v_add_f32_e32 v58, v58, v39
	v_cndmask_b32_e64 v36, 0, v36, s[8:9]
	v_add_f32_e32 v58, v58, v36
	v_cndmask_b32_e64 v37, 0, v37, s[10:11]
	v_add_f32_e32 v58, v58, v37
	v_cndmask_b32_e32 v34, 0, v34, vcc
	v_add_f32_e32 v58, v58, v34
	v_cndmask_b32_e64 v35, 0, v35, s[6:7]
	v_add_f32_e32 v58, v58, v35
	ds_bpermute_b32 v56, v56, v58
	s_load_dword s7, s[0:1], 0x98
	v_cmp_gt_u32_e32 vcc, 16, v45
	v_lshlrev_b32_e32 v45, 2, v44
	s_waitcnt lgkmcnt(0)
	v_add_f32_e32 v56, v58, v56
	ds_bpermute_b32 v57, v57, v56
	s_barrier
	s_waitcnt lgkmcnt(0)
	s_and_saveexec_b64 s[4:5], vcc
	s_cbranch_execz .LBB542_17
; %bb.16:
	v_add_f32_e32 v56, v56, v57
	v_lshl_or_b32 v57, v1, 6, v45
	ds_write2st64_b32 v57, v55, v56 offset1:1
.LBB542_17:
	s_or_b64 exec, exec, s[4:5]
	s_load_dword s6, s[0:1], 0x94
	s_waitcnt lgkmcnt(0)
	s_barrier
	ds_read2_b32 v[56:57], v45 offset1:16
	ds_read2_b32 v[58:59], v45 offset0:32 offset1:48
	ds_read2_b32 v[60:61], v45 offset0:64 offset1:80
	ds_read2_b32 v[62:63], v45 offset0:96 offset1:112
	s_movk_i32 s8, 0x7fff
	s_waitcnt lgkmcnt(3)
	v_max3_f32 v55, v56, s33, v57
	s_waitcnt lgkmcnt(2)
	v_max3_f32 v55, v55, v58, v59
	v_sub_f32_e32 v56, v56, v55
	v_mul_f32_e32 v56, 0x3fb8aa3b, v56
	v_exp_f32_e32 v64, v56
	v_sub_f32_e32 v56, v57, v55
	v_mul_f32_e32 v56, 0x3fb8aa3b, v56
	v_exp_f32_e32 v57, v56
	v_sub_f32_e32 v56, v58, v55
	v_mul_f32_e32 v56, 0x3fb8aa3b, v56
	v_sub_f32_e32 v45, v59, v55
	v_exp_f32_e32 v58, v56
	v_mul_f32_e32 v45, 0x3fb8aa3b, v45
	v_exp_f32_e32 v45, v45
	s_waitcnt lgkmcnt(1)
	v_fma_f32 v56, v64, v60, 0
	v_fmac_f32_e32 v56, v57, v61
	s_waitcnt lgkmcnt(0)
	v_fmac_f32_e32 v56, v58, v62
	v_fmac_f32_e32 v56, v45, v63
	v_add_f32_e32 v59, 0x358637bd, v56
	v_div_scale_f32 v60, s[4:5], v59, v59, 1.0
	v_rcp_f32_e32 v61, v60
	s_mov_b32 s9, 0x7060302
	s_mul_i32 s7, s7, 7
	v_fma_f32 v62, -v60, v61, 1.0
	v_fmac_f32_e32 v61, v62, v61
	v_div_scale_f32 v62, vcc, 1.0, v59, 1.0
	v_mul_f32_e32 v63, v62, v61
	v_fma_f32 v65, -v60, v63, v62
	v_fmac_f32_e32 v63, v65, v61
	v_fma_f32 v60, -v60, v63, v62
	v_div_fmas_f32 v60, v60, v61, v63
	v_cmp_eq_u32_e32 vcc, 1, v1
	v_div_fixup_f32 v59, v60, v59, 1.0
	s_barrier
	v_cndmask_b32_e32 v57, v64, v57, vcc
	v_cmp_eq_u32_e32 vcc, 2, v1
	s_nop 1
	v_cndmask_b32_e32 v57, v57, v58, vcc
	v_cmp_eq_u32_e32 vcc, 3, v1
	v_lshlrev_b32_e32 v1, 11, v1
	s_nop 0
	v_cndmask_b32_e32 v45, v57, v45, vcc
	v_mul_f32_e32 v58, v45, v59
	v_pk_mul_f32 v[50:51], v[58:59], v[50:51] op_sel_hi:[0,1]
	v_bfe_u32 v45, v51, 16, 1
	v_bfe_u32 v57, v50, 16, 1
	v_pk_mul_f32 v[52:53], v[58:59], v[52:53] op_sel_hi:[0,1]
	v_add3_u32 v50, v50, v57, s8
	v_add3_u32 v45, v51, v45, s8
	v_perm_b32 v60, v45, v50, s9
	v_bfe_u32 v45, v53, 16, 1
	v_bfe_u32 v50, v52, 16, 1
	v_add3_u32 v50, v52, v50, s8
	v_add3_u32 v45, v53, v45, s8
	v_perm_b32 v61, v45, v50, s9
	v_lshlrev_b32_e32 v45, 3, v54
	v_lshlrev_b32_e32 v50, 5, v44
	v_pk_mul_f32 v[48:49], v[58:59], v[48:49] op_sel_hi:[0,1]
	v_or3_b32 v1, v1, v50, v45
	v_bfe_u32 v45, v49, 16, 1
	v_bfe_u32 v51, v48, 16, 1
	v_pk_mul_f32 v[46:47], v[58:59], v[46:47] op_sel_hi:[0,1]
	v_add3_u32 v48, v48, v51, s8
	v_add3_u32 v45, v49, v45, s8
	v_perm_b32 v48, v45, v48, s9
	v_bfe_u32 v45, v47, 16, 1
	v_bfe_u32 v49, v46, 16, 1
	v_add3_u32 v46, v46, v49, s8
	v_add3_u32 v45, v47, v45, s8
	v_pk_mul_f32 v[40:41], v[58:59], v[40:41] op_sel_hi:[0,1]
	v_perm_b32 v49, v45, v46, s9
	v_bfe_u32 v45, v41, 16, 1
	v_bfe_u32 v46, v40, 16, 1
	v_pk_mul_f32 v[38:39], v[58:59], v[38:39] op_sel_hi:[0,1]
	v_add3_u32 v40, v40, v46, s8
	v_add3_u32 v41, v41, v45, s8
	v_perm_b32 v40, v41, v40, s9
	v_bfe_u32 v41, v39, 16, 1
	v_bfe_u32 v45, v38, 16, 1
	v_add3_u32 v38, v38, v45, s8
	v_add3_u32 v39, v39, v41, s8
	v_pk_mul_f32 v[36:37], v[58:59], v[36:37] op_sel_hi:[0,1]
	v_perm_b32 v41, v39, v38, s9
	v_bfe_u32 v38, v37, 16, 1
	v_bfe_u32 v39, v36, 16, 1
	v_pk_mul_f32 v[34:35], v[58:59], v[34:35] op_sel_hi:[0,1]
	v_add3_u32 v36, v36, v39, s8
	v_add3_u32 v37, v37, v38, s8
	v_perm_b32 v36, v37, v36, s9
	v_bfe_u32 v37, v35, 16, 1
	v_bfe_u32 v38, v34, 16, 1
	v_add3_u32 v34, v34, v38, s8
	v_add3_u32 v35, v35, v37, s8
	v_perm_b32 v37, v35, v34, s9
	v_cmp_gt_u32_e32 vcc, 7, v0
	ds_write2st64_b64 v1, v[60:61], v[48:49] offset1:1
	ds_write2st64_b64 v1, v[40:41], v[36:37] offset0:2 offset1:3
	s_and_saveexec_b64 s[4:5], vcc
	s_cbranch_execz .LBB542_19
; %bb.18:
	s_mov_b32 s43, 0
	v_mov_b32_e32 v45, 0
	v_lshl_add_u64 v[34:35], s[42:43], 0, v[44:45]
	v_mov_b32_e32 v36, s7
	v_mad_u64_u32 v[34:35], s[10:11], s2, v36, v[34:35]
	s_mul_i32 s3, s3, s7
	v_mov_b32_e32 v44, s28
	s_load_dwordx4 s[12:15], s[0:1], 0x58
	v_add_u32_e32 v37, s3, v35
	v_mad_u64_u32 v[34:35], s[10:11], v34, s6, v[44:45]
	v_mov_b32_e32 v36, v35
	v_mad_u64_u32 v[36:37], s[10:11], v37, s6, v[36:37]
	v_mov_b32_e32 v35, v36
	v_lshlrev_b64 v[34:35], 2, v[34:35]
	s_waitcnt lgkmcnt(0)
	v_lshl_add_u64 v[36:37], s[14:15], 0, v[34:35]
	v_lshl_add_u64 v[34:35], s[12:13], 0, v[34:35]
	global_store_dword v[36:37], v55, off
	global_store_dword v[34:35], v56, off
.LBB542_19:
	s_or_b64 exec, exec, s[4:5]
	v_lshl_or_b32 v48, v54, 9, v50
	s_waitcnt lgkmcnt(0)
	s_barrier
	ds_read_b128 v[34:37], v48
	ds_read_b128 v[38:41], v48 offset:16
	s_waitcnt vmcnt(7) lgkmcnt(1)
	v_mfma_f32_16x16x16_bf16 v[44:47], v[6:7], v[34:35], 0
	v_cmp_gt_u32_e32 vcc, 64, v0
	s_mov_b32 s3, 0
	s_and_b64 s[4:5], vcc, s[30:31]
	v_mfma_f32_16x16x16_bf16 v[6:9], v[8:9], v[36:37], v[44:47]
	s_waitcnt vmcnt(6) lgkmcnt(0)
	v_mfma_f32_16x16x16_bf16 v[6:9], v[2:3], v[38:39], v[6:9]
	v_mfma_f32_16x16x16_bf16 v[2:5], v[4:5], v[40:41], v[6:9]
	s_nop 5
	ds_read_b128 v[6:9], v48 offset:2048
	ds_read_b128 v[34:37], v48 offset:2064
	s_waitcnt vmcnt(5) lgkmcnt(1)
	v_mfma_f32_16x16x16_bf16 v[2:5], v[30:31], v[6:7], v[2:5]
	v_mfma_f32_16x16x16_bf16 v[2:5], v[32:33], v[8:9], v[2:5]
	s_waitcnt vmcnt(4) lgkmcnt(0)
	v_mfma_f32_16x16x16_bf16 v[2:5], v[26:27], v[34:35], v[2:5]
	v_mfma_f32_16x16x16_bf16 v[2:5], v[28:29], v[36:37], v[2:5]
	ds_read_b128 v[6:9], v48 offset:4096
	ds_read_b128 v[26:29], v48 offset:4112
	s_waitcnt vmcnt(3) lgkmcnt(1)
	v_mfma_f32_16x16x16_bf16 v[2:5], v[22:23], v[6:7], v[2:5]
	v_mfma_f32_16x16x16_bf16 v[2:5], v[24:25], v[8:9], v[2:5]
	s_waitcnt vmcnt(2) lgkmcnt(0)
	v_mfma_f32_16x16x16_bf16 v[2:5], v[18:19], v[26:27], v[2:5]
	v_mfma_f32_16x16x16_bf16 v[2:5], v[20:21], v[28:29], v[2:5]
	ds_read_b128 v[6:9], v48 offset:6144
	ds_read_b128 v[18:21], v48 offset:6160
	s_waitcnt lgkmcnt(0)
	s_barrier
	s_waitcnt vmcnt(1)
	v_mfma_f32_16x16x16_bf16 v[2:5], v[14:15], v[6:7], v[2:5]
	v_mfma_f32_16x16x16_bf16 v[2:5], v[16:17], v[8:9], v[2:5]
	s_waitcnt vmcnt(0)
	v_mfma_f32_16x16x16_bf16 v[2:5], v[10:11], v[18:19], v[2:5]
	v_mfma_f32_16x16x16_bf16 v[2:5], v[12:13], v[20:21], v[2:5]
	s_nop 6
	v_bfe_u32 v6, v3, 16, 1
	v_bfe_u32 v7, v2, 16, 1
	;; [unrolled: 1-line block ×4, first 2 shown]
	v_add3_u32 v2, v2, v7, s8
	v_add3_u32 v3, v3, v6, s8
	v_add3_u32 v4, v4, v9, s8
	v_add3_u32 v5, v5, v8, s8
	v_perm_b32 v2, v3, v2, s9
	v_perm_b32 v3, v5, v4, s9
	ds_write_b64 v1, v[2:3]
	s_waitcnt lgkmcnt(0)
	s_barrier
	s_and_saveexec_b64 s[8:9], s[4:5]
	s_cbranch_execz .LBB542_22
; %bb.20:
	s_load_dwordx2 s[4:5], s[0:1], 0x68
	s_lshl_b32 s0, s6, 6
	s_mul_i32 s1, s7, s2
	s_mul_hi_u32 s7, s1, s0
	s_mul_i32 s6, s1, s0
	v_lshlrev_b32_e32 v1, 10, v0
	v_lshlrev_b32_e32 v0, 4, v0
	s_lshl_b64 s[6:7], s[6:7], 1
	v_and_b32_e32 v1, 0x1800, v1
	v_lshlrev_b32_e32 v2, 5, v54
	v_and_b32_e32 v0, 16, v0
	s_waitcnt lgkmcnt(0)
	s_add_u32 s1, s4, s6
	v_or3_b32 v2, v1, v2, v0
	s_addc_u32 s4, s5, s7
	s_lshl_b32 s2, s28, 6
	s_lshl_b64 s[2:3], s[2:3], 1
	ds_read_b128 v[4:7], v2
	s_add_u32 s2, s1, s2
	s_addc_u32 s3, s4, s3
	v_add_u32_e32 v3, s42, v54
	v_lshl_add_u64 v[0:1], v[42:43], 1, s[2:3]
	v_mad_u64_u32 v[8:9], s[2:3], v3, s0, 0
	v_lshl_add_u64 v[8:9], v[8:9], 1, v[0:1]
	v_cmp_ne_u32_e32 vcc, 3, v54
	s_waitcnt lgkmcnt(0)
	global_store_dwordx4 v[8:9], v[4:7], off
	s_and_b64 exec, exec, vcc
	s_cbranch_execz .LBB542_22
; %bb.21:
	ds_read_b128 v[2:5], v2 offset:128
	v_add3_u32 v6, s42, v54, 4
	v_mad_u64_u32 v[6:7], s[0:1], v6, s0, 0
	v_lshl_add_u64 v[0:1], v[6:7], 1, v[0:1]
	s_waitcnt lgkmcnt(0)
	global_store_dwordx4 v[0:1], v[2:5], off
.LBB542_22:
	s_endpgm
	.section	.rodata,"a",@progbits
	.p2align	6, 0x0
	.amdhsa_kernel _Z39paged_attention_ll4mi_QKV_mfma16_kernelI14__hip_bfloat16S0_LN4vllm18Fp8KVCacheDataTypeE0ES0_Li32ELi64ELi256ELb1ELi7EEvPKT_PKT0_S8_ifPKiSA_SA_iPKfiiiPfSD_PS3_PT2_iSC_SC_
		.amdhsa_group_segment_fixed_size 8192
		.amdhsa_private_segment_fixed_size 0
		.amdhsa_kernarg_size 400
		.amdhsa_user_sgpr_count 2
		.amdhsa_user_sgpr_dispatch_ptr 0
		.amdhsa_user_sgpr_queue_ptr 0
		.amdhsa_user_sgpr_kernarg_segment_ptr 1
		.amdhsa_user_sgpr_dispatch_id 0
		.amdhsa_user_sgpr_kernarg_preload_length 0
		.amdhsa_user_sgpr_kernarg_preload_offset 0
		.amdhsa_user_sgpr_private_segment_size 0
		.amdhsa_uses_dynamic_stack 0
		.amdhsa_enable_private_segment 0
		.amdhsa_system_sgpr_workgroup_id_x 1
		.amdhsa_system_sgpr_workgroup_id_y 1
		.amdhsa_system_sgpr_workgroup_id_z 1
		.amdhsa_system_sgpr_workgroup_info 0
		.amdhsa_system_vgpr_workitem_id 0
		.amdhsa_next_free_vgpr 73
		.amdhsa_next_free_sgpr 48
		.amdhsa_accum_offset 76
		.amdhsa_reserve_vcc 1
		.amdhsa_float_round_mode_32 0
		.amdhsa_float_round_mode_16_64 0
		.amdhsa_float_denorm_mode_32 3
		.amdhsa_float_denorm_mode_16_64 3
		.amdhsa_dx10_clamp 1
		.amdhsa_ieee_mode 1
		.amdhsa_fp16_overflow 0
		.amdhsa_tg_split 0
		.amdhsa_exception_fp_ieee_invalid_op 0
		.amdhsa_exception_fp_denorm_src 0
		.amdhsa_exception_fp_ieee_div_zero 0
		.amdhsa_exception_fp_ieee_overflow 0
		.amdhsa_exception_fp_ieee_underflow 0
		.amdhsa_exception_fp_ieee_inexact 0
		.amdhsa_exception_int_div_zero 0
	.end_amdhsa_kernel
	.section	.text._Z39paged_attention_ll4mi_QKV_mfma16_kernelI14__hip_bfloat16S0_LN4vllm18Fp8KVCacheDataTypeE0ES0_Li32ELi64ELi256ELb1ELi7EEvPKT_PKT0_S8_ifPKiSA_SA_iPKfiiiPfSD_PS3_PT2_iSC_SC_,"axG",@progbits,_Z39paged_attention_ll4mi_QKV_mfma16_kernelI14__hip_bfloat16S0_LN4vllm18Fp8KVCacheDataTypeE0ES0_Li32ELi64ELi256ELb1ELi7EEvPKT_PKT0_S8_ifPKiSA_SA_iPKfiiiPfSD_PS3_PT2_iSC_SC_,comdat
.Lfunc_end542:
	.size	_Z39paged_attention_ll4mi_QKV_mfma16_kernelI14__hip_bfloat16S0_LN4vllm18Fp8KVCacheDataTypeE0ES0_Li32ELi64ELi256ELb1ELi7EEvPKT_PKT0_S8_ifPKiSA_SA_iPKfiiiPfSD_PS3_PT2_iSC_SC_, .Lfunc_end542-_Z39paged_attention_ll4mi_QKV_mfma16_kernelI14__hip_bfloat16S0_LN4vllm18Fp8KVCacheDataTypeE0ES0_Li32ELi64ELi256ELb1ELi7EEvPKT_PKT0_S8_ifPKiSA_SA_iPKfiiiPfSD_PS3_PT2_iSC_SC_
                                        ; -- End function
	.section	.AMDGPU.csdata,"",@progbits
; Kernel info:
; codeLenInByte = 4416
; NumSgprs: 54
; NumVgprs: 73
; NumAgprs: 0
; TotalNumVgprs: 73
; ScratchSize: 0
; MemoryBound: 0
; FloatMode: 240
; IeeeMode: 1
; LDSByteSize: 8192 bytes/workgroup (compile time only)
; SGPRBlocks: 6
; VGPRBlocks: 9
; NumSGPRsForWavesPerEU: 54
; NumVGPRsForWavesPerEU: 73
; AccumOffset: 76
; Occupancy: 6
; WaveLimiterHint : 1
; COMPUTE_PGM_RSRC2:SCRATCH_EN: 0
; COMPUTE_PGM_RSRC2:USER_SGPR: 2
; COMPUTE_PGM_RSRC2:TRAP_HANDLER: 0
; COMPUTE_PGM_RSRC2:TGID_X_EN: 1
; COMPUTE_PGM_RSRC2:TGID_Y_EN: 1
; COMPUTE_PGM_RSRC2:TGID_Z_EN: 1
; COMPUTE_PGM_RSRC2:TIDIG_COMP_CNT: 0
; COMPUTE_PGM_RSRC3_GFX90A:ACCUM_OFFSET: 18
; COMPUTE_PGM_RSRC3_GFX90A:TG_SPLIT: 0
	.section	.text._Z39paged_attention_ll4mi_QKV_mfma16_kernelI14__hip_bfloat16S0_LN4vllm18Fp8KVCacheDataTypeE0ES0_Li32ELi64ELi256ELb1ELi8EEvPKT_PKT0_S8_ifPKiSA_SA_iPKfiiiPfSD_PS3_PT2_iSC_SC_,"axG",@progbits,_Z39paged_attention_ll4mi_QKV_mfma16_kernelI14__hip_bfloat16S0_LN4vllm18Fp8KVCacheDataTypeE0ES0_Li32ELi64ELi256ELb1ELi8EEvPKT_PKT0_S8_ifPKiSA_SA_iPKfiiiPfSD_PS3_PT2_iSC_SC_,comdat
	.protected	_Z39paged_attention_ll4mi_QKV_mfma16_kernelI14__hip_bfloat16S0_LN4vllm18Fp8KVCacheDataTypeE0ES0_Li32ELi64ELi256ELb1ELi8EEvPKT_PKT0_S8_ifPKiSA_SA_iPKfiiiPfSD_PS3_PT2_iSC_SC_ ; -- Begin function _Z39paged_attention_ll4mi_QKV_mfma16_kernelI14__hip_bfloat16S0_LN4vllm18Fp8KVCacheDataTypeE0ES0_Li32ELi64ELi256ELb1ELi8EEvPKT_PKT0_S8_ifPKiSA_SA_iPKfiiiPfSD_PS3_PT2_iSC_SC_
	.globl	_Z39paged_attention_ll4mi_QKV_mfma16_kernelI14__hip_bfloat16S0_LN4vllm18Fp8KVCacheDataTypeE0ES0_Li32ELi64ELi256ELb1ELi8EEvPKT_PKT0_S8_ifPKiSA_SA_iPKfiiiPfSD_PS3_PT2_iSC_SC_
	.p2align	8
	.type	_Z39paged_attention_ll4mi_QKV_mfma16_kernelI14__hip_bfloat16S0_LN4vllm18Fp8KVCacheDataTypeE0ES0_Li32ELi64ELi256ELb1ELi8EEvPKT_PKT0_S8_ifPKiSA_SA_iPKfiiiPfSD_PS3_PT2_iSC_SC_,@function
_Z39paged_attention_ll4mi_QKV_mfma16_kernelI14__hip_bfloat16S0_LN4vllm18Fp8KVCacheDataTypeE0ES0_Li32ELi64ELi256ELb1ELi8EEvPKT_PKT0_S8_ifPKiSA_SA_iPKfiiiPfSD_PS3_PT2_iSC_SC_: ; @_Z39paged_attention_ll4mi_QKV_mfma16_kernelI14__hip_bfloat16S0_LN4vllm18Fp8KVCacheDataTypeE0ES0_Li32ELi64ELi256ELb1ELi8EEvPKT_PKT0_S8_ifPKiSA_SA_iPKfiiiPfSD_PS3_PT2_iSC_SC_
; %bb.0:
	s_load_dwordx2 s[6:7], s[0:1], 0x30
	s_mov_b32 s28, s3
	s_mov_b64 s[8:9], 0
	s_waitcnt lgkmcnt(0)
	s_cmp_lg_u64 s[6:7], 0
	s_cselect_b64 s[10:11], -1, 0
	s_and_b64 vcc, exec, s[10:11]
	s_cbranch_vccz .LBB543_7
; %bb.1:
	s_add_i32 s12, s2, 1
	s_mov_b32 s13, 0
	s_lshl_b64 s[14:15], s[12:13], 2
	s_add_u32 s14, s6, s14
	s_mov_b32 s3, s13
	s_addc_u32 s15, s7, s15
	s_lshl_b64 s[12:13], s[2:3], 2
	s_add_u32 s12, s6, s12
	s_addc_u32 s13, s7, s13
	s_load_dword s5, s[14:15], 0x0
	s_load_dword s16, s[12:13], 0x0
	s_waitcnt lgkmcnt(0)
	s_sub_i32 s5, s5, s16
	s_cmp_eq_u32 s5, 1
	s_cselect_b64 s[12:13], -1, 0
	s_andn2_b64 vcc, exec, s[8:9]
	s_cbranch_vccnz .LBB543_3
.LBB543_2:
	s_mov_b32 s3, 0
	s_mov_b64 s[12:13], -1
.LBB543_3:
	s_andn2_b64 vcc, exec, s[12:13]
	s_cbranch_vccnz .LBB543_21
; %bb.4:
	s_load_dwordx2 s[8:9], s[0:1], 0x28
	s_lshl_b64 s[12:13], s[2:3], 2
	s_waitcnt lgkmcnt(0)
	s_add_u32 s8, s8, s12
	s_addc_u32 s9, s9, s13
	s_load_dword s33, s[8:9], 0x0
	s_lshl_b32 s14, s28, 8
	s_waitcnt lgkmcnt(0)
	s_cmp_ge_i32 s14, s33
	s_cbranch_scc1 .LBB543_21
; %bb.5:
	s_load_dwordx2 s[8:9], s[0:1], 0x20
	s_load_dword s5, s[0:1], 0x38
	s_add_i32 s15, s33, 31
	s_ashr_i32 s16, s15, 31
	v_and_b32_e32 v1, 0xcf, v0
	s_lshr_b32 s16, s16, 27
	v_add_u32_e32 v1, s14, v1
	s_add_i32 s15, s15, s16
	v_ashrrev_i32_e32 v2, 31, v1
	s_ashr_i32 s15, s15, 5
	v_lshrrev_b32_e32 v6, 27, v2
	s_add_i32 s15, s15, -1
	s_waitcnt lgkmcnt(0)
	s_mul_i32 s16, s2, s5
	s_mov_b32 s17, 0
	v_add_u32_e32 v2, v1, v6
	s_lshl_b64 s[16:17], s[16:17], 2
	v_ashrrev_i32_e32 v2, 5, v2
	v_mov_b32_e32 v7, s15
	v_cmp_gt_i32_e32 vcc, s33, v1
	s_add_u32 s8, s8, s16
	s_addc_u32 s9, s9, s17
	v_cndmask_b32_e32 v2, v7, v2, vcc
	v_ashrrev_i32_e32 v3, 31, v2
	v_lshl_add_u64 v[4:5], v[2:3], 2, s[8:9]
	v_or_b32_e32 v2, 16, v1
	v_add_u32_e32 v3, v2, v6
	v_ashrrev_i32_e32 v3, 5, v3
	v_cmp_gt_i32_e32 vcc, s33, v2
	s_nop 1
	v_cndmask_b32_e32 v2, v7, v3, vcc
	v_ashrrev_i32_e32 v3, 31, v2
	v_lshl_add_u64 v[8:9], v[2:3], 2, s[8:9]
	v_or_b32_e32 v2, 32, v1
	v_add_u32_e32 v3, v2, v6
	v_ashrrev_i32_e32 v3, 5, v3
	v_cmp_gt_i32_e32 vcc, s33, v2
	v_or_b32_e32 v1, 48, v1
	s_nop 0
	v_cndmask_b32_e32 v2, v7, v3, vcc
	v_ashrrev_i32_e32 v3, 31, v2
	v_lshl_add_u64 v[12:13], v[2:3], 2, s[8:9]
	v_add_u32_e32 v2, v1, v6
	v_ashrrev_i32_e32 v2, 5, v2
	v_cmp_gt_i32_e32 vcc, s33, v1
	s_nop 1
	v_cndmask_b32_e32 v2, v7, v2, vcc
	v_ashrrev_i32_e32 v3, 31, v2
	v_lshl_add_u64 v[16:17], v[2:3], 2, s[8:9]
	global_load_dword v2, v[4:5], off
	global_load_dword v6, v[8:9], off
	;; [unrolled: 1-line block ×4, first 2 shown]
	s_andn2_b64 vcc, exec, s[10:11]
	s_cbranch_vccnz .LBB543_8
; %bb.6:
	s_add_u32 s6, s6, s12
	s_addc_u32 s7, s7, s13
	s_load_dword s5, s[6:7], 0x0
	s_branch .LBB543_9
.LBB543_7:
	s_mov_b64 s[12:13], 0
	s_branch .LBB543_2
.LBB543_8:
	s_mov_b32 s5, s2
.LBB543_9:
	s_load_dwordx2 s[10:11], s[0:1], 0x8
	s_load_dwordx4 s[44:47], s[0:1], 0x48
	v_and_b32_e32 v52, 15, v0
	s_movk_i32 s6, 0x7f
	v_cmp_lt_u32_e32 vcc, s6, v0
	v_cmp_lt_u32_e64 s[6:7], 7, v52
	v_lshlrev_b32_e32 v42, 3, v52
	v_cmp_gt_u32_e64 s[30:31], 8, v52
	s_or_b64 s[6:7], vcc, s[6:7]
	s_and_saveexec_b64 s[12:13], s[6:7]
	s_xor_b64 s[6:7], exec, s[12:13]
; %bb.10:
	v_mov_b32_e32 v43, 0
; %bb.11:
	s_or_saveexec_b64 s[12:13], s[6:7]
	s_load_dwordx2 s[6:7], s[0:1], 0x10
	v_lshrrev_b32_e32 v53, 6, v0
	s_lshl_b32 s29, s4, 3
	v_bfe_u32 v1, v0, 4, 2
	s_xor_b64 exec, exec, s[12:13]
	s_cbranch_execz .LBB543_13
; %bb.12:
	s_load_dwordx2 s[16:17], s[0:1], 0x0
	s_waitcnt lgkmcnt(0)
	s_ashr_i32 s18, s44, 31
	s_mul_hi_u32 s19, s5, s44
	s_mul_i32 s18, s5, s18
	s_add_i32 s19, s19, s18
	s_mul_i32 s18, s5, s44
	v_lshl_or_b32 v3, v53, 2, v1
	s_lshl_b64 s[18:19], s[18:19], 1
	s_add_u32 s16, s16, s18
	v_add_lshl_u32 v4, v3, s29, 6
	s_addc_u32 s17, s17, s19
	v_ashrrev_i32_e32 v5, 31, v4
	v_mov_b32_e32 v43, 0
	v_lshl_add_u64 v[4:5], v[4:5], 1, s[16:17]
	v_lshlrev_b32_e32 v8, 1, v42
	v_mov_b32_e32 v9, v43
	v_lshl_add_u64 v[4:5], v[4:5], 0, v[8:9]
	global_load_dwordx4 v[16:19], v[4:5], off
	v_and_b32_e32 v4, 3, v0
	v_lshlrev_b32_e32 v5, 9, v52
	v_lshlrev_b32_e32 v3, 5, v3
	;; [unrolled: 1-line block ×3, first 2 shown]
	v_and_b32_e32 v5, 0x1800, v5
	v_or3_b32 v3, v5, v4, v3
	s_waitcnt vmcnt(0)
	ds_write_b128 v3, v[16:19]
.LBB543_13:
	s_or_b64 exec, exec, s[12:13]
	s_waitcnt lgkmcnt(0)
	s_mul_i32 s4, s4, s46
	s_mov_b32 s5, 0
	s_lshl_b64 s[4:5], s[4:5], 1
	s_add_u32 s10, s10, s4
	s_addc_u32 s11, s11, s5
	s_waitcnt vmcnt(3)
	v_mad_i64_i32 v[2:3], s[12:13], v2, s45, 0
	v_lshl_add_u64 v[2:3], v[2:3], 1, s[10:11]
	v_lshlrev_b64 v[12:13], 1, v[42:43]
	v_lshlrev_b32_e32 v44, 9, v1
	v_lshl_add_u64 v[2:3], v[2:3], 0, v[12:13]
	v_mov_b32_e32 v45, 0
	v_lshl_add_u64 v[8:9], v[2:3], 0, v[44:45]
	s_barrier
	global_load_dwordx4 v[22:25], v[8:9], off
	global_load_dwordx4 v[2:5], v[8:9], off offset:2048
	s_waitcnt vmcnt(4)
	v_mad_i64_i32 v[6:7], s[12:13], v6, s45, 0
	v_mov_b32_e32 v8, 0x100
	v_lshl_add_u64 v[6:7], v[6:7], 1, s[10:11]
	v_lshl_or_b32 v16, v52, 4, v8
	v_mov_b32_e32 v17, v45
	s_waitcnt vmcnt(3)
	v_mad_i64_i32 v[10:11], s[12:13], v10, s45, 0
	v_lshl_add_u64 v[6:7], v[6:7], 0, v[16:17]
	v_lshl_add_u64 v[10:11], v[10:11], 1, s[10:11]
	s_waitcnt vmcnt(2)
	v_mad_i64_i32 v[14:15], s[12:13], v14, s45, 0
	v_lshl_add_u64 v[18:19], v[6:7], 0, v[44:45]
	v_lshl_add_u64 v[10:11], v[10:11], 0, v[12:13]
	;; [unrolled: 1-line block ×3, first 2 shown]
	global_load_dwordx4 v[26:29], v[18:19], off
	global_load_dwordx4 v[6:9], v[18:19], off offset:2048
	v_lshl_add_u64 v[18:19], v[10:11], 0, v[44:45]
	v_lshl_add_u64 v[14:15], v[14:15], 0, v[16:17]
	global_load_dwordx4 v[30:33], v[18:19], off
	global_load_dwordx4 v[10:13], v[18:19], off offset:2048
	v_lshl_add_u64 v[18:19], v[14:15], 0, v[44:45]
	global_load_dwordx4 v[34:37], v[18:19], off
	global_load_dwordx4 v[14:17], v[18:19], off offset:2048
	v_and_b32_e32 v18, 7, v0
	v_lshl_or_b32 v18, v18, 5, v44
	ds_read_b128 v[38:41], v18
	ds_read_b128 v[18:21], v18 offset:2048
	v_and_b32_e32 v54, 63, v0
	v_mov_b32_e32 v48, 0
	s_and_saveexec_b64 s[10:11], s[30:31]
	s_cbranch_execz .LBB543_15
; %bb.14:
	s_load_dwordx2 s[12:13], s[0:1], 0x40
	v_or_b32_e32 v46, s29, v52
	v_ashrrev_i32_e32 v47, 31, v46
	s_waitcnt lgkmcnt(0)
	v_lshl_add_u64 v[46:47], v[46:47], 2, s[12:13]
	global_load_dword v48, v[46:47], off
.LBB543_15:
	s_or_b64 exec, exec, s[10:11]
	s_ashr_i32 s10, s14, 31
	v_and_or_b32 v44, v0, 48, s14
	s_lshr_b32 s11, s10, 27
	v_add_u32_e32 v46, s11, v44
	v_or_b32_e32 v50, 64, v44
	v_ashrrev_i32_e32 v46, 5, v46
	v_mov_b32_e32 v49, s15
	v_cmp_gt_i32_e32 vcc, s33, v44
	v_add_u32_e32 v51, s11, v50
	s_waitcnt vmcnt(7) lgkmcnt(1)
	v_mfma_f32_16x16x16_bf16 v[56:59], v[22:23], v[38:39], 0
	v_cndmask_b32_e32 v46, v49, v46, vcc
	v_ashrrev_i32_e32 v22, 5, v51
	v_cmp_gt_i32_e32 vcc, s33, v50
	v_ashrrev_i32_e32 v47, 31, v46
	v_lshl_add_u64 v[46:47], v[46:47], 2, s[8:9]
	v_cndmask_b32_e32 v22, v49, v22, vcc
	v_ashrrev_i32_e32 v23, 31, v22
	v_lshl_add_u64 v[22:23], v[22:23], 2, s[8:9]
	global_load_dword v55, v[46:47], off
	global_load_dword v72, v[22:23], off
	s_waitcnt vmcnt(3)
	v_mfma_f32_16x16x16_bf16 v[68:71], v[34:35], v[38:39], 0
	v_or_b32_e32 v46, 0xc0, v44
	v_add_u32_e32 v50, s11, v46
	s_add_u32 s4, s6, s4
	v_mfma_f32_16x16x16_bf16 v[60:63], v[26:27], v[38:39], 0
	s_addc_u32 s5, s7, s5
	s_load_dword s10, s[0:1], 0x1c
	s_mov_b32 s42, 0xff7fffff
	v_mfma_f32_16x16x16_bf16 v[64:67], v[30:31], v[38:39], 0
	v_and_b32_e32 v31, 0xc0, v0
	v_or_b32_e32 v38, 0x80, v44
	v_add_u32_e32 v34, s14, v31
	v_mfma_f32_16x16x16_bf16 v[22:25], v[24:25], v[40:41], v[56:59]
	v_and_b32_e32 v30, 16, v0
	v_add_u32_e32 v47, s11, v38
	v_lshlrev_b32_e32 v44, 1, v30
	v_lshl_or_b32 v56, v1, 2, v34
	v_mfma_f32_16x16x16_bf16 v[34:37], v[36:37], v[40:41], v[68:71]
	v_cmp_gt_i32_e32 vcc, s33, v38
	v_lshlrev_b32_e32 v39, 6, v52
	v_or_b32_e32 v57, 1, v56
	v_mfma_f32_16x16x16_bf16 v[26:29], v[28:29], v[40:41], v[60:63]
	v_cmp_gt_i32_e64 s[34:35], s33, v57
	v_mfma_f32_16x16x16_bf16 v[30:33], v[32:33], v[40:41], v[64:67]
	v_ashrrev_i32_e32 v40, 5, v47
	v_ashrrev_i32_e32 v41, 5, v50
	v_cndmask_b32_e32 v38, v49, v40, vcc
	v_cmp_gt_i32_e32 vcc, s33, v46
	s_waitcnt lgkmcnt(0)
	v_mfma_f32_16x16x16_bf16 v[22:25], v[2:3], v[18:19], v[22:25]
	v_lshl_add_u64 v[2:3], s[4:5], 0, v[44:45]
	v_cndmask_b32_e32 v40, v49, v41, vcc
	v_lshl_or_b32 v44, v53, 10, v39
	v_ashrrev_i32_e32 v39, 31, v38
	v_ashrrev_i32_e32 v41, 31, v40
	s_waitcnt vmcnt(2)
	v_mfma_f32_16x16x16_bf16 v[34:37], v[14:15], v[18:19], v[34:37]
	v_lshl_add_u64 v[14:15], v[38:39], 2, s[8:9]
	v_subrev_u32_e32 v49, s33, v57
	v_cvt_f32_i32_e32 v58, v49
	v_mfma_f32_16x16x16_bf16 v[26:29], v[6:7], v[18:19], v[26:29]
	v_mfma_f32_16x16x16_bf16 v[30:33], v[10:11], v[18:19], v[30:33]
	v_lshl_add_u64 v[18:19], v[40:41], 2, s[8:9]
	global_load_dword v59, v[14:15], off
	global_load_dword v60, v[18:19], off
	v_lshl_add_u64 v[10:11], v[2:3], 0, v[44:45]
	v_mfma_f32_16x16x16_bf16 v[2:5], v[4:5], v[20:21], v[22:25]
	v_add_u32_e32 v44, 1, v49
	v_add_u32_e32 v45, 3, v49
	;; [unrolled: 1-line block ×3, first 2 shown]
	v_mfma_f32_16x16x16_bf16 v[14:17], v[16:17], v[20:21], v[34:37]
	v_add_u32_e32 v22, 2, v49
	s_nop 1
	v_pk_mul_f32 v[50:51], s[10:11], v[4:5] op_sel_hi:[0,1]
	v_cvt_f32_i32_e32 v18, v18
	v_mfma_f32_16x16x16_bf16 v[6:9], v[8:9], v[20:21], v[26:29]
	v_add_u32_e32 v19, 19, v49
	v_pk_mul_f32 v[34:35], s[10:11], v[16:17] op_sel_hi:[0,1]
	v_pk_mul_f32 v[36:37], s[10:11], v[14:15] op_sel_hi:[0,1]
	v_cvt_f32_i32_e32 v27, v22
	v_mfma_f32_16x16x16_bf16 v[22:25], v[12:13], v[20:21], v[30:33]
	v_pk_mul_f32 v[12:13], s[10:11], v[2:3] op_sel_hi:[0,1]
	v_cvt_f32_i32_e32 v26, v44
	v_cvt_f32_i32_e32 v28, v45
	v_pk_mul_f32 v[44:45], s[10:11], v[8:9] op_sel_hi:[0,1]
	v_pk_mul_f32 v[46:47], s[10:11], v[6:7] op_sel_hi:[0,1]
	v_cvt_f32_i32_e32 v19, v19
	v_fma_f32 v44, v48, v18, v44
	v_add_u32_e32 v18, 34, v49
	v_cvt_f32_i32_e32 v18, v18
	v_fmac_f32_e32 v45, v48, v19
	v_add_u32_e32 v19, 35, v49
	v_cvt_f32_i32_e32 v19, v19
	v_pk_mul_f32 v[40:41], s[10:11], v[22:23] op_sel_hi:[0,1]
	v_pk_mul_f32 v[38:39], s[10:11], v[24:25] op_sel_hi:[0,1]
	v_fma_f32 v38, v48, v18, v38
	v_add_u32_e32 v18, 50, v49
	s_waitcnt vmcnt(3)
	v_mad_i64_i32 v[2:3], s[4:5], v55, s45, 0
	s_waitcnt vmcnt(2)
	v_mad_i64_i32 v[4:5], s[4:5], v72, s45, 0
	v_lshl_add_u64 v[16:17], v[2:3], 1, v[10:11]
	v_lshl_add_u64 v[14:15], v[4:5], 1, v[10:11]
	global_load_dwordx4 v[6:9], v[16:17], off
	global_load_dwordx4 v[2:5], v[16:17], off offset:16
	v_add_u32_e32 v16, 16, v49
	v_cvt_f32_i32_e32 v16, v16
	v_add_u32_e32 v17, 17, v49
	v_cvt_f32_i32_e32 v17, v17
	v_fmac_f32_e32 v39, v48, v19
	v_fma_f32 v46, v48, v16, v46
	v_add_u32_e32 v16, 32, v49
	v_fmac_f32_e32 v47, v48, v17
	v_cvt_f32_i32_e32 v16, v16
	v_add_u32_e32 v17, 33, v49
	v_cvt_f32_i32_e32 v17, v17
	v_cvt_f32_i32_e32 v18, v18
	v_fma_f32 v40, v48, v16, v40
	v_add_u32_e32 v16, 48, v49
	v_fmac_f32_e32 v41, v48, v17
	v_cvt_f32_i32_e32 v16, v16
	v_add_u32_e32 v17, 49, v49
	v_cvt_f32_i32_e32 v17, v17
	v_add_u32_e32 v19, 51, v49
	v_cvt_f32_i32_e32 v19, v19
	v_fma_f32 v12, v48, v58, v12
	v_fmac_f32_e32 v13, v48, v26
	v_fma_f32 v36, v48, v16, v36
	v_mov_b32_e32 v16, 0xff7fffff
	v_cmp_gt_i32_e64 s[4:5], s33, v56
	v_fmac_f32_e32 v37, v48, v17
	v_fma_f32 v34, v48, v18, v34
	v_cndmask_b32_e64 v17, v16, v12, s[4:5]
	v_cndmask_b32_e64 v18, v16, v13, s[34:35]
	v_fmac_f32_e32 v35, v48, v19
	v_max3_f32 v17, v17, s42, v18
	v_or_b32_e32 v18, 2, v56
	v_or_b32_e32 v19, 3, v56
	v_fma_f32 v50, v48, v27, v50
	v_fmac_f32_e32 v51, v48, v28
	v_cmp_gt_i32_e64 s[36:37], s33, v18
	v_cmp_gt_i32_e64 s[38:39], s33, v19
	global_load_dwordx4 v[30:33], v[14:15], off
	global_load_dwordx4 v[26:29], v[14:15], off offset:16
	v_cndmask_b32_e64 v18, v16, v50, s[36:37]
	v_cndmask_b32_e64 v19, v16, v51, s[38:39]
	v_max3_f32 v17, v17, v18, v19
	v_or_b32_e32 v18, 16, v56
	v_or_b32_e32 v19, 17, v56
	v_cmp_gt_i32_e64 s[24:25], s33, v18
	v_cmp_gt_i32_e64 s[26:27], s33, v19
	s_nop 0
	v_cndmask_b32_e64 v18, v16, v46, s[24:25]
	v_cndmask_b32_e64 v19, v16, v47, s[26:27]
	v_max3_f32 v17, v17, v18, v19
	v_or_b32_e32 v18, 18, v56
	v_or_b32_e32 v19, 19, v56
	v_cmp_gt_i32_e64 s[20:21], s33, v18
	v_cmp_gt_i32_e64 s[22:23], s33, v19
	s_nop 0
	;; [unrolled: 8-line block ×5, first 2 shown]
	v_cndmask_b32_e64 v18, v16, v36, s[8:9]
	v_cndmask_b32_e64 v19, v16, v37, s[10:11]
	v_max3_f32 v17, v17, v18, v19
	v_or_b32_e32 v18, 50, v56
	v_or_b32_e32 v19, 51, v56
	v_cmp_gt_i32_e32 vcc, s33, v18
	v_cmp_gt_i32_e64 s[6:7], s33, v19
	s_nop 0
	v_cndmask_b32_e32 v18, v16, v34, vcc
	v_cndmask_b32_e64 v16, v16, v35, s[6:7]
	v_max3_f32 v16, v17, v18, v16
	v_mbcnt_lo_u32_b32 v17, -1, 0
	v_mbcnt_hi_u32_b32 v17, -1, v17
	v_and_b32_e32 v18, 64, v17
	v_add_u32_e32 v18, 64, v18
	v_xor_b32_e32 v19, 32, v17
	v_cmp_lt_i32_e64 s[40:41], v19, v18
	s_nop 1
	v_cndmask_b32_e64 v19, v17, v19, s[40:41]
	v_lshlrev_b32_e32 v56, 2, v19
	ds_bpermute_b32 v19, v56, v16
	s_waitcnt vmcnt(5)
	v_mad_i64_i32 v[14:15], s[40:41], v59, s45, 0
	v_lshl_add_u64 v[14:15], v[14:15], 1, v[10:11]
	s_waitcnt lgkmcnt(0)
	v_max_f32_e32 v19, v19, v19
	v_max_f32_e32 v16, v16, v19
	v_xor_b32_e32 v19, 16, v17
	v_cmp_lt_i32_e64 s[40:41], v19, v18
	s_nop 1
	v_cndmask_b32_e64 v17, v17, v19, s[40:41]
	v_lshlrev_b32_e32 v58, 2, v17
	ds_bpermute_b32 v17, v58, v16
	global_load_dwordx4 v[22:25], v[14:15], off
	global_load_dwordx4 v[18:21], v[14:15], off offset:16
	s_waitcnt vmcnt(6)
	v_mad_i64_i32 v[14:15], s[40:41], v60, s45, 0
	v_lshl_add_u64 v[10:11], v[14:15], 1, v[10:11]
	s_waitcnt lgkmcnt(0)
	v_max_f32_e32 v14, v17, v17
	v_max_f32_e32 v55, v16, v14
	v_sub_f32_e32 v12, v12, v55
	v_mul_f32_e32 v12, 0x3fb8aa3b, v12
	v_exp_f32_e32 v48, v12
	v_sub_f32_e32 v12, v13, v55
	v_mul_f32_e32 v12, 0x3fb8aa3b, v12
	v_exp_f32_e32 v49, v12
	global_load_dwordx4 v[14:17], v[10:11], off
	s_nop 0
	global_load_dwordx4 v[10:13], v[10:11], off offset:16
	v_sub_f32_e32 v50, v50, v55
	v_mul_f32_e32 v50, 0x3fb8aa3b, v50
	v_sub_f32_e32 v51, v51, v55
	v_exp_f32_e32 v50, v50
	v_mul_f32_e32 v51, 0x3fb8aa3b, v51
	v_sub_f32_e32 v46, v46, v55
	v_exp_f32_e32 v51, v51
	v_mul_f32_e32 v46, 0x3fb8aa3b, v46
	v_sub_f32_e32 v47, v47, v55
	v_cndmask_b32_e64 v48, 0, v48, s[4:5]
	v_exp_f32_e32 v46, v46
	v_mul_f32_e32 v47, 0x3fb8aa3b, v47
	v_sub_f32_e32 v44, v44, v55
	v_add_f32_e32 v57, 0, v48
	v_cndmask_b32_e64 v49, 0, v49, s[34:35]
	v_exp_f32_e32 v47, v47
	v_mul_f32_e32 v44, 0x3fb8aa3b, v44
	v_sub_f32_e32 v45, v45, v55
	v_add_f32_e32 v57, v57, v49
	;; [unrolled: 5-line block ×10, first 2 shown]
	v_cndmask_b32_e64 v38, 0, v38, s[12:13]
	v_exp_f32_e32 v34, v34
	v_mul_f32_e32 v35, 0x3fb8aa3b, v35
	v_add_f32_e32 v57, v57, v38
	v_cndmask_b32_e64 v39, 0, v39, s[14:15]
	v_exp_f32_e32 v35, v35
	v_add_f32_e32 v57, v57, v39
	v_cndmask_b32_e64 v36, 0, v36, s[8:9]
	v_add_f32_e32 v57, v57, v36
	v_cndmask_b32_e64 v37, 0, v37, s[10:11]
	v_add_f32_e32 v57, v57, v37
	v_cndmask_b32_e32 v34, 0, v34, vcc
	v_add_f32_e32 v57, v57, v34
	v_cndmask_b32_e64 v35, 0, v35, s[6:7]
	v_add_f32_e32 v57, v57, v35
	ds_bpermute_b32 v56, v56, v57
	s_load_dword s7, s[0:1], 0x98
	v_cmp_gt_u32_e32 vcc, 16, v54
	s_waitcnt lgkmcnt(0)
	s_barrier
	v_add_f32_e32 v57, v57, v56
	ds_bpermute_b32 v58, v58, v57
	v_lshlrev_b32_e32 v56, 2, v52
	s_waitcnt lgkmcnt(0)
	s_and_saveexec_b64 s[4:5], vcc
	s_cbranch_execz .LBB543_17
; %bb.16:
	v_add_f32_e32 v54, v57, v58
	v_lshl_or_b32 v57, v53, 6, v56
	ds_write2st64_b32 v57, v55, v54 offset1:1
.LBB543_17:
	s_or_b64 exec, exec, s[4:5]
	s_load_dword s6, s[0:1], 0x94
	s_waitcnt lgkmcnt(0)
	s_barrier
	ds_read2_b32 v[58:59], v56 offset1:16
	ds_read2_b32 v[60:61], v56 offset0:32 offset1:48
	ds_read2_b32 v[62:63], v56 offset0:64 offset1:80
	;; [unrolled: 1-line block ×3, first 2 shown]
	s_movk_i32 s8, 0x7fff
	s_waitcnt lgkmcnt(3)
	v_max3_f32 v54, v58, s42, v59
	s_waitcnt lgkmcnt(2)
	v_max3_f32 v54, v54, v60, v61
	v_sub_f32_e32 v55, v58, v54
	v_mul_f32_e32 v55, 0x3fb8aa3b, v55
	v_exp_f32_e32 v58, v55
	v_sub_f32_e32 v55, v59, v54
	v_mul_f32_e32 v55, 0x3fb8aa3b, v55
	v_exp_f32_e32 v59, v55
	;; [unrolled: 3-line block ×4, first 2 shown]
	s_waitcnt lgkmcnt(1)
	v_fma_f32 v55, v58, v62, 0
	v_fmac_f32_e32 v55, v59, v63
	s_waitcnt lgkmcnt(0)
	v_fmac_f32_e32 v55, v60, v56
	v_fmac_f32_e32 v55, v61, v57
	v_add_f32_e32 v56, 0x358637bd, v55
	v_div_scale_f32 v57, s[4:5], v56, v56, 1.0
	v_rcp_f32_e32 v62, v57
	s_mov_b32 s9, 0x7060302
	s_lshl_b32 s7, s7, 3
	v_fma_f32 v63, -v57, v62, 1.0
	v_fmac_f32_e32 v62, v63, v62
	v_div_scale_f32 v63, vcc, 1.0, v56, 1.0
	v_mul_f32_e32 v64, v63, v62
	v_fma_f32 v65, -v57, v64, v63
	v_fmac_f32_e32 v64, v65, v62
	v_fma_f32 v57, -v57, v64, v63
	v_div_fmas_f32 v57, v57, v62, v64
	v_cmp_eq_u32_e32 vcc, 1, v53
	v_div_fixup_f32 v56, v57, v56, 1.0
	s_barrier
	v_cndmask_b32_e32 v57, v58, v59, vcc
	v_cmp_eq_u32_e32 vcc, 2, v53
	s_nop 1
	v_cndmask_b32_e32 v57, v57, v60, vcc
	v_cmp_eq_u32_e32 vcc, 3, v53
	s_nop 1
	v_cndmask_b32_e32 v57, v57, v61, vcc
	v_mul_f32_e32 v56, v57, v56
	v_pk_mul_f32 v[48:49], v[56:57], v[48:49] op_sel_hi:[0,1]
	v_pk_mul_f32 v[50:51], v[56:57], v[50:51] op_sel_hi:[0,1]
	v_bfe_u32 v57, v49, 16, 1
	v_bfe_u32 v58, v48, 16, 1
	v_add3_u32 v48, v48, v58, s8
	v_add3_u32 v49, v49, v57, s8
	v_perm_b32 v58, v49, v48, s9
	v_bfe_u32 v48, v51, 16, 1
	v_bfe_u32 v49, v50, 16, 1
	v_add3_u32 v49, v50, v49, s8
	v_add3_u32 v48, v51, v48, s8
	v_perm_b32 v59, v48, v49, s9
	v_lshlrev_b32_e32 v48, 3, v1
	v_lshlrev_b32_e32 v49, 5, v52
	;; [unrolled: 1-line block ×3, first 2 shown]
	v_pk_mul_f32 v[46:47], v[56:57], v[46:47] op_sel_hi:[0,1]
	v_or3_b32 v48, v50, v49, v48
	v_bfe_u32 v50, v47, 16, 1
	v_bfe_u32 v51, v46, 16, 1
	v_pk_mul_f32 v[44:45], v[56:57], v[44:45] op_sel_hi:[0,1]
	v_add3_u32 v46, v46, v51, s8
	v_add3_u32 v47, v47, v50, s8
	v_perm_b32 v46, v47, v46, s9
	v_bfe_u32 v47, v45, 16, 1
	v_bfe_u32 v50, v44, 16, 1
	v_add3_u32 v44, v44, v50, s8
	v_add3_u32 v45, v45, v47, s8
	v_pk_mul_f32 v[40:41], v[56:57], v[40:41] op_sel_hi:[0,1]
	v_perm_b32 v47, v45, v44, s9
	v_bfe_u32 v44, v41, 16, 1
	v_bfe_u32 v45, v40, 16, 1
	v_pk_mul_f32 v[38:39], v[56:57], v[38:39] op_sel_hi:[0,1]
	v_add3_u32 v40, v40, v45, s8
	v_add3_u32 v41, v41, v44, s8
	v_perm_b32 v40, v41, v40, s9
	v_bfe_u32 v41, v39, 16, 1
	v_bfe_u32 v44, v38, 16, 1
	v_add3_u32 v38, v38, v44, s8
	v_add3_u32 v39, v39, v41, s8
	v_pk_mul_f32 v[36:37], v[56:57], v[36:37] op_sel_hi:[0,1]
	v_perm_b32 v41, v39, v38, s9
	v_bfe_u32 v38, v37, 16, 1
	v_bfe_u32 v39, v36, 16, 1
	v_pk_mul_f32 v[34:35], v[56:57], v[34:35] op_sel_hi:[0,1]
	v_add3_u32 v36, v36, v39, s8
	v_add3_u32 v37, v37, v38, s8
	v_perm_b32 v36, v37, v36, s9
	v_bfe_u32 v37, v35, 16, 1
	v_bfe_u32 v38, v34, 16, 1
	v_add3_u32 v34, v34, v38, s8
	v_add3_u32 v35, v35, v37, s8
	v_perm_b32 v37, v35, v34, s9
	v_cmp_gt_u32_e32 vcc, 8, v0
	ds_write2st64_b64 v48, v[58:59], v[46:47] offset1:1
	ds_write2st64_b64 v48, v[40:41], v[36:37] offset0:2 offset1:3
	s_and_saveexec_b64 s[4:5], vcc
	s_cbranch_execz .LBB543_19
; %bb.18:
	v_or_b32_e32 v34, s29, v0
	v_mov_b32_e32 v35, 0
	v_mov_b32_e32 v36, s7
	v_mad_u64_u32 v[36:37], s[10:11], s2, v36, v[34:35]
	v_mov_b32_e32 v34, s28
	s_load_dwordx4 s[12:15], s[0:1], 0x58
	s_mul_i32 s3, s3, s7
	v_mad_u64_u32 v[34:35], s[10:11], v36, s6, v[34:35]
	v_add_u32_e32 v37, s3, v37
	v_mov_b32_e32 v36, v35
	v_mad_u64_u32 v[36:37], s[10:11], v37, s6, v[36:37]
	v_mov_b32_e32 v35, v36
	v_lshlrev_b64 v[34:35], 2, v[34:35]
	s_waitcnt lgkmcnt(0)
	v_lshl_add_u64 v[36:37], s[14:15], 0, v[34:35]
	v_lshl_add_u64 v[34:35], s[12:13], 0, v[34:35]
	global_store_dword v[36:37], v54, off
	global_store_dword v[34:35], v55, off
.LBB543_19:
	s_or_b64 exec, exec, s[4:5]
	v_lshl_or_b32 v49, v1, 9, v49
	s_waitcnt lgkmcnt(0)
	s_barrier
	ds_read_b128 v[34:37], v49
	ds_read_b128 v[38:41], v49 offset:16
	s_waitcnt vmcnt(7) lgkmcnt(1)
	v_mfma_f32_16x16x16_bf16 v[44:47], v[6:7], v[34:35], 0
	v_cmp_gt_u32_e32 vcc, 64, v0
	s_mov_b32 s3, 0
	s_and_b64 s[4:5], vcc, s[30:31]
	v_mfma_f32_16x16x16_bf16 v[6:9], v[8:9], v[36:37], v[44:47]
	s_waitcnt vmcnt(6) lgkmcnt(0)
	v_mfma_f32_16x16x16_bf16 v[6:9], v[2:3], v[38:39], v[6:9]
	v_mfma_f32_16x16x16_bf16 v[2:5], v[4:5], v[40:41], v[6:9]
	s_nop 5
	ds_read_b128 v[6:9], v49 offset:2048
	ds_read_b128 v[34:37], v49 offset:2064
	s_waitcnt vmcnt(5) lgkmcnt(1)
	v_mfma_f32_16x16x16_bf16 v[2:5], v[30:31], v[6:7], v[2:5]
	v_mfma_f32_16x16x16_bf16 v[2:5], v[32:33], v[8:9], v[2:5]
	s_waitcnt vmcnt(4) lgkmcnt(0)
	v_mfma_f32_16x16x16_bf16 v[2:5], v[26:27], v[34:35], v[2:5]
	v_mfma_f32_16x16x16_bf16 v[2:5], v[28:29], v[36:37], v[2:5]
	ds_read_b128 v[6:9], v49 offset:4096
	ds_read_b128 v[26:29], v49 offset:4112
	s_waitcnt vmcnt(3) lgkmcnt(1)
	v_mfma_f32_16x16x16_bf16 v[2:5], v[22:23], v[6:7], v[2:5]
	v_mfma_f32_16x16x16_bf16 v[2:5], v[24:25], v[8:9], v[2:5]
	s_waitcnt vmcnt(2) lgkmcnt(0)
	v_mfma_f32_16x16x16_bf16 v[2:5], v[18:19], v[26:27], v[2:5]
	v_mfma_f32_16x16x16_bf16 v[2:5], v[20:21], v[28:29], v[2:5]
	ds_read_b128 v[6:9], v49 offset:6144
	ds_read_b128 v[18:21], v49 offset:6160
	s_waitcnt lgkmcnt(0)
	s_barrier
	s_waitcnt vmcnt(1)
	v_mfma_f32_16x16x16_bf16 v[2:5], v[14:15], v[6:7], v[2:5]
	v_mfma_f32_16x16x16_bf16 v[2:5], v[16:17], v[8:9], v[2:5]
	s_waitcnt vmcnt(0)
	v_mfma_f32_16x16x16_bf16 v[2:5], v[10:11], v[18:19], v[2:5]
	v_mfma_f32_16x16x16_bf16 v[2:5], v[12:13], v[20:21], v[2:5]
	s_nop 6
	v_bfe_u32 v6, v3, 16, 1
	v_bfe_u32 v7, v2, 16, 1
	;; [unrolled: 1-line block ×4, first 2 shown]
	v_add3_u32 v2, v2, v7, s8
	v_add3_u32 v3, v3, v6, s8
	;; [unrolled: 1-line block ×4, first 2 shown]
	v_perm_b32 v2, v3, v2, s9
	v_perm_b32 v3, v5, v4, s9
	ds_write_b64 v48, v[2:3]
	s_waitcnt lgkmcnt(0)
	s_barrier
	s_and_saveexec_b64 s[8:9], s[4:5]
	s_cbranch_execz .LBB543_21
; %bb.20:
	s_load_dwordx2 s[0:1], s[0:1], 0x68
	s_lshl_b32 s6, s6, 6
	s_mul_i32 s2, s7, s2
	s_mul_hi_u32 s5, s2, s6
	s_mul_i32 s4, s2, s6
	s_lshl_b64 s[4:5], s[4:5], 1
	v_lshlrev_b32_e32 v2, 10, v0
	v_lshlrev_b32_e32 v0, 4, v0
	s_waitcnt lgkmcnt(0)
	s_add_u32 s4, s0, s4
	v_and_b32_e32 v2, 0x1800, v2
	v_lshlrev_b32_e32 v3, 5, v1
	v_and_b32_e32 v0, 16, v0
	s_addc_u32 s5, s1, s5
	s_lshl_b32 s2, s28, 6
	v_or3_b32 v0, v2, v3, v0
	s_lshl_b64 s[0:1], s[2:3], 1
	ds_read_b128 v[2:5], v0
	ds_read_b128 v[6:9], v0 offset:128
	s_add_u32 s0, s4, s0
	s_addc_u32 s1, s5, s1
	v_or_b32_e32 v12, s29, v1
	v_lshl_add_u64 v[10:11], v[42:43], 1, s[0:1]
	v_mad_u64_u32 v[0:1], s[0:1], v12, s6, 0
	v_lshl_add_u64 v[0:1], v[0:1], 1, v[10:11]
	s_waitcnt lgkmcnt(1)
	global_store_dwordx4 v[0:1], v[2:5], off
	v_or_b32_e32 v0, 4, v12
	v_mad_u64_u32 v[0:1], s[0:1], v0, s6, 0
	v_lshl_add_u64 v[0:1], v[0:1], 1, v[10:11]
	s_waitcnt lgkmcnt(0)
	global_store_dwordx4 v[0:1], v[6:9], off
.LBB543_21:
	s_endpgm
	.section	.rodata,"a",@progbits
	.p2align	6, 0x0
	.amdhsa_kernel _Z39paged_attention_ll4mi_QKV_mfma16_kernelI14__hip_bfloat16S0_LN4vllm18Fp8KVCacheDataTypeE0ES0_Li32ELi64ELi256ELb1ELi8EEvPKT_PKT0_S8_ifPKiSA_SA_iPKfiiiPfSD_PS3_PT2_iSC_SC_
		.amdhsa_group_segment_fixed_size 8192
		.amdhsa_private_segment_fixed_size 0
		.amdhsa_kernarg_size 400
		.amdhsa_user_sgpr_count 2
		.amdhsa_user_sgpr_dispatch_ptr 0
		.amdhsa_user_sgpr_queue_ptr 0
		.amdhsa_user_sgpr_kernarg_segment_ptr 1
		.amdhsa_user_sgpr_dispatch_id 0
		.amdhsa_user_sgpr_kernarg_preload_length 0
		.amdhsa_user_sgpr_kernarg_preload_offset 0
		.amdhsa_user_sgpr_private_segment_size 0
		.amdhsa_uses_dynamic_stack 0
		.amdhsa_enable_private_segment 0
		.amdhsa_system_sgpr_workgroup_id_x 1
		.amdhsa_system_sgpr_workgroup_id_y 1
		.amdhsa_system_sgpr_workgroup_id_z 1
		.amdhsa_system_sgpr_workgroup_info 0
		.amdhsa_system_vgpr_workitem_id 0
		.amdhsa_next_free_vgpr 73
		.amdhsa_next_free_sgpr 48
		.amdhsa_accum_offset 76
		.amdhsa_reserve_vcc 1
		.amdhsa_float_round_mode_32 0
		.amdhsa_float_round_mode_16_64 0
		.amdhsa_float_denorm_mode_32 3
		.amdhsa_float_denorm_mode_16_64 3
		.amdhsa_dx10_clamp 1
		.amdhsa_ieee_mode 1
		.amdhsa_fp16_overflow 0
		.amdhsa_tg_split 0
		.amdhsa_exception_fp_ieee_invalid_op 0
		.amdhsa_exception_fp_denorm_src 0
		.amdhsa_exception_fp_ieee_div_zero 0
		.amdhsa_exception_fp_ieee_overflow 0
		.amdhsa_exception_fp_ieee_underflow 0
		.amdhsa_exception_fp_ieee_inexact 0
		.amdhsa_exception_int_div_zero 0
	.end_amdhsa_kernel
	.section	.text._Z39paged_attention_ll4mi_QKV_mfma16_kernelI14__hip_bfloat16S0_LN4vllm18Fp8KVCacheDataTypeE0ES0_Li32ELi64ELi256ELb1ELi8EEvPKT_PKT0_S8_ifPKiSA_SA_iPKfiiiPfSD_PS3_PT2_iSC_SC_,"axG",@progbits,_Z39paged_attention_ll4mi_QKV_mfma16_kernelI14__hip_bfloat16S0_LN4vllm18Fp8KVCacheDataTypeE0ES0_Li32ELi64ELi256ELb1ELi8EEvPKT_PKT0_S8_ifPKiSA_SA_iPKfiiiPfSD_PS3_PT2_iSC_SC_,comdat
.Lfunc_end543:
	.size	_Z39paged_attention_ll4mi_QKV_mfma16_kernelI14__hip_bfloat16S0_LN4vllm18Fp8KVCacheDataTypeE0ES0_Li32ELi64ELi256ELb1ELi8EEvPKT_PKT0_S8_ifPKiSA_SA_iPKfiiiPfSD_PS3_PT2_iSC_SC_, .Lfunc_end543-_Z39paged_attention_ll4mi_QKV_mfma16_kernelI14__hip_bfloat16S0_LN4vllm18Fp8KVCacheDataTypeE0ES0_Li32ELi64ELi256ELb1ELi8EEvPKT_PKT0_S8_ifPKiSA_SA_iPKfiiiPfSD_PS3_PT2_iSC_SC_
                                        ; -- End function
	.section	.AMDGPU.csdata,"",@progbits
; Kernel info:
; codeLenInByte = 4368
; NumSgprs: 54
; NumVgprs: 73
; NumAgprs: 0
; TotalNumVgprs: 73
; ScratchSize: 0
; MemoryBound: 0
; FloatMode: 240
; IeeeMode: 1
; LDSByteSize: 8192 bytes/workgroup (compile time only)
; SGPRBlocks: 6
; VGPRBlocks: 9
; NumSGPRsForWavesPerEU: 54
; NumVGPRsForWavesPerEU: 73
; AccumOffset: 76
; Occupancy: 6
; WaveLimiterHint : 1
; COMPUTE_PGM_RSRC2:SCRATCH_EN: 0
; COMPUTE_PGM_RSRC2:USER_SGPR: 2
; COMPUTE_PGM_RSRC2:TRAP_HANDLER: 0
; COMPUTE_PGM_RSRC2:TGID_X_EN: 1
; COMPUTE_PGM_RSRC2:TGID_Y_EN: 1
; COMPUTE_PGM_RSRC2:TGID_Z_EN: 1
; COMPUTE_PGM_RSRC2:TIDIG_COMP_CNT: 0
; COMPUTE_PGM_RSRC3_GFX90A:ACCUM_OFFSET: 18
; COMPUTE_PGM_RSRC3_GFX90A:TG_SPLIT: 0
	.section	.text._Z39paged_attention_ll4mi_QKV_mfma16_kernelI14__hip_bfloat16S0_LN4vllm18Fp8KVCacheDataTypeE0ES0_Li32ELi64ELi256ELb1ELi9EEvPKT_PKT0_S8_ifPKiSA_SA_iPKfiiiPfSD_PS3_PT2_iSC_SC_,"axG",@progbits,_Z39paged_attention_ll4mi_QKV_mfma16_kernelI14__hip_bfloat16S0_LN4vllm18Fp8KVCacheDataTypeE0ES0_Li32ELi64ELi256ELb1ELi9EEvPKT_PKT0_S8_ifPKiSA_SA_iPKfiiiPfSD_PS3_PT2_iSC_SC_,comdat
	.protected	_Z39paged_attention_ll4mi_QKV_mfma16_kernelI14__hip_bfloat16S0_LN4vllm18Fp8KVCacheDataTypeE0ES0_Li32ELi64ELi256ELb1ELi9EEvPKT_PKT0_S8_ifPKiSA_SA_iPKfiiiPfSD_PS3_PT2_iSC_SC_ ; -- Begin function _Z39paged_attention_ll4mi_QKV_mfma16_kernelI14__hip_bfloat16S0_LN4vllm18Fp8KVCacheDataTypeE0ES0_Li32ELi64ELi256ELb1ELi9EEvPKT_PKT0_S8_ifPKiSA_SA_iPKfiiiPfSD_PS3_PT2_iSC_SC_
	.globl	_Z39paged_attention_ll4mi_QKV_mfma16_kernelI14__hip_bfloat16S0_LN4vllm18Fp8KVCacheDataTypeE0ES0_Li32ELi64ELi256ELb1ELi9EEvPKT_PKT0_S8_ifPKiSA_SA_iPKfiiiPfSD_PS3_PT2_iSC_SC_
	.p2align	8
	.type	_Z39paged_attention_ll4mi_QKV_mfma16_kernelI14__hip_bfloat16S0_LN4vllm18Fp8KVCacheDataTypeE0ES0_Li32ELi64ELi256ELb1ELi9EEvPKT_PKT0_S8_ifPKiSA_SA_iPKfiiiPfSD_PS3_PT2_iSC_SC_,@function
_Z39paged_attention_ll4mi_QKV_mfma16_kernelI14__hip_bfloat16S0_LN4vllm18Fp8KVCacheDataTypeE0ES0_Li32ELi64ELi256ELb1ELi9EEvPKT_PKT0_S8_ifPKiSA_SA_iPKfiiiPfSD_PS3_PT2_iSC_SC_: ; @_Z39paged_attention_ll4mi_QKV_mfma16_kernelI14__hip_bfloat16S0_LN4vllm18Fp8KVCacheDataTypeE0ES0_Li32ELi64ELi256ELb1ELi9EEvPKT_PKT0_S8_ifPKiSA_SA_iPKfiiiPfSD_PS3_PT2_iSC_SC_
; %bb.0:
	s_load_dwordx2 s[6:7], s[0:1], 0x30
	s_mov_b32 s28, s3
	s_mov_b64 s[8:9], 0
	s_waitcnt lgkmcnt(0)
	s_cmp_lg_u64 s[6:7], 0
	s_cselect_b64 s[10:11], -1, 0
	s_and_b64 vcc, exec, s[10:11]
	s_cbranch_vccz .LBB544_7
; %bb.1:
	s_add_i32 s12, s2, 1
	s_mov_b32 s13, 0
	s_lshl_b64 s[14:15], s[12:13], 2
	s_add_u32 s14, s6, s14
	s_mov_b32 s3, s13
	s_addc_u32 s15, s7, s15
	s_lshl_b64 s[12:13], s[2:3], 2
	s_add_u32 s12, s6, s12
	s_addc_u32 s13, s7, s13
	s_load_dword s5, s[14:15], 0x0
	s_load_dword s16, s[12:13], 0x0
	s_waitcnt lgkmcnt(0)
	s_sub_i32 s5, s5, s16
	s_cmp_eq_u32 s5, 1
	s_cselect_b64 s[12:13], -1, 0
	s_andn2_b64 vcc, exec, s[8:9]
	s_cbranch_vccnz .LBB544_3
.LBB544_2:
	s_mov_b32 s3, 0
	s_mov_b64 s[12:13], -1
.LBB544_3:
	s_andn2_b64 vcc, exec, s[12:13]
	s_cbranch_vccnz .LBB544_22
; %bb.4:
	s_load_dwordx2 s[8:9], s[0:1], 0x28
	s_lshl_b64 s[12:13], s[2:3], 2
	s_waitcnt lgkmcnt(0)
	s_add_u32 s8, s8, s12
	s_addc_u32 s9, s9, s13
	s_load_dword s29, s[8:9], 0x0
	s_lshl_b32 s14, s28, 8
	s_waitcnt lgkmcnt(0)
	s_cmp_ge_i32 s14, s29
	s_cbranch_scc1 .LBB544_22
; %bb.5:
	s_load_dwordx2 s[8:9], s[0:1], 0x20
	s_load_dword s5, s[0:1], 0x38
	s_add_i32 s15, s29, 31
	s_ashr_i32 s16, s15, 31
	v_and_b32_e32 v1, 0xcf, v0
	s_lshr_b32 s16, s16, 27
	v_add_u32_e32 v1, s14, v1
	s_add_i32 s15, s15, s16
	v_ashrrev_i32_e32 v2, 31, v1
	s_ashr_i32 s15, s15, 5
	v_lshrrev_b32_e32 v6, 27, v2
	s_add_i32 s15, s15, -1
	s_waitcnt lgkmcnt(0)
	s_mul_i32 s16, s2, s5
	s_mov_b32 s17, 0
	v_add_u32_e32 v2, v1, v6
	s_lshl_b64 s[16:17], s[16:17], 2
	v_ashrrev_i32_e32 v2, 5, v2
	v_mov_b32_e32 v7, s15
	v_cmp_gt_i32_e32 vcc, s29, v1
	s_add_u32 s8, s8, s16
	s_addc_u32 s9, s9, s17
	v_cndmask_b32_e32 v2, v7, v2, vcc
	v_ashrrev_i32_e32 v3, 31, v2
	v_lshl_add_u64 v[4:5], v[2:3], 2, s[8:9]
	v_or_b32_e32 v2, 16, v1
	v_add_u32_e32 v3, v2, v6
	v_ashrrev_i32_e32 v3, 5, v3
	v_cmp_gt_i32_e32 vcc, s29, v2
	s_nop 1
	v_cndmask_b32_e32 v2, v7, v3, vcc
	v_ashrrev_i32_e32 v3, 31, v2
	v_lshl_add_u64 v[8:9], v[2:3], 2, s[8:9]
	v_or_b32_e32 v2, 32, v1
	v_add_u32_e32 v3, v2, v6
	v_ashrrev_i32_e32 v3, 5, v3
	v_cmp_gt_i32_e32 vcc, s29, v2
	v_or_b32_e32 v1, 48, v1
	s_nop 0
	v_cndmask_b32_e32 v2, v7, v3, vcc
	v_ashrrev_i32_e32 v3, 31, v2
	v_lshl_add_u64 v[12:13], v[2:3], 2, s[8:9]
	v_add_u32_e32 v2, v1, v6
	v_ashrrev_i32_e32 v2, 5, v2
	v_cmp_gt_i32_e32 vcc, s29, v1
	s_nop 1
	v_cndmask_b32_e32 v2, v7, v2, vcc
	v_ashrrev_i32_e32 v3, 31, v2
	v_lshl_add_u64 v[16:17], v[2:3], 2, s[8:9]
	global_load_dword v2, v[4:5], off
	global_load_dword v6, v[8:9], off
	;; [unrolled: 1-line block ×4, first 2 shown]
	s_andn2_b64 vcc, exec, s[10:11]
	s_cbranch_vccnz .LBB544_8
; %bb.6:
	s_add_u32 s6, s6, s12
	s_addc_u32 s7, s7, s13
	s_load_dword s5, s[6:7], 0x0
	s_branch .LBB544_9
.LBB544_7:
	s_mov_b64 s[12:13], 0
	s_branch .LBB544_2
.LBB544_8:
	s_mov_b32 s5, s2
.LBB544_9:
	s_load_dwordx2 s[10:11], s[0:1], 0x8
	s_load_dwordx4 s[44:47], s[0:1], 0x48
	v_lshrrev_b32_e32 v1, 6, v0
	v_bfe_u32 v54, v0, 4, 2
	v_lshl_or_b32 v3, v1, 2, v54
	v_and_b32_e32 v44, 15, v0
	v_cmp_lt_u32_e32 vcc, 8, v3
	v_cmp_lt_u32_e64 s[6:7], 7, v44
	v_lshlrev_b32_e32 v42, 3, v44
	v_cmp_gt_u32_e64 s[30:31], 8, v44
	s_or_b64 s[6:7], s[6:7], vcc
	s_and_saveexec_b64 s[12:13], s[6:7]
	s_xor_b64 s[6:7], exec, s[12:13]
; %bb.10:
	v_mov_b32_e32 v43, 0
                                        ; implicit-def: $vgpr3
; %bb.11:
	s_or_saveexec_b64 s[12:13], s[6:7]
	s_load_dwordx2 s[6:7], s[0:1], 0x10
	s_mul_i32 s42, s4, 9
	s_xor_b64 exec, exec, s[12:13]
	s_cbranch_execz .LBB544_13
; %bb.12:
	s_load_dwordx2 s[16:17], s[0:1], 0x0
	s_waitcnt lgkmcnt(0)
	s_ashr_i32 s18, s44, 31
	s_mul_hi_u32 s19, s5, s44
	s_mul_i32 s18, s5, s18
	s_add_i32 s19, s19, s18
	s_mul_i32 s18, s5, s44
	s_lshl_b64 s[18:19], s[18:19], 1
	s_add_u32 s16, s16, s18
	v_add_lshl_u32 v4, v3, s42, 6
	s_addc_u32 s17, s17, s19
	v_ashrrev_i32_e32 v5, 31, v4
	v_mov_b32_e32 v43, 0
	v_lshl_add_u64 v[4:5], v[4:5], 1, s[16:17]
	v_lshlrev_b32_e32 v8, 1, v42
	v_mov_b32_e32 v9, v43
	v_lshl_add_u64 v[4:5], v[4:5], 0, v[8:9]
	global_load_dwordx4 v[16:19], v[4:5], off
	v_and_b32_e32 v4, 3, v0
	v_lshlrev_b32_e32 v5, 9, v44
	v_lshlrev_b32_e32 v3, 5, v3
	;; [unrolled: 1-line block ×3, first 2 shown]
	v_and_b32_e32 v5, 0x1800, v5
	v_or3_b32 v3, v5, v4, v3
	s_waitcnt vmcnt(0)
	ds_write_b128 v3, v[16:19]
.LBB544_13:
	s_or_b64 exec, exec, s[12:13]
	s_waitcnt lgkmcnt(0)
	s_mul_i32 s4, s4, s46
	s_mov_b32 s5, 0
	s_lshl_b64 s[4:5], s[4:5], 1
	s_add_u32 s10, s10, s4
	s_addc_u32 s11, s11, s5
	s_waitcnt vmcnt(3)
	v_mad_i64_i32 v[2:3], s[12:13], v2, s45, 0
	v_lshl_add_u64 v[2:3], v[2:3], 1, s[10:11]
	v_lshlrev_b64 v[12:13], 1, v[42:43]
	v_lshlrev_b32_e32 v46, 9, v54
	v_lshl_add_u64 v[2:3], v[2:3], 0, v[12:13]
	v_mov_b32_e32 v47, 0
	v_lshl_add_u64 v[8:9], v[2:3], 0, v[46:47]
	s_barrier
	global_load_dwordx4 v[22:25], v[8:9], off
	global_load_dwordx4 v[2:5], v[8:9], off offset:2048
	s_waitcnt vmcnt(4)
	v_mad_i64_i32 v[6:7], s[12:13], v6, s45, 0
	v_mov_b32_e32 v8, 0x100
	v_lshl_add_u64 v[6:7], v[6:7], 1, s[10:11]
	v_lshl_or_b32 v16, v44, 4, v8
	v_mov_b32_e32 v17, v47
	s_waitcnt vmcnt(3)
	v_mad_i64_i32 v[10:11], s[12:13], v10, s45, 0
	v_lshl_add_u64 v[6:7], v[6:7], 0, v[16:17]
	v_lshl_add_u64 v[10:11], v[10:11], 1, s[10:11]
	s_waitcnt vmcnt(2)
	v_mad_i64_i32 v[14:15], s[12:13], v14, s45, 0
	v_lshl_add_u64 v[18:19], v[6:7], 0, v[46:47]
	v_lshl_add_u64 v[10:11], v[10:11], 0, v[12:13]
	;; [unrolled: 1-line block ×3, first 2 shown]
	global_load_dwordx4 v[26:29], v[18:19], off
	global_load_dwordx4 v[6:9], v[18:19], off offset:2048
	v_lshl_add_u64 v[18:19], v[10:11], 0, v[46:47]
	v_lshl_add_u64 v[14:15], v[14:15], 0, v[16:17]
	global_load_dwordx4 v[30:33], v[18:19], off
	global_load_dwordx4 v[10:13], v[18:19], off offset:2048
	v_lshl_add_u64 v[18:19], v[14:15], 0, v[46:47]
	global_load_dwordx4 v[34:37], v[18:19], off
	global_load_dwordx4 v[14:17], v[18:19], off offset:2048
	v_add_u32_e32 v18, -9, v44
	v_cmp_gt_u32_e32 vcc, 9, v44
	v_and_b32_e32 v45, 63, v0
	v_mov_b32_e32 v50, 0
	v_cndmask_b32_e32 v18, v18, v44, vcc
	v_lshl_add_u32 v18, v18, 5, v46
	ds_read_b128 v[38:41], v18
	ds_read_b128 v[18:21], v18 offset:2048
	s_and_saveexec_b64 s[10:11], vcc
	s_cbranch_execz .LBB544_15
; %bb.14:
	s_load_dwordx2 s[12:13], s[0:1], 0x40
	v_add_u32_e32 v48, s42, v44
	v_ashrrev_i32_e32 v49, 31, v48
	s_waitcnt lgkmcnt(0)
	v_lshl_add_u64 v[48:49], v[48:49], 2, s[12:13]
	global_load_dword v50, v[48:49], off
.LBB544_15:
	s_or_b64 exec, exec, s[10:11]
	s_ashr_i32 s10, s14, 31
	v_and_or_b32 v46, v0, 48, s14
	s_lshr_b32 s11, s10, 27
	v_add_u32_e32 v48, s11, v46
	v_or_b32_e32 v52, 64, v46
	v_ashrrev_i32_e32 v48, 5, v48
	v_mov_b32_e32 v51, s15
	v_cmp_gt_i32_e32 vcc, s29, v46
	v_add_u32_e32 v53, s11, v52
	s_waitcnt vmcnt(7) lgkmcnt(1)
	v_mfma_f32_16x16x16_bf16 v[56:59], v[22:23], v[38:39], 0
	v_cndmask_b32_e32 v48, v51, v48, vcc
	v_ashrrev_i32_e32 v22, 5, v53
	v_cmp_gt_i32_e32 vcc, s29, v52
	v_ashrrev_i32_e32 v49, 31, v48
	v_lshl_add_u64 v[48:49], v[48:49], 2, s[8:9]
	v_cndmask_b32_e32 v22, v51, v22, vcc
	v_ashrrev_i32_e32 v23, 31, v22
	v_lshl_add_u64 v[22:23], v[22:23], 2, s[8:9]
	global_load_dword v55, v[48:49], off
	global_load_dword v72, v[22:23], off
	s_waitcnt vmcnt(3)
	v_mfma_f32_16x16x16_bf16 v[68:71], v[34:35], v[38:39], 0
	v_or_b32_e32 v48, 0xc0, v46
	v_add_u32_e32 v52, s11, v48
	s_add_u32 s4, s6, s4
	v_mfma_f32_16x16x16_bf16 v[60:63], v[26:27], v[38:39], 0
	s_addc_u32 s5, s7, s5
	s_load_dword s10, s[0:1], 0x1c
	s_mov_b32 s33, 0xff7fffff
	v_mfma_f32_16x16x16_bf16 v[64:67], v[30:31], v[38:39], 0
	v_and_b32_e32 v31, 0xc0, v0
	v_or_b32_e32 v38, 0x80, v46
	v_add_u32_e32 v34, s14, v31
	v_mfma_f32_16x16x16_bf16 v[22:25], v[24:25], v[40:41], v[56:59]
	v_and_b32_e32 v30, 16, v0
	v_add_u32_e32 v49, s11, v38
	v_lshlrev_b32_e32 v46, 1, v30
	v_lshl_or_b32 v56, v54, 2, v34
	v_mfma_f32_16x16x16_bf16 v[34:37], v[36:37], v[40:41], v[68:71]
	v_cmp_gt_i32_e32 vcc, s29, v38
	v_lshlrev_b32_e32 v39, 6, v44
	v_or_b32_e32 v57, 1, v56
	v_mfma_f32_16x16x16_bf16 v[26:29], v[28:29], v[40:41], v[60:63]
	v_cmp_gt_i32_e64 s[34:35], s29, v57
	v_mfma_f32_16x16x16_bf16 v[30:33], v[32:33], v[40:41], v[64:67]
	v_ashrrev_i32_e32 v40, 5, v49
	v_ashrrev_i32_e32 v41, 5, v52
	v_cndmask_b32_e32 v38, v51, v40, vcc
	v_cmp_gt_i32_e32 vcc, s29, v48
	s_waitcnt lgkmcnt(0)
	v_mfma_f32_16x16x16_bf16 v[22:25], v[2:3], v[18:19], v[22:25]
	v_lshl_add_u64 v[2:3], s[4:5], 0, v[46:47]
	v_cndmask_b32_e32 v40, v51, v41, vcc
	v_lshl_or_b32 v46, v1, 10, v39
	v_ashrrev_i32_e32 v39, 31, v38
	v_ashrrev_i32_e32 v41, 31, v40
	s_waitcnt vmcnt(2)
	v_mfma_f32_16x16x16_bf16 v[34:37], v[14:15], v[18:19], v[34:37]
	v_lshl_add_u64 v[14:15], v[38:39], 2, s[8:9]
	v_subrev_u32_e32 v51, s29, v57
	v_cvt_f32_i32_e32 v58, v51
	v_mfma_f32_16x16x16_bf16 v[26:29], v[6:7], v[18:19], v[26:29]
	v_mfma_f32_16x16x16_bf16 v[30:33], v[10:11], v[18:19], v[30:33]
	v_lshl_add_u64 v[18:19], v[40:41], 2, s[8:9]
	global_load_dword v59, v[14:15], off
	global_load_dword v60, v[18:19], off
	v_lshl_add_u64 v[10:11], v[2:3], 0, v[46:47]
	v_mfma_f32_16x16x16_bf16 v[2:5], v[4:5], v[20:21], v[22:25]
	v_add_u32_e32 v46, 1, v51
	v_add_u32_e32 v47, 3, v51
	;; [unrolled: 1-line block ×3, first 2 shown]
	v_mfma_f32_16x16x16_bf16 v[14:17], v[16:17], v[20:21], v[34:37]
	v_add_u32_e32 v22, 2, v51
	s_nop 1
	v_pk_mul_f32 v[52:53], s[10:11], v[4:5] op_sel_hi:[0,1]
	v_cvt_f32_i32_e32 v18, v18
	v_mfma_f32_16x16x16_bf16 v[6:9], v[8:9], v[20:21], v[26:29]
	v_add_u32_e32 v19, 19, v51
	v_pk_mul_f32 v[34:35], s[10:11], v[16:17] op_sel_hi:[0,1]
	v_pk_mul_f32 v[36:37], s[10:11], v[14:15] op_sel_hi:[0,1]
	v_cvt_f32_i32_e32 v27, v22
	v_mfma_f32_16x16x16_bf16 v[22:25], v[12:13], v[20:21], v[30:33]
	v_pk_mul_f32 v[12:13], s[10:11], v[2:3] op_sel_hi:[0,1]
	v_cvt_f32_i32_e32 v26, v46
	v_cvt_f32_i32_e32 v28, v47
	v_pk_mul_f32 v[46:47], s[10:11], v[8:9] op_sel_hi:[0,1]
	v_pk_mul_f32 v[48:49], s[10:11], v[6:7] op_sel_hi:[0,1]
	v_cvt_f32_i32_e32 v19, v19
	v_fma_f32 v46, v50, v18, v46
	v_add_u32_e32 v18, 34, v51
	v_cvt_f32_i32_e32 v18, v18
	v_fmac_f32_e32 v47, v50, v19
	v_add_u32_e32 v19, 35, v51
	v_cvt_f32_i32_e32 v19, v19
	v_pk_mul_f32 v[40:41], s[10:11], v[22:23] op_sel_hi:[0,1]
	v_pk_mul_f32 v[38:39], s[10:11], v[24:25] op_sel_hi:[0,1]
	v_fma_f32 v38, v50, v18, v38
	v_add_u32_e32 v18, 50, v51
	s_waitcnt vmcnt(3)
	v_mad_i64_i32 v[2:3], s[4:5], v55, s45, 0
	s_waitcnt vmcnt(2)
	v_mad_i64_i32 v[4:5], s[4:5], v72, s45, 0
	v_lshl_add_u64 v[16:17], v[2:3], 1, v[10:11]
	v_lshl_add_u64 v[14:15], v[4:5], 1, v[10:11]
	global_load_dwordx4 v[6:9], v[16:17], off
	global_load_dwordx4 v[2:5], v[16:17], off offset:16
	v_add_u32_e32 v16, 16, v51
	v_cvt_f32_i32_e32 v16, v16
	v_add_u32_e32 v17, 17, v51
	v_cvt_f32_i32_e32 v17, v17
	v_fmac_f32_e32 v39, v50, v19
	v_fma_f32 v48, v50, v16, v48
	v_add_u32_e32 v16, 32, v51
	v_fmac_f32_e32 v49, v50, v17
	v_cvt_f32_i32_e32 v16, v16
	v_add_u32_e32 v17, 33, v51
	v_cvt_f32_i32_e32 v17, v17
	v_cvt_f32_i32_e32 v18, v18
	v_fma_f32 v40, v50, v16, v40
	v_add_u32_e32 v16, 48, v51
	v_fmac_f32_e32 v41, v50, v17
	v_cvt_f32_i32_e32 v16, v16
	v_add_u32_e32 v17, 49, v51
	v_cvt_f32_i32_e32 v17, v17
	v_add_u32_e32 v19, 51, v51
	v_cvt_f32_i32_e32 v19, v19
	v_fma_f32 v12, v50, v58, v12
	v_fmac_f32_e32 v13, v50, v26
	v_fma_f32 v36, v50, v16, v36
	v_mov_b32_e32 v16, 0xff7fffff
	v_cmp_gt_i32_e64 s[4:5], s29, v56
	v_fmac_f32_e32 v37, v50, v17
	v_fma_f32 v34, v50, v18, v34
	v_cndmask_b32_e64 v17, v16, v12, s[4:5]
	v_cndmask_b32_e64 v18, v16, v13, s[34:35]
	v_fmac_f32_e32 v35, v50, v19
	v_max3_f32 v17, v17, s33, v18
	v_or_b32_e32 v18, 2, v56
	v_or_b32_e32 v19, 3, v56
	v_fma_f32 v52, v50, v27, v52
	v_fmac_f32_e32 v53, v50, v28
	v_cmp_gt_i32_e64 s[36:37], s29, v18
	v_cmp_gt_i32_e64 s[38:39], s29, v19
	global_load_dwordx4 v[30:33], v[14:15], off
	global_load_dwordx4 v[26:29], v[14:15], off offset:16
	v_cndmask_b32_e64 v18, v16, v52, s[36:37]
	v_cndmask_b32_e64 v19, v16, v53, s[38:39]
	v_max3_f32 v17, v17, v18, v19
	v_or_b32_e32 v18, 16, v56
	v_or_b32_e32 v19, 17, v56
	v_cmp_gt_i32_e64 s[24:25], s29, v18
	v_cmp_gt_i32_e64 s[26:27], s29, v19
	s_nop 0
	v_cndmask_b32_e64 v18, v16, v48, s[24:25]
	v_cndmask_b32_e64 v19, v16, v49, s[26:27]
	v_max3_f32 v17, v17, v18, v19
	v_or_b32_e32 v18, 18, v56
	v_or_b32_e32 v19, 19, v56
	v_cmp_gt_i32_e64 s[20:21], s29, v18
	v_cmp_gt_i32_e64 s[22:23], s29, v19
	s_nop 0
	;; [unrolled: 8-line block ×5, first 2 shown]
	v_cndmask_b32_e64 v18, v16, v36, s[8:9]
	v_cndmask_b32_e64 v19, v16, v37, s[10:11]
	v_max3_f32 v17, v17, v18, v19
	v_or_b32_e32 v18, 50, v56
	v_or_b32_e32 v19, 51, v56
	v_cmp_gt_i32_e32 vcc, s29, v18
	v_cmp_gt_i32_e64 s[6:7], s29, v19
	s_nop 0
	v_cndmask_b32_e32 v18, v16, v34, vcc
	v_cndmask_b32_e64 v16, v16, v35, s[6:7]
	v_max3_f32 v16, v17, v18, v16
	v_mbcnt_lo_u32_b32 v17, -1, 0
	v_mbcnt_hi_u32_b32 v17, -1, v17
	v_and_b32_e32 v18, 64, v17
	v_add_u32_e32 v18, 64, v18
	v_xor_b32_e32 v19, 32, v17
	v_cmp_lt_i32_e64 s[40:41], v19, v18
	s_nop 1
	v_cndmask_b32_e64 v19, v17, v19, s[40:41]
	v_lshlrev_b32_e32 v56, 2, v19
	ds_bpermute_b32 v19, v56, v16
	s_waitcnt vmcnt(5)
	v_mad_i64_i32 v[14:15], s[40:41], v59, s45, 0
	v_lshl_add_u64 v[14:15], v[14:15], 1, v[10:11]
	s_waitcnt lgkmcnt(0)
	v_max_f32_e32 v19, v19, v19
	v_max_f32_e32 v16, v16, v19
	v_xor_b32_e32 v19, 16, v17
	v_cmp_lt_i32_e64 s[40:41], v19, v18
	s_nop 1
	v_cndmask_b32_e64 v17, v17, v19, s[40:41]
	v_lshlrev_b32_e32 v57, 2, v17
	ds_bpermute_b32 v17, v57, v16
	global_load_dwordx4 v[22:25], v[14:15], off
	global_load_dwordx4 v[18:21], v[14:15], off offset:16
	s_waitcnt vmcnt(6)
	v_mad_i64_i32 v[14:15], s[40:41], v60, s45, 0
	v_lshl_add_u64 v[10:11], v[14:15], 1, v[10:11]
	s_waitcnt lgkmcnt(0)
	v_max_f32_e32 v14, v17, v17
	v_max_f32_e32 v55, v16, v14
	v_sub_f32_e32 v12, v12, v55
	v_mul_f32_e32 v12, 0x3fb8aa3b, v12
	v_exp_f32_e32 v50, v12
	v_sub_f32_e32 v12, v13, v55
	v_mul_f32_e32 v12, 0x3fb8aa3b, v12
	v_exp_f32_e32 v51, v12
	global_load_dwordx4 v[14:17], v[10:11], off
	s_nop 0
	global_load_dwordx4 v[10:13], v[10:11], off offset:16
	v_sub_f32_e32 v52, v52, v55
	v_mul_f32_e32 v52, 0x3fb8aa3b, v52
	v_sub_f32_e32 v53, v53, v55
	v_exp_f32_e32 v52, v52
	v_mul_f32_e32 v53, 0x3fb8aa3b, v53
	v_sub_f32_e32 v48, v48, v55
	v_exp_f32_e32 v53, v53
	v_mul_f32_e32 v48, 0x3fb8aa3b, v48
	v_sub_f32_e32 v49, v49, v55
	v_cndmask_b32_e64 v50, 0, v50, s[4:5]
	v_exp_f32_e32 v48, v48
	v_mul_f32_e32 v49, 0x3fb8aa3b, v49
	v_sub_f32_e32 v46, v46, v55
	v_add_f32_e32 v58, 0, v50
	v_cndmask_b32_e64 v51, 0, v51, s[34:35]
	v_exp_f32_e32 v49, v49
	v_mul_f32_e32 v46, 0x3fb8aa3b, v46
	v_sub_f32_e32 v47, v47, v55
	v_add_f32_e32 v58, v58, v51
	;; [unrolled: 5-line block ×10, first 2 shown]
	v_cndmask_b32_e64 v38, 0, v38, s[12:13]
	v_exp_f32_e32 v34, v34
	v_mul_f32_e32 v35, 0x3fb8aa3b, v35
	v_add_f32_e32 v58, v58, v38
	v_cndmask_b32_e64 v39, 0, v39, s[14:15]
	v_exp_f32_e32 v35, v35
	v_add_f32_e32 v58, v58, v39
	v_cndmask_b32_e64 v36, 0, v36, s[8:9]
	v_add_f32_e32 v58, v58, v36
	v_cndmask_b32_e64 v37, 0, v37, s[10:11]
	v_add_f32_e32 v58, v58, v37
	v_cndmask_b32_e32 v34, 0, v34, vcc
	v_add_f32_e32 v58, v58, v34
	v_cndmask_b32_e64 v35, 0, v35, s[6:7]
	v_add_f32_e32 v58, v58, v35
	ds_bpermute_b32 v56, v56, v58
	s_load_dword s9, s[0:1], 0x98
	v_cmp_gt_u32_e64 s[6:7], 16, v45
	v_lshlrev_b32_e32 v45, 2, v44
	s_waitcnt lgkmcnt(0)
	v_add_f32_e32 v56, v58, v56
	ds_bpermute_b32 v57, v57, v56
	s_barrier
	s_waitcnt lgkmcnt(0)
	s_and_saveexec_b64 s[4:5], s[6:7]
	s_cbranch_execz .LBB544_17
; %bb.16:
	v_add_f32_e32 v56, v56, v57
	v_lshl_or_b32 v57, v1, 6, v45
	ds_write2st64_b32 v57, v55, v56 offset1:1
.LBB544_17:
	s_or_b64 exec, exec, s[4:5]
	s_load_dword s8, s[0:1], 0x94
	s_waitcnt lgkmcnt(0)
	s_barrier
	ds_read2_b32 v[56:57], v45 offset1:16
	ds_read2_b32 v[58:59], v45 offset0:32 offset1:48
	ds_read2_b32 v[60:61], v45 offset0:64 offset1:80
	;; [unrolled: 1-line block ×3, first 2 shown]
	s_movk_i32 s10, 0x7fff
	s_waitcnt lgkmcnt(3)
	v_max3_f32 v55, v56, s33, v57
	s_waitcnt lgkmcnt(2)
	v_max3_f32 v55, v55, v58, v59
	v_sub_f32_e32 v56, v56, v55
	v_mul_f32_e32 v56, 0x3fb8aa3b, v56
	v_exp_f32_e32 v64, v56
	v_sub_f32_e32 v56, v57, v55
	v_mul_f32_e32 v56, 0x3fb8aa3b, v56
	v_exp_f32_e32 v57, v56
	v_sub_f32_e32 v56, v58, v55
	v_mul_f32_e32 v56, 0x3fb8aa3b, v56
	v_sub_f32_e32 v45, v59, v55
	v_exp_f32_e32 v58, v56
	v_mul_f32_e32 v45, 0x3fb8aa3b, v45
	v_exp_f32_e32 v45, v45
	s_waitcnt lgkmcnt(1)
	v_fma_f32 v56, v64, v60, 0
	v_fmac_f32_e32 v56, v57, v61
	s_waitcnt lgkmcnt(0)
	v_fmac_f32_e32 v56, v58, v62
	v_fmac_f32_e32 v56, v45, v63
	v_add_f32_e32 v59, 0x358637bd, v56
	v_div_scale_f32 v60, s[4:5], v59, v59, 1.0
	v_rcp_f32_e32 v61, v60
	s_mov_b32 s11, 0x7060302
	s_mul_i32 s9, s9, 9
	v_fma_f32 v62, -v60, v61, 1.0
	v_fmac_f32_e32 v61, v62, v61
	v_div_scale_f32 v62, vcc, 1.0, v59, 1.0
	v_mul_f32_e32 v63, v62, v61
	v_fma_f32 v65, -v60, v63, v62
	v_fmac_f32_e32 v63, v65, v61
	v_fma_f32 v60, -v60, v63, v62
	v_div_fmas_f32 v60, v60, v61, v63
	v_cmp_eq_u32_e32 vcc, 1, v1
	v_div_fixup_f32 v59, v60, v59, 1.0
	s_barrier
	v_cndmask_b32_e32 v57, v64, v57, vcc
	v_cmp_eq_u32_e32 vcc, 2, v1
	s_nop 1
	v_cndmask_b32_e32 v57, v57, v58, vcc
	v_cmp_eq_u32_e32 vcc, 3, v1
	v_lshlrev_b32_e32 v1, 11, v1
	s_nop 0
	v_cndmask_b32_e32 v45, v57, v45, vcc
	v_mul_f32_e32 v58, v45, v59
	v_pk_mul_f32 v[50:51], v[58:59], v[50:51] op_sel_hi:[0,1]
	v_bfe_u32 v45, v51, 16, 1
	v_bfe_u32 v57, v50, 16, 1
	v_pk_mul_f32 v[52:53], v[58:59], v[52:53] op_sel_hi:[0,1]
	v_add3_u32 v50, v50, v57, s10
	v_add3_u32 v45, v51, v45, s10
	v_perm_b32 v60, v45, v50, s11
	v_bfe_u32 v45, v53, 16, 1
	v_bfe_u32 v50, v52, 16, 1
	v_add3_u32 v50, v52, v50, s10
	v_add3_u32 v45, v53, v45, s10
	v_perm_b32 v61, v45, v50, s11
	v_lshlrev_b32_e32 v45, 3, v54
	v_lshlrev_b32_e32 v50, 5, v44
	v_pk_mul_f32 v[48:49], v[58:59], v[48:49] op_sel_hi:[0,1]
	v_or3_b32 v1, v1, v50, v45
	v_bfe_u32 v45, v49, 16, 1
	v_bfe_u32 v51, v48, 16, 1
	v_pk_mul_f32 v[46:47], v[58:59], v[46:47] op_sel_hi:[0,1]
	v_add3_u32 v48, v48, v51, s10
	v_add3_u32 v45, v49, v45, s10
	v_perm_b32 v48, v45, v48, s11
	v_bfe_u32 v45, v47, 16, 1
	v_bfe_u32 v49, v46, 16, 1
	v_add3_u32 v46, v46, v49, s10
	v_add3_u32 v45, v47, v45, s10
	v_pk_mul_f32 v[40:41], v[58:59], v[40:41] op_sel_hi:[0,1]
	v_perm_b32 v49, v45, v46, s11
	v_bfe_u32 v45, v41, 16, 1
	v_bfe_u32 v46, v40, 16, 1
	v_pk_mul_f32 v[38:39], v[58:59], v[38:39] op_sel_hi:[0,1]
	v_add3_u32 v40, v40, v46, s10
	v_add3_u32 v41, v41, v45, s10
	v_perm_b32 v40, v41, v40, s11
	v_bfe_u32 v41, v39, 16, 1
	v_bfe_u32 v45, v38, 16, 1
	v_add3_u32 v38, v38, v45, s10
	v_add3_u32 v39, v39, v41, s10
	v_pk_mul_f32 v[36:37], v[58:59], v[36:37] op_sel_hi:[0,1]
	v_perm_b32 v41, v39, v38, s11
	v_bfe_u32 v38, v37, 16, 1
	v_bfe_u32 v39, v36, 16, 1
	v_pk_mul_f32 v[34:35], v[58:59], v[34:35] op_sel_hi:[0,1]
	v_add3_u32 v36, v36, v39, s10
	v_add3_u32 v37, v37, v38, s10
	v_perm_b32 v36, v37, v36, s11
	v_bfe_u32 v37, v35, 16, 1
	v_bfe_u32 v38, v34, 16, 1
	v_add3_u32 v34, v34, v38, s10
	v_add3_u32 v35, v35, v37, s10
	v_perm_b32 v37, v35, v34, s11
	v_cmp_gt_u32_e32 vcc, 9, v0
	ds_write2st64_b64 v1, v[60:61], v[48:49] offset1:1
	ds_write2st64_b64 v1, v[40:41], v[36:37] offset0:2 offset1:3
	s_and_saveexec_b64 s[4:5], vcc
	s_cbranch_execz .LBB544_19
; %bb.18:
	s_mov_b32 s43, 0
	v_mov_b32_e32 v45, 0
	v_lshl_add_u64 v[34:35], s[42:43], 0, v[44:45]
	v_mov_b32_e32 v36, s9
	v_mad_u64_u32 v[34:35], s[16:17], s2, v36, v[34:35]
	s_mul_i32 s3, s3, s9
	v_mov_b32_e32 v44, s28
	s_load_dwordx4 s[12:15], s[0:1], 0x58
	v_add_u32_e32 v37, s3, v35
	v_mad_u64_u32 v[34:35], s[16:17], v34, s8, v[44:45]
	v_mov_b32_e32 v36, v35
	v_mad_u64_u32 v[36:37], s[16:17], v37, s8, v[36:37]
	v_mov_b32_e32 v35, v36
	v_lshlrev_b64 v[34:35], 2, v[34:35]
	s_waitcnt lgkmcnt(0)
	v_lshl_add_u64 v[36:37], s[14:15], 0, v[34:35]
	v_lshl_add_u64 v[34:35], s[12:13], 0, v[34:35]
	global_store_dword v[36:37], v55, off
	global_store_dword v[34:35], v56, off
.LBB544_19:
	s_or_b64 exec, exec, s[4:5]
	v_lshl_or_b32 v48, v54, 9, v50
	s_waitcnt lgkmcnt(0)
	s_barrier
	ds_read_b128 v[34:37], v48
	ds_read_b128 v[38:41], v48 offset:16
	s_waitcnt vmcnt(7) lgkmcnt(1)
	v_mfma_f32_16x16x16_bf16 v[44:47], v[6:7], v[34:35], 0
	v_cmp_gt_u32_e32 vcc, 64, v0
	s_mov_b32 s3, 0
	s_and_b64 s[4:5], vcc, s[30:31]
	v_mfma_f32_16x16x16_bf16 v[6:9], v[8:9], v[36:37], v[44:47]
	s_waitcnt vmcnt(6) lgkmcnt(0)
	v_mfma_f32_16x16x16_bf16 v[6:9], v[2:3], v[38:39], v[6:9]
	v_mfma_f32_16x16x16_bf16 v[2:5], v[4:5], v[40:41], v[6:9]
	s_nop 5
	ds_read_b128 v[6:9], v48 offset:2048
	ds_read_b128 v[34:37], v48 offset:2064
	s_waitcnt vmcnt(5) lgkmcnt(1)
	v_mfma_f32_16x16x16_bf16 v[2:5], v[30:31], v[6:7], v[2:5]
	v_mfma_f32_16x16x16_bf16 v[2:5], v[32:33], v[8:9], v[2:5]
	s_waitcnt vmcnt(4) lgkmcnt(0)
	v_mfma_f32_16x16x16_bf16 v[2:5], v[26:27], v[34:35], v[2:5]
	v_mfma_f32_16x16x16_bf16 v[2:5], v[28:29], v[36:37], v[2:5]
	ds_read_b128 v[6:9], v48 offset:4096
	ds_read_b128 v[26:29], v48 offset:4112
	s_waitcnt vmcnt(3) lgkmcnt(1)
	v_mfma_f32_16x16x16_bf16 v[2:5], v[22:23], v[6:7], v[2:5]
	v_mfma_f32_16x16x16_bf16 v[2:5], v[24:25], v[8:9], v[2:5]
	s_waitcnt vmcnt(2) lgkmcnt(0)
	v_mfma_f32_16x16x16_bf16 v[2:5], v[18:19], v[26:27], v[2:5]
	v_mfma_f32_16x16x16_bf16 v[2:5], v[20:21], v[28:29], v[2:5]
	ds_read_b128 v[6:9], v48 offset:6144
	ds_read_b128 v[18:21], v48 offset:6160
	s_waitcnt lgkmcnt(0)
	s_barrier
	s_waitcnt vmcnt(1)
	v_mfma_f32_16x16x16_bf16 v[2:5], v[14:15], v[6:7], v[2:5]
	v_mfma_f32_16x16x16_bf16 v[2:5], v[16:17], v[8:9], v[2:5]
	s_waitcnt vmcnt(0)
	v_mfma_f32_16x16x16_bf16 v[2:5], v[10:11], v[18:19], v[2:5]
	v_mfma_f32_16x16x16_bf16 v[2:5], v[12:13], v[20:21], v[2:5]
	s_nop 6
	v_bfe_u32 v6, v3, 16, 1
	v_bfe_u32 v7, v2, 16, 1
	;; [unrolled: 1-line block ×4, first 2 shown]
	v_add3_u32 v2, v2, v7, s10
	v_add3_u32 v3, v3, v6, s10
	;; [unrolled: 1-line block ×4, first 2 shown]
	v_perm_b32 v2, v3, v2, s11
	v_perm_b32 v3, v5, v4, s11
	ds_write_b64 v1, v[2:3]
	s_waitcnt lgkmcnt(0)
	s_barrier
	s_and_saveexec_b64 s[10:11], s[4:5]
	s_cbranch_execz .LBB544_22
; %bb.20:
	s_load_dwordx2 s[4:5], s[0:1], 0x68
	s_lshl_b32 s0, s8, 6
	s_mul_i32 s1, s9, s2
	s_mul_hi_u32 s9, s1, s0
	s_mul_i32 s8, s1, s0
	v_lshlrev_b32_e32 v1, 10, v0
	v_lshlrev_b32_e32 v0, 4, v0
	s_lshl_b64 s[8:9], s[8:9], 1
	v_and_b32_e32 v1, 0x1800, v1
	v_lshlrev_b32_e32 v2, 5, v54
	v_and_b32_e32 v0, 16, v0
	s_waitcnt lgkmcnt(0)
	s_add_u32 s1, s4, s8
	v_or3_b32 v2, v1, v2, v0
	s_addc_u32 s4, s5, s9
	s_lshl_b32 s2, s28, 6
	s_lshl_b64 s[2:3], s[2:3], 1
	ds_read_b128 v[4:7], v2 offset:128
	ds_read_b128 v[8:11], v2
	s_add_u32 s2, s1, s2
	s_addc_u32 s3, s4, s3
	v_add_u32_e32 v3, s42, v54
	v_lshl_add_u64 v[0:1], v[42:43], 1, s[2:3]
	v_mad_u64_u32 v[12:13], s[2:3], v3, s0, 0
	v_lshl_add_u64 v[12:13], v[12:13], 1, v[0:1]
	v_add_u32_e32 v3, 4, v3
	s_waitcnt lgkmcnt(0)
	global_store_dwordx4 v[12:13], v[8:11], off
	s_nop 1
	v_mad_u64_u32 v[8:9], s[2:3], v3, s0, 0
	v_lshl_add_u64 v[8:9], v[8:9], 1, v[0:1]
	global_store_dwordx4 v[8:9], v[4:7], off
	s_and_b64 exec, exec, s[6:7]
	s_cbranch_execz .LBB544_22
; %bb.21:
	ds_read_b128 v[2:5], v2 offset:256
	v_add3_u32 v6, s42, v54, 8
	v_mad_u64_u32 v[6:7], s[0:1], v6, s0, 0
	v_lshl_add_u64 v[0:1], v[6:7], 1, v[0:1]
	s_waitcnt lgkmcnt(0)
	global_store_dwordx4 v[0:1], v[2:5], off
.LBB544_22:
	s_endpgm
	.section	.rodata,"a",@progbits
	.p2align	6, 0x0
	.amdhsa_kernel _Z39paged_attention_ll4mi_QKV_mfma16_kernelI14__hip_bfloat16S0_LN4vllm18Fp8KVCacheDataTypeE0ES0_Li32ELi64ELi256ELb1ELi9EEvPKT_PKT0_S8_ifPKiSA_SA_iPKfiiiPfSD_PS3_PT2_iSC_SC_
		.amdhsa_group_segment_fixed_size 8192
		.amdhsa_private_segment_fixed_size 0
		.amdhsa_kernarg_size 400
		.amdhsa_user_sgpr_count 2
		.amdhsa_user_sgpr_dispatch_ptr 0
		.amdhsa_user_sgpr_queue_ptr 0
		.amdhsa_user_sgpr_kernarg_segment_ptr 1
		.amdhsa_user_sgpr_dispatch_id 0
		.amdhsa_user_sgpr_kernarg_preload_length 0
		.amdhsa_user_sgpr_kernarg_preload_offset 0
		.amdhsa_user_sgpr_private_segment_size 0
		.amdhsa_uses_dynamic_stack 0
		.amdhsa_enable_private_segment 0
		.amdhsa_system_sgpr_workgroup_id_x 1
		.amdhsa_system_sgpr_workgroup_id_y 1
		.amdhsa_system_sgpr_workgroup_id_z 1
		.amdhsa_system_sgpr_workgroup_info 0
		.amdhsa_system_vgpr_workitem_id 0
		.amdhsa_next_free_vgpr 73
		.amdhsa_next_free_sgpr 48
		.amdhsa_accum_offset 76
		.amdhsa_reserve_vcc 1
		.amdhsa_float_round_mode_32 0
		.amdhsa_float_round_mode_16_64 0
		.amdhsa_float_denorm_mode_32 3
		.amdhsa_float_denorm_mode_16_64 3
		.amdhsa_dx10_clamp 1
		.amdhsa_ieee_mode 1
		.amdhsa_fp16_overflow 0
		.amdhsa_tg_split 0
		.amdhsa_exception_fp_ieee_invalid_op 0
		.amdhsa_exception_fp_denorm_src 0
		.amdhsa_exception_fp_ieee_div_zero 0
		.amdhsa_exception_fp_ieee_overflow 0
		.amdhsa_exception_fp_ieee_underflow 0
		.amdhsa_exception_fp_ieee_inexact 0
		.amdhsa_exception_int_div_zero 0
	.end_amdhsa_kernel
	.section	.text._Z39paged_attention_ll4mi_QKV_mfma16_kernelI14__hip_bfloat16S0_LN4vllm18Fp8KVCacheDataTypeE0ES0_Li32ELi64ELi256ELb1ELi9EEvPKT_PKT0_S8_ifPKiSA_SA_iPKfiiiPfSD_PS3_PT2_iSC_SC_,"axG",@progbits,_Z39paged_attention_ll4mi_QKV_mfma16_kernelI14__hip_bfloat16S0_LN4vllm18Fp8KVCacheDataTypeE0ES0_Li32ELi64ELi256ELb1ELi9EEvPKT_PKT0_S8_ifPKiSA_SA_iPKfiiiPfSD_PS3_PT2_iSC_SC_,comdat
.Lfunc_end544:
	.size	_Z39paged_attention_ll4mi_QKV_mfma16_kernelI14__hip_bfloat16S0_LN4vllm18Fp8KVCacheDataTypeE0ES0_Li32ELi64ELi256ELb1ELi9EEvPKT_PKT0_S8_ifPKiSA_SA_iPKfiiiPfSD_PS3_PT2_iSC_SC_, .Lfunc_end544-_Z39paged_attention_ll4mi_QKV_mfma16_kernelI14__hip_bfloat16S0_LN4vllm18Fp8KVCacheDataTypeE0ES0_Li32ELi64ELi256ELb1ELi9EEvPKT_PKT0_S8_ifPKiSA_SA_iPKfiiiPfSD_PS3_PT2_iSC_SC_
                                        ; -- End function
	.section	.AMDGPU.csdata,"",@progbits
; Kernel info:
; codeLenInByte = 4436
; NumSgprs: 54
; NumVgprs: 73
; NumAgprs: 0
; TotalNumVgprs: 73
; ScratchSize: 0
; MemoryBound: 0
; FloatMode: 240
; IeeeMode: 1
; LDSByteSize: 8192 bytes/workgroup (compile time only)
; SGPRBlocks: 6
; VGPRBlocks: 9
; NumSGPRsForWavesPerEU: 54
; NumVGPRsForWavesPerEU: 73
; AccumOffset: 76
; Occupancy: 6
; WaveLimiterHint : 1
; COMPUTE_PGM_RSRC2:SCRATCH_EN: 0
; COMPUTE_PGM_RSRC2:USER_SGPR: 2
; COMPUTE_PGM_RSRC2:TRAP_HANDLER: 0
; COMPUTE_PGM_RSRC2:TGID_X_EN: 1
; COMPUTE_PGM_RSRC2:TGID_Y_EN: 1
; COMPUTE_PGM_RSRC2:TGID_Z_EN: 1
; COMPUTE_PGM_RSRC2:TIDIG_COMP_CNT: 0
; COMPUTE_PGM_RSRC3_GFX90A:ACCUM_OFFSET: 18
; COMPUTE_PGM_RSRC3_GFX90A:TG_SPLIT: 0
	.section	.text._Z39paged_attention_ll4mi_QKV_mfma16_kernelI14__hip_bfloat16S0_LN4vllm18Fp8KVCacheDataTypeE0ES0_Li32ELi64ELi256ELb1ELi10EEvPKT_PKT0_S8_ifPKiSA_SA_iPKfiiiPfSD_PS3_PT2_iSC_SC_,"axG",@progbits,_Z39paged_attention_ll4mi_QKV_mfma16_kernelI14__hip_bfloat16S0_LN4vllm18Fp8KVCacheDataTypeE0ES0_Li32ELi64ELi256ELb1ELi10EEvPKT_PKT0_S8_ifPKiSA_SA_iPKfiiiPfSD_PS3_PT2_iSC_SC_,comdat
	.protected	_Z39paged_attention_ll4mi_QKV_mfma16_kernelI14__hip_bfloat16S0_LN4vllm18Fp8KVCacheDataTypeE0ES0_Li32ELi64ELi256ELb1ELi10EEvPKT_PKT0_S8_ifPKiSA_SA_iPKfiiiPfSD_PS3_PT2_iSC_SC_ ; -- Begin function _Z39paged_attention_ll4mi_QKV_mfma16_kernelI14__hip_bfloat16S0_LN4vllm18Fp8KVCacheDataTypeE0ES0_Li32ELi64ELi256ELb1ELi10EEvPKT_PKT0_S8_ifPKiSA_SA_iPKfiiiPfSD_PS3_PT2_iSC_SC_
	.globl	_Z39paged_attention_ll4mi_QKV_mfma16_kernelI14__hip_bfloat16S0_LN4vllm18Fp8KVCacheDataTypeE0ES0_Li32ELi64ELi256ELb1ELi10EEvPKT_PKT0_S8_ifPKiSA_SA_iPKfiiiPfSD_PS3_PT2_iSC_SC_
	.p2align	8
	.type	_Z39paged_attention_ll4mi_QKV_mfma16_kernelI14__hip_bfloat16S0_LN4vllm18Fp8KVCacheDataTypeE0ES0_Li32ELi64ELi256ELb1ELi10EEvPKT_PKT0_S8_ifPKiSA_SA_iPKfiiiPfSD_PS3_PT2_iSC_SC_,@function
_Z39paged_attention_ll4mi_QKV_mfma16_kernelI14__hip_bfloat16S0_LN4vllm18Fp8KVCacheDataTypeE0ES0_Li32ELi64ELi256ELb1ELi10EEvPKT_PKT0_S8_ifPKiSA_SA_iPKfiiiPfSD_PS3_PT2_iSC_SC_: ; @_Z39paged_attention_ll4mi_QKV_mfma16_kernelI14__hip_bfloat16S0_LN4vllm18Fp8KVCacheDataTypeE0ES0_Li32ELi64ELi256ELb1ELi10EEvPKT_PKT0_S8_ifPKiSA_SA_iPKfiiiPfSD_PS3_PT2_iSC_SC_
; %bb.0:
	s_load_dwordx2 s[6:7], s[0:1], 0x30
	s_mov_b32 s28, s3
	s_mov_b64 s[8:9], 0
	s_waitcnt lgkmcnt(0)
	s_cmp_lg_u64 s[6:7], 0
	s_cselect_b64 s[10:11], -1, 0
	s_and_b64 vcc, exec, s[10:11]
	s_cbranch_vccz .LBB545_7
; %bb.1:
	s_add_i32 s12, s2, 1
	s_mov_b32 s13, 0
	s_lshl_b64 s[14:15], s[12:13], 2
	s_add_u32 s14, s6, s14
	s_mov_b32 s3, s13
	s_addc_u32 s15, s7, s15
	s_lshl_b64 s[12:13], s[2:3], 2
	s_add_u32 s12, s6, s12
	s_addc_u32 s13, s7, s13
	s_load_dword s5, s[14:15], 0x0
	s_load_dword s16, s[12:13], 0x0
	s_waitcnt lgkmcnt(0)
	s_sub_i32 s5, s5, s16
	s_cmp_eq_u32 s5, 1
	s_cselect_b64 s[12:13], -1, 0
	s_andn2_b64 vcc, exec, s[8:9]
	s_cbranch_vccnz .LBB545_3
.LBB545_2:
	s_mov_b32 s3, 0
	s_mov_b64 s[12:13], -1
.LBB545_3:
	s_andn2_b64 vcc, exec, s[12:13]
	s_cbranch_vccnz .LBB545_22
; %bb.4:
	s_load_dwordx2 s[8:9], s[0:1], 0x28
	s_lshl_b64 s[12:13], s[2:3], 2
	s_waitcnt lgkmcnt(0)
	s_add_u32 s8, s8, s12
	s_addc_u32 s9, s9, s13
	s_load_dword s29, s[8:9], 0x0
	s_lshl_b32 s14, s28, 8
	s_waitcnt lgkmcnt(0)
	s_cmp_ge_i32 s14, s29
	s_cbranch_scc1 .LBB545_22
; %bb.5:
	s_load_dwordx2 s[8:9], s[0:1], 0x20
	s_load_dword s5, s[0:1], 0x38
	s_add_i32 s15, s29, 31
	s_ashr_i32 s16, s15, 31
	v_and_b32_e32 v1, 0xcf, v0
	s_lshr_b32 s16, s16, 27
	v_add_u32_e32 v1, s14, v1
	s_add_i32 s15, s15, s16
	v_ashrrev_i32_e32 v2, 31, v1
	s_ashr_i32 s15, s15, 5
	v_lshrrev_b32_e32 v6, 27, v2
	s_add_i32 s15, s15, -1
	s_waitcnt lgkmcnt(0)
	s_mul_i32 s16, s2, s5
	s_mov_b32 s17, 0
	v_add_u32_e32 v2, v1, v6
	s_lshl_b64 s[16:17], s[16:17], 2
	v_ashrrev_i32_e32 v2, 5, v2
	v_mov_b32_e32 v7, s15
	v_cmp_gt_i32_e32 vcc, s29, v1
	s_add_u32 s8, s8, s16
	s_addc_u32 s9, s9, s17
	v_cndmask_b32_e32 v2, v7, v2, vcc
	v_ashrrev_i32_e32 v3, 31, v2
	v_lshl_add_u64 v[4:5], v[2:3], 2, s[8:9]
	v_or_b32_e32 v2, 16, v1
	v_add_u32_e32 v3, v2, v6
	v_ashrrev_i32_e32 v3, 5, v3
	v_cmp_gt_i32_e32 vcc, s29, v2
	s_nop 1
	v_cndmask_b32_e32 v2, v7, v3, vcc
	v_ashrrev_i32_e32 v3, 31, v2
	v_lshl_add_u64 v[8:9], v[2:3], 2, s[8:9]
	v_or_b32_e32 v2, 32, v1
	v_add_u32_e32 v3, v2, v6
	v_ashrrev_i32_e32 v3, 5, v3
	v_cmp_gt_i32_e32 vcc, s29, v2
	v_or_b32_e32 v1, 48, v1
	s_nop 0
	v_cndmask_b32_e32 v2, v7, v3, vcc
	v_ashrrev_i32_e32 v3, 31, v2
	v_lshl_add_u64 v[12:13], v[2:3], 2, s[8:9]
	v_add_u32_e32 v2, v1, v6
	v_ashrrev_i32_e32 v2, 5, v2
	v_cmp_gt_i32_e32 vcc, s29, v1
	s_nop 1
	v_cndmask_b32_e32 v2, v7, v2, vcc
	v_ashrrev_i32_e32 v3, 31, v2
	v_lshl_add_u64 v[16:17], v[2:3], 2, s[8:9]
	global_load_dword v2, v[4:5], off
	global_load_dword v6, v[8:9], off
	;; [unrolled: 1-line block ×4, first 2 shown]
	s_andn2_b64 vcc, exec, s[10:11]
	s_cbranch_vccnz .LBB545_8
; %bb.6:
	s_add_u32 s6, s6, s12
	s_addc_u32 s7, s7, s13
	s_load_dword s5, s[6:7], 0x0
	s_branch .LBB545_9
.LBB545_7:
	s_mov_b64 s[12:13], 0
	s_branch .LBB545_2
.LBB545_8:
	s_mov_b32 s5, s2
.LBB545_9:
	s_load_dwordx2 s[10:11], s[0:1], 0x8
	s_load_dwordx4 s[44:47], s[0:1], 0x48
	v_lshrrev_b32_e32 v1, 6, v0
	v_bfe_u32 v54, v0, 4, 2
	v_lshl_or_b32 v3, v1, 2, v54
	v_and_b32_e32 v44, 15, v0
	v_cmp_lt_u32_e32 vcc, 9, v3
	v_cmp_lt_u32_e64 s[6:7], 7, v44
	v_lshlrev_b32_e32 v42, 3, v44
	v_cmp_gt_u32_e64 s[30:31], 8, v44
	s_or_b64 s[6:7], s[6:7], vcc
	s_and_saveexec_b64 s[12:13], s[6:7]
	s_xor_b64 s[6:7], exec, s[12:13]
; %bb.10:
	v_mov_b32_e32 v43, 0
                                        ; implicit-def: $vgpr3
; %bb.11:
	s_or_saveexec_b64 s[12:13], s[6:7]
	s_load_dwordx2 s[6:7], s[0:1], 0x10
	s_mul_i32 s42, s4, 10
	s_xor_b64 exec, exec, s[12:13]
	s_cbranch_execz .LBB545_13
; %bb.12:
	s_load_dwordx2 s[16:17], s[0:1], 0x0
	s_waitcnt lgkmcnt(0)
	s_ashr_i32 s18, s44, 31
	s_mul_hi_u32 s19, s5, s44
	s_mul_i32 s18, s5, s18
	s_add_i32 s19, s19, s18
	s_mul_i32 s18, s5, s44
	s_lshl_b64 s[18:19], s[18:19], 1
	s_add_u32 s16, s16, s18
	v_add_lshl_u32 v4, v3, s42, 6
	s_addc_u32 s17, s17, s19
	v_ashrrev_i32_e32 v5, 31, v4
	v_mov_b32_e32 v43, 0
	v_lshl_add_u64 v[4:5], v[4:5], 1, s[16:17]
	v_lshlrev_b32_e32 v8, 1, v42
	v_mov_b32_e32 v9, v43
	v_lshl_add_u64 v[4:5], v[4:5], 0, v[8:9]
	global_load_dwordx4 v[16:19], v[4:5], off
	v_and_b32_e32 v4, 3, v0
	v_lshlrev_b32_e32 v5, 9, v44
	v_lshlrev_b32_e32 v3, 5, v3
	;; [unrolled: 1-line block ×3, first 2 shown]
	v_and_b32_e32 v5, 0x1800, v5
	v_or3_b32 v3, v5, v4, v3
	s_waitcnt vmcnt(0)
	ds_write_b128 v3, v[16:19]
.LBB545_13:
	s_or_b64 exec, exec, s[12:13]
	s_waitcnt lgkmcnt(0)
	s_mul_i32 s4, s4, s46
	s_mov_b32 s5, 0
	s_lshl_b64 s[4:5], s[4:5], 1
	s_add_u32 s10, s10, s4
	s_addc_u32 s11, s11, s5
	s_waitcnt vmcnt(3)
	v_mad_i64_i32 v[2:3], s[12:13], v2, s45, 0
	v_lshl_add_u64 v[2:3], v[2:3], 1, s[10:11]
	v_lshlrev_b64 v[12:13], 1, v[42:43]
	v_lshlrev_b32_e32 v46, 9, v54
	v_lshl_add_u64 v[2:3], v[2:3], 0, v[12:13]
	v_mov_b32_e32 v47, 0
	v_lshl_add_u64 v[8:9], v[2:3], 0, v[46:47]
	s_barrier
	global_load_dwordx4 v[22:25], v[8:9], off
	global_load_dwordx4 v[2:5], v[8:9], off offset:2048
	s_waitcnt vmcnt(4)
	v_mad_i64_i32 v[6:7], s[12:13], v6, s45, 0
	v_mov_b32_e32 v8, 0x100
	v_lshl_add_u64 v[6:7], v[6:7], 1, s[10:11]
	v_lshl_or_b32 v16, v44, 4, v8
	v_mov_b32_e32 v17, v47
	s_waitcnt vmcnt(3)
	v_mad_i64_i32 v[10:11], s[12:13], v10, s45, 0
	v_lshl_add_u64 v[6:7], v[6:7], 0, v[16:17]
	v_lshl_add_u64 v[10:11], v[10:11], 1, s[10:11]
	s_waitcnt vmcnt(2)
	v_mad_i64_i32 v[14:15], s[12:13], v14, s45, 0
	v_lshl_add_u64 v[18:19], v[6:7], 0, v[46:47]
	v_lshl_add_u64 v[10:11], v[10:11], 0, v[12:13]
	;; [unrolled: 1-line block ×3, first 2 shown]
	global_load_dwordx4 v[26:29], v[18:19], off
	global_load_dwordx4 v[6:9], v[18:19], off offset:2048
	v_lshl_add_u64 v[18:19], v[10:11], 0, v[46:47]
	v_lshl_add_u64 v[14:15], v[14:15], 0, v[16:17]
	global_load_dwordx4 v[30:33], v[18:19], off
	global_load_dwordx4 v[10:13], v[18:19], off offset:2048
	v_lshl_add_u64 v[18:19], v[14:15], 0, v[46:47]
	global_load_dwordx4 v[34:37], v[18:19], off
	global_load_dwordx4 v[14:17], v[18:19], off offset:2048
	v_add_u32_e32 v18, -10, v44
	v_cmp_gt_u32_e32 vcc, 10, v44
	v_and_b32_e32 v45, 63, v0
	v_mov_b32_e32 v50, 0
	v_cndmask_b32_e32 v18, v18, v44, vcc
	v_lshl_add_u32 v18, v18, 5, v46
	ds_read_b128 v[38:41], v18
	ds_read_b128 v[18:21], v18 offset:2048
	s_and_saveexec_b64 s[10:11], vcc
	s_cbranch_execz .LBB545_15
; %bb.14:
	s_load_dwordx2 s[12:13], s[0:1], 0x40
	v_add_u32_e32 v48, s42, v44
	v_ashrrev_i32_e32 v49, 31, v48
	s_waitcnt lgkmcnt(0)
	v_lshl_add_u64 v[48:49], v[48:49], 2, s[12:13]
	global_load_dword v50, v[48:49], off
.LBB545_15:
	s_or_b64 exec, exec, s[10:11]
	s_ashr_i32 s10, s14, 31
	v_and_or_b32 v46, v0, 48, s14
	s_lshr_b32 s11, s10, 27
	v_add_u32_e32 v48, s11, v46
	v_or_b32_e32 v52, 64, v46
	v_ashrrev_i32_e32 v48, 5, v48
	v_mov_b32_e32 v51, s15
	v_cmp_gt_i32_e32 vcc, s29, v46
	v_add_u32_e32 v53, s11, v52
	s_waitcnt vmcnt(7) lgkmcnt(1)
	v_mfma_f32_16x16x16_bf16 v[56:59], v[22:23], v[38:39], 0
	v_cndmask_b32_e32 v48, v51, v48, vcc
	v_ashrrev_i32_e32 v22, 5, v53
	v_cmp_gt_i32_e32 vcc, s29, v52
	v_ashrrev_i32_e32 v49, 31, v48
	v_lshl_add_u64 v[48:49], v[48:49], 2, s[8:9]
	v_cndmask_b32_e32 v22, v51, v22, vcc
	v_ashrrev_i32_e32 v23, 31, v22
	v_lshl_add_u64 v[22:23], v[22:23], 2, s[8:9]
	global_load_dword v55, v[48:49], off
	global_load_dword v72, v[22:23], off
	s_waitcnt vmcnt(3)
	v_mfma_f32_16x16x16_bf16 v[68:71], v[34:35], v[38:39], 0
	v_or_b32_e32 v48, 0xc0, v46
	v_add_u32_e32 v52, s11, v48
	s_add_u32 s4, s6, s4
	v_mfma_f32_16x16x16_bf16 v[60:63], v[26:27], v[38:39], 0
	s_addc_u32 s5, s7, s5
	s_load_dword s10, s[0:1], 0x1c
	s_mov_b32 s33, 0xff7fffff
	v_mfma_f32_16x16x16_bf16 v[64:67], v[30:31], v[38:39], 0
	v_and_b32_e32 v31, 0xc0, v0
	v_or_b32_e32 v38, 0x80, v46
	v_add_u32_e32 v34, s14, v31
	v_mfma_f32_16x16x16_bf16 v[22:25], v[24:25], v[40:41], v[56:59]
	v_and_b32_e32 v30, 16, v0
	v_add_u32_e32 v49, s11, v38
	v_lshlrev_b32_e32 v46, 1, v30
	v_lshl_or_b32 v56, v54, 2, v34
	v_mfma_f32_16x16x16_bf16 v[34:37], v[36:37], v[40:41], v[68:71]
	v_cmp_gt_i32_e32 vcc, s29, v38
	v_lshlrev_b32_e32 v39, 6, v44
	v_or_b32_e32 v57, 1, v56
	v_mfma_f32_16x16x16_bf16 v[26:29], v[28:29], v[40:41], v[60:63]
	v_cmp_gt_i32_e64 s[34:35], s29, v57
	v_mfma_f32_16x16x16_bf16 v[30:33], v[32:33], v[40:41], v[64:67]
	v_ashrrev_i32_e32 v40, 5, v49
	v_ashrrev_i32_e32 v41, 5, v52
	v_cndmask_b32_e32 v38, v51, v40, vcc
	v_cmp_gt_i32_e32 vcc, s29, v48
	s_waitcnt lgkmcnt(0)
	v_mfma_f32_16x16x16_bf16 v[22:25], v[2:3], v[18:19], v[22:25]
	v_lshl_add_u64 v[2:3], s[4:5], 0, v[46:47]
	v_cndmask_b32_e32 v40, v51, v41, vcc
	v_lshl_or_b32 v46, v1, 10, v39
	v_ashrrev_i32_e32 v39, 31, v38
	v_ashrrev_i32_e32 v41, 31, v40
	s_waitcnt vmcnt(2)
	v_mfma_f32_16x16x16_bf16 v[34:37], v[14:15], v[18:19], v[34:37]
	v_lshl_add_u64 v[14:15], v[38:39], 2, s[8:9]
	v_subrev_u32_e32 v51, s29, v57
	v_cvt_f32_i32_e32 v58, v51
	v_mfma_f32_16x16x16_bf16 v[26:29], v[6:7], v[18:19], v[26:29]
	v_mfma_f32_16x16x16_bf16 v[30:33], v[10:11], v[18:19], v[30:33]
	v_lshl_add_u64 v[18:19], v[40:41], 2, s[8:9]
	global_load_dword v59, v[14:15], off
	global_load_dword v60, v[18:19], off
	v_lshl_add_u64 v[10:11], v[2:3], 0, v[46:47]
	v_mfma_f32_16x16x16_bf16 v[2:5], v[4:5], v[20:21], v[22:25]
	v_add_u32_e32 v46, 1, v51
	v_add_u32_e32 v47, 3, v51
	;; [unrolled: 1-line block ×3, first 2 shown]
	v_mfma_f32_16x16x16_bf16 v[14:17], v[16:17], v[20:21], v[34:37]
	v_add_u32_e32 v22, 2, v51
	s_nop 1
	v_pk_mul_f32 v[52:53], s[10:11], v[4:5] op_sel_hi:[0,1]
	v_cvt_f32_i32_e32 v18, v18
	v_mfma_f32_16x16x16_bf16 v[6:9], v[8:9], v[20:21], v[26:29]
	v_add_u32_e32 v19, 19, v51
	v_pk_mul_f32 v[34:35], s[10:11], v[16:17] op_sel_hi:[0,1]
	v_pk_mul_f32 v[36:37], s[10:11], v[14:15] op_sel_hi:[0,1]
	v_cvt_f32_i32_e32 v27, v22
	v_mfma_f32_16x16x16_bf16 v[22:25], v[12:13], v[20:21], v[30:33]
	v_pk_mul_f32 v[12:13], s[10:11], v[2:3] op_sel_hi:[0,1]
	v_cvt_f32_i32_e32 v26, v46
	v_cvt_f32_i32_e32 v28, v47
	v_pk_mul_f32 v[46:47], s[10:11], v[8:9] op_sel_hi:[0,1]
	v_pk_mul_f32 v[48:49], s[10:11], v[6:7] op_sel_hi:[0,1]
	v_cvt_f32_i32_e32 v19, v19
	v_fma_f32 v46, v50, v18, v46
	v_add_u32_e32 v18, 34, v51
	v_cvt_f32_i32_e32 v18, v18
	v_fmac_f32_e32 v47, v50, v19
	v_add_u32_e32 v19, 35, v51
	v_cvt_f32_i32_e32 v19, v19
	v_pk_mul_f32 v[40:41], s[10:11], v[22:23] op_sel_hi:[0,1]
	v_pk_mul_f32 v[38:39], s[10:11], v[24:25] op_sel_hi:[0,1]
	v_fma_f32 v38, v50, v18, v38
	v_add_u32_e32 v18, 50, v51
	s_waitcnt vmcnt(3)
	v_mad_i64_i32 v[2:3], s[4:5], v55, s45, 0
	s_waitcnt vmcnt(2)
	v_mad_i64_i32 v[4:5], s[4:5], v72, s45, 0
	v_lshl_add_u64 v[16:17], v[2:3], 1, v[10:11]
	v_lshl_add_u64 v[14:15], v[4:5], 1, v[10:11]
	global_load_dwordx4 v[6:9], v[16:17], off
	global_load_dwordx4 v[2:5], v[16:17], off offset:16
	v_add_u32_e32 v16, 16, v51
	v_cvt_f32_i32_e32 v16, v16
	v_add_u32_e32 v17, 17, v51
	v_cvt_f32_i32_e32 v17, v17
	v_fmac_f32_e32 v39, v50, v19
	v_fma_f32 v48, v50, v16, v48
	v_add_u32_e32 v16, 32, v51
	v_fmac_f32_e32 v49, v50, v17
	v_cvt_f32_i32_e32 v16, v16
	v_add_u32_e32 v17, 33, v51
	v_cvt_f32_i32_e32 v17, v17
	v_cvt_f32_i32_e32 v18, v18
	v_fma_f32 v40, v50, v16, v40
	v_add_u32_e32 v16, 48, v51
	v_fmac_f32_e32 v41, v50, v17
	v_cvt_f32_i32_e32 v16, v16
	v_add_u32_e32 v17, 49, v51
	v_cvt_f32_i32_e32 v17, v17
	v_add_u32_e32 v19, 51, v51
	v_cvt_f32_i32_e32 v19, v19
	v_fma_f32 v12, v50, v58, v12
	v_fmac_f32_e32 v13, v50, v26
	v_fma_f32 v36, v50, v16, v36
	v_mov_b32_e32 v16, 0xff7fffff
	v_cmp_gt_i32_e64 s[4:5], s29, v56
	v_fmac_f32_e32 v37, v50, v17
	v_fma_f32 v34, v50, v18, v34
	v_cndmask_b32_e64 v17, v16, v12, s[4:5]
	v_cndmask_b32_e64 v18, v16, v13, s[34:35]
	v_fmac_f32_e32 v35, v50, v19
	v_max3_f32 v17, v17, s33, v18
	v_or_b32_e32 v18, 2, v56
	v_or_b32_e32 v19, 3, v56
	v_fma_f32 v52, v50, v27, v52
	v_fmac_f32_e32 v53, v50, v28
	v_cmp_gt_i32_e64 s[36:37], s29, v18
	v_cmp_gt_i32_e64 s[38:39], s29, v19
	global_load_dwordx4 v[30:33], v[14:15], off
	global_load_dwordx4 v[26:29], v[14:15], off offset:16
	v_cndmask_b32_e64 v18, v16, v52, s[36:37]
	v_cndmask_b32_e64 v19, v16, v53, s[38:39]
	v_max3_f32 v17, v17, v18, v19
	v_or_b32_e32 v18, 16, v56
	v_or_b32_e32 v19, 17, v56
	v_cmp_gt_i32_e64 s[24:25], s29, v18
	v_cmp_gt_i32_e64 s[26:27], s29, v19
	s_nop 0
	v_cndmask_b32_e64 v18, v16, v48, s[24:25]
	v_cndmask_b32_e64 v19, v16, v49, s[26:27]
	v_max3_f32 v17, v17, v18, v19
	v_or_b32_e32 v18, 18, v56
	v_or_b32_e32 v19, 19, v56
	v_cmp_gt_i32_e64 s[20:21], s29, v18
	v_cmp_gt_i32_e64 s[22:23], s29, v19
	s_nop 0
	;; [unrolled: 8-line block ×5, first 2 shown]
	v_cndmask_b32_e64 v18, v16, v36, s[8:9]
	v_cndmask_b32_e64 v19, v16, v37, s[10:11]
	v_max3_f32 v17, v17, v18, v19
	v_or_b32_e32 v18, 50, v56
	v_or_b32_e32 v19, 51, v56
	v_cmp_gt_i32_e32 vcc, s29, v18
	v_cmp_gt_i32_e64 s[6:7], s29, v19
	s_nop 0
	v_cndmask_b32_e32 v18, v16, v34, vcc
	v_cndmask_b32_e64 v16, v16, v35, s[6:7]
	v_max3_f32 v16, v17, v18, v16
	v_mbcnt_lo_u32_b32 v17, -1, 0
	v_mbcnt_hi_u32_b32 v17, -1, v17
	v_and_b32_e32 v18, 64, v17
	v_add_u32_e32 v18, 64, v18
	v_xor_b32_e32 v19, 32, v17
	v_cmp_lt_i32_e64 s[40:41], v19, v18
	s_nop 1
	v_cndmask_b32_e64 v19, v17, v19, s[40:41]
	v_lshlrev_b32_e32 v56, 2, v19
	ds_bpermute_b32 v19, v56, v16
	s_waitcnt vmcnt(5)
	v_mad_i64_i32 v[14:15], s[40:41], v59, s45, 0
	v_lshl_add_u64 v[14:15], v[14:15], 1, v[10:11]
	s_waitcnt lgkmcnt(0)
	v_max_f32_e32 v19, v19, v19
	v_max_f32_e32 v16, v16, v19
	v_xor_b32_e32 v19, 16, v17
	v_cmp_lt_i32_e64 s[40:41], v19, v18
	s_nop 1
	v_cndmask_b32_e64 v17, v17, v19, s[40:41]
	v_lshlrev_b32_e32 v57, 2, v17
	ds_bpermute_b32 v17, v57, v16
	global_load_dwordx4 v[22:25], v[14:15], off
	global_load_dwordx4 v[18:21], v[14:15], off offset:16
	s_waitcnt vmcnt(6)
	v_mad_i64_i32 v[14:15], s[40:41], v60, s45, 0
	v_lshl_add_u64 v[10:11], v[14:15], 1, v[10:11]
	s_waitcnt lgkmcnt(0)
	v_max_f32_e32 v14, v17, v17
	v_max_f32_e32 v55, v16, v14
	v_sub_f32_e32 v12, v12, v55
	v_mul_f32_e32 v12, 0x3fb8aa3b, v12
	v_exp_f32_e32 v50, v12
	v_sub_f32_e32 v12, v13, v55
	v_mul_f32_e32 v12, 0x3fb8aa3b, v12
	v_exp_f32_e32 v51, v12
	global_load_dwordx4 v[14:17], v[10:11], off
	s_nop 0
	global_load_dwordx4 v[10:13], v[10:11], off offset:16
	v_sub_f32_e32 v52, v52, v55
	v_mul_f32_e32 v52, 0x3fb8aa3b, v52
	v_sub_f32_e32 v53, v53, v55
	v_exp_f32_e32 v52, v52
	v_mul_f32_e32 v53, 0x3fb8aa3b, v53
	v_sub_f32_e32 v48, v48, v55
	v_exp_f32_e32 v53, v53
	v_mul_f32_e32 v48, 0x3fb8aa3b, v48
	v_sub_f32_e32 v49, v49, v55
	v_cndmask_b32_e64 v50, 0, v50, s[4:5]
	v_exp_f32_e32 v48, v48
	v_mul_f32_e32 v49, 0x3fb8aa3b, v49
	v_sub_f32_e32 v46, v46, v55
	v_add_f32_e32 v58, 0, v50
	v_cndmask_b32_e64 v51, 0, v51, s[34:35]
	v_exp_f32_e32 v49, v49
	v_mul_f32_e32 v46, 0x3fb8aa3b, v46
	v_sub_f32_e32 v47, v47, v55
	v_add_f32_e32 v58, v58, v51
	;; [unrolled: 5-line block ×10, first 2 shown]
	v_cndmask_b32_e64 v38, 0, v38, s[12:13]
	v_exp_f32_e32 v34, v34
	v_mul_f32_e32 v35, 0x3fb8aa3b, v35
	v_add_f32_e32 v58, v58, v38
	v_cndmask_b32_e64 v39, 0, v39, s[14:15]
	v_exp_f32_e32 v35, v35
	v_add_f32_e32 v58, v58, v39
	v_cndmask_b32_e64 v36, 0, v36, s[8:9]
	v_add_f32_e32 v58, v58, v36
	v_cndmask_b32_e64 v37, 0, v37, s[10:11]
	v_add_f32_e32 v58, v58, v37
	v_cndmask_b32_e32 v34, 0, v34, vcc
	v_add_f32_e32 v58, v58, v34
	v_cndmask_b32_e64 v35, 0, v35, s[6:7]
	v_add_f32_e32 v58, v58, v35
	ds_bpermute_b32 v56, v56, v58
	s_load_dword s7, s[0:1], 0x98
	v_cmp_gt_u32_e32 vcc, 16, v45
	v_lshlrev_b32_e32 v45, 2, v44
	s_waitcnt lgkmcnt(0)
	v_add_f32_e32 v56, v58, v56
	ds_bpermute_b32 v57, v57, v56
	s_barrier
	s_waitcnt lgkmcnt(0)
	s_and_saveexec_b64 s[4:5], vcc
	s_cbranch_execz .LBB545_17
; %bb.16:
	v_add_f32_e32 v56, v56, v57
	v_lshl_or_b32 v57, v1, 6, v45
	ds_write2st64_b32 v57, v55, v56 offset1:1
.LBB545_17:
	s_or_b64 exec, exec, s[4:5]
	s_load_dword s6, s[0:1], 0x94
	s_waitcnt lgkmcnt(0)
	s_barrier
	ds_read2_b32 v[56:57], v45 offset1:16
	ds_read2_b32 v[58:59], v45 offset0:32 offset1:48
	ds_read2_b32 v[60:61], v45 offset0:64 offset1:80
	;; [unrolled: 1-line block ×3, first 2 shown]
	s_movk_i32 s8, 0x7fff
	s_waitcnt lgkmcnt(3)
	v_max3_f32 v55, v56, s33, v57
	s_waitcnt lgkmcnt(2)
	v_max3_f32 v55, v55, v58, v59
	v_sub_f32_e32 v56, v56, v55
	v_mul_f32_e32 v56, 0x3fb8aa3b, v56
	v_exp_f32_e32 v64, v56
	v_sub_f32_e32 v56, v57, v55
	v_mul_f32_e32 v56, 0x3fb8aa3b, v56
	v_exp_f32_e32 v57, v56
	v_sub_f32_e32 v56, v58, v55
	v_mul_f32_e32 v56, 0x3fb8aa3b, v56
	v_sub_f32_e32 v45, v59, v55
	v_exp_f32_e32 v58, v56
	v_mul_f32_e32 v45, 0x3fb8aa3b, v45
	v_exp_f32_e32 v45, v45
	s_waitcnt lgkmcnt(1)
	v_fma_f32 v56, v64, v60, 0
	v_fmac_f32_e32 v56, v57, v61
	s_waitcnt lgkmcnt(0)
	v_fmac_f32_e32 v56, v58, v62
	v_fmac_f32_e32 v56, v45, v63
	v_add_f32_e32 v59, 0x358637bd, v56
	v_div_scale_f32 v60, s[4:5], v59, v59, 1.0
	v_rcp_f32_e32 v61, v60
	s_mov_b32 s9, 0x7060302
	s_mul_i32 s7, s7, 10
	v_fma_f32 v62, -v60, v61, 1.0
	v_fmac_f32_e32 v61, v62, v61
	v_div_scale_f32 v62, vcc, 1.0, v59, 1.0
	v_mul_f32_e32 v63, v62, v61
	v_fma_f32 v65, -v60, v63, v62
	v_fmac_f32_e32 v63, v65, v61
	v_fma_f32 v60, -v60, v63, v62
	v_div_fmas_f32 v60, v60, v61, v63
	v_cmp_eq_u32_e32 vcc, 1, v1
	v_div_fixup_f32 v59, v60, v59, 1.0
	s_barrier
	v_cndmask_b32_e32 v57, v64, v57, vcc
	v_cmp_eq_u32_e32 vcc, 2, v1
	s_nop 1
	v_cndmask_b32_e32 v57, v57, v58, vcc
	v_cmp_eq_u32_e32 vcc, 3, v1
	v_lshlrev_b32_e32 v1, 11, v1
	s_nop 0
	v_cndmask_b32_e32 v45, v57, v45, vcc
	v_mul_f32_e32 v58, v45, v59
	v_pk_mul_f32 v[50:51], v[58:59], v[50:51] op_sel_hi:[0,1]
	v_bfe_u32 v45, v51, 16, 1
	v_bfe_u32 v57, v50, 16, 1
	v_pk_mul_f32 v[52:53], v[58:59], v[52:53] op_sel_hi:[0,1]
	v_add3_u32 v50, v50, v57, s8
	v_add3_u32 v45, v51, v45, s8
	v_perm_b32 v60, v45, v50, s9
	v_bfe_u32 v45, v53, 16, 1
	v_bfe_u32 v50, v52, 16, 1
	v_add3_u32 v50, v52, v50, s8
	v_add3_u32 v45, v53, v45, s8
	v_perm_b32 v61, v45, v50, s9
	v_lshlrev_b32_e32 v45, 3, v54
	v_lshlrev_b32_e32 v50, 5, v44
	v_pk_mul_f32 v[48:49], v[58:59], v[48:49] op_sel_hi:[0,1]
	v_or3_b32 v1, v1, v50, v45
	v_bfe_u32 v45, v49, 16, 1
	v_bfe_u32 v51, v48, 16, 1
	v_pk_mul_f32 v[46:47], v[58:59], v[46:47] op_sel_hi:[0,1]
	v_add3_u32 v48, v48, v51, s8
	v_add3_u32 v45, v49, v45, s8
	v_perm_b32 v48, v45, v48, s9
	v_bfe_u32 v45, v47, 16, 1
	v_bfe_u32 v49, v46, 16, 1
	v_add3_u32 v46, v46, v49, s8
	v_add3_u32 v45, v47, v45, s8
	v_pk_mul_f32 v[40:41], v[58:59], v[40:41] op_sel_hi:[0,1]
	v_perm_b32 v49, v45, v46, s9
	v_bfe_u32 v45, v41, 16, 1
	v_bfe_u32 v46, v40, 16, 1
	v_pk_mul_f32 v[38:39], v[58:59], v[38:39] op_sel_hi:[0,1]
	v_add3_u32 v40, v40, v46, s8
	v_add3_u32 v41, v41, v45, s8
	v_perm_b32 v40, v41, v40, s9
	v_bfe_u32 v41, v39, 16, 1
	v_bfe_u32 v45, v38, 16, 1
	v_add3_u32 v38, v38, v45, s8
	v_add3_u32 v39, v39, v41, s8
	v_pk_mul_f32 v[36:37], v[58:59], v[36:37] op_sel_hi:[0,1]
	v_perm_b32 v41, v39, v38, s9
	v_bfe_u32 v38, v37, 16, 1
	v_bfe_u32 v39, v36, 16, 1
	v_pk_mul_f32 v[34:35], v[58:59], v[34:35] op_sel_hi:[0,1]
	v_add3_u32 v36, v36, v39, s8
	v_add3_u32 v37, v37, v38, s8
	v_perm_b32 v36, v37, v36, s9
	v_bfe_u32 v37, v35, 16, 1
	v_bfe_u32 v38, v34, 16, 1
	v_add3_u32 v34, v34, v38, s8
	v_add3_u32 v35, v35, v37, s8
	v_perm_b32 v37, v35, v34, s9
	v_cmp_gt_u32_e32 vcc, 10, v0
	ds_write2st64_b64 v1, v[60:61], v[48:49] offset1:1
	ds_write2st64_b64 v1, v[40:41], v[36:37] offset0:2 offset1:3
	s_and_saveexec_b64 s[4:5], vcc
	s_cbranch_execz .LBB545_19
; %bb.18:
	s_mov_b32 s43, 0
	v_mov_b32_e32 v45, 0
	v_lshl_add_u64 v[34:35], s[42:43], 0, v[44:45]
	v_mov_b32_e32 v36, s7
	v_mad_u64_u32 v[34:35], s[10:11], s2, v36, v[34:35]
	s_mul_i32 s3, s3, s7
	v_mov_b32_e32 v44, s28
	s_load_dwordx4 s[12:15], s[0:1], 0x58
	v_add_u32_e32 v37, s3, v35
	v_mad_u64_u32 v[34:35], s[10:11], v34, s6, v[44:45]
	v_mov_b32_e32 v36, v35
	v_mad_u64_u32 v[36:37], s[10:11], v37, s6, v[36:37]
	v_mov_b32_e32 v35, v36
	v_lshlrev_b64 v[34:35], 2, v[34:35]
	s_waitcnt lgkmcnt(0)
	v_lshl_add_u64 v[36:37], s[14:15], 0, v[34:35]
	v_lshl_add_u64 v[34:35], s[12:13], 0, v[34:35]
	global_store_dword v[36:37], v55, off
	global_store_dword v[34:35], v56, off
.LBB545_19:
	s_or_b64 exec, exec, s[4:5]
	v_lshl_or_b32 v48, v54, 9, v50
	s_waitcnt lgkmcnt(0)
	s_barrier
	ds_read_b128 v[34:37], v48
	ds_read_b128 v[38:41], v48 offset:16
	s_waitcnt vmcnt(7) lgkmcnt(1)
	v_mfma_f32_16x16x16_bf16 v[44:47], v[6:7], v[34:35], 0
	v_cmp_gt_u32_e32 vcc, 64, v0
	s_mov_b32 s3, 0
	s_and_b64 s[4:5], vcc, s[30:31]
	v_mfma_f32_16x16x16_bf16 v[6:9], v[8:9], v[36:37], v[44:47]
	s_waitcnt vmcnt(6) lgkmcnt(0)
	v_mfma_f32_16x16x16_bf16 v[6:9], v[2:3], v[38:39], v[6:9]
	v_mfma_f32_16x16x16_bf16 v[2:5], v[4:5], v[40:41], v[6:9]
	s_nop 5
	ds_read_b128 v[6:9], v48 offset:2048
	ds_read_b128 v[34:37], v48 offset:2064
	s_waitcnt vmcnt(5) lgkmcnt(1)
	v_mfma_f32_16x16x16_bf16 v[2:5], v[30:31], v[6:7], v[2:5]
	v_mfma_f32_16x16x16_bf16 v[2:5], v[32:33], v[8:9], v[2:5]
	s_waitcnt vmcnt(4) lgkmcnt(0)
	v_mfma_f32_16x16x16_bf16 v[2:5], v[26:27], v[34:35], v[2:5]
	v_mfma_f32_16x16x16_bf16 v[2:5], v[28:29], v[36:37], v[2:5]
	ds_read_b128 v[6:9], v48 offset:4096
	ds_read_b128 v[26:29], v48 offset:4112
	s_waitcnt vmcnt(3) lgkmcnt(1)
	v_mfma_f32_16x16x16_bf16 v[2:5], v[22:23], v[6:7], v[2:5]
	v_mfma_f32_16x16x16_bf16 v[2:5], v[24:25], v[8:9], v[2:5]
	s_waitcnt vmcnt(2) lgkmcnt(0)
	v_mfma_f32_16x16x16_bf16 v[2:5], v[18:19], v[26:27], v[2:5]
	v_mfma_f32_16x16x16_bf16 v[2:5], v[20:21], v[28:29], v[2:5]
	ds_read_b128 v[6:9], v48 offset:6144
	ds_read_b128 v[18:21], v48 offset:6160
	s_waitcnt lgkmcnt(0)
	s_barrier
	s_waitcnt vmcnt(1)
	v_mfma_f32_16x16x16_bf16 v[2:5], v[14:15], v[6:7], v[2:5]
	v_mfma_f32_16x16x16_bf16 v[2:5], v[16:17], v[8:9], v[2:5]
	s_waitcnt vmcnt(0)
	v_mfma_f32_16x16x16_bf16 v[2:5], v[10:11], v[18:19], v[2:5]
	v_mfma_f32_16x16x16_bf16 v[2:5], v[12:13], v[20:21], v[2:5]
	s_nop 6
	v_bfe_u32 v6, v3, 16, 1
	v_bfe_u32 v7, v2, 16, 1
	;; [unrolled: 1-line block ×4, first 2 shown]
	v_add3_u32 v2, v2, v7, s8
	v_add3_u32 v3, v3, v6, s8
	;; [unrolled: 1-line block ×4, first 2 shown]
	v_perm_b32 v2, v3, v2, s9
	v_perm_b32 v3, v5, v4, s9
	ds_write_b64 v1, v[2:3]
	s_waitcnt lgkmcnt(0)
	s_barrier
	s_and_saveexec_b64 s[8:9], s[4:5]
	s_cbranch_execz .LBB545_22
; %bb.20:
	s_load_dwordx2 s[4:5], s[0:1], 0x68
	s_lshl_b32 s0, s6, 6
	s_mul_i32 s1, s7, s2
	s_mul_hi_u32 s7, s1, s0
	s_mul_i32 s6, s1, s0
	v_lshlrev_b32_e32 v1, 10, v0
	v_lshlrev_b32_e32 v0, 4, v0
	s_lshl_b64 s[6:7], s[6:7], 1
	v_and_b32_e32 v1, 0x1800, v1
	v_lshlrev_b32_e32 v2, 5, v54
	v_and_b32_e32 v0, 16, v0
	s_waitcnt lgkmcnt(0)
	s_add_u32 s1, s4, s6
	v_or3_b32 v2, v1, v2, v0
	s_addc_u32 s4, s5, s7
	s_lshl_b32 s2, s28, 6
	s_lshl_b64 s[2:3], s[2:3], 1
	ds_read_b128 v[4:7], v2 offset:128
	ds_read_b128 v[8:11], v2
	s_add_u32 s2, s1, s2
	s_addc_u32 s3, s4, s3
	v_add_u32_e32 v14, s42, v54
	v_lshl_add_u64 v[0:1], v[42:43], 1, s[2:3]
	v_mad_u64_u32 v[12:13], s[2:3], v14, s0, 0
	v_lshl_add_u64 v[12:13], v[12:13], 1, v[0:1]
	s_waitcnt lgkmcnt(0)
	global_store_dwordx4 v[12:13], v[8:11], off
	v_or_b32_e32 v3, 8, v54
	v_cmp_gt_u32_e32 vcc, 10, v3
	v_add_u32_e32 v8, 4, v14
	v_mad_u64_u32 v[8:9], s[2:3], v8, s0, 0
	v_lshl_add_u64 v[8:9], v[8:9], 1, v[0:1]
	global_store_dwordx4 v[8:9], v[4:7], off
	s_and_b64 exec, exec, vcc
	s_cbranch_execz .LBB545_22
; %bb.21:
	ds_read_b128 v[4:7], v2 offset:256
	v_add_u32_e32 v2, s42, v3
	v_mad_u64_u32 v[2:3], s[0:1], v2, s0, 0
	v_lshl_add_u64 v[0:1], v[2:3], 1, v[0:1]
	s_waitcnt lgkmcnt(0)
	global_store_dwordx4 v[0:1], v[4:7], off
.LBB545_22:
	s_endpgm
	.section	.rodata,"a",@progbits
	.p2align	6, 0x0
	.amdhsa_kernel _Z39paged_attention_ll4mi_QKV_mfma16_kernelI14__hip_bfloat16S0_LN4vllm18Fp8KVCacheDataTypeE0ES0_Li32ELi64ELi256ELb1ELi10EEvPKT_PKT0_S8_ifPKiSA_SA_iPKfiiiPfSD_PS3_PT2_iSC_SC_
		.amdhsa_group_segment_fixed_size 8192
		.amdhsa_private_segment_fixed_size 0
		.amdhsa_kernarg_size 400
		.amdhsa_user_sgpr_count 2
		.amdhsa_user_sgpr_dispatch_ptr 0
		.amdhsa_user_sgpr_queue_ptr 0
		.amdhsa_user_sgpr_kernarg_segment_ptr 1
		.amdhsa_user_sgpr_dispatch_id 0
		.amdhsa_user_sgpr_kernarg_preload_length 0
		.amdhsa_user_sgpr_kernarg_preload_offset 0
		.amdhsa_user_sgpr_private_segment_size 0
		.amdhsa_uses_dynamic_stack 0
		.amdhsa_enable_private_segment 0
		.amdhsa_system_sgpr_workgroup_id_x 1
		.amdhsa_system_sgpr_workgroup_id_y 1
		.amdhsa_system_sgpr_workgroup_id_z 1
		.amdhsa_system_sgpr_workgroup_info 0
		.amdhsa_system_vgpr_workitem_id 0
		.amdhsa_next_free_vgpr 73
		.amdhsa_next_free_sgpr 48
		.amdhsa_accum_offset 76
		.amdhsa_reserve_vcc 1
		.amdhsa_float_round_mode_32 0
		.amdhsa_float_round_mode_16_64 0
		.amdhsa_float_denorm_mode_32 3
		.amdhsa_float_denorm_mode_16_64 3
		.amdhsa_dx10_clamp 1
		.amdhsa_ieee_mode 1
		.amdhsa_fp16_overflow 0
		.amdhsa_tg_split 0
		.amdhsa_exception_fp_ieee_invalid_op 0
		.amdhsa_exception_fp_denorm_src 0
		.amdhsa_exception_fp_ieee_div_zero 0
		.amdhsa_exception_fp_ieee_overflow 0
		.amdhsa_exception_fp_ieee_underflow 0
		.amdhsa_exception_fp_ieee_inexact 0
		.amdhsa_exception_int_div_zero 0
	.end_amdhsa_kernel
	.section	.text._Z39paged_attention_ll4mi_QKV_mfma16_kernelI14__hip_bfloat16S0_LN4vllm18Fp8KVCacheDataTypeE0ES0_Li32ELi64ELi256ELb1ELi10EEvPKT_PKT0_S8_ifPKiSA_SA_iPKfiiiPfSD_PS3_PT2_iSC_SC_,"axG",@progbits,_Z39paged_attention_ll4mi_QKV_mfma16_kernelI14__hip_bfloat16S0_LN4vllm18Fp8KVCacheDataTypeE0ES0_Li32ELi64ELi256ELb1ELi10EEvPKT_PKT0_S8_ifPKiSA_SA_iPKfiiiPfSD_PS3_PT2_iSC_SC_,comdat
.Lfunc_end545:
	.size	_Z39paged_attention_ll4mi_QKV_mfma16_kernelI14__hip_bfloat16S0_LN4vllm18Fp8KVCacheDataTypeE0ES0_Li32ELi64ELi256ELb1ELi10EEvPKT_PKT0_S8_ifPKiSA_SA_iPKfiiiPfSD_PS3_PT2_iSC_SC_, .Lfunc_end545-_Z39paged_attention_ll4mi_QKV_mfma16_kernelI14__hip_bfloat16S0_LN4vllm18Fp8KVCacheDataTypeE0ES0_Li32ELi64ELi256ELb1ELi10EEvPKT_PKT0_S8_ifPKiSA_SA_iPKfiiiPfSD_PS3_PT2_iSC_SC_
                                        ; -- End function
	.section	.AMDGPU.csdata,"",@progbits
; Kernel info:
; codeLenInByte = 4432
; NumSgprs: 54
; NumVgprs: 73
; NumAgprs: 0
; TotalNumVgprs: 73
; ScratchSize: 0
; MemoryBound: 0
; FloatMode: 240
; IeeeMode: 1
; LDSByteSize: 8192 bytes/workgroup (compile time only)
; SGPRBlocks: 6
; VGPRBlocks: 9
; NumSGPRsForWavesPerEU: 54
; NumVGPRsForWavesPerEU: 73
; AccumOffset: 76
; Occupancy: 6
; WaveLimiterHint : 1
; COMPUTE_PGM_RSRC2:SCRATCH_EN: 0
; COMPUTE_PGM_RSRC2:USER_SGPR: 2
; COMPUTE_PGM_RSRC2:TRAP_HANDLER: 0
; COMPUTE_PGM_RSRC2:TGID_X_EN: 1
; COMPUTE_PGM_RSRC2:TGID_Y_EN: 1
; COMPUTE_PGM_RSRC2:TGID_Z_EN: 1
; COMPUTE_PGM_RSRC2:TIDIG_COMP_CNT: 0
; COMPUTE_PGM_RSRC3_GFX90A:ACCUM_OFFSET: 18
; COMPUTE_PGM_RSRC3_GFX90A:TG_SPLIT: 0
	.section	.text._Z39paged_attention_ll4mi_QKV_mfma16_kernelI14__hip_bfloat16S0_LN4vllm18Fp8KVCacheDataTypeE0ES0_Li32ELi64ELi256ELb1ELi11EEvPKT_PKT0_S8_ifPKiSA_SA_iPKfiiiPfSD_PS3_PT2_iSC_SC_,"axG",@progbits,_Z39paged_attention_ll4mi_QKV_mfma16_kernelI14__hip_bfloat16S0_LN4vllm18Fp8KVCacheDataTypeE0ES0_Li32ELi64ELi256ELb1ELi11EEvPKT_PKT0_S8_ifPKiSA_SA_iPKfiiiPfSD_PS3_PT2_iSC_SC_,comdat
	.protected	_Z39paged_attention_ll4mi_QKV_mfma16_kernelI14__hip_bfloat16S0_LN4vllm18Fp8KVCacheDataTypeE0ES0_Li32ELi64ELi256ELb1ELi11EEvPKT_PKT0_S8_ifPKiSA_SA_iPKfiiiPfSD_PS3_PT2_iSC_SC_ ; -- Begin function _Z39paged_attention_ll4mi_QKV_mfma16_kernelI14__hip_bfloat16S0_LN4vllm18Fp8KVCacheDataTypeE0ES0_Li32ELi64ELi256ELb1ELi11EEvPKT_PKT0_S8_ifPKiSA_SA_iPKfiiiPfSD_PS3_PT2_iSC_SC_
	.globl	_Z39paged_attention_ll4mi_QKV_mfma16_kernelI14__hip_bfloat16S0_LN4vllm18Fp8KVCacheDataTypeE0ES0_Li32ELi64ELi256ELb1ELi11EEvPKT_PKT0_S8_ifPKiSA_SA_iPKfiiiPfSD_PS3_PT2_iSC_SC_
	.p2align	8
	.type	_Z39paged_attention_ll4mi_QKV_mfma16_kernelI14__hip_bfloat16S0_LN4vllm18Fp8KVCacheDataTypeE0ES0_Li32ELi64ELi256ELb1ELi11EEvPKT_PKT0_S8_ifPKiSA_SA_iPKfiiiPfSD_PS3_PT2_iSC_SC_,@function
_Z39paged_attention_ll4mi_QKV_mfma16_kernelI14__hip_bfloat16S0_LN4vllm18Fp8KVCacheDataTypeE0ES0_Li32ELi64ELi256ELb1ELi11EEvPKT_PKT0_S8_ifPKiSA_SA_iPKfiiiPfSD_PS3_PT2_iSC_SC_: ; @_Z39paged_attention_ll4mi_QKV_mfma16_kernelI14__hip_bfloat16S0_LN4vllm18Fp8KVCacheDataTypeE0ES0_Li32ELi64ELi256ELb1ELi11EEvPKT_PKT0_S8_ifPKiSA_SA_iPKfiiiPfSD_PS3_PT2_iSC_SC_
; %bb.0:
	s_load_dwordx2 s[6:7], s[0:1], 0x30
	s_mov_b32 s28, s3
	s_mov_b64 s[8:9], 0
	s_waitcnt lgkmcnt(0)
	s_cmp_lg_u64 s[6:7], 0
	s_cselect_b64 s[10:11], -1, 0
	s_and_b64 vcc, exec, s[10:11]
	s_cbranch_vccz .LBB546_7
; %bb.1:
	s_add_i32 s12, s2, 1
	s_mov_b32 s13, 0
	s_lshl_b64 s[14:15], s[12:13], 2
	s_add_u32 s14, s6, s14
	s_mov_b32 s3, s13
	s_addc_u32 s15, s7, s15
	s_lshl_b64 s[12:13], s[2:3], 2
	s_add_u32 s12, s6, s12
	s_addc_u32 s13, s7, s13
	s_load_dword s5, s[14:15], 0x0
	s_load_dword s16, s[12:13], 0x0
	s_waitcnt lgkmcnt(0)
	s_sub_i32 s5, s5, s16
	s_cmp_eq_u32 s5, 1
	s_cselect_b64 s[12:13], -1, 0
	s_andn2_b64 vcc, exec, s[8:9]
	s_cbranch_vccnz .LBB546_3
.LBB546_2:
	s_mov_b32 s3, 0
	s_mov_b64 s[12:13], -1
.LBB546_3:
	s_andn2_b64 vcc, exec, s[12:13]
	s_cbranch_vccnz .LBB546_22
; %bb.4:
	s_load_dwordx2 s[8:9], s[0:1], 0x28
	s_lshl_b64 s[12:13], s[2:3], 2
	s_waitcnt lgkmcnt(0)
	s_add_u32 s8, s8, s12
	s_addc_u32 s9, s9, s13
	s_load_dword s29, s[8:9], 0x0
	s_lshl_b32 s14, s28, 8
	s_waitcnt lgkmcnt(0)
	s_cmp_ge_i32 s14, s29
	s_cbranch_scc1 .LBB546_22
; %bb.5:
	s_load_dwordx2 s[8:9], s[0:1], 0x20
	s_load_dword s5, s[0:1], 0x38
	s_add_i32 s15, s29, 31
	s_ashr_i32 s16, s15, 31
	v_and_b32_e32 v1, 0xcf, v0
	s_lshr_b32 s16, s16, 27
	v_add_u32_e32 v1, s14, v1
	s_add_i32 s15, s15, s16
	v_ashrrev_i32_e32 v2, 31, v1
	s_ashr_i32 s15, s15, 5
	v_lshrrev_b32_e32 v6, 27, v2
	s_add_i32 s15, s15, -1
	s_waitcnt lgkmcnt(0)
	s_mul_i32 s16, s2, s5
	s_mov_b32 s17, 0
	v_add_u32_e32 v2, v1, v6
	s_lshl_b64 s[16:17], s[16:17], 2
	v_ashrrev_i32_e32 v2, 5, v2
	v_mov_b32_e32 v7, s15
	v_cmp_gt_i32_e32 vcc, s29, v1
	s_add_u32 s8, s8, s16
	s_addc_u32 s9, s9, s17
	v_cndmask_b32_e32 v2, v7, v2, vcc
	v_ashrrev_i32_e32 v3, 31, v2
	v_lshl_add_u64 v[4:5], v[2:3], 2, s[8:9]
	v_or_b32_e32 v2, 16, v1
	v_add_u32_e32 v3, v2, v6
	v_ashrrev_i32_e32 v3, 5, v3
	v_cmp_gt_i32_e32 vcc, s29, v2
	s_nop 1
	v_cndmask_b32_e32 v2, v7, v3, vcc
	v_ashrrev_i32_e32 v3, 31, v2
	v_lshl_add_u64 v[8:9], v[2:3], 2, s[8:9]
	v_or_b32_e32 v2, 32, v1
	v_add_u32_e32 v3, v2, v6
	v_ashrrev_i32_e32 v3, 5, v3
	v_cmp_gt_i32_e32 vcc, s29, v2
	v_or_b32_e32 v1, 48, v1
	s_nop 0
	v_cndmask_b32_e32 v2, v7, v3, vcc
	v_ashrrev_i32_e32 v3, 31, v2
	v_lshl_add_u64 v[12:13], v[2:3], 2, s[8:9]
	v_add_u32_e32 v2, v1, v6
	v_ashrrev_i32_e32 v2, 5, v2
	v_cmp_gt_i32_e32 vcc, s29, v1
	s_nop 1
	v_cndmask_b32_e32 v2, v7, v2, vcc
	v_ashrrev_i32_e32 v3, 31, v2
	v_lshl_add_u64 v[16:17], v[2:3], 2, s[8:9]
	global_load_dword v2, v[4:5], off
	global_load_dword v6, v[8:9], off
	;; [unrolled: 1-line block ×4, first 2 shown]
	s_andn2_b64 vcc, exec, s[10:11]
	s_cbranch_vccnz .LBB546_8
; %bb.6:
	s_add_u32 s6, s6, s12
	s_addc_u32 s7, s7, s13
	s_load_dword s5, s[6:7], 0x0
	s_branch .LBB546_9
.LBB546_7:
	s_mov_b64 s[12:13], 0
	s_branch .LBB546_2
.LBB546_8:
	s_mov_b32 s5, s2
.LBB546_9:
	s_load_dwordx2 s[10:11], s[0:1], 0x8
	s_load_dwordx4 s[44:47], s[0:1], 0x48
	v_lshrrev_b32_e32 v1, 6, v0
	v_bfe_u32 v54, v0, 4, 2
	v_lshl_or_b32 v3, v1, 2, v54
	v_and_b32_e32 v44, 15, v0
	v_cmp_lt_u32_e32 vcc, 10, v3
	v_cmp_lt_u32_e64 s[6:7], 7, v44
	v_lshlrev_b32_e32 v42, 3, v44
	v_cmp_gt_u32_e64 s[30:31], 8, v44
	s_or_b64 s[6:7], s[6:7], vcc
	s_and_saveexec_b64 s[12:13], s[6:7]
	s_xor_b64 s[6:7], exec, s[12:13]
; %bb.10:
	v_mov_b32_e32 v43, 0
                                        ; implicit-def: $vgpr3
; %bb.11:
	s_or_saveexec_b64 s[12:13], s[6:7]
	s_load_dwordx2 s[6:7], s[0:1], 0x10
	s_mul_i32 s42, s4, 11
	s_xor_b64 exec, exec, s[12:13]
	s_cbranch_execz .LBB546_13
; %bb.12:
	s_load_dwordx2 s[16:17], s[0:1], 0x0
	s_waitcnt lgkmcnt(0)
	s_ashr_i32 s18, s44, 31
	s_mul_hi_u32 s19, s5, s44
	s_mul_i32 s18, s5, s18
	s_add_i32 s19, s19, s18
	s_mul_i32 s18, s5, s44
	s_lshl_b64 s[18:19], s[18:19], 1
	s_add_u32 s16, s16, s18
	v_add_lshl_u32 v4, v3, s42, 6
	s_addc_u32 s17, s17, s19
	v_ashrrev_i32_e32 v5, 31, v4
	v_mov_b32_e32 v43, 0
	v_lshl_add_u64 v[4:5], v[4:5], 1, s[16:17]
	v_lshlrev_b32_e32 v8, 1, v42
	v_mov_b32_e32 v9, v43
	v_lshl_add_u64 v[4:5], v[4:5], 0, v[8:9]
	global_load_dwordx4 v[16:19], v[4:5], off
	v_and_b32_e32 v4, 3, v0
	v_lshlrev_b32_e32 v5, 9, v44
	v_lshlrev_b32_e32 v3, 5, v3
	;; [unrolled: 1-line block ×3, first 2 shown]
	v_and_b32_e32 v5, 0x1800, v5
	v_or3_b32 v3, v5, v4, v3
	s_waitcnt vmcnt(0)
	ds_write_b128 v3, v[16:19]
.LBB546_13:
	s_or_b64 exec, exec, s[12:13]
	s_waitcnt lgkmcnt(0)
	s_mul_i32 s4, s4, s46
	s_mov_b32 s5, 0
	s_lshl_b64 s[4:5], s[4:5], 1
	s_add_u32 s10, s10, s4
	s_addc_u32 s11, s11, s5
	s_waitcnt vmcnt(3)
	v_mad_i64_i32 v[2:3], s[12:13], v2, s45, 0
	v_lshl_add_u64 v[2:3], v[2:3], 1, s[10:11]
	v_lshlrev_b64 v[12:13], 1, v[42:43]
	v_lshlrev_b32_e32 v46, 9, v54
	v_lshl_add_u64 v[2:3], v[2:3], 0, v[12:13]
	v_mov_b32_e32 v47, 0
	v_lshl_add_u64 v[8:9], v[2:3], 0, v[46:47]
	s_barrier
	global_load_dwordx4 v[22:25], v[8:9], off
	global_load_dwordx4 v[2:5], v[8:9], off offset:2048
	s_waitcnt vmcnt(4)
	v_mad_i64_i32 v[6:7], s[12:13], v6, s45, 0
	v_mov_b32_e32 v8, 0x100
	v_lshl_add_u64 v[6:7], v[6:7], 1, s[10:11]
	v_lshl_or_b32 v16, v44, 4, v8
	v_mov_b32_e32 v17, v47
	s_waitcnt vmcnt(3)
	v_mad_i64_i32 v[10:11], s[12:13], v10, s45, 0
	v_lshl_add_u64 v[6:7], v[6:7], 0, v[16:17]
	v_lshl_add_u64 v[10:11], v[10:11], 1, s[10:11]
	s_waitcnt vmcnt(2)
	v_mad_i64_i32 v[14:15], s[12:13], v14, s45, 0
	v_lshl_add_u64 v[18:19], v[6:7], 0, v[46:47]
	v_lshl_add_u64 v[10:11], v[10:11], 0, v[12:13]
	;; [unrolled: 1-line block ×3, first 2 shown]
	global_load_dwordx4 v[26:29], v[18:19], off
	global_load_dwordx4 v[6:9], v[18:19], off offset:2048
	v_lshl_add_u64 v[18:19], v[10:11], 0, v[46:47]
	v_lshl_add_u64 v[14:15], v[14:15], 0, v[16:17]
	global_load_dwordx4 v[30:33], v[18:19], off
	global_load_dwordx4 v[10:13], v[18:19], off offset:2048
	v_lshl_add_u64 v[18:19], v[14:15], 0, v[46:47]
	global_load_dwordx4 v[34:37], v[18:19], off
	global_load_dwordx4 v[14:17], v[18:19], off offset:2048
	v_add_u32_e32 v18, -11, v44
	v_cmp_gt_u32_e32 vcc, 11, v44
	v_and_b32_e32 v45, 63, v0
	v_mov_b32_e32 v50, 0
	v_cndmask_b32_e32 v18, v18, v44, vcc
	v_lshl_add_u32 v18, v18, 5, v46
	ds_read_b128 v[38:41], v18
	ds_read_b128 v[18:21], v18 offset:2048
	s_and_saveexec_b64 s[10:11], vcc
	s_cbranch_execz .LBB546_15
; %bb.14:
	s_load_dwordx2 s[12:13], s[0:1], 0x40
	v_add_u32_e32 v48, s42, v44
	v_ashrrev_i32_e32 v49, 31, v48
	s_waitcnt lgkmcnt(0)
	v_lshl_add_u64 v[48:49], v[48:49], 2, s[12:13]
	global_load_dword v50, v[48:49], off
.LBB546_15:
	s_or_b64 exec, exec, s[10:11]
	s_ashr_i32 s10, s14, 31
	v_and_or_b32 v46, v0, 48, s14
	s_lshr_b32 s11, s10, 27
	v_add_u32_e32 v48, s11, v46
	v_or_b32_e32 v52, 64, v46
	v_ashrrev_i32_e32 v48, 5, v48
	v_mov_b32_e32 v51, s15
	v_cmp_gt_i32_e32 vcc, s29, v46
	v_add_u32_e32 v53, s11, v52
	s_waitcnt vmcnt(7) lgkmcnt(1)
	v_mfma_f32_16x16x16_bf16 v[56:59], v[22:23], v[38:39], 0
	v_cndmask_b32_e32 v48, v51, v48, vcc
	v_ashrrev_i32_e32 v22, 5, v53
	v_cmp_gt_i32_e32 vcc, s29, v52
	v_ashrrev_i32_e32 v49, 31, v48
	v_lshl_add_u64 v[48:49], v[48:49], 2, s[8:9]
	v_cndmask_b32_e32 v22, v51, v22, vcc
	v_ashrrev_i32_e32 v23, 31, v22
	v_lshl_add_u64 v[22:23], v[22:23], 2, s[8:9]
	global_load_dword v55, v[48:49], off
	global_load_dword v72, v[22:23], off
	s_waitcnt vmcnt(3)
	v_mfma_f32_16x16x16_bf16 v[68:71], v[34:35], v[38:39], 0
	v_or_b32_e32 v48, 0xc0, v46
	v_add_u32_e32 v52, s11, v48
	s_add_u32 s4, s6, s4
	v_mfma_f32_16x16x16_bf16 v[60:63], v[26:27], v[38:39], 0
	s_addc_u32 s5, s7, s5
	s_load_dword s10, s[0:1], 0x1c
	s_mov_b32 s33, 0xff7fffff
	v_mfma_f32_16x16x16_bf16 v[64:67], v[30:31], v[38:39], 0
	v_and_b32_e32 v31, 0xc0, v0
	v_or_b32_e32 v38, 0x80, v46
	v_add_u32_e32 v34, s14, v31
	v_mfma_f32_16x16x16_bf16 v[22:25], v[24:25], v[40:41], v[56:59]
	v_and_b32_e32 v30, 16, v0
	v_add_u32_e32 v49, s11, v38
	v_lshlrev_b32_e32 v46, 1, v30
	v_lshl_or_b32 v56, v54, 2, v34
	v_mfma_f32_16x16x16_bf16 v[34:37], v[36:37], v[40:41], v[68:71]
	v_cmp_gt_i32_e32 vcc, s29, v38
	v_lshlrev_b32_e32 v39, 6, v44
	v_or_b32_e32 v57, 1, v56
	v_mfma_f32_16x16x16_bf16 v[26:29], v[28:29], v[40:41], v[60:63]
	v_cmp_gt_i32_e64 s[34:35], s29, v57
	v_mfma_f32_16x16x16_bf16 v[30:33], v[32:33], v[40:41], v[64:67]
	v_ashrrev_i32_e32 v40, 5, v49
	v_ashrrev_i32_e32 v41, 5, v52
	v_cndmask_b32_e32 v38, v51, v40, vcc
	v_cmp_gt_i32_e32 vcc, s29, v48
	s_waitcnt lgkmcnt(0)
	v_mfma_f32_16x16x16_bf16 v[22:25], v[2:3], v[18:19], v[22:25]
	v_lshl_add_u64 v[2:3], s[4:5], 0, v[46:47]
	v_cndmask_b32_e32 v40, v51, v41, vcc
	v_lshl_or_b32 v46, v1, 10, v39
	v_ashrrev_i32_e32 v39, 31, v38
	v_ashrrev_i32_e32 v41, 31, v40
	s_waitcnt vmcnt(2)
	v_mfma_f32_16x16x16_bf16 v[34:37], v[14:15], v[18:19], v[34:37]
	v_lshl_add_u64 v[14:15], v[38:39], 2, s[8:9]
	v_subrev_u32_e32 v51, s29, v57
	v_cvt_f32_i32_e32 v58, v51
	v_mfma_f32_16x16x16_bf16 v[26:29], v[6:7], v[18:19], v[26:29]
	v_mfma_f32_16x16x16_bf16 v[30:33], v[10:11], v[18:19], v[30:33]
	v_lshl_add_u64 v[18:19], v[40:41], 2, s[8:9]
	global_load_dword v59, v[14:15], off
	global_load_dword v60, v[18:19], off
	v_lshl_add_u64 v[10:11], v[2:3], 0, v[46:47]
	v_mfma_f32_16x16x16_bf16 v[2:5], v[4:5], v[20:21], v[22:25]
	v_add_u32_e32 v46, 1, v51
	v_add_u32_e32 v47, 3, v51
	;; [unrolled: 1-line block ×3, first 2 shown]
	v_mfma_f32_16x16x16_bf16 v[14:17], v[16:17], v[20:21], v[34:37]
	v_add_u32_e32 v22, 2, v51
	s_nop 1
	v_pk_mul_f32 v[52:53], s[10:11], v[4:5] op_sel_hi:[0,1]
	v_cvt_f32_i32_e32 v18, v18
	v_mfma_f32_16x16x16_bf16 v[6:9], v[8:9], v[20:21], v[26:29]
	v_add_u32_e32 v19, 19, v51
	v_pk_mul_f32 v[34:35], s[10:11], v[16:17] op_sel_hi:[0,1]
	v_pk_mul_f32 v[36:37], s[10:11], v[14:15] op_sel_hi:[0,1]
	v_cvt_f32_i32_e32 v27, v22
	v_mfma_f32_16x16x16_bf16 v[22:25], v[12:13], v[20:21], v[30:33]
	v_pk_mul_f32 v[12:13], s[10:11], v[2:3] op_sel_hi:[0,1]
	v_cvt_f32_i32_e32 v26, v46
	v_cvt_f32_i32_e32 v28, v47
	v_pk_mul_f32 v[46:47], s[10:11], v[8:9] op_sel_hi:[0,1]
	v_pk_mul_f32 v[48:49], s[10:11], v[6:7] op_sel_hi:[0,1]
	v_cvt_f32_i32_e32 v19, v19
	v_fma_f32 v46, v50, v18, v46
	v_add_u32_e32 v18, 34, v51
	v_cvt_f32_i32_e32 v18, v18
	v_fmac_f32_e32 v47, v50, v19
	v_add_u32_e32 v19, 35, v51
	v_cvt_f32_i32_e32 v19, v19
	v_pk_mul_f32 v[40:41], s[10:11], v[22:23] op_sel_hi:[0,1]
	v_pk_mul_f32 v[38:39], s[10:11], v[24:25] op_sel_hi:[0,1]
	v_fma_f32 v38, v50, v18, v38
	v_add_u32_e32 v18, 50, v51
	s_waitcnt vmcnt(3)
	v_mad_i64_i32 v[2:3], s[4:5], v55, s45, 0
	s_waitcnt vmcnt(2)
	v_mad_i64_i32 v[4:5], s[4:5], v72, s45, 0
	v_lshl_add_u64 v[16:17], v[2:3], 1, v[10:11]
	v_lshl_add_u64 v[14:15], v[4:5], 1, v[10:11]
	global_load_dwordx4 v[6:9], v[16:17], off
	global_load_dwordx4 v[2:5], v[16:17], off offset:16
	v_add_u32_e32 v16, 16, v51
	v_cvt_f32_i32_e32 v16, v16
	v_add_u32_e32 v17, 17, v51
	v_cvt_f32_i32_e32 v17, v17
	v_fmac_f32_e32 v39, v50, v19
	v_fma_f32 v48, v50, v16, v48
	v_add_u32_e32 v16, 32, v51
	v_fmac_f32_e32 v49, v50, v17
	v_cvt_f32_i32_e32 v16, v16
	v_add_u32_e32 v17, 33, v51
	v_cvt_f32_i32_e32 v17, v17
	v_cvt_f32_i32_e32 v18, v18
	v_fma_f32 v40, v50, v16, v40
	v_add_u32_e32 v16, 48, v51
	v_fmac_f32_e32 v41, v50, v17
	v_cvt_f32_i32_e32 v16, v16
	v_add_u32_e32 v17, 49, v51
	v_cvt_f32_i32_e32 v17, v17
	v_add_u32_e32 v19, 51, v51
	v_cvt_f32_i32_e32 v19, v19
	v_fma_f32 v12, v50, v58, v12
	v_fmac_f32_e32 v13, v50, v26
	v_fma_f32 v36, v50, v16, v36
	v_mov_b32_e32 v16, 0xff7fffff
	v_cmp_gt_i32_e64 s[4:5], s29, v56
	v_fmac_f32_e32 v37, v50, v17
	v_fma_f32 v34, v50, v18, v34
	v_cndmask_b32_e64 v17, v16, v12, s[4:5]
	v_cndmask_b32_e64 v18, v16, v13, s[34:35]
	v_fmac_f32_e32 v35, v50, v19
	v_max3_f32 v17, v17, s33, v18
	v_or_b32_e32 v18, 2, v56
	v_or_b32_e32 v19, 3, v56
	v_fma_f32 v52, v50, v27, v52
	v_fmac_f32_e32 v53, v50, v28
	v_cmp_gt_i32_e64 s[36:37], s29, v18
	v_cmp_gt_i32_e64 s[38:39], s29, v19
	global_load_dwordx4 v[30:33], v[14:15], off
	global_load_dwordx4 v[26:29], v[14:15], off offset:16
	v_cndmask_b32_e64 v18, v16, v52, s[36:37]
	v_cndmask_b32_e64 v19, v16, v53, s[38:39]
	v_max3_f32 v17, v17, v18, v19
	v_or_b32_e32 v18, 16, v56
	v_or_b32_e32 v19, 17, v56
	v_cmp_gt_i32_e64 s[24:25], s29, v18
	v_cmp_gt_i32_e64 s[26:27], s29, v19
	s_nop 0
	v_cndmask_b32_e64 v18, v16, v48, s[24:25]
	v_cndmask_b32_e64 v19, v16, v49, s[26:27]
	v_max3_f32 v17, v17, v18, v19
	v_or_b32_e32 v18, 18, v56
	v_or_b32_e32 v19, 19, v56
	v_cmp_gt_i32_e64 s[20:21], s29, v18
	v_cmp_gt_i32_e64 s[22:23], s29, v19
	s_nop 0
	v_cndmask_b32_e64 v18, v16, v46, s[20:21]
	v_cndmask_b32_e64 v19, v16, v47, s[22:23]
	v_max3_f32 v17, v17, v18, v19
	v_or_b32_e32 v18, 32, v56
	v_or_b32_e32 v19, 33, v56
	v_cmp_gt_i32_e64 s[16:17], s29, v18
	v_cmp_gt_i32_e64 s[18:19], s29, v19
	s_nop 0
	v_cndmask_b32_e64 v18, v16, v40, s[16:17]
	v_cndmask_b32_e64 v19, v16, v41, s[18:19]
	v_max3_f32 v17, v17, v18, v19
	v_or_b32_e32 v18, 34, v56
	v_or_b32_e32 v19, 35, v56
	v_cmp_gt_i32_e64 s[12:13], s29, v18
	v_cmp_gt_i32_e64 s[14:15], s29, v19
	s_nop 0
	v_cndmask_b32_e64 v18, v16, v38, s[12:13]
	v_cndmask_b32_e64 v19, v16, v39, s[14:15]
	v_max3_f32 v17, v17, v18, v19
	v_or_b32_e32 v18, 48, v56
	v_or_b32_e32 v19, 49, v56
	v_cmp_gt_i32_e64 s[8:9], s29, v18
	v_cmp_gt_i32_e64 s[10:11], s29, v19
	s_nop 0
	v_cndmask_b32_e64 v18, v16, v36, s[8:9]
	v_cndmask_b32_e64 v19, v16, v37, s[10:11]
	v_max3_f32 v17, v17, v18, v19
	v_or_b32_e32 v18, 50, v56
	v_or_b32_e32 v19, 51, v56
	v_cmp_gt_i32_e32 vcc, s29, v18
	v_cmp_gt_i32_e64 s[6:7], s29, v19
	s_nop 0
	v_cndmask_b32_e32 v18, v16, v34, vcc
	v_cndmask_b32_e64 v16, v16, v35, s[6:7]
	v_max3_f32 v16, v17, v18, v16
	v_mbcnt_lo_u32_b32 v17, -1, 0
	v_mbcnt_hi_u32_b32 v17, -1, v17
	v_and_b32_e32 v18, 64, v17
	v_add_u32_e32 v18, 64, v18
	v_xor_b32_e32 v19, 32, v17
	v_cmp_lt_i32_e64 s[40:41], v19, v18
	s_nop 1
	v_cndmask_b32_e64 v19, v17, v19, s[40:41]
	v_lshlrev_b32_e32 v56, 2, v19
	ds_bpermute_b32 v19, v56, v16
	s_waitcnt vmcnt(5)
	v_mad_i64_i32 v[14:15], s[40:41], v59, s45, 0
	v_lshl_add_u64 v[14:15], v[14:15], 1, v[10:11]
	s_waitcnt lgkmcnt(0)
	v_max_f32_e32 v19, v19, v19
	v_max_f32_e32 v16, v16, v19
	v_xor_b32_e32 v19, 16, v17
	v_cmp_lt_i32_e64 s[40:41], v19, v18
	s_nop 1
	v_cndmask_b32_e64 v17, v17, v19, s[40:41]
	v_lshlrev_b32_e32 v57, 2, v17
	ds_bpermute_b32 v17, v57, v16
	global_load_dwordx4 v[22:25], v[14:15], off
	global_load_dwordx4 v[18:21], v[14:15], off offset:16
	s_waitcnt vmcnt(6)
	v_mad_i64_i32 v[14:15], s[40:41], v60, s45, 0
	v_lshl_add_u64 v[10:11], v[14:15], 1, v[10:11]
	s_waitcnt lgkmcnt(0)
	v_max_f32_e32 v14, v17, v17
	v_max_f32_e32 v55, v16, v14
	v_sub_f32_e32 v12, v12, v55
	v_mul_f32_e32 v12, 0x3fb8aa3b, v12
	v_exp_f32_e32 v50, v12
	v_sub_f32_e32 v12, v13, v55
	v_mul_f32_e32 v12, 0x3fb8aa3b, v12
	v_exp_f32_e32 v51, v12
	global_load_dwordx4 v[14:17], v[10:11], off
	s_nop 0
	global_load_dwordx4 v[10:13], v[10:11], off offset:16
	v_sub_f32_e32 v52, v52, v55
	v_mul_f32_e32 v52, 0x3fb8aa3b, v52
	v_sub_f32_e32 v53, v53, v55
	v_exp_f32_e32 v52, v52
	v_mul_f32_e32 v53, 0x3fb8aa3b, v53
	v_sub_f32_e32 v48, v48, v55
	v_exp_f32_e32 v53, v53
	v_mul_f32_e32 v48, 0x3fb8aa3b, v48
	v_sub_f32_e32 v49, v49, v55
	v_cndmask_b32_e64 v50, 0, v50, s[4:5]
	v_exp_f32_e32 v48, v48
	v_mul_f32_e32 v49, 0x3fb8aa3b, v49
	v_sub_f32_e32 v46, v46, v55
	v_add_f32_e32 v58, 0, v50
	v_cndmask_b32_e64 v51, 0, v51, s[34:35]
	v_exp_f32_e32 v49, v49
	v_mul_f32_e32 v46, 0x3fb8aa3b, v46
	v_sub_f32_e32 v47, v47, v55
	v_add_f32_e32 v58, v58, v51
	;; [unrolled: 5-line block ×10, first 2 shown]
	v_cndmask_b32_e64 v38, 0, v38, s[12:13]
	v_exp_f32_e32 v34, v34
	v_mul_f32_e32 v35, 0x3fb8aa3b, v35
	v_add_f32_e32 v58, v58, v38
	v_cndmask_b32_e64 v39, 0, v39, s[14:15]
	v_exp_f32_e32 v35, v35
	v_add_f32_e32 v58, v58, v39
	v_cndmask_b32_e64 v36, 0, v36, s[8:9]
	v_add_f32_e32 v58, v58, v36
	v_cndmask_b32_e64 v37, 0, v37, s[10:11]
	v_add_f32_e32 v58, v58, v37
	v_cndmask_b32_e32 v34, 0, v34, vcc
	v_add_f32_e32 v58, v58, v34
	v_cndmask_b32_e64 v35, 0, v35, s[6:7]
	v_add_f32_e32 v58, v58, v35
	ds_bpermute_b32 v56, v56, v58
	s_load_dword s7, s[0:1], 0x98
	v_cmp_gt_u32_e32 vcc, 16, v45
	v_lshlrev_b32_e32 v45, 2, v44
	s_waitcnt lgkmcnt(0)
	v_add_f32_e32 v56, v58, v56
	ds_bpermute_b32 v57, v57, v56
	s_barrier
	s_waitcnt lgkmcnt(0)
	s_and_saveexec_b64 s[4:5], vcc
	s_cbranch_execz .LBB546_17
; %bb.16:
	v_add_f32_e32 v56, v56, v57
	v_lshl_or_b32 v57, v1, 6, v45
	ds_write2st64_b32 v57, v55, v56 offset1:1
.LBB546_17:
	s_or_b64 exec, exec, s[4:5]
	s_load_dword s6, s[0:1], 0x94
	s_waitcnt lgkmcnt(0)
	s_barrier
	ds_read2_b32 v[56:57], v45 offset1:16
	ds_read2_b32 v[58:59], v45 offset0:32 offset1:48
	ds_read2_b32 v[60:61], v45 offset0:64 offset1:80
	;; [unrolled: 1-line block ×3, first 2 shown]
	s_movk_i32 s8, 0x7fff
	s_waitcnt lgkmcnt(3)
	v_max3_f32 v55, v56, s33, v57
	s_waitcnt lgkmcnt(2)
	v_max3_f32 v55, v55, v58, v59
	v_sub_f32_e32 v56, v56, v55
	v_mul_f32_e32 v56, 0x3fb8aa3b, v56
	v_exp_f32_e32 v64, v56
	v_sub_f32_e32 v56, v57, v55
	v_mul_f32_e32 v56, 0x3fb8aa3b, v56
	v_exp_f32_e32 v57, v56
	v_sub_f32_e32 v56, v58, v55
	v_mul_f32_e32 v56, 0x3fb8aa3b, v56
	v_sub_f32_e32 v45, v59, v55
	v_exp_f32_e32 v58, v56
	v_mul_f32_e32 v45, 0x3fb8aa3b, v45
	v_exp_f32_e32 v45, v45
	s_waitcnt lgkmcnt(1)
	v_fma_f32 v56, v64, v60, 0
	v_fmac_f32_e32 v56, v57, v61
	s_waitcnt lgkmcnt(0)
	v_fmac_f32_e32 v56, v58, v62
	v_fmac_f32_e32 v56, v45, v63
	v_add_f32_e32 v59, 0x358637bd, v56
	v_div_scale_f32 v60, s[4:5], v59, v59, 1.0
	v_rcp_f32_e32 v61, v60
	s_mov_b32 s9, 0x7060302
	s_mul_i32 s7, s7, 11
	v_fma_f32 v62, -v60, v61, 1.0
	v_fmac_f32_e32 v61, v62, v61
	v_div_scale_f32 v62, vcc, 1.0, v59, 1.0
	v_mul_f32_e32 v63, v62, v61
	v_fma_f32 v65, -v60, v63, v62
	v_fmac_f32_e32 v63, v65, v61
	v_fma_f32 v60, -v60, v63, v62
	v_div_fmas_f32 v60, v60, v61, v63
	v_cmp_eq_u32_e32 vcc, 1, v1
	v_div_fixup_f32 v59, v60, v59, 1.0
	s_barrier
	v_cndmask_b32_e32 v57, v64, v57, vcc
	v_cmp_eq_u32_e32 vcc, 2, v1
	s_nop 1
	v_cndmask_b32_e32 v57, v57, v58, vcc
	v_cmp_eq_u32_e32 vcc, 3, v1
	v_lshlrev_b32_e32 v1, 11, v1
	s_nop 0
	v_cndmask_b32_e32 v45, v57, v45, vcc
	v_mul_f32_e32 v58, v45, v59
	v_pk_mul_f32 v[50:51], v[58:59], v[50:51] op_sel_hi:[0,1]
	v_bfe_u32 v45, v51, 16, 1
	v_bfe_u32 v57, v50, 16, 1
	v_pk_mul_f32 v[52:53], v[58:59], v[52:53] op_sel_hi:[0,1]
	v_add3_u32 v50, v50, v57, s8
	v_add3_u32 v45, v51, v45, s8
	v_perm_b32 v60, v45, v50, s9
	v_bfe_u32 v45, v53, 16, 1
	v_bfe_u32 v50, v52, 16, 1
	v_add3_u32 v50, v52, v50, s8
	v_add3_u32 v45, v53, v45, s8
	v_perm_b32 v61, v45, v50, s9
	v_lshlrev_b32_e32 v45, 3, v54
	v_lshlrev_b32_e32 v50, 5, v44
	v_pk_mul_f32 v[48:49], v[58:59], v[48:49] op_sel_hi:[0,1]
	v_or3_b32 v1, v1, v50, v45
	v_bfe_u32 v45, v49, 16, 1
	v_bfe_u32 v51, v48, 16, 1
	v_pk_mul_f32 v[46:47], v[58:59], v[46:47] op_sel_hi:[0,1]
	v_add3_u32 v48, v48, v51, s8
	v_add3_u32 v45, v49, v45, s8
	v_perm_b32 v48, v45, v48, s9
	v_bfe_u32 v45, v47, 16, 1
	v_bfe_u32 v49, v46, 16, 1
	v_add3_u32 v46, v46, v49, s8
	v_add3_u32 v45, v47, v45, s8
	v_pk_mul_f32 v[40:41], v[58:59], v[40:41] op_sel_hi:[0,1]
	v_perm_b32 v49, v45, v46, s9
	v_bfe_u32 v45, v41, 16, 1
	v_bfe_u32 v46, v40, 16, 1
	v_pk_mul_f32 v[38:39], v[58:59], v[38:39] op_sel_hi:[0,1]
	v_add3_u32 v40, v40, v46, s8
	v_add3_u32 v41, v41, v45, s8
	v_perm_b32 v40, v41, v40, s9
	v_bfe_u32 v41, v39, 16, 1
	v_bfe_u32 v45, v38, 16, 1
	v_add3_u32 v38, v38, v45, s8
	v_add3_u32 v39, v39, v41, s8
	v_pk_mul_f32 v[36:37], v[58:59], v[36:37] op_sel_hi:[0,1]
	v_perm_b32 v41, v39, v38, s9
	v_bfe_u32 v38, v37, 16, 1
	v_bfe_u32 v39, v36, 16, 1
	v_pk_mul_f32 v[34:35], v[58:59], v[34:35] op_sel_hi:[0,1]
	v_add3_u32 v36, v36, v39, s8
	v_add3_u32 v37, v37, v38, s8
	v_perm_b32 v36, v37, v36, s9
	v_bfe_u32 v37, v35, 16, 1
	v_bfe_u32 v38, v34, 16, 1
	v_add3_u32 v34, v34, v38, s8
	v_add3_u32 v35, v35, v37, s8
	v_perm_b32 v37, v35, v34, s9
	v_cmp_gt_u32_e32 vcc, 11, v0
	ds_write2st64_b64 v1, v[60:61], v[48:49] offset1:1
	ds_write2st64_b64 v1, v[40:41], v[36:37] offset0:2 offset1:3
	s_and_saveexec_b64 s[4:5], vcc
	s_cbranch_execz .LBB546_19
; %bb.18:
	s_mov_b32 s43, 0
	v_mov_b32_e32 v45, 0
	v_lshl_add_u64 v[34:35], s[42:43], 0, v[44:45]
	v_mov_b32_e32 v36, s7
	v_mad_u64_u32 v[34:35], s[10:11], s2, v36, v[34:35]
	s_mul_i32 s3, s3, s7
	v_mov_b32_e32 v44, s28
	s_load_dwordx4 s[12:15], s[0:1], 0x58
	v_add_u32_e32 v37, s3, v35
	v_mad_u64_u32 v[34:35], s[10:11], v34, s6, v[44:45]
	v_mov_b32_e32 v36, v35
	v_mad_u64_u32 v[36:37], s[10:11], v37, s6, v[36:37]
	v_mov_b32_e32 v35, v36
	v_lshlrev_b64 v[34:35], 2, v[34:35]
	s_waitcnt lgkmcnt(0)
	v_lshl_add_u64 v[36:37], s[14:15], 0, v[34:35]
	v_lshl_add_u64 v[34:35], s[12:13], 0, v[34:35]
	global_store_dword v[36:37], v55, off
	global_store_dword v[34:35], v56, off
.LBB546_19:
	s_or_b64 exec, exec, s[4:5]
	v_lshl_or_b32 v48, v54, 9, v50
	s_waitcnt lgkmcnt(0)
	s_barrier
	ds_read_b128 v[34:37], v48
	ds_read_b128 v[38:41], v48 offset:16
	s_waitcnt vmcnt(7) lgkmcnt(1)
	v_mfma_f32_16x16x16_bf16 v[44:47], v[6:7], v[34:35], 0
	v_cmp_gt_u32_e32 vcc, 64, v0
	s_mov_b32 s3, 0
	s_and_b64 s[4:5], vcc, s[30:31]
	v_mfma_f32_16x16x16_bf16 v[6:9], v[8:9], v[36:37], v[44:47]
	s_waitcnt vmcnt(6) lgkmcnt(0)
	v_mfma_f32_16x16x16_bf16 v[6:9], v[2:3], v[38:39], v[6:9]
	v_mfma_f32_16x16x16_bf16 v[2:5], v[4:5], v[40:41], v[6:9]
	s_nop 5
	ds_read_b128 v[6:9], v48 offset:2048
	ds_read_b128 v[34:37], v48 offset:2064
	s_waitcnt vmcnt(5) lgkmcnt(1)
	v_mfma_f32_16x16x16_bf16 v[2:5], v[30:31], v[6:7], v[2:5]
	v_mfma_f32_16x16x16_bf16 v[2:5], v[32:33], v[8:9], v[2:5]
	s_waitcnt vmcnt(4) lgkmcnt(0)
	v_mfma_f32_16x16x16_bf16 v[2:5], v[26:27], v[34:35], v[2:5]
	v_mfma_f32_16x16x16_bf16 v[2:5], v[28:29], v[36:37], v[2:5]
	ds_read_b128 v[6:9], v48 offset:4096
	ds_read_b128 v[26:29], v48 offset:4112
	s_waitcnt vmcnt(3) lgkmcnt(1)
	v_mfma_f32_16x16x16_bf16 v[2:5], v[22:23], v[6:7], v[2:5]
	v_mfma_f32_16x16x16_bf16 v[2:5], v[24:25], v[8:9], v[2:5]
	s_waitcnt vmcnt(2) lgkmcnt(0)
	v_mfma_f32_16x16x16_bf16 v[2:5], v[18:19], v[26:27], v[2:5]
	v_mfma_f32_16x16x16_bf16 v[2:5], v[20:21], v[28:29], v[2:5]
	ds_read_b128 v[6:9], v48 offset:6144
	ds_read_b128 v[18:21], v48 offset:6160
	s_waitcnt lgkmcnt(0)
	s_barrier
	s_waitcnt vmcnt(1)
	v_mfma_f32_16x16x16_bf16 v[2:5], v[14:15], v[6:7], v[2:5]
	v_mfma_f32_16x16x16_bf16 v[2:5], v[16:17], v[8:9], v[2:5]
	s_waitcnt vmcnt(0)
	v_mfma_f32_16x16x16_bf16 v[2:5], v[10:11], v[18:19], v[2:5]
	v_mfma_f32_16x16x16_bf16 v[2:5], v[12:13], v[20:21], v[2:5]
	s_nop 6
	v_bfe_u32 v6, v3, 16, 1
	v_bfe_u32 v7, v2, 16, 1
	;; [unrolled: 1-line block ×4, first 2 shown]
	v_add3_u32 v2, v2, v7, s8
	v_add3_u32 v3, v3, v6, s8
	;; [unrolled: 1-line block ×4, first 2 shown]
	v_perm_b32 v2, v3, v2, s9
	v_perm_b32 v3, v5, v4, s9
	ds_write_b64 v1, v[2:3]
	s_waitcnt lgkmcnt(0)
	s_barrier
	s_and_saveexec_b64 s[8:9], s[4:5]
	s_cbranch_execz .LBB546_22
; %bb.20:
	s_load_dwordx2 s[4:5], s[0:1], 0x68
	s_lshl_b32 s0, s6, 6
	s_mul_i32 s1, s7, s2
	s_mul_hi_u32 s7, s1, s0
	s_mul_i32 s6, s1, s0
	v_lshlrev_b32_e32 v1, 10, v0
	v_lshlrev_b32_e32 v0, 4, v0
	s_lshl_b64 s[6:7], s[6:7], 1
	v_and_b32_e32 v1, 0x1800, v1
	v_lshlrev_b32_e32 v2, 5, v54
	v_and_b32_e32 v0, 16, v0
	s_waitcnt lgkmcnt(0)
	s_add_u32 s1, s4, s6
	v_or3_b32 v2, v1, v2, v0
	s_addc_u32 s4, s5, s7
	s_lshl_b32 s2, s28, 6
	s_lshl_b64 s[2:3], s[2:3], 1
	ds_read_b128 v[4:7], v2 offset:128
	ds_read_b128 v[8:11], v2
	s_add_u32 s2, s1, s2
	s_addc_u32 s3, s4, s3
	v_add_u32_e32 v3, s42, v54
	v_lshl_add_u64 v[0:1], v[42:43], 1, s[2:3]
	v_mad_u64_u32 v[12:13], s[2:3], v3, s0, 0
	v_lshl_add_u64 v[12:13], v[12:13], 1, v[0:1]
	v_add_u32_e32 v3, 4, v3
	s_waitcnt lgkmcnt(0)
	global_store_dwordx4 v[12:13], v[8:11], off
	v_cmp_ne_u32_e32 vcc, 3, v54
	s_nop 0
	v_mad_u64_u32 v[8:9], s[2:3], v3, s0, 0
	v_lshl_add_u64 v[8:9], v[8:9], 1, v[0:1]
	global_store_dwordx4 v[8:9], v[4:7], off
	s_and_b64 exec, exec, vcc
	s_cbranch_execz .LBB546_22
; %bb.21:
	ds_read_b128 v[2:5], v2 offset:256
	v_add3_u32 v6, s42, v54, 8
	v_mad_u64_u32 v[6:7], s[0:1], v6, s0, 0
	v_lshl_add_u64 v[0:1], v[6:7], 1, v[0:1]
	s_waitcnt lgkmcnt(0)
	global_store_dwordx4 v[0:1], v[2:5], off
.LBB546_22:
	s_endpgm
	.section	.rodata,"a",@progbits
	.p2align	6, 0x0
	.amdhsa_kernel _Z39paged_attention_ll4mi_QKV_mfma16_kernelI14__hip_bfloat16S0_LN4vllm18Fp8KVCacheDataTypeE0ES0_Li32ELi64ELi256ELb1ELi11EEvPKT_PKT0_S8_ifPKiSA_SA_iPKfiiiPfSD_PS3_PT2_iSC_SC_
		.amdhsa_group_segment_fixed_size 8192
		.amdhsa_private_segment_fixed_size 0
		.amdhsa_kernarg_size 400
		.amdhsa_user_sgpr_count 2
		.amdhsa_user_sgpr_dispatch_ptr 0
		.amdhsa_user_sgpr_queue_ptr 0
		.amdhsa_user_sgpr_kernarg_segment_ptr 1
		.amdhsa_user_sgpr_dispatch_id 0
		.amdhsa_user_sgpr_kernarg_preload_length 0
		.amdhsa_user_sgpr_kernarg_preload_offset 0
		.amdhsa_user_sgpr_private_segment_size 0
		.amdhsa_uses_dynamic_stack 0
		.amdhsa_enable_private_segment 0
		.amdhsa_system_sgpr_workgroup_id_x 1
		.amdhsa_system_sgpr_workgroup_id_y 1
		.amdhsa_system_sgpr_workgroup_id_z 1
		.amdhsa_system_sgpr_workgroup_info 0
		.amdhsa_system_vgpr_workitem_id 0
		.amdhsa_next_free_vgpr 73
		.amdhsa_next_free_sgpr 48
		.amdhsa_accum_offset 76
		.amdhsa_reserve_vcc 1
		.amdhsa_float_round_mode_32 0
		.amdhsa_float_round_mode_16_64 0
		.amdhsa_float_denorm_mode_32 3
		.amdhsa_float_denorm_mode_16_64 3
		.amdhsa_dx10_clamp 1
		.amdhsa_ieee_mode 1
		.amdhsa_fp16_overflow 0
		.amdhsa_tg_split 0
		.amdhsa_exception_fp_ieee_invalid_op 0
		.amdhsa_exception_fp_denorm_src 0
		.amdhsa_exception_fp_ieee_div_zero 0
		.amdhsa_exception_fp_ieee_overflow 0
		.amdhsa_exception_fp_ieee_underflow 0
		.amdhsa_exception_fp_ieee_inexact 0
		.amdhsa_exception_int_div_zero 0
	.end_amdhsa_kernel
	.section	.text._Z39paged_attention_ll4mi_QKV_mfma16_kernelI14__hip_bfloat16S0_LN4vllm18Fp8KVCacheDataTypeE0ES0_Li32ELi64ELi256ELb1ELi11EEvPKT_PKT0_S8_ifPKiSA_SA_iPKfiiiPfSD_PS3_PT2_iSC_SC_,"axG",@progbits,_Z39paged_attention_ll4mi_QKV_mfma16_kernelI14__hip_bfloat16S0_LN4vllm18Fp8KVCacheDataTypeE0ES0_Li32ELi64ELi256ELb1ELi11EEvPKT_PKT0_S8_ifPKiSA_SA_iPKfiiiPfSD_PS3_PT2_iSC_SC_,comdat
.Lfunc_end546:
	.size	_Z39paged_attention_ll4mi_QKV_mfma16_kernelI14__hip_bfloat16S0_LN4vllm18Fp8KVCacheDataTypeE0ES0_Li32ELi64ELi256ELb1ELi11EEvPKT_PKT0_S8_ifPKiSA_SA_iPKfiiiPfSD_PS3_PT2_iSC_SC_, .Lfunc_end546-_Z39paged_attention_ll4mi_QKV_mfma16_kernelI14__hip_bfloat16S0_LN4vllm18Fp8KVCacheDataTypeE0ES0_Li32ELi64ELi256ELb1ELi11EEvPKT_PKT0_S8_ifPKiSA_SA_iPKfiiiPfSD_PS3_PT2_iSC_SC_
                                        ; -- End function
	.section	.AMDGPU.csdata,"",@progbits
; Kernel info:
; codeLenInByte = 4436
; NumSgprs: 54
; NumVgprs: 73
; NumAgprs: 0
; TotalNumVgprs: 73
; ScratchSize: 0
; MemoryBound: 0
; FloatMode: 240
; IeeeMode: 1
; LDSByteSize: 8192 bytes/workgroup (compile time only)
; SGPRBlocks: 6
; VGPRBlocks: 9
; NumSGPRsForWavesPerEU: 54
; NumVGPRsForWavesPerEU: 73
; AccumOffset: 76
; Occupancy: 6
; WaveLimiterHint : 1
; COMPUTE_PGM_RSRC2:SCRATCH_EN: 0
; COMPUTE_PGM_RSRC2:USER_SGPR: 2
; COMPUTE_PGM_RSRC2:TRAP_HANDLER: 0
; COMPUTE_PGM_RSRC2:TGID_X_EN: 1
; COMPUTE_PGM_RSRC2:TGID_Y_EN: 1
; COMPUTE_PGM_RSRC2:TGID_Z_EN: 1
; COMPUTE_PGM_RSRC2:TIDIG_COMP_CNT: 0
; COMPUTE_PGM_RSRC3_GFX90A:ACCUM_OFFSET: 18
; COMPUTE_PGM_RSRC3_GFX90A:TG_SPLIT: 0
	.section	.text._Z39paged_attention_ll4mi_QKV_mfma16_kernelI14__hip_bfloat16S0_LN4vllm18Fp8KVCacheDataTypeE0ES0_Li32ELi64ELi256ELb1ELi12EEvPKT_PKT0_S8_ifPKiSA_SA_iPKfiiiPfSD_PS3_PT2_iSC_SC_,"axG",@progbits,_Z39paged_attention_ll4mi_QKV_mfma16_kernelI14__hip_bfloat16S0_LN4vllm18Fp8KVCacheDataTypeE0ES0_Li32ELi64ELi256ELb1ELi12EEvPKT_PKT0_S8_ifPKiSA_SA_iPKfiiiPfSD_PS3_PT2_iSC_SC_,comdat
	.protected	_Z39paged_attention_ll4mi_QKV_mfma16_kernelI14__hip_bfloat16S0_LN4vllm18Fp8KVCacheDataTypeE0ES0_Li32ELi64ELi256ELb1ELi12EEvPKT_PKT0_S8_ifPKiSA_SA_iPKfiiiPfSD_PS3_PT2_iSC_SC_ ; -- Begin function _Z39paged_attention_ll4mi_QKV_mfma16_kernelI14__hip_bfloat16S0_LN4vllm18Fp8KVCacheDataTypeE0ES0_Li32ELi64ELi256ELb1ELi12EEvPKT_PKT0_S8_ifPKiSA_SA_iPKfiiiPfSD_PS3_PT2_iSC_SC_
	.globl	_Z39paged_attention_ll4mi_QKV_mfma16_kernelI14__hip_bfloat16S0_LN4vllm18Fp8KVCacheDataTypeE0ES0_Li32ELi64ELi256ELb1ELi12EEvPKT_PKT0_S8_ifPKiSA_SA_iPKfiiiPfSD_PS3_PT2_iSC_SC_
	.p2align	8
	.type	_Z39paged_attention_ll4mi_QKV_mfma16_kernelI14__hip_bfloat16S0_LN4vllm18Fp8KVCacheDataTypeE0ES0_Li32ELi64ELi256ELb1ELi12EEvPKT_PKT0_S8_ifPKiSA_SA_iPKfiiiPfSD_PS3_PT2_iSC_SC_,@function
_Z39paged_attention_ll4mi_QKV_mfma16_kernelI14__hip_bfloat16S0_LN4vllm18Fp8KVCacheDataTypeE0ES0_Li32ELi64ELi256ELb1ELi12EEvPKT_PKT0_S8_ifPKiSA_SA_iPKfiiiPfSD_PS3_PT2_iSC_SC_: ; @_Z39paged_attention_ll4mi_QKV_mfma16_kernelI14__hip_bfloat16S0_LN4vllm18Fp8KVCacheDataTypeE0ES0_Li32ELi64ELi256ELb1ELi12EEvPKT_PKT0_S8_ifPKiSA_SA_iPKfiiiPfSD_PS3_PT2_iSC_SC_
; %bb.0:
	s_load_dwordx2 s[6:7], s[0:1], 0x30
	s_mov_b32 s28, s3
	s_mov_b64 s[8:9], 0
	s_waitcnt lgkmcnt(0)
	s_cmp_lg_u64 s[6:7], 0
	s_cselect_b64 s[10:11], -1, 0
	s_and_b64 vcc, exec, s[10:11]
	s_cbranch_vccz .LBB547_7
; %bb.1:
	s_add_i32 s12, s2, 1
	s_mov_b32 s13, 0
	s_lshl_b64 s[14:15], s[12:13], 2
	s_add_u32 s14, s6, s14
	s_mov_b32 s3, s13
	s_addc_u32 s15, s7, s15
	s_lshl_b64 s[12:13], s[2:3], 2
	s_add_u32 s12, s6, s12
	s_addc_u32 s13, s7, s13
	s_load_dword s5, s[14:15], 0x0
	s_load_dword s16, s[12:13], 0x0
	s_waitcnt lgkmcnt(0)
	s_sub_i32 s5, s5, s16
	s_cmp_eq_u32 s5, 1
	s_cselect_b64 s[12:13], -1, 0
	s_andn2_b64 vcc, exec, s[8:9]
	s_cbranch_vccnz .LBB547_3
.LBB547_2:
	s_mov_b32 s3, 0
	s_mov_b64 s[12:13], -1
.LBB547_3:
	s_andn2_b64 vcc, exec, s[12:13]
	s_cbranch_vccnz .LBB547_21
; %bb.4:
	s_load_dwordx2 s[8:9], s[0:1], 0x28
	s_lshl_b64 s[12:13], s[2:3], 2
	s_waitcnt lgkmcnt(0)
	s_add_u32 s8, s8, s12
	s_addc_u32 s9, s9, s13
	s_load_dword s29, s[8:9], 0x0
	s_lshl_b32 s14, s28, 8
	s_waitcnt lgkmcnt(0)
	s_cmp_ge_i32 s14, s29
	s_cbranch_scc1 .LBB547_21
; %bb.5:
	s_load_dwordx2 s[8:9], s[0:1], 0x20
	s_load_dword s5, s[0:1], 0x38
	s_add_i32 s15, s29, 31
	s_ashr_i32 s16, s15, 31
	v_and_b32_e32 v1, 0xcf, v0
	s_lshr_b32 s16, s16, 27
	v_add_u32_e32 v1, s14, v1
	s_add_i32 s15, s15, s16
	v_ashrrev_i32_e32 v2, 31, v1
	s_ashr_i32 s15, s15, 5
	v_lshrrev_b32_e32 v6, 27, v2
	s_add_i32 s15, s15, -1
	s_waitcnt lgkmcnt(0)
	s_mul_i32 s16, s2, s5
	s_mov_b32 s17, 0
	v_add_u32_e32 v2, v1, v6
	s_lshl_b64 s[16:17], s[16:17], 2
	v_ashrrev_i32_e32 v2, 5, v2
	v_mov_b32_e32 v7, s15
	v_cmp_gt_i32_e32 vcc, s29, v1
	s_add_u32 s8, s8, s16
	s_addc_u32 s9, s9, s17
	v_cndmask_b32_e32 v2, v7, v2, vcc
	v_ashrrev_i32_e32 v3, 31, v2
	v_lshl_add_u64 v[4:5], v[2:3], 2, s[8:9]
	v_or_b32_e32 v2, 16, v1
	v_add_u32_e32 v3, v2, v6
	v_ashrrev_i32_e32 v3, 5, v3
	v_cmp_gt_i32_e32 vcc, s29, v2
	s_nop 1
	v_cndmask_b32_e32 v2, v7, v3, vcc
	v_ashrrev_i32_e32 v3, 31, v2
	v_lshl_add_u64 v[8:9], v[2:3], 2, s[8:9]
	v_or_b32_e32 v2, 32, v1
	v_add_u32_e32 v3, v2, v6
	v_ashrrev_i32_e32 v3, 5, v3
	v_cmp_gt_i32_e32 vcc, s29, v2
	v_or_b32_e32 v1, 48, v1
	s_nop 0
	v_cndmask_b32_e32 v2, v7, v3, vcc
	v_ashrrev_i32_e32 v3, 31, v2
	v_lshl_add_u64 v[12:13], v[2:3], 2, s[8:9]
	v_add_u32_e32 v2, v1, v6
	v_ashrrev_i32_e32 v2, 5, v2
	v_cmp_gt_i32_e32 vcc, s29, v1
	s_nop 1
	v_cndmask_b32_e32 v2, v7, v2, vcc
	v_ashrrev_i32_e32 v3, 31, v2
	v_lshl_add_u64 v[16:17], v[2:3], 2, s[8:9]
	global_load_dword v2, v[4:5], off
	global_load_dword v6, v[8:9], off
	;; [unrolled: 1-line block ×4, first 2 shown]
	s_andn2_b64 vcc, exec, s[10:11]
	s_cbranch_vccnz .LBB547_8
; %bb.6:
	s_add_u32 s6, s6, s12
	s_addc_u32 s7, s7, s13
	s_load_dword s5, s[6:7], 0x0
	s_branch .LBB547_9
.LBB547_7:
	s_mov_b64 s[12:13], 0
	s_branch .LBB547_2
.LBB547_8:
	s_mov_b32 s5, s2
.LBB547_9:
	s_load_dwordx2 s[10:11], s[0:1], 0x8
	s_load_dwordx4 s[44:47], s[0:1], 0x48
	v_and_b32_e32 v44, 15, v0
	s_movk_i32 s6, 0xbf
	v_cmp_lt_u32_e32 vcc, s6, v0
	v_cmp_lt_u32_e64 s[6:7], 7, v44
	v_lshlrev_b32_e32 v42, 3, v44
	v_cmp_gt_u32_e64 s[30:31], 8, v44
	s_or_b64 s[6:7], vcc, s[6:7]
	s_and_saveexec_b64 s[12:13], s[6:7]
	s_xor_b64 s[6:7], exec, s[12:13]
; %bb.10:
	v_mov_b32_e32 v43, 0
; %bb.11:
	s_or_saveexec_b64 s[12:13], s[6:7]
	s_load_dwordx2 s[6:7], s[0:1], 0x10
	v_lshrrev_b32_e32 v45, 6, v0
	v_bfe_u32 v1, v0, 4, 2
	s_mul_i32 s42, s4, 12
	s_xor_b64 exec, exec, s[12:13]
	s_cbranch_execz .LBB547_13
; %bb.12:
	s_load_dwordx2 s[16:17], s[0:1], 0x0
	s_waitcnt lgkmcnt(0)
	s_ashr_i32 s18, s44, 31
	s_mul_hi_u32 s19, s5, s44
	s_mul_i32 s18, s5, s18
	s_add_i32 s19, s19, s18
	s_mul_i32 s18, s5, s44
	v_lshl_or_b32 v3, v45, 2, v1
	s_lshl_b64 s[18:19], s[18:19], 1
	s_add_u32 s16, s16, s18
	v_add_lshl_u32 v4, v3, s42, 6
	s_addc_u32 s17, s17, s19
	v_ashrrev_i32_e32 v5, 31, v4
	v_mov_b32_e32 v43, 0
	v_lshl_add_u64 v[4:5], v[4:5], 1, s[16:17]
	v_lshlrev_b32_e32 v8, 1, v42
	v_mov_b32_e32 v9, v43
	v_lshl_add_u64 v[4:5], v[4:5], 0, v[8:9]
	global_load_dwordx4 v[16:19], v[4:5], off
	v_and_b32_e32 v4, 3, v0
	v_lshlrev_b32_e32 v5, 9, v44
	v_lshlrev_b32_e32 v3, 5, v3
	;; [unrolled: 1-line block ×3, first 2 shown]
	v_and_b32_e32 v5, 0x1800, v5
	v_or3_b32 v3, v5, v4, v3
	s_waitcnt vmcnt(0)
	ds_write_b128 v3, v[16:19]
.LBB547_13:
	s_or_b64 exec, exec, s[12:13]
	s_waitcnt lgkmcnt(0)
	s_mul_i32 s4, s4, s46
	s_mov_b32 s5, 0
	s_lshl_b64 s[4:5], s[4:5], 1
	s_add_u32 s10, s10, s4
	s_addc_u32 s11, s11, s5
	s_waitcnt vmcnt(3)
	v_mad_i64_i32 v[2:3], s[12:13], v2, s45, 0
	v_lshl_add_u64 v[2:3], v[2:3], 1, s[10:11]
	v_lshlrev_b64 v[12:13], 1, v[42:43]
	v_lshlrev_b32_e32 v46, 9, v1
	v_lshl_add_u64 v[2:3], v[2:3], 0, v[12:13]
	v_mov_b32_e32 v47, 0
	v_lshl_add_u64 v[8:9], v[2:3], 0, v[46:47]
	s_barrier
	global_load_dwordx4 v[22:25], v[8:9], off
	global_load_dwordx4 v[2:5], v[8:9], off offset:2048
	s_waitcnt vmcnt(4)
	v_mad_i64_i32 v[6:7], s[12:13], v6, s45, 0
	v_mov_b32_e32 v8, 0x100
	v_lshl_add_u64 v[6:7], v[6:7], 1, s[10:11]
	v_lshl_or_b32 v16, v44, 4, v8
	v_mov_b32_e32 v17, v47
	s_waitcnt vmcnt(3)
	v_mad_i64_i32 v[10:11], s[12:13], v10, s45, 0
	v_lshl_add_u64 v[6:7], v[6:7], 0, v[16:17]
	v_lshl_add_u64 v[10:11], v[10:11], 1, s[10:11]
	s_waitcnt vmcnt(2)
	v_mad_i64_i32 v[14:15], s[12:13], v14, s45, 0
	v_lshl_add_u64 v[18:19], v[6:7], 0, v[46:47]
	v_lshl_add_u64 v[10:11], v[10:11], 0, v[12:13]
	;; [unrolled: 1-line block ×3, first 2 shown]
	global_load_dwordx4 v[26:29], v[18:19], off
	global_load_dwordx4 v[6:9], v[18:19], off offset:2048
	v_lshl_add_u64 v[18:19], v[10:11], 0, v[46:47]
	v_lshl_add_u64 v[14:15], v[14:15], 0, v[16:17]
	global_load_dwordx4 v[30:33], v[18:19], off
	global_load_dwordx4 v[10:13], v[18:19], off offset:2048
	v_lshl_add_u64 v[18:19], v[14:15], 0, v[46:47]
	global_load_dwordx4 v[34:37], v[18:19], off
	global_load_dwordx4 v[14:17], v[18:19], off offset:2048
	v_add_u32_e32 v18, -12, v44
	v_cmp_gt_u32_e32 vcc, 12, v44
	v_and_b32_e32 v54, 63, v0
	v_mov_b32_e32 v50, 0
	v_cndmask_b32_e32 v18, v18, v44, vcc
	v_lshl_add_u32 v18, v18, 5, v46
	ds_read_b128 v[38:41], v18
	ds_read_b128 v[18:21], v18 offset:2048
	s_and_saveexec_b64 s[10:11], vcc
	s_cbranch_execz .LBB547_15
; %bb.14:
	s_load_dwordx2 s[12:13], s[0:1], 0x40
	v_add_u32_e32 v48, s42, v44
	v_ashrrev_i32_e32 v49, 31, v48
	s_waitcnt lgkmcnt(0)
	v_lshl_add_u64 v[48:49], v[48:49], 2, s[12:13]
	global_load_dword v50, v[48:49], off
.LBB547_15:
	s_or_b64 exec, exec, s[10:11]
	s_ashr_i32 s10, s14, 31
	v_and_or_b32 v46, v0, 48, s14
	s_lshr_b32 s11, s10, 27
	v_add_u32_e32 v48, s11, v46
	v_or_b32_e32 v52, 64, v46
	v_ashrrev_i32_e32 v48, 5, v48
	v_mov_b32_e32 v51, s15
	v_cmp_gt_i32_e32 vcc, s29, v46
	v_add_u32_e32 v53, s11, v52
	s_waitcnt vmcnt(7) lgkmcnt(1)
	v_mfma_f32_16x16x16_bf16 v[56:59], v[22:23], v[38:39], 0
	v_cndmask_b32_e32 v48, v51, v48, vcc
	v_ashrrev_i32_e32 v22, 5, v53
	v_cmp_gt_i32_e32 vcc, s29, v52
	v_ashrrev_i32_e32 v49, 31, v48
	v_lshl_add_u64 v[48:49], v[48:49], 2, s[8:9]
	v_cndmask_b32_e32 v22, v51, v22, vcc
	v_ashrrev_i32_e32 v23, 31, v22
	v_lshl_add_u64 v[22:23], v[22:23], 2, s[8:9]
	global_load_dword v55, v[48:49], off
	global_load_dword v72, v[22:23], off
	s_waitcnt vmcnt(3)
	v_mfma_f32_16x16x16_bf16 v[68:71], v[34:35], v[38:39], 0
	v_or_b32_e32 v48, 0xc0, v46
	v_add_u32_e32 v52, s11, v48
	s_add_u32 s4, s6, s4
	v_mfma_f32_16x16x16_bf16 v[60:63], v[26:27], v[38:39], 0
	s_addc_u32 s5, s7, s5
	s_load_dword s10, s[0:1], 0x1c
	s_mov_b32 s33, 0xff7fffff
	v_mfma_f32_16x16x16_bf16 v[64:67], v[30:31], v[38:39], 0
	v_and_b32_e32 v31, 0xc0, v0
	v_or_b32_e32 v38, 0x80, v46
	v_add_u32_e32 v34, s14, v31
	v_mfma_f32_16x16x16_bf16 v[22:25], v[24:25], v[40:41], v[56:59]
	v_and_b32_e32 v30, 16, v0
	v_add_u32_e32 v49, s11, v38
	v_lshlrev_b32_e32 v46, 1, v30
	v_lshl_or_b32 v56, v1, 2, v34
	v_mfma_f32_16x16x16_bf16 v[34:37], v[36:37], v[40:41], v[68:71]
	v_cmp_gt_i32_e32 vcc, s29, v38
	v_lshlrev_b32_e32 v39, 6, v44
	v_or_b32_e32 v57, 1, v56
	v_mfma_f32_16x16x16_bf16 v[26:29], v[28:29], v[40:41], v[60:63]
	v_cmp_gt_i32_e64 s[34:35], s29, v57
	v_mfma_f32_16x16x16_bf16 v[30:33], v[32:33], v[40:41], v[64:67]
	v_ashrrev_i32_e32 v40, 5, v49
	v_ashrrev_i32_e32 v41, 5, v52
	v_cndmask_b32_e32 v38, v51, v40, vcc
	v_cmp_gt_i32_e32 vcc, s29, v48
	s_waitcnt lgkmcnt(0)
	v_mfma_f32_16x16x16_bf16 v[22:25], v[2:3], v[18:19], v[22:25]
	v_lshl_add_u64 v[2:3], s[4:5], 0, v[46:47]
	v_cndmask_b32_e32 v40, v51, v41, vcc
	v_lshl_or_b32 v46, v45, 10, v39
	v_ashrrev_i32_e32 v39, 31, v38
	v_ashrrev_i32_e32 v41, 31, v40
	s_waitcnt vmcnt(2)
	v_mfma_f32_16x16x16_bf16 v[34:37], v[14:15], v[18:19], v[34:37]
	v_lshl_add_u64 v[14:15], v[38:39], 2, s[8:9]
	v_subrev_u32_e32 v51, s29, v57
	v_cvt_f32_i32_e32 v58, v51
	v_mfma_f32_16x16x16_bf16 v[26:29], v[6:7], v[18:19], v[26:29]
	v_mfma_f32_16x16x16_bf16 v[30:33], v[10:11], v[18:19], v[30:33]
	v_lshl_add_u64 v[18:19], v[40:41], 2, s[8:9]
	global_load_dword v59, v[14:15], off
	global_load_dword v60, v[18:19], off
	v_lshl_add_u64 v[10:11], v[2:3], 0, v[46:47]
	v_mfma_f32_16x16x16_bf16 v[2:5], v[4:5], v[20:21], v[22:25]
	v_add_u32_e32 v46, 1, v51
	v_add_u32_e32 v47, 3, v51
	;; [unrolled: 1-line block ×3, first 2 shown]
	v_mfma_f32_16x16x16_bf16 v[14:17], v[16:17], v[20:21], v[34:37]
	v_add_u32_e32 v22, 2, v51
	s_nop 1
	v_pk_mul_f32 v[52:53], s[10:11], v[4:5] op_sel_hi:[0,1]
	v_cvt_f32_i32_e32 v18, v18
	v_mfma_f32_16x16x16_bf16 v[6:9], v[8:9], v[20:21], v[26:29]
	v_add_u32_e32 v19, 19, v51
	v_pk_mul_f32 v[34:35], s[10:11], v[16:17] op_sel_hi:[0,1]
	v_pk_mul_f32 v[36:37], s[10:11], v[14:15] op_sel_hi:[0,1]
	v_cvt_f32_i32_e32 v27, v22
	v_mfma_f32_16x16x16_bf16 v[22:25], v[12:13], v[20:21], v[30:33]
	v_pk_mul_f32 v[12:13], s[10:11], v[2:3] op_sel_hi:[0,1]
	v_cvt_f32_i32_e32 v26, v46
	v_cvt_f32_i32_e32 v28, v47
	v_pk_mul_f32 v[46:47], s[10:11], v[8:9] op_sel_hi:[0,1]
	v_pk_mul_f32 v[48:49], s[10:11], v[6:7] op_sel_hi:[0,1]
	v_cvt_f32_i32_e32 v19, v19
	v_fma_f32 v46, v50, v18, v46
	v_add_u32_e32 v18, 34, v51
	v_cvt_f32_i32_e32 v18, v18
	v_fmac_f32_e32 v47, v50, v19
	v_add_u32_e32 v19, 35, v51
	v_cvt_f32_i32_e32 v19, v19
	v_pk_mul_f32 v[40:41], s[10:11], v[22:23] op_sel_hi:[0,1]
	v_pk_mul_f32 v[38:39], s[10:11], v[24:25] op_sel_hi:[0,1]
	v_fma_f32 v38, v50, v18, v38
	v_add_u32_e32 v18, 50, v51
	s_waitcnt vmcnt(3)
	v_mad_i64_i32 v[2:3], s[4:5], v55, s45, 0
	s_waitcnt vmcnt(2)
	v_mad_i64_i32 v[4:5], s[4:5], v72, s45, 0
	v_lshl_add_u64 v[16:17], v[2:3], 1, v[10:11]
	v_lshl_add_u64 v[14:15], v[4:5], 1, v[10:11]
	global_load_dwordx4 v[6:9], v[16:17], off
	global_load_dwordx4 v[2:5], v[16:17], off offset:16
	v_add_u32_e32 v16, 16, v51
	v_cvt_f32_i32_e32 v16, v16
	v_add_u32_e32 v17, 17, v51
	v_cvt_f32_i32_e32 v17, v17
	v_fmac_f32_e32 v39, v50, v19
	v_fma_f32 v48, v50, v16, v48
	v_add_u32_e32 v16, 32, v51
	v_fmac_f32_e32 v49, v50, v17
	v_cvt_f32_i32_e32 v16, v16
	v_add_u32_e32 v17, 33, v51
	v_cvt_f32_i32_e32 v17, v17
	v_cvt_f32_i32_e32 v18, v18
	v_fma_f32 v40, v50, v16, v40
	v_add_u32_e32 v16, 48, v51
	v_fmac_f32_e32 v41, v50, v17
	v_cvt_f32_i32_e32 v16, v16
	v_add_u32_e32 v17, 49, v51
	v_cvt_f32_i32_e32 v17, v17
	v_add_u32_e32 v19, 51, v51
	v_cvt_f32_i32_e32 v19, v19
	v_fma_f32 v12, v50, v58, v12
	v_fmac_f32_e32 v13, v50, v26
	v_fma_f32 v36, v50, v16, v36
	v_mov_b32_e32 v16, 0xff7fffff
	v_cmp_gt_i32_e64 s[4:5], s29, v56
	v_fmac_f32_e32 v37, v50, v17
	v_fma_f32 v34, v50, v18, v34
	v_cndmask_b32_e64 v17, v16, v12, s[4:5]
	v_cndmask_b32_e64 v18, v16, v13, s[34:35]
	v_fmac_f32_e32 v35, v50, v19
	v_max3_f32 v17, v17, s33, v18
	v_or_b32_e32 v18, 2, v56
	v_or_b32_e32 v19, 3, v56
	v_fma_f32 v52, v50, v27, v52
	v_fmac_f32_e32 v53, v50, v28
	v_cmp_gt_i32_e64 s[36:37], s29, v18
	v_cmp_gt_i32_e64 s[38:39], s29, v19
	global_load_dwordx4 v[30:33], v[14:15], off
	global_load_dwordx4 v[26:29], v[14:15], off offset:16
	v_cndmask_b32_e64 v18, v16, v52, s[36:37]
	v_cndmask_b32_e64 v19, v16, v53, s[38:39]
	v_max3_f32 v17, v17, v18, v19
	v_or_b32_e32 v18, 16, v56
	v_or_b32_e32 v19, 17, v56
	v_cmp_gt_i32_e64 s[24:25], s29, v18
	v_cmp_gt_i32_e64 s[26:27], s29, v19
	s_nop 0
	v_cndmask_b32_e64 v18, v16, v48, s[24:25]
	v_cndmask_b32_e64 v19, v16, v49, s[26:27]
	v_max3_f32 v17, v17, v18, v19
	v_or_b32_e32 v18, 18, v56
	v_or_b32_e32 v19, 19, v56
	v_cmp_gt_i32_e64 s[20:21], s29, v18
	v_cmp_gt_i32_e64 s[22:23], s29, v19
	s_nop 0
	;; [unrolled: 8-line block ×5, first 2 shown]
	v_cndmask_b32_e64 v18, v16, v36, s[8:9]
	v_cndmask_b32_e64 v19, v16, v37, s[10:11]
	v_max3_f32 v17, v17, v18, v19
	v_or_b32_e32 v18, 50, v56
	v_or_b32_e32 v19, 51, v56
	v_cmp_gt_i32_e32 vcc, s29, v18
	v_cmp_gt_i32_e64 s[6:7], s29, v19
	s_nop 0
	v_cndmask_b32_e32 v18, v16, v34, vcc
	v_cndmask_b32_e64 v16, v16, v35, s[6:7]
	v_max3_f32 v16, v17, v18, v16
	v_mbcnt_lo_u32_b32 v17, -1, 0
	v_mbcnt_hi_u32_b32 v17, -1, v17
	v_and_b32_e32 v18, 64, v17
	v_add_u32_e32 v18, 64, v18
	v_xor_b32_e32 v19, 32, v17
	v_cmp_lt_i32_e64 s[40:41], v19, v18
	s_nop 1
	v_cndmask_b32_e64 v19, v17, v19, s[40:41]
	v_lshlrev_b32_e32 v56, 2, v19
	ds_bpermute_b32 v19, v56, v16
	s_waitcnt vmcnt(5)
	v_mad_i64_i32 v[14:15], s[40:41], v59, s45, 0
	v_lshl_add_u64 v[14:15], v[14:15], 1, v[10:11]
	s_waitcnt lgkmcnt(0)
	v_max_f32_e32 v19, v19, v19
	v_max_f32_e32 v16, v16, v19
	v_xor_b32_e32 v19, 16, v17
	v_cmp_lt_i32_e64 s[40:41], v19, v18
	s_nop 1
	v_cndmask_b32_e64 v17, v17, v19, s[40:41]
	v_lshlrev_b32_e32 v58, 2, v17
	ds_bpermute_b32 v17, v58, v16
	global_load_dwordx4 v[22:25], v[14:15], off
	global_load_dwordx4 v[18:21], v[14:15], off offset:16
	s_waitcnt vmcnt(6)
	v_mad_i64_i32 v[14:15], s[40:41], v60, s45, 0
	v_lshl_add_u64 v[10:11], v[14:15], 1, v[10:11]
	s_waitcnt lgkmcnt(0)
	v_max_f32_e32 v14, v17, v17
	v_max_f32_e32 v55, v16, v14
	v_sub_f32_e32 v12, v12, v55
	v_mul_f32_e32 v12, 0x3fb8aa3b, v12
	v_exp_f32_e32 v50, v12
	v_sub_f32_e32 v12, v13, v55
	v_mul_f32_e32 v12, 0x3fb8aa3b, v12
	v_exp_f32_e32 v51, v12
	global_load_dwordx4 v[14:17], v[10:11], off
	s_nop 0
	global_load_dwordx4 v[10:13], v[10:11], off offset:16
	v_sub_f32_e32 v52, v52, v55
	v_mul_f32_e32 v52, 0x3fb8aa3b, v52
	v_sub_f32_e32 v53, v53, v55
	v_exp_f32_e32 v52, v52
	v_mul_f32_e32 v53, 0x3fb8aa3b, v53
	v_sub_f32_e32 v48, v48, v55
	v_exp_f32_e32 v53, v53
	v_mul_f32_e32 v48, 0x3fb8aa3b, v48
	v_sub_f32_e32 v49, v49, v55
	v_cndmask_b32_e64 v50, 0, v50, s[4:5]
	v_exp_f32_e32 v48, v48
	v_mul_f32_e32 v49, 0x3fb8aa3b, v49
	v_sub_f32_e32 v46, v46, v55
	v_add_f32_e32 v57, 0, v50
	v_cndmask_b32_e64 v51, 0, v51, s[34:35]
	v_exp_f32_e32 v49, v49
	v_mul_f32_e32 v46, 0x3fb8aa3b, v46
	v_sub_f32_e32 v47, v47, v55
	v_add_f32_e32 v57, v57, v51
	;; [unrolled: 5-line block ×10, first 2 shown]
	v_cndmask_b32_e64 v38, 0, v38, s[12:13]
	v_exp_f32_e32 v34, v34
	v_mul_f32_e32 v35, 0x3fb8aa3b, v35
	v_add_f32_e32 v57, v57, v38
	v_cndmask_b32_e64 v39, 0, v39, s[14:15]
	v_exp_f32_e32 v35, v35
	v_add_f32_e32 v57, v57, v39
	v_cndmask_b32_e64 v36, 0, v36, s[8:9]
	v_add_f32_e32 v57, v57, v36
	v_cndmask_b32_e64 v37, 0, v37, s[10:11]
	v_add_f32_e32 v57, v57, v37
	v_cndmask_b32_e32 v34, 0, v34, vcc
	v_add_f32_e32 v57, v57, v34
	v_cndmask_b32_e64 v35, 0, v35, s[6:7]
	v_add_f32_e32 v57, v57, v35
	ds_bpermute_b32 v56, v56, v57
	s_load_dword s7, s[0:1], 0x98
	v_cmp_gt_u32_e32 vcc, 16, v54
	s_waitcnt lgkmcnt(0)
	s_barrier
	v_add_f32_e32 v57, v57, v56
	ds_bpermute_b32 v58, v58, v57
	v_lshlrev_b32_e32 v56, 2, v44
	s_waitcnt lgkmcnt(0)
	s_and_saveexec_b64 s[4:5], vcc
	s_cbranch_execz .LBB547_17
; %bb.16:
	v_add_f32_e32 v54, v57, v58
	v_lshl_or_b32 v57, v45, 6, v56
	ds_write2st64_b32 v57, v55, v54 offset1:1
.LBB547_17:
	s_or_b64 exec, exec, s[4:5]
	s_load_dword s6, s[0:1], 0x94
	s_waitcnt lgkmcnt(0)
	s_barrier
	ds_read2_b32 v[58:59], v56 offset1:16
	ds_read2_b32 v[60:61], v56 offset0:32 offset1:48
	ds_read2_b32 v[62:63], v56 offset0:64 offset1:80
	;; [unrolled: 1-line block ×3, first 2 shown]
	s_movk_i32 s8, 0x7fff
	s_waitcnt lgkmcnt(3)
	v_max3_f32 v54, v58, s33, v59
	s_waitcnt lgkmcnt(2)
	v_max3_f32 v54, v54, v60, v61
	v_sub_f32_e32 v55, v58, v54
	v_mul_f32_e32 v55, 0x3fb8aa3b, v55
	v_exp_f32_e32 v58, v55
	v_sub_f32_e32 v55, v59, v54
	v_mul_f32_e32 v55, 0x3fb8aa3b, v55
	v_exp_f32_e32 v59, v55
	;; [unrolled: 3-line block ×4, first 2 shown]
	s_waitcnt lgkmcnt(1)
	v_fma_f32 v55, v58, v62, 0
	v_fmac_f32_e32 v55, v59, v63
	s_waitcnt lgkmcnt(0)
	v_fmac_f32_e32 v55, v60, v56
	v_fmac_f32_e32 v55, v61, v57
	v_add_f32_e32 v56, 0x358637bd, v55
	v_div_scale_f32 v57, s[4:5], v56, v56, 1.0
	v_rcp_f32_e32 v62, v57
	s_mov_b32 s9, 0x7060302
	s_mul_i32 s7, s7, 12
	v_fma_f32 v63, -v57, v62, 1.0
	v_fmac_f32_e32 v62, v63, v62
	v_div_scale_f32 v63, vcc, 1.0, v56, 1.0
	v_mul_f32_e32 v64, v63, v62
	v_fma_f32 v65, -v57, v64, v63
	v_fmac_f32_e32 v64, v65, v62
	v_fma_f32 v57, -v57, v64, v63
	v_div_fmas_f32 v57, v57, v62, v64
	v_cmp_eq_u32_e32 vcc, 1, v45
	v_div_fixup_f32 v56, v57, v56, 1.0
	s_barrier
	v_cndmask_b32_e32 v57, v58, v59, vcc
	v_cmp_eq_u32_e32 vcc, 2, v45
	s_nop 1
	v_cndmask_b32_e32 v57, v57, v60, vcc
	v_cmp_eq_u32_e32 vcc, 3, v45
	v_lshlrev_b32_e32 v45, 11, v45
	s_nop 0
	v_cndmask_b32_e32 v57, v57, v61, vcc
	v_mul_f32_e32 v56, v57, v56
	v_pk_mul_f32 v[50:51], v[56:57], v[50:51] op_sel_hi:[0,1]
	v_pk_mul_f32 v[52:53], v[56:57], v[52:53] op_sel_hi:[0,1]
	v_bfe_u32 v57, v51, 16, 1
	v_bfe_u32 v58, v50, 16, 1
	v_add3_u32 v50, v50, v58, s8
	v_add3_u32 v51, v51, v57, s8
	v_perm_b32 v58, v51, v50, s9
	v_bfe_u32 v50, v53, 16, 1
	v_bfe_u32 v51, v52, 16, 1
	v_add3_u32 v51, v52, v51, s8
	v_add3_u32 v50, v53, v50, s8
	v_perm_b32 v59, v50, v51, s9
	v_lshlrev_b32_e32 v50, 3, v1
	v_lshlrev_b32_e32 v51, 5, v44
	v_pk_mul_f32 v[48:49], v[56:57], v[48:49] op_sel_hi:[0,1]
	v_or3_b32 v50, v45, v51, v50
	v_bfe_u32 v45, v49, 16, 1
	v_bfe_u32 v52, v48, 16, 1
	v_pk_mul_f32 v[46:47], v[56:57], v[46:47] op_sel_hi:[0,1]
	v_add3_u32 v48, v48, v52, s8
	v_add3_u32 v45, v49, v45, s8
	v_perm_b32 v48, v45, v48, s9
	v_bfe_u32 v45, v47, 16, 1
	v_bfe_u32 v49, v46, 16, 1
	v_add3_u32 v46, v46, v49, s8
	v_add3_u32 v45, v47, v45, s8
	v_pk_mul_f32 v[40:41], v[56:57], v[40:41] op_sel_hi:[0,1]
	v_perm_b32 v49, v45, v46, s9
	v_bfe_u32 v45, v41, 16, 1
	v_bfe_u32 v46, v40, 16, 1
	v_pk_mul_f32 v[38:39], v[56:57], v[38:39] op_sel_hi:[0,1]
	v_add3_u32 v40, v40, v46, s8
	v_add3_u32 v41, v41, v45, s8
	v_perm_b32 v40, v41, v40, s9
	v_bfe_u32 v41, v39, 16, 1
	v_bfe_u32 v45, v38, 16, 1
	v_add3_u32 v38, v38, v45, s8
	v_add3_u32 v39, v39, v41, s8
	v_pk_mul_f32 v[36:37], v[56:57], v[36:37] op_sel_hi:[0,1]
	v_perm_b32 v41, v39, v38, s9
	v_bfe_u32 v38, v37, 16, 1
	v_bfe_u32 v39, v36, 16, 1
	v_pk_mul_f32 v[34:35], v[56:57], v[34:35] op_sel_hi:[0,1]
	v_add3_u32 v36, v36, v39, s8
	v_add3_u32 v37, v37, v38, s8
	v_perm_b32 v36, v37, v36, s9
	v_bfe_u32 v37, v35, 16, 1
	v_bfe_u32 v38, v34, 16, 1
	v_add3_u32 v34, v34, v38, s8
	v_add3_u32 v35, v35, v37, s8
	v_perm_b32 v37, v35, v34, s9
	v_cmp_gt_u32_e32 vcc, 12, v0
	ds_write2st64_b64 v50, v[58:59], v[48:49] offset1:1
	ds_write2st64_b64 v50, v[40:41], v[36:37] offset0:2 offset1:3
	s_and_saveexec_b64 s[4:5], vcc
	s_cbranch_execz .LBB547_19
; %bb.18:
	s_mov_b32 s43, 0
	v_mov_b32_e32 v45, 0
	v_lshl_add_u64 v[34:35], s[42:43], 0, v[44:45]
	v_mov_b32_e32 v36, s7
	v_mad_u64_u32 v[34:35], s[10:11], s2, v36, v[34:35]
	s_mul_i32 s3, s3, s7
	v_mov_b32_e32 v44, s28
	s_load_dwordx4 s[12:15], s[0:1], 0x58
	v_add_u32_e32 v37, s3, v35
	v_mad_u64_u32 v[34:35], s[10:11], v34, s6, v[44:45]
	v_mov_b32_e32 v36, v35
	v_mad_u64_u32 v[36:37], s[10:11], v37, s6, v[36:37]
	v_mov_b32_e32 v35, v36
	v_lshlrev_b64 v[34:35], 2, v[34:35]
	s_waitcnt lgkmcnt(0)
	v_lshl_add_u64 v[36:37], s[14:15], 0, v[34:35]
	v_lshl_add_u64 v[34:35], s[12:13], 0, v[34:35]
	global_store_dword v[36:37], v54, off
	global_store_dword v[34:35], v55, off
.LBB547_19:
	s_or_b64 exec, exec, s[4:5]
	v_lshl_or_b32 v48, v1, 9, v51
	s_waitcnt lgkmcnt(0)
	s_barrier
	ds_read_b128 v[34:37], v48
	ds_read_b128 v[38:41], v48 offset:16
	s_waitcnt vmcnt(7) lgkmcnt(1)
	v_mfma_f32_16x16x16_bf16 v[44:47], v[6:7], v[34:35], 0
	v_cmp_gt_u32_e32 vcc, 64, v0
	s_mov_b32 s3, 0
	s_and_b64 s[4:5], vcc, s[30:31]
	v_mfma_f32_16x16x16_bf16 v[6:9], v[8:9], v[36:37], v[44:47]
	s_waitcnt vmcnt(6) lgkmcnt(0)
	v_mfma_f32_16x16x16_bf16 v[6:9], v[2:3], v[38:39], v[6:9]
	v_mfma_f32_16x16x16_bf16 v[2:5], v[4:5], v[40:41], v[6:9]
	s_nop 5
	ds_read_b128 v[6:9], v48 offset:2048
	ds_read_b128 v[34:37], v48 offset:2064
	s_waitcnt vmcnt(5) lgkmcnt(1)
	v_mfma_f32_16x16x16_bf16 v[2:5], v[30:31], v[6:7], v[2:5]
	v_mfma_f32_16x16x16_bf16 v[2:5], v[32:33], v[8:9], v[2:5]
	s_waitcnt vmcnt(4) lgkmcnt(0)
	v_mfma_f32_16x16x16_bf16 v[2:5], v[26:27], v[34:35], v[2:5]
	v_mfma_f32_16x16x16_bf16 v[2:5], v[28:29], v[36:37], v[2:5]
	ds_read_b128 v[6:9], v48 offset:4096
	ds_read_b128 v[26:29], v48 offset:4112
	s_waitcnt vmcnt(3) lgkmcnt(1)
	v_mfma_f32_16x16x16_bf16 v[2:5], v[22:23], v[6:7], v[2:5]
	v_mfma_f32_16x16x16_bf16 v[2:5], v[24:25], v[8:9], v[2:5]
	s_waitcnt vmcnt(2) lgkmcnt(0)
	v_mfma_f32_16x16x16_bf16 v[2:5], v[18:19], v[26:27], v[2:5]
	v_mfma_f32_16x16x16_bf16 v[2:5], v[20:21], v[28:29], v[2:5]
	ds_read_b128 v[6:9], v48 offset:6144
	ds_read_b128 v[18:21], v48 offset:6160
	s_waitcnt lgkmcnt(0)
	s_barrier
	s_waitcnt vmcnt(1)
	v_mfma_f32_16x16x16_bf16 v[2:5], v[14:15], v[6:7], v[2:5]
	v_mfma_f32_16x16x16_bf16 v[2:5], v[16:17], v[8:9], v[2:5]
	s_waitcnt vmcnt(0)
	v_mfma_f32_16x16x16_bf16 v[2:5], v[10:11], v[18:19], v[2:5]
	v_mfma_f32_16x16x16_bf16 v[2:5], v[12:13], v[20:21], v[2:5]
	s_nop 6
	v_bfe_u32 v6, v3, 16, 1
	v_bfe_u32 v7, v2, 16, 1
	;; [unrolled: 1-line block ×4, first 2 shown]
	v_add3_u32 v2, v2, v7, s8
	v_add3_u32 v3, v3, v6, s8
	;; [unrolled: 1-line block ×4, first 2 shown]
	v_perm_b32 v2, v3, v2, s9
	v_perm_b32 v3, v5, v4, s9
	ds_write_b64 v50, v[2:3]
	s_waitcnt lgkmcnt(0)
	s_barrier
	s_and_saveexec_b64 s[8:9], s[4:5]
	s_cbranch_execz .LBB547_21
; %bb.20:
	s_load_dwordx2 s[0:1], s[0:1], 0x68
	s_lshl_b32 s6, s6, 6
	s_mul_i32 s2, s7, s2
	s_mul_hi_u32 s5, s2, s6
	s_mul_i32 s4, s2, s6
	s_lshl_b64 s[4:5], s[4:5], 1
	s_waitcnt lgkmcnt(0)
	s_add_u32 s4, s0, s4
	v_lshlrev_b32_e32 v2, 10, v0
	v_lshlrev_b32_e32 v0, 4, v0
	s_addc_u32 s5, s1, s5
	s_lshl_b32 s2, s28, 6
	v_and_b32_e32 v2, 0x1800, v2
	v_lshlrev_b32_e32 v3, 5, v1
	v_and_b32_e32 v0, 16, v0
	s_lshl_b64 s[0:1], s[2:3], 1
	v_or3_b32 v0, v2, v3, v0
	s_add_u32 s0, s4, s0
	ds_read_b128 v[2:5], v0
	ds_read_b128 v[6:9], v0 offset:128
	ds_read_b128 v[10:13], v0 offset:256
	s_addc_u32 s1, s5, s1
	v_or_b32_e32 v16, s42, v1
	v_lshl_add_u64 v[0:1], v[42:43], 1, s[0:1]
	v_mad_u64_u32 v[14:15], s[0:1], v16, s6, 0
	v_lshl_add_u64 v[14:15], v[14:15], 1, v[0:1]
	s_waitcnt lgkmcnt(2)
	global_store_dwordx4 v[14:15], v[2:5], off
	s_nop 1
	v_add_u32_e32 v2, 4, v16
	v_mad_u64_u32 v[2:3], s[0:1], v2, s6, 0
	v_lshl_add_u64 v[2:3], v[2:3], 1, v[0:1]
	s_waitcnt lgkmcnt(1)
	global_store_dwordx4 v[2:3], v[6:9], off
	v_add_u32_e32 v2, 8, v16
	v_mad_u64_u32 v[2:3], s[0:1], v2, s6, 0
	v_lshl_add_u64 v[0:1], v[2:3], 1, v[0:1]
	s_waitcnt lgkmcnt(0)
	global_store_dwordx4 v[0:1], v[10:13], off
.LBB547_21:
	s_endpgm
	.section	.rodata,"a",@progbits
	.p2align	6, 0x0
	.amdhsa_kernel _Z39paged_attention_ll4mi_QKV_mfma16_kernelI14__hip_bfloat16S0_LN4vllm18Fp8KVCacheDataTypeE0ES0_Li32ELi64ELi256ELb1ELi12EEvPKT_PKT0_S8_ifPKiSA_SA_iPKfiiiPfSD_PS3_PT2_iSC_SC_
		.amdhsa_group_segment_fixed_size 8192
		.amdhsa_private_segment_fixed_size 0
		.amdhsa_kernarg_size 400
		.amdhsa_user_sgpr_count 2
		.amdhsa_user_sgpr_dispatch_ptr 0
		.amdhsa_user_sgpr_queue_ptr 0
		.amdhsa_user_sgpr_kernarg_segment_ptr 1
		.amdhsa_user_sgpr_dispatch_id 0
		.amdhsa_user_sgpr_kernarg_preload_length 0
		.amdhsa_user_sgpr_kernarg_preload_offset 0
		.amdhsa_user_sgpr_private_segment_size 0
		.amdhsa_uses_dynamic_stack 0
		.amdhsa_enable_private_segment 0
		.amdhsa_system_sgpr_workgroup_id_x 1
		.amdhsa_system_sgpr_workgroup_id_y 1
		.amdhsa_system_sgpr_workgroup_id_z 1
		.amdhsa_system_sgpr_workgroup_info 0
		.amdhsa_system_vgpr_workitem_id 0
		.amdhsa_next_free_vgpr 73
		.amdhsa_next_free_sgpr 48
		.amdhsa_accum_offset 76
		.amdhsa_reserve_vcc 1
		.amdhsa_float_round_mode_32 0
		.amdhsa_float_round_mode_16_64 0
		.amdhsa_float_denorm_mode_32 3
		.amdhsa_float_denorm_mode_16_64 3
		.amdhsa_dx10_clamp 1
		.amdhsa_ieee_mode 1
		.amdhsa_fp16_overflow 0
		.amdhsa_tg_split 0
		.amdhsa_exception_fp_ieee_invalid_op 0
		.amdhsa_exception_fp_denorm_src 0
		.amdhsa_exception_fp_ieee_div_zero 0
		.amdhsa_exception_fp_ieee_overflow 0
		.amdhsa_exception_fp_ieee_underflow 0
		.amdhsa_exception_fp_ieee_inexact 0
		.amdhsa_exception_int_div_zero 0
	.end_amdhsa_kernel
	.section	.text._Z39paged_attention_ll4mi_QKV_mfma16_kernelI14__hip_bfloat16S0_LN4vllm18Fp8KVCacheDataTypeE0ES0_Li32ELi64ELi256ELb1ELi12EEvPKT_PKT0_S8_ifPKiSA_SA_iPKfiiiPfSD_PS3_PT2_iSC_SC_,"axG",@progbits,_Z39paged_attention_ll4mi_QKV_mfma16_kernelI14__hip_bfloat16S0_LN4vllm18Fp8KVCacheDataTypeE0ES0_Li32ELi64ELi256ELb1ELi12EEvPKT_PKT0_S8_ifPKiSA_SA_iPKfiiiPfSD_PS3_PT2_iSC_SC_,comdat
.Lfunc_end547:
	.size	_Z39paged_attention_ll4mi_QKV_mfma16_kernelI14__hip_bfloat16S0_LN4vllm18Fp8KVCacheDataTypeE0ES0_Li32ELi64ELi256ELb1ELi12EEvPKT_PKT0_S8_ifPKiSA_SA_iPKfiiiPfSD_PS3_PT2_iSC_SC_, .Lfunc_end547-_Z39paged_attention_ll4mi_QKV_mfma16_kernelI14__hip_bfloat16S0_LN4vllm18Fp8KVCacheDataTypeE0ES0_Li32ELi64ELi256ELb1ELi12EEvPKT_PKT0_S8_ifPKiSA_SA_iPKfiiiPfSD_PS3_PT2_iSC_SC_
                                        ; -- End function
	.section	.AMDGPU.csdata,"",@progbits
; Kernel info:
; codeLenInByte = 4428
; NumSgprs: 54
; NumVgprs: 73
; NumAgprs: 0
; TotalNumVgprs: 73
; ScratchSize: 0
; MemoryBound: 0
; FloatMode: 240
; IeeeMode: 1
; LDSByteSize: 8192 bytes/workgroup (compile time only)
; SGPRBlocks: 6
; VGPRBlocks: 9
; NumSGPRsForWavesPerEU: 54
; NumVGPRsForWavesPerEU: 73
; AccumOffset: 76
; Occupancy: 6
; WaveLimiterHint : 1
; COMPUTE_PGM_RSRC2:SCRATCH_EN: 0
; COMPUTE_PGM_RSRC2:USER_SGPR: 2
; COMPUTE_PGM_RSRC2:TRAP_HANDLER: 0
; COMPUTE_PGM_RSRC2:TGID_X_EN: 1
; COMPUTE_PGM_RSRC2:TGID_Y_EN: 1
; COMPUTE_PGM_RSRC2:TGID_Z_EN: 1
; COMPUTE_PGM_RSRC2:TIDIG_COMP_CNT: 0
; COMPUTE_PGM_RSRC3_GFX90A:ACCUM_OFFSET: 18
; COMPUTE_PGM_RSRC3_GFX90A:TG_SPLIT: 0
	.section	.text._Z39paged_attention_ll4mi_QKV_mfma16_kernelI14__hip_bfloat16S0_LN4vllm18Fp8KVCacheDataTypeE0ES0_Li32ELi64ELi256ELb1ELi13EEvPKT_PKT0_S8_ifPKiSA_SA_iPKfiiiPfSD_PS3_PT2_iSC_SC_,"axG",@progbits,_Z39paged_attention_ll4mi_QKV_mfma16_kernelI14__hip_bfloat16S0_LN4vllm18Fp8KVCacheDataTypeE0ES0_Li32ELi64ELi256ELb1ELi13EEvPKT_PKT0_S8_ifPKiSA_SA_iPKfiiiPfSD_PS3_PT2_iSC_SC_,comdat
	.protected	_Z39paged_attention_ll4mi_QKV_mfma16_kernelI14__hip_bfloat16S0_LN4vllm18Fp8KVCacheDataTypeE0ES0_Li32ELi64ELi256ELb1ELi13EEvPKT_PKT0_S8_ifPKiSA_SA_iPKfiiiPfSD_PS3_PT2_iSC_SC_ ; -- Begin function _Z39paged_attention_ll4mi_QKV_mfma16_kernelI14__hip_bfloat16S0_LN4vllm18Fp8KVCacheDataTypeE0ES0_Li32ELi64ELi256ELb1ELi13EEvPKT_PKT0_S8_ifPKiSA_SA_iPKfiiiPfSD_PS3_PT2_iSC_SC_
	.globl	_Z39paged_attention_ll4mi_QKV_mfma16_kernelI14__hip_bfloat16S0_LN4vllm18Fp8KVCacheDataTypeE0ES0_Li32ELi64ELi256ELb1ELi13EEvPKT_PKT0_S8_ifPKiSA_SA_iPKfiiiPfSD_PS3_PT2_iSC_SC_
	.p2align	8
	.type	_Z39paged_attention_ll4mi_QKV_mfma16_kernelI14__hip_bfloat16S0_LN4vllm18Fp8KVCacheDataTypeE0ES0_Li32ELi64ELi256ELb1ELi13EEvPKT_PKT0_S8_ifPKiSA_SA_iPKfiiiPfSD_PS3_PT2_iSC_SC_,@function
_Z39paged_attention_ll4mi_QKV_mfma16_kernelI14__hip_bfloat16S0_LN4vllm18Fp8KVCacheDataTypeE0ES0_Li32ELi64ELi256ELb1ELi13EEvPKT_PKT0_S8_ifPKiSA_SA_iPKfiiiPfSD_PS3_PT2_iSC_SC_: ; @_Z39paged_attention_ll4mi_QKV_mfma16_kernelI14__hip_bfloat16S0_LN4vllm18Fp8KVCacheDataTypeE0ES0_Li32ELi64ELi256ELb1ELi13EEvPKT_PKT0_S8_ifPKiSA_SA_iPKfiiiPfSD_PS3_PT2_iSC_SC_
; %bb.0:
	s_load_dwordx2 s[6:7], s[0:1], 0x30
	s_mov_b32 s28, s3
	s_mov_b64 s[8:9], 0
	s_waitcnt lgkmcnt(0)
	s_cmp_lg_u64 s[6:7], 0
	s_cselect_b64 s[10:11], -1, 0
	s_and_b64 vcc, exec, s[10:11]
	s_cbranch_vccz .LBB548_7
; %bb.1:
	s_add_i32 s12, s2, 1
	s_mov_b32 s13, 0
	s_lshl_b64 s[14:15], s[12:13], 2
	s_add_u32 s14, s6, s14
	s_mov_b32 s3, s13
	s_addc_u32 s15, s7, s15
	s_lshl_b64 s[12:13], s[2:3], 2
	s_add_u32 s12, s6, s12
	s_addc_u32 s13, s7, s13
	s_load_dword s5, s[14:15], 0x0
	s_load_dword s16, s[12:13], 0x0
	s_waitcnt lgkmcnt(0)
	s_sub_i32 s5, s5, s16
	s_cmp_eq_u32 s5, 1
	s_cselect_b64 s[12:13], -1, 0
	s_andn2_b64 vcc, exec, s[8:9]
	s_cbranch_vccnz .LBB548_3
.LBB548_2:
	s_mov_b32 s3, 0
	s_mov_b64 s[12:13], -1
.LBB548_3:
	s_andn2_b64 vcc, exec, s[12:13]
	s_cbranch_vccnz .LBB548_22
; %bb.4:
	s_load_dwordx2 s[8:9], s[0:1], 0x28
	s_lshl_b64 s[12:13], s[2:3], 2
	s_waitcnt lgkmcnt(0)
	s_add_u32 s8, s8, s12
	s_addc_u32 s9, s9, s13
	s_load_dword s29, s[8:9], 0x0
	s_lshl_b32 s14, s28, 8
	s_waitcnt lgkmcnt(0)
	s_cmp_ge_i32 s14, s29
	s_cbranch_scc1 .LBB548_22
; %bb.5:
	s_load_dwordx2 s[8:9], s[0:1], 0x20
	s_load_dword s5, s[0:1], 0x38
	s_add_i32 s15, s29, 31
	s_ashr_i32 s16, s15, 31
	v_and_b32_e32 v1, 0xcf, v0
	s_lshr_b32 s16, s16, 27
	v_add_u32_e32 v1, s14, v1
	s_add_i32 s15, s15, s16
	v_ashrrev_i32_e32 v2, 31, v1
	s_ashr_i32 s15, s15, 5
	v_lshrrev_b32_e32 v6, 27, v2
	s_add_i32 s15, s15, -1
	s_waitcnt lgkmcnt(0)
	s_mul_i32 s16, s2, s5
	s_mov_b32 s17, 0
	v_add_u32_e32 v2, v1, v6
	s_lshl_b64 s[16:17], s[16:17], 2
	v_ashrrev_i32_e32 v2, 5, v2
	v_mov_b32_e32 v7, s15
	v_cmp_gt_i32_e32 vcc, s29, v1
	s_add_u32 s8, s8, s16
	s_addc_u32 s9, s9, s17
	v_cndmask_b32_e32 v2, v7, v2, vcc
	v_ashrrev_i32_e32 v3, 31, v2
	v_lshl_add_u64 v[4:5], v[2:3], 2, s[8:9]
	v_or_b32_e32 v2, 16, v1
	v_add_u32_e32 v3, v2, v6
	v_ashrrev_i32_e32 v3, 5, v3
	v_cmp_gt_i32_e32 vcc, s29, v2
	s_nop 1
	v_cndmask_b32_e32 v2, v7, v3, vcc
	v_ashrrev_i32_e32 v3, 31, v2
	v_lshl_add_u64 v[8:9], v[2:3], 2, s[8:9]
	v_or_b32_e32 v2, 32, v1
	v_add_u32_e32 v3, v2, v6
	v_ashrrev_i32_e32 v3, 5, v3
	v_cmp_gt_i32_e32 vcc, s29, v2
	v_or_b32_e32 v1, 48, v1
	s_nop 0
	v_cndmask_b32_e32 v2, v7, v3, vcc
	v_ashrrev_i32_e32 v3, 31, v2
	v_lshl_add_u64 v[12:13], v[2:3], 2, s[8:9]
	v_add_u32_e32 v2, v1, v6
	v_ashrrev_i32_e32 v2, 5, v2
	v_cmp_gt_i32_e32 vcc, s29, v1
	s_nop 1
	v_cndmask_b32_e32 v2, v7, v2, vcc
	v_ashrrev_i32_e32 v3, 31, v2
	v_lshl_add_u64 v[16:17], v[2:3], 2, s[8:9]
	global_load_dword v2, v[4:5], off
	global_load_dword v6, v[8:9], off
	;; [unrolled: 1-line block ×4, first 2 shown]
	s_andn2_b64 vcc, exec, s[10:11]
	s_cbranch_vccnz .LBB548_8
; %bb.6:
	s_add_u32 s6, s6, s12
	s_addc_u32 s7, s7, s13
	s_load_dword s5, s[6:7], 0x0
	s_branch .LBB548_9
.LBB548_7:
	s_mov_b64 s[12:13], 0
	s_branch .LBB548_2
.LBB548_8:
	s_mov_b32 s5, s2
.LBB548_9:
	s_load_dwordx2 s[10:11], s[0:1], 0x8
	s_load_dwordx4 s[44:47], s[0:1], 0x48
	v_lshrrev_b32_e32 v1, 6, v0
	v_bfe_u32 v54, v0, 4, 2
	v_lshl_or_b32 v3, v1, 2, v54
	v_and_b32_e32 v44, 15, v0
	v_cmp_lt_u32_e32 vcc, 12, v3
	v_cmp_lt_u32_e64 s[6:7], 7, v44
	v_lshlrev_b32_e32 v42, 3, v44
	v_cmp_gt_u32_e64 s[30:31], 8, v44
	s_or_b64 s[6:7], s[6:7], vcc
	s_and_saveexec_b64 s[12:13], s[6:7]
	s_xor_b64 s[6:7], exec, s[12:13]
; %bb.10:
	v_mov_b32_e32 v43, 0
                                        ; implicit-def: $vgpr3
; %bb.11:
	s_or_saveexec_b64 s[12:13], s[6:7]
	s_load_dwordx2 s[6:7], s[0:1], 0x10
	s_mul_i32 s42, s4, 13
	s_xor_b64 exec, exec, s[12:13]
	s_cbranch_execz .LBB548_13
; %bb.12:
	s_load_dwordx2 s[16:17], s[0:1], 0x0
	s_waitcnt lgkmcnt(0)
	s_ashr_i32 s18, s44, 31
	s_mul_hi_u32 s19, s5, s44
	s_mul_i32 s18, s5, s18
	s_add_i32 s19, s19, s18
	s_mul_i32 s18, s5, s44
	s_lshl_b64 s[18:19], s[18:19], 1
	s_add_u32 s16, s16, s18
	v_add_lshl_u32 v4, v3, s42, 6
	s_addc_u32 s17, s17, s19
	v_ashrrev_i32_e32 v5, 31, v4
	v_mov_b32_e32 v43, 0
	v_lshl_add_u64 v[4:5], v[4:5], 1, s[16:17]
	v_lshlrev_b32_e32 v8, 1, v42
	v_mov_b32_e32 v9, v43
	v_lshl_add_u64 v[4:5], v[4:5], 0, v[8:9]
	global_load_dwordx4 v[16:19], v[4:5], off
	v_and_b32_e32 v4, 3, v0
	v_lshlrev_b32_e32 v5, 9, v44
	v_lshlrev_b32_e32 v3, 5, v3
	v_lshlrev_b32_e32 v4, 9, v4
	v_and_b32_e32 v5, 0x1800, v5
	v_or3_b32 v3, v5, v4, v3
	s_waitcnt vmcnt(0)
	ds_write_b128 v3, v[16:19]
.LBB548_13:
	s_or_b64 exec, exec, s[12:13]
	s_waitcnt lgkmcnt(0)
	s_mul_i32 s4, s4, s46
	s_mov_b32 s5, 0
	s_lshl_b64 s[4:5], s[4:5], 1
	s_add_u32 s10, s10, s4
	s_addc_u32 s11, s11, s5
	s_waitcnt vmcnt(3)
	v_mad_i64_i32 v[2:3], s[12:13], v2, s45, 0
	v_lshl_add_u64 v[2:3], v[2:3], 1, s[10:11]
	v_lshlrev_b64 v[12:13], 1, v[42:43]
	v_lshlrev_b32_e32 v46, 9, v54
	v_lshl_add_u64 v[2:3], v[2:3], 0, v[12:13]
	v_mov_b32_e32 v47, 0
	v_lshl_add_u64 v[8:9], v[2:3], 0, v[46:47]
	s_barrier
	global_load_dwordx4 v[22:25], v[8:9], off
	global_load_dwordx4 v[2:5], v[8:9], off offset:2048
	s_waitcnt vmcnt(4)
	v_mad_i64_i32 v[6:7], s[12:13], v6, s45, 0
	v_mov_b32_e32 v8, 0x100
	v_lshl_add_u64 v[6:7], v[6:7], 1, s[10:11]
	v_lshl_or_b32 v16, v44, 4, v8
	v_mov_b32_e32 v17, v47
	s_waitcnt vmcnt(3)
	v_mad_i64_i32 v[10:11], s[12:13], v10, s45, 0
	v_lshl_add_u64 v[6:7], v[6:7], 0, v[16:17]
	v_lshl_add_u64 v[10:11], v[10:11], 1, s[10:11]
	s_waitcnt vmcnt(2)
	v_mad_i64_i32 v[14:15], s[12:13], v14, s45, 0
	v_lshl_add_u64 v[18:19], v[6:7], 0, v[46:47]
	v_lshl_add_u64 v[10:11], v[10:11], 0, v[12:13]
	;; [unrolled: 1-line block ×3, first 2 shown]
	global_load_dwordx4 v[26:29], v[18:19], off
	global_load_dwordx4 v[6:9], v[18:19], off offset:2048
	v_lshl_add_u64 v[18:19], v[10:11], 0, v[46:47]
	v_lshl_add_u64 v[14:15], v[14:15], 0, v[16:17]
	global_load_dwordx4 v[30:33], v[18:19], off
	global_load_dwordx4 v[10:13], v[18:19], off offset:2048
	v_lshl_add_u64 v[18:19], v[14:15], 0, v[46:47]
	global_load_dwordx4 v[34:37], v[18:19], off
	global_load_dwordx4 v[14:17], v[18:19], off offset:2048
	v_add_u32_e32 v18, -13, v44
	v_cmp_gt_u32_e32 vcc, 13, v44
	v_and_b32_e32 v45, 63, v0
	v_mov_b32_e32 v50, 0
	v_cndmask_b32_e32 v18, v18, v44, vcc
	v_lshl_add_u32 v18, v18, 5, v46
	ds_read_b128 v[38:41], v18
	ds_read_b128 v[18:21], v18 offset:2048
	s_and_saveexec_b64 s[10:11], vcc
	s_cbranch_execz .LBB548_15
; %bb.14:
	s_load_dwordx2 s[12:13], s[0:1], 0x40
	v_add_u32_e32 v48, s42, v44
	v_ashrrev_i32_e32 v49, 31, v48
	s_waitcnt lgkmcnt(0)
	v_lshl_add_u64 v[48:49], v[48:49], 2, s[12:13]
	global_load_dword v50, v[48:49], off
.LBB548_15:
	s_or_b64 exec, exec, s[10:11]
	s_ashr_i32 s10, s14, 31
	v_and_or_b32 v46, v0, 48, s14
	s_lshr_b32 s11, s10, 27
	v_add_u32_e32 v48, s11, v46
	v_or_b32_e32 v52, 64, v46
	v_ashrrev_i32_e32 v48, 5, v48
	v_mov_b32_e32 v51, s15
	v_cmp_gt_i32_e32 vcc, s29, v46
	v_add_u32_e32 v53, s11, v52
	s_waitcnt vmcnt(7) lgkmcnt(1)
	v_mfma_f32_16x16x16_bf16 v[56:59], v[22:23], v[38:39], 0
	v_cndmask_b32_e32 v48, v51, v48, vcc
	v_ashrrev_i32_e32 v22, 5, v53
	v_cmp_gt_i32_e32 vcc, s29, v52
	v_ashrrev_i32_e32 v49, 31, v48
	v_lshl_add_u64 v[48:49], v[48:49], 2, s[8:9]
	v_cndmask_b32_e32 v22, v51, v22, vcc
	v_ashrrev_i32_e32 v23, 31, v22
	v_lshl_add_u64 v[22:23], v[22:23], 2, s[8:9]
	global_load_dword v55, v[48:49], off
	global_load_dword v72, v[22:23], off
	s_waitcnt vmcnt(3)
	v_mfma_f32_16x16x16_bf16 v[68:71], v[34:35], v[38:39], 0
	v_or_b32_e32 v48, 0xc0, v46
	v_add_u32_e32 v52, s11, v48
	s_add_u32 s4, s6, s4
	v_mfma_f32_16x16x16_bf16 v[60:63], v[26:27], v[38:39], 0
	s_addc_u32 s5, s7, s5
	s_load_dword s10, s[0:1], 0x1c
	s_mov_b32 s33, 0xff7fffff
	v_mfma_f32_16x16x16_bf16 v[64:67], v[30:31], v[38:39], 0
	v_and_b32_e32 v31, 0xc0, v0
	v_or_b32_e32 v38, 0x80, v46
	v_add_u32_e32 v34, s14, v31
	v_mfma_f32_16x16x16_bf16 v[22:25], v[24:25], v[40:41], v[56:59]
	v_and_b32_e32 v30, 16, v0
	v_add_u32_e32 v49, s11, v38
	v_lshlrev_b32_e32 v46, 1, v30
	v_lshl_or_b32 v56, v54, 2, v34
	v_mfma_f32_16x16x16_bf16 v[34:37], v[36:37], v[40:41], v[68:71]
	v_cmp_gt_i32_e32 vcc, s29, v38
	v_lshlrev_b32_e32 v39, 6, v44
	v_or_b32_e32 v57, 1, v56
	v_mfma_f32_16x16x16_bf16 v[26:29], v[28:29], v[40:41], v[60:63]
	v_cmp_gt_i32_e64 s[34:35], s29, v57
	v_mfma_f32_16x16x16_bf16 v[30:33], v[32:33], v[40:41], v[64:67]
	v_ashrrev_i32_e32 v40, 5, v49
	v_ashrrev_i32_e32 v41, 5, v52
	v_cndmask_b32_e32 v38, v51, v40, vcc
	v_cmp_gt_i32_e32 vcc, s29, v48
	s_waitcnt lgkmcnt(0)
	v_mfma_f32_16x16x16_bf16 v[22:25], v[2:3], v[18:19], v[22:25]
	v_lshl_add_u64 v[2:3], s[4:5], 0, v[46:47]
	v_cndmask_b32_e32 v40, v51, v41, vcc
	v_lshl_or_b32 v46, v1, 10, v39
	v_ashrrev_i32_e32 v39, 31, v38
	v_ashrrev_i32_e32 v41, 31, v40
	s_waitcnt vmcnt(2)
	v_mfma_f32_16x16x16_bf16 v[34:37], v[14:15], v[18:19], v[34:37]
	v_lshl_add_u64 v[14:15], v[38:39], 2, s[8:9]
	v_subrev_u32_e32 v51, s29, v57
	v_cvt_f32_i32_e32 v58, v51
	v_mfma_f32_16x16x16_bf16 v[26:29], v[6:7], v[18:19], v[26:29]
	v_mfma_f32_16x16x16_bf16 v[30:33], v[10:11], v[18:19], v[30:33]
	v_lshl_add_u64 v[18:19], v[40:41], 2, s[8:9]
	global_load_dword v59, v[14:15], off
	global_load_dword v60, v[18:19], off
	v_lshl_add_u64 v[10:11], v[2:3], 0, v[46:47]
	v_mfma_f32_16x16x16_bf16 v[2:5], v[4:5], v[20:21], v[22:25]
	v_add_u32_e32 v46, 1, v51
	v_add_u32_e32 v47, 3, v51
	v_add_u32_e32 v18, 18, v51
	v_mfma_f32_16x16x16_bf16 v[14:17], v[16:17], v[20:21], v[34:37]
	v_add_u32_e32 v22, 2, v51
	s_nop 1
	v_pk_mul_f32 v[52:53], s[10:11], v[4:5] op_sel_hi:[0,1]
	v_cvt_f32_i32_e32 v18, v18
	v_mfma_f32_16x16x16_bf16 v[6:9], v[8:9], v[20:21], v[26:29]
	v_add_u32_e32 v19, 19, v51
	v_pk_mul_f32 v[34:35], s[10:11], v[16:17] op_sel_hi:[0,1]
	v_pk_mul_f32 v[36:37], s[10:11], v[14:15] op_sel_hi:[0,1]
	v_cvt_f32_i32_e32 v27, v22
	v_mfma_f32_16x16x16_bf16 v[22:25], v[12:13], v[20:21], v[30:33]
	v_pk_mul_f32 v[12:13], s[10:11], v[2:3] op_sel_hi:[0,1]
	v_cvt_f32_i32_e32 v26, v46
	v_cvt_f32_i32_e32 v28, v47
	v_pk_mul_f32 v[46:47], s[10:11], v[8:9] op_sel_hi:[0,1]
	v_pk_mul_f32 v[48:49], s[10:11], v[6:7] op_sel_hi:[0,1]
	v_cvt_f32_i32_e32 v19, v19
	v_fma_f32 v46, v50, v18, v46
	v_add_u32_e32 v18, 34, v51
	v_cvt_f32_i32_e32 v18, v18
	v_fmac_f32_e32 v47, v50, v19
	v_add_u32_e32 v19, 35, v51
	v_cvt_f32_i32_e32 v19, v19
	v_pk_mul_f32 v[40:41], s[10:11], v[22:23] op_sel_hi:[0,1]
	v_pk_mul_f32 v[38:39], s[10:11], v[24:25] op_sel_hi:[0,1]
	v_fma_f32 v38, v50, v18, v38
	v_add_u32_e32 v18, 50, v51
	s_waitcnt vmcnt(3)
	v_mad_i64_i32 v[2:3], s[4:5], v55, s45, 0
	s_waitcnt vmcnt(2)
	v_mad_i64_i32 v[4:5], s[4:5], v72, s45, 0
	v_lshl_add_u64 v[16:17], v[2:3], 1, v[10:11]
	v_lshl_add_u64 v[14:15], v[4:5], 1, v[10:11]
	global_load_dwordx4 v[6:9], v[16:17], off
	global_load_dwordx4 v[2:5], v[16:17], off offset:16
	v_add_u32_e32 v16, 16, v51
	v_cvt_f32_i32_e32 v16, v16
	v_add_u32_e32 v17, 17, v51
	v_cvt_f32_i32_e32 v17, v17
	v_fmac_f32_e32 v39, v50, v19
	v_fma_f32 v48, v50, v16, v48
	v_add_u32_e32 v16, 32, v51
	v_fmac_f32_e32 v49, v50, v17
	v_cvt_f32_i32_e32 v16, v16
	v_add_u32_e32 v17, 33, v51
	v_cvt_f32_i32_e32 v17, v17
	v_cvt_f32_i32_e32 v18, v18
	v_fma_f32 v40, v50, v16, v40
	v_add_u32_e32 v16, 48, v51
	v_fmac_f32_e32 v41, v50, v17
	v_cvt_f32_i32_e32 v16, v16
	v_add_u32_e32 v17, 49, v51
	v_cvt_f32_i32_e32 v17, v17
	v_add_u32_e32 v19, 51, v51
	v_cvt_f32_i32_e32 v19, v19
	v_fma_f32 v12, v50, v58, v12
	v_fmac_f32_e32 v13, v50, v26
	v_fma_f32 v36, v50, v16, v36
	v_mov_b32_e32 v16, 0xff7fffff
	v_cmp_gt_i32_e64 s[4:5], s29, v56
	v_fmac_f32_e32 v37, v50, v17
	v_fma_f32 v34, v50, v18, v34
	v_cndmask_b32_e64 v17, v16, v12, s[4:5]
	v_cndmask_b32_e64 v18, v16, v13, s[34:35]
	v_fmac_f32_e32 v35, v50, v19
	v_max3_f32 v17, v17, s33, v18
	v_or_b32_e32 v18, 2, v56
	v_or_b32_e32 v19, 3, v56
	v_fma_f32 v52, v50, v27, v52
	v_fmac_f32_e32 v53, v50, v28
	v_cmp_gt_i32_e64 s[36:37], s29, v18
	v_cmp_gt_i32_e64 s[38:39], s29, v19
	global_load_dwordx4 v[30:33], v[14:15], off
	global_load_dwordx4 v[26:29], v[14:15], off offset:16
	v_cndmask_b32_e64 v18, v16, v52, s[36:37]
	v_cndmask_b32_e64 v19, v16, v53, s[38:39]
	v_max3_f32 v17, v17, v18, v19
	v_or_b32_e32 v18, 16, v56
	v_or_b32_e32 v19, 17, v56
	v_cmp_gt_i32_e64 s[24:25], s29, v18
	v_cmp_gt_i32_e64 s[26:27], s29, v19
	s_nop 0
	v_cndmask_b32_e64 v18, v16, v48, s[24:25]
	v_cndmask_b32_e64 v19, v16, v49, s[26:27]
	v_max3_f32 v17, v17, v18, v19
	v_or_b32_e32 v18, 18, v56
	v_or_b32_e32 v19, 19, v56
	v_cmp_gt_i32_e64 s[20:21], s29, v18
	v_cmp_gt_i32_e64 s[22:23], s29, v19
	s_nop 0
	v_cndmask_b32_e64 v18, v16, v46, s[20:21]
	v_cndmask_b32_e64 v19, v16, v47, s[22:23]
	v_max3_f32 v17, v17, v18, v19
	v_or_b32_e32 v18, 32, v56
	v_or_b32_e32 v19, 33, v56
	v_cmp_gt_i32_e64 s[16:17], s29, v18
	v_cmp_gt_i32_e64 s[18:19], s29, v19
	s_nop 0
	v_cndmask_b32_e64 v18, v16, v40, s[16:17]
	v_cndmask_b32_e64 v19, v16, v41, s[18:19]
	v_max3_f32 v17, v17, v18, v19
	v_or_b32_e32 v18, 34, v56
	v_or_b32_e32 v19, 35, v56
	v_cmp_gt_i32_e64 s[12:13], s29, v18
	v_cmp_gt_i32_e64 s[14:15], s29, v19
	s_nop 0
	v_cndmask_b32_e64 v18, v16, v38, s[12:13]
	v_cndmask_b32_e64 v19, v16, v39, s[14:15]
	v_max3_f32 v17, v17, v18, v19
	v_or_b32_e32 v18, 48, v56
	v_or_b32_e32 v19, 49, v56
	v_cmp_gt_i32_e64 s[8:9], s29, v18
	v_cmp_gt_i32_e64 s[10:11], s29, v19
	s_nop 0
	v_cndmask_b32_e64 v18, v16, v36, s[8:9]
	v_cndmask_b32_e64 v19, v16, v37, s[10:11]
	v_max3_f32 v17, v17, v18, v19
	v_or_b32_e32 v18, 50, v56
	v_or_b32_e32 v19, 51, v56
	v_cmp_gt_i32_e32 vcc, s29, v18
	v_cmp_gt_i32_e64 s[6:7], s29, v19
	s_nop 0
	v_cndmask_b32_e32 v18, v16, v34, vcc
	v_cndmask_b32_e64 v16, v16, v35, s[6:7]
	v_max3_f32 v16, v17, v18, v16
	v_mbcnt_lo_u32_b32 v17, -1, 0
	v_mbcnt_hi_u32_b32 v17, -1, v17
	v_and_b32_e32 v18, 64, v17
	v_add_u32_e32 v18, 64, v18
	v_xor_b32_e32 v19, 32, v17
	v_cmp_lt_i32_e64 s[40:41], v19, v18
	s_nop 1
	v_cndmask_b32_e64 v19, v17, v19, s[40:41]
	v_lshlrev_b32_e32 v56, 2, v19
	ds_bpermute_b32 v19, v56, v16
	s_waitcnt vmcnt(5)
	v_mad_i64_i32 v[14:15], s[40:41], v59, s45, 0
	v_lshl_add_u64 v[14:15], v[14:15], 1, v[10:11]
	s_waitcnt lgkmcnt(0)
	v_max_f32_e32 v19, v19, v19
	v_max_f32_e32 v16, v16, v19
	v_xor_b32_e32 v19, 16, v17
	v_cmp_lt_i32_e64 s[40:41], v19, v18
	s_nop 1
	v_cndmask_b32_e64 v17, v17, v19, s[40:41]
	v_lshlrev_b32_e32 v57, 2, v17
	ds_bpermute_b32 v17, v57, v16
	global_load_dwordx4 v[22:25], v[14:15], off
	global_load_dwordx4 v[18:21], v[14:15], off offset:16
	s_waitcnt vmcnt(6)
	v_mad_i64_i32 v[14:15], s[40:41], v60, s45, 0
	v_lshl_add_u64 v[10:11], v[14:15], 1, v[10:11]
	s_waitcnt lgkmcnt(0)
	v_max_f32_e32 v14, v17, v17
	v_max_f32_e32 v55, v16, v14
	v_sub_f32_e32 v12, v12, v55
	v_mul_f32_e32 v12, 0x3fb8aa3b, v12
	v_exp_f32_e32 v50, v12
	v_sub_f32_e32 v12, v13, v55
	v_mul_f32_e32 v12, 0x3fb8aa3b, v12
	v_exp_f32_e32 v51, v12
	global_load_dwordx4 v[14:17], v[10:11], off
	s_nop 0
	global_load_dwordx4 v[10:13], v[10:11], off offset:16
	v_sub_f32_e32 v52, v52, v55
	v_mul_f32_e32 v52, 0x3fb8aa3b, v52
	v_sub_f32_e32 v53, v53, v55
	v_exp_f32_e32 v52, v52
	v_mul_f32_e32 v53, 0x3fb8aa3b, v53
	v_sub_f32_e32 v48, v48, v55
	v_exp_f32_e32 v53, v53
	v_mul_f32_e32 v48, 0x3fb8aa3b, v48
	v_sub_f32_e32 v49, v49, v55
	v_cndmask_b32_e64 v50, 0, v50, s[4:5]
	v_exp_f32_e32 v48, v48
	v_mul_f32_e32 v49, 0x3fb8aa3b, v49
	v_sub_f32_e32 v46, v46, v55
	v_add_f32_e32 v58, 0, v50
	v_cndmask_b32_e64 v51, 0, v51, s[34:35]
	v_exp_f32_e32 v49, v49
	v_mul_f32_e32 v46, 0x3fb8aa3b, v46
	v_sub_f32_e32 v47, v47, v55
	v_add_f32_e32 v58, v58, v51
	;; [unrolled: 5-line block ×10, first 2 shown]
	v_cndmask_b32_e64 v38, 0, v38, s[12:13]
	v_exp_f32_e32 v34, v34
	v_mul_f32_e32 v35, 0x3fb8aa3b, v35
	v_add_f32_e32 v58, v58, v38
	v_cndmask_b32_e64 v39, 0, v39, s[14:15]
	v_exp_f32_e32 v35, v35
	v_add_f32_e32 v58, v58, v39
	v_cndmask_b32_e64 v36, 0, v36, s[8:9]
	v_add_f32_e32 v58, v58, v36
	v_cndmask_b32_e64 v37, 0, v37, s[10:11]
	v_add_f32_e32 v58, v58, v37
	v_cndmask_b32_e32 v34, 0, v34, vcc
	v_add_f32_e32 v58, v58, v34
	v_cndmask_b32_e64 v35, 0, v35, s[6:7]
	v_add_f32_e32 v58, v58, v35
	ds_bpermute_b32 v56, v56, v58
	s_load_dword s9, s[0:1], 0x98
	v_cmp_gt_u32_e64 s[6:7], 16, v45
	v_lshlrev_b32_e32 v45, 2, v44
	s_waitcnt lgkmcnt(0)
	v_add_f32_e32 v56, v58, v56
	ds_bpermute_b32 v57, v57, v56
	s_barrier
	s_waitcnt lgkmcnt(0)
	s_and_saveexec_b64 s[4:5], s[6:7]
	s_cbranch_execz .LBB548_17
; %bb.16:
	v_add_f32_e32 v56, v56, v57
	v_lshl_or_b32 v57, v1, 6, v45
	ds_write2st64_b32 v57, v55, v56 offset1:1
.LBB548_17:
	s_or_b64 exec, exec, s[4:5]
	s_load_dword s8, s[0:1], 0x94
	s_waitcnt lgkmcnt(0)
	s_barrier
	ds_read2_b32 v[56:57], v45 offset1:16
	ds_read2_b32 v[58:59], v45 offset0:32 offset1:48
	ds_read2_b32 v[60:61], v45 offset0:64 offset1:80
	;; [unrolled: 1-line block ×3, first 2 shown]
	s_movk_i32 s10, 0x7fff
	s_waitcnt lgkmcnt(3)
	v_max3_f32 v55, v56, s33, v57
	s_waitcnt lgkmcnt(2)
	v_max3_f32 v55, v55, v58, v59
	v_sub_f32_e32 v56, v56, v55
	v_mul_f32_e32 v56, 0x3fb8aa3b, v56
	v_exp_f32_e32 v64, v56
	v_sub_f32_e32 v56, v57, v55
	v_mul_f32_e32 v56, 0x3fb8aa3b, v56
	v_exp_f32_e32 v57, v56
	v_sub_f32_e32 v56, v58, v55
	v_mul_f32_e32 v56, 0x3fb8aa3b, v56
	v_sub_f32_e32 v45, v59, v55
	v_exp_f32_e32 v58, v56
	v_mul_f32_e32 v45, 0x3fb8aa3b, v45
	v_exp_f32_e32 v45, v45
	s_waitcnt lgkmcnt(1)
	v_fma_f32 v56, v64, v60, 0
	v_fmac_f32_e32 v56, v57, v61
	s_waitcnt lgkmcnt(0)
	v_fmac_f32_e32 v56, v58, v62
	v_fmac_f32_e32 v56, v45, v63
	v_add_f32_e32 v59, 0x358637bd, v56
	v_div_scale_f32 v60, s[4:5], v59, v59, 1.0
	v_rcp_f32_e32 v61, v60
	s_mov_b32 s11, 0x7060302
	s_mul_i32 s9, s9, 13
	v_fma_f32 v62, -v60, v61, 1.0
	v_fmac_f32_e32 v61, v62, v61
	v_div_scale_f32 v62, vcc, 1.0, v59, 1.0
	v_mul_f32_e32 v63, v62, v61
	v_fma_f32 v65, -v60, v63, v62
	v_fmac_f32_e32 v63, v65, v61
	v_fma_f32 v60, -v60, v63, v62
	v_div_fmas_f32 v60, v60, v61, v63
	v_cmp_eq_u32_e32 vcc, 1, v1
	v_div_fixup_f32 v59, v60, v59, 1.0
	s_barrier
	v_cndmask_b32_e32 v57, v64, v57, vcc
	v_cmp_eq_u32_e32 vcc, 2, v1
	s_nop 1
	v_cndmask_b32_e32 v57, v57, v58, vcc
	v_cmp_eq_u32_e32 vcc, 3, v1
	v_lshlrev_b32_e32 v1, 11, v1
	s_nop 0
	v_cndmask_b32_e32 v45, v57, v45, vcc
	v_mul_f32_e32 v58, v45, v59
	v_pk_mul_f32 v[50:51], v[58:59], v[50:51] op_sel_hi:[0,1]
	v_bfe_u32 v45, v51, 16, 1
	v_bfe_u32 v57, v50, 16, 1
	v_pk_mul_f32 v[52:53], v[58:59], v[52:53] op_sel_hi:[0,1]
	v_add3_u32 v50, v50, v57, s10
	v_add3_u32 v45, v51, v45, s10
	v_perm_b32 v60, v45, v50, s11
	v_bfe_u32 v45, v53, 16, 1
	v_bfe_u32 v50, v52, 16, 1
	v_add3_u32 v50, v52, v50, s10
	v_add3_u32 v45, v53, v45, s10
	v_perm_b32 v61, v45, v50, s11
	v_lshlrev_b32_e32 v45, 3, v54
	v_lshlrev_b32_e32 v50, 5, v44
	v_pk_mul_f32 v[48:49], v[58:59], v[48:49] op_sel_hi:[0,1]
	v_or3_b32 v1, v1, v50, v45
	v_bfe_u32 v45, v49, 16, 1
	v_bfe_u32 v51, v48, 16, 1
	v_pk_mul_f32 v[46:47], v[58:59], v[46:47] op_sel_hi:[0,1]
	v_add3_u32 v48, v48, v51, s10
	v_add3_u32 v45, v49, v45, s10
	v_perm_b32 v48, v45, v48, s11
	v_bfe_u32 v45, v47, 16, 1
	v_bfe_u32 v49, v46, 16, 1
	v_add3_u32 v46, v46, v49, s10
	v_add3_u32 v45, v47, v45, s10
	v_pk_mul_f32 v[40:41], v[58:59], v[40:41] op_sel_hi:[0,1]
	v_perm_b32 v49, v45, v46, s11
	v_bfe_u32 v45, v41, 16, 1
	v_bfe_u32 v46, v40, 16, 1
	v_pk_mul_f32 v[38:39], v[58:59], v[38:39] op_sel_hi:[0,1]
	v_add3_u32 v40, v40, v46, s10
	v_add3_u32 v41, v41, v45, s10
	v_perm_b32 v40, v41, v40, s11
	v_bfe_u32 v41, v39, 16, 1
	v_bfe_u32 v45, v38, 16, 1
	v_add3_u32 v38, v38, v45, s10
	v_add3_u32 v39, v39, v41, s10
	v_pk_mul_f32 v[36:37], v[58:59], v[36:37] op_sel_hi:[0,1]
	v_perm_b32 v41, v39, v38, s11
	v_bfe_u32 v38, v37, 16, 1
	v_bfe_u32 v39, v36, 16, 1
	v_pk_mul_f32 v[34:35], v[58:59], v[34:35] op_sel_hi:[0,1]
	v_add3_u32 v36, v36, v39, s10
	v_add3_u32 v37, v37, v38, s10
	v_perm_b32 v36, v37, v36, s11
	v_bfe_u32 v37, v35, 16, 1
	v_bfe_u32 v38, v34, 16, 1
	v_add3_u32 v34, v34, v38, s10
	v_add3_u32 v35, v35, v37, s10
	v_perm_b32 v37, v35, v34, s11
	v_cmp_gt_u32_e32 vcc, 13, v0
	ds_write2st64_b64 v1, v[60:61], v[48:49] offset1:1
	ds_write2st64_b64 v1, v[40:41], v[36:37] offset0:2 offset1:3
	s_and_saveexec_b64 s[4:5], vcc
	s_cbranch_execz .LBB548_19
; %bb.18:
	s_mov_b32 s43, 0
	v_mov_b32_e32 v45, 0
	v_lshl_add_u64 v[34:35], s[42:43], 0, v[44:45]
	v_mov_b32_e32 v36, s9
	v_mad_u64_u32 v[34:35], s[16:17], s2, v36, v[34:35]
	s_mul_i32 s3, s3, s9
	v_mov_b32_e32 v44, s28
	s_load_dwordx4 s[12:15], s[0:1], 0x58
	v_add_u32_e32 v37, s3, v35
	v_mad_u64_u32 v[34:35], s[16:17], v34, s8, v[44:45]
	v_mov_b32_e32 v36, v35
	v_mad_u64_u32 v[36:37], s[16:17], v37, s8, v[36:37]
	v_mov_b32_e32 v35, v36
	v_lshlrev_b64 v[34:35], 2, v[34:35]
	s_waitcnt lgkmcnt(0)
	v_lshl_add_u64 v[36:37], s[14:15], 0, v[34:35]
	v_lshl_add_u64 v[34:35], s[12:13], 0, v[34:35]
	global_store_dword v[36:37], v55, off
	global_store_dword v[34:35], v56, off
.LBB548_19:
	s_or_b64 exec, exec, s[4:5]
	v_lshl_or_b32 v48, v54, 9, v50
	s_waitcnt lgkmcnt(0)
	s_barrier
	ds_read_b128 v[34:37], v48
	ds_read_b128 v[38:41], v48 offset:16
	s_waitcnt vmcnt(7) lgkmcnt(1)
	v_mfma_f32_16x16x16_bf16 v[44:47], v[6:7], v[34:35], 0
	v_cmp_gt_u32_e32 vcc, 64, v0
	s_mov_b32 s3, 0
	s_and_b64 s[4:5], vcc, s[30:31]
	v_mfma_f32_16x16x16_bf16 v[6:9], v[8:9], v[36:37], v[44:47]
	s_waitcnt vmcnt(6) lgkmcnt(0)
	v_mfma_f32_16x16x16_bf16 v[6:9], v[2:3], v[38:39], v[6:9]
	v_mfma_f32_16x16x16_bf16 v[2:5], v[4:5], v[40:41], v[6:9]
	s_nop 5
	ds_read_b128 v[6:9], v48 offset:2048
	ds_read_b128 v[34:37], v48 offset:2064
	s_waitcnt vmcnt(5) lgkmcnt(1)
	v_mfma_f32_16x16x16_bf16 v[2:5], v[30:31], v[6:7], v[2:5]
	v_mfma_f32_16x16x16_bf16 v[2:5], v[32:33], v[8:9], v[2:5]
	s_waitcnt vmcnt(4) lgkmcnt(0)
	v_mfma_f32_16x16x16_bf16 v[2:5], v[26:27], v[34:35], v[2:5]
	v_mfma_f32_16x16x16_bf16 v[2:5], v[28:29], v[36:37], v[2:5]
	ds_read_b128 v[6:9], v48 offset:4096
	ds_read_b128 v[26:29], v48 offset:4112
	s_waitcnt vmcnt(3) lgkmcnt(1)
	v_mfma_f32_16x16x16_bf16 v[2:5], v[22:23], v[6:7], v[2:5]
	v_mfma_f32_16x16x16_bf16 v[2:5], v[24:25], v[8:9], v[2:5]
	s_waitcnt vmcnt(2) lgkmcnt(0)
	v_mfma_f32_16x16x16_bf16 v[2:5], v[18:19], v[26:27], v[2:5]
	v_mfma_f32_16x16x16_bf16 v[2:5], v[20:21], v[28:29], v[2:5]
	ds_read_b128 v[6:9], v48 offset:6144
	ds_read_b128 v[18:21], v48 offset:6160
	s_waitcnt lgkmcnt(0)
	s_barrier
	s_waitcnt vmcnt(1)
	v_mfma_f32_16x16x16_bf16 v[2:5], v[14:15], v[6:7], v[2:5]
	v_mfma_f32_16x16x16_bf16 v[2:5], v[16:17], v[8:9], v[2:5]
	s_waitcnt vmcnt(0)
	v_mfma_f32_16x16x16_bf16 v[2:5], v[10:11], v[18:19], v[2:5]
	v_mfma_f32_16x16x16_bf16 v[2:5], v[12:13], v[20:21], v[2:5]
	s_nop 6
	v_bfe_u32 v6, v3, 16, 1
	v_bfe_u32 v7, v2, 16, 1
	;; [unrolled: 1-line block ×4, first 2 shown]
	v_add3_u32 v2, v2, v7, s10
	v_add3_u32 v3, v3, v6, s10
	;; [unrolled: 1-line block ×4, first 2 shown]
	v_perm_b32 v2, v3, v2, s11
	v_perm_b32 v3, v5, v4, s11
	ds_write_b64 v1, v[2:3]
	s_waitcnt lgkmcnt(0)
	s_barrier
	s_and_saveexec_b64 s[10:11], s[4:5]
	s_cbranch_execz .LBB548_22
; %bb.20:
	s_load_dwordx2 s[4:5], s[0:1], 0x68
	s_lshl_b32 s0, s8, 6
	s_mul_i32 s1, s9, s2
	s_mul_hi_u32 s9, s1, s0
	s_mul_i32 s8, s1, s0
	v_lshlrev_b32_e32 v1, 10, v0
	v_lshlrev_b32_e32 v0, 4, v0
	s_lshl_b64 s[8:9], s[8:9], 1
	v_and_b32_e32 v1, 0x1800, v1
	v_lshlrev_b32_e32 v2, 5, v54
	v_and_b32_e32 v0, 16, v0
	s_waitcnt lgkmcnt(0)
	s_add_u32 s1, s4, s8
	v_or3_b32 v2, v1, v2, v0
	s_addc_u32 s4, s5, s9
	s_lshl_b32 s2, s28, 6
	ds_read_b128 v[4:7], v2 offset:256
	s_lshl_b64 s[2:3], s[2:3], 1
	ds_read_b128 v[8:11], v2 offset:128
	ds_read_b128 v[12:15], v2
	s_add_u32 s2, s1, s2
	s_addc_u32 s3, s4, s3
	v_add_u32_e32 v3, s42, v54
	v_lshl_add_u64 v[0:1], v[42:43], 1, s[2:3]
	v_mad_u64_u32 v[16:17], s[2:3], v3, s0, 0
	v_lshl_add_u64 v[16:17], v[16:17], 1, v[0:1]
	s_waitcnt lgkmcnt(0)
	global_store_dwordx4 v[16:17], v[12:15], off
	s_nop 1
	v_add_u32_e32 v12, 4, v3
	v_mad_u64_u32 v[12:13], s[2:3], v12, s0, 0
	v_lshl_add_u64 v[12:13], v[12:13], 1, v[0:1]
	v_add_u32_e32 v3, 8, v3
	global_store_dwordx4 v[12:13], v[8:11], off
	s_nop 1
	v_mad_u64_u32 v[8:9], s[2:3], v3, s0, 0
	v_lshl_add_u64 v[8:9], v[8:9], 1, v[0:1]
	global_store_dwordx4 v[8:9], v[4:7], off
	s_and_b64 exec, exec, s[6:7]
	s_cbranch_execz .LBB548_22
; %bb.21:
	ds_read_b128 v[2:5], v2 offset:384
	v_add3_u32 v6, s42, v54, 12
	v_mad_u64_u32 v[6:7], s[0:1], v6, s0, 0
	v_lshl_add_u64 v[0:1], v[6:7], 1, v[0:1]
	s_waitcnt lgkmcnt(0)
	global_store_dwordx4 v[0:1], v[2:5], off
.LBB548_22:
	s_endpgm
	.section	.rodata,"a",@progbits
	.p2align	6, 0x0
	.amdhsa_kernel _Z39paged_attention_ll4mi_QKV_mfma16_kernelI14__hip_bfloat16S0_LN4vllm18Fp8KVCacheDataTypeE0ES0_Li32ELi64ELi256ELb1ELi13EEvPKT_PKT0_S8_ifPKiSA_SA_iPKfiiiPfSD_PS3_PT2_iSC_SC_
		.amdhsa_group_segment_fixed_size 8192
		.amdhsa_private_segment_fixed_size 0
		.amdhsa_kernarg_size 400
		.amdhsa_user_sgpr_count 2
		.amdhsa_user_sgpr_dispatch_ptr 0
		.amdhsa_user_sgpr_queue_ptr 0
		.amdhsa_user_sgpr_kernarg_segment_ptr 1
		.amdhsa_user_sgpr_dispatch_id 0
		.amdhsa_user_sgpr_kernarg_preload_length 0
		.amdhsa_user_sgpr_kernarg_preload_offset 0
		.amdhsa_user_sgpr_private_segment_size 0
		.amdhsa_uses_dynamic_stack 0
		.amdhsa_enable_private_segment 0
		.amdhsa_system_sgpr_workgroup_id_x 1
		.amdhsa_system_sgpr_workgroup_id_y 1
		.amdhsa_system_sgpr_workgroup_id_z 1
		.amdhsa_system_sgpr_workgroup_info 0
		.amdhsa_system_vgpr_workitem_id 0
		.amdhsa_next_free_vgpr 73
		.amdhsa_next_free_sgpr 48
		.amdhsa_accum_offset 76
		.amdhsa_reserve_vcc 1
		.amdhsa_float_round_mode_32 0
		.amdhsa_float_round_mode_16_64 0
		.amdhsa_float_denorm_mode_32 3
		.amdhsa_float_denorm_mode_16_64 3
		.amdhsa_dx10_clamp 1
		.amdhsa_ieee_mode 1
		.amdhsa_fp16_overflow 0
		.amdhsa_tg_split 0
		.amdhsa_exception_fp_ieee_invalid_op 0
		.amdhsa_exception_fp_denorm_src 0
		.amdhsa_exception_fp_ieee_div_zero 0
		.amdhsa_exception_fp_ieee_overflow 0
		.amdhsa_exception_fp_ieee_underflow 0
		.amdhsa_exception_fp_ieee_inexact 0
		.amdhsa_exception_int_div_zero 0
	.end_amdhsa_kernel
	.section	.text._Z39paged_attention_ll4mi_QKV_mfma16_kernelI14__hip_bfloat16S0_LN4vllm18Fp8KVCacheDataTypeE0ES0_Li32ELi64ELi256ELb1ELi13EEvPKT_PKT0_S8_ifPKiSA_SA_iPKfiiiPfSD_PS3_PT2_iSC_SC_,"axG",@progbits,_Z39paged_attention_ll4mi_QKV_mfma16_kernelI14__hip_bfloat16S0_LN4vllm18Fp8KVCacheDataTypeE0ES0_Li32ELi64ELi256ELb1ELi13EEvPKT_PKT0_S8_ifPKiSA_SA_iPKfiiiPfSD_PS3_PT2_iSC_SC_,comdat
.Lfunc_end548:
	.size	_Z39paged_attention_ll4mi_QKV_mfma16_kernelI14__hip_bfloat16S0_LN4vllm18Fp8KVCacheDataTypeE0ES0_Li32ELi64ELi256ELb1ELi13EEvPKT_PKT0_S8_ifPKiSA_SA_iPKfiiiPfSD_PS3_PT2_iSC_SC_, .Lfunc_end548-_Z39paged_attention_ll4mi_QKV_mfma16_kernelI14__hip_bfloat16S0_LN4vllm18Fp8KVCacheDataTypeE0ES0_Li32ELi64ELi256ELb1ELi13EEvPKT_PKT0_S8_ifPKiSA_SA_iPKfiiiPfSD_PS3_PT2_iSC_SC_
                                        ; -- End function
	.section	.AMDGPU.csdata,"",@progbits
; Kernel info:
; codeLenInByte = 4476
; NumSgprs: 54
; NumVgprs: 73
; NumAgprs: 0
; TotalNumVgprs: 73
; ScratchSize: 0
; MemoryBound: 0
; FloatMode: 240
; IeeeMode: 1
; LDSByteSize: 8192 bytes/workgroup (compile time only)
; SGPRBlocks: 6
; VGPRBlocks: 9
; NumSGPRsForWavesPerEU: 54
; NumVGPRsForWavesPerEU: 73
; AccumOffset: 76
; Occupancy: 6
; WaveLimiterHint : 1
; COMPUTE_PGM_RSRC2:SCRATCH_EN: 0
; COMPUTE_PGM_RSRC2:USER_SGPR: 2
; COMPUTE_PGM_RSRC2:TRAP_HANDLER: 0
; COMPUTE_PGM_RSRC2:TGID_X_EN: 1
; COMPUTE_PGM_RSRC2:TGID_Y_EN: 1
; COMPUTE_PGM_RSRC2:TGID_Z_EN: 1
; COMPUTE_PGM_RSRC2:TIDIG_COMP_CNT: 0
; COMPUTE_PGM_RSRC3_GFX90A:ACCUM_OFFSET: 18
; COMPUTE_PGM_RSRC3_GFX90A:TG_SPLIT: 0
	.section	.text._Z39paged_attention_ll4mi_QKV_mfma16_kernelI14__hip_bfloat16S0_LN4vllm18Fp8KVCacheDataTypeE0ES0_Li32ELi64ELi256ELb1ELi14EEvPKT_PKT0_S8_ifPKiSA_SA_iPKfiiiPfSD_PS3_PT2_iSC_SC_,"axG",@progbits,_Z39paged_attention_ll4mi_QKV_mfma16_kernelI14__hip_bfloat16S0_LN4vllm18Fp8KVCacheDataTypeE0ES0_Li32ELi64ELi256ELb1ELi14EEvPKT_PKT0_S8_ifPKiSA_SA_iPKfiiiPfSD_PS3_PT2_iSC_SC_,comdat
	.protected	_Z39paged_attention_ll4mi_QKV_mfma16_kernelI14__hip_bfloat16S0_LN4vllm18Fp8KVCacheDataTypeE0ES0_Li32ELi64ELi256ELb1ELi14EEvPKT_PKT0_S8_ifPKiSA_SA_iPKfiiiPfSD_PS3_PT2_iSC_SC_ ; -- Begin function _Z39paged_attention_ll4mi_QKV_mfma16_kernelI14__hip_bfloat16S0_LN4vllm18Fp8KVCacheDataTypeE0ES0_Li32ELi64ELi256ELb1ELi14EEvPKT_PKT0_S8_ifPKiSA_SA_iPKfiiiPfSD_PS3_PT2_iSC_SC_
	.globl	_Z39paged_attention_ll4mi_QKV_mfma16_kernelI14__hip_bfloat16S0_LN4vllm18Fp8KVCacheDataTypeE0ES0_Li32ELi64ELi256ELb1ELi14EEvPKT_PKT0_S8_ifPKiSA_SA_iPKfiiiPfSD_PS3_PT2_iSC_SC_
	.p2align	8
	.type	_Z39paged_attention_ll4mi_QKV_mfma16_kernelI14__hip_bfloat16S0_LN4vllm18Fp8KVCacheDataTypeE0ES0_Li32ELi64ELi256ELb1ELi14EEvPKT_PKT0_S8_ifPKiSA_SA_iPKfiiiPfSD_PS3_PT2_iSC_SC_,@function
_Z39paged_attention_ll4mi_QKV_mfma16_kernelI14__hip_bfloat16S0_LN4vllm18Fp8KVCacheDataTypeE0ES0_Li32ELi64ELi256ELb1ELi14EEvPKT_PKT0_S8_ifPKiSA_SA_iPKfiiiPfSD_PS3_PT2_iSC_SC_: ; @_Z39paged_attention_ll4mi_QKV_mfma16_kernelI14__hip_bfloat16S0_LN4vllm18Fp8KVCacheDataTypeE0ES0_Li32ELi64ELi256ELb1ELi14EEvPKT_PKT0_S8_ifPKiSA_SA_iPKfiiiPfSD_PS3_PT2_iSC_SC_
; %bb.0:
	s_load_dwordx2 s[6:7], s[0:1], 0x30
	s_mov_b32 s28, s3
	s_mov_b64 s[8:9], 0
	s_waitcnt lgkmcnt(0)
	s_cmp_lg_u64 s[6:7], 0
	s_cselect_b64 s[10:11], -1, 0
	s_and_b64 vcc, exec, s[10:11]
	s_cbranch_vccz .LBB549_7
; %bb.1:
	s_add_i32 s12, s2, 1
	s_mov_b32 s13, 0
	s_lshl_b64 s[14:15], s[12:13], 2
	s_add_u32 s14, s6, s14
	s_mov_b32 s3, s13
	s_addc_u32 s15, s7, s15
	s_lshl_b64 s[12:13], s[2:3], 2
	s_add_u32 s12, s6, s12
	s_addc_u32 s13, s7, s13
	s_load_dword s5, s[14:15], 0x0
	s_load_dword s16, s[12:13], 0x0
	s_waitcnt lgkmcnt(0)
	s_sub_i32 s5, s5, s16
	s_cmp_eq_u32 s5, 1
	s_cselect_b64 s[12:13], -1, 0
	s_andn2_b64 vcc, exec, s[8:9]
	s_cbranch_vccnz .LBB549_3
.LBB549_2:
	s_mov_b32 s3, 0
	s_mov_b64 s[12:13], -1
.LBB549_3:
	s_andn2_b64 vcc, exec, s[12:13]
	s_cbranch_vccnz .LBB549_22
; %bb.4:
	s_load_dwordx2 s[8:9], s[0:1], 0x28
	s_lshl_b64 s[12:13], s[2:3], 2
	s_waitcnt lgkmcnt(0)
	s_add_u32 s8, s8, s12
	s_addc_u32 s9, s9, s13
	s_load_dword s29, s[8:9], 0x0
	s_lshl_b32 s14, s28, 8
	s_waitcnt lgkmcnt(0)
	s_cmp_ge_i32 s14, s29
	s_cbranch_scc1 .LBB549_22
; %bb.5:
	s_load_dwordx2 s[8:9], s[0:1], 0x20
	s_load_dword s5, s[0:1], 0x38
	s_add_i32 s15, s29, 31
	s_ashr_i32 s16, s15, 31
	v_and_b32_e32 v1, 0xcf, v0
	s_lshr_b32 s16, s16, 27
	v_add_u32_e32 v1, s14, v1
	s_add_i32 s15, s15, s16
	v_ashrrev_i32_e32 v2, 31, v1
	s_ashr_i32 s15, s15, 5
	v_lshrrev_b32_e32 v6, 27, v2
	s_add_i32 s15, s15, -1
	s_waitcnt lgkmcnt(0)
	s_mul_i32 s16, s2, s5
	s_mov_b32 s17, 0
	v_add_u32_e32 v2, v1, v6
	s_lshl_b64 s[16:17], s[16:17], 2
	v_ashrrev_i32_e32 v2, 5, v2
	v_mov_b32_e32 v7, s15
	v_cmp_gt_i32_e32 vcc, s29, v1
	s_add_u32 s8, s8, s16
	s_addc_u32 s9, s9, s17
	v_cndmask_b32_e32 v2, v7, v2, vcc
	v_ashrrev_i32_e32 v3, 31, v2
	v_lshl_add_u64 v[4:5], v[2:3], 2, s[8:9]
	v_or_b32_e32 v2, 16, v1
	v_add_u32_e32 v3, v2, v6
	v_ashrrev_i32_e32 v3, 5, v3
	v_cmp_gt_i32_e32 vcc, s29, v2
	s_nop 1
	v_cndmask_b32_e32 v2, v7, v3, vcc
	v_ashrrev_i32_e32 v3, 31, v2
	v_lshl_add_u64 v[8:9], v[2:3], 2, s[8:9]
	v_or_b32_e32 v2, 32, v1
	v_add_u32_e32 v3, v2, v6
	v_ashrrev_i32_e32 v3, 5, v3
	v_cmp_gt_i32_e32 vcc, s29, v2
	v_or_b32_e32 v1, 48, v1
	s_nop 0
	v_cndmask_b32_e32 v2, v7, v3, vcc
	v_ashrrev_i32_e32 v3, 31, v2
	v_lshl_add_u64 v[12:13], v[2:3], 2, s[8:9]
	v_add_u32_e32 v2, v1, v6
	v_ashrrev_i32_e32 v2, 5, v2
	v_cmp_gt_i32_e32 vcc, s29, v1
	s_nop 1
	v_cndmask_b32_e32 v2, v7, v2, vcc
	v_ashrrev_i32_e32 v3, 31, v2
	v_lshl_add_u64 v[16:17], v[2:3], 2, s[8:9]
	global_load_dword v2, v[4:5], off
	global_load_dword v6, v[8:9], off
	;; [unrolled: 1-line block ×4, first 2 shown]
	s_andn2_b64 vcc, exec, s[10:11]
	s_cbranch_vccnz .LBB549_8
; %bb.6:
	s_add_u32 s6, s6, s12
	s_addc_u32 s7, s7, s13
	s_load_dword s5, s[6:7], 0x0
	s_branch .LBB549_9
.LBB549_7:
	s_mov_b64 s[12:13], 0
	s_branch .LBB549_2
.LBB549_8:
	s_mov_b32 s5, s2
.LBB549_9:
	s_load_dwordx2 s[10:11], s[0:1], 0x8
	s_load_dwordx4 s[44:47], s[0:1], 0x48
	v_lshrrev_b32_e32 v1, 6, v0
	v_bfe_u32 v54, v0, 4, 2
	v_lshl_or_b32 v3, v1, 2, v54
	v_and_b32_e32 v44, 15, v0
	v_cmp_lt_u32_e32 vcc, 13, v3
	v_cmp_lt_u32_e64 s[6:7], 7, v44
	v_lshlrev_b32_e32 v42, 3, v44
	v_cmp_gt_u32_e64 s[30:31], 8, v44
	s_or_b64 s[6:7], s[6:7], vcc
	s_and_saveexec_b64 s[12:13], s[6:7]
	s_xor_b64 s[6:7], exec, s[12:13]
; %bb.10:
	v_mov_b32_e32 v43, 0
                                        ; implicit-def: $vgpr3
; %bb.11:
	s_or_saveexec_b64 s[12:13], s[6:7]
	s_load_dwordx2 s[6:7], s[0:1], 0x10
	s_mul_i32 s42, s4, 14
	s_xor_b64 exec, exec, s[12:13]
	s_cbranch_execz .LBB549_13
; %bb.12:
	s_load_dwordx2 s[16:17], s[0:1], 0x0
	s_waitcnt lgkmcnt(0)
	s_ashr_i32 s18, s44, 31
	s_mul_hi_u32 s19, s5, s44
	s_mul_i32 s18, s5, s18
	s_add_i32 s19, s19, s18
	s_mul_i32 s18, s5, s44
	s_lshl_b64 s[18:19], s[18:19], 1
	s_add_u32 s16, s16, s18
	v_add_lshl_u32 v4, v3, s42, 6
	s_addc_u32 s17, s17, s19
	v_ashrrev_i32_e32 v5, 31, v4
	v_mov_b32_e32 v43, 0
	v_lshl_add_u64 v[4:5], v[4:5], 1, s[16:17]
	v_lshlrev_b32_e32 v8, 1, v42
	v_mov_b32_e32 v9, v43
	v_lshl_add_u64 v[4:5], v[4:5], 0, v[8:9]
	global_load_dwordx4 v[16:19], v[4:5], off
	v_and_b32_e32 v4, 3, v0
	v_lshlrev_b32_e32 v5, 9, v44
	v_lshlrev_b32_e32 v3, 5, v3
	;; [unrolled: 1-line block ×3, first 2 shown]
	v_and_b32_e32 v5, 0x1800, v5
	v_or3_b32 v3, v5, v4, v3
	s_waitcnt vmcnt(0)
	ds_write_b128 v3, v[16:19]
.LBB549_13:
	s_or_b64 exec, exec, s[12:13]
	s_waitcnt lgkmcnt(0)
	s_mul_i32 s4, s4, s46
	s_mov_b32 s5, 0
	s_lshl_b64 s[4:5], s[4:5], 1
	s_add_u32 s10, s10, s4
	s_addc_u32 s11, s11, s5
	s_waitcnt vmcnt(3)
	v_mad_i64_i32 v[2:3], s[12:13], v2, s45, 0
	v_lshl_add_u64 v[2:3], v[2:3], 1, s[10:11]
	v_lshlrev_b64 v[12:13], 1, v[42:43]
	v_lshlrev_b32_e32 v46, 9, v54
	v_lshl_add_u64 v[2:3], v[2:3], 0, v[12:13]
	v_mov_b32_e32 v47, 0
	v_lshl_add_u64 v[8:9], v[2:3], 0, v[46:47]
	s_barrier
	global_load_dwordx4 v[22:25], v[8:9], off
	global_load_dwordx4 v[2:5], v[8:9], off offset:2048
	s_waitcnt vmcnt(4)
	v_mad_i64_i32 v[6:7], s[12:13], v6, s45, 0
	v_mov_b32_e32 v8, 0x100
	v_lshl_add_u64 v[6:7], v[6:7], 1, s[10:11]
	v_lshl_or_b32 v16, v44, 4, v8
	v_mov_b32_e32 v17, v47
	s_waitcnt vmcnt(3)
	v_mad_i64_i32 v[10:11], s[12:13], v10, s45, 0
	v_lshl_add_u64 v[6:7], v[6:7], 0, v[16:17]
	v_lshl_add_u64 v[10:11], v[10:11], 1, s[10:11]
	s_waitcnt vmcnt(2)
	v_mad_i64_i32 v[14:15], s[12:13], v14, s45, 0
	v_lshl_add_u64 v[18:19], v[6:7], 0, v[46:47]
	v_lshl_add_u64 v[10:11], v[10:11], 0, v[12:13]
	;; [unrolled: 1-line block ×3, first 2 shown]
	global_load_dwordx4 v[26:29], v[18:19], off
	global_load_dwordx4 v[6:9], v[18:19], off offset:2048
	v_lshl_add_u64 v[18:19], v[10:11], 0, v[46:47]
	v_lshl_add_u64 v[14:15], v[14:15], 0, v[16:17]
	global_load_dwordx4 v[30:33], v[18:19], off
	global_load_dwordx4 v[10:13], v[18:19], off offset:2048
	v_lshl_add_u64 v[18:19], v[14:15], 0, v[46:47]
	global_load_dwordx4 v[34:37], v[18:19], off
	global_load_dwordx4 v[14:17], v[18:19], off offset:2048
	v_add_u32_e32 v18, -14, v44
	v_cmp_gt_u32_e32 vcc, 14, v44
	v_and_b32_e32 v45, 63, v0
	v_mov_b32_e32 v50, 0
	v_cndmask_b32_e32 v18, v18, v44, vcc
	v_lshl_add_u32 v18, v18, 5, v46
	ds_read_b128 v[38:41], v18
	ds_read_b128 v[18:21], v18 offset:2048
	s_and_saveexec_b64 s[10:11], vcc
	s_cbranch_execz .LBB549_15
; %bb.14:
	s_load_dwordx2 s[12:13], s[0:1], 0x40
	v_add_u32_e32 v48, s42, v44
	v_ashrrev_i32_e32 v49, 31, v48
	s_waitcnt lgkmcnt(0)
	v_lshl_add_u64 v[48:49], v[48:49], 2, s[12:13]
	global_load_dword v50, v[48:49], off
.LBB549_15:
	s_or_b64 exec, exec, s[10:11]
	s_ashr_i32 s10, s14, 31
	v_and_or_b32 v46, v0, 48, s14
	s_lshr_b32 s11, s10, 27
	v_add_u32_e32 v48, s11, v46
	v_or_b32_e32 v52, 64, v46
	v_ashrrev_i32_e32 v48, 5, v48
	v_mov_b32_e32 v51, s15
	v_cmp_gt_i32_e32 vcc, s29, v46
	v_add_u32_e32 v53, s11, v52
	s_waitcnt vmcnt(7) lgkmcnt(1)
	v_mfma_f32_16x16x16_bf16 v[56:59], v[22:23], v[38:39], 0
	v_cndmask_b32_e32 v48, v51, v48, vcc
	v_ashrrev_i32_e32 v22, 5, v53
	v_cmp_gt_i32_e32 vcc, s29, v52
	v_ashrrev_i32_e32 v49, 31, v48
	v_lshl_add_u64 v[48:49], v[48:49], 2, s[8:9]
	v_cndmask_b32_e32 v22, v51, v22, vcc
	v_ashrrev_i32_e32 v23, 31, v22
	v_lshl_add_u64 v[22:23], v[22:23], 2, s[8:9]
	global_load_dword v55, v[48:49], off
	global_load_dword v72, v[22:23], off
	s_waitcnt vmcnt(3)
	v_mfma_f32_16x16x16_bf16 v[68:71], v[34:35], v[38:39], 0
	v_or_b32_e32 v48, 0xc0, v46
	v_add_u32_e32 v52, s11, v48
	s_add_u32 s4, s6, s4
	v_mfma_f32_16x16x16_bf16 v[60:63], v[26:27], v[38:39], 0
	s_addc_u32 s5, s7, s5
	s_load_dword s10, s[0:1], 0x1c
	s_mov_b32 s33, 0xff7fffff
	v_mfma_f32_16x16x16_bf16 v[64:67], v[30:31], v[38:39], 0
	v_and_b32_e32 v31, 0xc0, v0
	v_or_b32_e32 v38, 0x80, v46
	v_add_u32_e32 v34, s14, v31
	v_mfma_f32_16x16x16_bf16 v[22:25], v[24:25], v[40:41], v[56:59]
	v_and_b32_e32 v30, 16, v0
	v_add_u32_e32 v49, s11, v38
	v_lshlrev_b32_e32 v46, 1, v30
	v_lshl_or_b32 v56, v54, 2, v34
	v_mfma_f32_16x16x16_bf16 v[34:37], v[36:37], v[40:41], v[68:71]
	v_cmp_gt_i32_e32 vcc, s29, v38
	v_lshlrev_b32_e32 v39, 6, v44
	v_or_b32_e32 v57, 1, v56
	v_mfma_f32_16x16x16_bf16 v[26:29], v[28:29], v[40:41], v[60:63]
	v_cmp_gt_i32_e64 s[34:35], s29, v57
	v_mfma_f32_16x16x16_bf16 v[30:33], v[32:33], v[40:41], v[64:67]
	v_ashrrev_i32_e32 v40, 5, v49
	v_ashrrev_i32_e32 v41, 5, v52
	v_cndmask_b32_e32 v38, v51, v40, vcc
	v_cmp_gt_i32_e32 vcc, s29, v48
	s_waitcnt lgkmcnt(0)
	v_mfma_f32_16x16x16_bf16 v[22:25], v[2:3], v[18:19], v[22:25]
	v_lshl_add_u64 v[2:3], s[4:5], 0, v[46:47]
	v_cndmask_b32_e32 v40, v51, v41, vcc
	v_lshl_or_b32 v46, v1, 10, v39
	v_ashrrev_i32_e32 v39, 31, v38
	v_ashrrev_i32_e32 v41, 31, v40
	s_waitcnt vmcnt(2)
	v_mfma_f32_16x16x16_bf16 v[34:37], v[14:15], v[18:19], v[34:37]
	v_lshl_add_u64 v[14:15], v[38:39], 2, s[8:9]
	v_subrev_u32_e32 v51, s29, v57
	v_cvt_f32_i32_e32 v58, v51
	v_mfma_f32_16x16x16_bf16 v[26:29], v[6:7], v[18:19], v[26:29]
	v_mfma_f32_16x16x16_bf16 v[30:33], v[10:11], v[18:19], v[30:33]
	v_lshl_add_u64 v[18:19], v[40:41], 2, s[8:9]
	global_load_dword v59, v[14:15], off
	global_load_dword v60, v[18:19], off
	v_lshl_add_u64 v[10:11], v[2:3], 0, v[46:47]
	v_mfma_f32_16x16x16_bf16 v[2:5], v[4:5], v[20:21], v[22:25]
	v_add_u32_e32 v46, 1, v51
	v_add_u32_e32 v47, 3, v51
	;; [unrolled: 1-line block ×3, first 2 shown]
	v_mfma_f32_16x16x16_bf16 v[14:17], v[16:17], v[20:21], v[34:37]
	v_add_u32_e32 v22, 2, v51
	s_nop 1
	v_pk_mul_f32 v[52:53], s[10:11], v[4:5] op_sel_hi:[0,1]
	v_cvt_f32_i32_e32 v18, v18
	v_mfma_f32_16x16x16_bf16 v[6:9], v[8:9], v[20:21], v[26:29]
	v_add_u32_e32 v19, 19, v51
	v_pk_mul_f32 v[34:35], s[10:11], v[16:17] op_sel_hi:[0,1]
	v_pk_mul_f32 v[36:37], s[10:11], v[14:15] op_sel_hi:[0,1]
	v_cvt_f32_i32_e32 v27, v22
	v_mfma_f32_16x16x16_bf16 v[22:25], v[12:13], v[20:21], v[30:33]
	v_pk_mul_f32 v[12:13], s[10:11], v[2:3] op_sel_hi:[0,1]
	v_cvt_f32_i32_e32 v26, v46
	v_cvt_f32_i32_e32 v28, v47
	v_pk_mul_f32 v[46:47], s[10:11], v[8:9] op_sel_hi:[0,1]
	v_pk_mul_f32 v[48:49], s[10:11], v[6:7] op_sel_hi:[0,1]
	v_cvt_f32_i32_e32 v19, v19
	v_fma_f32 v46, v50, v18, v46
	v_add_u32_e32 v18, 34, v51
	v_cvt_f32_i32_e32 v18, v18
	v_fmac_f32_e32 v47, v50, v19
	v_add_u32_e32 v19, 35, v51
	v_cvt_f32_i32_e32 v19, v19
	v_pk_mul_f32 v[40:41], s[10:11], v[22:23] op_sel_hi:[0,1]
	v_pk_mul_f32 v[38:39], s[10:11], v[24:25] op_sel_hi:[0,1]
	v_fma_f32 v38, v50, v18, v38
	v_add_u32_e32 v18, 50, v51
	s_waitcnt vmcnt(3)
	v_mad_i64_i32 v[2:3], s[4:5], v55, s45, 0
	s_waitcnt vmcnt(2)
	v_mad_i64_i32 v[4:5], s[4:5], v72, s45, 0
	v_lshl_add_u64 v[16:17], v[2:3], 1, v[10:11]
	v_lshl_add_u64 v[14:15], v[4:5], 1, v[10:11]
	global_load_dwordx4 v[6:9], v[16:17], off
	global_load_dwordx4 v[2:5], v[16:17], off offset:16
	v_add_u32_e32 v16, 16, v51
	v_cvt_f32_i32_e32 v16, v16
	v_add_u32_e32 v17, 17, v51
	v_cvt_f32_i32_e32 v17, v17
	v_fmac_f32_e32 v39, v50, v19
	v_fma_f32 v48, v50, v16, v48
	v_add_u32_e32 v16, 32, v51
	v_fmac_f32_e32 v49, v50, v17
	v_cvt_f32_i32_e32 v16, v16
	v_add_u32_e32 v17, 33, v51
	v_cvt_f32_i32_e32 v17, v17
	v_cvt_f32_i32_e32 v18, v18
	v_fma_f32 v40, v50, v16, v40
	v_add_u32_e32 v16, 48, v51
	v_fmac_f32_e32 v41, v50, v17
	v_cvt_f32_i32_e32 v16, v16
	v_add_u32_e32 v17, 49, v51
	v_cvt_f32_i32_e32 v17, v17
	v_add_u32_e32 v19, 51, v51
	v_cvt_f32_i32_e32 v19, v19
	v_fma_f32 v12, v50, v58, v12
	v_fmac_f32_e32 v13, v50, v26
	v_fma_f32 v36, v50, v16, v36
	v_mov_b32_e32 v16, 0xff7fffff
	v_cmp_gt_i32_e64 s[4:5], s29, v56
	v_fmac_f32_e32 v37, v50, v17
	v_fma_f32 v34, v50, v18, v34
	v_cndmask_b32_e64 v17, v16, v12, s[4:5]
	v_cndmask_b32_e64 v18, v16, v13, s[34:35]
	v_fmac_f32_e32 v35, v50, v19
	v_max3_f32 v17, v17, s33, v18
	v_or_b32_e32 v18, 2, v56
	v_or_b32_e32 v19, 3, v56
	v_fma_f32 v52, v50, v27, v52
	v_fmac_f32_e32 v53, v50, v28
	v_cmp_gt_i32_e64 s[36:37], s29, v18
	v_cmp_gt_i32_e64 s[38:39], s29, v19
	global_load_dwordx4 v[30:33], v[14:15], off
	global_load_dwordx4 v[26:29], v[14:15], off offset:16
	v_cndmask_b32_e64 v18, v16, v52, s[36:37]
	v_cndmask_b32_e64 v19, v16, v53, s[38:39]
	v_max3_f32 v17, v17, v18, v19
	v_or_b32_e32 v18, 16, v56
	v_or_b32_e32 v19, 17, v56
	v_cmp_gt_i32_e64 s[24:25], s29, v18
	v_cmp_gt_i32_e64 s[26:27], s29, v19
	s_nop 0
	v_cndmask_b32_e64 v18, v16, v48, s[24:25]
	v_cndmask_b32_e64 v19, v16, v49, s[26:27]
	v_max3_f32 v17, v17, v18, v19
	v_or_b32_e32 v18, 18, v56
	v_or_b32_e32 v19, 19, v56
	v_cmp_gt_i32_e64 s[20:21], s29, v18
	v_cmp_gt_i32_e64 s[22:23], s29, v19
	s_nop 0
	;; [unrolled: 8-line block ×5, first 2 shown]
	v_cndmask_b32_e64 v18, v16, v36, s[8:9]
	v_cndmask_b32_e64 v19, v16, v37, s[10:11]
	v_max3_f32 v17, v17, v18, v19
	v_or_b32_e32 v18, 50, v56
	v_or_b32_e32 v19, 51, v56
	v_cmp_gt_i32_e32 vcc, s29, v18
	v_cmp_gt_i32_e64 s[6:7], s29, v19
	s_nop 0
	v_cndmask_b32_e32 v18, v16, v34, vcc
	v_cndmask_b32_e64 v16, v16, v35, s[6:7]
	v_max3_f32 v16, v17, v18, v16
	v_mbcnt_lo_u32_b32 v17, -1, 0
	v_mbcnt_hi_u32_b32 v17, -1, v17
	v_and_b32_e32 v18, 64, v17
	v_add_u32_e32 v18, 64, v18
	v_xor_b32_e32 v19, 32, v17
	v_cmp_lt_i32_e64 s[40:41], v19, v18
	s_nop 1
	v_cndmask_b32_e64 v19, v17, v19, s[40:41]
	v_lshlrev_b32_e32 v56, 2, v19
	ds_bpermute_b32 v19, v56, v16
	s_waitcnt vmcnt(5)
	v_mad_i64_i32 v[14:15], s[40:41], v59, s45, 0
	v_lshl_add_u64 v[14:15], v[14:15], 1, v[10:11]
	s_waitcnt lgkmcnt(0)
	v_max_f32_e32 v19, v19, v19
	v_max_f32_e32 v16, v16, v19
	v_xor_b32_e32 v19, 16, v17
	v_cmp_lt_i32_e64 s[40:41], v19, v18
	s_nop 1
	v_cndmask_b32_e64 v17, v17, v19, s[40:41]
	v_lshlrev_b32_e32 v57, 2, v17
	ds_bpermute_b32 v17, v57, v16
	global_load_dwordx4 v[22:25], v[14:15], off
	global_load_dwordx4 v[18:21], v[14:15], off offset:16
	s_waitcnt vmcnt(6)
	v_mad_i64_i32 v[14:15], s[40:41], v60, s45, 0
	v_lshl_add_u64 v[10:11], v[14:15], 1, v[10:11]
	s_waitcnt lgkmcnt(0)
	v_max_f32_e32 v14, v17, v17
	v_max_f32_e32 v55, v16, v14
	v_sub_f32_e32 v12, v12, v55
	v_mul_f32_e32 v12, 0x3fb8aa3b, v12
	v_exp_f32_e32 v50, v12
	v_sub_f32_e32 v12, v13, v55
	v_mul_f32_e32 v12, 0x3fb8aa3b, v12
	v_exp_f32_e32 v51, v12
	global_load_dwordx4 v[14:17], v[10:11], off
	s_nop 0
	global_load_dwordx4 v[10:13], v[10:11], off offset:16
	v_sub_f32_e32 v52, v52, v55
	v_mul_f32_e32 v52, 0x3fb8aa3b, v52
	v_sub_f32_e32 v53, v53, v55
	v_exp_f32_e32 v52, v52
	v_mul_f32_e32 v53, 0x3fb8aa3b, v53
	v_sub_f32_e32 v48, v48, v55
	v_exp_f32_e32 v53, v53
	v_mul_f32_e32 v48, 0x3fb8aa3b, v48
	v_sub_f32_e32 v49, v49, v55
	v_cndmask_b32_e64 v50, 0, v50, s[4:5]
	v_exp_f32_e32 v48, v48
	v_mul_f32_e32 v49, 0x3fb8aa3b, v49
	v_sub_f32_e32 v46, v46, v55
	v_add_f32_e32 v58, 0, v50
	v_cndmask_b32_e64 v51, 0, v51, s[34:35]
	v_exp_f32_e32 v49, v49
	v_mul_f32_e32 v46, 0x3fb8aa3b, v46
	v_sub_f32_e32 v47, v47, v55
	v_add_f32_e32 v58, v58, v51
	;; [unrolled: 5-line block ×10, first 2 shown]
	v_cndmask_b32_e64 v38, 0, v38, s[12:13]
	v_exp_f32_e32 v34, v34
	v_mul_f32_e32 v35, 0x3fb8aa3b, v35
	v_add_f32_e32 v58, v58, v38
	v_cndmask_b32_e64 v39, 0, v39, s[14:15]
	v_exp_f32_e32 v35, v35
	v_add_f32_e32 v58, v58, v39
	v_cndmask_b32_e64 v36, 0, v36, s[8:9]
	v_add_f32_e32 v58, v58, v36
	v_cndmask_b32_e64 v37, 0, v37, s[10:11]
	v_add_f32_e32 v58, v58, v37
	v_cndmask_b32_e32 v34, 0, v34, vcc
	v_add_f32_e32 v58, v58, v34
	v_cndmask_b32_e64 v35, 0, v35, s[6:7]
	v_add_f32_e32 v58, v58, v35
	ds_bpermute_b32 v56, v56, v58
	s_load_dword s7, s[0:1], 0x98
	v_cmp_gt_u32_e32 vcc, 16, v45
	v_lshlrev_b32_e32 v45, 2, v44
	s_waitcnt lgkmcnt(0)
	v_add_f32_e32 v56, v58, v56
	ds_bpermute_b32 v57, v57, v56
	s_barrier
	s_waitcnt lgkmcnt(0)
	s_and_saveexec_b64 s[4:5], vcc
	s_cbranch_execz .LBB549_17
; %bb.16:
	v_add_f32_e32 v56, v56, v57
	v_lshl_or_b32 v57, v1, 6, v45
	ds_write2st64_b32 v57, v55, v56 offset1:1
.LBB549_17:
	s_or_b64 exec, exec, s[4:5]
	s_load_dword s6, s[0:1], 0x94
	s_waitcnt lgkmcnt(0)
	s_barrier
	ds_read2_b32 v[56:57], v45 offset1:16
	ds_read2_b32 v[58:59], v45 offset0:32 offset1:48
	ds_read2_b32 v[60:61], v45 offset0:64 offset1:80
	;; [unrolled: 1-line block ×3, first 2 shown]
	s_movk_i32 s8, 0x7fff
	s_waitcnt lgkmcnt(3)
	v_max3_f32 v55, v56, s33, v57
	s_waitcnt lgkmcnt(2)
	v_max3_f32 v55, v55, v58, v59
	v_sub_f32_e32 v56, v56, v55
	v_mul_f32_e32 v56, 0x3fb8aa3b, v56
	v_exp_f32_e32 v64, v56
	v_sub_f32_e32 v56, v57, v55
	v_mul_f32_e32 v56, 0x3fb8aa3b, v56
	v_exp_f32_e32 v57, v56
	v_sub_f32_e32 v56, v58, v55
	v_mul_f32_e32 v56, 0x3fb8aa3b, v56
	v_sub_f32_e32 v45, v59, v55
	v_exp_f32_e32 v58, v56
	v_mul_f32_e32 v45, 0x3fb8aa3b, v45
	v_exp_f32_e32 v45, v45
	s_waitcnt lgkmcnt(1)
	v_fma_f32 v56, v64, v60, 0
	v_fmac_f32_e32 v56, v57, v61
	s_waitcnt lgkmcnt(0)
	v_fmac_f32_e32 v56, v58, v62
	v_fmac_f32_e32 v56, v45, v63
	v_add_f32_e32 v59, 0x358637bd, v56
	v_div_scale_f32 v60, s[4:5], v59, v59, 1.0
	v_rcp_f32_e32 v61, v60
	s_mov_b32 s9, 0x7060302
	s_mul_i32 s7, s7, 14
	v_fma_f32 v62, -v60, v61, 1.0
	v_fmac_f32_e32 v61, v62, v61
	v_div_scale_f32 v62, vcc, 1.0, v59, 1.0
	v_mul_f32_e32 v63, v62, v61
	v_fma_f32 v65, -v60, v63, v62
	v_fmac_f32_e32 v63, v65, v61
	v_fma_f32 v60, -v60, v63, v62
	v_div_fmas_f32 v60, v60, v61, v63
	v_cmp_eq_u32_e32 vcc, 1, v1
	v_div_fixup_f32 v59, v60, v59, 1.0
	s_barrier
	v_cndmask_b32_e32 v57, v64, v57, vcc
	v_cmp_eq_u32_e32 vcc, 2, v1
	s_nop 1
	v_cndmask_b32_e32 v57, v57, v58, vcc
	v_cmp_eq_u32_e32 vcc, 3, v1
	v_lshlrev_b32_e32 v1, 11, v1
	s_nop 0
	v_cndmask_b32_e32 v45, v57, v45, vcc
	v_mul_f32_e32 v58, v45, v59
	v_pk_mul_f32 v[50:51], v[58:59], v[50:51] op_sel_hi:[0,1]
	v_bfe_u32 v45, v51, 16, 1
	v_bfe_u32 v57, v50, 16, 1
	v_pk_mul_f32 v[52:53], v[58:59], v[52:53] op_sel_hi:[0,1]
	v_add3_u32 v50, v50, v57, s8
	v_add3_u32 v45, v51, v45, s8
	v_perm_b32 v60, v45, v50, s9
	v_bfe_u32 v45, v53, 16, 1
	v_bfe_u32 v50, v52, 16, 1
	v_add3_u32 v50, v52, v50, s8
	v_add3_u32 v45, v53, v45, s8
	v_perm_b32 v61, v45, v50, s9
	v_lshlrev_b32_e32 v45, 3, v54
	v_lshlrev_b32_e32 v50, 5, v44
	v_pk_mul_f32 v[48:49], v[58:59], v[48:49] op_sel_hi:[0,1]
	v_or3_b32 v1, v1, v50, v45
	v_bfe_u32 v45, v49, 16, 1
	v_bfe_u32 v51, v48, 16, 1
	v_pk_mul_f32 v[46:47], v[58:59], v[46:47] op_sel_hi:[0,1]
	v_add3_u32 v48, v48, v51, s8
	v_add3_u32 v45, v49, v45, s8
	v_perm_b32 v48, v45, v48, s9
	v_bfe_u32 v45, v47, 16, 1
	v_bfe_u32 v49, v46, 16, 1
	v_add3_u32 v46, v46, v49, s8
	v_add3_u32 v45, v47, v45, s8
	v_pk_mul_f32 v[40:41], v[58:59], v[40:41] op_sel_hi:[0,1]
	v_perm_b32 v49, v45, v46, s9
	v_bfe_u32 v45, v41, 16, 1
	v_bfe_u32 v46, v40, 16, 1
	v_pk_mul_f32 v[38:39], v[58:59], v[38:39] op_sel_hi:[0,1]
	v_add3_u32 v40, v40, v46, s8
	v_add3_u32 v41, v41, v45, s8
	v_perm_b32 v40, v41, v40, s9
	v_bfe_u32 v41, v39, 16, 1
	v_bfe_u32 v45, v38, 16, 1
	v_add3_u32 v38, v38, v45, s8
	v_add3_u32 v39, v39, v41, s8
	v_pk_mul_f32 v[36:37], v[58:59], v[36:37] op_sel_hi:[0,1]
	v_perm_b32 v41, v39, v38, s9
	v_bfe_u32 v38, v37, 16, 1
	v_bfe_u32 v39, v36, 16, 1
	v_pk_mul_f32 v[34:35], v[58:59], v[34:35] op_sel_hi:[0,1]
	v_add3_u32 v36, v36, v39, s8
	v_add3_u32 v37, v37, v38, s8
	v_perm_b32 v36, v37, v36, s9
	v_bfe_u32 v37, v35, 16, 1
	v_bfe_u32 v38, v34, 16, 1
	v_add3_u32 v34, v34, v38, s8
	v_add3_u32 v35, v35, v37, s8
	v_perm_b32 v37, v35, v34, s9
	v_cmp_gt_u32_e32 vcc, 14, v0
	ds_write2st64_b64 v1, v[60:61], v[48:49] offset1:1
	ds_write2st64_b64 v1, v[40:41], v[36:37] offset0:2 offset1:3
	s_and_saveexec_b64 s[4:5], vcc
	s_cbranch_execz .LBB549_19
; %bb.18:
	s_mov_b32 s43, 0
	v_mov_b32_e32 v45, 0
	v_lshl_add_u64 v[34:35], s[42:43], 0, v[44:45]
	v_mov_b32_e32 v36, s7
	v_mad_u64_u32 v[34:35], s[10:11], s2, v36, v[34:35]
	s_mul_i32 s3, s3, s7
	v_mov_b32_e32 v44, s28
	s_load_dwordx4 s[12:15], s[0:1], 0x58
	v_add_u32_e32 v37, s3, v35
	v_mad_u64_u32 v[34:35], s[10:11], v34, s6, v[44:45]
	v_mov_b32_e32 v36, v35
	v_mad_u64_u32 v[36:37], s[10:11], v37, s6, v[36:37]
	v_mov_b32_e32 v35, v36
	v_lshlrev_b64 v[34:35], 2, v[34:35]
	s_waitcnt lgkmcnt(0)
	v_lshl_add_u64 v[36:37], s[14:15], 0, v[34:35]
	v_lshl_add_u64 v[34:35], s[12:13], 0, v[34:35]
	global_store_dword v[36:37], v55, off
	global_store_dword v[34:35], v56, off
.LBB549_19:
	s_or_b64 exec, exec, s[4:5]
	v_lshl_or_b32 v48, v54, 9, v50
	s_waitcnt lgkmcnt(0)
	s_barrier
	ds_read_b128 v[34:37], v48
	ds_read_b128 v[38:41], v48 offset:16
	s_waitcnt vmcnt(7) lgkmcnt(1)
	v_mfma_f32_16x16x16_bf16 v[44:47], v[6:7], v[34:35], 0
	v_cmp_gt_u32_e32 vcc, 64, v0
	s_mov_b32 s3, 0
	s_and_b64 s[4:5], vcc, s[30:31]
	v_mfma_f32_16x16x16_bf16 v[6:9], v[8:9], v[36:37], v[44:47]
	s_waitcnt vmcnt(6) lgkmcnt(0)
	v_mfma_f32_16x16x16_bf16 v[6:9], v[2:3], v[38:39], v[6:9]
	v_mfma_f32_16x16x16_bf16 v[2:5], v[4:5], v[40:41], v[6:9]
	s_nop 5
	ds_read_b128 v[6:9], v48 offset:2048
	ds_read_b128 v[34:37], v48 offset:2064
	s_waitcnt vmcnt(5) lgkmcnt(1)
	v_mfma_f32_16x16x16_bf16 v[2:5], v[30:31], v[6:7], v[2:5]
	v_mfma_f32_16x16x16_bf16 v[2:5], v[32:33], v[8:9], v[2:5]
	s_waitcnt vmcnt(4) lgkmcnt(0)
	v_mfma_f32_16x16x16_bf16 v[2:5], v[26:27], v[34:35], v[2:5]
	v_mfma_f32_16x16x16_bf16 v[2:5], v[28:29], v[36:37], v[2:5]
	ds_read_b128 v[6:9], v48 offset:4096
	ds_read_b128 v[26:29], v48 offset:4112
	s_waitcnt vmcnt(3) lgkmcnt(1)
	v_mfma_f32_16x16x16_bf16 v[2:5], v[22:23], v[6:7], v[2:5]
	v_mfma_f32_16x16x16_bf16 v[2:5], v[24:25], v[8:9], v[2:5]
	s_waitcnt vmcnt(2) lgkmcnt(0)
	v_mfma_f32_16x16x16_bf16 v[2:5], v[18:19], v[26:27], v[2:5]
	v_mfma_f32_16x16x16_bf16 v[2:5], v[20:21], v[28:29], v[2:5]
	ds_read_b128 v[6:9], v48 offset:6144
	ds_read_b128 v[18:21], v48 offset:6160
	s_waitcnt lgkmcnt(0)
	s_barrier
	s_waitcnt vmcnt(1)
	v_mfma_f32_16x16x16_bf16 v[2:5], v[14:15], v[6:7], v[2:5]
	v_mfma_f32_16x16x16_bf16 v[2:5], v[16:17], v[8:9], v[2:5]
	s_waitcnt vmcnt(0)
	v_mfma_f32_16x16x16_bf16 v[2:5], v[10:11], v[18:19], v[2:5]
	v_mfma_f32_16x16x16_bf16 v[2:5], v[12:13], v[20:21], v[2:5]
	s_nop 6
	v_bfe_u32 v6, v3, 16, 1
	v_bfe_u32 v7, v2, 16, 1
	;; [unrolled: 1-line block ×4, first 2 shown]
	v_add3_u32 v2, v2, v7, s8
	v_add3_u32 v3, v3, v6, s8
	;; [unrolled: 1-line block ×4, first 2 shown]
	v_perm_b32 v2, v3, v2, s9
	v_perm_b32 v3, v5, v4, s9
	ds_write_b64 v1, v[2:3]
	s_waitcnt lgkmcnt(0)
	s_barrier
	s_and_saveexec_b64 s[8:9], s[4:5]
	s_cbranch_execz .LBB549_22
; %bb.20:
	s_load_dwordx2 s[4:5], s[0:1], 0x68
	s_lshl_b32 s0, s6, 6
	s_mul_i32 s1, s7, s2
	s_mul_hi_u32 s7, s1, s0
	s_mul_i32 s6, s1, s0
	v_lshlrev_b32_e32 v1, 10, v0
	v_lshlrev_b32_e32 v0, 4, v0
	s_lshl_b64 s[6:7], s[6:7], 1
	v_and_b32_e32 v1, 0x1800, v1
	v_lshlrev_b32_e32 v2, 5, v54
	v_and_b32_e32 v0, 16, v0
	s_waitcnt lgkmcnt(0)
	s_add_u32 s1, s4, s6
	v_or3_b32 v2, v1, v2, v0
	s_addc_u32 s4, s5, s7
	s_lshl_b32 s2, s28, 6
	ds_read_b128 v[4:7], v2 offset:256
	s_lshl_b64 s[2:3], s[2:3], 1
	ds_read_b128 v[8:11], v2 offset:128
	ds_read_b128 v[12:15], v2
	s_add_u32 s2, s1, s2
	s_addc_u32 s3, s4, s3
	v_add_u32_e32 v18, s42, v54
	v_lshl_add_u64 v[0:1], v[42:43], 1, s[2:3]
	v_mad_u64_u32 v[16:17], s[2:3], v18, s0, 0
	v_lshl_add_u64 v[16:17], v[16:17], 1, v[0:1]
	s_waitcnt lgkmcnt(0)
	global_store_dwordx4 v[16:17], v[12:15], off
	v_or_b32_e32 v3, 12, v54
	v_cmp_gt_u32_e32 vcc, 14, v3
	v_add_u32_e32 v12, 4, v18
	v_mad_u64_u32 v[12:13], s[2:3], v12, s0, 0
	v_lshl_add_u64 v[12:13], v[12:13], 1, v[0:1]
	global_store_dwordx4 v[12:13], v[8:11], off
	s_nop 1
	v_add_u32_e32 v8, 8, v18
	v_mad_u64_u32 v[8:9], s[2:3], v8, s0, 0
	v_lshl_add_u64 v[8:9], v[8:9], 1, v[0:1]
	global_store_dwordx4 v[8:9], v[4:7], off
	s_and_b64 exec, exec, vcc
	s_cbranch_execz .LBB549_22
; %bb.21:
	ds_read_b128 v[4:7], v2 offset:384
	v_add_u32_e32 v2, s42, v3
	v_mad_u64_u32 v[2:3], s[0:1], v2, s0, 0
	v_lshl_add_u64 v[0:1], v[2:3], 1, v[0:1]
	s_waitcnt lgkmcnt(0)
	global_store_dwordx4 v[0:1], v[4:7], off
.LBB549_22:
	s_endpgm
	.section	.rodata,"a",@progbits
	.p2align	6, 0x0
	.amdhsa_kernel _Z39paged_attention_ll4mi_QKV_mfma16_kernelI14__hip_bfloat16S0_LN4vllm18Fp8KVCacheDataTypeE0ES0_Li32ELi64ELi256ELb1ELi14EEvPKT_PKT0_S8_ifPKiSA_SA_iPKfiiiPfSD_PS3_PT2_iSC_SC_
		.amdhsa_group_segment_fixed_size 8192
		.amdhsa_private_segment_fixed_size 0
		.amdhsa_kernarg_size 400
		.amdhsa_user_sgpr_count 2
		.amdhsa_user_sgpr_dispatch_ptr 0
		.amdhsa_user_sgpr_queue_ptr 0
		.amdhsa_user_sgpr_kernarg_segment_ptr 1
		.amdhsa_user_sgpr_dispatch_id 0
		.amdhsa_user_sgpr_kernarg_preload_length 0
		.amdhsa_user_sgpr_kernarg_preload_offset 0
		.amdhsa_user_sgpr_private_segment_size 0
		.amdhsa_uses_dynamic_stack 0
		.amdhsa_enable_private_segment 0
		.amdhsa_system_sgpr_workgroup_id_x 1
		.amdhsa_system_sgpr_workgroup_id_y 1
		.amdhsa_system_sgpr_workgroup_id_z 1
		.amdhsa_system_sgpr_workgroup_info 0
		.amdhsa_system_vgpr_workitem_id 0
		.amdhsa_next_free_vgpr 73
		.amdhsa_next_free_sgpr 48
		.amdhsa_accum_offset 76
		.amdhsa_reserve_vcc 1
		.amdhsa_float_round_mode_32 0
		.amdhsa_float_round_mode_16_64 0
		.amdhsa_float_denorm_mode_32 3
		.amdhsa_float_denorm_mode_16_64 3
		.amdhsa_dx10_clamp 1
		.amdhsa_ieee_mode 1
		.amdhsa_fp16_overflow 0
		.amdhsa_tg_split 0
		.amdhsa_exception_fp_ieee_invalid_op 0
		.amdhsa_exception_fp_denorm_src 0
		.amdhsa_exception_fp_ieee_div_zero 0
		.amdhsa_exception_fp_ieee_overflow 0
		.amdhsa_exception_fp_ieee_underflow 0
		.amdhsa_exception_fp_ieee_inexact 0
		.amdhsa_exception_int_div_zero 0
	.end_amdhsa_kernel
	.section	.text._Z39paged_attention_ll4mi_QKV_mfma16_kernelI14__hip_bfloat16S0_LN4vllm18Fp8KVCacheDataTypeE0ES0_Li32ELi64ELi256ELb1ELi14EEvPKT_PKT0_S8_ifPKiSA_SA_iPKfiiiPfSD_PS3_PT2_iSC_SC_,"axG",@progbits,_Z39paged_attention_ll4mi_QKV_mfma16_kernelI14__hip_bfloat16S0_LN4vllm18Fp8KVCacheDataTypeE0ES0_Li32ELi64ELi256ELb1ELi14EEvPKT_PKT0_S8_ifPKiSA_SA_iPKfiiiPfSD_PS3_PT2_iSC_SC_,comdat
.Lfunc_end549:
	.size	_Z39paged_attention_ll4mi_QKV_mfma16_kernelI14__hip_bfloat16S0_LN4vllm18Fp8KVCacheDataTypeE0ES0_Li32ELi64ELi256ELb1ELi14EEvPKT_PKT0_S8_ifPKiSA_SA_iPKfiiiPfSD_PS3_PT2_iSC_SC_, .Lfunc_end549-_Z39paged_attention_ll4mi_QKV_mfma16_kernelI14__hip_bfloat16S0_LN4vllm18Fp8KVCacheDataTypeE0ES0_Li32ELi64ELi256ELb1ELi14EEvPKT_PKT0_S8_ifPKiSA_SA_iPKfiiiPfSD_PS3_PT2_iSC_SC_
                                        ; -- End function
	.section	.AMDGPU.csdata,"",@progbits
; Kernel info:
; codeLenInByte = 4472
; NumSgprs: 54
; NumVgprs: 73
; NumAgprs: 0
; TotalNumVgprs: 73
; ScratchSize: 0
; MemoryBound: 0
; FloatMode: 240
; IeeeMode: 1
; LDSByteSize: 8192 bytes/workgroup (compile time only)
; SGPRBlocks: 6
; VGPRBlocks: 9
; NumSGPRsForWavesPerEU: 54
; NumVGPRsForWavesPerEU: 73
; AccumOffset: 76
; Occupancy: 6
; WaveLimiterHint : 1
; COMPUTE_PGM_RSRC2:SCRATCH_EN: 0
; COMPUTE_PGM_RSRC2:USER_SGPR: 2
; COMPUTE_PGM_RSRC2:TRAP_HANDLER: 0
; COMPUTE_PGM_RSRC2:TGID_X_EN: 1
; COMPUTE_PGM_RSRC2:TGID_Y_EN: 1
; COMPUTE_PGM_RSRC2:TGID_Z_EN: 1
; COMPUTE_PGM_RSRC2:TIDIG_COMP_CNT: 0
; COMPUTE_PGM_RSRC3_GFX90A:ACCUM_OFFSET: 18
; COMPUTE_PGM_RSRC3_GFX90A:TG_SPLIT: 0
	.section	.text._Z39paged_attention_ll4mi_QKV_mfma16_kernelI14__hip_bfloat16S0_LN4vllm18Fp8KVCacheDataTypeE0ES0_Li32ELi64ELi256ELb1ELi15EEvPKT_PKT0_S8_ifPKiSA_SA_iPKfiiiPfSD_PS3_PT2_iSC_SC_,"axG",@progbits,_Z39paged_attention_ll4mi_QKV_mfma16_kernelI14__hip_bfloat16S0_LN4vllm18Fp8KVCacheDataTypeE0ES0_Li32ELi64ELi256ELb1ELi15EEvPKT_PKT0_S8_ifPKiSA_SA_iPKfiiiPfSD_PS3_PT2_iSC_SC_,comdat
	.protected	_Z39paged_attention_ll4mi_QKV_mfma16_kernelI14__hip_bfloat16S0_LN4vllm18Fp8KVCacheDataTypeE0ES0_Li32ELi64ELi256ELb1ELi15EEvPKT_PKT0_S8_ifPKiSA_SA_iPKfiiiPfSD_PS3_PT2_iSC_SC_ ; -- Begin function _Z39paged_attention_ll4mi_QKV_mfma16_kernelI14__hip_bfloat16S0_LN4vllm18Fp8KVCacheDataTypeE0ES0_Li32ELi64ELi256ELb1ELi15EEvPKT_PKT0_S8_ifPKiSA_SA_iPKfiiiPfSD_PS3_PT2_iSC_SC_
	.globl	_Z39paged_attention_ll4mi_QKV_mfma16_kernelI14__hip_bfloat16S0_LN4vllm18Fp8KVCacheDataTypeE0ES0_Li32ELi64ELi256ELb1ELi15EEvPKT_PKT0_S8_ifPKiSA_SA_iPKfiiiPfSD_PS3_PT2_iSC_SC_
	.p2align	8
	.type	_Z39paged_attention_ll4mi_QKV_mfma16_kernelI14__hip_bfloat16S0_LN4vllm18Fp8KVCacheDataTypeE0ES0_Li32ELi64ELi256ELb1ELi15EEvPKT_PKT0_S8_ifPKiSA_SA_iPKfiiiPfSD_PS3_PT2_iSC_SC_,@function
_Z39paged_attention_ll4mi_QKV_mfma16_kernelI14__hip_bfloat16S0_LN4vllm18Fp8KVCacheDataTypeE0ES0_Li32ELi64ELi256ELb1ELi15EEvPKT_PKT0_S8_ifPKiSA_SA_iPKfiiiPfSD_PS3_PT2_iSC_SC_: ; @_Z39paged_attention_ll4mi_QKV_mfma16_kernelI14__hip_bfloat16S0_LN4vllm18Fp8KVCacheDataTypeE0ES0_Li32ELi64ELi256ELb1ELi15EEvPKT_PKT0_S8_ifPKiSA_SA_iPKfiiiPfSD_PS3_PT2_iSC_SC_
; %bb.0:
	s_load_dwordx2 s[6:7], s[0:1], 0x30
	s_mov_b32 s28, s3
	s_mov_b64 s[8:9], 0
	s_waitcnt lgkmcnt(0)
	s_cmp_lg_u64 s[6:7], 0
	s_cselect_b64 s[10:11], -1, 0
	s_and_b64 vcc, exec, s[10:11]
	s_cbranch_vccz .LBB550_7
; %bb.1:
	s_add_i32 s12, s2, 1
	s_mov_b32 s13, 0
	s_lshl_b64 s[14:15], s[12:13], 2
	s_add_u32 s14, s6, s14
	s_mov_b32 s3, s13
	s_addc_u32 s15, s7, s15
	s_lshl_b64 s[12:13], s[2:3], 2
	s_add_u32 s12, s6, s12
	s_addc_u32 s13, s7, s13
	s_load_dword s5, s[14:15], 0x0
	s_load_dword s16, s[12:13], 0x0
	s_waitcnt lgkmcnt(0)
	s_sub_i32 s5, s5, s16
	s_cmp_eq_u32 s5, 1
	s_cselect_b64 s[12:13], -1, 0
	s_andn2_b64 vcc, exec, s[8:9]
	s_cbranch_vccnz .LBB550_3
.LBB550_2:
	s_mov_b32 s3, 0
	s_mov_b64 s[12:13], -1
.LBB550_3:
	s_andn2_b64 vcc, exec, s[12:13]
	s_cbranch_vccnz .LBB550_22
; %bb.4:
	s_load_dwordx2 s[8:9], s[0:1], 0x28
	s_lshl_b64 s[12:13], s[2:3], 2
	s_waitcnt lgkmcnt(0)
	s_add_u32 s8, s8, s12
	s_addc_u32 s9, s9, s13
	s_load_dword s29, s[8:9], 0x0
	s_lshl_b32 s14, s28, 8
	s_waitcnt lgkmcnt(0)
	s_cmp_ge_i32 s14, s29
	s_cbranch_scc1 .LBB550_22
; %bb.5:
	s_load_dwordx2 s[8:9], s[0:1], 0x20
	s_load_dword s5, s[0:1], 0x38
	s_add_i32 s15, s29, 31
	s_ashr_i32 s16, s15, 31
	v_and_b32_e32 v1, 0xcf, v0
	s_lshr_b32 s16, s16, 27
	v_add_u32_e32 v1, s14, v1
	s_add_i32 s15, s15, s16
	v_ashrrev_i32_e32 v2, 31, v1
	s_ashr_i32 s15, s15, 5
	v_lshrrev_b32_e32 v6, 27, v2
	s_add_i32 s15, s15, -1
	s_waitcnt lgkmcnt(0)
	s_mul_i32 s16, s2, s5
	s_mov_b32 s17, 0
	v_add_u32_e32 v2, v1, v6
	s_lshl_b64 s[16:17], s[16:17], 2
	v_ashrrev_i32_e32 v2, 5, v2
	v_mov_b32_e32 v7, s15
	v_cmp_gt_i32_e32 vcc, s29, v1
	s_add_u32 s8, s8, s16
	s_addc_u32 s9, s9, s17
	v_cndmask_b32_e32 v2, v7, v2, vcc
	v_ashrrev_i32_e32 v3, 31, v2
	v_lshl_add_u64 v[4:5], v[2:3], 2, s[8:9]
	v_or_b32_e32 v2, 16, v1
	v_add_u32_e32 v3, v2, v6
	v_ashrrev_i32_e32 v3, 5, v3
	v_cmp_gt_i32_e32 vcc, s29, v2
	s_nop 1
	v_cndmask_b32_e32 v2, v7, v3, vcc
	v_ashrrev_i32_e32 v3, 31, v2
	v_lshl_add_u64 v[8:9], v[2:3], 2, s[8:9]
	v_or_b32_e32 v2, 32, v1
	v_add_u32_e32 v3, v2, v6
	v_ashrrev_i32_e32 v3, 5, v3
	v_cmp_gt_i32_e32 vcc, s29, v2
	v_or_b32_e32 v1, 48, v1
	s_nop 0
	v_cndmask_b32_e32 v2, v7, v3, vcc
	v_ashrrev_i32_e32 v3, 31, v2
	v_lshl_add_u64 v[12:13], v[2:3], 2, s[8:9]
	v_add_u32_e32 v2, v1, v6
	v_ashrrev_i32_e32 v2, 5, v2
	v_cmp_gt_i32_e32 vcc, s29, v1
	s_nop 1
	v_cndmask_b32_e32 v2, v7, v2, vcc
	v_ashrrev_i32_e32 v3, 31, v2
	v_lshl_add_u64 v[16:17], v[2:3], 2, s[8:9]
	global_load_dword v2, v[4:5], off
	global_load_dword v6, v[8:9], off
	;; [unrolled: 1-line block ×4, first 2 shown]
	s_andn2_b64 vcc, exec, s[10:11]
	s_cbranch_vccnz .LBB550_8
; %bb.6:
	s_add_u32 s6, s6, s12
	s_addc_u32 s7, s7, s13
	s_load_dword s5, s[6:7], 0x0
	s_branch .LBB550_9
.LBB550_7:
	s_mov_b64 s[12:13], 0
	s_branch .LBB550_2
.LBB550_8:
	s_mov_b32 s5, s2
.LBB550_9:
	s_load_dwordx2 s[10:11], s[0:1], 0x8
	s_load_dwordx4 s[44:47], s[0:1], 0x48
	v_lshrrev_b32_e32 v1, 6, v0
	v_bfe_u32 v54, v0, 4, 2
	v_lshl_or_b32 v3, v1, 2, v54
	v_and_b32_e32 v44, 15, v0
	v_cmp_lt_u32_e32 vcc, 14, v3
	v_cmp_lt_u32_e64 s[6:7], 7, v44
	v_lshlrev_b32_e32 v42, 3, v44
	v_cmp_gt_u32_e64 s[30:31], 8, v44
	s_or_b64 s[6:7], s[6:7], vcc
	s_and_saveexec_b64 s[12:13], s[6:7]
	s_xor_b64 s[6:7], exec, s[12:13]
; %bb.10:
	v_mov_b32_e32 v43, 0
                                        ; implicit-def: $vgpr3
; %bb.11:
	s_or_saveexec_b64 s[12:13], s[6:7]
	s_load_dwordx2 s[6:7], s[0:1], 0x10
	s_mul_i32 s42, s4, 15
	s_xor_b64 exec, exec, s[12:13]
	s_cbranch_execz .LBB550_13
; %bb.12:
	s_load_dwordx2 s[16:17], s[0:1], 0x0
	s_waitcnt lgkmcnt(0)
	s_ashr_i32 s18, s44, 31
	s_mul_hi_u32 s19, s5, s44
	s_mul_i32 s18, s5, s18
	s_add_i32 s19, s19, s18
	s_mul_i32 s18, s5, s44
	s_lshl_b64 s[18:19], s[18:19], 1
	s_add_u32 s16, s16, s18
	v_add_lshl_u32 v4, v3, s42, 6
	s_addc_u32 s17, s17, s19
	v_ashrrev_i32_e32 v5, 31, v4
	v_mov_b32_e32 v43, 0
	v_lshl_add_u64 v[4:5], v[4:5], 1, s[16:17]
	v_lshlrev_b32_e32 v8, 1, v42
	v_mov_b32_e32 v9, v43
	v_lshl_add_u64 v[4:5], v[4:5], 0, v[8:9]
	global_load_dwordx4 v[16:19], v[4:5], off
	v_and_b32_e32 v4, 3, v0
	v_lshlrev_b32_e32 v5, 9, v44
	v_lshlrev_b32_e32 v3, 5, v3
	;; [unrolled: 1-line block ×3, first 2 shown]
	v_and_b32_e32 v5, 0x1800, v5
	v_or3_b32 v3, v5, v4, v3
	s_waitcnt vmcnt(0)
	ds_write_b128 v3, v[16:19]
.LBB550_13:
	s_or_b64 exec, exec, s[12:13]
	s_waitcnt lgkmcnt(0)
	s_mov_b32 s5, 0
	s_mul_i32 s4, s4, s46
	s_lshl_b64 s[4:5], s[4:5], 1
	s_add_u32 s10, s10, s4
	s_addc_u32 s11, s11, s5
	s_waitcnt vmcnt(3)
	v_mad_i64_i32 v[2:3], s[12:13], v2, s45, 0
	v_lshl_add_u64 v[2:3], v[2:3], 1, s[10:11]
	v_lshlrev_b64 v[12:13], 1, v[42:43]
	v_mov_b32_e32 v47, 0
	v_lshlrev_b32_e32 v46, 9, v54
	v_lshl_add_u64 v[2:3], v[2:3], 0, v[12:13]
	v_lshl_add_u64 v[8:9], v[2:3], 0, v[46:47]
	s_barrier
	global_load_dwordx4 v[22:25], v[8:9], off
	global_load_dwordx4 v[2:5], v[8:9], off offset:2048
	s_waitcnt vmcnt(4)
	v_mad_i64_i32 v[6:7], s[12:13], v6, s45, 0
	v_mov_b32_e32 v8, 0x100
	v_lshl_add_u64 v[6:7], v[6:7], 1, s[10:11]
	v_lshl_or_b32 v16, v44, 4, v8
	v_mov_b32_e32 v17, v47
	s_waitcnt vmcnt(3)
	v_mad_i64_i32 v[10:11], s[12:13], v10, s45, 0
	v_lshl_add_u64 v[6:7], v[6:7], 0, v[16:17]
	v_lshl_add_u64 v[10:11], v[10:11], 1, s[10:11]
	s_waitcnt vmcnt(2)
	v_mad_i64_i32 v[14:15], s[12:13], v14, s45, 0
	v_lshl_add_u64 v[18:19], v[6:7], 0, v[46:47]
	v_lshl_add_u64 v[10:11], v[10:11], 0, v[12:13]
	;; [unrolled: 1-line block ×3, first 2 shown]
	global_load_dwordx4 v[26:29], v[18:19], off
	global_load_dwordx4 v[6:9], v[18:19], off offset:2048
	v_lshl_add_u64 v[18:19], v[10:11], 0, v[46:47]
	v_lshl_add_u64 v[14:15], v[14:15], 0, v[16:17]
	global_load_dwordx4 v[30:33], v[18:19], off
	global_load_dwordx4 v[10:13], v[18:19], off offset:2048
	v_lshl_add_u64 v[18:19], v[14:15], 0, v[46:47]
	global_load_dwordx4 v[34:37], v[18:19], off
	global_load_dwordx4 v[14:17], v[18:19], off offset:2048
	v_cmp_ne_u32_e32 vcc, 15, v44
	v_and_b32_e32 v45, 63, v0
	v_mov_b32_e32 v50, 0
	v_cndmask_b32_e32 v18, 0, v44, vcc
	v_lshl_or_b32 v18, v18, 5, v46
	ds_read_b128 v[38:41], v18
	ds_read_b128 v[18:21], v18 offset:2048
	s_and_saveexec_b64 s[10:11], vcc
	s_cbranch_execz .LBB550_15
; %bb.14:
	s_load_dwordx2 s[12:13], s[0:1], 0x40
	v_add_u32_e32 v48, s42, v44
	v_ashrrev_i32_e32 v49, 31, v48
	s_waitcnt lgkmcnt(0)
	v_lshl_add_u64 v[48:49], v[48:49], 2, s[12:13]
	global_load_dword v50, v[48:49], off
.LBB550_15:
	s_or_b64 exec, exec, s[10:11]
	s_ashr_i32 s10, s14, 31
	v_and_or_b32 v46, v0, 48, s14
	s_lshr_b32 s11, s10, 27
	v_add_u32_e32 v48, s11, v46
	v_or_b32_e32 v52, 64, v46
	v_ashrrev_i32_e32 v48, 5, v48
	v_mov_b32_e32 v51, s15
	v_cmp_gt_i32_e32 vcc, s29, v46
	v_add_u32_e32 v53, s11, v52
	s_waitcnt vmcnt(7) lgkmcnt(1)
	v_mfma_f32_16x16x16_bf16 v[56:59], v[22:23], v[38:39], 0
	v_cndmask_b32_e32 v48, v51, v48, vcc
	v_ashrrev_i32_e32 v22, 5, v53
	v_cmp_gt_i32_e32 vcc, s29, v52
	v_ashrrev_i32_e32 v49, 31, v48
	v_lshl_add_u64 v[48:49], v[48:49], 2, s[8:9]
	v_cndmask_b32_e32 v22, v51, v22, vcc
	v_ashrrev_i32_e32 v23, 31, v22
	v_lshl_add_u64 v[22:23], v[22:23], 2, s[8:9]
	global_load_dword v55, v[48:49], off
	global_load_dword v72, v[22:23], off
	s_waitcnt vmcnt(3)
	v_mfma_f32_16x16x16_bf16 v[68:71], v[34:35], v[38:39], 0
	v_or_b32_e32 v48, 0xc0, v46
	v_add_u32_e32 v52, s11, v48
	s_add_u32 s4, s6, s4
	v_mfma_f32_16x16x16_bf16 v[60:63], v[26:27], v[38:39], 0
	s_addc_u32 s5, s7, s5
	s_load_dword s10, s[0:1], 0x1c
	s_mov_b32 s33, 0xff7fffff
	v_mfma_f32_16x16x16_bf16 v[64:67], v[30:31], v[38:39], 0
	v_and_b32_e32 v31, 0xc0, v0
	v_or_b32_e32 v38, 0x80, v46
	v_add_u32_e32 v34, s14, v31
	v_mfma_f32_16x16x16_bf16 v[22:25], v[24:25], v[40:41], v[56:59]
	v_and_b32_e32 v30, 16, v0
	v_add_u32_e32 v49, s11, v38
	v_lshlrev_b32_e32 v46, 1, v30
	v_lshl_or_b32 v56, v54, 2, v34
	v_mfma_f32_16x16x16_bf16 v[34:37], v[36:37], v[40:41], v[68:71]
	v_cmp_gt_i32_e32 vcc, s29, v38
	v_lshlrev_b32_e32 v39, 6, v44
	v_or_b32_e32 v57, 1, v56
	v_mfma_f32_16x16x16_bf16 v[26:29], v[28:29], v[40:41], v[60:63]
	v_cmp_gt_i32_e64 s[34:35], s29, v57
	v_mfma_f32_16x16x16_bf16 v[30:33], v[32:33], v[40:41], v[64:67]
	v_ashrrev_i32_e32 v40, 5, v49
	v_ashrrev_i32_e32 v41, 5, v52
	v_cndmask_b32_e32 v38, v51, v40, vcc
	v_cmp_gt_i32_e32 vcc, s29, v48
	s_waitcnt lgkmcnt(0)
	v_mfma_f32_16x16x16_bf16 v[22:25], v[2:3], v[18:19], v[22:25]
	v_lshl_add_u64 v[2:3], s[4:5], 0, v[46:47]
	v_cndmask_b32_e32 v40, v51, v41, vcc
	v_lshl_or_b32 v46, v1, 10, v39
	v_ashrrev_i32_e32 v39, 31, v38
	v_ashrrev_i32_e32 v41, 31, v40
	s_waitcnt vmcnt(2)
	v_mfma_f32_16x16x16_bf16 v[34:37], v[14:15], v[18:19], v[34:37]
	v_lshl_add_u64 v[14:15], v[38:39], 2, s[8:9]
	v_subrev_u32_e32 v51, s29, v57
	v_cvt_f32_i32_e32 v58, v51
	v_mfma_f32_16x16x16_bf16 v[26:29], v[6:7], v[18:19], v[26:29]
	v_mfma_f32_16x16x16_bf16 v[30:33], v[10:11], v[18:19], v[30:33]
	v_lshl_add_u64 v[18:19], v[40:41], 2, s[8:9]
	global_load_dword v59, v[14:15], off
	global_load_dword v60, v[18:19], off
	v_lshl_add_u64 v[10:11], v[2:3], 0, v[46:47]
	v_mfma_f32_16x16x16_bf16 v[2:5], v[4:5], v[20:21], v[22:25]
	v_add_u32_e32 v46, 1, v51
	v_add_u32_e32 v47, 3, v51
	;; [unrolled: 1-line block ×3, first 2 shown]
	v_mfma_f32_16x16x16_bf16 v[14:17], v[16:17], v[20:21], v[34:37]
	v_add_u32_e32 v22, 2, v51
	s_nop 1
	v_pk_mul_f32 v[52:53], s[10:11], v[4:5] op_sel_hi:[0,1]
	v_cvt_f32_i32_e32 v18, v18
	v_mfma_f32_16x16x16_bf16 v[6:9], v[8:9], v[20:21], v[26:29]
	v_add_u32_e32 v19, 19, v51
	v_pk_mul_f32 v[34:35], s[10:11], v[16:17] op_sel_hi:[0,1]
	v_pk_mul_f32 v[36:37], s[10:11], v[14:15] op_sel_hi:[0,1]
	v_cvt_f32_i32_e32 v27, v22
	v_mfma_f32_16x16x16_bf16 v[22:25], v[12:13], v[20:21], v[30:33]
	v_pk_mul_f32 v[12:13], s[10:11], v[2:3] op_sel_hi:[0,1]
	v_cvt_f32_i32_e32 v26, v46
	v_cvt_f32_i32_e32 v28, v47
	v_pk_mul_f32 v[46:47], s[10:11], v[8:9] op_sel_hi:[0,1]
	v_pk_mul_f32 v[48:49], s[10:11], v[6:7] op_sel_hi:[0,1]
	v_cvt_f32_i32_e32 v19, v19
	v_fma_f32 v46, v50, v18, v46
	v_add_u32_e32 v18, 34, v51
	v_cvt_f32_i32_e32 v18, v18
	v_fmac_f32_e32 v47, v50, v19
	v_add_u32_e32 v19, 35, v51
	v_cvt_f32_i32_e32 v19, v19
	v_pk_mul_f32 v[40:41], s[10:11], v[22:23] op_sel_hi:[0,1]
	v_pk_mul_f32 v[38:39], s[10:11], v[24:25] op_sel_hi:[0,1]
	v_fma_f32 v38, v50, v18, v38
	v_add_u32_e32 v18, 50, v51
	s_waitcnt vmcnt(3)
	v_mad_i64_i32 v[2:3], s[4:5], v55, s45, 0
	s_waitcnt vmcnt(2)
	v_mad_i64_i32 v[4:5], s[4:5], v72, s45, 0
	v_lshl_add_u64 v[16:17], v[2:3], 1, v[10:11]
	v_lshl_add_u64 v[14:15], v[4:5], 1, v[10:11]
	global_load_dwordx4 v[6:9], v[16:17], off
	global_load_dwordx4 v[2:5], v[16:17], off offset:16
	v_add_u32_e32 v16, 16, v51
	v_cvt_f32_i32_e32 v16, v16
	v_add_u32_e32 v17, 17, v51
	v_cvt_f32_i32_e32 v17, v17
	v_fmac_f32_e32 v39, v50, v19
	v_fma_f32 v48, v50, v16, v48
	v_add_u32_e32 v16, 32, v51
	v_fmac_f32_e32 v49, v50, v17
	v_cvt_f32_i32_e32 v16, v16
	v_add_u32_e32 v17, 33, v51
	v_cvt_f32_i32_e32 v17, v17
	v_cvt_f32_i32_e32 v18, v18
	v_fma_f32 v40, v50, v16, v40
	v_add_u32_e32 v16, 48, v51
	v_fmac_f32_e32 v41, v50, v17
	v_cvt_f32_i32_e32 v16, v16
	v_add_u32_e32 v17, 49, v51
	v_cvt_f32_i32_e32 v17, v17
	v_add_u32_e32 v19, 51, v51
	v_cvt_f32_i32_e32 v19, v19
	v_fma_f32 v12, v50, v58, v12
	v_fmac_f32_e32 v13, v50, v26
	v_fma_f32 v36, v50, v16, v36
	v_mov_b32_e32 v16, 0xff7fffff
	v_cmp_gt_i32_e64 s[4:5], s29, v56
	v_fmac_f32_e32 v37, v50, v17
	v_fma_f32 v34, v50, v18, v34
	v_cndmask_b32_e64 v17, v16, v12, s[4:5]
	v_cndmask_b32_e64 v18, v16, v13, s[34:35]
	v_fmac_f32_e32 v35, v50, v19
	v_max3_f32 v17, v17, s33, v18
	v_or_b32_e32 v18, 2, v56
	v_or_b32_e32 v19, 3, v56
	v_fma_f32 v52, v50, v27, v52
	v_fmac_f32_e32 v53, v50, v28
	v_cmp_gt_i32_e64 s[36:37], s29, v18
	v_cmp_gt_i32_e64 s[38:39], s29, v19
	global_load_dwordx4 v[30:33], v[14:15], off
	global_load_dwordx4 v[26:29], v[14:15], off offset:16
	v_cndmask_b32_e64 v18, v16, v52, s[36:37]
	v_cndmask_b32_e64 v19, v16, v53, s[38:39]
	v_max3_f32 v17, v17, v18, v19
	v_or_b32_e32 v18, 16, v56
	v_or_b32_e32 v19, 17, v56
	v_cmp_gt_i32_e64 s[24:25], s29, v18
	v_cmp_gt_i32_e64 s[26:27], s29, v19
	s_nop 0
	v_cndmask_b32_e64 v18, v16, v48, s[24:25]
	v_cndmask_b32_e64 v19, v16, v49, s[26:27]
	v_max3_f32 v17, v17, v18, v19
	v_or_b32_e32 v18, 18, v56
	v_or_b32_e32 v19, 19, v56
	v_cmp_gt_i32_e64 s[20:21], s29, v18
	v_cmp_gt_i32_e64 s[22:23], s29, v19
	s_nop 0
	;; [unrolled: 8-line block ×5, first 2 shown]
	v_cndmask_b32_e64 v18, v16, v36, s[8:9]
	v_cndmask_b32_e64 v19, v16, v37, s[10:11]
	v_max3_f32 v17, v17, v18, v19
	v_or_b32_e32 v18, 50, v56
	v_or_b32_e32 v19, 51, v56
	v_cmp_gt_i32_e32 vcc, s29, v18
	v_cmp_gt_i32_e64 s[6:7], s29, v19
	s_nop 0
	v_cndmask_b32_e32 v18, v16, v34, vcc
	v_cndmask_b32_e64 v16, v16, v35, s[6:7]
	v_max3_f32 v16, v17, v18, v16
	v_mbcnt_lo_u32_b32 v17, -1, 0
	v_mbcnt_hi_u32_b32 v17, -1, v17
	v_and_b32_e32 v18, 64, v17
	v_add_u32_e32 v18, 64, v18
	v_xor_b32_e32 v19, 32, v17
	v_cmp_lt_i32_e64 s[40:41], v19, v18
	s_nop 1
	v_cndmask_b32_e64 v19, v17, v19, s[40:41]
	v_lshlrev_b32_e32 v56, 2, v19
	ds_bpermute_b32 v19, v56, v16
	s_waitcnt vmcnt(5)
	v_mad_i64_i32 v[14:15], s[40:41], v59, s45, 0
	v_lshl_add_u64 v[14:15], v[14:15], 1, v[10:11]
	s_waitcnt lgkmcnt(0)
	v_max_f32_e32 v19, v19, v19
	v_max_f32_e32 v16, v16, v19
	v_xor_b32_e32 v19, 16, v17
	v_cmp_lt_i32_e64 s[40:41], v19, v18
	s_nop 1
	v_cndmask_b32_e64 v17, v17, v19, s[40:41]
	v_lshlrev_b32_e32 v57, 2, v17
	ds_bpermute_b32 v17, v57, v16
	global_load_dwordx4 v[22:25], v[14:15], off
	global_load_dwordx4 v[18:21], v[14:15], off offset:16
	s_waitcnt vmcnt(6)
	v_mad_i64_i32 v[14:15], s[40:41], v60, s45, 0
	v_lshl_add_u64 v[10:11], v[14:15], 1, v[10:11]
	s_waitcnt lgkmcnt(0)
	v_max_f32_e32 v14, v17, v17
	v_max_f32_e32 v55, v16, v14
	v_sub_f32_e32 v12, v12, v55
	v_mul_f32_e32 v12, 0x3fb8aa3b, v12
	v_exp_f32_e32 v50, v12
	v_sub_f32_e32 v12, v13, v55
	v_mul_f32_e32 v12, 0x3fb8aa3b, v12
	v_exp_f32_e32 v51, v12
	global_load_dwordx4 v[14:17], v[10:11], off
	s_nop 0
	global_load_dwordx4 v[10:13], v[10:11], off offset:16
	v_sub_f32_e32 v52, v52, v55
	v_mul_f32_e32 v52, 0x3fb8aa3b, v52
	v_sub_f32_e32 v53, v53, v55
	v_exp_f32_e32 v52, v52
	v_mul_f32_e32 v53, 0x3fb8aa3b, v53
	v_sub_f32_e32 v48, v48, v55
	v_exp_f32_e32 v53, v53
	v_mul_f32_e32 v48, 0x3fb8aa3b, v48
	v_sub_f32_e32 v49, v49, v55
	v_cndmask_b32_e64 v50, 0, v50, s[4:5]
	v_exp_f32_e32 v48, v48
	v_mul_f32_e32 v49, 0x3fb8aa3b, v49
	v_sub_f32_e32 v46, v46, v55
	v_add_f32_e32 v58, 0, v50
	v_cndmask_b32_e64 v51, 0, v51, s[34:35]
	v_exp_f32_e32 v49, v49
	v_mul_f32_e32 v46, 0x3fb8aa3b, v46
	v_sub_f32_e32 v47, v47, v55
	v_add_f32_e32 v58, v58, v51
	v_cndmask_b32_e64 v52, 0, v52, s[36:37]
	v_exp_f32_e32 v46, v46
	v_mul_f32_e32 v47, 0x3fb8aa3b, v47
	v_sub_f32_e32 v40, v40, v55
	v_add_f32_e32 v58, v58, v52
	v_cndmask_b32_e64 v53, 0, v53, s[38:39]
	v_exp_f32_e32 v47, v47
	v_mul_f32_e32 v40, 0x3fb8aa3b, v40
	v_sub_f32_e32 v41, v41, v55
	v_add_f32_e32 v58, v58, v53
	v_cndmask_b32_e64 v48, 0, v48, s[24:25]
	v_exp_f32_e32 v40, v40
	v_mul_f32_e32 v41, 0x3fb8aa3b, v41
	v_sub_f32_e32 v38, v38, v55
	v_add_f32_e32 v58, v58, v48
	v_cndmask_b32_e64 v49, 0, v49, s[26:27]
	v_exp_f32_e32 v41, v41
	v_mul_f32_e32 v38, 0x3fb8aa3b, v38
	v_sub_f32_e32 v39, v39, v55
	v_add_f32_e32 v58, v58, v49
	v_cndmask_b32_e64 v46, 0, v46, s[20:21]
	v_exp_f32_e32 v38, v38
	v_mul_f32_e32 v39, 0x3fb8aa3b, v39
	v_sub_f32_e32 v36, v36, v55
	v_add_f32_e32 v58, v58, v46
	v_cndmask_b32_e64 v47, 0, v47, s[22:23]
	v_exp_f32_e32 v39, v39
	v_mul_f32_e32 v36, 0x3fb8aa3b, v36
	v_sub_f32_e32 v37, v37, v55
	v_add_f32_e32 v58, v58, v47
	v_cndmask_b32_e64 v40, 0, v40, s[16:17]
	v_exp_f32_e32 v36, v36
	v_mul_f32_e32 v37, 0x3fb8aa3b, v37
	v_sub_f32_e32 v34, v34, v55
	v_add_f32_e32 v58, v58, v40
	v_cndmask_b32_e64 v41, 0, v41, s[18:19]
	v_exp_f32_e32 v37, v37
	v_mul_f32_e32 v34, 0x3fb8aa3b, v34
	v_sub_f32_e32 v35, v35, v55
	v_add_f32_e32 v58, v58, v41
	v_cndmask_b32_e64 v38, 0, v38, s[12:13]
	v_exp_f32_e32 v34, v34
	v_mul_f32_e32 v35, 0x3fb8aa3b, v35
	v_add_f32_e32 v58, v58, v38
	v_cndmask_b32_e64 v39, 0, v39, s[14:15]
	v_exp_f32_e32 v35, v35
	v_add_f32_e32 v58, v58, v39
	v_cndmask_b32_e64 v36, 0, v36, s[8:9]
	v_add_f32_e32 v58, v58, v36
	v_cndmask_b32_e64 v37, 0, v37, s[10:11]
	v_add_f32_e32 v58, v58, v37
	v_cndmask_b32_e32 v34, 0, v34, vcc
	v_add_f32_e32 v58, v58, v34
	v_cndmask_b32_e64 v35, 0, v35, s[6:7]
	v_add_f32_e32 v58, v58, v35
	ds_bpermute_b32 v56, v56, v58
	s_load_dword s7, s[0:1], 0x98
	v_cmp_gt_u32_e32 vcc, 16, v45
	v_lshlrev_b32_e32 v45, 2, v44
	s_waitcnt lgkmcnt(0)
	v_add_f32_e32 v56, v58, v56
	ds_bpermute_b32 v57, v57, v56
	s_barrier
	s_waitcnt lgkmcnt(0)
	s_and_saveexec_b64 s[4:5], vcc
	s_cbranch_execz .LBB550_17
; %bb.16:
	v_add_f32_e32 v56, v56, v57
	v_lshl_or_b32 v57, v1, 6, v45
	ds_write2st64_b32 v57, v55, v56 offset1:1
.LBB550_17:
	s_or_b64 exec, exec, s[4:5]
	s_load_dword s6, s[0:1], 0x94
	s_waitcnt lgkmcnt(0)
	s_barrier
	ds_read2_b32 v[56:57], v45 offset1:16
	ds_read2_b32 v[58:59], v45 offset0:32 offset1:48
	ds_read2_b32 v[60:61], v45 offset0:64 offset1:80
	;; [unrolled: 1-line block ×3, first 2 shown]
	s_movk_i32 s8, 0x7fff
	s_waitcnt lgkmcnt(3)
	v_max3_f32 v55, v56, s33, v57
	s_waitcnt lgkmcnt(2)
	v_max3_f32 v55, v55, v58, v59
	v_sub_f32_e32 v56, v56, v55
	v_mul_f32_e32 v56, 0x3fb8aa3b, v56
	v_exp_f32_e32 v64, v56
	v_sub_f32_e32 v56, v57, v55
	v_mul_f32_e32 v56, 0x3fb8aa3b, v56
	v_exp_f32_e32 v57, v56
	v_sub_f32_e32 v56, v58, v55
	v_mul_f32_e32 v56, 0x3fb8aa3b, v56
	v_sub_f32_e32 v45, v59, v55
	v_exp_f32_e32 v58, v56
	v_mul_f32_e32 v45, 0x3fb8aa3b, v45
	v_exp_f32_e32 v45, v45
	s_waitcnt lgkmcnt(1)
	v_fma_f32 v56, v64, v60, 0
	v_fmac_f32_e32 v56, v57, v61
	s_waitcnt lgkmcnt(0)
	v_fmac_f32_e32 v56, v58, v62
	v_fmac_f32_e32 v56, v45, v63
	v_add_f32_e32 v59, 0x358637bd, v56
	v_div_scale_f32 v60, s[4:5], v59, v59, 1.0
	v_rcp_f32_e32 v61, v60
	s_mov_b32 s9, 0x7060302
	s_mul_i32 s7, s7, 15
	v_fma_f32 v62, -v60, v61, 1.0
	v_fmac_f32_e32 v61, v62, v61
	v_div_scale_f32 v62, vcc, 1.0, v59, 1.0
	v_mul_f32_e32 v63, v62, v61
	v_fma_f32 v65, -v60, v63, v62
	v_fmac_f32_e32 v63, v65, v61
	v_fma_f32 v60, -v60, v63, v62
	v_div_fmas_f32 v60, v60, v61, v63
	v_cmp_eq_u32_e32 vcc, 1, v1
	v_div_fixup_f32 v59, v60, v59, 1.0
	s_barrier
	v_cndmask_b32_e32 v57, v64, v57, vcc
	v_cmp_eq_u32_e32 vcc, 2, v1
	s_nop 1
	v_cndmask_b32_e32 v57, v57, v58, vcc
	v_cmp_eq_u32_e32 vcc, 3, v1
	v_lshlrev_b32_e32 v1, 11, v1
	s_nop 0
	v_cndmask_b32_e32 v45, v57, v45, vcc
	v_mul_f32_e32 v58, v45, v59
	v_pk_mul_f32 v[50:51], v[58:59], v[50:51] op_sel_hi:[0,1]
	v_bfe_u32 v45, v51, 16, 1
	v_bfe_u32 v57, v50, 16, 1
	v_pk_mul_f32 v[52:53], v[58:59], v[52:53] op_sel_hi:[0,1]
	v_add3_u32 v50, v50, v57, s8
	v_add3_u32 v45, v51, v45, s8
	v_perm_b32 v60, v45, v50, s9
	v_bfe_u32 v45, v53, 16, 1
	v_bfe_u32 v50, v52, 16, 1
	v_add3_u32 v50, v52, v50, s8
	v_add3_u32 v45, v53, v45, s8
	v_perm_b32 v61, v45, v50, s9
	v_lshlrev_b32_e32 v45, 3, v54
	v_lshlrev_b32_e32 v50, 5, v44
	v_pk_mul_f32 v[48:49], v[58:59], v[48:49] op_sel_hi:[0,1]
	v_or3_b32 v1, v1, v50, v45
	v_bfe_u32 v45, v49, 16, 1
	v_bfe_u32 v51, v48, 16, 1
	v_pk_mul_f32 v[46:47], v[58:59], v[46:47] op_sel_hi:[0,1]
	v_add3_u32 v48, v48, v51, s8
	v_add3_u32 v45, v49, v45, s8
	v_perm_b32 v48, v45, v48, s9
	v_bfe_u32 v45, v47, 16, 1
	v_bfe_u32 v49, v46, 16, 1
	v_add3_u32 v46, v46, v49, s8
	v_add3_u32 v45, v47, v45, s8
	v_pk_mul_f32 v[40:41], v[58:59], v[40:41] op_sel_hi:[0,1]
	v_perm_b32 v49, v45, v46, s9
	v_bfe_u32 v45, v41, 16, 1
	v_bfe_u32 v46, v40, 16, 1
	v_pk_mul_f32 v[38:39], v[58:59], v[38:39] op_sel_hi:[0,1]
	v_add3_u32 v40, v40, v46, s8
	v_add3_u32 v41, v41, v45, s8
	v_perm_b32 v40, v41, v40, s9
	v_bfe_u32 v41, v39, 16, 1
	v_bfe_u32 v45, v38, 16, 1
	v_add3_u32 v38, v38, v45, s8
	v_add3_u32 v39, v39, v41, s8
	v_pk_mul_f32 v[36:37], v[58:59], v[36:37] op_sel_hi:[0,1]
	v_perm_b32 v41, v39, v38, s9
	v_bfe_u32 v38, v37, 16, 1
	v_bfe_u32 v39, v36, 16, 1
	v_pk_mul_f32 v[34:35], v[58:59], v[34:35] op_sel_hi:[0,1]
	v_add3_u32 v36, v36, v39, s8
	v_add3_u32 v37, v37, v38, s8
	v_perm_b32 v36, v37, v36, s9
	v_bfe_u32 v37, v35, 16, 1
	v_bfe_u32 v38, v34, 16, 1
	v_add3_u32 v34, v34, v38, s8
	v_add3_u32 v35, v35, v37, s8
	v_perm_b32 v37, v35, v34, s9
	v_cmp_gt_u32_e32 vcc, 15, v0
	ds_write2st64_b64 v1, v[60:61], v[48:49] offset1:1
	ds_write2st64_b64 v1, v[40:41], v[36:37] offset0:2 offset1:3
	s_and_saveexec_b64 s[4:5], vcc
	s_cbranch_execz .LBB550_19
; %bb.18:
	s_mov_b32 s43, 0
	v_mov_b32_e32 v45, 0
	v_lshl_add_u64 v[34:35], s[42:43], 0, v[44:45]
	v_mov_b32_e32 v36, s7
	v_mad_u64_u32 v[34:35], s[10:11], s2, v36, v[34:35]
	s_mul_i32 s3, s3, s7
	v_mov_b32_e32 v44, s28
	s_load_dwordx4 s[12:15], s[0:1], 0x58
	v_add_u32_e32 v37, s3, v35
	v_mad_u64_u32 v[34:35], s[10:11], v34, s6, v[44:45]
	v_mov_b32_e32 v36, v35
	v_mad_u64_u32 v[36:37], s[10:11], v37, s6, v[36:37]
	v_mov_b32_e32 v35, v36
	v_lshlrev_b64 v[34:35], 2, v[34:35]
	s_waitcnt lgkmcnt(0)
	v_lshl_add_u64 v[36:37], s[14:15], 0, v[34:35]
	v_lshl_add_u64 v[34:35], s[12:13], 0, v[34:35]
	global_store_dword v[36:37], v55, off
	global_store_dword v[34:35], v56, off
.LBB550_19:
	s_or_b64 exec, exec, s[4:5]
	v_lshl_or_b32 v48, v54, 9, v50
	s_waitcnt lgkmcnt(0)
	s_barrier
	ds_read_b128 v[34:37], v48
	ds_read_b128 v[38:41], v48 offset:16
	s_waitcnt vmcnt(7) lgkmcnt(1)
	v_mfma_f32_16x16x16_bf16 v[44:47], v[6:7], v[34:35], 0
	v_cmp_gt_u32_e32 vcc, 64, v0
	s_mov_b32 s3, 0
	s_and_b64 s[4:5], vcc, s[30:31]
	v_mfma_f32_16x16x16_bf16 v[6:9], v[8:9], v[36:37], v[44:47]
	s_waitcnt vmcnt(6) lgkmcnt(0)
	v_mfma_f32_16x16x16_bf16 v[6:9], v[2:3], v[38:39], v[6:9]
	v_mfma_f32_16x16x16_bf16 v[2:5], v[4:5], v[40:41], v[6:9]
	s_nop 5
	ds_read_b128 v[6:9], v48 offset:2048
	ds_read_b128 v[34:37], v48 offset:2064
	s_waitcnt vmcnt(5) lgkmcnt(1)
	v_mfma_f32_16x16x16_bf16 v[2:5], v[30:31], v[6:7], v[2:5]
	v_mfma_f32_16x16x16_bf16 v[2:5], v[32:33], v[8:9], v[2:5]
	s_waitcnt vmcnt(4) lgkmcnt(0)
	v_mfma_f32_16x16x16_bf16 v[2:5], v[26:27], v[34:35], v[2:5]
	v_mfma_f32_16x16x16_bf16 v[2:5], v[28:29], v[36:37], v[2:5]
	ds_read_b128 v[6:9], v48 offset:4096
	ds_read_b128 v[26:29], v48 offset:4112
	s_waitcnt vmcnt(3) lgkmcnt(1)
	v_mfma_f32_16x16x16_bf16 v[2:5], v[22:23], v[6:7], v[2:5]
	v_mfma_f32_16x16x16_bf16 v[2:5], v[24:25], v[8:9], v[2:5]
	s_waitcnt vmcnt(2) lgkmcnt(0)
	v_mfma_f32_16x16x16_bf16 v[2:5], v[18:19], v[26:27], v[2:5]
	v_mfma_f32_16x16x16_bf16 v[2:5], v[20:21], v[28:29], v[2:5]
	ds_read_b128 v[6:9], v48 offset:6144
	ds_read_b128 v[18:21], v48 offset:6160
	s_waitcnt lgkmcnt(0)
	s_barrier
	s_waitcnt vmcnt(1)
	v_mfma_f32_16x16x16_bf16 v[2:5], v[14:15], v[6:7], v[2:5]
	v_mfma_f32_16x16x16_bf16 v[2:5], v[16:17], v[8:9], v[2:5]
	s_waitcnt vmcnt(0)
	v_mfma_f32_16x16x16_bf16 v[2:5], v[10:11], v[18:19], v[2:5]
	v_mfma_f32_16x16x16_bf16 v[2:5], v[12:13], v[20:21], v[2:5]
	s_nop 6
	v_bfe_u32 v6, v3, 16, 1
	v_bfe_u32 v7, v2, 16, 1
	;; [unrolled: 1-line block ×4, first 2 shown]
	v_add3_u32 v2, v2, v7, s8
	v_add3_u32 v3, v3, v6, s8
	;; [unrolled: 1-line block ×4, first 2 shown]
	v_perm_b32 v2, v3, v2, s9
	v_perm_b32 v3, v5, v4, s9
	ds_write_b64 v1, v[2:3]
	s_waitcnt lgkmcnt(0)
	s_barrier
	s_and_saveexec_b64 s[8:9], s[4:5]
	s_cbranch_execz .LBB550_22
; %bb.20:
	s_load_dwordx2 s[4:5], s[0:1], 0x68
	s_lshl_b32 s0, s6, 6
	s_mul_i32 s1, s7, s2
	s_mul_hi_u32 s7, s1, s0
	s_mul_i32 s6, s1, s0
	v_lshlrev_b32_e32 v1, 10, v0
	v_lshlrev_b32_e32 v0, 4, v0
	s_lshl_b64 s[6:7], s[6:7], 1
	v_and_b32_e32 v1, 0x1800, v1
	v_lshlrev_b32_e32 v2, 5, v54
	v_and_b32_e32 v0, 16, v0
	s_waitcnt lgkmcnt(0)
	s_add_u32 s1, s4, s6
	v_or3_b32 v2, v1, v2, v0
	s_addc_u32 s4, s5, s7
	s_lshl_b32 s2, s28, 6
	ds_read_b128 v[4:7], v2 offset:256
	s_lshl_b64 s[2:3], s[2:3], 1
	ds_read_b128 v[8:11], v2 offset:128
	ds_read_b128 v[12:15], v2
	s_add_u32 s2, s1, s2
	s_addc_u32 s3, s4, s3
	v_add_u32_e32 v3, s42, v54
	v_lshl_add_u64 v[0:1], v[42:43], 1, s[2:3]
	v_mad_u64_u32 v[16:17], s[2:3], v3, s0, 0
	v_lshl_add_u64 v[16:17], v[16:17], 1, v[0:1]
	s_waitcnt lgkmcnt(0)
	global_store_dwordx4 v[16:17], v[12:15], off
	v_cmp_ne_u32_e32 vcc, 3, v54
	s_nop 0
	v_add_u32_e32 v12, 4, v3
	v_mad_u64_u32 v[12:13], s[2:3], v12, s0, 0
	v_lshl_add_u64 v[12:13], v[12:13], 1, v[0:1]
	v_add_u32_e32 v3, 8, v3
	global_store_dwordx4 v[12:13], v[8:11], off
	s_nop 1
	v_mad_u64_u32 v[8:9], s[2:3], v3, s0, 0
	v_lshl_add_u64 v[8:9], v[8:9], 1, v[0:1]
	global_store_dwordx4 v[8:9], v[4:7], off
	s_and_b64 exec, exec, vcc
	s_cbranch_execz .LBB550_22
; %bb.21:
	ds_read_b128 v[2:5], v2 offset:384
	v_add3_u32 v6, s42, v54, 12
	v_mad_u64_u32 v[6:7], s[0:1], v6, s0, 0
	v_lshl_add_u64 v[0:1], v[6:7], 1, v[0:1]
	s_waitcnt lgkmcnt(0)
	global_store_dwordx4 v[0:1], v[2:5], off
.LBB550_22:
	s_endpgm
	.section	.rodata,"a",@progbits
	.p2align	6, 0x0
	.amdhsa_kernel _Z39paged_attention_ll4mi_QKV_mfma16_kernelI14__hip_bfloat16S0_LN4vllm18Fp8KVCacheDataTypeE0ES0_Li32ELi64ELi256ELb1ELi15EEvPKT_PKT0_S8_ifPKiSA_SA_iPKfiiiPfSD_PS3_PT2_iSC_SC_
		.amdhsa_group_segment_fixed_size 8192
		.amdhsa_private_segment_fixed_size 0
		.amdhsa_kernarg_size 400
		.amdhsa_user_sgpr_count 2
		.amdhsa_user_sgpr_dispatch_ptr 0
		.amdhsa_user_sgpr_queue_ptr 0
		.amdhsa_user_sgpr_kernarg_segment_ptr 1
		.amdhsa_user_sgpr_dispatch_id 0
		.amdhsa_user_sgpr_kernarg_preload_length 0
		.amdhsa_user_sgpr_kernarg_preload_offset 0
		.amdhsa_user_sgpr_private_segment_size 0
		.amdhsa_uses_dynamic_stack 0
		.amdhsa_enable_private_segment 0
		.amdhsa_system_sgpr_workgroup_id_x 1
		.amdhsa_system_sgpr_workgroup_id_y 1
		.amdhsa_system_sgpr_workgroup_id_z 1
		.amdhsa_system_sgpr_workgroup_info 0
		.amdhsa_system_vgpr_workitem_id 0
		.amdhsa_next_free_vgpr 73
		.amdhsa_next_free_sgpr 48
		.amdhsa_accum_offset 76
		.amdhsa_reserve_vcc 1
		.amdhsa_float_round_mode_32 0
		.amdhsa_float_round_mode_16_64 0
		.amdhsa_float_denorm_mode_32 3
		.amdhsa_float_denorm_mode_16_64 3
		.amdhsa_dx10_clamp 1
		.amdhsa_ieee_mode 1
		.amdhsa_fp16_overflow 0
		.amdhsa_tg_split 0
		.amdhsa_exception_fp_ieee_invalid_op 0
		.amdhsa_exception_fp_denorm_src 0
		.amdhsa_exception_fp_ieee_div_zero 0
		.amdhsa_exception_fp_ieee_overflow 0
		.amdhsa_exception_fp_ieee_underflow 0
		.amdhsa_exception_fp_ieee_inexact 0
		.amdhsa_exception_int_div_zero 0
	.end_amdhsa_kernel
	.section	.text._Z39paged_attention_ll4mi_QKV_mfma16_kernelI14__hip_bfloat16S0_LN4vllm18Fp8KVCacheDataTypeE0ES0_Li32ELi64ELi256ELb1ELi15EEvPKT_PKT0_S8_ifPKiSA_SA_iPKfiiiPfSD_PS3_PT2_iSC_SC_,"axG",@progbits,_Z39paged_attention_ll4mi_QKV_mfma16_kernelI14__hip_bfloat16S0_LN4vllm18Fp8KVCacheDataTypeE0ES0_Li32ELi64ELi256ELb1ELi15EEvPKT_PKT0_S8_ifPKiSA_SA_iPKfiiiPfSD_PS3_PT2_iSC_SC_,comdat
.Lfunc_end550:
	.size	_Z39paged_attention_ll4mi_QKV_mfma16_kernelI14__hip_bfloat16S0_LN4vllm18Fp8KVCacheDataTypeE0ES0_Li32ELi64ELi256ELb1ELi15EEvPKT_PKT0_S8_ifPKiSA_SA_iPKfiiiPfSD_PS3_PT2_iSC_SC_, .Lfunc_end550-_Z39paged_attention_ll4mi_QKV_mfma16_kernelI14__hip_bfloat16S0_LN4vllm18Fp8KVCacheDataTypeE0ES0_Li32ELi64ELi256ELb1ELi15EEvPKT_PKT0_S8_ifPKiSA_SA_iPKfiiiPfSD_PS3_PT2_iSC_SC_
                                        ; -- End function
	.section	.AMDGPU.csdata,"",@progbits
; Kernel info:
; codeLenInByte = 4472
; NumSgprs: 54
; NumVgprs: 73
; NumAgprs: 0
; TotalNumVgprs: 73
; ScratchSize: 0
; MemoryBound: 0
; FloatMode: 240
; IeeeMode: 1
; LDSByteSize: 8192 bytes/workgroup (compile time only)
; SGPRBlocks: 6
; VGPRBlocks: 9
; NumSGPRsForWavesPerEU: 54
; NumVGPRsForWavesPerEU: 73
; AccumOffset: 76
; Occupancy: 6
; WaveLimiterHint : 1
; COMPUTE_PGM_RSRC2:SCRATCH_EN: 0
; COMPUTE_PGM_RSRC2:USER_SGPR: 2
; COMPUTE_PGM_RSRC2:TRAP_HANDLER: 0
; COMPUTE_PGM_RSRC2:TGID_X_EN: 1
; COMPUTE_PGM_RSRC2:TGID_Y_EN: 1
; COMPUTE_PGM_RSRC2:TGID_Z_EN: 1
; COMPUTE_PGM_RSRC2:TIDIG_COMP_CNT: 0
; COMPUTE_PGM_RSRC3_GFX90A:ACCUM_OFFSET: 18
; COMPUTE_PGM_RSRC3_GFX90A:TG_SPLIT: 0
	.section	.text._Z39paged_attention_ll4mi_QKV_mfma16_kernelI14__hip_bfloat16S0_LN4vllm18Fp8KVCacheDataTypeE0ES0_Li32ELi64ELi256ELb1ELi16EEvPKT_PKT0_S8_ifPKiSA_SA_iPKfiiiPfSD_PS3_PT2_iSC_SC_,"axG",@progbits,_Z39paged_attention_ll4mi_QKV_mfma16_kernelI14__hip_bfloat16S0_LN4vllm18Fp8KVCacheDataTypeE0ES0_Li32ELi64ELi256ELb1ELi16EEvPKT_PKT0_S8_ifPKiSA_SA_iPKfiiiPfSD_PS3_PT2_iSC_SC_,comdat
	.protected	_Z39paged_attention_ll4mi_QKV_mfma16_kernelI14__hip_bfloat16S0_LN4vllm18Fp8KVCacheDataTypeE0ES0_Li32ELi64ELi256ELb1ELi16EEvPKT_PKT0_S8_ifPKiSA_SA_iPKfiiiPfSD_PS3_PT2_iSC_SC_ ; -- Begin function _Z39paged_attention_ll4mi_QKV_mfma16_kernelI14__hip_bfloat16S0_LN4vllm18Fp8KVCacheDataTypeE0ES0_Li32ELi64ELi256ELb1ELi16EEvPKT_PKT0_S8_ifPKiSA_SA_iPKfiiiPfSD_PS3_PT2_iSC_SC_
	.globl	_Z39paged_attention_ll4mi_QKV_mfma16_kernelI14__hip_bfloat16S0_LN4vllm18Fp8KVCacheDataTypeE0ES0_Li32ELi64ELi256ELb1ELi16EEvPKT_PKT0_S8_ifPKiSA_SA_iPKfiiiPfSD_PS3_PT2_iSC_SC_
	.p2align	8
	.type	_Z39paged_attention_ll4mi_QKV_mfma16_kernelI14__hip_bfloat16S0_LN4vllm18Fp8KVCacheDataTypeE0ES0_Li32ELi64ELi256ELb1ELi16EEvPKT_PKT0_S8_ifPKiSA_SA_iPKfiiiPfSD_PS3_PT2_iSC_SC_,@function
_Z39paged_attention_ll4mi_QKV_mfma16_kernelI14__hip_bfloat16S0_LN4vllm18Fp8KVCacheDataTypeE0ES0_Li32ELi64ELi256ELb1ELi16EEvPKT_PKT0_S8_ifPKiSA_SA_iPKfiiiPfSD_PS3_PT2_iSC_SC_: ; @_Z39paged_attention_ll4mi_QKV_mfma16_kernelI14__hip_bfloat16S0_LN4vllm18Fp8KVCacheDataTypeE0ES0_Li32ELi64ELi256ELb1ELi16EEvPKT_PKT0_S8_ifPKiSA_SA_iPKfiiiPfSD_PS3_PT2_iSC_SC_
; %bb.0:
	s_load_dwordx2 s[6:7], s[0:1], 0x30
	s_mov_b32 s28, s3
	s_mov_b64 s[10:11], 0
	s_waitcnt lgkmcnt(0)
	s_cmp_lg_u64 s[6:7], 0
	s_cselect_b64 s[8:9], -1, 0
	s_and_b64 vcc, exec, s[8:9]
	s_cbranch_vccz .LBB551_7
; %bb.1:
	s_add_i32 s12, s2, 1
	s_mov_b32 s13, 0
	s_lshl_b64 s[14:15], s[12:13], 2
	s_add_u32 s14, s6, s14
	s_mov_b32 s3, s13
	s_addc_u32 s15, s7, s15
	s_lshl_b64 s[12:13], s[2:3], 2
	s_add_u32 s12, s6, s12
	s_addc_u32 s13, s7, s13
	s_load_dword s5, s[14:15], 0x0
	s_load_dword s16, s[12:13], 0x0
	s_waitcnt lgkmcnt(0)
	s_sub_i32 s5, s5, s16
	s_cmp_eq_u32 s5, 1
	s_cselect_b64 s[12:13], -1, 0
	s_andn2_b64 vcc, exec, s[10:11]
	s_cbranch_vccnz .LBB551_3
.LBB551_2:
	s_mov_b32 s3, 0
	s_mov_b64 s[12:13], -1
.LBB551_3:
	s_andn2_b64 vcc, exec, s[12:13]
	s_cbranch_vccnz .LBB551_19
; %bb.4:
	s_load_dwordx2 s[12:13], s[0:1], 0x28
	s_lshl_b64 s[10:11], s[2:3], 2
	s_waitcnt lgkmcnt(0)
	s_add_u32 s12, s12, s10
	s_addc_u32 s13, s13, s11
	s_load_dword s40, s[12:13], 0x0
	s_lshl_b32 s16, s28, 8
	s_waitcnt lgkmcnt(0)
	s_cmp_ge_i32 s16, s40
	s_cbranch_scc1 .LBB551_19
; %bb.5:
	s_load_dwordx2 s[12:13], s[0:1], 0x20
	s_load_dword s5, s[0:1], 0x38
	s_add_i32 s14, s40, 31
	s_ashr_i32 s15, s14, 31
	v_and_b32_e32 v1, 0xcf, v0
	s_lshr_b32 s15, s15, 27
	v_add_u32_e32 v1, s16, v1
	s_add_i32 s14, s14, s15
	v_ashrrev_i32_e32 v2, 31, v1
	s_ashr_i32 s17, s14, 5
	v_lshrrev_b32_e32 v6, 27, v2
	s_add_i32 s17, s17, -1
	s_waitcnt lgkmcnt(0)
	s_mul_i32 s14, s2, s5
	s_mov_b32 s15, 0
	v_add_u32_e32 v2, v1, v6
	s_lshl_b64 s[14:15], s[14:15], 2
	v_ashrrev_i32_e32 v2, 5, v2
	v_mov_b32_e32 v7, s17
	v_cmp_gt_i32_e32 vcc, s40, v1
	s_add_u32 s12, s12, s14
	s_addc_u32 s13, s13, s15
	v_cndmask_b32_e32 v2, v7, v2, vcc
	v_ashrrev_i32_e32 v3, 31, v2
	v_lshl_add_u64 v[4:5], v[2:3], 2, s[12:13]
	v_or_b32_e32 v2, 16, v1
	v_add_u32_e32 v3, v2, v6
	v_ashrrev_i32_e32 v3, 5, v3
	v_cmp_gt_i32_e32 vcc, s40, v2
	s_nop 1
	v_cndmask_b32_e32 v2, v7, v3, vcc
	v_ashrrev_i32_e32 v3, 31, v2
	v_lshl_add_u64 v[8:9], v[2:3], 2, s[12:13]
	v_or_b32_e32 v2, 32, v1
	v_add_u32_e32 v3, v2, v6
	v_ashrrev_i32_e32 v3, 5, v3
	v_cmp_gt_i32_e32 vcc, s40, v2
	v_or_b32_e32 v1, 48, v1
	s_nop 0
	v_cndmask_b32_e32 v2, v7, v3, vcc
	v_ashrrev_i32_e32 v3, 31, v2
	v_lshl_add_u64 v[10:11], v[2:3], 2, s[12:13]
	v_add_u32_e32 v2, v1, v6
	v_ashrrev_i32_e32 v2, 5, v2
	v_cmp_gt_i32_e32 vcc, s40, v1
	s_nop 1
	v_cndmask_b32_e32 v2, v7, v2, vcc
	v_ashrrev_i32_e32 v3, 31, v2
	v_lshl_add_u64 v[12:13], v[2:3], 2, s[12:13]
	global_load_dword v2, v[4:5], off
	global_load_dword v7, v[8:9], off
	;; [unrolled: 1-line block ×4, first 2 shown]
	s_andn2_b64 vcc, exec, s[8:9]
	s_cbranch_vccnz .LBB551_8
; %bb.6:
	s_add_u32 s6, s6, s10
	s_addc_u32 s7, s7, s11
	s_load_dword s5, s[6:7], 0x0
	s_branch .LBB551_9
.LBB551_7:
	s_mov_b64 s[12:13], 0
	s_branch .LBB551_2
.LBB551_8:
	s_mov_b32 s5, s2
.LBB551_9:
	s_load_dwordx2 s[14:15], s[0:1], 0x40
	s_load_dwordx4 s[8:11], s[0:1], 0x8
	s_load_dwordx4 s[44:47], s[0:1], 0x48
	v_and_b32_e32 v55, 15, v0
	s_movk_i32 s6, 0xff
	v_cmp_lt_u32_e32 vcc, s6, v0
	v_cmp_lt_u32_e64 s[6:7], 7, v55
	v_lshlrev_b32_e32 v38, 3, v55
	v_cmp_gt_u32_e64 s[30:31], 8, v55
	s_or_b64 s[6:7], vcc, s[6:7]
	s_and_saveexec_b64 s[18:19], s[6:7]
	s_xor_b64 s[6:7], exec, s[18:19]
; %bb.10:
	v_mov_b32_e32 v39, 0
; %bb.11:
	s_or_saveexec_b64 s[6:7], s[6:7]
	v_lshrrev_b32_e32 v56, 6, v0
	v_and_b32_e32 v57, 63, v0
	s_lshl_b32 s29, s4, 4
	v_bfe_u32 v1, v0, 4, 2
	s_xor_b64 exec, exec, s[6:7]
	s_cbranch_execz .LBB551_13
; %bb.12:
	s_load_dwordx2 s[18:19], s[0:1], 0x0
	s_waitcnt lgkmcnt(0)
	s_ashr_i32 s20, s44, 31
	s_mul_hi_u32 s21, s5, s44
	s_mul_i32 s20, s5, s20
	s_add_i32 s21, s21, s20
	s_mul_i32 s20, s5, s44
	v_lshl_or_b32 v3, v56, 2, v1
	s_lshl_b64 s[20:21], s[20:21], 1
	s_add_u32 s18, s18, s20
	v_add_lshl_u32 v4, v3, s29, 6
	s_addc_u32 s19, s19, s21
	v_ashrrev_i32_e32 v5, 31, v4
	v_mov_b32_e32 v39, 0
	v_lshl_add_u64 v[4:5], v[4:5], 1, s[18:19]
	v_lshlrev_b32_e32 v8, 1, v38
	v_mov_b32_e32 v9, v39
	v_lshl_add_u64 v[4:5], v[4:5], 0, v[8:9]
	global_load_dwordx4 v[8:11], v[4:5], off
	v_and_b32_e32 v4, 3, v0
	v_lshlrev_b32_e32 v5, 9, v55
	v_lshlrev_b32_e32 v3, 5, v3
	v_lshlrev_b32_e32 v4, 9, v4
	v_and_b32_e32 v5, 0x1800, v5
	v_or3_b32 v3, v5, v4, v3
	s_waitcnt vmcnt(0)
	ds_write_b128 v3, v[8:11]
.LBB551_13:
	s_or_b64 exec, exec, s[6:7]
	s_waitcnt lgkmcnt(0)
	s_mul_i32 s4, s4, s46
	s_mov_b32 s5, 0
	s_lshl_b64 s[4:5], s[4:5], 1
	s_add_u32 s8, s8, s4
	s_addc_u32 s9, s9, s5
	s_waitcnt vmcnt(3)
	v_mad_i64_i32 v[2:3], s[18:19], v2, s45, 0
	v_lshl_add_u64 v[2:3], v[2:3], 1, s[8:9]
	v_lshlrev_b64 v[8:9], 1, v[38:39]
	v_lshlrev_b32_e32 v42, 9, v1
	v_lshl_add_u64 v[2:3], v[2:3], 0, v[8:9]
	v_mov_b32_e32 v43, 0
	v_lshl_add_u64 v[16:17], v[2:3], 0, v[42:43]
	s_load_dword s33, s[0:1], 0x98
	s_load_dword s6, s[0:1], 0x1c
	s_waitcnt lgkmcnt(0)
	s_barrier
	global_load_dwordx4 v[2:5], v[16:17], off
	s_waitcnt vmcnt(3)
	v_mad_i64_i32 v[10:11], s[18:19], v7, s45, 0
	v_mov_b32_e32 v12, 0x100
	v_lshl_or_b32 v34, v55, 4, v12
	v_mov_b32_e32 v35, v43
	v_lshl_add_u64 v[10:11], v[10:11], 1, s[8:9]
	v_lshl_add_u64 v[10:11], v[10:11], 0, v[34:35]
	;; [unrolled: 1-line block ×3, first 2 shown]
	global_load_dwordx4 v[10:13], v[22:23], off
	s_waitcnt vmcnt(3)
	v_mad_i64_i32 v[6:7], s[18:19], v6, s45, 0
	v_lshl_add_u64 v[6:7], v[6:7], 1, s[8:9]
	v_lshl_add_u64 v[6:7], v[6:7], 0, v[8:9]
	;; [unrolled: 1-line block ×3, first 2 shown]
	global_load_dwordx4 v[18:21], v[24:25], off
	global_load_dwordx4 v[6:9], v[16:17], off offset:2048
	s_waitcnt vmcnt(4)
	v_mad_i64_i32 v[36:37], s[18:19], v14, s45, 0
	global_load_dwordx4 v[14:17], v[22:23], off offset:2048
	global_load_dwordx4 v[30:33], v[24:25], off offset:2048
	s_ashr_i32 s7, s16, 31
	v_and_or_b32 v52, v0, 48, s16
	v_lshl_add_u64 v[36:37], v[36:37], 1, s[8:9]
	s_lshr_b32 s7, s7, 27
	v_lshl_add_u64 v[34:35], v[36:37], 0, v[34:35]
	v_add_u32_e32 v36, s7, v52
	v_mov_b32_e32 v53, s17
	v_lshl_add_u64 v[40:41], v[34:35], 0, v[42:43]
	v_ashrrev_i32_e32 v34, 5, v36
	v_cmp_gt_i32_e32 vcc, s40, v52
	v_lshl_or_b32 v54, v55, 5, v42
	ds_read_b128 v[26:29], v54
	ds_read_b128 v[22:25], v54 offset:2048
	v_cndmask_b32_e32 v34, v53, v34, vcc
	v_ashrrev_i32_e32 v35, 31, v34
	v_lshl_add_u64 v[34:35], v[34:35], 2, s[12:13]
	global_load_dword v66, v[34:35], off
	s_nop 0
	global_load_dwordx4 v[34:37], v[40:41], off
	global_load_dwordx4 v[58:61], v[40:41], off offset:2048
	v_or_b32_e32 v44, 64, v52
	v_add_u32_e32 v45, s7, v44
	v_ashrrev_i32_e32 v42, 5, v45
	v_cmp_gt_i32_e32 vcc, s40, v44
	v_or_b32_e32 v40, s29, v55
	v_ashrrev_i32_e32 v41, 31, v40
	v_cndmask_b32_e32 v44, v53, v42, vcc
	v_ashrrev_i32_e32 v45, 31, v44
	v_lshl_add_u64 v[44:45], v[44:45], 2, s[12:13]
	global_load_dword v67, v[44:45], off
	v_and_b32_e32 v42, 16, v0
	s_add_u32 s4, s10, s4
	s_addc_u32 s5, s11, s5
	v_lshlrev_b32_e32 v42, 1, v42
	s_mov_b32 s42, 0xff7fffff
	s_waitcnt vmcnt(7) lgkmcnt(1)
	v_mfma_f32_16x16x16_bf16 v[62:65], v[18:19], v[26:27], 0
	v_mfma_f32_16x16x16_bf16 v[44:47], v[2:3], v[26:27], 0
	v_lshl_add_u64 v[2:3], v[40:41], 2, s[14:15]
	global_load_dword v41, v[2:3], off
	v_mfma_f32_16x16x16_bf16 v[48:51], v[10:11], v[26:27], 0
	v_mfma_f32_16x16x16_bf16 v[2:5], v[4:5], v[28:29], v[44:47]
	s_nop 2
	v_or_b32_e32 v45, 0x80, v52
	v_mfma_f32_16x16x16_bf16 v[10:13], v[12:13], v[28:29], v[48:51]
	v_or_b32_e32 v46, 0xc0, v52
	v_add_u32_e32 v47, s7, v45
	v_ashrrev_i32_e32 v47, 5, v47
	v_mfma_f32_16x16x16_bf16 v[18:21], v[20:21], v[28:29], v[62:65]
	v_add_u32_e32 v48, s7, v46
	v_cmp_gt_i32_e32 vcc, s40, v45
	v_ashrrev_i32_e32 v48, 5, v48
	s_waitcnt vmcnt(7) lgkmcnt(0)
	v_mfma_f32_16x16x16_bf16 v[2:5], v[6:7], v[22:23], v[2:5]
	v_cndmask_b32_e32 v6, v53, v47, vcc
	v_cmp_gt_i32_e32 vcc, s40, v46
	v_ashrrev_i32_e32 v7, 31, v6
	s_waitcnt vmcnt(6)
	v_mfma_f32_16x16x16_bf16 v[10:13], v[14:15], v[22:23], v[10:13]
	v_cndmask_b32_e32 v14, v53, v48, vcc
	v_lshlrev_b32_e32 v44, 6, v55
	v_ashrrev_i32_e32 v15, 31, v14
	s_waitcnt vmcnt(5)
	v_mfma_f32_16x16x16_bf16 v[18:21], v[30:31], v[22:23], v[18:21]
	v_lshl_add_u64 v[6:7], v[6:7], 2, s[12:13]
	v_lshl_add_u64 v[48:49], s[4:5], 0, v[42:43]
	v_lshl_or_b32 v42, v56, 10, v44
	v_mfma_f32_16x16x16_bf16 v[44:47], v[8:9], v[24:25], v[2:5]
	s_nop 2
	v_lshl_add_u64 v[2:3], v[14:15], 2, s[12:13]
	global_load_dword v52, v[6:7], off
	global_load_dword v53, v[2:3], off
	v_mfma_f32_16x16x16_bf16 v[62:65], v[16:17], v[24:25], v[10:13]
	v_pk_mul_f32 v[50:51], s[6:7], v[46:47] op_sel_hi:[0,1]
	s_waitcnt vmcnt(6)
	v_mad_i64_i32 v[2:3], s[4:5], v66, s45, 0
	v_mfma_f32_16x16x16_bf16 v[16:19], v[32:33], v[24:25], v[18:21]
	v_lshl_add_u64 v[10:11], v[48:49], 0, v[42:43]
	s_waitcnt vmcnt(3)
	v_mad_i64_i32 v[12:13], s[4:5], v67, s45, 0
	v_mfma_f32_16x16x16_bf16 v[30:33], v[34:35], v[26:27], 0
	v_lshl_add_u64 v[14:15], v[12:13], 1, v[10:11]
	v_pk_mul_f32 v[12:13], s[6:7], v[44:45] op_sel_hi:[0,1]
	s_nop 0
	v_pk_mul_f32 v[42:43], s[6:7], v[18:19] op_sel_hi:[0,1]
	v_mfma_f32_16x16x16_bf16 v[26:29], v[36:37], v[28:29], v[30:33]
	v_pk_mul_f32 v[44:45], s[6:7], v[16:17] op_sel_hi:[0,1]
	v_pk_mul_f32 v[46:47], s[6:7], v[64:65] op_sel_hi:[0,1]
	;; [unrolled: 1-line block ×3, first 2 shown]
	v_mfma_f32_16x16x16_bf16 v[20:23], v[58:59], v[22:23], v[26:29]
	v_lshl_add_u64 v[2:3], v[2:3], 1, v[10:11]
	global_load_dwordx4 v[6:9], v[2:3], off
	s_nop 0
	global_load_dwordx4 v[2:5], v[2:3], off offset:16
	s_nop 0
	global_load_dwordx4 v[30:33], v[14:15], off
	global_load_dwordx4 v[26:29], v[14:15], off offset:16
	v_mfma_f32_16x16x16_bf16 v[16:19], v[60:61], v[24:25], v[20:23]
	s_nop 6
	v_pk_mul_f32 v[36:37], s[6:7], v[16:17] op_sel_hi:[0,1]
	v_and_b32_e32 v16, 0xc0, v0
	v_add_u32_e32 v16, s16, v16
	v_lshl_or_b32 v16, v1, 2, v16
	v_or_b32_e32 v17, 1, v16
	v_pk_mul_f32 v[34:35], s[6:7], v[18:19] op_sel_hi:[0,1]
	v_subrev_u32_e32 v18, s40, v17
	v_add_u32_e32 v20, 1, v18
	v_add_u32_e32 v21, 2, v18
	v_cvt_f32_i32_e32 v19, v18
	v_cvt_f32_i32_e32 v20, v20
	v_cvt_f32_i32_e32 v21, v21
	v_add_u32_e32 v22, 3, v18
	v_cvt_f32_i32_e32 v22, v22
	v_cmp_gt_i32_e64 s[4:5], s40, v16
	s_waitcnt vmcnt(6)
	v_fma_f32 v12, v41, v19, v12
	v_fmac_f32_e32 v13, v41, v20
	v_fma_f32 v50, v41, v21, v50
	v_add_u32_e32 v19, 16, v18
	v_add_u32_e32 v20, 17, v18
	;; [unrolled: 1-line block ×3, first 2 shown]
	v_cvt_f32_i32_e32 v19, v19
	v_cvt_f32_i32_e32 v20, v20
	;; [unrolled: 1-line block ×3, first 2 shown]
	v_fmac_f32_e32 v51, v41, v22
	v_add_u32_e32 v22, 19, v18
	v_fma_f32 v48, v41, v19, v48
	v_fmac_f32_e32 v49, v41, v20
	v_fma_f32 v46, v41, v21, v46
	v_add_u32_e32 v19, 32, v18
	v_add_u32_e32 v20, 33, v18
	;; [unrolled: 1-line block ×3, first 2 shown]
	v_cvt_f32_i32_e32 v22, v22
	v_cvt_f32_i32_e32 v19, v19
	;; [unrolled: 1-line block ×4, first 2 shown]
	v_fmac_f32_e32 v47, v41, v22
	v_add_u32_e32 v22, 35, v18
	v_fma_f32 v44, v41, v19, v44
	v_fmac_f32_e32 v45, v41, v20
	v_fma_f32 v42, v41, v21, v42
	v_add_u32_e32 v19, 48, v18
	v_add_u32_e32 v20, 49, v18
	;; [unrolled: 1-line block ×4, first 2 shown]
	v_cvt_f32_i32_e32 v18, v18
	v_cvt_f32_i32_e32 v19, v19
	;; [unrolled: 1-line block ×3, first 2 shown]
	v_cmp_gt_i32_e64 s[34:35], s40, v17
	v_fmac_f32_e32 v35, v41, v18
	v_mov_b32_e32 v18, 0xff7fffff
	v_fma_f32 v36, v41, v19, v36
	v_cndmask_b32_e64 v19, v18, v12, s[4:5]
	v_cndmask_b32_e64 v17, v18, v13, s[34:35]
	v_fmac_f32_e32 v37, v41, v20
	v_max3_f32 v17, v19, s42, v17
	v_or_b32_e32 v19, 2, v16
	v_or_b32_e32 v20, 3, v16
	v_cmp_gt_i32_e64 s[36:37], s40, v19
	v_cmp_gt_i32_e64 s[38:39], s40, v20
	v_cvt_f32_i32_e32 v22, v22
	v_cndmask_b32_e64 v19, v18, v50, s[36:37]
	v_cndmask_b32_e64 v20, v18, v51, s[38:39]
	v_max3_f32 v17, v17, v19, v20
	v_or_b32_e32 v19, 16, v16
	v_or_b32_e32 v20, 17, v16
	v_cmp_gt_i32_e64 s[24:25], s40, v19
	v_cmp_gt_i32_e64 s[26:27], s40, v20
	v_fmac_f32_e32 v43, v41, v22
	v_cndmask_b32_e64 v19, v18, v48, s[24:25]
	v_cndmask_b32_e64 v20, v18, v49, s[26:27]
	v_max3_f32 v17, v17, v19, v20
	v_or_b32_e32 v19, 18, v16
	v_or_b32_e32 v20, 19, v16
	v_cmp_gt_i32_e64 s[20:21], s40, v19
	v_cmp_gt_i32_e64 s[22:23], s40, v20
	v_cvt_f32_i32_e32 v21, v21
	v_cndmask_b32_e64 v19, v18, v46, s[20:21]
	v_cndmask_b32_e64 v20, v18, v47, s[22:23]
	v_max3_f32 v17, v17, v19, v20
	v_or_b32_e32 v19, 32, v16
	v_or_b32_e32 v20, 33, v16
	v_cmp_gt_i32_e64 s[16:17], s40, v19
	v_cmp_gt_i32_e64 s[18:19], s40, v20
	v_fma_f32 v34, v41, v21, v34
	v_cndmask_b32_e64 v19, v18, v44, s[16:17]
	v_cndmask_b32_e64 v20, v18, v45, s[18:19]
	v_max3_f32 v17, v17, v19, v20
	v_or_b32_e32 v19, 34, v16
	v_or_b32_e32 v20, 35, v16
	v_cmp_gt_i32_e64 s[12:13], s40, v19
	v_cmp_gt_i32_e64 s[14:15], s40, v20
	s_nop 0
	v_cndmask_b32_e64 v19, v18, v42, s[12:13]
	v_cndmask_b32_e64 v20, v18, v43, s[14:15]
	v_max3_f32 v17, v17, v19, v20
	v_or_b32_e32 v19, 48, v16
	v_or_b32_e32 v20, 49, v16
	v_cmp_gt_i32_e64 s[8:9], s40, v19
	v_cmp_gt_i32_e64 s[10:11], s40, v20
	s_nop 0
	v_cndmask_b32_e64 v19, v18, v36, s[8:9]
	v_cndmask_b32_e64 v20, v18, v37, s[10:11]
	v_max3_f32 v17, v17, v19, v20
	v_or_b32_e32 v19, 50, v16
	v_or_b32_e32 v16, 51, v16
	v_cmp_gt_i32_e32 vcc, s40, v19
	v_cmp_gt_i32_e64 s[6:7], s40, v16
	s_nop 0
	v_cndmask_b32_e32 v19, v18, v34, vcc
	v_cndmask_b32_e64 v16, v18, v35, s[6:7]
	v_max3_f32 v16, v17, v19, v16
	v_mbcnt_lo_u32_b32 v17, -1, 0
	v_mbcnt_hi_u32_b32 v17, -1, v17
	v_and_b32_e32 v18, 64, v17
	v_add_u32_e32 v18, 64, v18
	v_xor_b32_e32 v19, 32, v17
	v_cmp_lt_i32_e64 s[40:41], v19, v18
	s_nop 1
	v_cndmask_b32_e64 v19, v17, v19, s[40:41]
	v_lshlrev_b32_e32 v58, 2, v19
	ds_bpermute_b32 v19, v58, v16
	s_waitcnt vmcnt(5)
	v_mad_i64_i32 v[14:15], s[40:41], v52, s45, 0
	v_lshl_add_u64 v[14:15], v[14:15], 1, v[10:11]
	s_waitcnt lgkmcnt(0)
	v_max_f32_e32 v19, v19, v19
	v_max_f32_e32 v16, v16, v19
	v_xor_b32_e32 v19, 16, v17
	v_cmp_lt_i32_e64 s[40:41], v19, v18
	s_nop 1
	v_cndmask_b32_e64 v17, v17, v19, s[40:41]
	v_lshlrev_b32_e32 v60, 2, v17
	ds_bpermute_b32 v17, v60, v16
	global_load_dwordx4 v[22:25], v[14:15], off
	global_load_dwordx4 v[18:21], v[14:15], off offset:16
	s_waitcnt vmcnt(6)
	v_mad_i64_i32 v[14:15], s[40:41], v53, s45, 0
	v_lshl_add_u64 v[10:11], v[14:15], 1, v[10:11]
	s_waitcnt lgkmcnt(0)
	v_max_f32_e32 v14, v17, v17
	v_max_f32_e32 v41, v16, v14
	v_sub_f32_e32 v12, v12, v41
	v_mul_f32_e32 v12, 0x3fb8aa3b, v12
	v_exp_f32_e32 v52, v12
	v_sub_f32_e32 v12, v13, v41
	v_mul_f32_e32 v12, 0x3fb8aa3b, v12
	v_exp_f32_e32 v53, v12
	global_load_dwordx4 v[14:17], v[10:11], off
	s_nop 0
	global_load_dwordx4 v[10:13], v[10:11], off offset:16
	v_sub_f32_e32 v50, v50, v41
	v_mul_f32_e32 v50, 0x3fb8aa3b, v50
	v_sub_f32_e32 v51, v51, v41
	v_exp_f32_e32 v50, v50
	v_mul_f32_e32 v51, 0x3fb8aa3b, v51
	v_sub_f32_e32 v48, v48, v41
	v_exp_f32_e32 v51, v51
	v_mul_f32_e32 v48, 0x3fb8aa3b, v48
	v_sub_f32_e32 v49, v49, v41
	v_cndmask_b32_e64 v52, 0, v52, s[4:5]
	v_exp_f32_e32 v48, v48
	v_mul_f32_e32 v49, 0x3fb8aa3b, v49
	v_sub_f32_e32 v46, v46, v41
	v_add_f32_e32 v59, 0, v52
	v_cndmask_b32_e64 v53, 0, v53, s[34:35]
	v_exp_f32_e32 v49, v49
	v_mul_f32_e32 v46, 0x3fb8aa3b, v46
	v_sub_f32_e32 v47, v47, v41
	v_add_f32_e32 v59, v59, v53
	;; [unrolled: 5-line block ×10, first 2 shown]
	v_cndmask_b32_e64 v42, 0, v42, s[12:13]
	v_exp_f32_e32 v34, v34
	v_mul_f32_e32 v35, 0x3fb8aa3b, v35
	v_add_f32_e32 v59, v59, v42
	v_cndmask_b32_e64 v43, 0, v43, s[14:15]
	v_exp_f32_e32 v35, v35
	v_add_f32_e32 v59, v59, v43
	v_cndmask_b32_e64 v36, 0, v36, s[8:9]
	v_add_f32_e32 v59, v59, v36
	v_cndmask_b32_e64 v37, 0, v37, s[10:11]
	v_add_f32_e32 v59, v59, v37
	v_cndmask_b32_e32 v34, 0, v34, vcc
	v_add_f32_e32 v59, v59, v34
	v_cndmask_b32_e64 v35, 0, v35, s[6:7]
	v_add_f32_e32 v59, v59, v35
	ds_bpermute_b32 v58, v58, v59
	v_cmp_gt_u32_e32 vcc, 16, v57
	s_waitcnt lgkmcnt(0)
	s_barrier
	v_add_f32_e32 v59, v59, v58
	ds_bpermute_b32 v60, v60, v59
	v_lshlrev_b32_e32 v58, 2, v55
	s_and_saveexec_b64 s[4:5], vcc
	s_cbranch_execz .LBB551_15
; %bb.14:
	s_waitcnt lgkmcnt(0)
	v_add_f32_e32 v57, v59, v60
	v_lshl_or_b32 v59, v56, 6, v58
	ds_write2st64_b32 v59, v41, v57 offset1:1
.LBB551_15:
	s_or_b64 exec, exec, s[4:5]
	s_load_dword s6, s[0:1], 0x94
	s_waitcnt lgkmcnt(0)
	s_barrier
	ds_read2_b32 v[60:61], v58 offset1:16
	ds_read2_b32 v[62:63], v58 offset0:32 offset1:48
	ds_read2_b32 v[64:65], v58 offset0:64 offset1:80
	s_movk_i32 s8, 0x7fff
	s_mov_b32 s9, 0x7060302
	s_waitcnt lgkmcnt(2)
	v_max3_f32 v41, v60, s42, v61
	s_waitcnt lgkmcnt(1)
	v_max3_f32 v57, v41, v62, v63
	v_sub_f32_e32 v41, v60, v57
	v_mul_f32_e32 v41, 0x3fb8aa3b, v41
	v_sub_f32_e32 v59, v61, v57
	v_sub_f32_e32 v60, v62, v57
	v_exp_f32_e32 v41, v41
	v_mul_f32_e32 v59, 0x3fb8aa3b, v59
	v_mul_f32_e32 v60, 0x3fb8aa3b, v60
	v_exp_f32_e32 v59, v59
	v_exp_f32_e32 v62, v60
	ds_read2_b32 v[60:61], v58 offset0:96 offset1:112
	v_sub_f32_e32 v58, v63, v57
	v_mul_f32_e32 v58, 0x3fb8aa3b, v58
	v_exp_f32_e32 v63, v58
	s_waitcnt lgkmcnt(1)
	v_fma_f32 v58, v41, v64, 0
	v_fmac_f32_e32 v58, v59, v65
	s_waitcnt lgkmcnt(0)
	v_fmac_f32_e32 v58, v62, v60
	v_fmac_f32_e32 v58, v63, v61
	v_add_f32_e32 v60, 0x358637bd, v58
	v_div_scale_f32 v61, s[4:5], v60, v60, 1.0
	v_rcp_f32_e32 v64, v61
	s_lshl_b32 s7, s33, 4
	s_barrier
	v_fma_f32 v65, -v61, v64, 1.0
	v_fmac_f32_e32 v64, v65, v64
	v_div_scale_f32 v65, vcc, 1.0, v60, 1.0
	v_mul_f32_e32 v66, v65, v64
	v_fma_f32 v67, -v61, v66, v65
	v_fmac_f32_e32 v66, v67, v64
	v_fma_f32 v61, -v61, v66, v65
	v_div_fmas_f32 v61, v61, v64, v66
	v_cmp_eq_u32_e32 vcc, 1, v56
	v_div_fixup_f32 v60, v61, v60, 1.0
	s_nop 0
	v_cndmask_b32_e32 v41, v41, v59, vcc
	v_cmp_eq_u32_e32 vcc, 2, v56
	s_nop 1
	v_cndmask_b32_e32 v41, v41, v62, vcc
	v_cmp_eq_u32_e32 vcc, 3, v56
	s_nop 1
	v_cndmask_b32_e32 v41, v41, v63, vcc
	v_mul_f32_e32 v60, v41, v60
	v_pk_mul_f32 v[52:53], v[60:61], v[52:53] op_sel_hi:[0,1]
	v_bfe_u32 v41, v53, 16, 1
	v_bfe_u32 v59, v52, 16, 1
	v_pk_mul_f32 v[50:51], v[60:61], v[50:51] op_sel_hi:[0,1]
	v_add3_u32 v52, v52, v59, s8
	v_add3_u32 v41, v53, v41, s8
	v_perm_b32 v52, v41, v52, s9
	v_bfe_u32 v41, v51, 16, 1
	v_bfe_u32 v53, v50, 16, 1
	v_add3_u32 v50, v50, v53, s8
	v_add3_u32 v41, v51, v41, s8
	v_perm_b32 v53, v41, v50, s9
	v_lshlrev_b32_e32 v41, 3, v1
	v_lshlrev_b32_e32 v50, 5, v55
	v_lshlrev_b32_e32 v51, 11, v56
	v_pk_mul_f32 v[48:49], v[60:61], v[48:49] op_sel_hi:[0,1]
	v_or3_b32 v50, v51, v50, v41
	v_bfe_u32 v41, v49, 16, 1
	v_bfe_u32 v51, v48, 16, 1
	v_pk_mul_f32 v[46:47], v[60:61], v[46:47] op_sel_hi:[0,1]
	v_add3_u32 v48, v48, v51, s8
	v_add3_u32 v41, v49, v41, s8
	v_perm_b32 v48, v41, v48, s9
	v_bfe_u32 v41, v47, 16, 1
	v_bfe_u32 v49, v46, 16, 1
	v_add3_u32 v46, v46, v49, s8
	v_add3_u32 v41, v47, v41, s8
	v_pk_mul_f32 v[44:45], v[60:61], v[44:45] op_sel_hi:[0,1]
	v_perm_b32 v49, v41, v46, s9
	v_bfe_u32 v41, v45, 16, 1
	v_bfe_u32 v46, v44, 16, 1
	v_pk_mul_f32 v[42:43], v[60:61], v[42:43] op_sel_hi:[0,1]
	v_add3_u32 v44, v44, v46, s8
	v_add3_u32 v41, v45, v41, s8
	v_perm_b32 v44, v41, v44, s9
	v_bfe_u32 v41, v43, 16, 1
	v_bfe_u32 v45, v42, 16, 1
	v_add3_u32 v42, v42, v45, s8
	v_add3_u32 v41, v43, v41, s8
	v_pk_mul_f32 v[36:37], v[60:61], v[36:37] op_sel_hi:[0,1]
	v_perm_b32 v45, v41, v42, s9
	v_bfe_u32 v41, v37, 16, 1
	v_bfe_u32 v42, v36, 16, 1
	v_pk_mul_f32 v[34:35], v[60:61], v[34:35] op_sel_hi:[0,1]
	v_add3_u32 v36, v36, v42, s8
	v_add3_u32 v37, v37, v41, s8
	v_perm_b32 v36, v37, v36, s9
	v_bfe_u32 v37, v35, 16, 1
	v_bfe_u32 v41, v34, 16, 1
	v_add3_u32 v34, v34, v41, s8
	v_add3_u32 v35, v35, v37, s8
	v_perm_b32 v37, v35, v34, s9
	v_cmp_gt_u32_e32 vcc, 16, v0
	ds_write2st64_b64 v50, v[52:53], v[48:49] offset1:1
	ds_write2st64_b64 v50, v[44:45], v[36:37] offset0:2 offset1:3
	s_and_saveexec_b64 s[4:5], vcc
	s_cbranch_execz .LBB551_17
; %bb.16:
	v_mov_b32_e32 v41, 0
	v_mov_b32_e32 v34, s7
	s_mul_i32 s3, s3, s7
	v_mad_u64_u32 v[34:35], s[10:11], s2, v34, v[40:41]
	v_mov_b32_e32 v40, s28
	s_load_dwordx4 s[12:15], s[0:1], 0x58
	v_add_u32_e32 v37, s3, v35
	v_mad_u64_u32 v[34:35], s[10:11], v34, s6, v[40:41]
	v_mov_b32_e32 v36, v35
	v_mad_u64_u32 v[36:37], s[10:11], v37, s6, v[36:37]
	v_mov_b32_e32 v35, v36
	v_lshlrev_b64 v[34:35], 2, v[34:35]
	s_waitcnt lgkmcnt(0)
	v_lshl_add_u64 v[36:37], s[14:15], 0, v[34:35]
	v_lshl_add_u64 v[34:35], s[12:13], 0, v[34:35]
	global_store_dword v[36:37], v57, off
	global_store_dword v[34:35], v58, off
.LBB551_17:
	s_or_b64 exec, exec, s[4:5]
	s_waitcnt lgkmcnt(0)
	s_barrier
	ds_read_b128 v[34:37], v54
	ds_read_b128 v[40:43], v54 offset:16
	s_waitcnt vmcnt(7) lgkmcnt(1)
	v_mfma_f32_16x16x16_bf16 v[44:47], v[6:7], v[34:35], 0
	v_cmp_gt_u32_e32 vcc, 64, v0
	s_mov_b32 s3, 0
	s_and_b64 s[4:5], vcc, s[30:31]
	v_mfma_f32_16x16x16_bf16 v[6:9], v[8:9], v[36:37], v[44:47]
	s_waitcnt vmcnt(6) lgkmcnt(0)
	v_mfma_f32_16x16x16_bf16 v[6:9], v[2:3], v[40:41], v[6:9]
	v_mfma_f32_16x16x16_bf16 v[2:5], v[4:5], v[42:43], v[6:9]
	s_nop 5
	ds_read_b128 v[6:9], v54 offset:2048
	ds_read_b128 v[34:37], v54 offset:2064
	s_waitcnt vmcnt(5) lgkmcnt(1)
	v_mfma_f32_16x16x16_bf16 v[2:5], v[30:31], v[6:7], v[2:5]
	v_mfma_f32_16x16x16_bf16 v[2:5], v[32:33], v[8:9], v[2:5]
	s_waitcnt vmcnt(4) lgkmcnt(0)
	v_mfma_f32_16x16x16_bf16 v[2:5], v[26:27], v[34:35], v[2:5]
	v_mfma_f32_16x16x16_bf16 v[2:5], v[28:29], v[36:37], v[2:5]
	ds_read_b128 v[6:9], v54 offset:4096
	ds_read_b128 v[26:29], v54 offset:4112
	s_waitcnt vmcnt(3) lgkmcnt(1)
	v_mfma_f32_16x16x16_bf16 v[2:5], v[22:23], v[6:7], v[2:5]
	v_mfma_f32_16x16x16_bf16 v[2:5], v[24:25], v[8:9], v[2:5]
	s_waitcnt vmcnt(2) lgkmcnt(0)
	v_mfma_f32_16x16x16_bf16 v[2:5], v[18:19], v[26:27], v[2:5]
	v_mfma_f32_16x16x16_bf16 v[2:5], v[20:21], v[28:29], v[2:5]
	ds_read_b128 v[6:9], v54 offset:6144
	ds_read_b128 v[18:21], v54 offset:6160
	s_waitcnt lgkmcnt(0)
	s_barrier
	s_waitcnt vmcnt(1)
	v_mfma_f32_16x16x16_bf16 v[2:5], v[14:15], v[6:7], v[2:5]
	v_mfma_f32_16x16x16_bf16 v[2:5], v[16:17], v[8:9], v[2:5]
	s_waitcnt vmcnt(0)
	v_mfma_f32_16x16x16_bf16 v[2:5], v[10:11], v[18:19], v[2:5]
	v_mfma_f32_16x16x16_bf16 v[2:5], v[12:13], v[20:21], v[2:5]
	s_nop 6
	v_bfe_u32 v6, v3, 16, 1
	v_bfe_u32 v7, v2, 16, 1
	;; [unrolled: 1-line block ×4, first 2 shown]
	v_add3_u32 v2, v2, v7, s8
	v_add3_u32 v3, v3, v6, s8
	;; [unrolled: 1-line block ×4, first 2 shown]
	v_perm_b32 v2, v3, v2, s9
	v_perm_b32 v3, v5, v4, s9
	ds_write_b64 v50, v[2:3]
	s_waitcnt lgkmcnt(0)
	s_barrier
	s_and_saveexec_b64 s[8:9], s[4:5]
	s_cbranch_execz .LBB551_19
; %bb.18:
	s_load_dwordx2 s[0:1], s[0:1], 0x68
	s_lshl_b32 s6, s6, 6
	s_mul_i32 s2, s7, s2
	s_mul_hi_u32 s5, s2, s6
	s_mul_i32 s4, s2, s6
	s_lshl_b64 s[4:5], s[4:5], 1
	s_waitcnt lgkmcnt(0)
	s_add_u32 s4, s0, s4
	s_addc_u32 s5, s1, s5
	s_lshl_b32 s2, s28, 6
	v_lshlrev_b32_e32 v2, 10, v0
	v_lshlrev_b32_e32 v0, 4, v0
	s_lshl_b64 s[0:1], s[2:3], 1
	v_and_b32_e32 v2, 0x1800, v2
	v_lshlrev_b32_e32 v3, 5, v1
	v_and_b32_e32 v0, 16, v0
	s_add_u32 s0, s4, s0
	v_or3_b32 v0, v2, v3, v0
	s_addc_u32 s1, s5, s1
	v_or_b32_e32 v20, s29, v1
	ds_read_b128 v[2:5], v0
	ds_read_b128 v[6:9], v0 offset:128
	ds_read_b128 v[10:13], v0 offset:256
	;; [unrolled: 1-line block ×3, first 2 shown]
	v_lshl_add_u64 v[18:19], v[38:39], 1, s[0:1]
	v_mad_u64_u32 v[0:1], s[0:1], v20, s6, 0
	v_lshl_add_u64 v[0:1], v[0:1], 1, v[18:19]
	s_waitcnt lgkmcnt(3)
	global_store_dwordx4 v[0:1], v[2:5], off
	v_or_b32_e32 v0, 4, v20
	v_mad_u64_u32 v[0:1], s[0:1], v0, s6, 0
	v_lshl_add_u64 v[0:1], v[0:1], 1, v[18:19]
	s_waitcnt lgkmcnt(2)
	global_store_dwordx4 v[0:1], v[6:9], off
	v_or_b32_e32 v0, 8, v20
	;; [unrolled: 5-line block ×3, first 2 shown]
	v_mad_u64_u32 v[0:1], s[0:1], v0, s6, 0
	v_lshl_add_u64 v[0:1], v[0:1], 1, v[18:19]
	s_waitcnt lgkmcnt(0)
	global_store_dwordx4 v[0:1], v[14:17], off
.LBB551_19:
	s_endpgm
	.section	.rodata,"a",@progbits
	.p2align	6, 0x0
	.amdhsa_kernel _Z39paged_attention_ll4mi_QKV_mfma16_kernelI14__hip_bfloat16S0_LN4vllm18Fp8KVCacheDataTypeE0ES0_Li32ELi64ELi256ELb1ELi16EEvPKT_PKT0_S8_ifPKiSA_SA_iPKfiiiPfSD_PS3_PT2_iSC_SC_
		.amdhsa_group_segment_fixed_size 8192
		.amdhsa_private_segment_fixed_size 0
		.amdhsa_kernarg_size 400
		.amdhsa_user_sgpr_count 2
		.amdhsa_user_sgpr_dispatch_ptr 0
		.amdhsa_user_sgpr_queue_ptr 0
		.amdhsa_user_sgpr_kernarg_segment_ptr 1
		.amdhsa_user_sgpr_dispatch_id 0
		.amdhsa_user_sgpr_kernarg_preload_length 0
		.amdhsa_user_sgpr_kernarg_preload_offset 0
		.amdhsa_user_sgpr_private_segment_size 0
		.amdhsa_uses_dynamic_stack 0
		.amdhsa_enable_private_segment 0
		.amdhsa_system_sgpr_workgroup_id_x 1
		.amdhsa_system_sgpr_workgroup_id_y 1
		.amdhsa_system_sgpr_workgroup_id_z 1
		.amdhsa_system_sgpr_workgroup_info 0
		.amdhsa_system_vgpr_workitem_id 0
		.amdhsa_next_free_vgpr 68
		.amdhsa_next_free_sgpr 48
		.amdhsa_accum_offset 68
		.amdhsa_reserve_vcc 1
		.amdhsa_float_round_mode_32 0
		.amdhsa_float_round_mode_16_64 0
		.amdhsa_float_denorm_mode_32 3
		.amdhsa_float_denorm_mode_16_64 3
		.amdhsa_dx10_clamp 1
		.amdhsa_ieee_mode 1
		.amdhsa_fp16_overflow 0
		.amdhsa_tg_split 0
		.amdhsa_exception_fp_ieee_invalid_op 0
		.amdhsa_exception_fp_denorm_src 0
		.amdhsa_exception_fp_ieee_div_zero 0
		.amdhsa_exception_fp_ieee_overflow 0
		.amdhsa_exception_fp_ieee_underflow 0
		.amdhsa_exception_fp_ieee_inexact 0
		.amdhsa_exception_int_div_zero 0
	.end_amdhsa_kernel
	.section	.text._Z39paged_attention_ll4mi_QKV_mfma16_kernelI14__hip_bfloat16S0_LN4vllm18Fp8KVCacheDataTypeE0ES0_Li32ELi64ELi256ELb1ELi16EEvPKT_PKT0_S8_ifPKiSA_SA_iPKfiiiPfSD_PS3_PT2_iSC_SC_,"axG",@progbits,_Z39paged_attention_ll4mi_QKV_mfma16_kernelI14__hip_bfloat16S0_LN4vllm18Fp8KVCacheDataTypeE0ES0_Li32ELi64ELi256ELb1ELi16EEvPKT_PKT0_S8_ifPKiSA_SA_iPKfiiiPfSD_PS3_PT2_iSC_SC_,comdat
.Lfunc_end551:
	.size	_Z39paged_attention_ll4mi_QKV_mfma16_kernelI14__hip_bfloat16S0_LN4vllm18Fp8KVCacheDataTypeE0ES0_Li32ELi64ELi256ELb1ELi16EEvPKT_PKT0_S8_ifPKiSA_SA_iPKfiiiPfSD_PS3_PT2_iSC_SC_, .Lfunc_end551-_Z39paged_attention_ll4mi_QKV_mfma16_kernelI14__hip_bfloat16S0_LN4vllm18Fp8KVCacheDataTypeE0ES0_Li32ELi64ELi256ELb1ELi16EEvPKT_PKT0_S8_ifPKiSA_SA_iPKfiiiPfSD_PS3_PT2_iSC_SC_
                                        ; -- End function
	.section	.AMDGPU.csdata,"",@progbits
; Kernel info:
; codeLenInByte = 4428
; NumSgprs: 54
; NumVgprs: 68
; NumAgprs: 0
; TotalNumVgprs: 68
; ScratchSize: 0
; MemoryBound: 0
; FloatMode: 240
; IeeeMode: 1
; LDSByteSize: 8192 bytes/workgroup (compile time only)
; SGPRBlocks: 6
; VGPRBlocks: 8
; NumSGPRsForWavesPerEU: 54
; NumVGPRsForWavesPerEU: 68
; AccumOffset: 68
; Occupancy: 7
; WaveLimiterHint : 1
; COMPUTE_PGM_RSRC2:SCRATCH_EN: 0
; COMPUTE_PGM_RSRC2:USER_SGPR: 2
; COMPUTE_PGM_RSRC2:TRAP_HANDLER: 0
; COMPUTE_PGM_RSRC2:TGID_X_EN: 1
; COMPUTE_PGM_RSRC2:TGID_Y_EN: 1
; COMPUTE_PGM_RSRC2:TGID_Z_EN: 1
; COMPUTE_PGM_RSRC2:TIDIG_COMP_CNT: 0
; COMPUTE_PGM_RSRC3_GFX90A:ACCUM_OFFSET: 16
; COMPUTE_PGM_RSRC3_GFX90A:TG_SPLIT: 0
	.section	.text._Z39paged_attention_ll4mi_QKV_mfma16_kernelI14__hip_bfloat16S0_LN4vllm18Fp8KVCacheDataTypeE0ES0_Li32ELi64ELi256ELb1ELi1EEvPKT_PKT0_S8_ifPKiSA_SA_iPKfiiiPfSD_PS3_PT2_iSC_SC_,"axG",@progbits,_Z39paged_attention_ll4mi_QKV_mfma16_kernelI14__hip_bfloat16S0_LN4vllm18Fp8KVCacheDataTypeE0ES0_Li32ELi64ELi256ELb1ELi1EEvPKT_PKT0_S8_ifPKiSA_SA_iPKfiiiPfSD_PS3_PT2_iSC_SC_,comdat
	.protected	_Z39paged_attention_ll4mi_QKV_mfma16_kernelI14__hip_bfloat16S0_LN4vllm18Fp8KVCacheDataTypeE0ES0_Li32ELi64ELi256ELb1ELi1EEvPKT_PKT0_S8_ifPKiSA_SA_iPKfiiiPfSD_PS3_PT2_iSC_SC_ ; -- Begin function _Z39paged_attention_ll4mi_QKV_mfma16_kernelI14__hip_bfloat16S0_LN4vllm18Fp8KVCacheDataTypeE0ES0_Li32ELi64ELi256ELb1ELi1EEvPKT_PKT0_S8_ifPKiSA_SA_iPKfiiiPfSD_PS3_PT2_iSC_SC_
	.globl	_Z39paged_attention_ll4mi_QKV_mfma16_kernelI14__hip_bfloat16S0_LN4vllm18Fp8KVCacheDataTypeE0ES0_Li32ELi64ELi256ELb1ELi1EEvPKT_PKT0_S8_ifPKiSA_SA_iPKfiiiPfSD_PS3_PT2_iSC_SC_
	.p2align	8
	.type	_Z39paged_attention_ll4mi_QKV_mfma16_kernelI14__hip_bfloat16S0_LN4vllm18Fp8KVCacheDataTypeE0ES0_Li32ELi64ELi256ELb1ELi1EEvPKT_PKT0_S8_ifPKiSA_SA_iPKfiiiPfSD_PS3_PT2_iSC_SC_,@function
_Z39paged_attention_ll4mi_QKV_mfma16_kernelI14__hip_bfloat16S0_LN4vllm18Fp8KVCacheDataTypeE0ES0_Li32ELi64ELi256ELb1ELi1EEvPKT_PKT0_S8_ifPKiSA_SA_iPKfiiiPfSD_PS3_PT2_iSC_SC_: ; @_Z39paged_attention_ll4mi_QKV_mfma16_kernelI14__hip_bfloat16S0_LN4vllm18Fp8KVCacheDataTypeE0ES0_Li32ELi64ELi256ELb1ELi1EEvPKT_PKT0_S8_ifPKiSA_SA_iPKfiiiPfSD_PS3_PT2_iSC_SC_
; %bb.0:
	s_load_dwordx2 s[6:7], s[0:1], 0x30
	s_mov_b32 s30, s3
	s_mov_b64 s[10:11], 0
	s_waitcnt lgkmcnt(0)
	s_cmp_lg_u64 s[6:7], 0
	s_cselect_b64 s[8:9], -1, 0
	s_and_b64 vcc, exec, s[8:9]
	s_cbranch_vccz .LBB552_7
; %bb.1:
	s_add_i32 s12, s2, 1
	s_mov_b32 s13, 0
	s_lshl_b64 s[14:15], s[12:13], 2
	s_add_u32 s14, s6, s14
	s_mov_b32 s3, s13
	s_addc_u32 s15, s7, s15
	s_lshl_b64 s[12:13], s[2:3], 2
	s_add_u32 s12, s6, s12
	s_addc_u32 s13, s7, s13
	s_load_dword s5, s[14:15], 0x0
	s_load_dword s16, s[12:13], 0x0
	s_waitcnt lgkmcnt(0)
	s_sub_i32 s5, s5, s16
	s_cmp_eq_u32 s5, 1
	s_cselect_b64 s[12:13], -1, 0
	s_andn2_b64 vcc, exec, s[10:11]
	s_cbranch_vccnz .LBB552_3
.LBB552_2:
	s_mov_b32 s3, 0
	s_mov_b64 s[12:13], -1
.LBB552_3:
	s_andn2_b64 vcc, exec, s[12:13]
	s_cbranch_vccnz .LBB552_21
; %bb.4:
	s_load_dwordx2 s[10:11], s[0:1], 0x28
	s_lshl_b64 s[12:13], s[2:3], 2
	s_waitcnt lgkmcnt(0)
	s_add_u32 s10, s10, s12
	s_addc_u32 s11, s11, s13
	s_load_dword s31, s[10:11], 0x0
	s_lshl_b32 s16, s30, 8
	s_waitcnt lgkmcnt(0)
	s_cmp_ge_i32 s16, s31
	s_cbranch_scc1 .LBB552_21
; %bb.5:
	s_load_dwordx2 s[10:11], s[0:1], 0x20
	s_load_dword s5, s[0:1], 0x38
	s_add_i32 s14, s31, 31
	s_ashr_i32 s15, s14, 31
	v_and_b32_e32 v1, 0xcf, v0
	s_lshr_b32 s15, s15, 27
	v_add_u32_e32 v1, s16, v1
	s_add_i32 s14, s14, s15
	v_ashrrev_i32_e32 v2, 31, v1
	s_ashr_i32 s17, s14, 5
	v_lshrrev_b32_e32 v6, 27, v2
	s_add_i32 s17, s17, -1
	s_waitcnt lgkmcnt(0)
	s_mul_i32 s14, s2, s5
	s_mov_b32 s15, 0
	v_add_u32_e32 v2, v1, v6
	s_lshl_b64 s[14:15], s[14:15], 2
	v_ashrrev_i32_e32 v2, 5, v2
	v_mov_b32_e32 v7, s17
	v_cmp_gt_i32_e32 vcc, s31, v1
	s_add_u32 s10, s10, s14
	s_addc_u32 s11, s11, s15
	v_cndmask_b32_e32 v2, v7, v2, vcc
	v_ashrrev_i32_e32 v3, 31, v2
	v_lshl_add_u64 v[4:5], v[2:3], 2, s[10:11]
	v_or_b32_e32 v2, 16, v1
	v_add_u32_e32 v3, v2, v6
	v_ashrrev_i32_e32 v3, 5, v3
	v_cmp_gt_i32_e32 vcc, s31, v2
	s_nop 1
	v_cndmask_b32_e32 v2, v7, v3, vcc
	v_ashrrev_i32_e32 v3, 31, v2
	v_lshl_add_u64 v[8:9], v[2:3], 2, s[10:11]
	v_or_b32_e32 v2, 32, v1
	v_add_u32_e32 v3, v2, v6
	v_ashrrev_i32_e32 v3, 5, v3
	v_cmp_gt_i32_e32 vcc, s31, v2
	v_or_b32_e32 v1, 48, v1
	s_nop 0
	v_cndmask_b32_e32 v2, v7, v3, vcc
	v_ashrrev_i32_e32 v3, 31, v2
	v_lshl_add_u64 v[12:13], v[2:3], 2, s[10:11]
	v_add_u32_e32 v2, v1, v6
	v_ashrrev_i32_e32 v2, 5, v2
	v_cmp_gt_i32_e32 vcc, s31, v1
	s_nop 1
	v_cndmask_b32_e32 v2, v7, v2, vcc
	v_ashrrev_i32_e32 v3, 31, v2
	v_lshl_add_u64 v[16:17], v[2:3], 2, s[10:11]
	global_load_dword v2, v[4:5], off
	global_load_dword v6, v[8:9], off
	;; [unrolled: 1-line block ×4, first 2 shown]
	s_andn2_b64 vcc, exec, s[8:9]
	s_cbranch_vccnz .LBB552_8
; %bb.6:
	s_add_u32 s6, s6, s12
	s_addc_u32 s7, s7, s13
	s_load_dword s5, s[6:7], 0x0
	s_branch .LBB552_9
.LBB552_7:
	s_mov_b64 s[12:13], 0
	s_branch .LBB552_2
.LBB552_8:
	s_mov_b32 s5, s2
.LBB552_9:
	s_load_dwordx2 s[14:15], s[0:1], 0x8
	s_load_dwordx4 s[44:47], s[0:1], 0x48
	v_lshrrev_b32_e32 v52, 6, v0
	v_bfe_u32 v1, v0, 4, 2
	v_lshl_or_b32 v3, v52, 2, v1
	v_and_b32_e32 v53, 15, v0
	v_cmp_ne_u32_e32 vcc, 0, v3
	v_cmp_lt_u32_e64 s[8:9], 7, v53
	v_lshlrev_b32_e32 v42, 3, v53
	v_cmp_gt_u32_e64 s[6:7], 8, v53
	s_or_b64 s[8:9], s[8:9], vcc
	s_and_saveexec_b64 s[12:13], s[8:9]
	s_xor_b64 s[8:9], exec, s[12:13]
; %bb.10:
	v_mov_b32_e32 v43, 0
; %bb.11:
	s_or_saveexec_b64 s[12:13], s[8:9]
	s_load_dwordx2 s[8:9], s[0:1], 0x10
	s_xor_b64 exec, exec, s[12:13]
	s_cbranch_execz .LBB552_13
; %bb.12:
	s_load_dwordx2 s[18:19], s[0:1], 0x0
	s_waitcnt lgkmcnt(0)
	s_ashr_i32 s20, s44, 31
	s_mul_hi_u32 s21, s5, s44
	s_mul_i32 s20, s5, s20
	s_add_i32 s21, s21, s20
	s_mul_i32 s20, s5, s44
	s_lshl_b64 s[20:21], s[20:21], 1
	s_add_u32 s5, s18, s20
	s_addc_u32 s20, s19, s21
	s_lshl_b32 s18, s4, 6
	s_ashr_i32 s19, s18, 31
	s_lshl_b64 s[18:19], s[18:19], 1
	s_add_u32 s18, s5, s18
	s_addc_u32 s19, s20, s19
	v_lshlrev_b32_e32 v3, 1, v42
	global_load_dwordx4 v[16:19], v3, s[18:19]
	v_and_b32_e32 v3, 3, v0
	v_lshlrev_b32_e32 v4, 9, v53
	v_lshlrev_b32_e32 v3, 9, v3
	s_movk_i32 s5, 0x1800
	v_mov_b32_e32 v43, 0
	v_and_or_b32 v3, v4, s5, v3
	s_waitcnt vmcnt(0)
	ds_write_b128 v3, v[16:19]
.LBB552_13:
	s_or_b64 exec, exec, s[12:13]
	s_waitcnt lgkmcnt(0)
	s_mul_i32 s12, s4, s46
	s_mov_b32 s13, 0
	s_lshl_b64 s[12:13], s[12:13], 1
	s_add_u32 s14, s14, s12
	s_addc_u32 s15, s15, s13
	s_waitcnt vmcnt(3)
	v_mad_i64_i32 v[2:3], s[18:19], v2, s45, 0
	v_lshl_add_u64 v[2:3], v[2:3], 1, s[14:15]
	v_lshlrev_b64 v[12:13], 1, v[42:43]
	v_lshlrev_b32_e32 v44, 9, v1
	v_lshl_add_u64 v[2:3], v[2:3], 0, v[12:13]
	v_mov_b32_e32 v45, 0
	v_lshl_add_u64 v[8:9], v[2:3], 0, v[44:45]
	s_barrier
	global_load_dwordx4 v[22:25], v[8:9], off
	global_load_dwordx4 v[2:5], v[8:9], off offset:2048
	s_waitcnt vmcnt(4)
	v_mad_i64_i32 v[6:7], s[18:19], v6, s45, 0
	v_mov_b32_e32 v8, 0x100
	v_lshl_add_u64 v[6:7], v[6:7], 1, s[14:15]
	v_lshl_or_b32 v16, v53, 4, v8
	v_mov_b32_e32 v17, v45
	s_waitcnt vmcnt(3)
	v_mad_i64_i32 v[10:11], s[18:19], v10, s45, 0
	v_lshl_add_u64 v[6:7], v[6:7], 0, v[16:17]
	v_lshl_add_u64 v[10:11], v[10:11], 1, s[14:15]
	s_waitcnt vmcnt(2)
	v_mad_i64_i32 v[14:15], s[18:19], v14, s45, 0
	v_lshl_add_u64 v[18:19], v[6:7], 0, v[44:45]
	v_lshl_add_u64 v[10:11], v[10:11], 0, v[12:13]
	;; [unrolled: 1-line block ×3, first 2 shown]
	global_load_dwordx4 v[26:29], v[18:19], off
	global_load_dwordx4 v[6:9], v[18:19], off offset:2048
	v_lshl_add_u64 v[18:19], v[10:11], 0, v[44:45]
	v_lshl_add_u64 v[14:15], v[14:15], 0, v[16:17]
	global_load_dwordx4 v[30:33], v[18:19], off
	global_load_dwordx4 v[10:13], v[18:19], off offset:2048
	v_lshl_add_u64 v[18:19], v[14:15], 0, v[44:45]
	global_load_dwordx4 v[34:37], v[18:19], off
	global_load_dwordx4 v[14:17], v[18:19], off offset:2048
	ds_read_b128 v[38:41], v44
	ds_read_b128 v[18:21], v44 offset:2048
	v_and_b32_e32 v54, 63, v0
	v_cmp_eq_u32_e32 vcc, 0, v53
	v_mov_b32_e32 v48, 0
	s_and_saveexec_b64 s[14:15], vcc
	s_cbranch_execz .LBB552_15
; %bb.14:
	s_load_dwordx2 s[18:19], s[0:1], 0x40
	s_ashr_i32 s5, s4, 31
	s_lshl_b64 s[20:21], s[4:5], 2
	s_waitcnt lgkmcnt(0)
	s_add_u32 s18, s18, s20
	s_addc_u32 s19, s19, s21
	s_load_dword s5, s[18:19], 0x0
	s_waitcnt lgkmcnt(0)
	v_mov_b32_e32 v48, s5
.LBB552_15:
	s_or_b64 exec, exec, s[14:15]
	s_ashr_i32 s5, s16, 31
	v_and_or_b32 v44, v0, 48, s16
	s_lshr_b32 s5, s5, 27
	v_add_u32_e32 v46, s5, v44
	v_or_b32_e32 v50, 64, v44
	v_ashrrev_i32_e32 v46, 5, v46
	v_mov_b32_e32 v49, s17
	v_cmp_gt_i32_e32 vcc, s31, v44
	v_add_u32_e32 v51, s5, v50
	s_waitcnt vmcnt(7) lgkmcnt(1)
	v_mfma_f32_16x16x16_bf16 v[56:59], v[22:23], v[38:39], 0
	v_cndmask_b32_e32 v46, v49, v46, vcc
	v_ashrrev_i32_e32 v22, 5, v51
	v_cmp_gt_i32_e32 vcc, s31, v50
	v_ashrrev_i32_e32 v47, 31, v46
	v_lshl_add_u64 v[46:47], v[46:47], 2, s[10:11]
	v_cndmask_b32_e32 v22, v49, v22, vcc
	v_ashrrev_i32_e32 v23, 31, v22
	v_lshl_add_u64 v[22:23], v[22:23], 2, s[10:11]
	global_load_dword v55, v[46:47], off
	global_load_dword v72, v[22:23], off
	s_waitcnt vmcnt(3)
	v_mfma_f32_16x16x16_bf16 v[68:71], v[34:35], v[38:39], 0
	v_or_b32_e32 v46, 0xc0, v44
	v_add_u32_e32 v50, s5, v46
	s_add_u32 s8, s8, s12
	v_mfma_f32_16x16x16_bf16 v[60:63], v[26:27], v[38:39], 0
	s_addc_u32 s9, s9, s13
	s_load_dword s14, s[0:1], 0x1c
	v_mfma_f32_16x16x16_bf16 v[64:67], v[30:31], v[38:39], 0
	v_and_b32_e32 v31, 0xc0, v0
	v_or_b32_e32 v38, 0x80, v44
	v_add_u32_e32 v34, s16, v31
	v_mfma_f32_16x16x16_bf16 v[22:25], v[24:25], v[40:41], v[56:59]
	v_and_b32_e32 v30, 16, v0
	v_add_u32_e32 v47, s5, v38
	v_lshlrev_b32_e32 v44, 1, v30
	v_lshl_or_b32 v56, v1, 2, v34
	v_mfma_f32_16x16x16_bf16 v[34:37], v[36:37], v[40:41], v[68:71]
	v_cmp_gt_i32_e32 vcc, s31, v38
	v_lshlrev_b32_e32 v39, 6, v53
	v_or_b32_e32 v57, 1, v56
	v_mfma_f32_16x16x16_bf16 v[26:29], v[28:29], v[40:41], v[60:63]
	v_cmp_gt_i32_e64 s[34:35], s31, v56
	v_cmp_gt_i32_e64 s[36:37], s31, v57
	s_mov_b32 s5, 0xff7fffff
	v_mfma_f32_16x16x16_bf16 v[30:33], v[32:33], v[40:41], v[64:67]
	v_ashrrev_i32_e32 v40, 5, v47
	v_ashrrev_i32_e32 v41, 5, v50
	v_cndmask_b32_e32 v38, v49, v40, vcc
	v_cmp_gt_i32_e32 vcc, s31, v46
	s_waitcnt lgkmcnt(0)
	v_mfma_f32_16x16x16_bf16 v[22:25], v[2:3], v[18:19], v[22:25]
	v_lshl_add_u64 v[2:3], s[8:9], 0, v[44:45]
	v_cndmask_b32_e32 v40, v49, v41, vcc
	v_lshl_or_b32 v44, v52, 10, v39
	v_ashrrev_i32_e32 v39, 31, v38
	v_ashrrev_i32_e32 v41, 31, v40
	s_waitcnt vmcnt(2)
	v_mfma_f32_16x16x16_bf16 v[34:37], v[14:15], v[18:19], v[34:37]
	v_lshl_add_u64 v[14:15], v[38:39], 2, s[10:11]
	v_subrev_u32_e32 v49, s31, v57
	v_cvt_f32_i32_e32 v58, v49
	v_mfma_f32_16x16x16_bf16 v[26:29], v[6:7], v[18:19], v[26:29]
	v_mfma_f32_16x16x16_bf16 v[30:33], v[10:11], v[18:19], v[30:33]
	v_lshl_add_u64 v[18:19], v[40:41], 2, s[10:11]
	global_load_dword v59, v[14:15], off
	global_load_dword v60, v[18:19], off
	v_lshl_add_u64 v[10:11], v[2:3], 0, v[44:45]
	v_mfma_f32_16x16x16_bf16 v[2:5], v[4:5], v[20:21], v[22:25]
	v_add_u32_e32 v44, 1, v49
	v_add_u32_e32 v45, 3, v49
	;; [unrolled: 1-line block ×3, first 2 shown]
	v_mfma_f32_16x16x16_bf16 v[14:17], v[16:17], v[20:21], v[34:37]
	v_add_u32_e32 v22, 2, v49
	s_nop 1
	v_pk_mul_f32 v[50:51], s[14:15], v[4:5] op_sel_hi:[0,1]
	v_cvt_f32_i32_e32 v18, v18
	v_mfma_f32_16x16x16_bf16 v[6:9], v[8:9], v[20:21], v[26:29]
	v_add_u32_e32 v19, 19, v49
	v_pk_mul_f32 v[34:35], s[14:15], v[16:17] op_sel_hi:[0,1]
	v_pk_mul_f32 v[36:37], s[14:15], v[14:15] op_sel_hi:[0,1]
	v_cvt_f32_i32_e32 v27, v22
	v_mfma_f32_16x16x16_bf16 v[22:25], v[12:13], v[20:21], v[30:33]
	v_pk_mul_f32 v[12:13], s[14:15], v[2:3] op_sel_hi:[0,1]
	v_cvt_f32_i32_e32 v26, v44
	v_cvt_f32_i32_e32 v28, v45
	v_pk_mul_f32 v[44:45], s[14:15], v[8:9] op_sel_hi:[0,1]
	v_pk_mul_f32 v[46:47], s[14:15], v[6:7] op_sel_hi:[0,1]
	v_cvt_f32_i32_e32 v19, v19
	v_fma_f32 v44, v48, v18, v44
	v_add_u32_e32 v18, 34, v49
	v_cvt_f32_i32_e32 v18, v18
	v_fmac_f32_e32 v45, v48, v19
	v_add_u32_e32 v19, 35, v49
	v_cvt_f32_i32_e32 v19, v19
	v_pk_mul_f32 v[40:41], s[14:15], v[22:23] op_sel_hi:[0,1]
	v_pk_mul_f32 v[38:39], s[14:15], v[24:25] op_sel_hi:[0,1]
	v_fma_f32 v38, v48, v18, v38
	v_add_u32_e32 v18, 50, v49
	s_waitcnt vmcnt(3)
	v_mad_i64_i32 v[2:3], s[8:9], v55, s45, 0
	s_waitcnt vmcnt(2)
	v_mad_i64_i32 v[4:5], s[8:9], v72, s45, 0
	v_lshl_add_u64 v[16:17], v[2:3], 1, v[10:11]
	v_lshl_add_u64 v[14:15], v[4:5], 1, v[10:11]
	global_load_dwordx4 v[6:9], v[16:17], off
	global_load_dwordx4 v[2:5], v[16:17], off offset:16
	v_add_u32_e32 v16, 16, v49
	v_cvt_f32_i32_e32 v16, v16
	v_add_u32_e32 v17, 17, v49
	v_cvt_f32_i32_e32 v17, v17
	v_fmac_f32_e32 v39, v48, v19
	v_fma_f32 v46, v48, v16, v46
	v_add_u32_e32 v16, 32, v49
	v_fmac_f32_e32 v47, v48, v17
	v_cvt_f32_i32_e32 v16, v16
	v_add_u32_e32 v17, 33, v49
	v_cvt_f32_i32_e32 v17, v17
	v_cvt_f32_i32_e32 v18, v18
	v_fma_f32 v40, v48, v16, v40
	v_add_u32_e32 v16, 48, v49
	v_fmac_f32_e32 v41, v48, v17
	v_cvt_f32_i32_e32 v16, v16
	v_add_u32_e32 v17, 49, v49
	v_cvt_f32_i32_e32 v17, v17
	v_add_u32_e32 v19, 51, v49
	v_cvt_f32_i32_e32 v19, v19
	v_fma_f32 v12, v48, v58, v12
	v_fmac_f32_e32 v13, v48, v26
	v_fma_f32 v36, v48, v16, v36
	v_mov_b32_e32 v16, 0xff7fffff
	v_fmac_f32_e32 v37, v48, v17
	v_fma_f32 v34, v48, v18, v34
	v_cndmask_b32_e64 v17, v16, v12, s[34:35]
	v_cndmask_b32_e64 v18, v16, v13, s[36:37]
	v_fmac_f32_e32 v35, v48, v19
	v_max3_f32 v17, v17, s5, v18
	v_or_b32_e32 v18, 2, v56
	v_or_b32_e32 v19, 3, v56
	v_fma_f32 v50, v48, v27, v50
	v_fmac_f32_e32 v51, v48, v28
	v_cmp_gt_i32_e64 s[38:39], s31, v18
	v_cmp_gt_i32_e64 s[40:41], s31, v19
	global_load_dwordx4 v[30:33], v[14:15], off
	global_load_dwordx4 v[26:29], v[14:15], off offset:16
	v_cndmask_b32_e64 v18, v16, v50, s[38:39]
	v_cndmask_b32_e64 v19, v16, v51, s[40:41]
	v_max3_f32 v17, v17, v18, v19
	v_or_b32_e32 v18, 16, v56
	v_or_b32_e32 v19, 17, v56
	v_cmp_gt_i32_e64 s[26:27], s31, v18
	v_cmp_gt_i32_e64 s[28:29], s31, v19
	s_nop 0
	v_cndmask_b32_e64 v18, v16, v46, s[26:27]
	v_cndmask_b32_e64 v19, v16, v47, s[28:29]
	v_max3_f32 v17, v17, v18, v19
	v_or_b32_e32 v18, 18, v56
	v_or_b32_e32 v19, 19, v56
	v_cmp_gt_i32_e64 s[22:23], s31, v18
	v_cmp_gt_i32_e64 s[24:25], s31, v19
	s_nop 0
	;; [unrolled: 8-line block ×5, first 2 shown]
	v_cndmask_b32_e64 v18, v16, v36, s[10:11]
	v_cndmask_b32_e64 v19, v16, v37, s[12:13]
	v_max3_f32 v17, v17, v18, v19
	v_or_b32_e32 v18, 50, v56
	v_or_b32_e32 v19, 51, v56
	v_cmp_gt_i32_e32 vcc, s31, v18
	v_cmp_gt_i32_e64 s[8:9], s31, v19
	s_nop 0
	v_cndmask_b32_e32 v18, v16, v34, vcc
	v_cndmask_b32_e64 v16, v16, v35, s[8:9]
	v_max3_f32 v16, v17, v18, v16
	v_mbcnt_lo_u32_b32 v17, -1, 0
	v_mbcnt_hi_u32_b32 v17, -1, v17
	v_and_b32_e32 v18, 64, v17
	v_add_u32_e32 v18, 64, v18
	v_xor_b32_e32 v19, 32, v17
	v_cmp_lt_i32_e64 s[42:43], v19, v18
	s_nop 1
	v_cndmask_b32_e64 v19, v17, v19, s[42:43]
	v_lshlrev_b32_e32 v56, 2, v19
	ds_bpermute_b32 v19, v56, v16
	s_waitcnt vmcnt(5)
	v_mad_i64_i32 v[14:15], s[42:43], v59, s45, 0
	v_lshl_add_u64 v[14:15], v[14:15], 1, v[10:11]
	s_waitcnt lgkmcnt(0)
	v_max_f32_e32 v19, v19, v19
	v_max_f32_e32 v16, v16, v19
	v_xor_b32_e32 v19, 16, v17
	v_cmp_lt_i32_e64 s[42:43], v19, v18
	s_nop 1
	v_cndmask_b32_e64 v17, v17, v19, s[42:43]
	v_lshlrev_b32_e32 v58, 2, v17
	ds_bpermute_b32 v17, v58, v16
	global_load_dwordx4 v[22:25], v[14:15], off
	global_load_dwordx4 v[18:21], v[14:15], off offset:16
	s_waitcnt vmcnt(6)
	v_mad_i64_i32 v[14:15], s[42:43], v60, s45, 0
	v_lshl_add_u64 v[10:11], v[14:15], 1, v[10:11]
	s_waitcnt lgkmcnt(0)
	v_max_f32_e32 v14, v17, v17
	v_max_f32_e32 v55, v16, v14
	v_sub_f32_e32 v12, v12, v55
	v_mul_f32_e32 v12, 0x3fb8aa3b, v12
	v_exp_f32_e32 v48, v12
	v_sub_f32_e32 v12, v13, v55
	v_mul_f32_e32 v12, 0x3fb8aa3b, v12
	v_exp_f32_e32 v49, v12
	global_load_dwordx4 v[14:17], v[10:11], off
	s_nop 0
	global_load_dwordx4 v[10:13], v[10:11], off offset:16
	v_sub_f32_e32 v50, v50, v55
	v_mul_f32_e32 v50, 0x3fb8aa3b, v50
	v_sub_f32_e32 v51, v51, v55
	v_exp_f32_e32 v50, v50
	v_mul_f32_e32 v51, 0x3fb8aa3b, v51
	v_sub_f32_e32 v46, v46, v55
	v_exp_f32_e32 v51, v51
	v_mul_f32_e32 v46, 0x3fb8aa3b, v46
	v_sub_f32_e32 v47, v47, v55
	v_cndmask_b32_e64 v48, 0, v48, s[34:35]
	v_exp_f32_e32 v46, v46
	v_mul_f32_e32 v47, 0x3fb8aa3b, v47
	v_sub_f32_e32 v44, v44, v55
	v_add_f32_e32 v57, 0, v48
	v_cndmask_b32_e64 v49, 0, v49, s[36:37]
	v_exp_f32_e32 v47, v47
	v_mul_f32_e32 v44, 0x3fb8aa3b, v44
	v_sub_f32_e32 v45, v45, v55
	v_add_f32_e32 v57, v57, v49
	;; [unrolled: 5-line block ×10, first 2 shown]
	v_cndmask_b32_e64 v38, 0, v38, s[14:15]
	v_exp_f32_e32 v34, v34
	v_mul_f32_e32 v35, 0x3fb8aa3b, v35
	v_add_f32_e32 v57, v57, v38
	v_cndmask_b32_e64 v39, 0, v39, s[16:17]
	v_exp_f32_e32 v35, v35
	v_add_f32_e32 v57, v57, v39
	v_cndmask_b32_e64 v36, 0, v36, s[10:11]
	v_add_f32_e32 v57, v57, v36
	v_cndmask_b32_e64 v37, 0, v37, s[12:13]
	v_add_f32_e32 v57, v57, v37
	v_cndmask_b32_e32 v34, 0, v34, vcc
	v_add_f32_e32 v57, v57, v34
	v_cndmask_b32_e64 v35, 0, v35, s[8:9]
	v_add_f32_e32 v57, v57, v35
	ds_bpermute_b32 v56, v56, v57
	v_cmp_gt_u32_e64 s[8:9], 16, v54
	s_waitcnt lgkmcnt(0)
	s_barrier
	v_add_f32_e32 v57, v57, v56
	ds_bpermute_b32 v58, v58, v57
	v_lshlrev_b32_e32 v56, 2, v53
	s_and_saveexec_b64 s[10:11], s[8:9]
	s_cbranch_execz .LBB552_17
; %bb.16:
	s_waitcnt lgkmcnt(0)
	v_add_f32_e32 v54, v57, v58
	v_lshl_or_b32 v57, v52, 6, v56
	ds_write2st64_b32 v57, v55, v54 offset1:1
.LBB552_17:
	s_or_b64 exec, exec, s[10:11]
	s_load_dwordx2 s[10:11], s[0:1], 0x94
	s_waitcnt lgkmcnt(0)
	s_barrier
	ds_read2_b32 v[58:59], v56 offset1:16
	ds_read2_b32 v[60:61], v56 offset0:32 offset1:48
	ds_read2_b32 v[62:63], v56 offset0:64 offset1:80
	;; [unrolled: 1-line block ×3, first 2 shown]
	s_mov_b32 s14, 0x7060302
	s_waitcnt lgkmcnt(3)
	v_max3_f32 v54, v58, s5, v59
	s_waitcnt lgkmcnt(2)
	v_max3_f32 v54, v54, v60, v61
	v_sub_f32_e32 v55, v58, v54
	v_mul_f32_e32 v55, 0x3fb8aa3b, v55
	v_exp_f32_e32 v58, v55
	v_sub_f32_e32 v55, v59, v54
	v_mul_f32_e32 v55, 0x3fb8aa3b, v55
	v_exp_f32_e32 v59, v55
	;; [unrolled: 3-line block ×4, first 2 shown]
	s_waitcnt lgkmcnt(1)
	v_fma_f32 v55, v58, v62, 0
	v_fmac_f32_e32 v55, v59, v63
	s_waitcnt lgkmcnt(0)
	v_fmac_f32_e32 v55, v60, v56
	v_fmac_f32_e32 v55, v61, v57
	v_add_f32_e32 v57, 0x358637bd, v55
	v_div_scale_f32 v62, s[12:13], v57, v57, 1.0
	v_rcp_f32_e32 v63, v62
	s_movk_i32 s5, 0x7fff
	v_mov_b32_e32 v56, 0
	v_fma_f32 v64, -v62, v63, 1.0
	v_fmac_f32_e32 v63, v64, v63
	v_div_scale_f32 v64, vcc, 1.0, v57, 1.0
	v_mul_f32_e32 v65, v64, v63
	v_fma_f32 v66, -v62, v65, v64
	v_fmac_f32_e32 v65, v66, v63
	v_fma_f32 v62, -v62, v65, v64
	v_div_fmas_f32 v62, v62, v63, v65
	v_cmp_eq_u32_e32 vcc, 1, v52
	v_div_fixup_f32 v57, v62, v57, 1.0
	s_barrier
	v_cndmask_b32_e32 v58, v58, v59, vcc
	v_cmp_eq_u32_e32 vcc, 2, v52
	s_nop 1
	v_cndmask_b32_e32 v58, v58, v60, vcc
	v_cmp_eq_u32_e32 vcc, 3, v52
	s_nop 1
	v_cndmask_b32_e32 v58, v58, v61, vcc
	v_mul_f32_e32 v58, v58, v57
	v_pk_mul_f32 v[48:49], v[58:59], v[48:49] op_sel_hi:[0,1]
	v_pk_mul_f32 v[50:51], v[58:59], v[50:51] op_sel_hi:[0,1]
	v_bfe_u32 v57, v49, 16, 1
	v_bfe_u32 v59, v48, 16, 1
	v_add3_u32 v48, v48, v59, s5
	v_add3_u32 v49, v49, v57, s5
	v_perm_b32 v60, v49, v48, s14
	v_bfe_u32 v48, v51, 16, 1
	v_bfe_u32 v49, v50, 16, 1
	v_add3_u32 v49, v50, v49, s5
	v_add3_u32 v48, v51, v48, s5
	v_perm_b32 v61, v48, v49, s14
	v_lshlrev_b32_e32 v48, 3, v1
	v_lshlrev_b32_e32 v49, 5, v53
	;; [unrolled: 1-line block ×3, first 2 shown]
	v_pk_mul_f32 v[46:47], v[58:59], v[46:47] op_sel_hi:[0,1]
	v_or3_b32 v48, v50, v49, v48
	v_bfe_u32 v50, v47, 16, 1
	v_bfe_u32 v51, v46, 16, 1
	v_pk_mul_f32 v[44:45], v[58:59], v[44:45] op_sel_hi:[0,1]
	v_add3_u32 v46, v46, v51, s5
	v_add3_u32 v47, v47, v50, s5
	v_perm_b32 v46, v47, v46, s14
	v_bfe_u32 v47, v45, 16, 1
	v_bfe_u32 v50, v44, 16, 1
	v_add3_u32 v44, v44, v50, s5
	v_add3_u32 v45, v45, v47, s5
	v_pk_mul_f32 v[40:41], v[58:59], v[40:41] op_sel_hi:[0,1]
	v_perm_b32 v47, v45, v44, s14
	v_bfe_u32 v44, v41, 16, 1
	v_bfe_u32 v45, v40, 16, 1
	v_pk_mul_f32 v[38:39], v[58:59], v[38:39] op_sel_hi:[0,1]
	v_add3_u32 v40, v40, v45, s5
	v_add3_u32 v41, v41, v44, s5
	v_perm_b32 v40, v41, v40, s14
	v_bfe_u32 v41, v39, 16, 1
	v_bfe_u32 v44, v38, 16, 1
	v_add3_u32 v38, v38, v44, s5
	v_add3_u32 v39, v39, v41, s5
	v_pk_mul_f32 v[36:37], v[58:59], v[36:37] op_sel_hi:[0,1]
	v_perm_b32 v41, v39, v38, s14
	v_bfe_u32 v38, v37, 16, 1
	v_bfe_u32 v39, v36, 16, 1
	v_pk_mul_f32 v[34:35], v[58:59], v[34:35] op_sel_hi:[0,1]
	v_add3_u32 v36, v36, v39, s5
	v_add3_u32 v37, v37, v38, s5
	v_perm_b32 v36, v37, v36, s14
	v_bfe_u32 v37, v35, 16, 1
	v_bfe_u32 v38, v34, 16, 1
	v_add3_u32 v34, v34, v38, s5
	v_add3_u32 v35, v35, v37, s5
	v_perm_b32 v37, v35, v34, s14
	v_cmp_eq_u32_e32 vcc, 0, v0
	ds_write2st64_b64 v48, v[60:61], v[46:47] offset1:1
	ds_write2st64_b64 v48, v[40:41], v[36:37] offset0:2 offset1:3
	s_and_saveexec_b64 s[12:13], vcc
	s_cbranch_execz .LBB552_19
; %bb.18:
	s_mul_i32 s3, s3, s11
	s_mul_hi_u32 s15, s2, s11
	s_add_i32 s15, s15, s3
	s_mul_i32 s3, s2, s11
	s_add_u32 s3, s3, s4
	s_addc_u32 s15, s15, 0
	s_load_dwordx4 s[16:19], s[0:1], 0x58
	s_mul_i32 s15, s15, s10
	s_mul_hi_u32 s20, s3, s10
	s_add_i32 s15, s20, s15
	s_mul_i32 s3, s3, s10
	s_add_u32 s20, s3, s30
	s_addc_u32 s21, s15, 0
	s_lshl_b64 s[20:21], s[20:21], 2
	s_waitcnt lgkmcnt(0)
	s_add_u32 s18, s18, s20
	s_addc_u32 s19, s19, s21
	s_add_u32 s16, s16, s20
	s_addc_u32 s17, s17, s21
	global_store_dword v56, v54, s[18:19]
	global_store_dword v56, v55, s[16:17]
.LBB552_19:
	s_or_b64 exec, exec, s[12:13]
	v_lshl_or_b32 v49, v1, 9, v49
	s_waitcnt lgkmcnt(0)
	s_barrier
	ds_read_b128 v[34:37], v49
	ds_read_b128 v[38:41], v49 offset:16
	s_waitcnt vmcnt(7) lgkmcnt(1)
	v_mfma_f32_16x16x16_bf16 v[44:47], v[6:7], v[34:35], 0
	v_cmp_gt_u32_e32 vcc, 64, v0
	s_and_b64 s[6:7], s[6:7], vcc
	s_mov_b32 s3, 0
	v_mfma_f32_16x16x16_bf16 v[6:9], v[8:9], v[36:37], v[44:47]
	s_and_b64 s[6:7], s[6:7], s[8:9]
	s_waitcnt vmcnt(6) lgkmcnt(0)
	v_mfma_f32_16x16x16_bf16 v[6:9], v[2:3], v[38:39], v[6:9]
	v_mfma_f32_16x16x16_bf16 v[2:5], v[4:5], v[40:41], v[6:9]
	s_nop 5
	ds_read_b128 v[6:9], v49 offset:2048
	ds_read_b128 v[34:37], v49 offset:2064
	s_waitcnt vmcnt(5) lgkmcnt(1)
	v_mfma_f32_16x16x16_bf16 v[2:5], v[30:31], v[6:7], v[2:5]
	v_mfma_f32_16x16x16_bf16 v[2:5], v[32:33], v[8:9], v[2:5]
	s_waitcnt vmcnt(4) lgkmcnt(0)
	v_mfma_f32_16x16x16_bf16 v[2:5], v[26:27], v[34:35], v[2:5]
	v_mfma_f32_16x16x16_bf16 v[2:5], v[28:29], v[36:37], v[2:5]
	ds_read_b128 v[6:9], v49 offset:4096
	ds_read_b128 v[26:29], v49 offset:4112
	s_waitcnt vmcnt(3) lgkmcnt(1)
	v_mfma_f32_16x16x16_bf16 v[2:5], v[22:23], v[6:7], v[2:5]
	v_mfma_f32_16x16x16_bf16 v[2:5], v[24:25], v[8:9], v[2:5]
	s_waitcnt vmcnt(2) lgkmcnt(0)
	v_mfma_f32_16x16x16_bf16 v[2:5], v[18:19], v[26:27], v[2:5]
	v_mfma_f32_16x16x16_bf16 v[2:5], v[20:21], v[28:29], v[2:5]
	ds_read_b128 v[6:9], v49 offset:6144
	ds_read_b128 v[18:21], v49 offset:6160
	s_waitcnt lgkmcnt(0)
	s_barrier
	s_waitcnt vmcnt(1)
	v_mfma_f32_16x16x16_bf16 v[2:5], v[14:15], v[6:7], v[2:5]
	v_mfma_f32_16x16x16_bf16 v[2:5], v[16:17], v[8:9], v[2:5]
	s_waitcnt vmcnt(0)
	v_mfma_f32_16x16x16_bf16 v[2:5], v[10:11], v[18:19], v[2:5]
	v_mfma_f32_16x16x16_bf16 v[2:5], v[12:13], v[20:21], v[2:5]
	s_nop 6
	v_bfe_u32 v6, v3, 16, 1
	v_bfe_u32 v7, v2, 16, 1
	;; [unrolled: 1-line block ×4, first 2 shown]
	v_add3_u32 v2, v2, v7, s5
	v_add3_u32 v3, v3, v6, s5
	;; [unrolled: 1-line block ×4, first 2 shown]
	v_perm_b32 v2, v3, v2, s14
	v_perm_b32 v3, v5, v4, s14
	ds_write_b64 v48, v[2:3]
	s_waitcnt lgkmcnt(0)
	s_barrier
	s_and_saveexec_b64 s[8:9], s[6:7]
	s_cbranch_execz .LBB552_21
; %bb.20:
	s_load_dwordx2 s[0:1], s[0:1], 0x68
	s_mul_i32 s2, s11, s2
	s_lshl_b32 s5, s10, 6
	s_mul_hi_u32 s7, s2, s5
	s_mul_i32 s6, s2, s5
	s_lshl_b64 s[6:7], s[6:7], 1
	s_waitcnt lgkmcnt(0)
	s_add_u32 s6, s0, s6
	v_lshlrev_b32_e32 v2, 10, v0
	v_lshlrev_b32_e32 v0, 4, v0
	s_addc_u32 s7, s1, s7
	s_lshl_b32 s2, s30, 6
	v_and_b32_e32 v2, 0x1800, v2
	v_lshlrev_b32_e32 v1, 5, v1
	v_and_b32_e32 v0, 16, v0
	s_lshl_b64 s[0:1], s[2:3], 1
	v_or3_b32 v0, v2, v1, v0
	s_add_u32 s2, s6, s0
	ds_read_b128 v[0:3], v0
	s_addc_u32 s3, s7, s1
	s_mul_hi_u32 s1, s5, s4
	s_mul_i32 s0, s5, s4
	s_lshl_b64 s[0:1], s[0:1], 1
	s_add_u32 s0, s2, s0
	s_addc_u32 s1, s3, s1
	v_lshl_add_u64 v[4:5], v[42:43], 1, s[0:1]
	s_waitcnt lgkmcnt(0)
	global_store_dwordx4 v[4:5], v[0:3], off
.LBB552_21:
	s_endpgm
	.section	.rodata,"a",@progbits
	.p2align	6, 0x0
	.amdhsa_kernel _Z39paged_attention_ll4mi_QKV_mfma16_kernelI14__hip_bfloat16S0_LN4vllm18Fp8KVCacheDataTypeE0ES0_Li32ELi64ELi256ELb1ELi1EEvPKT_PKT0_S8_ifPKiSA_SA_iPKfiiiPfSD_PS3_PT2_iSC_SC_
		.amdhsa_group_segment_fixed_size 8192
		.amdhsa_private_segment_fixed_size 0
		.amdhsa_kernarg_size 400
		.amdhsa_user_sgpr_count 2
		.amdhsa_user_sgpr_dispatch_ptr 0
		.amdhsa_user_sgpr_queue_ptr 0
		.amdhsa_user_sgpr_kernarg_segment_ptr 1
		.amdhsa_user_sgpr_dispatch_id 0
		.amdhsa_user_sgpr_kernarg_preload_length 0
		.amdhsa_user_sgpr_kernarg_preload_offset 0
		.amdhsa_user_sgpr_private_segment_size 0
		.amdhsa_uses_dynamic_stack 0
		.amdhsa_enable_private_segment 0
		.amdhsa_system_sgpr_workgroup_id_x 1
		.amdhsa_system_sgpr_workgroup_id_y 1
		.amdhsa_system_sgpr_workgroup_id_z 1
		.amdhsa_system_sgpr_workgroup_info 0
		.amdhsa_system_vgpr_workitem_id 0
		.amdhsa_next_free_vgpr 73
		.amdhsa_next_free_sgpr 48
		.amdhsa_accum_offset 76
		.amdhsa_reserve_vcc 1
		.amdhsa_float_round_mode_32 0
		.amdhsa_float_round_mode_16_64 0
		.amdhsa_float_denorm_mode_32 3
		.amdhsa_float_denorm_mode_16_64 3
		.amdhsa_dx10_clamp 1
		.amdhsa_ieee_mode 1
		.amdhsa_fp16_overflow 0
		.amdhsa_tg_split 0
		.amdhsa_exception_fp_ieee_invalid_op 0
		.amdhsa_exception_fp_denorm_src 0
		.amdhsa_exception_fp_ieee_div_zero 0
		.amdhsa_exception_fp_ieee_overflow 0
		.amdhsa_exception_fp_ieee_underflow 0
		.amdhsa_exception_fp_ieee_inexact 0
		.amdhsa_exception_int_div_zero 0
	.end_amdhsa_kernel
	.section	.text._Z39paged_attention_ll4mi_QKV_mfma16_kernelI14__hip_bfloat16S0_LN4vllm18Fp8KVCacheDataTypeE0ES0_Li32ELi64ELi256ELb1ELi1EEvPKT_PKT0_S8_ifPKiSA_SA_iPKfiiiPfSD_PS3_PT2_iSC_SC_,"axG",@progbits,_Z39paged_attention_ll4mi_QKV_mfma16_kernelI14__hip_bfloat16S0_LN4vllm18Fp8KVCacheDataTypeE0ES0_Li32ELi64ELi256ELb1ELi1EEvPKT_PKT0_S8_ifPKiSA_SA_iPKfiiiPfSD_PS3_PT2_iSC_SC_,comdat
.Lfunc_end552:
	.size	_Z39paged_attention_ll4mi_QKV_mfma16_kernelI14__hip_bfloat16S0_LN4vllm18Fp8KVCacheDataTypeE0ES0_Li32ELi64ELi256ELb1ELi1EEvPKT_PKT0_S8_ifPKiSA_SA_iPKfiiiPfSD_PS3_PT2_iSC_SC_, .Lfunc_end552-_Z39paged_attention_ll4mi_QKV_mfma16_kernelI14__hip_bfloat16S0_LN4vllm18Fp8KVCacheDataTypeE0ES0_Li32ELi64ELi256ELb1ELi1EEvPKT_PKT0_S8_ifPKiSA_SA_iPKfiiiPfSD_PS3_PT2_iSC_SC_
                                        ; -- End function
	.section	.AMDGPU.csdata,"",@progbits
; Kernel info:
; codeLenInByte = 4288
; NumSgprs: 54
; NumVgprs: 73
; NumAgprs: 0
; TotalNumVgprs: 73
; ScratchSize: 0
; MemoryBound: 0
; FloatMode: 240
; IeeeMode: 1
; LDSByteSize: 8192 bytes/workgroup (compile time only)
; SGPRBlocks: 6
; VGPRBlocks: 9
; NumSGPRsForWavesPerEU: 54
; NumVGPRsForWavesPerEU: 73
; AccumOffset: 76
; Occupancy: 6
; WaveLimiterHint : 1
; COMPUTE_PGM_RSRC2:SCRATCH_EN: 0
; COMPUTE_PGM_RSRC2:USER_SGPR: 2
; COMPUTE_PGM_RSRC2:TRAP_HANDLER: 0
; COMPUTE_PGM_RSRC2:TGID_X_EN: 1
; COMPUTE_PGM_RSRC2:TGID_Y_EN: 1
; COMPUTE_PGM_RSRC2:TGID_Z_EN: 1
; COMPUTE_PGM_RSRC2:TIDIG_COMP_CNT: 0
; COMPUTE_PGM_RSRC3_GFX90A:ACCUM_OFFSET: 18
; COMPUTE_PGM_RSRC3_GFX90A:TG_SPLIT: 0
	.section	.text._Z39paged_attention_ll4mi_QKV_mfma16_kernelI14__hip_bfloat16S0_LN4vllm18Fp8KVCacheDataTypeE0ES0_Li32ELi64ELi256ELb1ELi2EEvPKT_PKT0_S8_ifPKiSA_SA_iPKfiiiPfSD_PS3_PT2_iSC_SC_,"axG",@progbits,_Z39paged_attention_ll4mi_QKV_mfma16_kernelI14__hip_bfloat16S0_LN4vllm18Fp8KVCacheDataTypeE0ES0_Li32ELi64ELi256ELb1ELi2EEvPKT_PKT0_S8_ifPKiSA_SA_iPKfiiiPfSD_PS3_PT2_iSC_SC_,comdat
	.protected	_Z39paged_attention_ll4mi_QKV_mfma16_kernelI14__hip_bfloat16S0_LN4vllm18Fp8KVCacheDataTypeE0ES0_Li32ELi64ELi256ELb1ELi2EEvPKT_PKT0_S8_ifPKiSA_SA_iPKfiiiPfSD_PS3_PT2_iSC_SC_ ; -- Begin function _Z39paged_attention_ll4mi_QKV_mfma16_kernelI14__hip_bfloat16S0_LN4vllm18Fp8KVCacheDataTypeE0ES0_Li32ELi64ELi256ELb1ELi2EEvPKT_PKT0_S8_ifPKiSA_SA_iPKfiiiPfSD_PS3_PT2_iSC_SC_
	.globl	_Z39paged_attention_ll4mi_QKV_mfma16_kernelI14__hip_bfloat16S0_LN4vllm18Fp8KVCacheDataTypeE0ES0_Li32ELi64ELi256ELb1ELi2EEvPKT_PKT0_S8_ifPKiSA_SA_iPKfiiiPfSD_PS3_PT2_iSC_SC_
	.p2align	8
	.type	_Z39paged_attention_ll4mi_QKV_mfma16_kernelI14__hip_bfloat16S0_LN4vllm18Fp8KVCacheDataTypeE0ES0_Li32ELi64ELi256ELb1ELi2EEvPKT_PKT0_S8_ifPKiSA_SA_iPKfiiiPfSD_PS3_PT2_iSC_SC_,@function
_Z39paged_attention_ll4mi_QKV_mfma16_kernelI14__hip_bfloat16S0_LN4vllm18Fp8KVCacheDataTypeE0ES0_Li32ELi64ELi256ELb1ELi2EEvPKT_PKT0_S8_ifPKiSA_SA_iPKfiiiPfSD_PS3_PT2_iSC_SC_: ; @_Z39paged_attention_ll4mi_QKV_mfma16_kernelI14__hip_bfloat16S0_LN4vllm18Fp8KVCacheDataTypeE0ES0_Li32ELi64ELi256ELb1ELi2EEvPKT_PKT0_S8_ifPKiSA_SA_iPKfiiiPfSD_PS3_PT2_iSC_SC_
; %bb.0:
	s_load_dwordx2 s[6:7], s[0:1], 0x30
	s_mov_b32 s28, s3
	s_mov_b64 s[8:9], 0
	s_waitcnt lgkmcnt(0)
	s_cmp_lg_u64 s[6:7], 0
	s_cselect_b64 s[10:11], -1, 0
	s_and_b64 vcc, exec, s[10:11]
	s_cbranch_vccz .LBB553_7
; %bb.1:
	s_add_i32 s12, s2, 1
	s_mov_b32 s13, 0
	s_lshl_b64 s[14:15], s[12:13], 2
	s_add_u32 s14, s6, s14
	s_mov_b32 s3, s13
	s_addc_u32 s15, s7, s15
	s_lshl_b64 s[12:13], s[2:3], 2
	s_add_u32 s12, s6, s12
	s_addc_u32 s13, s7, s13
	s_load_dword s5, s[14:15], 0x0
	s_load_dword s16, s[12:13], 0x0
	s_waitcnt lgkmcnt(0)
	s_sub_i32 s5, s5, s16
	s_cmp_eq_u32 s5, 1
	s_cselect_b64 s[12:13], -1, 0
	s_andn2_b64 vcc, exec, s[8:9]
	s_cbranch_vccnz .LBB553_3
.LBB553_2:
	s_mov_b32 s3, 0
	s_mov_b64 s[12:13], -1
.LBB553_3:
	s_andn2_b64 vcc, exec, s[12:13]
	s_cbranch_vccnz .LBB553_21
; %bb.4:
	s_load_dwordx2 s[8:9], s[0:1], 0x28
	s_lshl_b64 s[12:13], s[2:3], 2
	s_waitcnt lgkmcnt(0)
	s_add_u32 s8, s8, s12
	s_addc_u32 s9, s9, s13
	s_load_dword s33, s[8:9], 0x0
	s_lshl_b32 s14, s28, 8
	s_waitcnt lgkmcnt(0)
	s_cmp_ge_i32 s14, s33
	s_cbranch_scc1 .LBB553_21
; %bb.5:
	s_load_dwordx2 s[8:9], s[0:1], 0x20
	s_load_dword s5, s[0:1], 0x38
	s_add_i32 s15, s33, 31
	s_ashr_i32 s16, s15, 31
	v_and_b32_e32 v1, 0xcf, v0
	s_lshr_b32 s16, s16, 27
	v_add_u32_e32 v1, s14, v1
	s_add_i32 s15, s15, s16
	v_ashrrev_i32_e32 v2, 31, v1
	s_ashr_i32 s15, s15, 5
	v_lshrrev_b32_e32 v6, 27, v2
	s_add_i32 s15, s15, -1
	s_waitcnt lgkmcnt(0)
	s_mul_i32 s16, s2, s5
	s_mov_b32 s17, 0
	v_add_u32_e32 v2, v1, v6
	s_lshl_b64 s[16:17], s[16:17], 2
	v_ashrrev_i32_e32 v2, 5, v2
	v_mov_b32_e32 v7, s15
	v_cmp_gt_i32_e32 vcc, s33, v1
	s_add_u32 s8, s8, s16
	s_addc_u32 s9, s9, s17
	v_cndmask_b32_e32 v2, v7, v2, vcc
	v_ashrrev_i32_e32 v3, 31, v2
	v_lshl_add_u64 v[4:5], v[2:3], 2, s[8:9]
	v_or_b32_e32 v2, 16, v1
	v_add_u32_e32 v3, v2, v6
	v_ashrrev_i32_e32 v3, 5, v3
	v_cmp_gt_i32_e32 vcc, s33, v2
	s_nop 1
	v_cndmask_b32_e32 v2, v7, v3, vcc
	v_ashrrev_i32_e32 v3, 31, v2
	v_lshl_add_u64 v[8:9], v[2:3], 2, s[8:9]
	v_or_b32_e32 v2, 32, v1
	v_add_u32_e32 v3, v2, v6
	v_ashrrev_i32_e32 v3, 5, v3
	v_cmp_gt_i32_e32 vcc, s33, v2
	v_or_b32_e32 v1, 48, v1
	s_nop 0
	v_cndmask_b32_e32 v2, v7, v3, vcc
	v_ashrrev_i32_e32 v3, 31, v2
	v_lshl_add_u64 v[12:13], v[2:3], 2, s[8:9]
	v_add_u32_e32 v2, v1, v6
	v_ashrrev_i32_e32 v2, 5, v2
	v_cmp_gt_i32_e32 vcc, s33, v1
	s_nop 1
	v_cndmask_b32_e32 v2, v7, v2, vcc
	v_ashrrev_i32_e32 v3, 31, v2
	v_lshl_add_u64 v[16:17], v[2:3], 2, s[8:9]
	global_load_dword v2, v[4:5], off
	global_load_dword v6, v[8:9], off
	;; [unrolled: 1-line block ×4, first 2 shown]
	s_andn2_b64 vcc, exec, s[10:11]
	s_cbranch_vccnz .LBB553_8
; %bb.6:
	s_add_u32 s6, s6, s12
	s_addc_u32 s7, s7, s13
	s_load_dword s5, s[6:7], 0x0
	s_branch .LBB553_9
.LBB553_7:
	s_mov_b64 s[12:13], 0
	s_branch .LBB553_2
.LBB553_8:
	s_mov_b32 s5, s2
.LBB553_9:
	s_load_dwordx2 s[10:11], s[0:1], 0x8
	s_load_dwordx4 s[44:47], s[0:1], 0x48
	v_lshrrev_b32_e32 v53, 6, v0
	v_bfe_u32 v1, v0, 4, 2
	v_lshl_or_b32 v3, v53, 2, v1
	v_and_b32_e32 v54, 15, v0
	v_cmp_lt_u32_e32 vcc, 1, v3
	v_cmp_lt_u32_e64 s[6:7], 7, v54
	v_lshlrev_b32_e32 v42, 3, v54
	v_cmp_gt_u32_e64 s[30:31], 8, v54
	s_or_b64 s[6:7], s[6:7], vcc
	s_and_saveexec_b64 s[12:13], s[6:7]
	s_xor_b64 s[6:7], exec, s[12:13]
; %bb.10:
	v_mov_b32_e32 v43, 0
                                        ; implicit-def: $vgpr3
; %bb.11:
	s_or_saveexec_b64 s[12:13], s[6:7]
	s_load_dwordx2 s[6:7], s[0:1], 0x10
	s_lshl_b32 s29, s4, 1
	s_xor_b64 exec, exec, s[12:13]
	s_cbranch_execz .LBB553_13
; %bb.12:
	s_load_dwordx2 s[16:17], s[0:1], 0x0
	s_waitcnt lgkmcnt(0)
	s_ashr_i32 s18, s44, 31
	s_mul_hi_u32 s19, s5, s44
	s_mul_i32 s18, s5, s18
	s_add_i32 s19, s19, s18
	s_mul_i32 s18, s5, s44
	s_lshl_b64 s[18:19], s[18:19], 1
	s_add_u32 s16, s16, s18
	v_add_lshl_u32 v4, v1, s29, 6
	s_addc_u32 s17, s17, s19
	v_ashrrev_i32_e32 v5, 31, v4
	v_mov_b32_e32 v43, 0
	v_lshl_add_u64 v[4:5], v[4:5], 1, s[16:17]
	v_lshlrev_b32_e32 v8, 1, v42
	v_mov_b32_e32 v9, v43
	v_lshl_add_u64 v[4:5], v[4:5], 0, v[8:9]
	global_load_dwordx4 v[16:19], v[4:5], off
	v_and_b32_e32 v4, 3, v0
	v_lshlrev_b32_e32 v5, 9, v54
	v_lshlrev_b32_e32 v3, 5, v3
	;; [unrolled: 1-line block ×3, first 2 shown]
	v_and_b32_e32 v5, 0x1800, v5
	v_or3_b32 v3, v5, v4, v3
	s_waitcnt vmcnt(0)
	ds_write_b128 v3, v[16:19]
.LBB553_13:
	s_or_b64 exec, exec, s[12:13]
	s_waitcnt lgkmcnt(0)
	s_mul_i32 s4, s4, s46
	s_mov_b32 s5, 0
	s_lshl_b64 s[4:5], s[4:5], 1
	s_add_u32 s10, s10, s4
	s_addc_u32 s11, s11, s5
	s_waitcnt vmcnt(3)
	v_mad_i64_i32 v[2:3], s[12:13], v2, s45, 0
	v_lshl_add_u64 v[2:3], v[2:3], 1, s[10:11]
	v_lshlrev_b64 v[12:13], 1, v[42:43]
	v_lshlrev_b32_e32 v44, 9, v1
	v_lshl_add_u64 v[2:3], v[2:3], 0, v[12:13]
	v_mov_b32_e32 v45, 0
	v_lshl_add_u64 v[8:9], v[2:3], 0, v[44:45]
	s_barrier
	global_load_dwordx4 v[22:25], v[8:9], off
	global_load_dwordx4 v[2:5], v[8:9], off offset:2048
	s_waitcnt vmcnt(4)
	v_mad_i64_i32 v[6:7], s[12:13], v6, s45, 0
	v_mov_b32_e32 v8, 0x100
	v_lshl_add_u64 v[6:7], v[6:7], 1, s[10:11]
	v_lshl_or_b32 v16, v54, 4, v8
	v_mov_b32_e32 v17, v45
	s_waitcnt vmcnt(3)
	v_mad_i64_i32 v[10:11], s[12:13], v10, s45, 0
	v_lshl_add_u64 v[6:7], v[6:7], 0, v[16:17]
	v_lshl_add_u64 v[10:11], v[10:11], 1, s[10:11]
	s_waitcnt vmcnt(2)
	v_mad_i64_i32 v[14:15], s[12:13], v14, s45, 0
	v_lshl_add_u64 v[18:19], v[6:7], 0, v[44:45]
	v_lshl_add_u64 v[10:11], v[10:11], 0, v[12:13]
	;; [unrolled: 1-line block ×3, first 2 shown]
	global_load_dwordx4 v[26:29], v[18:19], off
	global_load_dwordx4 v[6:9], v[18:19], off offset:2048
	v_lshl_add_u64 v[18:19], v[10:11], 0, v[44:45]
	v_lshl_add_u64 v[14:15], v[14:15], 0, v[16:17]
	global_load_dwordx4 v[30:33], v[18:19], off
	global_load_dwordx4 v[10:13], v[18:19], off offset:2048
	v_lshl_add_u64 v[18:19], v[14:15], 0, v[44:45]
	global_load_dwordx4 v[34:37], v[18:19], off
	global_load_dwordx4 v[14:17], v[18:19], off offset:2048
	v_and_b32_e32 v18, 1, v0
	v_lshl_or_b32 v18, v18, 5, v44
	ds_read_b128 v[38:41], v18
	ds_read_b128 v[18:21], v18 offset:2048
	v_and_b32_e32 v52, 63, v0
	v_cmp_gt_u32_e32 vcc, 2, v54
	v_mov_b32_e32 v48, 0
	s_and_saveexec_b64 s[10:11], vcc
	s_cbranch_execz .LBB553_15
; %bb.14:
	s_load_dwordx2 s[12:13], s[0:1], 0x40
	v_or_b32_e32 v46, s29, v54
	v_ashrrev_i32_e32 v47, 31, v46
	s_waitcnt lgkmcnt(0)
	v_lshl_add_u64 v[46:47], v[46:47], 2, s[12:13]
	global_load_dword v48, v[46:47], off
.LBB553_15:
	s_or_b64 exec, exec, s[10:11]
	s_ashr_i32 s10, s14, 31
	v_and_or_b32 v44, v0, 48, s14
	s_lshr_b32 s11, s10, 27
	v_add_u32_e32 v46, s11, v44
	v_or_b32_e32 v50, 64, v44
	v_ashrrev_i32_e32 v46, 5, v46
	v_mov_b32_e32 v49, s15
	v_cmp_gt_i32_e32 vcc, s33, v44
	v_add_u32_e32 v51, s11, v50
	s_waitcnt vmcnt(7) lgkmcnt(1)
	v_mfma_f32_16x16x16_bf16 v[56:59], v[22:23], v[38:39], 0
	v_cndmask_b32_e32 v46, v49, v46, vcc
	v_ashrrev_i32_e32 v22, 5, v51
	v_cmp_gt_i32_e32 vcc, s33, v50
	v_ashrrev_i32_e32 v47, 31, v46
	v_lshl_add_u64 v[46:47], v[46:47], 2, s[8:9]
	v_cndmask_b32_e32 v22, v49, v22, vcc
	v_ashrrev_i32_e32 v23, 31, v22
	v_lshl_add_u64 v[22:23], v[22:23], 2, s[8:9]
	global_load_dword v55, v[46:47], off
	global_load_dword v72, v[22:23], off
	s_waitcnt vmcnt(3)
	v_mfma_f32_16x16x16_bf16 v[68:71], v[34:35], v[38:39], 0
	v_or_b32_e32 v46, 0xc0, v44
	v_add_u32_e32 v50, s11, v46
	s_add_u32 s4, s6, s4
	v_mfma_f32_16x16x16_bf16 v[60:63], v[26:27], v[38:39], 0
	s_addc_u32 s5, s7, s5
	s_load_dword s10, s[0:1], 0x1c
	s_mov_b32 s42, 0xff7fffff
	v_mfma_f32_16x16x16_bf16 v[64:67], v[30:31], v[38:39], 0
	v_and_b32_e32 v31, 0xc0, v0
	v_or_b32_e32 v38, 0x80, v44
	v_add_u32_e32 v34, s14, v31
	v_mfma_f32_16x16x16_bf16 v[22:25], v[24:25], v[40:41], v[56:59]
	v_and_b32_e32 v30, 16, v0
	v_add_u32_e32 v47, s11, v38
	v_lshlrev_b32_e32 v44, 1, v30
	v_lshl_or_b32 v56, v1, 2, v34
	v_mfma_f32_16x16x16_bf16 v[34:37], v[36:37], v[40:41], v[68:71]
	v_cmp_gt_i32_e32 vcc, s33, v38
	v_lshlrev_b32_e32 v39, 6, v54
	v_or_b32_e32 v57, 1, v56
	v_mfma_f32_16x16x16_bf16 v[26:29], v[28:29], v[40:41], v[60:63]
	v_cmp_gt_i32_e64 s[34:35], s33, v57
	v_mfma_f32_16x16x16_bf16 v[30:33], v[32:33], v[40:41], v[64:67]
	v_ashrrev_i32_e32 v40, 5, v47
	v_ashrrev_i32_e32 v41, 5, v50
	v_cndmask_b32_e32 v38, v49, v40, vcc
	v_cmp_gt_i32_e32 vcc, s33, v46
	s_waitcnt lgkmcnt(0)
	v_mfma_f32_16x16x16_bf16 v[22:25], v[2:3], v[18:19], v[22:25]
	v_lshl_add_u64 v[2:3], s[4:5], 0, v[44:45]
	v_cndmask_b32_e32 v40, v49, v41, vcc
	v_lshl_or_b32 v44, v53, 10, v39
	v_ashrrev_i32_e32 v39, 31, v38
	v_ashrrev_i32_e32 v41, 31, v40
	s_waitcnt vmcnt(2)
	v_mfma_f32_16x16x16_bf16 v[34:37], v[14:15], v[18:19], v[34:37]
	v_lshl_add_u64 v[14:15], v[38:39], 2, s[8:9]
	v_subrev_u32_e32 v49, s33, v57
	v_cvt_f32_i32_e32 v58, v49
	v_mfma_f32_16x16x16_bf16 v[26:29], v[6:7], v[18:19], v[26:29]
	v_mfma_f32_16x16x16_bf16 v[30:33], v[10:11], v[18:19], v[30:33]
	v_lshl_add_u64 v[18:19], v[40:41], 2, s[8:9]
	global_load_dword v59, v[14:15], off
	global_load_dword v60, v[18:19], off
	v_lshl_add_u64 v[10:11], v[2:3], 0, v[44:45]
	v_mfma_f32_16x16x16_bf16 v[2:5], v[4:5], v[20:21], v[22:25]
	v_add_u32_e32 v44, 1, v49
	v_add_u32_e32 v45, 3, v49
	;; [unrolled: 1-line block ×3, first 2 shown]
	v_mfma_f32_16x16x16_bf16 v[14:17], v[16:17], v[20:21], v[34:37]
	v_add_u32_e32 v22, 2, v49
	s_nop 1
	v_pk_mul_f32 v[50:51], s[10:11], v[4:5] op_sel_hi:[0,1]
	v_cvt_f32_i32_e32 v18, v18
	v_mfma_f32_16x16x16_bf16 v[6:9], v[8:9], v[20:21], v[26:29]
	v_add_u32_e32 v19, 19, v49
	v_pk_mul_f32 v[34:35], s[10:11], v[16:17] op_sel_hi:[0,1]
	v_pk_mul_f32 v[36:37], s[10:11], v[14:15] op_sel_hi:[0,1]
	v_cvt_f32_i32_e32 v27, v22
	v_mfma_f32_16x16x16_bf16 v[22:25], v[12:13], v[20:21], v[30:33]
	v_pk_mul_f32 v[12:13], s[10:11], v[2:3] op_sel_hi:[0,1]
	v_cvt_f32_i32_e32 v26, v44
	v_cvt_f32_i32_e32 v28, v45
	v_pk_mul_f32 v[44:45], s[10:11], v[8:9] op_sel_hi:[0,1]
	v_pk_mul_f32 v[46:47], s[10:11], v[6:7] op_sel_hi:[0,1]
	v_cvt_f32_i32_e32 v19, v19
	v_fma_f32 v44, v48, v18, v44
	v_add_u32_e32 v18, 34, v49
	v_cvt_f32_i32_e32 v18, v18
	v_fmac_f32_e32 v45, v48, v19
	v_add_u32_e32 v19, 35, v49
	v_cvt_f32_i32_e32 v19, v19
	v_pk_mul_f32 v[40:41], s[10:11], v[22:23] op_sel_hi:[0,1]
	v_pk_mul_f32 v[38:39], s[10:11], v[24:25] op_sel_hi:[0,1]
	v_fma_f32 v38, v48, v18, v38
	v_add_u32_e32 v18, 50, v49
	s_waitcnt vmcnt(3)
	v_mad_i64_i32 v[2:3], s[4:5], v55, s45, 0
	s_waitcnt vmcnt(2)
	v_mad_i64_i32 v[4:5], s[4:5], v72, s45, 0
	v_lshl_add_u64 v[16:17], v[2:3], 1, v[10:11]
	v_lshl_add_u64 v[14:15], v[4:5], 1, v[10:11]
	global_load_dwordx4 v[6:9], v[16:17], off
	global_load_dwordx4 v[2:5], v[16:17], off offset:16
	v_add_u32_e32 v16, 16, v49
	v_cvt_f32_i32_e32 v16, v16
	v_add_u32_e32 v17, 17, v49
	v_cvt_f32_i32_e32 v17, v17
	v_fmac_f32_e32 v39, v48, v19
	v_fma_f32 v46, v48, v16, v46
	v_add_u32_e32 v16, 32, v49
	v_fmac_f32_e32 v47, v48, v17
	v_cvt_f32_i32_e32 v16, v16
	v_add_u32_e32 v17, 33, v49
	v_cvt_f32_i32_e32 v17, v17
	v_cvt_f32_i32_e32 v18, v18
	v_fma_f32 v40, v48, v16, v40
	v_add_u32_e32 v16, 48, v49
	v_fmac_f32_e32 v41, v48, v17
	v_cvt_f32_i32_e32 v16, v16
	v_add_u32_e32 v17, 49, v49
	v_cvt_f32_i32_e32 v17, v17
	v_add_u32_e32 v19, 51, v49
	v_cvt_f32_i32_e32 v19, v19
	v_fma_f32 v12, v48, v58, v12
	v_fmac_f32_e32 v13, v48, v26
	v_fma_f32 v36, v48, v16, v36
	v_mov_b32_e32 v16, 0xff7fffff
	v_cmp_gt_i32_e64 s[4:5], s33, v56
	v_fmac_f32_e32 v37, v48, v17
	v_fma_f32 v34, v48, v18, v34
	v_cndmask_b32_e64 v17, v16, v12, s[4:5]
	v_cndmask_b32_e64 v18, v16, v13, s[34:35]
	v_fmac_f32_e32 v35, v48, v19
	v_max3_f32 v17, v17, s42, v18
	v_or_b32_e32 v18, 2, v56
	v_or_b32_e32 v19, 3, v56
	v_fma_f32 v50, v48, v27, v50
	v_fmac_f32_e32 v51, v48, v28
	v_cmp_gt_i32_e64 s[36:37], s33, v18
	v_cmp_gt_i32_e64 s[38:39], s33, v19
	global_load_dwordx4 v[30:33], v[14:15], off
	global_load_dwordx4 v[26:29], v[14:15], off offset:16
	v_cndmask_b32_e64 v18, v16, v50, s[36:37]
	v_cndmask_b32_e64 v19, v16, v51, s[38:39]
	v_max3_f32 v17, v17, v18, v19
	v_or_b32_e32 v18, 16, v56
	v_or_b32_e32 v19, 17, v56
	v_cmp_gt_i32_e64 s[24:25], s33, v18
	v_cmp_gt_i32_e64 s[26:27], s33, v19
	s_nop 0
	v_cndmask_b32_e64 v18, v16, v46, s[24:25]
	v_cndmask_b32_e64 v19, v16, v47, s[26:27]
	v_max3_f32 v17, v17, v18, v19
	v_or_b32_e32 v18, 18, v56
	v_or_b32_e32 v19, 19, v56
	v_cmp_gt_i32_e64 s[20:21], s33, v18
	v_cmp_gt_i32_e64 s[22:23], s33, v19
	s_nop 0
	;; [unrolled: 8-line block ×5, first 2 shown]
	v_cndmask_b32_e64 v18, v16, v36, s[8:9]
	v_cndmask_b32_e64 v19, v16, v37, s[10:11]
	v_max3_f32 v17, v17, v18, v19
	v_or_b32_e32 v18, 50, v56
	v_or_b32_e32 v19, 51, v56
	v_cmp_gt_i32_e32 vcc, s33, v18
	v_cmp_gt_i32_e64 s[6:7], s33, v19
	s_nop 0
	v_cndmask_b32_e32 v18, v16, v34, vcc
	v_cndmask_b32_e64 v16, v16, v35, s[6:7]
	v_max3_f32 v16, v17, v18, v16
	v_mbcnt_lo_u32_b32 v17, -1, 0
	v_mbcnt_hi_u32_b32 v17, -1, v17
	v_and_b32_e32 v18, 64, v17
	v_add_u32_e32 v18, 64, v18
	v_xor_b32_e32 v19, 32, v17
	v_cmp_lt_i32_e64 s[40:41], v19, v18
	s_nop 1
	v_cndmask_b32_e64 v19, v17, v19, s[40:41]
	v_lshlrev_b32_e32 v56, 2, v19
	ds_bpermute_b32 v19, v56, v16
	s_waitcnt vmcnt(5)
	v_mad_i64_i32 v[14:15], s[40:41], v59, s45, 0
	v_lshl_add_u64 v[14:15], v[14:15], 1, v[10:11]
	s_waitcnt lgkmcnt(0)
	v_max_f32_e32 v19, v19, v19
	v_max_f32_e32 v16, v16, v19
	v_xor_b32_e32 v19, 16, v17
	v_cmp_lt_i32_e64 s[40:41], v19, v18
	s_nop 1
	v_cndmask_b32_e64 v17, v17, v19, s[40:41]
	v_lshlrev_b32_e32 v58, 2, v17
	ds_bpermute_b32 v17, v58, v16
	global_load_dwordx4 v[22:25], v[14:15], off
	global_load_dwordx4 v[18:21], v[14:15], off offset:16
	s_waitcnt vmcnt(6)
	v_mad_i64_i32 v[14:15], s[40:41], v60, s45, 0
	v_lshl_add_u64 v[10:11], v[14:15], 1, v[10:11]
	s_waitcnt lgkmcnt(0)
	v_max_f32_e32 v14, v17, v17
	v_max_f32_e32 v55, v16, v14
	v_sub_f32_e32 v12, v12, v55
	v_mul_f32_e32 v12, 0x3fb8aa3b, v12
	v_exp_f32_e32 v48, v12
	v_sub_f32_e32 v12, v13, v55
	v_mul_f32_e32 v12, 0x3fb8aa3b, v12
	v_exp_f32_e32 v49, v12
	global_load_dwordx4 v[14:17], v[10:11], off
	s_nop 0
	global_load_dwordx4 v[10:13], v[10:11], off offset:16
	v_sub_f32_e32 v50, v50, v55
	v_mul_f32_e32 v50, 0x3fb8aa3b, v50
	v_sub_f32_e32 v51, v51, v55
	v_exp_f32_e32 v50, v50
	v_mul_f32_e32 v51, 0x3fb8aa3b, v51
	v_sub_f32_e32 v46, v46, v55
	v_exp_f32_e32 v51, v51
	v_mul_f32_e32 v46, 0x3fb8aa3b, v46
	v_sub_f32_e32 v47, v47, v55
	v_cndmask_b32_e64 v48, 0, v48, s[4:5]
	v_exp_f32_e32 v46, v46
	v_mul_f32_e32 v47, 0x3fb8aa3b, v47
	v_sub_f32_e32 v44, v44, v55
	v_add_f32_e32 v57, 0, v48
	v_cndmask_b32_e64 v49, 0, v49, s[34:35]
	v_exp_f32_e32 v47, v47
	v_mul_f32_e32 v44, 0x3fb8aa3b, v44
	v_sub_f32_e32 v45, v45, v55
	v_add_f32_e32 v57, v57, v49
	;; [unrolled: 5-line block ×10, first 2 shown]
	v_cndmask_b32_e64 v38, 0, v38, s[12:13]
	v_exp_f32_e32 v34, v34
	v_mul_f32_e32 v35, 0x3fb8aa3b, v35
	v_add_f32_e32 v57, v57, v38
	v_cndmask_b32_e64 v39, 0, v39, s[14:15]
	v_exp_f32_e32 v35, v35
	v_add_f32_e32 v57, v57, v39
	v_cndmask_b32_e64 v36, 0, v36, s[8:9]
	v_add_f32_e32 v57, v57, v36
	v_cndmask_b32_e64 v37, 0, v37, s[10:11]
	v_add_f32_e32 v57, v57, v37
	v_cndmask_b32_e32 v34, 0, v34, vcc
	v_add_f32_e32 v57, v57, v34
	v_cndmask_b32_e64 v35, 0, v35, s[6:7]
	v_add_f32_e32 v57, v57, v35
	ds_bpermute_b32 v56, v56, v57
	s_load_dword s7, s[0:1], 0x98
	v_cmp_gt_u32_e32 vcc, 16, v52
	s_waitcnt lgkmcnt(0)
	s_barrier
	v_add_f32_e32 v57, v57, v56
	ds_bpermute_b32 v58, v58, v57
	v_lshlrev_b32_e32 v56, 2, v54
	s_waitcnt lgkmcnt(0)
	s_and_saveexec_b64 s[4:5], vcc
	s_cbranch_execz .LBB553_17
; %bb.16:
	v_add_f32_e32 v57, v57, v58
	v_lshl_or_b32 v58, v53, 6, v56
	ds_write2st64_b32 v58, v55, v57 offset1:1
.LBB553_17:
	s_or_b64 exec, exec, s[4:5]
	s_load_dword s6, s[0:1], 0x94
	s_waitcnt lgkmcnt(0)
	s_barrier
	ds_read2_b32 v[58:59], v56 offset1:16
	ds_read2_b32 v[60:61], v56 offset0:32 offset1:48
	ds_read2_b32 v[62:63], v56 offset0:64 offset1:80
	s_movk_i32 s8, 0x7fff
	s_mov_b32 s9, 0x7060302
	s_waitcnt lgkmcnt(2)
	v_max3_f32 v55, v58, s42, v59
	s_waitcnt lgkmcnt(1)
	v_max3_f32 v55, v55, v60, v61
	v_sub_f32_e32 v57, v58, v55
	v_sub_f32_e32 v58, v59, v55
	v_mul_f32_e32 v58, 0x3fb8aa3b, v58
	v_mul_f32_e32 v57, 0x3fb8aa3b, v57
	v_exp_f32_e32 v64, v58
	v_sub_f32_e32 v58, v60, v55
	v_exp_f32_e32 v57, v57
	v_mul_f32_e32 v58, 0x3fb8aa3b, v58
	v_exp_f32_e32 v60, v58
	ds_read2_b32 v[58:59], v56 offset0:96 offset1:112
	v_sub_f32_e32 v56, v61, v55
	v_mul_f32_e32 v56, 0x3fb8aa3b, v56
	v_exp_f32_e32 v61, v56
	s_waitcnt lgkmcnt(1)
	v_fma_f32 v56, v57, v62, 0
	v_fmac_f32_e32 v56, v64, v63
	s_waitcnt lgkmcnt(0)
	v_fmac_f32_e32 v56, v60, v58
	v_fmac_f32_e32 v56, v61, v59
	v_add_f32_e32 v58, 0x358637bd, v56
	v_div_scale_f32 v59, s[4:5], v58, v58, 1.0
	v_rcp_f32_e32 v62, v59
	s_lshl_b32 s7, s7, 1
	s_barrier
	v_fma_f32 v63, -v59, v62, 1.0
	v_fmac_f32_e32 v62, v63, v62
	v_div_scale_f32 v63, vcc, 1.0, v58, 1.0
	v_mul_f32_e32 v65, v63, v62
	v_fma_f32 v66, -v59, v65, v63
	v_fmac_f32_e32 v65, v66, v62
	v_fma_f32 v59, -v59, v65, v63
	v_div_fmas_f32 v59, v59, v62, v65
	v_cmp_eq_u32_e32 vcc, 1, v53
	v_div_fixup_f32 v58, v59, v58, 1.0
	s_nop 0
	v_cndmask_b32_e32 v57, v57, v64, vcc
	v_cmp_eq_u32_e32 vcc, 2, v53
	s_nop 1
	v_cndmask_b32_e32 v57, v57, v60, vcc
	v_cmp_eq_u32_e32 vcc, 3, v53
	s_nop 1
	v_cndmask_b32_e32 v57, v57, v61, vcc
	v_mul_f32_e32 v58, v57, v58
	v_pk_mul_f32 v[48:49], v[58:59], v[48:49] op_sel_hi:[0,1]
	v_pk_mul_f32 v[50:51], v[58:59], v[50:51] op_sel_hi:[0,1]
	v_bfe_u32 v57, v49, 16, 1
	v_bfe_u32 v59, v48, 16, 1
	v_add3_u32 v48, v48, v59, s8
	v_add3_u32 v49, v49, v57, s8
	v_perm_b32 v60, v49, v48, s9
	v_bfe_u32 v48, v51, 16, 1
	v_bfe_u32 v49, v50, 16, 1
	v_add3_u32 v49, v50, v49, s8
	v_add3_u32 v48, v51, v48, s8
	v_perm_b32 v61, v48, v49, s9
	v_lshlrev_b32_e32 v48, 3, v1
	v_lshlrev_b32_e32 v49, 5, v54
	;; [unrolled: 1-line block ×3, first 2 shown]
	v_pk_mul_f32 v[46:47], v[58:59], v[46:47] op_sel_hi:[0,1]
	v_or3_b32 v48, v50, v49, v48
	v_bfe_u32 v50, v47, 16, 1
	v_bfe_u32 v51, v46, 16, 1
	v_pk_mul_f32 v[44:45], v[58:59], v[44:45] op_sel_hi:[0,1]
	v_add3_u32 v46, v46, v51, s8
	v_add3_u32 v47, v47, v50, s8
	v_perm_b32 v46, v47, v46, s9
	v_bfe_u32 v47, v45, 16, 1
	v_bfe_u32 v50, v44, 16, 1
	v_add3_u32 v44, v44, v50, s8
	v_add3_u32 v45, v45, v47, s8
	v_pk_mul_f32 v[40:41], v[58:59], v[40:41] op_sel_hi:[0,1]
	v_perm_b32 v47, v45, v44, s9
	v_bfe_u32 v44, v41, 16, 1
	v_bfe_u32 v45, v40, 16, 1
	v_pk_mul_f32 v[38:39], v[58:59], v[38:39] op_sel_hi:[0,1]
	v_add3_u32 v40, v40, v45, s8
	v_add3_u32 v41, v41, v44, s8
	v_perm_b32 v40, v41, v40, s9
	v_bfe_u32 v41, v39, 16, 1
	v_bfe_u32 v44, v38, 16, 1
	v_add3_u32 v38, v38, v44, s8
	v_add3_u32 v39, v39, v41, s8
	v_pk_mul_f32 v[36:37], v[58:59], v[36:37] op_sel_hi:[0,1]
	v_perm_b32 v41, v39, v38, s9
	v_bfe_u32 v38, v37, 16, 1
	v_bfe_u32 v39, v36, 16, 1
	v_pk_mul_f32 v[34:35], v[58:59], v[34:35] op_sel_hi:[0,1]
	v_add3_u32 v36, v36, v39, s8
	v_add3_u32 v37, v37, v38, s8
	v_perm_b32 v36, v37, v36, s9
	v_bfe_u32 v37, v35, 16, 1
	v_bfe_u32 v38, v34, 16, 1
	v_add3_u32 v34, v34, v38, s8
	v_add3_u32 v35, v35, v37, s8
	v_perm_b32 v37, v35, v34, s9
	v_cmp_gt_u32_e32 vcc, 2, v0
	ds_write2st64_b64 v48, v[60:61], v[46:47] offset1:1
	ds_write2st64_b64 v48, v[40:41], v[36:37] offset0:2 offset1:3
	s_and_saveexec_b64 s[4:5], vcc
	s_cbranch_execz .LBB553_19
; %bb.18:
	v_or_b32_e32 v34, s29, v0
	v_mov_b32_e32 v35, 0
	v_mov_b32_e32 v36, s7
	v_mad_u64_u32 v[36:37], s[10:11], s2, v36, v[34:35]
	v_mov_b32_e32 v34, s28
	s_load_dwordx4 s[12:15], s[0:1], 0x58
	s_mul_i32 s3, s3, s7
	v_mad_u64_u32 v[34:35], s[10:11], v36, s6, v[34:35]
	v_add_u32_e32 v37, s3, v37
	v_mov_b32_e32 v36, v35
	v_mad_u64_u32 v[36:37], s[10:11], v37, s6, v[36:37]
	v_mov_b32_e32 v35, v36
	v_lshlrev_b64 v[34:35], 2, v[34:35]
	s_waitcnt lgkmcnt(0)
	v_lshl_add_u64 v[36:37], s[14:15], 0, v[34:35]
	v_lshl_add_u64 v[34:35], s[12:13], 0, v[34:35]
	global_store_dword v[36:37], v55, off
	global_store_dword v[34:35], v56, off
.LBB553_19:
	s_or_b64 exec, exec, s[4:5]
	v_lshl_or_b32 v49, v1, 9, v49
	s_waitcnt lgkmcnt(0)
	s_barrier
	ds_read_b128 v[34:37], v49
	ds_read_b128 v[38:41], v49 offset:16
	s_waitcnt vmcnt(7) lgkmcnt(1)
	v_mfma_f32_16x16x16_bf16 v[44:47], v[6:7], v[34:35], 0
	v_cmp_gt_u32_e32 vcc, 64, v0
	v_cmp_gt_u32_e64 s[4:5], 32, v52
	s_and_b64 s[4:5], s[4:5], vcc
	v_mfma_f32_16x16x16_bf16 v[6:9], v[8:9], v[36:37], v[44:47]
	s_mov_b32 s3, 0
	s_and_b64 s[4:5], s[4:5], s[30:31]
	s_waitcnt vmcnt(6) lgkmcnt(0)
	v_mfma_f32_16x16x16_bf16 v[6:9], v[2:3], v[38:39], v[6:9]
	v_mfma_f32_16x16x16_bf16 v[2:5], v[4:5], v[40:41], v[6:9]
	s_nop 5
	ds_read_b128 v[6:9], v49 offset:2048
	ds_read_b128 v[34:37], v49 offset:2064
	s_waitcnt vmcnt(5) lgkmcnt(1)
	v_mfma_f32_16x16x16_bf16 v[2:5], v[30:31], v[6:7], v[2:5]
	v_mfma_f32_16x16x16_bf16 v[2:5], v[32:33], v[8:9], v[2:5]
	s_waitcnt vmcnt(4) lgkmcnt(0)
	v_mfma_f32_16x16x16_bf16 v[2:5], v[26:27], v[34:35], v[2:5]
	v_mfma_f32_16x16x16_bf16 v[2:5], v[28:29], v[36:37], v[2:5]
	ds_read_b128 v[6:9], v49 offset:4096
	ds_read_b128 v[26:29], v49 offset:4112
	s_waitcnt vmcnt(3) lgkmcnt(1)
	v_mfma_f32_16x16x16_bf16 v[2:5], v[22:23], v[6:7], v[2:5]
	v_mfma_f32_16x16x16_bf16 v[2:5], v[24:25], v[8:9], v[2:5]
	s_waitcnt vmcnt(2) lgkmcnt(0)
	v_mfma_f32_16x16x16_bf16 v[2:5], v[18:19], v[26:27], v[2:5]
	v_mfma_f32_16x16x16_bf16 v[2:5], v[20:21], v[28:29], v[2:5]
	ds_read_b128 v[6:9], v49 offset:6144
	ds_read_b128 v[18:21], v49 offset:6160
	s_waitcnt lgkmcnt(0)
	s_barrier
	s_waitcnt vmcnt(1)
	v_mfma_f32_16x16x16_bf16 v[2:5], v[14:15], v[6:7], v[2:5]
	v_mfma_f32_16x16x16_bf16 v[2:5], v[16:17], v[8:9], v[2:5]
	s_waitcnt vmcnt(0)
	v_mfma_f32_16x16x16_bf16 v[2:5], v[10:11], v[18:19], v[2:5]
	v_mfma_f32_16x16x16_bf16 v[2:5], v[12:13], v[20:21], v[2:5]
	s_nop 6
	v_bfe_u32 v6, v3, 16, 1
	v_bfe_u32 v7, v2, 16, 1
	;; [unrolled: 1-line block ×4, first 2 shown]
	v_add3_u32 v2, v2, v7, s8
	v_add3_u32 v3, v3, v6, s8
	;; [unrolled: 1-line block ×4, first 2 shown]
	v_perm_b32 v2, v3, v2, s9
	v_perm_b32 v3, v5, v4, s9
	ds_write_b64 v48, v[2:3]
	s_waitcnt lgkmcnt(0)
	s_barrier
	s_and_saveexec_b64 s[8:9], s[4:5]
	s_cbranch_execz .LBB553_21
; %bb.20:
	s_load_dwordx2 s[0:1], s[0:1], 0x68
	s_mul_i32 s2, s7, s2
	s_lshl_b32 s6, s6, 6
	s_mul_hi_u32 s5, s2, s6
	s_mul_i32 s4, s2, s6
	v_lshlrev_b32_e32 v2, 10, v0
	v_lshlrev_b32_e32 v0, 4, v0
	s_lshl_b64 s[4:5], s[4:5], 1
	v_and_b32_e32 v2, 0x1800, v2
	v_lshlrev_b32_e32 v3, 5, v1
	v_and_b32_e32 v0, 16, v0
	s_waitcnt lgkmcnt(0)
	s_add_u32 s4, s0, s4
	v_or3_b32 v0, v2, v3, v0
	s_addc_u32 s5, s1, s5
	s_lshl_b32 s2, s28, 6
	ds_read_b128 v[2:5], v0
	s_lshl_b64 s[0:1], s[2:3], 1
	s_add_u32 s0, s4, s0
	v_or_b32_e32 v0, s29, v1
	s_addc_u32 s1, s5, s1
	v_mad_u64_u32 v[0:1], s[2:3], s6, v0, 0
	v_lshl_add_u64 v[0:1], v[0:1], 1, s[0:1]
	v_lshl_add_u64 v[0:1], v[42:43], 1, v[0:1]
	s_waitcnt lgkmcnt(0)
	global_store_dwordx4 v[0:1], v[2:5], off
.LBB553_21:
	s_endpgm
	.section	.rodata,"a",@progbits
	.p2align	6, 0x0
	.amdhsa_kernel _Z39paged_attention_ll4mi_QKV_mfma16_kernelI14__hip_bfloat16S0_LN4vllm18Fp8KVCacheDataTypeE0ES0_Li32ELi64ELi256ELb1ELi2EEvPKT_PKT0_S8_ifPKiSA_SA_iPKfiiiPfSD_PS3_PT2_iSC_SC_
		.amdhsa_group_segment_fixed_size 8192
		.amdhsa_private_segment_fixed_size 0
		.amdhsa_kernarg_size 400
		.amdhsa_user_sgpr_count 2
		.amdhsa_user_sgpr_dispatch_ptr 0
		.amdhsa_user_sgpr_queue_ptr 0
		.amdhsa_user_sgpr_kernarg_segment_ptr 1
		.amdhsa_user_sgpr_dispatch_id 0
		.amdhsa_user_sgpr_kernarg_preload_length 0
		.amdhsa_user_sgpr_kernarg_preload_offset 0
		.amdhsa_user_sgpr_private_segment_size 0
		.amdhsa_uses_dynamic_stack 0
		.amdhsa_enable_private_segment 0
		.amdhsa_system_sgpr_workgroup_id_x 1
		.amdhsa_system_sgpr_workgroup_id_y 1
		.amdhsa_system_sgpr_workgroup_id_z 1
		.amdhsa_system_sgpr_workgroup_info 0
		.amdhsa_system_vgpr_workitem_id 0
		.amdhsa_next_free_vgpr 73
		.amdhsa_next_free_sgpr 48
		.amdhsa_accum_offset 76
		.amdhsa_reserve_vcc 1
		.amdhsa_float_round_mode_32 0
		.amdhsa_float_round_mode_16_64 0
		.amdhsa_float_denorm_mode_32 3
		.amdhsa_float_denorm_mode_16_64 3
		.amdhsa_dx10_clamp 1
		.amdhsa_ieee_mode 1
		.amdhsa_fp16_overflow 0
		.amdhsa_tg_split 0
		.amdhsa_exception_fp_ieee_invalid_op 0
		.amdhsa_exception_fp_denorm_src 0
		.amdhsa_exception_fp_ieee_div_zero 0
		.amdhsa_exception_fp_ieee_overflow 0
		.amdhsa_exception_fp_ieee_underflow 0
		.amdhsa_exception_fp_ieee_inexact 0
		.amdhsa_exception_int_div_zero 0
	.end_amdhsa_kernel
	.section	.text._Z39paged_attention_ll4mi_QKV_mfma16_kernelI14__hip_bfloat16S0_LN4vllm18Fp8KVCacheDataTypeE0ES0_Li32ELi64ELi256ELb1ELi2EEvPKT_PKT0_S8_ifPKiSA_SA_iPKfiiiPfSD_PS3_PT2_iSC_SC_,"axG",@progbits,_Z39paged_attention_ll4mi_QKV_mfma16_kernelI14__hip_bfloat16S0_LN4vllm18Fp8KVCacheDataTypeE0ES0_Li32ELi64ELi256ELb1ELi2EEvPKT_PKT0_S8_ifPKiSA_SA_iPKfiiiPfSD_PS3_PT2_iSC_SC_,comdat
.Lfunc_end553:
	.size	_Z39paged_attention_ll4mi_QKV_mfma16_kernelI14__hip_bfloat16S0_LN4vllm18Fp8KVCacheDataTypeE0ES0_Li32ELi64ELi256ELb1ELi2EEvPKT_PKT0_S8_ifPKiSA_SA_iPKfiiiPfSD_PS3_PT2_iSC_SC_, .Lfunc_end553-_Z39paged_attention_ll4mi_QKV_mfma16_kernelI14__hip_bfloat16S0_LN4vllm18Fp8KVCacheDataTypeE0ES0_Li32ELi64ELi256ELb1ELi2EEvPKT_PKT0_S8_ifPKiSA_SA_iPKfiiiPfSD_PS3_PT2_iSC_SC_
                                        ; -- End function
	.section	.AMDGPU.csdata,"",@progbits
; Kernel info:
; codeLenInByte = 4344
; NumSgprs: 54
; NumVgprs: 73
; NumAgprs: 0
; TotalNumVgprs: 73
; ScratchSize: 0
; MemoryBound: 0
; FloatMode: 240
; IeeeMode: 1
; LDSByteSize: 8192 bytes/workgroup (compile time only)
; SGPRBlocks: 6
; VGPRBlocks: 9
; NumSGPRsForWavesPerEU: 54
; NumVGPRsForWavesPerEU: 73
; AccumOffset: 76
; Occupancy: 6
; WaveLimiterHint : 1
; COMPUTE_PGM_RSRC2:SCRATCH_EN: 0
; COMPUTE_PGM_RSRC2:USER_SGPR: 2
; COMPUTE_PGM_RSRC2:TRAP_HANDLER: 0
; COMPUTE_PGM_RSRC2:TGID_X_EN: 1
; COMPUTE_PGM_RSRC2:TGID_Y_EN: 1
; COMPUTE_PGM_RSRC2:TGID_Z_EN: 1
; COMPUTE_PGM_RSRC2:TIDIG_COMP_CNT: 0
; COMPUTE_PGM_RSRC3_GFX90A:ACCUM_OFFSET: 18
; COMPUTE_PGM_RSRC3_GFX90A:TG_SPLIT: 0
	.section	.text._Z39paged_attention_ll4mi_QKV_mfma16_kernelI14__hip_bfloat16S0_LN4vllm18Fp8KVCacheDataTypeE0ES0_Li32ELi64ELi256ELb1ELi3EEvPKT_PKT0_S8_ifPKiSA_SA_iPKfiiiPfSD_PS3_PT2_iSC_SC_,"axG",@progbits,_Z39paged_attention_ll4mi_QKV_mfma16_kernelI14__hip_bfloat16S0_LN4vllm18Fp8KVCacheDataTypeE0ES0_Li32ELi64ELi256ELb1ELi3EEvPKT_PKT0_S8_ifPKiSA_SA_iPKfiiiPfSD_PS3_PT2_iSC_SC_,comdat
	.protected	_Z39paged_attention_ll4mi_QKV_mfma16_kernelI14__hip_bfloat16S0_LN4vllm18Fp8KVCacheDataTypeE0ES0_Li32ELi64ELi256ELb1ELi3EEvPKT_PKT0_S8_ifPKiSA_SA_iPKfiiiPfSD_PS3_PT2_iSC_SC_ ; -- Begin function _Z39paged_attention_ll4mi_QKV_mfma16_kernelI14__hip_bfloat16S0_LN4vllm18Fp8KVCacheDataTypeE0ES0_Li32ELi64ELi256ELb1ELi3EEvPKT_PKT0_S8_ifPKiSA_SA_iPKfiiiPfSD_PS3_PT2_iSC_SC_
	.globl	_Z39paged_attention_ll4mi_QKV_mfma16_kernelI14__hip_bfloat16S0_LN4vllm18Fp8KVCacheDataTypeE0ES0_Li32ELi64ELi256ELb1ELi3EEvPKT_PKT0_S8_ifPKiSA_SA_iPKfiiiPfSD_PS3_PT2_iSC_SC_
	.p2align	8
	.type	_Z39paged_attention_ll4mi_QKV_mfma16_kernelI14__hip_bfloat16S0_LN4vllm18Fp8KVCacheDataTypeE0ES0_Li32ELi64ELi256ELb1ELi3EEvPKT_PKT0_S8_ifPKiSA_SA_iPKfiiiPfSD_PS3_PT2_iSC_SC_,@function
_Z39paged_attention_ll4mi_QKV_mfma16_kernelI14__hip_bfloat16S0_LN4vllm18Fp8KVCacheDataTypeE0ES0_Li32ELi64ELi256ELb1ELi3EEvPKT_PKT0_S8_ifPKiSA_SA_iPKfiiiPfSD_PS3_PT2_iSC_SC_: ; @_Z39paged_attention_ll4mi_QKV_mfma16_kernelI14__hip_bfloat16S0_LN4vllm18Fp8KVCacheDataTypeE0ES0_Li32ELi64ELi256ELb1ELi3EEvPKT_PKT0_S8_ifPKiSA_SA_iPKfiiiPfSD_PS3_PT2_iSC_SC_
; %bb.0:
	s_load_dwordx2 s[6:7], s[0:1], 0x30
	s_mov_b32 s28, s3
	s_mov_b64 s[8:9], 0
	s_waitcnt lgkmcnt(0)
	s_cmp_lg_u64 s[6:7], 0
	s_cselect_b64 s[10:11], -1, 0
	s_and_b64 vcc, exec, s[10:11]
	s_cbranch_vccz .LBB554_7
; %bb.1:
	s_add_i32 s12, s2, 1
	s_mov_b32 s13, 0
	s_lshl_b64 s[14:15], s[12:13], 2
	s_add_u32 s14, s6, s14
	s_mov_b32 s3, s13
	s_addc_u32 s15, s7, s15
	s_lshl_b64 s[12:13], s[2:3], 2
	s_add_u32 s12, s6, s12
	s_addc_u32 s13, s7, s13
	s_load_dword s5, s[14:15], 0x0
	s_load_dword s16, s[12:13], 0x0
	s_waitcnt lgkmcnt(0)
	s_sub_i32 s5, s5, s16
	s_cmp_eq_u32 s5, 1
	s_cselect_b64 s[12:13], -1, 0
	s_andn2_b64 vcc, exec, s[8:9]
	s_cbranch_vccnz .LBB554_3
.LBB554_2:
	s_mov_b32 s3, 0
	s_mov_b64 s[12:13], -1
.LBB554_3:
	s_andn2_b64 vcc, exec, s[12:13]
	s_cbranch_vccnz .LBB554_21
; %bb.4:
	s_load_dwordx2 s[8:9], s[0:1], 0x28
	s_lshl_b64 s[12:13], s[2:3], 2
	s_waitcnt lgkmcnt(0)
	s_add_u32 s8, s8, s12
	s_addc_u32 s9, s9, s13
	s_load_dword s29, s[8:9], 0x0
	s_lshl_b32 s14, s28, 8
	s_waitcnt lgkmcnt(0)
	s_cmp_ge_i32 s14, s29
	s_cbranch_scc1 .LBB554_21
; %bb.5:
	s_load_dwordx2 s[8:9], s[0:1], 0x20
	s_load_dword s5, s[0:1], 0x38
	s_add_i32 s15, s29, 31
	s_ashr_i32 s16, s15, 31
	v_and_b32_e32 v1, 0xcf, v0
	s_lshr_b32 s16, s16, 27
	v_add_u32_e32 v1, s14, v1
	s_add_i32 s15, s15, s16
	v_ashrrev_i32_e32 v2, 31, v1
	s_ashr_i32 s15, s15, 5
	v_lshrrev_b32_e32 v6, 27, v2
	s_add_i32 s15, s15, -1
	s_waitcnt lgkmcnt(0)
	s_mul_i32 s16, s2, s5
	s_mov_b32 s17, 0
	v_add_u32_e32 v2, v1, v6
	s_lshl_b64 s[16:17], s[16:17], 2
	v_ashrrev_i32_e32 v2, 5, v2
	v_mov_b32_e32 v7, s15
	v_cmp_gt_i32_e32 vcc, s29, v1
	s_add_u32 s8, s8, s16
	s_addc_u32 s9, s9, s17
	v_cndmask_b32_e32 v2, v7, v2, vcc
	v_ashrrev_i32_e32 v3, 31, v2
	v_lshl_add_u64 v[4:5], v[2:3], 2, s[8:9]
	v_or_b32_e32 v2, 16, v1
	v_add_u32_e32 v3, v2, v6
	v_ashrrev_i32_e32 v3, 5, v3
	v_cmp_gt_i32_e32 vcc, s29, v2
	s_nop 1
	v_cndmask_b32_e32 v2, v7, v3, vcc
	v_ashrrev_i32_e32 v3, 31, v2
	v_lshl_add_u64 v[8:9], v[2:3], 2, s[8:9]
	v_or_b32_e32 v2, 32, v1
	v_add_u32_e32 v3, v2, v6
	v_ashrrev_i32_e32 v3, 5, v3
	v_cmp_gt_i32_e32 vcc, s29, v2
	v_or_b32_e32 v1, 48, v1
	s_nop 0
	v_cndmask_b32_e32 v2, v7, v3, vcc
	v_ashrrev_i32_e32 v3, 31, v2
	v_lshl_add_u64 v[12:13], v[2:3], 2, s[8:9]
	v_add_u32_e32 v2, v1, v6
	v_ashrrev_i32_e32 v2, 5, v2
	v_cmp_gt_i32_e32 vcc, s29, v1
	s_nop 1
	v_cndmask_b32_e32 v2, v7, v2, vcc
	v_ashrrev_i32_e32 v3, 31, v2
	v_lshl_add_u64 v[16:17], v[2:3], 2, s[8:9]
	global_load_dword v2, v[4:5], off
	global_load_dword v6, v[8:9], off
	;; [unrolled: 1-line block ×4, first 2 shown]
	s_andn2_b64 vcc, exec, s[10:11]
	s_cbranch_vccnz .LBB554_8
; %bb.6:
	s_add_u32 s6, s6, s12
	s_addc_u32 s7, s7, s13
	s_load_dword s5, s[6:7], 0x0
	s_branch .LBB554_9
.LBB554_7:
	s_mov_b64 s[12:13], 0
	s_branch .LBB554_2
.LBB554_8:
	s_mov_b32 s5, s2
.LBB554_9:
	s_load_dwordx2 s[10:11], s[0:1], 0x8
	s_load_dwordx4 s[44:47], s[0:1], 0x48
	v_lshrrev_b32_e32 v45, 6, v0
	v_bfe_u32 v1, v0, 4, 2
	v_lshl_or_b32 v3, v45, 2, v1
	v_and_b32_e32 v44, 15, v0
	v_cmp_lt_u32_e32 vcc, 2, v3
	v_cmp_lt_u32_e64 s[6:7], 7, v44
	s_mul_i32 s42, s4, 3
	v_lshlrev_b32_e32 v42, 3, v44
	v_cmp_gt_u32_e64 s[30:31], 8, v44
	s_or_b64 s[6:7], s[6:7], vcc
	s_and_saveexec_b64 s[12:13], s[6:7]
	s_xor_b64 s[6:7], exec, s[12:13]
; %bb.10:
	v_mov_b32_e32 v43, 0
                                        ; implicit-def: $vgpr3
; %bb.11:
	s_or_saveexec_b64 s[12:13], s[6:7]
	s_load_dwordx2 s[6:7], s[0:1], 0x10
	v_add_u32_e32 v54, s42, v1
	s_xor_b64 exec, exec, s[12:13]
	s_cbranch_execz .LBB554_13
; %bb.12:
	s_load_dwordx2 s[16:17], s[0:1], 0x0
	s_waitcnt lgkmcnt(0)
	s_ashr_i32 s18, s44, 31
	s_mul_hi_u32 s19, s5, s44
	s_mul_i32 s18, s5, s18
	s_add_i32 s19, s19, s18
	s_mul_i32 s18, s5, s44
	s_lshl_b64 s[18:19], s[18:19], 1
	s_add_u32 s16, s16, s18
	v_lshlrev_b32_e32 v4, 6, v54
	s_addc_u32 s17, s17, s19
	v_ashrrev_i32_e32 v5, 31, v4
	v_mov_b32_e32 v43, 0
	v_lshl_add_u64 v[4:5], v[4:5], 1, s[16:17]
	v_lshlrev_b32_e32 v8, 1, v42
	v_mov_b32_e32 v9, v43
	v_lshl_add_u64 v[4:5], v[4:5], 0, v[8:9]
	global_load_dwordx4 v[16:19], v[4:5], off
	v_and_b32_e32 v4, 3, v0
	v_lshlrev_b32_e32 v5, 9, v44
	v_lshlrev_b32_e32 v3, 5, v3
	v_lshlrev_b32_e32 v4, 9, v4
	v_and_b32_e32 v5, 0x1800, v5
	v_or3_b32 v3, v5, v4, v3
	s_waitcnt vmcnt(0)
	ds_write_b128 v3, v[16:19]
.LBB554_13:
	s_or_b64 exec, exec, s[12:13]
	s_waitcnt lgkmcnt(0)
	s_mul_i32 s4, s4, s46
	s_mov_b32 s5, 0
	s_lshl_b64 s[4:5], s[4:5], 1
	s_add_u32 s10, s10, s4
	s_addc_u32 s11, s11, s5
	s_waitcnt vmcnt(3)
	v_mad_i64_i32 v[2:3], s[12:13], v2, s45, 0
	v_lshl_add_u64 v[2:3], v[2:3], 1, s[10:11]
	v_lshlrev_b64 v[12:13], 1, v[42:43]
	v_lshlrev_b32_e32 v46, 9, v1
	v_lshl_add_u64 v[2:3], v[2:3], 0, v[12:13]
	v_mov_b32_e32 v47, 0
	v_lshl_add_u64 v[8:9], v[2:3], 0, v[46:47]
	s_barrier
	global_load_dwordx4 v[22:25], v[8:9], off
	global_load_dwordx4 v[2:5], v[8:9], off offset:2048
	s_waitcnt vmcnt(4)
	v_mad_i64_i32 v[6:7], s[12:13], v6, s45, 0
	v_mov_b32_e32 v8, 0x100
	v_lshl_add_u64 v[6:7], v[6:7], 1, s[10:11]
	v_lshl_or_b32 v16, v44, 4, v8
	v_mov_b32_e32 v17, v47
	s_waitcnt vmcnt(3)
	v_mad_i64_i32 v[10:11], s[12:13], v10, s45, 0
	v_lshl_add_u64 v[6:7], v[6:7], 0, v[16:17]
	v_lshl_add_u64 v[10:11], v[10:11], 1, s[10:11]
	s_waitcnt vmcnt(2)
	v_mad_i64_i32 v[14:15], s[12:13], v14, s45, 0
	v_lshl_add_u64 v[18:19], v[6:7], 0, v[46:47]
	v_lshl_add_u64 v[10:11], v[10:11], 0, v[12:13]
	;; [unrolled: 1-line block ×3, first 2 shown]
	global_load_dwordx4 v[26:29], v[18:19], off
	global_load_dwordx4 v[6:9], v[18:19], off offset:2048
	v_lshl_add_u64 v[18:19], v[10:11], 0, v[46:47]
	v_lshl_add_u64 v[14:15], v[14:15], 0, v[16:17]
	global_load_dwordx4 v[30:33], v[18:19], off
	global_load_dwordx4 v[10:13], v[18:19], off offset:2048
	v_lshl_add_u64 v[18:19], v[14:15], 0, v[46:47]
	global_load_dwordx4 v[34:37], v[18:19], off
	global_load_dwordx4 v[14:17], v[18:19], off offset:2048
	v_mul_lo_u16_e32 v18, 0x56, v44
	v_mov_b32_e32 v19, 3
	v_mul_lo_u16_sdwa v18, v18, v19 dst_sel:DWORD dst_unused:UNUSED_PAD src0_sel:BYTE_1 src1_sel:DWORD
	v_sub_u16_e32 v18, v44, v18
	v_and_b32_e32 v18, 0xff, v18
	v_lshl_add_u32 v18, v18, 5, v46
	ds_read_b128 v[38:41], v18
	ds_read_b128 v[18:21], v18 offset:2048
	v_and_b32_e32 v55, 63, v0
	v_cmp_gt_u32_e32 vcc, 3, v44
	v_mov_b32_e32 v50, 0
	s_and_saveexec_b64 s[10:11], vcc
	s_cbranch_execz .LBB554_15
; %bb.14:
	s_load_dwordx2 s[12:13], s[0:1], 0x40
	v_add_u32_e32 v48, s42, v44
	v_ashrrev_i32_e32 v49, 31, v48
	s_waitcnt lgkmcnt(0)
	v_lshl_add_u64 v[48:49], v[48:49], 2, s[12:13]
	global_load_dword v50, v[48:49], off
.LBB554_15:
	s_or_b64 exec, exec, s[10:11]
	s_ashr_i32 s10, s14, 31
	v_and_or_b32 v46, v0, 48, s14
	s_lshr_b32 s11, s10, 27
	v_add_u32_e32 v48, s11, v46
	v_or_b32_e32 v52, 64, v46
	v_ashrrev_i32_e32 v48, 5, v48
	v_mov_b32_e32 v51, s15
	v_cmp_gt_i32_e32 vcc, s29, v46
	v_add_u32_e32 v53, s11, v52
	s_waitcnt vmcnt(7) lgkmcnt(1)
	v_mfma_f32_16x16x16_bf16 v[56:59], v[22:23], v[38:39], 0
	v_cndmask_b32_e32 v48, v51, v48, vcc
	v_ashrrev_i32_e32 v22, 5, v53
	v_cmp_gt_i32_e32 vcc, s29, v52
	v_ashrrev_i32_e32 v49, 31, v48
	v_lshl_add_u64 v[48:49], v[48:49], 2, s[8:9]
	v_cndmask_b32_e32 v22, v51, v22, vcc
	v_ashrrev_i32_e32 v23, 31, v22
	v_lshl_add_u64 v[22:23], v[22:23], 2, s[8:9]
	global_load_dword v72, v[48:49], off
	global_load_dword v73, v[22:23], off
	s_waitcnt vmcnt(3)
	v_mfma_f32_16x16x16_bf16 v[68:71], v[34:35], v[38:39], 0
	v_or_b32_e32 v48, 0xc0, v46
	v_add_u32_e32 v52, s11, v48
	s_add_u32 s4, s6, s4
	v_mfma_f32_16x16x16_bf16 v[60:63], v[26:27], v[38:39], 0
	s_addc_u32 s5, s7, s5
	s_load_dword s10, s[0:1], 0x1c
	s_mov_b32 s33, 0xff7fffff
	v_mfma_f32_16x16x16_bf16 v[64:67], v[30:31], v[38:39], 0
	v_and_b32_e32 v31, 0xc0, v0
	v_or_b32_e32 v38, 0x80, v46
	v_add_u32_e32 v34, s14, v31
	v_mfma_f32_16x16x16_bf16 v[22:25], v[24:25], v[40:41], v[56:59]
	v_and_b32_e32 v30, 16, v0
	v_add_u32_e32 v49, s11, v38
	v_lshlrev_b32_e32 v46, 1, v30
	v_lshl_or_b32 v56, v1, 2, v34
	v_mfma_f32_16x16x16_bf16 v[34:37], v[36:37], v[40:41], v[68:71]
	v_cmp_gt_i32_e32 vcc, s29, v38
	v_lshlrev_b32_e32 v39, 6, v44
	v_or_b32_e32 v57, 1, v56
	v_mfma_f32_16x16x16_bf16 v[26:29], v[28:29], v[40:41], v[60:63]
	v_cmp_gt_i32_e64 s[34:35], s29, v57
	v_mfma_f32_16x16x16_bf16 v[30:33], v[32:33], v[40:41], v[64:67]
	v_ashrrev_i32_e32 v40, 5, v49
	v_ashrrev_i32_e32 v41, 5, v52
	v_cndmask_b32_e32 v38, v51, v40, vcc
	v_cmp_gt_i32_e32 vcc, s29, v48
	s_waitcnt lgkmcnt(0)
	v_mfma_f32_16x16x16_bf16 v[22:25], v[2:3], v[18:19], v[22:25]
	v_lshl_add_u64 v[2:3], s[4:5], 0, v[46:47]
	v_cndmask_b32_e32 v40, v51, v41, vcc
	v_lshl_or_b32 v46, v45, 10, v39
	v_ashrrev_i32_e32 v39, 31, v38
	v_ashrrev_i32_e32 v41, 31, v40
	s_waitcnt vmcnt(2)
	v_mfma_f32_16x16x16_bf16 v[34:37], v[14:15], v[18:19], v[34:37]
	v_lshl_add_u64 v[14:15], v[38:39], 2, s[8:9]
	v_subrev_u32_e32 v51, s29, v57
	v_cvt_f32_i32_e32 v58, v51
	v_mfma_f32_16x16x16_bf16 v[26:29], v[6:7], v[18:19], v[26:29]
	v_mfma_f32_16x16x16_bf16 v[30:33], v[10:11], v[18:19], v[30:33]
	v_lshl_add_u64 v[18:19], v[40:41], 2, s[8:9]
	global_load_dword v59, v[14:15], off
	global_load_dword v60, v[18:19], off
	v_lshl_add_u64 v[10:11], v[2:3], 0, v[46:47]
	v_mfma_f32_16x16x16_bf16 v[2:5], v[4:5], v[20:21], v[22:25]
	v_add_u32_e32 v46, 1, v51
	v_add_u32_e32 v47, 3, v51
	;; [unrolled: 1-line block ×3, first 2 shown]
	v_mfma_f32_16x16x16_bf16 v[14:17], v[16:17], v[20:21], v[34:37]
	v_add_u32_e32 v22, 2, v51
	s_nop 1
	v_pk_mul_f32 v[52:53], s[10:11], v[4:5] op_sel_hi:[0,1]
	v_cvt_f32_i32_e32 v18, v18
	v_mfma_f32_16x16x16_bf16 v[6:9], v[8:9], v[20:21], v[26:29]
	v_add_u32_e32 v19, 19, v51
	v_pk_mul_f32 v[34:35], s[10:11], v[16:17] op_sel_hi:[0,1]
	v_pk_mul_f32 v[36:37], s[10:11], v[14:15] op_sel_hi:[0,1]
	v_cvt_f32_i32_e32 v27, v22
	v_mfma_f32_16x16x16_bf16 v[22:25], v[12:13], v[20:21], v[30:33]
	v_pk_mul_f32 v[12:13], s[10:11], v[2:3] op_sel_hi:[0,1]
	v_cvt_f32_i32_e32 v26, v46
	v_cvt_f32_i32_e32 v28, v47
	v_pk_mul_f32 v[46:47], s[10:11], v[8:9] op_sel_hi:[0,1]
	v_pk_mul_f32 v[48:49], s[10:11], v[6:7] op_sel_hi:[0,1]
	v_cvt_f32_i32_e32 v19, v19
	v_fma_f32 v46, v50, v18, v46
	v_add_u32_e32 v18, 34, v51
	v_cvt_f32_i32_e32 v18, v18
	v_fmac_f32_e32 v47, v50, v19
	v_add_u32_e32 v19, 35, v51
	v_cvt_f32_i32_e32 v19, v19
	v_pk_mul_f32 v[40:41], s[10:11], v[22:23] op_sel_hi:[0,1]
	v_pk_mul_f32 v[38:39], s[10:11], v[24:25] op_sel_hi:[0,1]
	v_fma_f32 v38, v50, v18, v38
	v_add_u32_e32 v18, 50, v51
	s_waitcnt vmcnt(3)
	v_mad_i64_i32 v[2:3], s[4:5], v72, s45, 0
	s_waitcnt vmcnt(2)
	v_mad_i64_i32 v[4:5], s[4:5], v73, s45, 0
	v_lshl_add_u64 v[16:17], v[2:3], 1, v[10:11]
	v_lshl_add_u64 v[14:15], v[4:5], 1, v[10:11]
	global_load_dwordx4 v[6:9], v[16:17], off
	global_load_dwordx4 v[2:5], v[16:17], off offset:16
	v_add_u32_e32 v16, 16, v51
	v_cvt_f32_i32_e32 v16, v16
	v_add_u32_e32 v17, 17, v51
	v_cvt_f32_i32_e32 v17, v17
	v_fmac_f32_e32 v39, v50, v19
	v_fma_f32 v48, v50, v16, v48
	v_add_u32_e32 v16, 32, v51
	v_fmac_f32_e32 v49, v50, v17
	v_cvt_f32_i32_e32 v16, v16
	v_add_u32_e32 v17, 33, v51
	v_cvt_f32_i32_e32 v17, v17
	v_cvt_f32_i32_e32 v18, v18
	v_fma_f32 v40, v50, v16, v40
	v_add_u32_e32 v16, 48, v51
	v_fmac_f32_e32 v41, v50, v17
	v_cvt_f32_i32_e32 v16, v16
	v_add_u32_e32 v17, 49, v51
	v_cvt_f32_i32_e32 v17, v17
	v_add_u32_e32 v19, 51, v51
	v_cvt_f32_i32_e32 v19, v19
	v_fma_f32 v12, v50, v58, v12
	v_fmac_f32_e32 v13, v50, v26
	v_fma_f32 v36, v50, v16, v36
	v_mov_b32_e32 v16, 0xff7fffff
	v_cmp_gt_i32_e64 s[4:5], s29, v56
	v_fmac_f32_e32 v37, v50, v17
	v_fma_f32 v34, v50, v18, v34
	v_cndmask_b32_e64 v17, v16, v12, s[4:5]
	v_cndmask_b32_e64 v18, v16, v13, s[34:35]
	v_fmac_f32_e32 v35, v50, v19
	v_max3_f32 v17, v17, s33, v18
	v_or_b32_e32 v18, 2, v56
	v_or_b32_e32 v19, 3, v56
	v_fma_f32 v52, v50, v27, v52
	v_fmac_f32_e32 v53, v50, v28
	v_cmp_gt_i32_e64 s[36:37], s29, v18
	v_cmp_gt_i32_e64 s[38:39], s29, v19
	global_load_dwordx4 v[30:33], v[14:15], off
	global_load_dwordx4 v[26:29], v[14:15], off offset:16
	v_cndmask_b32_e64 v18, v16, v52, s[36:37]
	v_cndmask_b32_e64 v19, v16, v53, s[38:39]
	v_max3_f32 v17, v17, v18, v19
	v_or_b32_e32 v18, 16, v56
	v_or_b32_e32 v19, 17, v56
	v_cmp_gt_i32_e64 s[24:25], s29, v18
	v_cmp_gt_i32_e64 s[26:27], s29, v19
	s_nop 0
	v_cndmask_b32_e64 v18, v16, v48, s[24:25]
	v_cndmask_b32_e64 v19, v16, v49, s[26:27]
	v_max3_f32 v17, v17, v18, v19
	v_or_b32_e32 v18, 18, v56
	v_or_b32_e32 v19, 19, v56
	v_cmp_gt_i32_e64 s[20:21], s29, v18
	v_cmp_gt_i32_e64 s[22:23], s29, v19
	s_nop 0
	;; [unrolled: 8-line block ×5, first 2 shown]
	v_cndmask_b32_e64 v18, v16, v36, s[8:9]
	v_cndmask_b32_e64 v19, v16, v37, s[10:11]
	v_max3_f32 v17, v17, v18, v19
	v_or_b32_e32 v18, 50, v56
	v_or_b32_e32 v19, 51, v56
	v_cmp_gt_i32_e32 vcc, s29, v18
	v_cmp_gt_i32_e64 s[6:7], s29, v19
	s_nop 0
	v_cndmask_b32_e32 v18, v16, v34, vcc
	v_cndmask_b32_e64 v16, v16, v35, s[6:7]
	v_max3_f32 v16, v17, v18, v16
	v_mbcnt_lo_u32_b32 v17, -1, 0
	v_mbcnt_hi_u32_b32 v17, -1, v17
	v_and_b32_e32 v18, 64, v17
	v_add_u32_e32 v18, 64, v18
	v_xor_b32_e32 v19, 32, v17
	v_cmp_lt_i32_e64 s[40:41], v19, v18
	s_nop 1
	v_cndmask_b32_e64 v19, v17, v19, s[40:41]
	v_lshlrev_b32_e32 v57, 2, v19
	ds_bpermute_b32 v19, v57, v16
	s_waitcnt vmcnt(5)
	v_mad_i64_i32 v[14:15], s[40:41], v59, s45, 0
	v_lshl_add_u64 v[14:15], v[14:15], 1, v[10:11]
	s_waitcnt lgkmcnt(0)
	v_max_f32_e32 v19, v19, v19
	v_max_f32_e32 v16, v16, v19
	v_xor_b32_e32 v19, 16, v17
	v_cmp_lt_i32_e64 s[40:41], v19, v18
	s_nop 1
	v_cndmask_b32_e64 v17, v17, v19, s[40:41]
	v_lshlrev_b32_e32 v59, 2, v17
	ds_bpermute_b32 v17, v59, v16
	global_load_dwordx4 v[22:25], v[14:15], off
	global_load_dwordx4 v[18:21], v[14:15], off offset:16
	s_waitcnt vmcnt(6)
	v_mad_i64_i32 v[14:15], s[40:41], v60, s45, 0
	v_lshl_add_u64 v[10:11], v[14:15], 1, v[10:11]
	s_waitcnt lgkmcnt(0)
	v_max_f32_e32 v14, v17, v17
	v_max_f32_e32 v56, v16, v14
	v_sub_f32_e32 v12, v12, v56
	v_mul_f32_e32 v12, 0x3fb8aa3b, v12
	v_exp_f32_e32 v50, v12
	v_sub_f32_e32 v12, v13, v56
	v_mul_f32_e32 v12, 0x3fb8aa3b, v12
	v_exp_f32_e32 v51, v12
	global_load_dwordx4 v[14:17], v[10:11], off
	s_nop 0
	global_load_dwordx4 v[10:13], v[10:11], off offset:16
	v_sub_f32_e32 v52, v52, v56
	v_mul_f32_e32 v52, 0x3fb8aa3b, v52
	v_sub_f32_e32 v53, v53, v56
	v_exp_f32_e32 v52, v52
	v_mul_f32_e32 v53, 0x3fb8aa3b, v53
	v_sub_f32_e32 v48, v48, v56
	v_exp_f32_e32 v53, v53
	v_mul_f32_e32 v48, 0x3fb8aa3b, v48
	v_sub_f32_e32 v49, v49, v56
	v_cndmask_b32_e64 v50, 0, v50, s[4:5]
	v_exp_f32_e32 v48, v48
	v_mul_f32_e32 v49, 0x3fb8aa3b, v49
	v_sub_f32_e32 v46, v46, v56
	v_add_f32_e32 v58, 0, v50
	v_cndmask_b32_e64 v51, 0, v51, s[34:35]
	v_exp_f32_e32 v49, v49
	v_mul_f32_e32 v46, 0x3fb8aa3b, v46
	v_sub_f32_e32 v47, v47, v56
	v_add_f32_e32 v58, v58, v51
	;; [unrolled: 5-line block ×10, first 2 shown]
	v_cndmask_b32_e64 v38, 0, v38, s[12:13]
	v_exp_f32_e32 v34, v34
	v_mul_f32_e32 v35, 0x3fb8aa3b, v35
	v_add_f32_e32 v58, v58, v38
	v_cndmask_b32_e64 v39, 0, v39, s[14:15]
	v_exp_f32_e32 v35, v35
	v_add_f32_e32 v58, v58, v39
	v_cndmask_b32_e64 v36, 0, v36, s[8:9]
	v_add_f32_e32 v58, v58, v36
	v_cndmask_b32_e64 v37, 0, v37, s[10:11]
	v_add_f32_e32 v58, v58, v37
	v_cndmask_b32_e32 v34, 0, v34, vcc
	v_add_f32_e32 v58, v58, v34
	v_cndmask_b32_e64 v35, 0, v35, s[6:7]
	v_add_f32_e32 v58, v58, v35
	ds_bpermute_b32 v57, v57, v58
	s_load_dword s7, s[0:1], 0x98
	v_cmp_gt_u32_e32 vcc, 16, v55
	s_waitcnt lgkmcnt(0)
	s_barrier
	v_add_f32_e32 v58, v58, v57
	ds_bpermute_b32 v59, v59, v58
	v_lshlrev_b32_e32 v57, 2, v44
	s_waitcnt lgkmcnt(0)
	s_and_saveexec_b64 s[4:5], vcc
	s_cbranch_execz .LBB554_17
; %bb.16:
	v_add_f32_e32 v55, v58, v59
	v_lshl_or_b32 v58, v45, 6, v57
	ds_write2st64_b32 v58, v56, v55 offset1:1
.LBB554_17:
	s_or_b64 exec, exec, s[4:5]
	s_load_dword s6, s[0:1], 0x94
	s_waitcnt lgkmcnt(0)
	s_barrier
	ds_read2_b32 v[58:59], v57 offset1:16
	ds_read2_b32 v[60:61], v57 offset0:32 offset1:48
	ds_read2_b32 v[62:63], v57 offset0:64 offset1:80
	s_movk_i32 s8, 0x7fff
	s_mov_b32 s9, 0x7060302
	s_waitcnt lgkmcnt(2)
	v_max3_f32 v55, v58, s33, v59
	s_waitcnt lgkmcnt(1)
	v_max3_f32 v55, v55, v60, v61
	v_sub_f32_e32 v56, v58, v55
	v_mul_f32_e32 v56, 0x3fb8aa3b, v56
	v_exp_f32_e32 v64, v56
	v_sub_f32_e32 v56, v59, v55
	v_mul_f32_e32 v56, 0x3fb8aa3b, v56
	v_exp_f32_e32 v65, v56
	;; [unrolled: 3-line block ×3, first 2 shown]
	ds_read2_b32 v[58:59], v57 offset0:96 offset1:112
	v_sub_f32_e32 v56, v61, v55
	v_mul_f32_e32 v56, 0x3fb8aa3b, v56
	v_exp_f32_e32 v57, v56
	s_waitcnt lgkmcnt(1)
	v_fma_f32 v56, v64, v62, 0
	v_fmac_f32_e32 v56, v65, v63
	s_waitcnt lgkmcnt(0)
	v_fmac_f32_e32 v56, v60, v58
	v_fmac_f32_e32 v56, v57, v59
	v_add_f32_e32 v58, 0x358637bd, v56
	v_div_scale_f32 v59, s[4:5], v58, v58, 1.0
	v_rcp_f32_e32 v61, v59
	s_mul_i32 s7, s7, 3
	s_barrier
	v_fma_f32 v62, -v59, v61, 1.0
	v_fmac_f32_e32 v61, v62, v61
	v_div_scale_f32 v62, vcc, 1.0, v58, 1.0
	v_mul_f32_e32 v63, v62, v61
	v_fma_f32 v66, -v59, v63, v62
	v_fmac_f32_e32 v63, v66, v61
	v_fma_f32 v59, -v59, v63, v62
	v_div_fmas_f32 v59, v59, v61, v63
	v_cmp_eq_u32_e32 vcc, 1, v45
	v_div_fixup_f32 v58, v59, v58, 1.0
	s_nop 0
	v_cndmask_b32_e32 v59, v64, v65, vcc
	v_cmp_eq_u32_e32 vcc, 2, v45
	s_nop 1
	v_cndmask_b32_e32 v59, v59, v60, vcc
	v_cmp_eq_u32_e32 vcc, 3, v45
	v_lshlrev_b32_e32 v45, 11, v45
	s_nop 0
	v_cndmask_b32_e32 v57, v59, v57, vcc
	v_mul_f32_e32 v58, v57, v58
	v_pk_mul_f32 v[50:51], v[58:59], v[50:51] op_sel_hi:[0,1]
	v_pk_mul_f32 v[52:53], v[58:59], v[52:53] op_sel_hi:[0,1]
	v_bfe_u32 v57, v51, 16, 1
	v_bfe_u32 v59, v50, 16, 1
	v_add3_u32 v50, v50, v59, s8
	v_add3_u32 v51, v51, v57, s8
	v_perm_b32 v60, v51, v50, s9
	v_bfe_u32 v50, v53, 16, 1
	v_bfe_u32 v51, v52, 16, 1
	v_add3_u32 v51, v52, v51, s8
	v_add3_u32 v50, v53, v50, s8
	v_perm_b32 v61, v50, v51, s9
	v_lshlrev_b32_e32 v50, 3, v1
	v_lshlrev_b32_e32 v51, 5, v44
	v_pk_mul_f32 v[48:49], v[58:59], v[48:49] op_sel_hi:[0,1]
	v_or3_b32 v50, v45, v51, v50
	v_bfe_u32 v45, v49, 16, 1
	v_bfe_u32 v52, v48, 16, 1
	v_pk_mul_f32 v[46:47], v[58:59], v[46:47] op_sel_hi:[0,1]
	v_add3_u32 v48, v48, v52, s8
	v_add3_u32 v45, v49, v45, s8
	v_perm_b32 v48, v45, v48, s9
	v_bfe_u32 v45, v47, 16, 1
	v_bfe_u32 v49, v46, 16, 1
	v_add3_u32 v46, v46, v49, s8
	v_add3_u32 v45, v47, v45, s8
	v_pk_mul_f32 v[40:41], v[58:59], v[40:41] op_sel_hi:[0,1]
	v_perm_b32 v49, v45, v46, s9
	v_bfe_u32 v45, v41, 16, 1
	v_bfe_u32 v46, v40, 16, 1
	v_pk_mul_f32 v[38:39], v[58:59], v[38:39] op_sel_hi:[0,1]
	v_add3_u32 v40, v40, v46, s8
	v_add3_u32 v41, v41, v45, s8
	v_perm_b32 v40, v41, v40, s9
	v_bfe_u32 v41, v39, 16, 1
	v_bfe_u32 v45, v38, 16, 1
	v_add3_u32 v38, v38, v45, s8
	v_add3_u32 v39, v39, v41, s8
	v_pk_mul_f32 v[36:37], v[58:59], v[36:37] op_sel_hi:[0,1]
	v_perm_b32 v41, v39, v38, s9
	v_bfe_u32 v38, v37, 16, 1
	v_bfe_u32 v39, v36, 16, 1
	v_pk_mul_f32 v[34:35], v[58:59], v[34:35] op_sel_hi:[0,1]
	v_add3_u32 v36, v36, v39, s8
	v_add3_u32 v37, v37, v38, s8
	v_perm_b32 v36, v37, v36, s9
	v_bfe_u32 v37, v35, 16, 1
	v_bfe_u32 v38, v34, 16, 1
	v_add3_u32 v34, v34, v38, s8
	v_add3_u32 v35, v35, v37, s8
	v_perm_b32 v37, v35, v34, s9
	v_cmp_gt_u32_e32 vcc, 3, v0
	ds_write2st64_b64 v50, v[60:61], v[48:49] offset1:1
	ds_write2st64_b64 v50, v[40:41], v[36:37] offset0:2 offset1:3
	s_and_saveexec_b64 s[4:5], vcc
	s_cbranch_execz .LBB554_19
; %bb.18:
	s_mov_b32 s43, 0
	v_mov_b32_e32 v45, 0
	v_lshl_add_u64 v[34:35], s[42:43], 0, v[44:45]
	v_mov_b32_e32 v36, s7
	v_mad_u64_u32 v[34:35], s[10:11], s2, v36, v[34:35]
	s_mul_i32 s3, s3, s7
	v_mov_b32_e32 v44, s28
	s_load_dwordx4 s[12:15], s[0:1], 0x58
	v_add_u32_e32 v37, s3, v35
	v_mad_u64_u32 v[34:35], s[10:11], v34, s6, v[44:45]
	v_mov_b32_e32 v36, v35
	v_mad_u64_u32 v[36:37], s[10:11], v37, s6, v[36:37]
	v_mov_b32_e32 v35, v36
	v_lshlrev_b64 v[34:35], 2, v[34:35]
	s_waitcnt lgkmcnt(0)
	v_lshl_add_u64 v[36:37], s[14:15], 0, v[34:35]
	v_lshl_add_u64 v[34:35], s[12:13], 0, v[34:35]
	global_store_dword v[36:37], v55, off
	global_store_dword v[34:35], v56, off
.LBB554_19:
	s_or_b64 exec, exec, s[4:5]
	v_lshl_or_b32 v48, v1, 9, v51
	s_waitcnt lgkmcnt(0)
	s_barrier
	ds_read_b128 v[34:37], v48
	ds_read_b128 v[38:41], v48 offset:16
	s_waitcnt vmcnt(7) lgkmcnt(1)
	v_mfma_f32_16x16x16_bf16 v[44:47], v[6:7], v[34:35], 0
	v_cmp_gt_u32_e32 vcc, 64, v0
	v_cmp_ne_u32_e64 s[4:5], 3, v1
	s_and_b64 s[4:5], s[4:5], vcc
	v_mfma_f32_16x16x16_bf16 v[6:9], v[8:9], v[36:37], v[44:47]
	s_mov_b32 s3, 0
	s_and_b64 s[4:5], s[4:5], s[30:31]
	s_waitcnt vmcnt(6) lgkmcnt(0)
	v_mfma_f32_16x16x16_bf16 v[6:9], v[2:3], v[38:39], v[6:9]
	v_mfma_f32_16x16x16_bf16 v[2:5], v[4:5], v[40:41], v[6:9]
	s_nop 5
	ds_read_b128 v[6:9], v48 offset:2048
	ds_read_b128 v[34:37], v48 offset:2064
	s_waitcnt vmcnt(5) lgkmcnt(1)
	v_mfma_f32_16x16x16_bf16 v[2:5], v[30:31], v[6:7], v[2:5]
	v_mfma_f32_16x16x16_bf16 v[2:5], v[32:33], v[8:9], v[2:5]
	s_waitcnt vmcnt(4) lgkmcnt(0)
	v_mfma_f32_16x16x16_bf16 v[2:5], v[26:27], v[34:35], v[2:5]
	v_mfma_f32_16x16x16_bf16 v[2:5], v[28:29], v[36:37], v[2:5]
	ds_read_b128 v[6:9], v48 offset:4096
	ds_read_b128 v[26:29], v48 offset:4112
	s_waitcnt vmcnt(3) lgkmcnt(1)
	v_mfma_f32_16x16x16_bf16 v[2:5], v[22:23], v[6:7], v[2:5]
	v_mfma_f32_16x16x16_bf16 v[2:5], v[24:25], v[8:9], v[2:5]
	s_waitcnt vmcnt(2) lgkmcnt(0)
	v_mfma_f32_16x16x16_bf16 v[2:5], v[18:19], v[26:27], v[2:5]
	v_mfma_f32_16x16x16_bf16 v[2:5], v[20:21], v[28:29], v[2:5]
	ds_read_b128 v[6:9], v48 offset:6144
	ds_read_b128 v[18:21], v48 offset:6160
	s_waitcnt lgkmcnt(0)
	s_barrier
	s_waitcnt vmcnt(1)
	v_mfma_f32_16x16x16_bf16 v[2:5], v[14:15], v[6:7], v[2:5]
	v_mfma_f32_16x16x16_bf16 v[2:5], v[16:17], v[8:9], v[2:5]
	s_waitcnt vmcnt(0)
	v_mfma_f32_16x16x16_bf16 v[2:5], v[10:11], v[18:19], v[2:5]
	v_mfma_f32_16x16x16_bf16 v[2:5], v[12:13], v[20:21], v[2:5]
	s_nop 6
	v_bfe_u32 v6, v3, 16, 1
	v_bfe_u32 v7, v2, 16, 1
	;; [unrolled: 1-line block ×4, first 2 shown]
	v_add3_u32 v2, v2, v7, s8
	v_add3_u32 v3, v3, v6, s8
	;; [unrolled: 1-line block ×4, first 2 shown]
	v_perm_b32 v2, v3, v2, s9
	v_perm_b32 v3, v5, v4, s9
	ds_write_b64 v50, v[2:3]
	s_waitcnt lgkmcnt(0)
	s_barrier
	s_and_saveexec_b64 s[8:9], s[4:5]
	s_cbranch_execz .LBB554_21
; %bb.20:
	s_load_dwordx2 s[0:1], s[0:1], 0x68
	s_mul_i32 s2, s7, s2
	s_lshl_b32 s6, s6, 6
	s_mul_hi_u32 s5, s2, s6
	s_mul_i32 s4, s2, s6
	v_lshlrev_b32_e32 v2, 10, v0
	v_lshlrev_b32_e32 v0, 4, v0
	s_lshl_b64 s[4:5], s[4:5], 1
	v_and_b32_e32 v2, 0x1800, v2
	v_lshlrev_b32_e32 v1, 5, v1
	v_and_b32_e32 v0, 16, v0
	s_waitcnt lgkmcnt(0)
	s_add_u32 s4, s0, s4
	v_or3_b32 v0, v2, v1, v0
	s_addc_u32 s5, s1, s5
	s_lshl_b32 s2, s28, 6
	ds_read_b128 v[0:3], v0
	s_lshl_b64 s[0:1], s[2:3], 1
	s_add_u32 s0, s4, s0
	s_addc_u32 s1, s5, s1
	v_mad_u64_u32 v[4:5], s[2:3], s6, v54, 0
	v_lshl_add_u64 v[4:5], v[4:5], 1, s[0:1]
	v_lshl_add_u64 v[4:5], v[42:43], 1, v[4:5]
	s_waitcnt lgkmcnt(0)
	global_store_dwordx4 v[4:5], v[0:3], off
.LBB554_21:
	s_endpgm
	.section	.rodata,"a",@progbits
	.p2align	6, 0x0
	.amdhsa_kernel _Z39paged_attention_ll4mi_QKV_mfma16_kernelI14__hip_bfloat16S0_LN4vllm18Fp8KVCacheDataTypeE0ES0_Li32ELi64ELi256ELb1ELi3EEvPKT_PKT0_S8_ifPKiSA_SA_iPKfiiiPfSD_PS3_PT2_iSC_SC_
		.amdhsa_group_segment_fixed_size 8192
		.amdhsa_private_segment_fixed_size 0
		.amdhsa_kernarg_size 400
		.amdhsa_user_sgpr_count 2
		.amdhsa_user_sgpr_dispatch_ptr 0
		.amdhsa_user_sgpr_queue_ptr 0
		.amdhsa_user_sgpr_kernarg_segment_ptr 1
		.amdhsa_user_sgpr_dispatch_id 0
		.amdhsa_user_sgpr_kernarg_preload_length 0
		.amdhsa_user_sgpr_kernarg_preload_offset 0
		.amdhsa_user_sgpr_private_segment_size 0
		.amdhsa_uses_dynamic_stack 0
		.amdhsa_enable_private_segment 0
		.amdhsa_system_sgpr_workgroup_id_x 1
		.amdhsa_system_sgpr_workgroup_id_y 1
		.amdhsa_system_sgpr_workgroup_id_z 1
		.amdhsa_system_sgpr_workgroup_info 0
		.amdhsa_system_vgpr_workitem_id 0
		.amdhsa_next_free_vgpr 74
		.amdhsa_next_free_sgpr 48
		.amdhsa_accum_offset 76
		.amdhsa_reserve_vcc 1
		.amdhsa_float_round_mode_32 0
		.amdhsa_float_round_mode_16_64 0
		.amdhsa_float_denorm_mode_32 3
		.amdhsa_float_denorm_mode_16_64 3
		.amdhsa_dx10_clamp 1
		.amdhsa_ieee_mode 1
		.amdhsa_fp16_overflow 0
		.amdhsa_tg_split 0
		.amdhsa_exception_fp_ieee_invalid_op 0
		.amdhsa_exception_fp_denorm_src 0
		.amdhsa_exception_fp_ieee_div_zero 0
		.amdhsa_exception_fp_ieee_overflow 0
		.amdhsa_exception_fp_ieee_underflow 0
		.amdhsa_exception_fp_ieee_inexact 0
		.amdhsa_exception_int_div_zero 0
	.end_amdhsa_kernel
	.section	.text._Z39paged_attention_ll4mi_QKV_mfma16_kernelI14__hip_bfloat16S0_LN4vllm18Fp8KVCacheDataTypeE0ES0_Li32ELi64ELi256ELb1ELi3EEvPKT_PKT0_S8_ifPKiSA_SA_iPKfiiiPfSD_PS3_PT2_iSC_SC_,"axG",@progbits,_Z39paged_attention_ll4mi_QKV_mfma16_kernelI14__hip_bfloat16S0_LN4vllm18Fp8KVCacheDataTypeE0ES0_Li32ELi64ELi256ELb1ELi3EEvPKT_PKT0_S8_ifPKiSA_SA_iPKfiiiPfSD_PS3_PT2_iSC_SC_,comdat
.Lfunc_end554:
	.size	_Z39paged_attention_ll4mi_QKV_mfma16_kernelI14__hip_bfloat16S0_LN4vllm18Fp8KVCacheDataTypeE0ES0_Li32ELi64ELi256ELb1ELi3EEvPKT_PKT0_S8_ifPKiSA_SA_iPKfiiiPfSD_PS3_PT2_iSC_SC_, .Lfunc_end554-_Z39paged_attention_ll4mi_QKV_mfma16_kernelI14__hip_bfloat16S0_LN4vllm18Fp8KVCacheDataTypeE0ES0_Li32ELi64ELi256ELb1ELi3EEvPKT_PKT0_S8_ifPKiSA_SA_iPKfiiiPfSD_PS3_PT2_iSC_SC_
                                        ; -- End function
	.section	.AMDGPU.csdata,"",@progbits
; Kernel info:
; codeLenInByte = 4376
; NumSgprs: 54
; NumVgprs: 74
; NumAgprs: 0
; TotalNumVgprs: 74
; ScratchSize: 0
; MemoryBound: 0
; FloatMode: 240
; IeeeMode: 1
; LDSByteSize: 8192 bytes/workgroup (compile time only)
; SGPRBlocks: 6
; VGPRBlocks: 9
; NumSGPRsForWavesPerEU: 54
; NumVGPRsForWavesPerEU: 74
; AccumOffset: 76
; Occupancy: 6
; WaveLimiterHint : 1
; COMPUTE_PGM_RSRC2:SCRATCH_EN: 0
; COMPUTE_PGM_RSRC2:USER_SGPR: 2
; COMPUTE_PGM_RSRC2:TRAP_HANDLER: 0
; COMPUTE_PGM_RSRC2:TGID_X_EN: 1
; COMPUTE_PGM_RSRC2:TGID_Y_EN: 1
; COMPUTE_PGM_RSRC2:TGID_Z_EN: 1
; COMPUTE_PGM_RSRC2:TIDIG_COMP_CNT: 0
; COMPUTE_PGM_RSRC3_GFX90A:ACCUM_OFFSET: 18
; COMPUTE_PGM_RSRC3_GFX90A:TG_SPLIT: 0
	.section	.text._Z39paged_attention_ll4mi_QKV_mfma16_kernelI14__hip_bfloat16S0_LN4vllm18Fp8KVCacheDataTypeE0ES0_Li32ELi64ELi256ELb1ELi4EEvPKT_PKT0_S8_ifPKiSA_SA_iPKfiiiPfSD_PS3_PT2_iSC_SC_,"axG",@progbits,_Z39paged_attention_ll4mi_QKV_mfma16_kernelI14__hip_bfloat16S0_LN4vllm18Fp8KVCacheDataTypeE0ES0_Li32ELi64ELi256ELb1ELi4EEvPKT_PKT0_S8_ifPKiSA_SA_iPKfiiiPfSD_PS3_PT2_iSC_SC_,comdat
	.protected	_Z39paged_attention_ll4mi_QKV_mfma16_kernelI14__hip_bfloat16S0_LN4vllm18Fp8KVCacheDataTypeE0ES0_Li32ELi64ELi256ELb1ELi4EEvPKT_PKT0_S8_ifPKiSA_SA_iPKfiiiPfSD_PS3_PT2_iSC_SC_ ; -- Begin function _Z39paged_attention_ll4mi_QKV_mfma16_kernelI14__hip_bfloat16S0_LN4vllm18Fp8KVCacheDataTypeE0ES0_Li32ELi64ELi256ELb1ELi4EEvPKT_PKT0_S8_ifPKiSA_SA_iPKfiiiPfSD_PS3_PT2_iSC_SC_
	.globl	_Z39paged_attention_ll4mi_QKV_mfma16_kernelI14__hip_bfloat16S0_LN4vllm18Fp8KVCacheDataTypeE0ES0_Li32ELi64ELi256ELb1ELi4EEvPKT_PKT0_S8_ifPKiSA_SA_iPKfiiiPfSD_PS3_PT2_iSC_SC_
	.p2align	8
	.type	_Z39paged_attention_ll4mi_QKV_mfma16_kernelI14__hip_bfloat16S0_LN4vllm18Fp8KVCacheDataTypeE0ES0_Li32ELi64ELi256ELb1ELi4EEvPKT_PKT0_S8_ifPKiSA_SA_iPKfiiiPfSD_PS3_PT2_iSC_SC_,@function
_Z39paged_attention_ll4mi_QKV_mfma16_kernelI14__hip_bfloat16S0_LN4vllm18Fp8KVCacheDataTypeE0ES0_Li32ELi64ELi256ELb1ELi4EEvPKT_PKT0_S8_ifPKiSA_SA_iPKfiiiPfSD_PS3_PT2_iSC_SC_: ; @_Z39paged_attention_ll4mi_QKV_mfma16_kernelI14__hip_bfloat16S0_LN4vllm18Fp8KVCacheDataTypeE0ES0_Li32ELi64ELi256ELb1ELi4EEvPKT_PKT0_S8_ifPKiSA_SA_iPKfiiiPfSD_PS3_PT2_iSC_SC_
; %bb.0:
	s_load_dwordx2 s[6:7], s[0:1], 0x30
	s_mov_b32 s26, s3
	s_mov_b64 s[8:9], 0
	s_waitcnt lgkmcnt(0)
	s_cmp_lg_u64 s[6:7], 0
	s_cselect_b64 s[10:11], -1, 0
	s_and_b64 vcc, exec, s[10:11]
	s_cbranch_vccz .LBB555_7
; %bb.1:
	s_add_i32 s12, s2, 1
	s_mov_b32 s13, 0
	s_lshl_b64 s[14:15], s[12:13], 2
	s_add_u32 s14, s6, s14
	s_mov_b32 s3, s13
	s_addc_u32 s15, s7, s15
	s_lshl_b64 s[12:13], s[2:3], 2
	s_add_u32 s12, s6, s12
	s_addc_u32 s13, s7, s13
	s_load_dword s5, s[14:15], 0x0
	s_load_dword s16, s[12:13], 0x0
	s_waitcnt lgkmcnt(0)
	s_sub_i32 s5, s5, s16
	s_cmp_eq_u32 s5, 1
	s_cselect_b64 s[12:13], -1, 0
	s_andn2_b64 vcc, exec, s[8:9]
	s_cbranch_vccnz .LBB555_3
.LBB555_2:
	s_mov_b32 s3, 0
	s_mov_b64 s[12:13], -1
.LBB555_3:
	s_andn2_b64 vcc, exec, s[12:13]
	s_cbranch_vccnz .LBB555_21
; %bb.4:
	s_load_dwordx2 s[8:9], s[0:1], 0x28
	s_lshl_b64 s[12:13], s[2:3], 2
	s_waitcnt lgkmcnt(0)
	s_add_u32 s8, s8, s12
	s_addc_u32 s9, s9, s13
	s_load_dword s33, s[8:9], 0x0
	s_lshl_b32 s14, s26, 8
	s_waitcnt lgkmcnt(0)
	s_cmp_ge_i32 s14, s33
	s_cbranch_scc1 .LBB555_21
; %bb.5:
	s_load_dwordx2 s[8:9], s[0:1], 0x20
	s_load_dword s5, s[0:1], 0x38
	s_add_i32 s15, s33, 31
	s_ashr_i32 s16, s15, 31
	v_and_b32_e32 v1, 0xcf, v0
	s_lshr_b32 s16, s16, 27
	v_add_u32_e32 v1, s14, v1
	s_add_i32 s15, s15, s16
	v_ashrrev_i32_e32 v2, 31, v1
	s_ashr_i32 s15, s15, 5
	v_lshrrev_b32_e32 v6, 27, v2
	s_add_i32 s15, s15, -1
	s_waitcnt lgkmcnt(0)
	s_mul_i32 s16, s2, s5
	s_mov_b32 s17, 0
	v_add_u32_e32 v2, v1, v6
	s_lshl_b64 s[16:17], s[16:17], 2
	v_ashrrev_i32_e32 v2, 5, v2
	v_mov_b32_e32 v7, s15
	v_cmp_gt_i32_e32 vcc, s33, v1
	s_add_u32 s8, s8, s16
	s_addc_u32 s9, s9, s17
	v_cndmask_b32_e32 v2, v7, v2, vcc
	v_ashrrev_i32_e32 v3, 31, v2
	v_lshl_add_u64 v[4:5], v[2:3], 2, s[8:9]
	v_or_b32_e32 v2, 16, v1
	v_add_u32_e32 v3, v2, v6
	v_ashrrev_i32_e32 v3, 5, v3
	v_cmp_gt_i32_e32 vcc, s33, v2
	s_nop 1
	v_cndmask_b32_e32 v2, v7, v3, vcc
	v_ashrrev_i32_e32 v3, 31, v2
	v_lshl_add_u64 v[8:9], v[2:3], 2, s[8:9]
	v_or_b32_e32 v2, 32, v1
	v_add_u32_e32 v3, v2, v6
	v_ashrrev_i32_e32 v3, 5, v3
	v_cmp_gt_i32_e32 vcc, s33, v2
	v_or_b32_e32 v1, 48, v1
	s_nop 0
	v_cndmask_b32_e32 v2, v7, v3, vcc
	v_ashrrev_i32_e32 v3, 31, v2
	v_lshl_add_u64 v[12:13], v[2:3], 2, s[8:9]
	v_add_u32_e32 v2, v1, v6
	v_ashrrev_i32_e32 v2, 5, v2
	v_cmp_gt_i32_e32 vcc, s33, v1
	s_nop 1
	v_cndmask_b32_e32 v2, v7, v2, vcc
	v_ashrrev_i32_e32 v3, 31, v2
	v_lshl_add_u64 v[16:17], v[2:3], 2, s[8:9]
	global_load_dword v2, v[4:5], off
	global_load_dword v6, v[8:9], off
	;; [unrolled: 1-line block ×4, first 2 shown]
	s_andn2_b64 vcc, exec, s[10:11]
	s_cbranch_vccnz .LBB555_8
; %bb.6:
	s_add_u32 s6, s6, s12
	s_addc_u32 s7, s7, s13
	s_load_dword s5, s[6:7], 0x0
	s_branch .LBB555_9
.LBB555_7:
	s_mov_b64 s[12:13], 0
	s_branch .LBB555_2
.LBB555_8:
	s_mov_b32 s5, s2
.LBB555_9:
	s_load_dwordx2 s[10:11], s[0:1], 0x8
	s_load_dwordx4 s[40:43], s[0:1], 0x48
	v_and_b32_e32 v54, 15, v0
	v_cmp_gt_u32_e32 vcc, 64, v0
	v_cmp_gt_u32_e64 s[6:7], 8, v54
	s_and_b64 s[44:45], vcc, s[6:7]
	v_bfe_u32 v53, v0, 4, 2
	s_lshl_b32 s27, s4, 2
	v_lshlrev_b32_e32 v42, 3, v54
	s_xor_b64 s[6:7], s[44:45], -1
	s_and_saveexec_b64 s[12:13], s[6:7]
	s_xor_b64 s[6:7], exec, s[12:13]
; %bb.10:
	v_mov_b32_e32 v43, 0
; %bb.11:
	s_or_saveexec_b64 s[12:13], s[6:7]
	s_load_dwordx2 s[6:7], s[0:1], 0x10
	v_lshrrev_b32_e32 v55, 6, v0
	v_or_b32_e32 v1, s27, v53
	v_and_b32_e32 v18, 3, v0
	v_lshlrev_b32_e32 v52, 5, v53
	s_xor_b64 exec, exec, s[12:13]
	s_cbranch_execz .LBB555_13
; %bb.12:
	s_load_dwordx2 s[16:17], s[0:1], 0x0
	s_waitcnt lgkmcnt(0)
	s_ashr_i32 s18, s40, 31
	s_mul_hi_u32 s19, s5, s40
	s_mul_i32 s18, s5, s18
	s_add_i32 s19, s19, s18
	s_mul_i32 s18, s5, s40
	s_lshl_b64 s[18:19], s[18:19], 1
	s_add_u32 s16, s16, s18
	v_lshlrev_b32_e32 v4, 6, v1
	s_addc_u32 s17, s17, s19
	v_ashrrev_i32_e32 v5, 31, v4
	v_mov_b32_e32 v43, 0
	v_lshl_add_u64 v[4:5], v[4:5], 1, s[16:17]
	v_lshlrev_b32_e32 v8, 1, v42
	v_mov_b32_e32 v9, v43
	v_lshl_add_u64 v[4:5], v[4:5], 0, v[8:9]
	global_load_dwordx4 v[20:23], v[4:5], off
	v_lshlrev_b32_e32 v5, 9, v54
	v_lshl_or_b32 v3, v55, 7, v52
	v_lshlrev_b32_e32 v4, 9, v18
	v_and_b32_e32 v5, 0x1800, v5
	v_or3_b32 v3, v5, v4, v3
	s_waitcnt vmcnt(0)
	ds_write_b128 v3, v[20:23]
.LBB555_13:
	s_or_b64 exec, exec, s[12:13]
	s_waitcnt lgkmcnt(0)
	s_mul_i32 s4, s4, s42
	s_mov_b32 s5, 0
	s_lshl_b64 s[4:5], s[4:5], 1
	s_add_u32 s10, s10, s4
	s_addc_u32 s11, s11, s5
	s_waitcnt vmcnt(3)
	v_mad_i64_i32 v[2:3], s[12:13], v2, s41, 0
	v_lshl_add_u64 v[2:3], v[2:3], 1, s[10:11]
	v_lshlrev_b64 v[12:13], 1, v[42:43]
	v_lshlrev_b32_e32 v44, 9, v53
	v_lshl_add_u64 v[2:3], v[2:3], 0, v[12:13]
	v_mov_b32_e32 v45, 0
	v_lshl_add_u64 v[8:9], v[2:3], 0, v[44:45]
	s_barrier
	global_load_dwordx4 v[22:25], v[8:9], off
	global_load_dwordx4 v[2:5], v[8:9], off offset:2048
	s_waitcnt vmcnt(4)
	v_mad_i64_i32 v[6:7], s[12:13], v6, s41, 0
	v_mov_b32_e32 v8, 0x100
	v_lshl_add_u64 v[6:7], v[6:7], 1, s[10:11]
	v_lshl_or_b32 v16, v54, 4, v8
	v_mov_b32_e32 v17, v45
	s_waitcnt vmcnt(3)
	v_mad_i64_i32 v[10:11], s[12:13], v10, s41, 0
	v_lshl_add_u64 v[6:7], v[6:7], 0, v[16:17]
	v_lshl_add_u64 v[10:11], v[10:11], 1, s[10:11]
	s_waitcnt vmcnt(2)
	v_mad_i64_i32 v[14:15], s[12:13], v14, s41, 0
	v_lshl_add_u64 v[20:21], v[6:7], 0, v[44:45]
	v_lshl_add_u64 v[10:11], v[10:11], 0, v[12:13]
	;; [unrolled: 1-line block ×3, first 2 shown]
	global_load_dwordx4 v[26:29], v[20:21], off
	global_load_dwordx4 v[6:9], v[20:21], off offset:2048
	v_lshl_add_u64 v[20:21], v[10:11], 0, v[44:45]
	v_lshl_add_u64 v[14:15], v[14:15], 0, v[16:17]
	global_load_dwordx4 v[30:33], v[20:21], off
	global_load_dwordx4 v[10:13], v[20:21], off offset:2048
	v_lshl_add_u64 v[20:21], v[14:15], 0, v[44:45]
	global_load_dwordx4 v[34:37], v[20:21], off
	global_load_dwordx4 v[14:17], v[20:21], off offset:2048
	v_lshl_or_b32 v18, v18, 5, v44
	ds_read_b128 v[38:41], v18
	ds_read_b128 v[18:21], v18 offset:2048
	v_and_b32_e32 v56, 63, v0
	v_cmp_gt_u32_e32 vcc, 4, v54
	v_mov_b32_e32 v48, 0
	s_and_saveexec_b64 s[10:11], vcc
	s_cbranch_execz .LBB555_15
; %bb.14:
	s_load_dwordx2 s[12:13], s[0:1], 0x40
	v_or_b32_e32 v46, s27, v54
	v_ashrrev_i32_e32 v47, 31, v46
	s_waitcnt lgkmcnt(0)
	v_lshl_add_u64 v[46:47], v[46:47], 2, s[12:13]
	global_load_dword v48, v[46:47], off
.LBB555_15:
	s_or_b64 exec, exec, s[10:11]
	s_ashr_i32 s10, s14, 31
	v_and_or_b32 v44, v0, 48, s14
	s_lshr_b32 s11, s10, 27
	v_add_u32_e32 v46, s11, v44
	v_or_b32_e32 v50, 64, v44
	v_ashrrev_i32_e32 v46, 5, v46
	v_mov_b32_e32 v49, s15
	v_cmp_gt_i32_e32 vcc, s33, v44
	v_add_u32_e32 v51, s11, v50
	s_waitcnt vmcnt(7) lgkmcnt(1)
	v_mfma_f32_16x16x16_bf16 v[58:61], v[22:23], v[38:39], 0
	v_cndmask_b32_e32 v46, v49, v46, vcc
	v_ashrrev_i32_e32 v22, 5, v51
	v_cmp_gt_i32_e32 vcc, s33, v50
	v_ashrrev_i32_e32 v47, 31, v46
	v_lshl_add_u64 v[46:47], v[46:47], 2, s[8:9]
	v_cndmask_b32_e32 v22, v49, v22, vcc
	v_ashrrev_i32_e32 v23, 31, v22
	v_lshl_add_u64 v[22:23], v[22:23], 2, s[8:9]
	global_load_dword v57, v[46:47], off
	global_load_dword v74, v[22:23], off
	s_waitcnt vmcnt(3)
	v_mfma_f32_16x16x16_bf16 v[70:73], v[34:35], v[38:39], 0
	v_or_b32_e32 v46, 0xc0, v44
	v_add_u32_e32 v50, s11, v46
	s_add_u32 s4, s6, s4
	v_mfma_f32_16x16x16_bf16 v[62:65], v[26:27], v[38:39], 0
	s_addc_u32 s5, s7, s5
	s_load_dword s10, s[0:1], 0x1c
	s_mov_b32 s40, 0xff7fffff
	v_mfma_f32_16x16x16_bf16 v[66:69], v[30:31], v[38:39], 0
	v_and_b32_e32 v31, 0xc0, v0
	v_or_b32_e32 v38, 0x80, v44
	v_add_u32_e32 v34, s14, v31
	v_mfma_f32_16x16x16_bf16 v[22:25], v[24:25], v[40:41], v[58:61]
	v_and_b32_e32 v30, 16, v0
	v_add_u32_e32 v47, s11, v38
	v_lshlrev_b32_e32 v44, 1, v30
	v_lshl_or_b32 v58, v53, 2, v34
	v_mfma_f32_16x16x16_bf16 v[34:37], v[36:37], v[40:41], v[70:73]
	v_cmp_gt_i32_e32 vcc, s33, v38
	v_lshlrev_b32_e32 v39, 6, v54
	v_or_b32_e32 v59, 1, v58
	v_mfma_f32_16x16x16_bf16 v[26:29], v[28:29], v[40:41], v[62:65]
	v_cmp_gt_i32_e64 s[28:29], s33, v58
	v_cmp_gt_i32_e64 s[30:31], s33, v59
	v_mfma_f32_16x16x16_bf16 v[30:33], v[32:33], v[40:41], v[66:69]
	v_ashrrev_i32_e32 v40, 5, v47
	v_ashrrev_i32_e32 v41, 5, v50
	v_cndmask_b32_e32 v38, v49, v40, vcc
	v_cmp_gt_i32_e32 vcc, s33, v46
	s_waitcnt lgkmcnt(0)
	v_mfma_f32_16x16x16_bf16 v[22:25], v[2:3], v[18:19], v[22:25]
	v_lshl_add_u64 v[2:3], s[4:5], 0, v[44:45]
	v_cndmask_b32_e32 v40, v49, v41, vcc
	v_lshl_or_b32 v44, v55, 10, v39
	v_ashrrev_i32_e32 v39, 31, v38
	v_ashrrev_i32_e32 v41, 31, v40
	s_waitcnt vmcnt(2)
	v_mfma_f32_16x16x16_bf16 v[34:37], v[14:15], v[18:19], v[34:37]
	v_lshl_add_u64 v[14:15], v[38:39], 2, s[8:9]
	v_subrev_u32_e32 v49, s33, v59
	v_cvt_f32_i32_e32 v60, v49
	v_mfma_f32_16x16x16_bf16 v[26:29], v[6:7], v[18:19], v[26:29]
	v_mfma_f32_16x16x16_bf16 v[30:33], v[10:11], v[18:19], v[30:33]
	v_lshl_add_u64 v[18:19], v[40:41], 2, s[8:9]
	global_load_dword v61, v[14:15], off
	global_load_dword v62, v[18:19], off
	v_lshl_add_u64 v[10:11], v[2:3], 0, v[44:45]
	v_mfma_f32_16x16x16_bf16 v[2:5], v[4:5], v[20:21], v[22:25]
	v_add_u32_e32 v44, 1, v49
	v_add_u32_e32 v45, 3, v49
	v_add_u32_e32 v18, 18, v49
	v_mfma_f32_16x16x16_bf16 v[14:17], v[16:17], v[20:21], v[34:37]
	v_add_u32_e32 v22, 2, v49
	s_nop 1
	v_pk_mul_f32 v[50:51], s[10:11], v[4:5] op_sel_hi:[0,1]
	v_cvt_f32_i32_e32 v18, v18
	v_mfma_f32_16x16x16_bf16 v[6:9], v[8:9], v[20:21], v[26:29]
	v_add_u32_e32 v19, 19, v49
	v_pk_mul_f32 v[34:35], s[10:11], v[16:17] op_sel_hi:[0,1]
	v_pk_mul_f32 v[36:37], s[10:11], v[14:15] op_sel_hi:[0,1]
	v_cvt_f32_i32_e32 v27, v22
	v_mfma_f32_16x16x16_bf16 v[22:25], v[12:13], v[20:21], v[30:33]
	v_pk_mul_f32 v[12:13], s[10:11], v[2:3] op_sel_hi:[0,1]
	v_cvt_f32_i32_e32 v26, v44
	v_cvt_f32_i32_e32 v28, v45
	v_pk_mul_f32 v[44:45], s[10:11], v[8:9] op_sel_hi:[0,1]
	v_pk_mul_f32 v[46:47], s[10:11], v[6:7] op_sel_hi:[0,1]
	v_cvt_f32_i32_e32 v19, v19
	v_fma_f32 v44, v48, v18, v44
	v_add_u32_e32 v18, 34, v49
	v_cvt_f32_i32_e32 v18, v18
	v_fmac_f32_e32 v45, v48, v19
	v_add_u32_e32 v19, 35, v49
	v_cvt_f32_i32_e32 v19, v19
	v_pk_mul_f32 v[40:41], s[10:11], v[22:23] op_sel_hi:[0,1]
	v_pk_mul_f32 v[38:39], s[10:11], v[24:25] op_sel_hi:[0,1]
	v_fma_f32 v38, v48, v18, v38
	v_add_u32_e32 v18, 50, v49
	s_waitcnt vmcnt(3)
	v_mad_i64_i32 v[2:3], s[4:5], v57, s41, 0
	s_waitcnt vmcnt(2)
	v_mad_i64_i32 v[4:5], s[4:5], v74, s41, 0
	v_lshl_add_u64 v[16:17], v[2:3], 1, v[10:11]
	v_lshl_add_u64 v[14:15], v[4:5], 1, v[10:11]
	global_load_dwordx4 v[6:9], v[16:17], off
	global_load_dwordx4 v[2:5], v[16:17], off offset:16
	v_add_u32_e32 v16, 16, v49
	v_cvt_f32_i32_e32 v16, v16
	v_add_u32_e32 v17, 17, v49
	v_cvt_f32_i32_e32 v17, v17
	v_fmac_f32_e32 v39, v48, v19
	v_fma_f32 v46, v48, v16, v46
	v_add_u32_e32 v16, 32, v49
	v_fmac_f32_e32 v47, v48, v17
	v_cvt_f32_i32_e32 v16, v16
	v_add_u32_e32 v17, 33, v49
	v_cvt_f32_i32_e32 v17, v17
	v_cvt_f32_i32_e32 v18, v18
	v_fma_f32 v40, v48, v16, v40
	v_add_u32_e32 v16, 48, v49
	v_fmac_f32_e32 v41, v48, v17
	v_cvt_f32_i32_e32 v16, v16
	v_add_u32_e32 v17, 49, v49
	v_cvt_f32_i32_e32 v17, v17
	v_add_u32_e32 v19, 51, v49
	v_cvt_f32_i32_e32 v19, v19
	v_fma_f32 v12, v48, v60, v12
	v_fmac_f32_e32 v13, v48, v26
	v_fma_f32 v36, v48, v16, v36
	v_mov_b32_e32 v16, 0xff7fffff
	v_fmac_f32_e32 v37, v48, v17
	v_fma_f32 v34, v48, v18, v34
	v_cndmask_b32_e64 v17, v16, v12, s[28:29]
	v_cndmask_b32_e64 v18, v16, v13, s[30:31]
	v_fmac_f32_e32 v35, v48, v19
	v_max3_f32 v17, v17, s40, v18
	v_or_b32_e32 v18, 2, v58
	v_or_b32_e32 v19, 3, v58
	v_fma_f32 v50, v48, v27, v50
	v_fmac_f32_e32 v51, v48, v28
	v_cmp_gt_i32_e64 s[34:35], s33, v18
	v_cmp_gt_i32_e64 s[36:37], s33, v19
	global_load_dwordx4 v[30:33], v[14:15], off
	global_load_dwordx4 v[26:29], v[14:15], off offset:16
	v_cndmask_b32_e64 v18, v16, v50, s[34:35]
	v_cndmask_b32_e64 v19, v16, v51, s[36:37]
	v_max3_f32 v17, v17, v18, v19
	v_or_b32_e32 v18, 16, v58
	v_or_b32_e32 v19, 17, v58
	v_cmp_gt_i32_e64 s[22:23], s33, v18
	v_cmp_gt_i32_e64 s[24:25], s33, v19
	s_nop 0
	v_cndmask_b32_e64 v18, v16, v46, s[22:23]
	v_cndmask_b32_e64 v19, v16, v47, s[24:25]
	v_max3_f32 v17, v17, v18, v19
	v_or_b32_e32 v18, 18, v58
	v_or_b32_e32 v19, 19, v58
	v_cmp_gt_i32_e64 s[18:19], s33, v18
	v_cmp_gt_i32_e64 s[20:21], s33, v19
	s_nop 0
	;; [unrolled: 8-line block ×5, first 2 shown]
	v_cndmask_b32_e64 v18, v16, v36, s[6:7]
	v_cndmask_b32_e64 v19, v16, v37, s[8:9]
	v_max3_f32 v17, v17, v18, v19
	v_or_b32_e32 v18, 50, v58
	v_or_b32_e32 v19, 51, v58
	v_cmp_gt_i32_e32 vcc, s33, v18
	v_cmp_gt_i32_e64 s[4:5], s33, v19
	s_nop 0
	v_cndmask_b32_e32 v18, v16, v34, vcc
	v_cndmask_b32_e64 v16, v16, v35, s[4:5]
	v_max3_f32 v16, v17, v18, v16
	v_mbcnt_lo_u32_b32 v17, -1, 0
	v_mbcnt_hi_u32_b32 v17, -1, v17
	v_and_b32_e32 v18, 64, v17
	v_add_u32_e32 v18, 64, v18
	v_xor_b32_e32 v19, 32, v17
	v_cmp_lt_i32_e64 s[38:39], v19, v18
	s_nop 1
	v_cndmask_b32_e64 v19, v17, v19, s[38:39]
	v_lshlrev_b32_e32 v58, 2, v19
	ds_bpermute_b32 v19, v58, v16
	s_waitcnt vmcnt(5)
	v_mad_i64_i32 v[14:15], s[38:39], v61, s41, 0
	v_lshl_add_u64 v[14:15], v[14:15], 1, v[10:11]
	s_waitcnt lgkmcnt(0)
	v_max_f32_e32 v19, v19, v19
	v_max_f32_e32 v16, v16, v19
	v_xor_b32_e32 v19, 16, v17
	v_cmp_lt_i32_e64 s[38:39], v19, v18
	s_nop 1
	v_cndmask_b32_e64 v17, v17, v19, s[38:39]
	v_lshlrev_b32_e32 v60, 2, v17
	ds_bpermute_b32 v17, v60, v16
	global_load_dwordx4 v[22:25], v[14:15], off
	global_load_dwordx4 v[18:21], v[14:15], off offset:16
	s_waitcnt vmcnt(6)
	v_mad_i64_i32 v[14:15], s[38:39], v62, s41, 0
	v_lshl_add_u64 v[10:11], v[14:15], 1, v[10:11]
	s_waitcnt lgkmcnt(0)
	v_max_f32_e32 v14, v17, v17
	v_max_f32_e32 v57, v16, v14
	v_sub_f32_e32 v12, v12, v57
	v_mul_f32_e32 v12, 0x3fb8aa3b, v12
	v_exp_f32_e32 v48, v12
	v_sub_f32_e32 v12, v13, v57
	v_mul_f32_e32 v12, 0x3fb8aa3b, v12
	v_exp_f32_e32 v49, v12
	global_load_dwordx4 v[14:17], v[10:11], off
	s_nop 0
	global_load_dwordx4 v[10:13], v[10:11], off offset:16
	v_sub_f32_e32 v50, v50, v57
	v_mul_f32_e32 v50, 0x3fb8aa3b, v50
	v_sub_f32_e32 v51, v51, v57
	v_exp_f32_e32 v50, v50
	v_mul_f32_e32 v51, 0x3fb8aa3b, v51
	v_sub_f32_e32 v46, v46, v57
	v_exp_f32_e32 v51, v51
	v_mul_f32_e32 v46, 0x3fb8aa3b, v46
	v_sub_f32_e32 v47, v47, v57
	v_cndmask_b32_e64 v48, 0, v48, s[28:29]
	v_exp_f32_e32 v46, v46
	v_mul_f32_e32 v47, 0x3fb8aa3b, v47
	v_sub_f32_e32 v44, v44, v57
	v_add_f32_e32 v59, 0, v48
	v_cndmask_b32_e64 v49, 0, v49, s[30:31]
	v_exp_f32_e32 v47, v47
	v_mul_f32_e32 v44, 0x3fb8aa3b, v44
	v_sub_f32_e32 v45, v45, v57
	v_add_f32_e32 v59, v59, v49
	;; [unrolled: 5-line block ×10, first 2 shown]
	v_cndmask_b32_e64 v38, 0, v38, s[10:11]
	v_exp_f32_e32 v34, v34
	v_mul_f32_e32 v35, 0x3fb8aa3b, v35
	v_add_f32_e32 v59, v59, v38
	v_cndmask_b32_e64 v39, 0, v39, s[12:13]
	v_exp_f32_e32 v35, v35
	v_add_f32_e32 v59, v59, v39
	v_cndmask_b32_e64 v36, 0, v36, s[6:7]
	v_add_f32_e32 v59, v59, v36
	v_cndmask_b32_e64 v37, 0, v37, s[8:9]
	v_add_f32_e32 v59, v59, v37
	v_cndmask_b32_e32 v34, 0, v34, vcc
	v_add_f32_e32 v59, v59, v34
	v_cndmask_b32_e64 v35, 0, v35, s[4:5]
	v_add_f32_e32 v59, v59, v35
	ds_bpermute_b32 v58, v58, v59
	s_load_dword s7, s[0:1], 0x98
	v_cmp_gt_u32_e32 vcc, 16, v56
	s_waitcnt lgkmcnt(0)
	s_barrier
	v_add_f32_e32 v59, v59, v58
	ds_bpermute_b32 v60, v60, v59
	v_lshlrev_b32_e32 v58, 2, v54
	s_waitcnt lgkmcnt(0)
	s_and_saveexec_b64 s[4:5], vcc
	s_cbranch_execz .LBB555_17
; %bb.16:
	v_add_f32_e32 v56, v59, v60
	v_lshl_or_b32 v59, v55, 6, v58
	ds_write2st64_b32 v59, v57, v56 offset1:1
.LBB555_17:
	s_or_b64 exec, exec, s[4:5]
	s_load_dword s6, s[0:1], 0x94
	s_waitcnt lgkmcnt(0)
	s_barrier
	ds_read2_b32 v[60:61], v58 offset1:16
	ds_read2_b32 v[62:63], v58 offset0:32 offset1:48
	ds_read2_b32 v[64:65], v58 offset0:64 offset1:80
	;; [unrolled: 1-line block ×3, first 2 shown]
	s_movk_i32 s8, 0x7fff
	s_waitcnt lgkmcnt(3)
	v_max3_f32 v56, v60, s40, v61
	s_waitcnt lgkmcnt(2)
	v_max3_f32 v56, v56, v62, v63
	v_sub_f32_e32 v57, v60, v56
	v_mul_f32_e32 v57, 0x3fb8aa3b, v57
	v_exp_f32_e32 v60, v57
	v_sub_f32_e32 v57, v61, v56
	v_mul_f32_e32 v57, 0x3fb8aa3b, v57
	v_exp_f32_e32 v61, v57
	;; [unrolled: 3-line block ×4, first 2 shown]
	s_waitcnt lgkmcnt(1)
	v_fma_f32 v57, v60, v64, 0
	v_fmac_f32_e32 v57, v61, v65
	s_waitcnt lgkmcnt(0)
	v_fmac_f32_e32 v57, v62, v58
	v_fmac_f32_e32 v57, v63, v59
	v_add_f32_e32 v58, 0x358637bd, v57
	v_div_scale_f32 v59, s[4:5], v58, v58, 1.0
	v_rcp_f32_e32 v64, v59
	s_mov_b32 s9, 0x7060302
	s_lshl_b32 s7, s7, 2
	v_fma_f32 v65, -v59, v64, 1.0
	v_fmac_f32_e32 v64, v65, v64
	v_div_scale_f32 v65, vcc, 1.0, v58, 1.0
	v_mul_f32_e32 v66, v65, v64
	v_fma_f32 v67, -v59, v66, v65
	v_fmac_f32_e32 v66, v67, v64
	v_fma_f32 v59, -v59, v66, v65
	v_div_fmas_f32 v59, v59, v64, v66
	v_cmp_eq_u32_e32 vcc, 1, v55
	v_div_fixup_f32 v58, v59, v58, 1.0
	s_barrier
	v_cndmask_b32_e32 v59, v60, v61, vcc
	v_cmp_eq_u32_e32 vcc, 2, v55
	s_nop 1
	v_cndmask_b32_e32 v59, v59, v62, vcc
	v_cmp_eq_u32_e32 vcc, 3, v55
	s_nop 1
	v_cndmask_b32_e32 v59, v59, v63, vcc
	v_mul_f32_e32 v58, v59, v58
	v_pk_mul_f32 v[48:49], v[58:59], v[48:49] op_sel_hi:[0,1]
	v_pk_mul_f32 v[50:51], v[58:59], v[50:51] op_sel_hi:[0,1]
	v_bfe_u32 v59, v49, 16, 1
	v_bfe_u32 v60, v48, 16, 1
	v_add3_u32 v48, v48, v60, s8
	v_add3_u32 v49, v49, v59, s8
	v_perm_b32 v60, v49, v48, s9
	v_bfe_u32 v48, v51, 16, 1
	v_bfe_u32 v49, v50, 16, 1
	v_add3_u32 v49, v50, v49, s8
	v_add3_u32 v48, v51, v48, s8
	v_perm_b32 v61, v48, v49, s9
	v_lshlrev_b32_e32 v48, 3, v53
	v_lshlrev_b32_e32 v49, 5, v54
	v_lshlrev_b32_e32 v50, 11, v55
	v_pk_mul_f32 v[46:47], v[58:59], v[46:47] op_sel_hi:[0,1]
	v_or3_b32 v48, v50, v49, v48
	v_bfe_u32 v50, v47, 16, 1
	v_bfe_u32 v51, v46, 16, 1
	v_pk_mul_f32 v[44:45], v[58:59], v[44:45] op_sel_hi:[0,1]
	v_add3_u32 v46, v46, v51, s8
	v_add3_u32 v47, v47, v50, s8
	v_perm_b32 v46, v47, v46, s9
	v_bfe_u32 v47, v45, 16, 1
	v_bfe_u32 v50, v44, 16, 1
	v_add3_u32 v44, v44, v50, s8
	v_add3_u32 v45, v45, v47, s8
	v_pk_mul_f32 v[40:41], v[58:59], v[40:41] op_sel_hi:[0,1]
	v_perm_b32 v47, v45, v44, s9
	v_bfe_u32 v44, v41, 16, 1
	v_bfe_u32 v45, v40, 16, 1
	v_pk_mul_f32 v[38:39], v[58:59], v[38:39] op_sel_hi:[0,1]
	v_add3_u32 v40, v40, v45, s8
	v_add3_u32 v41, v41, v44, s8
	v_perm_b32 v40, v41, v40, s9
	v_bfe_u32 v41, v39, 16, 1
	v_bfe_u32 v44, v38, 16, 1
	v_add3_u32 v38, v38, v44, s8
	v_add3_u32 v39, v39, v41, s8
	v_pk_mul_f32 v[36:37], v[58:59], v[36:37] op_sel_hi:[0,1]
	v_perm_b32 v41, v39, v38, s9
	v_bfe_u32 v38, v37, 16, 1
	v_bfe_u32 v39, v36, 16, 1
	v_pk_mul_f32 v[34:35], v[58:59], v[34:35] op_sel_hi:[0,1]
	v_add3_u32 v36, v36, v39, s8
	v_add3_u32 v37, v37, v38, s8
	v_perm_b32 v36, v37, v36, s9
	v_bfe_u32 v37, v35, 16, 1
	v_bfe_u32 v38, v34, 16, 1
	v_add3_u32 v34, v34, v38, s8
	v_add3_u32 v35, v35, v37, s8
	v_perm_b32 v37, v35, v34, s9
	v_cmp_gt_u32_e32 vcc, 4, v0
	ds_write2st64_b64 v48, v[60:61], v[46:47] offset1:1
	ds_write2st64_b64 v48, v[40:41], v[36:37] offset0:2 offset1:3
	s_and_saveexec_b64 s[4:5], vcc
	s_cbranch_execz .LBB555_19
; %bb.18:
	v_or_b32_e32 v34, s27, v0
	v_mov_b32_e32 v35, 0
	v_mov_b32_e32 v36, s7
	v_mad_u64_u32 v[36:37], s[10:11], s2, v36, v[34:35]
	v_mov_b32_e32 v34, s26
	s_load_dwordx4 s[12:15], s[0:1], 0x58
	s_mul_i32 s3, s3, s7
	v_mad_u64_u32 v[34:35], s[10:11], v36, s6, v[34:35]
	v_add_u32_e32 v37, s3, v37
	v_mov_b32_e32 v36, v35
	v_mad_u64_u32 v[36:37], s[10:11], v37, s6, v[36:37]
	v_mov_b32_e32 v35, v36
	v_lshlrev_b64 v[34:35], 2, v[34:35]
	s_waitcnt lgkmcnt(0)
	v_lshl_add_u64 v[36:37], s[14:15], 0, v[34:35]
	v_lshl_add_u64 v[34:35], s[12:13], 0, v[34:35]
	global_store_dword v[36:37], v56, off
	global_store_dword v[34:35], v57, off
.LBB555_19:
	s_or_b64 exec, exec, s[4:5]
	v_lshl_or_b32 v49, v53, 9, v49
	s_waitcnt lgkmcnt(0)
	s_barrier
	ds_read_b128 v[34:37], v49
	ds_read_b128 v[38:41], v49 offset:16
	s_waitcnt vmcnt(7) lgkmcnt(1)
	v_mfma_f32_16x16x16_bf16 v[44:47], v[6:7], v[34:35], 0
	s_mov_b32 s3, 0
	v_mfma_f32_16x16x16_bf16 v[6:9], v[8:9], v[36:37], v[44:47]
	s_waitcnt vmcnt(6) lgkmcnt(0)
	v_mfma_f32_16x16x16_bf16 v[6:9], v[2:3], v[38:39], v[6:9]
	v_mfma_f32_16x16x16_bf16 v[2:5], v[4:5], v[40:41], v[6:9]
	s_nop 5
	ds_read_b128 v[6:9], v49 offset:2048
	ds_read_b128 v[34:37], v49 offset:2064
	s_waitcnt vmcnt(5) lgkmcnt(1)
	v_mfma_f32_16x16x16_bf16 v[2:5], v[30:31], v[6:7], v[2:5]
	v_mfma_f32_16x16x16_bf16 v[2:5], v[32:33], v[8:9], v[2:5]
	s_waitcnt vmcnt(4) lgkmcnt(0)
	v_mfma_f32_16x16x16_bf16 v[2:5], v[26:27], v[34:35], v[2:5]
	v_mfma_f32_16x16x16_bf16 v[2:5], v[28:29], v[36:37], v[2:5]
	ds_read_b128 v[6:9], v49 offset:4096
	ds_read_b128 v[26:29], v49 offset:4112
	s_waitcnt vmcnt(3) lgkmcnt(1)
	v_mfma_f32_16x16x16_bf16 v[2:5], v[22:23], v[6:7], v[2:5]
	v_mfma_f32_16x16x16_bf16 v[2:5], v[24:25], v[8:9], v[2:5]
	s_waitcnt vmcnt(2) lgkmcnt(0)
	v_mfma_f32_16x16x16_bf16 v[2:5], v[18:19], v[26:27], v[2:5]
	v_mfma_f32_16x16x16_bf16 v[2:5], v[20:21], v[28:29], v[2:5]
	ds_read_b128 v[6:9], v49 offset:6144
	ds_read_b128 v[18:21], v49 offset:6160
	s_waitcnt lgkmcnt(0)
	s_barrier
	s_waitcnt vmcnt(1)
	v_mfma_f32_16x16x16_bf16 v[2:5], v[14:15], v[6:7], v[2:5]
	v_mfma_f32_16x16x16_bf16 v[2:5], v[16:17], v[8:9], v[2:5]
	s_waitcnt vmcnt(0)
	v_mfma_f32_16x16x16_bf16 v[2:5], v[10:11], v[18:19], v[2:5]
	v_mfma_f32_16x16x16_bf16 v[2:5], v[12:13], v[20:21], v[2:5]
	s_nop 6
	v_bfe_u32 v6, v3, 16, 1
	v_bfe_u32 v7, v2, 16, 1
	;; [unrolled: 1-line block ×4, first 2 shown]
	v_add3_u32 v2, v2, v7, s8
	v_add3_u32 v3, v3, v6, s8
	;; [unrolled: 1-line block ×4, first 2 shown]
	v_perm_b32 v2, v3, v2, s9
	v_perm_b32 v3, v5, v4, s9
	ds_write_b64 v48, v[2:3]
	s_waitcnt lgkmcnt(0)
	s_barrier
	s_and_saveexec_b64 s[4:5], s[44:45]
	s_cbranch_execz .LBB555_21
; %bb.20:
	s_load_dwordx2 s[0:1], s[0:1], 0x68
	s_lshl_b32 s6, s6, 6
	s_mul_i32 s2, s7, s2
	s_mul_hi_u32 s5, s2, s6
	s_mul_i32 s4, s2, s6
	v_lshlrev_b32_e32 v2, 10, v0
	v_lshlrev_b32_e32 v0, 4, v0
	s_lshl_b64 s[4:5], s[4:5], 1
	v_and_b32_e32 v2, 0x1800, v2
	v_and_b32_e32 v0, 16, v0
	s_waitcnt lgkmcnt(0)
	s_add_u32 s4, s0, s4
	v_or3_b32 v0, v2, v52, v0
	s_addc_u32 s5, s1, s5
	s_lshl_b32 s2, s26, 6
	ds_read_b128 v[2:5], v0
	s_lshl_b64 s[0:1], s[2:3], 1
	s_add_u32 s0, s4, s0
	s_addc_u32 s1, s5, s1
	v_mad_u64_u32 v[0:1], s[2:3], s6, v1, 0
	v_lshl_add_u64 v[0:1], v[0:1], 1, s[0:1]
	v_lshl_add_u64 v[0:1], v[42:43], 1, v[0:1]
	s_waitcnt lgkmcnt(0)
	global_store_dwordx4 v[0:1], v[2:5], off
.LBB555_21:
	s_endpgm
	.section	.rodata,"a",@progbits
	.p2align	6, 0x0
	.amdhsa_kernel _Z39paged_attention_ll4mi_QKV_mfma16_kernelI14__hip_bfloat16S0_LN4vllm18Fp8KVCacheDataTypeE0ES0_Li32ELi64ELi256ELb1ELi4EEvPKT_PKT0_S8_ifPKiSA_SA_iPKfiiiPfSD_PS3_PT2_iSC_SC_
		.amdhsa_group_segment_fixed_size 8192
		.amdhsa_private_segment_fixed_size 0
		.amdhsa_kernarg_size 400
		.amdhsa_user_sgpr_count 2
		.amdhsa_user_sgpr_dispatch_ptr 0
		.amdhsa_user_sgpr_queue_ptr 0
		.amdhsa_user_sgpr_kernarg_segment_ptr 1
		.amdhsa_user_sgpr_dispatch_id 0
		.amdhsa_user_sgpr_kernarg_preload_length 0
		.amdhsa_user_sgpr_kernarg_preload_offset 0
		.amdhsa_user_sgpr_private_segment_size 0
		.amdhsa_uses_dynamic_stack 0
		.amdhsa_enable_private_segment 0
		.amdhsa_system_sgpr_workgroup_id_x 1
		.amdhsa_system_sgpr_workgroup_id_y 1
		.amdhsa_system_sgpr_workgroup_id_z 1
		.amdhsa_system_sgpr_workgroup_info 0
		.amdhsa_system_vgpr_workitem_id 0
		.amdhsa_next_free_vgpr 75
		.amdhsa_next_free_sgpr 46
		.amdhsa_accum_offset 76
		.amdhsa_reserve_vcc 1
		.amdhsa_float_round_mode_32 0
		.amdhsa_float_round_mode_16_64 0
		.amdhsa_float_denorm_mode_32 3
		.amdhsa_float_denorm_mode_16_64 3
		.amdhsa_dx10_clamp 1
		.amdhsa_ieee_mode 1
		.amdhsa_fp16_overflow 0
		.amdhsa_tg_split 0
		.amdhsa_exception_fp_ieee_invalid_op 0
		.amdhsa_exception_fp_denorm_src 0
		.amdhsa_exception_fp_ieee_div_zero 0
		.amdhsa_exception_fp_ieee_overflow 0
		.amdhsa_exception_fp_ieee_underflow 0
		.amdhsa_exception_fp_ieee_inexact 0
		.amdhsa_exception_int_div_zero 0
	.end_amdhsa_kernel
	.section	.text._Z39paged_attention_ll4mi_QKV_mfma16_kernelI14__hip_bfloat16S0_LN4vllm18Fp8KVCacheDataTypeE0ES0_Li32ELi64ELi256ELb1ELi4EEvPKT_PKT0_S8_ifPKiSA_SA_iPKfiiiPfSD_PS3_PT2_iSC_SC_,"axG",@progbits,_Z39paged_attention_ll4mi_QKV_mfma16_kernelI14__hip_bfloat16S0_LN4vllm18Fp8KVCacheDataTypeE0ES0_Li32ELi64ELi256ELb1ELi4EEvPKT_PKT0_S8_ifPKiSA_SA_iPKfiiiPfSD_PS3_PT2_iSC_SC_,comdat
.Lfunc_end555:
	.size	_Z39paged_attention_ll4mi_QKV_mfma16_kernelI14__hip_bfloat16S0_LN4vllm18Fp8KVCacheDataTypeE0ES0_Li32ELi64ELi256ELb1ELi4EEvPKT_PKT0_S8_ifPKiSA_SA_iPKfiiiPfSD_PS3_PT2_iSC_SC_, .Lfunc_end555-_Z39paged_attention_ll4mi_QKV_mfma16_kernelI14__hip_bfloat16S0_LN4vllm18Fp8KVCacheDataTypeE0ES0_Li32ELi64ELi256ELb1ELi4EEvPKT_PKT0_S8_ifPKiSA_SA_iPKfiiiPfSD_PS3_PT2_iSC_SC_
                                        ; -- End function
	.section	.AMDGPU.csdata,"",@progbits
; Kernel info:
; codeLenInByte = 4304
; NumSgprs: 52
; NumVgprs: 75
; NumAgprs: 0
; TotalNumVgprs: 75
; ScratchSize: 0
; MemoryBound: 0
; FloatMode: 240
; IeeeMode: 1
; LDSByteSize: 8192 bytes/workgroup (compile time only)
; SGPRBlocks: 6
; VGPRBlocks: 9
; NumSGPRsForWavesPerEU: 52
; NumVGPRsForWavesPerEU: 75
; AccumOffset: 76
; Occupancy: 6
; WaveLimiterHint : 1
; COMPUTE_PGM_RSRC2:SCRATCH_EN: 0
; COMPUTE_PGM_RSRC2:USER_SGPR: 2
; COMPUTE_PGM_RSRC2:TRAP_HANDLER: 0
; COMPUTE_PGM_RSRC2:TGID_X_EN: 1
; COMPUTE_PGM_RSRC2:TGID_Y_EN: 1
; COMPUTE_PGM_RSRC2:TGID_Z_EN: 1
; COMPUTE_PGM_RSRC2:TIDIG_COMP_CNT: 0
; COMPUTE_PGM_RSRC3_GFX90A:ACCUM_OFFSET: 18
; COMPUTE_PGM_RSRC3_GFX90A:TG_SPLIT: 0
	.section	.text._Z38paged_attention_ll4mi_QKV_mfma4_kernelI14__hip_bfloat16S0_LN4vllm18Fp8KVCacheDataTypeE0ES0_Li32ELi64ELi256ELb0ELi1EEvPKT_PKT0_S8_ifPKiSA_SA_iPKfiiiPfSD_PS3_PT2_iSC_SC_,"axG",@progbits,_Z38paged_attention_ll4mi_QKV_mfma4_kernelI14__hip_bfloat16S0_LN4vllm18Fp8KVCacheDataTypeE0ES0_Li32ELi64ELi256ELb0ELi1EEvPKT_PKT0_S8_ifPKiSA_SA_iPKfiiiPfSD_PS3_PT2_iSC_SC_,comdat
	.protected	_Z38paged_attention_ll4mi_QKV_mfma4_kernelI14__hip_bfloat16S0_LN4vllm18Fp8KVCacheDataTypeE0ES0_Li32ELi64ELi256ELb0ELi1EEvPKT_PKT0_S8_ifPKiSA_SA_iPKfiiiPfSD_PS3_PT2_iSC_SC_ ; -- Begin function _Z38paged_attention_ll4mi_QKV_mfma4_kernelI14__hip_bfloat16S0_LN4vllm18Fp8KVCacheDataTypeE0ES0_Li32ELi64ELi256ELb0ELi1EEvPKT_PKT0_S8_ifPKiSA_SA_iPKfiiiPfSD_PS3_PT2_iSC_SC_
	.globl	_Z38paged_attention_ll4mi_QKV_mfma4_kernelI14__hip_bfloat16S0_LN4vllm18Fp8KVCacheDataTypeE0ES0_Li32ELi64ELi256ELb0ELi1EEvPKT_PKT0_S8_ifPKiSA_SA_iPKfiiiPfSD_PS3_PT2_iSC_SC_
	.p2align	8
	.type	_Z38paged_attention_ll4mi_QKV_mfma4_kernelI14__hip_bfloat16S0_LN4vllm18Fp8KVCacheDataTypeE0ES0_Li32ELi64ELi256ELb0ELi1EEvPKT_PKT0_S8_ifPKiSA_SA_iPKfiiiPfSD_PS3_PT2_iSC_SC_,@function
_Z38paged_attention_ll4mi_QKV_mfma4_kernelI14__hip_bfloat16S0_LN4vllm18Fp8KVCacheDataTypeE0ES0_Li32ELi64ELi256ELb0ELi1EEvPKT_PKT0_S8_ifPKiSA_SA_iPKfiiiPfSD_PS3_PT2_iSC_SC_: ; @_Z38paged_attention_ll4mi_QKV_mfma4_kernelI14__hip_bfloat16S0_LN4vllm18Fp8KVCacheDataTypeE0ES0_Li32ELi64ELi256ELb0ELi1EEvPKT_PKT0_S8_ifPKiSA_SA_iPKfiiiPfSD_PS3_PT2_iSC_SC_
; %bb.0:
	s_load_dwordx2 s[16:17], s[0:1], 0x30
	s_mov_b32 s20, s3
	s_mov_b64 s[6:7], 0
	s_waitcnt lgkmcnt(0)
	s_cmp_lg_u64 s[16:17], 0
	s_cselect_b64 s[18:19], -1, 0
	s_and_b64 vcc, exec, s[18:19]
	s_cbranch_vccz .LBB556_10
; %bb.1:
	s_add_i32 s8, s2, 1
	s_mov_b32 s9, 0
	s_lshl_b64 s[10:11], s[8:9], 2
	s_add_u32 s10, s16, s10
	s_mov_b32 s3, s9
	s_addc_u32 s11, s17, s11
	s_lshl_b64 s[8:9], s[2:3], 2
	s_add_u32 s8, s16, s8
	s_addc_u32 s9, s17, s9
	s_load_dword s5, s[10:11], 0x0
	s_load_dword s12, s[8:9], 0x0
	s_waitcnt lgkmcnt(0)
	s_sub_i32 s5, s5, s12
	s_cmp_eq_u32 s5, 1
	s_cselect_b64 s[8:9], -1, 0
	s_andn2_b64 vcc, exec, s[6:7]
	s_cbranch_vccnz .LBB556_3
.LBB556_2:
	s_mov_b32 s3, 0
	s_mov_b64 s[8:9], -1
.LBB556_3:
	s_andn2_b64 vcc, exec, s[8:9]
	s_cbranch_vccnz .LBB556_23
; %bb.4:
	s_load_dword s5, s[0:1], 0x9c
	s_load_dwordx2 s[6:7], s[0:1], 0x28
	s_add_u32 s24, s0, 0x90
	s_addc_u32 s25, s1, 0
	s_lshl_b64 s[28:29], s[2:3], 2
	s_waitcnt lgkmcnt(0)
	s_and_b32 s5, s5, 0xffff
	s_add_u32 s6, s6, s28
	s_addc_u32 s7, s7, s29
	s_load_dword s3, s[6:7], 0x0
	s_mul_i32 s10, s20, s5
	s_waitcnt lgkmcnt(0)
	s_cmp_ge_i32 s10, s3
	s_cbranch_scc1 .LBB556_23
; %bb.5:
	v_and_b32_e32 v2, 0xc0, v0
	v_add_u32_e32 v2, s10, v2
	v_lshrrev_b32_e32 v1, 6, v0
	v_cmp_gt_i32_e64 s[6:7], s3, v2
	v_cmp_le_i32_e32 vcc, s3, v2
                                        ; implicit-def: $sgpr21
                                        ; implicit-def: $sgpr11
	s_and_saveexec_b64 s[8:9], vcc
	s_xor_b64 s[8:9], exec, s[8:9]
	s_cbranch_execz .LBB556_7
; %bb.6:
	v_mul_u32_u24_e32 v2, 20, v1
	v_or_b32_e32 v2, 0xa00, v2
	v_mov_b32_e32 v3, 0xa50
	v_mov_b32_e32 v4, 0xff7fffff
	v_mad_u32_u24 v3, v1, 20, v3
	ds_write2_b32 v2, v4, v4 offset1:1
	v_mov_b32_e32 v2, 0
	ds_write2_b32 v3, v2, v2 offset1:1
	v_mov_b32_e32 v3, 0xa08
	s_mov_b32 s11, 0xff7fffff
	s_mov_b32 s21, 0
	v_mad_u32_u24 v3, v1, 20, v3
	v_mov_b32_e32 v5, 0xa58
	v_mad_u32_u24 v5, v1, 20, v5
	ds_write2_b32 v3, v4, v4 offset1:1
	ds_write2_b32 v5, v2, v2 offset1:1
                                        ; implicit-def: $vgpr2
.LBB556_7:
	s_or_saveexec_b64 s[26:27], s[8:9]
	s_load_dwordx2 s[22:23], s[0:1], 0x68
	s_load_dwordx4 s[12:15], s[0:1], 0x58
	s_load_dword s5, s[24:25], 0x4
	v_and_b32_e32 v40, 63, v0
	v_and_b32_e32 v39, 3, v0
	v_mov_b32_e32 v37, s21
	v_mov_b32_e32 v41, s11
	v_mov_b32_e32 v36, s21
	v_mov_b32_e32 v35, s21
	v_mov_b32_e32 v34, s21
                                        ; implicit-def: $vgpr3
                                        ; implicit-def: $vgpr7
                                        ; implicit-def: $vgpr11
                                        ; implicit-def: $vgpr15
                                        ; implicit-def: $vgpr19
                                        ; implicit-def: $vgpr23
                                        ; implicit-def: $vgpr27
                                        ; implicit-def: $vgpr31
	s_xor_b64 exec, exec, s[26:27]
	s_cbranch_execz .LBB556_17
; %bb.8:
	s_add_i32 s21, s3, 31
	s_load_dwordx2 s[8:9], s[0:1], 0x20
	s_load_dword s11, s[0:1], 0x38
	s_ashr_i32 s30, s21, 31
	s_lshr_b32 s30, s30, 27
	v_add_u32_e32 v38, s10, v0
	s_add_i32 s21, s21, s30
	v_ashrrev_i32_e32 v3, 31, v38
	s_ashr_i32 s21, s21, 5
	v_lshrrev_b32_e32 v3, 27, v3
	s_add_i32 s21, s21, -1
	v_add_u32_e32 v3, v38, v3
	s_waitcnt lgkmcnt(0)
	s_mul_i32 s30, s2, s11
	s_mov_b32 s31, 0
	v_ashrrev_i32_e32 v3, 5, v3
	v_mov_b32_e32 v4, s21
	v_cmp_gt_i32_e32 vcc, s3, v38
	s_lshl_b64 s[30:31], s[30:31], 2
	s_add_u32 s8, s8, s30
	v_cndmask_b32_e32 v4, v4, v3, vcc
	v_ashrrev_i32_e32 v3, 31, v2
	v_lshrrev_b32_e32 v3, 27, v3
	s_addc_u32 s9, s9, s31
	v_ashrrev_i32_e32 v5, 31, v4
	v_add_u32_e32 v2, v2, v3
	v_lshl_add_u64 v[6:7], v[4:5], 2, s[8:9]
	v_ashrrev_i32_e32 v4, 5, v2
	v_min_i32_e32 v2, s21, v4
	v_ashrrev_i32_e32 v3, 31, v2
	v_lshl_add_u64 v[8:9], v[2:3], 2, s[8:9]
	v_add_u32_e32 v2, 1, v4
	v_min_i32_e32 v2, s21, v2
	v_ashrrev_i32_e32 v3, 31, v2
	v_lshl_add_u64 v[10:11], v[2:3], 2, s[8:9]
	global_load_dword v2, v[6:7], off
	global_load_dword v5, v[8:9], off
	;; [unrolled: 1-line block ×3, first 2 shown]
	s_load_dwordx4 s[8:11], s[0:1], 0x8
	s_andn2_b64 vcc, exec, s[18:19]
	s_cbranch_vccnz .LBB556_11
; %bb.9:
	s_add_u32 s16, s16, s28
	s_addc_u32 s17, s17, s29
	s_load_dword s21, s[16:17], 0x0
	s_branch .LBB556_12
.LBB556_10:
	s_mov_b64 s[8:9], 0
	s_branch .LBB556_2
.LBB556_11:
	s_mov_b32 s21, s2
.LBB556_12:
	s_load_dwordx4 s[16:19], s[0:1], 0x48
	v_cmp_eq_u32_e32 vcc, 0, v39
	s_mov_b32 s29, 0
	v_mov_b32_e32 v41, 0
	v_mov_b32_e32 v3, 0
	v_mov_b32_e32 v34, 0
	v_mov_b32_e32 v35, 0
	v_mov_b32_e32 v36, 0
	v_mov_b32_e32 v37, 0
	s_and_saveexec_b64 s[30:31], vcc
	s_cbranch_execz .LBB556_14
; %bb.13:
	s_load_dwordx2 s[34:35], s[0:1], 0x0
	s_waitcnt lgkmcnt(0)
	s_ashr_i32 s19, s16, 31
	s_mul_hi_u32 s28, s21, s16
	s_mul_i32 s19, s21, s19
	s_add_i32 s37, s28, s19
	s_mul_i32 s36, s21, s16
	s_lshl_b64 s[36:37], s[36:37], 1
	s_add_u32 s16, s34, s36
	s_addc_u32 s19, s35, s37
	s_lshl_b32 s28, s4, 6
	s_lshl_b64 s[34:35], s[28:29], 1
	s_add_u32 s34, s16, s34
	s_addc_u32 s35, s19, s35
	v_lshlrev_b32_e32 v6, 2, v40
	global_load_dwordx4 v[34:37], v6, s[34:35]
	v_mov_b32_e32 v41, 1.0
.LBB556_14:
	s_or_b64 exec, exec, s[30:31]
	s_waitcnt lgkmcnt(0)
	s_mul_i32 s28, s4, s18
	s_lshl_b64 s[18:19], s[28:29], 1
	s_add_u32 s8, s18, s8
	s_waitcnt vmcnt(2)
	v_mad_i64_i32 v[6:7], s[30:31], v2, s17, 0
	s_addc_u32 s9, s19, s9
	v_and_b32_e32 v2, 31, v0
	v_lshl_add_u64 v[6:7], v[6:7], 1, s[8:9]
	v_lshlrev_b32_e32 v2, 4, v2
	v_lshl_add_u64 v[30:31], v[6:7], 0, v[2:3]
	global_load_dwordx4 v[6:9], v[30:31], off
	global_load_dwordx4 v[10:13], v[30:31], off offset:512
	global_load_dwordx4 v[14:17], v[30:31], off offset:1024
	;; [unrolled: 1-line block ×7, first 2 shown]
	s_waitcnt vmcnt(9)
	v_mul_hi_i32 v2, v5, s17
	s_add_u32 s8, s10, s18
	s_waitcnt vmcnt(8)
	v_mul_hi_i32 v30, v4, s17
	v_ashrrev_i32_e32 v32, 31, v2
	s_addc_u32 s9, s11, s19
	v_lshlrev_b32_e32 v2, 6, v40
	v_ashrrev_i32_e32 v33, 31, v30
	v_lshl_add_u64 v[30:31], s[8:9], 0, v[2:3]
	v_lshrrev_b32_e32 v2, 29, v32
	s_load_dword s0, s[0:1], 0x1c
	v_cmp_eq_u32_e32 vcc, 1, v39
	v_and_b32_e32 v55, -4, v38
	v_or_b32_e32 v38, 3, v38
	v_cndmask_b32_e64 v52, 0, 1.0, vcc
	v_cmp_eq_u32_e32 vcc, 2, v39
	v_cmp_gt_i32_e64 s[10:11], s3, v38
	v_lshlrev_b32_e32 v56, 2, v0
	v_cndmask_b32_e64 v53, 0, 1.0, vcc
	v_cmp_eq_u32_e32 vcc, 3, v39
	s_waitcnt vmcnt(7)
	v_mfma_f32_4x4x4_16b_bf16 a[0:3], v[34:35], v[6:7], 0 cbsz:4
	v_mad_i64_i32 v[6:7], s[8:9], v5, s17, v[2:3]
	s_nop 0
	v_mfma_f32_4x4x4_16b_bf16 a[0:3], v[36:37], v[8:9], a[0:3] cbsz:4
	v_lshrrev_b32_e32 v2, 29, v33
	v_mad_i64_i32 v[2:3], s[8:9], v4, s17, v[2:3]
	s_waitcnt vmcnt(6)
	v_mfma_f32_4x4x4_16b_bf16 a[0:3], v[34:35], v[10:11], a[0:3] cbsz:4 abid:1
	v_lshlrev_b64 v[6:7], 1, v[6:7]
	v_lshlrev_b64 v[32:33], 1, v[2:3]
	v_mfma_f32_4x4x4_16b_bf16 a[0:3], v[36:37], v[12:13], a[0:3] cbsz:4 abid:1
	v_and_b32_e32 v6, -16, v6
	v_and_b32_e32 v32, -16, v32
	s_waitcnt vmcnt(5)
	v_mfma_f32_4x4x4_16b_bf16 a[0:3], v[34:35], v[14:15], a[0:3] cbsz:4 abid:2
	v_lshl_add_u64 v[50:51], v[30:31], 0, v[32:33]
	v_cndmask_b32_e64 v54, 0, 1.0, vcc
	v_mfma_f32_4x4x4_16b_bf16 a[0:3], v[36:37], v[16:17], a[0:3] cbsz:4 abid:2
	v_cmp_gt_i32_e32 vcc, s3, v55
	s_waitcnt vmcnt(4)
	v_mfma_f32_4x4x4_16b_bf16 a[0:3], v[34:35], v[18:19], a[0:3] cbsz:4 abid:3
	v_lshl_add_u64 v[18:19], v[30:31], 0, v[6:7]
	global_load_dwordx4 v[2:5], v[18:19], off
	global_load_dwordx4 v[6:9], v[18:19], off offset:16
	v_mfma_f32_4x4x4_16b_bf16 a[0:3], v[36:37], v[20:21], a[0:3] cbsz:4 abid:3
	global_load_dwordx4 v[10:13], v[18:19], off offset:32
	global_load_dwordx4 v[14:17], v[18:19], off offset:48
	s_waitcnt vmcnt(7)
	v_mfma_f32_4x4x4_16b_bf16 a[0:3], v[34:35], v[22:23], a[0:3] cbsz:4 abid:4
	s_nop 1
	v_mfma_f32_4x4x4_16b_bf16 a[0:3], v[36:37], v[24:25], a[0:3] cbsz:4 abid:4
	global_load_dwordx4 v[18:21], v[50:51], off
	global_load_dwordx4 v[22:25], v[50:51], off offset:16
	s_waitcnt vmcnt(8)
	v_mfma_f32_4x4x4_16b_bf16 a[0:3], v[34:35], v[26:27], a[0:3] cbsz:4 abid:5
	s_nop 1
	v_mfma_f32_4x4x4_16b_bf16 a[0:3], v[36:37], v[28:29], a[0:3] cbsz:4 abid:5
	global_load_dwordx4 v[26:29], v[50:51], off offset:32
	global_load_dwordx4 v[30:33], v[50:51], off offset:48
	s_waitcnt vmcnt(9)
	v_mfma_f32_4x4x4_16b_bf16 a[0:3], v[34:35], v[42:43], a[0:3] cbsz:4 abid:6
	v_mov_b32_e32 v42, 0xff7fffff
	v_and_or_b32 v43, v56, 48, v39
	v_mfma_f32_4x4x4_16b_bf16 a[0:3], v[36:37], v[44:45], a[0:3] cbsz:4 abid:6
	v_lshlrev_b32_e32 v43, 2, v43
	s_waitcnt vmcnt(8)
	v_mfma_f32_4x4x4_16b_bf16 a[0:3], v[34:35], v[46:47], a[0:3] cbsz:4 abid:7
	s_nop 1
	v_mfma_f32_4x4x4_16b_bf16 a[0:3], v[36:37], v[48:49], a[0:3] cbsz:4 abid:7
	s_nop 4
	v_accvgpr_read_b32 v35, a1
	v_accvgpr_read_b32 v34, a0
	s_waitcnt lgkmcnt(0)
	v_pk_mul_f32 v[34:35], s[0:1], v[34:35] op_sel_hi:[0,1]
	v_accvgpr_read_b32 v37, a3
	v_accvgpr_read_b32 v36, a2
	v_pk_mul_f32 v[36:37], s[0:1], v[36:37] op_sel_hi:[0,1]
	v_mfma_f32_4x4x1_16b_f32 a[0:3], v34, v41, 0
	v_or_b32_e32 v34, 1, v55
	s_nop 0
	v_mfma_f32_4x4x1_16b_f32 a[0:3], v35, v52, a[0:3]
	v_cmp_gt_i32_e64 s[0:1], s3, v34
	v_or_b32_e32 v35, 2, v55
	v_mfma_f32_4x4x1_16b_f32 a[0:3], v36, v53, a[0:3]
	v_cmp_gt_i32_e64 s[8:9], s3, v35
	s_nop 0
	v_mfma_f32_4x4x1_16b_f32 a[0:3], v37, v54, a[0:3]
	s_nop 3
	v_accvgpr_read_b32 v36, a0
	v_max_f32_e32 v41, v36, v36
	v_accvgpr_read_b32 v37, a1
	v_max_f32_e32 v41, 0xff7fffff, v41
	v_max_f32_e32 v46, v37, v37
	v_cndmask_b32_e32 v41, v42, v41, vcc
	v_accvgpr_read_b32 v44, a2
	v_max_f32_e32 v42, v41, v46
	v_max_f32_e32 v47, v44, v44
	v_cndmask_b32_e64 v34, v41, v42, s[0:1]
	v_accvgpr_read_b32 v45, a3
	v_max_f32_e32 v41, v34, v47
	v_max_f32_e32 v48, v45, v45
	v_cndmask_b32_e64 v34, v34, v41, s[8:9]
	v_max_f32_e32 v35, v34, v48
	v_cndmask_b32_e64 v34, v34, v35, s[10:11]
	;;#ASMSTART
	v_nop
 v_nop
 v_max_f32_dpp v34, v34, v34 row_ror:4
	;;#ASMEND
	s_nop 0
	;;#ASMSTART
	v_nop
 v_nop
 v_max_f32_dpp v34, v34, v34 row_ror:8
	;;#ASMEND
	ds_bpermute_b32 v34, v43, v34
	s_waitcnt lgkmcnt(0)
	;;#ASMSTART
	v_nop
 v_nop
 v_max_f32_dpp v34, v34, v34 row_ror:4
	;;#ASMEND
	s_nop 0
	;;#ASMSTART
	v_nop
 v_nop
 v_max_f32_dpp v41, v34, v34 row_ror:8
	;;#ASMEND
	s_nop 0
	v_sub_f32_e32 v34, v36, v41
	v_sub_f32_e32 v35, v37, v41
	v_mul_f32_e32 v34, 0x3fb8aa3b, v34
	v_sub_f32_e32 v36, v44, v41
	v_mul_f32_e32 v35, 0x3fb8aa3b, v35
	v_exp_f32_e32 v34, v34
	v_sub_f32_e32 v37, v45, v41
	v_mul_f32_e32 v36, 0x3fb8aa3b, v36
	v_exp_f32_e32 v35, v35
	v_mul_f32_e32 v37, 0x3fb8aa3b, v37
	v_exp_f32_e32 v36, v36
	v_exp_f32_e32 v37, v37
	v_cndmask_b32_e32 v34, 0, v34, vcc
	v_cndmask_b32_e64 v35, 0, v35, s[0:1]
	v_add_f32_e32 v38, 0, v34
	v_cndmask_b32_e64 v36, 0, v36, s[8:9]
	v_add_f32_e32 v38, v38, v35
	;; [unrolled: 2-line block ×3, first 2 shown]
	v_add_f32_e32 v38, v38, v37
	;;#ASMSTART
	v_nop
 v_nop
 v_add_f32_dpp v38, v38, v38 row_ror:4
	;;#ASMEND
	v_cmp_gt_u32_e32 vcc, 4, v40
	;;#ASMSTART
	v_nop
 v_nop
 v_add_f32_dpp v38, v38, v38 row_ror:8
	;;#ASMEND
	ds_bpermute_b32 v38, v43, v38
	s_waitcnt lgkmcnt(0)
	;;#ASMSTART
	v_nop
 v_nop
 v_add_f32_dpp v38, v38, v38 row_ror:4
	;;#ASMEND
	s_nop 0
	;;#ASMSTART
	v_nop
 v_nop
 v_add_f32_dpp v38, v38, v38 row_ror:8
	;;#ASMEND
	s_and_saveexec_b64 s[0:1], vcc
	s_cbranch_execz .LBB556_16
; %bb.15:
	v_mul_u32_u24_e32 v42, 20, v1
	v_lshl_add_u32 v42, v39, 2, v42
	v_add_u32_e32 v42, 0x800, v42
	ds_write2_b32 v42, v41, v38 offset0:128 offset1:148
.LBB556_16:
	s_or_b64 exec, exec, s[0:1]
.LBB556_17:
	s_or_b64 exec, exec, s[26:27]
	s_waitcnt lgkmcnt(0)
	s_barrier
	s_load_dword s0, s[24:25], 0x8
	v_lshlrev_b32_e32 v38, 2, v39
	v_add_u32_e32 v43, 0x800, v38
	ds_read2_b32 v[44:45], v43 offset0:128 offset1:133
	ds_read2_b32 v[46:47], v43 offset0:138 offset1:143
	s_mul_i32 s1, s5, s2
	s_waitcnt lgkmcnt(0)
	s_mul_i32 s0, s1, s0
	s_mov_b32 s1, 0xff7fffff
	v_max3_f32 v38, v44, s1, v45
	v_max3_f32 v42, v38, v46, v47
	v_sub_f32_e32 v38, v44, v42
	v_sub_f32_e32 v44, v45, v42
	v_mul_f32_e32 v44, 0x3fb8aa3b, v44
	ds_read2_b32 v[48:49], v43 offset0:148 offset1:153
	v_mul_f32_e32 v38, 0x3fb8aa3b, v38
	v_exp_f32_e32 v51, v44
	ds_read2_b32 v[44:45], v43 offset0:158 offset1:163
	v_sub_f32_e32 v43, v46, v42
	v_exp_f32_e32 v50, v38
	v_mul_f32_e32 v43, 0x3fb8aa3b, v43
	v_exp_f32_e32 v46, v43
	v_sub_f32_e32 v43, v47, v42
	v_mul_f32_e32 v43, 0x3fb8aa3b, v43
	v_exp_f32_e32 v47, v43
	s_waitcnt lgkmcnt(1)
	v_fma_f32 v43, v50, v48, 0
	v_fmac_f32_e32 v43, v51, v49
	s_waitcnt lgkmcnt(0)
	v_fmac_f32_e32 v43, v46, v44
	v_mov_b32_e32 v38, 0
	v_fmac_f32_e32 v43, v47, v45
	s_mov_b32 s1, 0
	v_cmp_eq_u32_e32 vcc, 0, v39
	s_and_saveexec_b64 s[2:3], vcc
	s_cbranch_execz .LBB556_19
; %bb.18:
	s_lshl_b64 s[8:9], s[0:1], 2
	s_add_u32 s12, s12, s8
	s_mov_b32 s21, s1
	s_addc_u32 s13, s13, s9
	s_lshl_b64 s[10:11], s[20:21], 2
	s_add_u32 s12, s12, s10
	s_addc_u32 s13, s13, s11
	s_add_u32 s8, s14, s8
	s_addc_u32 s9, s15, s9
	;; [unrolled: 2-line block ×3, first 2 shown]
	s_mul_i32 s8, s5, s4
	s_mov_b32 s9, s1
	s_lshl_b64 s[8:9], s[8:9], 2
	s_add_u32 s10, s12, s8
	s_addc_u32 s11, s13, s9
	s_add_u32 s8, s14, s8
	s_addc_u32 s9, s15, s9
	global_store_dword v38, v42, s[8:9]
	global_store_dword v38, v43, s[10:11]
.LBB556_19:
	s_or_b64 exec, exec, s[2:3]
	v_mov_b32_e32 v39, 0
	s_and_saveexec_b64 s[2:3], s[6:7]
	s_cbranch_execz .LBB556_21
; %bb.20:
	v_add_f32_e32 v38, 0x358637bd, v43
	v_div_scale_f32 v39, s[6:7], v38, v38, 1.0
	v_rcp_f32_e32 v43, v39
	v_div_scale_f32 v44, vcc, 1.0, v38, 1.0
	v_sub_f32_e32 v41, v41, v42
	v_fma_f32 v45, -v39, v43, 1.0
	v_fmac_f32_e32 v43, v45, v43
	v_mul_f32_e32 v45, v44, v43
	v_fma_f32 v46, -v39, v45, v44
	v_mul_f32_e32 v41, 0x3fb8aa3b, v41
	v_fmac_f32_e32 v45, v46, v43
	v_exp_f32_e32 v41, v41
	v_fma_f32 v39, -v39, v45, v44
	v_div_fmas_f32 v39, v39, v43, v45
	v_div_fixup_f32 v38, v39, v38, 1.0
	v_mul_f32_e32 v38, v41, v38
	v_pk_mul_f32 v[34:35], v[34:35], v[38:39] op_sel_hi:[1,0]
	v_pk_mul_f32 v[36:37], v[36:37], v[38:39] op_sel_hi:[1,0]
	v_bfe_u32 v38, v35, 16, 1
	v_bfe_u32 v39, v34, 16, 1
	s_movk_i32 s1, 0x7fff
	v_add3_u32 v34, v34, v39, s1
	v_add3_u32 v35, v35, v38, s1
	s_mov_b32 s6, 0x7060302
	v_perm_b32 v34, v35, v34, s6
	v_bfe_u32 v35, v37, 16, 1
	v_bfe_u32 v38, v36, 16, 1
	v_add3_u32 v36, v36, v38, s1
	v_add3_u32 v35, v37, v35, s1
	v_perm_b32 v35, v35, v36, s6
	s_waitcnt vmcnt(7)
	s_nop 0
	v_mfma_f32_4x4x4_16b_bf16 a[0:3], v[34:35], v[2:3], 0 cbsz:4
	s_nop 1
	v_mfma_f32_4x4x4_16b_bf16 a[0:3], v[34:35], v[4:5], a[0:3] cbsz:4 abid:1
	s_waitcnt vmcnt(6)
	s_nop 0
	v_mfma_f32_4x4x4_16b_bf16 a[0:3], v[34:35], v[6:7], a[0:3] cbsz:4 abid:2
	s_nop 1
	v_mfma_f32_4x4x4_16b_bf16 a[0:3], v[34:35], v[8:9], a[0:3] cbsz:4 abid:3
	s_waitcnt vmcnt(5)
	s_nop 0
	v_mfma_f32_4x4x4_16b_bf16 a[0:3], v[34:35], v[10:11], a[0:3] cbsz:4 abid:4
	;; [unrolled: 5-line block ×7, first 2 shown]
	s_nop 1
	v_mfma_f32_4x4x4_16b_bf16 a[0:3], v[34:35], v[32:33], a[0:3] cbsz:4 abid:15
	s_nop 4
	v_accvgpr_read_b32 v5, a1
	v_accvgpr_read_b32 v2, a2
	;; [unrolled: 1-line block ×4, first 2 shown]
	v_bfe_u32 v6, v5, 16, 1
	v_bfe_u32 v7, v4, 16, 1
	;; [unrolled: 1-line block ×3, first 2 shown]
	v_add3_u32 v5, v5, v6, s1
	v_bfe_u32 v6, v2, 16, 1
	v_add3_u32 v4, v4, v7, s1
	v_add3_u32 v2, v2, v6, s1
	;; [unrolled: 1-line block ×3, first 2 shown]
	v_perm_b32 v39, v3, v2, s6
	v_perm_b32 v38, v5, v4, s6
.LBB556_21:
	s_or_b64 exec, exec, s[2:3]
	v_lshlrev_b32_e32 v1, 3, v1
	v_mad_u32_u24 v1, v40, 40, v1
	v_cmp_gt_u32_e32 vcc, 64, v0
	ds_write_b64 v1, v[38:39]
	s_waitcnt lgkmcnt(0)
	s_barrier
	s_and_saveexec_b64 s[2:3], vcc
	s_cbranch_execz .LBB556_23
; %bb.22:
	s_waitcnt vmcnt(6)
	v_mul_u32_u24_e32 v6, 40, v40
	ds_read2_b64 v[2:5], v6 offset1:1
	ds_read2_b64 v[6:9], v6 offset0:2 offset1:3
	s_lshl_b32 s0, s0, 6
	s_mov_b32 s1, 0
	s_lshl_b64 s[2:3], s[0:1], 1
	s_waitcnt lgkmcnt(1)
	v_lshlrev_b32_e32 v2, 16, v2
	v_add_f32_e32 v2, 0, v2
	s_add_u32 s2, s22, s2
	v_and_b32_e32 v2, 0xffff0000, v2
	v_lshlrev_b32_e32 v3, 16, v4
	s_addc_u32 s3, s23, s3
	s_lshl_b32 s0, s20, 6
	v_add_f32_e32 v2, v2, v3
	s_lshl_b64 s[0:1], s[0:1], 1
	v_and_b32_e32 v2, 0xffff0000, v2
	s_waitcnt lgkmcnt(0)
	v_lshlrev_b32_e32 v3, 16, v6
	s_add_u32 s0, s2, s0
	s_mul_i32 s4, s4, s5
	v_add_f32_e32 v2, v2, v3
	s_addc_u32 s1, s3, s1
	v_lshl_or_b32 v0, s4, 6, v0
	v_mov_b32_e32 v1, 0
	v_and_b32_e32 v2, 0xffff0000, v2
	v_lshlrev_b32_e32 v3, 16, v8
	v_lshl_add_u64 v[0:1], v[0:1], 1, s[0:1]
	v_add_f32_e32 v2, v2, v3
	global_store_short_d16_hi v[0:1], v2, off
.LBB556_23:
	s_endpgm
	.section	.rodata,"a",@progbits
	.p2align	6, 0x0
	.amdhsa_kernel _Z38paged_attention_ll4mi_QKV_mfma4_kernelI14__hip_bfloat16S0_LN4vllm18Fp8KVCacheDataTypeE0ES0_Li32ELi64ELi256ELb0ELi1EEvPKT_PKT0_S8_ifPKiSA_SA_iPKfiiiPfSD_PS3_PT2_iSC_SC_
		.amdhsa_group_segment_fixed_size 2720
		.amdhsa_private_segment_fixed_size 0
		.amdhsa_kernarg_size 400
		.amdhsa_user_sgpr_count 2
		.amdhsa_user_sgpr_dispatch_ptr 0
		.amdhsa_user_sgpr_queue_ptr 0
		.amdhsa_user_sgpr_kernarg_segment_ptr 1
		.amdhsa_user_sgpr_dispatch_id 0
		.amdhsa_user_sgpr_kernarg_preload_length 0
		.amdhsa_user_sgpr_kernarg_preload_offset 0
		.amdhsa_user_sgpr_private_segment_size 0
		.amdhsa_uses_dynamic_stack 0
		.amdhsa_enable_private_segment 0
		.amdhsa_system_sgpr_workgroup_id_x 1
		.amdhsa_system_sgpr_workgroup_id_y 1
		.amdhsa_system_sgpr_workgroup_id_z 1
		.amdhsa_system_sgpr_workgroup_info 0
		.amdhsa_system_vgpr_workitem_id 0
		.amdhsa_next_free_vgpr 64
		.amdhsa_next_free_sgpr 38
		.amdhsa_accum_offset 60
		.amdhsa_reserve_vcc 1
		.amdhsa_float_round_mode_32 0
		.amdhsa_float_round_mode_16_64 0
		.amdhsa_float_denorm_mode_32 3
		.amdhsa_float_denorm_mode_16_64 3
		.amdhsa_dx10_clamp 1
		.amdhsa_ieee_mode 1
		.amdhsa_fp16_overflow 0
		.amdhsa_tg_split 0
		.amdhsa_exception_fp_ieee_invalid_op 0
		.amdhsa_exception_fp_denorm_src 0
		.amdhsa_exception_fp_ieee_div_zero 0
		.amdhsa_exception_fp_ieee_overflow 0
		.amdhsa_exception_fp_ieee_underflow 0
		.amdhsa_exception_fp_ieee_inexact 0
		.amdhsa_exception_int_div_zero 0
	.end_amdhsa_kernel
	.section	.text._Z38paged_attention_ll4mi_QKV_mfma4_kernelI14__hip_bfloat16S0_LN4vllm18Fp8KVCacheDataTypeE0ES0_Li32ELi64ELi256ELb0ELi1EEvPKT_PKT0_S8_ifPKiSA_SA_iPKfiiiPfSD_PS3_PT2_iSC_SC_,"axG",@progbits,_Z38paged_attention_ll4mi_QKV_mfma4_kernelI14__hip_bfloat16S0_LN4vllm18Fp8KVCacheDataTypeE0ES0_Li32ELi64ELi256ELb0ELi1EEvPKT_PKT0_S8_ifPKiSA_SA_iPKfiiiPfSD_PS3_PT2_iSC_SC_,comdat
.Lfunc_end556:
	.size	_Z38paged_attention_ll4mi_QKV_mfma4_kernelI14__hip_bfloat16S0_LN4vllm18Fp8KVCacheDataTypeE0ES0_Li32ELi64ELi256ELb0ELi1EEvPKT_PKT0_S8_ifPKiSA_SA_iPKfiiiPfSD_PS3_PT2_iSC_SC_, .Lfunc_end556-_Z38paged_attention_ll4mi_QKV_mfma4_kernelI14__hip_bfloat16S0_LN4vllm18Fp8KVCacheDataTypeE0ES0_Li32ELi64ELi256ELb0ELi1EEvPKT_PKT0_S8_ifPKiSA_SA_iPKfiiiPfSD_PS3_PT2_iSC_SC_
                                        ; -- End function
	.section	.AMDGPU.csdata,"",@progbits
; Kernel info:
; codeLenInByte = 3020
; NumSgprs: 44
; NumVgprs: 57
; NumAgprs: 4
; TotalNumVgprs: 64
; ScratchSize: 0
; MemoryBound: 0
; FloatMode: 240
; IeeeMode: 1
; LDSByteSize: 2720 bytes/workgroup (compile time only)
; SGPRBlocks: 5
; VGPRBlocks: 7
; NumSGPRsForWavesPerEU: 44
; NumVGPRsForWavesPerEU: 64
; AccumOffset: 60
; Occupancy: 8
; WaveLimiterHint : 1
; COMPUTE_PGM_RSRC2:SCRATCH_EN: 0
; COMPUTE_PGM_RSRC2:USER_SGPR: 2
; COMPUTE_PGM_RSRC2:TRAP_HANDLER: 0
; COMPUTE_PGM_RSRC2:TGID_X_EN: 1
; COMPUTE_PGM_RSRC2:TGID_Y_EN: 1
; COMPUTE_PGM_RSRC2:TGID_Z_EN: 1
; COMPUTE_PGM_RSRC2:TIDIG_COMP_CNT: 0
; COMPUTE_PGM_RSRC3_GFX90A:ACCUM_OFFSET: 14
; COMPUTE_PGM_RSRC3_GFX90A:TG_SPLIT: 0
	.section	.text._Z38paged_attention_ll4mi_QKV_mfma4_kernelI14__hip_bfloat16S0_LN4vllm18Fp8KVCacheDataTypeE0ES0_Li32ELi64ELi256ELb0ELi2EEvPKT_PKT0_S8_ifPKiSA_SA_iPKfiiiPfSD_PS3_PT2_iSC_SC_,"axG",@progbits,_Z38paged_attention_ll4mi_QKV_mfma4_kernelI14__hip_bfloat16S0_LN4vllm18Fp8KVCacheDataTypeE0ES0_Li32ELi64ELi256ELb0ELi2EEvPKT_PKT0_S8_ifPKiSA_SA_iPKfiiiPfSD_PS3_PT2_iSC_SC_,comdat
	.protected	_Z38paged_attention_ll4mi_QKV_mfma4_kernelI14__hip_bfloat16S0_LN4vllm18Fp8KVCacheDataTypeE0ES0_Li32ELi64ELi256ELb0ELi2EEvPKT_PKT0_S8_ifPKiSA_SA_iPKfiiiPfSD_PS3_PT2_iSC_SC_ ; -- Begin function _Z38paged_attention_ll4mi_QKV_mfma4_kernelI14__hip_bfloat16S0_LN4vllm18Fp8KVCacheDataTypeE0ES0_Li32ELi64ELi256ELb0ELi2EEvPKT_PKT0_S8_ifPKiSA_SA_iPKfiiiPfSD_PS3_PT2_iSC_SC_
	.globl	_Z38paged_attention_ll4mi_QKV_mfma4_kernelI14__hip_bfloat16S0_LN4vllm18Fp8KVCacheDataTypeE0ES0_Li32ELi64ELi256ELb0ELi2EEvPKT_PKT0_S8_ifPKiSA_SA_iPKfiiiPfSD_PS3_PT2_iSC_SC_
	.p2align	8
	.type	_Z38paged_attention_ll4mi_QKV_mfma4_kernelI14__hip_bfloat16S0_LN4vllm18Fp8KVCacheDataTypeE0ES0_Li32ELi64ELi256ELb0ELi2EEvPKT_PKT0_S8_ifPKiSA_SA_iPKfiiiPfSD_PS3_PT2_iSC_SC_,@function
_Z38paged_attention_ll4mi_QKV_mfma4_kernelI14__hip_bfloat16S0_LN4vllm18Fp8KVCacheDataTypeE0ES0_Li32ELi64ELi256ELb0ELi2EEvPKT_PKT0_S8_ifPKiSA_SA_iPKfiiiPfSD_PS3_PT2_iSC_SC_: ; @_Z38paged_attention_ll4mi_QKV_mfma4_kernelI14__hip_bfloat16S0_LN4vllm18Fp8KVCacheDataTypeE0ES0_Li32ELi64ELi256ELb0ELi2EEvPKT_PKT0_S8_ifPKiSA_SA_iPKfiiiPfSD_PS3_PT2_iSC_SC_
; %bb.0:
	s_load_dwordx2 s[16:17], s[0:1], 0x30
	s_mov_b32 s20, s3
	s_mov_b64 s[6:7], 0
	s_waitcnt lgkmcnt(0)
	s_cmp_lg_u64 s[16:17], 0
	s_cselect_b64 s[18:19], -1, 0
	s_and_b64 vcc, exec, s[18:19]
	s_cbranch_vccz .LBB557_10
; %bb.1:
	s_add_i32 s8, s2, 1
	s_mov_b32 s9, 0
	s_lshl_b64 s[10:11], s[8:9], 2
	s_add_u32 s10, s16, s10
	s_mov_b32 s3, s9
	s_addc_u32 s11, s17, s11
	s_lshl_b64 s[8:9], s[2:3], 2
	s_add_u32 s8, s16, s8
	s_addc_u32 s9, s17, s9
	s_load_dword s5, s[10:11], 0x0
	s_load_dword s12, s[8:9], 0x0
	s_waitcnt lgkmcnt(0)
	s_sub_i32 s5, s5, s12
	s_cmp_eq_u32 s5, 1
	s_cselect_b64 s[8:9], -1, 0
	s_andn2_b64 vcc, exec, s[6:7]
	s_cbranch_vccnz .LBB557_3
.LBB557_2:
	s_mov_b32 s3, 0
	s_mov_b64 s[8:9], -1
.LBB557_3:
	s_andn2_b64 vcc, exec, s[8:9]
	s_cbranch_vccnz .LBB557_23
; %bb.4:
	s_load_dword s5, s[0:1], 0x9c
	s_load_dwordx2 s[6:7], s[0:1], 0x28
	s_add_u32 s24, s0, 0x90
	s_addc_u32 s25, s1, 0
	s_lshl_b64 s[28:29], s[2:3], 2
	s_waitcnt lgkmcnt(0)
	s_and_b32 s5, s5, 0xffff
	s_add_u32 s6, s6, s28
	s_addc_u32 s7, s7, s29
	s_load_dword s3, s[6:7], 0x0
	s_mul_i32 s10, s20, s5
	s_waitcnt lgkmcnt(0)
	s_cmp_ge_i32 s10, s3
	s_cbranch_scc1 .LBB557_23
; %bb.5:
	v_and_b32_e32 v2, 0xc0, v0
	v_add_u32_e32 v2, s10, v2
	v_lshrrev_b32_e32 v1, 6, v0
	v_cmp_gt_i32_e64 s[6:7], s3, v2
	v_cmp_le_i32_e32 vcc, s3, v2
                                        ; implicit-def: $sgpr21
                                        ; implicit-def: $sgpr11
	s_and_saveexec_b64 s[8:9], vcc
	s_xor_b64 s[8:9], exec, s[8:9]
	s_cbranch_execz .LBB557_7
; %bb.6:
	v_mul_u32_u24_e32 v2, 20, v1
	v_or_b32_e32 v2, 0xa00, v2
	v_mov_b32_e32 v3, 0xa50
	v_mov_b32_e32 v4, 0xff7fffff
	v_mad_u32_u24 v3, v1, 20, v3
	ds_write2_b32 v2, v4, v4 offset1:1
	v_mov_b32_e32 v2, 0
	ds_write2_b32 v3, v2, v2 offset1:1
	v_mov_b32_e32 v3, 0xa08
	s_mov_b32 s11, 0xff7fffff
	s_mov_b32 s21, 0
	v_mad_u32_u24 v3, v1, 20, v3
	v_mov_b32_e32 v5, 0xa58
	v_mad_u32_u24 v5, v1, 20, v5
	ds_write2_b32 v3, v4, v4 offset1:1
	ds_write2_b32 v5, v2, v2 offset1:1
                                        ; implicit-def: $vgpr2
.LBB557_7:
	s_or_saveexec_b64 s[26:27], s[8:9]
	s_load_dwordx2 s[22:23], s[0:1], 0x68
	s_load_dwordx4 s[12:15], s[0:1], 0x58
	s_load_dword s5, s[24:25], 0x4
	v_and_b32_e32 v40, 63, v0
	v_and_b32_e32 v38, 3, v0
	v_mov_b32_e32 v37, s21
	v_mov_b32_e32 v41, s11
	;; [unrolled: 1-line block ×5, first 2 shown]
                                        ; implicit-def: $vgpr3
                                        ; implicit-def: $vgpr7
                                        ; implicit-def: $vgpr11
                                        ; implicit-def: $vgpr15
                                        ; implicit-def: $vgpr19
                                        ; implicit-def: $vgpr23
                                        ; implicit-def: $vgpr27
                                        ; implicit-def: $vgpr31
	s_xor_b64 exec, exec, s[26:27]
	s_cbranch_execz .LBB557_17
; %bb.8:
	s_add_i32 s21, s3, 31
	s_load_dwordx2 s[8:9], s[0:1], 0x20
	s_load_dword s11, s[0:1], 0x38
	s_ashr_i32 s30, s21, 31
	s_lshr_b32 s30, s30, 27
	v_add_u32_e32 v39, s10, v0
	s_add_i32 s21, s21, s30
	v_ashrrev_i32_e32 v3, 31, v39
	s_ashr_i32 s21, s21, 5
	v_lshrrev_b32_e32 v3, 27, v3
	s_add_i32 s21, s21, -1
	v_add_u32_e32 v3, v39, v3
	s_waitcnt lgkmcnt(0)
	s_mul_i32 s30, s2, s11
	s_mov_b32 s31, 0
	v_ashrrev_i32_e32 v3, 5, v3
	v_mov_b32_e32 v4, s21
	v_cmp_gt_i32_e32 vcc, s3, v39
	s_lshl_b64 s[30:31], s[30:31], 2
	s_add_u32 s8, s8, s30
	v_cndmask_b32_e32 v4, v4, v3, vcc
	v_ashrrev_i32_e32 v3, 31, v2
	v_lshrrev_b32_e32 v3, 27, v3
	s_addc_u32 s9, s9, s31
	v_ashrrev_i32_e32 v5, 31, v4
	v_add_u32_e32 v2, v2, v3
	v_lshl_add_u64 v[6:7], v[4:5], 2, s[8:9]
	v_ashrrev_i32_e32 v4, 5, v2
	v_min_i32_e32 v2, s21, v4
	v_ashrrev_i32_e32 v3, 31, v2
	v_lshl_add_u64 v[8:9], v[2:3], 2, s[8:9]
	v_add_u32_e32 v2, 1, v4
	v_min_i32_e32 v2, s21, v2
	v_ashrrev_i32_e32 v3, 31, v2
	v_lshl_add_u64 v[10:11], v[2:3], 2, s[8:9]
	global_load_dword v2, v[6:7], off
	global_load_dword v5, v[8:9], off
	;; [unrolled: 1-line block ×3, first 2 shown]
	s_load_dwordx4 s[8:11], s[0:1], 0x8
	s_andn2_b64 vcc, exec, s[18:19]
	s_cbranch_vccnz .LBB557_11
; %bb.9:
	s_add_u32 s16, s16, s28
	s_addc_u32 s17, s17, s29
	s_load_dword s21, s[16:17], 0x0
	s_branch .LBB557_12
.LBB557_10:
	s_mov_b64 s[8:9], 0
	s_branch .LBB557_2
.LBB557_11:
	s_mov_b32 s21, s2
.LBB557_12:
	s_load_dwordx4 s[16:19], s[0:1], 0x48
	v_cmp_gt_u32_e32 vcc, 2, v38
	s_mov_b32 s29, 0
	v_mov_b32_e32 v3, 0
	v_mov_b32_e32 v34, 0
	;; [unrolled: 1-line block ×5, first 2 shown]
	s_and_saveexec_b64 s[30:31], vcc
	s_cbranch_execz .LBB557_14
; %bb.13:
	s_load_dwordx2 s[34:35], s[0:1], 0x0
	s_waitcnt lgkmcnt(0)
	s_ashr_i32 s19, s16, 31
	s_mul_hi_u32 s28, s21, s16
	s_mul_i32 s19, s21, s19
	s_add_i32 s37, s28, s19
	s_mul_i32 s36, s21, s16
	s_lshl_b64 s[36:37], s[36:37], 1
	s_add_u32 s16, s34, s36
	s_addc_u32 s19, s35, s37
	s_lshl_b32 s28, s4, 7
	s_lshl_b64 s[34:35], s[28:29], 1
	s_add_u32 s34, s16, s34
	v_lshlrev_b32_e32 v6, 3, v38
	v_lshrrev_b32_e32 v7, 2, v40
	s_addc_u32 s35, s19, s35
	v_add_lshl_u32 v6, v6, v7, 4
	global_load_dwordx4 v[34:37], v6, s[34:35]
.LBB557_14:
	s_or_b64 exec, exec, s[30:31]
	s_waitcnt lgkmcnt(0)
	s_mul_i32 s28, s4, s18
	s_lshl_b64 s[18:19], s[28:29], 1
	s_add_u32 s8, s18, s8
	s_waitcnt vmcnt(2)
	v_mad_i64_i32 v[6:7], s[30:31], v2, s17, 0
	s_addc_u32 s9, s19, s9
	v_and_b32_e32 v2, 31, v0
	v_lshl_add_u64 v[6:7], v[6:7], 1, s[8:9]
	v_lshlrev_b32_e32 v2, 4, v2
	v_lshl_add_u64 v[30:31], v[6:7], 0, v[2:3]
	global_load_dwordx4 v[6:9], v[30:31], off
	global_load_dwordx4 v[10:13], v[30:31], off offset:512
	global_load_dwordx4 v[14:17], v[30:31], off offset:1024
	;; [unrolled: 1-line block ×7, first 2 shown]
	s_waitcnt vmcnt(9)
	v_mul_hi_i32 v2, v5, s17
	s_add_u32 s8, s10, s18
	s_waitcnt vmcnt(8)
	v_mul_hi_i32 v30, v4, s17
	v_ashrrev_i32_e32 v32, 31, v2
	s_addc_u32 s9, s11, s19
	v_lshlrev_b32_e32 v2, 6, v40
	v_ashrrev_i32_e32 v33, 31, v30
	v_lshl_add_u64 v[30:31], s[8:9], 0, v[2:3]
	v_lshrrev_b32_e32 v2, 29, v32
	s_load_dword s0, s[0:1], 0x1c
	v_cmp_eq_u32_e32 vcc, 0, v38
	v_and_b32_e32 v55, -4, v39
	v_or_b32_e32 v39, 3, v39
	v_cndmask_b32_e64 v41, 0, 1.0, vcc
	v_cmp_eq_u32_e32 vcc, 1, v38
	v_cmp_gt_i32_e64 s[10:11], s3, v39
	v_lshlrev_b32_e32 v56, 2, v0
	v_cndmask_b32_e64 v52, 0, 1.0, vcc
	v_cmp_eq_u32_e32 vcc, 2, v38
	s_waitcnt vmcnt(7)
	v_mfma_f32_4x4x4_16b_bf16 a[0:3], v[34:35], v[6:7], 0 cbsz:4
	v_mad_i64_i32 v[6:7], s[8:9], v5, s17, v[2:3]
	s_nop 0
	v_mfma_f32_4x4x4_16b_bf16 a[0:3], v[36:37], v[8:9], a[0:3] cbsz:4
	v_lshrrev_b32_e32 v2, 29, v33
	v_mad_i64_i32 v[2:3], s[8:9], v4, s17, v[2:3]
	s_waitcnt vmcnt(6)
	v_mfma_f32_4x4x4_16b_bf16 a[0:3], v[34:35], v[10:11], a[0:3] cbsz:4 abid:1
	v_lshlrev_b64 v[6:7], 1, v[6:7]
	v_lshlrev_b64 v[32:33], 1, v[2:3]
	v_mfma_f32_4x4x4_16b_bf16 a[0:3], v[36:37], v[12:13], a[0:3] cbsz:4 abid:1
	v_and_b32_e32 v6, -16, v6
	v_and_b32_e32 v32, -16, v32
	s_waitcnt vmcnt(5)
	v_mfma_f32_4x4x4_16b_bf16 a[0:3], v[34:35], v[14:15], a[0:3] cbsz:4 abid:2
	v_lshl_add_u64 v[50:51], v[30:31], 0, v[32:33]
	v_cndmask_b32_e64 v53, 0, 1.0, vcc
	v_mfma_f32_4x4x4_16b_bf16 a[0:3], v[36:37], v[16:17], a[0:3] cbsz:4 abid:2
	v_cmp_eq_u32_e32 vcc, 3, v38
	s_waitcnt vmcnt(4)
	v_mfma_f32_4x4x4_16b_bf16 a[0:3], v[34:35], v[18:19], a[0:3] cbsz:4 abid:3
	v_lshl_add_u64 v[18:19], v[30:31], 0, v[6:7]
	global_load_dwordx4 v[2:5], v[18:19], off
	global_load_dwordx4 v[6:9], v[18:19], off offset:16
	v_mfma_f32_4x4x4_16b_bf16 a[0:3], v[36:37], v[20:21], a[0:3] cbsz:4 abid:3
	global_load_dwordx4 v[10:13], v[18:19], off offset:32
	global_load_dwordx4 v[14:17], v[18:19], off offset:48
	s_waitcnt vmcnt(7)
	v_mfma_f32_4x4x4_16b_bf16 a[0:3], v[34:35], v[22:23], a[0:3] cbsz:4 abid:4
	v_cndmask_b32_e64 v54, 0, 1.0, vcc
	v_cmp_gt_i32_e32 vcc, s3, v55
	v_mfma_f32_4x4x4_16b_bf16 a[0:3], v[36:37], v[24:25], a[0:3] cbsz:4 abid:4
	global_load_dwordx4 v[18:21], v[50:51], off
	global_load_dwordx4 v[22:25], v[50:51], off offset:16
	s_waitcnt vmcnt(8)
	v_mfma_f32_4x4x4_16b_bf16 a[0:3], v[34:35], v[26:27], a[0:3] cbsz:4 abid:5
	s_nop 1
	v_mfma_f32_4x4x4_16b_bf16 a[0:3], v[36:37], v[28:29], a[0:3] cbsz:4 abid:5
	global_load_dwordx4 v[26:29], v[50:51], off offset:32
	global_load_dwordx4 v[30:33], v[50:51], off offset:48
	s_waitcnt vmcnt(9)
	v_mfma_f32_4x4x4_16b_bf16 a[0:3], v[34:35], v[42:43], a[0:3] cbsz:4 abid:6
	v_mov_b32_e32 v42, 0xff7fffff
	v_and_or_b32 v43, v56, 48, v38
	v_mfma_f32_4x4x4_16b_bf16 a[0:3], v[36:37], v[44:45], a[0:3] cbsz:4 abid:6
	v_lshlrev_b32_e32 v43, 2, v43
	s_waitcnt vmcnt(8)
	v_mfma_f32_4x4x4_16b_bf16 a[0:3], v[34:35], v[46:47], a[0:3] cbsz:4 abid:7
	s_nop 1
	v_mfma_f32_4x4x4_16b_bf16 a[0:3], v[36:37], v[48:49], a[0:3] cbsz:4 abid:7
	s_nop 4
	v_accvgpr_read_b32 v35, a1
	v_accvgpr_read_b32 v34, a0
	s_waitcnt lgkmcnt(0)
	v_pk_mul_f32 v[34:35], s[0:1], v[34:35] op_sel_hi:[0,1]
	v_accvgpr_read_b32 v37, a3
	v_accvgpr_read_b32 v36, a2
	v_pk_mul_f32 v[36:37], s[0:1], v[36:37] op_sel_hi:[0,1]
	v_mfma_f32_4x4x1_16b_f32 a[0:3], v34, v41, 0
	v_or_b32_e32 v34, 1, v55
	s_nop 0
	v_mfma_f32_4x4x1_16b_f32 a[0:3], v35, v52, a[0:3]
	v_cmp_gt_i32_e64 s[0:1], s3, v34
	v_or_b32_e32 v35, 2, v55
	v_mfma_f32_4x4x1_16b_f32 a[0:3], v36, v53, a[0:3]
	v_cmp_gt_i32_e64 s[8:9], s3, v35
	s_nop 0
	v_mfma_f32_4x4x1_16b_f32 a[0:3], v37, v54, a[0:3]
	s_nop 3
	v_accvgpr_read_b32 v36, a0
	v_max_f32_e32 v41, v36, v36
	v_accvgpr_read_b32 v37, a1
	v_max_f32_e32 v41, 0xff7fffff, v41
	v_max_f32_e32 v46, v37, v37
	v_cndmask_b32_e32 v41, v42, v41, vcc
	v_accvgpr_read_b32 v44, a2
	v_max_f32_e32 v42, v41, v46
	v_max_f32_e32 v47, v44, v44
	v_cndmask_b32_e64 v34, v41, v42, s[0:1]
	v_accvgpr_read_b32 v45, a3
	v_max_f32_e32 v41, v34, v47
	v_max_f32_e32 v48, v45, v45
	v_cndmask_b32_e64 v34, v34, v41, s[8:9]
	v_max_f32_e32 v35, v34, v48
	v_cndmask_b32_e64 v34, v34, v35, s[10:11]
	;;#ASMSTART
	v_nop
 v_nop
 v_max_f32_dpp v34, v34, v34 row_ror:4
	;;#ASMEND
	s_nop 0
	;;#ASMSTART
	v_nop
 v_nop
 v_max_f32_dpp v34, v34, v34 row_ror:8
	;;#ASMEND
	ds_bpermute_b32 v34, v43, v34
	s_waitcnt lgkmcnt(0)
	;;#ASMSTART
	v_nop
 v_nop
 v_max_f32_dpp v34, v34, v34 row_ror:4
	;;#ASMEND
	s_nop 0
	;;#ASMSTART
	v_nop
 v_nop
 v_max_f32_dpp v41, v34, v34 row_ror:8
	;;#ASMEND
	s_nop 0
	v_sub_f32_e32 v34, v36, v41
	v_sub_f32_e32 v35, v37, v41
	v_mul_f32_e32 v34, 0x3fb8aa3b, v34
	v_sub_f32_e32 v36, v44, v41
	v_mul_f32_e32 v35, 0x3fb8aa3b, v35
	v_exp_f32_e32 v34, v34
	v_sub_f32_e32 v37, v45, v41
	v_mul_f32_e32 v36, 0x3fb8aa3b, v36
	v_exp_f32_e32 v35, v35
	v_mul_f32_e32 v37, 0x3fb8aa3b, v37
	v_exp_f32_e32 v36, v36
	v_exp_f32_e32 v37, v37
	v_cndmask_b32_e32 v34, 0, v34, vcc
	v_cndmask_b32_e64 v35, 0, v35, s[0:1]
	v_add_f32_e32 v39, 0, v34
	v_cndmask_b32_e64 v36, 0, v36, s[8:9]
	v_add_f32_e32 v39, v39, v35
	;; [unrolled: 2-line block ×3, first 2 shown]
	v_add_f32_e32 v39, v39, v37
	;;#ASMSTART
	v_nop
 v_nop
 v_add_f32_dpp v39, v39, v39 row_ror:4
	;;#ASMEND
	v_cmp_gt_u32_e32 vcc, 4, v40
	;;#ASMSTART
	v_nop
 v_nop
 v_add_f32_dpp v39, v39, v39 row_ror:8
	;;#ASMEND
	ds_bpermute_b32 v39, v43, v39
	s_waitcnt lgkmcnt(0)
	;;#ASMSTART
	v_nop
 v_nop
 v_add_f32_dpp v39, v39, v39 row_ror:4
	;;#ASMEND
	s_nop 0
	;;#ASMSTART
	v_nop
 v_nop
 v_add_f32_dpp v39, v39, v39 row_ror:8
	;;#ASMEND
	s_and_saveexec_b64 s[0:1], vcc
	s_cbranch_execz .LBB557_16
; %bb.15:
	v_mul_u32_u24_e32 v42, 20, v1
	v_lshl_add_u32 v42, v38, 2, v42
	v_add_u32_e32 v42, 0x800, v42
	ds_write2_b32 v42, v41, v39 offset0:128 offset1:148
.LBB557_16:
	s_or_b64 exec, exec, s[0:1]
.LBB557_17:
	s_or_b64 exec, exec, s[26:27]
	s_waitcnt lgkmcnt(0)
	s_barrier
	s_load_dword s0, s[24:25], 0x8
	v_lshlrev_b32_e32 v39, 2, v38
	v_add_u32_e32 v39, 0x800, v39
	ds_read2_b32 v[44:45], v39 offset0:128 offset1:133
	ds_read2_b32 v[46:47], v39 offset0:138 offset1:143
	s_mul_i32 s1, s2, s5
	s_waitcnt lgkmcnt(0)
	s_mul_i32 s1, s1, s0
	s_lshl_b32 s0, s1, 1
	s_mov_b32 s1, 0xff7fffff
	v_max3_f32 v42, v44, s1, v45
	v_max3_f32 v42, v42, v46, v47
	v_sub_f32_e32 v43, v44, v42
	v_sub_f32_e32 v44, v45, v42
	ds_read2_b32 v[48:49], v39 offset0:148 offset1:153
	v_mul_f32_e32 v43, 0x3fb8aa3b, v43
	v_mul_f32_e32 v44, 0x3fb8aa3b, v44
	v_exp_f32_e32 v43, v43
	v_exp_f32_e32 v50, v44
	ds_read2_b32 v[44:45], v39 offset0:158 offset1:163
	v_sub_f32_e32 v39, v46, v42
	v_mul_f32_e32 v39, 0x3fb8aa3b, v39
	v_sub_f32_e32 v46, v47, v42
	v_exp_f32_e32 v39, v39
	v_mul_f32_e32 v46, 0x3fb8aa3b, v46
	v_exp_f32_e32 v46, v46
	s_waitcnt lgkmcnt(1)
	v_fma_f32 v43, v43, v48, 0
	v_fmac_f32_e32 v43, v50, v49
	s_waitcnt lgkmcnt(0)
	v_fmac_f32_e32 v43, v39, v44
	s_lshl_b32 s4, s4, 1
	v_fmac_f32_e32 v43, v46, v45
	v_cmp_gt_u32_e32 vcc, 2, v38
	s_and_saveexec_b64 s[2:3], vcc
	s_cbranch_execz .LBB557_19
; %bb.18:
	s_mov_b32 s1, 0
	s_lshl_b64 s[8:9], s[0:1], 2
	s_add_u32 s12, s12, s8
	s_mov_b32 s21, s1
	s_addc_u32 s13, s13, s9
	s_lshl_b64 s[10:11], s[20:21], 2
	s_add_u32 s12, s12, s10
	s_addc_u32 s13, s13, s11
	s_add_u32 s1, s14, s8
	s_addc_u32 s9, s15, s9
	v_or_b32_e32 v38, s4, v38
	s_add_u32 s8, s1, s10
	v_mul_lo_u32 v38, s5, v38
	v_mov_b32_e32 v39, 0
	s_addc_u32 s9, s9, s11
	v_lshlrev_b64 v[38:39], 2, v[38:39]
	v_lshl_add_u64 v[44:45], s[12:13], 0, v[38:39]
	v_lshl_add_u64 v[38:39], s[8:9], 0, v[38:39]
	global_store_dword v[38:39], v42, off
	global_store_dword v[44:45], v43, off
.LBB557_19:
	s_or_b64 exec, exec, s[2:3]
	v_mov_b32_e32 v38, 0
	v_mov_b32_e32 v39, 0
	s_and_saveexec_b64 s[2:3], s[6:7]
	s_cbranch_execz .LBB557_21
; %bb.20:
	v_add_f32_e32 v38, 0x358637bd, v43
	v_div_scale_f32 v39, s[6:7], v38, v38, 1.0
	v_rcp_f32_e32 v43, v39
	v_div_scale_f32 v44, vcc, 1.0, v38, 1.0
	v_sub_f32_e32 v41, v41, v42
	v_fma_f32 v45, -v39, v43, 1.0
	v_fmac_f32_e32 v43, v45, v43
	v_mul_f32_e32 v45, v44, v43
	v_fma_f32 v46, -v39, v45, v44
	v_mul_f32_e32 v41, 0x3fb8aa3b, v41
	v_fmac_f32_e32 v45, v46, v43
	v_exp_f32_e32 v41, v41
	v_fma_f32 v39, -v39, v45, v44
	v_div_fmas_f32 v39, v39, v43, v45
	v_div_fixup_f32 v38, v39, v38, 1.0
	v_mul_f32_e32 v38, v41, v38
	v_pk_mul_f32 v[34:35], v[34:35], v[38:39] op_sel_hi:[1,0]
	v_pk_mul_f32 v[36:37], v[36:37], v[38:39] op_sel_hi:[1,0]
	v_bfe_u32 v38, v35, 16, 1
	v_bfe_u32 v39, v34, 16, 1
	s_movk_i32 s1, 0x7fff
	v_add3_u32 v34, v34, v39, s1
	v_add3_u32 v35, v35, v38, s1
	s_mov_b32 s6, 0x7060302
	v_perm_b32 v34, v35, v34, s6
	v_bfe_u32 v35, v37, 16, 1
	v_bfe_u32 v38, v36, 16, 1
	v_add3_u32 v36, v36, v38, s1
	v_add3_u32 v35, v37, v35, s1
	v_perm_b32 v35, v35, v36, s6
	s_waitcnt vmcnt(7)
	s_nop 0
	v_mfma_f32_4x4x4_16b_bf16 a[0:3], v[34:35], v[2:3], 0 cbsz:4
	s_nop 1
	v_mfma_f32_4x4x4_16b_bf16 a[0:3], v[34:35], v[4:5], a[0:3] cbsz:4 abid:1
	s_waitcnt vmcnt(6)
	s_nop 0
	v_mfma_f32_4x4x4_16b_bf16 a[0:3], v[34:35], v[6:7], a[0:3] cbsz:4 abid:2
	s_nop 1
	v_mfma_f32_4x4x4_16b_bf16 a[0:3], v[34:35], v[8:9], a[0:3] cbsz:4 abid:3
	s_waitcnt vmcnt(5)
	s_nop 0
	v_mfma_f32_4x4x4_16b_bf16 a[0:3], v[34:35], v[10:11], a[0:3] cbsz:4 abid:4
	;; [unrolled: 5-line block ×7, first 2 shown]
	s_nop 1
	v_mfma_f32_4x4x4_16b_bf16 a[0:3], v[34:35], v[32:33], a[0:3] cbsz:4 abid:15
	s_nop 4
	v_accvgpr_read_b32 v5, a1
	v_accvgpr_read_b32 v2, a2
	;; [unrolled: 1-line block ×4, first 2 shown]
	v_bfe_u32 v6, v5, 16, 1
	v_bfe_u32 v7, v4, 16, 1
	v_bfe_u32 v8, v3, 16, 1
	v_add3_u32 v5, v5, v6, s1
	v_bfe_u32 v6, v2, 16, 1
	v_add3_u32 v4, v4, v7, s1
	v_add3_u32 v2, v2, v6, s1
	;; [unrolled: 1-line block ×3, first 2 shown]
	v_perm_b32 v39, v3, v2, s6
	v_perm_b32 v38, v5, v4, s6
.LBB557_21:
	s_or_b64 exec, exec, s[2:3]
	v_lshlrev_b32_e32 v1, 3, v1
	v_mad_u32_u24 v1, v40, 40, v1
	v_cmp_gt_u32_e32 vcc, 64, v0
	ds_write_b64 v1, v[38:39]
	s_waitcnt lgkmcnt(0)
	s_barrier
	s_and_saveexec_b64 s[2:3], vcc
	s_cbranch_execz .LBB557_23
; %bb.22:
	v_mul_u32_u24_e32 v1, 40, v40
	s_waitcnt vmcnt(7)
	ds_read2_b64 v[2:5], v1 offset1:1
	s_waitcnt vmcnt(6)
	ds_read2_b64 v[6:9], v1 offset0:2 offset1:3
	s_mov_b32 s1, 0
	s_lshl_b32 s0, s0, 6
	s_lshl_b64 s[2:3], s[0:1], 1
	s_waitcnt lgkmcnt(1)
	v_and_b32_e32 v1, 0xffff0000, v2
	v_add_f32_e32 v1, 0, v1
	v_and_b32_e32 v3, 0xffff0000, v4
	v_and_b32_e32 v1, 0xffff0000, v1
	v_add_f32_e32 v1, v1, v3
	s_waitcnt lgkmcnt(0)
	v_and_b32_e32 v5, 0xffff0000, v6
	v_and_b32_e32 v1, 0xffff0000, v1
	v_add_f32_e32 v1, v1, v5
	v_and_b32_e32 v1, 0xffff0000, v1
	v_and_b32_e32 v3, 0xffff0000, v8
	v_add_f32_e32 v7, v1, v3
	v_lshlrev_b32_e32 v1, 16, v2
	s_add_u32 s2, s22, s2
	v_add_f32_e32 v1, 0, v1
	s_addc_u32 s3, s23, s3
	s_lshl_b32 s0, s20, 6
	v_and_b32_e32 v1, 0xffff0000, v1
	v_lshlrev_b32_e32 v2, 16, v4
	s_lshl_b64 s[0:1], s[0:1], 1
	v_add_f32_e32 v1, v1, v2
	s_add_u32 s0, s2, s0
	v_and_b32_e32 v1, 0xffff0000, v1
	v_lshlrev_b32_e32 v2, 16, v6
	s_addc_u32 s1, s3, s1
	s_lshl_b32 s2, s5, 6
	v_add_f32_e32 v1, v1, v2
	v_and_b32_e32 v1, 0xffff0000, v1
	v_lshlrev_b32_e32 v2, 16, v8
	s_mul_i32 s3, s2, s4
	v_add_f32_e32 v1, v1, v2
	v_or_b32_e32 v2, s3, v0
	v_mov_b32_e32 v3, 0
	s_add_i32 s3, s3, s2
	v_lshl_add_u64 v[4:5], v[2:3], 1, s[0:1]
	v_or_b32_e32 v2, s3, v0
	global_store_short_d16_hi v[4:5], v1, off
	v_lshl_add_u64 v[0:1], v[2:3], 1, s[0:1]
	global_store_short_d16_hi v[0:1], v7, off
.LBB557_23:
	s_endpgm
	.section	.rodata,"a",@progbits
	.p2align	6, 0x0
	.amdhsa_kernel _Z38paged_attention_ll4mi_QKV_mfma4_kernelI14__hip_bfloat16S0_LN4vllm18Fp8KVCacheDataTypeE0ES0_Li32ELi64ELi256ELb0ELi2EEvPKT_PKT0_S8_ifPKiSA_SA_iPKfiiiPfSD_PS3_PT2_iSC_SC_
		.amdhsa_group_segment_fixed_size 2720
		.amdhsa_private_segment_fixed_size 0
		.amdhsa_kernarg_size 400
		.amdhsa_user_sgpr_count 2
		.amdhsa_user_sgpr_dispatch_ptr 0
		.amdhsa_user_sgpr_queue_ptr 0
		.amdhsa_user_sgpr_kernarg_segment_ptr 1
		.amdhsa_user_sgpr_dispatch_id 0
		.amdhsa_user_sgpr_kernarg_preload_length 0
		.amdhsa_user_sgpr_kernarg_preload_offset 0
		.amdhsa_user_sgpr_private_segment_size 0
		.amdhsa_uses_dynamic_stack 0
		.amdhsa_enable_private_segment 0
		.amdhsa_system_sgpr_workgroup_id_x 1
		.amdhsa_system_sgpr_workgroup_id_y 1
		.amdhsa_system_sgpr_workgroup_id_z 1
		.amdhsa_system_sgpr_workgroup_info 0
		.amdhsa_system_vgpr_workitem_id 0
		.amdhsa_next_free_vgpr 64
		.amdhsa_next_free_sgpr 38
		.amdhsa_accum_offset 60
		.amdhsa_reserve_vcc 1
		.amdhsa_float_round_mode_32 0
		.amdhsa_float_round_mode_16_64 0
		.amdhsa_float_denorm_mode_32 3
		.amdhsa_float_denorm_mode_16_64 3
		.amdhsa_dx10_clamp 1
		.amdhsa_ieee_mode 1
		.amdhsa_fp16_overflow 0
		.amdhsa_tg_split 0
		.amdhsa_exception_fp_ieee_invalid_op 0
		.amdhsa_exception_fp_denorm_src 0
		.amdhsa_exception_fp_ieee_div_zero 0
		.amdhsa_exception_fp_ieee_overflow 0
		.amdhsa_exception_fp_ieee_underflow 0
		.amdhsa_exception_fp_ieee_inexact 0
		.amdhsa_exception_int_div_zero 0
	.end_amdhsa_kernel
	.section	.text._Z38paged_attention_ll4mi_QKV_mfma4_kernelI14__hip_bfloat16S0_LN4vllm18Fp8KVCacheDataTypeE0ES0_Li32ELi64ELi256ELb0ELi2EEvPKT_PKT0_S8_ifPKiSA_SA_iPKfiiiPfSD_PS3_PT2_iSC_SC_,"axG",@progbits,_Z38paged_attention_ll4mi_QKV_mfma4_kernelI14__hip_bfloat16S0_LN4vllm18Fp8KVCacheDataTypeE0ES0_Li32ELi64ELi256ELb0ELi2EEvPKT_PKT0_S8_ifPKiSA_SA_iPKfiiiPfSD_PS3_PT2_iSC_SC_,comdat
.Lfunc_end557:
	.size	_Z38paged_attention_ll4mi_QKV_mfma4_kernelI14__hip_bfloat16S0_LN4vllm18Fp8KVCacheDataTypeE0ES0_Li32ELi64ELi256ELb0ELi2EEvPKT_PKT0_S8_ifPKiSA_SA_iPKfiiiPfSD_PS3_PT2_iSC_SC_, .Lfunc_end557-_Z38paged_attention_ll4mi_QKV_mfma4_kernelI14__hip_bfloat16S0_LN4vllm18Fp8KVCacheDataTypeE0ES0_Li32ELi64ELi256ELb0ELi2EEvPKT_PKT0_S8_ifPKiSA_SA_iPKfiiiPfSD_PS3_PT2_iSC_SC_
                                        ; -- End function
	.section	.AMDGPU.csdata,"",@progbits
; Kernel info:
; codeLenInByte = 3152
; NumSgprs: 44
; NumVgprs: 57
; NumAgprs: 4
; TotalNumVgprs: 64
; ScratchSize: 0
; MemoryBound: 0
; FloatMode: 240
; IeeeMode: 1
; LDSByteSize: 2720 bytes/workgroup (compile time only)
; SGPRBlocks: 5
; VGPRBlocks: 7
; NumSGPRsForWavesPerEU: 44
; NumVGPRsForWavesPerEU: 64
; AccumOffset: 60
; Occupancy: 8
; WaveLimiterHint : 1
; COMPUTE_PGM_RSRC2:SCRATCH_EN: 0
; COMPUTE_PGM_RSRC2:USER_SGPR: 2
; COMPUTE_PGM_RSRC2:TRAP_HANDLER: 0
; COMPUTE_PGM_RSRC2:TGID_X_EN: 1
; COMPUTE_PGM_RSRC2:TGID_Y_EN: 1
; COMPUTE_PGM_RSRC2:TGID_Z_EN: 1
; COMPUTE_PGM_RSRC2:TIDIG_COMP_CNT: 0
; COMPUTE_PGM_RSRC3_GFX90A:ACCUM_OFFSET: 14
; COMPUTE_PGM_RSRC3_GFX90A:TG_SPLIT: 0
	.section	.text._Z38paged_attention_ll4mi_QKV_mfma4_kernelI14__hip_bfloat16S0_LN4vllm18Fp8KVCacheDataTypeE0ES0_Li32ELi64ELi256ELb0ELi3EEvPKT_PKT0_S8_ifPKiSA_SA_iPKfiiiPfSD_PS3_PT2_iSC_SC_,"axG",@progbits,_Z38paged_attention_ll4mi_QKV_mfma4_kernelI14__hip_bfloat16S0_LN4vllm18Fp8KVCacheDataTypeE0ES0_Li32ELi64ELi256ELb0ELi3EEvPKT_PKT0_S8_ifPKiSA_SA_iPKfiiiPfSD_PS3_PT2_iSC_SC_,comdat
	.protected	_Z38paged_attention_ll4mi_QKV_mfma4_kernelI14__hip_bfloat16S0_LN4vllm18Fp8KVCacheDataTypeE0ES0_Li32ELi64ELi256ELb0ELi3EEvPKT_PKT0_S8_ifPKiSA_SA_iPKfiiiPfSD_PS3_PT2_iSC_SC_ ; -- Begin function _Z38paged_attention_ll4mi_QKV_mfma4_kernelI14__hip_bfloat16S0_LN4vllm18Fp8KVCacheDataTypeE0ES0_Li32ELi64ELi256ELb0ELi3EEvPKT_PKT0_S8_ifPKiSA_SA_iPKfiiiPfSD_PS3_PT2_iSC_SC_
	.globl	_Z38paged_attention_ll4mi_QKV_mfma4_kernelI14__hip_bfloat16S0_LN4vllm18Fp8KVCacheDataTypeE0ES0_Li32ELi64ELi256ELb0ELi3EEvPKT_PKT0_S8_ifPKiSA_SA_iPKfiiiPfSD_PS3_PT2_iSC_SC_
	.p2align	8
	.type	_Z38paged_attention_ll4mi_QKV_mfma4_kernelI14__hip_bfloat16S0_LN4vllm18Fp8KVCacheDataTypeE0ES0_Li32ELi64ELi256ELb0ELi3EEvPKT_PKT0_S8_ifPKiSA_SA_iPKfiiiPfSD_PS3_PT2_iSC_SC_,@function
_Z38paged_attention_ll4mi_QKV_mfma4_kernelI14__hip_bfloat16S0_LN4vllm18Fp8KVCacheDataTypeE0ES0_Li32ELi64ELi256ELb0ELi3EEvPKT_PKT0_S8_ifPKiSA_SA_iPKfiiiPfSD_PS3_PT2_iSC_SC_: ; @_Z38paged_attention_ll4mi_QKV_mfma4_kernelI14__hip_bfloat16S0_LN4vllm18Fp8KVCacheDataTypeE0ES0_Li32ELi64ELi256ELb0ELi3EEvPKT_PKT0_S8_ifPKiSA_SA_iPKfiiiPfSD_PS3_PT2_iSC_SC_
; %bb.0:
	s_load_dwordx2 s[16:17], s[0:1], 0x30
	s_mov_b32 s20, s3
	s_mov_b64 s[6:7], 0
	s_waitcnt lgkmcnt(0)
	s_cmp_lg_u64 s[16:17], 0
	s_cselect_b64 s[18:19], -1, 0
	s_and_b64 vcc, exec, s[18:19]
	s_cbranch_vccz .LBB558_10
; %bb.1:
	s_add_i32 s8, s2, 1
	s_mov_b32 s9, 0
	s_lshl_b64 s[10:11], s[8:9], 2
	s_add_u32 s10, s16, s10
	s_mov_b32 s3, s9
	s_addc_u32 s11, s17, s11
	s_lshl_b64 s[8:9], s[2:3], 2
	s_add_u32 s8, s16, s8
	s_addc_u32 s9, s17, s9
	s_load_dword s5, s[10:11], 0x0
	s_load_dword s12, s[8:9], 0x0
	s_waitcnt lgkmcnt(0)
	s_sub_i32 s5, s5, s12
	s_cmp_eq_u32 s5, 1
	s_cselect_b64 s[8:9], -1, 0
	s_andn2_b64 vcc, exec, s[6:7]
	s_cbranch_vccnz .LBB558_3
.LBB558_2:
	s_mov_b32 s3, 0
	s_mov_b64 s[8:9], -1
.LBB558_3:
	s_andn2_b64 vcc, exec, s[8:9]
	s_cbranch_vccnz .LBB558_23
; %bb.4:
	s_load_dword s5, s[0:1], 0x9c
	s_load_dwordx2 s[6:7], s[0:1], 0x28
	s_add_u32 s24, s0, 0x90
	s_addc_u32 s25, s1, 0
	s_lshl_b64 s[28:29], s[2:3], 2
	s_waitcnt lgkmcnt(0)
	s_and_b32 s5, s5, 0xffff
	s_add_u32 s6, s6, s28
	s_addc_u32 s7, s7, s29
	s_load_dword s3, s[6:7], 0x0
	s_mul_i32 s10, s20, s5
	s_waitcnt lgkmcnt(0)
	s_cmp_ge_i32 s10, s3
	s_cbranch_scc1 .LBB558_23
; %bb.5:
	v_and_b32_e32 v2, 0xc0, v0
	v_add_u32_e32 v2, s10, v2
	v_lshrrev_b32_e32 v1, 6, v0
	v_cmp_gt_i32_e64 s[6:7], s3, v2
	v_cmp_le_i32_e32 vcc, s3, v2
                                        ; implicit-def: $sgpr21
                                        ; implicit-def: $sgpr11
	s_and_saveexec_b64 s[8:9], vcc
	s_xor_b64 s[8:9], exec, s[8:9]
	s_cbranch_execz .LBB558_7
; %bb.6:
	v_mul_u32_u24_e32 v2, 20, v1
	v_or_b32_e32 v2, 0xa00, v2
	v_mov_b32_e32 v3, 0xa50
	v_mov_b32_e32 v4, 0xff7fffff
	v_mad_u32_u24 v3, v1, 20, v3
	ds_write2_b32 v2, v4, v4 offset1:1
	v_mov_b32_e32 v2, 0
	ds_write2_b32 v3, v2, v2 offset1:1
	v_mov_b32_e32 v3, 0xa08
	s_mov_b32 s11, 0xff7fffff
	s_mov_b32 s21, 0
	v_mad_u32_u24 v3, v1, 20, v3
	v_mov_b32_e32 v5, 0xa58
	v_mad_u32_u24 v5, v1, 20, v5
	ds_write2_b32 v3, v4, v4 offset1:1
	ds_write2_b32 v5, v2, v2 offset1:1
                                        ; implicit-def: $vgpr2
.LBB558_7:
	s_or_saveexec_b64 s[26:27], s[8:9]
	s_load_dwordx2 s[22:23], s[0:1], 0x68
	s_load_dwordx4 s[12:15], s[0:1], 0x58
	s_load_dword s5, s[24:25], 0x4
	v_and_b32_e32 v40, 63, v0
	v_and_b32_e32 v38, 3, v0
	v_mov_b32_e32 v37, s21
	v_mov_b32_e32 v41, s11
	;; [unrolled: 1-line block ×5, first 2 shown]
                                        ; implicit-def: $vgpr3
                                        ; implicit-def: $vgpr7
                                        ; implicit-def: $vgpr11
                                        ; implicit-def: $vgpr15
                                        ; implicit-def: $vgpr19
                                        ; implicit-def: $vgpr23
                                        ; implicit-def: $vgpr27
                                        ; implicit-def: $vgpr31
	s_xor_b64 exec, exec, s[26:27]
	s_cbranch_execz .LBB558_17
; %bb.8:
	s_add_i32 s21, s3, 31
	s_load_dwordx2 s[8:9], s[0:1], 0x20
	s_load_dword s11, s[0:1], 0x38
	s_ashr_i32 s30, s21, 31
	s_lshr_b32 s30, s30, 27
	v_add_u32_e32 v39, s10, v0
	s_add_i32 s21, s21, s30
	v_ashrrev_i32_e32 v3, 31, v39
	s_ashr_i32 s21, s21, 5
	v_lshrrev_b32_e32 v3, 27, v3
	s_add_i32 s21, s21, -1
	v_add_u32_e32 v3, v39, v3
	s_waitcnt lgkmcnt(0)
	s_mul_i32 s30, s2, s11
	s_mov_b32 s31, 0
	v_ashrrev_i32_e32 v3, 5, v3
	v_mov_b32_e32 v4, s21
	v_cmp_gt_i32_e32 vcc, s3, v39
	s_lshl_b64 s[30:31], s[30:31], 2
	s_add_u32 s8, s8, s30
	v_cndmask_b32_e32 v4, v4, v3, vcc
	v_ashrrev_i32_e32 v3, 31, v2
	v_lshrrev_b32_e32 v3, 27, v3
	s_addc_u32 s9, s9, s31
	v_ashrrev_i32_e32 v5, 31, v4
	v_add_u32_e32 v2, v2, v3
	v_lshl_add_u64 v[6:7], v[4:5], 2, s[8:9]
	v_ashrrev_i32_e32 v4, 5, v2
	v_min_i32_e32 v2, s21, v4
	v_ashrrev_i32_e32 v3, 31, v2
	v_lshl_add_u64 v[8:9], v[2:3], 2, s[8:9]
	v_add_u32_e32 v2, 1, v4
	v_min_i32_e32 v2, s21, v2
	v_ashrrev_i32_e32 v3, 31, v2
	v_lshl_add_u64 v[10:11], v[2:3], 2, s[8:9]
	global_load_dword v2, v[6:7], off
	global_load_dword v5, v[8:9], off
	;; [unrolled: 1-line block ×3, first 2 shown]
	s_load_dwordx4 s[8:11], s[0:1], 0x8
	s_andn2_b64 vcc, exec, s[18:19]
	s_cbranch_vccnz .LBB558_11
; %bb.9:
	s_add_u32 s16, s16, s28
	s_addc_u32 s17, s17, s29
	s_load_dword s21, s[16:17], 0x0
	s_branch .LBB558_12
.LBB558_10:
	s_mov_b64 s[8:9], 0
	s_branch .LBB558_2
.LBB558_11:
	s_mov_b32 s21, s2
.LBB558_12:
	s_load_dwordx4 s[16:19], s[0:1], 0x48
	v_cmp_ne_u32_e32 vcc, 3, v38
	s_mov_b32 s29, 0
	v_mov_b32_e32 v41, 1.0
	v_mov_b32_e32 v3, 0
	v_mov_b32_e32 v34, 0
	;; [unrolled: 1-line block ×5, first 2 shown]
	s_and_saveexec_b64 s[30:31], vcc
	s_cbranch_execz .LBB558_14
; %bb.13:
	s_load_dwordx2 s[34:35], s[0:1], 0x0
	s_waitcnt lgkmcnt(0)
	s_ashr_i32 s19, s16, 31
	s_mul_hi_u32 s28, s21, s16
	s_mul_i32 s19, s21, s19
	s_add_i32 s37, s28, s19
	s_mul_i32 s36, s21, s16
	s_lshl_b64 s[36:37], s[36:37], 1
	s_add_u32 s16, s34, s36
	s_mul_i32 s28, s4, 0xc0
	s_addc_u32 s19, s35, s37
	s_lshl_b64 s[34:35], s[28:29], 1
	s_add_u32 s34, s16, s34
	v_lshlrev_b32_e32 v6, 3, v38
	v_lshrrev_b32_e32 v7, 2, v40
	s_addc_u32 s35, s19, s35
	v_add_lshl_u32 v6, v6, v7, 4
	global_load_dwordx4 v[34:37], v6, s[34:35]
	v_mov_b32_e32 v41, 0
.LBB558_14:
	s_or_b64 exec, exec, s[30:31]
	s_waitcnt lgkmcnt(0)
	s_mul_i32 s28, s4, s18
	s_lshl_b64 s[18:19], s[28:29], 1
	s_add_u32 s8, s18, s8
	s_waitcnt vmcnt(2)
	v_mad_i64_i32 v[6:7], s[30:31], v2, s17, 0
	s_addc_u32 s9, s19, s9
	v_and_b32_e32 v2, 31, v0
	v_lshl_add_u64 v[6:7], v[6:7], 1, s[8:9]
	v_lshlrev_b32_e32 v2, 4, v2
	v_lshl_add_u64 v[30:31], v[6:7], 0, v[2:3]
	global_load_dwordx4 v[6:9], v[30:31], off
	global_load_dwordx4 v[10:13], v[30:31], off offset:512
	global_load_dwordx4 v[14:17], v[30:31], off offset:1024
	;; [unrolled: 1-line block ×7, first 2 shown]
	s_waitcnt vmcnt(9)
	v_mul_hi_i32 v2, v5, s17
	s_add_u32 s8, s10, s18
	s_waitcnt vmcnt(8)
	v_mul_hi_i32 v30, v4, s17
	v_ashrrev_i32_e32 v32, 31, v2
	s_addc_u32 s9, s11, s19
	v_lshlrev_b32_e32 v2, 6, v40
	v_ashrrev_i32_e32 v33, 31, v30
	v_lshl_add_u64 v[30:31], s[8:9], 0, v[2:3]
	v_lshrrev_b32_e32 v2, 29, v32
	s_load_dword s0, s[0:1], 0x1c
	v_cmp_eq_u32_e32 vcc, 0, v38
	v_and_b32_e32 v55, -4, v39
	v_or_b32_e32 v39, 3, v39
	v_cndmask_b32_e64 v52, 0, 1.0, vcc
	v_cmp_eq_u32_e32 vcc, 1, v38
	v_cmp_gt_i32_e64 s[10:11], s3, v39
	v_lshlrev_b32_e32 v56, 2, v0
	v_cndmask_b32_e64 v53, 0, 1.0, vcc
	v_cmp_eq_u32_e32 vcc, 2, v38
	s_waitcnt vmcnt(7)
	v_mfma_f32_4x4x4_16b_bf16 a[0:3], v[34:35], v[6:7], 0 cbsz:4
	v_mad_i64_i32 v[6:7], s[8:9], v5, s17, v[2:3]
	s_nop 0
	v_mfma_f32_4x4x4_16b_bf16 a[0:3], v[36:37], v[8:9], a[0:3] cbsz:4
	v_lshrrev_b32_e32 v2, 29, v33
	v_mad_i64_i32 v[2:3], s[8:9], v4, s17, v[2:3]
	s_waitcnt vmcnt(6)
	v_mfma_f32_4x4x4_16b_bf16 a[0:3], v[34:35], v[10:11], a[0:3] cbsz:4 abid:1
	v_lshlrev_b64 v[6:7], 1, v[6:7]
	v_lshlrev_b64 v[32:33], 1, v[2:3]
	v_mfma_f32_4x4x4_16b_bf16 a[0:3], v[36:37], v[12:13], a[0:3] cbsz:4 abid:1
	v_and_b32_e32 v6, -16, v6
	v_and_b32_e32 v32, -16, v32
	s_waitcnt vmcnt(5)
	v_mfma_f32_4x4x4_16b_bf16 a[0:3], v[34:35], v[14:15], a[0:3] cbsz:4 abid:2
	v_lshl_add_u64 v[50:51], v[30:31], 0, v[32:33]
	v_cndmask_b32_e64 v54, 0, 1.0, vcc
	v_mfma_f32_4x4x4_16b_bf16 a[0:3], v[36:37], v[16:17], a[0:3] cbsz:4 abid:2
	v_cmp_gt_i32_e32 vcc, s3, v55
	s_waitcnt vmcnt(4)
	v_mfma_f32_4x4x4_16b_bf16 a[0:3], v[34:35], v[18:19], a[0:3] cbsz:4 abid:3
	v_lshl_add_u64 v[18:19], v[30:31], 0, v[6:7]
	global_load_dwordx4 v[2:5], v[18:19], off
	global_load_dwordx4 v[6:9], v[18:19], off offset:16
	v_mfma_f32_4x4x4_16b_bf16 a[0:3], v[36:37], v[20:21], a[0:3] cbsz:4 abid:3
	global_load_dwordx4 v[10:13], v[18:19], off offset:32
	global_load_dwordx4 v[14:17], v[18:19], off offset:48
	s_waitcnt vmcnt(7)
	v_mfma_f32_4x4x4_16b_bf16 a[0:3], v[34:35], v[22:23], a[0:3] cbsz:4 abid:4
	s_nop 1
	v_mfma_f32_4x4x4_16b_bf16 a[0:3], v[36:37], v[24:25], a[0:3] cbsz:4 abid:4
	global_load_dwordx4 v[18:21], v[50:51], off
	global_load_dwordx4 v[22:25], v[50:51], off offset:16
	s_waitcnt vmcnt(8)
	v_mfma_f32_4x4x4_16b_bf16 a[0:3], v[34:35], v[26:27], a[0:3] cbsz:4 abid:5
	s_nop 1
	v_mfma_f32_4x4x4_16b_bf16 a[0:3], v[36:37], v[28:29], a[0:3] cbsz:4 abid:5
	global_load_dwordx4 v[26:29], v[50:51], off offset:32
	global_load_dwordx4 v[30:33], v[50:51], off offset:48
	s_waitcnt vmcnt(9)
	v_mfma_f32_4x4x4_16b_bf16 a[0:3], v[34:35], v[42:43], a[0:3] cbsz:4 abid:6
	v_mov_b32_e32 v42, 0xff7fffff
	v_and_or_b32 v43, v56, 48, v38
	v_mfma_f32_4x4x4_16b_bf16 a[0:3], v[36:37], v[44:45], a[0:3] cbsz:4 abid:6
	v_lshlrev_b32_e32 v43, 2, v43
	s_waitcnt vmcnt(8)
	v_mfma_f32_4x4x4_16b_bf16 a[0:3], v[34:35], v[46:47], a[0:3] cbsz:4 abid:7
	s_nop 1
	v_mfma_f32_4x4x4_16b_bf16 a[0:3], v[36:37], v[48:49], a[0:3] cbsz:4 abid:7
	s_nop 4
	v_accvgpr_read_b32 v35, a1
	v_accvgpr_read_b32 v34, a0
	s_waitcnt lgkmcnt(0)
	v_pk_mul_f32 v[34:35], s[0:1], v[34:35] op_sel_hi:[0,1]
	v_accvgpr_read_b32 v37, a3
	v_accvgpr_read_b32 v36, a2
	v_pk_mul_f32 v[36:37], s[0:1], v[36:37] op_sel_hi:[0,1]
	v_mfma_f32_4x4x1_16b_f32 a[0:3], v34, v52, 0
	v_or_b32_e32 v34, 1, v55
	s_nop 0
	v_mfma_f32_4x4x1_16b_f32 a[0:3], v35, v53, a[0:3]
	v_cmp_gt_i32_e64 s[0:1], s3, v34
	v_or_b32_e32 v35, 2, v55
	v_mfma_f32_4x4x1_16b_f32 a[0:3], v36, v54, a[0:3]
	v_cmp_gt_i32_e64 s[8:9], s3, v35
	s_nop 0
	v_mfma_f32_4x4x1_16b_f32 a[0:3], v37, v41, a[0:3]
	s_nop 3
	v_accvgpr_read_b32 v36, a0
	v_max_f32_e32 v41, v36, v36
	v_accvgpr_read_b32 v37, a1
	v_max_f32_e32 v41, 0xff7fffff, v41
	v_max_f32_e32 v46, v37, v37
	v_cndmask_b32_e32 v41, v42, v41, vcc
	v_accvgpr_read_b32 v44, a2
	v_max_f32_e32 v42, v41, v46
	v_max_f32_e32 v47, v44, v44
	v_cndmask_b32_e64 v34, v41, v42, s[0:1]
	v_accvgpr_read_b32 v45, a3
	v_max_f32_e32 v41, v34, v47
	v_max_f32_e32 v48, v45, v45
	v_cndmask_b32_e64 v34, v34, v41, s[8:9]
	v_max_f32_e32 v35, v34, v48
	v_cndmask_b32_e64 v34, v34, v35, s[10:11]
	;;#ASMSTART
	v_nop
 v_nop
 v_max_f32_dpp v34, v34, v34 row_ror:4
	;;#ASMEND
	s_nop 0
	;;#ASMSTART
	v_nop
 v_nop
 v_max_f32_dpp v34, v34, v34 row_ror:8
	;;#ASMEND
	ds_bpermute_b32 v34, v43, v34
	s_waitcnt lgkmcnt(0)
	;;#ASMSTART
	v_nop
 v_nop
 v_max_f32_dpp v34, v34, v34 row_ror:4
	;;#ASMEND
	s_nop 0
	;;#ASMSTART
	v_nop
 v_nop
 v_max_f32_dpp v41, v34, v34 row_ror:8
	;;#ASMEND
	s_nop 0
	v_sub_f32_e32 v34, v36, v41
	v_sub_f32_e32 v35, v37, v41
	v_mul_f32_e32 v34, 0x3fb8aa3b, v34
	v_sub_f32_e32 v36, v44, v41
	v_mul_f32_e32 v35, 0x3fb8aa3b, v35
	v_exp_f32_e32 v34, v34
	v_sub_f32_e32 v37, v45, v41
	v_mul_f32_e32 v36, 0x3fb8aa3b, v36
	v_exp_f32_e32 v35, v35
	v_mul_f32_e32 v37, 0x3fb8aa3b, v37
	v_exp_f32_e32 v36, v36
	v_exp_f32_e32 v37, v37
	v_cndmask_b32_e32 v34, 0, v34, vcc
	v_cndmask_b32_e64 v35, 0, v35, s[0:1]
	v_add_f32_e32 v39, 0, v34
	v_cndmask_b32_e64 v36, 0, v36, s[8:9]
	v_add_f32_e32 v39, v39, v35
	;; [unrolled: 2-line block ×3, first 2 shown]
	v_add_f32_e32 v39, v39, v37
	;;#ASMSTART
	v_nop
 v_nop
 v_add_f32_dpp v39, v39, v39 row_ror:4
	;;#ASMEND
	v_cmp_gt_u32_e32 vcc, 4, v40
	;;#ASMSTART
	v_nop
 v_nop
 v_add_f32_dpp v39, v39, v39 row_ror:8
	;;#ASMEND
	ds_bpermute_b32 v39, v43, v39
	s_waitcnt lgkmcnt(0)
	;;#ASMSTART
	v_nop
 v_nop
 v_add_f32_dpp v39, v39, v39 row_ror:4
	;;#ASMEND
	s_nop 0
	;;#ASMSTART
	v_nop
 v_nop
 v_add_f32_dpp v39, v39, v39 row_ror:8
	;;#ASMEND
	s_and_saveexec_b64 s[0:1], vcc
	s_cbranch_execz .LBB558_16
; %bb.15:
	v_mul_u32_u24_e32 v42, 20, v1
	v_lshl_add_u32 v42, v38, 2, v42
	v_add_u32_e32 v42, 0x800, v42
	ds_write2_b32 v42, v41, v39 offset0:128 offset1:148
.LBB558_16:
	s_or_b64 exec, exec, s[0:1]
.LBB558_17:
	s_or_b64 exec, exec, s[26:27]
	s_waitcnt lgkmcnt(0)
	s_barrier
	s_load_dword s0, s[24:25], 0x8
	v_lshlrev_b32_e32 v39, 2, v38
	v_add_u32_e32 v39, 0x800, v39
	ds_read2_b32 v[44:45], v39 offset0:128 offset1:133
	ds_read2_b32 v[46:47], v39 offset0:138 offset1:143
	s_mul_i32 s1, s2, s5
	s_waitcnt lgkmcnt(0)
	s_mul_i32 s0, s1, s0
	s_mov_b32 s1, 0xff7fffff
	v_max3_f32 v42, v44, s1, v45
	v_max3_f32 v42, v42, v46, v47
	v_sub_f32_e32 v43, v44, v42
	v_sub_f32_e32 v44, v45, v42
	ds_read2_b32 v[48:49], v39 offset0:148 offset1:153
	v_mul_f32_e32 v43, 0x3fb8aa3b, v43
	v_mul_f32_e32 v44, 0x3fb8aa3b, v44
	v_exp_f32_e32 v43, v43
	v_exp_f32_e32 v50, v44
	ds_read2_b32 v[44:45], v39 offset0:158 offset1:163
	v_sub_f32_e32 v39, v46, v42
	v_mul_f32_e32 v39, 0x3fb8aa3b, v39
	v_sub_f32_e32 v46, v47, v42
	v_exp_f32_e32 v39, v39
	v_mul_f32_e32 v46, 0x3fb8aa3b, v46
	v_exp_f32_e32 v46, v46
	s_waitcnt lgkmcnt(1)
	v_fma_f32 v43, v43, v48, 0
	v_fmac_f32_e32 v43, v50, v49
	s_waitcnt lgkmcnt(0)
	v_fmac_f32_e32 v43, v39, v44
	s_mul_i32 s4, s4, 3
	s_mul_i32 s0, s0, 3
	v_fmac_f32_e32 v43, v46, v45
	v_cmp_ne_u32_e32 vcc, 3, v38
	s_and_saveexec_b64 s[2:3], vcc
	s_cbranch_execz .LBB558_19
; %bb.18:
	s_mov_b32 s1, 0
	s_lshl_b64 s[8:9], s[0:1], 2
	s_add_u32 s12, s12, s8
	s_mov_b32 s21, s1
	s_addc_u32 s13, s13, s9
	s_lshl_b64 s[10:11], s[20:21], 2
	s_add_u32 s12, s12, s10
	s_addc_u32 s13, s13, s11
	s_add_u32 s1, s14, s8
	s_addc_u32 s9, s15, s9
	v_add_u32_e32 v38, s4, v38
	s_add_u32 s8, s1, s10
	v_mul_lo_u32 v38, s5, v38
	v_mov_b32_e32 v39, 0
	s_addc_u32 s9, s9, s11
	v_lshlrev_b64 v[38:39], 2, v[38:39]
	v_lshl_add_u64 v[44:45], s[12:13], 0, v[38:39]
	v_lshl_add_u64 v[38:39], s[8:9], 0, v[38:39]
	global_store_dword v[38:39], v42, off
	global_store_dword v[44:45], v43, off
.LBB558_19:
	s_or_b64 exec, exec, s[2:3]
	v_mov_b32_e32 v38, 0
	v_mov_b32_e32 v39, 0
	s_and_saveexec_b64 s[2:3], s[6:7]
	s_cbranch_execz .LBB558_21
; %bb.20:
	v_add_f32_e32 v38, 0x358637bd, v43
	v_div_scale_f32 v39, s[6:7], v38, v38, 1.0
	v_rcp_f32_e32 v43, v39
	v_div_scale_f32 v44, vcc, 1.0, v38, 1.0
	v_sub_f32_e32 v41, v41, v42
	v_fma_f32 v45, -v39, v43, 1.0
	v_fmac_f32_e32 v43, v45, v43
	v_mul_f32_e32 v45, v44, v43
	v_fma_f32 v46, -v39, v45, v44
	v_mul_f32_e32 v41, 0x3fb8aa3b, v41
	v_fmac_f32_e32 v45, v46, v43
	v_exp_f32_e32 v41, v41
	v_fma_f32 v39, -v39, v45, v44
	v_div_fmas_f32 v39, v39, v43, v45
	v_div_fixup_f32 v38, v39, v38, 1.0
	v_mul_f32_e32 v38, v41, v38
	v_pk_mul_f32 v[34:35], v[34:35], v[38:39] op_sel_hi:[1,0]
	v_pk_mul_f32 v[36:37], v[36:37], v[38:39] op_sel_hi:[1,0]
	v_bfe_u32 v38, v35, 16, 1
	v_bfe_u32 v39, v34, 16, 1
	s_movk_i32 s1, 0x7fff
	v_add3_u32 v34, v34, v39, s1
	v_add3_u32 v35, v35, v38, s1
	s_mov_b32 s6, 0x7060302
	v_perm_b32 v34, v35, v34, s6
	v_bfe_u32 v35, v37, 16, 1
	v_bfe_u32 v38, v36, 16, 1
	v_add3_u32 v36, v36, v38, s1
	v_add3_u32 v35, v37, v35, s1
	v_perm_b32 v35, v35, v36, s6
	s_waitcnt vmcnt(7)
	s_nop 0
	v_mfma_f32_4x4x4_16b_bf16 a[0:3], v[34:35], v[2:3], 0 cbsz:4
	s_nop 1
	v_mfma_f32_4x4x4_16b_bf16 a[0:3], v[34:35], v[4:5], a[0:3] cbsz:4 abid:1
	s_waitcnt vmcnt(6)
	s_nop 0
	v_mfma_f32_4x4x4_16b_bf16 a[0:3], v[34:35], v[6:7], a[0:3] cbsz:4 abid:2
	s_nop 1
	v_mfma_f32_4x4x4_16b_bf16 a[0:3], v[34:35], v[8:9], a[0:3] cbsz:4 abid:3
	s_waitcnt vmcnt(5)
	s_nop 0
	v_mfma_f32_4x4x4_16b_bf16 a[0:3], v[34:35], v[10:11], a[0:3] cbsz:4 abid:4
	;; [unrolled: 5-line block ×7, first 2 shown]
	s_nop 1
	v_mfma_f32_4x4x4_16b_bf16 a[0:3], v[34:35], v[32:33], a[0:3] cbsz:4 abid:15
	s_nop 4
	v_accvgpr_read_b32 v5, a1
	v_accvgpr_read_b32 v2, a2
	;; [unrolled: 1-line block ×4, first 2 shown]
	v_bfe_u32 v6, v5, 16, 1
	v_bfe_u32 v7, v4, 16, 1
	;; [unrolled: 1-line block ×3, first 2 shown]
	v_add3_u32 v5, v5, v6, s1
	v_bfe_u32 v6, v2, 16, 1
	v_add3_u32 v4, v4, v7, s1
	v_add3_u32 v2, v2, v6, s1
	;; [unrolled: 1-line block ×3, first 2 shown]
	v_perm_b32 v39, v3, v2, s6
	v_perm_b32 v38, v5, v4, s6
.LBB558_21:
	s_or_b64 exec, exec, s[2:3]
	v_lshlrev_b32_e32 v1, 3, v1
	v_mad_u32_u24 v1, v40, 40, v1
	v_cmp_gt_u32_e32 vcc, 64, v0
	ds_write_b64 v1, v[38:39]
	s_waitcnt lgkmcnt(0)
	s_barrier
	s_and_saveexec_b64 s[2:3], vcc
	s_cbranch_execz .LBB558_23
; %bb.22:
	v_mul_u32_u24_e32 v1, 40, v40
	s_waitcnt vmcnt(7)
	ds_read2_b64 v[2:5], v1 offset1:1
	s_waitcnt vmcnt(6)
	ds_read2_b64 v[6:9], v1 offset0:2 offset1:3
	s_mov_b32 s1, 0
	s_lshl_b32 s0, s0, 6
	s_lshl_b64 s[2:3], s[0:1], 1
	s_waitcnt lgkmcnt(1)
	v_and_b32_e32 v1, 0xffff0000, v2
	v_lshlrev_b32_e32 v3, 16, v3
	v_add_f32_e32 v1, 0, v1
	v_add_f32_e32 v3, 0, v3
	v_and_b32_e32 v1, 0xffff0000, v1
	s_waitcnt vmcnt(5)
	v_and_b32_e32 v10, 0xffff0000, v4
	v_and_b32_e32 v3, 0xffff0000, v3
	v_add_f32_e32 v1, v1, v10
	v_lshlrev_b32_e32 v5, 16, v5
	v_and_b32_e32 v1, 0xffff0000, v1
	v_add_f32_e32 v3, v3, v5
	s_waitcnt lgkmcnt(0)
	v_and_b32_e32 v5, 0xffff0000, v6
	v_and_b32_e32 v3, 0xffff0000, v3
	v_add_f32_e32 v1, v1, v5
	v_lshlrev_b32_e32 v5, 16, v7
	v_and_b32_e32 v1, 0xffff0000, v1
	v_add_f32_e32 v3, v3, v5
	v_and_b32_e32 v5, 0xffff0000, v8
	v_lshlrev_b32_e32 v2, 16, v2
	v_and_b32_e32 v3, 0xffff0000, v3
	v_add_f32_e32 v1, v1, v5
	v_lshlrev_b32_e32 v5, 16, v9
	s_add_u32 s2, s22, s2
	v_add_f32_e32 v2, 0, v2
	v_add_f32_e32 v7, v3, v5
	s_addc_u32 s3, s23, s3
	s_lshl_b32 s0, s20, 6
	v_and_b32_e32 v2, 0xffff0000, v2
	v_lshlrev_b32_e32 v3, 16, v4
	s_lshl_b64 s[0:1], s[0:1], 1
	v_add_f32_e32 v2, v2, v3
	s_add_u32 s0, s2, s0
	v_and_b32_e32 v2, 0xffff0000, v2
	v_lshlrev_b32_e32 v3, 16, v6
	s_addc_u32 s1, s3, s1
	s_lshl_b32 s2, s5, 6
	v_add_f32_e32 v2, v2, v3
	v_and_b32_e32 v2, 0xffff0000, v2
	v_lshlrev_b32_e32 v3, 16, v8
	s_mul_i32 s3, s2, s4
	v_add_f32_e32 v6, v2, v3
	v_or_b32_e32 v2, s3, v0
	v_mov_b32_e32 v3, 0
	s_add_i32 s3, s3, s2
	v_lshl_add_u64 v[4:5], v[2:3], 1, s[0:1]
	v_or_b32_e32 v2, s3, v0
	s_add_i32 s3, s3, s2
	global_store_short_d16_hi v[4:5], v6, off
	v_lshl_add_u64 v[4:5], v[2:3], 1, s[0:1]
	v_or_b32_e32 v2, s3, v0
	global_store_short_d16_hi v[4:5], v1, off
	v_lshl_add_u64 v[0:1], v[2:3], 1, s[0:1]
	global_store_short_d16_hi v[0:1], v7, off
.LBB558_23:
	s_endpgm
	.section	.rodata,"a",@progbits
	.p2align	6, 0x0
	.amdhsa_kernel _Z38paged_attention_ll4mi_QKV_mfma4_kernelI14__hip_bfloat16S0_LN4vllm18Fp8KVCacheDataTypeE0ES0_Li32ELi64ELi256ELb0ELi3EEvPKT_PKT0_S8_ifPKiSA_SA_iPKfiiiPfSD_PS3_PT2_iSC_SC_
		.amdhsa_group_segment_fixed_size 2720
		.amdhsa_private_segment_fixed_size 0
		.amdhsa_kernarg_size 400
		.amdhsa_user_sgpr_count 2
		.amdhsa_user_sgpr_dispatch_ptr 0
		.amdhsa_user_sgpr_queue_ptr 0
		.amdhsa_user_sgpr_kernarg_segment_ptr 1
		.amdhsa_user_sgpr_dispatch_id 0
		.amdhsa_user_sgpr_kernarg_preload_length 0
		.amdhsa_user_sgpr_kernarg_preload_offset 0
		.amdhsa_user_sgpr_private_segment_size 0
		.amdhsa_uses_dynamic_stack 0
		.amdhsa_enable_private_segment 0
		.amdhsa_system_sgpr_workgroup_id_x 1
		.amdhsa_system_sgpr_workgroup_id_y 1
		.amdhsa_system_sgpr_workgroup_id_z 1
		.amdhsa_system_sgpr_workgroup_info 0
		.amdhsa_system_vgpr_workitem_id 0
		.amdhsa_next_free_vgpr 64
		.amdhsa_next_free_sgpr 38
		.amdhsa_accum_offset 60
		.amdhsa_reserve_vcc 1
		.amdhsa_float_round_mode_32 0
		.amdhsa_float_round_mode_16_64 0
		.amdhsa_float_denorm_mode_32 3
		.amdhsa_float_denorm_mode_16_64 3
		.amdhsa_dx10_clamp 1
		.amdhsa_ieee_mode 1
		.amdhsa_fp16_overflow 0
		.amdhsa_tg_split 0
		.amdhsa_exception_fp_ieee_invalid_op 0
		.amdhsa_exception_fp_denorm_src 0
		.amdhsa_exception_fp_ieee_div_zero 0
		.amdhsa_exception_fp_ieee_overflow 0
		.amdhsa_exception_fp_ieee_underflow 0
		.amdhsa_exception_fp_ieee_inexact 0
		.amdhsa_exception_int_div_zero 0
	.end_amdhsa_kernel
	.section	.text._Z38paged_attention_ll4mi_QKV_mfma4_kernelI14__hip_bfloat16S0_LN4vllm18Fp8KVCacheDataTypeE0ES0_Li32ELi64ELi256ELb0ELi3EEvPKT_PKT0_S8_ifPKiSA_SA_iPKfiiiPfSD_PS3_PT2_iSC_SC_,"axG",@progbits,_Z38paged_attention_ll4mi_QKV_mfma4_kernelI14__hip_bfloat16S0_LN4vllm18Fp8KVCacheDataTypeE0ES0_Li32ELi64ELi256ELb0ELi3EEvPKT_PKT0_S8_ifPKiSA_SA_iPKfiiiPfSD_PS3_PT2_iSC_SC_,comdat
.Lfunc_end558:
	.size	_Z38paged_attention_ll4mi_QKV_mfma4_kernelI14__hip_bfloat16S0_LN4vllm18Fp8KVCacheDataTypeE0ES0_Li32ELi64ELi256ELb0ELi3EEvPKT_PKT0_S8_ifPKiSA_SA_iPKfiiiPfSD_PS3_PT2_iSC_SC_, .Lfunc_end558-_Z38paged_attention_ll4mi_QKV_mfma4_kernelI14__hip_bfloat16S0_LN4vllm18Fp8KVCacheDataTypeE0ES0_Li32ELi64ELi256ELb0ELi3EEvPKT_PKT0_S8_ifPKiSA_SA_iPKfiiiPfSD_PS3_PT2_iSC_SC_
                                        ; -- End function
	.section	.AMDGPU.csdata,"",@progbits
; Kernel info:
; codeLenInByte = 3240
; NumSgprs: 44
; NumVgprs: 57
; NumAgprs: 4
; TotalNumVgprs: 64
; ScratchSize: 0
; MemoryBound: 0
; FloatMode: 240
; IeeeMode: 1
; LDSByteSize: 2720 bytes/workgroup (compile time only)
; SGPRBlocks: 5
; VGPRBlocks: 7
; NumSGPRsForWavesPerEU: 44
; NumVGPRsForWavesPerEU: 64
; AccumOffset: 60
; Occupancy: 8
; WaveLimiterHint : 1
; COMPUTE_PGM_RSRC2:SCRATCH_EN: 0
; COMPUTE_PGM_RSRC2:USER_SGPR: 2
; COMPUTE_PGM_RSRC2:TRAP_HANDLER: 0
; COMPUTE_PGM_RSRC2:TGID_X_EN: 1
; COMPUTE_PGM_RSRC2:TGID_Y_EN: 1
; COMPUTE_PGM_RSRC2:TGID_Z_EN: 1
; COMPUTE_PGM_RSRC2:TIDIG_COMP_CNT: 0
; COMPUTE_PGM_RSRC3_GFX90A:ACCUM_OFFSET: 14
; COMPUTE_PGM_RSRC3_GFX90A:TG_SPLIT: 0
	.section	.text._Z38paged_attention_ll4mi_QKV_mfma4_kernelI14__hip_bfloat16S0_LN4vllm18Fp8KVCacheDataTypeE0ES0_Li32ELi64ELi256ELb0ELi4EEvPKT_PKT0_S8_ifPKiSA_SA_iPKfiiiPfSD_PS3_PT2_iSC_SC_,"axG",@progbits,_Z38paged_attention_ll4mi_QKV_mfma4_kernelI14__hip_bfloat16S0_LN4vllm18Fp8KVCacheDataTypeE0ES0_Li32ELi64ELi256ELb0ELi4EEvPKT_PKT0_S8_ifPKiSA_SA_iPKfiiiPfSD_PS3_PT2_iSC_SC_,comdat
	.protected	_Z38paged_attention_ll4mi_QKV_mfma4_kernelI14__hip_bfloat16S0_LN4vllm18Fp8KVCacheDataTypeE0ES0_Li32ELi64ELi256ELb0ELi4EEvPKT_PKT0_S8_ifPKiSA_SA_iPKfiiiPfSD_PS3_PT2_iSC_SC_ ; -- Begin function _Z38paged_attention_ll4mi_QKV_mfma4_kernelI14__hip_bfloat16S0_LN4vllm18Fp8KVCacheDataTypeE0ES0_Li32ELi64ELi256ELb0ELi4EEvPKT_PKT0_S8_ifPKiSA_SA_iPKfiiiPfSD_PS3_PT2_iSC_SC_
	.globl	_Z38paged_attention_ll4mi_QKV_mfma4_kernelI14__hip_bfloat16S0_LN4vllm18Fp8KVCacheDataTypeE0ES0_Li32ELi64ELi256ELb0ELi4EEvPKT_PKT0_S8_ifPKiSA_SA_iPKfiiiPfSD_PS3_PT2_iSC_SC_
	.p2align	8
	.type	_Z38paged_attention_ll4mi_QKV_mfma4_kernelI14__hip_bfloat16S0_LN4vllm18Fp8KVCacheDataTypeE0ES0_Li32ELi64ELi256ELb0ELi4EEvPKT_PKT0_S8_ifPKiSA_SA_iPKfiiiPfSD_PS3_PT2_iSC_SC_,@function
_Z38paged_attention_ll4mi_QKV_mfma4_kernelI14__hip_bfloat16S0_LN4vllm18Fp8KVCacheDataTypeE0ES0_Li32ELi64ELi256ELb0ELi4EEvPKT_PKT0_S8_ifPKiSA_SA_iPKfiiiPfSD_PS3_PT2_iSC_SC_: ; @_Z38paged_attention_ll4mi_QKV_mfma4_kernelI14__hip_bfloat16S0_LN4vllm18Fp8KVCacheDataTypeE0ES0_Li32ELi64ELi256ELb0ELi4EEvPKT_PKT0_S8_ifPKiSA_SA_iPKfiiiPfSD_PS3_PT2_iSC_SC_
; %bb.0:
	s_load_dwordx2 s[8:9], s[0:1], 0x30
	s_mov_b32 s20, s3
	s_mov_b64 s[6:7], 0
	s_waitcnt lgkmcnt(0)
	s_cmp_lg_u64 s[8:9], 0
	s_cselect_b64 s[10:11], -1, 0
	s_and_b64 vcc, exec, s[10:11]
	s_cbranch_vccz .LBB559_18
; %bb.1:
	s_add_i32 s12, s2, 1
	s_mov_b32 s13, 0
	s_lshl_b64 s[14:15], s[12:13], 2
	s_add_u32 s14, s8, s14
	s_mov_b32 s3, s13
	s_addc_u32 s15, s9, s15
	s_lshl_b64 s[12:13], s[2:3], 2
	s_add_u32 s12, s8, s12
	s_addc_u32 s13, s9, s13
	s_load_dword s5, s[14:15], 0x0
	s_load_dword s16, s[12:13], 0x0
	s_mov_b64 s[30:31], s[2:3]
	s_waitcnt lgkmcnt(0)
	s_sub_i32 s5, s5, s16
	s_cmp_eq_u32 s5, 1
	s_cselect_b64 s[12:13], -1, 0
	s_andn2_b64 vcc, exec, s[6:7]
	s_cbranch_vccnz .LBB559_3
.LBB559_2:
	s_mov_b32 s3, 0
	s_mov_b64 s[12:13], -1
	s_mov_b64 s[30:31], s[2:3]
.LBB559_3:
	s_andn2_b64 vcc, exec, s[12:13]
	s_cbranch_vccnz .LBB559_17
; %bb.4:
	s_load_dword s3, s[0:1], 0x9c
	s_load_dwordx2 s[6:7], s[0:1], 0x28
	s_add_u32 s24, s0, 0x90
	s_addc_u32 s25, s1, 0
	s_lshl_b64 s[34:35], s[30:31], 2
	s_waitcnt lgkmcnt(0)
	s_and_b32 s5, s3, 0xffff
	s_add_u32 s6, s6, s34
	s_addc_u32 s7, s7, s35
	s_load_dword s3, s[6:7], 0x0
	s_mul_i32 s16, s20, s5
	s_waitcnt lgkmcnt(0)
	s_cmp_ge_i32 s16, s3
	s_cbranch_scc1 .LBB559_17
; %bb.5:
	v_and_b32_e32 v2, 0xc0, v0
	v_add_u32_e32 v2, s16, v2
	v_lshrrev_b32_e32 v1, 6, v0
	v_cmp_gt_i32_e64 s[6:7], s3, v2
	v_cmp_le_i32_e32 vcc, s3, v2
                                        ; implicit-def: $sgpr18
                                        ; implicit-def: $sgpr17
	s_and_saveexec_b64 s[12:13], vcc
	s_xor_b64 s[12:13], exec, s[12:13]
	s_cbranch_execz .LBB559_7
; %bb.6:
	v_mul_u32_u24_e32 v2, 20, v1
	v_or_b32_e32 v2, 0xa00, v2
	v_mov_b32_e32 v3, 0xa50
	v_mov_b32_e32 v4, 0xff7fffff
	v_mad_u32_u24 v3, v1, 20, v3
	ds_write2_b32 v2, v4, v4 offset1:1
	v_mov_b32_e32 v2, 0
	ds_write2_b32 v3, v2, v2 offset1:1
	v_mov_b32_e32 v3, 0xa08
	s_mov_b32 s17, 0xff7fffff
	s_mov_b32 s18, 0
	v_mad_u32_u24 v3, v1, 20, v3
	v_mov_b32_e32 v5, 0xa58
	v_mad_u32_u24 v5, v1, 20, v5
	ds_write2_b32 v3, v4, v4 offset1:1
	ds_write2_b32 v5, v2, v2 offset1:1
                                        ; implicit-def: $vgpr2
.LBB559_7:
	s_or_saveexec_b64 s[26:27], s[12:13]
	s_load_dwordx2 s[22:23], s[0:1], 0x68
	s_load_dwordx4 s[12:15], s[0:1], 0x58
	s_load_dword s5, s[24:25], 0x4
	v_and_b32_e32 v40, 63, v0
	v_and_b32_e32 v38, 3, v0
	v_mov_b32_e32 v37, s18
	v_mov_b32_e32 v41, s17
	;; [unrolled: 1-line block ×5, first 2 shown]
                                        ; implicit-def: $vgpr3
                                        ; implicit-def: $vgpr7
                                        ; implicit-def: $vgpr11
                                        ; implicit-def: $vgpr15
                                        ; implicit-def: $vgpr19
                                        ; implicit-def: $vgpr23
                                        ; implicit-def: $vgpr27
                                        ; implicit-def: $vgpr31
	s_xor_b64 exec, exec, s[26:27]
	s_cbranch_execz .LBB559_13
; %bb.8:
	s_add_i32 s21, s3, 31
	s_load_dwordx2 s[18:19], s[0:1], 0x20
	s_load_dword s17, s[0:1], 0x38
	s_ashr_i32 s28, s21, 31
	s_lshr_b32 s28, s28, 27
	v_add_u32_e32 v34, s16, v0
	s_add_i32 s21, s21, s28
	v_ashrrev_i32_e32 v3, 31, v34
	s_ashr_i32 s21, s21, 5
	v_lshrrev_b32_e32 v3, 27, v3
	s_add_i32 s21, s21, -1
	v_add_u32_e32 v3, v34, v3
	s_waitcnt lgkmcnt(0)
	s_mul_i32 s36, s2, s17
	s_mov_b32 s37, 0
	v_ashrrev_i32_e32 v3, 5, v3
	v_mov_b32_e32 v4, s21
	v_cmp_gt_i32_e32 vcc, s3, v34
	s_lshl_b64 s[28:29], s[36:37], 2
	s_add_u32 s18, s18, s28
	v_cndmask_b32_e32 v4, v4, v3, vcc
	v_ashrrev_i32_e32 v3, 31, v2
	v_lshrrev_b32_e32 v3, 27, v3
	s_addc_u32 s19, s19, s29
	v_ashrrev_i32_e32 v5, 31, v4
	v_add_u32_e32 v2, v2, v3
	v_lshl_add_u64 v[6:7], v[4:5], 2, s[18:19]
	v_ashrrev_i32_e32 v4, 5, v2
	v_min_i32_e32 v2, s21, v4
	v_ashrrev_i32_e32 v3, 31, v2
	v_lshl_add_u64 v[8:9], v[2:3], 2, s[18:19]
	v_add_u32_e32 v2, 1, v4
	v_min_i32_e32 v2, s21, v2
	v_ashrrev_i32_e32 v3, 31, v2
	v_lshl_add_u64 v[10:11], v[2:3], 2, s[18:19]
	global_load_dword v4, v[6:7], off
	global_load_dword v3, v[8:9], off
	;; [unrolled: 1-line block ×3, first 2 shown]
	s_load_dwordx4 s[16:19], s[0:1], 0x0
	s_load_dwordx2 s[28:29], s[0:1], 0x10
	s_andn2_b64 vcc, exec, s[10:11]
	s_cbranch_vccnz .LBB559_10
; %bb.9:
	s_add_u32 s8, s8, s34
	s_addc_u32 s9, s9, s35
	s_load_dword s36, s[8:9], 0x0
	s_waitcnt lgkmcnt(0)
	s_mov_b64 s[30:31], s[36:37]
.LBB559_10:
	s_load_dwordx4 s[8:11], s[0:1], 0x48
	v_lshrrev_b32_e32 v5, 2, v40
	v_lshlrev_b32_e32 v6, 3, v38
	v_add_lshl_u32 v5, v6, v5, 4
	v_and_b32_e32 v6, 31, v0
	s_waitcnt lgkmcnt(0)
	s_ashr_i32 s11, s8, 31
	s_mul_hi_u32 s21, s30, s8
	s_mul_i32 s31, s31, s8
	s_mul_i32 s34, s30, s8
	;; [unrolled: 1-line block ×3, first 2 shown]
	s_add_i32 s8, s21, s8
	s_add_i32 s35, s8, s31
	s_lshl_b64 s[30:31], s[34:35], 1
	s_add_u32 s8, s16, s30
	s_addc_u32 s11, s17, s31
	s_lshl_b32 s36, s4, 8
	s_lshl_b64 s[16:17], s[36:37], 1
	s_add_u32 s16, s8, s16
	s_addc_u32 s17, s11, s17
	global_load_dwordx4 v[42:45], v5, s[16:17]
	s_mul_i32 s36, s4, s10
	s_waitcnt vmcnt(3)
	v_mad_i64_i32 v[4:5], s[16:17], v4, s9, 0
	s_lshl_b64 s[10:11], s[36:37], 1
	s_add_u32 s16, s10, s18
	s_addc_u32 s17, s11, s19
	v_lshl_add_u64 v[4:5], v[4:5], 1, s[16:17]
	v_lshlrev_b32_e32 v28, 4, v6
	v_mov_b32_e32 v29, 0
	v_lshl_add_u64 v[30:31], v[4:5], 0, v[28:29]
	global_load_dwordx4 v[4:7], v[30:31], off
	global_load_dwordx4 v[8:11], v[30:31], off offset:512
	global_load_dwordx4 v[12:15], v[30:31], off offset:1024
	;; [unrolled: 1-line block ×7, first 2 shown]
	s_waitcnt vmcnt(10)
	v_mul_hi_i32 v28, v3, s9
	s_add_u32 s10, s28, s10
	s_waitcnt vmcnt(9)
	v_mul_hi_i32 v30, v2, s9
	v_ashrrev_i32_e32 v32, 31, v28
	s_addc_u32 s11, s29, s11
	v_lshlrev_b32_e32 v28, 6, v40
	v_ashrrev_i32_e32 v33, 31, v30
	v_lshl_add_u64 v[30:31], s[10:11], 0, v[28:29]
	v_lshrrev_b32_e32 v28, 29, v32
	s_load_dword s0, s[0:1], 0x1c
	v_and_b32_e32 v56, -4, v34
	v_cmp_eq_u32_e32 vcc, 0, v38
	v_lshlrev_b32_e32 v57, 2, v0
	s_waitcnt vmcnt(7)
	v_mfma_f32_4x4x4_16b_bf16 a[0:3], v[42:43], v[4:5], 0 cbsz:4
	v_mad_i64_i32 v[4:5], s[10:11], v3, s9, v[28:29]
	s_nop 0
	v_mfma_f32_4x4x4_16b_bf16 a[0:3], v[44:45], v[6:7], a[0:3] cbsz:4
	v_lshrrev_b32_e32 v28, 29, v33
	v_mad_i64_i32 v[2:3], s[8:9], v2, s9, v[28:29]
	s_waitcnt vmcnt(6)
	v_mfma_f32_4x4x4_16b_bf16 a[0:3], v[42:43], v[8:9], a[0:3] cbsz:4 abid:1
	v_lshlrev_b64 v[4:5], 1, v[4:5]
	v_lshlrev_b64 v[28:29], 1, v[2:3]
	v_mfma_f32_4x4x4_16b_bf16 a[0:3], v[44:45], v[10:11], a[0:3] cbsz:4 abid:1
	v_and_b32_e32 v4, -16, v4
	v_and_b32_e32 v28, -16, v28
	s_waitcnt vmcnt(5)
	v_mfma_f32_4x4x4_16b_bf16 a[0:3], v[42:43], v[12:13], a[0:3] cbsz:4 abid:2
	v_lshl_add_u64 v[32:33], v[30:31], 0, v[4:5]
	v_lshl_add_u64 v[36:37], v[30:31], 0, v[28:29]
	v_mfma_f32_4x4x4_16b_bf16 a[0:3], v[44:45], v[14:15], a[0:3] cbsz:4 abid:2
	global_load_dwordx4 v[2:5], v[32:33], off
	global_load_dwordx4 v[6:9], v[32:33], off offset:16
	s_waitcnt vmcnt(6)
	v_mfma_f32_4x4x4_16b_bf16 a[0:3], v[42:43], v[16:17], a[0:3] cbsz:4 abid:3
	global_load_dwordx4 v[10:13], v[32:33], off offset:32
	global_load_dwordx4 v[14:17], v[32:33], off offset:48
	v_mfma_f32_4x4x4_16b_bf16 a[0:3], v[44:45], v[18:19], a[0:3] cbsz:4 abid:3
	v_cndmask_b32_e64 v39, 0, 1.0, vcc
	v_cmp_eq_u32_e32 vcc, 1, v38
	s_waitcnt vmcnt(7)
	v_mfma_f32_4x4x4_16b_bf16 a[0:3], v[42:43], v[20:21], a[0:3] cbsz:4 abid:4
	v_cndmask_b32_e64 v41, 0, 1.0, vcc
	s_nop 0
	v_mfma_f32_4x4x4_16b_bf16 a[0:3], v[44:45], v[22:23], a[0:3] cbsz:4 abid:4
	v_cmp_eq_u32_e32 vcc, 2, v38
	s_waitcnt vmcnt(6)
	v_mfma_f32_4x4x4_16b_bf16 a[0:3], v[42:43], v[24:25], a[0:3] cbsz:4 abid:5
	global_load_dwordx4 v[18:21], v[36:37], off
	global_load_dwordx4 v[22:25], v[36:37], off offset:16
	v_mfma_f32_4x4x4_16b_bf16 a[0:3], v[44:45], v[26:27], a[0:3] cbsz:4 abid:5
	global_load_dwordx4 v[26:29], v[36:37], off offset:32
	global_load_dwordx4 v[30:33], v[36:37], off offset:48
	s_waitcnt vmcnt(9)
	v_mfma_f32_4x4x4_16b_bf16 a[0:3], v[42:43], v[46:47], a[0:3] cbsz:4 abid:6
	v_cndmask_b32_e64 v54, 0, 1.0, vcc
	v_cmp_eq_u32_e32 vcc, 3, v38
	v_mfma_f32_4x4x4_16b_bf16 a[0:3], v[44:45], v[48:49], a[0:3] cbsz:4 abid:6
	v_mov_b32_e32 v46, 0xff7fffff
	v_cndmask_b32_e64 v55, 0, 1.0, vcc
	s_waitcnt vmcnt(8)
	v_mfma_f32_4x4x4_16b_bf16 a[0:3], v[42:43], v[50:51], a[0:3] cbsz:4 abid:7
	v_or_b32_e32 v42, 3, v34
	v_cmp_gt_i32_e32 vcc, s3, v56
	v_mfma_f32_4x4x4_16b_bf16 a[0:3], v[44:45], v[52:53], a[0:3] cbsz:4 abid:7
	v_and_or_b32 v43, v57, 48, v38
	v_cmp_gt_i32_e64 s[10:11], s3, v42
	s_nop 2
	v_accvgpr_read_b32 v35, a1
	v_accvgpr_read_b32 v34, a0
	s_waitcnt lgkmcnt(0)
	v_pk_mul_f32 v[34:35], s[0:1], v[34:35] op_sel_hi:[0,1]
	v_accvgpr_read_b32 v37, a3
	v_accvgpr_read_b32 v36, a2
	v_pk_mul_f32 v[36:37], s[0:1], v[36:37] op_sel_hi:[0,1]
	v_mfma_f32_4x4x1_16b_f32 a[0:3], v34, v39, 0
	v_or_b32_e32 v34, 1, v56
	s_nop 0
	v_mfma_f32_4x4x1_16b_f32 a[0:3], v35, v41, a[0:3]
	v_lshlrev_b32_e32 v39, 2, v43
	v_cmp_gt_i32_e64 s[0:1], s3, v34
	v_mfma_f32_4x4x1_16b_f32 a[0:3], v36, v54, a[0:3]
	v_or_b32_e32 v35, 2, v56
	v_cmp_gt_i32_e64 s[8:9], s3, v35
	v_mfma_f32_4x4x1_16b_f32 a[0:3], v37, v55, a[0:3]
	s_nop 3
	v_accvgpr_read_b32 v36, a0
	v_max_f32_e32 v41, v36, v36
	v_accvgpr_read_b32 v37, a1
	v_max_f32_e32 v41, 0xff7fffff, v41
	v_max_f32_e32 v45, v37, v37
	v_cndmask_b32_e32 v41, v46, v41, vcc
	v_accvgpr_read_b32 v43, a2
	v_max_f32_e32 v45, v41, v45
	v_max_f32_e32 v47, v43, v43
	v_cndmask_b32_e64 v34, v41, v45, s[0:1]
	v_accvgpr_read_b32 v44, a3
	v_max_f32_e32 v41, v34, v47
	v_max_f32_e32 v48, v44, v44
	v_cndmask_b32_e64 v34, v34, v41, s[8:9]
	v_max_f32_e32 v35, v34, v48
	v_cndmask_b32_e64 v34, v34, v35, s[10:11]
	;;#ASMSTART
	v_nop
 v_nop
 v_max_f32_dpp v34, v34, v34 row_ror:4
	;;#ASMEND
	s_nop 0
	;;#ASMSTART
	v_nop
 v_nop
 v_max_f32_dpp v34, v34, v34 row_ror:8
	;;#ASMEND
	ds_bpermute_b32 v34, v39, v34
	s_waitcnt lgkmcnt(0)
	;;#ASMSTART
	v_nop
 v_nop
 v_max_f32_dpp v34, v34, v34 row_ror:4
	;;#ASMEND
	s_nop 0
	;;#ASMSTART
	v_nop
 v_nop
 v_max_f32_dpp v41, v34, v34 row_ror:8
	;;#ASMEND
	s_nop 0
	v_sub_f32_e32 v34, v36, v41
	v_sub_f32_e32 v35, v37, v41
	v_mul_f32_e32 v34, 0x3fb8aa3b, v34
	v_sub_f32_e32 v36, v43, v41
	v_mul_f32_e32 v35, 0x3fb8aa3b, v35
	v_exp_f32_e32 v34, v34
	v_sub_f32_e32 v37, v44, v41
	v_mul_f32_e32 v36, 0x3fb8aa3b, v36
	v_exp_f32_e32 v35, v35
	v_mul_f32_e32 v37, 0x3fb8aa3b, v37
	v_exp_f32_e32 v36, v36
	v_exp_f32_e32 v37, v37
	v_cndmask_b32_e32 v34, 0, v34, vcc
	v_cndmask_b32_e64 v35, 0, v35, s[0:1]
	v_add_f32_e32 v42, 0, v34
	v_cndmask_b32_e64 v36, 0, v36, s[8:9]
	v_add_f32_e32 v42, v42, v35
	;; [unrolled: 2-line block ×3, first 2 shown]
	v_add_f32_e32 v42, v42, v37
	;;#ASMSTART
	v_nop
 v_nop
 v_add_f32_dpp v42, v42, v42 row_ror:4
	;;#ASMEND
	v_cmp_gt_u32_e32 vcc, 4, v40
	;;#ASMSTART
	v_nop
 v_nop
 v_add_f32_dpp v42, v42, v42 row_ror:8
	;;#ASMEND
	ds_bpermute_b32 v39, v39, v42
	s_waitcnt lgkmcnt(0)
	;;#ASMSTART
	v_nop
 v_nop
 v_add_f32_dpp v39, v39, v39 row_ror:4
	;;#ASMEND
	s_nop 0
	;;#ASMSTART
	v_nop
 v_nop
 v_add_f32_dpp v39, v39, v39 row_ror:8
	;;#ASMEND
	s_and_saveexec_b64 s[0:1], vcc
	s_cbranch_execz .LBB559_12
; %bb.11:
	v_mul_u32_u24_e32 v42, 20, v1
	v_lshl_add_u32 v42, v38, 2, v42
	v_add_u32_e32 v42, 0x800, v42
	ds_write2_b32 v42, v41, v39 offset0:128 offset1:148
.LBB559_12:
	s_or_b64 exec, exec, s[0:1]
.LBB559_13:
	s_or_b64 exec, exec, s[26:27]
	v_lshlrev_b32_e32 v39, 2, v38
	v_add_u32_e32 v39, 0x800, v39
	s_waitcnt lgkmcnt(0)
	s_barrier
	s_load_dword s0, s[24:25], 0x8
	ds_read2_b32 v[44:45], v39 offset0:128 offset1:133
	ds_read2_b32 v[46:47], v39 offset0:138 offset1:143
	s_mov_b32 s8, 0xff7fffff
	s_mul_i32 s1, s2, s5
	s_lshl_b32 s4, s4, 2
	s_waitcnt lgkmcnt(0)
	v_max3_f32 v42, v44, s8, v45
	s_mul_i32 s1, s1, s0
	v_max3_f32 v42, v42, v46, v47
	s_lshl_b32 s0, s1, 2
	s_mov_b32 s1, 0
	v_sub_f32_e32 v43, v44, v42
	v_sub_f32_e32 v44, v45, v42
	s_lshl_b64 s[2:3], s[0:1], 2
	ds_read2_b32 v[48:49], v39 offset0:148 offset1:153
	v_mul_f32_e32 v43, 0x3fb8aa3b, v43
	v_mul_f32_e32 v44, 0x3fb8aa3b, v44
	s_mov_b32 s21, s1
	s_add_u32 s1, s12, s2
	v_exp_f32_e32 v43, v43
	v_exp_f32_e32 v50, v44
	ds_read2_b32 v[44:45], v39 offset0:158 offset1:163
	v_sub_f32_e32 v39, v46, v42
	s_addc_u32 s10, s13, s3
	v_mul_f32_e32 v39, 0x3fb8aa3b, v39
	v_sub_f32_e32 v46, v47, v42
	s_add_u32 s8, s14, s2
	v_exp_f32_e32 v39, v39
	v_mul_f32_e32 v46, 0x3fb8aa3b, v46
	s_addc_u32 s9, s15, s3
	s_lshl_b64 s[2:3], s[20:21], 2
	v_exp_f32_e32 v46, v46
	s_add_u32 s8, s8, s2
	s_waitcnt lgkmcnt(1)
	v_fma_f32 v43, v43, v48, 0
	s_addc_u32 s9, s9, s3
	v_fmac_f32_e32 v43, v50, v49
	v_or_b32_e32 v38, s4, v38
	s_waitcnt lgkmcnt(0)
	v_fmac_f32_e32 v43, v39, v44
	s_add_u32 s2, s1, s2
	v_mul_lo_u32 v38, s5, v38
	v_mov_b32_e32 v39, 0
	v_fmac_f32_e32 v43, v46, v45
	s_addc_u32 s3, s10, s3
	v_lshlrev_b64 v[44:45], 2, v[38:39]
	v_lshl_add_u64 v[46:47], s[8:9], 0, v[44:45]
	v_lshl_add_u64 v[44:45], s[2:3], 0, v[44:45]
	v_mov_b32_e32 v38, v39
	global_store_dword v[46:47], v42, off
	global_store_dword v[44:45], v43, off
	s_and_saveexec_b64 s[2:3], s[6:7]
	s_cbranch_execz .LBB559_15
; %bb.14:
	v_add_f32_e32 v38, 0x358637bd, v43
	v_div_scale_f32 v39, s[6:7], v38, v38, 1.0
	v_rcp_f32_e32 v43, v39
	v_div_scale_f32 v44, vcc, 1.0, v38, 1.0
	v_sub_f32_e32 v41, v41, v42
	v_fma_f32 v45, -v39, v43, 1.0
	v_fmac_f32_e32 v43, v45, v43
	v_mul_f32_e32 v45, v44, v43
	v_fma_f32 v46, -v39, v45, v44
	v_mul_f32_e32 v41, 0x3fb8aa3b, v41
	v_fmac_f32_e32 v45, v46, v43
	v_exp_f32_e32 v41, v41
	v_fma_f32 v39, -v39, v45, v44
	v_div_fmas_f32 v39, v39, v43, v45
	v_div_fixup_f32 v38, v39, v38, 1.0
	v_mul_f32_e32 v38, v41, v38
	v_pk_mul_f32 v[34:35], v[34:35], v[38:39] op_sel_hi:[1,0]
	v_pk_mul_f32 v[36:37], v[36:37], v[38:39] op_sel_hi:[1,0]
	v_bfe_u32 v38, v35, 16, 1
	v_bfe_u32 v39, v34, 16, 1
	s_movk_i32 s1, 0x7fff
	v_add3_u32 v34, v34, v39, s1
	v_add3_u32 v35, v35, v38, s1
	s_mov_b32 s6, 0x7060302
	v_perm_b32 v34, v35, v34, s6
	v_bfe_u32 v35, v37, 16, 1
	v_bfe_u32 v38, v36, 16, 1
	v_add3_u32 v36, v36, v38, s1
	v_add3_u32 v35, v37, v35, s1
	v_perm_b32 v35, v35, v36, s6
	s_waitcnt vmcnt(9)
	s_nop 0
	v_mfma_f32_4x4x4_16b_bf16 a[0:3], v[34:35], v[2:3], 0 cbsz:4
	s_nop 1
	v_mfma_f32_4x4x4_16b_bf16 a[0:3], v[34:35], v[4:5], a[0:3] cbsz:4 abid:1
	s_waitcnt vmcnt(8)
	s_nop 0
	v_mfma_f32_4x4x4_16b_bf16 a[0:3], v[34:35], v[6:7], a[0:3] cbsz:4 abid:2
	s_nop 1
	v_mfma_f32_4x4x4_16b_bf16 a[0:3], v[34:35], v[8:9], a[0:3] cbsz:4 abid:3
	s_waitcnt vmcnt(7)
	s_nop 0
	v_mfma_f32_4x4x4_16b_bf16 a[0:3], v[34:35], v[10:11], a[0:3] cbsz:4 abid:4
	;; [unrolled: 5-line block ×7, first 2 shown]
	s_nop 1
	v_mfma_f32_4x4x4_16b_bf16 a[0:3], v[34:35], v[32:33], a[0:3] cbsz:4 abid:15
	s_nop 4
	v_accvgpr_read_b32 v5, a1
	v_accvgpr_read_b32 v2, a2
	;; [unrolled: 1-line block ×4, first 2 shown]
	v_bfe_u32 v6, v5, 16, 1
	v_bfe_u32 v7, v4, 16, 1
	;; [unrolled: 1-line block ×3, first 2 shown]
	v_add3_u32 v5, v5, v6, s1
	v_bfe_u32 v6, v2, 16, 1
	v_add3_u32 v4, v4, v7, s1
	v_add3_u32 v2, v2, v6, s1
	v_add3_u32 v3, v3, v8, s1
	v_perm_b32 v39, v3, v2, s6
	v_perm_b32 v38, v5, v4, s6
.LBB559_15:
	s_or_b64 exec, exec, s[2:3]
	v_lshlrev_b32_e32 v1, 3, v1
	v_mad_u32_u24 v1, v40, 40, v1
	v_cmp_gt_u32_e32 vcc, 64, v0
	ds_write_b64 v1, v[38:39]
	s_waitcnt lgkmcnt(0)
	s_barrier
	s_and_saveexec_b64 s[2:3], vcc
	s_cbranch_execz .LBB559_17
; %bb.16:
	v_mul_u32_u24_e32 v1, 40, v40
	s_waitcnt vmcnt(9)
	ds_read2_b64 v[2:5], v1 offset1:1
	s_waitcnt vmcnt(8)
	ds_read2_b64 v[6:9], v1 offset0:2 offset1:3
	s_mov_b32 s1, 0
	s_lshl_b32 s0, s0, 6
	s_lshl_b64 s[2:3], s[0:1], 1
	s_waitcnt lgkmcnt(1)
	v_lshlrev_b32_e32 v1, 16, v2
	v_and_b32_e32 v2, 0xffff0000, v2
	v_add_f32_e32 v1, 0, v1
	v_add_f32_e32 v2, 0, v2
	s_waitcnt vmcnt(7)
	v_lshlrev_b32_e32 v10, 16, v3
	v_and_b32_e32 v3, 0xffff0000, v3
	v_and_b32_e32 v1, 0xffff0000, v1
	;; [unrolled: 1-line block ×3, first 2 shown]
	v_add_f32_e32 v3, 0, v3
	v_lshlrev_b32_e32 v11, 16, v4
	v_and_b32_e32 v4, 0xffff0000, v4
	v_add_f32_e32 v10, 0, v10
	v_and_b32_e32 v3, 0xffff0000, v3
	v_add_f32_e32 v1, v1, v11
	v_add_f32_e32 v2, v2, v4
	v_lshlrev_b32_e32 v4, 16, v5
	v_and_b32_e32 v5, 0xffff0000, v5
	v_and_b32_e32 v10, 0xffff0000, v10
	;; [unrolled: 1-line block ×3, first 2 shown]
	v_add_f32_e32 v3, v3, v5
	s_waitcnt lgkmcnt(0)
	v_lshlrev_b32_e32 v5, 16, v6
	v_and_b32_e32 v2, 0xffff0000, v2
	v_add_f32_e32 v4, v10, v4
	v_add_f32_e32 v1, v1, v5
	v_and_b32_e32 v5, 0xffff0000, v6
	v_and_b32_e32 v4, 0xffff0000, v4
	v_add_f32_e32 v2, v2, v5
	v_lshlrev_b32_e32 v5, 16, v7
	s_add_u32 s2, s22, s2
	v_and_b32_e32 v3, 0xffff0000, v3
	v_add_f32_e32 v4, v4, v5
	v_and_b32_e32 v5, 0xffff0000, v7
	s_addc_u32 s3, s23, s3
	s_lshl_b32 s0, s20, 6
	v_and_b32_e32 v1, 0xffff0000, v1
	v_add_f32_e32 v3, v3, v5
	v_lshlrev_b32_e32 v5, 16, v8
	s_lshl_b64 s[0:1], s[0:1], 1
	v_and_b32_e32 v2, 0xffff0000, v2
	v_add_f32_e32 v1, v1, v5
	v_and_b32_e32 v5, 0xffff0000, v8
	s_add_u32 s0, s2, s0
	v_and_b32_e32 v4, 0xffff0000, v4
	v_add_f32_e32 v6, v2, v5
	v_lshlrev_b32_e32 v2, 16, v9
	s_addc_u32 s1, s3, s1
	s_lshl_b32 s2, s5, 6
	v_and_b32_e32 v3, 0xffff0000, v3
	v_add_f32_e32 v7, v4, v2
	v_and_b32_e32 v2, 0xffff0000, v9
	s_mul_i32 s3, s2, s4
	v_add_f32_e32 v8, v3, v2
	v_or_b32_e32 v2, s3, v0
	v_mov_b32_e32 v3, 0
	s_add_i32 s3, s3, s2
	v_lshl_add_u64 v[4:5], v[2:3], 1, s[0:1]
	v_or_b32_e32 v2, s3, v0
	s_add_i32 s3, s3, s2
	global_store_short_d16_hi v[4:5], v1, off
	v_lshl_add_u64 v[4:5], v[2:3], 1, s[0:1]
	v_or_b32_e32 v2, s3, v0
	s_add_i32 s3, s3, s2
	global_store_short_d16_hi v[4:5], v6, off
	v_lshl_add_u64 v[4:5], v[2:3], 1, s[0:1]
	v_or_b32_e32 v2, s3, v0
	v_lshl_add_u64 v[0:1], v[2:3], 1, s[0:1]
	global_store_short_d16_hi v[4:5], v7, off
	global_store_short_d16_hi v[0:1], v8, off
.LBB559_17:
	s_endpgm
.LBB559_18:
	s_mov_b64 s[12:13], 0
                                        ; implicit-def: $sgpr30_sgpr31
	s_branch .LBB559_2
	.section	.rodata,"a",@progbits
	.p2align	6, 0x0
	.amdhsa_kernel _Z38paged_attention_ll4mi_QKV_mfma4_kernelI14__hip_bfloat16S0_LN4vllm18Fp8KVCacheDataTypeE0ES0_Li32ELi64ELi256ELb0ELi4EEvPKT_PKT0_S8_ifPKiSA_SA_iPKfiiiPfSD_PS3_PT2_iSC_SC_
		.amdhsa_group_segment_fixed_size 2720
		.amdhsa_private_segment_fixed_size 0
		.amdhsa_kernarg_size 400
		.amdhsa_user_sgpr_count 2
		.amdhsa_user_sgpr_dispatch_ptr 0
		.amdhsa_user_sgpr_queue_ptr 0
		.amdhsa_user_sgpr_kernarg_segment_ptr 1
		.amdhsa_user_sgpr_dispatch_id 0
		.amdhsa_user_sgpr_kernarg_preload_length 0
		.amdhsa_user_sgpr_kernarg_preload_offset 0
		.amdhsa_user_sgpr_private_segment_size 0
		.amdhsa_uses_dynamic_stack 0
		.amdhsa_enable_private_segment 0
		.amdhsa_system_sgpr_workgroup_id_x 1
		.amdhsa_system_sgpr_workgroup_id_y 1
		.amdhsa_system_sgpr_workgroup_id_z 1
		.amdhsa_system_sgpr_workgroup_info 0
		.amdhsa_system_vgpr_workitem_id 0
		.amdhsa_next_free_vgpr 64
		.amdhsa_next_free_sgpr 38
		.amdhsa_accum_offset 60
		.amdhsa_reserve_vcc 1
		.amdhsa_float_round_mode_32 0
		.amdhsa_float_round_mode_16_64 0
		.amdhsa_float_denorm_mode_32 3
		.amdhsa_float_denorm_mode_16_64 3
		.amdhsa_dx10_clamp 1
		.amdhsa_ieee_mode 1
		.amdhsa_fp16_overflow 0
		.amdhsa_tg_split 0
		.amdhsa_exception_fp_ieee_invalid_op 0
		.amdhsa_exception_fp_denorm_src 0
		.amdhsa_exception_fp_ieee_div_zero 0
		.amdhsa_exception_fp_ieee_overflow 0
		.amdhsa_exception_fp_ieee_underflow 0
		.amdhsa_exception_fp_ieee_inexact 0
		.amdhsa_exception_int_div_zero 0
	.end_amdhsa_kernel
	.section	.text._Z38paged_attention_ll4mi_QKV_mfma4_kernelI14__hip_bfloat16S0_LN4vllm18Fp8KVCacheDataTypeE0ES0_Li32ELi64ELi256ELb0ELi4EEvPKT_PKT0_S8_ifPKiSA_SA_iPKfiiiPfSD_PS3_PT2_iSC_SC_,"axG",@progbits,_Z38paged_attention_ll4mi_QKV_mfma4_kernelI14__hip_bfloat16S0_LN4vllm18Fp8KVCacheDataTypeE0ES0_Li32ELi64ELi256ELb0ELi4EEvPKT_PKT0_S8_ifPKiSA_SA_iPKfiiiPfSD_PS3_PT2_iSC_SC_,comdat
.Lfunc_end559:
	.size	_Z38paged_attention_ll4mi_QKV_mfma4_kernelI14__hip_bfloat16S0_LN4vllm18Fp8KVCacheDataTypeE0ES0_Li32ELi64ELi256ELb0ELi4EEvPKT_PKT0_S8_ifPKiSA_SA_iPKfiiiPfSD_PS3_PT2_iSC_SC_, .Lfunc_end559-_Z38paged_attention_ll4mi_QKV_mfma4_kernelI14__hip_bfloat16S0_LN4vllm18Fp8KVCacheDataTypeE0ES0_Li32ELi64ELi256ELb0ELi4EEvPKT_PKT0_S8_ifPKiSA_SA_iPKfiiiPfSD_PS3_PT2_iSC_SC_
                                        ; -- End function
	.section	.AMDGPU.csdata,"",@progbits
; Kernel info:
; codeLenInByte = 3280
; NumSgprs: 44
; NumVgprs: 58
; NumAgprs: 4
; TotalNumVgprs: 64
; ScratchSize: 0
; MemoryBound: 0
; FloatMode: 240
; IeeeMode: 1
; LDSByteSize: 2720 bytes/workgroup (compile time only)
; SGPRBlocks: 5
; VGPRBlocks: 7
; NumSGPRsForWavesPerEU: 44
; NumVGPRsForWavesPerEU: 64
; AccumOffset: 60
; Occupancy: 8
; WaveLimiterHint : 1
; COMPUTE_PGM_RSRC2:SCRATCH_EN: 0
; COMPUTE_PGM_RSRC2:USER_SGPR: 2
; COMPUTE_PGM_RSRC2:TRAP_HANDLER: 0
; COMPUTE_PGM_RSRC2:TGID_X_EN: 1
; COMPUTE_PGM_RSRC2:TGID_Y_EN: 1
; COMPUTE_PGM_RSRC2:TGID_Z_EN: 1
; COMPUTE_PGM_RSRC2:TIDIG_COMP_CNT: 0
; COMPUTE_PGM_RSRC3_GFX90A:ACCUM_OFFSET: 14
; COMPUTE_PGM_RSRC3_GFX90A:TG_SPLIT: 0
	.section	.text._Z39paged_attention_ll4mi_QKV_mfma16_kernelI14__hip_bfloat16S0_LN4vllm18Fp8KVCacheDataTypeE0ES0_Li32ELi64ELi256ELb0ELi5EEvPKT_PKT0_S8_ifPKiSA_SA_iPKfiiiPfSD_PS3_PT2_iSC_SC_,"axG",@progbits,_Z39paged_attention_ll4mi_QKV_mfma16_kernelI14__hip_bfloat16S0_LN4vllm18Fp8KVCacheDataTypeE0ES0_Li32ELi64ELi256ELb0ELi5EEvPKT_PKT0_S8_ifPKiSA_SA_iPKfiiiPfSD_PS3_PT2_iSC_SC_,comdat
	.protected	_Z39paged_attention_ll4mi_QKV_mfma16_kernelI14__hip_bfloat16S0_LN4vllm18Fp8KVCacheDataTypeE0ES0_Li32ELi64ELi256ELb0ELi5EEvPKT_PKT0_S8_ifPKiSA_SA_iPKfiiiPfSD_PS3_PT2_iSC_SC_ ; -- Begin function _Z39paged_attention_ll4mi_QKV_mfma16_kernelI14__hip_bfloat16S0_LN4vllm18Fp8KVCacheDataTypeE0ES0_Li32ELi64ELi256ELb0ELi5EEvPKT_PKT0_S8_ifPKiSA_SA_iPKfiiiPfSD_PS3_PT2_iSC_SC_
	.globl	_Z39paged_attention_ll4mi_QKV_mfma16_kernelI14__hip_bfloat16S0_LN4vllm18Fp8KVCacheDataTypeE0ES0_Li32ELi64ELi256ELb0ELi5EEvPKT_PKT0_S8_ifPKiSA_SA_iPKfiiiPfSD_PS3_PT2_iSC_SC_
	.p2align	8
	.type	_Z39paged_attention_ll4mi_QKV_mfma16_kernelI14__hip_bfloat16S0_LN4vllm18Fp8KVCacheDataTypeE0ES0_Li32ELi64ELi256ELb0ELi5EEvPKT_PKT0_S8_ifPKiSA_SA_iPKfiiiPfSD_PS3_PT2_iSC_SC_,@function
_Z39paged_attention_ll4mi_QKV_mfma16_kernelI14__hip_bfloat16S0_LN4vllm18Fp8KVCacheDataTypeE0ES0_Li32ELi64ELi256ELb0ELi5EEvPKT_PKT0_S8_ifPKiSA_SA_iPKfiiiPfSD_PS3_PT2_iSC_SC_: ; @_Z39paged_attention_ll4mi_QKV_mfma16_kernelI14__hip_bfloat16S0_LN4vllm18Fp8KVCacheDataTypeE0ES0_Li32ELi64ELi256ELb0ELi5EEvPKT_PKT0_S8_ifPKiSA_SA_iPKfiiiPfSD_PS3_PT2_iSC_SC_
; %bb.0:
	s_load_dwordx2 s[6:7], s[0:1], 0x30
	s_mov_b32 s28, s3
	s_mov_b64 s[10:11], 0
	s_waitcnt lgkmcnt(0)
	s_cmp_lg_u64 s[6:7], 0
	s_cselect_b64 s[8:9], -1, 0
	s_and_b64 vcc, exec, s[8:9]
	s_cbranch_vccz .LBB560_7
; %bb.1:
	s_add_i32 s12, s2, 1
	s_mov_b32 s13, 0
	s_lshl_b64 s[14:15], s[12:13], 2
	s_add_u32 s14, s6, s14
	s_mov_b32 s3, s13
	s_addc_u32 s15, s7, s15
	s_lshl_b64 s[12:13], s[2:3], 2
	s_add_u32 s12, s6, s12
	s_addc_u32 s13, s7, s13
	s_load_dword s5, s[14:15], 0x0
	s_load_dword s16, s[12:13], 0x0
	s_waitcnt lgkmcnt(0)
	s_sub_i32 s5, s5, s16
	s_cmp_eq_u32 s5, 1
	s_cselect_b64 s[12:13], -1, 0
	s_andn2_b64 vcc, exec, s[10:11]
	s_cbranch_vccnz .LBB560_3
.LBB560_2:
	s_mov_b32 s3, 0
	s_mov_b64 s[12:13], -1
.LBB560_3:
	s_andn2_b64 vcc, exec, s[12:13]
	s_cbranch_vccnz .LBB560_20
; %bb.4:
	s_load_dwordx2 s[12:13], s[0:1], 0x28
	s_lshl_b64 s[10:11], s[2:3], 2
	s_waitcnt lgkmcnt(0)
	s_add_u32 s12, s12, s10
	s_addc_u32 s13, s13, s11
	s_load_dword s33, s[12:13], 0x0
	s_lshl_b32 s14, s28, 8
	s_waitcnt lgkmcnt(0)
	s_cmp_ge_i32 s14, s33
	s_cbranch_scc1 .LBB560_20
; %bb.5:
	s_load_dwordx2 s[12:13], s[0:1], 0x20
	s_load_dword s5, s[0:1], 0x38
	s_add_i32 s15, s33, 31
	s_ashr_i32 s16, s15, 31
	v_and_b32_e32 v1, 0xcf, v0
	s_lshr_b32 s16, s16, 27
	v_add_u32_e32 v1, s14, v1
	s_add_i32 s15, s15, s16
	v_ashrrev_i32_e32 v2, 31, v1
	s_ashr_i32 s15, s15, 5
	v_lshrrev_b32_e32 v10, 27, v2
	s_add_i32 s15, s15, -1
	s_waitcnt lgkmcnt(0)
	s_mul_i32 s16, s2, s5
	s_mov_b32 s17, 0
	v_add_u32_e32 v2, v1, v10
	s_lshl_b64 s[16:17], s[16:17], 2
	v_ashrrev_i32_e32 v2, 5, v2
	v_mov_b32_e32 v11, s15
	v_cmp_gt_i32_e32 vcc, s33, v1
	s_add_u32 s12, s12, s16
	s_addc_u32 s13, s13, s17
	v_cndmask_b32_e32 v2, v11, v2, vcc
	v_ashrrev_i32_e32 v3, 31, v2
	v_lshl_add_u64 v[4:5], v[2:3], 2, s[12:13]
	v_or_b32_e32 v2, 16, v1
	v_add_u32_e32 v3, v2, v10
	v_ashrrev_i32_e32 v3, 5, v3
	v_cmp_gt_i32_e32 vcc, s33, v2
	s_nop 1
	v_cndmask_b32_e32 v2, v11, v3, vcc
	v_ashrrev_i32_e32 v3, 31, v2
	v_lshl_add_u64 v[6:7], v[2:3], 2, s[12:13]
	v_or_b32_e32 v2, 32, v1
	v_add_u32_e32 v3, v2, v10
	v_ashrrev_i32_e32 v3, 5, v3
	v_cmp_gt_i32_e32 vcc, s33, v2
	v_or_b32_e32 v1, 48, v1
	s_nop 0
	v_cndmask_b32_e32 v2, v11, v3, vcc
	v_ashrrev_i32_e32 v3, 31, v2
	v_lshl_add_u64 v[8:9], v[2:3], 2, s[12:13]
	v_add_u32_e32 v2, v1, v10
	v_ashrrev_i32_e32 v2, 5, v2
	v_cmp_gt_i32_e32 vcc, s33, v1
	s_nop 1
	v_cndmask_b32_e32 v2, v11, v2, vcc
	v_ashrrev_i32_e32 v3, 31, v2
	v_lshl_add_u64 v[12:13], v[2:3], 2, s[12:13]
	global_load_dword v3, v[4:5], off
	global_load_dword v2, v[6:7], off
	;; [unrolled: 1-line block ×4, first 2 shown]
	s_andn2_b64 vcc, exec, s[8:9]
	s_cbranch_vccnz .LBB560_8
; %bb.6:
	s_add_u32 s6, s6, s10
	s_addc_u32 s7, s7, s11
	s_load_dword s5, s[6:7], 0x0
	s_branch .LBB560_9
.LBB560_7:
	s_mov_b64 s[12:13], 0
	s_branch .LBB560_2
.LBB560_8:
	s_mov_b32 s5, s2
.LBB560_9:
	s_load_dwordx4 s[8:11], s[0:1], 0x8
	s_load_dwordx4 s[44:47], s[0:1], 0x48
	v_lshrrev_b32_e32 v1, 6, v0
	v_bfe_u32 v54, v0, 4, 2
	v_lshl_or_b32 v4, v1, 2, v54
	v_and_b32_e32 v36, 15, v0
	v_cmp_lt_u32_e32 vcc, 4, v4
	v_cmp_lt_u32_e64 s[6:7], 7, v36
	v_lshlrev_b32_e32 v34, 3, v36
	v_cmp_gt_u32_e64 s[30:31], 8, v36
	s_or_b64 s[6:7], s[6:7], vcc
	s_and_saveexec_b64 s[16:17], s[6:7]
	s_xor_b64 s[6:7], exec, s[16:17]
; %bb.10:
	v_mov_b32_e32 v35, 0
                                        ; implicit-def: $vgpr4
; %bb.11:
	s_or_saveexec_b64 s[6:7], s[6:7]
	v_and_b32_e32 v37, 63, v0
	s_mul_i32 s42, s4, 5
	s_xor_b64 exec, exec, s[6:7]
	s_cbranch_execz .LBB560_13
; %bb.12:
	s_load_dwordx2 s[16:17], s[0:1], 0x0
	s_waitcnt lgkmcnt(0)
	s_ashr_i32 s18, s44, 31
	s_mul_hi_u32 s19, s5, s44
	s_mul_i32 s18, s5, s18
	s_add_i32 s19, s19, s18
	s_mul_i32 s18, s5, s44
	s_lshl_b64 s[18:19], s[18:19], 1
	s_add_u32 s16, s16, s18
	v_add_lshl_u32 v6, v4, s42, 6
	s_addc_u32 s17, s17, s19
	v_ashrrev_i32_e32 v7, 31, v6
	v_mov_b32_e32 v35, 0
	v_lshl_add_u64 v[6:7], v[6:7], 1, s[16:17]
	v_lshlrev_b32_e32 v8, 1, v34
	v_mov_b32_e32 v9, v35
	v_lshl_add_u64 v[6:7], v[6:7], 0, v[8:9]
	global_load_dwordx4 v[6:9], v[6:7], off
	v_and_b32_e32 v5, 3, v0
	v_lshlrev_b32_e32 v11, 9, v36
	v_lshlrev_b32_e32 v4, 5, v4
	;; [unrolled: 1-line block ×3, first 2 shown]
	v_and_b32_e32 v11, 0x1800, v11
	v_or3_b32 v4, v11, v5, v4
	s_waitcnt vmcnt(0)
	ds_write_b128 v4, v[6:9]
.LBB560_13:
	s_or_b64 exec, exec, s[6:7]
	s_waitcnt lgkmcnt(0)
	s_mul_i32 s4, s4, s46
	s_mov_b32 s5, 0
	s_lshl_b64 s[4:5], s[4:5], 1
	s_add_u32 s8, s8, s4
	s_addc_u32 s9, s9, s5
	s_waitcnt vmcnt(3)
	v_mad_i64_i32 v[4:5], s[16:17], v3, s45, 0
	v_lshl_add_u64 v[4:5], v[4:5], 1, s[8:9]
	v_lshlrev_b64 v[12:13], 1, v[34:35]
	v_lshlrev_b32_e32 v38, 9, v54
	v_lshl_add_u64 v[4:5], v[4:5], 0, v[12:13]
	v_mov_b32_e32 v39, 0
	v_lshl_add_u64 v[14:15], v[4:5], 0, v[38:39]
	s_waitcnt vmcnt(2)
	v_mad_i64_i32 v[2:3], s[16:17], v2, s45, 0
	v_mov_b32_e32 v4, 0x100
	v_lshl_add_u64 v[2:3], v[2:3], 1, s[8:9]
	v_lshl_or_b32 v30, v36, 4, v4
	v_mov_b32_e32 v31, v39
	s_load_dword s29, s[0:1], 0x98
	s_load_dword s6, s[0:1], 0x1c
	s_waitcnt lgkmcnt(0)
	s_barrier
	v_lshl_add_u64 v[2:3], v[2:3], 0, v[30:31]
	global_load_dwordx4 v[6:9], v[14:15], off
	global_load_dwordx4 v[22:25], v[14:15], off offset:2048
	v_lshl_add_u64 v[18:19], v[2:3], 0, v[38:39]
	global_load_dwordx4 v[2:5], v[18:19], off
	global_load_dwordx4 v[26:29], v[18:19], off offset:2048
	s_waitcnt vmcnt(5)
	v_mad_i64_i32 v[10:11], s[16:17], v10, s45, 0
	v_lshl_add_u64 v[10:11], v[10:11], 1, s[8:9]
	v_lshl_add_u64 v[10:11], v[10:11], 0, v[12:13]
	;; [unrolled: 1-line block ×3, first 2 shown]
	global_load_dwordx4 v[10:13], v[32:33], off
	v_mul_lo_u16_e32 v20, 52, v36
	v_mov_b32_e32 v21, 5
	s_waitcnt vmcnt(5)
	v_mad_i64_i32 v[16:17], s[16:17], v16, s45, 0
	v_mul_lo_u16_sdwa v14, v20, v21 dst_sel:DWORD dst_unused:UNUSED_PAD src0_sel:BYTE_1 src1_sel:DWORD
	v_sub_u16_e32 v14, v36, v14
	v_lshl_add_u64 v[40:41], v[16:17], 1, s[8:9]
	v_and_b32_e32 v14, 0xff, v14
	v_lshl_add_u64 v[30:31], v[40:41], 0, v[30:31]
	v_lshl_add_u32 v14, v14, 5, v38
	v_lshl_add_u64 v[40:41], v[30:31], 0, v[38:39]
	ds_read_b128 v[18:21], v14
	ds_read_b128 v[14:17], v14 offset:2048
	global_load_dwordx4 v[30:33], v[32:33], off offset:2048
	s_ashr_i32 s7, s14, 31
	global_load_dwordx4 v[46:49], v[40:41], off
	global_load_dwordx4 v[60:63], v[40:41], off offset:2048
	v_and_or_b32 v55, v0, 48, s14
	s_lshr_b32 s7, s7, 27
	v_add_u32_e32 v42, s7, v55
	v_mov_b32_e32 v64, s15
	v_or_b32_e32 v50, 64, v55
	v_ashrrev_i32_e32 v38, 5, v42
	v_cmp_gt_i32_e32 vcc, s33, v55
	v_add_u32_e32 v43, s7, v50
	v_ashrrev_i32_e32 v51, 5, v43
	v_cndmask_b32_e32 v42, v64, v38, vcc
	v_ashrrev_i32_e32 v43, 31, v42
	v_lshl_add_u64 v[42:43], v[42:43], 2, s[12:13]
	v_cmp_gt_i32_e32 vcc, s33, v50
	global_load_dword v65, v[42:43], off
	v_or_b32_e32 v40, 0x80, v55
	v_and_b32_e32 v38, 16, v0
	s_add_u32 s4, s10, s4
	v_lshlrev_b32_e32 v41, 6, v36
	s_addc_u32 s5, s11, s5
	v_lshlrev_b32_e32 v38, 1, v38
	s_mov_b32 s43, 0xff7fffff
	s_waitcnt vmcnt(8) lgkmcnt(1)
	v_mfma_f32_16x16x16_bf16 v[42:45], v[6:7], v[18:19], 0
	v_cndmask_b32_e32 v6, v64, v51, vcc
	v_ashrrev_i32_e32 v7, 31, v6
	v_cmp_gt_i32_e32 vcc, s33, v40
	s_waitcnt vmcnt(6)
	v_mfma_f32_16x16x16_bf16 v[50:53], v[2:3], v[18:19], 0
	v_lshl_add_u64 v[2:3], v[6:7], 2, s[12:13]
	global_load_dword v66, v[2:3], off
	v_mfma_f32_16x16x16_bf16 v[6:9], v[8:9], v[20:21], v[42:45]
	v_mfma_f32_16x16x16_bf16 v[2:5], v[4:5], v[20:21], v[50:53]
	s_nop 1
	v_or_b32_e32 v42, 0xc0, v55
	v_add_u32_e32 v43, s7, v40
	v_add_u32_e32 v44, s7, v42
	s_waitcnt lgkmcnt(0)
	v_mfma_f32_16x16x16_bf16 v[6:9], v[22:23], v[14:15], v[6:9]
	v_ashrrev_i32_e32 v43, 5, v43
	v_ashrrev_i32_e32 v44, 5, v44
	v_cndmask_b32_e32 v40, v64, v43, vcc
	s_waitcnt vmcnt(5)
	v_mfma_f32_16x16x16_bf16 v[56:59], v[10:11], v[18:19], 0
	v_cmp_gt_i32_e32 vcc, s33, v42
	v_mfma_f32_16x16x16_bf16 v[2:5], v[26:27], v[14:15], v[2:5]
	s_nop 0
	v_cndmask_b32_e32 v42, v64, v44, vcc
	v_lshl_add_u64 v[44:45], s[4:5], 0, v[38:39]
	v_lshl_or_b32 v38, v1, 10, v41
	v_ashrrev_i32_e32 v41, 31, v40
	v_mfma_f32_16x16x16_bf16 v[22:25], v[24:25], v[16:17], v[6:9]
	v_ashrrev_i32_e32 v43, 31, v42
	s_nop 1
	v_lshl_add_u64 v[6:7], v[40:41], 2, s[12:13]
	v_mfma_f32_16x16x16_bf16 v[10:13], v[12:13], v[20:21], v[56:59]
	s_nop 1
	v_pk_mul_f32 v[50:51], s[6:7], v[24:25] op_sel_hi:[0,1]
	v_mfma_f32_16x16x16_bf16 v[26:29], v[28:29], v[16:17], v[2:5]
	s_nop 2
	v_lshl_add_u64 v[2:3], v[42:43], 2, s[12:13]
	global_load_dword v55, v[6:7], off
	global_load_dword v58, v[2:3], off
	s_waitcnt vmcnt(6)
	v_mfma_f32_16x16x16_bf16 v[2:5], v[30:31], v[14:15], v[10:13]
	s_waitcnt vmcnt(3)
	v_mad_i64_i32 v[6:7], s[4:5], v65, s45, 0
	v_pk_mul_f32 v[42:43], s[6:7], v[26:27] op_sel_hi:[0,1]
	v_lshl_add_u64 v[10:11], v[44:45], 0, v[38:39]
	v_mfma_f32_16x16x16_bf16 v[38:41], v[46:47], v[18:19], 0
	v_pk_mul_f32 v[52:53], s[6:7], v[28:29] op_sel_hi:[0,1]
	s_waitcnt vmcnt(2)
	v_mad_i64_i32 v[12:13], s[4:5], v66, s45, 0
	v_mfma_f32_16x16x16_bf16 v[18:21], v[48:49], v[20:21], v[38:41]
	v_lshl_add_u64 v[56:57], v[12:13], 1, v[10:11]
	v_pk_mul_f32 v[12:13], s[6:7], v[22:23] op_sel_hi:[0,1]
	v_mfma_f32_16x16x16_bf16 v[18:21], v[60:61], v[14:15], v[18:21]
	v_mfma_f32_16x16x16_bf16 v[30:33], v[32:33], v[16:17], v[2:5]
	;; [unrolled: 1-line block ×3, first 2 shown]
	s_nop 1
	v_lshl_add_u64 v[2:3], v[6:7], 1, v[10:11]
	s_nop 2
	v_pk_mul_f32 v[46:47], s[6:7], v[30:31] op_sel_hi:[0,1]
	v_pk_mul_f32 v[48:49], s[6:7], v[32:33] op_sel_hi:[0,1]
	global_load_dwordx4 v[6:9], v[2:3], off
	s_nop 0
	global_load_dwordx4 v[2:5], v[2:3], off offset:16
	v_pk_mul_f32 v[44:45], s[6:7], v[14:15] op_sel_hi:[0,1]
	v_and_b32_e32 v14, 0xc0, v0
	v_add_u32_e32 v14, s14, v14
	v_lshl_or_b32 v14, v54, 2, v14
	v_pk_mul_f32 v[38:39], s[6:7], v[16:17] op_sel_hi:[0,1]
	v_or_b32_e32 v17, 1, v14
	v_mov_b32_e32 v15, 0xff7fffff
	v_cmp_gt_i32_e64 s[4:5], s33, v14
	v_cmp_gt_i32_e64 s[34:35], s33, v17
	v_or_b32_e32 v18, 3, v14
	v_cndmask_b32_e64 v16, v15, v12, s[4:5]
	v_cndmask_b32_e64 v17, v15, v13, s[34:35]
	v_max3_f32 v16, v16, s43, v17
	v_or_b32_e32 v17, 2, v14
	v_cmp_gt_i32_e64 s[36:37], s33, v17
	v_cmp_gt_i32_e64 s[38:39], s33, v18
	global_load_dwordx4 v[30:33], v[56:57], off
	global_load_dwordx4 v[26:29], v[56:57], off offset:16
	v_cndmask_b32_e64 v17, v15, v50, s[36:37]
	v_cndmask_b32_e64 v18, v15, v51, s[38:39]
	v_max3_f32 v16, v16, v17, v18
	v_or_b32_e32 v17, 16, v14
	v_or_b32_e32 v18, 17, v14
	v_cmp_gt_i32_e64 s[24:25], s33, v17
	v_cmp_gt_i32_e64 s[26:27], s33, v18
	s_nop 0
	v_cndmask_b32_e64 v17, v15, v42, s[24:25]
	v_cndmask_b32_e64 v18, v15, v43, s[26:27]
	v_max3_f32 v16, v16, v17, v18
	v_or_b32_e32 v17, 18, v14
	v_or_b32_e32 v18, 19, v14
	v_cmp_gt_i32_e64 s[20:21], s33, v17
	v_cmp_gt_i32_e64 s[22:23], s33, v18
	s_nop 0
	;; [unrolled: 8-line block ×5, first 2 shown]
	v_cndmask_b32_e64 v17, v15, v44, s[8:9]
	v_cndmask_b32_e64 v18, v15, v45, s[10:11]
	v_max3_f32 v16, v16, v17, v18
	v_or_b32_e32 v17, 50, v14
	v_or_b32_e32 v14, 51, v14
	v_cmp_gt_i32_e32 vcc, s33, v17
	v_cmp_gt_i32_e64 s[6:7], s33, v14
	s_nop 0
	v_cndmask_b32_e32 v17, v15, v38, vcc
	v_cndmask_b32_e64 v14, v15, v39, s[6:7]
	v_max3_f32 v16, v16, v17, v14
	v_mbcnt_lo_u32_b32 v14, -1, 0
	v_mbcnt_hi_u32_b32 v17, -1, v14
	v_and_b32_e32 v14, 64, v17
	v_add_u32_e32 v18, 64, v14
	v_xor_b32_e32 v14, 32, v17
	v_cmp_lt_i32_e64 s[40:41], v14, v18
	s_nop 1
	v_cndmask_b32_e64 v14, v17, v14, s[40:41]
	v_lshlrev_b32_e32 v59, 2, v14
	ds_bpermute_b32 v19, v59, v16
	s_waitcnt vmcnt(5)
	v_mad_i64_i32 v[14:15], s[40:41], v55, s45, 0
	v_lshl_add_u64 v[14:15], v[14:15], 1, v[10:11]
	s_waitcnt lgkmcnt(0)
	v_max_f32_e32 v19, v19, v19
	v_max_f32_e32 v16, v16, v19
	v_xor_b32_e32 v19, 16, v17
	v_cmp_lt_i32_e64 s[40:41], v19, v18
	s_nop 1
	v_cndmask_b32_e64 v17, v17, v19, s[40:41]
	v_lshlrev_b32_e32 v57, 2, v17
	ds_bpermute_b32 v17, v57, v16
	global_load_dwordx4 v[22:25], v[14:15], off
	global_load_dwordx4 v[18:21], v[14:15], off offset:16
	s_waitcnt vmcnt(6)
	v_mad_i64_i32 v[14:15], s[40:41], v58, s45, 0
	v_lshl_add_u64 v[10:11], v[14:15], 1, v[10:11]
	s_waitcnt lgkmcnt(0)
	v_max_f32_e32 v14, v17, v17
	v_max_f32_e32 v55, v16, v14
	v_sub_f32_e32 v12, v12, v55
	v_mul_f32_e32 v12, 0x3fb8aa3b, v12
	v_exp_f32_e32 v40, v12
	v_sub_f32_e32 v12, v13, v55
	v_mul_f32_e32 v12, 0x3fb8aa3b, v12
	v_exp_f32_e32 v41, v12
	global_load_dwordx4 v[14:17], v[10:11], off
	s_nop 0
	global_load_dwordx4 v[10:13], v[10:11], off offset:16
	v_sub_f32_e32 v50, v50, v55
	v_mul_f32_e32 v50, 0x3fb8aa3b, v50
	v_sub_f32_e32 v51, v51, v55
	v_exp_f32_e32 v50, v50
	v_mul_f32_e32 v51, 0x3fb8aa3b, v51
	v_sub_f32_e32 v42, v42, v55
	v_exp_f32_e32 v51, v51
	v_mul_f32_e32 v42, 0x3fb8aa3b, v42
	v_sub_f32_e32 v43, v43, v55
	v_cndmask_b32_e64 v40, 0, v40, s[4:5]
	v_exp_f32_e32 v42, v42
	v_mul_f32_e32 v43, 0x3fb8aa3b, v43
	v_sub_f32_e32 v52, v52, v55
	v_add_f32_e32 v56, 0, v40
	v_cndmask_b32_e64 v41, 0, v41, s[34:35]
	v_exp_f32_e32 v43, v43
	v_mul_f32_e32 v52, 0x3fb8aa3b, v52
	v_sub_f32_e32 v53, v53, v55
	v_add_f32_e32 v56, v56, v41
	;; [unrolled: 5-line block ×10, first 2 shown]
	v_cndmask_b32_e64 v48, 0, v48, s[12:13]
	v_exp_f32_e32 v38, v38
	v_mul_f32_e32 v39, 0x3fb8aa3b, v39
	v_add_f32_e32 v56, v56, v48
	v_cndmask_b32_e64 v49, 0, v49, s[14:15]
	v_exp_f32_e32 v39, v39
	v_add_f32_e32 v56, v56, v49
	v_cndmask_b32_e64 v44, 0, v44, s[8:9]
	v_add_f32_e32 v56, v56, v44
	v_cndmask_b32_e64 v45, 0, v45, s[10:11]
	v_add_f32_e32 v56, v56, v45
	v_cndmask_b32_e32 v38, 0, v38, vcc
	v_add_f32_e32 v56, v56, v38
	v_cndmask_b32_e64 v39, 0, v39, s[6:7]
	v_add_f32_e32 v56, v56, v39
	ds_bpermute_b32 v58, v59, v56
	v_cmp_gt_u32_e64 s[6:7], 16, v37
	v_lshlrev_b32_e32 v37, 2, v36
	s_waitcnt lgkmcnt(0)
	s_barrier
	v_add_f32_e32 v56, v56, v58
	ds_bpermute_b32 v57, v57, v56
	s_waitcnt lgkmcnt(0)
	s_and_saveexec_b64 s[4:5], s[6:7]
	s_cbranch_execz .LBB560_15
; %bb.14:
	v_add_f32_e32 v56, v56, v57
	v_lshl_or_b32 v57, v1, 6, v37
	ds_write2st64_b32 v57, v55, v56 offset1:1
.LBB560_15:
	s_or_b64 exec, exec, s[4:5]
	s_load_dword s8, s[0:1], 0x94
	s_waitcnt lgkmcnt(0)
	s_barrier
	ds_read2_b32 v[56:57], v37 offset1:16
	ds_read2_b32 v[58:59], v37 offset0:32 offset1:48
	ds_read2_b32 v[60:61], v37 offset0:64 offset1:80
	;; [unrolled: 1-line block ×3, first 2 shown]
	s_movk_i32 s10, 0x7fff
	s_waitcnt lgkmcnt(3)
	v_max3_f32 v55, v56, s43, v57
	s_waitcnt lgkmcnt(2)
	v_max3_f32 v55, v55, v58, v59
	v_sub_f32_e32 v56, v56, v55
	v_mul_f32_e32 v56, 0x3fb8aa3b, v56
	v_exp_f32_e32 v64, v56
	v_sub_f32_e32 v56, v57, v55
	v_mul_f32_e32 v56, 0x3fb8aa3b, v56
	v_exp_f32_e32 v57, v56
	v_sub_f32_e32 v56, v58, v55
	v_mul_f32_e32 v56, 0x3fb8aa3b, v56
	v_sub_f32_e32 v37, v59, v55
	v_exp_f32_e32 v58, v56
	v_mul_f32_e32 v37, 0x3fb8aa3b, v37
	v_exp_f32_e32 v37, v37
	s_waitcnt lgkmcnt(1)
	v_fma_f32 v56, v64, v60, 0
	v_fmac_f32_e32 v56, v57, v61
	s_waitcnt lgkmcnt(0)
	v_fmac_f32_e32 v56, v58, v62
	v_fmac_f32_e32 v56, v37, v63
	v_add_f32_e32 v59, 0x358637bd, v56
	v_div_scale_f32 v60, s[4:5], v59, v59, 1.0
	v_rcp_f32_e32 v61, v60
	s_mov_b32 s11, 0x7060302
	s_barrier
	v_fma_f32 v62, -v60, v61, 1.0
	v_fmac_f32_e32 v61, v62, v61
	v_div_scale_f32 v62, vcc, 1.0, v59, 1.0
	v_mul_f32_e32 v63, v62, v61
	v_fma_f32 v65, -v60, v63, v62
	v_fmac_f32_e32 v63, v65, v61
	v_fma_f32 v60, -v60, v63, v62
	v_div_fmas_f32 v60, v60, v61, v63
	v_cmp_eq_u32_e32 vcc, 1, v1
	v_div_fixup_f32 v59, v60, v59, 1.0
	s_nop 0
	v_cndmask_b32_e32 v57, v64, v57, vcc
	v_cmp_eq_u32_e32 vcc, 2, v1
	s_mul_i32 s9, s29, 5
	s_nop 0
	v_cndmask_b32_e32 v57, v57, v58, vcc
	v_cmp_eq_u32_e32 vcc, 3, v1
	v_lshlrev_b32_e32 v1, 11, v1
	s_nop 0
	v_cndmask_b32_e32 v37, v57, v37, vcc
	v_mul_f32_e32 v58, v37, v59
	v_pk_mul_f32 v[40:41], v[58:59], v[40:41] op_sel_hi:[0,1]
	v_bfe_u32 v37, v41, 16, 1
	v_bfe_u32 v57, v40, 16, 1
	v_pk_mul_f32 v[50:51], v[58:59], v[50:51] op_sel_hi:[0,1]
	v_add3_u32 v40, v40, v57, s10
	v_add3_u32 v37, v41, v37, s10
	v_perm_b32 v60, v37, v40, s11
	v_bfe_u32 v37, v51, 16, 1
	v_bfe_u32 v40, v50, 16, 1
	v_add3_u32 v40, v50, v40, s10
	v_add3_u32 v37, v51, v37, s10
	v_perm_b32 v61, v37, v40, s11
	v_lshlrev_b32_e32 v37, 3, v54
	v_lshlrev_b32_e32 v40, 5, v36
	v_pk_mul_f32 v[42:43], v[58:59], v[42:43] op_sel_hi:[0,1]
	v_or3_b32 v1, v1, v40, v37
	v_bfe_u32 v37, v43, 16, 1
	v_bfe_u32 v41, v42, 16, 1
	v_pk_mul_f32 v[50:51], v[58:59], v[52:53] op_sel_hi:[0,1]
	v_add3_u32 v41, v42, v41, s10
	v_add3_u32 v37, v43, v37, s10
	v_perm_b32 v42, v37, v41, s11
	v_bfe_u32 v37, v51, 16, 1
	v_bfe_u32 v41, v50, 16, 1
	v_add3_u32 v41, v50, v41, s10
	v_add3_u32 v37, v51, v37, s10
	v_pk_mul_f32 v[46:47], v[58:59], v[46:47] op_sel_hi:[0,1]
	v_perm_b32 v43, v37, v41, s11
	v_bfe_u32 v37, v47, 16, 1
	v_bfe_u32 v41, v46, 16, 1
	ds_write2st64_b64 v1, v[60:61], v[42:43] offset1:1
	v_pk_mul_f32 v[42:43], v[58:59], v[48:49] op_sel_hi:[0,1]
	v_add3_u32 v41, v46, v41, s10
	v_add3_u32 v37, v47, v37, s10
	v_perm_b32 v46, v37, v41, s11
	v_bfe_u32 v37, v43, 16, 1
	v_bfe_u32 v41, v42, 16, 1
	v_add3_u32 v41, v42, v41, s10
	v_add3_u32 v37, v43, v37, s10
	v_pk_mul_f32 v[42:43], v[58:59], v[44:45] op_sel_hi:[0,1]
	v_perm_b32 v47, v37, v41, s11
	v_bfe_u32 v37, v43, 16, 1
	v_bfe_u32 v41, v42, 16, 1
	v_pk_mul_f32 v[38:39], v[58:59], v[38:39] op_sel_hi:[0,1]
	v_add3_u32 v41, v42, v41, s10
	v_add3_u32 v37, v43, v37, s10
	v_perm_b32 v42, v37, v41, s11
	v_bfe_u32 v37, v39, 16, 1
	v_bfe_u32 v41, v38, 16, 1
	v_add3_u32 v38, v38, v41, s10
	v_add3_u32 v37, v39, v37, s10
	v_perm_b32 v43, v37, v38, s11
	v_cmp_gt_u32_e32 vcc, 5, v0
	ds_write2st64_b64 v1, v[46:47], v[42:43] offset0:2 offset1:3
	s_and_saveexec_b64 s[4:5], vcc
	s_cbranch_execz .LBB560_17
; %bb.16:
	s_mov_b32 s43, 0
	v_mov_b32_e32 v37, 0
	v_lshl_add_u64 v[38:39], s[42:43], 0, v[36:37]
	v_mov_b32_e32 v36, s9
	v_mad_u64_u32 v[38:39], s[16:17], s2, v36, v[38:39]
	v_mov_b32_e32 v36, s28
	s_load_dwordx4 s[12:15], s[0:1], 0x58
	s_mul_i32 s3, s3, s9
	v_mad_u64_u32 v[36:37], s[16:17], v38, s8, v[36:37]
	v_add_u32_e32 v39, s3, v39
	v_mov_b32_e32 v38, v37
	v_mad_u64_u32 v[38:39], s[16:17], v39, s8, v[38:39]
	v_mov_b32_e32 v37, v38
	v_lshlrev_b64 v[36:37], 2, v[36:37]
	s_waitcnt lgkmcnt(0)
	v_lshl_add_u64 v[38:39], s[14:15], 0, v[36:37]
	v_lshl_add_u64 v[36:37], s[12:13], 0, v[36:37]
	global_store_dword v[38:39], v55, off
	global_store_dword v[36:37], v56, off
.LBB560_17:
	s_or_b64 exec, exec, s[4:5]
	v_lshl_or_b32 v48, v54, 9, v40
	s_waitcnt lgkmcnt(0)
	s_barrier
	ds_read_b128 v[36:39], v48
	ds_read_b128 v[40:43], v48 offset:16
	s_waitcnt vmcnt(7) lgkmcnt(1)
	v_mfma_f32_16x16x16_bf16 v[44:47], v[6:7], v[36:37], 0
	v_cmp_gt_u32_e32 vcc, 64, v0
	s_mov_b32 s3, 0
	s_and_b64 s[4:5], vcc, s[30:31]
	v_mfma_f32_16x16x16_bf16 v[6:9], v[8:9], v[38:39], v[44:47]
	s_waitcnt vmcnt(6) lgkmcnt(0)
	v_mfma_f32_16x16x16_bf16 v[6:9], v[2:3], v[40:41], v[6:9]
	v_mfma_f32_16x16x16_bf16 v[2:5], v[4:5], v[42:43], v[6:9]
	s_nop 5
	ds_read_b128 v[6:9], v48 offset:2048
	ds_read_b128 v[36:39], v48 offset:2064
	s_waitcnt vmcnt(5) lgkmcnt(1)
	v_mfma_f32_16x16x16_bf16 v[2:5], v[30:31], v[6:7], v[2:5]
	v_mfma_f32_16x16x16_bf16 v[2:5], v[32:33], v[8:9], v[2:5]
	s_waitcnt vmcnt(4) lgkmcnt(0)
	v_mfma_f32_16x16x16_bf16 v[2:5], v[26:27], v[36:37], v[2:5]
	v_mfma_f32_16x16x16_bf16 v[2:5], v[28:29], v[38:39], v[2:5]
	ds_read_b128 v[6:9], v48 offset:4096
	ds_read_b128 v[26:29], v48 offset:4112
	s_waitcnt vmcnt(3) lgkmcnt(1)
	v_mfma_f32_16x16x16_bf16 v[2:5], v[22:23], v[6:7], v[2:5]
	v_mfma_f32_16x16x16_bf16 v[2:5], v[24:25], v[8:9], v[2:5]
	s_waitcnt vmcnt(2) lgkmcnt(0)
	v_mfma_f32_16x16x16_bf16 v[2:5], v[18:19], v[26:27], v[2:5]
	v_mfma_f32_16x16x16_bf16 v[2:5], v[20:21], v[28:29], v[2:5]
	ds_read_b128 v[6:9], v48 offset:6144
	ds_read_b128 v[18:21], v48 offset:6160
	s_waitcnt lgkmcnt(0)
	s_barrier
	s_waitcnt vmcnt(1)
	v_mfma_f32_16x16x16_bf16 v[2:5], v[14:15], v[6:7], v[2:5]
	v_mfma_f32_16x16x16_bf16 v[2:5], v[16:17], v[8:9], v[2:5]
	s_waitcnt vmcnt(0)
	v_mfma_f32_16x16x16_bf16 v[2:5], v[10:11], v[18:19], v[2:5]
	v_mfma_f32_16x16x16_bf16 v[2:5], v[12:13], v[20:21], v[2:5]
	s_nop 6
	v_bfe_u32 v6, v3, 16, 1
	v_bfe_u32 v7, v2, 16, 1
	;; [unrolled: 1-line block ×4, first 2 shown]
	v_add3_u32 v2, v2, v7, s10
	v_add3_u32 v3, v3, v6, s10
	;; [unrolled: 1-line block ×4, first 2 shown]
	v_perm_b32 v2, v3, v2, s11
	v_perm_b32 v3, v5, v4, s11
	ds_write_b64 v1, v[2:3]
	s_waitcnt lgkmcnt(0)
	s_barrier
	s_and_saveexec_b64 s[10:11], s[4:5]
	s_cbranch_execz .LBB560_20
; %bb.18:
	s_load_dwordx2 s[4:5], s[0:1], 0x68
	s_lshl_b32 s0, s8, 6
	s_mul_i32 s1, s9, s2
	s_mul_hi_u32 s9, s1, s0
	s_mul_i32 s8, s1, s0
	v_lshlrev_b32_e32 v1, 10, v0
	v_lshlrev_b32_e32 v0, 4, v0
	s_lshl_b64 s[8:9], s[8:9], 1
	v_and_b32_e32 v1, 0x1800, v1
	v_lshlrev_b32_e32 v2, 5, v54
	v_and_b32_e32 v0, 16, v0
	s_waitcnt lgkmcnt(0)
	s_add_u32 s1, s4, s8
	v_or3_b32 v2, v1, v2, v0
	s_addc_u32 s4, s5, s9
	s_lshl_b32 s2, s28, 6
	s_lshl_b64 s[2:3], s[2:3], 1
	ds_read_b128 v[4:7], v2
	s_add_u32 s2, s1, s2
	s_addc_u32 s3, s4, s3
	v_add_u32_e32 v3, s42, v54
	v_lshl_add_u64 v[0:1], v[34:35], 1, s[2:3]
	v_mad_u64_u32 v[8:9], s[2:3], v3, s0, 0
	v_lshl_add_u64 v[8:9], v[8:9], 1, v[0:1]
	s_waitcnt lgkmcnt(0)
	global_store_dwordx4 v[8:9], v[4:7], off
	s_and_b64 exec, exec, s[6:7]
	s_cbranch_execz .LBB560_20
; %bb.19:
	ds_read_b128 v[2:5], v2 offset:128
	v_add3_u32 v6, s42, v54, 4
	v_mad_u64_u32 v[6:7], s[0:1], v6, s0, 0
	v_lshl_add_u64 v[0:1], v[6:7], 1, v[0:1]
	s_waitcnt lgkmcnt(0)
	global_store_dwordx4 v[0:1], v[2:5], off
.LBB560_20:
	s_endpgm
	.section	.rodata,"a",@progbits
	.p2align	6, 0x0
	.amdhsa_kernel _Z39paged_attention_ll4mi_QKV_mfma16_kernelI14__hip_bfloat16S0_LN4vllm18Fp8KVCacheDataTypeE0ES0_Li32ELi64ELi256ELb0ELi5EEvPKT_PKT0_S8_ifPKiSA_SA_iPKfiiiPfSD_PS3_PT2_iSC_SC_
		.amdhsa_group_segment_fixed_size 8192
		.amdhsa_private_segment_fixed_size 0
		.amdhsa_kernarg_size 400
		.amdhsa_user_sgpr_count 2
		.amdhsa_user_sgpr_dispatch_ptr 0
		.amdhsa_user_sgpr_queue_ptr 0
		.amdhsa_user_sgpr_kernarg_segment_ptr 1
		.amdhsa_user_sgpr_dispatch_id 0
		.amdhsa_user_sgpr_kernarg_preload_length 0
		.amdhsa_user_sgpr_kernarg_preload_offset 0
		.amdhsa_user_sgpr_private_segment_size 0
		.amdhsa_uses_dynamic_stack 0
		.amdhsa_enable_private_segment 0
		.amdhsa_system_sgpr_workgroup_id_x 1
		.amdhsa_system_sgpr_workgroup_id_y 1
		.amdhsa_system_sgpr_workgroup_id_z 1
		.amdhsa_system_sgpr_workgroup_info 0
		.amdhsa_system_vgpr_workitem_id 0
		.amdhsa_next_free_vgpr 67
		.amdhsa_next_free_sgpr 48
		.amdhsa_accum_offset 68
		.amdhsa_reserve_vcc 1
		.amdhsa_float_round_mode_32 0
		.amdhsa_float_round_mode_16_64 0
		.amdhsa_float_denorm_mode_32 3
		.amdhsa_float_denorm_mode_16_64 3
		.amdhsa_dx10_clamp 1
		.amdhsa_ieee_mode 1
		.amdhsa_fp16_overflow 0
		.amdhsa_tg_split 0
		.amdhsa_exception_fp_ieee_invalid_op 0
		.amdhsa_exception_fp_denorm_src 0
		.amdhsa_exception_fp_ieee_div_zero 0
		.amdhsa_exception_fp_ieee_overflow 0
		.amdhsa_exception_fp_ieee_underflow 0
		.amdhsa_exception_fp_ieee_inexact 0
		.amdhsa_exception_int_div_zero 0
	.end_amdhsa_kernel
	.section	.text._Z39paged_attention_ll4mi_QKV_mfma16_kernelI14__hip_bfloat16S0_LN4vllm18Fp8KVCacheDataTypeE0ES0_Li32ELi64ELi256ELb0ELi5EEvPKT_PKT0_S8_ifPKiSA_SA_iPKfiiiPfSD_PS3_PT2_iSC_SC_,"axG",@progbits,_Z39paged_attention_ll4mi_QKV_mfma16_kernelI14__hip_bfloat16S0_LN4vllm18Fp8KVCacheDataTypeE0ES0_Li32ELi64ELi256ELb0ELi5EEvPKT_PKT0_S8_ifPKiSA_SA_iPKfiiiPfSD_PS3_PT2_iSC_SC_,comdat
.Lfunc_end560:
	.size	_Z39paged_attention_ll4mi_QKV_mfma16_kernelI14__hip_bfloat16S0_LN4vllm18Fp8KVCacheDataTypeE0ES0_Li32ELi64ELi256ELb0ELi5EEvPKT_PKT0_S8_ifPKiSA_SA_iPKfiiiPfSD_PS3_PT2_iSC_SC_, .Lfunc_end560-_Z39paged_attention_ll4mi_QKV_mfma16_kernelI14__hip_bfloat16S0_LN4vllm18Fp8KVCacheDataTypeE0ES0_Li32ELi64ELi256ELb0ELi5EEvPKT_PKT0_S8_ifPKiSA_SA_iPKfiiiPfSD_PS3_PT2_iSC_SC_
                                        ; -- End function
	.section	.AMDGPU.csdata,"",@progbits
; Kernel info:
; codeLenInByte = 4168
; NumSgprs: 54
; NumVgprs: 67
; NumAgprs: 0
; TotalNumVgprs: 67
; ScratchSize: 0
; MemoryBound: 0
; FloatMode: 240
; IeeeMode: 1
; LDSByteSize: 8192 bytes/workgroup (compile time only)
; SGPRBlocks: 6
; VGPRBlocks: 8
; NumSGPRsForWavesPerEU: 54
; NumVGPRsForWavesPerEU: 67
; AccumOffset: 68
; Occupancy: 7
; WaveLimiterHint : 1
; COMPUTE_PGM_RSRC2:SCRATCH_EN: 0
; COMPUTE_PGM_RSRC2:USER_SGPR: 2
; COMPUTE_PGM_RSRC2:TRAP_HANDLER: 0
; COMPUTE_PGM_RSRC2:TGID_X_EN: 1
; COMPUTE_PGM_RSRC2:TGID_Y_EN: 1
; COMPUTE_PGM_RSRC2:TGID_Z_EN: 1
; COMPUTE_PGM_RSRC2:TIDIG_COMP_CNT: 0
; COMPUTE_PGM_RSRC3_GFX90A:ACCUM_OFFSET: 16
; COMPUTE_PGM_RSRC3_GFX90A:TG_SPLIT: 0
	.section	.text._Z39paged_attention_ll4mi_QKV_mfma16_kernelI14__hip_bfloat16S0_LN4vllm18Fp8KVCacheDataTypeE0ES0_Li32ELi64ELi256ELb0ELi6EEvPKT_PKT0_S8_ifPKiSA_SA_iPKfiiiPfSD_PS3_PT2_iSC_SC_,"axG",@progbits,_Z39paged_attention_ll4mi_QKV_mfma16_kernelI14__hip_bfloat16S0_LN4vllm18Fp8KVCacheDataTypeE0ES0_Li32ELi64ELi256ELb0ELi6EEvPKT_PKT0_S8_ifPKiSA_SA_iPKfiiiPfSD_PS3_PT2_iSC_SC_,comdat
	.protected	_Z39paged_attention_ll4mi_QKV_mfma16_kernelI14__hip_bfloat16S0_LN4vllm18Fp8KVCacheDataTypeE0ES0_Li32ELi64ELi256ELb0ELi6EEvPKT_PKT0_S8_ifPKiSA_SA_iPKfiiiPfSD_PS3_PT2_iSC_SC_ ; -- Begin function _Z39paged_attention_ll4mi_QKV_mfma16_kernelI14__hip_bfloat16S0_LN4vllm18Fp8KVCacheDataTypeE0ES0_Li32ELi64ELi256ELb0ELi6EEvPKT_PKT0_S8_ifPKiSA_SA_iPKfiiiPfSD_PS3_PT2_iSC_SC_
	.globl	_Z39paged_attention_ll4mi_QKV_mfma16_kernelI14__hip_bfloat16S0_LN4vllm18Fp8KVCacheDataTypeE0ES0_Li32ELi64ELi256ELb0ELi6EEvPKT_PKT0_S8_ifPKiSA_SA_iPKfiiiPfSD_PS3_PT2_iSC_SC_
	.p2align	8
	.type	_Z39paged_attention_ll4mi_QKV_mfma16_kernelI14__hip_bfloat16S0_LN4vllm18Fp8KVCacheDataTypeE0ES0_Li32ELi64ELi256ELb0ELi6EEvPKT_PKT0_S8_ifPKiSA_SA_iPKfiiiPfSD_PS3_PT2_iSC_SC_,@function
_Z39paged_attention_ll4mi_QKV_mfma16_kernelI14__hip_bfloat16S0_LN4vllm18Fp8KVCacheDataTypeE0ES0_Li32ELi64ELi256ELb0ELi6EEvPKT_PKT0_S8_ifPKiSA_SA_iPKfiiiPfSD_PS3_PT2_iSC_SC_: ; @_Z39paged_attention_ll4mi_QKV_mfma16_kernelI14__hip_bfloat16S0_LN4vllm18Fp8KVCacheDataTypeE0ES0_Li32ELi64ELi256ELb0ELi6EEvPKT_PKT0_S8_ifPKiSA_SA_iPKfiiiPfSD_PS3_PT2_iSC_SC_
; %bb.0:
	s_load_dwordx2 s[6:7], s[0:1], 0x30
	s_mov_b32 s28, s3
	s_mov_b64 s[10:11], 0
	s_waitcnt lgkmcnt(0)
	s_cmp_lg_u64 s[6:7], 0
	s_cselect_b64 s[8:9], -1, 0
	s_and_b64 vcc, exec, s[8:9]
	s_cbranch_vccz .LBB561_7
; %bb.1:
	s_add_i32 s12, s2, 1
	s_mov_b32 s13, 0
	s_lshl_b64 s[14:15], s[12:13], 2
	s_add_u32 s14, s6, s14
	s_mov_b32 s3, s13
	s_addc_u32 s15, s7, s15
	s_lshl_b64 s[12:13], s[2:3], 2
	s_add_u32 s12, s6, s12
	s_addc_u32 s13, s7, s13
	s_load_dword s5, s[14:15], 0x0
	s_load_dword s16, s[12:13], 0x0
	s_waitcnt lgkmcnt(0)
	s_sub_i32 s5, s5, s16
	s_cmp_eq_u32 s5, 1
	s_cselect_b64 s[12:13], -1, 0
	s_andn2_b64 vcc, exec, s[10:11]
	s_cbranch_vccnz .LBB561_3
.LBB561_2:
	s_mov_b32 s3, 0
	s_mov_b64 s[12:13], -1
.LBB561_3:
	s_andn2_b64 vcc, exec, s[12:13]
	s_cbranch_vccnz .LBB561_20
; %bb.4:
	s_load_dwordx2 s[12:13], s[0:1], 0x28
	s_lshl_b64 s[10:11], s[2:3], 2
	s_waitcnt lgkmcnt(0)
	s_add_u32 s12, s12, s10
	s_addc_u32 s13, s13, s11
	s_load_dword s33, s[12:13], 0x0
	s_lshl_b32 s14, s28, 8
	s_waitcnt lgkmcnt(0)
	s_cmp_ge_i32 s14, s33
	s_cbranch_scc1 .LBB561_20
; %bb.5:
	s_load_dwordx2 s[12:13], s[0:1], 0x20
	s_load_dword s5, s[0:1], 0x38
	s_add_i32 s15, s33, 31
	s_ashr_i32 s16, s15, 31
	v_and_b32_e32 v1, 0xcf, v0
	s_lshr_b32 s16, s16, 27
	v_add_u32_e32 v1, s14, v1
	s_add_i32 s15, s15, s16
	v_ashrrev_i32_e32 v2, 31, v1
	s_ashr_i32 s15, s15, 5
	v_lshrrev_b32_e32 v10, 27, v2
	s_add_i32 s15, s15, -1
	s_waitcnt lgkmcnt(0)
	s_mul_i32 s16, s2, s5
	s_mov_b32 s17, 0
	v_add_u32_e32 v2, v1, v10
	s_lshl_b64 s[16:17], s[16:17], 2
	v_ashrrev_i32_e32 v2, 5, v2
	v_mov_b32_e32 v11, s15
	v_cmp_gt_i32_e32 vcc, s33, v1
	s_add_u32 s12, s12, s16
	s_addc_u32 s13, s13, s17
	v_cndmask_b32_e32 v2, v11, v2, vcc
	v_ashrrev_i32_e32 v3, 31, v2
	v_lshl_add_u64 v[4:5], v[2:3], 2, s[12:13]
	v_or_b32_e32 v2, 16, v1
	v_add_u32_e32 v3, v2, v10
	v_ashrrev_i32_e32 v3, 5, v3
	v_cmp_gt_i32_e32 vcc, s33, v2
	s_nop 1
	v_cndmask_b32_e32 v2, v11, v3, vcc
	v_ashrrev_i32_e32 v3, 31, v2
	v_lshl_add_u64 v[6:7], v[2:3], 2, s[12:13]
	v_or_b32_e32 v2, 32, v1
	v_add_u32_e32 v3, v2, v10
	v_ashrrev_i32_e32 v3, 5, v3
	v_cmp_gt_i32_e32 vcc, s33, v2
	v_or_b32_e32 v1, 48, v1
	s_nop 0
	v_cndmask_b32_e32 v2, v11, v3, vcc
	v_ashrrev_i32_e32 v3, 31, v2
	v_lshl_add_u64 v[8:9], v[2:3], 2, s[12:13]
	v_add_u32_e32 v2, v1, v10
	v_ashrrev_i32_e32 v2, 5, v2
	v_cmp_gt_i32_e32 vcc, s33, v1
	s_nop 1
	v_cndmask_b32_e32 v2, v11, v2, vcc
	v_ashrrev_i32_e32 v3, 31, v2
	v_lshl_add_u64 v[12:13], v[2:3], 2, s[12:13]
	global_load_dword v3, v[4:5], off
	global_load_dword v2, v[6:7], off
	global_load_dword v10, v[8:9], off
	global_load_dword v16, v[12:13], off
	s_andn2_b64 vcc, exec, s[8:9]
	s_cbranch_vccnz .LBB561_8
; %bb.6:
	s_add_u32 s6, s6, s10
	s_addc_u32 s7, s7, s11
	s_load_dword s5, s[6:7], 0x0
	s_branch .LBB561_9
.LBB561_7:
	s_mov_b64 s[12:13], 0
	s_branch .LBB561_2
.LBB561_8:
	s_mov_b32 s5, s2
.LBB561_9:
	s_load_dwordx4 s[8:11], s[0:1], 0x8
	s_load_dwordx4 s[44:47], s[0:1], 0x48
	v_lshrrev_b32_e32 v1, 6, v0
	v_bfe_u32 v54, v0, 4, 2
	v_lshl_or_b32 v4, v1, 2, v54
	v_and_b32_e32 v36, 15, v0
	v_cmp_lt_u32_e32 vcc, 5, v4
	v_cmp_lt_u32_e64 s[6:7], 7, v36
	v_lshlrev_b32_e32 v34, 3, v36
	v_cmp_gt_u32_e64 s[30:31], 8, v36
	s_or_b64 s[6:7], s[6:7], vcc
	s_and_saveexec_b64 s[16:17], s[6:7]
	s_xor_b64 s[6:7], exec, s[16:17]
; %bb.10:
	v_mov_b32_e32 v35, 0
                                        ; implicit-def: $vgpr4
; %bb.11:
	s_or_saveexec_b64 s[6:7], s[6:7]
	v_and_b32_e32 v37, 63, v0
	s_mul_i32 s42, s4, 6
	s_xor_b64 exec, exec, s[6:7]
	s_cbranch_execz .LBB561_13
; %bb.12:
	s_load_dwordx2 s[16:17], s[0:1], 0x0
	s_waitcnt lgkmcnt(0)
	s_ashr_i32 s18, s44, 31
	s_mul_hi_u32 s19, s5, s44
	s_mul_i32 s18, s5, s18
	s_add_i32 s19, s19, s18
	s_mul_i32 s18, s5, s44
	s_lshl_b64 s[18:19], s[18:19], 1
	s_add_u32 s16, s16, s18
	v_add_lshl_u32 v6, v4, s42, 6
	s_addc_u32 s17, s17, s19
	v_ashrrev_i32_e32 v7, 31, v6
	v_mov_b32_e32 v35, 0
	v_lshl_add_u64 v[6:7], v[6:7], 1, s[16:17]
	v_lshlrev_b32_e32 v8, 1, v34
	v_mov_b32_e32 v9, v35
	v_lshl_add_u64 v[6:7], v[6:7], 0, v[8:9]
	global_load_dwordx4 v[6:9], v[6:7], off
	v_and_b32_e32 v5, 3, v0
	v_lshlrev_b32_e32 v11, 9, v36
	v_lshlrev_b32_e32 v4, 5, v4
	;; [unrolled: 1-line block ×3, first 2 shown]
	v_and_b32_e32 v11, 0x1800, v11
	v_or3_b32 v4, v11, v5, v4
	s_waitcnt vmcnt(0)
	ds_write_b128 v4, v[6:9]
.LBB561_13:
	s_or_b64 exec, exec, s[6:7]
	s_waitcnt lgkmcnt(0)
	s_mul_i32 s4, s4, s46
	s_mov_b32 s5, 0
	s_lshl_b64 s[4:5], s[4:5], 1
	s_add_u32 s8, s8, s4
	s_addc_u32 s9, s9, s5
	s_waitcnt vmcnt(3)
	v_mad_i64_i32 v[4:5], s[16:17], v3, s45, 0
	v_lshl_add_u64 v[4:5], v[4:5], 1, s[8:9]
	v_lshlrev_b64 v[12:13], 1, v[34:35]
	v_lshlrev_b32_e32 v38, 9, v54
	v_lshl_add_u64 v[4:5], v[4:5], 0, v[12:13]
	v_mov_b32_e32 v39, 0
	v_lshl_add_u64 v[14:15], v[4:5], 0, v[38:39]
	s_waitcnt vmcnt(2)
	v_mad_i64_i32 v[2:3], s[16:17], v2, s45, 0
	v_mov_b32_e32 v4, 0x100
	v_lshl_add_u64 v[2:3], v[2:3], 1, s[8:9]
	v_lshl_or_b32 v30, v36, 4, v4
	v_mov_b32_e32 v31, v39
	s_load_dword s29, s[0:1], 0x98
	s_load_dword s6, s[0:1], 0x1c
	s_waitcnt lgkmcnt(0)
	s_barrier
	v_lshl_add_u64 v[2:3], v[2:3], 0, v[30:31]
	global_load_dwordx4 v[6:9], v[14:15], off
	global_load_dwordx4 v[22:25], v[14:15], off offset:2048
	v_lshl_add_u64 v[18:19], v[2:3], 0, v[38:39]
	global_load_dwordx4 v[2:5], v[18:19], off
	global_load_dwordx4 v[26:29], v[18:19], off offset:2048
	s_waitcnt vmcnt(5)
	v_mad_i64_i32 v[10:11], s[16:17], v10, s45, 0
	v_lshl_add_u64 v[10:11], v[10:11], 1, s[8:9]
	v_lshl_add_u64 v[10:11], v[10:11], 0, v[12:13]
	;; [unrolled: 1-line block ×3, first 2 shown]
	global_load_dwordx4 v[10:13], v[32:33], off
	v_mul_lo_u16_e32 v20, 43, v36
	v_mov_b32_e32 v21, 6
	s_waitcnt vmcnt(5)
	v_mad_i64_i32 v[16:17], s[16:17], v16, s45, 0
	v_mul_lo_u16_sdwa v14, v20, v21 dst_sel:DWORD dst_unused:UNUSED_PAD src0_sel:BYTE_1 src1_sel:DWORD
	v_sub_u16_e32 v14, v36, v14
	v_lshl_add_u64 v[40:41], v[16:17], 1, s[8:9]
	v_and_b32_e32 v14, 0xff, v14
	v_lshl_add_u64 v[30:31], v[40:41], 0, v[30:31]
	v_lshl_add_u32 v14, v14, 5, v38
	v_lshl_add_u64 v[40:41], v[30:31], 0, v[38:39]
	ds_read_b128 v[18:21], v14
	ds_read_b128 v[14:17], v14 offset:2048
	global_load_dwordx4 v[30:33], v[32:33], off offset:2048
	s_ashr_i32 s7, s14, 31
	global_load_dwordx4 v[46:49], v[40:41], off
	global_load_dwordx4 v[60:63], v[40:41], off offset:2048
	v_and_or_b32 v55, v0, 48, s14
	s_lshr_b32 s7, s7, 27
	v_add_u32_e32 v42, s7, v55
	v_mov_b32_e32 v64, s15
	v_or_b32_e32 v50, 64, v55
	v_ashrrev_i32_e32 v38, 5, v42
	v_cmp_gt_i32_e32 vcc, s33, v55
	v_add_u32_e32 v43, s7, v50
	v_ashrrev_i32_e32 v51, 5, v43
	v_cndmask_b32_e32 v42, v64, v38, vcc
	v_ashrrev_i32_e32 v43, 31, v42
	v_lshl_add_u64 v[42:43], v[42:43], 2, s[12:13]
	v_cmp_gt_i32_e32 vcc, s33, v50
	global_load_dword v65, v[42:43], off
	v_or_b32_e32 v40, 0x80, v55
	v_and_b32_e32 v38, 16, v0
	s_add_u32 s4, s10, s4
	v_lshlrev_b32_e32 v41, 6, v36
	s_addc_u32 s5, s11, s5
	v_lshlrev_b32_e32 v38, 1, v38
	s_mov_b32 s43, 0xff7fffff
	s_waitcnt vmcnt(8) lgkmcnt(1)
	v_mfma_f32_16x16x16_bf16 v[42:45], v[6:7], v[18:19], 0
	v_cndmask_b32_e32 v6, v64, v51, vcc
	v_ashrrev_i32_e32 v7, 31, v6
	v_cmp_gt_i32_e32 vcc, s33, v40
	s_waitcnt vmcnt(6)
	v_mfma_f32_16x16x16_bf16 v[50:53], v[2:3], v[18:19], 0
	v_lshl_add_u64 v[2:3], v[6:7], 2, s[12:13]
	global_load_dword v66, v[2:3], off
	v_mfma_f32_16x16x16_bf16 v[6:9], v[8:9], v[20:21], v[42:45]
	v_mfma_f32_16x16x16_bf16 v[2:5], v[4:5], v[20:21], v[50:53]
	s_nop 1
	v_or_b32_e32 v42, 0xc0, v55
	v_add_u32_e32 v43, s7, v40
	v_add_u32_e32 v44, s7, v42
	s_waitcnt lgkmcnt(0)
	v_mfma_f32_16x16x16_bf16 v[6:9], v[22:23], v[14:15], v[6:9]
	v_ashrrev_i32_e32 v43, 5, v43
	v_ashrrev_i32_e32 v44, 5, v44
	v_cndmask_b32_e32 v40, v64, v43, vcc
	s_waitcnt vmcnt(5)
	v_mfma_f32_16x16x16_bf16 v[56:59], v[10:11], v[18:19], 0
	v_cmp_gt_i32_e32 vcc, s33, v42
	v_mfma_f32_16x16x16_bf16 v[2:5], v[26:27], v[14:15], v[2:5]
	s_nop 0
	v_cndmask_b32_e32 v42, v64, v44, vcc
	v_lshl_add_u64 v[44:45], s[4:5], 0, v[38:39]
	v_lshl_or_b32 v38, v1, 10, v41
	v_ashrrev_i32_e32 v41, 31, v40
	v_mfma_f32_16x16x16_bf16 v[22:25], v[24:25], v[16:17], v[6:9]
	v_ashrrev_i32_e32 v43, 31, v42
	s_nop 1
	v_lshl_add_u64 v[6:7], v[40:41], 2, s[12:13]
	v_mfma_f32_16x16x16_bf16 v[10:13], v[12:13], v[20:21], v[56:59]
	s_nop 1
	v_pk_mul_f32 v[50:51], s[6:7], v[24:25] op_sel_hi:[0,1]
	v_mfma_f32_16x16x16_bf16 v[26:29], v[28:29], v[16:17], v[2:5]
	s_nop 2
	v_lshl_add_u64 v[2:3], v[42:43], 2, s[12:13]
	global_load_dword v55, v[6:7], off
	global_load_dword v58, v[2:3], off
	s_waitcnt vmcnt(6)
	v_mfma_f32_16x16x16_bf16 v[2:5], v[30:31], v[14:15], v[10:13]
	s_waitcnt vmcnt(3)
	v_mad_i64_i32 v[6:7], s[4:5], v65, s45, 0
	v_pk_mul_f32 v[42:43], s[6:7], v[26:27] op_sel_hi:[0,1]
	v_lshl_add_u64 v[10:11], v[44:45], 0, v[38:39]
	v_mfma_f32_16x16x16_bf16 v[38:41], v[46:47], v[18:19], 0
	v_pk_mul_f32 v[52:53], s[6:7], v[28:29] op_sel_hi:[0,1]
	s_waitcnt vmcnt(2)
	v_mad_i64_i32 v[12:13], s[4:5], v66, s45, 0
	v_mfma_f32_16x16x16_bf16 v[18:21], v[48:49], v[20:21], v[38:41]
	v_lshl_add_u64 v[56:57], v[12:13], 1, v[10:11]
	v_pk_mul_f32 v[12:13], s[6:7], v[22:23] op_sel_hi:[0,1]
	v_mfma_f32_16x16x16_bf16 v[18:21], v[60:61], v[14:15], v[18:21]
	v_mfma_f32_16x16x16_bf16 v[30:33], v[32:33], v[16:17], v[2:5]
	;; [unrolled: 1-line block ×3, first 2 shown]
	s_nop 1
	v_lshl_add_u64 v[2:3], v[6:7], 1, v[10:11]
	s_nop 2
	v_pk_mul_f32 v[46:47], s[6:7], v[30:31] op_sel_hi:[0,1]
	v_pk_mul_f32 v[48:49], s[6:7], v[32:33] op_sel_hi:[0,1]
	global_load_dwordx4 v[6:9], v[2:3], off
	s_nop 0
	global_load_dwordx4 v[2:5], v[2:3], off offset:16
	v_pk_mul_f32 v[44:45], s[6:7], v[14:15] op_sel_hi:[0,1]
	v_and_b32_e32 v14, 0xc0, v0
	v_add_u32_e32 v14, s14, v14
	v_lshl_or_b32 v14, v54, 2, v14
	v_pk_mul_f32 v[38:39], s[6:7], v[16:17] op_sel_hi:[0,1]
	v_or_b32_e32 v17, 1, v14
	v_mov_b32_e32 v15, 0xff7fffff
	v_cmp_gt_i32_e64 s[4:5], s33, v14
	v_cmp_gt_i32_e64 s[34:35], s33, v17
	v_or_b32_e32 v18, 3, v14
	v_cndmask_b32_e64 v16, v15, v12, s[4:5]
	v_cndmask_b32_e64 v17, v15, v13, s[34:35]
	v_max3_f32 v16, v16, s43, v17
	v_or_b32_e32 v17, 2, v14
	v_cmp_gt_i32_e64 s[36:37], s33, v17
	v_cmp_gt_i32_e64 s[38:39], s33, v18
	global_load_dwordx4 v[30:33], v[56:57], off
	global_load_dwordx4 v[26:29], v[56:57], off offset:16
	v_cndmask_b32_e64 v17, v15, v50, s[36:37]
	v_cndmask_b32_e64 v18, v15, v51, s[38:39]
	v_max3_f32 v16, v16, v17, v18
	v_or_b32_e32 v17, 16, v14
	v_or_b32_e32 v18, 17, v14
	v_cmp_gt_i32_e64 s[24:25], s33, v17
	v_cmp_gt_i32_e64 s[26:27], s33, v18
	s_nop 0
	v_cndmask_b32_e64 v17, v15, v42, s[24:25]
	v_cndmask_b32_e64 v18, v15, v43, s[26:27]
	v_max3_f32 v16, v16, v17, v18
	v_or_b32_e32 v17, 18, v14
	v_or_b32_e32 v18, 19, v14
	v_cmp_gt_i32_e64 s[20:21], s33, v17
	v_cmp_gt_i32_e64 s[22:23], s33, v18
	s_nop 0
	;; [unrolled: 8-line block ×5, first 2 shown]
	v_cndmask_b32_e64 v17, v15, v44, s[8:9]
	v_cndmask_b32_e64 v18, v15, v45, s[10:11]
	v_max3_f32 v16, v16, v17, v18
	v_or_b32_e32 v17, 50, v14
	v_or_b32_e32 v14, 51, v14
	v_cmp_gt_i32_e32 vcc, s33, v17
	v_cmp_gt_i32_e64 s[6:7], s33, v14
	s_nop 0
	v_cndmask_b32_e32 v17, v15, v38, vcc
	v_cndmask_b32_e64 v14, v15, v39, s[6:7]
	v_max3_f32 v16, v16, v17, v14
	v_mbcnt_lo_u32_b32 v14, -1, 0
	v_mbcnt_hi_u32_b32 v17, -1, v14
	v_and_b32_e32 v14, 64, v17
	v_add_u32_e32 v18, 64, v14
	v_xor_b32_e32 v14, 32, v17
	v_cmp_lt_i32_e64 s[40:41], v14, v18
	s_nop 1
	v_cndmask_b32_e64 v14, v17, v14, s[40:41]
	v_lshlrev_b32_e32 v59, 2, v14
	ds_bpermute_b32 v19, v59, v16
	s_waitcnt vmcnt(5)
	v_mad_i64_i32 v[14:15], s[40:41], v55, s45, 0
	v_lshl_add_u64 v[14:15], v[14:15], 1, v[10:11]
	s_waitcnt lgkmcnt(0)
	v_max_f32_e32 v19, v19, v19
	v_max_f32_e32 v16, v16, v19
	v_xor_b32_e32 v19, 16, v17
	v_cmp_lt_i32_e64 s[40:41], v19, v18
	s_nop 1
	v_cndmask_b32_e64 v17, v17, v19, s[40:41]
	v_lshlrev_b32_e32 v57, 2, v17
	ds_bpermute_b32 v17, v57, v16
	global_load_dwordx4 v[22:25], v[14:15], off
	global_load_dwordx4 v[18:21], v[14:15], off offset:16
	s_waitcnt vmcnt(6)
	v_mad_i64_i32 v[14:15], s[40:41], v58, s45, 0
	v_lshl_add_u64 v[10:11], v[14:15], 1, v[10:11]
	s_waitcnt lgkmcnt(0)
	v_max_f32_e32 v14, v17, v17
	v_max_f32_e32 v55, v16, v14
	v_sub_f32_e32 v12, v12, v55
	v_mul_f32_e32 v12, 0x3fb8aa3b, v12
	v_exp_f32_e32 v40, v12
	v_sub_f32_e32 v12, v13, v55
	v_mul_f32_e32 v12, 0x3fb8aa3b, v12
	v_exp_f32_e32 v41, v12
	global_load_dwordx4 v[14:17], v[10:11], off
	s_nop 0
	global_load_dwordx4 v[10:13], v[10:11], off offset:16
	v_sub_f32_e32 v50, v50, v55
	v_mul_f32_e32 v50, 0x3fb8aa3b, v50
	v_sub_f32_e32 v51, v51, v55
	v_exp_f32_e32 v50, v50
	v_mul_f32_e32 v51, 0x3fb8aa3b, v51
	v_sub_f32_e32 v42, v42, v55
	v_exp_f32_e32 v51, v51
	v_mul_f32_e32 v42, 0x3fb8aa3b, v42
	v_sub_f32_e32 v43, v43, v55
	v_cndmask_b32_e64 v40, 0, v40, s[4:5]
	v_exp_f32_e32 v42, v42
	v_mul_f32_e32 v43, 0x3fb8aa3b, v43
	v_sub_f32_e32 v52, v52, v55
	v_add_f32_e32 v56, 0, v40
	v_cndmask_b32_e64 v41, 0, v41, s[34:35]
	v_exp_f32_e32 v43, v43
	v_mul_f32_e32 v52, 0x3fb8aa3b, v52
	v_sub_f32_e32 v53, v53, v55
	v_add_f32_e32 v56, v56, v41
	;; [unrolled: 5-line block ×10, first 2 shown]
	v_cndmask_b32_e64 v48, 0, v48, s[12:13]
	v_exp_f32_e32 v38, v38
	v_mul_f32_e32 v39, 0x3fb8aa3b, v39
	v_add_f32_e32 v56, v56, v48
	v_cndmask_b32_e64 v49, 0, v49, s[14:15]
	v_exp_f32_e32 v39, v39
	v_add_f32_e32 v56, v56, v49
	v_cndmask_b32_e64 v44, 0, v44, s[8:9]
	v_add_f32_e32 v56, v56, v44
	v_cndmask_b32_e64 v45, 0, v45, s[10:11]
	v_add_f32_e32 v56, v56, v45
	v_cndmask_b32_e32 v38, 0, v38, vcc
	v_add_f32_e32 v56, v56, v38
	v_cndmask_b32_e64 v39, 0, v39, s[6:7]
	v_add_f32_e32 v56, v56, v39
	ds_bpermute_b32 v58, v59, v56
	v_cmp_gt_u32_e32 vcc, 16, v37
	v_lshlrev_b32_e32 v37, 2, v36
	s_waitcnt lgkmcnt(0)
	s_barrier
	v_add_f32_e32 v56, v56, v58
	ds_bpermute_b32 v57, v57, v56
	s_waitcnt lgkmcnt(0)
	s_and_saveexec_b64 s[4:5], vcc
	s_cbranch_execz .LBB561_15
; %bb.14:
	v_add_f32_e32 v56, v56, v57
	v_lshl_or_b32 v57, v1, 6, v37
	ds_write2st64_b32 v57, v55, v56 offset1:1
.LBB561_15:
	s_or_b64 exec, exec, s[4:5]
	s_load_dword s6, s[0:1], 0x94
	s_waitcnt lgkmcnt(0)
	s_barrier
	ds_read2_b32 v[56:57], v37 offset1:16
	ds_read2_b32 v[58:59], v37 offset0:32 offset1:48
	ds_read2_b32 v[60:61], v37 offset0:64 offset1:80
	;; [unrolled: 1-line block ×3, first 2 shown]
	s_movk_i32 s8, 0x7fff
	s_waitcnt lgkmcnt(3)
	v_max3_f32 v55, v56, s43, v57
	s_waitcnt lgkmcnt(2)
	v_max3_f32 v55, v55, v58, v59
	v_sub_f32_e32 v56, v56, v55
	v_mul_f32_e32 v56, 0x3fb8aa3b, v56
	v_exp_f32_e32 v64, v56
	v_sub_f32_e32 v56, v57, v55
	v_mul_f32_e32 v56, 0x3fb8aa3b, v56
	v_exp_f32_e32 v57, v56
	v_sub_f32_e32 v56, v58, v55
	v_mul_f32_e32 v56, 0x3fb8aa3b, v56
	v_sub_f32_e32 v37, v59, v55
	v_exp_f32_e32 v58, v56
	v_mul_f32_e32 v37, 0x3fb8aa3b, v37
	v_exp_f32_e32 v37, v37
	s_waitcnt lgkmcnt(1)
	v_fma_f32 v56, v64, v60, 0
	v_fmac_f32_e32 v56, v57, v61
	s_waitcnt lgkmcnt(0)
	v_fmac_f32_e32 v56, v58, v62
	v_fmac_f32_e32 v56, v37, v63
	v_add_f32_e32 v59, 0x358637bd, v56
	v_div_scale_f32 v60, s[4:5], v59, v59, 1.0
	v_rcp_f32_e32 v61, v60
	s_mov_b32 s9, 0x7060302
	s_barrier
	v_fma_f32 v62, -v60, v61, 1.0
	v_fmac_f32_e32 v61, v62, v61
	v_div_scale_f32 v62, vcc, 1.0, v59, 1.0
	v_mul_f32_e32 v63, v62, v61
	v_fma_f32 v65, -v60, v63, v62
	v_fmac_f32_e32 v63, v65, v61
	v_fma_f32 v60, -v60, v63, v62
	v_div_fmas_f32 v60, v60, v61, v63
	v_cmp_eq_u32_e32 vcc, 1, v1
	v_div_fixup_f32 v59, v60, v59, 1.0
	s_nop 0
	v_cndmask_b32_e32 v57, v64, v57, vcc
	v_cmp_eq_u32_e32 vcc, 2, v1
	s_mul_i32 s7, s29, 6
	s_nop 0
	v_cndmask_b32_e32 v57, v57, v58, vcc
	v_cmp_eq_u32_e32 vcc, 3, v1
	v_lshlrev_b32_e32 v1, 11, v1
	s_nop 0
	v_cndmask_b32_e32 v37, v57, v37, vcc
	v_mul_f32_e32 v58, v37, v59
	v_pk_mul_f32 v[40:41], v[58:59], v[40:41] op_sel_hi:[0,1]
	v_bfe_u32 v37, v41, 16, 1
	v_bfe_u32 v57, v40, 16, 1
	v_pk_mul_f32 v[50:51], v[58:59], v[50:51] op_sel_hi:[0,1]
	v_add3_u32 v40, v40, v57, s8
	v_add3_u32 v37, v41, v37, s8
	v_perm_b32 v60, v37, v40, s9
	v_bfe_u32 v37, v51, 16, 1
	v_bfe_u32 v40, v50, 16, 1
	v_add3_u32 v40, v50, v40, s8
	v_add3_u32 v37, v51, v37, s8
	v_perm_b32 v61, v37, v40, s9
	v_lshlrev_b32_e32 v37, 3, v54
	v_lshlrev_b32_e32 v40, 5, v36
	v_pk_mul_f32 v[42:43], v[58:59], v[42:43] op_sel_hi:[0,1]
	v_or3_b32 v1, v1, v40, v37
	v_bfe_u32 v37, v43, 16, 1
	v_bfe_u32 v41, v42, 16, 1
	v_pk_mul_f32 v[50:51], v[58:59], v[52:53] op_sel_hi:[0,1]
	v_add3_u32 v41, v42, v41, s8
	v_add3_u32 v37, v43, v37, s8
	v_perm_b32 v42, v37, v41, s9
	v_bfe_u32 v37, v51, 16, 1
	v_bfe_u32 v41, v50, 16, 1
	v_add3_u32 v41, v50, v41, s8
	v_add3_u32 v37, v51, v37, s8
	v_pk_mul_f32 v[46:47], v[58:59], v[46:47] op_sel_hi:[0,1]
	v_perm_b32 v43, v37, v41, s9
	v_bfe_u32 v37, v47, 16, 1
	v_bfe_u32 v41, v46, 16, 1
	ds_write2st64_b64 v1, v[60:61], v[42:43] offset1:1
	v_pk_mul_f32 v[42:43], v[58:59], v[48:49] op_sel_hi:[0,1]
	v_add3_u32 v41, v46, v41, s8
	v_add3_u32 v37, v47, v37, s8
	v_perm_b32 v46, v37, v41, s9
	v_bfe_u32 v37, v43, 16, 1
	v_bfe_u32 v41, v42, 16, 1
	v_add3_u32 v41, v42, v41, s8
	v_add3_u32 v37, v43, v37, s8
	v_pk_mul_f32 v[42:43], v[58:59], v[44:45] op_sel_hi:[0,1]
	v_perm_b32 v47, v37, v41, s9
	v_bfe_u32 v37, v43, 16, 1
	v_bfe_u32 v41, v42, 16, 1
	v_pk_mul_f32 v[38:39], v[58:59], v[38:39] op_sel_hi:[0,1]
	v_add3_u32 v41, v42, v41, s8
	v_add3_u32 v37, v43, v37, s8
	v_perm_b32 v42, v37, v41, s9
	v_bfe_u32 v37, v39, 16, 1
	v_bfe_u32 v41, v38, 16, 1
	v_add3_u32 v38, v38, v41, s8
	v_add3_u32 v37, v39, v37, s8
	v_perm_b32 v43, v37, v38, s9
	v_cmp_gt_u32_e32 vcc, 6, v0
	ds_write2st64_b64 v1, v[46:47], v[42:43] offset0:2 offset1:3
	s_and_saveexec_b64 s[4:5], vcc
	s_cbranch_execz .LBB561_17
; %bb.16:
	s_mov_b32 s43, 0
	v_mov_b32_e32 v37, 0
	v_lshl_add_u64 v[38:39], s[42:43], 0, v[36:37]
	v_mov_b32_e32 v36, s7
	v_mad_u64_u32 v[38:39], s[10:11], s2, v36, v[38:39]
	v_mov_b32_e32 v36, s28
	s_load_dwordx4 s[12:15], s[0:1], 0x58
	s_mul_i32 s3, s3, s7
	v_mad_u64_u32 v[36:37], s[10:11], v38, s6, v[36:37]
	v_add_u32_e32 v39, s3, v39
	v_mov_b32_e32 v38, v37
	v_mad_u64_u32 v[38:39], s[10:11], v39, s6, v[38:39]
	v_mov_b32_e32 v37, v38
	v_lshlrev_b64 v[36:37], 2, v[36:37]
	s_waitcnt lgkmcnt(0)
	v_lshl_add_u64 v[38:39], s[14:15], 0, v[36:37]
	v_lshl_add_u64 v[36:37], s[12:13], 0, v[36:37]
	global_store_dword v[38:39], v55, off
	global_store_dword v[36:37], v56, off
.LBB561_17:
	s_or_b64 exec, exec, s[4:5]
	v_lshl_or_b32 v48, v54, 9, v40
	s_waitcnt lgkmcnt(0)
	s_barrier
	ds_read_b128 v[36:39], v48
	ds_read_b128 v[40:43], v48 offset:16
	s_waitcnt vmcnt(7) lgkmcnt(1)
	v_mfma_f32_16x16x16_bf16 v[44:47], v[6:7], v[36:37], 0
	v_cmp_gt_u32_e32 vcc, 64, v0
	s_mov_b32 s3, 0
	s_and_b64 s[4:5], vcc, s[30:31]
	v_mfma_f32_16x16x16_bf16 v[6:9], v[8:9], v[38:39], v[44:47]
	s_waitcnt vmcnt(6) lgkmcnt(0)
	v_mfma_f32_16x16x16_bf16 v[6:9], v[2:3], v[40:41], v[6:9]
	v_mfma_f32_16x16x16_bf16 v[2:5], v[4:5], v[42:43], v[6:9]
	s_nop 5
	ds_read_b128 v[6:9], v48 offset:2048
	ds_read_b128 v[36:39], v48 offset:2064
	s_waitcnt vmcnt(5) lgkmcnt(1)
	v_mfma_f32_16x16x16_bf16 v[2:5], v[30:31], v[6:7], v[2:5]
	v_mfma_f32_16x16x16_bf16 v[2:5], v[32:33], v[8:9], v[2:5]
	s_waitcnt vmcnt(4) lgkmcnt(0)
	v_mfma_f32_16x16x16_bf16 v[2:5], v[26:27], v[36:37], v[2:5]
	v_mfma_f32_16x16x16_bf16 v[2:5], v[28:29], v[38:39], v[2:5]
	ds_read_b128 v[6:9], v48 offset:4096
	ds_read_b128 v[26:29], v48 offset:4112
	s_waitcnt vmcnt(3) lgkmcnt(1)
	v_mfma_f32_16x16x16_bf16 v[2:5], v[22:23], v[6:7], v[2:5]
	v_mfma_f32_16x16x16_bf16 v[2:5], v[24:25], v[8:9], v[2:5]
	s_waitcnt vmcnt(2) lgkmcnt(0)
	v_mfma_f32_16x16x16_bf16 v[2:5], v[18:19], v[26:27], v[2:5]
	v_mfma_f32_16x16x16_bf16 v[2:5], v[20:21], v[28:29], v[2:5]
	ds_read_b128 v[6:9], v48 offset:6144
	ds_read_b128 v[18:21], v48 offset:6160
	s_waitcnt lgkmcnt(0)
	s_barrier
	s_waitcnt vmcnt(1)
	v_mfma_f32_16x16x16_bf16 v[2:5], v[14:15], v[6:7], v[2:5]
	v_mfma_f32_16x16x16_bf16 v[2:5], v[16:17], v[8:9], v[2:5]
	s_waitcnt vmcnt(0)
	v_mfma_f32_16x16x16_bf16 v[2:5], v[10:11], v[18:19], v[2:5]
	v_mfma_f32_16x16x16_bf16 v[2:5], v[12:13], v[20:21], v[2:5]
	s_nop 6
	v_bfe_u32 v6, v3, 16, 1
	v_bfe_u32 v7, v2, 16, 1
	;; [unrolled: 1-line block ×4, first 2 shown]
	v_add3_u32 v2, v2, v7, s8
	v_add3_u32 v3, v3, v6, s8
	v_add3_u32 v4, v4, v9, s8
	v_add3_u32 v5, v5, v8, s8
	v_perm_b32 v2, v3, v2, s9
	v_perm_b32 v3, v5, v4, s9
	ds_write_b64 v1, v[2:3]
	s_waitcnt lgkmcnt(0)
	s_barrier
	s_and_saveexec_b64 s[8:9], s[4:5]
	s_cbranch_execz .LBB561_20
; %bb.18:
	s_load_dwordx2 s[4:5], s[0:1], 0x68
	s_lshl_b32 s0, s6, 6
	s_mul_i32 s1, s7, s2
	s_mul_hi_u32 s7, s1, s0
	s_mul_i32 s6, s1, s0
	v_lshlrev_b32_e32 v1, 10, v0
	v_lshlrev_b32_e32 v0, 4, v0
	s_lshl_b64 s[6:7], s[6:7], 1
	v_and_b32_e32 v1, 0x1800, v1
	v_lshlrev_b32_e32 v3, 5, v54
	v_and_b32_e32 v0, 16, v0
	s_waitcnt lgkmcnt(0)
	s_add_u32 s1, s4, s6
	v_or3_b32 v3, v1, v3, v0
	s_addc_u32 s4, s5, s7
	s_lshl_b32 s2, s28, 6
	s_lshl_b64 s[2:3], s[2:3], 1
	ds_read_b128 v[4:7], v3
	s_add_u32 s2, s1, s2
	s_addc_u32 s3, s4, s3
	v_add_u32_e32 v8, s42, v54
	v_or_b32_e32 v2, 4, v54
	v_lshl_add_u64 v[0:1], v[34:35], 1, s[2:3]
	v_mad_u64_u32 v[8:9], s[2:3], v8, s0, 0
	v_lshl_add_u64 v[8:9], v[8:9], 1, v[0:1]
	v_cmp_gt_u32_e32 vcc, 6, v2
	s_waitcnt lgkmcnt(0)
	global_store_dwordx4 v[8:9], v[4:7], off
	s_and_b64 exec, exec, vcc
	s_cbranch_execz .LBB561_20
; %bb.19:
	ds_read_b128 v[4:7], v3 offset:128
	v_add_u32_e32 v2, s42, v2
	v_mad_u64_u32 v[2:3], s[0:1], v2, s0, 0
	v_lshl_add_u64 v[0:1], v[2:3], 1, v[0:1]
	s_waitcnt lgkmcnt(0)
	global_store_dwordx4 v[0:1], v[4:7], off
.LBB561_20:
	s_endpgm
	.section	.rodata,"a",@progbits
	.p2align	6, 0x0
	.amdhsa_kernel _Z39paged_attention_ll4mi_QKV_mfma16_kernelI14__hip_bfloat16S0_LN4vllm18Fp8KVCacheDataTypeE0ES0_Li32ELi64ELi256ELb0ELi6EEvPKT_PKT0_S8_ifPKiSA_SA_iPKfiiiPfSD_PS3_PT2_iSC_SC_
		.amdhsa_group_segment_fixed_size 8192
		.amdhsa_private_segment_fixed_size 0
		.amdhsa_kernarg_size 400
		.amdhsa_user_sgpr_count 2
		.amdhsa_user_sgpr_dispatch_ptr 0
		.amdhsa_user_sgpr_queue_ptr 0
		.amdhsa_user_sgpr_kernarg_segment_ptr 1
		.amdhsa_user_sgpr_dispatch_id 0
		.amdhsa_user_sgpr_kernarg_preload_length 0
		.amdhsa_user_sgpr_kernarg_preload_offset 0
		.amdhsa_user_sgpr_private_segment_size 0
		.amdhsa_uses_dynamic_stack 0
		.amdhsa_enable_private_segment 0
		.amdhsa_system_sgpr_workgroup_id_x 1
		.amdhsa_system_sgpr_workgroup_id_y 1
		.amdhsa_system_sgpr_workgroup_id_z 1
		.amdhsa_system_sgpr_workgroup_info 0
		.amdhsa_system_vgpr_workitem_id 0
		.amdhsa_next_free_vgpr 67
		.amdhsa_next_free_sgpr 48
		.amdhsa_accum_offset 68
		.amdhsa_reserve_vcc 1
		.amdhsa_float_round_mode_32 0
		.amdhsa_float_round_mode_16_64 0
		.amdhsa_float_denorm_mode_32 3
		.amdhsa_float_denorm_mode_16_64 3
		.amdhsa_dx10_clamp 1
		.amdhsa_ieee_mode 1
		.amdhsa_fp16_overflow 0
		.amdhsa_tg_split 0
		.amdhsa_exception_fp_ieee_invalid_op 0
		.amdhsa_exception_fp_denorm_src 0
		.amdhsa_exception_fp_ieee_div_zero 0
		.amdhsa_exception_fp_ieee_overflow 0
		.amdhsa_exception_fp_ieee_underflow 0
		.amdhsa_exception_fp_ieee_inexact 0
		.amdhsa_exception_int_div_zero 0
	.end_amdhsa_kernel
	.section	.text._Z39paged_attention_ll4mi_QKV_mfma16_kernelI14__hip_bfloat16S0_LN4vllm18Fp8KVCacheDataTypeE0ES0_Li32ELi64ELi256ELb0ELi6EEvPKT_PKT0_S8_ifPKiSA_SA_iPKfiiiPfSD_PS3_PT2_iSC_SC_,"axG",@progbits,_Z39paged_attention_ll4mi_QKV_mfma16_kernelI14__hip_bfloat16S0_LN4vllm18Fp8KVCacheDataTypeE0ES0_Li32ELi64ELi256ELb0ELi6EEvPKT_PKT0_S8_ifPKiSA_SA_iPKfiiiPfSD_PS3_PT2_iSC_SC_,comdat
.Lfunc_end561:
	.size	_Z39paged_attention_ll4mi_QKV_mfma16_kernelI14__hip_bfloat16S0_LN4vllm18Fp8KVCacheDataTypeE0ES0_Li32ELi64ELi256ELb0ELi6EEvPKT_PKT0_S8_ifPKiSA_SA_iPKfiiiPfSD_PS3_PT2_iSC_SC_, .Lfunc_end561-_Z39paged_attention_ll4mi_QKV_mfma16_kernelI14__hip_bfloat16S0_LN4vllm18Fp8KVCacheDataTypeE0ES0_Li32ELi64ELi256ELb0ELi6EEvPKT_PKT0_S8_ifPKiSA_SA_iPKfiiiPfSD_PS3_PT2_iSC_SC_
                                        ; -- End function
	.section	.AMDGPU.csdata,"",@progbits
; Kernel info:
; codeLenInByte = 4168
; NumSgprs: 54
; NumVgprs: 67
; NumAgprs: 0
; TotalNumVgprs: 67
; ScratchSize: 0
; MemoryBound: 0
; FloatMode: 240
; IeeeMode: 1
; LDSByteSize: 8192 bytes/workgroup (compile time only)
; SGPRBlocks: 6
; VGPRBlocks: 8
; NumSGPRsForWavesPerEU: 54
; NumVGPRsForWavesPerEU: 67
; AccumOffset: 68
; Occupancy: 7
; WaveLimiterHint : 1
; COMPUTE_PGM_RSRC2:SCRATCH_EN: 0
; COMPUTE_PGM_RSRC2:USER_SGPR: 2
; COMPUTE_PGM_RSRC2:TRAP_HANDLER: 0
; COMPUTE_PGM_RSRC2:TGID_X_EN: 1
; COMPUTE_PGM_RSRC2:TGID_Y_EN: 1
; COMPUTE_PGM_RSRC2:TGID_Z_EN: 1
; COMPUTE_PGM_RSRC2:TIDIG_COMP_CNT: 0
; COMPUTE_PGM_RSRC3_GFX90A:ACCUM_OFFSET: 16
; COMPUTE_PGM_RSRC3_GFX90A:TG_SPLIT: 0
	.section	.text._Z39paged_attention_ll4mi_QKV_mfma16_kernelI14__hip_bfloat16S0_LN4vllm18Fp8KVCacheDataTypeE0ES0_Li32ELi64ELi256ELb0ELi7EEvPKT_PKT0_S8_ifPKiSA_SA_iPKfiiiPfSD_PS3_PT2_iSC_SC_,"axG",@progbits,_Z39paged_attention_ll4mi_QKV_mfma16_kernelI14__hip_bfloat16S0_LN4vllm18Fp8KVCacheDataTypeE0ES0_Li32ELi64ELi256ELb0ELi7EEvPKT_PKT0_S8_ifPKiSA_SA_iPKfiiiPfSD_PS3_PT2_iSC_SC_,comdat
	.protected	_Z39paged_attention_ll4mi_QKV_mfma16_kernelI14__hip_bfloat16S0_LN4vllm18Fp8KVCacheDataTypeE0ES0_Li32ELi64ELi256ELb0ELi7EEvPKT_PKT0_S8_ifPKiSA_SA_iPKfiiiPfSD_PS3_PT2_iSC_SC_ ; -- Begin function _Z39paged_attention_ll4mi_QKV_mfma16_kernelI14__hip_bfloat16S0_LN4vllm18Fp8KVCacheDataTypeE0ES0_Li32ELi64ELi256ELb0ELi7EEvPKT_PKT0_S8_ifPKiSA_SA_iPKfiiiPfSD_PS3_PT2_iSC_SC_
	.globl	_Z39paged_attention_ll4mi_QKV_mfma16_kernelI14__hip_bfloat16S0_LN4vllm18Fp8KVCacheDataTypeE0ES0_Li32ELi64ELi256ELb0ELi7EEvPKT_PKT0_S8_ifPKiSA_SA_iPKfiiiPfSD_PS3_PT2_iSC_SC_
	.p2align	8
	.type	_Z39paged_attention_ll4mi_QKV_mfma16_kernelI14__hip_bfloat16S0_LN4vllm18Fp8KVCacheDataTypeE0ES0_Li32ELi64ELi256ELb0ELi7EEvPKT_PKT0_S8_ifPKiSA_SA_iPKfiiiPfSD_PS3_PT2_iSC_SC_,@function
_Z39paged_attention_ll4mi_QKV_mfma16_kernelI14__hip_bfloat16S0_LN4vllm18Fp8KVCacheDataTypeE0ES0_Li32ELi64ELi256ELb0ELi7EEvPKT_PKT0_S8_ifPKiSA_SA_iPKfiiiPfSD_PS3_PT2_iSC_SC_: ; @_Z39paged_attention_ll4mi_QKV_mfma16_kernelI14__hip_bfloat16S0_LN4vllm18Fp8KVCacheDataTypeE0ES0_Li32ELi64ELi256ELb0ELi7EEvPKT_PKT0_S8_ifPKiSA_SA_iPKfiiiPfSD_PS3_PT2_iSC_SC_
; %bb.0:
	s_load_dwordx2 s[6:7], s[0:1], 0x30
	s_mov_b32 s28, s3
	s_mov_b64 s[10:11], 0
	s_waitcnt lgkmcnt(0)
	s_cmp_lg_u64 s[6:7], 0
	s_cselect_b64 s[8:9], -1, 0
	s_and_b64 vcc, exec, s[8:9]
	s_cbranch_vccz .LBB562_7
; %bb.1:
	s_add_i32 s12, s2, 1
	s_mov_b32 s13, 0
	s_lshl_b64 s[14:15], s[12:13], 2
	s_add_u32 s14, s6, s14
	s_mov_b32 s3, s13
	s_addc_u32 s15, s7, s15
	s_lshl_b64 s[12:13], s[2:3], 2
	s_add_u32 s12, s6, s12
	s_addc_u32 s13, s7, s13
	s_load_dword s5, s[14:15], 0x0
	s_load_dword s16, s[12:13], 0x0
	s_waitcnt lgkmcnt(0)
	s_sub_i32 s5, s5, s16
	s_cmp_eq_u32 s5, 1
	s_cselect_b64 s[12:13], -1, 0
	s_andn2_b64 vcc, exec, s[10:11]
	s_cbranch_vccnz .LBB562_3
.LBB562_2:
	s_mov_b32 s3, 0
	s_mov_b64 s[12:13], -1
.LBB562_3:
	s_andn2_b64 vcc, exec, s[12:13]
	s_cbranch_vccnz .LBB562_20
; %bb.4:
	s_load_dwordx2 s[12:13], s[0:1], 0x28
	s_lshl_b64 s[10:11], s[2:3], 2
	s_waitcnt lgkmcnt(0)
	s_add_u32 s12, s12, s10
	s_addc_u32 s13, s13, s11
	s_load_dword s33, s[12:13], 0x0
	s_lshl_b32 s14, s28, 8
	s_waitcnt lgkmcnt(0)
	s_cmp_ge_i32 s14, s33
	s_cbranch_scc1 .LBB562_20
; %bb.5:
	s_load_dwordx2 s[12:13], s[0:1], 0x20
	s_load_dword s5, s[0:1], 0x38
	s_add_i32 s15, s33, 31
	s_ashr_i32 s16, s15, 31
	v_and_b32_e32 v1, 0xcf, v0
	s_lshr_b32 s16, s16, 27
	v_add_u32_e32 v1, s14, v1
	s_add_i32 s15, s15, s16
	v_ashrrev_i32_e32 v2, 31, v1
	s_ashr_i32 s15, s15, 5
	v_lshrrev_b32_e32 v10, 27, v2
	s_add_i32 s15, s15, -1
	s_waitcnt lgkmcnt(0)
	s_mul_i32 s16, s2, s5
	s_mov_b32 s17, 0
	v_add_u32_e32 v2, v1, v10
	s_lshl_b64 s[16:17], s[16:17], 2
	v_ashrrev_i32_e32 v2, 5, v2
	v_mov_b32_e32 v11, s15
	v_cmp_gt_i32_e32 vcc, s33, v1
	s_add_u32 s12, s12, s16
	s_addc_u32 s13, s13, s17
	v_cndmask_b32_e32 v2, v11, v2, vcc
	v_ashrrev_i32_e32 v3, 31, v2
	v_lshl_add_u64 v[4:5], v[2:3], 2, s[12:13]
	v_or_b32_e32 v2, 16, v1
	v_add_u32_e32 v3, v2, v10
	v_ashrrev_i32_e32 v3, 5, v3
	v_cmp_gt_i32_e32 vcc, s33, v2
	s_nop 1
	v_cndmask_b32_e32 v2, v11, v3, vcc
	v_ashrrev_i32_e32 v3, 31, v2
	v_lshl_add_u64 v[6:7], v[2:3], 2, s[12:13]
	v_or_b32_e32 v2, 32, v1
	v_add_u32_e32 v3, v2, v10
	v_ashrrev_i32_e32 v3, 5, v3
	v_cmp_gt_i32_e32 vcc, s33, v2
	v_or_b32_e32 v1, 48, v1
	s_nop 0
	v_cndmask_b32_e32 v2, v11, v3, vcc
	v_ashrrev_i32_e32 v3, 31, v2
	v_lshl_add_u64 v[8:9], v[2:3], 2, s[12:13]
	v_add_u32_e32 v2, v1, v10
	v_ashrrev_i32_e32 v2, 5, v2
	v_cmp_gt_i32_e32 vcc, s33, v1
	s_nop 1
	v_cndmask_b32_e32 v2, v11, v2, vcc
	v_ashrrev_i32_e32 v3, 31, v2
	v_lshl_add_u64 v[12:13], v[2:3], 2, s[12:13]
	global_load_dword v3, v[4:5], off
	global_load_dword v2, v[6:7], off
	global_load_dword v10, v[8:9], off
	global_load_dword v16, v[12:13], off
	s_andn2_b64 vcc, exec, s[8:9]
	s_cbranch_vccnz .LBB562_8
; %bb.6:
	s_add_u32 s6, s6, s10
	s_addc_u32 s7, s7, s11
	s_load_dword s5, s[6:7], 0x0
	s_branch .LBB562_9
.LBB562_7:
	s_mov_b64 s[12:13], 0
	s_branch .LBB562_2
.LBB562_8:
	s_mov_b32 s5, s2
.LBB562_9:
	s_load_dwordx4 s[8:11], s[0:1], 0x8
	s_load_dwordx4 s[44:47], s[0:1], 0x48
	v_lshrrev_b32_e32 v1, 6, v0
	v_bfe_u32 v54, v0, 4, 2
	v_lshl_or_b32 v4, v1, 2, v54
	v_and_b32_e32 v36, 15, v0
	v_cmp_lt_u32_e32 vcc, 6, v4
	v_cmp_lt_u32_e64 s[6:7], 7, v36
	v_lshlrev_b32_e32 v34, 3, v36
	v_cmp_gt_u32_e64 s[30:31], 8, v36
	s_or_b64 s[6:7], s[6:7], vcc
	s_and_saveexec_b64 s[16:17], s[6:7]
	s_xor_b64 s[6:7], exec, s[16:17]
; %bb.10:
	v_mov_b32_e32 v35, 0
                                        ; implicit-def: $vgpr4
; %bb.11:
	s_or_saveexec_b64 s[6:7], s[6:7]
	v_and_b32_e32 v37, 63, v0
	s_mul_i32 s42, s4, 7
	s_xor_b64 exec, exec, s[6:7]
	s_cbranch_execz .LBB562_13
; %bb.12:
	s_load_dwordx2 s[16:17], s[0:1], 0x0
	s_waitcnt lgkmcnt(0)
	s_ashr_i32 s18, s44, 31
	s_mul_hi_u32 s19, s5, s44
	s_mul_i32 s18, s5, s18
	s_add_i32 s19, s19, s18
	s_mul_i32 s18, s5, s44
	s_lshl_b64 s[18:19], s[18:19], 1
	s_add_u32 s16, s16, s18
	v_add_lshl_u32 v6, v4, s42, 6
	s_addc_u32 s17, s17, s19
	v_ashrrev_i32_e32 v7, 31, v6
	v_mov_b32_e32 v35, 0
	v_lshl_add_u64 v[6:7], v[6:7], 1, s[16:17]
	v_lshlrev_b32_e32 v8, 1, v34
	v_mov_b32_e32 v9, v35
	v_lshl_add_u64 v[6:7], v[6:7], 0, v[8:9]
	global_load_dwordx4 v[6:9], v[6:7], off
	v_and_b32_e32 v5, 3, v0
	v_lshlrev_b32_e32 v11, 9, v36
	v_lshlrev_b32_e32 v4, 5, v4
	;; [unrolled: 1-line block ×3, first 2 shown]
	v_and_b32_e32 v11, 0x1800, v11
	v_or3_b32 v4, v11, v5, v4
	s_waitcnt vmcnt(0)
	ds_write_b128 v4, v[6:9]
.LBB562_13:
	s_or_b64 exec, exec, s[6:7]
	s_waitcnt lgkmcnt(0)
	s_mul_i32 s4, s4, s46
	s_mov_b32 s5, 0
	s_lshl_b64 s[4:5], s[4:5], 1
	s_add_u32 s8, s8, s4
	s_addc_u32 s9, s9, s5
	s_waitcnt vmcnt(3)
	v_mad_i64_i32 v[4:5], s[16:17], v3, s45, 0
	v_lshl_add_u64 v[4:5], v[4:5], 1, s[8:9]
	v_lshlrev_b64 v[12:13], 1, v[34:35]
	v_lshlrev_b32_e32 v38, 9, v54
	v_lshl_add_u64 v[4:5], v[4:5], 0, v[12:13]
	v_mov_b32_e32 v39, 0
	v_lshl_add_u64 v[14:15], v[4:5], 0, v[38:39]
	s_waitcnt vmcnt(2)
	v_mad_i64_i32 v[2:3], s[16:17], v2, s45, 0
	v_mov_b32_e32 v4, 0x100
	v_lshl_add_u64 v[2:3], v[2:3], 1, s[8:9]
	v_lshl_or_b32 v30, v36, 4, v4
	v_mov_b32_e32 v31, v39
	s_load_dword s29, s[0:1], 0x98
	s_load_dword s6, s[0:1], 0x1c
	s_waitcnt lgkmcnt(0)
	s_barrier
	v_lshl_add_u64 v[2:3], v[2:3], 0, v[30:31]
	global_load_dwordx4 v[6:9], v[14:15], off
	global_load_dwordx4 v[22:25], v[14:15], off offset:2048
	v_lshl_add_u64 v[18:19], v[2:3], 0, v[38:39]
	global_load_dwordx4 v[2:5], v[18:19], off
	global_load_dwordx4 v[26:29], v[18:19], off offset:2048
	s_waitcnt vmcnt(5)
	v_mad_i64_i32 v[10:11], s[16:17], v10, s45, 0
	v_lshl_add_u64 v[10:11], v[10:11], 1, s[8:9]
	v_lshl_add_u64 v[10:11], v[10:11], 0, v[12:13]
	v_lshl_add_u64 v[32:33], v[10:11], 0, v[38:39]
	global_load_dwordx4 v[10:13], v[32:33], off
	v_mul_lo_u16_e32 v20, 37, v36
	v_mov_b32_e32 v21, 7
	s_waitcnt vmcnt(5)
	v_mad_i64_i32 v[16:17], s[16:17], v16, s45, 0
	v_mul_lo_u16_sdwa v14, v20, v21 dst_sel:DWORD dst_unused:UNUSED_PAD src0_sel:BYTE_1 src1_sel:DWORD
	v_sub_u16_e32 v14, v36, v14
	v_lshl_add_u64 v[40:41], v[16:17], 1, s[8:9]
	v_and_b32_e32 v14, 0xff, v14
	v_lshl_add_u64 v[30:31], v[40:41], 0, v[30:31]
	v_lshl_add_u32 v14, v14, 5, v38
	v_lshl_add_u64 v[40:41], v[30:31], 0, v[38:39]
	ds_read_b128 v[18:21], v14
	ds_read_b128 v[14:17], v14 offset:2048
	global_load_dwordx4 v[30:33], v[32:33], off offset:2048
	s_ashr_i32 s7, s14, 31
	global_load_dwordx4 v[46:49], v[40:41], off
	global_load_dwordx4 v[60:63], v[40:41], off offset:2048
	v_and_or_b32 v55, v0, 48, s14
	s_lshr_b32 s7, s7, 27
	v_add_u32_e32 v42, s7, v55
	v_mov_b32_e32 v64, s15
	v_or_b32_e32 v50, 64, v55
	v_ashrrev_i32_e32 v38, 5, v42
	v_cmp_gt_i32_e32 vcc, s33, v55
	v_add_u32_e32 v43, s7, v50
	v_ashrrev_i32_e32 v51, 5, v43
	v_cndmask_b32_e32 v42, v64, v38, vcc
	v_ashrrev_i32_e32 v43, 31, v42
	v_lshl_add_u64 v[42:43], v[42:43], 2, s[12:13]
	v_cmp_gt_i32_e32 vcc, s33, v50
	global_load_dword v65, v[42:43], off
	v_or_b32_e32 v40, 0x80, v55
	v_and_b32_e32 v38, 16, v0
	s_add_u32 s4, s10, s4
	v_lshlrev_b32_e32 v41, 6, v36
	s_addc_u32 s5, s11, s5
	v_lshlrev_b32_e32 v38, 1, v38
	s_mov_b32 s43, 0xff7fffff
	s_waitcnt vmcnt(8) lgkmcnt(1)
	v_mfma_f32_16x16x16_bf16 v[42:45], v[6:7], v[18:19], 0
	v_cndmask_b32_e32 v6, v64, v51, vcc
	v_ashrrev_i32_e32 v7, 31, v6
	v_cmp_gt_i32_e32 vcc, s33, v40
	s_waitcnt vmcnt(6)
	v_mfma_f32_16x16x16_bf16 v[50:53], v[2:3], v[18:19], 0
	v_lshl_add_u64 v[2:3], v[6:7], 2, s[12:13]
	global_load_dword v66, v[2:3], off
	v_mfma_f32_16x16x16_bf16 v[6:9], v[8:9], v[20:21], v[42:45]
	v_mfma_f32_16x16x16_bf16 v[2:5], v[4:5], v[20:21], v[50:53]
	s_nop 1
	v_or_b32_e32 v42, 0xc0, v55
	v_add_u32_e32 v43, s7, v40
	v_add_u32_e32 v44, s7, v42
	s_waitcnt lgkmcnt(0)
	v_mfma_f32_16x16x16_bf16 v[6:9], v[22:23], v[14:15], v[6:9]
	v_ashrrev_i32_e32 v43, 5, v43
	v_ashrrev_i32_e32 v44, 5, v44
	v_cndmask_b32_e32 v40, v64, v43, vcc
	s_waitcnt vmcnt(5)
	v_mfma_f32_16x16x16_bf16 v[56:59], v[10:11], v[18:19], 0
	v_cmp_gt_i32_e32 vcc, s33, v42
	v_mfma_f32_16x16x16_bf16 v[2:5], v[26:27], v[14:15], v[2:5]
	s_nop 0
	v_cndmask_b32_e32 v42, v64, v44, vcc
	v_lshl_add_u64 v[44:45], s[4:5], 0, v[38:39]
	v_lshl_or_b32 v38, v1, 10, v41
	v_ashrrev_i32_e32 v41, 31, v40
	v_mfma_f32_16x16x16_bf16 v[22:25], v[24:25], v[16:17], v[6:9]
	v_ashrrev_i32_e32 v43, 31, v42
	s_nop 1
	v_lshl_add_u64 v[6:7], v[40:41], 2, s[12:13]
	v_mfma_f32_16x16x16_bf16 v[10:13], v[12:13], v[20:21], v[56:59]
	s_nop 1
	v_pk_mul_f32 v[50:51], s[6:7], v[24:25] op_sel_hi:[0,1]
	v_mfma_f32_16x16x16_bf16 v[26:29], v[28:29], v[16:17], v[2:5]
	s_nop 2
	v_lshl_add_u64 v[2:3], v[42:43], 2, s[12:13]
	global_load_dword v55, v[6:7], off
	global_load_dword v58, v[2:3], off
	s_waitcnt vmcnt(6)
	v_mfma_f32_16x16x16_bf16 v[2:5], v[30:31], v[14:15], v[10:13]
	s_waitcnt vmcnt(3)
	v_mad_i64_i32 v[6:7], s[4:5], v65, s45, 0
	v_pk_mul_f32 v[42:43], s[6:7], v[26:27] op_sel_hi:[0,1]
	v_lshl_add_u64 v[10:11], v[44:45], 0, v[38:39]
	v_mfma_f32_16x16x16_bf16 v[38:41], v[46:47], v[18:19], 0
	v_pk_mul_f32 v[52:53], s[6:7], v[28:29] op_sel_hi:[0,1]
	s_waitcnt vmcnt(2)
	v_mad_i64_i32 v[12:13], s[4:5], v66, s45, 0
	v_mfma_f32_16x16x16_bf16 v[18:21], v[48:49], v[20:21], v[38:41]
	v_lshl_add_u64 v[56:57], v[12:13], 1, v[10:11]
	v_pk_mul_f32 v[12:13], s[6:7], v[22:23] op_sel_hi:[0,1]
	v_mfma_f32_16x16x16_bf16 v[18:21], v[60:61], v[14:15], v[18:21]
	v_mfma_f32_16x16x16_bf16 v[30:33], v[32:33], v[16:17], v[2:5]
	;; [unrolled: 1-line block ×3, first 2 shown]
	s_nop 1
	v_lshl_add_u64 v[2:3], v[6:7], 1, v[10:11]
	s_nop 2
	v_pk_mul_f32 v[46:47], s[6:7], v[30:31] op_sel_hi:[0,1]
	v_pk_mul_f32 v[48:49], s[6:7], v[32:33] op_sel_hi:[0,1]
	global_load_dwordx4 v[6:9], v[2:3], off
	s_nop 0
	global_load_dwordx4 v[2:5], v[2:3], off offset:16
	v_pk_mul_f32 v[44:45], s[6:7], v[14:15] op_sel_hi:[0,1]
	v_and_b32_e32 v14, 0xc0, v0
	v_add_u32_e32 v14, s14, v14
	v_lshl_or_b32 v14, v54, 2, v14
	v_pk_mul_f32 v[38:39], s[6:7], v[16:17] op_sel_hi:[0,1]
	v_or_b32_e32 v17, 1, v14
	v_mov_b32_e32 v15, 0xff7fffff
	v_cmp_gt_i32_e64 s[4:5], s33, v14
	v_cmp_gt_i32_e64 s[34:35], s33, v17
	v_or_b32_e32 v18, 3, v14
	v_cndmask_b32_e64 v16, v15, v12, s[4:5]
	v_cndmask_b32_e64 v17, v15, v13, s[34:35]
	v_max3_f32 v16, v16, s43, v17
	v_or_b32_e32 v17, 2, v14
	v_cmp_gt_i32_e64 s[36:37], s33, v17
	v_cmp_gt_i32_e64 s[38:39], s33, v18
	global_load_dwordx4 v[30:33], v[56:57], off
	global_load_dwordx4 v[26:29], v[56:57], off offset:16
	v_cndmask_b32_e64 v17, v15, v50, s[36:37]
	v_cndmask_b32_e64 v18, v15, v51, s[38:39]
	v_max3_f32 v16, v16, v17, v18
	v_or_b32_e32 v17, 16, v14
	v_or_b32_e32 v18, 17, v14
	v_cmp_gt_i32_e64 s[24:25], s33, v17
	v_cmp_gt_i32_e64 s[26:27], s33, v18
	s_nop 0
	v_cndmask_b32_e64 v17, v15, v42, s[24:25]
	v_cndmask_b32_e64 v18, v15, v43, s[26:27]
	v_max3_f32 v16, v16, v17, v18
	v_or_b32_e32 v17, 18, v14
	v_or_b32_e32 v18, 19, v14
	v_cmp_gt_i32_e64 s[20:21], s33, v17
	v_cmp_gt_i32_e64 s[22:23], s33, v18
	s_nop 0
	;; [unrolled: 8-line block ×5, first 2 shown]
	v_cndmask_b32_e64 v17, v15, v44, s[8:9]
	v_cndmask_b32_e64 v18, v15, v45, s[10:11]
	v_max3_f32 v16, v16, v17, v18
	v_or_b32_e32 v17, 50, v14
	v_or_b32_e32 v14, 51, v14
	v_cmp_gt_i32_e32 vcc, s33, v17
	v_cmp_gt_i32_e64 s[6:7], s33, v14
	s_nop 0
	v_cndmask_b32_e32 v17, v15, v38, vcc
	v_cndmask_b32_e64 v14, v15, v39, s[6:7]
	v_max3_f32 v16, v16, v17, v14
	v_mbcnt_lo_u32_b32 v14, -1, 0
	v_mbcnt_hi_u32_b32 v17, -1, v14
	v_and_b32_e32 v14, 64, v17
	v_add_u32_e32 v18, 64, v14
	v_xor_b32_e32 v14, 32, v17
	v_cmp_lt_i32_e64 s[40:41], v14, v18
	s_nop 1
	v_cndmask_b32_e64 v14, v17, v14, s[40:41]
	v_lshlrev_b32_e32 v59, 2, v14
	ds_bpermute_b32 v19, v59, v16
	s_waitcnt vmcnt(5)
	v_mad_i64_i32 v[14:15], s[40:41], v55, s45, 0
	v_lshl_add_u64 v[14:15], v[14:15], 1, v[10:11]
	s_waitcnt lgkmcnt(0)
	v_max_f32_e32 v19, v19, v19
	v_max_f32_e32 v16, v16, v19
	v_xor_b32_e32 v19, 16, v17
	v_cmp_lt_i32_e64 s[40:41], v19, v18
	s_nop 1
	v_cndmask_b32_e64 v17, v17, v19, s[40:41]
	v_lshlrev_b32_e32 v57, 2, v17
	ds_bpermute_b32 v17, v57, v16
	global_load_dwordx4 v[22:25], v[14:15], off
	global_load_dwordx4 v[18:21], v[14:15], off offset:16
	s_waitcnt vmcnt(6)
	v_mad_i64_i32 v[14:15], s[40:41], v58, s45, 0
	v_lshl_add_u64 v[10:11], v[14:15], 1, v[10:11]
	s_waitcnt lgkmcnt(0)
	v_max_f32_e32 v14, v17, v17
	v_max_f32_e32 v55, v16, v14
	v_sub_f32_e32 v12, v12, v55
	v_mul_f32_e32 v12, 0x3fb8aa3b, v12
	v_exp_f32_e32 v40, v12
	v_sub_f32_e32 v12, v13, v55
	v_mul_f32_e32 v12, 0x3fb8aa3b, v12
	v_exp_f32_e32 v41, v12
	global_load_dwordx4 v[14:17], v[10:11], off
	s_nop 0
	global_load_dwordx4 v[10:13], v[10:11], off offset:16
	v_sub_f32_e32 v50, v50, v55
	v_mul_f32_e32 v50, 0x3fb8aa3b, v50
	v_sub_f32_e32 v51, v51, v55
	v_exp_f32_e32 v50, v50
	v_mul_f32_e32 v51, 0x3fb8aa3b, v51
	v_sub_f32_e32 v42, v42, v55
	v_exp_f32_e32 v51, v51
	v_mul_f32_e32 v42, 0x3fb8aa3b, v42
	v_sub_f32_e32 v43, v43, v55
	v_cndmask_b32_e64 v40, 0, v40, s[4:5]
	v_exp_f32_e32 v42, v42
	v_mul_f32_e32 v43, 0x3fb8aa3b, v43
	v_sub_f32_e32 v52, v52, v55
	v_add_f32_e32 v56, 0, v40
	v_cndmask_b32_e64 v41, 0, v41, s[34:35]
	v_exp_f32_e32 v43, v43
	v_mul_f32_e32 v52, 0x3fb8aa3b, v52
	v_sub_f32_e32 v53, v53, v55
	v_add_f32_e32 v56, v56, v41
	;; [unrolled: 5-line block ×10, first 2 shown]
	v_cndmask_b32_e64 v48, 0, v48, s[12:13]
	v_exp_f32_e32 v38, v38
	v_mul_f32_e32 v39, 0x3fb8aa3b, v39
	v_add_f32_e32 v56, v56, v48
	v_cndmask_b32_e64 v49, 0, v49, s[14:15]
	v_exp_f32_e32 v39, v39
	v_add_f32_e32 v56, v56, v49
	v_cndmask_b32_e64 v44, 0, v44, s[8:9]
	v_add_f32_e32 v56, v56, v44
	v_cndmask_b32_e64 v45, 0, v45, s[10:11]
	v_add_f32_e32 v56, v56, v45
	v_cndmask_b32_e32 v38, 0, v38, vcc
	v_add_f32_e32 v56, v56, v38
	v_cndmask_b32_e64 v39, 0, v39, s[6:7]
	v_add_f32_e32 v56, v56, v39
	ds_bpermute_b32 v58, v59, v56
	v_cmp_gt_u32_e32 vcc, 16, v37
	v_lshlrev_b32_e32 v37, 2, v36
	s_waitcnt lgkmcnt(0)
	s_barrier
	v_add_f32_e32 v56, v56, v58
	ds_bpermute_b32 v57, v57, v56
	s_waitcnt lgkmcnt(0)
	s_and_saveexec_b64 s[4:5], vcc
	s_cbranch_execz .LBB562_15
; %bb.14:
	v_add_f32_e32 v56, v56, v57
	v_lshl_or_b32 v57, v1, 6, v37
	ds_write2st64_b32 v57, v55, v56 offset1:1
.LBB562_15:
	s_or_b64 exec, exec, s[4:5]
	s_load_dword s6, s[0:1], 0x94
	s_waitcnt lgkmcnt(0)
	s_barrier
	ds_read2_b32 v[56:57], v37 offset1:16
	ds_read2_b32 v[58:59], v37 offset0:32 offset1:48
	ds_read2_b32 v[60:61], v37 offset0:64 offset1:80
	;; [unrolled: 1-line block ×3, first 2 shown]
	s_movk_i32 s8, 0x7fff
	s_waitcnt lgkmcnt(3)
	v_max3_f32 v55, v56, s43, v57
	s_waitcnt lgkmcnt(2)
	v_max3_f32 v55, v55, v58, v59
	v_sub_f32_e32 v56, v56, v55
	v_mul_f32_e32 v56, 0x3fb8aa3b, v56
	v_exp_f32_e32 v64, v56
	v_sub_f32_e32 v56, v57, v55
	v_mul_f32_e32 v56, 0x3fb8aa3b, v56
	v_exp_f32_e32 v57, v56
	v_sub_f32_e32 v56, v58, v55
	v_mul_f32_e32 v56, 0x3fb8aa3b, v56
	v_sub_f32_e32 v37, v59, v55
	v_exp_f32_e32 v58, v56
	v_mul_f32_e32 v37, 0x3fb8aa3b, v37
	v_exp_f32_e32 v37, v37
	s_waitcnt lgkmcnt(1)
	v_fma_f32 v56, v64, v60, 0
	v_fmac_f32_e32 v56, v57, v61
	s_waitcnt lgkmcnt(0)
	v_fmac_f32_e32 v56, v58, v62
	v_fmac_f32_e32 v56, v37, v63
	v_add_f32_e32 v59, 0x358637bd, v56
	v_div_scale_f32 v60, s[4:5], v59, v59, 1.0
	v_rcp_f32_e32 v61, v60
	s_mov_b32 s9, 0x7060302
	s_barrier
	v_fma_f32 v62, -v60, v61, 1.0
	v_fmac_f32_e32 v61, v62, v61
	v_div_scale_f32 v62, vcc, 1.0, v59, 1.0
	v_mul_f32_e32 v63, v62, v61
	v_fma_f32 v65, -v60, v63, v62
	v_fmac_f32_e32 v63, v65, v61
	v_fma_f32 v60, -v60, v63, v62
	v_div_fmas_f32 v60, v60, v61, v63
	v_cmp_eq_u32_e32 vcc, 1, v1
	v_div_fixup_f32 v59, v60, v59, 1.0
	s_nop 0
	v_cndmask_b32_e32 v57, v64, v57, vcc
	v_cmp_eq_u32_e32 vcc, 2, v1
	s_mul_i32 s7, s29, 7
	s_nop 0
	v_cndmask_b32_e32 v57, v57, v58, vcc
	v_cmp_eq_u32_e32 vcc, 3, v1
	v_lshlrev_b32_e32 v1, 11, v1
	s_nop 0
	v_cndmask_b32_e32 v37, v57, v37, vcc
	v_mul_f32_e32 v58, v37, v59
	v_pk_mul_f32 v[40:41], v[58:59], v[40:41] op_sel_hi:[0,1]
	v_bfe_u32 v37, v41, 16, 1
	v_bfe_u32 v57, v40, 16, 1
	v_pk_mul_f32 v[50:51], v[58:59], v[50:51] op_sel_hi:[0,1]
	v_add3_u32 v40, v40, v57, s8
	v_add3_u32 v37, v41, v37, s8
	v_perm_b32 v60, v37, v40, s9
	v_bfe_u32 v37, v51, 16, 1
	v_bfe_u32 v40, v50, 16, 1
	v_add3_u32 v40, v50, v40, s8
	v_add3_u32 v37, v51, v37, s8
	v_perm_b32 v61, v37, v40, s9
	v_lshlrev_b32_e32 v37, 3, v54
	v_lshlrev_b32_e32 v40, 5, v36
	v_pk_mul_f32 v[42:43], v[58:59], v[42:43] op_sel_hi:[0,1]
	v_or3_b32 v1, v1, v40, v37
	v_bfe_u32 v37, v43, 16, 1
	v_bfe_u32 v41, v42, 16, 1
	v_pk_mul_f32 v[50:51], v[58:59], v[52:53] op_sel_hi:[0,1]
	v_add3_u32 v41, v42, v41, s8
	v_add3_u32 v37, v43, v37, s8
	v_perm_b32 v42, v37, v41, s9
	v_bfe_u32 v37, v51, 16, 1
	v_bfe_u32 v41, v50, 16, 1
	v_add3_u32 v41, v50, v41, s8
	v_add3_u32 v37, v51, v37, s8
	v_pk_mul_f32 v[46:47], v[58:59], v[46:47] op_sel_hi:[0,1]
	v_perm_b32 v43, v37, v41, s9
	v_bfe_u32 v37, v47, 16, 1
	v_bfe_u32 v41, v46, 16, 1
	ds_write2st64_b64 v1, v[60:61], v[42:43] offset1:1
	v_pk_mul_f32 v[42:43], v[58:59], v[48:49] op_sel_hi:[0,1]
	v_add3_u32 v41, v46, v41, s8
	v_add3_u32 v37, v47, v37, s8
	v_perm_b32 v46, v37, v41, s9
	v_bfe_u32 v37, v43, 16, 1
	v_bfe_u32 v41, v42, 16, 1
	v_add3_u32 v41, v42, v41, s8
	v_add3_u32 v37, v43, v37, s8
	v_pk_mul_f32 v[42:43], v[58:59], v[44:45] op_sel_hi:[0,1]
	v_perm_b32 v47, v37, v41, s9
	v_bfe_u32 v37, v43, 16, 1
	v_bfe_u32 v41, v42, 16, 1
	v_pk_mul_f32 v[38:39], v[58:59], v[38:39] op_sel_hi:[0,1]
	v_add3_u32 v41, v42, v41, s8
	v_add3_u32 v37, v43, v37, s8
	v_perm_b32 v42, v37, v41, s9
	v_bfe_u32 v37, v39, 16, 1
	v_bfe_u32 v41, v38, 16, 1
	v_add3_u32 v38, v38, v41, s8
	v_add3_u32 v37, v39, v37, s8
	v_perm_b32 v43, v37, v38, s9
	v_cmp_gt_u32_e32 vcc, 7, v0
	ds_write2st64_b64 v1, v[46:47], v[42:43] offset0:2 offset1:3
	s_and_saveexec_b64 s[4:5], vcc
	s_cbranch_execz .LBB562_17
; %bb.16:
	s_mov_b32 s43, 0
	v_mov_b32_e32 v37, 0
	v_lshl_add_u64 v[38:39], s[42:43], 0, v[36:37]
	v_mov_b32_e32 v36, s7
	v_mad_u64_u32 v[38:39], s[10:11], s2, v36, v[38:39]
	v_mov_b32_e32 v36, s28
	s_load_dwordx4 s[12:15], s[0:1], 0x58
	s_mul_i32 s3, s3, s7
	v_mad_u64_u32 v[36:37], s[10:11], v38, s6, v[36:37]
	v_add_u32_e32 v39, s3, v39
	v_mov_b32_e32 v38, v37
	v_mad_u64_u32 v[38:39], s[10:11], v39, s6, v[38:39]
	v_mov_b32_e32 v37, v38
	v_lshlrev_b64 v[36:37], 2, v[36:37]
	s_waitcnt lgkmcnt(0)
	v_lshl_add_u64 v[38:39], s[14:15], 0, v[36:37]
	v_lshl_add_u64 v[36:37], s[12:13], 0, v[36:37]
	global_store_dword v[38:39], v55, off
	global_store_dword v[36:37], v56, off
.LBB562_17:
	s_or_b64 exec, exec, s[4:5]
	v_lshl_or_b32 v48, v54, 9, v40
	s_waitcnt lgkmcnt(0)
	s_barrier
	ds_read_b128 v[36:39], v48
	ds_read_b128 v[40:43], v48 offset:16
	s_waitcnt vmcnt(7) lgkmcnt(1)
	v_mfma_f32_16x16x16_bf16 v[44:47], v[6:7], v[36:37], 0
	v_cmp_gt_u32_e32 vcc, 64, v0
	s_mov_b32 s3, 0
	s_and_b64 s[4:5], vcc, s[30:31]
	v_mfma_f32_16x16x16_bf16 v[6:9], v[8:9], v[38:39], v[44:47]
	s_waitcnt vmcnt(6) lgkmcnt(0)
	v_mfma_f32_16x16x16_bf16 v[6:9], v[2:3], v[40:41], v[6:9]
	v_mfma_f32_16x16x16_bf16 v[2:5], v[4:5], v[42:43], v[6:9]
	s_nop 5
	ds_read_b128 v[6:9], v48 offset:2048
	ds_read_b128 v[36:39], v48 offset:2064
	s_waitcnt vmcnt(5) lgkmcnt(1)
	v_mfma_f32_16x16x16_bf16 v[2:5], v[30:31], v[6:7], v[2:5]
	v_mfma_f32_16x16x16_bf16 v[2:5], v[32:33], v[8:9], v[2:5]
	s_waitcnt vmcnt(4) lgkmcnt(0)
	v_mfma_f32_16x16x16_bf16 v[2:5], v[26:27], v[36:37], v[2:5]
	v_mfma_f32_16x16x16_bf16 v[2:5], v[28:29], v[38:39], v[2:5]
	ds_read_b128 v[6:9], v48 offset:4096
	ds_read_b128 v[26:29], v48 offset:4112
	s_waitcnt vmcnt(3) lgkmcnt(1)
	v_mfma_f32_16x16x16_bf16 v[2:5], v[22:23], v[6:7], v[2:5]
	v_mfma_f32_16x16x16_bf16 v[2:5], v[24:25], v[8:9], v[2:5]
	s_waitcnt vmcnt(2) lgkmcnt(0)
	v_mfma_f32_16x16x16_bf16 v[2:5], v[18:19], v[26:27], v[2:5]
	v_mfma_f32_16x16x16_bf16 v[2:5], v[20:21], v[28:29], v[2:5]
	ds_read_b128 v[6:9], v48 offset:6144
	ds_read_b128 v[18:21], v48 offset:6160
	s_waitcnt lgkmcnt(0)
	s_barrier
	s_waitcnt vmcnt(1)
	v_mfma_f32_16x16x16_bf16 v[2:5], v[14:15], v[6:7], v[2:5]
	v_mfma_f32_16x16x16_bf16 v[2:5], v[16:17], v[8:9], v[2:5]
	s_waitcnt vmcnt(0)
	v_mfma_f32_16x16x16_bf16 v[2:5], v[10:11], v[18:19], v[2:5]
	v_mfma_f32_16x16x16_bf16 v[2:5], v[12:13], v[20:21], v[2:5]
	s_nop 6
	v_bfe_u32 v6, v3, 16, 1
	v_bfe_u32 v7, v2, 16, 1
	;; [unrolled: 1-line block ×4, first 2 shown]
	v_add3_u32 v2, v2, v7, s8
	v_add3_u32 v3, v3, v6, s8
	;; [unrolled: 1-line block ×4, first 2 shown]
	v_perm_b32 v2, v3, v2, s9
	v_perm_b32 v3, v5, v4, s9
	ds_write_b64 v1, v[2:3]
	s_waitcnt lgkmcnt(0)
	s_barrier
	s_and_saveexec_b64 s[8:9], s[4:5]
	s_cbranch_execz .LBB562_20
; %bb.18:
	s_load_dwordx2 s[4:5], s[0:1], 0x68
	s_lshl_b32 s0, s6, 6
	s_mul_i32 s1, s7, s2
	s_mul_hi_u32 s7, s1, s0
	s_mul_i32 s6, s1, s0
	v_lshlrev_b32_e32 v1, 10, v0
	v_lshlrev_b32_e32 v0, 4, v0
	s_lshl_b64 s[6:7], s[6:7], 1
	v_and_b32_e32 v1, 0x1800, v1
	v_lshlrev_b32_e32 v2, 5, v54
	v_and_b32_e32 v0, 16, v0
	s_waitcnt lgkmcnt(0)
	s_add_u32 s1, s4, s6
	v_or3_b32 v2, v1, v2, v0
	s_addc_u32 s4, s5, s7
	s_lshl_b32 s2, s28, 6
	s_lshl_b64 s[2:3], s[2:3], 1
	ds_read_b128 v[4:7], v2
	s_add_u32 s2, s1, s2
	s_addc_u32 s3, s4, s3
	v_add_u32_e32 v3, s42, v54
	v_lshl_add_u64 v[0:1], v[34:35], 1, s[2:3]
	v_mad_u64_u32 v[8:9], s[2:3], v3, s0, 0
	v_lshl_add_u64 v[8:9], v[8:9], 1, v[0:1]
	v_cmp_ne_u32_e32 vcc, 3, v54
	s_waitcnt lgkmcnt(0)
	global_store_dwordx4 v[8:9], v[4:7], off
	s_and_b64 exec, exec, vcc
	s_cbranch_execz .LBB562_20
; %bb.19:
	ds_read_b128 v[2:5], v2 offset:128
	v_add3_u32 v6, s42, v54, 4
	v_mad_u64_u32 v[6:7], s[0:1], v6, s0, 0
	v_lshl_add_u64 v[0:1], v[6:7], 1, v[0:1]
	s_waitcnt lgkmcnt(0)
	global_store_dwordx4 v[0:1], v[2:5], off
.LBB562_20:
	s_endpgm
	.section	.rodata,"a",@progbits
	.p2align	6, 0x0
	.amdhsa_kernel _Z39paged_attention_ll4mi_QKV_mfma16_kernelI14__hip_bfloat16S0_LN4vllm18Fp8KVCacheDataTypeE0ES0_Li32ELi64ELi256ELb0ELi7EEvPKT_PKT0_S8_ifPKiSA_SA_iPKfiiiPfSD_PS3_PT2_iSC_SC_
		.amdhsa_group_segment_fixed_size 8192
		.amdhsa_private_segment_fixed_size 0
		.amdhsa_kernarg_size 400
		.amdhsa_user_sgpr_count 2
		.amdhsa_user_sgpr_dispatch_ptr 0
		.amdhsa_user_sgpr_queue_ptr 0
		.amdhsa_user_sgpr_kernarg_segment_ptr 1
		.amdhsa_user_sgpr_dispatch_id 0
		.amdhsa_user_sgpr_kernarg_preload_length 0
		.amdhsa_user_sgpr_kernarg_preload_offset 0
		.amdhsa_user_sgpr_private_segment_size 0
		.amdhsa_uses_dynamic_stack 0
		.amdhsa_enable_private_segment 0
		.amdhsa_system_sgpr_workgroup_id_x 1
		.amdhsa_system_sgpr_workgroup_id_y 1
		.amdhsa_system_sgpr_workgroup_id_z 1
		.amdhsa_system_sgpr_workgroup_info 0
		.amdhsa_system_vgpr_workitem_id 0
		.amdhsa_next_free_vgpr 67
		.amdhsa_next_free_sgpr 48
		.amdhsa_accum_offset 68
		.amdhsa_reserve_vcc 1
		.amdhsa_float_round_mode_32 0
		.amdhsa_float_round_mode_16_64 0
		.amdhsa_float_denorm_mode_32 3
		.amdhsa_float_denorm_mode_16_64 3
		.amdhsa_dx10_clamp 1
		.amdhsa_ieee_mode 1
		.amdhsa_fp16_overflow 0
		.amdhsa_tg_split 0
		.amdhsa_exception_fp_ieee_invalid_op 0
		.amdhsa_exception_fp_denorm_src 0
		.amdhsa_exception_fp_ieee_div_zero 0
		.amdhsa_exception_fp_ieee_overflow 0
		.amdhsa_exception_fp_ieee_underflow 0
		.amdhsa_exception_fp_ieee_inexact 0
		.amdhsa_exception_int_div_zero 0
	.end_amdhsa_kernel
	.section	.text._Z39paged_attention_ll4mi_QKV_mfma16_kernelI14__hip_bfloat16S0_LN4vllm18Fp8KVCacheDataTypeE0ES0_Li32ELi64ELi256ELb0ELi7EEvPKT_PKT0_S8_ifPKiSA_SA_iPKfiiiPfSD_PS3_PT2_iSC_SC_,"axG",@progbits,_Z39paged_attention_ll4mi_QKV_mfma16_kernelI14__hip_bfloat16S0_LN4vllm18Fp8KVCacheDataTypeE0ES0_Li32ELi64ELi256ELb0ELi7EEvPKT_PKT0_S8_ifPKiSA_SA_iPKfiiiPfSD_PS3_PT2_iSC_SC_,comdat
.Lfunc_end562:
	.size	_Z39paged_attention_ll4mi_QKV_mfma16_kernelI14__hip_bfloat16S0_LN4vllm18Fp8KVCacheDataTypeE0ES0_Li32ELi64ELi256ELb0ELi7EEvPKT_PKT0_S8_ifPKiSA_SA_iPKfiiiPfSD_PS3_PT2_iSC_SC_, .Lfunc_end562-_Z39paged_attention_ll4mi_QKV_mfma16_kernelI14__hip_bfloat16S0_LN4vllm18Fp8KVCacheDataTypeE0ES0_Li32ELi64ELi256ELb0ELi7EEvPKT_PKT0_S8_ifPKiSA_SA_iPKfiiiPfSD_PS3_PT2_iSC_SC_
                                        ; -- End function
	.section	.AMDGPU.csdata,"",@progbits
; Kernel info:
; codeLenInByte = 4168
; NumSgprs: 54
; NumVgprs: 67
; NumAgprs: 0
; TotalNumVgprs: 67
; ScratchSize: 0
; MemoryBound: 0
; FloatMode: 240
; IeeeMode: 1
; LDSByteSize: 8192 bytes/workgroup (compile time only)
; SGPRBlocks: 6
; VGPRBlocks: 8
; NumSGPRsForWavesPerEU: 54
; NumVGPRsForWavesPerEU: 67
; AccumOffset: 68
; Occupancy: 7
; WaveLimiterHint : 1
; COMPUTE_PGM_RSRC2:SCRATCH_EN: 0
; COMPUTE_PGM_RSRC2:USER_SGPR: 2
; COMPUTE_PGM_RSRC2:TRAP_HANDLER: 0
; COMPUTE_PGM_RSRC2:TGID_X_EN: 1
; COMPUTE_PGM_RSRC2:TGID_Y_EN: 1
; COMPUTE_PGM_RSRC2:TGID_Z_EN: 1
; COMPUTE_PGM_RSRC2:TIDIG_COMP_CNT: 0
; COMPUTE_PGM_RSRC3_GFX90A:ACCUM_OFFSET: 16
; COMPUTE_PGM_RSRC3_GFX90A:TG_SPLIT: 0
	.section	.text._Z39paged_attention_ll4mi_QKV_mfma16_kernelI14__hip_bfloat16S0_LN4vllm18Fp8KVCacheDataTypeE0ES0_Li32ELi64ELi256ELb0ELi8EEvPKT_PKT0_S8_ifPKiSA_SA_iPKfiiiPfSD_PS3_PT2_iSC_SC_,"axG",@progbits,_Z39paged_attention_ll4mi_QKV_mfma16_kernelI14__hip_bfloat16S0_LN4vllm18Fp8KVCacheDataTypeE0ES0_Li32ELi64ELi256ELb0ELi8EEvPKT_PKT0_S8_ifPKiSA_SA_iPKfiiiPfSD_PS3_PT2_iSC_SC_,comdat
	.protected	_Z39paged_attention_ll4mi_QKV_mfma16_kernelI14__hip_bfloat16S0_LN4vllm18Fp8KVCacheDataTypeE0ES0_Li32ELi64ELi256ELb0ELi8EEvPKT_PKT0_S8_ifPKiSA_SA_iPKfiiiPfSD_PS3_PT2_iSC_SC_ ; -- Begin function _Z39paged_attention_ll4mi_QKV_mfma16_kernelI14__hip_bfloat16S0_LN4vllm18Fp8KVCacheDataTypeE0ES0_Li32ELi64ELi256ELb0ELi8EEvPKT_PKT0_S8_ifPKiSA_SA_iPKfiiiPfSD_PS3_PT2_iSC_SC_
	.globl	_Z39paged_attention_ll4mi_QKV_mfma16_kernelI14__hip_bfloat16S0_LN4vllm18Fp8KVCacheDataTypeE0ES0_Li32ELi64ELi256ELb0ELi8EEvPKT_PKT0_S8_ifPKiSA_SA_iPKfiiiPfSD_PS3_PT2_iSC_SC_
	.p2align	8
	.type	_Z39paged_attention_ll4mi_QKV_mfma16_kernelI14__hip_bfloat16S0_LN4vllm18Fp8KVCacheDataTypeE0ES0_Li32ELi64ELi256ELb0ELi8EEvPKT_PKT0_S8_ifPKiSA_SA_iPKfiiiPfSD_PS3_PT2_iSC_SC_,@function
_Z39paged_attention_ll4mi_QKV_mfma16_kernelI14__hip_bfloat16S0_LN4vllm18Fp8KVCacheDataTypeE0ES0_Li32ELi64ELi256ELb0ELi8EEvPKT_PKT0_S8_ifPKiSA_SA_iPKfiiiPfSD_PS3_PT2_iSC_SC_: ; @_Z39paged_attention_ll4mi_QKV_mfma16_kernelI14__hip_bfloat16S0_LN4vllm18Fp8KVCacheDataTypeE0ES0_Li32ELi64ELi256ELb0ELi8EEvPKT_PKT0_S8_ifPKiSA_SA_iPKfiiiPfSD_PS3_PT2_iSC_SC_
; %bb.0:
	s_load_dwordx2 s[6:7], s[0:1], 0x30
	s_mov_b32 s28, s3
	s_mov_b64 s[10:11], 0
	s_waitcnt lgkmcnt(0)
	s_cmp_lg_u64 s[6:7], 0
	s_cselect_b64 s[8:9], -1, 0
	s_and_b64 vcc, exec, s[8:9]
	s_cbranch_vccz .LBB563_7
; %bb.1:
	s_add_i32 s12, s2, 1
	s_mov_b32 s13, 0
	s_lshl_b64 s[14:15], s[12:13], 2
	s_add_u32 s14, s6, s14
	s_mov_b32 s3, s13
	s_addc_u32 s15, s7, s15
	s_lshl_b64 s[12:13], s[2:3], 2
	s_add_u32 s12, s6, s12
	s_addc_u32 s13, s7, s13
	s_load_dword s5, s[14:15], 0x0
	s_load_dword s16, s[12:13], 0x0
	s_waitcnt lgkmcnt(0)
	s_sub_i32 s5, s5, s16
	s_cmp_eq_u32 s5, 1
	s_cselect_b64 s[12:13], -1, 0
	s_andn2_b64 vcc, exec, s[10:11]
	s_cbranch_vccnz .LBB563_3
.LBB563_2:
	s_mov_b32 s3, 0
	s_mov_b64 s[12:13], -1
.LBB563_3:
	s_andn2_b64 vcc, exec, s[12:13]
	s_cbranch_vccnz .LBB563_19
; %bb.4:
	s_load_dwordx2 s[12:13], s[0:1], 0x28
	s_lshl_b64 s[10:11], s[2:3], 2
	s_waitcnt lgkmcnt(0)
	s_add_u32 s12, s12, s10
	s_addc_u32 s13, s13, s11
	s_load_dword s40, s[12:13], 0x0
	s_lshl_b32 s14, s28, 8
	s_waitcnt lgkmcnt(0)
	s_cmp_ge_i32 s14, s40
	s_cbranch_scc1 .LBB563_19
; %bb.5:
	s_load_dwordx2 s[12:13], s[0:1], 0x20
	s_load_dword s5, s[0:1], 0x38
	s_add_i32 s15, s40, 31
	s_ashr_i32 s16, s15, 31
	v_and_b32_e32 v1, 0xcf, v0
	s_lshr_b32 s16, s16, 27
	v_add_u32_e32 v1, s14, v1
	s_add_i32 s15, s15, s16
	v_ashrrev_i32_e32 v2, 31, v1
	s_ashr_i32 s15, s15, 5
	v_lshrrev_b32_e32 v10, 27, v2
	s_add_i32 s15, s15, -1
	s_waitcnt lgkmcnt(0)
	s_mul_i32 s16, s2, s5
	s_mov_b32 s17, 0
	v_add_u32_e32 v2, v1, v10
	s_lshl_b64 s[16:17], s[16:17], 2
	v_ashrrev_i32_e32 v2, 5, v2
	v_mov_b32_e32 v11, s15
	v_cmp_gt_i32_e32 vcc, s40, v1
	s_add_u32 s12, s12, s16
	s_addc_u32 s13, s13, s17
	v_cndmask_b32_e32 v2, v11, v2, vcc
	v_ashrrev_i32_e32 v3, 31, v2
	v_lshl_add_u64 v[4:5], v[2:3], 2, s[12:13]
	v_or_b32_e32 v2, 16, v1
	v_add_u32_e32 v3, v2, v10
	v_ashrrev_i32_e32 v3, 5, v3
	v_cmp_gt_i32_e32 vcc, s40, v2
	s_nop 1
	v_cndmask_b32_e32 v2, v11, v3, vcc
	v_ashrrev_i32_e32 v3, 31, v2
	v_lshl_add_u64 v[6:7], v[2:3], 2, s[12:13]
	v_or_b32_e32 v2, 32, v1
	v_add_u32_e32 v3, v2, v10
	v_ashrrev_i32_e32 v3, 5, v3
	v_cmp_gt_i32_e32 vcc, s40, v2
	v_or_b32_e32 v1, 48, v1
	s_nop 0
	v_cndmask_b32_e32 v2, v11, v3, vcc
	v_ashrrev_i32_e32 v3, 31, v2
	v_lshl_add_u64 v[8:9], v[2:3], 2, s[12:13]
	v_add_u32_e32 v2, v1, v10
	v_ashrrev_i32_e32 v2, 5, v2
	v_cmp_gt_i32_e32 vcc, s40, v1
	s_nop 1
	v_cndmask_b32_e32 v2, v11, v2, vcc
	v_ashrrev_i32_e32 v3, 31, v2
	v_lshl_add_u64 v[12:13], v[2:3], 2, s[12:13]
	global_load_dword v3, v[4:5], off
	global_load_dword v2, v[6:7], off
	;; [unrolled: 1-line block ×4, first 2 shown]
	s_andn2_b64 vcc, exec, s[8:9]
	s_cbranch_vccnz .LBB563_8
; %bb.6:
	s_add_u32 s6, s6, s10
	s_addc_u32 s7, s7, s11
	s_load_dword s5, s[6:7], 0x0
	s_branch .LBB563_9
.LBB563_7:
	s_mov_b64 s[12:13], 0
	s_branch .LBB563_2
.LBB563_8:
	s_mov_b32 s5, s2
.LBB563_9:
	s_load_dwordx4 s[8:11], s[0:1], 0x8
	s_load_dwordx4 s[44:47], s[0:1], 0x48
	v_and_b32_e32 v52, 15, v0
	s_movk_i32 s6, 0x7f
	v_cmp_lt_u32_e32 vcc, s6, v0
	v_cmp_lt_u32_e64 s[6:7], 7, v52
	v_lshlrev_b32_e32 v34, 3, v52
	v_cmp_gt_u32_e64 s[30:31], 8, v52
	s_or_b64 s[6:7], vcc, s[6:7]
	s_and_saveexec_b64 s[16:17], s[6:7]
	s_xor_b64 s[6:7], exec, s[16:17]
; %bb.10:
	v_mov_b32_e32 v35, 0
; %bb.11:
	s_or_saveexec_b64 s[6:7], s[6:7]
	v_lshrrev_b32_e32 v53, 6, v0
	v_and_b32_e32 v54, 63, v0
	s_lshl_b32 s29, s4, 3
	v_bfe_u32 v1, v0, 4, 2
	s_xor_b64 exec, exec, s[6:7]
	s_cbranch_execz .LBB563_13
; %bb.12:
	s_load_dwordx2 s[16:17], s[0:1], 0x0
	s_waitcnt lgkmcnt(0)
	s_ashr_i32 s18, s44, 31
	s_mul_hi_u32 s19, s5, s44
	s_mul_i32 s18, s5, s18
	s_add_i32 s19, s19, s18
	s_mul_i32 s18, s5, s44
	v_lshl_or_b32 v8, v53, 2, v1
	s_lshl_b64 s[18:19], s[18:19], 1
	s_add_u32 s16, s16, s18
	v_add_lshl_u32 v4, v8, s29, 6
	s_addc_u32 s17, s17, s19
	v_ashrrev_i32_e32 v5, 31, v4
	v_mov_b32_e32 v35, 0
	v_lshl_add_u64 v[4:5], v[4:5], 1, s[16:17]
	v_lshlrev_b32_e32 v6, 1, v34
	v_mov_b32_e32 v7, v35
	v_lshl_add_u64 v[4:5], v[4:5], 0, v[6:7]
	global_load_dwordx4 v[4:7], v[4:5], off
	v_and_b32_e32 v9, 3, v0
	v_lshlrev_b32_e32 v11, 9, v52
	v_lshlrev_b32_e32 v8, 5, v8
	;; [unrolled: 1-line block ×3, first 2 shown]
	v_and_b32_e32 v11, 0x1800, v11
	v_or3_b32 v8, v11, v9, v8
	s_waitcnt vmcnt(0)
	ds_write_b128 v8, v[4:7]
.LBB563_13:
	s_or_b64 exec, exec, s[6:7]
	s_waitcnt lgkmcnt(0)
	s_mul_i32 s4, s4, s46
	s_mov_b32 s5, 0
	s_lshl_b64 s[4:5], s[4:5], 1
	s_add_u32 s8, s8, s4
	s_addc_u32 s9, s9, s5
	s_waitcnt vmcnt(3)
	v_mad_i64_i32 v[4:5], s[16:17], v3, s45, 0
	v_lshl_add_u64 v[4:5], v[4:5], 1, s[8:9]
	v_lshlrev_b64 v[12:13], 1, v[34:35]
	v_lshlrev_b32_e32 v36, 9, v1
	v_lshl_add_u64 v[4:5], v[4:5], 0, v[12:13]
	v_mov_b32_e32 v37, 0
	v_lshl_add_u64 v[20:21], v[4:5], 0, v[36:37]
	s_waitcnt vmcnt(2)
	v_mad_i64_i32 v[2:3], s[16:17], v2, s45, 0
	v_mov_b32_e32 v4, 0x100
	v_lshl_add_u64 v[2:3], v[2:3], 1, s[8:9]
	v_lshl_or_b32 v38, v52, 4, v4
	v_mov_b32_e32 v39, v37
	s_load_dword s33, s[0:1], 0x98
	s_load_dword s6, s[0:1], 0x1c
	s_waitcnt lgkmcnt(0)
	s_barrier
	v_lshl_add_u64 v[2:3], v[2:3], 0, v[38:39]
	global_load_dwordx4 v[6:9], v[20:21], off
	v_lshl_add_u64 v[22:23], v[2:3], 0, v[36:37]
	global_load_dwordx4 v[2:5], v[22:23], off
	global_load_dwordx4 v[26:29], v[22:23], off offset:2048
	s_waitcnt vmcnt(4)
	v_mad_i64_i32 v[10:11], s[16:17], v10, s45, 0
	v_lshl_add_u64 v[10:11], v[10:11], 1, s[8:9]
	v_lshl_add_u64 v[10:11], v[10:11], 0, v[12:13]
	v_lshl_add_u64 v[24:25], v[10:11], 0, v[36:37]
	global_load_dwordx4 v[10:13], v[20:21], off offset:2048
	global_load_dwordx4 v[14:17], v[24:25], off
	global_load_dwordx4 v[30:33], v[24:25], off offset:2048
	s_waitcnt vmcnt(6)
	v_mad_i64_i32 v[40:41], s[16:17], v18, s45, 0
	v_lshl_add_u64 v[40:41], v[40:41], 1, s[8:9]
	v_and_b32_e32 v19, 7, v0
	v_lshl_add_u64 v[38:39], v[40:41], 0, v[38:39]
	v_lshl_or_b32 v18, v19, 5, v36
	v_lshl_add_u64 v[38:39], v[38:39], 0, v[36:37]
	ds_read_b128 v[22:25], v18
	ds_read_b128 v[18:21], v18 offset:2048
	global_load_dwordx4 v[44:47], v[38:39], off
	global_load_dwordx4 v[60:63], v[38:39], off offset:2048
	s_ashr_i32 s7, s14, 31
	v_and_or_b32 v55, v0, 48, s14
	s_lshr_b32 s7, s7, 27
	v_add_u32_e32 v40, s7, v55
	v_mov_b32_e32 v64, s15
	v_or_b32_e32 v48, 64, v55
	v_ashrrev_i32_e32 v36, 5, v40
	v_cmp_gt_i32_e32 vcc, s40, v55
	v_add_u32_e32 v41, s7, v48
	v_ashrrev_i32_e32 v49, 5, v41
	v_cndmask_b32_e32 v40, v64, v36, vcc
	v_ashrrev_i32_e32 v41, 31, v40
	v_lshl_add_u64 v[40:41], v[40:41], 2, s[12:13]
	v_cmp_gt_i32_e32 vcc, s40, v48
	global_load_dword v65, v[40:41], off
	v_or_b32_e32 v39, 0x80, v55
	v_and_b32_e32 v36, 16, v0
	s_add_u32 s4, s10, s4
	v_lshlrev_b32_e32 v38, 6, v52
	s_addc_u32 s5, s11, s5
	v_lshlrev_b32_e32 v36, 1, v36
	s_mov_b32 s42, 0xff7fffff
	s_waitcnt vmcnt(8) lgkmcnt(1)
	v_mfma_f32_16x16x16_bf16 v[40:43], v[6:7], v[22:23], 0
	v_cndmask_b32_e32 v6, v64, v49, vcc
	v_ashrrev_i32_e32 v7, 31, v6
	v_cmp_gt_i32_e32 vcc, s40, v39
	s_waitcnt vmcnt(7)
	v_mfma_f32_16x16x16_bf16 v[48:51], v[2:3], v[22:23], 0
	v_lshl_add_u64 v[2:3], v[6:7], 2, s[12:13]
	global_load_dword v66, v[2:3], off
	v_mfma_f32_16x16x16_bf16 v[6:9], v[8:9], v[24:25], v[40:43]
	v_mfma_f32_16x16x16_bf16 v[2:5], v[4:5], v[24:25], v[48:51]
	s_nop 1
	v_or_b32_e32 v40, 0xc0, v55
	v_add_u32_e32 v41, s7, v39
	v_add_u32_e32 v42, s7, v40
	s_waitcnt vmcnt(6) lgkmcnt(0)
	v_mfma_f32_16x16x16_bf16 v[6:9], v[10:11], v[18:19], v[6:9]
	v_ashrrev_i32_e32 v41, 5, v41
	v_ashrrev_i32_e32 v43, 5, v42
	v_cndmask_b32_e32 v42, v64, v41, vcc
	s_waitcnt vmcnt(5)
	v_mfma_f32_16x16x16_bf16 v[56:59], v[14:15], v[22:23], 0
	v_cmp_gt_i32_e32 vcc, s40, v40
	v_lshl_add_u64 v[10:11], s[4:5], 0, v[36:37]
	v_lshl_or_b32 v36, v53, 10, v38
	v_mfma_f32_16x16x16_bf16 v[2:5], v[26:27], v[18:19], v[2:5]
	v_cndmask_b32_e32 v26, v64, v43, vcc
	v_ashrrev_i32_e32 v43, 31, v42
	v_ashrrev_i32_e32 v27, 31, v26
	v_mfma_f32_16x16x16_bf16 v[38:41], v[12:13], v[20:21], v[6:9]
	v_lshl_add_u64 v[10:11], v[10:11], 0, v[36:37]
	s_waitcnt vmcnt(0)
	v_mad_i64_i32 v[12:13], s[4:5], v66, s45, 0
	v_lshl_add_u64 v[6:7], v[42:43], 2, s[12:13]
	v_mfma_f32_16x16x16_bf16 v[14:17], v[16:17], v[24:25], v[56:59]
	v_lshl_add_u64 v[8:9], v[26:27], 2, s[12:13]
	global_load_dword v55, v[6:7], off
	s_nop 0
	global_load_dword v58, v[8:9], off
	v_lshl_add_u64 v[56:57], v[12:13], 1, v[10:11]
	v_mfma_f32_16x16x16_bf16 v[14:17], v[30:31], v[18:19], v[14:17]
	v_pk_mul_f32 v[12:13], s[6:7], v[38:39] op_sel_hi:[0,1]
	v_pk_mul_f32 v[48:49], s[6:7], v[40:41] op_sel_hi:[0,1]
	v_mfma_f32_16x16x16_bf16 v[14:17], v[32:33], v[20:21], v[14:17]
	v_mfma_f32_16x16x16_bf16 v[30:33], v[44:45], v[22:23], 0
	;; [unrolled: 1-line block ×3, first 2 shown]
	s_nop 4
	v_pk_mul_f32 v[46:47], s[6:7], v[16:17] op_sel_hi:[0,1]
	v_pk_mul_f32 v[44:45], s[6:7], v[14:15] op_sel_hi:[0,1]
	v_mfma_f32_16x16x16_bf16 v[22:25], v[60:61], v[18:19], v[22:25]
	v_mfma_f32_16x16x16_bf16 v[14:17], v[62:63], v[20:21], v[22:25]
	;; [unrolled: 1-line block ×3, first 2 shown]
	s_nop 5
	v_pk_mul_f32 v[42:43], s[6:7], v[14:15] op_sel_hi:[0,1]
	v_and_b32_e32 v14, 0xc0, v0
	v_add_u32_e32 v14, s14, v14
	v_lshl_or_b32 v14, v1, 2, v14
	v_mad_i64_i32 v[2:3], s[4:5], v65, s45, 0
	v_pk_mul_f32 v[36:37], s[6:7], v[16:17] op_sel_hi:[0,1]
	v_or_b32_e32 v17, 1, v14
	v_mov_b32_e32 v15, 0xff7fffff
	v_cmp_gt_i32_e64 s[4:5], s40, v14
	v_cmp_gt_i32_e64 s[34:35], s40, v17
	v_or_b32_e32 v18, 3, v14
	v_cndmask_b32_e64 v16, v15, v12, s[4:5]
	v_cndmask_b32_e64 v17, v15, v13, s[34:35]
	v_max3_f32 v16, v16, s42, v17
	v_or_b32_e32 v17, 2, v14
	v_cmp_gt_i32_e64 s[36:37], s40, v17
	v_cmp_gt_i32_e64 s[38:39], s40, v18
	v_pk_mul_f32 v[40:41], s[6:7], v[26:27] op_sel_hi:[0,1]
	v_cndmask_b32_e64 v17, v15, v48, s[36:37]
	v_cndmask_b32_e64 v18, v15, v49, s[38:39]
	v_max3_f32 v16, v16, v17, v18
	v_or_b32_e32 v17, 16, v14
	v_or_b32_e32 v18, 17, v14
	v_cmp_gt_i32_e64 s[24:25], s40, v17
	v_cmp_gt_i32_e64 s[26:27], s40, v18
	v_pk_mul_f32 v[50:51], s[6:7], v[28:29] op_sel_hi:[0,1]
	v_cndmask_b32_e64 v17, v15, v40, s[24:25]
	v_cndmask_b32_e64 v18, v15, v41, s[26:27]
	v_max3_f32 v16, v16, v17, v18
	v_or_b32_e32 v17, 18, v14
	v_or_b32_e32 v18, 19, v14
	v_cmp_gt_i32_e64 s[20:21], s40, v17
	v_cmp_gt_i32_e64 s[22:23], s40, v18
	v_lshl_add_u64 v[2:3], v[2:3], 1, v[10:11]
	v_cndmask_b32_e64 v17, v15, v50, s[20:21]
	v_cndmask_b32_e64 v18, v15, v51, s[22:23]
	v_max3_f32 v16, v16, v17, v18
	v_or_b32_e32 v17, 32, v14
	v_or_b32_e32 v18, 33, v14
	v_cmp_gt_i32_e64 s[16:17], s40, v17
	v_cmp_gt_i32_e64 s[18:19], s40, v18
	global_load_dwordx4 v[6:9], v[2:3], off
	s_nop 0
	global_load_dwordx4 v[2:5], v[2:3], off offset:16
	v_cndmask_b32_e64 v17, v15, v44, s[16:17]
	v_cndmask_b32_e64 v18, v15, v45, s[18:19]
	v_max3_f32 v16, v16, v17, v18
	v_or_b32_e32 v17, 34, v14
	v_or_b32_e32 v18, 35, v14
	v_cmp_gt_i32_e64 s[12:13], s40, v17
	v_cmp_gt_i32_e64 s[14:15], s40, v18
	global_load_dwordx4 v[30:33], v[56:57], off
	global_load_dwordx4 v[26:29], v[56:57], off offset:16
	v_cndmask_b32_e64 v17, v15, v46, s[12:13]
	v_cndmask_b32_e64 v18, v15, v47, s[14:15]
	v_max3_f32 v16, v16, v17, v18
	v_or_b32_e32 v17, 48, v14
	v_or_b32_e32 v18, 49, v14
	v_cmp_gt_i32_e64 s[8:9], s40, v17
	v_cmp_gt_i32_e64 s[10:11], s40, v18
	s_nop 0
	v_cndmask_b32_e64 v17, v15, v42, s[8:9]
	v_cndmask_b32_e64 v18, v15, v43, s[10:11]
	v_max3_f32 v16, v16, v17, v18
	v_or_b32_e32 v17, 50, v14
	v_or_b32_e32 v14, 51, v14
	v_cmp_gt_i32_e32 vcc, s40, v17
	v_cmp_gt_i32_e64 s[6:7], s40, v14
	s_nop 0
	v_cndmask_b32_e32 v17, v15, v36, vcc
	v_cndmask_b32_e64 v14, v15, v37, s[6:7]
	v_max3_f32 v16, v16, v17, v14
	v_mbcnt_lo_u32_b32 v14, -1, 0
	v_mbcnt_hi_u32_b32 v17, -1, v14
	v_and_b32_e32 v14, 64, v17
	v_add_u32_e32 v18, 64, v14
	v_xor_b32_e32 v14, 32, v17
	v_cmp_lt_i32_e64 s[40:41], v14, v18
	s_nop 1
	v_cndmask_b32_e64 v14, v17, v14, s[40:41]
	v_lshlrev_b32_e32 v59, 2, v14
	ds_bpermute_b32 v19, v59, v16
	s_waitcnt vmcnt(5)
	v_mad_i64_i32 v[14:15], s[40:41], v55, s45, 0
	v_lshl_add_u64 v[14:15], v[14:15], 1, v[10:11]
	s_waitcnt lgkmcnt(0)
	v_max_f32_e32 v19, v19, v19
	v_max_f32_e32 v16, v16, v19
	v_xor_b32_e32 v19, 16, v17
	v_cmp_lt_i32_e64 s[40:41], v19, v18
	s_nop 1
	v_cndmask_b32_e64 v17, v17, v19, s[40:41]
	v_lshlrev_b32_e32 v56, 2, v17
	ds_bpermute_b32 v17, v56, v16
	global_load_dwordx4 v[22:25], v[14:15], off
	global_load_dwordx4 v[18:21], v[14:15], off offset:16
	s_waitcnt vmcnt(6)
	v_mad_i64_i32 v[14:15], s[40:41], v58, s45, 0
	v_lshl_add_u64 v[10:11], v[14:15], 1, v[10:11]
	s_waitcnt lgkmcnt(0)
	v_max_f32_e32 v14, v17, v17
	v_max_f32_e32 v55, v16, v14
	v_sub_f32_e32 v12, v12, v55
	v_mul_f32_e32 v12, 0x3fb8aa3b, v12
	v_exp_f32_e32 v38, v12
	v_sub_f32_e32 v12, v13, v55
	v_mul_f32_e32 v12, 0x3fb8aa3b, v12
	v_exp_f32_e32 v39, v12
	global_load_dwordx4 v[14:17], v[10:11], off
	s_nop 0
	global_load_dwordx4 v[10:13], v[10:11], off offset:16
	v_sub_f32_e32 v48, v48, v55
	v_mul_f32_e32 v48, 0x3fb8aa3b, v48
	v_sub_f32_e32 v49, v49, v55
	v_exp_f32_e32 v48, v48
	v_mul_f32_e32 v49, 0x3fb8aa3b, v49
	v_sub_f32_e32 v40, v40, v55
	v_exp_f32_e32 v49, v49
	v_mul_f32_e32 v40, 0x3fb8aa3b, v40
	v_sub_f32_e32 v41, v41, v55
	v_cndmask_b32_e64 v38, 0, v38, s[4:5]
	v_exp_f32_e32 v40, v40
	v_mul_f32_e32 v41, 0x3fb8aa3b, v41
	v_sub_f32_e32 v50, v50, v55
	v_add_f32_e32 v57, 0, v38
	v_cndmask_b32_e64 v39, 0, v39, s[34:35]
	v_exp_f32_e32 v41, v41
	v_mul_f32_e32 v50, 0x3fb8aa3b, v50
	v_sub_f32_e32 v51, v51, v55
	v_add_f32_e32 v57, v57, v39
	;; [unrolled: 5-line block ×10, first 2 shown]
	v_cndmask_b32_e64 v46, 0, v46, s[12:13]
	v_exp_f32_e32 v36, v36
	v_mul_f32_e32 v37, 0x3fb8aa3b, v37
	v_add_f32_e32 v57, v57, v46
	v_cndmask_b32_e64 v47, 0, v47, s[14:15]
	v_exp_f32_e32 v37, v37
	v_add_f32_e32 v57, v57, v47
	v_cndmask_b32_e64 v42, 0, v42, s[8:9]
	v_add_f32_e32 v57, v57, v42
	v_cndmask_b32_e64 v43, 0, v43, s[10:11]
	v_add_f32_e32 v57, v57, v43
	v_cndmask_b32_e32 v36, 0, v36, vcc
	v_add_f32_e32 v57, v57, v36
	v_cndmask_b32_e64 v37, 0, v37, s[6:7]
	v_add_f32_e32 v57, v57, v37
	ds_bpermute_b32 v58, v59, v57
	v_cmp_gt_u32_e32 vcc, 16, v54
	s_waitcnt lgkmcnt(0)
	s_barrier
	v_add_f32_e32 v57, v57, v58
	ds_bpermute_b32 v58, v56, v57
	v_lshlrev_b32_e32 v56, 2, v52
	s_and_saveexec_b64 s[4:5], vcc
	s_cbranch_execz .LBB563_15
; %bb.14:
	s_waitcnt lgkmcnt(0)
	v_add_f32_e32 v54, v57, v58
	v_lshl_or_b32 v57, v53, 6, v56
	ds_write2st64_b32 v57, v55, v54 offset1:1
.LBB563_15:
	s_or_b64 exec, exec, s[4:5]
	s_load_dword s6, s[0:1], 0x94
	s_waitcnt lgkmcnt(0)
	s_barrier
	ds_read2_b32 v[58:59], v56 offset1:16
	ds_read2_b32 v[60:61], v56 offset0:32 offset1:48
	ds_read2_b32 v[62:63], v56 offset0:64 offset1:80
	;; [unrolled: 1-line block ×3, first 2 shown]
	s_movk_i32 s8, 0x7fff
	s_waitcnt lgkmcnt(3)
	v_max3_f32 v54, v58, s42, v59
	s_waitcnt lgkmcnt(2)
	v_max3_f32 v54, v54, v60, v61
	v_sub_f32_e32 v55, v58, v54
	v_mul_f32_e32 v55, 0x3fb8aa3b, v55
	v_exp_f32_e32 v58, v55
	v_sub_f32_e32 v55, v59, v54
	v_mul_f32_e32 v55, 0x3fb8aa3b, v55
	v_exp_f32_e32 v59, v55
	;; [unrolled: 3-line block ×4, first 2 shown]
	s_waitcnt lgkmcnt(1)
	v_fma_f32 v55, v58, v62, 0
	v_fmac_f32_e32 v55, v59, v63
	s_waitcnt lgkmcnt(0)
	v_fmac_f32_e32 v55, v60, v56
	v_fmac_f32_e32 v55, v61, v57
	v_add_f32_e32 v56, 0x358637bd, v55
	v_div_scale_f32 v57, s[4:5], v56, v56, 1.0
	v_rcp_f32_e32 v62, v57
	s_mov_b32 s9, 0x7060302
	s_barrier
	v_fma_f32 v63, -v57, v62, 1.0
	v_fmac_f32_e32 v62, v63, v62
	v_div_scale_f32 v63, vcc, 1.0, v56, 1.0
	v_mul_f32_e32 v64, v63, v62
	v_fma_f32 v65, -v57, v64, v63
	v_fmac_f32_e32 v64, v65, v62
	v_fma_f32 v57, -v57, v64, v63
	v_div_fmas_f32 v57, v57, v62, v64
	v_cmp_eq_u32_e32 vcc, 1, v53
	v_div_fixup_f32 v56, v57, v56, 1.0
	s_nop 0
	v_cndmask_b32_e32 v57, v58, v59, vcc
	v_cmp_eq_u32_e32 vcc, 2, v53
	s_lshl_b32 s7, s33, 3
	s_nop 0
	v_cndmask_b32_e32 v57, v57, v60, vcc
	v_cmp_eq_u32_e32 vcc, 3, v53
	s_nop 1
	v_cndmask_b32_e32 v57, v57, v61, vcc
	v_mul_f32_e32 v56, v57, v56
	v_pk_mul_f32 v[38:39], v[56:57], v[38:39] op_sel_hi:[0,1]
	v_pk_mul_f32 v[48:49], v[56:57], v[48:49] op_sel_hi:[0,1]
	v_bfe_u32 v57, v39, 16, 1
	v_bfe_u32 v58, v38, 16, 1
	v_add3_u32 v38, v38, v58, s8
	v_add3_u32 v39, v39, v57, s8
	v_perm_b32 v58, v39, v38, s9
	v_bfe_u32 v38, v49, 16, 1
	v_bfe_u32 v39, v48, 16, 1
	v_add3_u32 v39, v48, v39, s8
	v_add3_u32 v38, v49, v38, s8
	v_perm_b32 v59, v38, v39, s9
	v_lshlrev_b32_e32 v38, 3, v1
	v_lshlrev_b32_e32 v39, 5, v52
	;; [unrolled: 1-line block ×3, first 2 shown]
	v_pk_mul_f32 v[40:41], v[56:57], v[40:41] op_sel_hi:[0,1]
	v_or3_b32 v38, v48, v39, v38
	v_pk_mul_f32 v[48:49], v[56:57], v[50:51] op_sel_hi:[0,1]
	v_bfe_u32 v50, v41, 16, 1
	v_bfe_u32 v51, v40, 16, 1
	v_add3_u32 v40, v40, v51, s8
	v_add3_u32 v41, v41, v50, s8
	v_perm_b32 v40, v41, v40, s9
	v_bfe_u32 v41, v49, 16, 1
	v_bfe_u32 v50, v48, 16, 1
	v_add3_u32 v48, v48, v50, s8
	v_add3_u32 v41, v49, v41, s8
	v_perm_b32 v41, v41, v48, s9
	v_pk_mul_f32 v[44:45], v[56:57], v[44:45] op_sel_hi:[0,1]
	ds_write2st64_b64 v38, v[58:59], v[40:41] offset1:1
	v_pk_mul_f32 v[40:41], v[56:57], v[46:47] op_sel_hi:[0,1]
	v_bfe_u32 v46, v45, 16, 1
	v_bfe_u32 v47, v44, 16, 1
	v_add3_u32 v44, v44, v47, s8
	v_add3_u32 v45, v45, v46, s8
	v_perm_b32 v44, v45, v44, s9
	v_bfe_u32 v45, v41, 16, 1
	v_bfe_u32 v46, v40, 16, 1
	v_add3_u32 v40, v40, v46, s8
	v_add3_u32 v41, v41, v45, s8
	v_perm_b32 v45, v41, v40, s9
	v_pk_mul_f32 v[40:41], v[56:57], v[42:43] op_sel_hi:[0,1]
	v_bfe_u32 v42, v41, 16, 1
	v_bfe_u32 v43, v40, 16, 1
	v_pk_mul_f32 v[36:37], v[56:57], v[36:37] op_sel_hi:[0,1]
	v_add3_u32 v40, v40, v43, s8
	v_add3_u32 v41, v41, v42, s8
	v_perm_b32 v40, v41, v40, s9
	v_bfe_u32 v41, v37, 16, 1
	v_bfe_u32 v42, v36, 16, 1
	v_add3_u32 v36, v36, v42, s8
	v_add3_u32 v37, v37, v41, s8
	v_perm_b32 v41, v37, v36, s9
	v_cmp_gt_u32_e32 vcc, 8, v0
	ds_write2st64_b64 v38, v[44:45], v[40:41] offset0:2 offset1:3
	s_and_saveexec_b64 s[4:5], vcc
	s_cbranch_execz .LBB563_17
; %bb.16:
	v_or_b32_e32 v36, s29, v0
	v_mov_b32_e32 v37, 0
	v_mov_b32_e32 v40, s7
	v_mad_u64_u32 v[40:41], s[10:11], s2, v40, v[36:37]
	v_mov_b32_e32 v36, s28
	s_load_dwordx4 s[12:15], s[0:1], 0x58
	s_mul_i32 s3, s3, s7
	v_mad_u64_u32 v[36:37], s[10:11], v40, s6, v[36:37]
	v_add_u32_e32 v41, s3, v41
	v_mov_b32_e32 v40, v37
	v_mad_u64_u32 v[40:41], s[10:11], v41, s6, v[40:41]
	v_mov_b32_e32 v37, v40
	v_lshlrev_b64 v[36:37], 2, v[36:37]
	s_waitcnt lgkmcnt(0)
	v_lshl_add_u64 v[40:41], s[14:15], 0, v[36:37]
	v_lshl_add_u64 v[36:37], s[12:13], 0, v[36:37]
	global_store_dword v[40:41], v54, off
	global_store_dword v[36:37], v55, off
.LBB563_17:
	s_or_b64 exec, exec, s[4:5]
	v_lshl_or_b32 v36, v1, 9, v39
	s_waitcnt lgkmcnt(0)
	s_barrier
	ds_read_b128 v[40:43], v36
	ds_read_b128 v[44:47], v36 offset:16
	s_waitcnt vmcnt(7) lgkmcnt(1)
	v_mfma_f32_16x16x16_bf16 v[48:51], v[6:7], v[40:41], 0
	v_cmp_gt_u32_e32 vcc, 64, v0
	s_mov_b32 s3, 0
	s_and_b64 s[4:5], vcc, s[30:31]
	v_mfma_f32_16x16x16_bf16 v[6:9], v[8:9], v[42:43], v[48:51]
	s_waitcnt vmcnt(6) lgkmcnt(0)
	v_mfma_f32_16x16x16_bf16 v[6:9], v[2:3], v[44:45], v[6:9]
	v_mfma_f32_16x16x16_bf16 v[2:5], v[4:5], v[46:47], v[6:9]
	s_nop 5
	ds_read_b128 v[6:9], v36 offset:2048
	ds_read_b128 v[40:43], v36 offset:2064
	s_waitcnt vmcnt(5) lgkmcnt(1)
	v_mfma_f32_16x16x16_bf16 v[2:5], v[30:31], v[6:7], v[2:5]
	v_mfma_f32_16x16x16_bf16 v[2:5], v[32:33], v[8:9], v[2:5]
	s_waitcnt vmcnt(4) lgkmcnt(0)
	v_mfma_f32_16x16x16_bf16 v[2:5], v[26:27], v[40:41], v[2:5]
	v_mfma_f32_16x16x16_bf16 v[2:5], v[28:29], v[42:43], v[2:5]
	ds_read_b128 v[6:9], v36 offset:4096
	ds_read_b128 v[26:29], v36 offset:4112
	s_waitcnt vmcnt(3) lgkmcnt(1)
	v_mfma_f32_16x16x16_bf16 v[2:5], v[22:23], v[6:7], v[2:5]
	v_mfma_f32_16x16x16_bf16 v[2:5], v[24:25], v[8:9], v[2:5]
	s_waitcnt vmcnt(2) lgkmcnt(0)
	v_mfma_f32_16x16x16_bf16 v[2:5], v[18:19], v[26:27], v[2:5]
	v_mfma_f32_16x16x16_bf16 v[2:5], v[20:21], v[28:29], v[2:5]
	ds_read_b128 v[6:9], v36 offset:6144
	ds_read_b128 v[18:21], v36 offset:6160
	s_waitcnt lgkmcnt(0)
	s_barrier
	s_waitcnt vmcnt(1)
	v_mfma_f32_16x16x16_bf16 v[2:5], v[14:15], v[6:7], v[2:5]
	v_mfma_f32_16x16x16_bf16 v[2:5], v[16:17], v[8:9], v[2:5]
	s_waitcnt vmcnt(0)
	v_mfma_f32_16x16x16_bf16 v[2:5], v[10:11], v[18:19], v[2:5]
	v_mfma_f32_16x16x16_bf16 v[2:5], v[12:13], v[20:21], v[2:5]
	s_nop 6
	v_bfe_u32 v6, v3, 16, 1
	v_bfe_u32 v7, v2, 16, 1
	;; [unrolled: 1-line block ×4, first 2 shown]
	v_add3_u32 v2, v2, v7, s8
	v_add3_u32 v3, v3, v6, s8
	;; [unrolled: 1-line block ×4, first 2 shown]
	v_perm_b32 v2, v3, v2, s9
	v_perm_b32 v3, v5, v4, s9
	ds_write_b64 v38, v[2:3]
	s_waitcnt lgkmcnt(0)
	s_barrier
	s_and_saveexec_b64 s[8:9], s[4:5]
	s_cbranch_execz .LBB563_19
; %bb.18:
	s_load_dwordx2 s[0:1], s[0:1], 0x68
	s_lshl_b32 s6, s6, 6
	s_mul_i32 s2, s7, s2
	s_mul_hi_u32 s5, s2, s6
	s_mul_i32 s4, s2, s6
	s_lshl_b64 s[4:5], s[4:5], 1
	v_lshlrev_b32_e32 v2, 10, v0
	v_lshlrev_b32_e32 v0, 4, v0
	s_waitcnt lgkmcnt(0)
	s_add_u32 s4, s0, s4
	v_and_b32_e32 v2, 0x1800, v2
	v_lshlrev_b32_e32 v3, 5, v1
	v_and_b32_e32 v0, 16, v0
	s_addc_u32 s5, s1, s5
	s_lshl_b32 s2, s28, 6
	v_or3_b32 v0, v2, v3, v0
	s_lshl_b64 s[0:1], s[2:3], 1
	ds_read_b128 v[2:5], v0
	ds_read_b128 v[6:9], v0 offset:128
	s_add_u32 s0, s4, s0
	s_addc_u32 s1, s5, s1
	v_or_b32_e32 v12, s29, v1
	v_lshl_add_u64 v[10:11], v[34:35], 1, s[0:1]
	v_mad_u64_u32 v[0:1], s[0:1], v12, s6, 0
	v_lshl_add_u64 v[0:1], v[0:1], 1, v[10:11]
	s_waitcnt lgkmcnt(1)
	global_store_dwordx4 v[0:1], v[2:5], off
	v_or_b32_e32 v0, 4, v12
	v_mad_u64_u32 v[0:1], s[0:1], v0, s6, 0
	v_lshl_add_u64 v[0:1], v[0:1], 1, v[10:11]
	s_waitcnt lgkmcnt(0)
	global_store_dwordx4 v[0:1], v[6:9], off
.LBB563_19:
	s_endpgm
	.section	.rodata,"a",@progbits
	.p2align	6, 0x0
	.amdhsa_kernel _Z39paged_attention_ll4mi_QKV_mfma16_kernelI14__hip_bfloat16S0_LN4vllm18Fp8KVCacheDataTypeE0ES0_Li32ELi64ELi256ELb0ELi8EEvPKT_PKT0_S8_ifPKiSA_SA_iPKfiiiPfSD_PS3_PT2_iSC_SC_
		.amdhsa_group_segment_fixed_size 8192
		.amdhsa_private_segment_fixed_size 0
		.amdhsa_kernarg_size 400
		.amdhsa_user_sgpr_count 2
		.amdhsa_user_sgpr_dispatch_ptr 0
		.amdhsa_user_sgpr_queue_ptr 0
		.amdhsa_user_sgpr_kernarg_segment_ptr 1
		.amdhsa_user_sgpr_dispatch_id 0
		.amdhsa_user_sgpr_kernarg_preload_length 0
		.amdhsa_user_sgpr_kernarg_preload_offset 0
		.amdhsa_user_sgpr_private_segment_size 0
		.amdhsa_uses_dynamic_stack 0
		.amdhsa_enable_private_segment 0
		.amdhsa_system_sgpr_workgroup_id_x 1
		.amdhsa_system_sgpr_workgroup_id_y 1
		.amdhsa_system_sgpr_workgroup_id_z 1
		.amdhsa_system_sgpr_workgroup_info 0
		.amdhsa_system_vgpr_workitem_id 0
		.amdhsa_next_free_vgpr 67
		.amdhsa_next_free_sgpr 48
		.amdhsa_accum_offset 68
		.amdhsa_reserve_vcc 1
		.amdhsa_float_round_mode_32 0
		.amdhsa_float_round_mode_16_64 0
		.amdhsa_float_denorm_mode_32 3
		.amdhsa_float_denorm_mode_16_64 3
		.amdhsa_dx10_clamp 1
		.amdhsa_ieee_mode 1
		.amdhsa_fp16_overflow 0
		.amdhsa_tg_split 0
		.amdhsa_exception_fp_ieee_invalid_op 0
		.amdhsa_exception_fp_denorm_src 0
		.amdhsa_exception_fp_ieee_div_zero 0
		.amdhsa_exception_fp_ieee_overflow 0
		.amdhsa_exception_fp_ieee_underflow 0
		.amdhsa_exception_fp_ieee_inexact 0
		.amdhsa_exception_int_div_zero 0
	.end_amdhsa_kernel
	.section	.text._Z39paged_attention_ll4mi_QKV_mfma16_kernelI14__hip_bfloat16S0_LN4vllm18Fp8KVCacheDataTypeE0ES0_Li32ELi64ELi256ELb0ELi8EEvPKT_PKT0_S8_ifPKiSA_SA_iPKfiiiPfSD_PS3_PT2_iSC_SC_,"axG",@progbits,_Z39paged_attention_ll4mi_QKV_mfma16_kernelI14__hip_bfloat16S0_LN4vllm18Fp8KVCacheDataTypeE0ES0_Li32ELi64ELi256ELb0ELi8EEvPKT_PKT0_S8_ifPKiSA_SA_iPKfiiiPfSD_PS3_PT2_iSC_SC_,comdat
.Lfunc_end563:
	.size	_Z39paged_attention_ll4mi_QKV_mfma16_kernelI14__hip_bfloat16S0_LN4vllm18Fp8KVCacheDataTypeE0ES0_Li32ELi64ELi256ELb0ELi8EEvPKT_PKT0_S8_ifPKiSA_SA_iPKfiiiPfSD_PS3_PT2_iSC_SC_, .Lfunc_end563-_Z39paged_attention_ll4mi_QKV_mfma16_kernelI14__hip_bfloat16S0_LN4vllm18Fp8KVCacheDataTypeE0ES0_Li32ELi64ELi256ELb0ELi8EEvPKT_PKT0_S8_ifPKiSA_SA_iPKfiiiPfSD_PS3_PT2_iSC_SC_
                                        ; -- End function
	.section	.AMDGPU.csdata,"",@progbits
; Kernel info:
; codeLenInByte = 4088
; NumSgprs: 54
; NumVgprs: 67
; NumAgprs: 0
; TotalNumVgprs: 67
; ScratchSize: 0
; MemoryBound: 0
; FloatMode: 240
; IeeeMode: 1
; LDSByteSize: 8192 bytes/workgroup (compile time only)
; SGPRBlocks: 6
; VGPRBlocks: 8
; NumSGPRsForWavesPerEU: 54
; NumVGPRsForWavesPerEU: 67
; AccumOffset: 68
; Occupancy: 7
; WaveLimiterHint : 1
; COMPUTE_PGM_RSRC2:SCRATCH_EN: 0
; COMPUTE_PGM_RSRC2:USER_SGPR: 2
; COMPUTE_PGM_RSRC2:TRAP_HANDLER: 0
; COMPUTE_PGM_RSRC2:TGID_X_EN: 1
; COMPUTE_PGM_RSRC2:TGID_Y_EN: 1
; COMPUTE_PGM_RSRC2:TGID_Z_EN: 1
; COMPUTE_PGM_RSRC2:TIDIG_COMP_CNT: 0
; COMPUTE_PGM_RSRC3_GFX90A:ACCUM_OFFSET: 16
; COMPUTE_PGM_RSRC3_GFX90A:TG_SPLIT: 0
	.section	.text._Z39paged_attention_ll4mi_QKV_mfma16_kernelI14__hip_bfloat16S0_LN4vllm18Fp8KVCacheDataTypeE0ES0_Li32ELi64ELi256ELb0ELi9EEvPKT_PKT0_S8_ifPKiSA_SA_iPKfiiiPfSD_PS3_PT2_iSC_SC_,"axG",@progbits,_Z39paged_attention_ll4mi_QKV_mfma16_kernelI14__hip_bfloat16S0_LN4vllm18Fp8KVCacheDataTypeE0ES0_Li32ELi64ELi256ELb0ELi9EEvPKT_PKT0_S8_ifPKiSA_SA_iPKfiiiPfSD_PS3_PT2_iSC_SC_,comdat
	.protected	_Z39paged_attention_ll4mi_QKV_mfma16_kernelI14__hip_bfloat16S0_LN4vllm18Fp8KVCacheDataTypeE0ES0_Li32ELi64ELi256ELb0ELi9EEvPKT_PKT0_S8_ifPKiSA_SA_iPKfiiiPfSD_PS3_PT2_iSC_SC_ ; -- Begin function _Z39paged_attention_ll4mi_QKV_mfma16_kernelI14__hip_bfloat16S0_LN4vllm18Fp8KVCacheDataTypeE0ES0_Li32ELi64ELi256ELb0ELi9EEvPKT_PKT0_S8_ifPKiSA_SA_iPKfiiiPfSD_PS3_PT2_iSC_SC_
	.globl	_Z39paged_attention_ll4mi_QKV_mfma16_kernelI14__hip_bfloat16S0_LN4vllm18Fp8KVCacheDataTypeE0ES0_Li32ELi64ELi256ELb0ELi9EEvPKT_PKT0_S8_ifPKiSA_SA_iPKfiiiPfSD_PS3_PT2_iSC_SC_
	.p2align	8
	.type	_Z39paged_attention_ll4mi_QKV_mfma16_kernelI14__hip_bfloat16S0_LN4vllm18Fp8KVCacheDataTypeE0ES0_Li32ELi64ELi256ELb0ELi9EEvPKT_PKT0_S8_ifPKiSA_SA_iPKfiiiPfSD_PS3_PT2_iSC_SC_,@function
_Z39paged_attention_ll4mi_QKV_mfma16_kernelI14__hip_bfloat16S0_LN4vllm18Fp8KVCacheDataTypeE0ES0_Li32ELi64ELi256ELb0ELi9EEvPKT_PKT0_S8_ifPKiSA_SA_iPKfiiiPfSD_PS3_PT2_iSC_SC_: ; @_Z39paged_attention_ll4mi_QKV_mfma16_kernelI14__hip_bfloat16S0_LN4vllm18Fp8KVCacheDataTypeE0ES0_Li32ELi64ELi256ELb0ELi9EEvPKT_PKT0_S8_ifPKiSA_SA_iPKfiiiPfSD_PS3_PT2_iSC_SC_
; %bb.0:
	s_load_dwordx2 s[6:7], s[0:1], 0x30
	s_mov_b32 s28, s3
	s_mov_b64 s[10:11], 0
	s_waitcnt lgkmcnt(0)
	s_cmp_lg_u64 s[6:7], 0
	s_cselect_b64 s[8:9], -1, 0
	s_and_b64 vcc, exec, s[8:9]
	s_cbranch_vccz .LBB564_7
; %bb.1:
	s_add_i32 s12, s2, 1
	s_mov_b32 s13, 0
	s_lshl_b64 s[14:15], s[12:13], 2
	s_add_u32 s14, s6, s14
	s_mov_b32 s3, s13
	s_addc_u32 s15, s7, s15
	s_lshl_b64 s[12:13], s[2:3], 2
	s_add_u32 s12, s6, s12
	s_addc_u32 s13, s7, s13
	s_load_dword s5, s[14:15], 0x0
	s_load_dword s16, s[12:13], 0x0
	s_waitcnt lgkmcnt(0)
	s_sub_i32 s5, s5, s16
	s_cmp_eq_u32 s5, 1
	s_cselect_b64 s[12:13], -1, 0
	s_andn2_b64 vcc, exec, s[10:11]
	s_cbranch_vccnz .LBB564_3
.LBB564_2:
	s_mov_b32 s3, 0
	s_mov_b64 s[12:13], -1
.LBB564_3:
	s_andn2_b64 vcc, exec, s[12:13]
	s_cbranch_vccnz .LBB564_20
; %bb.4:
	s_load_dwordx2 s[12:13], s[0:1], 0x28
	s_lshl_b64 s[10:11], s[2:3], 2
	s_waitcnt lgkmcnt(0)
	s_add_u32 s12, s12, s10
	s_addc_u32 s13, s13, s11
	s_load_dword s33, s[12:13], 0x0
	s_lshl_b32 s14, s28, 8
	s_waitcnt lgkmcnt(0)
	s_cmp_ge_i32 s14, s33
	s_cbranch_scc1 .LBB564_20
; %bb.5:
	s_load_dwordx2 s[12:13], s[0:1], 0x20
	s_load_dword s5, s[0:1], 0x38
	s_add_i32 s15, s33, 31
	s_ashr_i32 s16, s15, 31
	v_and_b32_e32 v1, 0xcf, v0
	s_lshr_b32 s16, s16, 27
	v_add_u32_e32 v1, s14, v1
	s_add_i32 s15, s15, s16
	v_ashrrev_i32_e32 v2, 31, v1
	s_ashr_i32 s15, s15, 5
	v_lshrrev_b32_e32 v10, 27, v2
	s_add_i32 s15, s15, -1
	s_waitcnt lgkmcnt(0)
	s_mul_i32 s16, s2, s5
	s_mov_b32 s17, 0
	v_add_u32_e32 v2, v1, v10
	s_lshl_b64 s[16:17], s[16:17], 2
	v_ashrrev_i32_e32 v2, 5, v2
	v_mov_b32_e32 v11, s15
	v_cmp_gt_i32_e32 vcc, s33, v1
	s_add_u32 s12, s12, s16
	s_addc_u32 s13, s13, s17
	v_cndmask_b32_e32 v2, v11, v2, vcc
	v_ashrrev_i32_e32 v3, 31, v2
	v_lshl_add_u64 v[4:5], v[2:3], 2, s[12:13]
	v_or_b32_e32 v2, 16, v1
	v_add_u32_e32 v3, v2, v10
	v_ashrrev_i32_e32 v3, 5, v3
	v_cmp_gt_i32_e32 vcc, s33, v2
	s_nop 1
	v_cndmask_b32_e32 v2, v11, v3, vcc
	v_ashrrev_i32_e32 v3, 31, v2
	v_lshl_add_u64 v[6:7], v[2:3], 2, s[12:13]
	v_or_b32_e32 v2, 32, v1
	v_add_u32_e32 v3, v2, v10
	v_ashrrev_i32_e32 v3, 5, v3
	v_cmp_gt_i32_e32 vcc, s33, v2
	v_or_b32_e32 v1, 48, v1
	s_nop 0
	v_cndmask_b32_e32 v2, v11, v3, vcc
	v_ashrrev_i32_e32 v3, 31, v2
	v_lshl_add_u64 v[8:9], v[2:3], 2, s[12:13]
	v_add_u32_e32 v2, v1, v10
	v_ashrrev_i32_e32 v2, 5, v2
	v_cmp_gt_i32_e32 vcc, s33, v1
	s_nop 1
	v_cndmask_b32_e32 v2, v11, v2, vcc
	v_ashrrev_i32_e32 v3, 31, v2
	v_lshl_add_u64 v[12:13], v[2:3], 2, s[12:13]
	global_load_dword v3, v[4:5], off
	global_load_dword v2, v[6:7], off
	;; [unrolled: 1-line block ×4, first 2 shown]
	s_andn2_b64 vcc, exec, s[8:9]
	s_cbranch_vccnz .LBB564_8
; %bb.6:
	s_add_u32 s6, s6, s10
	s_addc_u32 s7, s7, s11
	s_load_dword s5, s[6:7], 0x0
	s_branch .LBB564_9
.LBB564_7:
	s_mov_b64 s[12:13], 0
	s_branch .LBB564_2
.LBB564_8:
	s_mov_b32 s5, s2
.LBB564_9:
	s_load_dwordx4 s[8:11], s[0:1], 0x8
	s_load_dwordx4 s[44:47], s[0:1], 0x48
	v_lshrrev_b32_e32 v1, 6, v0
	v_bfe_u32 v54, v0, 4, 2
	v_lshl_or_b32 v4, v1, 2, v54
	v_and_b32_e32 v36, 15, v0
	v_cmp_lt_u32_e32 vcc, 8, v4
	v_cmp_lt_u32_e64 s[6:7], 7, v36
	v_lshlrev_b32_e32 v34, 3, v36
	v_cmp_gt_u32_e64 s[30:31], 8, v36
	s_or_b64 s[6:7], s[6:7], vcc
	s_and_saveexec_b64 s[16:17], s[6:7]
	s_xor_b64 s[6:7], exec, s[16:17]
; %bb.10:
	v_mov_b32_e32 v35, 0
                                        ; implicit-def: $vgpr4
; %bb.11:
	s_or_saveexec_b64 s[6:7], s[6:7]
	v_and_b32_e32 v37, 63, v0
	s_mul_i32 s42, s4, 9
	s_xor_b64 exec, exec, s[6:7]
	s_cbranch_execz .LBB564_13
; %bb.12:
	s_load_dwordx2 s[16:17], s[0:1], 0x0
	s_waitcnt lgkmcnt(0)
	s_ashr_i32 s18, s44, 31
	s_mul_hi_u32 s19, s5, s44
	s_mul_i32 s18, s5, s18
	s_add_i32 s19, s19, s18
	s_mul_i32 s18, s5, s44
	s_lshl_b64 s[18:19], s[18:19], 1
	s_add_u32 s16, s16, s18
	v_add_lshl_u32 v6, v4, s42, 6
	s_addc_u32 s17, s17, s19
	v_ashrrev_i32_e32 v7, 31, v6
	v_mov_b32_e32 v35, 0
	v_lshl_add_u64 v[6:7], v[6:7], 1, s[16:17]
	v_lshlrev_b32_e32 v8, 1, v34
	v_mov_b32_e32 v9, v35
	v_lshl_add_u64 v[6:7], v[6:7], 0, v[8:9]
	global_load_dwordx4 v[6:9], v[6:7], off
	v_and_b32_e32 v5, 3, v0
	v_lshlrev_b32_e32 v11, 9, v36
	v_lshlrev_b32_e32 v4, 5, v4
	;; [unrolled: 1-line block ×3, first 2 shown]
	v_and_b32_e32 v11, 0x1800, v11
	v_or3_b32 v4, v11, v5, v4
	s_waitcnt vmcnt(0)
	ds_write_b128 v4, v[6:9]
.LBB564_13:
	s_or_b64 exec, exec, s[6:7]
	s_waitcnt lgkmcnt(0)
	s_mul_i32 s4, s4, s46
	s_mov_b32 s5, 0
	s_lshl_b64 s[4:5], s[4:5], 1
	s_add_u32 s8, s8, s4
	s_addc_u32 s9, s9, s5
	s_waitcnt vmcnt(3)
	v_mad_i64_i32 v[4:5], s[16:17], v3, s45, 0
	v_lshl_add_u64 v[4:5], v[4:5], 1, s[8:9]
	v_lshlrev_b64 v[12:13], 1, v[34:35]
	v_lshlrev_b32_e32 v38, 9, v54
	v_lshl_add_u64 v[4:5], v[4:5], 0, v[12:13]
	v_mov_b32_e32 v39, 0
	v_lshl_add_u64 v[14:15], v[4:5], 0, v[38:39]
	s_waitcnt vmcnt(2)
	v_mad_i64_i32 v[2:3], s[16:17], v2, s45, 0
	v_mov_b32_e32 v4, 0x100
	v_lshl_add_u64 v[2:3], v[2:3], 1, s[8:9]
	v_lshl_or_b32 v40, v36, 4, v4
	v_mov_b32_e32 v41, v39
	s_load_dword s29, s[0:1], 0x98
	s_load_dword s6, s[0:1], 0x1c
	s_waitcnt lgkmcnt(0)
	s_barrier
	v_lshl_add_u64 v[2:3], v[2:3], 0, v[40:41]
	global_load_dwordx4 v[6:9], v[14:15], off
	global_load_dwordx4 v[22:25], v[14:15], off offset:2048
	v_lshl_add_u64 v[18:19], v[2:3], 0, v[38:39]
	global_load_dwordx4 v[2:5], v[18:19], off
	global_load_dwordx4 v[26:29], v[18:19], off offset:2048
	s_waitcnt vmcnt(5)
	v_mad_i64_i32 v[10:11], s[16:17], v10, s45, 0
	v_lshl_add_u64 v[10:11], v[10:11], 1, s[8:9]
	v_lshl_add_u64 v[10:11], v[10:11], 0, v[12:13]
	;; [unrolled: 1-line block ×3, first 2 shown]
	global_load_dwordx4 v[10:13], v[20:21], off
	global_load_dwordx4 v[30:33], v[20:21], off offset:2048
	s_waitcnt vmcnt(6)
	v_mad_i64_i32 v[42:43], s[16:17], v16, s45, 0
	v_add_u32_e32 v17, -9, v36
	v_cmp_gt_u32_e32 vcc, 9, v36
	v_lshl_add_u64 v[42:43], v[42:43], 1, s[8:9]
	v_lshl_add_u64 v[40:41], v[42:43], 0, v[40:41]
	v_cndmask_b32_e32 v14, v17, v36, vcc
	v_lshl_add_u32 v14, v14, 5, v38
	v_lshl_add_u64 v[40:41], v[40:41], 0, v[38:39]
	ds_read_b128 v[18:21], v14
	ds_read_b128 v[14:17], v14 offset:2048
	global_load_dwordx4 v[46:49], v[40:41], off
	global_load_dwordx4 v[60:63], v[40:41], off offset:2048
	s_ashr_i32 s7, s14, 31
	v_and_or_b32 v55, v0, 48, s14
	s_lshr_b32 s7, s7, 27
	v_add_u32_e32 v42, s7, v55
	v_mov_b32_e32 v64, s15
	v_or_b32_e32 v50, 64, v55
	v_ashrrev_i32_e32 v38, 5, v42
	v_cmp_gt_i32_e32 vcc, s33, v55
	v_add_u32_e32 v43, s7, v50
	v_ashrrev_i32_e32 v51, 5, v43
	v_cndmask_b32_e32 v42, v64, v38, vcc
	v_ashrrev_i32_e32 v43, 31, v42
	v_lshl_add_u64 v[42:43], v[42:43], 2, s[12:13]
	v_cmp_gt_i32_e32 vcc, s33, v50
	global_load_dword v65, v[42:43], off
	v_or_b32_e32 v40, 0x80, v55
	v_or_b32_e32 v41, 0xc0, v55
	v_and_b32_e32 v38, 16, v0
	s_add_u32 s4, s10, s4
	s_addc_u32 s5, s11, s5
	v_lshlrev_b32_e32 v38, 1, v38
	s_mov_b32 s43, 0xff7fffff
	s_waitcnt vmcnt(8) lgkmcnt(1)
	v_mfma_f32_16x16x16_bf16 v[42:45], v[6:7], v[18:19], 0
	v_cndmask_b32_e32 v6, v64, v51, vcc
	v_ashrrev_i32_e32 v7, 31, v6
	v_cmp_gt_i32_e32 vcc, s33, v40
	s_waitcnt vmcnt(6)
	v_mfma_f32_16x16x16_bf16 v[50:53], v[2:3], v[18:19], 0
	v_lshl_add_u64 v[2:3], v[6:7], 2, s[12:13]
	global_load_dword v66, v[2:3], off
	v_mfma_f32_16x16x16_bf16 v[6:9], v[8:9], v[20:21], v[42:45]
	v_mfma_f32_16x16x16_bf16 v[2:5], v[4:5], v[20:21], v[50:53]
	s_nop 1
	v_add_u32_e32 v42, s7, v40
	v_add_u32_e32 v43, s7, v41
	v_ashrrev_i32_e32 v42, 5, v42
	s_waitcnt lgkmcnt(0)
	v_mfma_f32_16x16x16_bf16 v[6:9], v[22:23], v[14:15], v[6:9]
	v_lshlrev_b32_e32 v45, 6, v36
	v_ashrrev_i32_e32 v43, 5, v43
	v_cndmask_b32_e32 v44, v64, v42, vcc
	s_waitcnt vmcnt(5)
	v_mfma_f32_16x16x16_bf16 v[56:59], v[10:11], v[18:19], 0
	v_cmp_gt_i32_e32 vcc, s33, v41
	v_lshl_add_u64 v[50:51], s[4:5], 0, v[38:39]
	v_lshl_or_b32 v38, v1, 10, v45
	v_mfma_f32_16x16x16_bf16 v[2:5], v[26:27], v[14:15], v[2:5]
	v_cndmask_b32_e32 v26, v64, v43, vcc
	v_ashrrev_i32_e32 v45, 31, v44
	v_ashrrev_i32_e32 v27, 31, v26
	v_mfma_f32_16x16x16_bf16 v[22:25], v[24:25], v[16:17], v[6:9]
	s_nop 2
	v_lshl_add_u64 v[6:7], v[44:45], 2, s[12:13]
	v_mfma_f32_16x16x16_bf16 v[10:13], v[12:13], v[20:21], v[56:59]
	v_lshl_add_u64 v[8:9], v[26:27], 2, s[12:13]
	global_load_dword v55, v[6:7], off
	s_nop 0
	global_load_dword v58, v[8:9], off
	s_waitcnt vmcnt(6)
	v_mfma_f32_16x16x16_bf16 v[40:43], v[30:31], v[14:15], v[10:13]
	s_nop 2
	v_lshl_add_u64 v[10:11], v[50:51], 0, v[38:39]
	v_mfma_f32_16x16x16_bf16 v[30:33], v[32:33], v[16:17], v[40:43]
	v_pk_mul_f32 v[50:51], s[6:7], v[24:25] op_sel_hi:[0,1]
	s_waitcnt vmcnt(2)
	v_mad_i64_i32 v[12:13], s[4:5], v66, s45, 0
	v_mfma_f32_16x16x16_bf16 v[38:41], v[46:47], v[18:19], 0
	v_lshl_add_u64 v[56:57], v[12:13], 1, v[10:11]
	v_pk_mul_f32 v[12:13], s[6:7], v[22:23] op_sel_hi:[0,1]
	s_nop 0
	v_pk_mul_f32 v[46:47], s[6:7], v[30:31] op_sel_hi:[0,1]
	v_mfma_f32_16x16x16_bf16 v[18:21], v[48:49], v[20:21], v[38:41]
	v_pk_mul_f32 v[48:49], s[6:7], v[32:33] op_sel_hi:[0,1]
	v_mfma_f32_16x16x16_bf16 v[18:21], v[60:61], v[14:15], v[18:21]
	v_mfma_f32_16x16x16_bf16 v[26:29], v[28:29], v[16:17], v[2:5]
	;; [unrolled: 1-line block ×3, first 2 shown]
	s_nop 1
	v_mad_i64_i32 v[2:3], s[4:5], v65, s45, 0
	s_nop 2
	v_pk_mul_f32 v[42:43], s[6:7], v[26:27] op_sel_hi:[0,1]
	v_pk_mul_f32 v[52:53], s[6:7], v[28:29] op_sel_hi:[0,1]
	v_lshl_add_u64 v[2:3], v[2:3], 1, v[10:11]
	v_pk_mul_f32 v[44:45], s[6:7], v[14:15] op_sel_hi:[0,1]
	v_and_b32_e32 v14, 0xc0, v0
	v_add_u32_e32 v14, s14, v14
	v_lshl_or_b32 v14, v54, 2, v14
	v_pk_mul_f32 v[38:39], s[6:7], v[16:17] op_sel_hi:[0,1]
	v_or_b32_e32 v17, 1, v14
	v_mov_b32_e32 v15, 0xff7fffff
	v_cmp_gt_i32_e64 s[4:5], s33, v14
	v_cmp_gt_i32_e64 s[34:35], s33, v17
	v_or_b32_e32 v18, 3, v14
	v_cndmask_b32_e64 v16, v15, v12, s[4:5]
	v_cndmask_b32_e64 v17, v15, v13, s[34:35]
	v_max3_f32 v16, v16, s43, v17
	v_or_b32_e32 v17, 2, v14
	v_cmp_gt_i32_e64 s[36:37], s33, v17
	v_cmp_gt_i32_e64 s[38:39], s33, v18
	global_load_dwordx4 v[6:9], v[2:3], off
	s_nop 0
	global_load_dwordx4 v[2:5], v[2:3], off offset:16
	v_cndmask_b32_e64 v17, v15, v50, s[36:37]
	v_cndmask_b32_e64 v18, v15, v51, s[38:39]
	v_max3_f32 v16, v16, v17, v18
	v_or_b32_e32 v17, 16, v14
	v_or_b32_e32 v18, 17, v14
	v_cmp_gt_i32_e64 s[24:25], s33, v17
	v_cmp_gt_i32_e64 s[26:27], s33, v18
	global_load_dwordx4 v[30:33], v[56:57], off
	global_load_dwordx4 v[26:29], v[56:57], off offset:16
	v_cndmask_b32_e64 v17, v15, v42, s[24:25]
	v_cndmask_b32_e64 v18, v15, v43, s[26:27]
	v_max3_f32 v16, v16, v17, v18
	v_or_b32_e32 v17, 18, v14
	v_or_b32_e32 v18, 19, v14
	v_cmp_gt_i32_e64 s[20:21], s33, v17
	v_cmp_gt_i32_e64 s[22:23], s33, v18
	s_nop 0
	v_cndmask_b32_e64 v17, v15, v52, s[20:21]
	v_cndmask_b32_e64 v18, v15, v53, s[22:23]
	v_max3_f32 v16, v16, v17, v18
	v_or_b32_e32 v17, 32, v14
	v_or_b32_e32 v18, 33, v14
	v_cmp_gt_i32_e64 s[16:17], s33, v17
	v_cmp_gt_i32_e64 s[18:19], s33, v18
	s_nop 0
	;; [unrolled: 8-line block ×4, first 2 shown]
	v_cndmask_b32_e64 v17, v15, v44, s[8:9]
	v_cndmask_b32_e64 v18, v15, v45, s[10:11]
	v_max3_f32 v16, v16, v17, v18
	v_or_b32_e32 v17, 50, v14
	v_or_b32_e32 v14, 51, v14
	v_cmp_gt_i32_e32 vcc, s33, v17
	v_cmp_gt_i32_e64 s[6:7], s33, v14
	s_nop 0
	v_cndmask_b32_e32 v17, v15, v38, vcc
	v_cndmask_b32_e64 v14, v15, v39, s[6:7]
	v_max3_f32 v16, v16, v17, v14
	v_mbcnt_lo_u32_b32 v14, -1, 0
	v_mbcnt_hi_u32_b32 v17, -1, v14
	v_and_b32_e32 v14, 64, v17
	v_add_u32_e32 v18, 64, v14
	v_xor_b32_e32 v14, 32, v17
	v_cmp_lt_i32_e64 s[40:41], v14, v18
	s_nop 1
	v_cndmask_b32_e64 v14, v17, v14, s[40:41]
	v_lshlrev_b32_e32 v59, 2, v14
	ds_bpermute_b32 v19, v59, v16
	s_waitcnt vmcnt(5)
	v_mad_i64_i32 v[14:15], s[40:41], v55, s45, 0
	v_lshl_add_u64 v[14:15], v[14:15], 1, v[10:11]
	s_waitcnt lgkmcnt(0)
	v_max_f32_e32 v19, v19, v19
	v_max_f32_e32 v16, v16, v19
	v_xor_b32_e32 v19, 16, v17
	v_cmp_lt_i32_e64 s[40:41], v19, v18
	s_nop 1
	v_cndmask_b32_e64 v17, v17, v19, s[40:41]
	v_lshlrev_b32_e32 v57, 2, v17
	ds_bpermute_b32 v17, v57, v16
	global_load_dwordx4 v[22:25], v[14:15], off
	global_load_dwordx4 v[18:21], v[14:15], off offset:16
	s_waitcnt vmcnt(6)
	v_mad_i64_i32 v[14:15], s[40:41], v58, s45, 0
	v_lshl_add_u64 v[10:11], v[14:15], 1, v[10:11]
	s_waitcnt lgkmcnt(0)
	v_max_f32_e32 v14, v17, v17
	v_max_f32_e32 v55, v16, v14
	v_sub_f32_e32 v12, v12, v55
	v_mul_f32_e32 v12, 0x3fb8aa3b, v12
	v_exp_f32_e32 v40, v12
	v_sub_f32_e32 v12, v13, v55
	v_mul_f32_e32 v12, 0x3fb8aa3b, v12
	v_exp_f32_e32 v41, v12
	global_load_dwordx4 v[14:17], v[10:11], off
	s_nop 0
	global_load_dwordx4 v[10:13], v[10:11], off offset:16
	v_sub_f32_e32 v50, v50, v55
	v_mul_f32_e32 v50, 0x3fb8aa3b, v50
	v_sub_f32_e32 v51, v51, v55
	v_exp_f32_e32 v50, v50
	v_mul_f32_e32 v51, 0x3fb8aa3b, v51
	v_sub_f32_e32 v42, v42, v55
	v_exp_f32_e32 v51, v51
	v_mul_f32_e32 v42, 0x3fb8aa3b, v42
	v_sub_f32_e32 v43, v43, v55
	v_cndmask_b32_e64 v40, 0, v40, s[4:5]
	v_exp_f32_e32 v42, v42
	v_mul_f32_e32 v43, 0x3fb8aa3b, v43
	v_sub_f32_e32 v52, v52, v55
	v_add_f32_e32 v56, 0, v40
	v_cndmask_b32_e64 v41, 0, v41, s[34:35]
	v_exp_f32_e32 v43, v43
	v_mul_f32_e32 v52, 0x3fb8aa3b, v52
	v_sub_f32_e32 v53, v53, v55
	v_add_f32_e32 v56, v56, v41
	;; [unrolled: 5-line block ×10, first 2 shown]
	v_cndmask_b32_e64 v48, 0, v48, s[12:13]
	v_exp_f32_e32 v38, v38
	v_mul_f32_e32 v39, 0x3fb8aa3b, v39
	v_add_f32_e32 v56, v56, v48
	v_cndmask_b32_e64 v49, 0, v49, s[14:15]
	v_exp_f32_e32 v39, v39
	v_add_f32_e32 v56, v56, v49
	v_cndmask_b32_e64 v44, 0, v44, s[8:9]
	v_add_f32_e32 v56, v56, v44
	v_cndmask_b32_e64 v45, 0, v45, s[10:11]
	v_add_f32_e32 v56, v56, v45
	v_cndmask_b32_e32 v38, 0, v38, vcc
	v_add_f32_e32 v56, v56, v38
	v_cndmask_b32_e64 v39, 0, v39, s[6:7]
	v_add_f32_e32 v56, v56, v39
	ds_bpermute_b32 v58, v59, v56
	v_cmp_gt_u32_e64 s[6:7], 16, v37
	v_lshlrev_b32_e32 v37, 2, v36
	s_waitcnt lgkmcnt(0)
	s_barrier
	v_add_f32_e32 v56, v56, v58
	ds_bpermute_b32 v57, v57, v56
	s_waitcnt lgkmcnt(0)
	s_and_saveexec_b64 s[4:5], s[6:7]
	s_cbranch_execz .LBB564_15
; %bb.14:
	v_add_f32_e32 v56, v56, v57
	v_lshl_or_b32 v57, v1, 6, v37
	ds_write2st64_b32 v57, v55, v56 offset1:1
.LBB564_15:
	s_or_b64 exec, exec, s[4:5]
	s_load_dword s8, s[0:1], 0x94
	s_waitcnt lgkmcnt(0)
	s_barrier
	ds_read2_b32 v[56:57], v37 offset1:16
	ds_read2_b32 v[58:59], v37 offset0:32 offset1:48
	ds_read2_b32 v[60:61], v37 offset0:64 offset1:80
	;; [unrolled: 1-line block ×3, first 2 shown]
	s_movk_i32 s10, 0x7fff
	s_waitcnt lgkmcnt(3)
	v_max3_f32 v55, v56, s43, v57
	s_waitcnt lgkmcnt(2)
	v_max3_f32 v55, v55, v58, v59
	v_sub_f32_e32 v56, v56, v55
	v_mul_f32_e32 v56, 0x3fb8aa3b, v56
	v_exp_f32_e32 v64, v56
	v_sub_f32_e32 v56, v57, v55
	v_mul_f32_e32 v56, 0x3fb8aa3b, v56
	v_exp_f32_e32 v57, v56
	v_sub_f32_e32 v56, v58, v55
	v_mul_f32_e32 v56, 0x3fb8aa3b, v56
	v_sub_f32_e32 v37, v59, v55
	v_exp_f32_e32 v58, v56
	v_mul_f32_e32 v37, 0x3fb8aa3b, v37
	v_exp_f32_e32 v37, v37
	s_waitcnt lgkmcnt(1)
	v_fma_f32 v56, v64, v60, 0
	v_fmac_f32_e32 v56, v57, v61
	s_waitcnt lgkmcnt(0)
	v_fmac_f32_e32 v56, v58, v62
	v_fmac_f32_e32 v56, v37, v63
	v_add_f32_e32 v59, 0x358637bd, v56
	v_div_scale_f32 v60, s[4:5], v59, v59, 1.0
	v_rcp_f32_e32 v61, v60
	s_mov_b32 s11, 0x7060302
	s_barrier
	v_fma_f32 v62, -v60, v61, 1.0
	v_fmac_f32_e32 v61, v62, v61
	v_div_scale_f32 v62, vcc, 1.0, v59, 1.0
	v_mul_f32_e32 v63, v62, v61
	v_fma_f32 v65, -v60, v63, v62
	v_fmac_f32_e32 v63, v65, v61
	v_fma_f32 v60, -v60, v63, v62
	v_div_fmas_f32 v60, v60, v61, v63
	v_cmp_eq_u32_e32 vcc, 1, v1
	v_div_fixup_f32 v59, v60, v59, 1.0
	s_nop 0
	v_cndmask_b32_e32 v57, v64, v57, vcc
	v_cmp_eq_u32_e32 vcc, 2, v1
	s_mul_i32 s9, s29, 9
	s_nop 0
	v_cndmask_b32_e32 v57, v57, v58, vcc
	v_cmp_eq_u32_e32 vcc, 3, v1
	v_lshlrev_b32_e32 v1, 11, v1
	s_nop 0
	v_cndmask_b32_e32 v37, v57, v37, vcc
	v_mul_f32_e32 v58, v37, v59
	v_pk_mul_f32 v[40:41], v[58:59], v[40:41] op_sel_hi:[0,1]
	v_bfe_u32 v37, v41, 16, 1
	v_bfe_u32 v57, v40, 16, 1
	v_pk_mul_f32 v[50:51], v[58:59], v[50:51] op_sel_hi:[0,1]
	v_add3_u32 v40, v40, v57, s10
	v_add3_u32 v37, v41, v37, s10
	v_perm_b32 v60, v37, v40, s11
	v_bfe_u32 v37, v51, 16, 1
	v_bfe_u32 v40, v50, 16, 1
	v_add3_u32 v40, v50, v40, s10
	v_add3_u32 v37, v51, v37, s10
	v_perm_b32 v61, v37, v40, s11
	v_lshlrev_b32_e32 v37, 3, v54
	v_lshlrev_b32_e32 v40, 5, v36
	v_pk_mul_f32 v[42:43], v[58:59], v[42:43] op_sel_hi:[0,1]
	v_or3_b32 v1, v1, v40, v37
	v_bfe_u32 v37, v43, 16, 1
	v_bfe_u32 v41, v42, 16, 1
	v_pk_mul_f32 v[50:51], v[58:59], v[52:53] op_sel_hi:[0,1]
	v_add3_u32 v41, v42, v41, s10
	v_add3_u32 v37, v43, v37, s10
	v_perm_b32 v42, v37, v41, s11
	v_bfe_u32 v37, v51, 16, 1
	v_bfe_u32 v41, v50, 16, 1
	v_add3_u32 v41, v50, v41, s10
	v_add3_u32 v37, v51, v37, s10
	v_pk_mul_f32 v[46:47], v[58:59], v[46:47] op_sel_hi:[0,1]
	v_perm_b32 v43, v37, v41, s11
	v_bfe_u32 v37, v47, 16, 1
	v_bfe_u32 v41, v46, 16, 1
	ds_write2st64_b64 v1, v[60:61], v[42:43] offset1:1
	v_pk_mul_f32 v[42:43], v[58:59], v[48:49] op_sel_hi:[0,1]
	v_add3_u32 v41, v46, v41, s10
	v_add3_u32 v37, v47, v37, s10
	v_perm_b32 v46, v37, v41, s11
	v_bfe_u32 v37, v43, 16, 1
	v_bfe_u32 v41, v42, 16, 1
	v_add3_u32 v41, v42, v41, s10
	v_add3_u32 v37, v43, v37, s10
	v_pk_mul_f32 v[42:43], v[58:59], v[44:45] op_sel_hi:[0,1]
	v_perm_b32 v47, v37, v41, s11
	v_bfe_u32 v37, v43, 16, 1
	v_bfe_u32 v41, v42, 16, 1
	v_pk_mul_f32 v[38:39], v[58:59], v[38:39] op_sel_hi:[0,1]
	v_add3_u32 v41, v42, v41, s10
	v_add3_u32 v37, v43, v37, s10
	v_perm_b32 v42, v37, v41, s11
	v_bfe_u32 v37, v39, 16, 1
	v_bfe_u32 v41, v38, 16, 1
	v_add3_u32 v38, v38, v41, s10
	v_add3_u32 v37, v39, v37, s10
	v_perm_b32 v43, v37, v38, s11
	v_cmp_gt_u32_e32 vcc, 9, v0
	ds_write2st64_b64 v1, v[46:47], v[42:43] offset0:2 offset1:3
	s_and_saveexec_b64 s[4:5], vcc
	s_cbranch_execz .LBB564_17
; %bb.16:
	s_mov_b32 s43, 0
	v_mov_b32_e32 v37, 0
	v_lshl_add_u64 v[38:39], s[42:43], 0, v[36:37]
	v_mov_b32_e32 v36, s9
	v_mad_u64_u32 v[38:39], s[16:17], s2, v36, v[38:39]
	v_mov_b32_e32 v36, s28
	s_load_dwordx4 s[12:15], s[0:1], 0x58
	s_mul_i32 s3, s3, s9
	v_mad_u64_u32 v[36:37], s[16:17], v38, s8, v[36:37]
	v_add_u32_e32 v39, s3, v39
	v_mov_b32_e32 v38, v37
	v_mad_u64_u32 v[38:39], s[16:17], v39, s8, v[38:39]
	v_mov_b32_e32 v37, v38
	v_lshlrev_b64 v[36:37], 2, v[36:37]
	s_waitcnt lgkmcnt(0)
	v_lshl_add_u64 v[38:39], s[14:15], 0, v[36:37]
	v_lshl_add_u64 v[36:37], s[12:13], 0, v[36:37]
	global_store_dword v[38:39], v55, off
	global_store_dword v[36:37], v56, off
.LBB564_17:
	s_or_b64 exec, exec, s[4:5]
	v_lshl_or_b32 v48, v54, 9, v40
	s_waitcnt lgkmcnt(0)
	s_barrier
	ds_read_b128 v[36:39], v48
	ds_read_b128 v[40:43], v48 offset:16
	s_waitcnt vmcnt(7) lgkmcnt(1)
	v_mfma_f32_16x16x16_bf16 v[44:47], v[6:7], v[36:37], 0
	v_cmp_gt_u32_e32 vcc, 64, v0
	s_mov_b32 s3, 0
	s_and_b64 s[4:5], vcc, s[30:31]
	v_mfma_f32_16x16x16_bf16 v[6:9], v[8:9], v[38:39], v[44:47]
	s_waitcnt vmcnt(6) lgkmcnt(0)
	v_mfma_f32_16x16x16_bf16 v[6:9], v[2:3], v[40:41], v[6:9]
	v_mfma_f32_16x16x16_bf16 v[2:5], v[4:5], v[42:43], v[6:9]
	s_nop 5
	ds_read_b128 v[6:9], v48 offset:2048
	ds_read_b128 v[36:39], v48 offset:2064
	s_waitcnt vmcnt(5) lgkmcnt(1)
	v_mfma_f32_16x16x16_bf16 v[2:5], v[30:31], v[6:7], v[2:5]
	v_mfma_f32_16x16x16_bf16 v[2:5], v[32:33], v[8:9], v[2:5]
	s_waitcnt vmcnt(4) lgkmcnt(0)
	v_mfma_f32_16x16x16_bf16 v[2:5], v[26:27], v[36:37], v[2:5]
	v_mfma_f32_16x16x16_bf16 v[2:5], v[28:29], v[38:39], v[2:5]
	ds_read_b128 v[6:9], v48 offset:4096
	ds_read_b128 v[26:29], v48 offset:4112
	s_waitcnt vmcnt(3) lgkmcnt(1)
	v_mfma_f32_16x16x16_bf16 v[2:5], v[22:23], v[6:7], v[2:5]
	v_mfma_f32_16x16x16_bf16 v[2:5], v[24:25], v[8:9], v[2:5]
	s_waitcnt vmcnt(2) lgkmcnt(0)
	v_mfma_f32_16x16x16_bf16 v[2:5], v[18:19], v[26:27], v[2:5]
	v_mfma_f32_16x16x16_bf16 v[2:5], v[20:21], v[28:29], v[2:5]
	ds_read_b128 v[6:9], v48 offset:6144
	ds_read_b128 v[18:21], v48 offset:6160
	s_waitcnt lgkmcnt(0)
	s_barrier
	s_waitcnt vmcnt(1)
	v_mfma_f32_16x16x16_bf16 v[2:5], v[14:15], v[6:7], v[2:5]
	v_mfma_f32_16x16x16_bf16 v[2:5], v[16:17], v[8:9], v[2:5]
	s_waitcnt vmcnt(0)
	v_mfma_f32_16x16x16_bf16 v[2:5], v[10:11], v[18:19], v[2:5]
	v_mfma_f32_16x16x16_bf16 v[2:5], v[12:13], v[20:21], v[2:5]
	s_nop 6
	v_bfe_u32 v6, v3, 16, 1
	v_bfe_u32 v7, v2, 16, 1
	;; [unrolled: 1-line block ×4, first 2 shown]
	v_add3_u32 v2, v2, v7, s10
	v_add3_u32 v3, v3, v6, s10
	v_add3_u32 v4, v4, v9, s10
	v_add3_u32 v5, v5, v8, s10
	v_perm_b32 v2, v3, v2, s11
	v_perm_b32 v3, v5, v4, s11
	ds_write_b64 v1, v[2:3]
	s_waitcnt lgkmcnt(0)
	s_barrier
	s_and_saveexec_b64 s[10:11], s[4:5]
	s_cbranch_execz .LBB564_20
; %bb.18:
	s_load_dwordx2 s[4:5], s[0:1], 0x68
	s_lshl_b32 s0, s8, 6
	s_mul_i32 s1, s9, s2
	s_mul_hi_u32 s9, s1, s0
	s_mul_i32 s8, s1, s0
	v_lshlrev_b32_e32 v1, 10, v0
	v_lshlrev_b32_e32 v0, 4, v0
	s_lshl_b64 s[8:9], s[8:9], 1
	v_and_b32_e32 v1, 0x1800, v1
	v_lshlrev_b32_e32 v2, 5, v54
	v_and_b32_e32 v0, 16, v0
	s_waitcnt lgkmcnt(0)
	s_add_u32 s1, s4, s8
	v_or3_b32 v2, v1, v2, v0
	s_addc_u32 s4, s5, s9
	s_lshl_b32 s2, s28, 6
	s_lshl_b64 s[2:3], s[2:3], 1
	ds_read_b128 v[4:7], v2 offset:128
	ds_read_b128 v[8:11], v2
	s_add_u32 s2, s1, s2
	s_addc_u32 s3, s4, s3
	v_add_u32_e32 v3, s42, v54
	v_lshl_add_u64 v[0:1], v[34:35], 1, s[2:3]
	v_mad_u64_u32 v[12:13], s[2:3], v3, s0, 0
	v_lshl_add_u64 v[12:13], v[12:13], 1, v[0:1]
	v_add_u32_e32 v3, 4, v3
	s_waitcnt lgkmcnt(0)
	global_store_dwordx4 v[12:13], v[8:11], off
	s_nop 1
	v_mad_u64_u32 v[8:9], s[2:3], v3, s0, 0
	v_lshl_add_u64 v[8:9], v[8:9], 1, v[0:1]
	global_store_dwordx4 v[8:9], v[4:7], off
	s_and_b64 exec, exec, s[6:7]
	s_cbranch_execz .LBB564_20
; %bb.19:
	ds_read_b128 v[2:5], v2 offset:256
	v_add3_u32 v6, s42, v54, 8
	v_mad_u64_u32 v[6:7], s[0:1], v6, s0, 0
	v_lshl_add_u64 v[0:1], v[6:7], 1, v[0:1]
	s_waitcnt lgkmcnt(0)
	global_store_dwordx4 v[0:1], v[2:5], off
.LBB564_20:
	s_endpgm
	.section	.rodata,"a",@progbits
	.p2align	6, 0x0
	.amdhsa_kernel _Z39paged_attention_ll4mi_QKV_mfma16_kernelI14__hip_bfloat16S0_LN4vllm18Fp8KVCacheDataTypeE0ES0_Li32ELi64ELi256ELb0ELi9EEvPKT_PKT0_S8_ifPKiSA_SA_iPKfiiiPfSD_PS3_PT2_iSC_SC_
		.amdhsa_group_segment_fixed_size 8192
		.amdhsa_private_segment_fixed_size 0
		.amdhsa_kernarg_size 400
		.amdhsa_user_sgpr_count 2
		.amdhsa_user_sgpr_dispatch_ptr 0
		.amdhsa_user_sgpr_queue_ptr 0
		.amdhsa_user_sgpr_kernarg_segment_ptr 1
		.amdhsa_user_sgpr_dispatch_id 0
		.amdhsa_user_sgpr_kernarg_preload_length 0
		.amdhsa_user_sgpr_kernarg_preload_offset 0
		.amdhsa_user_sgpr_private_segment_size 0
		.amdhsa_uses_dynamic_stack 0
		.amdhsa_enable_private_segment 0
		.amdhsa_system_sgpr_workgroup_id_x 1
		.amdhsa_system_sgpr_workgroup_id_y 1
		.amdhsa_system_sgpr_workgroup_id_z 1
		.amdhsa_system_sgpr_workgroup_info 0
		.amdhsa_system_vgpr_workitem_id 0
		.amdhsa_next_free_vgpr 67
		.amdhsa_next_free_sgpr 48
		.amdhsa_accum_offset 68
		.amdhsa_reserve_vcc 1
		.amdhsa_float_round_mode_32 0
		.amdhsa_float_round_mode_16_64 0
		.amdhsa_float_denorm_mode_32 3
		.amdhsa_float_denorm_mode_16_64 3
		.amdhsa_dx10_clamp 1
		.amdhsa_ieee_mode 1
		.amdhsa_fp16_overflow 0
		.amdhsa_tg_split 0
		.amdhsa_exception_fp_ieee_invalid_op 0
		.amdhsa_exception_fp_denorm_src 0
		.amdhsa_exception_fp_ieee_div_zero 0
		.amdhsa_exception_fp_ieee_overflow 0
		.amdhsa_exception_fp_ieee_underflow 0
		.amdhsa_exception_fp_ieee_inexact 0
		.amdhsa_exception_int_div_zero 0
	.end_amdhsa_kernel
	.section	.text._Z39paged_attention_ll4mi_QKV_mfma16_kernelI14__hip_bfloat16S0_LN4vllm18Fp8KVCacheDataTypeE0ES0_Li32ELi64ELi256ELb0ELi9EEvPKT_PKT0_S8_ifPKiSA_SA_iPKfiiiPfSD_PS3_PT2_iSC_SC_,"axG",@progbits,_Z39paged_attention_ll4mi_QKV_mfma16_kernelI14__hip_bfloat16S0_LN4vllm18Fp8KVCacheDataTypeE0ES0_Li32ELi64ELi256ELb0ELi9EEvPKT_PKT0_S8_ifPKiSA_SA_iPKfiiiPfSD_PS3_PT2_iSC_SC_,comdat
.Lfunc_end564:
	.size	_Z39paged_attention_ll4mi_QKV_mfma16_kernelI14__hip_bfloat16S0_LN4vllm18Fp8KVCacheDataTypeE0ES0_Li32ELi64ELi256ELb0ELi9EEvPKT_PKT0_S8_ifPKiSA_SA_iPKfiiiPfSD_PS3_PT2_iSC_SC_, .Lfunc_end564-_Z39paged_attention_ll4mi_QKV_mfma16_kernelI14__hip_bfloat16S0_LN4vllm18Fp8KVCacheDataTypeE0ES0_Li32ELi64ELi256ELb0ELi9EEvPKT_PKT0_S8_ifPKiSA_SA_iPKfiiiPfSD_PS3_PT2_iSC_SC_
                                        ; -- End function
	.section	.AMDGPU.csdata,"",@progbits
; Kernel info:
; codeLenInByte = 4184
; NumSgprs: 54
; NumVgprs: 67
; NumAgprs: 0
; TotalNumVgprs: 67
; ScratchSize: 0
; MemoryBound: 0
; FloatMode: 240
; IeeeMode: 1
; LDSByteSize: 8192 bytes/workgroup (compile time only)
; SGPRBlocks: 6
; VGPRBlocks: 8
; NumSGPRsForWavesPerEU: 54
; NumVGPRsForWavesPerEU: 67
; AccumOffset: 68
; Occupancy: 7
; WaveLimiterHint : 1
; COMPUTE_PGM_RSRC2:SCRATCH_EN: 0
; COMPUTE_PGM_RSRC2:USER_SGPR: 2
; COMPUTE_PGM_RSRC2:TRAP_HANDLER: 0
; COMPUTE_PGM_RSRC2:TGID_X_EN: 1
; COMPUTE_PGM_RSRC2:TGID_Y_EN: 1
; COMPUTE_PGM_RSRC2:TGID_Z_EN: 1
; COMPUTE_PGM_RSRC2:TIDIG_COMP_CNT: 0
; COMPUTE_PGM_RSRC3_GFX90A:ACCUM_OFFSET: 16
; COMPUTE_PGM_RSRC3_GFX90A:TG_SPLIT: 0
	.section	.text._Z39paged_attention_ll4mi_QKV_mfma16_kernelI14__hip_bfloat16S0_LN4vllm18Fp8KVCacheDataTypeE0ES0_Li32ELi64ELi256ELb0ELi10EEvPKT_PKT0_S8_ifPKiSA_SA_iPKfiiiPfSD_PS3_PT2_iSC_SC_,"axG",@progbits,_Z39paged_attention_ll4mi_QKV_mfma16_kernelI14__hip_bfloat16S0_LN4vllm18Fp8KVCacheDataTypeE0ES0_Li32ELi64ELi256ELb0ELi10EEvPKT_PKT0_S8_ifPKiSA_SA_iPKfiiiPfSD_PS3_PT2_iSC_SC_,comdat
	.protected	_Z39paged_attention_ll4mi_QKV_mfma16_kernelI14__hip_bfloat16S0_LN4vllm18Fp8KVCacheDataTypeE0ES0_Li32ELi64ELi256ELb0ELi10EEvPKT_PKT0_S8_ifPKiSA_SA_iPKfiiiPfSD_PS3_PT2_iSC_SC_ ; -- Begin function _Z39paged_attention_ll4mi_QKV_mfma16_kernelI14__hip_bfloat16S0_LN4vllm18Fp8KVCacheDataTypeE0ES0_Li32ELi64ELi256ELb0ELi10EEvPKT_PKT0_S8_ifPKiSA_SA_iPKfiiiPfSD_PS3_PT2_iSC_SC_
	.globl	_Z39paged_attention_ll4mi_QKV_mfma16_kernelI14__hip_bfloat16S0_LN4vllm18Fp8KVCacheDataTypeE0ES0_Li32ELi64ELi256ELb0ELi10EEvPKT_PKT0_S8_ifPKiSA_SA_iPKfiiiPfSD_PS3_PT2_iSC_SC_
	.p2align	8
	.type	_Z39paged_attention_ll4mi_QKV_mfma16_kernelI14__hip_bfloat16S0_LN4vllm18Fp8KVCacheDataTypeE0ES0_Li32ELi64ELi256ELb0ELi10EEvPKT_PKT0_S8_ifPKiSA_SA_iPKfiiiPfSD_PS3_PT2_iSC_SC_,@function
_Z39paged_attention_ll4mi_QKV_mfma16_kernelI14__hip_bfloat16S0_LN4vllm18Fp8KVCacheDataTypeE0ES0_Li32ELi64ELi256ELb0ELi10EEvPKT_PKT0_S8_ifPKiSA_SA_iPKfiiiPfSD_PS3_PT2_iSC_SC_: ; @_Z39paged_attention_ll4mi_QKV_mfma16_kernelI14__hip_bfloat16S0_LN4vllm18Fp8KVCacheDataTypeE0ES0_Li32ELi64ELi256ELb0ELi10EEvPKT_PKT0_S8_ifPKiSA_SA_iPKfiiiPfSD_PS3_PT2_iSC_SC_
; %bb.0:
	s_load_dwordx2 s[6:7], s[0:1], 0x30
	s_mov_b32 s28, s3
	s_mov_b64 s[10:11], 0
	s_waitcnt lgkmcnt(0)
	s_cmp_lg_u64 s[6:7], 0
	s_cselect_b64 s[8:9], -1, 0
	s_and_b64 vcc, exec, s[8:9]
	s_cbranch_vccz .LBB565_7
; %bb.1:
	s_add_i32 s12, s2, 1
	s_mov_b32 s13, 0
	s_lshl_b64 s[14:15], s[12:13], 2
	s_add_u32 s14, s6, s14
	s_mov_b32 s3, s13
	s_addc_u32 s15, s7, s15
	s_lshl_b64 s[12:13], s[2:3], 2
	s_add_u32 s12, s6, s12
	s_addc_u32 s13, s7, s13
	s_load_dword s5, s[14:15], 0x0
	s_load_dword s16, s[12:13], 0x0
	s_waitcnt lgkmcnt(0)
	s_sub_i32 s5, s5, s16
	s_cmp_eq_u32 s5, 1
	s_cselect_b64 s[12:13], -1, 0
	s_andn2_b64 vcc, exec, s[10:11]
	s_cbranch_vccnz .LBB565_3
.LBB565_2:
	s_mov_b32 s3, 0
	s_mov_b64 s[12:13], -1
.LBB565_3:
	s_andn2_b64 vcc, exec, s[12:13]
	s_cbranch_vccnz .LBB565_20
; %bb.4:
	s_load_dwordx2 s[12:13], s[0:1], 0x28
	s_lshl_b64 s[10:11], s[2:3], 2
	s_waitcnt lgkmcnt(0)
	s_add_u32 s12, s12, s10
	s_addc_u32 s13, s13, s11
	s_load_dword s33, s[12:13], 0x0
	s_lshl_b32 s14, s28, 8
	s_waitcnt lgkmcnt(0)
	s_cmp_ge_i32 s14, s33
	s_cbranch_scc1 .LBB565_20
; %bb.5:
	s_load_dwordx2 s[12:13], s[0:1], 0x20
	s_load_dword s5, s[0:1], 0x38
	s_add_i32 s15, s33, 31
	s_ashr_i32 s16, s15, 31
	v_and_b32_e32 v1, 0xcf, v0
	s_lshr_b32 s16, s16, 27
	v_add_u32_e32 v1, s14, v1
	s_add_i32 s15, s15, s16
	v_ashrrev_i32_e32 v2, 31, v1
	s_ashr_i32 s15, s15, 5
	v_lshrrev_b32_e32 v10, 27, v2
	s_add_i32 s15, s15, -1
	s_waitcnt lgkmcnt(0)
	s_mul_i32 s16, s2, s5
	s_mov_b32 s17, 0
	v_add_u32_e32 v2, v1, v10
	s_lshl_b64 s[16:17], s[16:17], 2
	v_ashrrev_i32_e32 v2, 5, v2
	v_mov_b32_e32 v11, s15
	v_cmp_gt_i32_e32 vcc, s33, v1
	s_add_u32 s12, s12, s16
	s_addc_u32 s13, s13, s17
	v_cndmask_b32_e32 v2, v11, v2, vcc
	v_ashrrev_i32_e32 v3, 31, v2
	v_lshl_add_u64 v[4:5], v[2:3], 2, s[12:13]
	v_or_b32_e32 v2, 16, v1
	v_add_u32_e32 v3, v2, v10
	v_ashrrev_i32_e32 v3, 5, v3
	v_cmp_gt_i32_e32 vcc, s33, v2
	s_nop 1
	v_cndmask_b32_e32 v2, v11, v3, vcc
	v_ashrrev_i32_e32 v3, 31, v2
	v_lshl_add_u64 v[6:7], v[2:3], 2, s[12:13]
	v_or_b32_e32 v2, 32, v1
	v_add_u32_e32 v3, v2, v10
	v_ashrrev_i32_e32 v3, 5, v3
	v_cmp_gt_i32_e32 vcc, s33, v2
	v_or_b32_e32 v1, 48, v1
	s_nop 0
	v_cndmask_b32_e32 v2, v11, v3, vcc
	v_ashrrev_i32_e32 v3, 31, v2
	v_lshl_add_u64 v[8:9], v[2:3], 2, s[12:13]
	v_add_u32_e32 v2, v1, v10
	v_ashrrev_i32_e32 v2, 5, v2
	v_cmp_gt_i32_e32 vcc, s33, v1
	s_nop 1
	v_cndmask_b32_e32 v2, v11, v2, vcc
	v_ashrrev_i32_e32 v3, 31, v2
	v_lshl_add_u64 v[12:13], v[2:3], 2, s[12:13]
	global_load_dword v3, v[4:5], off
	global_load_dword v2, v[6:7], off
	;; [unrolled: 1-line block ×4, first 2 shown]
	s_andn2_b64 vcc, exec, s[8:9]
	s_cbranch_vccnz .LBB565_8
; %bb.6:
	s_add_u32 s6, s6, s10
	s_addc_u32 s7, s7, s11
	s_load_dword s5, s[6:7], 0x0
	s_branch .LBB565_9
.LBB565_7:
	s_mov_b64 s[12:13], 0
	s_branch .LBB565_2
.LBB565_8:
	s_mov_b32 s5, s2
.LBB565_9:
	s_load_dwordx4 s[8:11], s[0:1], 0x8
	s_load_dwordx4 s[44:47], s[0:1], 0x48
	v_lshrrev_b32_e32 v1, 6, v0
	v_bfe_u32 v54, v0, 4, 2
	v_lshl_or_b32 v4, v1, 2, v54
	v_and_b32_e32 v36, 15, v0
	v_cmp_lt_u32_e32 vcc, 9, v4
	v_cmp_lt_u32_e64 s[6:7], 7, v36
	v_lshlrev_b32_e32 v34, 3, v36
	v_cmp_gt_u32_e64 s[30:31], 8, v36
	s_or_b64 s[6:7], s[6:7], vcc
	s_and_saveexec_b64 s[16:17], s[6:7]
	s_xor_b64 s[6:7], exec, s[16:17]
; %bb.10:
	v_mov_b32_e32 v35, 0
                                        ; implicit-def: $vgpr4
; %bb.11:
	s_or_saveexec_b64 s[6:7], s[6:7]
	v_and_b32_e32 v37, 63, v0
	s_mul_i32 s42, s4, 10
	s_xor_b64 exec, exec, s[6:7]
	s_cbranch_execz .LBB565_13
; %bb.12:
	s_load_dwordx2 s[16:17], s[0:1], 0x0
	s_waitcnt lgkmcnt(0)
	s_ashr_i32 s18, s44, 31
	s_mul_hi_u32 s19, s5, s44
	s_mul_i32 s18, s5, s18
	s_add_i32 s19, s19, s18
	s_mul_i32 s18, s5, s44
	s_lshl_b64 s[18:19], s[18:19], 1
	s_add_u32 s16, s16, s18
	v_add_lshl_u32 v6, v4, s42, 6
	s_addc_u32 s17, s17, s19
	v_ashrrev_i32_e32 v7, 31, v6
	v_mov_b32_e32 v35, 0
	v_lshl_add_u64 v[6:7], v[6:7], 1, s[16:17]
	v_lshlrev_b32_e32 v8, 1, v34
	v_mov_b32_e32 v9, v35
	v_lshl_add_u64 v[6:7], v[6:7], 0, v[8:9]
	global_load_dwordx4 v[6:9], v[6:7], off
	v_and_b32_e32 v5, 3, v0
	v_lshlrev_b32_e32 v11, 9, v36
	v_lshlrev_b32_e32 v4, 5, v4
	;; [unrolled: 1-line block ×3, first 2 shown]
	v_and_b32_e32 v11, 0x1800, v11
	v_or3_b32 v4, v11, v5, v4
	s_waitcnt vmcnt(0)
	ds_write_b128 v4, v[6:9]
.LBB565_13:
	s_or_b64 exec, exec, s[6:7]
	s_waitcnt lgkmcnt(0)
	s_mul_i32 s4, s4, s46
	s_mov_b32 s5, 0
	s_lshl_b64 s[4:5], s[4:5], 1
	s_add_u32 s8, s8, s4
	s_addc_u32 s9, s9, s5
	s_waitcnt vmcnt(3)
	v_mad_i64_i32 v[4:5], s[16:17], v3, s45, 0
	v_lshl_add_u64 v[4:5], v[4:5], 1, s[8:9]
	v_lshlrev_b64 v[12:13], 1, v[34:35]
	v_lshlrev_b32_e32 v38, 9, v54
	v_lshl_add_u64 v[4:5], v[4:5], 0, v[12:13]
	v_mov_b32_e32 v39, 0
	v_lshl_add_u64 v[14:15], v[4:5], 0, v[38:39]
	s_waitcnt vmcnt(2)
	v_mad_i64_i32 v[2:3], s[16:17], v2, s45, 0
	v_mov_b32_e32 v4, 0x100
	v_lshl_add_u64 v[2:3], v[2:3], 1, s[8:9]
	v_lshl_or_b32 v40, v36, 4, v4
	v_mov_b32_e32 v41, v39
	s_load_dword s29, s[0:1], 0x98
	s_load_dword s6, s[0:1], 0x1c
	s_waitcnt lgkmcnt(0)
	s_barrier
	v_lshl_add_u64 v[2:3], v[2:3], 0, v[40:41]
	global_load_dwordx4 v[6:9], v[14:15], off
	global_load_dwordx4 v[22:25], v[14:15], off offset:2048
	v_lshl_add_u64 v[18:19], v[2:3], 0, v[38:39]
	global_load_dwordx4 v[2:5], v[18:19], off
	global_load_dwordx4 v[26:29], v[18:19], off offset:2048
	s_waitcnt vmcnt(5)
	v_mad_i64_i32 v[10:11], s[16:17], v10, s45, 0
	v_lshl_add_u64 v[10:11], v[10:11], 1, s[8:9]
	v_lshl_add_u64 v[10:11], v[10:11], 0, v[12:13]
	;; [unrolled: 1-line block ×3, first 2 shown]
	global_load_dwordx4 v[10:13], v[20:21], off
	global_load_dwordx4 v[30:33], v[20:21], off offset:2048
	s_waitcnt vmcnt(6)
	v_mad_i64_i32 v[42:43], s[16:17], v16, s45, 0
	v_add_u32_e32 v17, -10, v36
	v_cmp_gt_u32_e32 vcc, 10, v36
	v_lshl_add_u64 v[42:43], v[42:43], 1, s[8:9]
	v_lshl_add_u64 v[40:41], v[42:43], 0, v[40:41]
	v_cndmask_b32_e32 v14, v17, v36, vcc
	v_lshl_add_u32 v14, v14, 5, v38
	v_lshl_add_u64 v[40:41], v[40:41], 0, v[38:39]
	ds_read_b128 v[18:21], v14
	ds_read_b128 v[14:17], v14 offset:2048
	global_load_dwordx4 v[46:49], v[40:41], off
	global_load_dwordx4 v[60:63], v[40:41], off offset:2048
	s_ashr_i32 s7, s14, 31
	v_and_or_b32 v55, v0, 48, s14
	s_lshr_b32 s7, s7, 27
	v_add_u32_e32 v42, s7, v55
	v_mov_b32_e32 v64, s15
	v_or_b32_e32 v50, 64, v55
	v_ashrrev_i32_e32 v38, 5, v42
	v_cmp_gt_i32_e32 vcc, s33, v55
	v_add_u32_e32 v43, s7, v50
	v_ashrrev_i32_e32 v51, 5, v43
	v_cndmask_b32_e32 v42, v64, v38, vcc
	v_ashrrev_i32_e32 v43, 31, v42
	v_lshl_add_u64 v[42:43], v[42:43], 2, s[12:13]
	v_cmp_gt_i32_e32 vcc, s33, v50
	global_load_dword v65, v[42:43], off
	v_or_b32_e32 v40, 0x80, v55
	v_or_b32_e32 v41, 0xc0, v55
	v_and_b32_e32 v38, 16, v0
	s_add_u32 s4, s10, s4
	s_addc_u32 s5, s11, s5
	v_lshlrev_b32_e32 v38, 1, v38
	s_mov_b32 s43, 0xff7fffff
	s_waitcnt vmcnt(8) lgkmcnt(1)
	v_mfma_f32_16x16x16_bf16 v[42:45], v[6:7], v[18:19], 0
	v_cndmask_b32_e32 v6, v64, v51, vcc
	v_ashrrev_i32_e32 v7, 31, v6
	v_cmp_gt_i32_e32 vcc, s33, v40
	s_waitcnt vmcnt(6)
	v_mfma_f32_16x16x16_bf16 v[50:53], v[2:3], v[18:19], 0
	v_lshl_add_u64 v[2:3], v[6:7], 2, s[12:13]
	global_load_dword v66, v[2:3], off
	v_mfma_f32_16x16x16_bf16 v[6:9], v[8:9], v[20:21], v[42:45]
	v_mfma_f32_16x16x16_bf16 v[2:5], v[4:5], v[20:21], v[50:53]
	s_nop 1
	v_add_u32_e32 v42, s7, v40
	v_add_u32_e32 v43, s7, v41
	v_ashrrev_i32_e32 v42, 5, v42
	s_waitcnt lgkmcnt(0)
	v_mfma_f32_16x16x16_bf16 v[6:9], v[22:23], v[14:15], v[6:9]
	v_lshlrev_b32_e32 v45, 6, v36
	v_ashrrev_i32_e32 v43, 5, v43
	v_cndmask_b32_e32 v44, v64, v42, vcc
	s_waitcnt vmcnt(5)
	v_mfma_f32_16x16x16_bf16 v[56:59], v[10:11], v[18:19], 0
	v_cmp_gt_i32_e32 vcc, s33, v41
	v_lshl_add_u64 v[50:51], s[4:5], 0, v[38:39]
	v_lshl_or_b32 v38, v1, 10, v45
	v_mfma_f32_16x16x16_bf16 v[2:5], v[26:27], v[14:15], v[2:5]
	v_cndmask_b32_e32 v26, v64, v43, vcc
	v_ashrrev_i32_e32 v45, 31, v44
	v_ashrrev_i32_e32 v27, 31, v26
	v_mfma_f32_16x16x16_bf16 v[22:25], v[24:25], v[16:17], v[6:9]
	s_nop 2
	v_lshl_add_u64 v[6:7], v[44:45], 2, s[12:13]
	v_mfma_f32_16x16x16_bf16 v[10:13], v[12:13], v[20:21], v[56:59]
	v_lshl_add_u64 v[8:9], v[26:27], 2, s[12:13]
	global_load_dword v55, v[6:7], off
	s_nop 0
	global_load_dword v58, v[8:9], off
	s_waitcnt vmcnt(6)
	v_mfma_f32_16x16x16_bf16 v[40:43], v[30:31], v[14:15], v[10:13]
	s_nop 2
	v_lshl_add_u64 v[10:11], v[50:51], 0, v[38:39]
	v_mfma_f32_16x16x16_bf16 v[30:33], v[32:33], v[16:17], v[40:43]
	v_pk_mul_f32 v[50:51], s[6:7], v[24:25] op_sel_hi:[0,1]
	s_waitcnt vmcnt(2)
	v_mad_i64_i32 v[12:13], s[4:5], v66, s45, 0
	v_mfma_f32_16x16x16_bf16 v[38:41], v[46:47], v[18:19], 0
	v_lshl_add_u64 v[56:57], v[12:13], 1, v[10:11]
	v_pk_mul_f32 v[12:13], s[6:7], v[22:23] op_sel_hi:[0,1]
	s_nop 0
	v_pk_mul_f32 v[46:47], s[6:7], v[30:31] op_sel_hi:[0,1]
	v_mfma_f32_16x16x16_bf16 v[18:21], v[48:49], v[20:21], v[38:41]
	v_pk_mul_f32 v[48:49], s[6:7], v[32:33] op_sel_hi:[0,1]
	v_mfma_f32_16x16x16_bf16 v[18:21], v[60:61], v[14:15], v[18:21]
	v_mfma_f32_16x16x16_bf16 v[26:29], v[28:29], v[16:17], v[2:5]
	;; [unrolled: 1-line block ×3, first 2 shown]
	s_nop 1
	v_mad_i64_i32 v[2:3], s[4:5], v65, s45, 0
	s_nop 2
	v_pk_mul_f32 v[42:43], s[6:7], v[26:27] op_sel_hi:[0,1]
	v_pk_mul_f32 v[52:53], s[6:7], v[28:29] op_sel_hi:[0,1]
	v_lshl_add_u64 v[2:3], v[2:3], 1, v[10:11]
	v_pk_mul_f32 v[44:45], s[6:7], v[14:15] op_sel_hi:[0,1]
	v_and_b32_e32 v14, 0xc0, v0
	v_add_u32_e32 v14, s14, v14
	v_lshl_or_b32 v14, v54, 2, v14
	v_pk_mul_f32 v[38:39], s[6:7], v[16:17] op_sel_hi:[0,1]
	v_or_b32_e32 v17, 1, v14
	v_mov_b32_e32 v15, 0xff7fffff
	v_cmp_gt_i32_e64 s[4:5], s33, v14
	v_cmp_gt_i32_e64 s[34:35], s33, v17
	v_or_b32_e32 v18, 3, v14
	v_cndmask_b32_e64 v16, v15, v12, s[4:5]
	v_cndmask_b32_e64 v17, v15, v13, s[34:35]
	v_max3_f32 v16, v16, s43, v17
	v_or_b32_e32 v17, 2, v14
	v_cmp_gt_i32_e64 s[36:37], s33, v17
	v_cmp_gt_i32_e64 s[38:39], s33, v18
	global_load_dwordx4 v[6:9], v[2:3], off
	s_nop 0
	global_load_dwordx4 v[2:5], v[2:3], off offset:16
	v_cndmask_b32_e64 v17, v15, v50, s[36:37]
	v_cndmask_b32_e64 v18, v15, v51, s[38:39]
	v_max3_f32 v16, v16, v17, v18
	v_or_b32_e32 v17, 16, v14
	v_or_b32_e32 v18, 17, v14
	v_cmp_gt_i32_e64 s[24:25], s33, v17
	v_cmp_gt_i32_e64 s[26:27], s33, v18
	global_load_dwordx4 v[30:33], v[56:57], off
	global_load_dwordx4 v[26:29], v[56:57], off offset:16
	v_cndmask_b32_e64 v17, v15, v42, s[24:25]
	v_cndmask_b32_e64 v18, v15, v43, s[26:27]
	v_max3_f32 v16, v16, v17, v18
	v_or_b32_e32 v17, 18, v14
	v_or_b32_e32 v18, 19, v14
	v_cmp_gt_i32_e64 s[20:21], s33, v17
	v_cmp_gt_i32_e64 s[22:23], s33, v18
	s_nop 0
	v_cndmask_b32_e64 v17, v15, v52, s[20:21]
	v_cndmask_b32_e64 v18, v15, v53, s[22:23]
	v_max3_f32 v16, v16, v17, v18
	v_or_b32_e32 v17, 32, v14
	v_or_b32_e32 v18, 33, v14
	v_cmp_gt_i32_e64 s[16:17], s33, v17
	v_cmp_gt_i32_e64 s[18:19], s33, v18
	s_nop 0
	;; [unrolled: 8-line block ×4, first 2 shown]
	v_cndmask_b32_e64 v17, v15, v44, s[8:9]
	v_cndmask_b32_e64 v18, v15, v45, s[10:11]
	v_max3_f32 v16, v16, v17, v18
	v_or_b32_e32 v17, 50, v14
	v_or_b32_e32 v14, 51, v14
	v_cmp_gt_i32_e32 vcc, s33, v17
	v_cmp_gt_i32_e64 s[6:7], s33, v14
	s_nop 0
	v_cndmask_b32_e32 v17, v15, v38, vcc
	v_cndmask_b32_e64 v14, v15, v39, s[6:7]
	v_max3_f32 v16, v16, v17, v14
	v_mbcnt_lo_u32_b32 v14, -1, 0
	v_mbcnt_hi_u32_b32 v17, -1, v14
	v_and_b32_e32 v14, 64, v17
	v_add_u32_e32 v18, 64, v14
	v_xor_b32_e32 v14, 32, v17
	v_cmp_lt_i32_e64 s[40:41], v14, v18
	s_nop 1
	v_cndmask_b32_e64 v14, v17, v14, s[40:41]
	v_lshlrev_b32_e32 v59, 2, v14
	ds_bpermute_b32 v19, v59, v16
	s_waitcnt vmcnt(5)
	v_mad_i64_i32 v[14:15], s[40:41], v55, s45, 0
	v_lshl_add_u64 v[14:15], v[14:15], 1, v[10:11]
	s_waitcnt lgkmcnt(0)
	v_max_f32_e32 v19, v19, v19
	v_max_f32_e32 v16, v16, v19
	v_xor_b32_e32 v19, 16, v17
	v_cmp_lt_i32_e64 s[40:41], v19, v18
	s_nop 1
	v_cndmask_b32_e64 v17, v17, v19, s[40:41]
	v_lshlrev_b32_e32 v57, 2, v17
	ds_bpermute_b32 v17, v57, v16
	global_load_dwordx4 v[22:25], v[14:15], off
	global_load_dwordx4 v[18:21], v[14:15], off offset:16
	s_waitcnt vmcnt(6)
	v_mad_i64_i32 v[14:15], s[40:41], v58, s45, 0
	v_lshl_add_u64 v[10:11], v[14:15], 1, v[10:11]
	s_waitcnt lgkmcnt(0)
	v_max_f32_e32 v14, v17, v17
	v_max_f32_e32 v55, v16, v14
	v_sub_f32_e32 v12, v12, v55
	v_mul_f32_e32 v12, 0x3fb8aa3b, v12
	v_exp_f32_e32 v40, v12
	v_sub_f32_e32 v12, v13, v55
	v_mul_f32_e32 v12, 0x3fb8aa3b, v12
	v_exp_f32_e32 v41, v12
	global_load_dwordx4 v[14:17], v[10:11], off
	s_nop 0
	global_load_dwordx4 v[10:13], v[10:11], off offset:16
	v_sub_f32_e32 v50, v50, v55
	v_mul_f32_e32 v50, 0x3fb8aa3b, v50
	v_sub_f32_e32 v51, v51, v55
	v_exp_f32_e32 v50, v50
	v_mul_f32_e32 v51, 0x3fb8aa3b, v51
	v_sub_f32_e32 v42, v42, v55
	v_exp_f32_e32 v51, v51
	v_mul_f32_e32 v42, 0x3fb8aa3b, v42
	v_sub_f32_e32 v43, v43, v55
	v_cndmask_b32_e64 v40, 0, v40, s[4:5]
	v_exp_f32_e32 v42, v42
	v_mul_f32_e32 v43, 0x3fb8aa3b, v43
	v_sub_f32_e32 v52, v52, v55
	v_add_f32_e32 v56, 0, v40
	v_cndmask_b32_e64 v41, 0, v41, s[34:35]
	v_exp_f32_e32 v43, v43
	v_mul_f32_e32 v52, 0x3fb8aa3b, v52
	v_sub_f32_e32 v53, v53, v55
	v_add_f32_e32 v56, v56, v41
	;; [unrolled: 5-line block ×10, first 2 shown]
	v_cndmask_b32_e64 v48, 0, v48, s[12:13]
	v_exp_f32_e32 v38, v38
	v_mul_f32_e32 v39, 0x3fb8aa3b, v39
	v_add_f32_e32 v56, v56, v48
	v_cndmask_b32_e64 v49, 0, v49, s[14:15]
	v_exp_f32_e32 v39, v39
	v_add_f32_e32 v56, v56, v49
	v_cndmask_b32_e64 v44, 0, v44, s[8:9]
	v_add_f32_e32 v56, v56, v44
	v_cndmask_b32_e64 v45, 0, v45, s[10:11]
	v_add_f32_e32 v56, v56, v45
	v_cndmask_b32_e32 v38, 0, v38, vcc
	v_add_f32_e32 v56, v56, v38
	v_cndmask_b32_e64 v39, 0, v39, s[6:7]
	v_add_f32_e32 v56, v56, v39
	ds_bpermute_b32 v58, v59, v56
	v_cmp_gt_u32_e32 vcc, 16, v37
	v_lshlrev_b32_e32 v37, 2, v36
	s_waitcnt lgkmcnt(0)
	s_barrier
	v_add_f32_e32 v56, v56, v58
	ds_bpermute_b32 v57, v57, v56
	s_waitcnt lgkmcnt(0)
	s_and_saveexec_b64 s[4:5], vcc
	s_cbranch_execz .LBB565_15
; %bb.14:
	v_add_f32_e32 v56, v56, v57
	v_lshl_or_b32 v57, v1, 6, v37
	ds_write2st64_b32 v57, v55, v56 offset1:1
.LBB565_15:
	s_or_b64 exec, exec, s[4:5]
	s_load_dword s6, s[0:1], 0x94
	s_waitcnt lgkmcnt(0)
	s_barrier
	ds_read2_b32 v[56:57], v37 offset1:16
	ds_read2_b32 v[58:59], v37 offset0:32 offset1:48
	ds_read2_b32 v[60:61], v37 offset0:64 offset1:80
	;; [unrolled: 1-line block ×3, first 2 shown]
	s_movk_i32 s8, 0x7fff
	s_waitcnt lgkmcnt(3)
	v_max3_f32 v55, v56, s43, v57
	s_waitcnt lgkmcnt(2)
	v_max3_f32 v55, v55, v58, v59
	v_sub_f32_e32 v56, v56, v55
	v_mul_f32_e32 v56, 0x3fb8aa3b, v56
	v_exp_f32_e32 v64, v56
	v_sub_f32_e32 v56, v57, v55
	v_mul_f32_e32 v56, 0x3fb8aa3b, v56
	v_exp_f32_e32 v57, v56
	v_sub_f32_e32 v56, v58, v55
	v_mul_f32_e32 v56, 0x3fb8aa3b, v56
	v_sub_f32_e32 v37, v59, v55
	v_exp_f32_e32 v58, v56
	v_mul_f32_e32 v37, 0x3fb8aa3b, v37
	v_exp_f32_e32 v37, v37
	s_waitcnt lgkmcnt(1)
	v_fma_f32 v56, v64, v60, 0
	v_fmac_f32_e32 v56, v57, v61
	s_waitcnt lgkmcnt(0)
	v_fmac_f32_e32 v56, v58, v62
	v_fmac_f32_e32 v56, v37, v63
	v_add_f32_e32 v59, 0x358637bd, v56
	v_div_scale_f32 v60, s[4:5], v59, v59, 1.0
	v_rcp_f32_e32 v61, v60
	s_mov_b32 s9, 0x7060302
	s_barrier
	v_fma_f32 v62, -v60, v61, 1.0
	v_fmac_f32_e32 v61, v62, v61
	v_div_scale_f32 v62, vcc, 1.0, v59, 1.0
	v_mul_f32_e32 v63, v62, v61
	v_fma_f32 v65, -v60, v63, v62
	v_fmac_f32_e32 v63, v65, v61
	v_fma_f32 v60, -v60, v63, v62
	v_div_fmas_f32 v60, v60, v61, v63
	v_cmp_eq_u32_e32 vcc, 1, v1
	v_div_fixup_f32 v59, v60, v59, 1.0
	s_nop 0
	v_cndmask_b32_e32 v57, v64, v57, vcc
	v_cmp_eq_u32_e32 vcc, 2, v1
	s_mul_i32 s7, s29, 10
	s_nop 0
	v_cndmask_b32_e32 v57, v57, v58, vcc
	v_cmp_eq_u32_e32 vcc, 3, v1
	v_lshlrev_b32_e32 v1, 11, v1
	s_nop 0
	v_cndmask_b32_e32 v37, v57, v37, vcc
	v_mul_f32_e32 v58, v37, v59
	v_pk_mul_f32 v[40:41], v[58:59], v[40:41] op_sel_hi:[0,1]
	v_bfe_u32 v37, v41, 16, 1
	v_bfe_u32 v57, v40, 16, 1
	v_pk_mul_f32 v[50:51], v[58:59], v[50:51] op_sel_hi:[0,1]
	v_add3_u32 v40, v40, v57, s8
	v_add3_u32 v37, v41, v37, s8
	v_perm_b32 v60, v37, v40, s9
	v_bfe_u32 v37, v51, 16, 1
	v_bfe_u32 v40, v50, 16, 1
	v_add3_u32 v40, v50, v40, s8
	v_add3_u32 v37, v51, v37, s8
	v_perm_b32 v61, v37, v40, s9
	v_lshlrev_b32_e32 v37, 3, v54
	v_lshlrev_b32_e32 v40, 5, v36
	v_pk_mul_f32 v[42:43], v[58:59], v[42:43] op_sel_hi:[0,1]
	v_or3_b32 v1, v1, v40, v37
	v_bfe_u32 v37, v43, 16, 1
	v_bfe_u32 v41, v42, 16, 1
	v_pk_mul_f32 v[50:51], v[58:59], v[52:53] op_sel_hi:[0,1]
	v_add3_u32 v41, v42, v41, s8
	v_add3_u32 v37, v43, v37, s8
	v_perm_b32 v42, v37, v41, s9
	v_bfe_u32 v37, v51, 16, 1
	v_bfe_u32 v41, v50, 16, 1
	v_add3_u32 v41, v50, v41, s8
	v_add3_u32 v37, v51, v37, s8
	v_pk_mul_f32 v[46:47], v[58:59], v[46:47] op_sel_hi:[0,1]
	v_perm_b32 v43, v37, v41, s9
	v_bfe_u32 v37, v47, 16, 1
	v_bfe_u32 v41, v46, 16, 1
	ds_write2st64_b64 v1, v[60:61], v[42:43] offset1:1
	v_pk_mul_f32 v[42:43], v[58:59], v[48:49] op_sel_hi:[0,1]
	v_add3_u32 v41, v46, v41, s8
	v_add3_u32 v37, v47, v37, s8
	v_perm_b32 v46, v37, v41, s9
	v_bfe_u32 v37, v43, 16, 1
	v_bfe_u32 v41, v42, 16, 1
	v_add3_u32 v41, v42, v41, s8
	v_add3_u32 v37, v43, v37, s8
	v_pk_mul_f32 v[42:43], v[58:59], v[44:45] op_sel_hi:[0,1]
	v_perm_b32 v47, v37, v41, s9
	v_bfe_u32 v37, v43, 16, 1
	v_bfe_u32 v41, v42, 16, 1
	v_pk_mul_f32 v[38:39], v[58:59], v[38:39] op_sel_hi:[0,1]
	v_add3_u32 v41, v42, v41, s8
	v_add3_u32 v37, v43, v37, s8
	v_perm_b32 v42, v37, v41, s9
	v_bfe_u32 v37, v39, 16, 1
	v_bfe_u32 v41, v38, 16, 1
	v_add3_u32 v38, v38, v41, s8
	v_add3_u32 v37, v39, v37, s8
	v_perm_b32 v43, v37, v38, s9
	v_cmp_gt_u32_e32 vcc, 10, v0
	ds_write2st64_b64 v1, v[46:47], v[42:43] offset0:2 offset1:3
	s_and_saveexec_b64 s[4:5], vcc
	s_cbranch_execz .LBB565_17
; %bb.16:
	s_mov_b32 s43, 0
	v_mov_b32_e32 v37, 0
	v_lshl_add_u64 v[38:39], s[42:43], 0, v[36:37]
	v_mov_b32_e32 v36, s7
	v_mad_u64_u32 v[38:39], s[10:11], s2, v36, v[38:39]
	v_mov_b32_e32 v36, s28
	s_load_dwordx4 s[12:15], s[0:1], 0x58
	s_mul_i32 s3, s3, s7
	v_mad_u64_u32 v[36:37], s[10:11], v38, s6, v[36:37]
	v_add_u32_e32 v39, s3, v39
	v_mov_b32_e32 v38, v37
	v_mad_u64_u32 v[38:39], s[10:11], v39, s6, v[38:39]
	v_mov_b32_e32 v37, v38
	v_lshlrev_b64 v[36:37], 2, v[36:37]
	s_waitcnt lgkmcnt(0)
	v_lshl_add_u64 v[38:39], s[14:15], 0, v[36:37]
	v_lshl_add_u64 v[36:37], s[12:13], 0, v[36:37]
	global_store_dword v[38:39], v55, off
	global_store_dword v[36:37], v56, off
.LBB565_17:
	s_or_b64 exec, exec, s[4:5]
	v_lshl_or_b32 v48, v54, 9, v40
	s_waitcnt lgkmcnt(0)
	s_barrier
	ds_read_b128 v[36:39], v48
	ds_read_b128 v[40:43], v48 offset:16
	s_waitcnt vmcnt(7) lgkmcnt(1)
	v_mfma_f32_16x16x16_bf16 v[44:47], v[6:7], v[36:37], 0
	v_cmp_gt_u32_e32 vcc, 64, v0
	s_mov_b32 s3, 0
	s_and_b64 s[4:5], vcc, s[30:31]
	v_mfma_f32_16x16x16_bf16 v[6:9], v[8:9], v[38:39], v[44:47]
	s_waitcnt vmcnt(6) lgkmcnt(0)
	v_mfma_f32_16x16x16_bf16 v[6:9], v[2:3], v[40:41], v[6:9]
	v_mfma_f32_16x16x16_bf16 v[2:5], v[4:5], v[42:43], v[6:9]
	s_nop 5
	ds_read_b128 v[6:9], v48 offset:2048
	ds_read_b128 v[36:39], v48 offset:2064
	s_waitcnt vmcnt(5) lgkmcnt(1)
	v_mfma_f32_16x16x16_bf16 v[2:5], v[30:31], v[6:7], v[2:5]
	v_mfma_f32_16x16x16_bf16 v[2:5], v[32:33], v[8:9], v[2:5]
	s_waitcnt vmcnt(4) lgkmcnt(0)
	v_mfma_f32_16x16x16_bf16 v[2:5], v[26:27], v[36:37], v[2:5]
	v_mfma_f32_16x16x16_bf16 v[2:5], v[28:29], v[38:39], v[2:5]
	ds_read_b128 v[6:9], v48 offset:4096
	ds_read_b128 v[26:29], v48 offset:4112
	s_waitcnt vmcnt(3) lgkmcnt(1)
	v_mfma_f32_16x16x16_bf16 v[2:5], v[22:23], v[6:7], v[2:5]
	v_mfma_f32_16x16x16_bf16 v[2:5], v[24:25], v[8:9], v[2:5]
	s_waitcnt vmcnt(2) lgkmcnt(0)
	v_mfma_f32_16x16x16_bf16 v[2:5], v[18:19], v[26:27], v[2:5]
	v_mfma_f32_16x16x16_bf16 v[2:5], v[20:21], v[28:29], v[2:5]
	ds_read_b128 v[6:9], v48 offset:6144
	ds_read_b128 v[18:21], v48 offset:6160
	s_waitcnt lgkmcnt(0)
	s_barrier
	s_waitcnt vmcnt(1)
	v_mfma_f32_16x16x16_bf16 v[2:5], v[14:15], v[6:7], v[2:5]
	v_mfma_f32_16x16x16_bf16 v[2:5], v[16:17], v[8:9], v[2:5]
	s_waitcnt vmcnt(0)
	v_mfma_f32_16x16x16_bf16 v[2:5], v[10:11], v[18:19], v[2:5]
	v_mfma_f32_16x16x16_bf16 v[2:5], v[12:13], v[20:21], v[2:5]
	s_nop 6
	v_bfe_u32 v6, v3, 16, 1
	v_bfe_u32 v7, v2, 16, 1
	;; [unrolled: 1-line block ×4, first 2 shown]
	v_add3_u32 v2, v2, v7, s8
	v_add3_u32 v3, v3, v6, s8
	;; [unrolled: 1-line block ×4, first 2 shown]
	v_perm_b32 v2, v3, v2, s9
	v_perm_b32 v3, v5, v4, s9
	ds_write_b64 v1, v[2:3]
	s_waitcnt lgkmcnt(0)
	s_barrier
	s_and_saveexec_b64 s[8:9], s[4:5]
	s_cbranch_execz .LBB565_20
; %bb.18:
	s_load_dwordx2 s[4:5], s[0:1], 0x68
	s_lshl_b32 s0, s6, 6
	s_mul_i32 s1, s7, s2
	s_mul_hi_u32 s7, s1, s0
	s_mul_i32 s6, s1, s0
	v_lshlrev_b32_e32 v1, 10, v0
	v_lshlrev_b32_e32 v0, 4, v0
	s_lshl_b64 s[6:7], s[6:7], 1
	v_and_b32_e32 v1, 0x1800, v1
	v_lshlrev_b32_e32 v2, 5, v54
	v_and_b32_e32 v0, 16, v0
	s_waitcnt lgkmcnt(0)
	s_add_u32 s1, s4, s6
	v_or3_b32 v2, v1, v2, v0
	s_addc_u32 s4, s5, s7
	s_lshl_b32 s2, s28, 6
	s_lshl_b64 s[2:3], s[2:3], 1
	ds_read_b128 v[4:7], v2 offset:128
	ds_read_b128 v[8:11], v2
	s_add_u32 s2, s1, s2
	s_addc_u32 s3, s4, s3
	v_add_u32_e32 v14, s42, v54
	v_lshl_add_u64 v[0:1], v[34:35], 1, s[2:3]
	v_mad_u64_u32 v[12:13], s[2:3], v14, s0, 0
	v_lshl_add_u64 v[12:13], v[12:13], 1, v[0:1]
	s_waitcnt lgkmcnt(0)
	global_store_dwordx4 v[12:13], v[8:11], off
	v_or_b32_e32 v3, 8, v54
	v_cmp_gt_u32_e32 vcc, 10, v3
	v_add_u32_e32 v8, 4, v14
	v_mad_u64_u32 v[8:9], s[2:3], v8, s0, 0
	v_lshl_add_u64 v[8:9], v[8:9], 1, v[0:1]
	global_store_dwordx4 v[8:9], v[4:7], off
	s_and_b64 exec, exec, vcc
	s_cbranch_execz .LBB565_20
; %bb.19:
	ds_read_b128 v[4:7], v2 offset:256
	v_add_u32_e32 v2, s42, v3
	v_mad_u64_u32 v[2:3], s[0:1], v2, s0, 0
	v_lshl_add_u64 v[0:1], v[2:3], 1, v[0:1]
	s_waitcnt lgkmcnt(0)
	global_store_dwordx4 v[0:1], v[4:7], off
.LBB565_20:
	s_endpgm
	.section	.rodata,"a",@progbits
	.p2align	6, 0x0
	.amdhsa_kernel _Z39paged_attention_ll4mi_QKV_mfma16_kernelI14__hip_bfloat16S0_LN4vllm18Fp8KVCacheDataTypeE0ES0_Li32ELi64ELi256ELb0ELi10EEvPKT_PKT0_S8_ifPKiSA_SA_iPKfiiiPfSD_PS3_PT2_iSC_SC_
		.amdhsa_group_segment_fixed_size 8192
		.amdhsa_private_segment_fixed_size 0
		.amdhsa_kernarg_size 400
		.amdhsa_user_sgpr_count 2
		.amdhsa_user_sgpr_dispatch_ptr 0
		.amdhsa_user_sgpr_queue_ptr 0
		.amdhsa_user_sgpr_kernarg_segment_ptr 1
		.amdhsa_user_sgpr_dispatch_id 0
		.amdhsa_user_sgpr_kernarg_preload_length 0
		.amdhsa_user_sgpr_kernarg_preload_offset 0
		.amdhsa_user_sgpr_private_segment_size 0
		.amdhsa_uses_dynamic_stack 0
		.amdhsa_enable_private_segment 0
		.amdhsa_system_sgpr_workgroup_id_x 1
		.amdhsa_system_sgpr_workgroup_id_y 1
		.amdhsa_system_sgpr_workgroup_id_z 1
		.amdhsa_system_sgpr_workgroup_info 0
		.amdhsa_system_vgpr_workitem_id 0
		.amdhsa_next_free_vgpr 67
		.amdhsa_next_free_sgpr 48
		.amdhsa_accum_offset 68
		.amdhsa_reserve_vcc 1
		.amdhsa_float_round_mode_32 0
		.amdhsa_float_round_mode_16_64 0
		.amdhsa_float_denorm_mode_32 3
		.amdhsa_float_denorm_mode_16_64 3
		.amdhsa_dx10_clamp 1
		.amdhsa_ieee_mode 1
		.amdhsa_fp16_overflow 0
		.amdhsa_tg_split 0
		.amdhsa_exception_fp_ieee_invalid_op 0
		.amdhsa_exception_fp_denorm_src 0
		.amdhsa_exception_fp_ieee_div_zero 0
		.amdhsa_exception_fp_ieee_overflow 0
		.amdhsa_exception_fp_ieee_underflow 0
		.amdhsa_exception_fp_ieee_inexact 0
		.amdhsa_exception_int_div_zero 0
	.end_amdhsa_kernel
	.section	.text._Z39paged_attention_ll4mi_QKV_mfma16_kernelI14__hip_bfloat16S0_LN4vllm18Fp8KVCacheDataTypeE0ES0_Li32ELi64ELi256ELb0ELi10EEvPKT_PKT0_S8_ifPKiSA_SA_iPKfiiiPfSD_PS3_PT2_iSC_SC_,"axG",@progbits,_Z39paged_attention_ll4mi_QKV_mfma16_kernelI14__hip_bfloat16S0_LN4vllm18Fp8KVCacheDataTypeE0ES0_Li32ELi64ELi256ELb0ELi10EEvPKT_PKT0_S8_ifPKiSA_SA_iPKfiiiPfSD_PS3_PT2_iSC_SC_,comdat
.Lfunc_end565:
	.size	_Z39paged_attention_ll4mi_QKV_mfma16_kernelI14__hip_bfloat16S0_LN4vllm18Fp8KVCacheDataTypeE0ES0_Li32ELi64ELi256ELb0ELi10EEvPKT_PKT0_S8_ifPKiSA_SA_iPKfiiiPfSD_PS3_PT2_iSC_SC_, .Lfunc_end565-_Z39paged_attention_ll4mi_QKV_mfma16_kernelI14__hip_bfloat16S0_LN4vllm18Fp8KVCacheDataTypeE0ES0_Li32ELi64ELi256ELb0ELi10EEvPKT_PKT0_S8_ifPKiSA_SA_iPKfiiiPfSD_PS3_PT2_iSC_SC_
                                        ; -- End function
	.section	.AMDGPU.csdata,"",@progbits
; Kernel info:
; codeLenInByte = 4180
; NumSgprs: 54
; NumVgprs: 67
; NumAgprs: 0
; TotalNumVgprs: 67
; ScratchSize: 0
; MemoryBound: 0
; FloatMode: 240
; IeeeMode: 1
; LDSByteSize: 8192 bytes/workgroup (compile time only)
; SGPRBlocks: 6
; VGPRBlocks: 8
; NumSGPRsForWavesPerEU: 54
; NumVGPRsForWavesPerEU: 67
; AccumOffset: 68
; Occupancy: 7
; WaveLimiterHint : 1
; COMPUTE_PGM_RSRC2:SCRATCH_EN: 0
; COMPUTE_PGM_RSRC2:USER_SGPR: 2
; COMPUTE_PGM_RSRC2:TRAP_HANDLER: 0
; COMPUTE_PGM_RSRC2:TGID_X_EN: 1
; COMPUTE_PGM_RSRC2:TGID_Y_EN: 1
; COMPUTE_PGM_RSRC2:TGID_Z_EN: 1
; COMPUTE_PGM_RSRC2:TIDIG_COMP_CNT: 0
; COMPUTE_PGM_RSRC3_GFX90A:ACCUM_OFFSET: 16
; COMPUTE_PGM_RSRC3_GFX90A:TG_SPLIT: 0
	.section	.text._Z39paged_attention_ll4mi_QKV_mfma16_kernelI14__hip_bfloat16S0_LN4vllm18Fp8KVCacheDataTypeE0ES0_Li32ELi64ELi256ELb0ELi11EEvPKT_PKT0_S8_ifPKiSA_SA_iPKfiiiPfSD_PS3_PT2_iSC_SC_,"axG",@progbits,_Z39paged_attention_ll4mi_QKV_mfma16_kernelI14__hip_bfloat16S0_LN4vllm18Fp8KVCacheDataTypeE0ES0_Li32ELi64ELi256ELb0ELi11EEvPKT_PKT0_S8_ifPKiSA_SA_iPKfiiiPfSD_PS3_PT2_iSC_SC_,comdat
	.protected	_Z39paged_attention_ll4mi_QKV_mfma16_kernelI14__hip_bfloat16S0_LN4vllm18Fp8KVCacheDataTypeE0ES0_Li32ELi64ELi256ELb0ELi11EEvPKT_PKT0_S8_ifPKiSA_SA_iPKfiiiPfSD_PS3_PT2_iSC_SC_ ; -- Begin function _Z39paged_attention_ll4mi_QKV_mfma16_kernelI14__hip_bfloat16S0_LN4vllm18Fp8KVCacheDataTypeE0ES0_Li32ELi64ELi256ELb0ELi11EEvPKT_PKT0_S8_ifPKiSA_SA_iPKfiiiPfSD_PS3_PT2_iSC_SC_
	.globl	_Z39paged_attention_ll4mi_QKV_mfma16_kernelI14__hip_bfloat16S0_LN4vllm18Fp8KVCacheDataTypeE0ES0_Li32ELi64ELi256ELb0ELi11EEvPKT_PKT0_S8_ifPKiSA_SA_iPKfiiiPfSD_PS3_PT2_iSC_SC_
	.p2align	8
	.type	_Z39paged_attention_ll4mi_QKV_mfma16_kernelI14__hip_bfloat16S0_LN4vllm18Fp8KVCacheDataTypeE0ES0_Li32ELi64ELi256ELb0ELi11EEvPKT_PKT0_S8_ifPKiSA_SA_iPKfiiiPfSD_PS3_PT2_iSC_SC_,@function
_Z39paged_attention_ll4mi_QKV_mfma16_kernelI14__hip_bfloat16S0_LN4vllm18Fp8KVCacheDataTypeE0ES0_Li32ELi64ELi256ELb0ELi11EEvPKT_PKT0_S8_ifPKiSA_SA_iPKfiiiPfSD_PS3_PT2_iSC_SC_: ; @_Z39paged_attention_ll4mi_QKV_mfma16_kernelI14__hip_bfloat16S0_LN4vllm18Fp8KVCacheDataTypeE0ES0_Li32ELi64ELi256ELb0ELi11EEvPKT_PKT0_S8_ifPKiSA_SA_iPKfiiiPfSD_PS3_PT2_iSC_SC_
; %bb.0:
	s_load_dwordx2 s[6:7], s[0:1], 0x30
	s_mov_b32 s28, s3
	s_mov_b64 s[10:11], 0
	s_waitcnt lgkmcnt(0)
	s_cmp_lg_u64 s[6:7], 0
	s_cselect_b64 s[8:9], -1, 0
	s_and_b64 vcc, exec, s[8:9]
	s_cbranch_vccz .LBB566_7
; %bb.1:
	s_add_i32 s12, s2, 1
	s_mov_b32 s13, 0
	s_lshl_b64 s[14:15], s[12:13], 2
	s_add_u32 s14, s6, s14
	s_mov_b32 s3, s13
	s_addc_u32 s15, s7, s15
	s_lshl_b64 s[12:13], s[2:3], 2
	s_add_u32 s12, s6, s12
	s_addc_u32 s13, s7, s13
	s_load_dword s5, s[14:15], 0x0
	s_load_dword s16, s[12:13], 0x0
	s_waitcnt lgkmcnt(0)
	s_sub_i32 s5, s5, s16
	s_cmp_eq_u32 s5, 1
	s_cselect_b64 s[12:13], -1, 0
	s_andn2_b64 vcc, exec, s[10:11]
	s_cbranch_vccnz .LBB566_3
.LBB566_2:
	s_mov_b32 s3, 0
	s_mov_b64 s[12:13], -1
.LBB566_3:
	s_andn2_b64 vcc, exec, s[12:13]
	s_cbranch_vccnz .LBB566_20
; %bb.4:
	s_load_dwordx2 s[12:13], s[0:1], 0x28
	s_lshl_b64 s[10:11], s[2:3], 2
	s_waitcnt lgkmcnt(0)
	s_add_u32 s12, s12, s10
	s_addc_u32 s13, s13, s11
	s_load_dword s33, s[12:13], 0x0
	s_lshl_b32 s14, s28, 8
	s_waitcnt lgkmcnt(0)
	s_cmp_ge_i32 s14, s33
	s_cbranch_scc1 .LBB566_20
; %bb.5:
	s_load_dwordx2 s[12:13], s[0:1], 0x20
	s_load_dword s5, s[0:1], 0x38
	s_add_i32 s15, s33, 31
	s_ashr_i32 s16, s15, 31
	v_and_b32_e32 v1, 0xcf, v0
	s_lshr_b32 s16, s16, 27
	v_add_u32_e32 v1, s14, v1
	s_add_i32 s15, s15, s16
	v_ashrrev_i32_e32 v2, 31, v1
	s_ashr_i32 s15, s15, 5
	v_lshrrev_b32_e32 v10, 27, v2
	s_add_i32 s15, s15, -1
	s_waitcnt lgkmcnt(0)
	s_mul_i32 s16, s2, s5
	s_mov_b32 s17, 0
	v_add_u32_e32 v2, v1, v10
	s_lshl_b64 s[16:17], s[16:17], 2
	v_ashrrev_i32_e32 v2, 5, v2
	v_mov_b32_e32 v11, s15
	v_cmp_gt_i32_e32 vcc, s33, v1
	s_add_u32 s12, s12, s16
	s_addc_u32 s13, s13, s17
	v_cndmask_b32_e32 v2, v11, v2, vcc
	v_ashrrev_i32_e32 v3, 31, v2
	v_lshl_add_u64 v[4:5], v[2:3], 2, s[12:13]
	v_or_b32_e32 v2, 16, v1
	v_add_u32_e32 v3, v2, v10
	v_ashrrev_i32_e32 v3, 5, v3
	v_cmp_gt_i32_e32 vcc, s33, v2
	s_nop 1
	v_cndmask_b32_e32 v2, v11, v3, vcc
	v_ashrrev_i32_e32 v3, 31, v2
	v_lshl_add_u64 v[6:7], v[2:3], 2, s[12:13]
	v_or_b32_e32 v2, 32, v1
	v_add_u32_e32 v3, v2, v10
	v_ashrrev_i32_e32 v3, 5, v3
	v_cmp_gt_i32_e32 vcc, s33, v2
	v_or_b32_e32 v1, 48, v1
	s_nop 0
	v_cndmask_b32_e32 v2, v11, v3, vcc
	v_ashrrev_i32_e32 v3, 31, v2
	v_lshl_add_u64 v[8:9], v[2:3], 2, s[12:13]
	v_add_u32_e32 v2, v1, v10
	v_ashrrev_i32_e32 v2, 5, v2
	v_cmp_gt_i32_e32 vcc, s33, v1
	s_nop 1
	v_cndmask_b32_e32 v2, v11, v2, vcc
	v_ashrrev_i32_e32 v3, 31, v2
	v_lshl_add_u64 v[12:13], v[2:3], 2, s[12:13]
	global_load_dword v3, v[4:5], off
	global_load_dword v2, v[6:7], off
	;; [unrolled: 1-line block ×4, first 2 shown]
	s_andn2_b64 vcc, exec, s[8:9]
	s_cbranch_vccnz .LBB566_8
; %bb.6:
	s_add_u32 s6, s6, s10
	s_addc_u32 s7, s7, s11
	s_load_dword s5, s[6:7], 0x0
	s_branch .LBB566_9
.LBB566_7:
	s_mov_b64 s[12:13], 0
	s_branch .LBB566_2
.LBB566_8:
	s_mov_b32 s5, s2
.LBB566_9:
	s_load_dwordx4 s[8:11], s[0:1], 0x8
	s_load_dwordx4 s[44:47], s[0:1], 0x48
	v_lshrrev_b32_e32 v1, 6, v0
	v_bfe_u32 v54, v0, 4, 2
	v_lshl_or_b32 v4, v1, 2, v54
	v_and_b32_e32 v36, 15, v0
	v_cmp_lt_u32_e32 vcc, 10, v4
	v_cmp_lt_u32_e64 s[6:7], 7, v36
	v_lshlrev_b32_e32 v34, 3, v36
	v_cmp_gt_u32_e64 s[30:31], 8, v36
	s_or_b64 s[6:7], s[6:7], vcc
	s_and_saveexec_b64 s[16:17], s[6:7]
	s_xor_b64 s[6:7], exec, s[16:17]
; %bb.10:
	v_mov_b32_e32 v35, 0
                                        ; implicit-def: $vgpr4
; %bb.11:
	s_or_saveexec_b64 s[6:7], s[6:7]
	v_and_b32_e32 v37, 63, v0
	s_mul_i32 s42, s4, 11
	s_xor_b64 exec, exec, s[6:7]
	s_cbranch_execz .LBB566_13
; %bb.12:
	s_load_dwordx2 s[16:17], s[0:1], 0x0
	s_waitcnt lgkmcnt(0)
	s_ashr_i32 s18, s44, 31
	s_mul_hi_u32 s19, s5, s44
	s_mul_i32 s18, s5, s18
	s_add_i32 s19, s19, s18
	s_mul_i32 s18, s5, s44
	s_lshl_b64 s[18:19], s[18:19], 1
	s_add_u32 s16, s16, s18
	v_add_lshl_u32 v6, v4, s42, 6
	s_addc_u32 s17, s17, s19
	v_ashrrev_i32_e32 v7, 31, v6
	v_mov_b32_e32 v35, 0
	v_lshl_add_u64 v[6:7], v[6:7], 1, s[16:17]
	v_lshlrev_b32_e32 v8, 1, v34
	v_mov_b32_e32 v9, v35
	v_lshl_add_u64 v[6:7], v[6:7], 0, v[8:9]
	global_load_dwordx4 v[6:9], v[6:7], off
	v_and_b32_e32 v5, 3, v0
	v_lshlrev_b32_e32 v11, 9, v36
	v_lshlrev_b32_e32 v4, 5, v4
	;; [unrolled: 1-line block ×3, first 2 shown]
	v_and_b32_e32 v11, 0x1800, v11
	v_or3_b32 v4, v11, v5, v4
	s_waitcnt vmcnt(0)
	ds_write_b128 v4, v[6:9]
.LBB566_13:
	s_or_b64 exec, exec, s[6:7]
	s_waitcnt lgkmcnt(0)
	s_mul_i32 s4, s4, s46
	s_mov_b32 s5, 0
	s_lshl_b64 s[4:5], s[4:5], 1
	s_add_u32 s8, s8, s4
	s_addc_u32 s9, s9, s5
	s_waitcnt vmcnt(3)
	v_mad_i64_i32 v[4:5], s[16:17], v3, s45, 0
	v_lshl_add_u64 v[4:5], v[4:5], 1, s[8:9]
	v_lshlrev_b64 v[12:13], 1, v[34:35]
	v_lshlrev_b32_e32 v38, 9, v54
	v_lshl_add_u64 v[4:5], v[4:5], 0, v[12:13]
	v_mov_b32_e32 v39, 0
	v_lshl_add_u64 v[14:15], v[4:5], 0, v[38:39]
	s_waitcnt vmcnt(2)
	v_mad_i64_i32 v[2:3], s[16:17], v2, s45, 0
	v_mov_b32_e32 v4, 0x100
	v_lshl_add_u64 v[2:3], v[2:3], 1, s[8:9]
	v_lshl_or_b32 v40, v36, 4, v4
	v_mov_b32_e32 v41, v39
	s_load_dword s29, s[0:1], 0x98
	s_load_dword s6, s[0:1], 0x1c
	s_waitcnt lgkmcnt(0)
	s_barrier
	v_lshl_add_u64 v[2:3], v[2:3], 0, v[40:41]
	global_load_dwordx4 v[6:9], v[14:15], off
	global_load_dwordx4 v[22:25], v[14:15], off offset:2048
	v_lshl_add_u64 v[18:19], v[2:3], 0, v[38:39]
	global_load_dwordx4 v[2:5], v[18:19], off
	global_load_dwordx4 v[26:29], v[18:19], off offset:2048
	s_waitcnt vmcnt(5)
	v_mad_i64_i32 v[10:11], s[16:17], v10, s45, 0
	v_lshl_add_u64 v[10:11], v[10:11], 1, s[8:9]
	v_lshl_add_u64 v[10:11], v[10:11], 0, v[12:13]
	;; [unrolled: 1-line block ×3, first 2 shown]
	global_load_dwordx4 v[10:13], v[20:21], off
	global_load_dwordx4 v[30:33], v[20:21], off offset:2048
	s_waitcnt vmcnt(6)
	v_mad_i64_i32 v[42:43], s[16:17], v16, s45, 0
	v_add_u32_e32 v17, -11, v36
	v_cmp_gt_u32_e32 vcc, 11, v36
	v_lshl_add_u64 v[42:43], v[42:43], 1, s[8:9]
	v_lshl_add_u64 v[40:41], v[42:43], 0, v[40:41]
	v_cndmask_b32_e32 v14, v17, v36, vcc
	v_lshl_add_u32 v14, v14, 5, v38
	v_lshl_add_u64 v[40:41], v[40:41], 0, v[38:39]
	ds_read_b128 v[18:21], v14
	ds_read_b128 v[14:17], v14 offset:2048
	global_load_dwordx4 v[46:49], v[40:41], off
	global_load_dwordx4 v[60:63], v[40:41], off offset:2048
	s_ashr_i32 s7, s14, 31
	v_and_or_b32 v55, v0, 48, s14
	s_lshr_b32 s7, s7, 27
	v_add_u32_e32 v42, s7, v55
	v_mov_b32_e32 v64, s15
	v_or_b32_e32 v50, 64, v55
	v_ashrrev_i32_e32 v38, 5, v42
	v_cmp_gt_i32_e32 vcc, s33, v55
	v_add_u32_e32 v43, s7, v50
	v_ashrrev_i32_e32 v51, 5, v43
	v_cndmask_b32_e32 v42, v64, v38, vcc
	v_ashrrev_i32_e32 v43, 31, v42
	v_lshl_add_u64 v[42:43], v[42:43], 2, s[12:13]
	v_cmp_gt_i32_e32 vcc, s33, v50
	global_load_dword v65, v[42:43], off
	v_or_b32_e32 v40, 0x80, v55
	v_or_b32_e32 v41, 0xc0, v55
	v_and_b32_e32 v38, 16, v0
	s_add_u32 s4, s10, s4
	s_addc_u32 s5, s11, s5
	v_lshlrev_b32_e32 v38, 1, v38
	s_mov_b32 s43, 0xff7fffff
	s_waitcnt vmcnt(8) lgkmcnt(1)
	v_mfma_f32_16x16x16_bf16 v[42:45], v[6:7], v[18:19], 0
	v_cndmask_b32_e32 v6, v64, v51, vcc
	v_ashrrev_i32_e32 v7, 31, v6
	v_cmp_gt_i32_e32 vcc, s33, v40
	s_waitcnt vmcnt(6)
	v_mfma_f32_16x16x16_bf16 v[50:53], v[2:3], v[18:19], 0
	v_lshl_add_u64 v[2:3], v[6:7], 2, s[12:13]
	global_load_dword v66, v[2:3], off
	v_mfma_f32_16x16x16_bf16 v[6:9], v[8:9], v[20:21], v[42:45]
	v_mfma_f32_16x16x16_bf16 v[2:5], v[4:5], v[20:21], v[50:53]
	s_nop 1
	v_add_u32_e32 v42, s7, v40
	v_add_u32_e32 v43, s7, v41
	v_ashrrev_i32_e32 v42, 5, v42
	s_waitcnt lgkmcnt(0)
	v_mfma_f32_16x16x16_bf16 v[6:9], v[22:23], v[14:15], v[6:9]
	v_lshlrev_b32_e32 v45, 6, v36
	v_ashrrev_i32_e32 v43, 5, v43
	v_cndmask_b32_e32 v44, v64, v42, vcc
	s_waitcnt vmcnt(5)
	v_mfma_f32_16x16x16_bf16 v[56:59], v[10:11], v[18:19], 0
	v_cmp_gt_i32_e32 vcc, s33, v41
	v_lshl_add_u64 v[50:51], s[4:5], 0, v[38:39]
	v_lshl_or_b32 v38, v1, 10, v45
	v_mfma_f32_16x16x16_bf16 v[2:5], v[26:27], v[14:15], v[2:5]
	v_cndmask_b32_e32 v26, v64, v43, vcc
	v_ashrrev_i32_e32 v45, 31, v44
	v_ashrrev_i32_e32 v27, 31, v26
	v_mfma_f32_16x16x16_bf16 v[22:25], v[24:25], v[16:17], v[6:9]
	s_nop 2
	v_lshl_add_u64 v[6:7], v[44:45], 2, s[12:13]
	v_mfma_f32_16x16x16_bf16 v[10:13], v[12:13], v[20:21], v[56:59]
	v_lshl_add_u64 v[8:9], v[26:27], 2, s[12:13]
	global_load_dword v55, v[6:7], off
	s_nop 0
	global_load_dword v58, v[8:9], off
	s_waitcnt vmcnt(6)
	v_mfma_f32_16x16x16_bf16 v[40:43], v[30:31], v[14:15], v[10:13]
	s_nop 2
	v_lshl_add_u64 v[10:11], v[50:51], 0, v[38:39]
	v_mfma_f32_16x16x16_bf16 v[30:33], v[32:33], v[16:17], v[40:43]
	v_pk_mul_f32 v[50:51], s[6:7], v[24:25] op_sel_hi:[0,1]
	s_waitcnt vmcnt(2)
	v_mad_i64_i32 v[12:13], s[4:5], v66, s45, 0
	v_mfma_f32_16x16x16_bf16 v[38:41], v[46:47], v[18:19], 0
	v_lshl_add_u64 v[56:57], v[12:13], 1, v[10:11]
	v_pk_mul_f32 v[12:13], s[6:7], v[22:23] op_sel_hi:[0,1]
	s_nop 0
	v_pk_mul_f32 v[46:47], s[6:7], v[30:31] op_sel_hi:[0,1]
	v_mfma_f32_16x16x16_bf16 v[18:21], v[48:49], v[20:21], v[38:41]
	v_pk_mul_f32 v[48:49], s[6:7], v[32:33] op_sel_hi:[0,1]
	v_mfma_f32_16x16x16_bf16 v[18:21], v[60:61], v[14:15], v[18:21]
	v_mfma_f32_16x16x16_bf16 v[26:29], v[28:29], v[16:17], v[2:5]
	;; [unrolled: 1-line block ×3, first 2 shown]
	s_nop 1
	v_mad_i64_i32 v[2:3], s[4:5], v65, s45, 0
	s_nop 2
	v_pk_mul_f32 v[42:43], s[6:7], v[26:27] op_sel_hi:[0,1]
	v_pk_mul_f32 v[52:53], s[6:7], v[28:29] op_sel_hi:[0,1]
	v_lshl_add_u64 v[2:3], v[2:3], 1, v[10:11]
	v_pk_mul_f32 v[44:45], s[6:7], v[14:15] op_sel_hi:[0,1]
	v_and_b32_e32 v14, 0xc0, v0
	v_add_u32_e32 v14, s14, v14
	v_lshl_or_b32 v14, v54, 2, v14
	v_pk_mul_f32 v[38:39], s[6:7], v[16:17] op_sel_hi:[0,1]
	v_or_b32_e32 v17, 1, v14
	v_mov_b32_e32 v15, 0xff7fffff
	v_cmp_gt_i32_e64 s[4:5], s33, v14
	v_cmp_gt_i32_e64 s[34:35], s33, v17
	v_or_b32_e32 v18, 3, v14
	v_cndmask_b32_e64 v16, v15, v12, s[4:5]
	v_cndmask_b32_e64 v17, v15, v13, s[34:35]
	v_max3_f32 v16, v16, s43, v17
	v_or_b32_e32 v17, 2, v14
	v_cmp_gt_i32_e64 s[36:37], s33, v17
	v_cmp_gt_i32_e64 s[38:39], s33, v18
	global_load_dwordx4 v[6:9], v[2:3], off
	s_nop 0
	global_load_dwordx4 v[2:5], v[2:3], off offset:16
	v_cndmask_b32_e64 v17, v15, v50, s[36:37]
	v_cndmask_b32_e64 v18, v15, v51, s[38:39]
	v_max3_f32 v16, v16, v17, v18
	v_or_b32_e32 v17, 16, v14
	v_or_b32_e32 v18, 17, v14
	v_cmp_gt_i32_e64 s[24:25], s33, v17
	v_cmp_gt_i32_e64 s[26:27], s33, v18
	global_load_dwordx4 v[30:33], v[56:57], off
	global_load_dwordx4 v[26:29], v[56:57], off offset:16
	v_cndmask_b32_e64 v17, v15, v42, s[24:25]
	v_cndmask_b32_e64 v18, v15, v43, s[26:27]
	v_max3_f32 v16, v16, v17, v18
	v_or_b32_e32 v17, 18, v14
	v_or_b32_e32 v18, 19, v14
	v_cmp_gt_i32_e64 s[20:21], s33, v17
	v_cmp_gt_i32_e64 s[22:23], s33, v18
	s_nop 0
	v_cndmask_b32_e64 v17, v15, v52, s[20:21]
	v_cndmask_b32_e64 v18, v15, v53, s[22:23]
	v_max3_f32 v16, v16, v17, v18
	v_or_b32_e32 v17, 32, v14
	v_or_b32_e32 v18, 33, v14
	v_cmp_gt_i32_e64 s[16:17], s33, v17
	v_cmp_gt_i32_e64 s[18:19], s33, v18
	s_nop 0
	;; [unrolled: 8-line block ×4, first 2 shown]
	v_cndmask_b32_e64 v17, v15, v44, s[8:9]
	v_cndmask_b32_e64 v18, v15, v45, s[10:11]
	v_max3_f32 v16, v16, v17, v18
	v_or_b32_e32 v17, 50, v14
	v_or_b32_e32 v14, 51, v14
	v_cmp_gt_i32_e32 vcc, s33, v17
	v_cmp_gt_i32_e64 s[6:7], s33, v14
	s_nop 0
	v_cndmask_b32_e32 v17, v15, v38, vcc
	v_cndmask_b32_e64 v14, v15, v39, s[6:7]
	v_max3_f32 v16, v16, v17, v14
	v_mbcnt_lo_u32_b32 v14, -1, 0
	v_mbcnt_hi_u32_b32 v17, -1, v14
	v_and_b32_e32 v14, 64, v17
	v_add_u32_e32 v18, 64, v14
	v_xor_b32_e32 v14, 32, v17
	v_cmp_lt_i32_e64 s[40:41], v14, v18
	s_nop 1
	v_cndmask_b32_e64 v14, v17, v14, s[40:41]
	v_lshlrev_b32_e32 v59, 2, v14
	ds_bpermute_b32 v19, v59, v16
	s_waitcnt vmcnt(5)
	v_mad_i64_i32 v[14:15], s[40:41], v55, s45, 0
	v_lshl_add_u64 v[14:15], v[14:15], 1, v[10:11]
	s_waitcnt lgkmcnt(0)
	v_max_f32_e32 v19, v19, v19
	v_max_f32_e32 v16, v16, v19
	v_xor_b32_e32 v19, 16, v17
	v_cmp_lt_i32_e64 s[40:41], v19, v18
	s_nop 1
	v_cndmask_b32_e64 v17, v17, v19, s[40:41]
	v_lshlrev_b32_e32 v57, 2, v17
	ds_bpermute_b32 v17, v57, v16
	global_load_dwordx4 v[22:25], v[14:15], off
	global_load_dwordx4 v[18:21], v[14:15], off offset:16
	s_waitcnt vmcnt(6)
	v_mad_i64_i32 v[14:15], s[40:41], v58, s45, 0
	v_lshl_add_u64 v[10:11], v[14:15], 1, v[10:11]
	s_waitcnt lgkmcnt(0)
	v_max_f32_e32 v14, v17, v17
	v_max_f32_e32 v55, v16, v14
	v_sub_f32_e32 v12, v12, v55
	v_mul_f32_e32 v12, 0x3fb8aa3b, v12
	v_exp_f32_e32 v40, v12
	v_sub_f32_e32 v12, v13, v55
	v_mul_f32_e32 v12, 0x3fb8aa3b, v12
	v_exp_f32_e32 v41, v12
	global_load_dwordx4 v[14:17], v[10:11], off
	s_nop 0
	global_load_dwordx4 v[10:13], v[10:11], off offset:16
	v_sub_f32_e32 v50, v50, v55
	v_mul_f32_e32 v50, 0x3fb8aa3b, v50
	v_sub_f32_e32 v51, v51, v55
	v_exp_f32_e32 v50, v50
	v_mul_f32_e32 v51, 0x3fb8aa3b, v51
	v_sub_f32_e32 v42, v42, v55
	v_exp_f32_e32 v51, v51
	v_mul_f32_e32 v42, 0x3fb8aa3b, v42
	v_sub_f32_e32 v43, v43, v55
	v_cndmask_b32_e64 v40, 0, v40, s[4:5]
	v_exp_f32_e32 v42, v42
	v_mul_f32_e32 v43, 0x3fb8aa3b, v43
	v_sub_f32_e32 v52, v52, v55
	v_add_f32_e32 v56, 0, v40
	v_cndmask_b32_e64 v41, 0, v41, s[34:35]
	v_exp_f32_e32 v43, v43
	v_mul_f32_e32 v52, 0x3fb8aa3b, v52
	v_sub_f32_e32 v53, v53, v55
	v_add_f32_e32 v56, v56, v41
	;; [unrolled: 5-line block ×10, first 2 shown]
	v_cndmask_b32_e64 v48, 0, v48, s[12:13]
	v_exp_f32_e32 v38, v38
	v_mul_f32_e32 v39, 0x3fb8aa3b, v39
	v_add_f32_e32 v56, v56, v48
	v_cndmask_b32_e64 v49, 0, v49, s[14:15]
	v_exp_f32_e32 v39, v39
	v_add_f32_e32 v56, v56, v49
	v_cndmask_b32_e64 v44, 0, v44, s[8:9]
	v_add_f32_e32 v56, v56, v44
	v_cndmask_b32_e64 v45, 0, v45, s[10:11]
	v_add_f32_e32 v56, v56, v45
	v_cndmask_b32_e32 v38, 0, v38, vcc
	v_add_f32_e32 v56, v56, v38
	v_cndmask_b32_e64 v39, 0, v39, s[6:7]
	v_add_f32_e32 v56, v56, v39
	ds_bpermute_b32 v58, v59, v56
	v_cmp_gt_u32_e32 vcc, 16, v37
	v_lshlrev_b32_e32 v37, 2, v36
	s_waitcnt lgkmcnt(0)
	s_barrier
	v_add_f32_e32 v56, v56, v58
	ds_bpermute_b32 v57, v57, v56
	s_waitcnt lgkmcnt(0)
	s_and_saveexec_b64 s[4:5], vcc
	s_cbranch_execz .LBB566_15
; %bb.14:
	v_add_f32_e32 v56, v56, v57
	v_lshl_or_b32 v57, v1, 6, v37
	ds_write2st64_b32 v57, v55, v56 offset1:1
.LBB566_15:
	s_or_b64 exec, exec, s[4:5]
	s_load_dword s6, s[0:1], 0x94
	s_waitcnt lgkmcnt(0)
	s_barrier
	ds_read2_b32 v[56:57], v37 offset1:16
	ds_read2_b32 v[58:59], v37 offset0:32 offset1:48
	ds_read2_b32 v[60:61], v37 offset0:64 offset1:80
	;; [unrolled: 1-line block ×3, first 2 shown]
	s_movk_i32 s8, 0x7fff
	s_waitcnt lgkmcnt(3)
	v_max3_f32 v55, v56, s43, v57
	s_waitcnt lgkmcnt(2)
	v_max3_f32 v55, v55, v58, v59
	v_sub_f32_e32 v56, v56, v55
	v_mul_f32_e32 v56, 0x3fb8aa3b, v56
	v_exp_f32_e32 v64, v56
	v_sub_f32_e32 v56, v57, v55
	v_mul_f32_e32 v56, 0x3fb8aa3b, v56
	v_exp_f32_e32 v57, v56
	v_sub_f32_e32 v56, v58, v55
	v_mul_f32_e32 v56, 0x3fb8aa3b, v56
	v_sub_f32_e32 v37, v59, v55
	v_exp_f32_e32 v58, v56
	v_mul_f32_e32 v37, 0x3fb8aa3b, v37
	v_exp_f32_e32 v37, v37
	s_waitcnt lgkmcnt(1)
	v_fma_f32 v56, v64, v60, 0
	v_fmac_f32_e32 v56, v57, v61
	s_waitcnt lgkmcnt(0)
	v_fmac_f32_e32 v56, v58, v62
	v_fmac_f32_e32 v56, v37, v63
	v_add_f32_e32 v59, 0x358637bd, v56
	v_div_scale_f32 v60, s[4:5], v59, v59, 1.0
	v_rcp_f32_e32 v61, v60
	s_mov_b32 s9, 0x7060302
	s_barrier
	v_fma_f32 v62, -v60, v61, 1.0
	v_fmac_f32_e32 v61, v62, v61
	v_div_scale_f32 v62, vcc, 1.0, v59, 1.0
	v_mul_f32_e32 v63, v62, v61
	v_fma_f32 v65, -v60, v63, v62
	v_fmac_f32_e32 v63, v65, v61
	v_fma_f32 v60, -v60, v63, v62
	v_div_fmas_f32 v60, v60, v61, v63
	v_cmp_eq_u32_e32 vcc, 1, v1
	v_div_fixup_f32 v59, v60, v59, 1.0
	s_nop 0
	v_cndmask_b32_e32 v57, v64, v57, vcc
	v_cmp_eq_u32_e32 vcc, 2, v1
	s_mul_i32 s7, s29, 11
	s_nop 0
	v_cndmask_b32_e32 v57, v57, v58, vcc
	v_cmp_eq_u32_e32 vcc, 3, v1
	v_lshlrev_b32_e32 v1, 11, v1
	s_nop 0
	v_cndmask_b32_e32 v37, v57, v37, vcc
	v_mul_f32_e32 v58, v37, v59
	v_pk_mul_f32 v[40:41], v[58:59], v[40:41] op_sel_hi:[0,1]
	v_bfe_u32 v37, v41, 16, 1
	v_bfe_u32 v57, v40, 16, 1
	v_pk_mul_f32 v[50:51], v[58:59], v[50:51] op_sel_hi:[0,1]
	v_add3_u32 v40, v40, v57, s8
	v_add3_u32 v37, v41, v37, s8
	v_perm_b32 v60, v37, v40, s9
	v_bfe_u32 v37, v51, 16, 1
	v_bfe_u32 v40, v50, 16, 1
	v_add3_u32 v40, v50, v40, s8
	v_add3_u32 v37, v51, v37, s8
	v_perm_b32 v61, v37, v40, s9
	v_lshlrev_b32_e32 v37, 3, v54
	v_lshlrev_b32_e32 v40, 5, v36
	v_pk_mul_f32 v[42:43], v[58:59], v[42:43] op_sel_hi:[0,1]
	v_or3_b32 v1, v1, v40, v37
	v_bfe_u32 v37, v43, 16, 1
	v_bfe_u32 v41, v42, 16, 1
	v_pk_mul_f32 v[50:51], v[58:59], v[52:53] op_sel_hi:[0,1]
	v_add3_u32 v41, v42, v41, s8
	v_add3_u32 v37, v43, v37, s8
	v_perm_b32 v42, v37, v41, s9
	v_bfe_u32 v37, v51, 16, 1
	v_bfe_u32 v41, v50, 16, 1
	v_add3_u32 v41, v50, v41, s8
	v_add3_u32 v37, v51, v37, s8
	v_pk_mul_f32 v[46:47], v[58:59], v[46:47] op_sel_hi:[0,1]
	v_perm_b32 v43, v37, v41, s9
	v_bfe_u32 v37, v47, 16, 1
	v_bfe_u32 v41, v46, 16, 1
	ds_write2st64_b64 v1, v[60:61], v[42:43] offset1:1
	v_pk_mul_f32 v[42:43], v[58:59], v[48:49] op_sel_hi:[0,1]
	v_add3_u32 v41, v46, v41, s8
	v_add3_u32 v37, v47, v37, s8
	v_perm_b32 v46, v37, v41, s9
	v_bfe_u32 v37, v43, 16, 1
	v_bfe_u32 v41, v42, 16, 1
	v_add3_u32 v41, v42, v41, s8
	v_add3_u32 v37, v43, v37, s8
	v_pk_mul_f32 v[42:43], v[58:59], v[44:45] op_sel_hi:[0,1]
	v_perm_b32 v47, v37, v41, s9
	v_bfe_u32 v37, v43, 16, 1
	v_bfe_u32 v41, v42, 16, 1
	v_pk_mul_f32 v[38:39], v[58:59], v[38:39] op_sel_hi:[0,1]
	v_add3_u32 v41, v42, v41, s8
	v_add3_u32 v37, v43, v37, s8
	v_perm_b32 v42, v37, v41, s9
	v_bfe_u32 v37, v39, 16, 1
	v_bfe_u32 v41, v38, 16, 1
	v_add3_u32 v38, v38, v41, s8
	v_add3_u32 v37, v39, v37, s8
	v_perm_b32 v43, v37, v38, s9
	v_cmp_gt_u32_e32 vcc, 11, v0
	ds_write2st64_b64 v1, v[46:47], v[42:43] offset0:2 offset1:3
	s_and_saveexec_b64 s[4:5], vcc
	s_cbranch_execz .LBB566_17
; %bb.16:
	s_mov_b32 s43, 0
	v_mov_b32_e32 v37, 0
	v_lshl_add_u64 v[38:39], s[42:43], 0, v[36:37]
	v_mov_b32_e32 v36, s7
	v_mad_u64_u32 v[38:39], s[10:11], s2, v36, v[38:39]
	v_mov_b32_e32 v36, s28
	s_load_dwordx4 s[12:15], s[0:1], 0x58
	s_mul_i32 s3, s3, s7
	v_mad_u64_u32 v[36:37], s[10:11], v38, s6, v[36:37]
	v_add_u32_e32 v39, s3, v39
	v_mov_b32_e32 v38, v37
	v_mad_u64_u32 v[38:39], s[10:11], v39, s6, v[38:39]
	v_mov_b32_e32 v37, v38
	v_lshlrev_b64 v[36:37], 2, v[36:37]
	s_waitcnt lgkmcnt(0)
	v_lshl_add_u64 v[38:39], s[14:15], 0, v[36:37]
	v_lshl_add_u64 v[36:37], s[12:13], 0, v[36:37]
	global_store_dword v[38:39], v55, off
	global_store_dword v[36:37], v56, off
.LBB566_17:
	s_or_b64 exec, exec, s[4:5]
	v_lshl_or_b32 v48, v54, 9, v40
	s_waitcnt lgkmcnt(0)
	s_barrier
	ds_read_b128 v[36:39], v48
	ds_read_b128 v[40:43], v48 offset:16
	s_waitcnt vmcnt(7) lgkmcnt(1)
	v_mfma_f32_16x16x16_bf16 v[44:47], v[6:7], v[36:37], 0
	v_cmp_gt_u32_e32 vcc, 64, v0
	s_mov_b32 s3, 0
	s_and_b64 s[4:5], vcc, s[30:31]
	v_mfma_f32_16x16x16_bf16 v[6:9], v[8:9], v[38:39], v[44:47]
	s_waitcnt vmcnt(6) lgkmcnt(0)
	v_mfma_f32_16x16x16_bf16 v[6:9], v[2:3], v[40:41], v[6:9]
	v_mfma_f32_16x16x16_bf16 v[2:5], v[4:5], v[42:43], v[6:9]
	s_nop 5
	ds_read_b128 v[6:9], v48 offset:2048
	ds_read_b128 v[36:39], v48 offset:2064
	s_waitcnt vmcnt(5) lgkmcnt(1)
	v_mfma_f32_16x16x16_bf16 v[2:5], v[30:31], v[6:7], v[2:5]
	v_mfma_f32_16x16x16_bf16 v[2:5], v[32:33], v[8:9], v[2:5]
	s_waitcnt vmcnt(4) lgkmcnt(0)
	v_mfma_f32_16x16x16_bf16 v[2:5], v[26:27], v[36:37], v[2:5]
	v_mfma_f32_16x16x16_bf16 v[2:5], v[28:29], v[38:39], v[2:5]
	ds_read_b128 v[6:9], v48 offset:4096
	ds_read_b128 v[26:29], v48 offset:4112
	s_waitcnt vmcnt(3) lgkmcnt(1)
	v_mfma_f32_16x16x16_bf16 v[2:5], v[22:23], v[6:7], v[2:5]
	v_mfma_f32_16x16x16_bf16 v[2:5], v[24:25], v[8:9], v[2:5]
	s_waitcnt vmcnt(2) lgkmcnt(0)
	v_mfma_f32_16x16x16_bf16 v[2:5], v[18:19], v[26:27], v[2:5]
	v_mfma_f32_16x16x16_bf16 v[2:5], v[20:21], v[28:29], v[2:5]
	ds_read_b128 v[6:9], v48 offset:6144
	ds_read_b128 v[18:21], v48 offset:6160
	s_waitcnt lgkmcnt(0)
	s_barrier
	s_waitcnt vmcnt(1)
	v_mfma_f32_16x16x16_bf16 v[2:5], v[14:15], v[6:7], v[2:5]
	v_mfma_f32_16x16x16_bf16 v[2:5], v[16:17], v[8:9], v[2:5]
	s_waitcnt vmcnt(0)
	v_mfma_f32_16x16x16_bf16 v[2:5], v[10:11], v[18:19], v[2:5]
	v_mfma_f32_16x16x16_bf16 v[2:5], v[12:13], v[20:21], v[2:5]
	s_nop 6
	v_bfe_u32 v6, v3, 16, 1
	v_bfe_u32 v7, v2, 16, 1
	;; [unrolled: 1-line block ×4, first 2 shown]
	v_add3_u32 v2, v2, v7, s8
	v_add3_u32 v3, v3, v6, s8
	;; [unrolled: 1-line block ×4, first 2 shown]
	v_perm_b32 v2, v3, v2, s9
	v_perm_b32 v3, v5, v4, s9
	ds_write_b64 v1, v[2:3]
	s_waitcnt lgkmcnt(0)
	s_barrier
	s_and_saveexec_b64 s[8:9], s[4:5]
	s_cbranch_execz .LBB566_20
; %bb.18:
	s_load_dwordx2 s[4:5], s[0:1], 0x68
	s_lshl_b32 s0, s6, 6
	s_mul_i32 s1, s7, s2
	s_mul_hi_u32 s7, s1, s0
	s_mul_i32 s6, s1, s0
	v_lshlrev_b32_e32 v1, 10, v0
	v_lshlrev_b32_e32 v0, 4, v0
	s_lshl_b64 s[6:7], s[6:7], 1
	v_and_b32_e32 v1, 0x1800, v1
	v_lshlrev_b32_e32 v2, 5, v54
	v_and_b32_e32 v0, 16, v0
	s_waitcnt lgkmcnt(0)
	s_add_u32 s1, s4, s6
	v_or3_b32 v2, v1, v2, v0
	s_addc_u32 s4, s5, s7
	s_lshl_b32 s2, s28, 6
	s_lshl_b64 s[2:3], s[2:3], 1
	ds_read_b128 v[4:7], v2 offset:128
	ds_read_b128 v[8:11], v2
	s_add_u32 s2, s1, s2
	s_addc_u32 s3, s4, s3
	v_add_u32_e32 v3, s42, v54
	v_lshl_add_u64 v[0:1], v[34:35], 1, s[2:3]
	v_mad_u64_u32 v[12:13], s[2:3], v3, s0, 0
	v_lshl_add_u64 v[12:13], v[12:13], 1, v[0:1]
	v_add_u32_e32 v3, 4, v3
	s_waitcnt lgkmcnt(0)
	global_store_dwordx4 v[12:13], v[8:11], off
	v_cmp_ne_u32_e32 vcc, 3, v54
	s_nop 0
	v_mad_u64_u32 v[8:9], s[2:3], v3, s0, 0
	v_lshl_add_u64 v[8:9], v[8:9], 1, v[0:1]
	global_store_dwordx4 v[8:9], v[4:7], off
	s_and_b64 exec, exec, vcc
	s_cbranch_execz .LBB566_20
; %bb.19:
	ds_read_b128 v[2:5], v2 offset:256
	v_add3_u32 v6, s42, v54, 8
	v_mad_u64_u32 v[6:7], s[0:1], v6, s0, 0
	v_lshl_add_u64 v[0:1], v[6:7], 1, v[0:1]
	s_waitcnt lgkmcnt(0)
	global_store_dwordx4 v[0:1], v[2:5], off
.LBB566_20:
	s_endpgm
	.section	.rodata,"a",@progbits
	.p2align	6, 0x0
	.amdhsa_kernel _Z39paged_attention_ll4mi_QKV_mfma16_kernelI14__hip_bfloat16S0_LN4vllm18Fp8KVCacheDataTypeE0ES0_Li32ELi64ELi256ELb0ELi11EEvPKT_PKT0_S8_ifPKiSA_SA_iPKfiiiPfSD_PS3_PT2_iSC_SC_
		.amdhsa_group_segment_fixed_size 8192
		.amdhsa_private_segment_fixed_size 0
		.amdhsa_kernarg_size 400
		.amdhsa_user_sgpr_count 2
		.amdhsa_user_sgpr_dispatch_ptr 0
		.amdhsa_user_sgpr_queue_ptr 0
		.amdhsa_user_sgpr_kernarg_segment_ptr 1
		.amdhsa_user_sgpr_dispatch_id 0
		.amdhsa_user_sgpr_kernarg_preload_length 0
		.amdhsa_user_sgpr_kernarg_preload_offset 0
		.amdhsa_user_sgpr_private_segment_size 0
		.amdhsa_uses_dynamic_stack 0
		.amdhsa_enable_private_segment 0
		.amdhsa_system_sgpr_workgroup_id_x 1
		.amdhsa_system_sgpr_workgroup_id_y 1
		.amdhsa_system_sgpr_workgroup_id_z 1
		.amdhsa_system_sgpr_workgroup_info 0
		.amdhsa_system_vgpr_workitem_id 0
		.amdhsa_next_free_vgpr 67
		.amdhsa_next_free_sgpr 48
		.amdhsa_accum_offset 68
		.amdhsa_reserve_vcc 1
		.amdhsa_float_round_mode_32 0
		.amdhsa_float_round_mode_16_64 0
		.amdhsa_float_denorm_mode_32 3
		.amdhsa_float_denorm_mode_16_64 3
		.amdhsa_dx10_clamp 1
		.amdhsa_ieee_mode 1
		.amdhsa_fp16_overflow 0
		.amdhsa_tg_split 0
		.amdhsa_exception_fp_ieee_invalid_op 0
		.amdhsa_exception_fp_denorm_src 0
		.amdhsa_exception_fp_ieee_div_zero 0
		.amdhsa_exception_fp_ieee_overflow 0
		.amdhsa_exception_fp_ieee_underflow 0
		.amdhsa_exception_fp_ieee_inexact 0
		.amdhsa_exception_int_div_zero 0
	.end_amdhsa_kernel
	.section	.text._Z39paged_attention_ll4mi_QKV_mfma16_kernelI14__hip_bfloat16S0_LN4vllm18Fp8KVCacheDataTypeE0ES0_Li32ELi64ELi256ELb0ELi11EEvPKT_PKT0_S8_ifPKiSA_SA_iPKfiiiPfSD_PS3_PT2_iSC_SC_,"axG",@progbits,_Z39paged_attention_ll4mi_QKV_mfma16_kernelI14__hip_bfloat16S0_LN4vllm18Fp8KVCacheDataTypeE0ES0_Li32ELi64ELi256ELb0ELi11EEvPKT_PKT0_S8_ifPKiSA_SA_iPKfiiiPfSD_PS3_PT2_iSC_SC_,comdat
.Lfunc_end566:
	.size	_Z39paged_attention_ll4mi_QKV_mfma16_kernelI14__hip_bfloat16S0_LN4vllm18Fp8KVCacheDataTypeE0ES0_Li32ELi64ELi256ELb0ELi11EEvPKT_PKT0_S8_ifPKiSA_SA_iPKfiiiPfSD_PS3_PT2_iSC_SC_, .Lfunc_end566-_Z39paged_attention_ll4mi_QKV_mfma16_kernelI14__hip_bfloat16S0_LN4vllm18Fp8KVCacheDataTypeE0ES0_Li32ELi64ELi256ELb0ELi11EEvPKT_PKT0_S8_ifPKiSA_SA_iPKfiiiPfSD_PS3_PT2_iSC_SC_
                                        ; -- End function
	.section	.AMDGPU.csdata,"",@progbits
; Kernel info:
; codeLenInByte = 4184
; NumSgprs: 54
; NumVgprs: 67
; NumAgprs: 0
; TotalNumVgprs: 67
; ScratchSize: 0
; MemoryBound: 0
; FloatMode: 240
; IeeeMode: 1
; LDSByteSize: 8192 bytes/workgroup (compile time only)
; SGPRBlocks: 6
; VGPRBlocks: 8
; NumSGPRsForWavesPerEU: 54
; NumVGPRsForWavesPerEU: 67
; AccumOffset: 68
; Occupancy: 7
; WaveLimiterHint : 1
; COMPUTE_PGM_RSRC2:SCRATCH_EN: 0
; COMPUTE_PGM_RSRC2:USER_SGPR: 2
; COMPUTE_PGM_RSRC2:TRAP_HANDLER: 0
; COMPUTE_PGM_RSRC2:TGID_X_EN: 1
; COMPUTE_PGM_RSRC2:TGID_Y_EN: 1
; COMPUTE_PGM_RSRC2:TGID_Z_EN: 1
; COMPUTE_PGM_RSRC2:TIDIG_COMP_CNT: 0
; COMPUTE_PGM_RSRC3_GFX90A:ACCUM_OFFSET: 16
; COMPUTE_PGM_RSRC3_GFX90A:TG_SPLIT: 0
	.section	.text._Z39paged_attention_ll4mi_QKV_mfma16_kernelI14__hip_bfloat16S0_LN4vllm18Fp8KVCacheDataTypeE0ES0_Li32ELi64ELi256ELb0ELi12EEvPKT_PKT0_S8_ifPKiSA_SA_iPKfiiiPfSD_PS3_PT2_iSC_SC_,"axG",@progbits,_Z39paged_attention_ll4mi_QKV_mfma16_kernelI14__hip_bfloat16S0_LN4vllm18Fp8KVCacheDataTypeE0ES0_Li32ELi64ELi256ELb0ELi12EEvPKT_PKT0_S8_ifPKiSA_SA_iPKfiiiPfSD_PS3_PT2_iSC_SC_,comdat
	.protected	_Z39paged_attention_ll4mi_QKV_mfma16_kernelI14__hip_bfloat16S0_LN4vllm18Fp8KVCacheDataTypeE0ES0_Li32ELi64ELi256ELb0ELi12EEvPKT_PKT0_S8_ifPKiSA_SA_iPKfiiiPfSD_PS3_PT2_iSC_SC_ ; -- Begin function _Z39paged_attention_ll4mi_QKV_mfma16_kernelI14__hip_bfloat16S0_LN4vllm18Fp8KVCacheDataTypeE0ES0_Li32ELi64ELi256ELb0ELi12EEvPKT_PKT0_S8_ifPKiSA_SA_iPKfiiiPfSD_PS3_PT2_iSC_SC_
	.globl	_Z39paged_attention_ll4mi_QKV_mfma16_kernelI14__hip_bfloat16S0_LN4vllm18Fp8KVCacheDataTypeE0ES0_Li32ELi64ELi256ELb0ELi12EEvPKT_PKT0_S8_ifPKiSA_SA_iPKfiiiPfSD_PS3_PT2_iSC_SC_
	.p2align	8
	.type	_Z39paged_attention_ll4mi_QKV_mfma16_kernelI14__hip_bfloat16S0_LN4vllm18Fp8KVCacheDataTypeE0ES0_Li32ELi64ELi256ELb0ELi12EEvPKT_PKT0_S8_ifPKiSA_SA_iPKfiiiPfSD_PS3_PT2_iSC_SC_,@function
_Z39paged_attention_ll4mi_QKV_mfma16_kernelI14__hip_bfloat16S0_LN4vllm18Fp8KVCacheDataTypeE0ES0_Li32ELi64ELi256ELb0ELi12EEvPKT_PKT0_S8_ifPKiSA_SA_iPKfiiiPfSD_PS3_PT2_iSC_SC_: ; @_Z39paged_attention_ll4mi_QKV_mfma16_kernelI14__hip_bfloat16S0_LN4vllm18Fp8KVCacheDataTypeE0ES0_Li32ELi64ELi256ELb0ELi12EEvPKT_PKT0_S8_ifPKiSA_SA_iPKfiiiPfSD_PS3_PT2_iSC_SC_
; %bb.0:
	s_load_dwordx2 s[6:7], s[0:1], 0x30
	s_mov_b32 s28, s3
	s_mov_b64 s[10:11], 0
	s_waitcnt lgkmcnt(0)
	s_cmp_lg_u64 s[6:7], 0
	s_cselect_b64 s[8:9], -1, 0
	s_and_b64 vcc, exec, s[8:9]
	s_cbranch_vccz .LBB567_7
; %bb.1:
	s_add_i32 s12, s2, 1
	s_mov_b32 s13, 0
	s_lshl_b64 s[14:15], s[12:13], 2
	s_add_u32 s14, s6, s14
	s_mov_b32 s3, s13
	s_addc_u32 s15, s7, s15
	s_lshl_b64 s[12:13], s[2:3], 2
	s_add_u32 s12, s6, s12
	s_addc_u32 s13, s7, s13
	s_load_dword s5, s[14:15], 0x0
	s_load_dword s16, s[12:13], 0x0
	s_waitcnt lgkmcnt(0)
	s_sub_i32 s5, s5, s16
	s_cmp_eq_u32 s5, 1
	s_cselect_b64 s[12:13], -1, 0
	s_andn2_b64 vcc, exec, s[10:11]
	s_cbranch_vccnz .LBB567_3
.LBB567_2:
	s_mov_b32 s3, 0
	s_mov_b64 s[12:13], -1
.LBB567_3:
	s_andn2_b64 vcc, exec, s[12:13]
	s_cbranch_vccnz .LBB567_19
; %bb.4:
	s_load_dwordx2 s[12:13], s[0:1], 0x28
	s_lshl_b64 s[10:11], s[2:3], 2
	s_waitcnt lgkmcnt(0)
	s_add_u32 s12, s12, s10
	s_addc_u32 s13, s13, s11
	s_load_dword s33, s[12:13], 0x0
	s_lshl_b32 s14, s28, 8
	s_waitcnt lgkmcnt(0)
	s_cmp_ge_i32 s14, s33
	s_cbranch_scc1 .LBB567_19
; %bb.5:
	s_load_dwordx2 s[12:13], s[0:1], 0x20
	s_load_dword s5, s[0:1], 0x38
	s_add_i32 s15, s33, 31
	s_ashr_i32 s16, s15, 31
	v_and_b32_e32 v1, 0xcf, v0
	s_lshr_b32 s16, s16, 27
	v_add_u32_e32 v1, s14, v1
	s_add_i32 s15, s15, s16
	v_ashrrev_i32_e32 v2, 31, v1
	s_ashr_i32 s15, s15, 5
	v_lshrrev_b32_e32 v10, 27, v2
	s_add_i32 s15, s15, -1
	s_waitcnt lgkmcnt(0)
	s_mul_i32 s16, s2, s5
	s_mov_b32 s17, 0
	v_add_u32_e32 v2, v1, v10
	s_lshl_b64 s[16:17], s[16:17], 2
	v_ashrrev_i32_e32 v2, 5, v2
	v_mov_b32_e32 v11, s15
	v_cmp_gt_i32_e32 vcc, s33, v1
	s_add_u32 s12, s12, s16
	s_addc_u32 s13, s13, s17
	v_cndmask_b32_e32 v2, v11, v2, vcc
	v_ashrrev_i32_e32 v3, 31, v2
	v_lshl_add_u64 v[4:5], v[2:3], 2, s[12:13]
	v_or_b32_e32 v2, 16, v1
	v_add_u32_e32 v3, v2, v10
	v_ashrrev_i32_e32 v3, 5, v3
	v_cmp_gt_i32_e32 vcc, s33, v2
	s_nop 1
	v_cndmask_b32_e32 v2, v11, v3, vcc
	v_ashrrev_i32_e32 v3, 31, v2
	v_lshl_add_u64 v[6:7], v[2:3], 2, s[12:13]
	v_or_b32_e32 v2, 32, v1
	v_add_u32_e32 v3, v2, v10
	v_ashrrev_i32_e32 v3, 5, v3
	v_cmp_gt_i32_e32 vcc, s33, v2
	v_or_b32_e32 v1, 48, v1
	s_nop 0
	v_cndmask_b32_e32 v2, v11, v3, vcc
	v_ashrrev_i32_e32 v3, 31, v2
	v_lshl_add_u64 v[8:9], v[2:3], 2, s[12:13]
	v_add_u32_e32 v2, v1, v10
	v_ashrrev_i32_e32 v2, 5, v2
	v_cmp_gt_i32_e32 vcc, s33, v1
	s_nop 1
	v_cndmask_b32_e32 v2, v11, v2, vcc
	v_ashrrev_i32_e32 v3, 31, v2
	v_lshl_add_u64 v[12:13], v[2:3], 2, s[12:13]
	global_load_dword v3, v[4:5], off
	global_load_dword v2, v[6:7], off
	;; [unrolled: 1-line block ×4, first 2 shown]
	s_andn2_b64 vcc, exec, s[8:9]
	s_cbranch_vccnz .LBB567_8
; %bb.6:
	s_add_u32 s6, s6, s10
	s_addc_u32 s7, s7, s11
	s_load_dword s5, s[6:7], 0x0
	s_branch .LBB567_9
.LBB567_7:
	s_mov_b64 s[12:13], 0
	s_branch .LBB567_2
.LBB567_8:
	s_mov_b32 s5, s2
.LBB567_9:
	s_load_dwordx4 s[8:11], s[0:1], 0x8
	s_load_dwordx4 s[44:47], s[0:1], 0x48
	v_and_b32_e32 v36, 15, v0
	s_movk_i32 s6, 0xbf
	v_cmp_lt_u32_e32 vcc, s6, v0
	v_cmp_lt_u32_e64 s[6:7], 7, v36
	v_lshlrev_b32_e32 v34, 3, v36
	v_cmp_gt_u32_e64 s[30:31], 8, v36
	s_or_b64 s[6:7], vcc, s[6:7]
	s_and_saveexec_b64 s[16:17], s[6:7]
	s_xor_b64 s[6:7], exec, s[16:17]
; %bb.10:
	v_mov_b32_e32 v35, 0
; %bb.11:
	s_or_saveexec_b64 s[6:7], s[6:7]
	v_lshrrev_b32_e32 v37, 6, v0
	v_and_b32_e32 v54, 63, v0
	v_bfe_u32 v1, v0, 4, 2
	s_mul_i32 s42, s4, 12
	s_xor_b64 exec, exec, s[6:7]
	s_cbranch_execz .LBB567_13
; %bb.12:
	s_load_dwordx2 s[16:17], s[0:1], 0x0
	s_waitcnt lgkmcnt(0)
	s_ashr_i32 s18, s44, 31
	s_mul_hi_u32 s19, s5, s44
	s_mul_i32 s18, s5, s18
	s_add_i32 s19, s19, s18
	s_mul_i32 s18, s5, s44
	v_lshl_or_b32 v8, v37, 2, v1
	s_lshl_b64 s[18:19], s[18:19], 1
	s_add_u32 s16, s16, s18
	v_add_lshl_u32 v4, v8, s42, 6
	s_addc_u32 s17, s17, s19
	v_ashrrev_i32_e32 v5, 31, v4
	v_mov_b32_e32 v35, 0
	v_lshl_add_u64 v[4:5], v[4:5], 1, s[16:17]
	v_lshlrev_b32_e32 v6, 1, v34
	v_mov_b32_e32 v7, v35
	v_lshl_add_u64 v[4:5], v[4:5], 0, v[6:7]
	global_load_dwordx4 v[4:7], v[4:5], off
	v_and_b32_e32 v9, 3, v0
	v_lshlrev_b32_e32 v11, 9, v36
	v_lshlrev_b32_e32 v8, 5, v8
	v_lshlrev_b32_e32 v9, 9, v9
	v_and_b32_e32 v11, 0x1800, v11
	v_or3_b32 v8, v11, v9, v8
	s_waitcnt vmcnt(0)
	ds_write_b128 v8, v[4:7]
.LBB567_13:
	s_or_b64 exec, exec, s[6:7]
	s_waitcnt lgkmcnt(0)
	s_mul_i32 s4, s4, s46
	s_mov_b32 s5, 0
	s_lshl_b64 s[4:5], s[4:5], 1
	s_add_u32 s8, s8, s4
	s_addc_u32 s9, s9, s5
	s_waitcnt vmcnt(3)
	v_mad_i64_i32 v[4:5], s[16:17], v3, s45, 0
	v_lshl_add_u64 v[4:5], v[4:5], 1, s[8:9]
	v_lshlrev_b64 v[12:13], 1, v[34:35]
	v_lshlrev_b32_e32 v38, 9, v1
	v_lshl_add_u64 v[4:5], v[4:5], 0, v[12:13]
	v_mov_b32_e32 v39, 0
	v_lshl_add_u64 v[14:15], v[4:5], 0, v[38:39]
	s_waitcnt vmcnt(2)
	v_mad_i64_i32 v[2:3], s[16:17], v2, s45, 0
	v_mov_b32_e32 v4, 0x100
	v_lshl_add_u64 v[2:3], v[2:3], 1, s[8:9]
	v_lshl_or_b32 v40, v36, 4, v4
	v_mov_b32_e32 v41, v39
	s_load_dword s29, s[0:1], 0x98
	s_load_dword s6, s[0:1], 0x1c
	s_waitcnt lgkmcnt(0)
	s_barrier
	v_lshl_add_u64 v[2:3], v[2:3], 0, v[40:41]
	global_load_dwordx4 v[6:9], v[14:15], off
	global_load_dwordx4 v[22:25], v[14:15], off offset:2048
	v_lshl_add_u64 v[18:19], v[2:3], 0, v[38:39]
	global_load_dwordx4 v[2:5], v[18:19], off
	global_load_dwordx4 v[26:29], v[18:19], off offset:2048
	s_waitcnt vmcnt(5)
	v_mad_i64_i32 v[10:11], s[16:17], v10, s45, 0
	v_lshl_add_u64 v[10:11], v[10:11], 1, s[8:9]
	v_lshl_add_u64 v[10:11], v[10:11], 0, v[12:13]
	v_lshl_add_u64 v[20:21], v[10:11], 0, v[38:39]
	global_load_dwordx4 v[10:13], v[20:21], off
	global_load_dwordx4 v[30:33], v[20:21], off offset:2048
	s_waitcnt vmcnt(6)
	v_mad_i64_i32 v[42:43], s[16:17], v16, s45, 0
	v_add_u32_e32 v17, -12, v36
	v_cmp_gt_u32_e32 vcc, 12, v36
	v_lshl_add_u64 v[42:43], v[42:43], 1, s[8:9]
	v_lshl_add_u64 v[40:41], v[42:43], 0, v[40:41]
	v_cndmask_b32_e32 v14, v17, v36, vcc
	v_lshl_add_u32 v14, v14, 5, v38
	v_lshl_add_u64 v[40:41], v[40:41], 0, v[38:39]
	ds_read_b128 v[18:21], v14
	ds_read_b128 v[14:17], v14 offset:2048
	global_load_dwordx4 v[46:49], v[40:41], off
	global_load_dwordx4 v[60:63], v[40:41], off offset:2048
	s_ashr_i32 s7, s14, 31
	v_and_or_b32 v55, v0, 48, s14
	s_lshr_b32 s7, s7, 27
	v_add_u32_e32 v42, s7, v55
	v_mov_b32_e32 v64, s15
	v_or_b32_e32 v50, 64, v55
	v_ashrrev_i32_e32 v38, 5, v42
	v_cmp_gt_i32_e32 vcc, s33, v55
	v_add_u32_e32 v43, s7, v50
	v_ashrrev_i32_e32 v51, 5, v43
	v_cndmask_b32_e32 v42, v64, v38, vcc
	v_ashrrev_i32_e32 v43, 31, v42
	v_lshl_add_u64 v[42:43], v[42:43], 2, s[12:13]
	v_cmp_gt_i32_e32 vcc, s33, v50
	global_load_dword v65, v[42:43], off
	v_or_b32_e32 v40, 0x80, v55
	v_or_b32_e32 v41, 0xc0, v55
	v_and_b32_e32 v38, 16, v0
	s_add_u32 s4, s10, s4
	s_addc_u32 s5, s11, s5
	v_lshlrev_b32_e32 v38, 1, v38
	s_mov_b32 s43, 0xff7fffff
	s_waitcnt vmcnt(8) lgkmcnt(1)
	v_mfma_f32_16x16x16_bf16 v[42:45], v[6:7], v[18:19], 0
	v_cndmask_b32_e32 v6, v64, v51, vcc
	v_ashrrev_i32_e32 v7, 31, v6
	v_cmp_gt_i32_e32 vcc, s33, v40
	s_waitcnt vmcnt(6)
	v_mfma_f32_16x16x16_bf16 v[50:53], v[2:3], v[18:19], 0
	v_lshl_add_u64 v[2:3], v[6:7], 2, s[12:13]
	global_load_dword v66, v[2:3], off
	v_mfma_f32_16x16x16_bf16 v[6:9], v[8:9], v[20:21], v[42:45]
	v_mfma_f32_16x16x16_bf16 v[2:5], v[4:5], v[20:21], v[50:53]
	s_nop 1
	v_add_u32_e32 v42, s7, v40
	v_add_u32_e32 v43, s7, v41
	v_ashrrev_i32_e32 v42, 5, v42
	s_waitcnt lgkmcnt(0)
	v_mfma_f32_16x16x16_bf16 v[6:9], v[22:23], v[14:15], v[6:9]
	v_lshlrev_b32_e32 v45, 6, v36
	v_ashrrev_i32_e32 v43, 5, v43
	v_cndmask_b32_e32 v44, v64, v42, vcc
	s_waitcnt vmcnt(5)
	v_mfma_f32_16x16x16_bf16 v[56:59], v[10:11], v[18:19], 0
	v_cmp_gt_i32_e32 vcc, s33, v41
	v_lshl_add_u64 v[50:51], s[4:5], 0, v[38:39]
	v_lshl_or_b32 v38, v37, 10, v45
	v_mfma_f32_16x16x16_bf16 v[2:5], v[26:27], v[14:15], v[2:5]
	v_cndmask_b32_e32 v26, v64, v43, vcc
	v_ashrrev_i32_e32 v45, 31, v44
	v_ashrrev_i32_e32 v27, 31, v26
	v_mfma_f32_16x16x16_bf16 v[22:25], v[24:25], v[16:17], v[6:9]
	s_nop 2
	v_lshl_add_u64 v[6:7], v[44:45], 2, s[12:13]
	v_mfma_f32_16x16x16_bf16 v[10:13], v[12:13], v[20:21], v[56:59]
	v_lshl_add_u64 v[8:9], v[26:27], 2, s[12:13]
	global_load_dword v55, v[6:7], off
	s_nop 0
	global_load_dword v58, v[8:9], off
	s_waitcnt vmcnt(6)
	v_mfma_f32_16x16x16_bf16 v[40:43], v[30:31], v[14:15], v[10:13]
	s_nop 2
	v_lshl_add_u64 v[10:11], v[50:51], 0, v[38:39]
	v_mfma_f32_16x16x16_bf16 v[30:33], v[32:33], v[16:17], v[40:43]
	v_pk_mul_f32 v[50:51], s[6:7], v[24:25] op_sel_hi:[0,1]
	s_waitcnt vmcnt(2)
	v_mad_i64_i32 v[12:13], s[4:5], v66, s45, 0
	v_mfma_f32_16x16x16_bf16 v[38:41], v[46:47], v[18:19], 0
	v_lshl_add_u64 v[56:57], v[12:13], 1, v[10:11]
	v_pk_mul_f32 v[12:13], s[6:7], v[22:23] op_sel_hi:[0,1]
	s_nop 0
	v_pk_mul_f32 v[46:47], s[6:7], v[30:31] op_sel_hi:[0,1]
	v_mfma_f32_16x16x16_bf16 v[18:21], v[48:49], v[20:21], v[38:41]
	v_pk_mul_f32 v[48:49], s[6:7], v[32:33] op_sel_hi:[0,1]
	v_mfma_f32_16x16x16_bf16 v[18:21], v[60:61], v[14:15], v[18:21]
	v_mfma_f32_16x16x16_bf16 v[26:29], v[28:29], v[16:17], v[2:5]
	;; [unrolled: 1-line block ×3, first 2 shown]
	s_nop 1
	v_mad_i64_i32 v[2:3], s[4:5], v65, s45, 0
	s_nop 2
	v_pk_mul_f32 v[42:43], s[6:7], v[26:27] op_sel_hi:[0,1]
	v_pk_mul_f32 v[52:53], s[6:7], v[28:29] op_sel_hi:[0,1]
	v_lshl_add_u64 v[2:3], v[2:3], 1, v[10:11]
	v_pk_mul_f32 v[44:45], s[6:7], v[14:15] op_sel_hi:[0,1]
	v_and_b32_e32 v14, 0xc0, v0
	v_add_u32_e32 v14, s14, v14
	v_lshl_or_b32 v14, v1, 2, v14
	v_pk_mul_f32 v[38:39], s[6:7], v[16:17] op_sel_hi:[0,1]
	v_or_b32_e32 v17, 1, v14
	v_mov_b32_e32 v15, 0xff7fffff
	v_cmp_gt_i32_e64 s[4:5], s33, v14
	v_cmp_gt_i32_e64 s[34:35], s33, v17
	v_or_b32_e32 v18, 3, v14
	v_cndmask_b32_e64 v16, v15, v12, s[4:5]
	v_cndmask_b32_e64 v17, v15, v13, s[34:35]
	v_max3_f32 v16, v16, s43, v17
	v_or_b32_e32 v17, 2, v14
	v_cmp_gt_i32_e64 s[36:37], s33, v17
	v_cmp_gt_i32_e64 s[38:39], s33, v18
	global_load_dwordx4 v[6:9], v[2:3], off
	s_nop 0
	global_load_dwordx4 v[2:5], v[2:3], off offset:16
	v_cndmask_b32_e64 v17, v15, v50, s[36:37]
	v_cndmask_b32_e64 v18, v15, v51, s[38:39]
	v_max3_f32 v16, v16, v17, v18
	v_or_b32_e32 v17, 16, v14
	v_or_b32_e32 v18, 17, v14
	v_cmp_gt_i32_e64 s[24:25], s33, v17
	v_cmp_gt_i32_e64 s[26:27], s33, v18
	global_load_dwordx4 v[30:33], v[56:57], off
	global_load_dwordx4 v[26:29], v[56:57], off offset:16
	v_cndmask_b32_e64 v17, v15, v42, s[24:25]
	v_cndmask_b32_e64 v18, v15, v43, s[26:27]
	v_max3_f32 v16, v16, v17, v18
	v_or_b32_e32 v17, 18, v14
	v_or_b32_e32 v18, 19, v14
	v_cmp_gt_i32_e64 s[20:21], s33, v17
	v_cmp_gt_i32_e64 s[22:23], s33, v18
	s_nop 0
	v_cndmask_b32_e64 v17, v15, v52, s[20:21]
	v_cndmask_b32_e64 v18, v15, v53, s[22:23]
	v_max3_f32 v16, v16, v17, v18
	v_or_b32_e32 v17, 32, v14
	v_or_b32_e32 v18, 33, v14
	v_cmp_gt_i32_e64 s[16:17], s33, v17
	v_cmp_gt_i32_e64 s[18:19], s33, v18
	s_nop 0
	;; [unrolled: 8-line block ×4, first 2 shown]
	v_cndmask_b32_e64 v17, v15, v44, s[8:9]
	v_cndmask_b32_e64 v18, v15, v45, s[10:11]
	v_max3_f32 v16, v16, v17, v18
	v_or_b32_e32 v17, 50, v14
	v_or_b32_e32 v14, 51, v14
	v_cmp_gt_i32_e32 vcc, s33, v17
	v_cmp_gt_i32_e64 s[6:7], s33, v14
	s_nop 0
	v_cndmask_b32_e32 v17, v15, v38, vcc
	v_cndmask_b32_e64 v14, v15, v39, s[6:7]
	v_max3_f32 v16, v16, v17, v14
	v_mbcnt_lo_u32_b32 v14, -1, 0
	v_mbcnt_hi_u32_b32 v17, -1, v14
	v_and_b32_e32 v14, 64, v17
	v_add_u32_e32 v18, 64, v14
	v_xor_b32_e32 v14, 32, v17
	v_cmp_lt_i32_e64 s[40:41], v14, v18
	s_nop 1
	v_cndmask_b32_e64 v14, v17, v14, s[40:41]
	v_lshlrev_b32_e32 v59, 2, v14
	ds_bpermute_b32 v19, v59, v16
	s_waitcnt vmcnt(5)
	v_mad_i64_i32 v[14:15], s[40:41], v55, s45, 0
	v_lshl_add_u64 v[14:15], v[14:15], 1, v[10:11]
	s_waitcnt lgkmcnt(0)
	v_max_f32_e32 v19, v19, v19
	v_max_f32_e32 v16, v16, v19
	v_xor_b32_e32 v19, 16, v17
	v_cmp_lt_i32_e64 s[40:41], v19, v18
	s_nop 1
	v_cndmask_b32_e64 v17, v17, v19, s[40:41]
	v_lshlrev_b32_e32 v56, 2, v17
	ds_bpermute_b32 v17, v56, v16
	global_load_dwordx4 v[22:25], v[14:15], off
	global_load_dwordx4 v[18:21], v[14:15], off offset:16
	s_waitcnt vmcnt(6)
	v_mad_i64_i32 v[14:15], s[40:41], v58, s45, 0
	v_lshl_add_u64 v[10:11], v[14:15], 1, v[10:11]
	s_waitcnt lgkmcnt(0)
	v_max_f32_e32 v14, v17, v17
	v_max_f32_e32 v55, v16, v14
	v_sub_f32_e32 v12, v12, v55
	v_mul_f32_e32 v12, 0x3fb8aa3b, v12
	v_exp_f32_e32 v40, v12
	v_sub_f32_e32 v12, v13, v55
	v_mul_f32_e32 v12, 0x3fb8aa3b, v12
	v_exp_f32_e32 v41, v12
	global_load_dwordx4 v[14:17], v[10:11], off
	s_nop 0
	global_load_dwordx4 v[10:13], v[10:11], off offset:16
	v_sub_f32_e32 v50, v50, v55
	v_mul_f32_e32 v50, 0x3fb8aa3b, v50
	v_sub_f32_e32 v51, v51, v55
	v_exp_f32_e32 v50, v50
	v_mul_f32_e32 v51, 0x3fb8aa3b, v51
	v_sub_f32_e32 v42, v42, v55
	v_exp_f32_e32 v51, v51
	v_mul_f32_e32 v42, 0x3fb8aa3b, v42
	v_sub_f32_e32 v43, v43, v55
	v_cndmask_b32_e64 v40, 0, v40, s[4:5]
	v_exp_f32_e32 v42, v42
	v_mul_f32_e32 v43, 0x3fb8aa3b, v43
	v_sub_f32_e32 v52, v52, v55
	v_add_f32_e32 v57, 0, v40
	v_cndmask_b32_e64 v41, 0, v41, s[34:35]
	v_exp_f32_e32 v43, v43
	v_mul_f32_e32 v52, 0x3fb8aa3b, v52
	v_sub_f32_e32 v53, v53, v55
	v_add_f32_e32 v57, v57, v41
	;; [unrolled: 5-line block ×10, first 2 shown]
	v_cndmask_b32_e64 v48, 0, v48, s[12:13]
	v_exp_f32_e32 v38, v38
	v_mul_f32_e32 v39, 0x3fb8aa3b, v39
	v_add_f32_e32 v57, v57, v48
	v_cndmask_b32_e64 v49, 0, v49, s[14:15]
	v_exp_f32_e32 v39, v39
	v_add_f32_e32 v57, v57, v49
	v_cndmask_b32_e64 v44, 0, v44, s[8:9]
	v_add_f32_e32 v57, v57, v44
	v_cndmask_b32_e64 v45, 0, v45, s[10:11]
	v_add_f32_e32 v57, v57, v45
	v_cndmask_b32_e32 v38, 0, v38, vcc
	v_add_f32_e32 v57, v57, v38
	v_cndmask_b32_e64 v39, 0, v39, s[6:7]
	v_add_f32_e32 v57, v57, v39
	ds_bpermute_b32 v58, v59, v57
	v_cmp_gt_u32_e32 vcc, 16, v54
	s_waitcnt lgkmcnt(0)
	s_barrier
	v_add_f32_e32 v57, v57, v58
	ds_bpermute_b32 v58, v56, v57
	v_lshlrev_b32_e32 v56, 2, v36
	s_and_saveexec_b64 s[4:5], vcc
	s_cbranch_execz .LBB567_15
; %bb.14:
	s_waitcnt lgkmcnt(0)
	v_add_f32_e32 v54, v57, v58
	v_lshl_or_b32 v57, v37, 6, v56
	ds_write2st64_b32 v57, v55, v54 offset1:1
.LBB567_15:
	s_or_b64 exec, exec, s[4:5]
	s_load_dword s6, s[0:1], 0x94
	s_waitcnt lgkmcnt(0)
	s_barrier
	ds_read2_b32 v[58:59], v56 offset1:16
	ds_read2_b32 v[60:61], v56 offset0:32 offset1:48
	ds_read2_b32 v[62:63], v56 offset0:64 offset1:80
	;; [unrolled: 1-line block ×3, first 2 shown]
	s_movk_i32 s8, 0x7fff
	s_waitcnt lgkmcnt(3)
	v_max3_f32 v54, v58, s43, v59
	s_waitcnt lgkmcnt(2)
	v_max3_f32 v54, v54, v60, v61
	v_sub_f32_e32 v55, v58, v54
	v_mul_f32_e32 v55, 0x3fb8aa3b, v55
	v_exp_f32_e32 v58, v55
	v_sub_f32_e32 v55, v59, v54
	v_mul_f32_e32 v55, 0x3fb8aa3b, v55
	v_exp_f32_e32 v59, v55
	;; [unrolled: 3-line block ×4, first 2 shown]
	s_waitcnt lgkmcnt(1)
	v_fma_f32 v55, v58, v62, 0
	v_fmac_f32_e32 v55, v59, v63
	s_waitcnt lgkmcnt(0)
	v_fmac_f32_e32 v55, v60, v56
	v_fmac_f32_e32 v55, v61, v57
	v_add_f32_e32 v56, 0x358637bd, v55
	v_div_scale_f32 v57, s[4:5], v56, v56, 1.0
	v_rcp_f32_e32 v62, v57
	s_mov_b32 s9, 0x7060302
	s_barrier
	v_fma_f32 v63, -v57, v62, 1.0
	v_fmac_f32_e32 v62, v63, v62
	v_div_scale_f32 v63, vcc, 1.0, v56, 1.0
	v_mul_f32_e32 v64, v63, v62
	v_fma_f32 v65, -v57, v64, v63
	v_fmac_f32_e32 v64, v65, v62
	v_fma_f32 v57, -v57, v64, v63
	v_div_fmas_f32 v57, v57, v62, v64
	v_cmp_eq_u32_e32 vcc, 1, v37
	v_div_fixup_f32 v56, v57, v56, 1.0
	s_nop 0
	v_cndmask_b32_e32 v57, v58, v59, vcc
	v_cmp_eq_u32_e32 vcc, 2, v37
	s_mul_i32 s7, s29, 12
	s_nop 0
	v_cndmask_b32_e32 v57, v57, v60, vcc
	v_cmp_eq_u32_e32 vcc, 3, v37
	v_lshlrev_b32_e32 v37, 11, v37
	s_nop 0
	v_cndmask_b32_e32 v57, v57, v61, vcc
	v_mul_f32_e32 v56, v57, v56
	v_pk_mul_f32 v[40:41], v[56:57], v[40:41] op_sel_hi:[0,1]
	v_pk_mul_f32 v[50:51], v[56:57], v[50:51] op_sel_hi:[0,1]
	v_bfe_u32 v57, v41, 16, 1
	v_bfe_u32 v58, v40, 16, 1
	v_add3_u32 v40, v40, v58, s8
	v_add3_u32 v41, v41, v57, s8
	v_perm_b32 v58, v41, v40, s9
	v_bfe_u32 v40, v51, 16, 1
	v_bfe_u32 v41, v50, 16, 1
	v_add3_u32 v41, v50, v41, s8
	v_add3_u32 v40, v51, v40, s8
	v_perm_b32 v59, v40, v41, s9
	v_lshlrev_b32_e32 v40, 3, v1
	v_lshlrev_b32_e32 v41, 5, v36
	v_pk_mul_f32 v[42:43], v[56:57], v[42:43] op_sel_hi:[0,1]
	v_or3_b32 v40, v37, v41, v40
	v_pk_mul_f32 v[50:51], v[56:57], v[52:53] op_sel_hi:[0,1]
	v_bfe_u32 v37, v43, 16, 1
	v_bfe_u32 v52, v42, 16, 1
	v_add3_u32 v42, v42, v52, s8
	v_add3_u32 v37, v43, v37, s8
	v_perm_b32 v42, v37, v42, s9
	v_bfe_u32 v37, v51, 16, 1
	v_bfe_u32 v43, v50, 16, 1
	v_add3_u32 v43, v50, v43, s8
	v_add3_u32 v37, v51, v37, s8
	v_perm_b32 v43, v37, v43, s9
	v_pk_mul_f32 v[46:47], v[56:57], v[46:47] op_sel_hi:[0,1]
	ds_write2st64_b64 v40, v[58:59], v[42:43] offset1:1
	v_pk_mul_f32 v[42:43], v[56:57], v[48:49] op_sel_hi:[0,1]
	v_bfe_u32 v37, v47, 16, 1
	v_bfe_u32 v48, v46, 16, 1
	v_add3_u32 v46, v46, v48, s8
	v_add3_u32 v37, v47, v37, s8
	v_perm_b32 v46, v37, v46, s9
	v_bfe_u32 v37, v43, 16, 1
	v_bfe_u32 v47, v42, 16, 1
	v_add3_u32 v42, v42, v47, s8
	v_add3_u32 v37, v43, v37, s8
	v_perm_b32 v47, v37, v42, s9
	v_pk_mul_f32 v[42:43], v[56:57], v[44:45] op_sel_hi:[0,1]
	v_bfe_u32 v37, v43, 16, 1
	v_bfe_u32 v44, v42, 16, 1
	v_pk_mul_f32 v[38:39], v[56:57], v[38:39] op_sel_hi:[0,1]
	v_add3_u32 v42, v42, v44, s8
	v_add3_u32 v37, v43, v37, s8
	v_perm_b32 v42, v37, v42, s9
	v_bfe_u32 v37, v39, 16, 1
	v_bfe_u32 v43, v38, 16, 1
	v_add3_u32 v38, v38, v43, s8
	v_add3_u32 v37, v39, v37, s8
	v_perm_b32 v43, v37, v38, s9
	v_cmp_gt_u32_e32 vcc, 12, v0
	ds_write2st64_b64 v40, v[46:47], v[42:43] offset0:2 offset1:3
	s_and_saveexec_b64 s[4:5], vcc
	s_cbranch_execz .LBB567_17
; %bb.16:
	s_mov_b32 s43, 0
	v_mov_b32_e32 v37, 0
	v_lshl_add_u64 v[38:39], s[42:43], 0, v[36:37]
	v_mov_b32_e32 v36, s7
	v_mad_u64_u32 v[38:39], s[10:11], s2, v36, v[38:39]
	v_mov_b32_e32 v36, s28
	s_load_dwordx4 s[12:15], s[0:1], 0x58
	s_mul_i32 s3, s3, s7
	v_mad_u64_u32 v[36:37], s[10:11], v38, s6, v[36:37]
	v_add_u32_e32 v39, s3, v39
	v_mov_b32_e32 v38, v37
	v_mad_u64_u32 v[38:39], s[10:11], v39, s6, v[38:39]
	v_mov_b32_e32 v37, v38
	v_lshlrev_b64 v[36:37], 2, v[36:37]
	s_waitcnt lgkmcnt(0)
	v_lshl_add_u64 v[38:39], s[14:15], 0, v[36:37]
	v_lshl_add_u64 v[36:37], s[12:13], 0, v[36:37]
	global_store_dword v[38:39], v54, off
	global_store_dword v[36:37], v55, off
.LBB567_17:
	s_or_b64 exec, exec, s[4:5]
	v_lshl_or_b32 v41, v1, 9, v41
	s_waitcnt lgkmcnt(0)
	s_barrier
	ds_read_b128 v[36:39], v41
	ds_read_b128 v[42:45], v41 offset:16
	s_waitcnt vmcnt(7) lgkmcnt(1)
	v_mfma_f32_16x16x16_bf16 v[46:49], v[6:7], v[36:37], 0
	v_cmp_gt_u32_e32 vcc, 64, v0
	s_mov_b32 s3, 0
	s_and_b64 s[4:5], vcc, s[30:31]
	v_mfma_f32_16x16x16_bf16 v[6:9], v[8:9], v[38:39], v[46:49]
	s_waitcnt vmcnt(6) lgkmcnt(0)
	v_mfma_f32_16x16x16_bf16 v[6:9], v[2:3], v[42:43], v[6:9]
	v_mfma_f32_16x16x16_bf16 v[2:5], v[4:5], v[44:45], v[6:9]
	s_nop 5
	ds_read_b128 v[6:9], v41 offset:2048
	ds_read_b128 v[36:39], v41 offset:2064
	s_waitcnt vmcnt(5) lgkmcnt(1)
	v_mfma_f32_16x16x16_bf16 v[2:5], v[30:31], v[6:7], v[2:5]
	v_mfma_f32_16x16x16_bf16 v[2:5], v[32:33], v[8:9], v[2:5]
	s_waitcnt vmcnt(4) lgkmcnt(0)
	v_mfma_f32_16x16x16_bf16 v[2:5], v[26:27], v[36:37], v[2:5]
	v_mfma_f32_16x16x16_bf16 v[2:5], v[28:29], v[38:39], v[2:5]
	ds_read_b128 v[6:9], v41 offset:4096
	ds_read_b128 v[26:29], v41 offset:4112
	s_waitcnt vmcnt(3) lgkmcnt(1)
	v_mfma_f32_16x16x16_bf16 v[2:5], v[22:23], v[6:7], v[2:5]
	v_mfma_f32_16x16x16_bf16 v[2:5], v[24:25], v[8:9], v[2:5]
	s_waitcnt vmcnt(2) lgkmcnt(0)
	v_mfma_f32_16x16x16_bf16 v[2:5], v[18:19], v[26:27], v[2:5]
	v_mfma_f32_16x16x16_bf16 v[2:5], v[20:21], v[28:29], v[2:5]
	ds_read_b128 v[6:9], v41 offset:6144
	ds_read_b128 v[18:21], v41 offset:6160
	s_waitcnt lgkmcnt(0)
	s_barrier
	s_waitcnt vmcnt(1)
	v_mfma_f32_16x16x16_bf16 v[2:5], v[14:15], v[6:7], v[2:5]
	v_mfma_f32_16x16x16_bf16 v[2:5], v[16:17], v[8:9], v[2:5]
	s_waitcnt vmcnt(0)
	v_mfma_f32_16x16x16_bf16 v[2:5], v[10:11], v[18:19], v[2:5]
	v_mfma_f32_16x16x16_bf16 v[2:5], v[12:13], v[20:21], v[2:5]
	s_nop 6
	v_bfe_u32 v6, v3, 16, 1
	v_bfe_u32 v7, v2, 16, 1
	;; [unrolled: 1-line block ×4, first 2 shown]
	v_add3_u32 v2, v2, v7, s8
	v_add3_u32 v3, v3, v6, s8
	v_add3_u32 v4, v4, v9, s8
	v_add3_u32 v5, v5, v8, s8
	v_perm_b32 v2, v3, v2, s9
	v_perm_b32 v3, v5, v4, s9
	ds_write_b64 v40, v[2:3]
	s_waitcnt lgkmcnt(0)
	s_barrier
	s_and_saveexec_b64 s[8:9], s[4:5]
	s_cbranch_execz .LBB567_19
; %bb.18:
	s_load_dwordx2 s[0:1], s[0:1], 0x68
	s_lshl_b32 s6, s6, 6
	s_mul_i32 s2, s7, s2
	s_mul_hi_u32 s5, s2, s6
	s_mul_i32 s4, s2, s6
	s_lshl_b64 s[4:5], s[4:5], 1
	s_waitcnt lgkmcnt(0)
	s_add_u32 s4, s0, s4
	v_lshlrev_b32_e32 v2, 10, v0
	v_lshlrev_b32_e32 v0, 4, v0
	s_addc_u32 s5, s1, s5
	s_lshl_b32 s2, s28, 6
	v_and_b32_e32 v2, 0x1800, v2
	v_lshlrev_b32_e32 v3, 5, v1
	v_and_b32_e32 v0, 16, v0
	s_lshl_b64 s[0:1], s[2:3], 1
	v_or3_b32 v0, v2, v3, v0
	s_add_u32 s0, s4, s0
	ds_read_b128 v[2:5], v0
	ds_read_b128 v[6:9], v0 offset:128
	ds_read_b128 v[10:13], v0 offset:256
	s_addc_u32 s1, s5, s1
	v_or_b32_e32 v16, s42, v1
	v_lshl_add_u64 v[0:1], v[34:35], 1, s[0:1]
	v_mad_u64_u32 v[14:15], s[0:1], v16, s6, 0
	v_lshl_add_u64 v[14:15], v[14:15], 1, v[0:1]
	s_waitcnt lgkmcnt(2)
	global_store_dwordx4 v[14:15], v[2:5], off
	s_nop 1
	v_add_u32_e32 v2, 4, v16
	v_mad_u64_u32 v[2:3], s[0:1], v2, s6, 0
	v_lshl_add_u64 v[2:3], v[2:3], 1, v[0:1]
	s_waitcnt lgkmcnt(1)
	global_store_dwordx4 v[2:3], v[6:9], off
	v_add_u32_e32 v2, 8, v16
	v_mad_u64_u32 v[2:3], s[0:1], v2, s6, 0
	v_lshl_add_u64 v[0:1], v[2:3], 1, v[0:1]
	s_waitcnt lgkmcnt(0)
	global_store_dwordx4 v[0:1], v[10:13], off
.LBB567_19:
	s_endpgm
	.section	.rodata,"a",@progbits
	.p2align	6, 0x0
	.amdhsa_kernel _Z39paged_attention_ll4mi_QKV_mfma16_kernelI14__hip_bfloat16S0_LN4vllm18Fp8KVCacheDataTypeE0ES0_Li32ELi64ELi256ELb0ELi12EEvPKT_PKT0_S8_ifPKiSA_SA_iPKfiiiPfSD_PS3_PT2_iSC_SC_
		.amdhsa_group_segment_fixed_size 8192
		.amdhsa_private_segment_fixed_size 0
		.amdhsa_kernarg_size 400
		.amdhsa_user_sgpr_count 2
		.amdhsa_user_sgpr_dispatch_ptr 0
		.amdhsa_user_sgpr_queue_ptr 0
		.amdhsa_user_sgpr_kernarg_segment_ptr 1
		.amdhsa_user_sgpr_dispatch_id 0
		.amdhsa_user_sgpr_kernarg_preload_length 0
		.amdhsa_user_sgpr_kernarg_preload_offset 0
		.amdhsa_user_sgpr_private_segment_size 0
		.amdhsa_uses_dynamic_stack 0
		.amdhsa_enable_private_segment 0
		.amdhsa_system_sgpr_workgroup_id_x 1
		.amdhsa_system_sgpr_workgroup_id_y 1
		.amdhsa_system_sgpr_workgroup_id_z 1
		.amdhsa_system_sgpr_workgroup_info 0
		.amdhsa_system_vgpr_workitem_id 0
		.amdhsa_next_free_vgpr 67
		.amdhsa_next_free_sgpr 48
		.amdhsa_accum_offset 68
		.amdhsa_reserve_vcc 1
		.amdhsa_float_round_mode_32 0
		.amdhsa_float_round_mode_16_64 0
		.amdhsa_float_denorm_mode_32 3
		.amdhsa_float_denorm_mode_16_64 3
		.amdhsa_dx10_clamp 1
		.amdhsa_ieee_mode 1
		.amdhsa_fp16_overflow 0
		.amdhsa_tg_split 0
		.amdhsa_exception_fp_ieee_invalid_op 0
		.amdhsa_exception_fp_denorm_src 0
		.amdhsa_exception_fp_ieee_div_zero 0
		.amdhsa_exception_fp_ieee_overflow 0
		.amdhsa_exception_fp_ieee_underflow 0
		.amdhsa_exception_fp_ieee_inexact 0
		.amdhsa_exception_int_div_zero 0
	.end_amdhsa_kernel
	.section	.text._Z39paged_attention_ll4mi_QKV_mfma16_kernelI14__hip_bfloat16S0_LN4vllm18Fp8KVCacheDataTypeE0ES0_Li32ELi64ELi256ELb0ELi12EEvPKT_PKT0_S8_ifPKiSA_SA_iPKfiiiPfSD_PS3_PT2_iSC_SC_,"axG",@progbits,_Z39paged_attention_ll4mi_QKV_mfma16_kernelI14__hip_bfloat16S0_LN4vllm18Fp8KVCacheDataTypeE0ES0_Li32ELi64ELi256ELb0ELi12EEvPKT_PKT0_S8_ifPKiSA_SA_iPKfiiiPfSD_PS3_PT2_iSC_SC_,comdat
.Lfunc_end567:
	.size	_Z39paged_attention_ll4mi_QKV_mfma16_kernelI14__hip_bfloat16S0_LN4vllm18Fp8KVCacheDataTypeE0ES0_Li32ELi64ELi256ELb0ELi12EEvPKT_PKT0_S8_ifPKiSA_SA_iPKfiiiPfSD_PS3_PT2_iSC_SC_, .Lfunc_end567-_Z39paged_attention_ll4mi_QKV_mfma16_kernelI14__hip_bfloat16S0_LN4vllm18Fp8KVCacheDataTypeE0ES0_Li32ELi64ELi256ELb0ELi12EEvPKT_PKT0_S8_ifPKiSA_SA_iPKfiiiPfSD_PS3_PT2_iSC_SC_
                                        ; -- End function
	.section	.AMDGPU.csdata,"",@progbits
; Kernel info:
; codeLenInByte = 4176
; NumSgprs: 54
; NumVgprs: 67
; NumAgprs: 0
; TotalNumVgprs: 67
; ScratchSize: 0
; MemoryBound: 0
; FloatMode: 240
; IeeeMode: 1
; LDSByteSize: 8192 bytes/workgroup (compile time only)
; SGPRBlocks: 6
; VGPRBlocks: 8
; NumSGPRsForWavesPerEU: 54
; NumVGPRsForWavesPerEU: 67
; AccumOffset: 68
; Occupancy: 7
; WaveLimiterHint : 1
; COMPUTE_PGM_RSRC2:SCRATCH_EN: 0
; COMPUTE_PGM_RSRC2:USER_SGPR: 2
; COMPUTE_PGM_RSRC2:TRAP_HANDLER: 0
; COMPUTE_PGM_RSRC2:TGID_X_EN: 1
; COMPUTE_PGM_RSRC2:TGID_Y_EN: 1
; COMPUTE_PGM_RSRC2:TGID_Z_EN: 1
; COMPUTE_PGM_RSRC2:TIDIG_COMP_CNT: 0
; COMPUTE_PGM_RSRC3_GFX90A:ACCUM_OFFSET: 16
; COMPUTE_PGM_RSRC3_GFX90A:TG_SPLIT: 0
	.section	.text._Z39paged_attention_ll4mi_QKV_mfma16_kernelI14__hip_bfloat16S0_LN4vllm18Fp8KVCacheDataTypeE0ES0_Li32ELi64ELi256ELb0ELi13EEvPKT_PKT0_S8_ifPKiSA_SA_iPKfiiiPfSD_PS3_PT2_iSC_SC_,"axG",@progbits,_Z39paged_attention_ll4mi_QKV_mfma16_kernelI14__hip_bfloat16S0_LN4vllm18Fp8KVCacheDataTypeE0ES0_Li32ELi64ELi256ELb0ELi13EEvPKT_PKT0_S8_ifPKiSA_SA_iPKfiiiPfSD_PS3_PT2_iSC_SC_,comdat
	.protected	_Z39paged_attention_ll4mi_QKV_mfma16_kernelI14__hip_bfloat16S0_LN4vllm18Fp8KVCacheDataTypeE0ES0_Li32ELi64ELi256ELb0ELi13EEvPKT_PKT0_S8_ifPKiSA_SA_iPKfiiiPfSD_PS3_PT2_iSC_SC_ ; -- Begin function _Z39paged_attention_ll4mi_QKV_mfma16_kernelI14__hip_bfloat16S0_LN4vllm18Fp8KVCacheDataTypeE0ES0_Li32ELi64ELi256ELb0ELi13EEvPKT_PKT0_S8_ifPKiSA_SA_iPKfiiiPfSD_PS3_PT2_iSC_SC_
	.globl	_Z39paged_attention_ll4mi_QKV_mfma16_kernelI14__hip_bfloat16S0_LN4vllm18Fp8KVCacheDataTypeE0ES0_Li32ELi64ELi256ELb0ELi13EEvPKT_PKT0_S8_ifPKiSA_SA_iPKfiiiPfSD_PS3_PT2_iSC_SC_
	.p2align	8
	.type	_Z39paged_attention_ll4mi_QKV_mfma16_kernelI14__hip_bfloat16S0_LN4vllm18Fp8KVCacheDataTypeE0ES0_Li32ELi64ELi256ELb0ELi13EEvPKT_PKT0_S8_ifPKiSA_SA_iPKfiiiPfSD_PS3_PT2_iSC_SC_,@function
_Z39paged_attention_ll4mi_QKV_mfma16_kernelI14__hip_bfloat16S0_LN4vllm18Fp8KVCacheDataTypeE0ES0_Li32ELi64ELi256ELb0ELi13EEvPKT_PKT0_S8_ifPKiSA_SA_iPKfiiiPfSD_PS3_PT2_iSC_SC_: ; @_Z39paged_attention_ll4mi_QKV_mfma16_kernelI14__hip_bfloat16S0_LN4vllm18Fp8KVCacheDataTypeE0ES0_Li32ELi64ELi256ELb0ELi13EEvPKT_PKT0_S8_ifPKiSA_SA_iPKfiiiPfSD_PS3_PT2_iSC_SC_
; %bb.0:
	s_load_dwordx2 s[6:7], s[0:1], 0x30
	s_mov_b32 s28, s3
	s_mov_b64 s[10:11], 0
	s_waitcnt lgkmcnt(0)
	s_cmp_lg_u64 s[6:7], 0
	s_cselect_b64 s[8:9], -1, 0
	s_and_b64 vcc, exec, s[8:9]
	s_cbranch_vccz .LBB568_7
; %bb.1:
	s_add_i32 s12, s2, 1
	s_mov_b32 s13, 0
	s_lshl_b64 s[14:15], s[12:13], 2
	s_add_u32 s14, s6, s14
	s_mov_b32 s3, s13
	s_addc_u32 s15, s7, s15
	s_lshl_b64 s[12:13], s[2:3], 2
	s_add_u32 s12, s6, s12
	s_addc_u32 s13, s7, s13
	s_load_dword s5, s[14:15], 0x0
	s_load_dword s16, s[12:13], 0x0
	s_waitcnt lgkmcnt(0)
	s_sub_i32 s5, s5, s16
	s_cmp_eq_u32 s5, 1
	s_cselect_b64 s[12:13], -1, 0
	s_andn2_b64 vcc, exec, s[10:11]
	s_cbranch_vccnz .LBB568_3
.LBB568_2:
	s_mov_b32 s3, 0
	s_mov_b64 s[12:13], -1
.LBB568_3:
	s_andn2_b64 vcc, exec, s[12:13]
	s_cbranch_vccnz .LBB568_20
; %bb.4:
	s_load_dwordx2 s[12:13], s[0:1], 0x28
	s_lshl_b64 s[10:11], s[2:3], 2
	s_waitcnt lgkmcnt(0)
	s_add_u32 s12, s12, s10
	s_addc_u32 s13, s13, s11
	s_load_dword s33, s[12:13], 0x0
	s_lshl_b32 s14, s28, 8
	s_waitcnt lgkmcnt(0)
	s_cmp_ge_i32 s14, s33
	s_cbranch_scc1 .LBB568_20
; %bb.5:
	s_load_dwordx2 s[12:13], s[0:1], 0x20
	s_load_dword s5, s[0:1], 0x38
	s_add_i32 s15, s33, 31
	s_ashr_i32 s16, s15, 31
	v_and_b32_e32 v1, 0xcf, v0
	s_lshr_b32 s16, s16, 27
	v_add_u32_e32 v1, s14, v1
	s_add_i32 s15, s15, s16
	v_ashrrev_i32_e32 v2, 31, v1
	s_ashr_i32 s15, s15, 5
	v_lshrrev_b32_e32 v10, 27, v2
	s_add_i32 s15, s15, -1
	s_waitcnt lgkmcnt(0)
	s_mul_i32 s16, s2, s5
	s_mov_b32 s17, 0
	v_add_u32_e32 v2, v1, v10
	s_lshl_b64 s[16:17], s[16:17], 2
	v_ashrrev_i32_e32 v2, 5, v2
	v_mov_b32_e32 v11, s15
	v_cmp_gt_i32_e32 vcc, s33, v1
	s_add_u32 s12, s12, s16
	s_addc_u32 s13, s13, s17
	v_cndmask_b32_e32 v2, v11, v2, vcc
	v_ashrrev_i32_e32 v3, 31, v2
	v_lshl_add_u64 v[4:5], v[2:3], 2, s[12:13]
	v_or_b32_e32 v2, 16, v1
	v_add_u32_e32 v3, v2, v10
	v_ashrrev_i32_e32 v3, 5, v3
	v_cmp_gt_i32_e32 vcc, s33, v2
	s_nop 1
	v_cndmask_b32_e32 v2, v11, v3, vcc
	v_ashrrev_i32_e32 v3, 31, v2
	v_lshl_add_u64 v[6:7], v[2:3], 2, s[12:13]
	v_or_b32_e32 v2, 32, v1
	v_add_u32_e32 v3, v2, v10
	v_ashrrev_i32_e32 v3, 5, v3
	v_cmp_gt_i32_e32 vcc, s33, v2
	v_or_b32_e32 v1, 48, v1
	s_nop 0
	v_cndmask_b32_e32 v2, v11, v3, vcc
	v_ashrrev_i32_e32 v3, 31, v2
	v_lshl_add_u64 v[8:9], v[2:3], 2, s[12:13]
	v_add_u32_e32 v2, v1, v10
	v_ashrrev_i32_e32 v2, 5, v2
	v_cmp_gt_i32_e32 vcc, s33, v1
	s_nop 1
	v_cndmask_b32_e32 v2, v11, v2, vcc
	v_ashrrev_i32_e32 v3, 31, v2
	v_lshl_add_u64 v[12:13], v[2:3], 2, s[12:13]
	global_load_dword v3, v[4:5], off
	global_load_dword v2, v[6:7], off
	;; [unrolled: 1-line block ×4, first 2 shown]
	s_andn2_b64 vcc, exec, s[8:9]
	s_cbranch_vccnz .LBB568_8
; %bb.6:
	s_add_u32 s6, s6, s10
	s_addc_u32 s7, s7, s11
	s_load_dword s5, s[6:7], 0x0
	s_branch .LBB568_9
.LBB568_7:
	s_mov_b64 s[12:13], 0
	s_branch .LBB568_2
.LBB568_8:
	s_mov_b32 s5, s2
.LBB568_9:
	s_load_dwordx4 s[8:11], s[0:1], 0x8
	s_load_dwordx4 s[44:47], s[0:1], 0x48
	v_lshrrev_b32_e32 v1, 6, v0
	v_bfe_u32 v54, v0, 4, 2
	v_lshl_or_b32 v4, v1, 2, v54
	v_and_b32_e32 v36, 15, v0
	v_cmp_lt_u32_e32 vcc, 12, v4
	v_cmp_lt_u32_e64 s[6:7], 7, v36
	v_lshlrev_b32_e32 v34, 3, v36
	v_cmp_gt_u32_e64 s[30:31], 8, v36
	s_or_b64 s[6:7], s[6:7], vcc
	s_and_saveexec_b64 s[16:17], s[6:7]
	s_xor_b64 s[6:7], exec, s[16:17]
; %bb.10:
	v_mov_b32_e32 v35, 0
                                        ; implicit-def: $vgpr4
; %bb.11:
	s_or_saveexec_b64 s[6:7], s[6:7]
	v_and_b32_e32 v37, 63, v0
	s_mul_i32 s42, s4, 13
	s_xor_b64 exec, exec, s[6:7]
	s_cbranch_execz .LBB568_13
; %bb.12:
	s_load_dwordx2 s[16:17], s[0:1], 0x0
	s_waitcnt lgkmcnt(0)
	s_ashr_i32 s18, s44, 31
	s_mul_hi_u32 s19, s5, s44
	s_mul_i32 s18, s5, s18
	s_add_i32 s19, s19, s18
	s_mul_i32 s18, s5, s44
	s_lshl_b64 s[18:19], s[18:19], 1
	s_add_u32 s16, s16, s18
	v_add_lshl_u32 v6, v4, s42, 6
	s_addc_u32 s17, s17, s19
	v_ashrrev_i32_e32 v7, 31, v6
	v_mov_b32_e32 v35, 0
	v_lshl_add_u64 v[6:7], v[6:7], 1, s[16:17]
	v_lshlrev_b32_e32 v8, 1, v34
	v_mov_b32_e32 v9, v35
	v_lshl_add_u64 v[6:7], v[6:7], 0, v[8:9]
	global_load_dwordx4 v[6:9], v[6:7], off
	v_and_b32_e32 v5, 3, v0
	v_lshlrev_b32_e32 v11, 9, v36
	v_lshlrev_b32_e32 v4, 5, v4
	;; [unrolled: 1-line block ×3, first 2 shown]
	v_and_b32_e32 v11, 0x1800, v11
	v_or3_b32 v4, v11, v5, v4
	s_waitcnt vmcnt(0)
	ds_write_b128 v4, v[6:9]
.LBB568_13:
	s_or_b64 exec, exec, s[6:7]
	s_waitcnt lgkmcnt(0)
	s_mul_i32 s4, s4, s46
	s_mov_b32 s5, 0
	s_lshl_b64 s[4:5], s[4:5], 1
	s_add_u32 s8, s8, s4
	s_addc_u32 s9, s9, s5
	s_waitcnt vmcnt(3)
	v_mad_i64_i32 v[4:5], s[16:17], v3, s45, 0
	v_lshl_add_u64 v[4:5], v[4:5], 1, s[8:9]
	v_lshlrev_b64 v[12:13], 1, v[34:35]
	v_lshlrev_b32_e32 v38, 9, v54
	v_lshl_add_u64 v[4:5], v[4:5], 0, v[12:13]
	v_mov_b32_e32 v39, 0
	v_lshl_add_u64 v[14:15], v[4:5], 0, v[38:39]
	s_waitcnt vmcnt(2)
	v_mad_i64_i32 v[2:3], s[16:17], v2, s45, 0
	v_mov_b32_e32 v4, 0x100
	v_lshl_add_u64 v[2:3], v[2:3], 1, s[8:9]
	v_lshl_or_b32 v40, v36, 4, v4
	v_mov_b32_e32 v41, v39
	s_load_dword s29, s[0:1], 0x98
	s_load_dword s6, s[0:1], 0x1c
	s_waitcnt lgkmcnt(0)
	s_barrier
	v_lshl_add_u64 v[2:3], v[2:3], 0, v[40:41]
	global_load_dwordx4 v[6:9], v[14:15], off
	global_load_dwordx4 v[22:25], v[14:15], off offset:2048
	v_lshl_add_u64 v[18:19], v[2:3], 0, v[38:39]
	global_load_dwordx4 v[2:5], v[18:19], off
	global_load_dwordx4 v[26:29], v[18:19], off offset:2048
	s_waitcnt vmcnt(5)
	v_mad_i64_i32 v[10:11], s[16:17], v10, s45, 0
	v_lshl_add_u64 v[10:11], v[10:11], 1, s[8:9]
	v_lshl_add_u64 v[10:11], v[10:11], 0, v[12:13]
	;; [unrolled: 1-line block ×3, first 2 shown]
	global_load_dwordx4 v[10:13], v[20:21], off
	global_load_dwordx4 v[30:33], v[20:21], off offset:2048
	s_waitcnt vmcnt(6)
	v_mad_i64_i32 v[42:43], s[16:17], v16, s45, 0
	v_add_u32_e32 v17, -13, v36
	v_cmp_gt_u32_e32 vcc, 13, v36
	v_lshl_add_u64 v[42:43], v[42:43], 1, s[8:9]
	v_lshl_add_u64 v[40:41], v[42:43], 0, v[40:41]
	v_cndmask_b32_e32 v14, v17, v36, vcc
	v_lshl_add_u32 v14, v14, 5, v38
	v_lshl_add_u64 v[40:41], v[40:41], 0, v[38:39]
	ds_read_b128 v[18:21], v14
	ds_read_b128 v[14:17], v14 offset:2048
	global_load_dwordx4 v[46:49], v[40:41], off
	global_load_dwordx4 v[60:63], v[40:41], off offset:2048
	s_ashr_i32 s7, s14, 31
	v_and_or_b32 v55, v0, 48, s14
	s_lshr_b32 s7, s7, 27
	v_add_u32_e32 v42, s7, v55
	v_mov_b32_e32 v64, s15
	v_or_b32_e32 v50, 64, v55
	v_ashrrev_i32_e32 v38, 5, v42
	v_cmp_gt_i32_e32 vcc, s33, v55
	v_add_u32_e32 v43, s7, v50
	v_ashrrev_i32_e32 v51, 5, v43
	v_cndmask_b32_e32 v42, v64, v38, vcc
	v_ashrrev_i32_e32 v43, 31, v42
	v_lshl_add_u64 v[42:43], v[42:43], 2, s[12:13]
	v_cmp_gt_i32_e32 vcc, s33, v50
	global_load_dword v65, v[42:43], off
	v_or_b32_e32 v40, 0x80, v55
	v_or_b32_e32 v41, 0xc0, v55
	v_and_b32_e32 v38, 16, v0
	s_add_u32 s4, s10, s4
	s_addc_u32 s5, s11, s5
	v_lshlrev_b32_e32 v38, 1, v38
	s_mov_b32 s43, 0xff7fffff
	s_waitcnt vmcnt(8) lgkmcnt(1)
	v_mfma_f32_16x16x16_bf16 v[42:45], v[6:7], v[18:19], 0
	v_cndmask_b32_e32 v6, v64, v51, vcc
	v_ashrrev_i32_e32 v7, 31, v6
	v_cmp_gt_i32_e32 vcc, s33, v40
	s_waitcnt vmcnt(6)
	v_mfma_f32_16x16x16_bf16 v[50:53], v[2:3], v[18:19], 0
	v_lshl_add_u64 v[2:3], v[6:7], 2, s[12:13]
	global_load_dword v66, v[2:3], off
	v_mfma_f32_16x16x16_bf16 v[6:9], v[8:9], v[20:21], v[42:45]
	v_mfma_f32_16x16x16_bf16 v[2:5], v[4:5], v[20:21], v[50:53]
	s_nop 1
	v_add_u32_e32 v42, s7, v40
	v_add_u32_e32 v43, s7, v41
	v_ashrrev_i32_e32 v42, 5, v42
	s_waitcnt lgkmcnt(0)
	v_mfma_f32_16x16x16_bf16 v[6:9], v[22:23], v[14:15], v[6:9]
	v_lshlrev_b32_e32 v45, 6, v36
	v_ashrrev_i32_e32 v43, 5, v43
	v_cndmask_b32_e32 v44, v64, v42, vcc
	s_waitcnt vmcnt(5)
	v_mfma_f32_16x16x16_bf16 v[56:59], v[10:11], v[18:19], 0
	v_cmp_gt_i32_e32 vcc, s33, v41
	v_lshl_add_u64 v[50:51], s[4:5], 0, v[38:39]
	v_lshl_or_b32 v38, v1, 10, v45
	v_mfma_f32_16x16x16_bf16 v[2:5], v[26:27], v[14:15], v[2:5]
	v_cndmask_b32_e32 v26, v64, v43, vcc
	v_ashrrev_i32_e32 v45, 31, v44
	v_ashrrev_i32_e32 v27, 31, v26
	v_mfma_f32_16x16x16_bf16 v[22:25], v[24:25], v[16:17], v[6:9]
	s_nop 2
	v_lshl_add_u64 v[6:7], v[44:45], 2, s[12:13]
	v_mfma_f32_16x16x16_bf16 v[10:13], v[12:13], v[20:21], v[56:59]
	v_lshl_add_u64 v[8:9], v[26:27], 2, s[12:13]
	global_load_dword v55, v[6:7], off
	s_nop 0
	global_load_dword v58, v[8:9], off
	s_waitcnt vmcnt(6)
	v_mfma_f32_16x16x16_bf16 v[40:43], v[30:31], v[14:15], v[10:13]
	s_nop 2
	v_lshl_add_u64 v[10:11], v[50:51], 0, v[38:39]
	v_mfma_f32_16x16x16_bf16 v[30:33], v[32:33], v[16:17], v[40:43]
	v_pk_mul_f32 v[50:51], s[6:7], v[24:25] op_sel_hi:[0,1]
	s_waitcnt vmcnt(2)
	v_mad_i64_i32 v[12:13], s[4:5], v66, s45, 0
	v_mfma_f32_16x16x16_bf16 v[38:41], v[46:47], v[18:19], 0
	v_lshl_add_u64 v[56:57], v[12:13], 1, v[10:11]
	v_pk_mul_f32 v[12:13], s[6:7], v[22:23] op_sel_hi:[0,1]
	s_nop 0
	v_pk_mul_f32 v[46:47], s[6:7], v[30:31] op_sel_hi:[0,1]
	v_mfma_f32_16x16x16_bf16 v[18:21], v[48:49], v[20:21], v[38:41]
	v_pk_mul_f32 v[48:49], s[6:7], v[32:33] op_sel_hi:[0,1]
	v_mfma_f32_16x16x16_bf16 v[18:21], v[60:61], v[14:15], v[18:21]
	v_mfma_f32_16x16x16_bf16 v[26:29], v[28:29], v[16:17], v[2:5]
	;; [unrolled: 1-line block ×3, first 2 shown]
	s_nop 1
	v_mad_i64_i32 v[2:3], s[4:5], v65, s45, 0
	s_nop 2
	v_pk_mul_f32 v[42:43], s[6:7], v[26:27] op_sel_hi:[0,1]
	v_pk_mul_f32 v[52:53], s[6:7], v[28:29] op_sel_hi:[0,1]
	v_lshl_add_u64 v[2:3], v[2:3], 1, v[10:11]
	v_pk_mul_f32 v[44:45], s[6:7], v[14:15] op_sel_hi:[0,1]
	v_and_b32_e32 v14, 0xc0, v0
	v_add_u32_e32 v14, s14, v14
	v_lshl_or_b32 v14, v54, 2, v14
	v_pk_mul_f32 v[38:39], s[6:7], v[16:17] op_sel_hi:[0,1]
	v_or_b32_e32 v17, 1, v14
	v_mov_b32_e32 v15, 0xff7fffff
	v_cmp_gt_i32_e64 s[4:5], s33, v14
	v_cmp_gt_i32_e64 s[34:35], s33, v17
	v_or_b32_e32 v18, 3, v14
	v_cndmask_b32_e64 v16, v15, v12, s[4:5]
	v_cndmask_b32_e64 v17, v15, v13, s[34:35]
	v_max3_f32 v16, v16, s43, v17
	v_or_b32_e32 v17, 2, v14
	v_cmp_gt_i32_e64 s[36:37], s33, v17
	v_cmp_gt_i32_e64 s[38:39], s33, v18
	global_load_dwordx4 v[6:9], v[2:3], off
	s_nop 0
	global_load_dwordx4 v[2:5], v[2:3], off offset:16
	v_cndmask_b32_e64 v17, v15, v50, s[36:37]
	v_cndmask_b32_e64 v18, v15, v51, s[38:39]
	v_max3_f32 v16, v16, v17, v18
	v_or_b32_e32 v17, 16, v14
	v_or_b32_e32 v18, 17, v14
	v_cmp_gt_i32_e64 s[24:25], s33, v17
	v_cmp_gt_i32_e64 s[26:27], s33, v18
	global_load_dwordx4 v[30:33], v[56:57], off
	global_load_dwordx4 v[26:29], v[56:57], off offset:16
	v_cndmask_b32_e64 v17, v15, v42, s[24:25]
	v_cndmask_b32_e64 v18, v15, v43, s[26:27]
	v_max3_f32 v16, v16, v17, v18
	v_or_b32_e32 v17, 18, v14
	v_or_b32_e32 v18, 19, v14
	v_cmp_gt_i32_e64 s[20:21], s33, v17
	v_cmp_gt_i32_e64 s[22:23], s33, v18
	s_nop 0
	v_cndmask_b32_e64 v17, v15, v52, s[20:21]
	v_cndmask_b32_e64 v18, v15, v53, s[22:23]
	v_max3_f32 v16, v16, v17, v18
	v_or_b32_e32 v17, 32, v14
	v_or_b32_e32 v18, 33, v14
	v_cmp_gt_i32_e64 s[16:17], s33, v17
	v_cmp_gt_i32_e64 s[18:19], s33, v18
	s_nop 0
	;; [unrolled: 8-line block ×4, first 2 shown]
	v_cndmask_b32_e64 v17, v15, v44, s[8:9]
	v_cndmask_b32_e64 v18, v15, v45, s[10:11]
	v_max3_f32 v16, v16, v17, v18
	v_or_b32_e32 v17, 50, v14
	v_or_b32_e32 v14, 51, v14
	v_cmp_gt_i32_e32 vcc, s33, v17
	v_cmp_gt_i32_e64 s[6:7], s33, v14
	s_nop 0
	v_cndmask_b32_e32 v17, v15, v38, vcc
	v_cndmask_b32_e64 v14, v15, v39, s[6:7]
	v_max3_f32 v16, v16, v17, v14
	v_mbcnt_lo_u32_b32 v14, -1, 0
	v_mbcnt_hi_u32_b32 v17, -1, v14
	v_and_b32_e32 v14, 64, v17
	v_add_u32_e32 v18, 64, v14
	v_xor_b32_e32 v14, 32, v17
	v_cmp_lt_i32_e64 s[40:41], v14, v18
	s_nop 1
	v_cndmask_b32_e64 v14, v17, v14, s[40:41]
	v_lshlrev_b32_e32 v59, 2, v14
	ds_bpermute_b32 v19, v59, v16
	s_waitcnt vmcnt(5)
	v_mad_i64_i32 v[14:15], s[40:41], v55, s45, 0
	v_lshl_add_u64 v[14:15], v[14:15], 1, v[10:11]
	s_waitcnt lgkmcnt(0)
	v_max_f32_e32 v19, v19, v19
	v_max_f32_e32 v16, v16, v19
	v_xor_b32_e32 v19, 16, v17
	v_cmp_lt_i32_e64 s[40:41], v19, v18
	s_nop 1
	v_cndmask_b32_e64 v17, v17, v19, s[40:41]
	v_lshlrev_b32_e32 v57, 2, v17
	ds_bpermute_b32 v17, v57, v16
	global_load_dwordx4 v[22:25], v[14:15], off
	global_load_dwordx4 v[18:21], v[14:15], off offset:16
	s_waitcnt vmcnt(6)
	v_mad_i64_i32 v[14:15], s[40:41], v58, s45, 0
	v_lshl_add_u64 v[10:11], v[14:15], 1, v[10:11]
	s_waitcnt lgkmcnt(0)
	v_max_f32_e32 v14, v17, v17
	v_max_f32_e32 v55, v16, v14
	v_sub_f32_e32 v12, v12, v55
	v_mul_f32_e32 v12, 0x3fb8aa3b, v12
	v_exp_f32_e32 v40, v12
	v_sub_f32_e32 v12, v13, v55
	v_mul_f32_e32 v12, 0x3fb8aa3b, v12
	v_exp_f32_e32 v41, v12
	global_load_dwordx4 v[14:17], v[10:11], off
	s_nop 0
	global_load_dwordx4 v[10:13], v[10:11], off offset:16
	v_sub_f32_e32 v50, v50, v55
	v_mul_f32_e32 v50, 0x3fb8aa3b, v50
	v_sub_f32_e32 v51, v51, v55
	v_exp_f32_e32 v50, v50
	v_mul_f32_e32 v51, 0x3fb8aa3b, v51
	v_sub_f32_e32 v42, v42, v55
	v_exp_f32_e32 v51, v51
	v_mul_f32_e32 v42, 0x3fb8aa3b, v42
	v_sub_f32_e32 v43, v43, v55
	v_cndmask_b32_e64 v40, 0, v40, s[4:5]
	v_exp_f32_e32 v42, v42
	v_mul_f32_e32 v43, 0x3fb8aa3b, v43
	v_sub_f32_e32 v52, v52, v55
	v_add_f32_e32 v56, 0, v40
	v_cndmask_b32_e64 v41, 0, v41, s[34:35]
	v_exp_f32_e32 v43, v43
	v_mul_f32_e32 v52, 0x3fb8aa3b, v52
	v_sub_f32_e32 v53, v53, v55
	v_add_f32_e32 v56, v56, v41
	;; [unrolled: 5-line block ×10, first 2 shown]
	v_cndmask_b32_e64 v48, 0, v48, s[12:13]
	v_exp_f32_e32 v38, v38
	v_mul_f32_e32 v39, 0x3fb8aa3b, v39
	v_add_f32_e32 v56, v56, v48
	v_cndmask_b32_e64 v49, 0, v49, s[14:15]
	v_exp_f32_e32 v39, v39
	v_add_f32_e32 v56, v56, v49
	v_cndmask_b32_e64 v44, 0, v44, s[8:9]
	v_add_f32_e32 v56, v56, v44
	v_cndmask_b32_e64 v45, 0, v45, s[10:11]
	v_add_f32_e32 v56, v56, v45
	v_cndmask_b32_e32 v38, 0, v38, vcc
	v_add_f32_e32 v56, v56, v38
	v_cndmask_b32_e64 v39, 0, v39, s[6:7]
	v_add_f32_e32 v56, v56, v39
	ds_bpermute_b32 v58, v59, v56
	v_cmp_gt_u32_e64 s[6:7], 16, v37
	v_lshlrev_b32_e32 v37, 2, v36
	s_waitcnt lgkmcnt(0)
	s_barrier
	v_add_f32_e32 v56, v56, v58
	ds_bpermute_b32 v57, v57, v56
	s_waitcnt lgkmcnt(0)
	s_and_saveexec_b64 s[4:5], s[6:7]
	s_cbranch_execz .LBB568_15
; %bb.14:
	v_add_f32_e32 v56, v56, v57
	v_lshl_or_b32 v57, v1, 6, v37
	ds_write2st64_b32 v57, v55, v56 offset1:1
.LBB568_15:
	s_or_b64 exec, exec, s[4:5]
	s_load_dword s8, s[0:1], 0x94
	s_waitcnt lgkmcnt(0)
	s_barrier
	ds_read2_b32 v[56:57], v37 offset1:16
	ds_read2_b32 v[58:59], v37 offset0:32 offset1:48
	ds_read2_b32 v[60:61], v37 offset0:64 offset1:80
	;; [unrolled: 1-line block ×3, first 2 shown]
	s_movk_i32 s10, 0x7fff
	s_waitcnt lgkmcnt(3)
	v_max3_f32 v55, v56, s43, v57
	s_waitcnt lgkmcnt(2)
	v_max3_f32 v55, v55, v58, v59
	v_sub_f32_e32 v56, v56, v55
	v_mul_f32_e32 v56, 0x3fb8aa3b, v56
	v_exp_f32_e32 v64, v56
	v_sub_f32_e32 v56, v57, v55
	v_mul_f32_e32 v56, 0x3fb8aa3b, v56
	v_exp_f32_e32 v57, v56
	v_sub_f32_e32 v56, v58, v55
	v_mul_f32_e32 v56, 0x3fb8aa3b, v56
	v_sub_f32_e32 v37, v59, v55
	v_exp_f32_e32 v58, v56
	v_mul_f32_e32 v37, 0x3fb8aa3b, v37
	v_exp_f32_e32 v37, v37
	s_waitcnt lgkmcnt(1)
	v_fma_f32 v56, v64, v60, 0
	v_fmac_f32_e32 v56, v57, v61
	s_waitcnt lgkmcnt(0)
	v_fmac_f32_e32 v56, v58, v62
	v_fmac_f32_e32 v56, v37, v63
	v_add_f32_e32 v59, 0x358637bd, v56
	v_div_scale_f32 v60, s[4:5], v59, v59, 1.0
	v_rcp_f32_e32 v61, v60
	s_mov_b32 s11, 0x7060302
	s_barrier
	v_fma_f32 v62, -v60, v61, 1.0
	v_fmac_f32_e32 v61, v62, v61
	v_div_scale_f32 v62, vcc, 1.0, v59, 1.0
	v_mul_f32_e32 v63, v62, v61
	v_fma_f32 v65, -v60, v63, v62
	v_fmac_f32_e32 v63, v65, v61
	v_fma_f32 v60, -v60, v63, v62
	v_div_fmas_f32 v60, v60, v61, v63
	v_cmp_eq_u32_e32 vcc, 1, v1
	v_div_fixup_f32 v59, v60, v59, 1.0
	s_nop 0
	v_cndmask_b32_e32 v57, v64, v57, vcc
	v_cmp_eq_u32_e32 vcc, 2, v1
	s_mul_i32 s9, s29, 13
	s_nop 0
	v_cndmask_b32_e32 v57, v57, v58, vcc
	v_cmp_eq_u32_e32 vcc, 3, v1
	v_lshlrev_b32_e32 v1, 11, v1
	s_nop 0
	v_cndmask_b32_e32 v37, v57, v37, vcc
	v_mul_f32_e32 v58, v37, v59
	v_pk_mul_f32 v[40:41], v[58:59], v[40:41] op_sel_hi:[0,1]
	v_bfe_u32 v37, v41, 16, 1
	v_bfe_u32 v57, v40, 16, 1
	v_pk_mul_f32 v[50:51], v[58:59], v[50:51] op_sel_hi:[0,1]
	v_add3_u32 v40, v40, v57, s10
	v_add3_u32 v37, v41, v37, s10
	v_perm_b32 v60, v37, v40, s11
	v_bfe_u32 v37, v51, 16, 1
	v_bfe_u32 v40, v50, 16, 1
	v_add3_u32 v40, v50, v40, s10
	v_add3_u32 v37, v51, v37, s10
	v_perm_b32 v61, v37, v40, s11
	v_lshlrev_b32_e32 v37, 3, v54
	v_lshlrev_b32_e32 v40, 5, v36
	v_pk_mul_f32 v[42:43], v[58:59], v[42:43] op_sel_hi:[0,1]
	v_or3_b32 v1, v1, v40, v37
	v_bfe_u32 v37, v43, 16, 1
	v_bfe_u32 v41, v42, 16, 1
	v_pk_mul_f32 v[50:51], v[58:59], v[52:53] op_sel_hi:[0,1]
	v_add3_u32 v41, v42, v41, s10
	v_add3_u32 v37, v43, v37, s10
	v_perm_b32 v42, v37, v41, s11
	v_bfe_u32 v37, v51, 16, 1
	v_bfe_u32 v41, v50, 16, 1
	v_add3_u32 v41, v50, v41, s10
	v_add3_u32 v37, v51, v37, s10
	v_pk_mul_f32 v[46:47], v[58:59], v[46:47] op_sel_hi:[0,1]
	v_perm_b32 v43, v37, v41, s11
	v_bfe_u32 v37, v47, 16, 1
	v_bfe_u32 v41, v46, 16, 1
	ds_write2st64_b64 v1, v[60:61], v[42:43] offset1:1
	v_pk_mul_f32 v[42:43], v[58:59], v[48:49] op_sel_hi:[0,1]
	v_add3_u32 v41, v46, v41, s10
	v_add3_u32 v37, v47, v37, s10
	v_perm_b32 v46, v37, v41, s11
	v_bfe_u32 v37, v43, 16, 1
	v_bfe_u32 v41, v42, 16, 1
	v_add3_u32 v41, v42, v41, s10
	v_add3_u32 v37, v43, v37, s10
	v_pk_mul_f32 v[42:43], v[58:59], v[44:45] op_sel_hi:[0,1]
	v_perm_b32 v47, v37, v41, s11
	v_bfe_u32 v37, v43, 16, 1
	v_bfe_u32 v41, v42, 16, 1
	v_pk_mul_f32 v[38:39], v[58:59], v[38:39] op_sel_hi:[0,1]
	v_add3_u32 v41, v42, v41, s10
	v_add3_u32 v37, v43, v37, s10
	v_perm_b32 v42, v37, v41, s11
	v_bfe_u32 v37, v39, 16, 1
	v_bfe_u32 v41, v38, 16, 1
	v_add3_u32 v38, v38, v41, s10
	v_add3_u32 v37, v39, v37, s10
	v_perm_b32 v43, v37, v38, s11
	v_cmp_gt_u32_e32 vcc, 13, v0
	ds_write2st64_b64 v1, v[46:47], v[42:43] offset0:2 offset1:3
	s_and_saveexec_b64 s[4:5], vcc
	s_cbranch_execz .LBB568_17
; %bb.16:
	s_mov_b32 s43, 0
	v_mov_b32_e32 v37, 0
	v_lshl_add_u64 v[38:39], s[42:43], 0, v[36:37]
	v_mov_b32_e32 v36, s9
	v_mad_u64_u32 v[38:39], s[16:17], s2, v36, v[38:39]
	v_mov_b32_e32 v36, s28
	s_load_dwordx4 s[12:15], s[0:1], 0x58
	s_mul_i32 s3, s3, s9
	v_mad_u64_u32 v[36:37], s[16:17], v38, s8, v[36:37]
	v_add_u32_e32 v39, s3, v39
	v_mov_b32_e32 v38, v37
	v_mad_u64_u32 v[38:39], s[16:17], v39, s8, v[38:39]
	v_mov_b32_e32 v37, v38
	v_lshlrev_b64 v[36:37], 2, v[36:37]
	s_waitcnt lgkmcnt(0)
	v_lshl_add_u64 v[38:39], s[14:15], 0, v[36:37]
	v_lshl_add_u64 v[36:37], s[12:13], 0, v[36:37]
	global_store_dword v[38:39], v55, off
	global_store_dword v[36:37], v56, off
.LBB568_17:
	s_or_b64 exec, exec, s[4:5]
	v_lshl_or_b32 v48, v54, 9, v40
	s_waitcnt lgkmcnt(0)
	s_barrier
	ds_read_b128 v[36:39], v48
	ds_read_b128 v[40:43], v48 offset:16
	s_waitcnt vmcnt(7) lgkmcnt(1)
	v_mfma_f32_16x16x16_bf16 v[44:47], v[6:7], v[36:37], 0
	v_cmp_gt_u32_e32 vcc, 64, v0
	s_mov_b32 s3, 0
	s_and_b64 s[4:5], vcc, s[30:31]
	v_mfma_f32_16x16x16_bf16 v[6:9], v[8:9], v[38:39], v[44:47]
	s_waitcnt vmcnt(6) lgkmcnt(0)
	v_mfma_f32_16x16x16_bf16 v[6:9], v[2:3], v[40:41], v[6:9]
	v_mfma_f32_16x16x16_bf16 v[2:5], v[4:5], v[42:43], v[6:9]
	s_nop 5
	ds_read_b128 v[6:9], v48 offset:2048
	ds_read_b128 v[36:39], v48 offset:2064
	s_waitcnt vmcnt(5) lgkmcnt(1)
	v_mfma_f32_16x16x16_bf16 v[2:5], v[30:31], v[6:7], v[2:5]
	v_mfma_f32_16x16x16_bf16 v[2:5], v[32:33], v[8:9], v[2:5]
	s_waitcnt vmcnt(4) lgkmcnt(0)
	v_mfma_f32_16x16x16_bf16 v[2:5], v[26:27], v[36:37], v[2:5]
	v_mfma_f32_16x16x16_bf16 v[2:5], v[28:29], v[38:39], v[2:5]
	ds_read_b128 v[6:9], v48 offset:4096
	ds_read_b128 v[26:29], v48 offset:4112
	s_waitcnt vmcnt(3) lgkmcnt(1)
	v_mfma_f32_16x16x16_bf16 v[2:5], v[22:23], v[6:7], v[2:5]
	v_mfma_f32_16x16x16_bf16 v[2:5], v[24:25], v[8:9], v[2:5]
	s_waitcnt vmcnt(2) lgkmcnt(0)
	v_mfma_f32_16x16x16_bf16 v[2:5], v[18:19], v[26:27], v[2:5]
	v_mfma_f32_16x16x16_bf16 v[2:5], v[20:21], v[28:29], v[2:5]
	ds_read_b128 v[6:9], v48 offset:6144
	ds_read_b128 v[18:21], v48 offset:6160
	s_waitcnt lgkmcnt(0)
	s_barrier
	s_waitcnt vmcnt(1)
	v_mfma_f32_16x16x16_bf16 v[2:5], v[14:15], v[6:7], v[2:5]
	v_mfma_f32_16x16x16_bf16 v[2:5], v[16:17], v[8:9], v[2:5]
	s_waitcnt vmcnt(0)
	v_mfma_f32_16x16x16_bf16 v[2:5], v[10:11], v[18:19], v[2:5]
	v_mfma_f32_16x16x16_bf16 v[2:5], v[12:13], v[20:21], v[2:5]
	s_nop 6
	v_bfe_u32 v6, v3, 16, 1
	v_bfe_u32 v7, v2, 16, 1
	;; [unrolled: 1-line block ×4, first 2 shown]
	v_add3_u32 v2, v2, v7, s10
	v_add3_u32 v3, v3, v6, s10
	;; [unrolled: 1-line block ×4, first 2 shown]
	v_perm_b32 v2, v3, v2, s11
	v_perm_b32 v3, v5, v4, s11
	ds_write_b64 v1, v[2:3]
	s_waitcnt lgkmcnt(0)
	s_barrier
	s_and_saveexec_b64 s[10:11], s[4:5]
	s_cbranch_execz .LBB568_20
; %bb.18:
	s_load_dwordx2 s[4:5], s[0:1], 0x68
	s_lshl_b32 s0, s8, 6
	s_mul_i32 s1, s9, s2
	s_mul_hi_u32 s9, s1, s0
	s_mul_i32 s8, s1, s0
	v_lshlrev_b32_e32 v1, 10, v0
	v_lshlrev_b32_e32 v0, 4, v0
	s_lshl_b64 s[8:9], s[8:9], 1
	v_and_b32_e32 v1, 0x1800, v1
	v_lshlrev_b32_e32 v2, 5, v54
	v_and_b32_e32 v0, 16, v0
	s_waitcnt lgkmcnt(0)
	s_add_u32 s1, s4, s8
	v_or3_b32 v2, v1, v2, v0
	s_addc_u32 s4, s5, s9
	s_lshl_b32 s2, s28, 6
	ds_read_b128 v[4:7], v2 offset:256
	s_lshl_b64 s[2:3], s[2:3], 1
	ds_read_b128 v[8:11], v2 offset:128
	ds_read_b128 v[12:15], v2
	s_add_u32 s2, s1, s2
	s_addc_u32 s3, s4, s3
	v_add_u32_e32 v3, s42, v54
	v_lshl_add_u64 v[0:1], v[34:35], 1, s[2:3]
	v_mad_u64_u32 v[16:17], s[2:3], v3, s0, 0
	v_lshl_add_u64 v[16:17], v[16:17], 1, v[0:1]
	s_waitcnt lgkmcnt(0)
	global_store_dwordx4 v[16:17], v[12:15], off
	s_nop 1
	v_add_u32_e32 v12, 4, v3
	v_mad_u64_u32 v[12:13], s[2:3], v12, s0, 0
	v_lshl_add_u64 v[12:13], v[12:13], 1, v[0:1]
	v_add_u32_e32 v3, 8, v3
	global_store_dwordx4 v[12:13], v[8:11], off
	s_nop 1
	v_mad_u64_u32 v[8:9], s[2:3], v3, s0, 0
	v_lshl_add_u64 v[8:9], v[8:9], 1, v[0:1]
	global_store_dwordx4 v[8:9], v[4:7], off
	s_and_b64 exec, exec, s[6:7]
	s_cbranch_execz .LBB568_20
; %bb.19:
	ds_read_b128 v[2:5], v2 offset:384
	v_add3_u32 v6, s42, v54, 12
	v_mad_u64_u32 v[6:7], s[0:1], v6, s0, 0
	v_lshl_add_u64 v[0:1], v[6:7], 1, v[0:1]
	s_waitcnt lgkmcnt(0)
	global_store_dwordx4 v[0:1], v[2:5], off
.LBB568_20:
	s_endpgm
	.section	.rodata,"a",@progbits
	.p2align	6, 0x0
	.amdhsa_kernel _Z39paged_attention_ll4mi_QKV_mfma16_kernelI14__hip_bfloat16S0_LN4vllm18Fp8KVCacheDataTypeE0ES0_Li32ELi64ELi256ELb0ELi13EEvPKT_PKT0_S8_ifPKiSA_SA_iPKfiiiPfSD_PS3_PT2_iSC_SC_
		.amdhsa_group_segment_fixed_size 8192
		.amdhsa_private_segment_fixed_size 0
		.amdhsa_kernarg_size 400
		.amdhsa_user_sgpr_count 2
		.amdhsa_user_sgpr_dispatch_ptr 0
		.amdhsa_user_sgpr_queue_ptr 0
		.amdhsa_user_sgpr_kernarg_segment_ptr 1
		.amdhsa_user_sgpr_dispatch_id 0
		.amdhsa_user_sgpr_kernarg_preload_length 0
		.amdhsa_user_sgpr_kernarg_preload_offset 0
		.amdhsa_user_sgpr_private_segment_size 0
		.amdhsa_uses_dynamic_stack 0
		.amdhsa_enable_private_segment 0
		.amdhsa_system_sgpr_workgroup_id_x 1
		.amdhsa_system_sgpr_workgroup_id_y 1
		.amdhsa_system_sgpr_workgroup_id_z 1
		.amdhsa_system_sgpr_workgroup_info 0
		.amdhsa_system_vgpr_workitem_id 0
		.amdhsa_next_free_vgpr 67
		.amdhsa_next_free_sgpr 48
		.amdhsa_accum_offset 68
		.amdhsa_reserve_vcc 1
		.amdhsa_float_round_mode_32 0
		.amdhsa_float_round_mode_16_64 0
		.amdhsa_float_denorm_mode_32 3
		.amdhsa_float_denorm_mode_16_64 3
		.amdhsa_dx10_clamp 1
		.amdhsa_ieee_mode 1
		.amdhsa_fp16_overflow 0
		.amdhsa_tg_split 0
		.amdhsa_exception_fp_ieee_invalid_op 0
		.amdhsa_exception_fp_denorm_src 0
		.amdhsa_exception_fp_ieee_div_zero 0
		.amdhsa_exception_fp_ieee_overflow 0
		.amdhsa_exception_fp_ieee_underflow 0
		.amdhsa_exception_fp_ieee_inexact 0
		.amdhsa_exception_int_div_zero 0
	.end_amdhsa_kernel
	.section	.text._Z39paged_attention_ll4mi_QKV_mfma16_kernelI14__hip_bfloat16S0_LN4vllm18Fp8KVCacheDataTypeE0ES0_Li32ELi64ELi256ELb0ELi13EEvPKT_PKT0_S8_ifPKiSA_SA_iPKfiiiPfSD_PS3_PT2_iSC_SC_,"axG",@progbits,_Z39paged_attention_ll4mi_QKV_mfma16_kernelI14__hip_bfloat16S0_LN4vllm18Fp8KVCacheDataTypeE0ES0_Li32ELi64ELi256ELb0ELi13EEvPKT_PKT0_S8_ifPKiSA_SA_iPKfiiiPfSD_PS3_PT2_iSC_SC_,comdat
.Lfunc_end568:
	.size	_Z39paged_attention_ll4mi_QKV_mfma16_kernelI14__hip_bfloat16S0_LN4vllm18Fp8KVCacheDataTypeE0ES0_Li32ELi64ELi256ELb0ELi13EEvPKT_PKT0_S8_ifPKiSA_SA_iPKfiiiPfSD_PS3_PT2_iSC_SC_, .Lfunc_end568-_Z39paged_attention_ll4mi_QKV_mfma16_kernelI14__hip_bfloat16S0_LN4vllm18Fp8KVCacheDataTypeE0ES0_Li32ELi64ELi256ELb0ELi13EEvPKT_PKT0_S8_ifPKiSA_SA_iPKfiiiPfSD_PS3_PT2_iSC_SC_
                                        ; -- End function
	.section	.AMDGPU.csdata,"",@progbits
; Kernel info:
; codeLenInByte = 4224
; NumSgprs: 54
; NumVgprs: 67
; NumAgprs: 0
; TotalNumVgprs: 67
; ScratchSize: 0
; MemoryBound: 0
; FloatMode: 240
; IeeeMode: 1
; LDSByteSize: 8192 bytes/workgroup (compile time only)
; SGPRBlocks: 6
; VGPRBlocks: 8
; NumSGPRsForWavesPerEU: 54
; NumVGPRsForWavesPerEU: 67
; AccumOffset: 68
; Occupancy: 7
; WaveLimiterHint : 1
; COMPUTE_PGM_RSRC2:SCRATCH_EN: 0
; COMPUTE_PGM_RSRC2:USER_SGPR: 2
; COMPUTE_PGM_RSRC2:TRAP_HANDLER: 0
; COMPUTE_PGM_RSRC2:TGID_X_EN: 1
; COMPUTE_PGM_RSRC2:TGID_Y_EN: 1
; COMPUTE_PGM_RSRC2:TGID_Z_EN: 1
; COMPUTE_PGM_RSRC2:TIDIG_COMP_CNT: 0
; COMPUTE_PGM_RSRC3_GFX90A:ACCUM_OFFSET: 16
; COMPUTE_PGM_RSRC3_GFX90A:TG_SPLIT: 0
	.section	.text._Z39paged_attention_ll4mi_QKV_mfma16_kernelI14__hip_bfloat16S0_LN4vllm18Fp8KVCacheDataTypeE0ES0_Li32ELi64ELi256ELb0ELi14EEvPKT_PKT0_S8_ifPKiSA_SA_iPKfiiiPfSD_PS3_PT2_iSC_SC_,"axG",@progbits,_Z39paged_attention_ll4mi_QKV_mfma16_kernelI14__hip_bfloat16S0_LN4vllm18Fp8KVCacheDataTypeE0ES0_Li32ELi64ELi256ELb0ELi14EEvPKT_PKT0_S8_ifPKiSA_SA_iPKfiiiPfSD_PS3_PT2_iSC_SC_,comdat
	.protected	_Z39paged_attention_ll4mi_QKV_mfma16_kernelI14__hip_bfloat16S0_LN4vllm18Fp8KVCacheDataTypeE0ES0_Li32ELi64ELi256ELb0ELi14EEvPKT_PKT0_S8_ifPKiSA_SA_iPKfiiiPfSD_PS3_PT2_iSC_SC_ ; -- Begin function _Z39paged_attention_ll4mi_QKV_mfma16_kernelI14__hip_bfloat16S0_LN4vllm18Fp8KVCacheDataTypeE0ES0_Li32ELi64ELi256ELb0ELi14EEvPKT_PKT0_S8_ifPKiSA_SA_iPKfiiiPfSD_PS3_PT2_iSC_SC_
	.globl	_Z39paged_attention_ll4mi_QKV_mfma16_kernelI14__hip_bfloat16S0_LN4vllm18Fp8KVCacheDataTypeE0ES0_Li32ELi64ELi256ELb0ELi14EEvPKT_PKT0_S8_ifPKiSA_SA_iPKfiiiPfSD_PS3_PT2_iSC_SC_
	.p2align	8
	.type	_Z39paged_attention_ll4mi_QKV_mfma16_kernelI14__hip_bfloat16S0_LN4vllm18Fp8KVCacheDataTypeE0ES0_Li32ELi64ELi256ELb0ELi14EEvPKT_PKT0_S8_ifPKiSA_SA_iPKfiiiPfSD_PS3_PT2_iSC_SC_,@function
_Z39paged_attention_ll4mi_QKV_mfma16_kernelI14__hip_bfloat16S0_LN4vllm18Fp8KVCacheDataTypeE0ES0_Li32ELi64ELi256ELb0ELi14EEvPKT_PKT0_S8_ifPKiSA_SA_iPKfiiiPfSD_PS3_PT2_iSC_SC_: ; @_Z39paged_attention_ll4mi_QKV_mfma16_kernelI14__hip_bfloat16S0_LN4vllm18Fp8KVCacheDataTypeE0ES0_Li32ELi64ELi256ELb0ELi14EEvPKT_PKT0_S8_ifPKiSA_SA_iPKfiiiPfSD_PS3_PT2_iSC_SC_
; %bb.0:
	s_load_dwordx2 s[6:7], s[0:1], 0x30
	s_mov_b32 s28, s3
	s_mov_b64 s[10:11], 0
	s_waitcnt lgkmcnt(0)
	s_cmp_lg_u64 s[6:7], 0
	s_cselect_b64 s[8:9], -1, 0
	s_and_b64 vcc, exec, s[8:9]
	s_cbranch_vccz .LBB569_7
; %bb.1:
	s_add_i32 s12, s2, 1
	s_mov_b32 s13, 0
	s_lshl_b64 s[14:15], s[12:13], 2
	s_add_u32 s14, s6, s14
	s_mov_b32 s3, s13
	s_addc_u32 s15, s7, s15
	s_lshl_b64 s[12:13], s[2:3], 2
	s_add_u32 s12, s6, s12
	s_addc_u32 s13, s7, s13
	s_load_dword s5, s[14:15], 0x0
	s_load_dword s16, s[12:13], 0x0
	s_waitcnt lgkmcnt(0)
	s_sub_i32 s5, s5, s16
	s_cmp_eq_u32 s5, 1
	s_cselect_b64 s[12:13], -1, 0
	s_andn2_b64 vcc, exec, s[10:11]
	s_cbranch_vccnz .LBB569_3
.LBB569_2:
	s_mov_b32 s3, 0
	s_mov_b64 s[12:13], -1
.LBB569_3:
	s_andn2_b64 vcc, exec, s[12:13]
	s_cbranch_vccnz .LBB569_20
; %bb.4:
	s_load_dwordx2 s[12:13], s[0:1], 0x28
	s_lshl_b64 s[10:11], s[2:3], 2
	s_waitcnt lgkmcnt(0)
	s_add_u32 s12, s12, s10
	s_addc_u32 s13, s13, s11
	s_load_dword s33, s[12:13], 0x0
	s_lshl_b32 s14, s28, 8
	s_waitcnt lgkmcnt(0)
	s_cmp_ge_i32 s14, s33
	s_cbranch_scc1 .LBB569_20
; %bb.5:
	s_load_dwordx2 s[12:13], s[0:1], 0x20
	s_load_dword s5, s[0:1], 0x38
	s_add_i32 s15, s33, 31
	s_ashr_i32 s16, s15, 31
	v_and_b32_e32 v1, 0xcf, v0
	s_lshr_b32 s16, s16, 27
	v_add_u32_e32 v1, s14, v1
	s_add_i32 s15, s15, s16
	v_ashrrev_i32_e32 v2, 31, v1
	s_ashr_i32 s15, s15, 5
	v_lshrrev_b32_e32 v10, 27, v2
	s_add_i32 s15, s15, -1
	s_waitcnt lgkmcnt(0)
	s_mul_i32 s16, s2, s5
	s_mov_b32 s17, 0
	v_add_u32_e32 v2, v1, v10
	s_lshl_b64 s[16:17], s[16:17], 2
	v_ashrrev_i32_e32 v2, 5, v2
	v_mov_b32_e32 v11, s15
	v_cmp_gt_i32_e32 vcc, s33, v1
	s_add_u32 s12, s12, s16
	s_addc_u32 s13, s13, s17
	v_cndmask_b32_e32 v2, v11, v2, vcc
	v_ashrrev_i32_e32 v3, 31, v2
	v_lshl_add_u64 v[4:5], v[2:3], 2, s[12:13]
	v_or_b32_e32 v2, 16, v1
	v_add_u32_e32 v3, v2, v10
	v_ashrrev_i32_e32 v3, 5, v3
	v_cmp_gt_i32_e32 vcc, s33, v2
	s_nop 1
	v_cndmask_b32_e32 v2, v11, v3, vcc
	v_ashrrev_i32_e32 v3, 31, v2
	v_lshl_add_u64 v[6:7], v[2:3], 2, s[12:13]
	v_or_b32_e32 v2, 32, v1
	v_add_u32_e32 v3, v2, v10
	v_ashrrev_i32_e32 v3, 5, v3
	v_cmp_gt_i32_e32 vcc, s33, v2
	v_or_b32_e32 v1, 48, v1
	s_nop 0
	v_cndmask_b32_e32 v2, v11, v3, vcc
	v_ashrrev_i32_e32 v3, 31, v2
	v_lshl_add_u64 v[8:9], v[2:3], 2, s[12:13]
	v_add_u32_e32 v2, v1, v10
	v_ashrrev_i32_e32 v2, 5, v2
	v_cmp_gt_i32_e32 vcc, s33, v1
	s_nop 1
	v_cndmask_b32_e32 v2, v11, v2, vcc
	v_ashrrev_i32_e32 v3, 31, v2
	v_lshl_add_u64 v[12:13], v[2:3], 2, s[12:13]
	global_load_dword v3, v[4:5], off
	global_load_dword v2, v[6:7], off
	;; [unrolled: 1-line block ×4, first 2 shown]
	s_andn2_b64 vcc, exec, s[8:9]
	s_cbranch_vccnz .LBB569_8
; %bb.6:
	s_add_u32 s6, s6, s10
	s_addc_u32 s7, s7, s11
	s_load_dword s5, s[6:7], 0x0
	s_branch .LBB569_9
.LBB569_7:
	s_mov_b64 s[12:13], 0
	s_branch .LBB569_2
.LBB569_8:
	s_mov_b32 s5, s2
.LBB569_9:
	s_load_dwordx4 s[8:11], s[0:1], 0x8
	s_load_dwordx4 s[44:47], s[0:1], 0x48
	v_lshrrev_b32_e32 v1, 6, v0
	v_bfe_u32 v54, v0, 4, 2
	v_lshl_or_b32 v4, v1, 2, v54
	v_and_b32_e32 v36, 15, v0
	v_cmp_lt_u32_e32 vcc, 13, v4
	v_cmp_lt_u32_e64 s[6:7], 7, v36
	v_lshlrev_b32_e32 v34, 3, v36
	v_cmp_gt_u32_e64 s[30:31], 8, v36
	s_or_b64 s[6:7], s[6:7], vcc
	s_and_saveexec_b64 s[16:17], s[6:7]
	s_xor_b64 s[6:7], exec, s[16:17]
; %bb.10:
	v_mov_b32_e32 v35, 0
                                        ; implicit-def: $vgpr4
; %bb.11:
	s_or_saveexec_b64 s[6:7], s[6:7]
	v_and_b32_e32 v37, 63, v0
	s_mul_i32 s42, s4, 14
	s_xor_b64 exec, exec, s[6:7]
	s_cbranch_execz .LBB569_13
; %bb.12:
	s_load_dwordx2 s[16:17], s[0:1], 0x0
	s_waitcnt lgkmcnt(0)
	s_ashr_i32 s18, s44, 31
	s_mul_hi_u32 s19, s5, s44
	s_mul_i32 s18, s5, s18
	s_add_i32 s19, s19, s18
	s_mul_i32 s18, s5, s44
	s_lshl_b64 s[18:19], s[18:19], 1
	s_add_u32 s16, s16, s18
	v_add_lshl_u32 v6, v4, s42, 6
	s_addc_u32 s17, s17, s19
	v_ashrrev_i32_e32 v7, 31, v6
	v_mov_b32_e32 v35, 0
	v_lshl_add_u64 v[6:7], v[6:7], 1, s[16:17]
	v_lshlrev_b32_e32 v8, 1, v34
	v_mov_b32_e32 v9, v35
	v_lshl_add_u64 v[6:7], v[6:7], 0, v[8:9]
	global_load_dwordx4 v[6:9], v[6:7], off
	v_and_b32_e32 v5, 3, v0
	v_lshlrev_b32_e32 v11, 9, v36
	v_lshlrev_b32_e32 v4, 5, v4
	;; [unrolled: 1-line block ×3, first 2 shown]
	v_and_b32_e32 v11, 0x1800, v11
	v_or3_b32 v4, v11, v5, v4
	s_waitcnt vmcnt(0)
	ds_write_b128 v4, v[6:9]
.LBB569_13:
	s_or_b64 exec, exec, s[6:7]
	s_waitcnt lgkmcnt(0)
	s_mul_i32 s4, s4, s46
	s_mov_b32 s5, 0
	s_lshl_b64 s[4:5], s[4:5], 1
	s_add_u32 s8, s8, s4
	s_addc_u32 s9, s9, s5
	s_waitcnt vmcnt(3)
	v_mad_i64_i32 v[4:5], s[16:17], v3, s45, 0
	v_lshl_add_u64 v[4:5], v[4:5], 1, s[8:9]
	v_lshlrev_b64 v[12:13], 1, v[34:35]
	v_lshlrev_b32_e32 v38, 9, v54
	v_lshl_add_u64 v[4:5], v[4:5], 0, v[12:13]
	v_mov_b32_e32 v39, 0
	v_lshl_add_u64 v[14:15], v[4:5], 0, v[38:39]
	s_waitcnt vmcnt(2)
	v_mad_i64_i32 v[2:3], s[16:17], v2, s45, 0
	v_mov_b32_e32 v4, 0x100
	v_lshl_add_u64 v[2:3], v[2:3], 1, s[8:9]
	v_lshl_or_b32 v40, v36, 4, v4
	v_mov_b32_e32 v41, v39
	s_load_dword s29, s[0:1], 0x98
	s_load_dword s6, s[0:1], 0x1c
	s_waitcnt lgkmcnt(0)
	s_barrier
	v_lshl_add_u64 v[2:3], v[2:3], 0, v[40:41]
	global_load_dwordx4 v[6:9], v[14:15], off
	global_load_dwordx4 v[22:25], v[14:15], off offset:2048
	v_lshl_add_u64 v[18:19], v[2:3], 0, v[38:39]
	global_load_dwordx4 v[2:5], v[18:19], off
	global_load_dwordx4 v[26:29], v[18:19], off offset:2048
	s_waitcnt vmcnt(5)
	v_mad_i64_i32 v[10:11], s[16:17], v10, s45, 0
	v_lshl_add_u64 v[10:11], v[10:11], 1, s[8:9]
	v_lshl_add_u64 v[10:11], v[10:11], 0, v[12:13]
	;; [unrolled: 1-line block ×3, first 2 shown]
	global_load_dwordx4 v[10:13], v[20:21], off
	global_load_dwordx4 v[30:33], v[20:21], off offset:2048
	s_waitcnt vmcnt(6)
	v_mad_i64_i32 v[42:43], s[16:17], v16, s45, 0
	v_add_u32_e32 v17, -14, v36
	v_cmp_gt_u32_e32 vcc, 14, v36
	v_lshl_add_u64 v[42:43], v[42:43], 1, s[8:9]
	v_lshl_add_u64 v[40:41], v[42:43], 0, v[40:41]
	v_cndmask_b32_e32 v14, v17, v36, vcc
	v_lshl_add_u32 v14, v14, 5, v38
	v_lshl_add_u64 v[40:41], v[40:41], 0, v[38:39]
	ds_read_b128 v[18:21], v14
	ds_read_b128 v[14:17], v14 offset:2048
	global_load_dwordx4 v[46:49], v[40:41], off
	global_load_dwordx4 v[60:63], v[40:41], off offset:2048
	s_ashr_i32 s7, s14, 31
	v_and_or_b32 v55, v0, 48, s14
	s_lshr_b32 s7, s7, 27
	v_add_u32_e32 v42, s7, v55
	v_mov_b32_e32 v64, s15
	v_or_b32_e32 v50, 64, v55
	v_ashrrev_i32_e32 v38, 5, v42
	v_cmp_gt_i32_e32 vcc, s33, v55
	v_add_u32_e32 v43, s7, v50
	v_ashrrev_i32_e32 v51, 5, v43
	v_cndmask_b32_e32 v42, v64, v38, vcc
	v_ashrrev_i32_e32 v43, 31, v42
	v_lshl_add_u64 v[42:43], v[42:43], 2, s[12:13]
	v_cmp_gt_i32_e32 vcc, s33, v50
	global_load_dword v65, v[42:43], off
	v_or_b32_e32 v40, 0x80, v55
	v_or_b32_e32 v41, 0xc0, v55
	v_and_b32_e32 v38, 16, v0
	s_add_u32 s4, s10, s4
	s_addc_u32 s5, s11, s5
	v_lshlrev_b32_e32 v38, 1, v38
	s_mov_b32 s43, 0xff7fffff
	s_waitcnt vmcnt(8) lgkmcnt(1)
	v_mfma_f32_16x16x16_bf16 v[42:45], v[6:7], v[18:19], 0
	v_cndmask_b32_e32 v6, v64, v51, vcc
	v_ashrrev_i32_e32 v7, 31, v6
	v_cmp_gt_i32_e32 vcc, s33, v40
	s_waitcnt vmcnt(6)
	v_mfma_f32_16x16x16_bf16 v[50:53], v[2:3], v[18:19], 0
	v_lshl_add_u64 v[2:3], v[6:7], 2, s[12:13]
	global_load_dword v66, v[2:3], off
	v_mfma_f32_16x16x16_bf16 v[6:9], v[8:9], v[20:21], v[42:45]
	v_mfma_f32_16x16x16_bf16 v[2:5], v[4:5], v[20:21], v[50:53]
	s_nop 1
	v_add_u32_e32 v42, s7, v40
	v_add_u32_e32 v43, s7, v41
	v_ashrrev_i32_e32 v42, 5, v42
	s_waitcnt lgkmcnt(0)
	v_mfma_f32_16x16x16_bf16 v[6:9], v[22:23], v[14:15], v[6:9]
	v_lshlrev_b32_e32 v45, 6, v36
	v_ashrrev_i32_e32 v43, 5, v43
	v_cndmask_b32_e32 v44, v64, v42, vcc
	s_waitcnt vmcnt(5)
	v_mfma_f32_16x16x16_bf16 v[56:59], v[10:11], v[18:19], 0
	v_cmp_gt_i32_e32 vcc, s33, v41
	v_lshl_add_u64 v[50:51], s[4:5], 0, v[38:39]
	v_lshl_or_b32 v38, v1, 10, v45
	v_mfma_f32_16x16x16_bf16 v[2:5], v[26:27], v[14:15], v[2:5]
	v_cndmask_b32_e32 v26, v64, v43, vcc
	v_ashrrev_i32_e32 v45, 31, v44
	v_ashrrev_i32_e32 v27, 31, v26
	v_mfma_f32_16x16x16_bf16 v[22:25], v[24:25], v[16:17], v[6:9]
	s_nop 2
	v_lshl_add_u64 v[6:7], v[44:45], 2, s[12:13]
	v_mfma_f32_16x16x16_bf16 v[10:13], v[12:13], v[20:21], v[56:59]
	v_lshl_add_u64 v[8:9], v[26:27], 2, s[12:13]
	global_load_dword v55, v[6:7], off
	s_nop 0
	global_load_dword v58, v[8:9], off
	s_waitcnt vmcnt(6)
	v_mfma_f32_16x16x16_bf16 v[40:43], v[30:31], v[14:15], v[10:13]
	s_nop 2
	v_lshl_add_u64 v[10:11], v[50:51], 0, v[38:39]
	v_mfma_f32_16x16x16_bf16 v[30:33], v[32:33], v[16:17], v[40:43]
	v_pk_mul_f32 v[50:51], s[6:7], v[24:25] op_sel_hi:[0,1]
	s_waitcnt vmcnt(2)
	v_mad_i64_i32 v[12:13], s[4:5], v66, s45, 0
	v_mfma_f32_16x16x16_bf16 v[38:41], v[46:47], v[18:19], 0
	v_lshl_add_u64 v[56:57], v[12:13], 1, v[10:11]
	v_pk_mul_f32 v[12:13], s[6:7], v[22:23] op_sel_hi:[0,1]
	s_nop 0
	v_pk_mul_f32 v[46:47], s[6:7], v[30:31] op_sel_hi:[0,1]
	v_mfma_f32_16x16x16_bf16 v[18:21], v[48:49], v[20:21], v[38:41]
	v_pk_mul_f32 v[48:49], s[6:7], v[32:33] op_sel_hi:[0,1]
	v_mfma_f32_16x16x16_bf16 v[18:21], v[60:61], v[14:15], v[18:21]
	v_mfma_f32_16x16x16_bf16 v[26:29], v[28:29], v[16:17], v[2:5]
	;; [unrolled: 1-line block ×3, first 2 shown]
	s_nop 1
	v_mad_i64_i32 v[2:3], s[4:5], v65, s45, 0
	s_nop 2
	v_pk_mul_f32 v[42:43], s[6:7], v[26:27] op_sel_hi:[0,1]
	v_pk_mul_f32 v[52:53], s[6:7], v[28:29] op_sel_hi:[0,1]
	v_lshl_add_u64 v[2:3], v[2:3], 1, v[10:11]
	v_pk_mul_f32 v[44:45], s[6:7], v[14:15] op_sel_hi:[0,1]
	v_and_b32_e32 v14, 0xc0, v0
	v_add_u32_e32 v14, s14, v14
	v_lshl_or_b32 v14, v54, 2, v14
	v_pk_mul_f32 v[38:39], s[6:7], v[16:17] op_sel_hi:[0,1]
	v_or_b32_e32 v17, 1, v14
	v_mov_b32_e32 v15, 0xff7fffff
	v_cmp_gt_i32_e64 s[4:5], s33, v14
	v_cmp_gt_i32_e64 s[34:35], s33, v17
	v_or_b32_e32 v18, 3, v14
	v_cndmask_b32_e64 v16, v15, v12, s[4:5]
	v_cndmask_b32_e64 v17, v15, v13, s[34:35]
	v_max3_f32 v16, v16, s43, v17
	v_or_b32_e32 v17, 2, v14
	v_cmp_gt_i32_e64 s[36:37], s33, v17
	v_cmp_gt_i32_e64 s[38:39], s33, v18
	global_load_dwordx4 v[6:9], v[2:3], off
	s_nop 0
	global_load_dwordx4 v[2:5], v[2:3], off offset:16
	v_cndmask_b32_e64 v17, v15, v50, s[36:37]
	v_cndmask_b32_e64 v18, v15, v51, s[38:39]
	v_max3_f32 v16, v16, v17, v18
	v_or_b32_e32 v17, 16, v14
	v_or_b32_e32 v18, 17, v14
	v_cmp_gt_i32_e64 s[24:25], s33, v17
	v_cmp_gt_i32_e64 s[26:27], s33, v18
	global_load_dwordx4 v[30:33], v[56:57], off
	global_load_dwordx4 v[26:29], v[56:57], off offset:16
	v_cndmask_b32_e64 v17, v15, v42, s[24:25]
	v_cndmask_b32_e64 v18, v15, v43, s[26:27]
	v_max3_f32 v16, v16, v17, v18
	v_or_b32_e32 v17, 18, v14
	v_or_b32_e32 v18, 19, v14
	v_cmp_gt_i32_e64 s[20:21], s33, v17
	v_cmp_gt_i32_e64 s[22:23], s33, v18
	s_nop 0
	v_cndmask_b32_e64 v17, v15, v52, s[20:21]
	v_cndmask_b32_e64 v18, v15, v53, s[22:23]
	v_max3_f32 v16, v16, v17, v18
	v_or_b32_e32 v17, 32, v14
	v_or_b32_e32 v18, 33, v14
	v_cmp_gt_i32_e64 s[16:17], s33, v17
	v_cmp_gt_i32_e64 s[18:19], s33, v18
	s_nop 0
	;; [unrolled: 8-line block ×4, first 2 shown]
	v_cndmask_b32_e64 v17, v15, v44, s[8:9]
	v_cndmask_b32_e64 v18, v15, v45, s[10:11]
	v_max3_f32 v16, v16, v17, v18
	v_or_b32_e32 v17, 50, v14
	v_or_b32_e32 v14, 51, v14
	v_cmp_gt_i32_e32 vcc, s33, v17
	v_cmp_gt_i32_e64 s[6:7], s33, v14
	s_nop 0
	v_cndmask_b32_e32 v17, v15, v38, vcc
	v_cndmask_b32_e64 v14, v15, v39, s[6:7]
	v_max3_f32 v16, v16, v17, v14
	v_mbcnt_lo_u32_b32 v14, -1, 0
	v_mbcnt_hi_u32_b32 v17, -1, v14
	v_and_b32_e32 v14, 64, v17
	v_add_u32_e32 v18, 64, v14
	v_xor_b32_e32 v14, 32, v17
	v_cmp_lt_i32_e64 s[40:41], v14, v18
	s_nop 1
	v_cndmask_b32_e64 v14, v17, v14, s[40:41]
	v_lshlrev_b32_e32 v59, 2, v14
	ds_bpermute_b32 v19, v59, v16
	s_waitcnt vmcnt(5)
	v_mad_i64_i32 v[14:15], s[40:41], v55, s45, 0
	v_lshl_add_u64 v[14:15], v[14:15], 1, v[10:11]
	s_waitcnt lgkmcnt(0)
	v_max_f32_e32 v19, v19, v19
	v_max_f32_e32 v16, v16, v19
	v_xor_b32_e32 v19, 16, v17
	v_cmp_lt_i32_e64 s[40:41], v19, v18
	s_nop 1
	v_cndmask_b32_e64 v17, v17, v19, s[40:41]
	v_lshlrev_b32_e32 v57, 2, v17
	ds_bpermute_b32 v17, v57, v16
	global_load_dwordx4 v[22:25], v[14:15], off
	global_load_dwordx4 v[18:21], v[14:15], off offset:16
	s_waitcnt vmcnt(6)
	v_mad_i64_i32 v[14:15], s[40:41], v58, s45, 0
	v_lshl_add_u64 v[10:11], v[14:15], 1, v[10:11]
	s_waitcnt lgkmcnt(0)
	v_max_f32_e32 v14, v17, v17
	v_max_f32_e32 v55, v16, v14
	v_sub_f32_e32 v12, v12, v55
	v_mul_f32_e32 v12, 0x3fb8aa3b, v12
	v_exp_f32_e32 v40, v12
	v_sub_f32_e32 v12, v13, v55
	v_mul_f32_e32 v12, 0x3fb8aa3b, v12
	v_exp_f32_e32 v41, v12
	global_load_dwordx4 v[14:17], v[10:11], off
	s_nop 0
	global_load_dwordx4 v[10:13], v[10:11], off offset:16
	v_sub_f32_e32 v50, v50, v55
	v_mul_f32_e32 v50, 0x3fb8aa3b, v50
	v_sub_f32_e32 v51, v51, v55
	v_exp_f32_e32 v50, v50
	v_mul_f32_e32 v51, 0x3fb8aa3b, v51
	v_sub_f32_e32 v42, v42, v55
	v_exp_f32_e32 v51, v51
	v_mul_f32_e32 v42, 0x3fb8aa3b, v42
	v_sub_f32_e32 v43, v43, v55
	v_cndmask_b32_e64 v40, 0, v40, s[4:5]
	v_exp_f32_e32 v42, v42
	v_mul_f32_e32 v43, 0x3fb8aa3b, v43
	v_sub_f32_e32 v52, v52, v55
	v_add_f32_e32 v56, 0, v40
	v_cndmask_b32_e64 v41, 0, v41, s[34:35]
	v_exp_f32_e32 v43, v43
	v_mul_f32_e32 v52, 0x3fb8aa3b, v52
	v_sub_f32_e32 v53, v53, v55
	v_add_f32_e32 v56, v56, v41
	v_cndmask_b32_e64 v50, 0, v50, s[36:37]
	v_exp_f32_e32 v52, v52
	v_mul_f32_e32 v53, 0x3fb8aa3b, v53
	v_sub_f32_e32 v46, v46, v55
	v_add_f32_e32 v56, v56, v50
	v_cndmask_b32_e64 v51, 0, v51, s[38:39]
	v_exp_f32_e32 v53, v53
	v_mul_f32_e32 v46, 0x3fb8aa3b, v46
	v_sub_f32_e32 v47, v47, v55
	v_add_f32_e32 v56, v56, v51
	v_cndmask_b32_e64 v42, 0, v42, s[24:25]
	v_exp_f32_e32 v46, v46
	v_mul_f32_e32 v47, 0x3fb8aa3b, v47
	v_sub_f32_e32 v48, v48, v55
	v_add_f32_e32 v56, v56, v42
	v_cndmask_b32_e64 v43, 0, v43, s[26:27]
	v_exp_f32_e32 v47, v47
	v_mul_f32_e32 v48, 0x3fb8aa3b, v48
	v_sub_f32_e32 v49, v49, v55
	v_add_f32_e32 v56, v56, v43
	v_cndmask_b32_e64 v52, 0, v52, s[20:21]
	v_exp_f32_e32 v48, v48
	v_mul_f32_e32 v49, 0x3fb8aa3b, v49
	v_sub_f32_e32 v44, v44, v55
	v_add_f32_e32 v56, v56, v52
	v_cndmask_b32_e64 v53, 0, v53, s[22:23]
	v_exp_f32_e32 v49, v49
	v_mul_f32_e32 v44, 0x3fb8aa3b, v44
	v_sub_f32_e32 v45, v45, v55
	v_add_f32_e32 v56, v56, v53
	v_cndmask_b32_e64 v46, 0, v46, s[16:17]
	v_exp_f32_e32 v44, v44
	v_mul_f32_e32 v45, 0x3fb8aa3b, v45
	v_sub_f32_e32 v38, v38, v55
	v_add_f32_e32 v56, v56, v46
	v_cndmask_b32_e64 v47, 0, v47, s[18:19]
	v_exp_f32_e32 v45, v45
	v_mul_f32_e32 v38, 0x3fb8aa3b, v38
	v_sub_f32_e32 v39, v39, v55
	v_add_f32_e32 v56, v56, v47
	v_cndmask_b32_e64 v48, 0, v48, s[12:13]
	v_exp_f32_e32 v38, v38
	v_mul_f32_e32 v39, 0x3fb8aa3b, v39
	v_add_f32_e32 v56, v56, v48
	v_cndmask_b32_e64 v49, 0, v49, s[14:15]
	v_exp_f32_e32 v39, v39
	v_add_f32_e32 v56, v56, v49
	v_cndmask_b32_e64 v44, 0, v44, s[8:9]
	v_add_f32_e32 v56, v56, v44
	v_cndmask_b32_e64 v45, 0, v45, s[10:11]
	v_add_f32_e32 v56, v56, v45
	v_cndmask_b32_e32 v38, 0, v38, vcc
	v_add_f32_e32 v56, v56, v38
	v_cndmask_b32_e64 v39, 0, v39, s[6:7]
	v_add_f32_e32 v56, v56, v39
	ds_bpermute_b32 v58, v59, v56
	v_cmp_gt_u32_e32 vcc, 16, v37
	v_lshlrev_b32_e32 v37, 2, v36
	s_waitcnt lgkmcnt(0)
	s_barrier
	v_add_f32_e32 v56, v56, v58
	ds_bpermute_b32 v57, v57, v56
	s_waitcnt lgkmcnt(0)
	s_and_saveexec_b64 s[4:5], vcc
	s_cbranch_execz .LBB569_15
; %bb.14:
	v_add_f32_e32 v56, v56, v57
	v_lshl_or_b32 v57, v1, 6, v37
	ds_write2st64_b32 v57, v55, v56 offset1:1
.LBB569_15:
	s_or_b64 exec, exec, s[4:5]
	s_load_dword s6, s[0:1], 0x94
	s_waitcnt lgkmcnt(0)
	s_barrier
	ds_read2_b32 v[56:57], v37 offset1:16
	ds_read2_b32 v[58:59], v37 offset0:32 offset1:48
	ds_read2_b32 v[60:61], v37 offset0:64 offset1:80
	;; [unrolled: 1-line block ×3, first 2 shown]
	s_movk_i32 s8, 0x7fff
	s_waitcnt lgkmcnt(3)
	v_max3_f32 v55, v56, s43, v57
	s_waitcnt lgkmcnt(2)
	v_max3_f32 v55, v55, v58, v59
	v_sub_f32_e32 v56, v56, v55
	v_mul_f32_e32 v56, 0x3fb8aa3b, v56
	v_exp_f32_e32 v64, v56
	v_sub_f32_e32 v56, v57, v55
	v_mul_f32_e32 v56, 0x3fb8aa3b, v56
	v_exp_f32_e32 v57, v56
	v_sub_f32_e32 v56, v58, v55
	v_mul_f32_e32 v56, 0x3fb8aa3b, v56
	v_sub_f32_e32 v37, v59, v55
	v_exp_f32_e32 v58, v56
	v_mul_f32_e32 v37, 0x3fb8aa3b, v37
	v_exp_f32_e32 v37, v37
	s_waitcnt lgkmcnt(1)
	v_fma_f32 v56, v64, v60, 0
	v_fmac_f32_e32 v56, v57, v61
	s_waitcnt lgkmcnt(0)
	v_fmac_f32_e32 v56, v58, v62
	v_fmac_f32_e32 v56, v37, v63
	v_add_f32_e32 v59, 0x358637bd, v56
	v_div_scale_f32 v60, s[4:5], v59, v59, 1.0
	v_rcp_f32_e32 v61, v60
	s_mov_b32 s9, 0x7060302
	s_barrier
	v_fma_f32 v62, -v60, v61, 1.0
	v_fmac_f32_e32 v61, v62, v61
	v_div_scale_f32 v62, vcc, 1.0, v59, 1.0
	v_mul_f32_e32 v63, v62, v61
	v_fma_f32 v65, -v60, v63, v62
	v_fmac_f32_e32 v63, v65, v61
	v_fma_f32 v60, -v60, v63, v62
	v_div_fmas_f32 v60, v60, v61, v63
	v_cmp_eq_u32_e32 vcc, 1, v1
	v_div_fixup_f32 v59, v60, v59, 1.0
	s_nop 0
	v_cndmask_b32_e32 v57, v64, v57, vcc
	v_cmp_eq_u32_e32 vcc, 2, v1
	s_mul_i32 s7, s29, 14
	s_nop 0
	v_cndmask_b32_e32 v57, v57, v58, vcc
	v_cmp_eq_u32_e32 vcc, 3, v1
	v_lshlrev_b32_e32 v1, 11, v1
	s_nop 0
	v_cndmask_b32_e32 v37, v57, v37, vcc
	v_mul_f32_e32 v58, v37, v59
	v_pk_mul_f32 v[40:41], v[58:59], v[40:41] op_sel_hi:[0,1]
	v_bfe_u32 v37, v41, 16, 1
	v_bfe_u32 v57, v40, 16, 1
	v_pk_mul_f32 v[50:51], v[58:59], v[50:51] op_sel_hi:[0,1]
	v_add3_u32 v40, v40, v57, s8
	v_add3_u32 v37, v41, v37, s8
	v_perm_b32 v60, v37, v40, s9
	v_bfe_u32 v37, v51, 16, 1
	v_bfe_u32 v40, v50, 16, 1
	v_add3_u32 v40, v50, v40, s8
	v_add3_u32 v37, v51, v37, s8
	v_perm_b32 v61, v37, v40, s9
	v_lshlrev_b32_e32 v37, 3, v54
	v_lshlrev_b32_e32 v40, 5, v36
	v_pk_mul_f32 v[42:43], v[58:59], v[42:43] op_sel_hi:[0,1]
	v_or3_b32 v1, v1, v40, v37
	v_bfe_u32 v37, v43, 16, 1
	v_bfe_u32 v41, v42, 16, 1
	v_pk_mul_f32 v[50:51], v[58:59], v[52:53] op_sel_hi:[0,1]
	v_add3_u32 v41, v42, v41, s8
	v_add3_u32 v37, v43, v37, s8
	v_perm_b32 v42, v37, v41, s9
	v_bfe_u32 v37, v51, 16, 1
	v_bfe_u32 v41, v50, 16, 1
	v_add3_u32 v41, v50, v41, s8
	v_add3_u32 v37, v51, v37, s8
	v_pk_mul_f32 v[46:47], v[58:59], v[46:47] op_sel_hi:[0,1]
	v_perm_b32 v43, v37, v41, s9
	v_bfe_u32 v37, v47, 16, 1
	v_bfe_u32 v41, v46, 16, 1
	ds_write2st64_b64 v1, v[60:61], v[42:43] offset1:1
	v_pk_mul_f32 v[42:43], v[58:59], v[48:49] op_sel_hi:[0,1]
	v_add3_u32 v41, v46, v41, s8
	v_add3_u32 v37, v47, v37, s8
	v_perm_b32 v46, v37, v41, s9
	v_bfe_u32 v37, v43, 16, 1
	v_bfe_u32 v41, v42, 16, 1
	v_add3_u32 v41, v42, v41, s8
	v_add3_u32 v37, v43, v37, s8
	v_pk_mul_f32 v[42:43], v[58:59], v[44:45] op_sel_hi:[0,1]
	v_perm_b32 v47, v37, v41, s9
	v_bfe_u32 v37, v43, 16, 1
	v_bfe_u32 v41, v42, 16, 1
	v_pk_mul_f32 v[38:39], v[58:59], v[38:39] op_sel_hi:[0,1]
	v_add3_u32 v41, v42, v41, s8
	v_add3_u32 v37, v43, v37, s8
	v_perm_b32 v42, v37, v41, s9
	v_bfe_u32 v37, v39, 16, 1
	v_bfe_u32 v41, v38, 16, 1
	v_add3_u32 v38, v38, v41, s8
	v_add3_u32 v37, v39, v37, s8
	v_perm_b32 v43, v37, v38, s9
	v_cmp_gt_u32_e32 vcc, 14, v0
	ds_write2st64_b64 v1, v[46:47], v[42:43] offset0:2 offset1:3
	s_and_saveexec_b64 s[4:5], vcc
	s_cbranch_execz .LBB569_17
; %bb.16:
	s_mov_b32 s43, 0
	v_mov_b32_e32 v37, 0
	v_lshl_add_u64 v[38:39], s[42:43], 0, v[36:37]
	v_mov_b32_e32 v36, s7
	v_mad_u64_u32 v[38:39], s[10:11], s2, v36, v[38:39]
	v_mov_b32_e32 v36, s28
	s_load_dwordx4 s[12:15], s[0:1], 0x58
	s_mul_i32 s3, s3, s7
	v_mad_u64_u32 v[36:37], s[10:11], v38, s6, v[36:37]
	v_add_u32_e32 v39, s3, v39
	v_mov_b32_e32 v38, v37
	v_mad_u64_u32 v[38:39], s[10:11], v39, s6, v[38:39]
	v_mov_b32_e32 v37, v38
	v_lshlrev_b64 v[36:37], 2, v[36:37]
	s_waitcnt lgkmcnt(0)
	v_lshl_add_u64 v[38:39], s[14:15], 0, v[36:37]
	v_lshl_add_u64 v[36:37], s[12:13], 0, v[36:37]
	global_store_dword v[38:39], v55, off
	global_store_dword v[36:37], v56, off
.LBB569_17:
	s_or_b64 exec, exec, s[4:5]
	v_lshl_or_b32 v48, v54, 9, v40
	s_waitcnt lgkmcnt(0)
	s_barrier
	ds_read_b128 v[36:39], v48
	ds_read_b128 v[40:43], v48 offset:16
	s_waitcnt vmcnt(7) lgkmcnt(1)
	v_mfma_f32_16x16x16_bf16 v[44:47], v[6:7], v[36:37], 0
	v_cmp_gt_u32_e32 vcc, 64, v0
	s_mov_b32 s3, 0
	s_and_b64 s[4:5], vcc, s[30:31]
	v_mfma_f32_16x16x16_bf16 v[6:9], v[8:9], v[38:39], v[44:47]
	s_waitcnt vmcnt(6) lgkmcnt(0)
	v_mfma_f32_16x16x16_bf16 v[6:9], v[2:3], v[40:41], v[6:9]
	v_mfma_f32_16x16x16_bf16 v[2:5], v[4:5], v[42:43], v[6:9]
	s_nop 5
	ds_read_b128 v[6:9], v48 offset:2048
	ds_read_b128 v[36:39], v48 offset:2064
	s_waitcnt vmcnt(5) lgkmcnt(1)
	v_mfma_f32_16x16x16_bf16 v[2:5], v[30:31], v[6:7], v[2:5]
	v_mfma_f32_16x16x16_bf16 v[2:5], v[32:33], v[8:9], v[2:5]
	s_waitcnt vmcnt(4) lgkmcnt(0)
	v_mfma_f32_16x16x16_bf16 v[2:5], v[26:27], v[36:37], v[2:5]
	v_mfma_f32_16x16x16_bf16 v[2:5], v[28:29], v[38:39], v[2:5]
	ds_read_b128 v[6:9], v48 offset:4096
	ds_read_b128 v[26:29], v48 offset:4112
	s_waitcnt vmcnt(3) lgkmcnt(1)
	v_mfma_f32_16x16x16_bf16 v[2:5], v[22:23], v[6:7], v[2:5]
	v_mfma_f32_16x16x16_bf16 v[2:5], v[24:25], v[8:9], v[2:5]
	s_waitcnt vmcnt(2) lgkmcnt(0)
	v_mfma_f32_16x16x16_bf16 v[2:5], v[18:19], v[26:27], v[2:5]
	v_mfma_f32_16x16x16_bf16 v[2:5], v[20:21], v[28:29], v[2:5]
	ds_read_b128 v[6:9], v48 offset:6144
	ds_read_b128 v[18:21], v48 offset:6160
	s_waitcnt lgkmcnt(0)
	s_barrier
	s_waitcnt vmcnt(1)
	v_mfma_f32_16x16x16_bf16 v[2:5], v[14:15], v[6:7], v[2:5]
	v_mfma_f32_16x16x16_bf16 v[2:5], v[16:17], v[8:9], v[2:5]
	s_waitcnt vmcnt(0)
	v_mfma_f32_16x16x16_bf16 v[2:5], v[10:11], v[18:19], v[2:5]
	v_mfma_f32_16x16x16_bf16 v[2:5], v[12:13], v[20:21], v[2:5]
	s_nop 6
	v_bfe_u32 v6, v3, 16, 1
	v_bfe_u32 v7, v2, 16, 1
	;; [unrolled: 1-line block ×4, first 2 shown]
	v_add3_u32 v2, v2, v7, s8
	v_add3_u32 v3, v3, v6, s8
	;; [unrolled: 1-line block ×4, first 2 shown]
	v_perm_b32 v2, v3, v2, s9
	v_perm_b32 v3, v5, v4, s9
	ds_write_b64 v1, v[2:3]
	s_waitcnt lgkmcnt(0)
	s_barrier
	s_and_saveexec_b64 s[8:9], s[4:5]
	s_cbranch_execz .LBB569_20
; %bb.18:
	s_load_dwordx2 s[4:5], s[0:1], 0x68
	s_lshl_b32 s0, s6, 6
	s_mul_i32 s1, s7, s2
	s_mul_hi_u32 s7, s1, s0
	s_mul_i32 s6, s1, s0
	v_lshlrev_b32_e32 v1, 10, v0
	v_lshlrev_b32_e32 v0, 4, v0
	s_lshl_b64 s[6:7], s[6:7], 1
	v_and_b32_e32 v1, 0x1800, v1
	v_lshlrev_b32_e32 v2, 5, v54
	v_and_b32_e32 v0, 16, v0
	s_waitcnt lgkmcnt(0)
	s_add_u32 s1, s4, s6
	v_or3_b32 v2, v1, v2, v0
	s_addc_u32 s4, s5, s7
	s_lshl_b32 s2, s28, 6
	ds_read_b128 v[4:7], v2 offset:256
	s_lshl_b64 s[2:3], s[2:3], 1
	ds_read_b128 v[8:11], v2 offset:128
	ds_read_b128 v[12:15], v2
	s_add_u32 s2, s1, s2
	s_addc_u32 s3, s4, s3
	v_add_u32_e32 v18, s42, v54
	v_lshl_add_u64 v[0:1], v[34:35], 1, s[2:3]
	v_mad_u64_u32 v[16:17], s[2:3], v18, s0, 0
	v_lshl_add_u64 v[16:17], v[16:17], 1, v[0:1]
	s_waitcnt lgkmcnt(0)
	global_store_dwordx4 v[16:17], v[12:15], off
	v_or_b32_e32 v3, 12, v54
	v_cmp_gt_u32_e32 vcc, 14, v3
	v_add_u32_e32 v12, 4, v18
	v_mad_u64_u32 v[12:13], s[2:3], v12, s0, 0
	v_lshl_add_u64 v[12:13], v[12:13], 1, v[0:1]
	global_store_dwordx4 v[12:13], v[8:11], off
	s_nop 1
	v_add_u32_e32 v8, 8, v18
	v_mad_u64_u32 v[8:9], s[2:3], v8, s0, 0
	v_lshl_add_u64 v[8:9], v[8:9], 1, v[0:1]
	global_store_dwordx4 v[8:9], v[4:7], off
	s_and_b64 exec, exec, vcc
	s_cbranch_execz .LBB569_20
; %bb.19:
	ds_read_b128 v[4:7], v2 offset:384
	v_add_u32_e32 v2, s42, v3
	v_mad_u64_u32 v[2:3], s[0:1], v2, s0, 0
	v_lshl_add_u64 v[0:1], v[2:3], 1, v[0:1]
	s_waitcnt lgkmcnt(0)
	global_store_dwordx4 v[0:1], v[4:7], off
.LBB569_20:
	s_endpgm
	.section	.rodata,"a",@progbits
	.p2align	6, 0x0
	.amdhsa_kernel _Z39paged_attention_ll4mi_QKV_mfma16_kernelI14__hip_bfloat16S0_LN4vllm18Fp8KVCacheDataTypeE0ES0_Li32ELi64ELi256ELb0ELi14EEvPKT_PKT0_S8_ifPKiSA_SA_iPKfiiiPfSD_PS3_PT2_iSC_SC_
		.amdhsa_group_segment_fixed_size 8192
		.amdhsa_private_segment_fixed_size 0
		.amdhsa_kernarg_size 400
		.amdhsa_user_sgpr_count 2
		.amdhsa_user_sgpr_dispatch_ptr 0
		.amdhsa_user_sgpr_queue_ptr 0
		.amdhsa_user_sgpr_kernarg_segment_ptr 1
		.amdhsa_user_sgpr_dispatch_id 0
		.amdhsa_user_sgpr_kernarg_preload_length 0
		.amdhsa_user_sgpr_kernarg_preload_offset 0
		.amdhsa_user_sgpr_private_segment_size 0
		.amdhsa_uses_dynamic_stack 0
		.amdhsa_enable_private_segment 0
		.amdhsa_system_sgpr_workgroup_id_x 1
		.amdhsa_system_sgpr_workgroup_id_y 1
		.amdhsa_system_sgpr_workgroup_id_z 1
		.amdhsa_system_sgpr_workgroup_info 0
		.amdhsa_system_vgpr_workitem_id 0
		.amdhsa_next_free_vgpr 67
		.amdhsa_next_free_sgpr 48
		.amdhsa_accum_offset 68
		.amdhsa_reserve_vcc 1
		.amdhsa_float_round_mode_32 0
		.amdhsa_float_round_mode_16_64 0
		.amdhsa_float_denorm_mode_32 3
		.amdhsa_float_denorm_mode_16_64 3
		.amdhsa_dx10_clamp 1
		.amdhsa_ieee_mode 1
		.amdhsa_fp16_overflow 0
		.amdhsa_tg_split 0
		.amdhsa_exception_fp_ieee_invalid_op 0
		.amdhsa_exception_fp_denorm_src 0
		.amdhsa_exception_fp_ieee_div_zero 0
		.amdhsa_exception_fp_ieee_overflow 0
		.amdhsa_exception_fp_ieee_underflow 0
		.amdhsa_exception_fp_ieee_inexact 0
		.amdhsa_exception_int_div_zero 0
	.end_amdhsa_kernel
	.section	.text._Z39paged_attention_ll4mi_QKV_mfma16_kernelI14__hip_bfloat16S0_LN4vllm18Fp8KVCacheDataTypeE0ES0_Li32ELi64ELi256ELb0ELi14EEvPKT_PKT0_S8_ifPKiSA_SA_iPKfiiiPfSD_PS3_PT2_iSC_SC_,"axG",@progbits,_Z39paged_attention_ll4mi_QKV_mfma16_kernelI14__hip_bfloat16S0_LN4vllm18Fp8KVCacheDataTypeE0ES0_Li32ELi64ELi256ELb0ELi14EEvPKT_PKT0_S8_ifPKiSA_SA_iPKfiiiPfSD_PS3_PT2_iSC_SC_,comdat
.Lfunc_end569:
	.size	_Z39paged_attention_ll4mi_QKV_mfma16_kernelI14__hip_bfloat16S0_LN4vllm18Fp8KVCacheDataTypeE0ES0_Li32ELi64ELi256ELb0ELi14EEvPKT_PKT0_S8_ifPKiSA_SA_iPKfiiiPfSD_PS3_PT2_iSC_SC_, .Lfunc_end569-_Z39paged_attention_ll4mi_QKV_mfma16_kernelI14__hip_bfloat16S0_LN4vllm18Fp8KVCacheDataTypeE0ES0_Li32ELi64ELi256ELb0ELi14EEvPKT_PKT0_S8_ifPKiSA_SA_iPKfiiiPfSD_PS3_PT2_iSC_SC_
                                        ; -- End function
	.section	.AMDGPU.csdata,"",@progbits
; Kernel info:
; codeLenInByte = 4220
; NumSgprs: 54
; NumVgprs: 67
; NumAgprs: 0
; TotalNumVgprs: 67
; ScratchSize: 0
; MemoryBound: 0
; FloatMode: 240
; IeeeMode: 1
; LDSByteSize: 8192 bytes/workgroup (compile time only)
; SGPRBlocks: 6
; VGPRBlocks: 8
; NumSGPRsForWavesPerEU: 54
; NumVGPRsForWavesPerEU: 67
; AccumOffset: 68
; Occupancy: 7
; WaveLimiterHint : 1
; COMPUTE_PGM_RSRC2:SCRATCH_EN: 0
; COMPUTE_PGM_RSRC2:USER_SGPR: 2
; COMPUTE_PGM_RSRC2:TRAP_HANDLER: 0
; COMPUTE_PGM_RSRC2:TGID_X_EN: 1
; COMPUTE_PGM_RSRC2:TGID_Y_EN: 1
; COMPUTE_PGM_RSRC2:TGID_Z_EN: 1
; COMPUTE_PGM_RSRC2:TIDIG_COMP_CNT: 0
; COMPUTE_PGM_RSRC3_GFX90A:ACCUM_OFFSET: 16
; COMPUTE_PGM_RSRC3_GFX90A:TG_SPLIT: 0
	.section	.text._Z39paged_attention_ll4mi_QKV_mfma16_kernelI14__hip_bfloat16S0_LN4vllm18Fp8KVCacheDataTypeE0ES0_Li32ELi64ELi256ELb0ELi15EEvPKT_PKT0_S8_ifPKiSA_SA_iPKfiiiPfSD_PS3_PT2_iSC_SC_,"axG",@progbits,_Z39paged_attention_ll4mi_QKV_mfma16_kernelI14__hip_bfloat16S0_LN4vllm18Fp8KVCacheDataTypeE0ES0_Li32ELi64ELi256ELb0ELi15EEvPKT_PKT0_S8_ifPKiSA_SA_iPKfiiiPfSD_PS3_PT2_iSC_SC_,comdat
	.protected	_Z39paged_attention_ll4mi_QKV_mfma16_kernelI14__hip_bfloat16S0_LN4vllm18Fp8KVCacheDataTypeE0ES0_Li32ELi64ELi256ELb0ELi15EEvPKT_PKT0_S8_ifPKiSA_SA_iPKfiiiPfSD_PS3_PT2_iSC_SC_ ; -- Begin function _Z39paged_attention_ll4mi_QKV_mfma16_kernelI14__hip_bfloat16S0_LN4vllm18Fp8KVCacheDataTypeE0ES0_Li32ELi64ELi256ELb0ELi15EEvPKT_PKT0_S8_ifPKiSA_SA_iPKfiiiPfSD_PS3_PT2_iSC_SC_
	.globl	_Z39paged_attention_ll4mi_QKV_mfma16_kernelI14__hip_bfloat16S0_LN4vllm18Fp8KVCacheDataTypeE0ES0_Li32ELi64ELi256ELb0ELi15EEvPKT_PKT0_S8_ifPKiSA_SA_iPKfiiiPfSD_PS3_PT2_iSC_SC_
	.p2align	8
	.type	_Z39paged_attention_ll4mi_QKV_mfma16_kernelI14__hip_bfloat16S0_LN4vllm18Fp8KVCacheDataTypeE0ES0_Li32ELi64ELi256ELb0ELi15EEvPKT_PKT0_S8_ifPKiSA_SA_iPKfiiiPfSD_PS3_PT2_iSC_SC_,@function
_Z39paged_attention_ll4mi_QKV_mfma16_kernelI14__hip_bfloat16S0_LN4vllm18Fp8KVCacheDataTypeE0ES0_Li32ELi64ELi256ELb0ELi15EEvPKT_PKT0_S8_ifPKiSA_SA_iPKfiiiPfSD_PS3_PT2_iSC_SC_: ; @_Z39paged_attention_ll4mi_QKV_mfma16_kernelI14__hip_bfloat16S0_LN4vllm18Fp8KVCacheDataTypeE0ES0_Li32ELi64ELi256ELb0ELi15EEvPKT_PKT0_S8_ifPKiSA_SA_iPKfiiiPfSD_PS3_PT2_iSC_SC_
; %bb.0:
	s_load_dwordx2 s[6:7], s[0:1], 0x30
	s_mov_b32 s28, s3
	s_mov_b64 s[10:11], 0
	s_waitcnt lgkmcnt(0)
	s_cmp_lg_u64 s[6:7], 0
	s_cselect_b64 s[8:9], -1, 0
	s_and_b64 vcc, exec, s[8:9]
	s_cbranch_vccz .LBB570_7
; %bb.1:
	s_add_i32 s12, s2, 1
	s_mov_b32 s13, 0
	s_lshl_b64 s[14:15], s[12:13], 2
	s_add_u32 s14, s6, s14
	s_mov_b32 s3, s13
	s_addc_u32 s15, s7, s15
	s_lshl_b64 s[12:13], s[2:3], 2
	s_add_u32 s12, s6, s12
	s_addc_u32 s13, s7, s13
	s_load_dword s5, s[14:15], 0x0
	s_load_dword s16, s[12:13], 0x0
	s_waitcnt lgkmcnt(0)
	s_sub_i32 s5, s5, s16
	s_cmp_eq_u32 s5, 1
	s_cselect_b64 s[12:13], -1, 0
	s_andn2_b64 vcc, exec, s[10:11]
	s_cbranch_vccnz .LBB570_3
.LBB570_2:
	s_mov_b32 s3, 0
	s_mov_b64 s[12:13], -1
.LBB570_3:
	s_andn2_b64 vcc, exec, s[12:13]
	s_cbranch_vccnz .LBB570_20
; %bb.4:
	s_load_dwordx2 s[12:13], s[0:1], 0x28
	s_lshl_b64 s[10:11], s[2:3], 2
	s_waitcnt lgkmcnt(0)
	s_add_u32 s12, s12, s10
	s_addc_u32 s13, s13, s11
	s_load_dword s33, s[12:13], 0x0
	s_lshl_b32 s14, s28, 8
	s_waitcnt lgkmcnt(0)
	s_cmp_ge_i32 s14, s33
	s_cbranch_scc1 .LBB570_20
; %bb.5:
	s_load_dwordx2 s[12:13], s[0:1], 0x20
	s_load_dword s5, s[0:1], 0x38
	s_add_i32 s15, s33, 31
	s_ashr_i32 s16, s15, 31
	v_and_b32_e32 v1, 0xcf, v0
	s_lshr_b32 s16, s16, 27
	v_add_u32_e32 v1, s14, v1
	s_add_i32 s15, s15, s16
	v_ashrrev_i32_e32 v2, 31, v1
	s_ashr_i32 s15, s15, 5
	v_lshrrev_b32_e32 v6, 27, v2
	s_add_i32 s15, s15, -1
	s_waitcnt lgkmcnt(0)
	s_mul_i32 s16, s2, s5
	s_mov_b32 s17, 0
	v_add_u32_e32 v2, v1, v6
	s_lshl_b64 s[16:17], s[16:17], 2
	v_ashrrev_i32_e32 v2, 5, v2
	v_mov_b32_e32 v7, s15
	v_cmp_gt_i32_e32 vcc, s33, v1
	s_add_u32 s12, s12, s16
	s_addc_u32 s13, s13, s17
	v_cndmask_b32_e32 v2, v7, v2, vcc
	v_ashrrev_i32_e32 v3, 31, v2
	v_lshl_add_u64 v[4:5], v[2:3], 2, s[12:13]
	v_or_b32_e32 v2, 16, v1
	v_add_u32_e32 v3, v2, v6
	v_ashrrev_i32_e32 v3, 5, v3
	v_cmp_gt_i32_e32 vcc, s33, v2
	s_nop 1
	v_cndmask_b32_e32 v2, v7, v3, vcc
	v_ashrrev_i32_e32 v3, 31, v2
	v_lshl_add_u64 v[8:9], v[2:3], 2, s[12:13]
	v_or_b32_e32 v2, 32, v1
	v_add_u32_e32 v3, v2, v6
	v_ashrrev_i32_e32 v3, 5, v3
	v_cmp_gt_i32_e32 vcc, s33, v2
	v_or_b32_e32 v1, 48, v1
	s_nop 0
	v_cndmask_b32_e32 v2, v7, v3, vcc
	v_ashrrev_i32_e32 v3, 31, v2
	v_lshl_add_u64 v[12:13], v[2:3], 2, s[12:13]
	v_add_u32_e32 v2, v1, v6
	v_ashrrev_i32_e32 v2, 5, v2
	v_cmp_gt_i32_e32 vcc, s33, v1
	s_nop 1
	v_cndmask_b32_e32 v2, v7, v2, vcc
	v_ashrrev_i32_e32 v3, 31, v2
	v_lshl_add_u64 v[14:15], v[2:3], 2, s[12:13]
	global_load_dword v2, v[4:5], off
	global_load_dword v6, v[8:9], off
	;; [unrolled: 1-line block ×4, first 2 shown]
	s_andn2_b64 vcc, exec, s[8:9]
	s_cbranch_vccnz .LBB570_8
; %bb.6:
	s_add_u32 s6, s6, s10
	s_addc_u32 s7, s7, s11
	s_load_dword s5, s[6:7], 0x0
	s_branch .LBB570_9
.LBB570_7:
	s_mov_b64 s[12:13], 0
	s_branch .LBB570_2
.LBB570_8:
	s_mov_b32 s5, s2
.LBB570_9:
	s_load_dwordx4 s[8:11], s[0:1], 0x8
	s_load_dwordx4 s[44:47], s[0:1], 0x48
	v_lshrrev_b32_e32 v1, 6, v0
	v_bfe_u32 v54, v0, 4, 2
	v_lshl_or_b32 v3, v1, 2, v54
	v_and_b32_e32 v36, 15, v0
	v_cmp_lt_u32_e32 vcc, 14, v3
	v_cmp_lt_u32_e64 s[6:7], 7, v36
	v_lshlrev_b32_e32 v34, 3, v36
	v_cmp_gt_u32_e64 s[30:31], 8, v36
	s_or_b64 s[6:7], s[6:7], vcc
	s_and_saveexec_b64 s[16:17], s[6:7]
	s_xor_b64 s[6:7], exec, s[16:17]
; %bb.10:
	v_mov_b32_e32 v35, 0
                                        ; implicit-def: $vgpr3
; %bb.11:
	s_or_saveexec_b64 s[6:7], s[6:7]
	v_and_b32_e32 v37, 63, v0
	s_mul_i32 s42, s4, 15
	s_xor_b64 exec, exec, s[6:7]
	s_cbranch_execz .LBB570_13
; %bb.12:
	s_load_dwordx2 s[16:17], s[0:1], 0x0
	s_waitcnt lgkmcnt(0)
	s_ashr_i32 s18, s44, 31
	s_mul_hi_u32 s19, s5, s44
	s_mul_i32 s18, s5, s18
	s_add_i32 s19, s19, s18
	s_mul_i32 s18, s5, s44
	s_lshl_b64 s[18:19], s[18:19], 1
	s_add_u32 s16, s16, s18
	v_add_lshl_u32 v4, v3, s42, 6
	s_addc_u32 s17, s17, s19
	v_ashrrev_i32_e32 v5, 31, v4
	v_mov_b32_e32 v35, 0
	v_lshl_add_u64 v[4:5], v[4:5], 1, s[16:17]
	v_lshlrev_b32_e32 v8, 1, v34
	v_mov_b32_e32 v9, v35
	v_lshl_add_u64 v[4:5], v[4:5], 0, v[8:9]
	global_load_dwordx4 v[12:15], v[4:5], off
	v_and_b32_e32 v4, 3, v0
	v_lshlrev_b32_e32 v5, 9, v36
	v_lshlrev_b32_e32 v3, 5, v3
	;; [unrolled: 1-line block ×3, first 2 shown]
	v_and_b32_e32 v5, 0x1800, v5
	v_or3_b32 v3, v5, v4, v3
	s_waitcnt vmcnt(0)
	ds_write_b128 v3, v[12:15]
.LBB570_13:
	s_or_b64 exec, exec, s[6:7]
	s_waitcnt lgkmcnt(0)
	s_mov_b32 s5, 0
	s_mul_i32 s4, s4, s46
	s_lshl_b64 s[4:5], s[4:5], 1
	s_add_u32 s8, s8, s4
	s_addc_u32 s9, s9, s5
	s_waitcnt vmcnt(3)
	v_mad_i64_i32 v[2:3], s[16:17], v2, s45, 0
	v_lshl_add_u64 v[2:3], v[2:3], 1, s[8:9]
	v_lshlrev_b64 v[12:13], 1, v[34:35]
	v_mov_b32_e32 v39, 0
	v_lshlrev_b32_e32 v38, 9, v54
	v_lshl_add_u64 v[2:3], v[2:3], 0, v[12:13]
	v_lshl_add_u64 v[20:21], v[2:3], 0, v[38:39]
	s_load_dword s29, s[0:1], 0x98
	s_load_dword s6, s[0:1], 0x1c
	s_waitcnt lgkmcnt(0)
	s_barrier
	global_load_dwordx4 v[2:5], v[20:21], off
	s_waitcnt vmcnt(3)
	v_mad_i64_i32 v[6:7], s[16:17], v6, s45, 0
	v_mov_b32_e32 v8, 0x100
	v_lshl_add_u64 v[6:7], v[6:7], 1, s[8:9]
	v_lshl_or_b32 v40, v36, 4, v8
	v_mov_b32_e32 v41, v39
	v_lshl_add_u64 v[6:7], v[6:7], 0, v[40:41]
	v_lshl_add_u64 v[22:23], v[6:7], 0, v[38:39]
	global_load_dwordx4 v[6:9], v[22:23], off
	global_load_dwordx4 v[26:29], v[22:23], off offset:2048
	s_waitcnt vmcnt(4)
	v_mad_i64_i32 v[10:11], s[16:17], v10, s45, 0
	v_lshl_add_u64 v[10:11], v[10:11], 1, s[8:9]
	v_lshl_add_u64 v[10:11], v[10:11], 0, v[12:13]
	v_lshl_add_u64 v[24:25], v[10:11], 0, v[38:39]
	global_load_dwordx4 v[10:13], v[20:21], off offset:2048
	global_load_dwordx4 v[14:17], v[24:25], off
	global_load_dwordx4 v[30:33], v[24:25], off offset:2048
	s_waitcnt vmcnt(6)
	v_mad_i64_i32 v[42:43], s[16:17], v18, s45, 0
	v_cmp_ne_u32_e32 vcc, 15, v36
	v_lshl_add_u64 v[42:43], v[42:43], 1, s[8:9]
	v_lshl_add_u64 v[40:41], v[42:43], 0, v[40:41]
	v_cndmask_b32_e32 v19, 0, v36, vcc
	v_lshl_or_b32 v18, v19, 5, v38
	v_lshl_add_u64 v[40:41], v[40:41], 0, v[38:39]
	ds_read_b128 v[22:25], v18
	ds_read_b128 v[18:21], v18 offset:2048
	global_load_dwordx4 v[46:49], v[40:41], off
	global_load_dwordx4 v[60:63], v[40:41], off offset:2048
	s_ashr_i32 s7, s14, 31
	v_and_or_b32 v55, v0, 48, s14
	s_lshr_b32 s7, s7, 27
	v_add_u32_e32 v42, s7, v55
	v_mov_b32_e32 v64, s15
	v_or_b32_e32 v50, 64, v55
	v_ashrrev_i32_e32 v38, 5, v42
	v_cmp_gt_i32_e32 vcc, s33, v55
	v_add_u32_e32 v43, s7, v50
	v_ashrrev_i32_e32 v51, 5, v43
	v_cndmask_b32_e32 v42, v64, v38, vcc
	v_ashrrev_i32_e32 v43, 31, v42
	v_lshl_add_u64 v[42:43], v[42:43], 2, s[12:13]
	v_cmp_gt_i32_e32 vcc, s33, v50
	global_load_dword v65, v[42:43], off
	v_or_b32_e32 v41, 0x80, v55
	v_and_b32_e32 v38, 16, v0
	s_add_u32 s4, s10, s4
	v_lshlrev_b32_e32 v40, 6, v36
	s_addc_u32 s5, s11, s5
	v_lshlrev_b32_e32 v38, 1, v38
	s_mov_b32 s43, 0xff7fffff
	s_waitcnt vmcnt(8) lgkmcnt(1)
	v_mfma_f32_16x16x16_bf16 v[42:45], v[2:3], v[22:23], 0
	v_cndmask_b32_e32 v2, v64, v51, vcc
	v_ashrrev_i32_e32 v3, 31, v2
	v_lshl_add_u64 v[2:3], v[2:3], 2, s[12:13]
	global_load_dword v66, v[2:3], off
	s_waitcnt vmcnt(8)
	v_mfma_f32_16x16x16_bf16 v[50:53], v[6:7], v[22:23], 0
	v_cmp_gt_i32_e32 vcc, s33, v41
	v_mfma_f32_16x16x16_bf16 v[2:5], v[4:5], v[24:25], v[42:45]
	v_mfma_f32_16x16x16_bf16 v[6:9], v[8:9], v[24:25], v[50:53]
	s_nop 1
	v_or_b32_e32 v42, 0xc0, v55
	v_add_u32_e32 v43, s7, v41
	v_add_u32_e32 v44, s7, v42
	s_waitcnt vmcnt(6) lgkmcnt(0)
	v_mfma_f32_16x16x16_bf16 v[2:5], v[10:11], v[18:19], v[2:5]
	v_ashrrev_i32_e32 v43, 5, v43
	v_ashrrev_i32_e32 v45, 5, v44
	v_cndmask_b32_e32 v44, v64, v43, vcc
	s_waitcnt vmcnt(5)
	v_mfma_f32_16x16x16_bf16 v[56:59], v[14:15], v[22:23], 0
	v_cmp_gt_i32_e32 vcc, s33, v42
	v_lshl_add_u64 v[10:11], s[4:5], 0, v[38:39]
	v_lshl_or_b32 v38, v1, 10, v40
	v_mfma_f32_16x16x16_bf16 v[6:9], v[26:27], v[18:19], v[6:9]
	v_cndmask_b32_e32 v26, v64, v45, vcc
	v_ashrrev_i32_e32 v45, 31, v44
	v_ashrrev_i32_e32 v27, 31, v26
	v_mfma_f32_16x16x16_bf16 v[40:43], v[12:13], v[20:21], v[2:5]
	v_lshl_add_u64 v[10:11], v[10:11], 0, v[38:39]
	s_waitcnt vmcnt(0)
	v_mad_i64_i32 v[12:13], s[4:5], v66, s45, 0
	v_lshl_add_u64 v[2:3], v[44:45], 2, s[12:13]
	v_mfma_f32_16x16x16_bf16 v[14:17], v[16:17], v[24:25], v[56:59]
	v_lshl_add_u64 v[4:5], v[26:27], 2, s[12:13]
	global_load_dword v55, v[2:3], off
	s_nop 0
	global_load_dword v58, v[4:5], off
	v_mad_i64_i32 v[2:3], s[4:5], v65, s45, 0
	v_mfma_f32_16x16x16_bf16 v[14:17], v[30:31], v[18:19], v[14:17]
	v_lshl_add_u64 v[56:57], v[12:13], 1, v[10:11]
	v_pk_mul_f32 v[12:13], s[6:7], v[40:41] op_sel_hi:[0,1]
	v_pk_mul_f32 v[50:51], s[6:7], v[42:43] op_sel_hi:[0,1]
	v_mfma_f32_16x16x16_bf16 v[14:17], v[32:33], v[20:21], v[14:17]
	v_lshl_add_u64 v[2:3], v[2:3], 1, v[10:11]
	v_mfma_f32_16x16x16_bf16 v[30:33], v[46:47], v[22:23], 0
	v_mfma_f32_16x16x16_bf16 v[22:25], v[48:49], v[24:25], v[30:33]
	s_nop 3
	v_pk_mul_f32 v[48:49], s[6:7], v[16:17] op_sel_hi:[0,1]
	v_pk_mul_f32 v[46:47], s[6:7], v[14:15] op_sel_hi:[0,1]
	v_mfma_f32_16x16x16_bf16 v[22:25], v[60:61], v[18:19], v[22:25]
	v_mfma_f32_16x16x16_bf16 v[14:17], v[62:63], v[20:21], v[22:25]
	;; [unrolled: 1-line block ×3, first 2 shown]
	s_nop 2
	global_load_dwordx4 v[6:9], v[2:3], off
	s_nop 0
	global_load_dwordx4 v[2:5], v[2:3], off offset:16
	v_pk_mul_f32 v[44:45], s[6:7], v[14:15] op_sel_hi:[0,1]
	v_and_b32_e32 v14, 0xc0, v0
	v_add_u32_e32 v14, s14, v14
	v_lshl_or_b32 v14, v54, 2, v14
	v_pk_mul_f32 v[38:39], s[6:7], v[16:17] op_sel_hi:[0,1]
	v_or_b32_e32 v17, 1, v14
	v_mov_b32_e32 v15, 0xff7fffff
	v_cmp_gt_i32_e64 s[4:5], s33, v14
	v_cmp_gt_i32_e64 s[34:35], s33, v17
	v_or_b32_e32 v18, 3, v14
	v_cndmask_b32_e64 v16, v15, v12, s[4:5]
	v_cndmask_b32_e64 v17, v15, v13, s[34:35]
	v_max3_f32 v16, v16, s43, v17
	v_or_b32_e32 v17, 2, v14
	v_cmp_gt_i32_e64 s[36:37], s33, v17
	v_cmp_gt_i32_e64 s[38:39], s33, v18
	v_pk_mul_f32 v[42:43], s[6:7], v[26:27] op_sel_hi:[0,1]
	v_cndmask_b32_e64 v17, v15, v50, s[36:37]
	v_cndmask_b32_e64 v18, v15, v51, s[38:39]
	v_max3_f32 v16, v16, v17, v18
	v_or_b32_e32 v17, 16, v14
	v_or_b32_e32 v18, 17, v14
	v_cmp_gt_i32_e64 s[24:25], s33, v17
	v_cmp_gt_i32_e64 s[26:27], s33, v18
	v_pk_mul_f32 v[52:53], s[6:7], v[28:29] op_sel_hi:[0,1]
	v_cndmask_b32_e64 v17, v15, v42, s[24:25]
	v_cndmask_b32_e64 v18, v15, v43, s[26:27]
	v_max3_f32 v16, v16, v17, v18
	v_or_b32_e32 v17, 18, v14
	v_or_b32_e32 v18, 19, v14
	v_cmp_gt_i32_e64 s[20:21], s33, v17
	v_cmp_gt_i32_e64 s[22:23], s33, v18
	global_load_dwordx4 v[30:33], v[56:57], off
	global_load_dwordx4 v[26:29], v[56:57], off offset:16
	v_cndmask_b32_e64 v17, v15, v52, s[20:21]
	v_cndmask_b32_e64 v18, v15, v53, s[22:23]
	v_max3_f32 v16, v16, v17, v18
	v_or_b32_e32 v17, 32, v14
	v_or_b32_e32 v18, 33, v14
	v_cmp_gt_i32_e64 s[16:17], s33, v17
	v_cmp_gt_i32_e64 s[18:19], s33, v18
	s_nop 0
	v_cndmask_b32_e64 v17, v15, v46, s[16:17]
	v_cndmask_b32_e64 v18, v15, v47, s[18:19]
	v_max3_f32 v16, v16, v17, v18
	v_or_b32_e32 v17, 34, v14
	v_or_b32_e32 v18, 35, v14
	v_cmp_gt_i32_e64 s[12:13], s33, v17
	v_cmp_gt_i32_e64 s[14:15], s33, v18
	s_nop 0
	;; [unrolled: 8-line block ×3, first 2 shown]
	v_cndmask_b32_e64 v17, v15, v44, s[8:9]
	v_cndmask_b32_e64 v18, v15, v45, s[10:11]
	v_max3_f32 v16, v16, v17, v18
	v_or_b32_e32 v17, 50, v14
	v_or_b32_e32 v14, 51, v14
	v_cmp_gt_i32_e32 vcc, s33, v17
	v_cmp_gt_i32_e64 s[6:7], s33, v14
	s_nop 0
	v_cndmask_b32_e32 v17, v15, v38, vcc
	v_cndmask_b32_e64 v14, v15, v39, s[6:7]
	v_max3_f32 v16, v16, v17, v14
	v_mbcnt_lo_u32_b32 v14, -1, 0
	v_mbcnt_hi_u32_b32 v17, -1, v14
	v_and_b32_e32 v14, 64, v17
	v_add_u32_e32 v18, 64, v14
	v_xor_b32_e32 v14, 32, v17
	v_cmp_lt_i32_e64 s[40:41], v14, v18
	s_nop 1
	v_cndmask_b32_e64 v14, v17, v14, s[40:41]
	v_lshlrev_b32_e32 v59, 2, v14
	ds_bpermute_b32 v19, v59, v16
	s_waitcnt vmcnt(5)
	v_mad_i64_i32 v[14:15], s[40:41], v55, s45, 0
	v_lshl_add_u64 v[14:15], v[14:15], 1, v[10:11]
	s_waitcnt lgkmcnt(0)
	v_max_f32_e32 v19, v19, v19
	v_max_f32_e32 v16, v16, v19
	v_xor_b32_e32 v19, 16, v17
	v_cmp_lt_i32_e64 s[40:41], v19, v18
	s_nop 1
	v_cndmask_b32_e64 v17, v17, v19, s[40:41]
	v_lshlrev_b32_e32 v57, 2, v17
	ds_bpermute_b32 v17, v57, v16
	global_load_dwordx4 v[22:25], v[14:15], off
	global_load_dwordx4 v[18:21], v[14:15], off offset:16
	s_waitcnt vmcnt(6)
	v_mad_i64_i32 v[14:15], s[40:41], v58, s45, 0
	v_lshl_add_u64 v[10:11], v[14:15], 1, v[10:11]
	s_waitcnt lgkmcnt(0)
	v_max_f32_e32 v14, v17, v17
	v_max_f32_e32 v55, v16, v14
	v_sub_f32_e32 v12, v12, v55
	v_mul_f32_e32 v12, 0x3fb8aa3b, v12
	v_exp_f32_e32 v40, v12
	v_sub_f32_e32 v12, v13, v55
	v_mul_f32_e32 v12, 0x3fb8aa3b, v12
	v_exp_f32_e32 v41, v12
	global_load_dwordx4 v[14:17], v[10:11], off
	s_nop 0
	global_load_dwordx4 v[10:13], v[10:11], off offset:16
	v_sub_f32_e32 v50, v50, v55
	v_mul_f32_e32 v50, 0x3fb8aa3b, v50
	v_sub_f32_e32 v51, v51, v55
	v_exp_f32_e32 v50, v50
	v_mul_f32_e32 v51, 0x3fb8aa3b, v51
	v_sub_f32_e32 v42, v42, v55
	v_exp_f32_e32 v51, v51
	v_mul_f32_e32 v42, 0x3fb8aa3b, v42
	v_sub_f32_e32 v43, v43, v55
	v_cndmask_b32_e64 v40, 0, v40, s[4:5]
	v_exp_f32_e32 v42, v42
	v_mul_f32_e32 v43, 0x3fb8aa3b, v43
	v_sub_f32_e32 v52, v52, v55
	v_add_f32_e32 v56, 0, v40
	v_cndmask_b32_e64 v41, 0, v41, s[34:35]
	v_exp_f32_e32 v43, v43
	v_mul_f32_e32 v52, 0x3fb8aa3b, v52
	v_sub_f32_e32 v53, v53, v55
	v_add_f32_e32 v56, v56, v41
	;; [unrolled: 5-line block ×10, first 2 shown]
	v_cndmask_b32_e64 v48, 0, v48, s[12:13]
	v_exp_f32_e32 v38, v38
	v_mul_f32_e32 v39, 0x3fb8aa3b, v39
	v_add_f32_e32 v56, v56, v48
	v_cndmask_b32_e64 v49, 0, v49, s[14:15]
	v_exp_f32_e32 v39, v39
	v_add_f32_e32 v56, v56, v49
	v_cndmask_b32_e64 v44, 0, v44, s[8:9]
	v_add_f32_e32 v56, v56, v44
	v_cndmask_b32_e64 v45, 0, v45, s[10:11]
	v_add_f32_e32 v56, v56, v45
	v_cndmask_b32_e32 v38, 0, v38, vcc
	v_add_f32_e32 v56, v56, v38
	v_cndmask_b32_e64 v39, 0, v39, s[6:7]
	v_add_f32_e32 v56, v56, v39
	ds_bpermute_b32 v58, v59, v56
	v_cmp_gt_u32_e32 vcc, 16, v37
	v_lshlrev_b32_e32 v37, 2, v36
	s_waitcnt lgkmcnt(0)
	s_barrier
	v_add_f32_e32 v56, v56, v58
	ds_bpermute_b32 v57, v57, v56
	s_waitcnt lgkmcnt(0)
	s_and_saveexec_b64 s[4:5], vcc
	s_cbranch_execz .LBB570_15
; %bb.14:
	v_add_f32_e32 v56, v56, v57
	v_lshl_or_b32 v57, v1, 6, v37
	ds_write2st64_b32 v57, v55, v56 offset1:1
.LBB570_15:
	s_or_b64 exec, exec, s[4:5]
	s_load_dword s6, s[0:1], 0x94
	s_waitcnt lgkmcnt(0)
	s_barrier
	ds_read2_b32 v[56:57], v37 offset1:16
	ds_read2_b32 v[58:59], v37 offset0:32 offset1:48
	ds_read2_b32 v[60:61], v37 offset0:64 offset1:80
	;; [unrolled: 1-line block ×3, first 2 shown]
	s_movk_i32 s8, 0x7fff
	s_waitcnt lgkmcnt(3)
	v_max3_f32 v55, v56, s43, v57
	s_waitcnt lgkmcnt(2)
	v_max3_f32 v55, v55, v58, v59
	v_sub_f32_e32 v56, v56, v55
	v_mul_f32_e32 v56, 0x3fb8aa3b, v56
	v_exp_f32_e32 v64, v56
	v_sub_f32_e32 v56, v57, v55
	v_mul_f32_e32 v56, 0x3fb8aa3b, v56
	v_exp_f32_e32 v57, v56
	v_sub_f32_e32 v56, v58, v55
	v_mul_f32_e32 v56, 0x3fb8aa3b, v56
	v_sub_f32_e32 v37, v59, v55
	v_exp_f32_e32 v58, v56
	v_mul_f32_e32 v37, 0x3fb8aa3b, v37
	v_exp_f32_e32 v37, v37
	s_waitcnt lgkmcnt(1)
	v_fma_f32 v56, v64, v60, 0
	v_fmac_f32_e32 v56, v57, v61
	s_waitcnt lgkmcnt(0)
	v_fmac_f32_e32 v56, v58, v62
	v_fmac_f32_e32 v56, v37, v63
	v_add_f32_e32 v59, 0x358637bd, v56
	v_div_scale_f32 v60, s[4:5], v59, v59, 1.0
	v_rcp_f32_e32 v61, v60
	s_mov_b32 s9, 0x7060302
	s_barrier
	v_fma_f32 v62, -v60, v61, 1.0
	v_fmac_f32_e32 v61, v62, v61
	v_div_scale_f32 v62, vcc, 1.0, v59, 1.0
	v_mul_f32_e32 v63, v62, v61
	v_fma_f32 v65, -v60, v63, v62
	v_fmac_f32_e32 v63, v65, v61
	v_fma_f32 v60, -v60, v63, v62
	v_div_fmas_f32 v60, v60, v61, v63
	v_cmp_eq_u32_e32 vcc, 1, v1
	v_div_fixup_f32 v59, v60, v59, 1.0
	s_nop 0
	v_cndmask_b32_e32 v57, v64, v57, vcc
	v_cmp_eq_u32_e32 vcc, 2, v1
	s_mul_i32 s7, s29, 15
	s_nop 0
	v_cndmask_b32_e32 v57, v57, v58, vcc
	v_cmp_eq_u32_e32 vcc, 3, v1
	v_lshlrev_b32_e32 v1, 11, v1
	s_nop 0
	v_cndmask_b32_e32 v37, v57, v37, vcc
	v_mul_f32_e32 v58, v37, v59
	v_pk_mul_f32 v[40:41], v[58:59], v[40:41] op_sel_hi:[0,1]
	v_bfe_u32 v37, v41, 16, 1
	v_bfe_u32 v57, v40, 16, 1
	v_pk_mul_f32 v[50:51], v[58:59], v[50:51] op_sel_hi:[0,1]
	v_add3_u32 v40, v40, v57, s8
	v_add3_u32 v37, v41, v37, s8
	v_perm_b32 v60, v37, v40, s9
	v_bfe_u32 v37, v51, 16, 1
	v_bfe_u32 v40, v50, 16, 1
	v_add3_u32 v40, v50, v40, s8
	v_add3_u32 v37, v51, v37, s8
	v_perm_b32 v61, v37, v40, s9
	v_lshlrev_b32_e32 v37, 3, v54
	v_lshlrev_b32_e32 v40, 5, v36
	v_pk_mul_f32 v[42:43], v[58:59], v[42:43] op_sel_hi:[0,1]
	v_or3_b32 v1, v1, v40, v37
	v_bfe_u32 v37, v43, 16, 1
	v_bfe_u32 v41, v42, 16, 1
	v_pk_mul_f32 v[50:51], v[58:59], v[52:53] op_sel_hi:[0,1]
	v_add3_u32 v41, v42, v41, s8
	v_add3_u32 v37, v43, v37, s8
	v_perm_b32 v42, v37, v41, s9
	v_bfe_u32 v37, v51, 16, 1
	v_bfe_u32 v41, v50, 16, 1
	v_add3_u32 v41, v50, v41, s8
	v_add3_u32 v37, v51, v37, s8
	v_pk_mul_f32 v[46:47], v[58:59], v[46:47] op_sel_hi:[0,1]
	v_perm_b32 v43, v37, v41, s9
	v_bfe_u32 v37, v47, 16, 1
	v_bfe_u32 v41, v46, 16, 1
	ds_write2st64_b64 v1, v[60:61], v[42:43] offset1:1
	v_pk_mul_f32 v[42:43], v[58:59], v[48:49] op_sel_hi:[0,1]
	v_add3_u32 v41, v46, v41, s8
	v_add3_u32 v37, v47, v37, s8
	v_perm_b32 v46, v37, v41, s9
	v_bfe_u32 v37, v43, 16, 1
	v_bfe_u32 v41, v42, 16, 1
	v_add3_u32 v41, v42, v41, s8
	v_add3_u32 v37, v43, v37, s8
	v_pk_mul_f32 v[42:43], v[58:59], v[44:45] op_sel_hi:[0,1]
	v_perm_b32 v47, v37, v41, s9
	v_bfe_u32 v37, v43, 16, 1
	v_bfe_u32 v41, v42, 16, 1
	v_pk_mul_f32 v[38:39], v[58:59], v[38:39] op_sel_hi:[0,1]
	v_add3_u32 v41, v42, v41, s8
	v_add3_u32 v37, v43, v37, s8
	v_perm_b32 v42, v37, v41, s9
	v_bfe_u32 v37, v39, 16, 1
	v_bfe_u32 v41, v38, 16, 1
	v_add3_u32 v38, v38, v41, s8
	v_add3_u32 v37, v39, v37, s8
	v_perm_b32 v43, v37, v38, s9
	v_cmp_gt_u32_e32 vcc, 15, v0
	ds_write2st64_b64 v1, v[46:47], v[42:43] offset0:2 offset1:3
	s_and_saveexec_b64 s[4:5], vcc
	s_cbranch_execz .LBB570_17
; %bb.16:
	s_mov_b32 s43, 0
	v_mov_b32_e32 v37, 0
	v_lshl_add_u64 v[38:39], s[42:43], 0, v[36:37]
	v_mov_b32_e32 v36, s7
	v_mad_u64_u32 v[38:39], s[10:11], s2, v36, v[38:39]
	v_mov_b32_e32 v36, s28
	s_load_dwordx4 s[12:15], s[0:1], 0x58
	s_mul_i32 s3, s3, s7
	v_mad_u64_u32 v[36:37], s[10:11], v38, s6, v[36:37]
	v_add_u32_e32 v39, s3, v39
	v_mov_b32_e32 v38, v37
	v_mad_u64_u32 v[38:39], s[10:11], v39, s6, v[38:39]
	v_mov_b32_e32 v37, v38
	v_lshlrev_b64 v[36:37], 2, v[36:37]
	s_waitcnt lgkmcnt(0)
	v_lshl_add_u64 v[38:39], s[14:15], 0, v[36:37]
	v_lshl_add_u64 v[36:37], s[12:13], 0, v[36:37]
	global_store_dword v[38:39], v55, off
	global_store_dword v[36:37], v56, off
.LBB570_17:
	s_or_b64 exec, exec, s[4:5]
	v_lshl_or_b32 v48, v54, 9, v40
	s_waitcnt lgkmcnt(0)
	s_barrier
	ds_read_b128 v[36:39], v48
	ds_read_b128 v[40:43], v48 offset:16
	s_waitcnt vmcnt(7) lgkmcnt(1)
	v_mfma_f32_16x16x16_bf16 v[44:47], v[6:7], v[36:37], 0
	v_cmp_gt_u32_e32 vcc, 64, v0
	s_mov_b32 s3, 0
	s_and_b64 s[4:5], vcc, s[30:31]
	v_mfma_f32_16x16x16_bf16 v[6:9], v[8:9], v[38:39], v[44:47]
	s_waitcnt vmcnt(6) lgkmcnt(0)
	v_mfma_f32_16x16x16_bf16 v[6:9], v[2:3], v[40:41], v[6:9]
	v_mfma_f32_16x16x16_bf16 v[2:5], v[4:5], v[42:43], v[6:9]
	s_nop 5
	ds_read_b128 v[6:9], v48 offset:2048
	ds_read_b128 v[36:39], v48 offset:2064
	s_waitcnt vmcnt(5) lgkmcnt(1)
	v_mfma_f32_16x16x16_bf16 v[2:5], v[30:31], v[6:7], v[2:5]
	v_mfma_f32_16x16x16_bf16 v[2:5], v[32:33], v[8:9], v[2:5]
	s_waitcnt vmcnt(4) lgkmcnt(0)
	v_mfma_f32_16x16x16_bf16 v[2:5], v[26:27], v[36:37], v[2:5]
	v_mfma_f32_16x16x16_bf16 v[2:5], v[28:29], v[38:39], v[2:5]
	ds_read_b128 v[6:9], v48 offset:4096
	ds_read_b128 v[26:29], v48 offset:4112
	s_waitcnt vmcnt(3) lgkmcnt(1)
	v_mfma_f32_16x16x16_bf16 v[2:5], v[22:23], v[6:7], v[2:5]
	v_mfma_f32_16x16x16_bf16 v[2:5], v[24:25], v[8:9], v[2:5]
	s_waitcnt vmcnt(2) lgkmcnt(0)
	v_mfma_f32_16x16x16_bf16 v[2:5], v[18:19], v[26:27], v[2:5]
	v_mfma_f32_16x16x16_bf16 v[2:5], v[20:21], v[28:29], v[2:5]
	ds_read_b128 v[6:9], v48 offset:6144
	ds_read_b128 v[18:21], v48 offset:6160
	s_waitcnt lgkmcnt(0)
	s_barrier
	s_waitcnt vmcnt(1)
	v_mfma_f32_16x16x16_bf16 v[2:5], v[14:15], v[6:7], v[2:5]
	v_mfma_f32_16x16x16_bf16 v[2:5], v[16:17], v[8:9], v[2:5]
	s_waitcnt vmcnt(0)
	v_mfma_f32_16x16x16_bf16 v[2:5], v[10:11], v[18:19], v[2:5]
	v_mfma_f32_16x16x16_bf16 v[2:5], v[12:13], v[20:21], v[2:5]
	s_nop 6
	v_bfe_u32 v6, v3, 16, 1
	v_bfe_u32 v7, v2, 16, 1
	;; [unrolled: 1-line block ×4, first 2 shown]
	v_add3_u32 v2, v2, v7, s8
	v_add3_u32 v3, v3, v6, s8
	;; [unrolled: 1-line block ×4, first 2 shown]
	v_perm_b32 v2, v3, v2, s9
	v_perm_b32 v3, v5, v4, s9
	ds_write_b64 v1, v[2:3]
	s_waitcnt lgkmcnt(0)
	s_barrier
	s_and_saveexec_b64 s[8:9], s[4:5]
	s_cbranch_execz .LBB570_20
; %bb.18:
	s_load_dwordx2 s[4:5], s[0:1], 0x68
	s_lshl_b32 s0, s6, 6
	s_mul_i32 s1, s7, s2
	s_mul_hi_u32 s7, s1, s0
	s_mul_i32 s6, s1, s0
	v_lshlrev_b32_e32 v1, 10, v0
	v_lshlrev_b32_e32 v0, 4, v0
	s_lshl_b64 s[6:7], s[6:7], 1
	v_and_b32_e32 v1, 0x1800, v1
	v_lshlrev_b32_e32 v2, 5, v54
	v_and_b32_e32 v0, 16, v0
	s_waitcnt lgkmcnt(0)
	s_add_u32 s1, s4, s6
	v_or3_b32 v2, v1, v2, v0
	s_addc_u32 s4, s5, s7
	s_lshl_b32 s2, s28, 6
	ds_read_b128 v[4:7], v2 offset:256
	s_lshl_b64 s[2:3], s[2:3], 1
	ds_read_b128 v[8:11], v2 offset:128
	ds_read_b128 v[12:15], v2
	s_add_u32 s2, s1, s2
	s_addc_u32 s3, s4, s3
	v_add_u32_e32 v3, s42, v54
	v_lshl_add_u64 v[0:1], v[34:35], 1, s[2:3]
	v_mad_u64_u32 v[16:17], s[2:3], v3, s0, 0
	v_lshl_add_u64 v[16:17], v[16:17], 1, v[0:1]
	s_waitcnt lgkmcnt(0)
	global_store_dwordx4 v[16:17], v[12:15], off
	v_cmp_ne_u32_e32 vcc, 3, v54
	s_nop 0
	v_add_u32_e32 v12, 4, v3
	v_mad_u64_u32 v[12:13], s[2:3], v12, s0, 0
	v_lshl_add_u64 v[12:13], v[12:13], 1, v[0:1]
	v_add_u32_e32 v3, 8, v3
	global_store_dwordx4 v[12:13], v[8:11], off
	s_nop 1
	v_mad_u64_u32 v[8:9], s[2:3], v3, s0, 0
	v_lshl_add_u64 v[8:9], v[8:9], 1, v[0:1]
	global_store_dwordx4 v[8:9], v[4:7], off
	s_and_b64 exec, exec, vcc
	s_cbranch_execz .LBB570_20
; %bb.19:
	ds_read_b128 v[2:5], v2 offset:384
	v_add3_u32 v6, s42, v54, 12
	v_mad_u64_u32 v[6:7], s[0:1], v6, s0, 0
	v_lshl_add_u64 v[0:1], v[6:7], 1, v[0:1]
	s_waitcnt lgkmcnt(0)
	global_store_dwordx4 v[0:1], v[2:5], off
.LBB570_20:
	s_endpgm
	.section	.rodata,"a",@progbits
	.p2align	6, 0x0
	.amdhsa_kernel _Z39paged_attention_ll4mi_QKV_mfma16_kernelI14__hip_bfloat16S0_LN4vllm18Fp8KVCacheDataTypeE0ES0_Li32ELi64ELi256ELb0ELi15EEvPKT_PKT0_S8_ifPKiSA_SA_iPKfiiiPfSD_PS3_PT2_iSC_SC_
		.amdhsa_group_segment_fixed_size 8192
		.amdhsa_private_segment_fixed_size 0
		.amdhsa_kernarg_size 400
		.amdhsa_user_sgpr_count 2
		.amdhsa_user_sgpr_dispatch_ptr 0
		.amdhsa_user_sgpr_queue_ptr 0
		.amdhsa_user_sgpr_kernarg_segment_ptr 1
		.amdhsa_user_sgpr_dispatch_id 0
		.amdhsa_user_sgpr_kernarg_preload_length 0
		.amdhsa_user_sgpr_kernarg_preload_offset 0
		.amdhsa_user_sgpr_private_segment_size 0
		.amdhsa_uses_dynamic_stack 0
		.amdhsa_enable_private_segment 0
		.amdhsa_system_sgpr_workgroup_id_x 1
		.amdhsa_system_sgpr_workgroup_id_y 1
		.amdhsa_system_sgpr_workgroup_id_z 1
		.amdhsa_system_sgpr_workgroup_info 0
		.amdhsa_system_vgpr_workitem_id 0
		.amdhsa_next_free_vgpr 67
		.amdhsa_next_free_sgpr 48
		.amdhsa_accum_offset 68
		.amdhsa_reserve_vcc 1
		.amdhsa_float_round_mode_32 0
		.amdhsa_float_round_mode_16_64 0
		.amdhsa_float_denorm_mode_32 3
		.amdhsa_float_denorm_mode_16_64 3
		.amdhsa_dx10_clamp 1
		.amdhsa_ieee_mode 1
		.amdhsa_fp16_overflow 0
		.amdhsa_tg_split 0
		.amdhsa_exception_fp_ieee_invalid_op 0
		.amdhsa_exception_fp_denorm_src 0
		.amdhsa_exception_fp_ieee_div_zero 0
		.amdhsa_exception_fp_ieee_overflow 0
		.amdhsa_exception_fp_ieee_underflow 0
		.amdhsa_exception_fp_ieee_inexact 0
		.amdhsa_exception_int_div_zero 0
	.end_amdhsa_kernel
	.section	.text._Z39paged_attention_ll4mi_QKV_mfma16_kernelI14__hip_bfloat16S0_LN4vllm18Fp8KVCacheDataTypeE0ES0_Li32ELi64ELi256ELb0ELi15EEvPKT_PKT0_S8_ifPKiSA_SA_iPKfiiiPfSD_PS3_PT2_iSC_SC_,"axG",@progbits,_Z39paged_attention_ll4mi_QKV_mfma16_kernelI14__hip_bfloat16S0_LN4vllm18Fp8KVCacheDataTypeE0ES0_Li32ELi64ELi256ELb0ELi15EEvPKT_PKT0_S8_ifPKiSA_SA_iPKfiiiPfSD_PS3_PT2_iSC_SC_,comdat
.Lfunc_end570:
	.size	_Z39paged_attention_ll4mi_QKV_mfma16_kernelI14__hip_bfloat16S0_LN4vllm18Fp8KVCacheDataTypeE0ES0_Li32ELi64ELi256ELb0ELi15EEvPKT_PKT0_S8_ifPKiSA_SA_iPKfiiiPfSD_PS3_PT2_iSC_SC_, .Lfunc_end570-_Z39paged_attention_ll4mi_QKV_mfma16_kernelI14__hip_bfloat16S0_LN4vllm18Fp8KVCacheDataTypeE0ES0_Li32ELi64ELi256ELb0ELi15EEvPKT_PKT0_S8_ifPKiSA_SA_iPKfiiiPfSD_PS3_PT2_iSC_SC_
                                        ; -- End function
	.section	.AMDGPU.csdata,"",@progbits
; Kernel info:
; codeLenInByte = 4200
; NumSgprs: 54
; NumVgprs: 67
; NumAgprs: 0
; TotalNumVgprs: 67
; ScratchSize: 0
; MemoryBound: 0
; FloatMode: 240
; IeeeMode: 1
; LDSByteSize: 8192 bytes/workgroup (compile time only)
; SGPRBlocks: 6
; VGPRBlocks: 8
; NumSGPRsForWavesPerEU: 54
; NumVGPRsForWavesPerEU: 67
; AccumOffset: 68
; Occupancy: 7
; WaveLimiterHint : 1
; COMPUTE_PGM_RSRC2:SCRATCH_EN: 0
; COMPUTE_PGM_RSRC2:USER_SGPR: 2
; COMPUTE_PGM_RSRC2:TRAP_HANDLER: 0
; COMPUTE_PGM_RSRC2:TGID_X_EN: 1
; COMPUTE_PGM_RSRC2:TGID_Y_EN: 1
; COMPUTE_PGM_RSRC2:TGID_Z_EN: 1
; COMPUTE_PGM_RSRC2:TIDIG_COMP_CNT: 0
; COMPUTE_PGM_RSRC3_GFX90A:ACCUM_OFFSET: 16
; COMPUTE_PGM_RSRC3_GFX90A:TG_SPLIT: 0
	.section	.text._Z39paged_attention_ll4mi_QKV_mfma16_kernelI14__hip_bfloat16S0_LN4vllm18Fp8KVCacheDataTypeE0ES0_Li32ELi64ELi256ELb0ELi16EEvPKT_PKT0_S8_ifPKiSA_SA_iPKfiiiPfSD_PS3_PT2_iSC_SC_,"axG",@progbits,_Z39paged_attention_ll4mi_QKV_mfma16_kernelI14__hip_bfloat16S0_LN4vllm18Fp8KVCacheDataTypeE0ES0_Li32ELi64ELi256ELb0ELi16EEvPKT_PKT0_S8_ifPKiSA_SA_iPKfiiiPfSD_PS3_PT2_iSC_SC_,comdat
	.protected	_Z39paged_attention_ll4mi_QKV_mfma16_kernelI14__hip_bfloat16S0_LN4vllm18Fp8KVCacheDataTypeE0ES0_Li32ELi64ELi256ELb0ELi16EEvPKT_PKT0_S8_ifPKiSA_SA_iPKfiiiPfSD_PS3_PT2_iSC_SC_ ; -- Begin function _Z39paged_attention_ll4mi_QKV_mfma16_kernelI14__hip_bfloat16S0_LN4vllm18Fp8KVCacheDataTypeE0ES0_Li32ELi64ELi256ELb0ELi16EEvPKT_PKT0_S8_ifPKiSA_SA_iPKfiiiPfSD_PS3_PT2_iSC_SC_
	.globl	_Z39paged_attention_ll4mi_QKV_mfma16_kernelI14__hip_bfloat16S0_LN4vllm18Fp8KVCacheDataTypeE0ES0_Li32ELi64ELi256ELb0ELi16EEvPKT_PKT0_S8_ifPKiSA_SA_iPKfiiiPfSD_PS3_PT2_iSC_SC_
	.p2align	8
	.type	_Z39paged_attention_ll4mi_QKV_mfma16_kernelI14__hip_bfloat16S0_LN4vllm18Fp8KVCacheDataTypeE0ES0_Li32ELi64ELi256ELb0ELi16EEvPKT_PKT0_S8_ifPKiSA_SA_iPKfiiiPfSD_PS3_PT2_iSC_SC_,@function
_Z39paged_attention_ll4mi_QKV_mfma16_kernelI14__hip_bfloat16S0_LN4vllm18Fp8KVCacheDataTypeE0ES0_Li32ELi64ELi256ELb0ELi16EEvPKT_PKT0_S8_ifPKiSA_SA_iPKfiiiPfSD_PS3_PT2_iSC_SC_: ; @_Z39paged_attention_ll4mi_QKV_mfma16_kernelI14__hip_bfloat16S0_LN4vllm18Fp8KVCacheDataTypeE0ES0_Li32ELi64ELi256ELb0ELi16EEvPKT_PKT0_S8_ifPKiSA_SA_iPKfiiiPfSD_PS3_PT2_iSC_SC_
; %bb.0:
	s_load_dwordx2 s[6:7], s[0:1], 0x30
	s_mov_b32 s28, s3
	s_mov_b64 s[10:11], 0
	s_waitcnt lgkmcnt(0)
	s_cmp_lg_u64 s[6:7], 0
	s_cselect_b64 s[8:9], -1, 0
	s_and_b64 vcc, exec, s[8:9]
	s_cbranch_vccz .LBB571_7
; %bb.1:
	s_add_i32 s12, s2, 1
	s_mov_b32 s13, 0
	s_lshl_b64 s[14:15], s[12:13], 2
	s_add_u32 s14, s6, s14
	s_mov_b32 s3, s13
	s_addc_u32 s15, s7, s15
	s_lshl_b64 s[12:13], s[2:3], 2
	s_add_u32 s12, s6, s12
	s_addc_u32 s13, s7, s13
	s_load_dword s5, s[14:15], 0x0
	s_load_dword s16, s[12:13], 0x0
	s_waitcnt lgkmcnt(0)
	s_sub_i32 s5, s5, s16
	s_cmp_eq_u32 s5, 1
	s_cselect_b64 s[12:13], -1, 0
	s_andn2_b64 vcc, exec, s[10:11]
	s_cbranch_vccnz .LBB571_3
.LBB571_2:
	s_mov_b32 s3, 0
	s_mov_b64 s[12:13], -1
.LBB571_3:
	s_andn2_b64 vcc, exec, s[12:13]
	s_cbranch_vccnz .LBB571_19
; %bb.4:
	s_load_dwordx2 s[12:13], s[0:1], 0x28
	s_lshl_b64 s[10:11], s[2:3], 2
	s_waitcnt lgkmcnt(0)
	s_add_u32 s12, s12, s10
	s_addc_u32 s13, s13, s11
	s_load_dword s40, s[12:13], 0x0
	s_lshl_b32 s14, s28, 8
	s_waitcnt lgkmcnt(0)
	s_cmp_ge_i32 s14, s40
	s_cbranch_scc1 .LBB571_19
; %bb.5:
	s_load_dwordx2 s[12:13], s[0:1], 0x20
	s_load_dword s5, s[0:1], 0x38
	s_add_i32 s15, s40, 31
	s_ashr_i32 s16, s15, 31
	v_and_b32_e32 v1, 0xcf, v0
	s_lshr_b32 s16, s16, 27
	v_add_u32_e32 v1, s14, v1
	s_add_i32 s15, s15, s16
	v_ashrrev_i32_e32 v2, 31, v1
	s_ashr_i32 s15, s15, 5
	v_lshrrev_b32_e32 v10, 27, v2
	s_add_i32 s15, s15, -1
	s_waitcnt lgkmcnt(0)
	s_mul_i32 s16, s2, s5
	s_mov_b32 s17, 0
	v_add_u32_e32 v2, v1, v10
	s_lshl_b64 s[16:17], s[16:17], 2
	v_ashrrev_i32_e32 v2, 5, v2
	v_mov_b32_e32 v11, s15
	v_cmp_gt_i32_e32 vcc, s40, v1
	s_add_u32 s12, s12, s16
	s_addc_u32 s13, s13, s17
	v_cndmask_b32_e32 v2, v11, v2, vcc
	v_ashrrev_i32_e32 v3, 31, v2
	v_lshl_add_u64 v[4:5], v[2:3], 2, s[12:13]
	v_or_b32_e32 v2, 16, v1
	v_add_u32_e32 v3, v2, v10
	v_ashrrev_i32_e32 v3, 5, v3
	v_cmp_gt_i32_e32 vcc, s40, v2
	s_nop 1
	v_cndmask_b32_e32 v2, v11, v3, vcc
	v_ashrrev_i32_e32 v3, 31, v2
	v_lshl_add_u64 v[6:7], v[2:3], 2, s[12:13]
	v_or_b32_e32 v2, 32, v1
	v_add_u32_e32 v3, v2, v10
	v_ashrrev_i32_e32 v3, 5, v3
	v_cmp_gt_i32_e32 vcc, s40, v2
	v_or_b32_e32 v1, 48, v1
	s_nop 0
	v_cndmask_b32_e32 v2, v11, v3, vcc
	v_ashrrev_i32_e32 v3, 31, v2
	v_lshl_add_u64 v[8:9], v[2:3], 2, s[12:13]
	v_add_u32_e32 v2, v1, v10
	v_ashrrev_i32_e32 v2, 5, v2
	v_cmp_gt_i32_e32 vcc, s40, v1
	s_nop 1
	v_cndmask_b32_e32 v2, v11, v2, vcc
	v_ashrrev_i32_e32 v3, 31, v2
	v_lshl_add_u64 v[12:13], v[2:3], 2, s[12:13]
	global_load_dword v3, v[4:5], off
	global_load_dword v2, v[6:7], off
	;; [unrolled: 1-line block ×4, first 2 shown]
	s_andn2_b64 vcc, exec, s[8:9]
	s_cbranch_vccnz .LBB571_8
; %bb.6:
	s_add_u32 s6, s6, s10
	s_addc_u32 s7, s7, s11
	s_load_dword s5, s[6:7], 0x0
	s_branch .LBB571_9
.LBB571_7:
	s_mov_b64 s[12:13], 0
	s_branch .LBB571_2
.LBB571_8:
	s_mov_b32 s5, s2
.LBB571_9:
	s_load_dwordx4 s[8:11], s[0:1], 0x8
	s_load_dwordx4 s[44:47], s[0:1], 0x48
	v_and_b32_e32 v53, 15, v0
	s_movk_i32 s6, 0xff
	v_cmp_lt_u32_e32 vcc, s6, v0
	v_cmp_lt_u32_e64 s[6:7], 7, v53
	v_lshlrev_b32_e32 v34, 3, v53
	v_cmp_gt_u32_e64 s[30:31], 8, v53
	s_or_b64 s[6:7], vcc, s[6:7]
	s_and_saveexec_b64 s[16:17], s[6:7]
	s_xor_b64 s[6:7], exec, s[16:17]
; %bb.10:
	v_mov_b32_e32 v35, 0
; %bb.11:
	s_or_saveexec_b64 s[6:7], s[6:7]
	v_lshrrev_b32_e32 v54, 6, v0
	v_and_b32_e32 v55, 63, v0
	s_lshl_b32 s29, s4, 4
	v_bfe_u32 v1, v0, 4, 2
	s_xor_b64 exec, exec, s[6:7]
	s_cbranch_execz .LBB571_13
; %bb.12:
	s_load_dwordx2 s[16:17], s[0:1], 0x0
	s_waitcnt lgkmcnt(0)
	s_ashr_i32 s18, s44, 31
	s_mul_hi_u32 s19, s5, s44
	s_mul_i32 s18, s5, s18
	s_add_i32 s19, s19, s18
	s_mul_i32 s18, s5, s44
	v_lshl_or_b32 v8, v54, 2, v1
	s_lshl_b64 s[18:19], s[18:19], 1
	s_add_u32 s16, s16, s18
	v_add_lshl_u32 v4, v8, s29, 6
	s_addc_u32 s17, s17, s19
	v_ashrrev_i32_e32 v5, 31, v4
	v_mov_b32_e32 v35, 0
	v_lshl_add_u64 v[4:5], v[4:5], 1, s[16:17]
	v_lshlrev_b32_e32 v6, 1, v34
	v_mov_b32_e32 v7, v35
	v_lshl_add_u64 v[4:5], v[4:5], 0, v[6:7]
	global_load_dwordx4 v[4:7], v[4:5], off
	v_and_b32_e32 v9, 3, v0
	v_lshlrev_b32_e32 v11, 9, v53
	v_lshlrev_b32_e32 v8, 5, v8
	;; [unrolled: 1-line block ×3, first 2 shown]
	v_and_b32_e32 v11, 0x1800, v11
	v_or3_b32 v8, v11, v9, v8
	s_waitcnt vmcnt(0)
	ds_write_b128 v8, v[4:7]
.LBB571_13:
	s_or_b64 exec, exec, s[6:7]
	s_waitcnt lgkmcnt(0)
	s_mul_i32 s4, s4, s46
	s_mov_b32 s5, 0
	s_lshl_b64 s[4:5], s[4:5], 1
	s_add_u32 s8, s8, s4
	s_addc_u32 s9, s9, s5
	s_waitcnt vmcnt(3)
	v_mad_i64_i32 v[4:5], s[16:17], v3, s45, 0
	v_lshl_add_u64 v[4:5], v[4:5], 1, s[8:9]
	v_lshlrev_b64 v[12:13], 1, v[34:35]
	v_lshlrev_b32_e32 v36, 9, v1
	v_lshl_add_u64 v[4:5], v[4:5], 0, v[12:13]
	v_mov_b32_e32 v37, 0
	v_lshl_add_u64 v[20:21], v[4:5], 0, v[36:37]
	s_waitcnt vmcnt(2)
	v_mad_i64_i32 v[2:3], s[16:17], v2, s45, 0
	v_mov_b32_e32 v4, 0x100
	v_lshl_add_u64 v[2:3], v[2:3], 1, s[8:9]
	v_lshl_or_b32 v38, v53, 4, v4
	v_mov_b32_e32 v39, v37
	s_load_dword s33, s[0:1], 0x98
	s_load_dword s6, s[0:1], 0x1c
	s_waitcnt lgkmcnt(0)
	s_barrier
	v_lshl_add_u64 v[2:3], v[2:3], 0, v[38:39]
	global_load_dwordx4 v[6:9], v[20:21], off
	v_lshl_add_u64 v[22:23], v[2:3], 0, v[36:37]
	global_load_dwordx4 v[2:5], v[22:23], off
	s_waitcnt vmcnt(3)
	v_mad_i64_i32 v[10:11], s[16:17], v10, s45, 0
	v_lshl_add_u64 v[10:11], v[10:11], 1, s[8:9]
	v_lshl_add_u64 v[10:11], v[10:11], 0, v[12:13]
	;; [unrolled: 1-line block ×3, first 2 shown]
	global_load_dwordx4 v[14:17], v[24:25], off
	global_load_dwordx4 v[10:13], v[20:21], off offset:2048
	global_load_dwordx4 v[26:29], v[22:23], off offset:2048
	;; [unrolled: 1-line block ×3, first 2 shown]
	s_waitcnt vmcnt(6)
	v_mad_i64_i32 v[40:41], s[16:17], v18, s45, 0
	v_lshl_add_u64 v[40:41], v[40:41], 1, s[8:9]
	v_lshl_add_u64 v[38:39], v[40:41], 0, v[38:39]
	v_lshl_or_b32 v52, v53, 5, v36
	v_lshl_add_u64 v[38:39], v[38:39], 0, v[36:37]
	ds_read_b128 v[22:25], v52
	ds_read_b128 v[18:21], v52 offset:2048
	global_load_dwordx4 v[44:47], v[38:39], off
	global_load_dwordx4 v[60:63], v[38:39], off offset:2048
	s_ashr_i32 s7, s14, 31
	v_and_or_b32 v64, v0, 48, s14
	s_lshr_b32 s7, s7, 27
	v_add_u32_e32 v40, s7, v64
	v_mov_b32_e32 v65, s15
	v_or_b32_e32 v48, 64, v64
	v_ashrrev_i32_e32 v36, 5, v40
	v_cmp_gt_i32_e32 vcc, s40, v64
	v_add_u32_e32 v41, s7, v48
	v_ashrrev_i32_e32 v49, 5, v41
	v_cndmask_b32_e32 v40, v65, v36, vcc
	v_ashrrev_i32_e32 v41, 31, v40
	v_lshl_add_u64 v[40:41], v[40:41], 2, s[12:13]
	v_cmp_gt_i32_e32 vcc, s40, v48
	global_load_dword v66, v[40:41], off
	v_or_b32_e32 v39, 0x80, v64
	v_and_b32_e32 v36, 16, v0
	s_add_u32 s4, s10, s4
	v_lshlrev_b32_e32 v38, 6, v53
	s_addc_u32 s5, s11, s5
	v_lshlrev_b32_e32 v36, 1, v36
	s_mov_b32 s42, 0xff7fffff
	s_waitcnt vmcnt(6) lgkmcnt(1)
	v_mfma_f32_16x16x16_bf16 v[56:59], v[14:15], v[22:23], 0
	v_mfma_f32_16x16x16_bf16 v[40:43], v[6:7], v[22:23], 0
	v_cndmask_b32_e32 v6, v65, v49, vcc
	v_ashrrev_i32_e32 v7, 31, v6
	v_cmp_gt_i32_e32 vcc, s40, v39
	v_mfma_f32_16x16x16_bf16 v[48:51], v[2:3], v[22:23], 0
	v_lshl_add_u64 v[2:3], v[6:7], 2, s[12:13]
	global_load_dword v67, v[2:3], off
	v_mfma_f32_16x16x16_bf16 v[6:9], v[8:9], v[24:25], v[40:43]
	v_mfma_f32_16x16x16_bf16 v[2:5], v[4:5], v[24:25], v[48:51]
	s_nop 1
	v_or_b32_e32 v40, 0xc0, v64
	v_add_u32_e32 v41, s7, v39
	v_add_u32_e32 v42, s7, v40
	s_waitcnt vmcnt(6) lgkmcnt(0)
	v_mfma_f32_16x16x16_bf16 v[6:9], v[10:11], v[18:19], v[6:9]
	v_ashrrev_i32_e32 v41, 5, v41
	v_ashrrev_i32_e32 v43, 5, v42
	v_cndmask_b32_e32 v42, v65, v41, vcc
	v_cmp_gt_i32_e32 vcc, s40, v40
	s_waitcnt vmcnt(5)
	v_mfma_f32_16x16x16_bf16 v[2:5], v[26:27], v[18:19], v[2:5]
	v_lshl_add_u64 v[10:11], s[4:5], 0, v[36:37]
	v_cndmask_b32_e32 v26, v65, v43, vcc
	v_ashrrev_i32_e32 v43, 31, v42
	v_lshl_or_b32 v36, v54, 10, v38
	v_ashrrev_i32_e32 v27, 31, v26
	v_mfma_f32_16x16x16_bf16 v[38:41], v[12:13], v[20:21], v[6:9]
	v_lshl_add_u64 v[10:11], v[10:11], 0, v[36:37]
	s_waitcnt vmcnt(0)
	v_mad_i64_i32 v[12:13], s[4:5], v67, s45, 0
	v_lshl_add_u64 v[6:7], v[42:43], 2, s[12:13]
	v_mfma_f32_16x16x16_bf16 v[14:17], v[16:17], v[24:25], v[56:59]
	v_lshl_add_u64 v[8:9], v[26:27], 2, s[12:13]
	s_nop 1
	global_load_dword v58, v[6:7], off
	global_load_dword v59, v[8:9], off
	v_lshl_add_u64 v[56:57], v[12:13], 1, v[10:11]
	v_mfma_f32_16x16x16_bf16 v[14:17], v[30:31], v[18:19], v[14:17]
	v_pk_mul_f32 v[12:13], s[6:7], v[38:39] op_sel_hi:[0,1]
	v_pk_mul_f32 v[48:49], s[6:7], v[40:41] op_sel_hi:[0,1]
	v_mfma_f32_16x16x16_bf16 v[14:17], v[32:33], v[20:21], v[14:17]
	v_mfma_f32_16x16x16_bf16 v[30:33], v[44:45], v[22:23], 0
	;; [unrolled: 1-line block ×3, first 2 shown]
	s_nop 4
	v_pk_mul_f32 v[46:47], s[6:7], v[16:17] op_sel_hi:[0,1]
	v_pk_mul_f32 v[44:45], s[6:7], v[14:15] op_sel_hi:[0,1]
	v_mfma_f32_16x16x16_bf16 v[22:25], v[60:61], v[18:19], v[22:25]
	v_mfma_f32_16x16x16_bf16 v[14:17], v[62:63], v[20:21], v[22:25]
	;; [unrolled: 1-line block ×3, first 2 shown]
	s_nop 5
	v_pk_mul_f32 v[42:43], s[6:7], v[14:15] op_sel_hi:[0,1]
	v_and_b32_e32 v14, 0xc0, v0
	v_add_u32_e32 v14, s14, v14
	v_lshl_or_b32 v14, v1, 2, v14
	v_mad_i64_i32 v[2:3], s[4:5], v66, s45, 0
	v_pk_mul_f32 v[36:37], s[6:7], v[16:17] op_sel_hi:[0,1]
	v_or_b32_e32 v17, 1, v14
	v_mov_b32_e32 v15, 0xff7fffff
	v_cmp_gt_i32_e64 s[4:5], s40, v14
	v_cmp_gt_i32_e64 s[34:35], s40, v17
	v_or_b32_e32 v18, 3, v14
	v_cndmask_b32_e64 v16, v15, v12, s[4:5]
	v_cndmask_b32_e64 v17, v15, v13, s[34:35]
	v_max3_f32 v16, v16, s42, v17
	v_or_b32_e32 v17, 2, v14
	v_cmp_gt_i32_e64 s[36:37], s40, v17
	v_cmp_gt_i32_e64 s[38:39], s40, v18
	v_pk_mul_f32 v[40:41], s[6:7], v[26:27] op_sel_hi:[0,1]
	v_cndmask_b32_e64 v17, v15, v48, s[36:37]
	v_cndmask_b32_e64 v18, v15, v49, s[38:39]
	v_max3_f32 v16, v16, v17, v18
	v_or_b32_e32 v17, 16, v14
	v_or_b32_e32 v18, 17, v14
	v_cmp_gt_i32_e64 s[24:25], s40, v17
	v_cmp_gt_i32_e64 s[26:27], s40, v18
	v_pk_mul_f32 v[50:51], s[6:7], v[28:29] op_sel_hi:[0,1]
	v_cndmask_b32_e64 v17, v15, v40, s[24:25]
	v_cndmask_b32_e64 v18, v15, v41, s[26:27]
	v_max3_f32 v16, v16, v17, v18
	v_or_b32_e32 v17, 18, v14
	v_or_b32_e32 v18, 19, v14
	v_cmp_gt_i32_e64 s[20:21], s40, v17
	v_cmp_gt_i32_e64 s[22:23], s40, v18
	v_lshl_add_u64 v[2:3], v[2:3], 1, v[10:11]
	v_cndmask_b32_e64 v17, v15, v50, s[20:21]
	v_cndmask_b32_e64 v18, v15, v51, s[22:23]
	v_max3_f32 v16, v16, v17, v18
	v_or_b32_e32 v17, 32, v14
	v_or_b32_e32 v18, 33, v14
	v_cmp_gt_i32_e64 s[16:17], s40, v17
	v_cmp_gt_i32_e64 s[18:19], s40, v18
	global_load_dwordx4 v[6:9], v[2:3], off
	s_nop 0
	global_load_dwordx4 v[2:5], v[2:3], off offset:16
	v_cndmask_b32_e64 v17, v15, v44, s[16:17]
	v_cndmask_b32_e64 v18, v15, v45, s[18:19]
	v_max3_f32 v16, v16, v17, v18
	v_or_b32_e32 v17, 34, v14
	v_or_b32_e32 v18, 35, v14
	v_cmp_gt_i32_e64 s[12:13], s40, v17
	v_cmp_gt_i32_e64 s[14:15], s40, v18
	global_load_dwordx4 v[30:33], v[56:57], off
	global_load_dwordx4 v[26:29], v[56:57], off offset:16
	v_cndmask_b32_e64 v17, v15, v46, s[12:13]
	v_cndmask_b32_e64 v18, v15, v47, s[14:15]
	v_max3_f32 v16, v16, v17, v18
	v_or_b32_e32 v17, 48, v14
	v_or_b32_e32 v18, 49, v14
	v_cmp_gt_i32_e64 s[8:9], s40, v17
	v_cmp_gt_i32_e64 s[10:11], s40, v18
	s_nop 0
	v_cndmask_b32_e64 v17, v15, v42, s[8:9]
	v_cndmask_b32_e64 v18, v15, v43, s[10:11]
	v_max3_f32 v16, v16, v17, v18
	v_or_b32_e32 v17, 50, v14
	v_or_b32_e32 v14, 51, v14
	v_cmp_gt_i32_e32 vcc, s40, v17
	v_cmp_gt_i32_e64 s[6:7], s40, v14
	s_nop 0
	v_cndmask_b32_e32 v17, v15, v36, vcc
	v_cndmask_b32_e64 v14, v15, v37, s[6:7]
	v_max3_f32 v16, v16, v17, v14
	v_mbcnt_lo_u32_b32 v14, -1, 0
	v_mbcnt_hi_u32_b32 v17, -1, v14
	v_and_b32_e32 v14, 64, v17
	v_add_u32_e32 v18, 64, v14
	v_xor_b32_e32 v14, 32, v17
	v_cmp_lt_i32_e64 s[40:41], v14, v18
	s_nop 1
	v_cndmask_b32_e64 v14, v17, v14, s[40:41]
	v_lshlrev_b32_e32 v60, 2, v14
	ds_bpermute_b32 v19, v60, v16
	s_waitcnt vmcnt(5)
	v_mad_i64_i32 v[14:15], s[40:41], v58, s45, 0
	v_lshl_add_u64 v[14:15], v[14:15], 1, v[10:11]
	s_waitcnt lgkmcnt(0)
	v_max_f32_e32 v19, v19, v19
	v_max_f32_e32 v16, v16, v19
	v_xor_b32_e32 v19, 16, v17
	v_cmp_lt_i32_e64 s[40:41], v19, v18
	s_nop 1
	v_cndmask_b32_e64 v17, v17, v19, s[40:41]
	v_lshlrev_b32_e32 v57, 2, v17
	ds_bpermute_b32 v17, v57, v16
	global_load_dwordx4 v[22:25], v[14:15], off
	global_load_dwordx4 v[18:21], v[14:15], off offset:16
	s_waitcnt vmcnt(6)
	v_mad_i64_i32 v[14:15], s[40:41], v59, s45, 0
	v_lshl_add_u64 v[10:11], v[14:15], 1, v[10:11]
	s_waitcnt lgkmcnt(0)
	v_max_f32_e32 v14, v17, v17
	v_max_f32_e32 v56, v16, v14
	v_sub_f32_e32 v12, v12, v56
	v_mul_f32_e32 v12, 0x3fb8aa3b, v12
	v_exp_f32_e32 v38, v12
	v_sub_f32_e32 v12, v13, v56
	v_mul_f32_e32 v12, 0x3fb8aa3b, v12
	v_exp_f32_e32 v39, v12
	global_load_dwordx4 v[14:17], v[10:11], off
	s_nop 0
	global_load_dwordx4 v[10:13], v[10:11], off offset:16
	v_sub_f32_e32 v48, v48, v56
	v_mul_f32_e32 v48, 0x3fb8aa3b, v48
	v_sub_f32_e32 v49, v49, v56
	v_exp_f32_e32 v48, v48
	v_mul_f32_e32 v49, 0x3fb8aa3b, v49
	v_sub_f32_e32 v40, v40, v56
	v_exp_f32_e32 v49, v49
	v_mul_f32_e32 v40, 0x3fb8aa3b, v40
	v_sub_f32_e32 v41, v41, v56
	v_cndmask_b32_e64 v38, 0, v38, s[4:5]
	v_exp_f32_e32 v40, v40
	v_mul_f32_e32 v41, 0x3fb8aa3b, v41
	v_sub_f32_e32 v50, v50, v56
	v_add_f32_e32 v58, 0, v38
	v_cndmask_b32_e64 v39, 0, v39, s[34:35]
	v_exp_f32_e32 v41, v41
	v_mul_f32_e32 v50, 0x3fb8aa3b, v50
	v_sub_f32_e32 v51, v51, v56
	v_add_f32_e32 v58, v58, v39
	;; [unrolled: 5-line block ×10, first 2 shown]
	v_cndmask_b32_e64 v46, 0, v46, s[12:13]
	v_exp_f32_e32 v36, v36
	v_mul_f32_e32 v37, 0x3fb8aa3b, v37
	v_add_f32_e32 v58, v58, v46
	v_cndmask_b32_e64 v47, 0, v47, s[14:15]
	v_exp_f32_e32 v37, v37
	v_add_f32_e32 v58, v58, v47
	v_cndmask_b32_e64 v42, 0, v42, s[8:9]
	v_add_f32_e32 v58, v58, v42
	v_cndmask_b32_e64 v43, 0, v43, s[10:11]
	v_add_f32_e32 v58, v58, v43
	v_cndmask_b32_e32 v36, 0, v36, vcc
	v_add_f32_e32 v58, v58, v36
	v_cndmask_b32_e64 v37, 0, v37, s[6:7]
	v_add_f32_e32 v58, v58, v37
	ds_bpermute_b32 v59, v60, v58
	v_cmp_gt_u32_e32 vcc, 16, v55
	s_waitcnt lgkmcnt(0)
	s_barrier
	v_add_f32_e32 v58, v58, v59
	ds_bpermute_b32 v59, v57, v58
	v_lshlrev_b32_e32 v57, 2, v53
	s_and_saveexec_b64 s[4:5], vcc
	s_cbranch_execz .LBB571_15
; %bb.14:
	s_waitcnt lgkmcnt(0)
	v_add_f32_e32 v55, v58, v59
	v_lshl_or_b32 v58, v54, 6, v57
	ds_write2st64_b32 v58, v56, v55 offset1:1
.LBB571_15:
	s_or_b64 exec, exec, s[4:5]
	s_load_dword s6, s[0:1], 0x94
	s_waitcnt lgkmcnt(0)
	s_barrier
	ds_read2_b32 v[58:59], v57 offset1:16
	ds_read2_b32 v[60:61], v57 offset0:32 offset1:48
	ds_read2_b32 v[62:63], v57 offset0:64 offset1:80
	s_movk_i32 s8, 0x7fff
	s_mov_b32 s9, 0x7060302
	s_waitcnt lgkmcnt(2)
	v_max3_f32 v55, v58, s42, v59
	s_waitcnt lgkmcnt(1)
	v_max3_f32 v55, v55, v60, v61
	v_sub_f32_e32 v56, v58, v55
	v_mul_f32_e32 v56, 0x3fb8aa3b, v56
	v_exp_f32_e32 v64, v56
	v_sub_f32_e32 v56, v59, v55
	v_mul_f32_e32 v56, 0x3fb8aa3b, v56
	v_exp_f32_e32 v65, v56
	;; [unrolled: 3-line block ×3, first 2 shown]
	ds_read2_b32 v[58:59], v57 offset0:96 offset1:112
	v_sub_f32_e32 v56, v61, v55
	v_mul_f32_e32 v56, 0x3fb8aa3b, v56
	v_exp_f32_e32 v57, v56
	s_waitcnt lgkmcnt(1)
	v_fma_f32 v56, v64, v62, 0
	v_fmac_f32_e32 v56, v65, v63
	s_waitcnt lgkmcnt(0)
	v_fmac_f32_e32 v56, v60, v58
	v_fmac_f32_e32 v56, v57, v59
	v_add_f32_e32 v58, 0x358637bd, v56
	v_div_scale_f32 v59, s[4:5], v58, v58, 1.0
	v_rcp_f32_e32 v61, v59
	s_barrier
	v_fma_f32 v62, -v59, v61, 1.0
	v_fmac_f32_e32 v61, v62, v61
	v_div_scale_f32 v62, vcc, 1.0, v58, 1.0
	v_mul_f32_e32 v63, v62, v61
	v_fma_f32 v66, -v59, v63, v62
	v_fmac_f32_e32 v63, v66, v61
	v_fma_f32 v59, -v59, v63, v62
	v_div_fmas_f32 v59, v59, v61, v63
	v_cmp_eq_u32_e32 vcc, 1, v54
	v_div_fixup_f32 v58, v59, v58, 1.0
	s_lshl_b32 s7, s33, 4
	v_cndmask_b32_e32 v59, v64, v65, vcc
	v_cmp_eq_u32_e32 vcc, 2, v54
	s_nop 1
	v_cndmask_b32_e32 v59, v59, v60, vcc
	v_cmp_eq_u32_e32 vcc, 3, v54
	s_nop 1
	v_cndmask_b32_e32 v57, v59, v57, vcc
	v_mul_f32_e32 v58, v57, v58
	v_pk_mul_f32 v[38:39], v[58:59], v[38:39] op_sel_hi:[0,1]
	v_pk_mul_f32 v[48:49], v[58:59], v[48:49] op_sel_hi:[0,1]
	v_bfe_u32 v57, v39, 16, 1
	v_bfe_u32 v59, v38, 16, 1
	v_add3_u32 v38, v38, v59, s8
	v_add3_u32 v39, v39, v57, s8
	v_perm_b32 v60, v39, v38, s9
	v_bfe_u32 v38, v49, 16, 1
	v_bfe_u32 v39, v48, 16, 1
	v_add3_u32 v39, v48, v39, s8
	v_add3_u32 v38, v49, v38, s8
	v_perm_b32 v61, v38, v39, s9
	v_lshlrev_b32_e32 v38, 3, v1
	v_lshlrev_b32_e32 v39, 5, v53
	v_lshlrev_b32_e32 v48, 11, v54
	v_pk_mul_f32 v[40:41], v[58:59], v[40:41] op_sel_hi:[0,1]
	v_or3_b32 v38, v48, v39, v38
	v_pk_mul_f32 v[48:49], v[58:59], v[50:51] op_sel_hi:[0,1]
	v_bfe_u32 v39, v41, 16, 1
	v_bfe_u32 v50, v40, 16, 1
	v_add3_u32 v40, v40, v50, s8
	v_add3_u32 v39, v41, v39, s8
	v_perm_b32 v40, v39, v40, s9
	v_bfe_u32 v39, v49, 16, 1
	v_bfe_u32 v41, v48, 16, 1
	v_add3_u32 v41, v48, v41, s8
	v_add3_u32 v39, v49, v39, s8
	v_perm_b32 v41, v39, v41, s9
	v_pk_mul_f32 v[44:45], v[58:59], v[44:45] op_sel_hi:[0,1]
	ds_write2st64_b64 v38, v[60:61], v[40:41] offset1:1
	v_pk_mul_f32 v[40:41], v[58:59], v[46:47] op_sel_hi:[0,1]
	v_bfe_u32 v39, v45, 16, 1
	v_bfe_u32 v46, v44, 16, 1
	v_add3_u32 v44, v44, v46, s8
	v_add3_u32 v39, v45, v39, s8
	v_perm_b32 v44, v39, v44, s9
	v_bfe_u32 v39, v41, 16, 1
	v_bfe_u32 v45, v40, 16, 1
	v_add3_u32 v40, v40, v45, s8
	v_add3_u32 v39, v41, v39, s8
	v_perm_b32 v45, v39, v40, s9
	v_pk_mul_f32 v[40:41], v[58:59], v[42:43] op_sel_hi:[0,1]
	v_bfe_u32 v39, v41, 16, 1
	v_bfe_u32 v42, v40, 16, 1
	v_pk_mul_f32 v[36:37], v[58:59], v[36:37] op_sel_hi:[0,1]
	v_add3_u32 v40, v40, v42, s8
	v_add3_u32 v39, v41, v39, s8
	v_perm_b32 v40, v39, v40, s9
	v_bfe_u32 v39, v37, 16, 1
	v_bfe_u32 v41, v36, 16, 1
	v_add3_u32 v36, v36, v41, s8
	v_add3_u32 v37, v37, v39, s8
	v_perm_b32 v41, v37, v36, s9
	v_cmp_gt_u32_e32 vcc, 16, v0
	ds_write2st64_b64 v38, v[44:45], v[40:41] offset0:2 offset1:3
	s_and_saveexec_b64 s[4:5], vcc
	s_cbranch_execz .LBB571_17
; %bb.16:
	v_or_b32_e32 v36, s29, v0
	v_mov_b32_e32 v37, 0
	v_mov_b32_e32 v39, s7
	v_mad_u64_u32 v[40:41], s[10:11], s2, v39, v[36:37]
	v_mov_b32_e32 v36, s28
	s_load_dwordx4 s[12:15], s[0:1], 0x58
	s_mul_i32 s3, s3, s7
	v_mad_u64_u32 v[36:37], s[10:11], v40, s6, v[36:37]
	v_add_u32_e32 v39, s3, v41
	v_mov_b32_e32 v40, v37
	v_mad_u64_u32 v[40:41], s[10:11], v39, s6, v[40:41]
	v_mov_b32_e32 v37, v40
	v_lshlrev_b64 v[36:37], 2, v[36:37]
	s_waitcnt lgkmcnt(0)
	v_lshl_add_u64 v[40:41], s[14:15], 0, v[36:37]
	v_lshl_add_u64 v[36:37], s[12:13], 0, v[36:37]
	global_store_dword v[40:41], v55, off
	global_store_dword v[36:37], v56, off
.LBB571_17:
	s_or_b64 exec, exec, s[4:5]
	s_waitcnt lgkmcnt(0)
	s_barrier
	ds_read_b128 v[40:43], v52
	ds_read_b128 v[44:47], v52 offset:16
	s_waitcnt vmcnt(7) lgkmcnt(1)
	v_mfma_f32_16x16x16_bf16 v[48:51], v[6:7], v[40:41], 0
	v_cmp_gt_u32_e32 vcc, 64, v0
	s_mov_b32 s3, 0
	s_and_b64 s[4:5], vcc, s[30:31]
	v_mfma_f32_16x16x16_bf16 v[6:9], v[8:9], v[42:43], v[48:51]
	s_waitcnt vmcnt(6) lgkmcnt(0)
	v_mfma_f32_16x16x16_bf16 v[6:9], v[2:3], v[44:45], v[6:9]
	v_mfma_f32_16x16x16_bf16 v[2:5], v[4:5], v[46:47], v[6:9]
	s_nop 5
	ds_read_b128 v[6:9], v52 offset:2048
	ds_read_b128 v[40:43], v52 offset:2064
	s_waitcnt vmcnt(5) lgkmcnt(1)
	v_mfma_f32_16x16x16_bf16 v[2:5], v[30:31], v[6:7], v[2:5]
	v_mfma_f32_16x16x16_bf16 v[2:5], v[32:33], v[8:9], v[2:5]
	s_waitcnt vmcnt(4) lgkmcnt(0)
	v_mfma_f32_16x16x16_bf16 v[2:5], v[26:27], v[40:41], v[2:5]
	v_mfma_f32_16x16x16_bf16 v[2:5], v[28:29], v[42:43], v[2:5]
	ds_read_b128 v[6:9], v52 offset:4096
	ds_read_b128 v[26:29], v52 offset:4112
	s_waitcnt vmcnt(3) lgkmcnt(1)
	v_mfma_f32_16x16x16_bf16 v[2:5], v[22:23], v[6:7], v[2:5]
	v_mfma_f32_16x16x16_bf16 v[2:5], v[24:25], v[8:9], v[2:5]
	s_waitcnt vmcnt(2) lgkmcnt(0)
	v_mfma_f32_16x16x16_bf16 v[2:5], v[18:19], v[26:27], v[2:5]
	v_mfma_f32_16x16x16_bf16 v[2:5], v[20:21], v[28:29], v[2:5]
	ds_read_b128 v[6:9], v52 offset:6144
	ds_read_b128 v[18:21], v52 offset:6160
	s_waitcnt lgkmcnt(0)
	s_barrier
	s_waitcnt vmcnt(1)
	v_mfma_f32_16x16x16_bf16 v[2:5], v[14:15], v[6:7], v[2:5]
	v_mfma_f32_16x16x16_bf16 v[2:5], v[16:17], v[8:9], v[2:5]
	s_waitcnt vmcnt(0)
	v_mfma_f32_16x16x16_bf16 v[2:5], v[10:11], v[18:19], v[2:5]
	v_mfma_f32_16x16x16_bf16 v[2:5], v[12:13], v[20:21], v[2:5]
	s_nop 6
	v_bfe_u32 v6, v3, 16, 1
	v_bfe_u32 v7, v2, 16, 1
	;; [unrolled: 1-line block ×4, first 2 shown]
	v_add3_u32 v2, v2, v7, s8
	v_add3_u32 v3, v3, v6, s8
	;; [unrolled: 1-line block ×4, first 2 shown]
	v_perm_b32 v2, v3, v2, s9
	v_perm_b32 v3, v5, v4, s9
	ds_write_b64 v38, v[2:3]
	s_waitcnt lgkmcnt(0)
	s_barrier
	s_and_saveexec_b64 s[8:9], s[4:5]
	s_cbranch_execz .LBB571_19
; %bb.18:
	s_load_dwordx2 s[0:1], s[0:1], 0x68
	s_lshl_b32 s6, s6, 6
	s_mul_i32 s2, s7, s2
	s_mul_hi_u32 s5, s2, s6
	s_mul_i32 s4, s2, s6
	s_lshl_b64 s[4:5], s[4:5], 1
	s_waitcnt lgkmcnt(0)
	s_add_u32 s4, s0, s4
	s_addc_u32 s5, s1, s5
	s_lshl_b32 s2, s28, 6
	v_lshlrev_b32_e32 v2, 10, v0
	v_lshlrev_b32_e32 v0, 4, v0
	s_lshl_b64 s[0:1], s[2:3], 1
	v_and_b32_e32 v2, 0x1800, v2
	v_lshlrev_b32_e32 v3, 5, v1
	v_and_b32_e32 v0, 16, v0
	s_add_u32 s0, s4, s0
	v_or3_b32 v0, v2, v3, v0
	s_addc_u32 s1, s5, s1
	v_or_b32_e32 v20, s29, v1
	ds_read_b128 v[2:5], v0
	ds_read_b128 v[6:9], v0 offset:128
	ds_read_b128 v[10:13], v0 offset:256
	;; [unrolled: 1-line block ×3, first 2 shown]
	v_lshl_add_u64 v[18:19], v[34:35], 1, s[0:1]
	v_mad_u64_u32 v[0:1], s[0:1], v20, s6, 0
	v_lshl_add_u64 v[0:1], v[0:1], 1, v[18:19]
	s_waitcnt lgkmcnt(3)
	global_store_dwordx4 v[0:1], v[2:5], off
	v_or_b32_e32 v0, 4, v20
	v_mad_u64_u32 v[0:1], s[0:1], v0, s6, 0
	v_lshl_add_u64 v[0:1], v[0:1], 1, v[18:19]
	s_waitcnt lgkmcnt(2)
	global_store_dwordx4 v[0:1], v[6:9], off
	v_or_b32_e32 v0, 8, v20
	v_mad_u64_u32 v[0:1], s[0:1], v0, s6, 0
	v_lshl_add_u64 v[0:1], v[0:1], 1, v[18:19]
	s_waitcnt lgkmcnt(1)
	global_store_dwordx4 v[0:1], v[10:13], off
	v_or_b32_e32 v0, 12, v20
	v_mad_u64_u32 v[0:1], s[0:1], v0, s6, 0
	v_lshl_add_u64 v[0:1], v[0:1], 1, v[18:19]
	s_waitcnt lgkmcnt(0)
	global_store_dwordx4 v[0:1], v[14:17], off
.LBB571_19:
	s_endpgm
	.section	.rodata,"a",@progbits
	.p2align	6, 0x0
	.amdhsa_kernel _Z39paged_attention_ll4mi_QKV_mfma16_kernelI14__hip_bfloat16S0_LN4vllm18Fp8KVCacheDataTypeE0ES0_Li32ELi64ELi256ELb0ELi16EEvPKT_PKT0_S8_ifPKiSA_SA_iPKfiiiPfSD_PS3_PT2_iSC_SC_
		.amdhsa_group_segment_fixed_size 8192
		.amdhsa_private_segment_fixed_size 0
		.amdhsa_kernarg_size 400
		.amdhsa_user_sgpr_count 2
		.amdhsa_user_sgpr_dispatch_ptr 0
		.amdhsa_user_sgpr_queue_ptr 0
		.amdhsa_user_sgpr_kernarg_segment_ptr 1
		.amdhsa_user_sgpr_dispatch_id 0
		.amdhsa_user_sgpr_kernarg_preload_length 0
		.amdhsa_user_sgpr_kernarg_preload_offset 0
		.amdhsa_user_sgpr_private_segment_size 0
		.amdhsa_uses_dynamic_stack 0
		.amdhsa_enable_private_segment 0
		.amdhsa_system_sgpr_workgroup_id_x 1
		.amdhsa_system_sgpr_workgroup_id_y 1
		.amdhsa_system_sgpr_workgroup_id_z 1
		.amdhsa_system_sgpr_workgroup_info 0
		.amdhsa_system_vgpr_workitem_id 0
		.amdhsa_next_free_vgpr 68
		.amdhsa_next_free_sgpr 48
		.amdhsa_accum_offset 68
		.amdhsa_reserve_vcc 1
		.amdhsa_float_round_mode_32 0
		.amdhsa_float_round_mode_16_64 0
		.amdhsa_float_denorm_mode_32 3
		.amdhsa_float_denorm_mode_16_64 3
		.amdhsa_dx10_clamp 1
		.amdhsa_ieee_mode 1
		.amdhsa_fp16_overflow 0
		.amdhsa_tg_split 0
		.amdhsa_exception_fp_ieee_invalid_op 0
		.amdhsa_exception_fp_denorm_src 0
		.amdhsa_exception_fp_ieee_div_zero 0
		.amdhsa_exception_fp_ieee_overflow 0
		.amdhsa_exception_fp_ieee_underflow 0
		.amdhsa_exception_fp_ieee_inexact 0
		.amdhsa_exception_int_div_zero 0
	.end_amdhsa_kernel
	.section	.text._Z39paged_attention_ll4mi_QKV_mfma16_kernelI14__hip_bfloat16S0_LN4vllm18Fp8KVCacheDataTypeE0ES0_Li32ELi64ELi256ELb0ELi16EEvPKT_PKT0_S8_ifPKiSA_SA_iPKfiiiPfSD_PS3_PT2_iSC_SC_,"axG",@progbits,_Z39paged_attention_ll4mi_QKV_mfma16_kernelI14__hip_bfloat16S0_LN4vllm18Fp8KVCacheDataTypeE0ES0_Li32ELi64ELi256ELb0ELi16EEvPKT_PKT0_S8_ifPKiSA_SA_iPKfiiiPfSD_PS3_PT2_iSC_SC_,comdat
.Lfunc_end571:
	.size	_Z39paged_attention_ll4mi_QKV_mfma16_kernelI14__hip_bfloat16S0_LN4vllm18Fp8KVCacheDataTypeE0ES0_Li32ELi64ELi256ELb0ELi16EEvPKT_PKT0_S8_ifPKiSA_SA_iPKfiiiPfSD_PS3_PT2_iSC_SC_, .Lfunc_end571-_Z39paged_attention_ll4mi_QKV_mfma16_kernelI14__hip_bfloat16S0_LN4vllm18Fp8KVCacheDataTypeE0ES0_Li32ELi64ELi256ELb0ELi16EEvPKT_PKT0_S8_ifPKiSA_SA_iPKfiiiPfSD_PS3_PT2_iSC_SC_
                                        ; -- End function
	.section	.AMDGPU.csdata,"",@progbits
; Kernel info:
; codeLenInByte = 4148
; NumSgprs: 54
; NumVgprs: 68
; NumAgprs: 0
; TotalNumVgprs: 68
; ScratchSize: 0
; MemoryBound: 0
; FloatMode: 240
; IeeeMode: 1
; LDSByteSize: 8192 bytes/workgroup (compile time only)
; SGPRBlocks: 6
; VGPRBlocks: 8
; NumSGPRsForWavesPerEU: 54
; NumVGPRsForWavesPerEU: 68
; AccumOffset: 68
; Occupancy: 7
; WaveLimiterHint : 1
; COMPUTE_PGM_RSRC2:SCRATCH_EN: 0
; COMPUTE_PGM_RSRC2:USER_SGPR: 2
; COMPUTE_PGM_RSRC2:TRAP_HANDLER: 0
; COMPUTE_PGM_RSRC2:TGID_X_EN: 1
; COMPUTE_PGM_RSRC2:TGID_Y_EN: 1
; COMPUTE_PGM_RSRC2:TGID_Z_EN: 1
; COMPUTE_PGM_RSRC2:TIDIG_COMP_CNT: 0
; COMPUTE_PGM_RSRC3_GFX90A:ACCUM_OFFSET: 16
; COMPUTE_PGM_RSRC3_GFX90A:TG_SPLIT: 0
	.section	.text._Z39paged_attention_ll4mi_QKV_mfma16_kernelI14__hip_bfloat16S0_LN4vllm18Fp8KVCacheDataTypeE0ES0_Li32ELi64ELi256ELb0ELi1EEvPKT_PKT0_S8_ifPKiSA_SA_iPKfiiiPfSD_PS3_PT2_iSC_SC_,"axG",@progbits,_Z39paged_attention_ll4mi_QKV_mfma16_kernelI14__hip_bfloat16S0_LN4vllm18Fp8KVCacheDataTypeE0ES0_Li32ELi64ELi256ELb0ELi1EEvPKT_PKT0_S8_ifPKiSA_SA_iPKfiiiPfSD_PS3_PT2_iSC_SC_,comdat
	.protected	_Z39paged_attention_ll4mi_QKV_mfma16_kernelI14__hip_bfloat16S0_LN4vllm18Fp8KVCacheDataTypeE0ES0_Li32ELi64ELi256ELb0ELi1EEvPKT_PKT0_S8_ifPKiSA_SA_iPKfiiiPfSD_PS3_PT2_iSC_SC_ ; -- Begin function _Z39paged_attention_ll4mi_QKV_mfma16_kernelI14__hip_bfloat16S0_LN4vllm18Fp8KVCacheDataTypeE0ES0_Li32ELi64ELi256ELb0ELi1EEvPKT_PKT0_S8_ifPKiSA_SA_iPKfiiiPfSD_PS3_PT2_iSC_SC_
	.globl	_Z39paged_attention_ll4mi_QKV_mfma16_kernelI14__hip_bfloat16S0_LN4vllm18Fp8KVCacheDataTypeE0ES0_Li32ELi64ELi256ELb0ELi1EEvPKT_PKT0_S8_ifPKiSA_SA_iPKfiiiPfSD_PS3_PT2_iSC_SC_
	.p2align	8
	.type	_Z39paged_attention_ll4mi_QKV_mfma16_kernelI14__hip_bfloat16S0_LN4vllm18Fp8KVCacheDataTypeE0ES0_Li32ELi64ELi256ELb0ELi1EEvPKT_PKT0_S8_ifPKiSA_SA_iPKfiiiPfSD_PS3_PT2_iSC_SC_,@function
_Z39paged_attention_ll4mi_QKV_mfma16_kernelI14__hip_bfloat16S0_LN4vllm18Fp8KVCacheDataTypeE0ES0_Li32ELi64ELi256ELb0ELi1EEvPKT_PKT0_S8_ifPKiSA_SA_iPKfiiiPfSD_PS3_PT2_iSC_SC_: ; @_Z39paged_attention_ll4mi_QKV_mfma16_kernelI14__hip_bfloat16S0_LN4vllm18Fp8KVCacheDataTypeE0ES0_Li32ELi64ELi256ELb0ELi1EEvPKT_PKT0_S8_ifPKiSA_SA_iPKfiiiPfSD_PS3_PT2_iSC_SC_
; %bb.0:
	s_load_dwordx2 s[6:7], s[0:1], 0x30
	s_mov_b32 s5, s3
	s_mov_b64 s[10:11], 0
	s_waitcnt lgkmcnt(0)
	s_cmp_lg_u64 s[6:7], 0
	s_cselect_b64 s[8:9], -1, 0
	s_and_b64 vcc, exec, s[8:9]
	s_cbranch_vccz .LBB572_7
; %bb.1:
	s_add_i32 s12, s2, 1
	s_mov_b32 s13, 0
	s_lshl_b64 s[14:15], s[12:13], 2
	s_add_u32 s14, s6, s14
	s_mov_b32 s3, s13
	s_addc_u32 s15, s7, s15
	s_lshl_b64 s[12:13], s[2:3], 2
	s_add_u32 s12, s6, s12
	s_addc_u32 s13, s7, s13
	s_load_dword s16, s[14:15], 0x0
	s_load_dword s17, s[12:13], 0x0
	s_waitcnt lgkmcnt(0)
	s_sub_i32 s12, s16, s17
	s_cmp_eq_u32 s12, 1
	s_cselect_b64 s[12:13], -1, 0
	s_andn2_b64 vcc, exec, s[10:11]
	s_cbranch_vccnz .LBB572_3
.LBB572_2:
	s_mov_b32 s3, 0
	s_mov_b64 s[12:13], -1
.LBB572_3:
	s_andn2_b64 vcc, exec, s[12:13]
	s_cbranch_vccnz .LBB572_19
; %bb.4:
	s_load_dwordx2 s[12:13], s[0:1], 0x28
	s_lshl_b64 s[10:11], s[2:3], 2
	s_waitcnt lgkmcnt(0)
	s_add_u32 s12, s12, s10
	s_addc_u32 s13, s13, s11
	s_load_dword s33, s[12:13], 0x0
	s_lshl_b32 s14, s5, 8
	s_waitcnt lgkmcnt(0)
	s_cmp_ge_i32 s14, s33
	s_cbranch_scc1 .LBB572_19
; %bb.5:
	s_load_dwordx2 s[12:13], s[0:1], 0x20
	s_load_dword s16, s[0:1], 0x38
	s_add_i32 s15, s33, 31
	s_ashr_i32 s17, s15, 31
	v_and_b32_e32 v1, 0xcf, v0
	s_lshr_b32 s17, s17, 27
	v_add_u32_e32 v1, s14, v1
	s_add_i32 s15, s15, s17
	v_ashrrev_i32_e32 v2, 31, v1
	s_ashr_i32 s15, s15, 5
	v_lshrrev_b32_e32 v10, 27, v2
	s_add_i32 s15, s15, -1
	s_waitcnt lgkmcnt(0)
	s_mul_i32 s16, s2, s16
	s_mov_b32 s17, 0
	v_add_u32_e32 v2, v1, v10
	s_lshl_b64 s[16:17], s[16:17], 2
	v_ashrrev_i32_e32 v2, 5, v2
	v_mov_b32_e32 v11, s15
	v_cmp_gt_i32_e32 vcc, s33, v1
	s_add_u32 s12, s12, s16
	s_addc_u32 s13, s13, s17
	v_cndmask_b32_e32 v2, v11, v2, vcc
	v_ashrrev_i32_e32 v3, 31, v2
	v_lshl_add_u64 v[4:5], v[2:3], 2, s[12:13]
	v_or_b32_e32 v2, 16, v1
	v_add_u32_e32 v3, v2, v10
	v_ashrrev_i32_e32 v3, 5, v3
	v_cmp_gt_i32_e32 vcc, s33, v2
	s_nop 1
	v_cndmask_b32_e32 v2, v11, v3, vcc
	v_ashrrev_i32_e32 v3, 31, v2
	v_lshl_add_u64 v[6:7], v[2:3], 2, s[12:13]
	v_or_b32_e32 v2, 32, v1
	v_add_u32_e32 v3, v2, v10
	v_ashrrev_i32_e32 v3, 5, v3
	v_cmp_gt_i32_e32 vcc, s33, v2
	v_or_b32_e32 v1, 48, v1
	s_nop 0
	v_cndmask_b32_e32 v2, v11, v3, vcc
	v_ashrrev_i32_e32 v3, 31, v2
	v_lshl_add_u64 v[8:9], v[2:3], 2, s[12:13]
	v_add_u32_e32 v2, v1, v10
	v_ashrrev_i32_e32 v2, 5, v2
	v_cmp_gt_i32_e32 vcc, s33, v1
	s_nop 1
	v_cndmask_b32_e32 v2, v11, v2, vcc
	v_ashrrev_i32_e32 v3, 31, v2
	v_lshl_add_u64 v[12:13], v[2:3], 2, s[12:13]
	global_load_dword v3, v[4:5], off
	global_load_dword v2, v[6:7], off
	;; [unrolled: 1-line block ×4, first 2 shown]
	s_andn2_b64 vcc, exec, s[8:9]
	s_cbranch_vccnz .LBB572_8
; %bb.6:
	s_add_u32 s6, s6, s10
	s_addc_u32 s7, s7, s11
	s_load_dword s16, s[6:7], 0x0
	s_branch .LBB572_9
.LBB572_7:
	s_mov_b64 s[12:13], 0
	s_branch .LBB572_2
.LBB572_8:
	s_mov_b32 s16, s2
.LBB572_9:
	s_load_dwordx4 s[8:11], s[0:1], 0x8
	s_load_dwordx4 s[44:47], s[0:1], 0x48
	v_lshrrev_b32_e32 v54, 6, v0
	v_bfe_u32 v1, v0, 4, 2
	v_lshl_or_b32 v4, v54, 2, v1
	v_and_b32_e32 v55, 15, v0
	v_cmp_ne_u32_e32 vcc, 0, v4
	v_cmp_lt_u32_e64 s[6:7], 7, v55
	v_lshlrev_b32_e32 v34, 3, v55
	v_cmp_gt_u32_e64 s[28:29], 8, v55
	s_or_b64 s[6:7], s[6:7], vcc
	s_and_saveexec_b64 s[18:19], s[6:7]
	s_xor_b64 s[6:7], exec, s[18:19]
; %bb.10:
	v_mov_b32_e32 v35, 0
; %bb.11:
	s_or_saveexec_b64 s[6:7], s[6:7]
	v_and_b32_e32 v56, 63, v0
	s_xor_b64 exec, exec, s[6:7]
	s_cbranch_execz .LBB572_13
; %bb.12:
	s_load_dwordx2 s[18:19], s[0:1], 0x0
	s_waitcnt lgkmcnt(0)
	s_ashr_i32 s17, s44, 31
	s_mul_hi_u32 s20, s16, s44
	s_mul_i32 s17, s16, s17
	s_add_i32 s17, s20, s17
	s_mul_i32 s16, s16, s44
	s_lshl_b64 s[16:17], s[16:17], 1
	s_add_u32 s18, s18, s16
	s_addc_u32 s19, s19, s17
	s_lshl_b32 s16, s4, 6
	s_ashr_i32 s17, s16, 31
	s_lshl_b64 s[16:17], s[16:17], 1
	s_add_u32 s16, s18, s16
	s_addc_u32 s17, s19, s17
	v_lshlrev_b32_e32 v4, 1, v34
	global_load_dwordx4 v[4:7], v4, s[16:17]
	v_and_b32_e32 v8, 3, v0
	v_lshlrev_b32_e32 v9, 9, v55
	v_lshlrev_b32_e32 v8, 9, v8
	s_movk_i32 s16, 0x1800
	v_mov_b32_e32 v35, 0
	v_and_or_b32 v8, v9, s16, v8
	s_waitcnt vmcnt(0)
	ds_write_b128 v8, v[4:7]
.LBB572_13:
	s_or_b64 exec, exec, s[6:7]
	s_waitcnt lgkmcnt(0)
	s_mul_i32 s6, s4, s46
	s_mov_b32 s7, 0
	s_lshl_b64 s[6:7], s[6:7], 1
	s_add_u32 s8, s8, s6
	s_addc_u32 s9, s9, s7
	s_waitcnt vmcnt(3)
	v_mad_i64_i32 v[4:5], s[16:17], v3, s45, 0
	v_lshl_add_u64 v[4:5], v[4:5], 1, s[8:9]
	v_lshlrev_b64 v[12:13], 1, v[34:35]
	v_lshlrev_b32_e32 v36, 9, v1
	v_lshl_add_u64 v[4:5], v[4:5], 0, v[12:13]
	v_mov_b32_e32 v37, 0
	v_lshl_add_u64 v[20:21], v[4:5], 0, v[36:37]
	s_waitcnt vmcnt(2)
	v_mad_i64_i32 v[2:3], s[16:17], v2, s45, 0
	v_mov_b32_e32 v4, 0x100
	v_lshl_add_u64 v[2:3], v[2:3], 1, s[8:9]
	v_lshl_or_b32 v38, v55, 4, v4
	v_mov_b32_e32 v39, v37
	s_barrier
	v_lshl_add_u64 v[2:3], v[2:3], 0, v[38:39]
	global_load_dwordx4 v[6:9], v[20:21], off
	v_lshl_add_u64 v[22:23], v[2:3], 0, v[36:37]
	global_load_dwordx4 v[2:5], v[22:23], off
	s_waitcnt vmcnt(3)
	v_mad_i64_i32 v[10:11], s[16:17], v10, s45, 0
	v_lshl_add_u64 v[10:11], v[10:11], 1, s[8:9]
	v_lshl_add_u64 v[10:11], v[10:11], 0, v[12:13]
	;; [unrolled: 1-line block ×3, first 2 shown]
	global_load_dwordx4 v[14:17], v[30:31], off
	global_load_dwordx4 v[10:13], v[20:21], off offset:2048
	global_load_dwordx4 v[26:29], v[22:23], off offset:2048
	s_waitcnt vmcnt(5)
	v_mad_i64_i32 v[40:41], s[16:17], v18, s45, 0
	ds_read_b128 v[22:25], v36
	ds_read_b128 v[18:21], v36 offset:2048
	global_load_dwordx4 v[30:33], v[30:31], off offset:2048
	v_lshl_add_u64 v[40:41], v[40:41], 1, s[8:9]
	v_lshl_add_u64 v[38:39], v[40:41], 0, v[38:39]
	;; [unrolled: 1-line block ×3, first 2 shown]
	global_load_dwordx4 v[44:47], v[38:39], off
	global_load_dwordx4 v[62:65], v[38:39], off offset:2048
	v_mov_b32_e32 v53, s15
	s_ashr_i32 s15, s14, 31
	v_and_or_b32 v52, v0, 48, s14
	s_lshr_b32 s9, s15, 27
	v_add_u32_e32 v40, s9, v52
	v_or_b32_e32 v48, 64, v52
	v_ashrrev_i32_e32 v36, 5, v40
	v_cmp_gt_i32_e32 vcc, s33, v52
	v_add_u32_e32 v41, s9, v48
	v_ashrrev_i32_e32 v49, 5, v41
	v_cndmask_b32_e32 v40, v53, v36, vcc
	v_ashrrev_i32_e32 v41, 31, v40
	v_lshl_add_u64 v[40:41], v[40:41], 2, s[12:13]
	v_cmp_gt_i32_e32 vcc, s33, v48
	global_load_dword v57, v[40:41], off
	v_or_b32_e32 v39, 0x80, v52
	v_and_b32_e32 v36, 16, v0
	s_add_u32 s6, s10, s6
	v_lshlrev_b32_e32 v38, 6, v55
	s_addc_u32 s7, s11, s7
	v_lshlrev_b32_e32 v36, 1, v36
	s_load_dword s8, s[0:1], 0x1c
	s_mov_b32 s42, 0xff7fffff
	s_waitcnt vmcnt(6) lgkmcnt(0)
	v_mfma_f32_16x16x16_bf16 v[58:61], v[14:15], v[22:23], 0
	v_mfma_f32_16x16x16_bf16 v[40:43], v[6:7], v[22:23], 0
	v_cndmask_b32_e32 v6, v53, v49, vcc
	v_ashrrev_i32_e32 v7, 31, v6
	v_cmp_gt_i32_e32 vcc, s33, v39
	v_mfma_f32_16x16x16_bf16 v[48:51], v[2:3], v[22:23], 0
	v_lshl_add_u64 v[2:3], v[6:7], 2, s[12:13]
	global_load_dword v66, v[2:3], off
	v_mfma_f32_16x16x16_bf16 v[6:9], v[8:9], v[24:25], v[40:43]
	v_mfma_f32_16x16x16_bf16 v[2:5], v[4:5], v[24:25], v[48:51]
	s_nop 1
	v_or_b32_e32 v40, 0xc0, v52
	v_add_u32_e32 v41, s9, v39
	v_add_u32_e32 v42, s9, v40
	s_waitcnt vmcnt(6)
	v_mfma_f32_16x16x16_bf16 v[6:9], v[10:11], v[18:19], v[6:9]
	v_ashrrev_i32_e32 v41, 5, v41
	v_ashrrev_i32_e32 v43, 5, v42
	v_cndmask_b32_e32 v42, v53, v41, vcc
	v_cmp_gt_i32_e32 vcc, s33, v40
	s_waitcnt vmcnt(5)
	v_mfma_f32_16x16x16_bf16 v[2:5], v[26:27], v[18:19], v[2:5]
	v_lshl_add_u64 v[10:11], s[6:7], 0, v[36:37]
	v_cndmask_b32_e32 v26, v53, v43, vcc
	v_ashrrev_i32_e32 v43, 31, v42
	v_lshl_or_b32 v36, v54, 10, v38
	v_ashrrev_i32_e32 v27, 31, v26
	v_mfma_f32_16x16x16_bf16 v[38:41], v[12:13], v[20:21], v[6:9]
	v_lshl_add_u64 v[10:11], v[10:11], 0, v[36:37]
	s_waitcnt vmcnt(0)
	v_mad_i64_i32 v[12:13], s[6:7], v66, s45, 0
	v_lshl_add_u64 v[6:7], v[42:43], 2, s[12:13]
	v_mfma_f32_16x16x16_bf16 v[14:17], v[16:17], v[24:25], v[58:61]
	v_lshl_add_u64 v[8:9], v[26:27], 2, s[12:13]
	global_load_dword v36, v[6:7], off
	s_nop 0
	global_load_dword v60, v[8:9], off
	v_lshl_add_u64 v[58:59], v[12:13], 1, v[10:11]
	v_mfma_f32_16x16x16_bf16 v[14:17], v[30:31], v[18:19], v[14:17]
	v_pk_mul_f32 v[12:13], s[8:9], v[38:39] op_sel_hi:[0,1]
	v_pk_mul_f32 v[50:51], s[8:9], v[40:41] op_sel_hi:[0,1]
	v_mfma_f32_16x16x16_bf16 v[14:17], v[32:33], v[20:21], v[14:17]
	v_mfma_f32_16x16x16_bf16 v[30:33], v[44:45], v[22:23], 0
	;; [unrolled: 1-line block ×3, first 2 shown]
	s_nop 4
	v_pk_mul_f32 v[48:49], s[8:9], v[16:17] op_sel_hi:[0,1]
	v_pk_mul_f32 v[46:47], s[8:9], v[14:15] op_sel_hi:[0,1]
	v_mfma_f32_16x16x16_bf16 v[22:25], v[62:63], v[18:19], v[22:25]
	v_mfma_f32_16x16x16_bf16 v[14:17], v[64:65], v[20:21], v[22:25]
	;; [unrolled: 1-line block ×3, first 2 shown]
	s_nop 5
	v_pk_mul_f32 v[44:45], s[8:9], v[14:15] op_sel_hi:[0,1]
	v_and_b32_e32 v14, 0xc0, v0
	v_add_u32_e32 v14, s14, v14
	v_lshl_or_b32 v14, v1, 2, v14
	v_pk_mul_f32 v[38:39], s[8:9], v[16:17] op_sel_hi:[0,1]
	v_or_b32_e32 v17, 1, v14
	v_mov_b32_e32 v15, 0xff7fffff
	v_cmp_gt_i32_e64 s[30:31], s33, v14
	v_cmp_gt_i32_e64 s[34:35], s33, v17
	v_or_b32_e32 v18, 3, v14
	v_cndmask_b32_e64 v16, v15, v12, s[30:31]
	v_cndmask_b32_e64 v17, v15, v13, s[34:35]
	v_max3_f32 v16, v16, s42, v17
	v_or_b32_e32 v17, 2, v14
	v_cmp_gt_i32_e64 s[36:37], s33, v17
	v_cmp_gt_i32_e64 s[38:39], s33, v18
	v_pk_mul_f32 v[42:43], s[8:9], v[26:27] op_sel_hi:[0,1]
	v_cndmask_b32_e64 v17, v15, v50, s[36:37]
	v_cndmask_b32_e64 v18, v15, v51, s[38:39]
	v_max3_f32 v16, v16, v17, v18
	v_or_b32_e32 v17, 16, v14
	v_or_b32_e32 v18, 17, v14
	v_cmp_gt_i32_e64 s[24:25], s33, v17
	v_cmp_gt_i32_e64 s[26:27], s33, v18
	v_pk_mul_f32 v[52:53], s[8:9], v[28:29] op_sel_hi:[0,1]
	v_cndmask_b32_e64 v17, v15, v42, s[24:25]
	v_cndmask_b32_e64 v18, v15, v43, s[26:27]
	v_max3_f32 v16, v16, v17, v18
	v_or_b32_e32 v17, 18, v14
	v_or_b32_e32 v18, 19, v14
	v_cmp_gt_i32_e64 s[20:21], s33, v17
	v_cmp_gt_i32_e64 s[22:23], s33, v18
	v_mad_i64_i32 v[2:3], s[6:7], v57, s45, 0
	v_cndmask_b32_e64 v17, v15, v52, s[20:21]
	v_cndmask_b32_e64 v18, v15, v53, s[22:23]
	v_max3_f32 v16, v16, v17, v18
	v_or_b32_e32 v17, 32, v14
	v_or_b32_e32 v18, 33, v14
	v_cmp_gt_i32_e64 s[16:17], s33, v17
	v_cmp_gt_i32_e64 s[18:19], s33, v18
	v_lshl_add_u64 v[2:3], v[2:3], 1, v[10:11]
	v_cndmask_b32_e64 v17, v15, v46, s[16:17]
	v_cndmask_b32_e64 v18, v15, v47, s[18:19]
	v_max3_f32 v16, v16, v17, v18
	v_or_b32_e32 v17, 34, v14
	v_or_b32_e32 v18, 35, v14
	v_cmp_gt_i32_e64 s[12:13], s33, v17
	v_cmp_gt_i32_e64 s[14:15], s33, v18
	global_load_dwordx4 v[6:9], v[2:3], off
	s_nop 0
	global_load_dwordx4 v[2:5], v[2:3], off offset:16
	v_cndmask_b32_e64 v17, v15, v48, s[12:13]
	v_cndmask_b32_e64 v18, v15, v49, s[14:15]
	v_max3_f32 v16, v16, v17, v18
	v_or_b32_e32 v17, 48, v14
	v_or_b32_e32 v18, 49, v14
	v_cmp_gt_i32_e64 s[8:9], s33, v17
	v_cmp_gt_i32_e64 s[10:11], s33, v18
	global_load_dwordx4 v[30:33], v[58:59], off
	global_load_dwordx4 v[26:29], v[58:59], off offset:16
	v_cndmask_b32_e64 v17, v15, v44, s[8:9]
	v_cndmask_b32_e64 v18, v15, v45, s[10:11]
	v_max3_f32 v16, v16, v17, v18
	v_or_b32_e32 v17, 50, v14
	v_or_b32_e32 v14, 51, v14
	v_cmp_gt_i32_e32 vcc, s33, v17
	v_cmp_gt_i32_e64 s[6:7], s33, v14
	s_nop 0
	v_cndmask_b32_e32 v17, v15, v38, vcc
	v_cndmask_b32_e64 v14, v15, v39, s[6:7]
	v_max3_f32 v16, v16, v17, v14
	v_mbcnt_lo_u32_b32 v14, -1, 0
	v_mbcnt_hi_u32_b32 v17, -1, v14
	v_and_b32_e32 v14, 64, v17
	v_add_u32_e32 v18, 64, v14
	v_xor_b32_e32 v14, 32, v17
	v_cmp_lt_i32_e64 s[40:41], v14, v18
	s_nop 1
	v_cndmask_b32_e64 v14, v17, v14, s[40:41]
	v_lshlrev_b32_e32 v57, 2, v14
	ds_bpermute_b32 v19, v57, v16
	s_waitcnt vmcnt(5)
	v_mad_i64_i32 v[14:15], s[40:41], v36, s45, 0
	v_lshl_add_u64 v[14:15], v[14:15], 1, v[10:11]
	s_waitcnt lgkmcnt(0)
	v_max_f32_e32 v19, v19, v19
	v_max_f32_e32 v16, v16, v19
	v_xor_b32_e32 v19, 16, v17
	v_cmp_lt_i32_e64 s[40:41], v19, v18
	s_nop 1
	v_cndmask_b32_e64 v17, v17, v19, s[40:41]
	v_lshlrev_b32_e32 v59, 2, v17
	ds_bpermute_b32 v17, v59, v16
	global_load_dwordx4 v[22:25], v[14:15], off
	global_load_dwordx4 v[18:21], v[14:15], off offset:16
	s_waitcnt vmcnt(6)
	v_mad_i64_i32 v[14:15], s[40:41], v60, s45, 0
	v_lshl_add_u64 v[10:11], v[14:15], 1, v[10:11]
	s_waitcnt lgkmcnt(0)
	v_max_f32_e32 v14, v17, v17
	v_max_f32_e32 v36, v16, v14
	v_sub_f32_e32 v12, v12, v36
	v_mul_f32_e32 v12, 0x3fb8aa3b, v12
	v_exp_f32_e32 v40, v12
	v_sub_f32_e32 v12, v13, v36
	v_mul_f32_e32 v12, 0x3fb8aa3b, v12
	v_exp_f32_e32 v41, v12
	global_load_dwordx4 v[14:17], v[10:11], off
	s_nop 0
	global_load_dwordx4 v[10:13], v[10:11], off offset:16
	v_sub_f32_e32 v50, v50, v36
	v_mul_f32_e32 v50, 0x3fb8aa3b, v50
	v_sub_f32_e32 v51, v51, v36
	v_exp_f32_e32 v50, v50
	v_mul_f32_e32 v51, 0x3fb8aa3b, v51
	v_sub_f32_e32 v42, v42, v36
	v_exp_f32_e32 v51, v51
	v_mul_f32_e32 v42, 0x3fb8aa3b, v42
	v_sub_f32_e32 v43, v43, v36
	v_cndmask_b32_e64 v40, 0, v40, s[30:31]
	v_exp_f32_e32 v42, v42
	v_mul_f32_e32 v43, 0x3fb8aa3b, v43
	v_sub_f32_e32 v52, v52, v36
	v_add_f32_e32 v58, 0, v40
	v_cndmask_b32_e64 v41, 0, v41, s[34:35]
	v_exp_f32_e32 v43, v43
	v_mul_f32_e32 v52, 0x3fb8aa3b, v52
	v_sub_f32_e32 v53, v53, v36
	v_add_f32_e32 v58, v58, v41
	;; [unrolled: 5-line block ×10, first 2 shown]
	v_cndmask_b32_e64 v48, 0, v48, s[12:13]
	v_exp_f32_e32 v38, v38
	v_mul_f32_e32 v39, 0x3fb8aa3b, v39
	v_add_f32_e32 v58, v58, v48
	v_cndmask_b32_e64 v49, 0, v49, s[14:15]
	v_exp_f32_e32 v39, v39
	v_add_f32_e32 v58, v58, v49
	v_cndmask_b32_e64 v44, 0, v44, s[8:9]
	v_add_f32_e32 v58, v58, v44
	v_cndmask_b32_e64 v45, 0, v45, s[10:11]
	v_add_f32_e32 v58, v58, v45
	v_cndmask_b32_e32 v38, 0, v38, vcc
	v_add_f32_e32 v58, v58, v38
	v_cndmask_b32_e64 v39, 0, v39, s[6:7]
	v_add_f32_e32 v58, v58, v39
	ds_bpermute_b32 v57, v57, v58
	v_cmp_gt_u32_e64 s[6:7], 16, v56
	s_waitcnt lgkmcnt(0)
	s_barrier
	v_add_f32_e32 v58, v58, v57
	ds_bpermute_b32 v59, v59, v58
	v_lshlrev_b32_e32 v57, 2, v55
	s_and_saveexec_b64 s[8:9], s[6:7]
	s_cbranch_execz .LBB572_15
; %bb.14:
	s_waitcnt lgkmcnt(0)
	v_add_f32_e32 v56, v58, v59
	v_lshl_or_b32 v58, v54, 6, v57
	ds_write2st64_b32 v58, v36, v56 offset1:1
.LBB572_15:
	s_or_b64 exec, exec, s[8:9]
	s_load_dwordx2 s[8:9], s[0:1], 0x94
	s_waitcnt lgkmcnt(0)
	s_barrier
	ds_read2_b32 v[58:59], v57 offset1:16
	ds_read2_b32 v[60:61], v57 offset0:32 offset1:48
	ds_read2_b32 v[62:63], v57 offset0:64 offset1:80
	s_movk_i32 s12, 0x7fff
	s_mov_b32 s13, 0x7060302
	s_waitcnt lgkmcnt(2)
	v_max3_f32 v36, v58, s42, v59
	s_waitcnt lgkmcnt(1)
	v_max3_f32 v56, v36, v60, v61
	v_sub_f32_e32 v36, v58, v56
	v_sub_f32_e32 v58, v59, v56
	v_mul_f32_e32 v58, 0x3fb8aa3b, v58
	v_mul_f32_e32 v36, 0x3fb8aa3b, v36
	v_exp_f32_e32 v64, v58
	v_sub_f32_e32 v58, v60, v56
	v_exp_f32_e32 v36, v36
	v_mul_f32_e32 v58, 0x3fb8aa3b, v58
	v_exp_f32_e32 v60, v58
	ds_read2_b32 v[58:59], v57 offset0:96 offset1:112
	v_sub_f32_e32 v57, v61, v56
	v_mul_f32_e32 v57, 0x3fb8aa3b, v57
	v_exp_f32_e32 v61, v57
	s_waitcnt lgkmcnt(1)
	v_fma_f32 v57, v36, v62, 0
	v_fmac_f32_e32 v57, v64, v63
	s_waitcnt lgkmcnt(0)
	v_fmac_f32_e32 v57, v60, v58
	v_fmac_f32_e32 v57, v61, v59
	v_add_f32_e32 v58, 0x358637bd, v57
	v_div_scale_f32 v59, s[10:11], v58, v58, 1.0
	v_rcp_f32_e32 v62, v59
	s_barrier
	v_fma_f32 v63, -v59, v62, 1.0
	v_fmac_f32_e32 v62, v63, v62
	v_div_scale_f32 v63, vcc, 1.0, v58, 1.0
	v_mul_f32_e32 v65, v63, v62
	v_fma_f32 v66, -v59, v65, v63
	v_fmac_f32_e32 v65, v66, v62
	v_fma_f32 v59, -v59, v65, v63
	v_div_fmas_f32 v59, v59, v62, v65
	v_cmp_eq_u32_e32 vcc, 1, v54
	v_div_fixup_f32 v58, v59, v58, 1.0
	s_nop 0
	v_cndmask_b32_e32 v36, v36, v64, vcc
	v_cmp_eq_u32_e32 vcc, 2, v54
	s_nop 1
	v_cndmask_b32_e32 v36, v36, v60, vcc
	v_cmp_eq_u32_e32 vcc, 3, v54
	s_nop 1
	v_cndmask_b32_e32 v36, v36, v61, vcc
	v_mul_f32_e32 v58, v36, v58
	v_pk_mul_f32 v[40:41], v[58:59], v[40:41] op_sel_hi:[0,1]
	v_pk_mul_f32 v[50:51], v[58:59], v[50:51] op_sel_hi:[0,1]
	v_bfe_u32 v36, v41, 16, 1
	v_bfe_u32 v59, v40, 16, 1
	v_add3_u32 v40, v40, v59, s12
	v_add3_u32 v36, v41, v36, s12
	v_perm_b32 v60, v36, v40, s13
	v_bfe_u32 v36, v51, 16, 1
	v_bfe_u32 v40, v50, 16, 1
	v_add3_u32 v40, v50, v40, s12
	v_add3_u32 v36, v51, v36, s12
	v_perm_b32 v61, v36, v40, s13
	v_lshlrev_b32_e32 v36, 3, v1
	v_lshlrev_b32_e32 v40, 5, v55
	v_lshlrev_b32_e32 v41, 11, v54
	v_pk_mul_f32 v[42:43], v[58:59], v[42:43] op_sel_hi:[0,1]
	v_or3_b32 v36, v41, v40, v36
	v_pk_mul_f32 v[50:51], v[58:59], v[52:53] op_sel_hi:[0,1]
	v_bfe_u32 v41, v43, 16, 1
	v_bfe_u32 v52, v42, 16, 1
	v_add3_u32 v42, v42, v52, s12
	v_add3_u32 v41, v43, v41, s12
	v_perm_b32 v42, v41, v42, s13
	v_bfe_u32 v41, v51, 16, 1
	v_bfe_u32 v43, v50, 16, 1
	v_add3_u32 v43, v50, v43, s12
	v_add3_u32 v41, v51, v41, s12
	v_perm_b32 v43, v41, v43, s13
	v_pk_mul_f32 v[46:47], v[58:59], v[46:47] op_sel_hi:[0,1]
	ds_write2st64_b64 v36, v[60:61], v[42:43] offset1:1
	v_pk_mul_f32 v[42:43], v[58:59], v[48:49] op_sel_hi:[0,1]
	v_bfe_u32 v41, v47, 16, 1
	v_bfe_u32 v48, v46, 16, 1
	v_add3_u32 v46, v46, v48, s12
	v_add3_u32 v41, v47, v41, s12
	v_perm_b32 v46, v41, v46, s13
	v_bfe_u32 v41, v43, 16, 1
	v_bfe_u32 v47, v42, 16, 1
	v_add3_u32 v42, v42, v47, s12
	v_add3_u32 v41, v43, v41, s12
	v_perm_b32 v47, v41, v42, s13
	v_pk_mul_f32 v[42:43], v[58:59], v[44:45] op_sel_hi:[0,1]
	v_bfe_u32 v41, v43, 16, 1
	v_bfe_u32 v44, v42, 16, 1
	v_pk_mul_f32 v[38:39], v[58:59], v[38:39] op_sel_hi:[0,1]
	v_add3_u32 v42, v42, v44, s12
	v_add3_u32 v41, v43, v41, s12
	v_perm_b32 v42, v41, v42, s13
	v_bfe_u32 v41, v39, 16, 1
	v_bfe_u32 v43, v38, 16, 1
	v_add3_u32 v38, v38, v43, s12
	v_add3_u32 v39, v39, v41, s12
	v_perm_b32 v43, v39, v38, s13
	v_cmp_eq_u32_e32 vcc, 0, v0
	ds_write2st64_b64 v36, v[46:47], v[42:43] offset0:2 offset1:3
	s_and_saveexec_b64 s[10:11], vcc
	s_cbranch_execz .LBB572_17
; %bb.16:
	s_mul_i32 s3, s3, s9
	s_mul_hi_u32 s14, s2, s9
	s_add_i32 s14, s14, s3
	s_mul_i32 s3, s2, s9
	s_add_u32 s3, s3, s4
	s_addc_u32 s14, s14, 0
	s_load_dwordx4 s[16:19], s[0:1], 0x58
	s_mul_i32 s14, s14, s8
	s_mul_hi_u32 s15, s3, s8
	s_add_i32 s15, s15, s14
	s_mul_i32 s3, s3, s8
	s_add_u32 s14, s3, s5
	s_addc_u32 s15, s15, 0
	s_lshl_b64 s[14:15], s[14:15], 2
	s_waitcnt lgkmcnt(0)
	s_add_u32 s18, s18, s14
	s_addc_u32 s19, s19, s15
	s_add_u32 s14, s16, s14
	s_addc_u32 s15, s17, s15
	global_store_dword v37, v56, s[18:19]
	global_store_dword v37, v57, s[14:15]
.LBB572_17:
	s_or_b64 exec, exec, s[10:11]
	v_lshl_or_b32 v37, v1, 9, v40
	s_waitcnt lgkmcnt(0)
	s_barrier
	ds_read_b128 v[38:41], v37
	ds_read_b128 v[42:45], v37 offset:16
	s_waitcnt vmcnt(7) lgkmcnt(1)
	v_mfma_f32_16x16x16_bf16 v[46:49], v[6:7], v[38:39], 0
	v_cmp_gt_u32_e32 vcc, 64, v0
	s_and_b64 s[10:11], s[28:29], vcc
	s_mov_b32 s3, 0
	v_mfma_f32_16x16x16_bf16 v[6:9], v[8:9], v[40:41], v[46:49]
	s_and_b64 s[6:7], s[10:11], s[6:7]
	s_waitcnt vmcnt(6) lgkmcnt(0)
	v_mfma_f32_16x16x16_bf16 v[6:9], v[2:3], v[42:43], v[6:9]
	v_mfma_f32_16x16x16_bf16 v[2:5], v[4:5], v[44:45], v[6:9]
	s_nop 5
	ds_read_b128 v[6:9], v37 offset:2048
	ds_read_b128 v[38:41], v37 offset:2064
	s_waitcnt vmcnt(5) lgkmcnt(1)
	v_mfma_f32_16x16x16_bf16 v[2:5], v[30:31], v[6:7], v[2:5]
	v_mfma_f32_16x16x16_bf16 v[2:5], v[32:33], v[8:9], v[2:5]
	s_waitcnt vmcnt(4) lgkmcnt(0)
	v_mfma_f32_16x16x16_bf16 v[2:5], v[26:27], v[38:39], v[2:5]
	v_mfma_f32_16x16x16_bf16 v[2:5], v[28:29], v[40:41], v[2:5]
	ds_read_b128 v[6:9], v37 offset:4096
	ds_read_b128 v[26:29], v37 offset:4112
	s_waitcnt vmcnt(3) lgkmcnt(1)
	v_mfma_f32_16x16x16_bf16 v[2:5], v[22:23], v[6:7], v[2:5]
	v_mfma_f32_16x16x16_bf16 v[2:5], v[24:25], v[8:9], v[2:5]
	s_waitcnt vmcnt(2) lgkmcnt(0)
	v_mfma_f32_16x16x16_bf16 v[2:5], v[18:19], v[26:27], v[2:5]
	v_mfma_f32_16x16x16_bf16 v[2:5], v[20:21], v[28:29], v[2:5]
	ds_read_b128 v[6:9], v37 offset:6144
	ds_read_b128 v[18:21], v37 offset:6160
	s_waitcnt lgkmcnt(0)
	s_barrier
	s_waitcnt vmcnt(1)
	v_mfma_f32_16x16x16_bf16 v[2:5], v[14:15], v[6:7], v[2:5]
	v_mfma_f32_16x16x16_bf16 v[2:5], v[16:17], v[8:9], v[2:5]
	s_waitcnt vmcnt(0)
	v_mfma_f32_16x16x16_bf16 v[2:5], v[10:11], v[18:19], v[2:5]
	v_mfma_f32_16x16x16_bf16 v[2:5], v[12:13], v[20:21], v[2:5]
	s_nop 6
	v_bfe_u32 v6, v3, 16, 1
	v_bfe_u32 v7, v2, 16, 1
	;; [unrolled: 1-line block ×4, first 2 shown]
	v_add3_u32 v2, v2, v7, s12
	v_add3_u32 v3, v3, v6, s12
	;; [unrolled: 1-line block ×4, first 2 shown]
	v_perm_b32 v2, v3, v2, s13
	v_perm_b32 v3, v5, v4, s13
	ds_write_b64 v36, v[2:3]
	s_waitcnt lgkmcnt(0)
	s_barrier
	s_and_saveexec_b64 s[10:11], s[6:7]
	s_cbranch_execz .LBB572_19
; %bb.18:
	s_load_dwordx2 s[0:1], s[0:1], 0x68
	s_mul_i32 s2, s9, s2
	s_lshl_b32 s8, s8, 6
	s_mul_hi_u32 s7, s2, s8
	s_mul_i32 s6, s2, s8
	s_lshl_b64 s[6:7], s[6:7], 1
	s_waitcnt lgkmcnt(0)
	s_add_u32 s6, s0, s6
	v_lshlrev_b32_e32 v2, 10, v0
	v_lshlrev_b32_e32 v0, 4, v0
	s_addc_u32 s7, s1, s7
	s_lshl_b32 s2, s5, 6
	v_and_b32_e32 v2, 0x1800, v2
	v_lshlrev_b32_e32 v1, 5, v1
	v_and_b32_e32 v0, 16, v0
	s_lshl_b64 s[0:1], s[2:3], 1
	v_or3_b32 v0, v2, v1, v0
	s_add_u32 s2, s6, s0
	ds_read_b128 v[0:3], v0
	s_addc_u32 s3, s7, s1
	s_mul_hi_u32 s1, s8, s4
	s_mul_i32 s0, s8, s4
	s_lshl_b64 s[0:1], s[0:1], 1
	s_add_u32 s0, s2, s0
	s_addc_u32 s1, s3, s1
	v_lshl_add_u64 v[4:5], v[34:35], 1, s[0:1]
	s_waitcnt lgkmcnt(0)
	global_store_dwordx4 v[4:5], v[0:3], off
.LBB572_19:
	s_endpgm
	.section	.rodata,"a",@progbits
	.p2align	6, 0x0
	.amdhsa_kernel _Z39paged_attention_ll4mi_QKV_mfma16_kernelI14__hip_bfloat16S0_LN4vllm18Fp8KVCacheDataTypeE0ES0_Li32ELi64ELi256ELb0ELi1EEvPKT_PKT0_S8_ifPKiSA_SA_iPKfiiiPfSD_PS3_PT2_iSC_SC_
		.amdhsa_group_segment_fixed_size 8192
		.amdhsa_private_segment_fixed_size 0
		.amdhsa_kernarg_size 400
		.amdhsa_user_sgpr_count 2
		.amdhsa_user_sgpr_dispatch_ptr 0
		.amdhsa_user_sgpr_queue_ptr 0
		.amdhsa_user_sgpr_kernarg_segment_ptr 1
		.amdhsa_user_sgpr_dispatch_id 0
		.amdhsa_user_sgpr_kernarg_preload_length 0
		.amdhsa_user_sgpr_kernarg_preload_offset 0
		.amdhsa_user_sgpr_private_segment_size 0
		.amdhsa_uses_dynamic_stack 0
		.amdhsa_enable_private_segment 0
		.amdhsa_system_sgpr_workgroup_id_x 1
		.amdhsa_system_sgpr_workgroup_id_y 1
		.amdhsa_system_sgpr_workgroup_id_z 1
		.amdhsa_system_sgpr_workgroup_info 0
		.amdhsa_system_vgpr_workitem_id 0
		.amdhsa_next_free_vgpr 67
		.amdhsa_next_free_sgpr 48
		.amdhsa_accum_offset 68
		.amdhsa_reserve_vcc 1
		.amdhsa_float_round_mode_32 0
		.amdhsa_float_round_mode_16_64 0
		.amdhsa_float_denorm_mode_32 3
		.amdhsa_float_denorm_mode_16_64 3
		.amdhsa_dx10_clamp 1
		.amdhsa_ieee_mode 1
		.amdhsa_fp16_overflow 0
		.amdhsa_tg_split 0
		.amdhsa_exception_fp_ieee_invalid_op 0
		.amdhsa_exception_fp_denorm_src 0
		.amdhsa_exception_fp_ieee_div_zero 0
		.amdhsa_exception_fp_ieee_overflow 0
		.amdhsa_exception_fp_ieee_underflow 0
		.amdhsa_exception_fp_ieee_inexact 0
		.amdhsa_exception_int_div_zero 0
	.end_amdhsa_kernel
	.section	.text._Z39paged_attention_ll4mi_QKV_mfma16_kernelI14__hip_bfloat16S0_LN4vllm18Fp8KVCacheDataTypeE0ES0_Li32ELi64ELi256ELb0ELi1EEvPKT_PKT0_S8_ifPKiSA_SA_iPKfiiiPfSD_PS3_PT2_iSC_SC_,"axG",@progbits,_Z39paged_attention_ll4mi_QKV_mfma16_kernelI14__hip_bfloat16S0_LN4vllm18Fp8KVCacheDataTypeE0ES0_Li32ELi64ELi256ELb0ELi1EEvPKT_PKT0_S8_ifPKiSA_SA_iPKfiiiPfSD_PS3_PT2_iSC_SC_,comdat
.Lfunc_end572:
	.size	_Z39paged_attention_ll4mi_QKV_mfma16_kernelI14__hip_bfloat16S0_LN4vllm18Fp8KVCacheDataTypeE0ES0_Li32ELi64ELi256ELb0ELi1EEvPKT_PKT0_S8_ifPKiSA_SA_iPKfiiiPfSD_PS3_PT2_iSC_SC_, .Lfunc_end572-_Z39paged_attention_ll4mi_QKV_mfma16_kernelI14__hip_bfloat16S0_LN4vllm18Fp8KVCacheDataTypeE0ES0_Li32ELi64ELi256ELb0ELi1EEvPKT_PKT0_S8_ifPKiSA_SA_iPKfiiiPfSD_PS3_PT2_iSC_SC_
                                        ; -- End function
	.section	.AMDGPU.csdata,"",@progbits
; Kernel info:
; codeLenInByte = 3980
; NumSgprs: 54
; NumVgprs: 67
; NumAgprs: 0
; TotalNumVgprs: 67
; ScratchSize: 0
; MemoryBound: 0
; FloatMode: 240
; IeeeMode: 1
; LDSByteSize: 8192 bytes/workgroup (compile time only)
; SGPRBlocks: 6
; VGPRBlocks: 8
; NumSGPRsForWavesPerEU: 54
; NumVGPRsForWavesPerEU: 67
; AccumOffset: 68
; Occupancy: 7
; WaveLimiterHint : 1
; COMPUTE_PGM_RSRC2:SCRATCH_EN: 0
; COMPUTE_PGM_RSRC2:USER_SGPR: 2
; COMPUTE_PGM_RSRC2:TRAP_HANDLER: 0
; COMPUTE_PGM_RSRC2:TGID_X_EN: 1
; COMPUTE_PGM_RSRC2:TGID_Y_EN: 1
; COMPUTE_PGM_RSRC2:TGID_Z_EN: 1
; COMPUTE_PGM_RSRC2:TIDIG_COMP_CNT: 0
; COMPUTE_PGM_RSRC3_GFX90A:ACCUM_OFFSET: 16
; COMPUTE_PGM_RSRC3_GFX90A:TG_SPLIT: 0
	.section	.text._Z39paged_attention_ll4mi_QKV_mfma16_kernelI14__hip_bfloat16S0_LN4vllm18Fp8KVCacheDataTypeE0ES0_Li32ELi64ELi256ELb0ELi2EEvPKT_PKT0_S8_ifPKiSA_SA_iPKfiiiPfSD_PS3_PT2_iSC_SC_,"axG",@progbits,_Z39paged_attention_ll4mi_QKV_mfma16_kernelI14__hip_bfloat16S0_LN4vllm18Fp8KVCacheDataTypeE0ES0_Li32ELi64ELi256ELb0ELi2EEvPKT_PKT0_S8_ifPKiSA_SA_iPKfiiiPfSD_PS3_PT2_iSC_SC_,comdat
	.protected	_Z39paged_attention_ll4mi_QKV_mfma16_kernelI14__hip_bfloat16S0_LN4vllm18Fp8KVCacheDataTypeE0ES0_Li32ELi64ELi256ELb0ELi2EEvPKT_PKT0_S8_ifPKiSA_SA_iPKfiiiPfSD_PS3_PT2_iSC_SC_ ; -- Begin function _Z39paged_attention_ll4mi_QKV_mfma16_kernelI14__hip_bfloat16S0_LN4vllm18Fp8KVCacheDataTypeE0ES0_Li32ELi64ELi256ELb0ELi2EEvPKT_PKT0_S8_ifPKiSA_SA_iPKfiiiPfSD_PS3_PT2_iSC_SC_
	.globl	_Z39paged_attention_ll4mi_QKV_mfma16_kernelI14__hip_bfloat16S0_LN4vllm18Fp8KVCacheDataTypeE0ES0_Li32ELi64ELi256ELb0ELi2EEvPKT_PKT0_S8_ifPKiSA_SA_iPKfiiiPfSD_PS3_PT2_iSC_SC_
	.p2align	8
	.type	_Z39paged_attention_ll4mi_QKV_mfma16_kernelI14__hip_bfloat16S0_LN4vllm18Fp8KVCacheDataTypeE0ES0_Li32ELi64ELi256ELb0ELi2EEvPKT_PKT0_S8_ifPKiSA_SA_iPKfiiiPfSD_PS3_PT2_iSC_SC_,@function
_Z39paged_attention_ll4mi_QKV_mfma16_kernelI14__hip_bfloat16S0_LN4vllm18Fp8KVCacheDataTypeE0ES0_Li32ELi64ELi256ELb0ELi2EEvPKT_PKT0_S8_ifPKiSA_SA_iPKfiiiPfSD_PS3_PT2_iSC_SC_: ; @_Z39paged_attention_ll4mi_QKV_mfma16_kernelI14__hip_bfloat16S0_LN4vllm18Fp8KVCacheDataTypeE0ES0_Li32ELi64ELi256ELb0ELi2EEvPKT_PKT0_S8_ifPKiSA_SA_iPKfiiiPfSD_PS3_PT2_iSC_SC_
; %bb.0:
	s_load_dwordx2 s[6:7], s[0:1], 0x30
	s_mov_b32 s28, s3
	s_mov_b64 s[10:11], 0
	s_waitcnt lgkmcnt(0)
	s_cmp_lg_u64 s[6:7], 0
	s_cselect_b64 s[8:9], -1, 0
	s_and_b64 vcc, exec, s[8:9]
	s_cbranch_vccz .LBB573_7
; %bb.1:
	s_add_i32 s12, s2, 1
	s_mov_b32 s13, 0
	s_lshl_b64 s[14:15], s[12:13], 2
	s_add_u32 s14, s6, s14
	s_mov_b32 s3, s13
	s_addc_u32 s15, s7, s15
	s_lshl_b64 s[12:13], s[2:3], 2
	s_add_u32 s12, s6, s12
	s_addc_u32 s13, s7, s13
	s_load_dword s5, s[14:15], 0x0
	s_load_dword s16, s[12:13], 0x0
	s_waitcnt lgkmcnt(0)
	s_sub_i32 s5, s5, s16
	s_cmp_eq_u32 s5, 1
	s_cselect_b64 s[12:13], -1, 0
	s_andn2_b64 vcc, exec, s[10:11]
	s_cbranch_vccnz .LBB573_3
.LBB573_2:
	s_mov_b32 s3, 0
	s_mov_b64 s[12:13], -1
.LBB573_3:
	s_andn2_b64 vcc, exec, s[12:13]
	s_cbranch_vccnz .LBB573_19
; %bb.4:
	s_load_dwordx2 s[12:13], s[0:1], 0x28
	s_lshl_b64 s[10:11], s[2:3], 2
	s_waitcnt lgkmcnt(0)
	s_add_u32 s12, s12, s10
	s_addc_u32 s13, s13, s11
	s_load_dword s40, s[12:13], 0x0
	s_lshl_b32 s14, s28, 8
	s_waitcnt lgkmcnt(0)
	s_cmp_ge_i32 s14, s40
	s_cbranch_scc1 .LBB573_19
; %bb.5:
	s_load_dwordx2 s[12:13], s[0:1], 0x20
	s_load_dword s5, s[0:1], 0x38
	s_add_i32 s15, s40, 31
	s_ashr_i32 s16, s15, 31
	v_and_b32_e32 v1, 0xcf, v0
	s_lshr_b32 s16, s16, 27
	v_add_u32_e32 v1, s14, v1
	s_add_i32 s15, s15, s16
	v_ashrrev_i32_e32 v2, 31, v1
	s_ashr_i32 s15, s15, 5
	v_lshrrev_b32_e32 v10, 27, v2
	s_add_i32 s15, s15, -1
	s_waitcnt lgkmcnt(0)
	s_mul_i32 s16, s2, s5
	s_mov_b32 s17, 0
	v_add_u32_e32 v2, v1, v10
	s_lshl_b64 s[16:17], s[16:17], 2
	v_ashrrev_i32_e32 v2, 5, v2
	v_mov_b32_e32 v11, s15
	v_cmp_gt_i32_e32 vcc, s40, v1
	s_add_u32 s12, s12, s16
	s_addc_u32 s13, s13, s17
	v_cndmask_b32_e32 v2, v11, v2, vcc
	v_ashrrev_i32_e32 v3, 31, v2
	v_lshl_add_u64 v[4:5], v[2:3], 2, s[12:13]
	v_or_b32_e32 v2, 16, v1
	v_add_u32_e32 v3, v2, v10
	v_ashrrev_i32_e32 v3, 5, v3
	v_cmp_gt_i32_e32 vcc, s40, v2
	s_nop 1
	v_cndmask_b32_e32 v2, v11, v3, vcc
	v_ashrrev_i32_e32 v3, 31, v2
	v_lshl_add_u64 v[6:7], v[2:3], 2, s[12:13]
	v_or_b32_e32 v2, 32, v1
	v_add_u32_e32 v3, v2, v10
	v_ashrrev_i32_e32 v3, 5, v3
	v_cmp_gt_i32_e32 vcc, s40, v2
	v_or_b32_e32 v1, 48, v1
	s_nop 0
	v_cndmask_b32_e32 v2, v11, v3, vcc
	v_ashrrev_i32_e32 v3, 31, v2
	v_lshl_add_u64 v[8:9], v[2:3], 2, s[12:13]
	v_add_u32_e32 v2, v1, v10
	v_ashrrev_i32_e32 v2, 5, v2
	v_cmp_gt_i32_e32 vcc, s40, v1
	s_nop 1
	v_cndmask_b32_e32 v2, v11, v2, vcc
	v_ashrrev_i32_e32 v3, 31, v2
	v_lshl_add_u64 v[12:13], v[2:3], 2, s[12:13]
	global_load_dword v3, v[4:5], off
	global_load_dword v2, v[6:7], off
	;; [unrolled: 1-line block ×4, first 2 shown]
	s_andn2_b64 vcc, exec, s[8:9]
	s_cbranch_vccnz .LBB573_8
; %bb.6:
	s_add_u32 s6, s6, s10
	s_addc_u32 s7, s7, s11
	s_load_dword s5, s[6:7], 0x0
	s_branch .LBB573_9
.LBB573_7:
	s_mov_b64 s[12:13], 0
	s_branch .LBB573_2
.LBB573_8:
	s_mov_b32 s5, s2
.LBB573_9:
	s_load_dwordx4 s[8:11], s[0:1], 0x8
	s_load_dwordx4 s[44:47], s[0:1], 0x48
	v_lshrrev_b32_e32 v53, 6, v0
	v_bfe_u32 v1, v0, 4, 2
	v_lshl_or_b32 v4, v53, 2, v1
	v_and_b32_e32 v54, 15, v0
	v_cmp_lt_u32_e32 vcc, 1, v4
	v_cmp_lt_u32_e64 s[6:7], 7, v54
	v_lshlrev_b32_e32 v34, 3, v54
	v_cmp_gt_u32_e64 s[30:31], 8, v54
	s_or_b64 s[6:7], s[6:7], vcc
	s_and_saveexec_b64 s[16:17], s[6:7]
	s_xor_b64 s[6:7], exec, s[16:17]
; %bb.10:
	v_mov_b32_e32 v35, 0
                                        ; implicit-def: $vgpr4
; %bb.11:
	s_or_saveexec_b64 s[6:7], s[6:7]
	s_lshl_b32 s29, s4, 1
	v_and_b32_e32 v52, 63, v0
	s_xor_b64 exec, exec, s[6:7]
	s_cbranch_execz .LBB573_13
; %bb.12:
	s_load_dwordx2 s[16:17], s[0:1], 0x0
	s_waitcnt lgkmcnt(0)
	s_ashr_i32 s18, s44, 31
	s_mul_hi_u32 s19, s5, s44
	s_mul_i32 s18, s5, s18
	s_add_i32 s19, s19, s18
	s_mul_i32 s18, s5, s44
	s_lshl_b64 s[18:19], s[18:19], 1
	s_add_u32 s16, s16, s18
	v_add_lshl_u32 v6, v1, s29, 6
	s_addc_u32 s17, s17, s19
	v_ashrrev_i32_e32 v7, 31, v6
	v_mov_b32_e32 v35, 0
	v_lshl_add_u64 v[6:7], v[6:7], 1, s[16:17]
	v_lshlrev_b32_e32 v8, 1, v34
	v_mov_b32_e32 v9, v35
	v_lshl_add_u64 v[6:7], v[6:7], 0, v[8:9]
	global_load_dwordx4 v[6:9], v[6:7], off
	v_and_b32_e32 v5, 3, v0
	v_lshlrev_b32_e32 v11, 9, v54
	v_lshlrev_b32_e32 v4, 5, v4
	;; [unrolled: 1-line block ×3, first 2 shown]
	v_and_b32_e32 v11, 0x1800, v11
	v_or3_b32 v4, v11, v5, v4
	s_waitcnt vmcnt(0)
	ds_write_b128 v4, v[6:9]
.LBB573_13:
	s_or_b64 exec, exec, s[6:7]
	s_waitcnt lgkmcnt(0)
	s_mul_i32 s4, s4, s46
	s_mov_b32 s5, 0
	s_lshl_b64 s[4:5], s[4:5], 1
	s_add_u32 s8, s8, s4
	s_addc_u32 s9, s9, s5
	s_waitcnt vmcnt(3)
	v_mad_i64_i32 v[4:5], s[16:17], v3, s45, 0
	v_lshl_add_u64 v[4:5], v[4:5], 1, s[8:9]
	v_lshlrev_b64 v[12:13], 1, v[34:35]
	v_lshlrev_b32_e32 v36, 9, v1
	v_lshl_add_u64 v[4:5], v[4:5], 0, v[12:13]
	v_mov_b32_e32 v37, 0
	v_lshl_add_u64 v[20:21], v[4:5], 0, v[36:37]
	s_waitcnt vmcnt(2)
	v_mad_i64_i32 v[2:3], s[16:17], v2, s45, 0
	v_mov_b32_e32 v4, 0x100
	v_lshl_add_u64 v[2:3], v[2:3], 1, s[8:9]
	v_lshl_or_b32 v38, v54, 4, v4
	v_mov_b32_e32 v39, v37
	s_load_dword s33, s[0:1], 0x98
	s_load_dword s6, s[0:1], 0x1c
	s_waitcnt lgkmcnt(0)
	s_barrier
	v_lshl_add_u64 v[2:3], v[2:3], 0, v[38:39]
	global_load_dwordx4 v[6:9], v[20:21], off
	v_lshl_add_u64 v[22:23], v[2:3], 0, v[36:37]
	global_load_dwordx4 v[2:5], v[22:23], off
	global_load_dwordx4 v[26:29], v[22:23], off offset:2048
	s_waitcnt vmcnt(4)
	v_mad_i64_i32 v[10:11], s[16:17], v10, s45, 0
	v_lshl_add_u64 v[10:11], v[10:11], 1, s[8:9]
	v_lshl_add_u64 v[10:11], v[10:11], 0, v[12:13]
	;; [unrolled: 1-line block ×3, first 2 shown]
	global_load_dwordx4 v[10:13], v[20:21], off offset:2048
	global_load_dwordx4 v[14:17], v[24:25], off
	global_load_dwordx4 v[30:33], v[24:25], off offset:2048
	s_waitcnt vmcnt(6)
	v_mad_i64_i32 v[40:41], s[16:17], v18, s45, 0
	v_lshl_add_u64 v[40:41], v[40:41], 1, s[8:9]
	v_and_b32_e32 v19, 1, v0
	v_lshl_add_u64 v[38:39], v[40:41], 0, v[38:39]
	v_lshl_or_b32 v18, v19, 5, v36
	v_lshl_add_u64 v[38:39], v[38:39], 0, v[36:37]
	ds_read_b128 v[22:25], v18
	ds_read_b128 v[18:21], v18 offset:2048
	global_load_dwordx4 v[44:47], v[38:39], off
	global_load_dwordx4 v[60:63], v[38:39], off offset:2048
	s_ashr_i32 s7, s14, 31
	v_and_or_b32 v55, v0, 48, s14
	s_lshr_b32 s7, s7, 27
	v_add_u32_e32 v40, s7, v55
	v_mov_b32_e32 v64, s15
	v_or_b32_e32 v48, 64, v55
	v_ashrrev_i32_e32 v36, 5, v40
	v_cmp_gt_i32_e32 vcc, s40, v55
	v_add_u32_e32 v41, s7, v48
	v_ashrrev_i32_e32 v49, 5, v41
	v_cndmask_b32_e32 v40, v64, v36, vcc
	v_ashrrev_i32_e32 v41, 31, v40
	v_lshl_add_u64 v[40:41], v[40:41], 2, s[12:13]
	v_cmp_gt_i32_e32 vcc, s40, v48
	global_load_dword v65, v[40:41], off
	v_or_b32_e32 v39, 0x80, v55
	v_and_b32_e32 v36, 16, v0
	s_add_u32 s4, s10, s4
	v_lshlrev_b32_e32 v38, 6, v54
	s_addc_u32 s5, s11, s5
	v_lshlrev_b32_e32 v36, 1, v36
	s_mov_b32 s42, 0xff7fffff
	s_waitcnt vmcnt(8) lgkmcnt(1)
	v_mfma_f32_16x16x16_bf16 v[40:43], v[6:7], v[22:23], 0
	v_cndmask_b32_e32 v6, v64, v49, vcc
	v_ashrrev_i32_e32 v7, 31, v6
	v_cmp_gt_i32_e32 vcc, s40, v39
	s_waitcnt vmcnt(7)
	v_mfma_f32_16x16x16_bf16 v[48:51], v[2:3], v[22:23], 0
	v_lshl_add_u64 v[2:3], v[6:7], 2, s[12:13]
	global_load_dword v66, v[2:3], off
	v_mfma_f32_16x16x16_bf16 v[6:9], v[8:9], v[24:25], v[40:43]
	v_mfma_f32_16x16x16_bf16 v[2:5], v[4:5], v[24:25], v[48:51]
	s_nop 1
	v_or_b32_e32 v40, 0xc0, v55
	v_add_u32_e32 v41, s7, v39
	v_add_u32_e32 v42, s7, v40
	s_waitcnt vmcnt(6) lgkmcnt(0)
	v_mfma_f32_16x16x16_bf16 v[6:9], v[10:11], v[18:19], v[6:9]
	v_ashrrev_i32_e32 v41, 5, v41
	v_ashrrev_i32_e32 v43, 5, v42
	v_cndmask_b32_e32 v42, v64, v41, vcc
	s_waitcnt vmcnt(5)
	v_mfma_f32_16x16x16_bf16 v[56:59], v[14:15], v[22:23], 0
	v_cmp_gt_i32_e32 vcc, s40, v40
	v_lshl_add_u64 v[10:11], s[4:5], 0, v[36:37]
	v_lshl_or_b32 v36, v53, 10, v38
	v_mfma_f32_16x16x16_bf16 v[2:5], v[26:27], v[18:19], v[2:5]
	v_cndmask_b32_e32 v26, v64, v43, vcc
	v_ashrrev_i32_e32 v43, 31, v42
	v_ashrrev_i32_e32 v27, 31, v26
	v_mfma_f32_16x16x16_bf16 v[38:41], v[12:13], v[20:21], v[6:9]
	v_lshl_add_u64 v[10:11], v[10:11], 0, v[36:37]
	s_waitcnt vmcnt(0)
	v_mad_i64_i32 v[12:13], s[4:5], v66, s45, 0
	v_lshl_add_u64 v[6:7], v[42:43], 2, s[12:13]
	v_mfma_f32_16x16x16_bf16 v[14:17], v[16:17], v[24:25], v[56:59]
	v_lshl_add_u64 v[8:9], v[26:27], 2, s[12:13]
	global_load_dword v55, v[6:7], off
	s_nop 0
	global_load_dword v58, v[8:9], off
	v_lshl_add_u64 v[56:57], v[12:13], 1, v[10:11]
	v_mfma_f32_16x16x16_bf16 v[14:17], v[30:31], v[18:19], v[14:17]
	v_pk_mul_f32 v[12:13], s[6:7], v[38:39] op_sel_hi:[0,1]
	v_pk_mul_f32 v[48:49], s[6:7], v[40:41] op_sel_hi:[0,1]
	v_mfma_f32_16x16x16_bf16 v[14:17], v[32:33], v[20:21], v[14:17]
	v_mfma_f32_16x16x16_bf16 v[30:33], v[44:45], v[22:23], 0
	;; [unrolled: 1-line block ×3, first 2 shown]
	s_nop 4
	v_pk_mul_f32 v[46:47], s[6:7], v[16:17] op_sel_hi:[0,1]
	v_pk_mul_f32 v[44:45], s[6:7], v[14:15] op_sel_hi:[0,1]
	v_mfma_f32_16x16x16_bf16 v[22:25], v[60:61], v[18:19], v[22:25]
	v_mfma_f32_16x16x16_bf16 v[14:17], v[62:63], v[20:21], v[22:25]
	;; [unrolled: 1-line block ×3, first 2 shown]
	s_nop 5
	v_pk_mul_f32 v[42:43], s[6:7], v[14:15] op_sel_hi:[0,1]
	v_and_b32_e32 v14, 0xc0, v0
	v_add_u32_e32 v14, s14, v14
	v_lshl_or_b32 v14, v1, 2, v14
	v_mad_i64_i32 v[2:3], s[4:5], v65, s45, 0
	v_pk_mul_f32 v[36:37], s[6:7], v[16:17] op_sel_hi:[0,1]
	v_or_b32_e32 v17, 1, v14
	v_mov_b32_e32 v15, 0xff7fffff
	v_cmp_gt_i32_e64 s[4:5], s40, v14
	v_cmp_gt_i32_e64 s[34:35], s40, v17
	v_or_b32_e32 v18, 3, v14
	v_cndmask_b32_e64 v16, v15, v12, s[4:5]
	v_cndmask_b32_e64 v17, v15, v13, s[34:35]
	v_max3_f32 v16, v16, s42, v17
	v_or_b32_e32 v17, 2, v14
	v_cmp_gt_i32_e64 s[36:37], s40, v17
	v_cmp_gt_i32_e64 s[38:39], s40, v18
	v_pk_mul_f32 v[40:41], s[6:7], v[26:27] op_sel_hi:[0,1]
	v_cndmask_b32_e64 v17, v15, v48, s[36:37]
	v_cndmask_b32_e64 v18, v15, v49, s[38:39]
	v_max3_f32 v16, v16, v17, v18
	v_or_b32_e32 v17, 16, v14
	v_or_b32_e32 v18, 17, v14
	v_cmp_gt_i32_e64 s[24:25], s40, v17
	v_cmp_gt_i32_e64 s[26:27], s40, v18
	v_pk_mul_f32 v[50:51], s[6:7], v[28:29] op_sel_hi:[0,1]
	v_cndmask_b32_e64 v17, v15, v40, s[24:25]
	v_cndmask_b32_e64 v18, v15, v41, s[26:27]
	v_max3_f32 v16, v16, v17, v18
	v_or_b32_e32 v17, 18, v14
	v_or_b32_e32 v18, 19, v14
	v_cmp_gt_i32_e64 s[20:21], s40, v17
	v_cmp_gt_i32_e64 s[22:23], s40, v18
	v_lshl_add_u64 v[2:3], v[2:3], 1, v[10:11]
	v_cndmask_b32_e64 v17, v15, v50, s[20:21]
	v_cndmask_b32_e64 v18, v15, v51, s[22:23]
	v_max3_f32 v16, v16, v17, v18
	v_or_b32_e32 v17, 32, v14
	v_or_b32_e32 v18, 33, v14
	v_cmp_gt_i32_e64 s[16:17], s40, v17
	v_cmp_gt_i32_e64 s[18:19], s40, v18
	global_load_dwordx4 v[6:9], v[2:3], off
	s_nop 0
	global_load_dwordx4 v[2:5], v[2:3], off offset:16
	v_cndmask_b32_e64 v17, v15, v44, s[16:17]
	v_cndmask_b32_e64 v18, v15, v45, s[18:19]
	v_max3_f32 v16, v16, v17, v18
	v_or_b32_e32 v17, 34, v14
	v_or_b32_e32 v18, 35, v14
	v_cmp_gt_i32_e64 s[12:13], s40, v17
	v_cmp_gt_i32_e64 s[14:15], s40, v18
	global_load_dwordx4 v[30:33], v[56:57], off
	global_load_dwordx4 v[26:29], v[56:57], off offset:16
	v_cndmask_b32_e64 v17, v15, v46, s[12:13]
	v_cndmask_b32_e64 v18, v15, v47, s[14:15]
	v_max3_f32 v16, v16, v17, v18
	v_or_b32_e32 v17, 48, v14
	v_or_b32_e32 v18, 49, v14
	v_cmp_gt_i32_e64 s[8:9], s40, v17
	v_cmp_gt_i32_e64 s[10:11], s40, v18
	s_nop 0
	v_cndmask_b32_e64 v17, v15, v42, s[8:9]
	v_cndmask_b32_e64 v18, v15, v43, s[10:11]
	v_max3_f32 v16, v16, v17, v18
	v_or_b32_e32 v17, 50, v14
	v_or_b32_e32 v14, 51, v14
	v_cmp_gt_i32_e32 vcc, s40, v17
	v_cmp_gt_i32_e64 s[6:7], s40, v14
	s_nop 0
	v_cndmask_b32_e32 v17, v15, v36, vcc
	v_cndmask_b32_e64 v14, v15, v37, s[6:7]
	v_max3_f32 v16, v16, v17, v14
	v_mbcnt_lo_u32_b32 v14, -1, 0
	v_mbcnt_hi_u32_b32 v17, -1, v14
	v_and_b32_e32 v14, 64, v17
	v_add_u32_e32 v18, 64, v14
	v_xor_b32_e32 v14, 32, v17
	v_cmp_lt_i32_e64 s[40:41], v14, v18
	s_nop 1
	v_cndmask_b32_e64 v14, v17, v14, s[40:41]
	v_lshlrev_b32_e32 v59, 2, v14
	ds_bpermute_b32 v19, v59, v16
	s_waitcnt vmcnt(5)
	v_mad_i64_i32 v[14:15], s[40:41], v55, s45, 0
	v_lshl_add_u64 v[14:15], v[14:15], 1, v[10:11]
	s_waitcnt lgkmcnt(0)
	v_max_f32_e32 v19, v19, v19
	v_max_f32_e32 v16, v16, v19
	v_xor_b32_e32 v19, 16, v17
	v_cmp_lt_i32_e64 s[40:41], v19, v18
	s_nop 1
	v_cndmask_b32_e64 v17, v17, v19, s[40:41]
	v_lshlrev_b32_e32 v56, 2, v17
	ds_bpermute_b32 v17, v56, v16
	global_load_dwordx4 v[22:25], v[14:15], off
	global_load_dwordx4 v[18:21], v[14:15], off offset:16
	s_waitcnt vmcnt(6)
	v_mad_i64_i32 v[14:15], s[40:41], v58, s45, 0
	v_lshl_add_u64 v[10:11], v[14:15], 1, v[10:11]
	s_waitcnt lgkmcnt(0)
	v_max_f32_e32 v14, v17, v17
	v_max_f32_e32 v55, v16, v14
	v_sub_f32_e32 v12, v12, v55
	v_mul_f32_e32 v12, 0x3fb8aa3b, v12
	v_exp_f32_e32 v38, v12
	v_sub_f32_e32 v12, v13, v55
	v_mul_f32_e32 v12, 0x3fb8aa3b, v12
	v_exp_f32_e32 v39, v12
	global_load_dwordx4 v[14:17], v[10:11], off
	s_nop 0
	global_load_dwordx4 v[10:13], v[10:11], off offset:16
	v_sub_f32_e32 v48, v48, v55
	v_mul_f32_e32 v48, 0x3fb8aa3b, v48
	v_sub_f32_e32 v49, v49, v55
	v_exp_f32_e32 v48, v48
	v_mul_f32_e32 v49, 0x3fb8aa3b, v49
	v_sub_f32_e32 v40, v40, v55
	v_exp_f32_e32 v49, v49
	v_mul_f32_e32 v40, 0x3fb8aa3b, v40
	v_sub_f32_e32 v41, v41, v55
	v_cndmask_b32_e64 v38, 0, v38, s[4:5]
	v_exp_f32_e32 v40, v40
	v_mul_f32_e32 v41, 0x3fb8aa3b, v41
	v_sub_f32_e32 v50, v50, v55
	v_add_f32_e32 v57, 0, v38
	v_cndmask_b32_e64 v39, 0, v39, s[34:35]
	v_exp_f32_e32 v41, v41
	v_mul_f32_e32 v50, 0x3fb8aa3b, v50
	v_sub_f32_e32 v51, v51, v55
	v_add_f32_e32 v57, v57, v39
	;; [unrolled: 5-line block ×10, first 2 shown]
	v_cndmask_b32_e64 v46, 0, v46, s[12:13]
	v_exp_f32_e32 v36, v36
	v_mul_f32_e32 v37, 0x3fb8aa3b, v37
	v_add_f32_e32 v57, v57, v46
	v_cndmask_b32_e64 v47, 0, v47, s[14:15]
	v_exp_f32_e32 v37, v37
	v_add_f32_e32 v57, v57, v47
	v_cndmask_b32_e64 v42, 0, v42, s[8:9]
	v_add_f32_e32 v57, v57, v42
	v_cndmask_b32_e64 v43, 0, v43, s[10:11]
	v_add_f32_e32 v57, v57, v43
	v_cndmask_b32_e32 v36, 0, v36, vcc
	v_add_f32_e32 v57, v57, v36
	v_cndmask_b32_e64 v37, 0, v37, s[6:7]
	v_add_f32_e32 v57, v57, v37
	ds_bpermute_b32 v58, v59, v57
	v_cmp_gt_u32_e32 vcc, 16, v52
	s_waitcnt lgkmcnt(0)
	s_barrier
	v_add_f32_e32 v57, v57, v58
	ds_bpermute_b32 v58, v56, v57
	v_lshlrev_b32_e32 v56, 2, v54
	s_and_saveexec_b64 s[4:5], vcc
	s_cbranch_execz .LBB573_15
; %bb.14:
	s_waitcnt lgkmcnt(0)
	v_add_f32_e32 v57, v57, v58
	v_lshl_or_b32 v58, v53, 6, v56
	ds_write2st64_b32 v58, v55, v57 offset1:1
.LBB573_15:
	s_or_b64 exec, exec, s[4:5]
	s_load_dword s6, s[0:1], 0x94
	s_waitcnt lgkmcnt(0)
	s_barrier
	ds_read2_b32 v[58:59], v56 offset1:16
	ds_read2_b32 v[60:61], v56 offset0:32 offset1:48
	ds_read2_b32 v[62:63], v56 offset0:64 offset1:80
	s_movk_i32 s8, 0x7fff
	s_mov_b32 s9, 0x7060302
	s_waitcnt lgkmcnt(2)
	v_max3_f32 v55, v58, s42, v59
	s_waitcnt lgkmcnt(1)
	v_max3_f32 v55, v55, v60, v61
	v_sub_f32_e32 v57, v58, v55
	v_sub_f32_e32 v58, v59, v55
	v_mul_f32_e32 v58, 0x3fb8aa3b, v58
	v_mul_f32_e32 v57, 0x3fb8aa3b, v57
	v_exp_f32_e32 v64, v58
	v_sub_f32_e32 v58, v60, v55
	v_exp_f32_e32 v57, v57
	v_mul_f32_e32 v58, 0x3fb8aa3b, v58
	v_exp_f32_e32 v60, v58
	ds_read2_b32 v[58:59], v56 offset0:96 offset1:112
	v_sub_f32_e32 v56, v61, v55
	v_mul_f32_e32 v56, 0x3fb8aa3b, v56
	v_exp_f32_e32 v61, v56
	s_waitcnt lgkmcnt(1)
	v_fma_f32 v56, v57, v62, 0
	v_fmac_f32_e32 v56, v64, v63
	s_waitcnt lgkmcnt(0)
	v_fmac_f32_e32 v56, v60, v58
	v_fmac_f32_e32 v56, v61, v59
	v_add_f32_e32 v58, 0x358637bd, v56
	v_div_scale_f32 v59, s[4:5], v58, v58, 1.0
	v_rcp_f32_e32 v62, v59
	s_barrier
	v_fma_f32 v63, -v59, v62, 1.0
	v_fmac_f32_e32 v62, v63, v62
	v_div_scale_f32 v63, vcc, 1.0, v58, 1.0
	v_mul_f32_e32 v65, v63, v62
	v_fma_f32 v66, -v59, v65, v63
	v_fmac_f32_e32 v65, v66, v62
	v_fma_f32 v59, -v59, v65, v63
	v_div_fmas_f32 v59, v59, v62, v65
	v_cmp_eq_u32_e32 vcc, 1, v53
	v_div_fixup_f32 v58, v59, v58, 1.0
	s_lshl_b32 s7, s33, 1
	v_cndmask_b32_e32 v57, v57, v64, vcc
	v_cmp_eq_u32_e32 vcc, 2, v53
	s_nop 1
	v_cndmask_b32_e32 v57, v57, v60, vcc
	v_cmp_eq_u32_e32 vcc, 3, v53
	s_nop 1
	v_cndmask_b32_e32 v57, v57, v61, vcc
	v_mul_f32_e32 v58, v57, v58
	v_pk_mul_f32 v[38:39], v[58:59], v[38:39] op_sel_hi:[0,1]
	v_pk_mul_f32 v[48:49], v[58:59], v[48:49] op_sel_hi:[0,1]
	v_bfe_u32 v57, v39, 16, 1
	v_bfe_u32 v59, v38, 16, 1
	v_add3_u32 v38, v38, v59, s8
	v_add3_u32 v39, v39, v57, s8
	v_perm_b32 v60, v39, v38, s9
	v_bfe_u32 v38, v49, 16, 1
	v_bfe_u32 v39, v48, 16, 1
	v_add3_u32 v39, v48, v39, s8
	v_add3_u32 v38, v49, v38, s8
	v_perm_b32 v61, v38, v39, s9
	v_lshlrev_b32_e32 v38, 3, v1
	v_lshlrev_b32_e32 v39, 5, v54
	;; [unrolled: 1-line block ×3, first 2 shown]
	v_pk_mul_f32 v[40:41], v[58:59], v[40:41] op_sel_hi:[0,1]
	v_or3_b32 v38, v48, v39, v38
	v_pk_mul_f32 v[48:49], v[58:59], v[50:51] op_sel_hi:[0,1]
	v_bfe_u32 v50, v41, 16, 1
	v_bfe_u32 v51, v40, 16, 1
	v_add3_u32 v40, v40, v51, s8
	v_add3_u32 v41, v41, v50, s8
	v_perm_b32 v40, v41, v40, s9
	v_bfe_u32 v41, v49, 16, 1
	v_bfe_u32 v50, v48, 16, 1
	v_add3_u32 v48, v48, v50, s8
	v_add3_u32 v41, v49, v41, s8
	v_perm_b32 v41, v41, v48, s9
	v_pk_mul_f32 v[44:45], v[58:59], v[44:45] op_sel_hi:[0,1]
	ds_write2st64_b64 v38, v[60:61], v[40:41] offset1:1
	v_pk_mul_f32 v[40:41], v[58:59], v[46:47] op_sel_hi:[0,1]
	v_bfe_u32 v46, v45, 16, 1
	v_bfe_u32 v47, v44, 16, 1
	v_add3_u32 v44, v44, v47, s8
	v_add3_u32 v45, v45, v46, s8
	v_perm_b32 v44, v45, v44, s9
	v_bfe_u32 v45, v41, 16, 1
	v_bfe_u32 v46, v40, 16, 1
	v_add3_u32 v40, v40, v46, s8
	v_add3_u32 v41, v41, v45, s8
	v_perm_b32 v45, v41, v40, s9
	v_pk_mul_f32 v[40:41], v[58:59], v[42:43] op_sel_hi:[0,1]
	v_bfe_u32 v42, v41, 16, 1
	v_bfe_u32 v43, v40, 16, 1
	v_pk_mul_f32 v[36:37], v[58:59], v[36:37] op_sel_hi:[0,1]
	v_add3_u32 v40, v40, v43, s8
	v_add3_u32 v41, v41, v42, s8
	v_perm_b32 v40, v41, v40, s9
	v_bfe_u32 v41, v37, 16, 1
	v_bfe_u32 v42, v36, 16, 1
	v_add3_u32 v36, v36, v42, s8
	v_add3_u32 v37, v37, v41, s8
	v_perm_b32 v41, v37, v36, s9
	v_cmp_gt_u32_e32 vcc, 2, v0
	ds_write2st64_b64 v38, v[44:45], v[40:41] offset0:2 offset1:3
	s_and_saveexec_b64 s[4:5], vcc
	s_cbranch_execz .LBB573_17
; %bb.16:
	v_or_b32_e32 v36, s29, v0
	v_mov_b32_e32 v37, 0
	v_mov_b32_e32 v40, s7
	v_mad_u64_u32 v[40:41], s[10:11], s2, v40, v[36:37]
	v_mov_b32_e32 v36, s28
	s_load_dwordx4 s[12:15], s[0:1], 0x58
	s_mul_i32 s3, s3, s7
	v_mad_u64_u32 v[36:37], s[10:11], v40, s6, v[36:37]
	v_add_u32_e32 v41, s3, v41
	v_mov_b32_e32 v40, v37
	v_mad_u64_u32 v[40:41], s[10:11], v41, s6, v[40:41]
	v_mov_b32_e32 v37, v40
	v_lshlrev_b64 v[36:37], 2, v[36:37]
	s_waitcnt lgkmcnt(0)
	v_lshl_add_u64 v[40:41], s[14:15], 0, v[36:37]
	v_lshl_add_u64 v[36:37], s[12:13], 0, v[36:37]
	global_store_dword v[40:41], v55, off
	global_store_dword v[36:37], v56, off
.LBB573_17:
	s_or_b64 exec, exec, s[4:5]
	v_lshl_or_b32 v36, v1, 9, v39
	s_waitcnt lgkmcnt(0)
	s_barrier
	ds_read_b128 v[40:43], v36
	ds_read_b128 v[44:47], v36 offset:16
	s_waitcnt vmcnt(7) lgkmcnt(1)
	v_mfma_f32_16x16x16_bf16 v[48:51], v[6:7], v[40:41], 0
	v_cmp_gt_u32_e32 vcc, 64, v0
	v_cmp_gt_u32_e64 s[4:5], 32, v52
	s_and_b64 s[4:5], s[4:5], vcc
	v_mfma_f32_16x16x16_bf16 v[6:9], v[8:9], v[42:43], v[48:51]
	s_mov_b32 s3, 0
	s_and_b64 s[4:5], s[4:5], s[30:31]
	s_waitcnt vmcnt(6) lgkmcnt(0)
	v_mfma_f32_16x16x16_bf16 v[6:9], v[2:3], v[44:45], v[6:9]
	v_mfma_f32_16x16x16_bf16 v[2:5], v[4:5], v[46:47], v[6:9]
	s_nop 5
	ds_read_b128 v[6:9], v36 offset:2048
	ds_read_b128 v[40:43], v36 offset:2064
	s_waitcnt vmcnt(5) lgkmcnt(1)
	v_mfma_f32_16x16x16_bf16 v[2:5], v[30:31], v[6:7], v[2:5]
	v_mfma_f32_16x16x16_bf16 v[2:5], v[32:33], v[8:9], v[2:5]
	s_waitcnt vmcnt(4) lgkmcnt(0)
	v_mfma_f32_16x16x16_bf16 v[2:5], v[26:27], v[40:41], v[2:5]
	v_mfma_f32_16x16x16_bf16 v[2:5], v[28:29], v[42:43], v[2:5]
	ds_read_b128 v[6:9], v36 offset:4096
	ds_read_b128 v[26:29], v36 offset:4112
	s_waitcnt vmcnt(3) lgkmcnt(1)
	v_mfma_f32_16x16x16_bf16 v[2:5], v[22:23], v[6:7], v[2:5]
	v_mfma_f32_16x16x16_bf16 v[2:5], v[24:25], v[8:9], v[2:5]
	s_waitcnt vmcnt(2) lgkmcnt(0)
	v_mfma_f32_16x16x16_bf16 v[2:5], v[18:19], v[26:27], v[2:5]
	v_mfma_f32_16x16x16_bf16 v[2:5], v[20:21], v[28:29], v[2:5]
	ds_read_b128 v[6:9], v36 offset:6144
	ds_read_b128 v[18:21], v36 offset:6160
	s_waitcnt lgkmcnt(0)
	s_barrier
	s_waitcnt vmcnt(1)
	v_mfma_f32_16x16x16_bf16 v[2:5], v[14:15], v[6:7], v[2:5]
	v_mfma_f32_16x16x16_bf16 v[2:5], v[16:17], v[8:9], v[2:5]
	s_waitcnt vmcnt(0)
	v_mfma_f32_16x16x16_bf16 v[2:5], v[10:11], v[18:19], v[2:5]
	v_mfma_f32_16x16x16_bf16 v[2:5], v[12:13], v[20:21], v[2:5]
	s_nop 6
	v_bfe_u32 v6, v3, 16, 1
	v_bfe_u32 v7, v2, 16, 1
	;; [unrolled: 1-line block ×4, first 2 shown]
	v_add3_u32 v2, v2, v7, s8
	v_add3_u32 v3, v3, v6, s8
	;; [unrolled: 1-line block ×4, first 2 shown]
	v_perm_b32 v2, v3, v2, s9
	v_perm_b32 v3, v5, v4, s9
	ds_write_b64 v38, v[2:3]
	s_waitcnt lgkmcnt(0)
	s_barrier
	s_and_saveexec_b64 s[8:9], s[4:5]
	s_cbranch_execz .LBB573_19
; %bb.18:
	s_load_dwordx2 s[0:1], s[0:1], 0x68
	s_mul_i32 s2, s7, s2
	s_lshl_b32 s6, s6, 6
	s_mul_hi_u32 s5, s2, s6
	s_mul_i32 s4, s2, s6
	v_lshlrev_b32_e32 v2, 10, v0
	v_lshlrev_b32_e32 v0, 4, v0
	s_lshl_b64 s[4:5], s[4:5], 1
	v_and_b32_e32 v2, 0x1800, v2
	v_lshlrev_b32_e32 v3, 5, v1
	v_and_b32_e32 v0, 16, v0
	s_waitcnt lgkmcnt(0)
	s_add_u32 s4, s0, s4
	v_or3_b32 v0, v2, v3, v0
	s_addc_u32 s5, s1, s5
	s_lshl_b32 s2, s28, 6
	ds_read_b128 v[2:5], v0
	s_lshl_b64 s[0:1], s[2:3], 1
	s_add_u32 s0, s4, s0
	v_or_b32_e32 v0, s29, v1
	s_addc_u32 s1, s5, s1
	v_mad_u64_u32 v[0:1], s[2:3], s6, v0, 0
	v_lshl_add_u64 v[0:1], v[0:1], 1, s[0:1]
	v_lshl_add_u64 v[0:1], v[34:35], 1, v[0:1]
	s_waitcnt lgkmcnt(0)
	global_store_dwordx4 v[0:1], v[2:5], off
.LBB573_19:
	s_endpgm
	.section	.rodata,"a",@progbits
	.p2align	6, 0x0
	.amdhsa_kernel _Z39paged_attention_ll4mi_QKV_mfma16_kernelI14__hip_bfloat16S0_LN4vllm18Fp8KVCacheDataTypeE0ES0_Li32ELi64ELi256ELb0ELi2EEvPKT_PKT0_S8_ifPKiSA_SA_iPKfiiiPfSD_PS3_PT2_iSC_SC_
		.amdhsa_group_segment_fixed_size 8192
		.amdhsa_private_segment_fixed_size 0
		.amdhsa_kernarg_size 400
		.amdhsa_user_sgpr_count 2
		.amdhsa_user_sgpr_dispatch_ptr 0
		.amdhsa_user_sgpr_queue_ptr 0
		.amdhsa_user_sgpr_kernarg_segment_ptr 1
		.amdhsa_user_sgpr_dispatch_id 0
		.amdhsa_user_sgpr_kernarg_preload_length 0
		.amdhsa_user_sgpr_kernarg_preload_offset 0
		.amdhsa_user_sgpr_private_segment_size 0
		.amdhsa_uses_dynamic_stack 0
		.amdhsa_enable_private_segment 0
		.amdhsa_system_sgpr_workgroup_id_x 1
		.amdhsa_system_sgpr_workgroup_id_y 1
		.amdhsa_system_sgpr_workgroup_id_z 1
		.amdhsa_system_sgpr_workgroup_info 0
		.amdhsa_system_vgpr_workitem_id 0
		.amdhsa_next_free_vgpr 67
		.amdhsa_next_free_sgpr 48
		.amdhsa_accum_offset 68
		.amdhsa_reserve_vcc 1
		.amdhsa_float_round_mode_32 0
		.amdhsa_float_round_mode_16_64 0
		.amdhsa_float_denorm_mode_32 3
		.amdhsa_float_denorm_mode_16_64 3
		.amdhsa_dx10_clamp 1
		.amdhsa_ieee_mode 1
		.amdhsa_fp16_overflow 0
		.amdhsa_tg_split 0
		.amdhsa_exception_fp_ieee_invalid_op 0
		.amdhsa_exception_fp_denorm_src 0
		.amdhsa_exception_fp_ieee_div_zero 0
		.amdhsa_exception_fp_ieee_overflow 0
		.amdhsa_exception_fp_ieee_underflow 0
		.amdhsa_exception_fp_ieee_inexact 0
		.amdhsa_exception_int_div_zero 0
	.end_amdhsa_kernel
	.section	.text._Z39paged_attention_ll4mi_QKV_mfma16_kernelI14__hip_bfloat16S0_LN4vllm18Fp8KVCacheDataTypeE0ES0_Li32ELi64ELi256ELb0ELi2EEvPKT_PKT0_S8_ifPKiSA_SA_iPKfiiiPfSD_PS3_PT2_iSC_SC_,"axG",@progbits,_Z39paged_attention_ll4mi_QKV_mfma16_kernelI14__hip_bfloat16S0_LN4vllm18Fp8KVCacheDataTypeE0ES0_Li32ELi64ELi256ELb0ELi2EEvPKT_PKT0_S8_ifPKiSA_SA_iPKfiiiPfSD_PS3_PT2_iSC_SC_,comdat
.Lfunc_end573:
	.size	_Z39paged_attention_ll4mi_QKV_mfma16_kernelI14__hip_bfloat16S0_LN4vllm18Fp8KVCacheDataTypeE0ES0_Li32ELi64ELi256ELb0ELi2EEvPKT_PKT0_S8_ifPKiSA_SA_iPKfiiiPfSD_PS3_PT2_iSC_SC_, .Lfunc_end573-_Z39paged_attention_ll4mi_QKV_mfma16_kernelI14__hip_bfloat16S0_LN4vllm18Fp8KVCacheDataTypeE0ES0_Li32ELi64ELi256ELb0ELi2EEvPKT_PKT0_S8_ifPKiSA_SA_iPKfiiiPfSD_PS3_PT2_iSC_SC_
                                        ; -- End function
	.section	.AMDGPU.csdata,"",@progbits
; Kernel info:
; codeLenInByte = 4052
; NumSgprs: 54
; NumVgprs: 67
; NumAgprs: 0
; TotalNumVgprs: 67
; ScratchSize: 0
; MemoryBound: 0
; FloatMode: 240
; IeeeMode: 1
; LDSByteSize: 8192 bytes/workgroup (compile time only)
; SGPRBlocks: 6
; VGPRBlocks: 8
; NumSGPRsForWavesPerEU: 54
; NumVGPRsForWavesPerEU: 67
; AccumOffset: 68
; Occupancy: 7
; WaveLimiterHint : 1
; COMPUTE_PGM_RSRC2:SCRATCH_EN: 0
; COMPUTE_PGM_RSRC2:USER_SGPR: 2
; COMPUTE_PGM_RSRC2:TRAP_HANDLER: 0
; COMPUTE_PGM_RSRC2:TGID_X_EN: 1
; COMPUTE_PGM_RSRC2:TGID_Y_EN: 1
; COMPUTE_PGM_RSRC2:TGID_Z_EN: 1
; COMPUTE_PGM_RSRC2:TIDIG_COMP_CNT: 0
; COMPUTE_PGM_RSRC3_GFX90A:ACCUM_OFFSET: 16
; COMPUTE_PGM_RSRC3_GFX90A:TG_SPLIT: 0
	.section	.text._Z39paged_attention_ll4mi_QKV_mfma16_kernelI14__hip_bfloat16S0_LN4vllm18Fp8KVCacheDataTypeE0ES0_Li32ELi64ELi256ELb0ELi3EEvPKT_PKT0_S8_ifPKiSA_SA_iPKfiiiPfSD_PS3_PT2_iSC_SC_,"axG",@progbits,_Z39paged_attention_ll4mi_QKV_mfma16_kernelI14__hip_bfloat16S0_LN4vllm18Fp8KVCacheDataTypeE0ES0_Li32ELi64ELi256ELb0ELi3EEvPKT_PKT0_S8_ifPKiSA_SA_iPKfiiiPfSD_PS3_PT2_iSC_SC_,comdat
	.protected	_Z39paged_attention_ll4mi_QKV_mfma16_kernelI14__hip_bfloat16S0_LN4vllm18Fp8KVCacheDataTypeE0ES0_Li32ELi64ELi256ELb0ELi3EEvPKT_PKT0_S8_ifPKiSA_SA_iPKfiiiPfSD_PS3_PT2_iSC_SC_ ; -- Begin function _Z39paged_attention_ll4mi_QKV_mfma16_kernelI14__hip_bfloat16S0_LN4vllm18Fp8KVCacheDataTypeE0ES0_Li32ELi64ELi256ELb0ELi3EEvPKT_PKT0_S8_ifPKiSA_SA_iPKfiiiPfSD_PS3_PT2_iSC_SC_
	.globl	_Z39paged_attention_ll4mi_QKV_mfma16_kernelI14__hip_bfloat16S0_LN4vllm18Fp8KVCacheDataTypeE0ES0_Li32ELi64ELi256ELb0ELi3EEvPKT_PKT0_S8_ifPKiSA_SA_iPKfiiiPfSD_PS3_PT2_iSC_SC_
	.p2align	8
	.type	_Z39paged_attention_ll4mi_QKV_mfma16_kernelI14__hip_bfloat16S0_LN4vllm18Fp8KVCacheDataTypeE0ES0_Li32ELi64ELi256ELb0ELi3EEvPKT_PKT0_S8_ifPKiSA_SA_iPKfiiiPfSD_PS3_PT2_iSC_SC_,@function
_Z39paged_attention_ll4mi_QKV_mfma16_kernelI14__hip_bfloat16S0_LN4vllm18Fp8KVCacheDataTypeE0ES0_Li32ELi64ELi256ELb0ELi3EEvPKT_PKT0_S8_ifPKiSA_SA_iPKfiiiPfSD_PS3_PT2_iSC_SC_: ; @_Z39paged_attention_ll4mi_QKV_mfma16_kernelI14__hip_bfloat16S0_LN4vllm18Fp8KVCacheDataTypeE0ES0_Li32ELi64ELi256ELb0ELi3EEvPKT_PKT0_S8_ifPKiSA_SA_iPKfiiiPfSD_PS3_PT2_iSC_SC_
; %bb.0:
	s_load_dwordx2 s[6:7], s[0:1], 0x30
	s_mov_b32 s28, s3
	s_mov_b64 s[10:11], 0
	s_waitcnt lgkmcnt(0)
	s_cmp_lg_u64 s[6:7], 0
	s_cselect_b64 s[8:9], -1, 0
	s_and_b64 vcc, exec, s[8:9]
	s_cbranch_vccz .LBB574_7
; %bb.1:
	s_add_i32 s12, s2, 1
	s_mov_b32 s13, 0
	s_lshl_b64 s[14:15], s[12:13], 2
	s_add_u32 s14, s6, s14
	s_mov_b32 s3, s13
	s_addc_u32 s15, s7, s15
	s_lshl_b64 s[12:13], s[2:3], 2
	s_add_u32 s12, s6, s12
	s_addc_u32 s13, s7, s13
	s_load_dword s5, s[14:15], 0x0
	s_load_dword s16, s[12:13], 0x0
	s_waitcnt lgkmcnt(0)
	s_sub_i32 s5, s5, s16
	s_cmp_eq_u32 s5, 1
	s_cselect_b64 s[12:13], -1, 0
	s_andn2_b64 vcc, exec, s[10:11]
	s_cbranch_vccnz .LBB574_3
.LBB574_2:
	s_mov_b32 s3, 0
	s_mov_b64 s[12:13], -1
.LBB574_3:
	s_andn2_b64 vcc, exec, s[12:13]
	s_cbranch_vccnz .LBB574_19
; %bb.4:
	s_load_dwordx2 s[12:13], s[0:1], 0x28
	s_lshl_b64 s[10:11], s[2:3], 2
	s_waitcnt lgkmcnt(0)
	s_add_u32 s12, s12, s10
	s_addc_u32 s13, s13, s11
	s_load_dword s33, s[12:13], 0x0
	s_lshl_b32 s14, s28, 8
	s_waitcnt lgkmcnt(0)
	s_cmp_ge_i32 s14, s33
	s_cbranch_scc1 .LBB574_19
; %bb.5:
	s_load_dwordx2 s[12:13], s[0:1], 0x20
	s_load_dword s5, s[0:1], 0x38
	s_add_i32 s15, s33, 31
	s_ashr_i32 s16, s15, 31
	v_and_b32_e32 v1, 0xcf, v0
	s_lshr_b32 s16, s16, 27
	v_add_u32_e32 v1, s14, v1
	s_add_i32 s15, s15, s16
	v_ashrrev_i32_e32 v2, 31, v1
	s_ashr_i32 s15, s15, 5
	v_lshrrev_b32_e32 v10, 27, v2
	s_add_i32 s15, s15, -1
	s_waitcnt lgkmcnt(0)
	s_mul_i32 s16, s2, s5
	s_mov_b32 s17, 0
	v_add_u32_e32 v2, v1, v10
	s_lshl_b64 s[16:17], s[16:17], 2
	v_ashrrev_i32_e32 v2, 5, v2
	v_mov_b32_e32 v11, s15
	v_cmp_gt_i32_e32 vcc, s33, v1
	s_add_u32 s12, s12, s16
	s_addc_u32 s13, s13, s17
	v_cndmask_b32_e32 v2, v11, v2, vcc
	v_ashrrev_i32_e32 v3, 31, v2
	v_lshl_add_u64 v[4:5], v[2:3], 2, s[12:13]
	v_or_b32_e32 v2, 16, v1
	v_add_u32_e32 v3, v2, v10
	v_ashrrev_i32_e32 v3, 5, v3
	v_cmp_gt_i32_e32 vcc, s33, v2
	s_nop 1
	v_cndmask_b32_e32 v2, v11, v3, vcc
	v_ashrrev_i32_e32 v3, 31, v2
	v_lshl_add_u64 v[6:7], v[2:3], 2, s[12:13]
	v_or_b32_e32 v2, 32, v1
	v_add_u32_e32 v3, v2, v10
	v_ashrrev_i32_e32 v3, 5, v3
	v_cmp_gt_i32_e32 vcc, s33, v2
	v_or_b32_e32 v1, 48, v1
	s_nop 0
	v_cndmask_b32_e32 v2, v11, v3, vcc
	v_ashrrev_i32_e32 v3, 31, v2
	v_lshl_add_u64 v[8:9], v[2:3], 2, s[12:13]
	v_add_u32_e32 v2, v1, v10
	v_ashrrev_i32_e32 v2, 5, v2
	v_cmp_gt_i32_e32 vcc, s33, v1
	s_nop 1
	v_cndmask_b32_e32 v2, v11, v2, vcc
	v_ashrrev_i32_e32 v3, 31, v2
	v_lshl_add_u64 v[12:13], v[2:3], 2, s[12:13]
	global_load_dword v3, v[4:5], off
	global_load_dword v2, v[6:7], off
	;; [unrolled: 1-line block ×4, first 2 shown]
	s_andn2_b64 vcc, exec, s[8:9]
	s_cbranch_vccnz .LBB574_8
; %bb.6:
	s_add_u32 s6, s6, s10
	s_addc_u32 s7, s7, s11
	s_load_dword s5, s[6:7], 0x0
	s_branch .LBB574_9
.LBB574_7:
	s_mov_b64 s[12:13], 0
	s_branch .LBB574_2
.LBB574_8:
	s_mov_b32 s5, s2
.LBB574_9:
	s_load_dwordx4 s[8:11], s[0:1], 0x8
	s_load_dwordx4 s[44:47], s[0:1], 0x48
	v_lshrrev_b32_e32 v37, 6, v0
	v_bfe_u32 v1, v0, 4, 2
	v_lshl_or_b32 v4, v37, 2, v1
	v_and_b32_e32 v36, 15, v0
	v_cmp_lt_u32_e32 vcc, 2, v4
	v_cmp_lt_u32_e64 s[6:7], 7, v36
	s_mul_i32 s42, s4, 3
	v_lshlrev_b32_e32 v34, 3, v36
	v_cmp_gt_u32_e64 s[30:31], 8, v36
	s_or_b64 s[6:7], s[6:7], vcc
	s_and_saveexec_b64 s[16:17], s[6:7]
	s_xor_b64 s[6:7], exec, s[16:17]
; %bb.10:
	v_mov_b32_e32 v35, 0
                                        ; implicit-def: $vgpr4
; %bb.11:
	s_or_saveexec_b64 s[6:7], s[6:7]
	v_and_b32_e32 v55, 63, v0
	v_add_u32_e32 v54, s42, v1
	s_xor_b64 exec, exec, s[6:7]
	s_cbranch_execz .LBB574_13
; %bb.12:
	s_load_dwordx2 s[16:17], s[0:1], 0x0
	s_waitcnt lgkmcnt(0)
	s_ashr_i32 s18, s44, 31
	s_mul_hi_u32 s19, s5, s44
	s_mul_i32 s18, s5, s18
	s_add_i32 s19, s19, s18
	s_mul_i32 s18, s5, s44
	s_lshl_b64 s[18:19], s[18:19], 1
	s_add_u32 s16, s16, s18
	v_lshlrev_b32_e32 v6, 6, v54
	s_addc_u32 s17, s17, s19
	v_ashrrev_i32_e32 v7, 31, v6
	v_mov_b32_e32 v35, 0
	v_lshl_add_u64 v[6:7], v[6:7], 1, s[16:17]
	v_lshlrev_b32_e32 v8, 1, v34
	v_mov_b32_e32 v9, v35
	v_lshl_add_u64 v[6:7], v[6:7], 0, v[8:9]
	global_load_dwordx4 v[6:9], v[6:7], off
	v_and_b32_e32 v5, 3, v0
	v_lshlrev_b32_e32 v11, 9, v36
	v_lshlrev_b32_e32 v4, 5, v4
	;; [unrolled: 1-line block ×3, first 2 shown]
	v_and_b32_e32 v11, 0x1800, v11
	v_or3_b32 v4, v11, v5, v4
	s_waitcnt vmcnt(0)
	ds_write_b128 v4, v[6:9]
.LBB574_13:
	s_or_b64 exec, exec, s[6:7]
	s_waitcnt lgkmcnt(0)
	s_mul_i32 s4, s4, s46
	s_mov_b32 s5, 0
	s_lshl_b64 s[4:5], s[4:5], 1
	s_add_u32 s8, s8, s4
	s_addc_u32 s9, s9, s5
	s_waitcnt vmcnt(3)
	v_mad_i64_i32 v[4:5], s[16:17], v3, s45, 0
	v_lshl_add_u64 v[4:5], v[4:5], 1, s[8:9]
	v_lshlrev_b64 v[12:13], 1, v[34:35]
	v_lshlrev_b32_e32 v38, 9, v1
	v_lshl_add_u64 v[4:5], v[4:5], 0, v[12:13]
	v_mov_b32_e32 v39, 0
	v_lshl_add_u64 v[14:15], v[4:5], 0, v[38:39]
	s_waitcnt vmcnt(2)
	v_mad_i64_i32 v[2:3], s[16:17], v2, s45, 0
	v_mov_b32_e32 v4, 0x100
	v_lshl_add_u64 v[2:3], v[2:3], 1, s[8:9]
	v_lshl_or_b32 v30, v36, 4, v4
	v_mov_b32_e32 v31, v39
	s_load_dword s29, s[0:1], 0x98
	s_load_dword s6, s[0:1], 0x1c
	s_waitcnt lgkmcnt(0)
	s_barrier
	v_lshl_add_u64 v[2:3], v[2:3], 0, v[30:31]
	global_load_dwordx4 v[6:9], v[14:15], off
	global_load_dwordx4 v[22:25], v[14:15], off offset:2048
	v_lshl_add_u64 v[18:19], v[2:3], 0, v[38:39]
	global_load_dwordx4 v[2:5], v[18:19], off
	global_load_dwordx4 v[26:29], v[18:19], off offset:2048
	s_waitcnt vmcnt(5)
	v_mad_i64_i32 v[10:11], s[16:17], v10, s45, 0
	v_lshl_add_u64 v[10:11], v[10:11], 1, s[8:9]
	v_lshl_add_u64 v[10:11], v[10:11], 0, v[12:13]
	;; [unrolled: 1-line block ×3, first 2 shown]
	global_load_dwordx4 v[10:13], v[32:33], off
	v_mul_lo_u16_e32 v20, 0x56, v36
	v_mov_b32_e32 v21, 3
	s_waitcnt vmcnt(5)
	v_mad_i64_i32 v[16:17], s[16:17], v16, s45, 0
	v_mul_lo_u16_sdwa v14, v20, v21 dst_sel:DWORD dst_unused:UNUSED_PAD src0_sel:BYTE_1 src1_sel:DWORD
	v_sub_u16_e32 v14, v36, v14
	v_lshl_add_u64 v[40:41], v[16:17], 1, s[8:9]
	v_and_b32_e32 v14, 0xff, v14
	v_lshl_add_u64 v[30:31], v[40:41], 0, v[30:31]
	v_lshl_add_u32 v14, v14, 5, v38
	v_lshl_add_u64 v[40:41], v[30:31], 0, v[38:39]
	ds_read_b128 v[18:21], v14
	ds_read_b128 v[14:17], v14 offset:2048
	global_load_dwordx4 v[30:33], v[32:33], off offset:2048
	s_ashr_i32 s7, s14, 31
	global_load_dwordx4 v[46:49], v[40:41], off
	global_load_dwordx4 v[60:63], v[40:41], off offset:2048
	v_and_or_b32 v64, v0, 48, s14
	s_lshr_b32 s7, s7, 27
	v_add_u32_e32 v42, s7, v64
	v_mov_b32_e32 v65, s15
	v_or_b32_e32 v50, 64, v64
	v_ashrrev_i32_e32 v38, 5, v42
	v_cmp_gt_i32_e32 vcc, s33, v64
	v_add_u32_e32 v43, s7, v50
	v_ashrrev_i32_e32 v51, 5, v43
	v_cndmask_b32_e32 v42, v65, v38, vcc
	v_ashrrev_i32_e32 v43, 31, v42
	v_lshl_add_u64 v[42:43], v[42:43], 2, s[12:13]
	v_cmp_gt_i32_e32 vcc, s33, v50
	global_load_dword v66, v[42:43], off
	v_or_b32_e32 v40, 0x80, v64
	v_and_b32_e32 v38, 16, v0
	s_add_u32 s4, s10, s4
	v_lshlrev_b32_e32 v41, 6, v36
	s_addc_u32 s5, s11, s5
	v_lshlrev_b32_e32 v38, 1, v38
	s_mov_b32 s43, 0xff7fffff
	s_waitcnt vmcnt(8) lgkmcnt(1)
	v_mfma_f32_16x16x16_bf16 v[42:45], v[6:7], v[18:19], 0
	v_cndmask_b32_e32 v6, v65, v51, vcc
	v_ashrrev_i32_e32 v7, 31, v6
	v_cmp_gt_i32_e32 vcc, s33, v40
	s_waitcnt vmcnt(6)
	v_mfma_f32_16x16x16_bf16 v[50:53], v[2:3], v[18:19], 0
	v_lshl_add_u64 v[2:3], v[6:7], 2, s[12:13]
	global_load_dword v67, v[2:3], off
	v_mfma_f32_16x16x16_bf16 v[6:9], v[8:9], v[20:21], v[42:45]
	v_mfma_f32_16x16x16_bf16 v[2:5], v[4:5], v[20:21], v[50:53]
	s_nop 1
	v_or_b32_e32 v42, 0xc0, v64
	v_add_u32_e32 v43, s7, v40
	v_add_u32_e32 v44, s7, v42
	s_waitcnt lgkmcnt(0)
	v_mfma_f32_16x16x16_bf16 v[6:9], v[22:23], v[14:15], v[6:9]
	v_ashrrev_i32_e32 v43, 5, v43
	v_ashrrev_i32_e32 v44, 5, v44
	v_cndmask_b32_e32 v40, v65, v43, vcc
	s_waitcnt vmcnt(5)
	v_mfma_f32_16x16x16_bf16 v[56:59], v[10:11], v[18:19], 0
	v_cmp_gt_i32_e32 vcc, s33, v42
	v_mfma_f32_16x16x16_bf16 v[2:5], v[26:27], v[14:15], v[2:5]
	s_nop 0
	v_cndmask_b32_e32 v42, v65, v44, vcc
	v_lshl_add_u64 v[44:45], s[4:5], 0, v[38:39]
	v_lshl_or_b32 v38, v37, 10, v41
	v_ashrrev_i32_e32 v41, 31, v40
	v_mfma_f32_16x16x16_bf16 v[22:25], v[24:25], v[16:17], v[6:9]
	v_ashrrev_i32_e32 v43, 31, v42
	s_nop 1
	v_lshl_add_u64 v[6:7], v[40:41], 2, s[12:13]
	v_mfma_f32_16x16x16_bf16 v[10:13], v[12:13], v[20:21], v[56:59]
	s_nop 1
	v_pk_mul_f32 v[50:51], s[6:7], v[24:25] op_sel_hi:[0,1]
	v_mfma_f32_16x16x16_bf16 v[26:29], v[28:29], v[16:17], v[2:5]
	s_nop 2
	v_lshl_add_u64 v[2:3], v[42:43], 2, s[12:13]
	global_load_dword v58, v[6:7], off
	global_load_dword v59, v[2:3], off
	s_waitcnt vmcnt(6)
	v_mfma_f32_16x16x16_bf16 v[2:5], v[30:31], v[14:15], v[10:13]
	s_waitcnt vmcnt(3)
	v_mad_i64_i32 v[6:7], s[4:5], v66, s45, 0
	v_pk_mul_f32 v[42:43], s[6:7], v[26:27] op_sel_hi:[0,1]
	v_lshl_add_u64 v[10:11], v[44:45], 0, v[38:39]
	v_mfma_f32_16x16x16_bf16 v[38:41], v[46:47], v[18:19], 0
	v_pk_mul_f32 v[52:53], s[6:7], v[28:29] op_sel_hi:[0,1]
	s_waitcnt vmcnt(2)
	v_mad_i64_i32 v[12:13], s[4:5], v67, s45, 0
	v_mfma_f32_16x16x16_bf16 v[18:21], v[48:49], v[20:21], v[38:41]
	v_lshl_add_u64 v[56:57], v[12:13], 1, v[10:11]
	v_pk_mul_f32 v[12:13], s[6:7], v[22:23] op_sel_hi:[0,1]
	v_mfma_f32_16x16x16_bf16 v[18:21], v[60:61], v[14:15], v[18:21]
	v_mfma_f32_16x16x16_bf16 v[30:33], v[32:33], v[16:17], v[2:5]
	;; [unrolled: 1-line block ×3, first 2 shown]
	s_nop 1
	v_lshl_add_u64 v[2:3], v[6:7], 1, v[10:11]
	s_nop 2
	v_pk_mul_f32 v[46:47], s[6:7], v[30:31] op_sel_hi:[0,1]
	v_pk_mul_f32 v[48:49], s[6:7], v[32:33] op_sel_hi:[0,1]
	global_load_dwordx4 v[6:9], v[2:3], off
	s_nop 0
	global_load_dwordx4 v[2:5], v[2:3], off offset:16
	v_pk_mul_f32 v[44:45], s[6:7], v[14:15] op_sel_hi:[0,1]
	v_and_b32_e32 v14, 0xc0, v0
	v_add_u32_e32 v14, s14, v14
	v_lshl_or_b32 v14, v1, 2, v14
	v_pk_mul_f32 v[38:39], s[6:7], v[16:17] op_sel_hi:[0,1]
	v_or_b32_e32 v17, 1, v14
	v_mov_b32_e32 v15, 0xff7fffff
	v_cmp_gt_i32_e64 s[4:5], s33, v14
	v_cmp_gt_i32_e64 s[34:35], s33, v17
	v_or_b32_e32 v18, 3, v14
	v_cndmask_b32_e64 v16, v15, v12, s[4:5]
	v_cndmask_b32_e64 v17, v15, v13, s[34:35]
	v_max3_f32 v16, v16, s43, v17
	v_or_b32_e32 v17, 2, v14
	v_cmp_gt_i32_e64 s[36:37], s33, v17
	v_cmp_gt_i32_e64 s[38:39], s33, v18
	global_load_dwordx4 v[30:33], v[56:57], off
	global_load_dwordx4 v[26:29], v[56:57], off offset:16
	v_cndmask_b32_e64 v17, v15, v50, s[36:37]
	v_cndmask_b32_e64 v18, v15, v51, s[38:39]
	v_max3_f32 v16, v16, v17, v18
	v_or_b32_e32 v17, 16, v14
	v_or_b32_e32 v18, 17, v14
	v_cmp_gt_i32_e64 s[24:25], s33, v17
	v_cmp_gt_i32_e64 s[26:27], s33, v18
	s_nop 0
	v_cndmask_b32_e64 v17, v15, v42, s[24:25]
	v_cndmask_b32_e64 v18, v15, v43, s[26:27]
	v_max3_f32 v16, v16, v17, v18
	v_or_b32_e32 v17, 18, v14
	v_or_b32_e32 v18, 19, v14
	v_cmp_gt_i32_e64 s[20:21], s33, v17
	v_cmp_gt_i32_e64 s[22:23], s33, v18
	s_nop 0
	;; [unrolled: 8-line block ×5, first 2 shown]
	v_cndmask_b32_e64 v17, v15, v44, s[8:9]
	v_cndmask_b32_e64 v18, v15, v45, s[10:11]
	v_max3_f32 v16, v16, v17, v18
	v_or_b32_e32 v17, 50, v14
	v_or_b32_e32 v14, 51, v14
	v_cmp_gt_i32_e32 vcc, s33, v17
	v_cmp_gt_i32_e64 s[6:7], s33, v14
	s_nop 0
	v_cndmask_b32_e32 v17, v15, v38, vcc
	v_cndmask_b32_e64 v14, v15, v39, s[6:7]
	v_max3_f32 v16, v16, v17, v14
	v_mbcnt_lo_u32_b32 v14, -1, 0
	v_mbcnt_hi_u32_b32 v17, -1, v14
	v_and_b32_e32 v14, 64, v17
	v_add_u32_e32 v18, 64, v14
	v_xor_b32_e32 v14, 32, v17
	v_cmp_lt_i32_e64 s[40:41], v14, v18
	s_nop 1
	v_cndmask_b32_e64 v14, v17, v14, s[40:41]
	v_lshlrev_b32_e32 v60, 2, v14
	ds_bpermute_b32 v19, v60, v16
	s_waitcnt vmcnt(5)
	v_mad_i64_i32 v[14:15], s[40:41], v58, s45, 0
	v_lshl_add_u64 v[14:15], v[14:15], 1, v[10:11]
	s_waitcnt lgkmcnt(0)
	v_max_f32_e32 v19, v19, v19
	v_max_f32_e32 v16, v16, v19
	v_xor_b32_e32 v19, 16, v17
	v_cmp_lt_i32_e64 s[40:41], v19, v18
	s_nop 1
	v_cndmask_b32_e64 v17, v17, v19, s[40:41]
	v_lshlrev_b32_e32 v57, 2, v17
	ds_bpermute_b32 v17, v57, v16
	global_load_dwordx4 v[22:25], v[14:15], off
	global_load_dwordx4 v[18:21], v[14:15], off offset:16
	s_waitcnt vmcnt(6)
	v_mad_i64_i32 v[14:15], s[40:41], v59, s45, 0
	v_lshl_add_u64 v[10:11], v[14:15], 1, v[10:11]
	s_waitcnt lgkmcnt(0)
	v_max_f32_e32 v14, v17, v17
	v_max_f32_e32 v56, v16, v14
	v_sub_f32_e32 v12, v12, v56
	v_mul_f32_e32 v12, 0x3fb8aa3b, v12
	v_exp_f32_e32 v40, v12
	v_sub_f32_e32 v12, v13, v56
	v_mul_f32_e32 v12, 0x3fb8aa3b, v12
	v_exp_f32_e32 v41, v12
	global_load_dwordx4 v[14:17], v[10:11], off
	s_nop 0
	global_load_dwordx4 v[10:13], v[10:11], off offset:16
	v_sub_f32_e32 v50, v50, v56
	v_mul_f32_e32 v50, 0x3fb8aa3b, v50
	v_sub_f32_e32 v51, v51, v56
	v_exp_f32_e32 v50, v50
	v_mul_f32_e32 v51, 0x3fb8aa3b, v51
	v_sub_f32_e32 v42, v42, v56
	v_exp_f32_e32 v51, v51
	v_mul_f32_e32 v42, 0x3fb8aa3b, v42
	v_sub_f32_e32 v43, v43, v56
	v_cndmask_b32_e64 v40, 0, v40, s[4:5]
	v_exp_f32_e32 v42, v42
	v_mul_f32_e32 v43, 0x3fb8aa3b, v43
	v_sub_f32_e32 v52, v52, v56
	v_add_f32_e32 v58, 0, v40
	v_cndmask_b32_e64 v41, 0, v41, s[34:35]
	v_exp_f32_e32 v43, v43
	v_mul_f32_e32 v52, 0x3fb8aa3b, v52
	v_sub_f32_e32 v53, v53, v56
	v_add_f32_e32 v58, v58, v41
	v_cndmask_b32_e64 v50, 0, v50, s[36:37]
	v_exp_f32_e32 v52, v52
	v_mul_f32_e32 v53, 0x3fb8aa3b, v53
	v_sub_f32_e32 v46, v46, v56
	v_add_f32_e32 v58, v58, v50
	v_cndmask_b32_e64 v51, 0, v51, s[38:39]
	v_exp_f32_e32 v53, v53
	v_mul_f32_e32 v46, 0x3fb8aa3b, v46
	v_sub_f32_e32 v47, v47, v56
	v_add_f32_e32 v58, v58, v51
	v_cndmask_b32_e64 v42, 0, v42, s[24:25]
	v_exp_f32_e32 v46, v46
	v_mul_f32_e32 v47, 0x3fb8aa3b, v47
	v_sub_f32_e32 v48, v48, v56
	v_add_f32_e32 v58, v58, v42
	v_cndmask_b32_e64 v43, 0, v43, s[26:27]
	v_exp_f32_e32 v47, v47
	v_mul_f32_e32 v48, 0x3fb8aa3b, v48
	v_sub_f32_e32 v49, v49, v56
	v_add_f32_e32 v58, v58, v43
	v_cndmask_b32_e64 v52, 0, v52, s[20:21]
	v_exp_f32_e32 v48, v48
	v_mul_f32_e32 v49, 0x3fb8aa3b, v49
	v_sub_f32_e32 v44, v44, v56
	v_add_f32_e32 v58, v58, v52
	v_cndmask_b32_e64 v53, 0, v53, s[22:23]
	v_exp_f32_e32 v49, v49
	v_mul_f32_e32 v44, 0x3fb8aa3b, v44
	v_sub_f32_e32 v45, v45, v56
	v_add_f32_e32 v58, v58, v53
	v_cndmask_b32_e64 v46, 0, v46, s[16:17]
	v_exp_f32_e32 v44, v44
	v_mul_f32_e32 v45, 0x3fb8aa3b, v45
	v_sub_f32_e32 v38, v38, v56
	v_add_f32_e32 v58, v58, v46
	v_cndmask_b32_e64 v47, 0, v47, s[18:19]
	v_exp_f32_e32 v45, v45
	v_mul_f32_e32 v38, 0x3fb8aa3b, v38
	v_sub_f32_e32 v39, v39, v56
	v_add_f32_e32 v58, v58, v47
	v_cndmask_b32_e64 v48, 0, v48, s[12:13]
	v_exp_f32_e32 v38, v38
	v_mul_f32_e32 v39, 0x3fb8aa3b, v39
	v_add_f32_e32 v58, v58, v48
	v_cndmask_b32_e64 v49, 0, v49, s[14:15]
	v_exp_f32_e32 v39, v39
	v_add_f32_e32 v58, v58, v49
	v_cndmask_b32_e64 v44, 0, v44, s[8:9]
	v_add_f32_e32 v58, v58, v44
	v_cndmask_b32_e64 v45, 0, v45, s[10:11]
	v_add_f32_e32 v58, v58, v45
	v_cndmask_b32_e32 v38, 0, v38, vcc
	v_add_f32_e32 v58, v58, v38
	v_cndmask_b32_e64 v39, 0, v39, s[6:7]
	v_add_f32_e32 v58, v58, v39
	ds_bpermute_b32 v59, v60, v58
	v_cmp_gt_u32_e32 vcc, 16, v55
	s_waitcnt lgkmcnt(0)
	s_barrier
	v_add_f32_e32 v58, v58, v59
	ds_bpermute_b32 v59, v57, v58
	v_lshlrev_b32_e32 v57, 2, v36
	s_and_saveexec_b64 s[4:5], vcc
	s_cbranch_execz .LBB574_15
; %bb.14:
	s_waitcnt lgkmcnt(0)
	v_add_f32_e32 v55, v58, v59
	v_lshl_or_b32 v58, v37, 6, v57
	ds_write2st64_b32 v58, v56, v55 offset1:1
.LBB574_15:
	s_or_b64 exec, exec, s[4:5]
	s_load_dword s6, s[0:1], 0x94
	s_waitcnt lgkmcnt(0)
	s_barrier
	ds_read2_b32 v[58:59], v57 offset1:16
	ds_read2_b32 v[60:61], v57 offset0:32 offset1:48
	ds_read2_b32 v[62:63], v57 offset0:64 offset1:80
	s_movk_i32 s8, 0x7fff
	s_mov_b32 s9, 0x7060302
	s_waitcnt lgkmcnt(2)
	v_max3_f32 v55, v58, s43, v59
	s_waitcnt lgkmcnt(1)
	v_max3_f32 v55, v55, v60, v61
	v_sub_f32_e32 v56, v58, v55
	v_mul_f32_e32 v56, 0x3fb8aa3b, v56
	v_exp_f32_e32 v64, v56
	v_sub_f32_e32 v56, v59, v55
	v_mul_f32_e32 v56, 0x3fb8aa3b, v56
	v_exp_f32_e32 v65, v56
	;; [unrolled: 3-line block ×3, first 2 shown]
	ds_read2_b32 v[58:59], v57 offset0:96 offset1:112
	v_sub_f32_e32 v56, v61, v55
	v_mul_f32_e32 v56, 0x3fb8aa3b, v56
	v_exp_f32_e32 v57, v56
	s_waitcnt lgkmcnt(1)
	v_fma_f32 v56, v64, v62, 0
	v_fmac_f32_e32 v56, v65, v63
	s_waitcnt lgkmcnt(0)
	v_fmac_f32_e32 v56, v60, v58
	v_fmac_f32_e32 v56, v57, v59
	v_add_f32_e32 v58, 0x358637bd, v56
	v_div_scale_f32 v59, s[4:5], v58, v58, 1.0
	v_rcp_f32_e32 v61, v59
	s_barrier
	v_fma_f32 v62, -v59, v61, 1.0
	v_fmac_f32_e32 v61, v62, v61
	v_div_scale_f32 v62, vcc, 1.0, v58, 1.0
	v_mul_f32_e32 v63, v62, v61
	v_fma_f32 v66, -v59, v63, v62
	v_fmac_f32_e32 v63, v66, v61
	v_fma_f32 v59, -v59, v63, v62
	v_div_fmas_f32 v59, v59, v61, v63
	v_cmp_eq_u32_e32 vcc, 1, v37
	v_div_fixup_f32 v58, v59, v58, 1.0
	s_mul_i32 s7, s29, 3
	v_cndmask_b32_e32 v59, v64, v65, vcc
	v_cmp_eq_u32_e32 vcc, 2, v37
	s_nop 1
	v_cndmask_b32_e32 v59, v59, v60, vcc
	v_cmp_eq_u32_e32 vcc, 3, v37
	v_lshlrev_b32_e32 v37, 11, v37
	s_nop 0
	v_cndmask_b32_e32 v57, v59, v57, vcc
	v_mul_f32_e32 v58, v57, v58
	v_pk_mul_f32 v[40:41], v[58:59], v[40:41] op_sel_hi:[0,1]
	v_pk_mul_f32 v[50:51], v[58:59], v[50:51] op_sel_hi:[0,1]
	v_bfe_u32 v57, v41, 16, 1
	v_bfe_u32 v59, v40, 16, 1
	v_add3_u32 v40, v40, v59, s8
	v_add3_u32 v41, v41, v57, s8
	v_perm_b32 v60, v41, v40, s9
	v_bfe_u32 v40, v51, 16, 1
	v_bfe_u32 v41, v50, 16, 1
	v_add3_u32 v41, v50, v41, s8
	v_add3_u32 v40, v51, v40, s8
	v_perm_b32 v61, v40, v41, s9
	v_lshlrev_b32_e32 v40, 3, v1
	v_lshlrev_b32_e32 v41, 5, v36
	v_pk_mul_f32 v[42:43], v[58:59], v[42:43] op_sel_hi:[0,1]
	v_or3_b32 v40, v37, v41, v40
	v_pk_mul_f32 v[50:51], v[58:59], v[52:53] op_sel_hi:[0,1]
	v_bfe_u32 v37, v43, 16, 1
	v_bfe_u32 v52, v42, 16, 1
	v_add3_u32 v42, v42, v52, s8
	v_add3_u32 v37, v43, v37, s8
	v_perm_b32 v42, v37, v42, s9
	v_bfe_u32 v37, v51, 16, 1
	v_bfe_u32 v43, v50, 16, 1
	v_add3_u32 v43, v50, v43, s8
	v_add3_u32 v37, v51, v37, s8
	v_perm_b32 v43, v37, v43, s9
	v_pk_mul_f32 v[46:47], v[58:59], v[46:47] op_sel_hi:[0,1]
	ds_write2st64_b64 v40, v[60:61], v[42:43] offset1:1
	v_pk_mul_f32 v[42:43], v[58:59], v[48:49] op_sel_hi:[0,1]
	v_bfe_u32 v37, v47, 16, 1
	v_bfe_u32 v48, v46, 16, 1
	v_add3_u32 v46, v46, v48, s8
	v_add3_u32 v37, v47, v37, s8
	v_perm_b32 v46, v37, v46, s9
	v_bfe_u32 v37, v43, 16, 1
	v_bfe_u32 v47, v42, 16, 1
	v_add3_u32 v42, v42, v47, s8
	v_add3_u32 v37, v43, v37, s8
	v_perm_b32 v47, v37, v42, s9
	v_pk_mul_f32 v[42:43], v[58:59], v[44:45] op_sel_hi:[0,1]
	v_bfe_u32 v37, v43, 16, 1
	v_bfe_u32 v44, v42, 16, 1
	v_pk_mul_f32 v[38:39], v[58:59], v[38:39] op_sel_hi:[0,1]
	v_add3_u32 v42, v42, v44, s8
	v_add3_u32 v37, v43, v37, s8
	v_perm_b32 v42, v37, v42, s9
	v_bfe_u32 v37, v39, 16, 1
	v_bfe_u32 v43, v38, 16, 1
	v_add3_u32 v38, v38, v43, s8
	v_add3_u32 v37, v39, v37, s8
	v_perm_b32 v43, v37, v38, s9
	v_cmp_gt_u32_e32 vcc, 3, v0
	ds_write2st64_b64 v40, v[46:47], v[42:43] offset0:2 offset1:3
	s_and_saveexec_b64 s[4:5], vcc
	s_cbranch_execz .LBB574_17
; %bb.16:
	s_mov_b32 s43, 0
	v_mov_b32_e32 v37, 0
	v_lshl_add_u64 v[38:39], s[42:43], 0, v[36:37]
	v_mov_b32_e32 v36, s7
	v_mad_u64_u32 v[38:39], s[10:11], s2, v36, v[38:39]
	v_mov_b32_e32 v36, s28
	s_load_dwordx4 s[12:15], s[0:1], 0x58
	s_mul_i32 s3, s3, s7
	v_mad_u64_u32 v[36:37], s[10:11], v38, s6, v[36:37]
	v_add_u32_e32 v39, s3, v39
	v_mov_b32_e32 v38, v37
	v_mad_u64_u32 v[38:39], s[10:11], v39, s6, v[38:39]
	v_mov_b32_e32 v37, v38
	v_lshlrev_b64 v[36:37], 2, v[36:37]
	s_waitcnt lgkmcnt(0)
	v_lshl_add_u64 v[38:39], s[14:15], 0, v[36:37]
	v_lshl_add_u64 v[36:37], s[12:13], 0, v[36:37]
	global_store_dword v[38:39], v55, off
	global_store_dword v[36:37], v56, off
.LBB574_17:
	s_or_b64 exec, exec, s[4:5]
	v_lshl_or_b32 v41, v1, 9, v41
	s_waitcnt lgkmcnt(0)
	s_barrier
	ds_read_b128 v[36:39], v41
	ds_read_b128 v[42:45], v41 offset:16
	s_waitcnt vmcnt(7) lgkmcnt(1)
	v_mfma_f32_16x16x16_bf16 v[46:49], v[6:7], v[36:37], 0
	v_cmp_gt_u32_e32 vcc, 64, v0
	v_cmp_ne_u32_e64 s[4:5], 3, v1
	s_and_b64 s[4:5], s[4:5], vcc
	v_mfma_f32_16x16x16_bf16 v[6:9], v[8:9], v[38:39], v[46:49]
	s_mov_b32 s3, 0
	s_and_b64 s[4:5], s[4:5], s[30:31]
	s_waitcnt vmcnt(6) lgkmcnt(0)
	v_mfma_f32_16x16x16_bf16 v[6:9], v[2:3], v[42:43], v[6:9]
	v_mfma_f32_16x16x16_bf16 v[2:5], v[4:5], v[44:45], v[6:9]
	s_nop 5
	ds_read_b128 v[6:9], v41 offset:2048
	ds_read_b128 v[36:39], v41 offset:2064
	s_waitcnt vmcnt(5) lgkmcnt(1)
	v_mfma_f32_16x16x16_bf16 v[2:5], v[30:31], v[6:7], v[2:5]
	v_mfma_f32_16x16x16_bf16 v[2:5], v[32:33], v[8:9], v[2:5]
	s_waitcnt vmcnt(4) lgkmcnt(0)
	v_mfma_f32_16x16x16_bf16 v[2:5], v[26:27], v[36:37], v[2:5]
	v_mfma_f32_16x16x16_bf16 v[2:5], v[28:29], v[38:39], v[2:5]
	ds_read_b128 v[6:9], v41 offset:4096
	ds_read_b128 v[26:29], v41 offset:4112
	s_waitcnt vmcnt(3) lgkmcnt(1)
	v_mfma_f32_16x16x16_bf16 v[2:5], v[22:23], v[6:7], v[2:5]
	v_mfma_f32_16x16x16_bf16 v[2:5], v[24:25], v[8:9], v[2:5]
	s_waitcnt vmcnt(2) lgkmcnt(0)
	v_mfma_f32_16x16x16_bf16 v[2:5], v[18:19], v[26:27], v[2:5]
	v_mfma_f32_16x16x16_bf16 v[2:5], v[20:21], v[28:29], v[2:5]
	ds_read_b128 v[6:9], v41 offset:6144
	ds_read_b128 v[18:21], v41 offset:6160
	s_waitcnt lgkmcnt(0)
	s_barrier
	s_waitcnt vmcnt(1)
	v_mfma_f32_16x16x16_bf16 v[2:5], v[14:15], v[6:7], v[2:5]
	v_mfma_f32_16x16x16_bf16 v[2:5], v[16:17], v[8:9], v[2:5]
	s_waitcnt vmcnt(0)
	v_mfma_f32_16x16x16_bf16 v[2:5], v[10:11], v[18:19], v[2:5]
	v_mfma_f32_16x16x16_bf16 v[2:5], v[12:13], v[20:21], v[2:5]
	s_nop 6
	v_bfe_u32 v6, v3, 16, 1
	v_bfe_u32 v7, v2, 16, 1
	;; [unrolled: 1-line block ×4, first 2 shown]
	v_add3_u32 v2, v2, v7, s8
	v_add3_u32 v3, v3, v6, s8
	;; [unrolled: 1-line block ×4, first 2 shown]
	v_perm_b32 v2, v3, v2, s9
	v_perm_b32 v3, v5, v4, s9
	ds_write_b64 v40, v[2:3]
	s_waitcnt lgkmcnt(0)
	s_barrier
	s_and_saveexec_b64 s[8:9], s[4:5]
	s_cbranch_execz .LBB574_19
; %bb.18:
	s_load_dwordx2 s[0:1], s[0:1], 0x68
	s_mul_i32 s2, s7, s2
	s_lshl_b32 s6, s6, 6
	s_mul_hi_u32 s5, s2, s6
	s_mul_i32 s4, s2, s6
	v_lshlrev_b32_e32 v2, 10, v0
	v_lshlrev_b32_e32 v0, 4, v0
	s_lshl_b64 s[4:5], s[4:5], 1
	v_and_b32_e32 v2, 0x1800, v2
	v_lshlrev_b32_e32 v1, 5, v1
	v_and_b32_e32 v0, 16, v0
	s_waitcnt lgkmcnt(0)
	s_add_u32 s4, s0, s4
	v_or3_b32 v0, v2, v1, v0
	s_addc_u32 s5, s1, s5
	s_lshl_b32 s2, s28, 6
	ds_read_b128 v[0:3], v0
	s_lshl_b64 s[0:1], s[2:3], 1
	s_add_u32 s0, s4, s0
	s_addc_u32 s1, s5, s1
	v_mad_u64_u32 v[4:5], s[2:3], s6, v54, 0
	v_lshl_add_u64 v[4:5], v[4:5], 1, s[0:1]
	v_lshl_add_u64 v[4:5], v[34:35], 1, v[4:5]
	s_waitcnt lgkmcnt(0)
	global_store_dwordx4 v[4:5], v[0:3], off
.LBB574_19:
	s_endpgm
	.section	.rodata,"a",@progbits
	.p2align	6, 0x0
	.amdhsa_kernel _Z39paged_attention_ll4mi_QKV_mfma16_kernelI14__hip_bfloat16S0_LN4vllm18Fp8KVCacheDataTypeE0ES0_Li32ELi64ELi256ELb0ELi3EEvPKT_PKT0_S8_ifPKiSA_SA_iPKfiiiPfSD_PS3_PT2_iSC_SC_
		.amdhsa_group_segment_fixed_size 8192
		.amdhsa_private_segment_fixed_size 0
		.amdhsa_kernarg_size 400
		.amdhsa_user_sgpr_count 2
		.amdhsa_user_sgpr_dispatch_ptr 0
		.amdhsa_user_sgpr_queue_ptr 0
		.amdhsa_user_sgpr_kernarg_segment_ptr 1
		.amdhsa_user_sgpr_dispatch_id 0
		.amdhsa_user_sgpr_kernarg_preload_length 0
		.amdhsa_user_sgpr_kernarg_preload_offset 0
		.amdhsa_user_sgpr_private_segment_size 0
		.amdhsa_uses_dynamic_stack 0
		.amdhsa_enable_private_segment 0
		.amdhsa_system_sgpr_workgroup_id_x 1
		.amdhsa_system_sgpr_workgroup_id_y 1
		.amdhsa_system_sgpr_workgroup_id_z 1
		.amdhsa_system_sgpr_workgroup_info 0
		.amdhsa_system_vgpr_workitem_id 0
		.amdhsa_next_free_vgpr 68
		.amdhsa_next_free_sgpr 48
		.amdhsa_accum_offset 68
		.amdhsa_reserve_vcc 1
		.amdhsa_float_round_mode_32 0
		.amdhsa_float_round_mode_16_64 0
		.amdhsa_float_denorm_mode_32 3
		.amdhsa_float_denorm_mode_16_64 3
		.amdhsa_dx10_clamp 1
		.amdhsa_ieee_mode 1
		.amdhsa_fp16_overflow 0
		.amdhsa_tg_split 0
		.amdhsa_exception_fp_ieee_invalid_op 0
		.amdhsa_exception_fp_denorm_src 0
		.amdhsa_exception_fp_ieee_div_zero 0
		.amdhsa_exception_fp_ieee_overflow 0
		.amdhsa_exception_fp_ieee_underflow 0
		.amdhsa_exception_fp_ieee_inexact 0
		.amdhsa_exception_int_div_zero 0
	.end_amdhsa_kernel
	.section	.text._Z39paged_attention_ll4mi_QKV_mfma16_kernelI14__hip_bfloat16S0_LN4vllm18Fp8KVCacheDataTypeE0ES0_Li32ELi64ELi256ELb0ELi3EEvPKT_PKT0_S8_ifPKiSA_SA_iPKfiiiPfSD_PS3_PT2_iSC_SC_,"axG",@progbits,_Z39paged_attention_ll4mi_QKV_mfma16_kernelI14__hip_bfloat16S0_LN4vllm18Fp8KVCacheDataTypeE0ES0_Li32ELi64ELi256ELb0ELi3EEvPKT_PKT0_S8_ifPKiSA_SA_iPKfiiiPfSD_PS3_PT2_iSC_SC_,comdat
.Lfunc_end574:
	.size	_Z39paged_attention_ll4mi_QKV_mfma16_kernelI14__hip_bfloat16S0_LN4vllm18Fp8KVCacheDataTypeE0ES0_Li32ELi64ELi256ELb0ELi3EEvPKT_PKT0_S8_ifPKiSA_SA_iPKfiiiPfSD_PS3_PT2_iSC_SC_, .Lfunc_end574-_Z39paged_attention_ll4mi_QKV_mfma16_kernelI14__hip_bfloat16S0_LN4vllm18Fp8KVCacheDataTypeE0ES0_Li32ELi64ELi256ELb0ELi3EEvPKT_PKT0_S8_ifPKiSA_SA_iPKfiiiPfSD_PS3_PT2_iSC_SC_
                                        ; -- End function
	.section	.AMDGPU.csdata,"",@progbits
; Kernel info:
; codeLenInByte = 4120
; NumSgprs: 54
; NumVgprs: 68
; NumAgprs: 0
; TotalNumVgprs: 68
; ScratchSize: 0
; MemoryBound: 0
; FloatMode: 240
; IeeeMode: 1
; LDSByteSize: 8192 bytes/workgroup (compile time only)
; SGPRBlocks: 6
; VGPRBlocks: 8
; NumSGPRsForWavesPerEU: 54
; NumVGPRsForWavesPerEU: 68
; AccumOffset: 68
; Occupancy: 7
; WaveLimiterHint : 1
; COMPUTE_PGM_RSRC2:SCRATCH_EN: 0
; COMPUTE_PGM_RSRC2:USER_SGPR: 2
; COMPUTE_PGM_RSRC2:TRAP_HANDLER: 0
; COMPUTE_PGM_RSRC2:TGID_X_EN: 1
; COMPUTE_PGM_RSRC2:TGID_Y_EN: 1
; COMPUTE_PGM_RSRC2:TGID_Z_EN: 1
; COMPUTE_PGM_RSRC2:TIDIG_COMP_CNT: 0
; COMPUTE_PGM_RSRC3_GFX90A:ACCUM_OFFSET: 16
; COMPUTE_PGM_RSRC3_GFX90A:TG_SPLIT: 0
	.section	.text._Z39paged_attention_ll4mi_QKV_mfma16_kernelI14__hip_bfloat16S0_LN4vllm18Fp8KVCacheDataTypeE0ES0_Li32ELi64ELi256ELb0ELi4EEvPKT_PKT0_S8_ifPKiSA_SA_iPKfiiiPfSD_PS3_PT2_iSC_SC_,"axG",@progbits,_Z39paged_attention_ll4mi_QKV_mfma16_kernelI14__hip_bfloat16S0_LN4vllm18Fp8KVCacheDataTypeE0ES0_Li32ELi64ELi256ELb0ELi4EEvPKT_PKT0_S8_ifPKiSA_SA_iPKfiiiPfSD_PS3_PT2_iSC_SC_,comdat
	.protected	_Z39paged_attention_ll4mi_QKV_mfma16_kernelI14__hip_bfloat16S0_LN4vllm18Fp8KVCacheDataTypeE0ES0_Li32ELi64ELi256ELb0ELi4EEvPKT_PKT0_S8_ifPKiSA_SA_iPKfiiiPfSD_PS3_PT2_iSC_SC_ ; -- Begin function _Z39paged_attention_ll4mi_QKV_mfma16_kernelI14__hip_bfloat16S0_LN4vllm18Fp8KVCacheDataTypeE0ES0_Li32ELi64ELi256ELb0ELi4EEvPKT_PKT0_S8_ifPKiSA_SA_iPKfiiiPfSD_PS3_PT2_iSC_SC_
	.globl	_Z39paged_attention_ll4mi_QKV_mfma16_kernelI14__hip_bfloat16S0_LN4vllm18Fp8KVCacheDataTypeE0ES0_Li32ELi64ELi256ELb0ELi4EEvPKT_PKT0_S8_ifPKiSA_SA_iPKfiiiPfSD_PS3_PT2_iSC_SC_
	.p2align	8
	.type	_Z39paged_attention_ll4mi_QKV_mfma16_kernelI14__hip_bfloat16S0_LN4vllm18Fp8KVCacheDataTypeE0ES0_Li32ELi64ELi256ELb0ELi4EEvPKT_PKT0_S8_ifPKiSA_SA_iPKfiiiPfSD_PS3_PT2_iSC_SC_,@function
_Z39paged_attention_ll4mi_QKV_mfma16_kernelI14__hip_bfloat16S0_LN4vllm18Fp8KVCacheDataTypeE0ES0_Li32ELi64ELi256ELb0ELi4EEvPKT_PKT0_S8_ifPKiSA_SA_iPKfiiiPfSD_PS3_PT2_iSC_SC_: ; @_Z39paged_attention_ll4mi_QKV_mfma16_kernelI14__hip_bfloat16S0_LN4vllm18Fp8KVCacheDataTypeE0ES0_Li32ELi64ELi256ELb0ELi4EEvPKT_PKT0_S8_ifPKiSA_SA_iPKfiiiPfSD_PS3_PT2_iSC_SC_
; %bb.0:
	s_load_dwordx2 s[6:7], s[0:1], 0x30
	s_mov_b32 s26, s3
	s_mov_b64 s[10:11], 0
	s_waitcnt lgkmcnt(0)
	s_cmp_lg_u64 s[6:7], 0
	s_cselect_b64 s[8:9], -1, 0
	s_and_b64 vcc, exec, s[8:9]
	s_cbranch_vccz .LBB575_7
; %bb.1:
	s_add_i32 s12, s2, 1
	s_mov_b32 s13, 0
	s_lshl_b64 s[14:15], s[12:13], 2
	s_add_u32 s14, s6, s14
	s_mov_b32 s3, s13
	s_addc_u32 s15, s7, s15
	s_lshl_b64 s[12:13], s[2:3], 2
	s_add_u32 s12, s6, s12
	s_addc_u32 s13, s7, s13
	s_load_dword s5, s[14:15], 0x0
	s_load_dword s16, s[12:13], 0x0
	s_waitcnt lgkmcnt(0)
	s_sub_i32 s5, s5, s16
	s_cmp_eq_u32 s5, 1
	s_cselect_b64 s[12:13], -1, 0
	s_andn2_b64 vcc, exec, s[10:11]
	s_cbranch_vccnz .LBB575_3
.LBB575_2:
	s_mov_b32 s3, 0
	s_mov_b64 s[12:13], -1
.LBB575_3:
	s_andn2_b64 vcc, exec, s[12:13]
	s_cbranch_vccnz .LBB575_19
; %bb.4:
	s_load_dwordx2 s[12:13], s[0:1], 0x28
	s_lshl_b64 s[10:11], s[2:3], 2
	s_waitcnt lgkmcnt(0)
	s_add_u32 s12, s12, s10
	s_addc_u32 s13, s13, s11
	s_load_dword s38, s[12:13], 0x0
	s_lshl_b32 s14, s26, 8
	s_waitcnt lgkmcnt(0)
	s_cmp_ge_i32 s14, s38
	s_cbranch_scc1 .LBB575_19
; %bb.5:
	s_load_dwordx2 s[12:13], s[0:1], 0x20
	s_load_dword s5, s[0:1], 0x38
	s_add_i32 s15, s38, 31
	s_ashr_i32 s16, s15, 31
	v_and_b32_e32 v1, 0xcf, v0
	s_lshr_b32 s16, s16, 27
	v_add_u32_e32 v1, s14, v1
	s_add_i32 s15, s15, s16
	v_ashrrev_i32_e32 v2, 31, v1
	s_ashr_i32 s15, s15, 5
	v_lshrrev_b32_e32 v10, 27, v2
	s_add_i32 s15, s15, -1
	s_waitcnt lgkmcnt(0)
	s_mul_i32 s16, s2, s5
	s_mov_b32 s17, 0
	v_add_u32_e32 v2, v1, v10
	s_lshl_b64 s[16:17], s[16:17], 2
	v_ashrrev_i32_e32 v2, 5, v2
	v_mov_b32_e32 v11, s15
	v_cmp_gt_i32_e32 vcc, s38, v1
	s_add_u32 s12, s12, s16
	s_addc_u32 s13, s13, s17
	v_cndmask_b32_e32 v2, v11, v2, vcc
	v_ashrrev_i32_e32 v3, 31, v2
	v_lshl_add_u64 v[4:5], v[2:3], 2, s[12:13]
	v_or_b32_e32 v2, 16, v1
	v_add_u32_e32 v3, v2, v10
	v_ashrrev_i32_e32 v3, 5, v3
	v_cmp_gt_i32_e32 vcc, s38, v2
	s_nop 1
	v_cndmask_b32_e32 v2, v11, v3, vcc
	v_ashrrev_i32_e32 v3, 31, v2
	v_lshl_add_u64 v[6:7], v[2:3], 2, s[12:13]
	v_or_b32_e32 v2, 32, v1
	v_add_u32_e32 v3, v2, v10
	v_ashrrev_i32_e32 v3, 5, v3
	v_cmp_gt_i32_e32 vcc, s38, v2
	v_or_b32_e32 v1, 48, v1
	s_nop 0
	v_cndmask_b32_e32 v2, v11, v3, vcc
	v_ashrrev_i32_e32 v3, 31, v2
	v_lshl_add_u64 v[8:9], v[2:3], 2, s[12:13]
	v_add_u32_e32 v2, v1, v10
	v_ashrrev_i32_e32 v2, 5, v2
	v_cmp_gt_i32_e32 vcc, s38, v1
	s_nop 1
	v_cndmask_b32_e32 v2, v11, v2, vcc
	v_ashrrev_i32_e32 v3, 31, v2
	v_lshl_add_u64 v[12:13], v[2:3], 2, s[12:13]
	global_load_dword v3, v[4:5], off
	global_load_dword v2, v[6:7], off
	;; [unrolled: 1-line block ×4, first 2 shown]
	s_andn2_b64 vcc, exec, s[8:9]
	s_cbranch_vccnz .LBB575_8
; %bb.6:
	s_add_u32 s6, s6, s10
	s_addc_u32 s7, s7, s11
	s_load_dword s5, s[6:7], 0x0
	s_branch .LBB575_9
.LBB575_7:
	s_mov_b64 s[12:13], 0
	s_branch .LBB575_2
.LBB575_8:
	s_mov_b32 s5, s2
.LBB575_9:
	s_load_dwordx4 s[8:11], s[0:1], 0x8
	s_load_dwordx4 s[40:43], s[0:1], 0x48
	v_and_b32_e32 v54, 15, v0
	v_cmp_gt_u32_e32 vcc, 64, v0
	v_cmp_gt_u32_e64 s[6:7], 8, v54
	s_and_b64 s[44:45], vcc, s[6:7]
	v_bfe_u32 v53, v0, 4, 2
	s_lshl_b32 s27, s4, 2
	v_lshlrev_b32_e32 v34, 3, v54
	s_xor_b64 s[6:7], s[44:45], -1
	s_and_saveexec_b64 s[16:17], s[6:7]
	s_xor_b64 s[6:7], exec, s[16:17]
; %bb.10:
	v_mov_b32_e32 v35, 0
; %bb.11:
	s_or_saveexec_b64 s[6:7], s[6:7]
	v_lshrrev_b32_e32 v55, 6, v0
	v_and_b32_e32 v56, 63, v0
	v_or_b32_e32 v1, s27, v53
	v_and_b32_e32 v19, 3, v0
	v_lshlrev_b32_e32 v52, 5, v53
	s_xor_b64 exec, exec, s[6:7]
	s_cbranch_execz .LBB575_13
; %bb.12:
	s_load_dwordx2 s[16:17], s[0:1], 0x0
	s_waitcnt lgkmcnt(0)
	s_ashr_i32 s18, s40, 31
	s_mul_hi_u32 s19, s5, s40
	s_mul_i32 s18, s5, s18
	s_add_i32 s19, s19, s18
	s_mul_i32 s18, s5, s40
	s_lshl_b64 s[18:19], s[18:19], 1
	s_add_u32 s16, s16, s18
	v_lshlrev_b32_e32 v4, 6, v1
	s_addc_u32 s17, s17, s19
	v_ashrrev_i32_e32 v5, 31, v4
	v_mov_b32_e32 v35, 0
	v_lshl_add_u64 v[4:5], v[4:5], 1, s[16:17]
	v_lshlrev_b32_e32 v6, 1, v34
	v_mov_b32_e32 v7, v35
	v_lshl_add_u64 v[4:5], v[4:5], 0, v[6:7]
	global_load_dwordx4 v[4:7], v[4:5], off
	v_lshlrev_b32_e32 v11, 9, v54
	v_lshl_or_b32 v8, v55, 7, v52
	v_lshlrev_b32_e32 v9, 9, v19
	v_and_b32_e32 v11, 0x1800, v11
	v_or3_b32 v8, v11, v9, v8
	s_waitcnt vmcnt(0)
	ds_write_b128 v8, v[4:7]
.LBB575_13:
	s_or_b64 exec, exec, s[6:7]
	s_waitcnt lgkmcnt(0)
	s_mul_i32 s4, s4, s42
	s_mov_b32 s5, 0
	s_lshl_b64 s[4:5], s[4:5], 1
	s_add_u32 s8, s8, s4
	s_addc_u32 s9, s9, s5
	s_waitcnt vmcnt(3)
	v_mad_i64_i32 v[4:5], s[16:17], v3, s41, 0
	v_lshl_add_u64 v[4:5], v[4:5], 1, s[8:9]
	v_lshlrev_b64 v[12:13], 1, v[34:35]
	v_lshlrev_b32_e32 v36, 9, v53
	v_lshl_add_u64 v[4:5], v[4:5], 0, v[12:13]
	v_mov_b32_e32 v37, 0
	v_lshl_add_u64 v[20:21], v[4:5], 0, v[36:37]
	s_waitcnt vmcnt(2)
	v_mad_i64_i32 v[2:3], s[16:17], v2, s41, 0
	v_mov_b32_e32 v4, 0x100
	v_lshl_add_u64 v[2:3], v[2:3], 1, s[8:9]
	v_lshl_or_b32 v38, v54, 4, v4
	v_mov_b32_e32 v39, v37
	s_load_dword s33, s[0:1], 0x98
	s_load_dword s6, s[0:1], 0x1c
	s_waitcnt lgkmcnt(0)
	s_barrier
	v_lshl_add_u64 v[2:3], v[2:3], 0, v[38:39]
	global_load_dwordx4 v[6:9], v[20:21], off
	v_lshl_add_u64 v[22:23], v[2:3], 0, v[36:37]
	global_load_dwordx4 v[2:5], v[22:23], off
	s_waitcnt vmcnt(3)
	v_mad_i64_i32 v[10:11], s[16:17], v10, s41, 0
	v_lshl_add_u64 v[10:11], v[10:11], 1, s[8:9]
	v_lshl_add_u64 v[10:11], v[10:11], 0, v[12:13]
	;; [unrolled: 1-line block ×3, first 2 shown]
	global_load_dwordx4 v[14:17], v[24:25], off
	global_load_dwordx4 v[10:13], v[20:21], off offset:2048
	global_load_dwordx4 v[26:29], v[22:23], off offset:2048
	;; [unrolled: 1-line block ×3, first 2 shown]
	s_waitcnt vmcnt(6)
	v_mad_i64_i32 v[40:41], s[16:17], v18, s41, 0
	v_lshl_add_u64 v[40:41], v[40:41], 1, s[8:9]
	v_lshl_add_u64 v[38:39], v[40:41], 0, v[38:39]
	v_lshl_or_b32 v18, v19, 5, v36
	v_lshl_add_u64 v[38:39], v[38:39], 0, v[36:37]
	ds_read_b128 v[22:25], v18
	ds_read_b128 v[18:21], v18 offset:2048
	global_load_dwordx4 v[44:47], v[38:39], off
	global_load_dwordx4 v[62:65], v[38:39], off offset:2048
	s_ashr_i32 s7, s14, 31
	v_and_or_b32 v57, v0, 48, s14
	s_lshr_b32 s7, s7, 27
	v_add_u32_e32 v40, s7, v57
	v_mov_b32_e32 v66, s15
	v_or_b32_e32 v48, 64, v57
	v_ashrrev_i32_e32 v36, 5, v40
	v_cmp_gt_i32_e32 vcc, s38, v57
	v_add_u32_e32 v41, s7, v48
	v_ashrrev_i32_e32 v49, 5, v41
	v_cndmask_b32_e32 v40, v66, v36, vcc
	v_ashrrev_i32_e32 v41, 31, v40
	v_lshl_add_u64 v[40:41], v[40:41], 2, s[12:13]
	v_cmp_gt_i32_e32 vcc, s38, v48
	global_load_dword v67, v[40:41], off
	v_or_b32_e32 v39, 0x80, v57
	v_and_b32_e32 v36, 16, v0
	s_add_u32 s4, s10, s4
	v_lshlrev_b32_e32 v38, 6, v54
	s_addc_u32 s5, s11, s5
	v_lshlrev_b32_e32 v36, 1, v36
	s_mov_b32 s40, 0xff7fffff
	s_waitcnt vmcnt(6) lgkmcnt(1)
	v_mfma_f32_16x16x16_bf16 v[58:61], v[14:15], v[22:23], 0
	v_mfma_f32_16x16x16_bf16 v[40:43], v[6:7], v[22:23], 0
	v_cndmask_b32_e32 v6, v66, v49, vcc
	v_ashrrev_i32_e32 v7, 31, v6
	v_cmp_gt_i32_e32 vcc, s38, v39
	v_mfma_f32_16x16x16_bf16 v[48:51], v[2:3], v[22:23], 0
	v_lshl_add_u64 v[2:3], v[6:7], 2, s[12:13]
	global_load_dword v68, v[2:3], off
	v_mfma_f32_16x16x16_bf16 v[6:9], v[8:9], v[24:25], v[40:43]
	v_mfma_f32_16x16x16_bf16 v[2:5], v[4:5], v[24:25], v[48:51]
	s_nop 1
	v_or_b32_e32 v40, 0xc0, v57
	v_add_u32_e32 v41, s7, v39
	v_add_u32_e32 v42, s7, v40
	s_waitcnt vmcnt(6) lgkmcnt(0)
	v_mfma_f32_16x16x16_bf16 v[6:9], v[10:11], v[18:19], v[6:9]
	v_ashrrev_i32_e32 v41, 5, v41
	v_ashrrev_i32_e32 v43, 5, v42
	v_cndmask_b32_e32 v42, v66, v41, vcc
	v_cmp_gt_i32_e32 vcc, s38, v40
	s_waitcnt vmcnt(5)
	v_mfma_f32_16x16x16_bf16 v[2:5], v[26:27], v[18:19], v[2:5]
	v_lshl_add_u64 v[10:11], s[4:5], 0, v[36:37]
	v_cndmask_b32_e32 v26, v66, v43, vcc
	v_ashrrev_i32_e32 v43, 31, v42
	v_lshl_or_b32 v36, v55, 10, v38
	v_ashrrev_i32_e32 v27, 31, v26
	v_mfma_f32_16x16x16_bf16 v[38:41], v[12:13], v[20:21], v[6:9]
	v_lshl_add_u64 v[10:11], v[10:11], 0, v[36:37]
	s_waitcnt vmcnt(0)
	v_mad_i64_i32 v[12:13], s[4:5], v68, s41, 0
	v_lshl_add_u64 v[6:7], v[42:43], 2, s[12:13]
	v_mfma_f32_16x16x16_bf16 v[14:17], v[16:17], v[24:25], v[58:61]
	v_lshl_add_u64 v[8:9], v[26:27], 2, s[12:13]
	global_load_dword v57, v[6:7], off
	s_nop 0
	global_load_dword v60, v[8:9], off
	v_lshl_add_u64 v[58:59], v[12:13], 1, v[10:11]
	v_mfma_f32_16x16x16_bf16 v[14:17], v[30:31], v[18:19], v[14:17]
	v_pk_mul_f32 v[12:13], s[6:7], v[38:39] op_sel_hi:[0,1]
	v_pk_mul_f32 v[48:49], s[6:7], v[40:41] op_sel_hi:[0,1]
	v_mfma_f32_16x16x16_bf16 v[14:17], v[32:33], v[20:21], v[14:17]
	v_mfma_f32_16x16x16_bf16 v[30:33], v[44:45], v[22:23], 0
	;; [unrolled: 1-line block ×3, first 2 shown]
	s_nop 4
	v_pk_mul_f32 v[46:47], s[6:7], v[16:17] op_sel_hi:[0,1]
	v_pk_mul_f32 v[44:45], s[6:7], v[14:15] op_sel_hi:[0,1]
	v_mfma_f32_16x16x16_bf16 v[22:25], v[62:63], v[18:19], v[22:25]
	v_mfma_f32_16x16x16_bf16 v[14:17], v[64:65], v[20:21], v[22:25]
	;; [unrolled: 1-line block ×3, first 2 shown]
	s_nop 5
	v_pk_mul_f32 v[42:43], s[6:7], v[14:15] op_sel_hi:[0,1]
	v_and_b32_e32 v14, 0xc0, v0
	v_add_u32_e32 v14, s14, v14
	v_lshl_or_b32 v14, v53, 2, v14
	v_pk_mul_f32 v[36:37], s[6:7], v[16:17] op_sel_hi:[0,1]
	v_or_b32_e32 v17, 1, v14
	v_mov_b32_e32 v15, 0xff7fffff
	v_cmp_gt_i32_e64 s[28:29], s38, v14
	v_cmp_gt_i32_e64 s[30:31], s38, v17
	v_or_b32_e32 v18, 3, v14
	v_cndmask_b32_e64 v16, v15, v12, s[28:29]
	v_cndmask_b32_e64 v17, v15, v13, s[30:31]
	v_max3_f32 v16, v16, s40, v17
	v_or_b32_e32 v17, 2, v14
	v_cmp_gt_i32_e64 s[34:35], s38, v17
	v_cmp_gt_i32_e64 s[36:37], s38, v18
	v_pk_mul_f32 v[40:41], s[6:7], v[26:27] op_sel_hi:[0,1]
	v_cndmask_b32_e64 v17, v15, v48, s[34:35]
	v_cndmask_b32_e64 v18, v15, v49, s[36:37]
	v_max3_f32 v16, v16, v17, v18
	v_or_b32_e32 v17, 16, v14
	v_or_b32_e32 v18, 17, v14
	v_cmp_gt_i32_e64 s[22:23], s38, v17
	v_cmp_gt_i32_e64 s[24:25], s38, v18
	v_pk_mul_f32 v[50:51], s[6:7], v[28:29] op_sel_hi:[0,1]
	v_cndmask_b32_e64 v17, v15, v40, s[22:23]
	v_cndmask_b32_e64 v18, v15, v41, s[24:25]
	v_max3_f32 v16, v16, v17, v18
	v_or_b32_e32 v17, 18, v14
	v_or_b32_e32 v18, 19, v14
	v_cmp_gt_i32_e64 s[18:19], s38, v17
	v_cmp_gt_i32_e64 s[20:21], s38, v18
	v_mad_i64_i32 v[2:3], s[4:5], v67, s41, 0
	v_cndmask_b32_e64 v17, v15, v50, s[18:19]
	v_cndmask_b32_e64 v18, v15, v51, s[20:21]
	v_max3_f32 v16, v16, v17, v18
	v_or_b32_e32 v17, 32, v14
	v_or_b32_e32 v18, 33, v14
	v_cmp_gt_i32_e64 s[14:15], s38, v17
	v_cmp_gt_i32_e64 s[16:17], s38, v18
	v_lshl_add_u64 v[2:3], v[2:3], 1, v[10:11]
	v_cndmask_b32_e64 v17, v15, v44, s[14:15]
	v_cndmask_b32_e64 v18, v15, v45, s[16:17]
	v_max3_f32 v16, v16, v17, v18
	v_or_b32_e32 v17, 34, v14
	v_or_b32_e32 v18, 35, v14
	v_cmp_gt_i32_e64 s[10:11], s38, v17
	v_cmp_gt_i32_e64 s[12:13], s38, v18
	global_load_dwordx4 v[6:9], v[2:3], off
	s_nop 0
	global_load_dwordx4 v[2:5], v[2:3], off offset:16
	v_cndmask_b32_e64 v17, v15, v46, s[10:11]
	v_cndmask_b32_e64 v18, v15, v47, s[12:13]
	v_max3_f32 v16, v16, v17, v18
	v_or_b32_e32 v17, 48, v14
	v_or_b32_e32 v18, 49, v14
	v_cmp_gt_i32_e64 s[6:7], s38, v17
	v_cmp_gt_i32_e64 s[8:9], s38, v18
	global_load_dwordx4 v[30:33], v[58:59], off
	global_load_dwordx4 v[26:29], v[58:59], off offset:16
	v_cndmask_b32_e64 v17, v15, v42, s[6:7]
	v_cndmask_b32_e64 v18, v15, v43, s[8:9]
	v_max3_f32 v16, v16, v17, v18
	v_or_b32_e32 v17, 50, v14
	v_or_b32_e32 v14, 51, v14
	v_cmp_gt_i32_e32 vcc, s38, v17
	v_cmp_gt_i32_e64 s[4:5], s38, v14
	s_nop 0
	v_cndmask_b32_e32 v17, v15, v36, vcc
	v_cndmask_b32_e64 v14, v15, v37, s[4:5]
	v_max3_f32 v16, v16, v17, v14
	v_mbcnt_lo_u32_b32 v14, -1, 0
	v_mbcnt_hi_u32_b32 v17, -1, v14
	v_and_b32_e32 v14, 64, v17
	v_add_u32_e32 v18, 64, v14
	v_xor_b32_e32 v14, 32, v17
	v_cmp_lt_i32_e64 s[38:39], v14, v18
	s_nop 1
	v_cndmask_b32_e64 v14, v17, v14, s[38:39]
	v_lshlrev_b32_e32 v61, 2, v14
	ds_bpermute_b32 v19, v61, v16
	s_waitcnt vmcnt(5)
	v_mad_i64_i32 v[14:15], s[38:39], v57, s41, 0
	v_lshl_add_u64 v[14:15], v[14:15], 1, v[10:11]
	s_waitcnt lgkmcnt(0)
	v_max_f32_e32 v19, v19, v19
	v_max_f32_e32 v16, v16, v19
	v_xor_b32_e32 v19, 16, v17
	v_cmp_lt_i32_e64 s[38:39], v19, v18
	s_nop 1
	v_cndmask_b32_e64 v17, v17, v19, s[38:39]
	v_lshlrev_b32_e32 v58, 2, v17
	ds_bpermute_b32 v17, v58, v16
	global_load_dwordx4 v[22:25], v[14:15], off
	global_load_dwordx4 v[18:21], v[14:15], off offset:16
	s_waitcnt vmcnt(6)
	v_mad_i64_i32 v[14:15], s[38:39], v60, s41, 0
	v_lshl_add_u64 v[10:11], v[14:15], 1, v[10:11]
	s_waitcnt lgkmcnt(0)
	v_max_f32_e32 v14, v17, v17
	v_max_f32_e32 v57, v16, v14
	v_sub_f32_e32 v12, v12, v57
	v_mul_f32_e32 v12, 0x3fb8aa3b, v12
	v_exp_f32_e32 v38, v12
	v_sub_f32_e32 v12, v13, v57
	v_mul_f32_e32 v12, 0x3fb8aa3b, v12
	v_exp_f32_e32 v39, v12
	global_load_dwordx4 v[14:17], v[10:11], off
	s_nop 0
	global_load_dwordx4 v[10:13], v[10:11], off offset:16
	v_sub_f32_e32 v48, v48, v57
	v_mul_f32_e32 v48, 0x3fb8aa3b, v48
	v_sub_f32_e32 v49, v49, v57
	v_exp_f32_e32 v48, v48
	v_mul_f32_e32 v49, 0x3fb8aa3b, v49
	v_sub_f32_e32 v40, v40, v57
	v_exp_f32_e32 v49, v49
	v_mul_f32_e32 v40, 0x3fb8aa3b, v40
	v_sub_f32_e32 v41, v41, v57
	v_cndmask_b32_e64 v38, 0, v38, s[28:29]
	v_exp_f32_e32 v40, v40
	v_mul_f32_e32 v41, 0x3fb8aa3b, v41
	v_sub_f32_e32 v50, v50, v57
	v_add_f32_e32 v59, 0, v38
	v_cndmask_b32_e64 v39, 0, v39, s[30:31]
	v_exp_f32_e32 v41, v41
	v_mul_f32_e32 v50, 0x3fb8aa3b, v50
	v_sub_f32_e32 v51, v51, v57
	v_add_f32_e32 v59, v59, v39
	;; [unrolled: 5-line block ×10, first 2 shown]
	v_cndmask_b32_e64 v46, 0, v46, s[10:11]
	v_exp_f32_e32 v36, v36
	v_mul_f32_e32 v37, 0x3fb8aa3b, v37
	v_add_f32_e32 v59, v59, v46
	v_cndmask_b32_e64 v47, 0, v47, s[12:13]
	v_exp_f32_e32 v37, v37
	v_add_f32_e32 v59, v59, v47
	v_cndmask_b32_e64 v42, 0, v42, s[6:7]
	v_add_f32_e32 v59, v59, v42
	v_cndmask_b32_e64 v43, 0, v43, s[8:9]
	v_add_f32_e32 v59, v59, v43
	v_cndmask_b32_e32 v36, 0, v36, vcc
	v_add_f32_e32 v59, v59, v36
	v_cndmask_b32_e64 v37, 0, v37, s[4:5]
	v_add_f32_e32 v59, v59, v37
	ds_bpermute_b32 v60, v61, v59
	v_cmp_gt_u32_e32 vcc, 16, v56
	s_waitcnt lgkmcnt(0)
	s_barrier
	v_add_f32_e32 v59, v59, v60
	ds_bpermute_b32 v60, v58, v59
	v_lshlrev_b32_e32 v58, 2, v54
	s_and_saveexec_b64 s[4:5], vcc
	s_cbranch_execz .LBB575_15
; %bb.14:
	s_waitcnt lgkmcnt(0)
	v_add_f32_e32 v56, v59, v60
	v_lshl_or_b32 v59, v55, 6, v58
	ds_write2st64_b32 v59, v57, v56 offset1:1
.LBB575_15:
	s_or_b64 exec, exec, s[4:5]
	s_load_dword s6, s[0:1], 0x94
	s_waitcnt lgkmcnt(0)
	s_barrier
	ds_read2_b32 v[60:61], v58 offset1:16
	ds_read2_b32 v[62:63], v58 offset0:32 offset1:48
	ds_read2_b32 v[64:65], v58 offset0:64 offset1:80
	;; [unrolled: 1-line block ×3, first 2 shown]
	s_movk_i32 s8, 0x7fff
	s_waitcnt lgkmcnt(3)
	v_max3_f32 v56, v60, s40, v61
	s_waitcnt lgkmcnt(2)
	v_max3_f32 v56, v56, v62, v63
	v_sub_f32_e32 v57, v60, v56
	v_mul_f32_e32 v57, 0x3fb8aa3b, v57
	v_exp_f32_e32 v60, v57
	v_sub_f32_e32 v57, v61, v56
	v_mul_f32_e32 v57, 0x3fb8aa3b, v57
	v_exp_f32_e32 v61, v57
	;; [unrolled: 3-line block ×4, first 2 shown]
	s_waitcnt lgkmcnt(1)
	v_fma_f32 v57, v60, v64, 0
	v_fmac_f32_e32 v57, v61, v65
	s_waitcnt lgkmcnt(0)
	v_fmac_f32_e32 v57, v62, v58
	v_fmac_f32_e32 v57, v63, v59
	v_add_f32_e32 v58, 0x358637bd, v57
	v_div_scale_f32 v59, s[4:5], v58, v58, 1.0
	v_rcp_f32_e32 v64, v59
	s_mov_b32 s9, 0x7060302
	s_barrier
	v_fma_f32 v65, -v59, v64, 1.0
	v_fmac_f32_e32 v64, v65, v64
	v_div_scale_f32 v65, vcc, 1.0, v58, 1.0
	v_mul_f32_e32 v66, v65, v64
	v_fma_f32 v67, -v59, v66, v65
	v_fmac_f32_e32 v66, v67, v64
	v_fma_f32 v59, -v59, v66, v65
	v_div_fmas_f32 v59, v59, v64, v66
	v_cmp_eq_u32_e32 vcc, 1, v55
	v_div_fixup_f32 v58, v59, v58, 1.0
	s_nop 0
	v_cndmask_b32_e32 v59, v60, v61, vcc
	v_cmp_eq_u32_e32 vcc, 2, v55
	s_lshl_b32 s7, s33, 2
	s_nop 0
	v_cndmask_b32_e32 v59, v59, v62, vcc
	v_cmp_eq_u32_e32 vcc, 3, v55
	s_nop 1
	v_cndmask_b32_e32 v59, v59, v63, vcc
	v_mul_f32_e32 v58, v59, v58
	v_pk_mul_f32 v[38:39], v[58:59], v[38:39] op_sel_hi:[0,1]
	v_pk_mul_f32 v[48:49], v[58:59], v[48:49] op_sel_hi:[0,1]
	v_bfe_u32 v59, v39, 16, 1
	v_bfe_u32 v60, v38, 16, 1
	v_add3_u32 v38, v38, v60, s8
	v_add3_u32 v39, v39, v59, s8
	v_perm_b32 v60, v39, v38, s9
	v_bfe_u32 v38, v49, 16, 1
	v_bfe_u32 v39, v48, 16, 1
	v_add3_u32 v39, v48, v39, s8
	v_add3_u32 v38, v49, v38, s8
	v_perm_b32 v61, v38, v39, s9
	v_lshlrev_b32_e32 v38, 3, v53
	v_lshlrev_b32_e32 v39, 5, v54
	;; [unrolled: 1-line block ×3, first 2 shown]
	v_pk_mul_f32 v[40:41], v[58:59], v[40:41] op_sel_hi:[0,1]
	v_or3_b32 v38, v48, v39, v38
	v_pk_mul_f32 v[48:49], v[58:59], v[50:51] op_sel_hi:[0,1]
	v_bfe_u32 v50, v41, 16, 1
	v_bfe_u32 v51, v40, 16, 1
	v_add3_u32 v40, v40, v51, s8
	v_add3_u32 v41, v41, v50, s8
	v_perm_b32 v40, v41, v40, s9
	v_bfe_u32 v41, v49, 16, 1
	v_bfe_u32 v50, v48, 16, 1
	v_add3_u32 v48, v48, v50, s8
	v_add3_u32 v41, v49, v41, s8
	v_perm_b32 v41, v41, v48, s9
	v_pk_mul_f32 v[44:45], v[58:59], v[44:45] op_sel_hi:[0,1]
	ds_write2st64_b64 v38, v[60:61], v[40:41] offset1:1
	v_pk_mul_f32 v[40:41], v[58:59], v[46:47] op_sel_hi:[0,1]
	v_bfe_u32 v46, v45, 16, 1
	v_bfe_u32 v47, v44, 16, 1
	v_add3_u32 v44, v44, v47, s8
	v_add3_u32 v45, v45, v46, s8
	v_perm_b32 v44, v45, v44, s9
	v_bfe_u32 v45, v41, 16, 1
	v_bfe_u32 v46, v40, 16, 1
	v_add3_u32 v40, v40, v46, s8
	v_add3_u32 v41, v41, v45, s8
	v_perm_b32 v45, v41, v40, s9
	v_pk_mul_f32 v[40:41], v[58:59], v[42:43] op_sel_hi:[0,1]
	v_bfe_u32 v42, v41, 16, 1
	v_bfe_u32 v43, v40, 16, 1
	v_pk_mul_f32 v[36:37], v[58:59], v[36:37] op_sel_hi:[0,1]
	v_add3_u32 v40, v40, v43, s8
	v_add3_u32 v41, v41, v42, s8
	v_perm_b32 v40, v41, v40, s9
	v_bfe_u32 v41, v37, 16, 1
	v_bfe_u32 v42, v36, 16, 1
	v_add3_u32 v36, v36, v42, s8
	v_add3_u32 v37, v37, v41, s8
	v_perm_b32 v41, v37, v36, s9
	v_cmp_gt_u32_e32 vcc, 4, v0
	ds_write2st64_b64 v38, v[44:45], v[40:41] offset0:2 offset1:3
	s_and_saveexec_b64 s[4:5], vcc
	s_cbranch_execz .LBB575_17
; %bb.16:
	v_or_b32_e32 v36, s27, v0
	v_mov_b32_e32 v37, 0
	v_mov_b32_e32 v40, s7
	v_mad_u64_u32 v[40:41], s[10:11], s2, v40, v[36:37]
	v_mov_b32_e32 v36, s26
	s_load_dwordx4 s[12:15], s[0:1], 0x58
	s_mul_i32 s3, s3, s7
	v_mad_u64_u32 v[36:37], s[10:11], v40, s6, v[36:37]
	v_add_u32_e32 v41, s3, v41
	v_mov_b32_e32 v40, v37
	v_mad_u64_u32 v[40:41], s[10:11], v41, s6, v[40:41]
	v_mov_b32_e32 v37, v40
	v_lshlrev_b64 v[36:37], 2, v[36:37]
	s_waitcnt lgkmcnt(0)
	v_lshl_add_u64 v[40:41], s[14:15], 0, v[36:37]
	v_lshl_add_u64 v[36:37], s[12:13], 0, v[36:37]
	global_store_dword v[40:41], v56, off
	global_store_dword v[36:37], v57, off
.LBB575_17:
	s_or_b64 exec, exec, s[4:5]
	v_lshl_or_b32 v36, v53, 9, v39
	s_waitcnt lgkmcnt(0)
	s_barrier
	ds_read_b128 v[40:43], v36
	ds_read_b128 v[44:47], v36 offset:16
	s_waitcnt vmcnt(7) lgkmcnt(1)
	v_mfma_f32_16x16x16_bf16 v[48:51], v[6:7], v[40:41], 0
	s_mov_b32 s3, 0
	v_mfma_f32_16x16x16_bf16 v[6:9], v[8:9], v[42:43], v[48:51]
	s_waitcnt vmcnt(6) lgkmcnt(0)
	v_mfma_f32_16x16x16_bf16 v[6:9], v[2:3], v[44:45], v[6:9]
	v_mfma_f32_16x16x16_bf16 v[2:5], v[4:5], v[46:47], v[6:9]
	s_nop 5
	ds_read_b128 v[6:9], v36 offset:2048
	ds_read_b128 v[40:43], v36 offset:2064
	s_waitcnt vmcnt(5) lgkmcnt(1)
	v_mfma_f32_16x16x16_bf16 v[2:5], v[30:31], v[6:7], v[2:5]
	v_mfma_f32_16x16x16_bf16 v[2:5], v[32:33], v[8:9], v[2:5]
	s_waitcnt vmcnt(4) lgkmcnt(0)
	v_mfma_f32_16x16x16_bf16 v[2:5], v[26:27], v[40:41], v[2:5]
	v_mfma_f32_16x16x16_bf16 v[2:5], v[28:29], v[42:43], v[2:5]
	ds_read_b128 v[6:9], v36 offset:4096
	ds_read_b128 v[26:29], v36 offset:4112
	s_waitcnt vmcnt(3) lgkmcnt(1)
	v_mfma_f32_16x16x16_bf16 v[2:5], v[22:23], v[6:7], v[2:5]
	v_mfma_f32_16x16x16_bf16 v[2:5], v[24:25], v[8:9], v[2:5]
	s_waitcnt vmcnt(2) lgkmcnt(0)
	v_mfma_f32_16x16x16_bf16 v[2:5], v[18:19], v[26:27], v[2:5]
	v_mfma_f32_16x16x16_bf16 v[2:5], v[20:21], v[28:29], v[2:5]
	ds_read_b128 v[6:9], v36 offset:6144
	ds_read_b128 v[18:21], v36 offset:6160
	s_waitcnt lgkmcnt(0)
	s_barrier
	s_waitcnt vmcnt(1)
	v_mfma_f32_16x16x16_bf16 v[2:5], v[14:15], v[6:7], v[2:5]
	v_mfma_f32_16x16x16_bf16 v[2:5], v[16:17], v[8:9], v[2:5]
	s_waitcnt vmcnt(0)
	v_mfma_f32_16x16x16_bf16 v[2:5], v[10:11], v[18:19], v[2:5]
	v_mfma_f32_16x16x16_bf16 v[2:5], v[12:13], v[20:21], v[2:5]
	s_nop 6
	v_bfe_u32 v6, v3, 16, 1
	v_bfe_u32 v7, v2, 16, 1
	;; [unrolled: 1-line block ×4, first 2 shown]
	v_add3_u32 v2, v2, v7, s8
	v_add3_u32 v3, v3, v6, s8
	;; [unrolled: 1-line block ×4, first 2 shown]
	v_perm_b32 v2, v3, v2, s9
	v_perm_b32 v3, v5, v4, s9
	ds_write_b64 v38, v[2:3]
	s_waitcnt lgkmcnt(0)
	s_barrier
	s_and_saveexec_b64 s[4:5], s[44:45]
	s_cbranch_execz .LBB575_19
; %bb.18:
	s_load_dwordx2 s[0:1], s[0:1], 0x68
	s_lshl_b32 s6, s6, 6
	s_mul_i32 s2, s7, s2
	s_mul_hi_u32 s5, s2, s6
	s_mul_i32 s4, s2, s6
	v_lshlrev_b32_e32 v2, 10, v0
	v_lshlrev_b32_e32 v0, 4, v0
	s_lshl_b64 s[4:5], s[4:5], 1
	v_and_b32_e32 v2, 0x1800, v2
	v_and_b32_e32 v0, 16, v0
	s_waitcnt lgkmcnt(0)
	s_add_u32 s4, s0, s4
	v_or3_b32 v0, v2, v52, v0
	s_addc_u32 s5, s1, s5
	s_lshl_b32 s2, s26, 6
	ds_read_b128 v[2:5], v0
	s_lshl_b64 s[0:1], s[2:3], 1
	s_add_u32 s0, s4, s0
	s_addc_u32 s1, s5, s1
	v_mad_u64_u32 v[0:1], s[2:3], s6, v1, 0
	v_lshl_add_u64 v[0:1], v[0:1], 1, s[0:1]
	v_lshl_add_u64 v[0:1], v[34:35], 1, v[0:1]
	s_waitcnt lgkmcnt(0)
	global_store_dwordx4 v[0:1], v[2:5], off
.LBB575_19:
	s_endpgm
	.section	.rodata,"a",@progbits
	.p2align	6, 0x0
	.amdhsa_kernel _Z39paged_attention_ll4mi_QKV_mfma16_kernelI14__hip_bfloat16S0_LN4vllm18Fp8KVCacheDataTypeE0ES0_Li32ELi64ELi256ELb0ELi4EEvPKT_PKT0_S8_ifPKiSA_SA_iPKfiiiPfSD_PS3_PT2_iSC_SC_
		.amdhsa_group_segment_fixed_size 8192
		.amdhsa_private_segment_fixed_size 0
		.amdhsa_kernarg_size 400
		.amdhsa_user_sgpr_count 2
		.amdhsa_user_sgpr_dispatch_ptr 0
		.amdhsa_user_sgpr_queue_ptr 0
		.amdhsa_user_sgpr_kernarg_segment_ptr 1
		.amdhsa_user_sgpr_dispatch_id 0
		.amdhsa_user_sgpr_kernarg_preload_length 0
		.amdhsa_user_sgpr_kernarg_preload_offset 0
		.amdhsa_user_sgpr_private_segment_size 0
		.amdhsa_uses_dynamic_stack 0
		.amdhsa_enable_private_segment 0
		.amdhsa_system_sgpr_workgroup_id_x 1
		.amdhsa_system_sgpr_workgroup_id_y 1
		.amdhsa_system_sgpr_workgroup_id_z 1
		.amdhsa_system_sgpr_workgroup_info 0
		.amdhsa_system_vgpr_workitem_id 0
		.amdhsa_next_free_vgpr 69
		.amdhsa_next_free_sgpr 46
		.amdhsa_accum_offset 72
		.amdhsa_reserve_vcc 1
		.amdhsa_float_round_mode_32 0
		.amdhsa_float_round_mode_16_64 0
		.amdhsa_float_denorm_mode_32 3
		.amdhsa_float_denorm_mode_16_64 3
		.amdhsa_dx10_clamp 1
		.amdhsa_ieee_mode 1
		.amdhsa_fp16_overflow 0
		.amdhsa_tg_split 0
		.amdhsa_exception_fp_ieee_invalid_op 0
		.amdhsa_exception_fp_denorm_src 0
		.amdhsa_exception_fp_ieee_div_zero 0
		.amdhsa_exception_fp_ieee_overflow 0
		.amdhsa_exception_fp_ieee_underflow 0
		.amdhsa_exception_fp_ieee_inexact 0
		.amdhsa_exception_int_div_zero 0
	.end_amdhsa_kernel
	.section	.text._Z39paged_attention_ll4mi_QKV_mfma16_kernelI14__hip_bfloat16S0_LN4vllm18Fp8KVCacheDataTypeE0ES0_Li32ELi64ELi256ELb0ELi4EEvPKT_PKT0_S8_ifPKiSA_SA_iPKfiiiPfSD_PS3_PT2_iSC_SC_,"axG",@progbits,_Z39paged_attention_ll4mi_QKV_mfma16_kernelI14__hip_bfloat16S0_LN4vllm18Fp8KVCacheDataTypeE0ES0_Li32ELi64ELi256ELb0ELi4EEvPKT_PKT0_S8_ifPKiSA_SA_iPKfiiiPfSD_PS3_PT2_iSC_SC_,comdat
.Lfunc_end575:
	.size	_Z39paged_attention_ll4mi_QKV_mfma16_kernelI14__hip_bfloat16S0_LN4vllm18Fp8KVCacheDataTypeE0ES0_Li32ELi64ELi256ELb0ELi4EEvPKT_PKT0_S8_ifPKiSA_SA_iPKfiiiPfSD_PS3_PT2_iSC_SC_, .Lfunc_end575-_Z39paged_attention_ll4mi_QKV_mfma16_kernelI14__hip_bfloat16S0_LN4vllm18Fp8KVCacheDataTypeE0ES0_Li32ELi64ELi256ELb0ELi4EEvPKT_PKT0_S8_ifPKiSA_SA_iPKfiiiPfSD_PS3_PT2_iSC_SC_
                                        ; -- End function
	.section	.AMDGPU.csdata,"",@progbits
; Kernel info:
; codeLenInByte = 4012
; NumSgprs: 52
; NumVgprs: 69
; NumAgprs: 0
; TotalNumVgprs: 69
; ScratchSize: 0
; MemoryBound: 0
; FloatMode: 240
; IeeeMode: 1
; LDSByteSize: 8192 bytes/workgroup (compile time only)
; SGPRBlocks: 6
; VGPRBlocks: 8
; NumSGPRsForWavesPerEU: 52
; NumVGPRsForWavesPerEU: 69
; AccumOffset: 72
; Occupancy: 7
; WaveLimiterHint : 1
; COMPUTE_PGM_RSRC2:SCRATCH_EN: 0
; COMPUTE_PGM_RSRC2:USER_SGPR: 2
; COMPUTE_PGM_RSRC2:TRAP_HANDLER: 0
; COMPUTE_PGM_RSRC2:TGID_X_EN: 1
; COMPUTE_PGM_RSRC2:TGID_Y_EN: 1
; COMPUTE_PGM_RSRC2:TGID_Z_EN: 1
; COMPUTE_PGM_RSRC2:TIDIG_COMP_CNT: 0
; COMPUTE_PGM_RSRC3_GFX90A:ACCUM_OFFSET: 17
; COMPUTE_PGM_RSRC3_GFX90A:TG_SPLIT: 0
	.section	.text._Z38paged_attention_ll4mi_QKV_mfma4_kernelI14__hip_bfloat16S0_LN4vllm18Fp8KVCacheDataTypeE0EhLi16ELi128ELi256ELb1ELi1EEvPKT_PKT0_S8_ifPKiSA_SA_iPKfiiiPfSD_PS3_PT2_iSC_SC_,"axG",@progbits,_Z38paged_attention_ll4mi_QKV_mfma4_kernelI14__hip_bfloat16S0_LN4vllm18Fp8KVCacheDataTypeE0EhLi16ELi128ELi256ELb1ELi1EEvPKT_PKT0_S8_ifPKiSA_SA_iPKfiiiPfSD_PS3_PT2_iSC_SC_,comdat
	.protected	_Z38paged_attention_ll4mi_QKV_mfma4_kernelI14__hip_bfloat16S0_LN4vllm18Fp8KVCacheDataTypeE0EhLi16ELi128ELi256ELb1ELi1EEvPKT_PKT0_S8_ifPKiSA_SA_iPKfiiiPfSD_PS3_PT2_iSC_SC_ ; -- Begin function _Z38paged_attention_ll4mi_QKV_mfma4_kernelI14__hip_bfloat16S0_LN4vllm18Fp8KVCacheDataTypeE0EhLi16ELi128ELi256ELb1ELi1EEvPKT_PKT0_S8_ifPKiSA_SA_iPKfiiiPfSD_PS3_PT2_iSC_SC_
	.globl	_Z38paged_attention_ll4mi_QKV_mfma4_kernelI14__hip_bfloat16S0_LN4vllm18Fp8KVCacheDataTypeE0EhLi16ELi128ELi256ELb1ELi1EEvPKT_PKT0_S8_ifPKiSA_SA_iPKfiiiPfSD_PS3_PT2_iSC_SC_
	.p2align	8
	.type	_Z38paged_attention_ll4mi_QKV_mfma4_kernelI14__hip_bfloat16S0_LN4vllm18Fp8KVCacheDataTypeE0EhLi16ELi128ELi256ELb1ELi1EEvPKT_PKT0_S8_ifPKiSA_SA_iPKfiiiPfSD_PS3_PT2_iSC_SC_,@function
_Z38paged_attention_ll4mi_QKV_mfma4_kernelI14__hip_bfloat16S0_LN4vllm18Fp8KVCacheDataTypeE0EhLi16ELi128ELi256ELb1ELi1EEvPKT_PKT0_S8_ifPKiSA_SA_iPKfiiiPfSD_PS3_PT2_iSC_SC_: ; @_Z38paged_attention_ll4mi_QKV_mfma4_kernelI14__hip_bfloat16S0_LN4vllm18Fp8KVCacheDataTypeE0EhLi16ELi128ELi256ELb1ELi1EEvPKT_PKT0_S8_ifPKiSA_SA_iPKfiiiPfSD_PS3_PT2_iSC_SC_
; %bb.0:
	s_load_dwordx2 s[8:9], s[0:1], 0x30
	s_mov_b32 s16, s3
	s_mov_b64 s[6:7], 0
	s_waitcnt lgkmcnt(0)
	s_cmp_lg_u64 s[8:9], 0
	s_cselect_b64 s[10:11], -1, 0
	s_and_b64 vcc, exec, s[10:11]
	s_cbranch_vccz .LBB576_10
; %bb.1:
	s_add_i32 s12, s2, 1
	s_mov_b32 s13, 0
	s_lshl_b64 s[14:15], s[12:13], 2
	s_add_u32 s14, s8, s14
	s_mov_b32 s3, s13
	s_addc_u32 s15, s9, s15
	s_lshl_b64 s[12:13], s[2:3], 2
	s_add_u32 s12, s8, s12
	s_addc_u32 s13, s9, s13
	s_load_dword s5, s[14:15], 0x0
	s_load_dword s17, s[12:13], 0x0
	s_waitcnt lgkmcnt(0)
	s_sub_i32 s5, s5, s17
	s_cmp_eq_u32 s5, 1
	s_cselect_b64 s[12:13], -1, 0
	s_andn2_b64 vcc, exec, s[6:7]
	s_cbranch_vccnz .LBB576_3
.LBB576_2:
	s_mov_b32 s3, 0
	s_mov_b64 s[12:13], -1
.LBB576_3:
	s_andn2_b64 vcc, exec, s[12:13]
	s_cbranch_vccnz .LBB576_27
; %bb.4:
	s_load_dword s5, s[0:1], 0x9c
	s_load_dwordx2 s[6:7], s[0:1], 0x28
	s_add_u32 s20, s0, 0x90
	s_addc_u32 s21, s1, 0
	s_lshl_b64 s[24:25], s[2:3], 2
	s_waitcnt lgkmcnt(0)
	s_and_b32 s5, s5, 0xffff
	s_add_u32 s6, s6, s24
	s_addc_u32 s7, s7, s25
	s_load_dword s3, s[6:7], 0x0
	s_mul_i32 s5, s16, s5
	s_waitcnt lgkmcnt(0)
	s_cmp_ge_i32 s5, s3
	s_cbranch_scc1 .LBB576_27
; %bb.5:
	v_and_b32_e32 v1, 0xc0, v0
	v_add_u32_e32 v2, s5, v1
	v_lshrrev_b32_e32 v90, 6, v0
	v_cmp_le_i32_e64 s[6:7], s3, v2
                                        ; implicit-def: $sgpr26
                                        ; implicit-def: $sgpr17
	s_and_saveexec_b64 s[12:13], s[6:7]
	s_xor_b64 s[12:13], exec, s[12:13]
	s_cbranch_execz .LBB576_7
; %bb.6:
	v_mul_u32_u24_e32 v1, 20, v90
	v_or_b32_e32 v1, 0x1400, v1
	v_mov_b32_e32 v2, 0x1450
	v_mov_b32_e32 v3, 0xff7fffff
	v_mad_u32_u24 v2, v90, 20, v2
	ds_write2_b32 v1, v3, v3 offset1:1
	v_mov_b32_e32 v1, 0
	ds_write2_b32 v2, v1, v1 offset1:1
	v_mov_b32_e32 v2, 0x1408
	s_mov_b32 s17, 0xff7fffff
	s_mov_b32 s26, 0
	v_mad_u32_u24 v2, v90, 20, v2
	v_mov_b32_e32 v4, 0x1458
	v_mad_u32_u24 v4, v90, 20, v4
	ds_write2_b32 v2, v3, v3 offset1:1
	ds_write2_b32 v4, v1, v1 offset1:1
                                        ; implicit-def: $vgpr2
.LBB576_7:
	s_or_saveexec_b64 s[22:23], s[12:13]
	s_load_dwordx2 s[18:19], s[0:1], 0x68
	s_load_dwordx4 s[12:15], s[0:1], 0x58
	s_load_dword s33, s[20:21], 0x4
	v_and_b32_e32 v1, 63, v0
	v_and_b32_e32 v91, 3, v0
	v_mov_b32_e32 v69, s26
	v_mov_b32_e32 v72, s17
	;; [unrolled: 1-line block ×5, first 2 shown]
                                        ; implicit-def: $vgpr3
                                        ; implicit-def: $vgpr11
                                        ; implicit-def: $vgpr23
                                        ; implicit-def: $vgpr31
                                        ; implicit-def: $vgpr47
                                        ; implicit-def: $vgpr35
                                        ; implicit-def: $vgpr51
                                        ; implicit-def: $vgpr55
                                        ; implicit-def: $vgpr15
                                        ; implicit-def: $vgpr7
                                        ; implicit-def: $vgpr19
                                        ; implicit-def: $vgpr27
                                        ; implicit-def: $vgpr39
                                        ; implicit-def: $vgpr43
                                        ; implicit-def: $vgpr59
                                        ; implicit-def: $vgpr63
	s_xor_b64 exec, exec, s[22:23]
	s_cbranch_execz .LBB576_19
; %bb.8:
	s_add_i32 s28, s3, 15
	s_ashr_i32 s29, s28, 31
	s_lshr_b32 s29, s29, 28
	v_add_u32_e32 v92, s5, v0
	s_add_i32 s28, s28, s29
	v_ashrrev_i32_e32 v3, 31, v92
	s_load_dwordx2 s[26:27], s[0:1], 0x20
	s_load_dword s17, s[0:1], 0x38
	s_ashr_i32 s28, s28, 4
	v_lshrrev_b32_e32 v3, 28, v3
	s_add_i32 s30, s28, -1
	v_add_u32_e32 v3, v92, v3
	v_ashrrev_i32_e32 v3, 4, v3
	v_mov_b32_e32 v4, s30
	v_cmp_gt_i32_e32 vcc, s3, v92
	s_waitcnt lgkmcnt(0)
	s_mul_i32 s28, s2, s17
	s_mov_b32 s29, 0
	v_cndmask_b32_e32 v4, v4, v3, vcc
	v_ashrrev_i32_e32 v3, 31, v2
	v_lshrrev_b32_e32 v3, 28, v3
	v_add_u32_e32 v2, v2, v3
	s_lshl_b64 s[28:29], s[28:29], 2
	v_ashrrev_i32_e32 v12, 4, v2
	s_add_u32 s26, s26, s28
	v_min_i32_e32 v2, s30, v12
	s_addc_u32 s27, s27, s29
	v_ashrrev_i32_e32 v3, 31, v2
	v_lshl_add_u64 v[6:7], v[2:3], 2, s[26:27]
	v_add_u32_e32 v2, 1, v12
	v_min_i32_e32 v2, s30, v2
	v_ashrrev_i32_e32 v3, 31, v2
	v_lshl_add_u64 v[8:9], v[2:3], 2, s[26:27]
	v_add_u32_e32 v2, 2, v12
	v_min_i32_e32 v2, s30, v2
	v_ashrrev_i32_e32 v3, 31, v2
	v_lshl_add_u64 v[10:11], v[2:3], 2, s[26:27]
	v_add_u32_e32 v2, 3, v12
	v_ashrrev_i32_e32 v5, 31, v4
	v_min_i32_e32 v2, s30, v2
	v_lshl_add_u64 v[4:5], v[4:5], 2, s[26:27]
	v_ashrrev_i32_e32 v3, 31, v2
	v_lshl_add_u64 v[12:13], v[2:3], 2, s[26:27]
	global_load_dword v3, v[4:5], off
	global_load_dword v2, v[6:7], off
	;; [unrolled: 1-line block ×5, first 2 shown]
	s_load_dwordx2 s[28:29], s[0:1], 0x8
	s_andn2_b64 vcc, exec, s[10:11]
	s_cbranch_vccnz .LBB576_11
; %bb.9:
	s_add_u32 s8, s8, s24
	s_addc_u32 s9, s9, s25
	s_load_dword s5, s[8:9], 0x0
	s_branch .LBB576_12
.LBB576_10:
	s_mov_b64 s[12:13], 0
	s_branch .LBB576_2
.LBB576_11:
	s_mov_b32 s5, s2
.LBB576_12:
	s_load_dwordx2 s[24:25], s[0:1], 0x10
	s_load_dwordx4 s[8:11], s[0:1], 0x48
	v_cmp_eq_u32_e32 vcc, 0, v91
	s_mov_b32 s27, 0
	v_mov_b32_e32 v89, 0
	v_mov_b32_e32 v56, 0
	;; [unrolled: 1-line block ×5, first 2 shown]
	s_and_saveexec_b64 s[30:31], vcc
	s_cbranch_execz .LBB576_14
; %bb.13:
	s_load_dwordx2 s[34:35], s[0:1], 0x0
	s_waitcnt lgkmcnt(0)
	s_ashr_i32 s11, s8, 31
	s_mul_hi_u32 s17, s5, s8
	s_mul_i32 s11, s5, s11
	s_add_i32 s37, s17, s11
	s_mul_i32 s36, s5, s8
	s_lshl_b64 s[36:37], s[36:37], 1
	s_add_u32 s5, s34, s36
	s_addc_u32 s8, s35, s37
	s_lshl_b32 s26, s4, 7
	s_lshl_b64 s[34:35], s[26:27], 1
	s_add_u32 s34, s5, s34
	s_addc_u32 s35, s8, s35
	v_lshlrev_b32_e32 v4, 2, v1
	global_load_dwordx4 v[56:59], v4, s[34:35]
.LBB576_14:
	s_or_b64 exec, exec, s[30:31]
	s_waitcnt lgkmcnt(0)
	s_mul_i32 s26, s4, s10
	s_lshl_b64 s[10:11], s[26:27], 1
	s_add_u32 s28, s10, s28
	s_waitcnt vmcnt(4)
	v_mad_i64_i32 v[4:5], s[30:31], v3, s9, 0
	s_addc_u32 s29, s11, s29
	v_and_b32_e32 v3, 15, v0
	v_lshl_add_u64 v[4:5], v[4:5], 1, s[28:29]
	v_lshlrev_b32_e32 v88, 4, v3
	v_lshl_add_u64 v[4:5], v[4:5], 0, v[88:89]
	global_load_dwordx4 v[84:87], v[4:5], off
	global_load_dwordx4 v[30:33], v[4:5], off offset:256
	global_load_dwordx4 v[26:29], v[4:5], off offset:512
	;; [unrolled: 1-line block ×15, first 2 shown]
	v_mov_b32_e32 v88, 0
	s_and_saveexec_b64 s[28:29], vcc
	s_cbranch_execz .LBB576_16
; %bb.15:
	s_load_dwordx2 s[30:31], s[0:1], 0x40
	s_mov_b32 s5, s27
	s_lshl_b64 s[26:27], s[4:5], 2
	v_mov_b32_e32 v89, 1.0
	s_waitcnt lgkmcnt(0)
	s_add_u32 s26, s30, s26
	s_addc_u32 s27, s31, s27
	s_load_dword s5, s[26:27], 0x0
	s_waitcnt lgkmcnt(0)
	v_mov_b32_e32 v88, s5
.LBB576_16:
	s_or_b64 exec, exec, s[28:29]
	s_waitcnt vmcnt(15)
	v_mfma_f32_4x4x4_16b_bf16 a[0:3], v[56:57], v[84:85], 0 cbsz:4
	v_mul_hi_i32 v3, v2, s9
	v_ashrrev_i32_e32 v3, 31, v3
	v_mfma_f32_4x4x4_16b_bf16 a[0:3], v[58:59], v[86:87], a[0:3] cbsz:4
	s_add_u32 s10, s24, s10
	v_lshrrev_b32_e32 v94, 29, v3
	s_waitcnt vmcnt(14)
	v_mfma_f32_4x4x4_16b_bf16 a[0:3], v[56:57], v[30:31], a[0:3] cbsz:4 abid:1
	v_mov_b32_e32 v95, 0
	s_addc_u32 s11, s25, s11
	v_mfma_f32_4x4x4_16b_bf16 a[0:3], v[58:59], v[32:33], a[0:3] cbsz:4 abid:1
	v_mad_i64_i32 v[2:3], s[24:25], v2, s9, v[94:95]
	s_waitcnt vmcnt(13)
	v_mfma_f32_4x4x4_16b_bf16 a[0:3], v[56:57], v[26:27], a[0:3] cbsz:4 abid:2
	v_lshlrev_b64 v[2:3], 1, v[2:3]
	v_and_b32_e32 v2, -16, v2
	v_mfma_f32_4x4x4_16b_bf16 a[0:3], v[58:59], v[28:29], a[0:3] cbsz:4 abid:2
	v_lshl_add_u64 v[2:3], s[10:11], 0, v[2:3]
	v_lshlrev_b32_e32 v94, 5, v1
	s_waitcnt vmcnt(12)
	v_mfma_f32_4x4x4_16b_bf16 a[0:3], v[56:57], v[22:23], a[0:3] cbsz:4 abid:3
	v_lshl_add_u64 v[96:97], v[2:3], 0, v[94:95]
	global_load_dwordx4 v[2:5], v[96:97], off
	global_load_dwordx4 v[10:13], v[96:97], off offset:16
	global_load_dwordx4 v[14:17], v[96:97], off offset:2048
	;; [unrolled: 1-line block ×3, first 2 shown]
	v_mfma_f32_4x4x4_16b_bf16 a[0:3], v[58:59], v[24:25], a[0:3] cbsz:4 abid:3
	v_mul_hi_i32 v96, v93, s9
	v_ashrrev_i32_e32 v84, 31, v96
	s_waitcnt vmcnt(15)
	v_mfma_f32_4x4x4_16b_bf16 a[0:3], v[56:57], v[18:19], a[0:3] cbsz:4 abid:4
	v_lshrrev_b32_e32 v84, 29, v84
	v_mov_b32_e32 v85, v95
	v_mfma_f32_4x4x4_16b_bf16 a[0:3], v[58:59], v[20:21], a[0:3] cbsz:4 abid:4
	s_load_dword s0, s[0:1], 0x1c
	v_mad_i64_i32 v[30:31], s[24:25], v93, s9, v[84:85]
	s_waitcnt vmcnt(14)
	v_mfma_f32_4x4x4_16b_bf16 a[0:3], v[56:57], v[80:81], a[0:3] cbsz:4 abid:5
	v_mul_hi_i32 v80, v55, s9
	v_ashrrev_i32_e32 v80, 31, v80
	v_mfma_f32_4x4x4_16b_bf16 a[0:3], v[58:59], v[82:83], a[0:3] cbsz:4 abid:5
	v_lshlrev_b64 v[26:27], 1, v[30:31]
	v_and_b32_e32 v26, -16, v26
	s_waitcnt vmcnt(13)
	v_mfma_f32_4x4x4_16b_bf16 a[0:3], v[56:57], v[46:47], a[0:3] cbsz:4 abid:6
	v_lshrrev_b32_e32 v46, 29, v80
	v_mov_b32_e32 v47, v95
	v_mfma_f32_4x4x4_16b_bf16 a[0:3], v[58:59], v[48:49], a[0:3] cbsz:4 abid:6
	v_lshl_add_u64 v[22:23], s[10:11], 0, v[26:27]
	v_lshl_add_u64 v[84:85], v[22:23], 0, v[94:95]
	s_waitcnt vmcnt(12)
	v_mfma_f32_4x4x4_16b_bf16 a[0:3], v[56:57], v[42:43], a[0:3] cbsz:4 abid:7
	v_mad_i64_i32 v[42:43], s[24:25], v55, s9, v[46:47]
	s_nop 0
	v_mfma_f32_4x4x4_16b_bf16 a[0:3], v[58:59], v[44:45], a[0:3] cbsz:4 abid:7
	v_mul_hi_i32 v55, v54, s9
	v_ashrrev_i32_e32 v55, 31, v55
	s_waitcnt vmcnt(11)
	v_mfma_f32_4x4x4_16b_bf16 a[0:3], v[56:57], v[38:39], a[0:3] cbsz:4 abid:8
	v_lshlrev_b64 v[42:43], 1, v[42:43]
	v_and_b32_e32 v42, -16, v42
	v_mfma_f32_4x4x4_16b_bf16 a[0:3], v[58:59], v[40:41], a[0:3] cbsz:4 abid:8
	v_lshl_add_u64 v[38:39], s[10:11], 0, v[42:43]
	v_lshl_add_u64 v[80:81], v[38:39], 0, v[94:95]
	s_waitcnt vmcnt(10)
	v_mfma_f32_4x4x4_16b_bf16 a[0:3], v[56:57], v[34:35], a[0:3] cbsz:4 abid:9
	global_load_dwordx4 v[22:25], v[84:85], off
	global_load_dwordx4 v[30:33], v[84:85], off offset:16
	v_mfma_f32_4x4x4_16b_bf16 a[0:3], v[58:59], v[36:37], a[0:3] cbsz:4 abid:9
	global_load_dwordx4 v[18:21], v[84:85], off offset:2048
	global_load_dwordx4 v[26:29], v[84:85], off offset:2064
	s_waitcnt vmcnt(13)
	v_mfma_f32_4x4x4_16b_bf16 a[0:3], v[56:57], v[76:77], a[0:3] cbsz:4 abid:10
	global_load_dwordx4 v[46:49], v[80:81], off
	global_load_dwordx4 v[34:37], v[80:81], off offset:16
	v_mfma_f32_4x4x4_16b_bf16 a[0:3], v[58:59], v[78:79], a[0:3] cbsz:4 abid:10
	global_load_dwordx4 v[38:41], v[80:81], off offset:2048
	global_load_dwordx4 v[42:45], v[80:81], off offset:2064
	s_waitcnt vmcnt(16)
	v_mfma_f32_4x4x4_16b_bf16 a[0:3], v[56:57], v[72:73], a[0:3] cbsz:4 abid:11
	v_lshrrev_b32_e32 v72, 29, v55
	v_mov_b32_e32 v73, v95
	v_mfma_f32_4x4x4_16b_bf16 a[0:3], v[58:59], v[74:75], a[0:3] cbsz:4 abid:11
	v_mad_i64_i32 v[54:55], s[8:9], v54, s9, v[72:73]
	s_waitcnt vmcnt(15)
	v_mfma_f32_4x4x4_16b_bf16 a[0:3], v[56:57], v[68:69], a[0:3] cbsz:4 abid:12
	v_lshlrev_b64 v[54:55], 1, v[54:55]
	v_and_b32_e32 v54, -16, v54
	v_mfma_f32_4x4x4_16b_bf16 a[0:3], v[58:59], v[70:71], a[0:3] cbsz:4 abid:12
	v_cmp_eq_u32_e32 vcc, 1, v91
	v_mov_b32_e32 v73, 0xff7fffff
	s_waitcnt vmcnt(14)
	v_mfma_f32_4x4x4_16b_bf16 a[0:3], v[56:57], v[64:65], a[0:3] cbsz:4 abid:13
	s_nop 1
	v_mfma_f32_4x4x4_16b_bf16 a[0:3], v[58:59], v[66:67], a[0:3] cbsz:4 abid:13
	s_waitcnt vmcnt(13)
	s_nop 0
	v_mfma_f32_4x4x4_16b_bf16 a[0:3], v[56:57], v[50:51], a[0:3] cbsz:4 abid:14
	v_lshl_add_u64 v[50:51], s[10:11], 0, v[54:55]
	v_lshl_add_u64 v[66:67], v[50:51], 0, v[94:95]
	v_mfma_f32_4x4x4_16b_bf16 a[0:3], v[58:59], v[52:53], a[0:3] cbsz:4 abid:14
	s_waitcnt vmcnt(12)
	s_nop 0
	v_mfma_f32_4x4x4_16b_bf16 a[0:3], v[56:57], v[60:61], a[0:3] cbsz:4 abid:15
	global_load_dwordx4 v[50:53], v[66:67], off
	global_load_dwordx4 v[54:57], v[66:67], off offset:16
	v_mfma_f32_4x4x4_16b_bf16 a[0:3], v[58:59], v[62:63], a[0:3] cbsz:4 abid:15
	s_nop 4
	v_accvgpr_read_b32 v59, a1
	v_accvgpr_read_b32 v58, a0
	s_waitcnt lgkmcnt(0)
	v_pk_mul_f32 v[68:69], s[0:1], v[58:59] op_sel_hi:[0,1]
	global_load_dwordx4 v[58:61], v[66:67], off offset:2048
	global_load_dwordx4 v[62:65], v[66:67], off offset:2064
	v_accvgpr_read_b32 v67, a3
	v_accvgpr_read_b32 v66, a2
	v_pk_mul_f32 v[66:67], s[0:1], v[66:67] op_sel_hi:[0,1]
	v_mfma_f32_4x4x1_16b_f32 a[0:3], v68, v89, 0
	v_cndmask_b32_e64 v68, 0, 1.0, vcc
	v_cmp_eq_u32_e32 vcc, 2, v91
	s_nop 0
	v_mfma_f32_4x4x1_16b_f32 a[0:3], v69, v68, a[0:3]
	v_cndmask_b32_e64 v68, 0, 1.0, vcc
	v_cmp_eq_u32_e32 vcc, 3, v91
	s_nop 0
	v_mfma_f32_4x4x1_16b_f32 a[0:3], v66, v68, a[0:3]
	v_cndmask_b32_e64 v66, 0, 1.0, vcc
	s_nop 1
	v_mfma_f32_4x4x1_16b_f32 a[0:3], v67, v66, a[0:3]
	v_and_b32_e32 v66, -4, v92
	v_subrev_u32_e32 v67, s3, v66
	v_add_u32_e32 v68, 1, v67
	v_cvt_f32_i32_e32 v68, v68
	v_add_u32_e32 v69, 2, v67
	v_cvt_f32_i32_e32 v69, v69
	v_accvgpr_read_b32 v70, a0
	v_fma_f32 v68, v88, v68, v70
	v_accvgpr_read_b32 v70, a1
	v_fma_f32 v69, v88, v69, v70
	v_add_u32_e32 v70, 3, v67
	v_cvt_f32_i32_e32 v70, v70
	v_add_u32_e32 v67, 4, v67
	v_max_f32_e32 v72, 0xff7fffff, v68
	v_cmp_gt_i32_e32 vcc, s3, v66
	v_cvt_f32_i32_e32 v67, v67
	v_accvgpr_read_b32 v71, a2
	v_cndmask_b32_e32 v72, v73, v72, vcc
	v_or_b32_e32 v73, 1, v66
	v_max_f32_e32 v74, v72, v69
	v_cmp_gt_i32_e64 s[0:1], s3, v73
	v_fma_f32 v70, v88, v70, v71
	v_or_b32_e32 v66, 2, v66
	v_cndmask_b32_e64 v72, v72, v74, s[0:1]
	v_accvgpr_read_b32 v71, a3
	v_max_f32_e32 v73, v72, v70
	v_cmp_gt_i32_e64 s[8:9], s3, v66
	v_fmac_f32_e32 v71, v88, v67
	v_lshlrev_b32_e32 v67, 2, v0
	v_cndmask_b32_e64 v66, v72, v73, s[8:9]
	v_or_b32_e32 v72, 3, v92
	v_max_f32_e32 v73, v66, v71
	v_cmp_gt_i32_e64 s[10:11], s3, v72
	v_and_or_b32 v67, v67, 48, v91
	s_nop 0
	v_cndmask_b32_e64 v66, v66, v73, s[10:11]
	;;#ASMSTART
	v_nop
 v_nop
 v_max_f32_dpp v66, v66, v66 row_ror:4
	;;#ASMEND
	v_lshlrev_b32_e32 v73, 2, v67
	;;#ASMSTART
	v_nop
 v_nop
 v_max_f32_dpp v66, v66, v66 row_ror:8
	;;#ASMEND
	ds_bpermute_b32 v66, v73, v66
	s_waitcnt lgkmcnt(0)
	;;#ASMSTART
	v_nop
 v_nop
 v_max_f32_dpp v66, v66, v66 row_ror:4
	;;#ASMEND
	s_nop 0
	;;#ASMSTART
	v_nop
 v_nop
 v_max_f32_dpp v72, v66, v66 row_ror:8
	;;#ASMEND
	s_nop 0
	v_sub_f32_e32 v66, v68, v72
	v_mul_f32_e32 v66, 0x3fb8aa3b, v66
	v_sub_f32_e32 v67, v69, v72
	v_exp_f32_e32 v66, v66
	v_mul_f32_e32 v67, 0x3fb8aa3b, v67
	v_sub_f32_e32 v69, v70, v72
	v_exp_f32_e32 v67, v67
	;; [unrolled: 3-line block ×3, first 2 shown]
	v_mul_f32_e32 v70, 0x3fb8aa3b, v70
	v_exp_f32_e32 v70, v70
	v_cndmask_b32_e32 v66, 0, v66, vcc
	v_add_f32_e32 v68, 0, v66
	v_cndmask_b32_e64 v67, 0, v67, s[0:1]
	v_add_f32_e32 v71, v68, v67
	v_cndmask_b32_e64 v68, 0, v69, s[8:9]
	;; [unrolled: 2-line block ×3, first 2 shown]
	v_add_f32_e32 v70, v71, v69
	;;#ASMSTART
	v_nop
 v_nop
 v_add_f32_dpp v70, v70, v70 row_ror:4
	;;#ASMEND
	v_cmp_gt_u32_e32 vcc, 4, v1
	;;#ASMSTART
	v_nop
 v_nop
 v_add_f32_dpp v70, v70, v70 row_ror:8
	;;#ASMEND
	ds_bpermute_b32 v70, v73, v70
	s_waitcnt lgkmcnt(0)
	;;#ASMSTART
	v_nop
 v_nop
 v_add_f32_dpp v70, v70, v70 row_ror:4
	;;#ASMEND
	s_nop 0
	;;#ASMSTART
	v_nop
 v_nop
 v_add_f32_dpp v70, v70, v70 row_ror:8
	;;#ASMEND
	s_and_saveexec_b64 s[0:1], vcc
	s_cbranch_execz .LBB576_18
; %bb.17:
	v_mul_u32_u24_e32 v71, 20, v90
	v_lshl_add_u32 v71, v91, 2, v71
	v_add_u32_e32 v71, 0x1400, v71
	ds_write2_b32 v71, v72, v70 offset1:20
.LBB576_18:
	s_or_b64 exec, exec, s[0:1]
.LBB576_19:
	s_or_b64 exec, exec, s[22:23]
	s_waitcnt lgkmcnt(0)
	s_barrier
	s_load_dword s0, s[20:21], 0x8
	v_lshlrev_b32_e32 v70, 2, v91
	v_add_u32_e32 v73, 0x1400, v70
	ds_read2_b32 v[70:71], v73 offset1:5
	ds_read2_b32 v[76:77], v73 offset0:10 offset1:15
	s_mul_i32 s1, s33, s2
	s_waitcnt lgkmcnt(0)
	s_mul_i32 s0, s1, s0
	s_mov_b32 s1, 0xff7fffff
	v_max3_f32 v74, v70, s1, v71
	v_max3_f32 v74, v74, v76, v77
	v_sub_f32_e32 v70, v70, v74
	ds_read2_b32 v[78:79], v73 offset0:20 offset1:25
	v_mul_f32_e32 v70, 0x3fb8aa3b, v70
	v_sub_f32_e32 v71, v71, v74
	v_exp_f32_e32 v75, v70
	v_mul_f32_e32 v71, 0x3fb8aa3b, v71
	ds_read2_b32 v[80:81], v73 offset0:30 offset1:35
	v_sub_f32_e32 v73, v76, v74
	v_exp_f32_e32 v71, v71
	v_mul_f32_e32 v73, 0x3fb8aa3b, v73
	v_sub_f32_e32 v76, v77, v74
	v_exp_f32_e32 v73, v73
	v_mul_f32_e32 v76, 0x3fb8aa3b, v76
	v_exp_f32_e32 v76, v76
	s_waitcnt lgkmcnt(1)
	v_fma_f32 v75, v75, v78, 0
	v_fmac_f32_e32 v75, v71, v79
	s_waitcnt lgkmcnt(0)
	v_fmac_f32_e32 v75, v73, v80
	v_mov_b32_e32 v70, 0
	v_fmac_f32_e32 v75, v76, v81
	s_mov_b32 s1, 0
	v_cmp_eq_u32_e32 vcc, 0, v91
	s_and_saveexec_b64 s[2:3], vcc
	s_cbranch_execz .LBB576_21
; %bb.20:
	s_lshl_b64 s[8:9], s[0:1], 2
	s_add_u32 s5, s12, s8
	s_mov_b32 s17, s1
	s_addc_u32 s12, s13, s9
	s_lshl_b64 s[10:11], s[16:17], 2
	s_add_u32 s5, s5, s10
	s_addc_u32 s12, s12, s11
	s_add_u32 s8, s14, s8
	s_addc_u32 s9, s15, s9
	s_add_u32 s13, s8, s10
	s_addc_u32 s14, s9, s11
	s_mul_i32 s8, s33, s4
	s_mov_b32 s9, s1
	s_lshl_b64 s[8:9], s[8:9], 2
	s_add_u32 s10, s5, s8
	s_addc_u32 s11, s12, s9
	s_add_u32 s8, s13, s8
	s_addc_u32 s9, s14, s9
	global_store_dword v70, v74, s[8:9]
	global_store_dword v70, v75, s[10:11]
.LBB576_21:
	s_or_b64 exec, exec, s[2:3]
	v_lshlrev_b32_e32 v73, 3, v90
                                        ; implicit-def: $sgpr1
	s_and_saveexec_b64 s[2:3], s[6:7]
	s_xor_b64 s[2:3], exec, s[2:3]
	s_cbranch_execz .LBB576_23
; %bb.22:
	s_waitcnt vmcnt(15)
	v_mov_b32_e32 v2, 0
	v_mad_u32_u24 v4, v1, 40, v73
	s_mov_b32 s1, 0
	v_mov_b32_e32 v3, v2
	ds_write_b64 v4, v[2:3]
                                        ; implicit-def: $vgpr69
                                        ; implicit-def: $vgpr67
                                        ; implicit-def: $vgpr3
                                        ; implicit-def: $vgpr11
                                        ; implicit-def: $vgpr23
                                        ; implicit-def: $vgpr31
                                        ; implicit-def: $vgpr47
                                        ; implicit-def: $vgpr35
                                        ; implicit-def: $vgpr51
                                        ; implicit-def: $vgpr55
                                        ; implicit-def: $vgpr15
                                        ; implicit-def: $vgpr7
                                        ; implicit-def: $vgpr19
                                        ; implicit-def: $vgpr27
                                        ; implicit-def: $vgpr39
                                        ; implicit-def: $vgpr43
                                        ; implicit-def: $vgpr59
                                        ; implicit-def: $vgpr63
                                        ; implicit-def: $vgpr72
                                        ; implicit-def: $vgpr74
                                        ; implicit-def: $vgpr75
.LBB576_23:
	s_or_saveexec_b64 s[2:3], s[2:3]
	v_mov_b32_e32 v70, s1
	v_mov_b32_e32 v71, s1
	s_xor_b64 exec, exec, s[2:3]
	s_cbranch_execz .LBB576_25
; %bb.24:
	v_add_f32_e32 v70, 0x358637bd, v75
	v_div_scale_f32 v71, s[6:7], v70, v70, 1.0
	v_rcp_f32_e32 v75, v71
	v_sub_f32_e32 v72, v72, v74
	v_mul_f32_e32 v72, 0x3fb8aa3b, v72
	v_exp_f32_e32 v72, v72
	v_fma_f32 v74, -v71, v75, 1.0
	v_fmac_f32_e32 v75, v74, v75
	v_div_scale_f32 v74, vcc, 1.0, v70, 1.0
	v_mul_f32_e32 v76, v74, v75
	v_fma_f32 v77, -v71, v76, v74
	v_fmac_f32_e32 v76, v77, v75
	v_fma_f32 v71, -v71, v76, v74
	v_div_fmas_f32 v71, v71, v75, v76
	v_div_fixup_f32 v70, v71, v70, 1.0
	v_mul_f32_e32 v70, v72, v70
	v_pk_mul_f32 v[66:67], v[66:67], v[70:71] op_sel_hi:[1,0]
	v_pk_mul_f32 v[68:69], v[68:69], v[70:71] op_sel_hi:[1,0]
	v_bfe_u32 v70, v67, 16, 1
	v_bfe_u32 v71, v66, 16, 1
	s_movk_i32 s1, 0x7fff
	v_add3_u32 v66, v66, v71, s1
	v_add3_u32 v67, v67, v70, s1
	s_mov_b32 s5, 0x7060302
	v_perm_b32 v66, v67, v66, s5
	v_bfe_u32 v67, v69, 16, 1
	v_bfe_u32 v70, v68, 16, 1
	v_add3_u32 v68, v68, v70, s1
	v_add3_u32 v67, v69, v67, s1
	v_perm_b32 v67, v67, v68, s5
	s_waitcnt vmcnt(15)
	s_nop 0
	v_mfma_f32_4x4x4_16b_bf16 a[0:3], v[66:67], v[2:3], 0 cbsz:4
	s_nop 1
	v_mfma_f32_4x4x4_16b_bf16 a[0:3], v[66:67], v[4:5], a[0:3] cbsz:4 abid:1
	s_waitcnt vmcnt(13)
	v_mfma_f32_4x4x4_16b_bf16 a[4:7], v[66:67], v[14:15], 0 cbsz:4
	v_mfma_f32_4x4x4_16b_bf16 a[0:3], v[66:67], v[10:11], a[0:3] cbsz:4 abid:2
	s_nop 0
	v_mfma_f32_4x4x4_16b_bf16 a[4:7], v[66:67], v[16:17], a[4:7] cbsz:4 abid:1
	v_mfma_f32_4x4x4_16b_bf16 a[0:3], v[66:67], v[12:13], a[0:3] cbsz:4 abid:3
	s_waitcnt vmcnt(12)
	v_mfma_f32_4x4x4_16b_bf16 a[4:7], v[66:67], v[6:7], a[4:7] cbsz:4 abid:2
	s_waitcnt vmcnt(11)
	v_mfma_f32_4x4x4_16b_bf16 a[0:3], v[66:67], v[22:23], a[0:3] cbsz:4 abid:4
	s_nop 1
	v_mfma_f32_4x4x4_16b_bf16 a[0:3], v[66:67], v[24:25], a[0:3] cbsz:4 abid:5
	s_waitcnt vmcnt(10)
	s_nop 0
	v_mfma_f32_4x4x4_16b_bf16 a[0:3], v[66:67], v[30:31], a[0:3] cbsz:4 abid:6
	s_nop 1
	v_mfma_f32_4x4x4_16b_bf16 a[0:3], v[66:67], v[32:33], a[0:3] cbsz:4 abid:7
	s_waitcnt vmcnt(7)
	s_nop 0
	;; [unrolled: 5-line block ×5, first 2 shown]
	v_mfma_f32_4x4x4_16b_bf16 a[0:3], v[66:67], v[54:55], a[0:3] cbsz:4 abid:14
	s_nop 1
	v_mfma_f32_4x4x4_16b_bf16 a[0:3], v[66:67], v[56:57], a[0:3] cbsz:4 abid:15
	s_nop 4
	v_accvgpr_read_b32 v3, a2
	v_accvgpr_read_b32 v4, a3
	;; [unrolled: 1-line block ×4, first 2 shown]
	v_mfma_f32_4x4x4_16b_bf16 a[0:3], v[66:67], v[8:9], a[4:7] cbsz:4 abid:3
	v_bfe_u32 v6, v5, 16, 1
	v_bfe_u32 v7, v2, 16, 1
	v_mfma_f32_4x4x4_16b_bf16 a[0:3], v[66:67], v[18:19], a[0:3] cbsz:4 abid:4
	v_add3_u32 v2, v2, v7, s1
	v_add3_u32 v5, v5, v6, s1
	v_mfma_f32_4x4x4_16b_bf16 a[0:3], v[66:67], v[20:21], a[0:3] cbsz:4 abid:5
	v_perm_b32 v2, v5, v2, s5
	v_bfe_u32 v5, v4, 16, 1
	v_mfma_f32_4x4x4_16b_bf16 a[0:3], v[66:67], v[26:27], a[0:3] cbsz:4 abid:6
	v_bfe_u32 v6, v3, 16, 1
	v_add3_u32 v3, v3, v6, s1
	v_mfma_f32_4x4x4_16b_bf16 a[0:3], v[66:67], v[28:29], a[0:3] cbsz:4 abid:7
	v_add3_u32 v4, v4, v5, s1
	v_perm_b32 v3, v4, v3, s5
	v_mfma_f32_4x4x4_16b_bf16 a[0:3], v[66:67], v[38:39], a[0:3] cbsz:4 abid:8
	v_mad_u32_u24 v4, v1, 40, v73
	ds_write_b64 v4, v[2:3]
	v_mfma_f32_4x4x4_16b_bf16 a[0:3], v[66:67], v[40:41], a[0:3] cbsz:4 abid:9
	s_nop 1
	v_mfma_f32_4x4x4_16b_bf16 a[0:3], v[66:67], v[42:43], a[0:3] cbsz:4 abid:10
	s_nop 1
	v_mfma_f32_4x4x4_16b_bf16 a[0:3], v[66:67], v[44:45], a[0:3] cbsz:4 abid:11
	s_waitcnt vmcnt(1)
	s_nop 0
	v_mfma_f32_4x4x4_16b_bf16 a[0:3], v[66:67], v[58:59], a[0:3] cbsz:4 abid:12
	s_nop 1
	v_mfma_f32_4x4x4_16b_bf16 a[0:3], v[66:67], v[60:61], a[0:3] cbsz:4 abid:13
	s_waitcnt vmcnt(0)
	s_nop 0
	v_mfma_f32_4x4x4_16b_bf16 a[0:3], v[66:67], v[62:63], a[0:3] cbsz:4 abid:14
	s_nop 1
	v_mfma_f32_4x4x4_16b_bf16 a[0:3], v[66:67], v[64:65], a[0:3] cbsz:4 abid:15
	s_nop 4
	v_accvgpr_read_b32 v4, a0
	v_accvgpr_read_b32 v5, a1
	v_accvgpr_read_b32 v2, a2
	v_accvgpr_read_b32 v3, a3
	v_bfe_u32 v6, v5, 16, 1
	v_bfe_u32 v7, v4, 16, 1
	v_add3_u32 v4, v4, v7, s1
	v_add3_u32 v5, v5, v6, s1
	v_bfe_u32 v6, v3, 16, 1
	v_bfe_u32 v7, v2, 16, 1
	v_add3_u32 v2, v2, v7, s1
	v_add3_u32 v3, v3, v6, s1
	v_perm_b32 v71, v3, v2, s5
	v_perm_b32 v70, v5, v4, s5
.LBB576_25:
	s_or_b64 exec, exec, s[2:3]
	s_waitcnt vmcnt(15)
	v_mad_u32_u24 v2, v1, 40, v73
	v_cmp_gt_u32_e32 vcc, 64, v0
	ds_write_b64 v2, v[70:71] offset:2560
	s_waitcnt lgkmcnt(0)
	s_barrier
	s_and_saveexec_b64 s[2:3], vcc
	s_cbranch_execz .LBB576_27
; %bb.26:
	v_mov_b32_e32 v2, 0xa00
	v_mad_u32_u24 v2, v1, 40, v2
	ds_read2_b64 v[2:5], v2 offset1:1
	s_waitcnt lgkmcnt(0)
	v_mov_b32_e32 v3, 0xa10
	s_waitcnt vmcnt(14)
	v_mul_u32_u24_e32 v10, 40, v1
	v_mad_u32_u24 v1, v1, 40, v3
	s_waitcnt vmcnt(12)
	ds_read2_b64 v[6:9], v1 offset1:1
	v_lshlrev_b32_e32 v1, 16, v2
	v_add_f32_e32 v1, 0, v1
	v_and_b32_e32 v1, 0xffff0000, v1
	v_lshlrev_b32_e32 v2, 16, v4
	v_add_f32_e32 v1, v1, v2
	v_and_b32_e32 v1, 0xffff0000, v1
	s_waitcnt lgkmcnt(0)
	v_lshlrev_b32_e32 v2, 16, v6
	v_add_f32_e32 v1, v1, v2
	v_and_b32_e32 v1, 0xffff0000, v1
	v_lshlrev_b32_e32 v2, 16, v8
	v_add_f32_e32 v11, v1, v2
	ds_read2_b64 v[2:5], v10 offset1:1
	ds_read2_b64 v[6:9], v10 offset0:2 offset1:3
	s_mov_b32 s1, 0
	s_lshl_b32 s0, s0, 7
	s_lshl_b64 s[2:3], s[0:1], 1
	s_waitcnt lgkmcnt(1)
	v_lshlrev_b32_e32 v2, 16, v2
	v_add_f32_e32 v2, 0, v2
	s_add_u32 s2, s18, s2
	v_and_b32_e32 v2, 0xffff0000, v2
	v_lshlrev_b32_e32 v3, 16, v4
	s_addc_u32 s3, s19, s3
	s_lshl_b32 s0, s16, 7
	v_add_f32_e32 v2, v2, v3
	s_lshl_b64 s[0:1], s[0:1], 1
	v_and_b32_e32 v2, 0xffff0000, v2
	s_waitcnt lgkmcnt(0)
	v_lshlrev_b32_e32 v3, 16, v6
	s_add_u32 s0, s2, s0
	s_mul_i32 s2, s4, s33
	v_add_f32_e32 v2, v2, v3
	s_addc_u32 s1, s3, s1
	v_lshl_or_b32 v0, s2, 7, v0
	v_mov_b32_e32 v1, 0
	v_and_b32_e32 v2, 0xffff0000, v2
	v_lshlrev_b32_e32 v3, 16, v8
	v_lshl_add_u64 v[0:1], v[0:1], 1, s[0:1]
	v_add_f32_e32 v2, v2, v3
	global_store_short_d16_hi v[0:1], v2, off
	global_store_short_d16_hi v[0:1], v11, off offset:128
.LBB576_27:
	s_endpgm
	.section	.rodata,"a",@progbits
	.p2align	6, 0x0
	.amdhsa_kernel _Z38paged_attention_ll4mi_QKV_mfma4_kernelI14__hip_bfloat16S0_LN4vllm18Fp8KVCacheDataTypeE0EhLi16ELi128ELi256ELb1ELi1EEvPKT_PKT0_S8_ifPKiSA_SA_iPKfiiiPfSD_PS3_PT2_iSC_SC_
		.amdhsa_group_segment_fixed_size 5280
		.amdhsa_private_segment_fixed_size 0
		.amdhsa_kernarg_size 400
		.amdhsa_user_sgpr_count 2
		.amdhsa_user_sgpr_dispatch_ptr 0
		.amdhsa_user_sgpr_queue_ptr 0
		.amdhsa_user_sgpr_kernarg_segment_ptr 1
		.amdhsa_user_sgpr_dispatch_id 0
		.amdhsa_user_sgpr_kernarg_preload_length 0
		.amdhsa_user_sgpr_kernarg_preload_offset 0
		.amdhsa_user_sgpr_private_segment_size 0
		.amdhsa_uses_dynamic_stack 0
		.amdhsa_enable_private_segment 0
		.amdhsa_system_sgpr_workgroup_id_x 1
		.amdhsa_system_sgpr_workgroup_id_y 1
		.amdhsa_system_sgpr_workgroup_id_z 1
		.amdhsa_system_sgpr_workgroup_info 0
		.amdhsa_system_vgpr_workitem_id 0
		.amdhsa_next_free_vgpr 108
		.amdhsa_next_free_sgpr 38
		.amdhsa_accum_offset 100
		.amdhsa_reserve_vcc 1
		.amdhsa_float_round_mode_32 0
		.amdhsa_float_round_mode_16_64 0
		.amdhsa_float_denorm_mode_32 3
		.amdhsa_float_denorm_mode_16_64 3
		.amdhsa_dx10_clamp 1
		.amdhsa_ieee_mode 1
		.amdhsa_fp16_overflow 0
		.amdhsa_tg_split 0
		.amdhsa_exception_fp_ieee_invalid_op 0
		.amdhsa_exception_fp_denorm_src 0
		.amdhsa_exception_fp_ieee_div_zero 0
		.amdhsa_exception_fp_ieee_overflow 0
		.amdhsa_exception_fp_ieee_underflow 0
		.amdhsa_exception_fp_ieee_inexact 0
		.amdhsa_exception_int_div_zero 0
	.end_amdhsa_kernel
	.section	.text._Z38paged_attention_ll4mi_QKV_mfma4_kernelI14__hip_bfloat16S0_LN4vllm18Fp8KVCacheDataTypeE0EhLi16ELi128ELi256ELb1ELi1EEvPKT_PKT0_S8_ifPKiSA_SA_iPKfiiiPfSD_PS3_PT2_iSC_SC_,"axG",@progbits,_Z38paged_attention_ll4mi_QKV_mfma4_kernelI14__hip_bfloat16S0_LN4vllm18Fp8KVCacheDataTypeE0EhLi16ELi128ELi256ELb1ELi1EEvPKT_PKT0_S8_ifPKiSA_SA_iPKfiiiPfSD_PS3_PT2_iSC_SC_,comdat
.Lfunc_end576:
	.size	_Z38paged_attention_ll4mi_QKV_mfma4_kernelI14__hip_bfloat16S0_LN4vllm18Fp8KVCacheDataTypeE0EhLi16ELi128ELi256ELb1ELi1EEvPKT_PKT0_S8_ifPKiSA_SA_iPKfiiiPfSD_PS3_PT2_iSC_SC_, .Lfunc_end576-_Z38paged_attention_ll4mi_QKV_mfma4_kernelI14__hip_bfloat16S0_LN4vllm18Fp8KVCacheDataTypeE0EhLi16ELi128ELi256ELb1ELi1EEvPKT_PKT0_S8_ifPKiSA_SA_iPKfiiiPfSD_PS3_PT2_iSC_SC_
                                        ; -- End function
	.section	.AMDGPU.csdata,"",@progbits
; Kernel info:
; codeLenInByte = 4060
; NumSgprs: 44
; NumVgprs: 98
; NumAgprs: 8
; TotalNumVgprs: 108
; ScratchSize: 0
; MemoryBound: 0
; FloatMode: 240
; IeeeMode: 1
; LDSByteSize: 5280 bytes/workgroup (compile time only)
; SGPRBlocks: 5
; VGPRBlocks: 13
; NumSGPRsForWavesPerEU: 44
; NumVGPRsForWavesPerEU: 108
; AccumOffset: 100
; Occupancy: 4
; WaveLimiterHint : 1
; COMPUTE_PGM_RSRC2:SCRATCH_EN: 0
; COMPUTE_PGM_RSRC2:USER_SGPR: 2
; COMPUTE_PGM_RSRC2:TRAP_HANDLER: 0
; COMPUTE_PGM_RSRC2:TGID_X_EN: 1
; COMPUTE_PGM_RSRC2:TGID_Y_EN: 1
; COMPUTE_PGM_RSRC2:TGID_Z_EN: 1
; COMPUTE_PGM_RSRC2:TIDIG_COMP_CNT: 0
; COMPUTE_PGM_RSRC3_GFX90A:ACCUM_OFFSET: 24
; COMPUTE_PGM_RSRC3_GFX90A:TG_SPLIT: 0
	.section	.text._Z38paged_attention_ll4mi_QKV_mfma4_kernelI14__hip_bfloat16S0_LN4vllm18Fp8KVCacheDataTypeE0EhLi16ELi128ELi256ELb1ELi2EEvPKT_PKT0_S8_ifPKiSA_SA_iPKfiiiPfSD_PS3_PT2_iSC_SC_,"axG",@progbits,_Z38paged_attention_ll4mi_QKV_mfma4_kernelI14__hip_bfloat16S0_LN4vllm18Fp8KVCacheDataTypeE0EhLi16ELi128ELi256ELb1ELi2EEvPKT_PKT0_S8_ifPKiSA_SA_iPKfiiiPfSD_PS3_PT2_iSC_SC_,comdat
	.protected	_Z38paged_attention_ll4mi_QKV_mfma4_kernelI14__hip_bfloat16S0_LN4vllm18Fp8KVCacheDataTypeE0EhLi16ELi128ELi256ELb1ELi2EEvPKT_PKT0_S8_ifPKiSA_SA_iPKfiiiPfSD_PS3_PT2_iSC_SC_ ; -- Begin function _Z38paged_attention_ll4mi_QKV_mfma4_kernelI14__hip_bfloat16S0_LN4vllm18Fp8KVCacheDataTypeE0EhLi16ELi128ELi256ELb1ELi2EEvPKT_PKT0_S8_ifPKiSA_SA_iPKfiiiPfSD_PS3_PT2_iSC_SC_
	.globl	_Z38paged_attention_ll4mi_QKV_mfma4_kernelI14__hip_bfloat16S0_LN4vllm18Fp8KVCacheDataTypeE0EhLi16ELi128ELi256ELb1ELi2EEvPKT_PKT0_S8_ifPKiSA_SA_iPKfiiiPfSD_PS3_PT2_iSC_SC_
	.p2align	8
	.type	_Z38paged_attention_ll4mi_QKV_mfma4_kernelI14__hip_bfloat16S0_LN4vllm18Fp8KVCacheDataTypeE0EhLi16ELi128ELi256ELb1ELi2EEvPKT_PKT0_S8_ifPKiSA_SA_iPKfiiiPfSD_PS3_PT2_iSC_SC_,@function
_Z38paged_attention_ll4mi_QKV_mfma4_kernelI14__hip_bfloat16S0_LN4vllm18Fp8KVCacheDataTypeE0EhLi16ELi128ELi256ELb1ELi2EEvPKT_PKT0_S8_ifPKiSA_SA_iPKfiiiPfSD_PS3_PT2_iSC_SC_: ; @_Z38paged_attention_ll4mi_QKV_mfma4_kernelI14__hip_bfloat16S0_LN4vllm18Fp8KVCacheDataTypeE0EhLi16ELi128ELi256ELb1ELi2EEvPKT_PKT0_S8_ifPKiSA_SA_iPKfiiiPfSD_PS3_PT2_iSC_SC_
; %bb.0:
	s_load_dwordx2 s[8:9], s[0:1], 0x30
	s_mov_b32 s16, s3
	s_mov_b64 s[6:7], 0
	s_waitcnt lgkmcnt(0)
	s_cmp_lg_u64 s[8:9], 0
	s_cselect_b64 s[10:11], -1, 0
	s_and_b64 vcc, exec, s[10:11]
	s_cbranch_vccz .LBB577_10
; %bb.1:
	s_add_i32 s12, s2, 1
	s_mov_b32 s13, 0
	s_lshl_b64 s[14:15], s[12:13], 2
	s_add_u32 s14, s8, s14
	s_mov_b32 s3, s13
	s_addc_u32 s15, s9, s15
	s_lshl_b64 s[12:13], s[2:3], 2
	s_add_u32 s12, s8, s12
	s_addc_u32 s13, s9, s13
	s_load_dword s5, s[14:15], 0x0
	s_load_dword s17, s[12:13], 0x0
	s_waitcnt lgkmcnt(0)
	s_sub_i32 s5, s5, s17
	s_cmp_eq_u32 s5, 1
	s_cselect_b64 s[12:13], -1, 0
	s_andn2_b64 vcc, exec, s[6:7]
	s_cbranch_vccnz .LBB577_3
.LBB577_2:
	s_mov_b32 s3, 0
	s_mov_b64 s[12:13], -1
.LBB577_3:
	s_andn2_b64 vcc, exec, s[12:13]
	s_cbranch_vccnz .LBB577_27
; %bb.4:
	s_load_dword s5, s[0:1], 0x9c
	s_load_dwordx2 s[6:7], s[0:1], 0x28
	s_add_u32 s20, s0, 0x90
	s_addc_u32 s21, s1, 0
	s_lshl_b64 s[24:25], s[2:3], 2
	s_waitcnt lgkmcnt(0)
	s_and_b32 s5, s5, 0xffff
	s_add_u32 s6, s6, s24
	s_addc_u32 s7, s7, s25
	s_load_dword s3, s[6:7], 0x0
	s_mul_i32 s5, s16, s5
	s_waitcnt lgkmcnt(0)
	s_cmp_ge_i32 s5, s3
	s_cbranch_scc1 .LBB577_27
; %bb.5:
	v_and_b32_e32 v1, 0xc0, v0
	v_add_u32_e32 v2, s5, v1
	v_lshrrev_b32_e32 v88, 6, v0
	v_cmp_le_i32_e64 s[6:7], s3, v2
                                        ; implicit-def: $sgpr26
                                        ; implicit-def: $sgpr17
	s_and_saveexec_b64 s[12:13], s[6:7]
	s_xor_b64 s[12:13], exec, s[12:13]
	s_cbranch_execz .LBB577_7
; %bb.6:
	v_mul_u32_u24_e32 v1, 20, v88
	v_or_b32_e32 v1, 0x1400, v1
	v_mov_b32_e32 v2, 0x1450
	v_mov_b32_e32 v3, 0xff7fffff
	v_mad_u32_u24 v2, v88, 20, v2
	ds_write2_b32 v1, v3, v3 offset1:1
	v_mov_b32_e32 v1, 0
	ds_write2_b32 v2, v1, v1 offset1:1
	v_mov_b32_e32 v2, 0x1408
	s_mov_b32 s17, 0xff7fffff
	s_mov_b32 s26, 0
	v_mad_u32_u24 v2, v88, 20, v2
	v_mov_b32_e32 v4, 0x1458
	v_mad_u32_u24 v4, v88, 20, v4
	ds_write2_b32 v2, v3, v3 offset1:1
	ds_write2_b32 v4, v1, v1 offset1:1
                                        ; implicit-def: $vgpr2
.LBB577_7:
	s_or_saveexec_b64 s[22:23], s[12:13]
	s_load_dwordx2 s[18:19], s[0:1], 0x68
	s_load_dwordx4 s[12:15], s[0:1], 0x58
	s_load_dword s34, s[20:21], 0x4
	v_and_b32_e32 v1, 63, v0
	v_and_b32_e32 v89, 3, v0
	s_lshl_b32 s33, s4, 1
	v_mov_b32_e32 v69, s26
	v_mov_b32_e32 v72, s17
	;; [unrolled: 1-line block ×5, first 2 shown]
                                        ; implicit-def: $vgpr3
                                        ; implicit-def: $vgpr7
                                        ; implicit-def: $vgpr23
                                        ; implicit-def: $vgpr31
                                        ; implicit-def: $vgpr47
                                        ; implicit-def: $vgpr35
                                        ; implicit-def: $vgpr51
                                        ; implicit-def: $vgpr55
                                        ; implicit-def: $vgpr15
                                        ; implicit-def: $vgpr11
                                        ; implicit-def: $vgpr19
                                        ; implicit-def: $vgpr27
                                        ; implicit-def: $vgpr39
                                        ; implicit-def: $vgpr43
                                        ; implicit-def: $vgpr59
                                        ; implicit-def: $vgpr63
	s_xor_b64 exec, exec, s[22:23]
	s_cbranch_execz .LBB577_19
; %bb.8:
	s_add_i32 s28, s3, 15
	s_ashr_i32 s29, s28, 31
	s_lshr_b32 s29, s29, 28
	v_add_u32_e32 v90, s5, v0
	s_add_i32 s28, s28, s29
	v_ashrrev_i32_e32 v3, 31, v90
	s_load_dwordx2 s[26:27], s[0:1], 0x20
	s_load_dword s17, s[0:1], 0x38
	s_ashr_i32 s28, s28, 4
	v_lshrrev_b32_e32 v3, 28, v3
	s_add_i32 s30, s28, -1
	v_add_u32_e32 v3, v90, v3
	v_ashrrev_i32_e32 v3, 4, v3
	v_mov_b32_e32 v4, s30
	v_cmp_gt_i32_e32 vcc, s3, v90
	s_waitcnt lgkmcnt(0)
	s_mul_i32 s28, s2, s17
	s_mov_b32 s29, 0
	v_cndmask_b32_e32 v4, v4, v3, vcc
	v_ashrrev_i32_e32 v3, 31, v2
	v_lshrrev_b32_e32 v3, 28, v3
	v_add_u32_e32 v2, v2, v3
	s_lshl_b64 s[28:29], s[28:29], 2
	v_ashrrev_i32_e32 v12, 4, v2
	s_add_u32 s26, s26, s28
	v_min_i32_e32 v2, s30, v12
	s_addc_u32 s27, s27, s29
	v_ashrrev_i32_e32 v3, 31, v2
	v_lshl_add_u64 v[6:7], v[2:3], 2, s[26:27]
	v_add_u32_e32 v2, 1, v12
	v_min_i32_e32 v2, s30, v2
	v_ashrrev_i32_e32 v3, 31, v2
	v_lshl_add_u64 v[8:9], v[2:3], 2, s[26:27]
	v_add_u32_e32 v2, 2, v12
	v_min_i32_e32 v2, s30, v2
	v_ashrrev_i32_e32 v3, 31, v2
	v_lshl_add_u64 v[10:11], v[2:3], 2, s[26:27]
	v_add_u32_e32 v2, 3, v12
	v_ashrrev_i32_e32 v5, 31, v4
	v_min_i32_e32 v2, s30, v2
	v_lshl_add_u64 v[4:5], v[4:5], 2, s[26:27]
	v_ashrrev_i32_e32 v3, 31, v2
	v_lshl_add_u64 v[12:13], v[2:3], 2, s[26:27]
	global_load_dword v3, v[4:5], off
	global_load_dword v2, v[6:7], off
	;; [unrolled: 1-line block ×5, first 2 shown]
	s_load_dwordx2 s[26:27], s[0:1], 0x8
	s_andn2_b64 vcc, exec, s[10:11]
	s_cbranch_vccnz .LBB577_11
; %bb.9:
	s_add_u32 s8, s8, s24
	s_addc_u32 s9, s9, s25
	s_load_dword s5, s[8:9], 0x0
	s_branch .LBB577_12
.LBB577_10:
	s_mov_b64 s[12:13], 0
	s_branch .LBB577_2
.LBB577_11:
	s_mov_b32 s5, s2
.LBB577_12:
	s_load_dwordx2 s[24:25], s[0:1], 0x10
	s_load_dwordx4 s[8:11], s[0:1], 0x48
	v_cmp_gt_u32_e32 vcc, 2, v89
	s_mov_b32 s29, 0
	v_mov_b32_e32 v63, 0
	v_mov_b32_e32 v64, 0
	;; [unrolled: 1-line block ×5, first 2 shown]
	s_and_saveexec_b64 s[30:31], vcc
	s_cbranch_execz .LBB577_14
; %bb.13:
	s_load_dwordx2 s[36:37], s[0:1], 0x0
	s_waitcnt lgkmcnt(0)
	s_ashr_i32 s11, s8, 31
	s_mul_hi_u32 s17, s5, s8
	s_mul_i32 s11, s5, s11
	s_add_i32 s39, s17, s11
	s_mul_i32 s38, s5, s8
	s_lshl_b64 s[38:39], s[38:39], 1
	s_add_u32 s5, s36, s38
	s_addc_u32 s8, s37, s39
	s_lshl_b32 s28, s4, 8
	s_lshl_b64 s[36:37], s[28:29], 1
	v_lshlrev_b32_e32 v4, 2, v1
	s_add_u32 s36, s5, s36
	v_and_b32_e32 v4, 0xf0, v4
	s_addc_u32 s37, s8, s37
	v_lshl_or_b32 v4, v89, 8, v4
	global_load_dwordx4 v[64:67], v4, s[36:37]
.LBB577_14:
	s_or_b64 exec, exec, s[30:31]
	s_waitcnt lgkmcnt(0)
	s_mul_i32 s28, s4, s10
	s_lshl_b64 s[4:5], s[28:29], 1
	s_add_u32 s10, s4, s26
	s_waitcnt vmcnt(4)
	v_mad_i64_i32 v[4:5], s[30:31], v3, s9, 0
	s_addc_u32 s11, s5, s27
	v_and_b32_e32 v3, 15, v0
	v_lshl_add_u64 v[4:5], v[4:5], 1, s[10:11]
	v_lshlrev_b32_e32 v62, 4, v3
	v_lshl_add_u64 v[4:5], v[4:5], 0, v[62:63]
	global_load_dwordx4 v[84:87], v[4:5], off
	global_load_dwordx4 v[30:33], v[4:5], off offset:256
	global_load_dwordx4 v[26:29], v[4:5], off offset:512
	;; [unrolled: 1-line block ×15, first 2 shown]
	v_mov_b32_e32 v94, 0
	s_and_saveexec_b64 s[10:11], vcc
	s_cbranch_execz .LBB577_16
; %bb.15:
	s_load_dwordx2 s[26:27], s[0:1], 0x40
	v_or_b32_e32 v4, s33, v89
	v_mov_b32_e32 v5, 0
	s_waitcnt lgkmcnt(0)
	v_lshl_add_u64 v[4:5], v[4:5], 2, s[26:27]
	global_load_dword v94, v[4:5], off
.LBB577_16:
	s_or_b64 exec, exec, s[10:11]
	s_waitcnt vmcnt(15)
	v_mfma_f32_4x4x4_16b_bf16 a[0:3], v[64:65], v[84:85], 0 cbsz:4
	v_mul_hi_i32 v3, v2, s9
	v_ashrrev_i32_e32 v3, 31, v3
	v_mfma_f32_4x4x4_16b_bf16 a[0:3], v[66:67], v[86:87], a[0:3] cbsz:4
	v_mul_hi_i32 v84, v93, s9
	v_lshrrev_b32_e32 v96, 29, v3
	s_waitcnt vmcnt(14)
	v_mfma_f32_4x4x4_16b_bf16 a[0:3], v[64:65], v[30:31], a[0:3] cbsz:4 abid:1
	v_mov_b32_e32 v97, 0
	v_ashrrev_i32_e32 v30, 31, v84
	v_mfma_f32_4x4x4_16b_bf16 a[0:3], v[66:67], v[32:33], a[0:3] cbsz:4 abid:1
	v_mad_i64_i32 v[2:3], s[10:11], v2, s9, v[96:97]
	s_waitcnt vmcnt(13)
	v_mfma_f32_4x4x4_16b_bf16 a[0:3], v[64:65], v[26:27], a[0:3] cbsz:4 abid:2
	v_lshrrev_b32_e32 v96, 29, v30
	v_mad_i64_i32 v[26:27], s[10:11], v93, s9, v[96:97]
	v_mfma_f32_4x4x4_16b_bf16 a[0:3], v[66:67], v[28:29], a[0:3] cbsz:4 abid:2
	s_add_u32 s4, s24, s4
	v_lshlrev_b64 v[2:3], 1, v[2:3]
	s_waitcnt vmcnt(12)
	v_mfma_f32_4x4x4_16b_bf16 a[0:3], v[64:65], v[22:23], a[0:3] cbsz:4 abid:3
	v_lshlrev_b64 v[26:27], 1, v[26:27]
	s_addc_u32 s5, s25, s5
	v_mfma_f32_4x4x4_16b_bf16 a[0:3], v[66:67], v[24:25], a[0:3] cbsz:4 abid:3
	v_and_b32_e32 v2, -16, v2
	v_and_b32_e32 v26, -16, v26
	s_waitcnt vmcnt(11)
	v_mfma_f32_4x4x4_16b_bf16 a[0:3], v[64:65], v[18:19], a[0:3] cbsz:4 abid:4
	v_lshl_add_u64 v[2:3], s[4:5], 0, v[2:3]
	v_lshlrev_b32_e32 v62, 5, v1
	v_mfma_f32_4x4x4_16b_bf16 a[0:3], v[66:67], v[20:21], a[0:3] cbsz:4 abid:4
	v_lshl_add_u64 v[22:23], s[4:5], 0, v[26:27]
	v_lshl_add_u64 v[98:99], v[2:3], 0, v[62:63]
	s_waitcnt vmcnt(10)
	v_mfma_f32_4x4x4_16b_bf16 a[0:3], v[64:65], v[80:81], a[0:3] cbsz:4 abid:5
	v_mul_hi_i32 v80, v92, s9
	v_lshl_add_u64 v[84:85], v[22:23], 0, v[62:63]
	v_mfma_f32_4x4x4_16b_bf16 a[0:3], v[66:67], v[82:83], a[0:3] cbsz:4 abid:5
	global_load_dwordx4 v[2:5], v[98:99], off
	global_load_dwordx4 v[6:9], v[98:99], off offset:16
	s_waitcnt vmcnt(11)
	v_mfma_f32_4x4x4_16b_bf16 a[0:3], v[64:65], v[46:47], a[0:3] cbsz:4 abid:6
	v_ashrrev_i32_e32 v46, 31, v80
	v_lshrrev_b32_e32 v96, 29, v46
	v_mfma_f32_4x4x4_16b_bf16 a[0:3], v[66:67], v[48:49], a[0:3] cbsz:4 abid:6
	global_load_dwordx4 v[14:17], v[98:99], off offset:2048
	global_load_dwordx4 v[10:13], v[98:99], off offset:2064
	s_waitcnt vmcnt(12)
	v_mfma_f32_4x4x4_16b_bf16 a[0:3], v[64:65], v[42:43], a[0:3] cbsz:4 abid:7
	v_mad_i64_i32 v[42:43], s[10:11], v92, s9, v[96:97]
	s_nop 0
	v_mfma_f32_4x4x4_16b_bf16 a[0:3], v[66:67], v[44:45], a[0:3] cbsz:4 abid:7
	v_lshlrev_b64 v[42:43], 1, v[42:43]
	v_and_b32_e32 v42, -16, v42
	s_waitcnt vmcnt(11)
	v_mfma_f32_4x4x4_16b_bf16 a[0:3], v[64:65], v[38:39], a[0:3] cbsz:4 abid:8
	v_lshl_add_u64 v[38:39], s[4:5], 0, v[42:43]
	v_lshl_add_u64 v[80:81], v[38:39], 0, v[62:63]
	v_mfma_f32_4x4x4_16b_bf16 a[0:3], v[66:67], v[40:41], a[0:3] cbsz:4 abid:8
	global_load_dwordx4 v[22:25], v[84:85], off
	global_load_dwordx4 v[30:33], v[84:85], off offset:16
	s_waitcnt vmcnt(12)
	v_mfma_f32_4x4x4_16b_bf16 a[0:3], v[64:65], v[34:35], a[0:3] cbsz:4 abid:9
	global_load_dwordx4 v[18:21], v[84:85], off offset:2048
	global_load_dwordx4 v[26:29], v[84:85], off offset:2064
	v_mfma_f32_4x4x4_16b_bf16 a[0:3], v[66:67], v[36:37], a[0:3] cbsz:4 abid:9
	global_load_dwordx4 v[46:49], v[80:81], off
	global_load_dwordx4 v[34:37], v[80:81], off offset:16
	s_waitcnt vmcnt(15)
	v_mfma_f32_4x4x4_16b_bf16 a[0:3], v[64:65], v[76:77], a[0:3] cbsz:4 abid:10
	v_mul_hi_i32 v76, v91, s9
	global_load_dwordx4 v[38:41], v[80:81], off offset:2048
	global_load_dwordx4 v[42:45], v[80:81], off offset:2064
	v_mfma_f32_4x4x4_16b_bf16 a[0:3], v[66:67], v[78:79], a[0:3] cbsz:4 abid:10
	s_load_dword s0, s[0:1], 0x1c
	v_cmp_eq_u32_e32 vcc, 0, v89
	s_waitcnt vmcnt(16)
	v_mfma_f32_4x4x4_16b_bf16 a[0:3], v[64:65], v[72:73], a[0:3] cbsz:4 abid:11
	v_ashrrev_i32_e32 v72, 31, v76
	v_lshrrev_b32_e32 v96, 29, v72
	v_mfma_f32_4x4x4_16b_bf16 a[0:3], v[66:67], v[74:75], a[0:3] cbsz:4 abid:11
	s_waitcnt vmcnt(15)
	s_nop 0
	v_mfma_f32_4x4x4_16b_bf16 a[0:3], v[64:65], v[58:59], a[0:3] cbsz:4 abid:12
	v_mad_i64_i32 v[58:59], s[8:9], v91, s9, v[96:97]
	s_nop 0
	v_mfma_f32_4x4x4_16b_bf16 a[0:3], v[66:67], v[60:61], a[0:3] cbsz:4 abid:12
	v_lshlrev_b64 v[58:59], 1, v[58:59]
	v_and_b32_e32 v58, -16, v58
	s_waitcnt vmcnt(14)
	v_mfma_f32_4x4x4_16b_bf16 a[0:3], v[64:65], v[54:55], a[0:3] cbsz:4 abid:13
	v_lshl_add_u64 v[54:55], s[4:5], 0, v[58:59]
	v_lshl_add_u64 v[72:73], v[54:55], 0, v[62:63]
	v_mfma_f32_4x4x4_16b_bf16 a[0:3], v[66:67], v[56:57], a[0:3] cbsz:4 abid:13
	s_waitcnt vmcnt(13)
	s_nop 0
	v_mfma_f32_4x4x4_16b_bf16 a[0:3], v[64:65], v[50:51], a[0:3] cbsz:4 abid:14
	s_nop 1
	v_mfma_f32_4x4x4_16b_bf16 a[0:3], v[66:67], v[52:53], a[0:3] cbsz:4 abid:14
	global_load_dwordx4 v[50:53], v[72:73], off
	global_load_dwordx4 v[54:57], v[72:73], off offset:16
	s_waitcnt vmcnt(14)
	v_mfma_f32_4x4x4_16b_bf16 a[0:3], v[64:65], v[68:69], a[0:3] cbsz:4 abid:15
	global_load_dwordx4 v[58:61], v[72:73], off offset:2048
	global_load_dwordx4 v[62:65], v[72:73], off offset:2064
	v_mfma_f32_4x4x4_16b_bf16 a[0:3], v[66:67], v[70:71], a[0:3] cbsz:4 abid:15
	v_cndmask_b32_e64 v70, 0, 1.0, vcc
	v_cmp_eq_u32_e32 vcc, 1, v89
	v_mov_b32_e32 v73, 0xff7fffff
	s_nop 1
	v_accvgpr_read_b32 v69, a1
	v_accvgpr_read_b32 v68, a0
	s_waitcnt lgkmcnt(0)
	v_pk_mul_f32 v[68:69], s[0:1], v[68:69] op_sel_hi:[0,1]
	v_accvgpr_read_b32 v67, a3
	v_accvgpr_read_b32 v66, a2
	v_pk_mul_f32 v[66:67], s[0:1], v[66:67] op_sel_hi:[0,1]
	v_mfma_f32_4x4x1_16b_f32 a[0:3], v68, v70, 0
	v_cndmask_b32_e64 v68, 0, 1.0, vcc
	v_cmp_eq_u32_e32 vcc, 2, v89
	s_nop 0
	v_mfma_f32_4x4x1_16b_f32 a[0:3], v69, v68, a[0:3]
	v_cndmask_b32_e64 v68, 0, 1.0, vcc
	v_cmp_eq_u32_e32 vcc, 3, v89
	s_nop 0
	v_mfma_f32_4x4x1_16b_f32 a[0:3], v66, v68, a[0:3]
	v_cndmask_b32_e64 v66, 0, 1.0, vcc
	s_nop 1
	v_mfma_f32_4x4x1_16b_f32 a[0:3], v67, v66, a[0:3]
	v_and_b32_e32 v66, -4, v90
	v_subrev_u32_e32 v67, s3, v66
	v_add_u32_e32 v68, 1, v67
	v_cvt_f32_i32_e32 v68, v68
	v_add_u32_e32 v69, 2, v67
	v_cvt_f32_i32_e32 v69, v69
	v_accvgpr_read_b32 v70, a0
	v_fma_f32 v68, v94, v68, v70
	v_accvgpr_read_b32 v70, a1
	v_fma_f32 v69, v94, v69, v70
	v_add_u32_e32 v70, 3, v67
	v_cvt_f32_i32_e32 v70, v70
	v_add_u32_e32 v67, 4, v67
	v_max_f32_e32 v72, 0xff7fffff, v68
	v_cmp_gt_i32_e32 vcc, s3, v66
	v_cvt_f32_i32_e32 v67, v67
	v_accvgpr_read_b32 v71, a2
	v_cndmask_b32_e32 v72, v73, v72, vcc
	v_or_b32_e32 v73, 1, v66
	v_max_f32_e32 v74, v72, v69
	v_cmp_gt_i32_e64 s[0:1], s3, v73
	v_fma_f32 v70, v94, v70, v71
	v_or_b32_e32 v66, 2, v66
	v_cndmask_b32_e64 v72, v72, v74, s[0:1]
	v_accvgpr_read_b32 v71, a3
	v_max_f32_e32 v73, v72, v70
	v_cmp_gt_i32_e64 s[4:5], s3, v66
	v_fmac_f32_e32 v71, v94, v67
	v_lshlrev_b32_e32 v67, 2, v0
	v_cndmask_b32_e64 v66, v72, v73, s[4:5]
	v_or_b32_e32 v72, 3, v90
	v_max_f32_e32 v73, v66, v71
	v_cmp_gt_i32_e64 s[8:9], s3, v72
	v_and_or_b32 v67, v67, 48, v89
	s_nop 0
	v_cndmask_b32_e64 v66, v66, v73, s[8:9]
	;;#ASMSTART
	v_nop
 v_nop
 v_max_f32_dpp v66, v66, v66 row_ror:4
	;;#ASMEND
	v_lshlrev_b32_e32 v73, 2, v67
	;;#ASMSTART
	v_nop
 v_nop
 v_max_f32_dpp v66, v66, v66 row_ror:8
	;;#ASMEND
	ds_bpermute_b32 v66, v73, v66
	s_waitcnt lgkmcnt(0)
	;;#ASMSTART
	v_nop
 v_nop
 v_max_f32_dpp v66, v66, v66 row_ror:4
	;;#ASMEND
	s_nop 0
	;;#ASMSTART
	v_nop
 v_nop
 v_max_f32_dpp v72, v66, v66 row_ror:8
	;;#ASMEND
	s_nop 0
	v_sub_f32_e32 v66, v68, v72
	v_mul_f32_e32 v66, 0x3fb8aa3b, v66
	v_sub_f32_e32 v67, v69, v72
	v_exp_f32_e32 v66, v66
	v_mul_f32_e32 v67, 0x3fb8aa3b, v67
	v_sub_f32_e32 v69, v70, v72
	v_exp_f32_e32 v67, v67
	;; [unrolled: 3-line block ×3, first 2 shown]
	v_mul_f32_e32 v70, 0x3fb8aa3b, v70
	v_exp_f32_e32 v70, v70
	v_cndmask_b32_e32 v66, 0, v66, vcc
	v_add_f32_e32 v68, 0, v66
	v_cndmask_b32_e64 v67, 0, v67, s[0:1]
	v_add_f32_e32 v71, v68, v67
	v_cndmask_b32_e64 v68, 0, v69, s[4:5]
	;; [unrolled: 2-line block ×3, first 2 shown]
	v_add_f32_e32 v70, v71, v69
	;;#ASMSTART
	v_nop
 v_nop
 v_add_f32_dpp v70, v70, v70 row_ror:4
	;;#ASMEND
	v_cmp_gt_u32_e32 vcc, 4, v1
	;;#ASMSTART
	v_nop
 v_nop
 v_add_f32_dpp v70, v70, v70 row_ror:8
	;;#ASMEND
	ds_bpermute_b32 v70, v73, v70
	s_waitcnt lgkmcnt(0)
	;;#ASMSTART
	v_nop
 v_nop
 v_add_f32_dpp v70, v70, v70 row_ror:4
	;;#ASMEND
	s_nop 0
	;;#ASMSTART
	v_nop
 v_nop
 v_add_f32_dpp v70, v70, v70 row_ror:8
	;;#ASMEND
	s_and_saveexec_b64 s[0:1], vcc
	s_cbranch_execz .LBB577_18
; %bb.17:
	v_mul_u32_u24_e32 v71, 20, v88
	v_lshl_add_u32 v71, v89, 2, v71
	v_add_u32_e32 v71, 0x1400, v71
	ds_write2_b32 v71, v72, v70 offset1:20
.LBB577_18:
	s_or_b64 exec, exec, s[0:1]
.LBB577_19:
	s_or_b64 exec, exec, s[22:23]
	s_waitcnt lgkmcnt(0)
	s_barrier
	s_load_dword s0, s[20:21], 0x8
	v_lshlrev_b32_e32 v70, 2, v89
	v_add_u32_e32 v73, 0x1400, v70
	ds_read2_b32 v[70:71], v73 offset1:5
	ds_read2_b32 v[76:77], v73 offset0:10 offset1:15
	s_mul_i32 s1, s2, s34
	s_waitcnt lgkmcnt(0)
	s_mul_i32 s1, s1, s0
	s_lshl_b32 s0, s1, 1
	s_mov_b32 s1, 0xff7fffff
	v_max3_f32 v74, v70, s1, v71
	v_max3_f32 v74, v74, v76, v77
	v_sub_f32_e32 v70, v70, v74
	v_mul_f32_e32 v70, 0x3fb8aa3b, v70
	v_exp_f32_e32 v75, v70
	v_sub_f32_e32 v70, v71, v74
	ds_read2_b32 v[78:79], v73 offset0:20 offset1:25
	v_mul_f32_e32 v70, 0x3fb8aa3b, v70
	v_exp_f32_e32 v80, v70
	ds_read2_b32 v[70:71], v73 offset0:30 offset1:35
	v_sub_f32_e32 v73, v76, v74
	v_mul_f32_e32 v73, 0x3fb8aa3b, v73
	v_sub_f32_e32 v76, v77, v74
	v_exp_f32_e32 v73, v73
	v_mul_f32_e32 v76, 0x3fb8aa3b, v76
	v_exp_f32_e32 v76, v76
	s_waitcnt lgkmcnt(1)
	v_fma_f32 v75, v75, v78, 0
	v_fmac_f32_e32 v75, v80, v79
	s_waitcnt lgkmcnt(0)
	v_fmac_f32_e32 v75, v73, v70
	v_fmac_f32_e32 v75, v76, v71
	v_cmp_gt_u32_e32 vcc, 2, v89
	s_and_saveexec_b64 s[2:3], vcc
	s_cbranch_execz .LBB577_21
; %bb.20:
	s_mov_b32 s1, 0
	s_lshl_b64 s[4:5], s[0:1], 2
	s_add_u32 s10, s12, s4
	s_mov_b32 s17, s1
	s_addc_u32 s11, s13, s5
	s_lshl_b64 s[8:9], s[16:17], 2
	s_add_u32 s10, s10, s8
	s_addc_u32 s11, s11, s9
	s_add_u32 s1, s14, s4
	s_addc_u32 s5, s15, s5
	v_or_b32_e32 v70, s33, v89
	s_add_u32 s4, s1, s8
	v_mul_lo_u32 v70, s34, v70
	v_mov_b32_e32 v71, 0
	s_addc_u32 s5, s5, s9
	v_lshlrev_b64 v[70:71], 2, v[70:71]
	v_lshl_add_u64 v[76:77], s[10:11], 0, v[70:71]
	v_lshl_add_u64 v[70:71], s[4:5], 0, v[70:71]
	global_store_dword v[70:71], v74, off
	global_store_dword v[76:77], v75, off
.LBB577_21:
	s_or_b64 exec, exec, s[2:3]
	v_lshlrev_b32_e32 v73, 3, v88
                                        ; implicit-def: $sgpr1
	s_and_saveexec_b64 s[2:3], s[6:7]
	s_xor_b64 s[2:3], exec, s[2:3]
	s_cbranch_execz .LBB577_23
; %bb.22:
	s_waitcnt vmcnt(15)
	v_mov_b32_e32 v2, 0
	v_mad_u32_u24 v4, v1, 40, v73
	s_mov_b32 s1, 0
	v_mov_b32_e32 v3, v2
	ds_write_b64 v4, v[2:3]
                                        ; implicit-def: $vgpr69
                                        ; implicit-def: $vgpr67
                                        ; implicit-def: $vgpr3
                                        ; implicit-def: $vgpr7
                                        ; implicit-def: $vgpr23
                                        ; implicit-def: $vgpr31
                                        ; implicit-def: $vgpr47
                                        ; implicit-def: $vgpr35
                                        ; implicit-def: $vgpr51
                                        ; implicit-def: $vgpr55
                                        ; implicit-def: $vgpr15
                                        ; implicit-def: $vgpr11
                                        ; implicit-def: $vgpr19
                                        ; implicit-def: $vgpr27
                                        ; implicit-def: $vgpr39
                                        ; implicit-def: $vgpr43
                                        ; implicit-def: $vgpr59
                                        ; implicit-def: $vgpr63
                                        ; implicit-def: $vgpr72
                                        ; implicit-def: $vgpr74
                                        ; implicit-def: $vgpr75
.LBB577_23:
	s_or_saveexec_b64 s[2:3], s[2:3]
	v_mov_b32_e32 v70, s1
	v_mov_b32_e32 v71, s1
	s_xor_b64 exec, exec, s[2:3]
	s_cbranch_execz .LBB577_25
; %bb.24:
	v_add_f32_e32 v70, 0x358637bd, v75
	v_div_scale_f32 v71, s[4:5], v70, v70, 1.0
	v_rcp_f32_e32 v75, v71
	v_sub_f32_e32 v72, v72, v74
	v_mul_f32_e32 v72, 0x3fb8aa3b, v72
	v_exp_f32_e32 v72, v72
	v_fma_f32 v74, -v71, v75, 1.0
	v_fmac_f32_e32 v75, v74, v75
	v_div_scale_f32 v74, vcc, 1.0, v70, 1.0
	v_mul_f32_e32 v76, v74, v75
	v_fma_f32 v77, -v71, v76, v74
	v_fmac_f32_e32 v76, v77, v75
	v_fma_f32 v71, -v71, v76, v74
	v_div_fmas_f32 v71, v71, v75, v76
	v_div_fixup_f32 v70, v71, v70, 1.0
	v_mul_f32_e32 v70, v72, v70
	v_pk_mul_f32 v[66:67], v[66:67], v[70:71] op_sel_hi:[1,0]
	v_pk_mul_f32 v[68:69], v[68:69], v[70:71] op_sel_hi:[1,0]
	v_bfe_u32 v70, v67, 16, 1
	v_bfe_u32 v71, v66, 16, 1
	s_movk_i32 s1, 0x7fff
	v_add3_u32 v66, v66, v71, s1
	v_add3_u32 v67, v67, v70, s1
	s_mov_b32 s4, 0x7060302
	v_perm_b32 v66, v67, v66, s4
	v_bfe_u32 v67, v69, 16, 1
	v_bfe_u32 v70, v68, 16, 1
	v_add3_u32 v68, v68, v70, s1
	v_add3_u32 v67, v69, v67, s1
	v_perm_b32 v67, v67, v68, s4
	s_waitcnt vmcnt(15)
	s_nop 0
	v_mfma_f32_4x4x4_16b_bf16 a[0:3], v[66:67], v[2:3], 0 cbsz:4
	s_nop 1
	v_mfma_f32_4x4x4_16b_bf16 a[0:3], v[66:67], v[4:5], a[0:3] cbsz:4 abid:1
	s_waitcnt vmcnt(13)
	v_mfma_f32_4x4x4_16b_bf16 a[4:7], v[66:67], v[14:15], 0 cbsz:4
	v_mfma_f32_4x4x4_16b_bf16 a[0:3], v[66:67], v[6:7], a[0:3] cbsz:4 abid:2
	s_nop 0
	v_mfma_f32_4x4x4_16b_bf16 a[4:7], v[66:67], v[16:17], a[4:7] cbsz:4 abid:1
	v_mfma_f32_4x4x4_16b_bf16 a[0:3], v[66:67], v[8:9], a[0:3] cbsz:4 abid:3
	s_waitcnt vmcnt(12)
	v_mfma_f32_4x4x4_16b_bf16 a[4:7], v[66:67], v[10:11], a[4:7] cbsz:4 abid:2
	s_waitcnt vmcnt(11)
	v_mfma_f32_4x4x4_16b_bf16 a[0:3], v[66:67], v[22:23], a[0:3] cbsz:4 abid:4
	s_nop 1
	v_mfma_f32_4x4x4_16b_bf16 a[0:3], v[66:67], v[24:25], a[0:3] cbsz:4 abid:5
	s_waitcnt vmcnt(10)
	s_nop 0
	v_mfma_f32_4x4x4_16b_bf16 a[0:3], v[66:67], v[30:31], a[0:3] cbsz:4 abid:6
	s_nop 1
	v_mfma_f32_4x4x4_16b_bf16 a[0:3], v[66:67], v[32:33], a[0:3] cbsz:4 abid:7
	s_waitcnt vmcnt(7)
	s_nop 0
	;; [unrolled: 5-line block ×5, first 2 shown]
	v_mfma_f32_4x4x4_16b_bf16 a[0:3], v[66:67], v[54:55], a[0:3] cbsz:4 abid:14
	s_nop 1
	v_mfma_f32_4x4x4_16b_bf16 a[0:3], v[66:67], v[56:57], a[0:3] cbsz:4 abid:15
	s_nop 4
	v_accvgpr_read_b32 v3, a2
	v_accvgpr_read_b32 v4, a3
	v_accvgpr_read_b32 v2, a0
	v_accvgpr_read_b32 v5, a1
	v_mfma_f32_4x4x4_16b_bf16 a[0:3], v[66:67], v[12:13], a[4:7] cbsz:4 abid:3
	v_bfe_u32 v6, v5, 16, 1
	v_bfe_u32 v7, v2, 16, 1
	v_mfma_f32_4x4x4_16b_bf16 a[0:3], v[66:67], v[18:19], a[0:3] cbsz:4 abid:4
	v_add3_u32 v2, v2, v7, s1
	v_add3_u32 v5, v5, v6, s1
	v_mfma_f32_4x4x4_16b_bf16 a[0:3], v[66:67], v[20:21], a[0:3] cbsz:4 abid:5
	v_perm_b32 v2, v5, v2, s4
	v_bfe_u32 v5, v4, 16, 1
	v_mfma_f32_4x4x4_16b_bf16 a[0:3], v[66:67], v[26:27], a[0:3] cbsz:4 abid:6
	v_bfe_u32 v6, v3, 16, 1
	v_add3_u32 v3, v3, v6, s1
	v_mfma_f32_4x4x4_16b_bf16 a[0:3], v[66:67], v[28:29], a[0:3] cbsz:4 abid:7
	v_add3_u32 v4, v4, v5, s1
	v_perm_b32 v3, v4, v3, s4
	v_mfma_f32_4x4x4_16b_bf16 a[0:3], v[66:67], v[38:39], a[0:3] cbsz:4 abid:8
	v_mad_u32_u24 v4, v1, 40, v73
	ds_write_b64 v4, v[2:3]
	v_mfma_f32_4x4x4_16b_bf16 a[0:3], v[66:67], v[40:41], a[0:3] cbsz:4 abid:9
	s_nop 1
	v_mfma_f32_4x4x4_16b_bf16 a[0:3], v[66:67], v[42:43], a[0:3] cbsz:4 abid:10
	s_nop 1
	v_mfma_f32_4x4x4_16b_bf16 a[0:3], v[66:67], v[44:45], a[0:3] cbsz:4 abid:11
	s_waitcnt vmcnt(1)
	s_nop 0
	v_mfma_f32_4x4x4_16b_bf16 a[0:3], v[66:67], v[58:59], a[0:3] cbsz:4 abid:12
	s_nop 1
	v_mfma_f32_4x4x4_16b_bf16 a[0:3], v[66:67], v[60:61], a[0:3] cbsz:4 abid:13
	s_waitcnt vmcnt(0)
	s_nop 0
	v_mfma_f32_4x4x4_16b_bf16 a[0:3], v[66:67], v[62:63], a[0:3] cbsz:4 abid:14
	s_nop 1
	v_mfma_f32_4x4x4_16b_bf16 a[0:3], v[66:67], v[64:65], a[0:3] cbsz:4 abid:15
	s_nop 4
	v_accvgpr_read_b32 v4, a0
	v_accvgpr_read_b32 v5, a1
	;; [unrolled: 1-line block ×4, first 2 shown]
	v_bfe_u32 v6, v5, 16, 1
	v_bfe_u32 v7, v4, 16, 1
	v_add3_u32 v4, v4, v7, s1
	v_add3_u32 v5, v5, v6, s1
	v_bfe_u32 v6, v3, 16, 1
	v_bfe_u32 v7, v2, 16, 1
	v_add3_u32 v2, v2, v7, s1
	v_add3_u32 v3, v3, v6, s1
	v_perm_b32 v71, v3, v2, s4
	v_perm_b32 v70, v5, v4, s4
.LBB577_25:
	s_or_b64 exec, exec, s[2:3]
	s_waitcnt vmcnt(15)
	v_mad_u32_u24 v2, v1, 40, v73
	v_cmp_gt_u32_e32 vcc, 64, v0
	ds_write_b64 v2, v[70:71] offset:2560
	s_waitcnt lgkmcnt(0)
	s_barrier
	s_and_saveexec_b64 s[2:3], vcc
	s_cbranch_execz .LBB577_27
; %bb.26:
	s_waitcnt vmcnt(14)
	v_mul_u32_u24_e32 v6, 40, v1
	ds_read2_b64 v[2:5], v6 offset1:1
	ds_read2_b64 v[6:9], v6 offset0:2 offset1:3
	s_mov_b32 s1, 0
	s_lshl_b32 s0, s0, 7
	s_lshl_b64 s[2:3], s[0:1], 1
	s_waitcnt lgkmcnt(1)
	v_and_b32_e32 v3, 0xffff0000, v2
	v_add_f32_e32 v3, 0, v3
	v_and_b32_e32 v5, 0xffff0000, v4
	v_and_b32_e32 v3, 0xffff0000, v3
	v_add_f32_e32 v3, v3, v5
	s_waitcnt lgkmcnt(0)
	v_and_b32_e32 v7, 0xffff0000, v6
	v_and_b32_e32 v3, 0xffff0000, v3
	v_add_f32_e32 v3, v3, v7
	v_mov_b32_e32 v7, 0xa00
	v_mad_u32_u24 v7, v1, 40, v7
	s_waitcnt vmcnt(12)
	ds_read2_b64 v[10:13], v7 offset1:1
	v_and_b32_e32 v3, 0xffff0000, v3
	v_and_b32_e32 v5, 0xffff0000, v8
	v_add_f32_e32 v7, v3, v5
	v_mov_b32_e32 v3, 0xa10
	v_mad_u32_u24 v1, v1, 40, v3
	ds_read2_b64 v[14:17], v1 offset1:1
	s_waitcnt lgkmcnt(1)
	v_lshlrev_b32_e32 v1, 16, v10
	v_add_f32_e32 v1, 0, v1
	v_and_b32_e32 v3, 0xffff0000, v10
	v_and_b32_e32 v1, 0xffff0000, v1
	v_add_f32_e32 v3, 0, v3
	v_lshlrev_b32_e32 v5, 16, v12
	v_and_b32_e32 v3, 0xffff0000, v3
	v_add_f32_e32 v1, v1, v5
	v_and_b32_e32 v5, 0xffff0000, v12
	v_and_b32_e32 v1, 0xffff0000, v1
	v_add_f32_e32 v3, v3, v5
	s_waitcnt lgkmcnt(0)
	v_lshlrev_b32_e32 v5, 16, v14
	v_and_b32_e32 v3, 0xffff0000, v3
	v_add_f32_e32 v1, v1, v5
	v_and_b32_e32 v5, 0xffff0000, v14
	v_and_b32_e32 v1, 0xffff0000, v1
	v_add_f32_e32 v3, v3, v5
	v_lshlrev_b32_e32 v5, 16, v16
	v_and_b32_e32 v3, 0xffff0000, v3
	v_add_f32_e32 v9, v1, v5
	v_and_b32_e32 v1, 0xffff0000, v16
	v_add_f32_e32 v10, v3, v1
	v_lshlrev_b32_e32 v1, 16, v2
	s_add_u32 s2, s18, s2
	v_add_f32_e32 v1, 0, v1
	s_addc_u32 s3, s19, s3
	s_lshl_b32 s0, s16, 7
	v_and_b32_e32 v1, 0xffff0000, v1
	v_lshlrev_b32_e32 v2, 16, v4
	s_lshl_b64 s[0:1], s[0:1], 1
	v_add_f32_e32 v1, v1, v2
	s_add_u32 s0, s2, s0
	v_and_b32_e32 v1, 0xffff0000, v1
	v_lshlrev_b32_e32 v2, 16, v6
	s_addc_u32 s1, s3, s1
	s_lshl_b32 s2, s34, 7
	v_add_f32_e32 v1, v1, v2
	v_and_b32_e32 v1, 0xffff0000, v1
	v_lshlrev_b32_e32 v2, 16, v8
	s_mul_i32 s3, s2, s33
	v_add_f32_e32 v1, v1, v2
	v_or_b32_e32 v2, s3, v0
	v_mov_b32_e32 v3, 0
	s_add_i32 s3, s3, s2
	v_lshl_add_u64 v[4:5], v[2:3], 1, s[0:1]
	v_or_b32_e32 v2, s3, v0
	global_store_short_d16_hi v[4:5], v1, off
	v_lshl_add_u64 v[0:1], v[2:3], 1, s[0:1]
	global_store_short_d16_hi v[0:1], v7, off
	global_store_short_d16_hi v[4:5], v9, off offset:128
	global_store_short_d16_hi v[0:1], v10, off offset:128
.LBB577_27:
	s_endpgm
	.section	.rodata,"a",@progbits
	.p2align	6, 0x0
	.amdhsa_kernel _Z38paged_attention_ll4mi_QKV_mfma4_kernelI14__hip_bfloat16S0_LN4vllm18Fp8KVCacheDataTypeE0EhLi16ELi128ELi256ELb1ELi2EEvPKT_PKT0_S8_ifPKiSA_SA_iPKfiiiPfSD_PS3_PT2_iSC_SC_
		.amdhsa_group_segment_fixed_size 5280
		.amdhsa_private_segment_fixed_size 0
		.amdhsa_kernarg_size 400
		.amdhsa_user_sgpr_count 2
		.amdhsa_user_sgpr_dispatch_ptr 0
		.amdhsa_user_sgpr_queue_ptr 0
		.amdhsa_user_sgpr_kernarg_segment_ptr 1
		.amdhsa_user_sgpr_dispatch_id 0
		.amdhsa_user_sgpr_kernarg_preload_length 0
		.amdhsa_user_sgpr_kernarg_preload_offset 0
		.amdhsa_user_sgpr_private_segment_size 0
		.amdhsa_uses_dynamic_stack 0
		.amdhsa_enable_private_segment 0
		.amdhsa_system_sgpr_workgroup_id_x 1
		.amdhsa_system_sgpr_workgroup_id_y 1
		.amdhsa_system_sgpr_workgroup_id_z 1
		.amdhsa_system_sgpr_workgroup_info 0
		.amdhsa_system_vgpr_workitem_id 0
		.amdhsa_next_free_vgpr 108
		.amdhsa_next_free_sgpr 40
		.amdhsa_accum_offset 100
		.amdhsa_reserve_vcc 1
		.amdhsa_float_round_mode_32 0
		.amdhsa_float_round_mode_16_64 0
		.amdhsa_float_denorm_mode_32 3
		.amdhsa_float_denorm_mode_16_64 3
		.amdhsa_dx10_clamp 1
		.amdhsa_ieee_mode 1
		.amdhsa_fp16_overflow 0
		.amdhsa_tg_split 0
		.amdhsa_exception_fp_ieee_invalid_op 0
		.amdhsa_exception_fp_denorm_src 0
		.amdhsa_exception_fp_ieee_div_zero 0
		.amdhsa_exception_fp_ieee_overflow 0
		.amdhsa_exception_fp_ieee_underflow 0
		.amdhsa_exception_fp_ieee_inexact 0
		.amdhsa_exception_int_div_zero 0
	.end_amdhsa_kernel
	.section	.text._Z38paged_attention_ll4mi_QKV_mfma4_kernelI14__hip_bfloat16S0_LN4vllm18Fp8KVCacheDataTypeE0EhLi16ELi128ELi256ELb1ELi2EEvPKT_PKT0_S8_ifPKiSA_SA_iPKfiiiPfSD_PS3_PT2_iSC_SC_,"axG",@progbits,_Z38paged_attention_ll4mi_QKV_mfma4_kernelI14__hip_bfloat16S0_LN4vllm18Fp8KVCacheDataTypeE0EhLi16ELi128ELi256ELb1ELi2EEvPKT_PKT0_S8_ifPKiSA_SA_iPKfiiiPfSD_PS3_PT2_iSC_SC_,comdat
.Lfunc_end577:
	.size	_Z38paged_attention_ll4mi_QKV_mfma4_kernelI14__hip_bfloat16S0_LN4vllm18Fp8KVCacheDataTypeE0EhLi16ELi128ELi256ELb1ELi2EEvPKT_PKT0_S8_ifPKiSA_SA_iPKfiiiPfSD_PS3_PT2_iSC_SC_, .Lfunc_end577-_Z38paged_attention_ll4mi_QKV_mfma4_kernelI14__hip_bfloat16S0_LN4vllm18Fp8KVCacheDataTypeE0EhLi16ELi128ELi256ELb1ELi2EEvPKT_PKT0_S8_ifPKiSA_SA_iPKfiiiPfSD_PS3_PT2_iSC_SC_
                                        ; -- End function
	.section	.AMDGPU.csdata,"",@progbits
; Kernel info:
; codeLenInByte = 4260
; NumSgprs: 46
; NumVgprs: 100
; NumAgprs: 8
; TotalNumVgprs: 108
; ScratchSize: 0
; MemoryBound: 0
; FloatMode: 240
; IeeeMode: 1
; LDSByteSize: 5280 bytes/workgroup (compile time only)
; SGPRBlocks: 5
; VGPRBlocks: 13
; NumSGPRsForWavesPerEU: 46
; NumVGPRsForWavesPerEU: 108
; AccumOffset: 100
; Occupancy: 4
; WaveLimiterHint : 1
; COMPUTE_PGM_RSRC2:SCRATCH_EN: 0
; COMPUTE_PGM_RSRC2:USER_SGPR: 2
; COMPUTE_PGM_RSRC2:TRAP_HANDLER: 0
; COMPUTE_PGM_RSRC2:TGID_X_EN: 1
; COMPUTE_PGM_RSRC2:TGID_Y_EN: 1
; COMPUTE_PGM_RSRC2:TGID_Z_EN: 1
; COMPUTE_PGM_RSRC2:TIDIG_COMP_CNT: 0
; COMPUTE_PGM_RSRC3_GFX90A:ACCUM_OFFSET: 24
; COMPUTE_PGM_RSRC3_GFX90A:TG_SPLIT: 0
	.section	.text._Z38paged_attention_ll4mi_QKV_mfma4_kernelI14__hip_bfloat16S0_LN4vllm18Fp8KVCacheDataTypeE0EhLi16ELi128ELi256ELb1ELi3EEvPKT_PKT0_S8_ifPKiSA_SA_iPKfiiiPfSD_PS3_PT2_iSC_SC_,"axG",@progbits,_Z38paged_attention_ll4mi_QKV_mfma4_kernelI14__hip_bfloat16S0_LN4vllm18Fp8KVCacheDataTypeE0EhLi16ELi128ELi256ELb1ELi3EEvPKT_PKT0_S8_ifPKiSA_SA_iPKfiiiPfSD_PS3_PT2_iSC_SC_,comdat
	.protected	_Z38paged_attention_ll4mi_QKV_mfma4_kernelI14__hip_bfloat16S0_LN4vllm18Fp8KVCacheDataTypeE0EhLi16ELi128ELi256ELb1ELi3EEvPKT_PKT0_S8_ifPKiSA_SA_iPKfiiiPfSD_PS3_PT2_iSC_SC_ ; -- Begin function _Z38paged_attention_ll4mi_QKV_mfma4_kernelI14__hip_bfloat16S0_LN4vllm18Fp8KVCacheDataTypeE0EhLi16ELi128ELi256ELb1ELi3EEvPKT_PKT0_S8_ifPKiSA_SA_iPKfiiiPfSD_PS3_PT2_iSC_SC_
	.globl	_Z38paged_attention_ll4mi_QKV_mfma4_kernelI14__hip_bfloat16S0_LN4vllm18Fp8KVCacheDataTypeE0EhLi16ELi128ELi256ELb1ELi3EEvPKT_PKT0_S8_ifPKiSA_SA_iPKfiiiPfSD_PS3_PT2_iSC_SC_
	.p2align	8
	.type	_Z38paged_attention_ll4mi_QKV_mfma4_kernelI14__hip_bfloat16S0_LN4vllm18Fp8KVCacheDataTypeE0EhLi16ELi128ELi256ELb1ELi3EEvPKT_PKT0_S8_ifPKiSA_SA_iPKfiiiPfSD_PS3_PT2_iSC_SC_,@function
_Z38paged_attention_ll4mi_QKV_mfma4_kernelI14__hip_bfloat16S0_LN4vllm18Fp8KVCacheDataTypeE0EhLi16ELi128ELi256ELb1ELi3EEvPKT_PKT0_S8_ifPKiSA_SA_iPKfiiiPfSD_PS3_PT2_iSC_SC_: ; @_Z38paged_attention_ll4mi_QKV_mfma4_kernelI14__hip_bfloat16S0_LN4vllm18Fp8KVCacheDataTypeE0EhLi16ELi128ELi256ELb1ELi3EEvPKT_PKT0_S8_ifPKiSA_SA_iPKfiiiPfSD_PS3_PT2_iSC_SC_
; %bb.0:
	s_load_dwordx2 s[8:9], s[0:1], 0x30
	s_mov_b32 s16, s3
	s_mov_b64 s[6:7], 0
	s_waitcnt lgkmcnt(0)
	s_cmp_lg_u64 s[8:9], 0
	s_cselect_b64 s[10:11], -1, 0
	s_and_b64 vcc, exec, s[10:11]
	s_cbranch_vccz .LBB578_10
; %bb.1:
	s_add_i32 s12, s2, 1
	s_mov_b32 s13, 0
	s_lshl_b64 s[14:15], s[12:13], 2
	s_add_u32 s14, s8, s14
	s_mov_b32 s3, s13
	s_addc_u32 s15, s9, s15
	s_lshl_b64 s[12:13], s[2:3], 2
	s_add_u32 s12, s8, s12
	s_addc_u32 s13, s9, s13
	s_load_dword s5, s[14:15], 0x0
	s_load_dword s17, s[12:13], 0x0
	s_waitcnt lgkmcnt(0)
	s_sub_i32 s5, s5, s17
	s_cmp_eq_u32 s5, 1
	s_cselect_b64 s[12:13], -1, 0
	s_andn2_b64 vcc, exec, s[6:7]
	s_cbranch_vccnz .LBB578_3
.LBB578_2:
	s_mov_b32 s3, 0
	s_mov_b64 s[12:13], -1
.LBB578_3:
	s_andn2_b64 vcc, exec, s[12:13]
	s_cbranch_vccnz .LBB578_27
; %bb.4:
	s_load_dword s5, s[0:1], 0x9c
	s_load_dwordx2 s[6:7], s[0:1], 0x28
	s_add_u32 s20, s0, 0x90
	s_addc_u32 s21, s1, 0
	s_lshl_b64 s[24:25], s[2:3], 2
	s_waitcnt lgkmcnt(0)
	s_and_b32 s5, s5, 0xffff
	s_add_u32 s6, s6, s24
	s_addc_u32 s7, s7, s25
	s_load_dword s3, s[6:7], 0x0
	s_mul_i32 s5, s16, s5
	s_waitcnt lgkmcnt(0)
	s_cmp_ge_i32 s5, s3
	s_cbranch_scc1 .LBB578_27
; %bb.5:
	v_and_b32_e32 v1, 0xc0, v0
	v_add_u32_e32 v2, s5, v1
	v_lshrrev_b32_e32 v90, 6, v0
	v_cmp_le_i32_e64 s[6:7], s3, v2
                                        ; implicit-def: $sgpr26
                                        ; implicit-def: $sgpr17
	s_and_saveexec_b64 s[12:13], s[6:7]
	s_xor_b64 s[12:13], exec, s[12:13]
	s_cbranch_execz .LBB578_7
; %bb.6:
	v_mul_u32_u24_e32 v1, 20, v90
	v_or_b32_e32 v1, 0x1400, v1
	v_mov_b32_e32 v2, 0x1450
	v_mov_b32_e32 v3, 0xff7fffff
	v_mad_u32_u24 v2, v90, 20, v2
	ds_write2_b32 v1, v3, v3 offset1:1
	v_mov_b32_e32 v1, 0
	ds_write2_b32 v2, v1, v1 offset1:1
	v_mov_b32_e32 v2, 0x1408
	s_mov_b32 s17, 0xff7fffff
	s_mov_b32 s26, 0
	v_mad_u32_u24 v2, v90, 20, v2
	v_mov_b32_e32 v4, 0x1458
	v_mad_u32_u24 v4, v90, 20, v4
	ds_write2_b32 v2, v3, v3 offset1:1
	ds_write2_b32 v4, v1, v1 offset1:1
                                        ; implicit-def: $vgpr2
.LBB578_7:
	s_or_saveexec_b64 s[22:23], s[12:13]
	s_load_dwordx2 s[18:19], s[0:1], 0x68
	s_load_dwordx4 s[12:15], s[0:1], 0x58
	s_load_dword s34, s[20:21], 0x4
	v_and_b32_e32 v1, 63, v0
	v_and_b32_e32 v91, 3, v0
	s_mul_i32 s33, s4, 3
	v_mov_b32_e32 v69, s26
	v_mov_b32_e32 v72, s17
	;; [unrolled: 1-line block ×5, first 2 shown]
                                        ; implicit-def: $vgpr3
                                        ; implicit-def: $vgpr7
                                        ; implicit-def: $vgpr23
                                        ; implicit-def: $vgpr31
                                        ; implicit-def: $vgpr47
                                        ; implicit-def: $vgpr35
                                        ; implicit-def: $vgpr51
                                        ; implicit-def: $vgpr55
                                        ; implicit-def: $vgpr15
                                        ; implicit-def: $vgpr11
                                        ; implicit-def: $vgpr19
                                        ; implicit-def: $vgpr27
                                        ; implicit-def: $vgpr39
                                        ; implicit-def: $vgpr43
                                        ; implicit-def: $vgpr59
                                        ; implicit-def: $vgpr63
	s_xor_b64 exec, exec, s[22:23]
	s_cbranch_execz .LBB578_19
; %bb.8:
	s_add_i32 s28, s3, 15
	s_ashr_i32 s29, s28, 31
	s_lshr_b32 s29, s29, 28
	v_add_u32_e32 v92, s5, v0
	s_add_i32 s28, s28, s29
	v_ashrrev_i32_e32 v3, 31, v92
	s_load_dwordx2 s[26:27], s[0:1], 0x20
	s_load_dword s17, s[0:1], 0x38
	s_ashr_i32 s28, s28, 4
	v_lshrrev_b32_e32 v3, 28, v3
	s_add_i32 s30, s28, -1
	v_add_u32_e32 v3, v92, v3
	v_ashrrev_i32_e32 v3, 4, v3
	v_mov_b32_e32 v4, s30
	v_cmp_gt_i32_e32 vcc, s3, v92
	s_waitcnt lgkmcnt(0)
	s_mul_i32 s28, s2, s17
	s_mov_b32 s29, 0
	v_cndmask_b32_e32 v4, v4, v3, vcc
	v_ashrrev_i32_e32 v3, 31, v2
	v_lshrrev_b32_e32 v3, 28, v3
	v_add_u32_e32 v2, v2, v3
	s_lshl_b64 s[28:29], s[28:29], 2
	v_ashrrev_i32_e32 v12, 4, v2
	s_add_u32 s26, s26, s28
	v_min_i32_e32 v2, s30, v12
	s_addc_u32 s27, s27, s29
	v_ashrrev_i32_e32 v3, 31, v2
	v_lshl_add_u64 v[6:7], v[2:3], 2, s[26:27]
	v_add_u32_e32 v2, 1, v12
	v_min_i32_e32 v2, s30, v2
	v_ashrrev_i32_e32 v3, 31, v2
	v_lshl_add_u64 v[8:9], v[2:3], 2, s[26:27]
	v_add_u32_e32 v2, 2, v12
	v_min_i32_e32 v2, s30, v2
	v_ashrrev_i32_e32 v3, 31, v2
	v_lshl_add_u64 v[10:11], v[2:3], 2, s[26:27]
	v_add_u32_e32 v2, 3, v12
	v_ashrrev_i32_e32 v5, 31, v4
	v_min_i32_e32 v2, s30, v2
	v_lshl_add_u64 v[4:5], v[4:5], 2, s[26:27]
	v_ashrrev_i32_e32 v3, 31, v2
	v_lshl_add_u64 v[12:13], v[2:3], 2, s[26:27]
	global_load_dword v3, v[4:5], off
	global_load_dword v2, v[6:7], off
	;; [unrolled: 1-line block ×5, first 2 shown]
	s_load_dwordx2 s[26:27], s[0:1], 0x8
	s_andn2_b64 vcc, exec, s[10:11]
	s_cbranch_vccnz .LBB578_11
; %bb.9:
	s_add_u32 s8, s8, s24
	s_addc_u32 s9, s9, s25
	s_load_dword s5, s[8:9], 0x0
	s_branch .LBB578_12
.LBB578_10:
	s_mov_b64 s[12:13], 0
	s_branch .LBB578_2
.LBB578_11:
	s_mov_b32 s5, s2
.LBB578_12:
	s_load_dwordx2 s[24:25], s[0:1], 0x10
	s_load_dwordx4 s[8:11], s[0:1], 0x48
	v_cmp_ne_u32_e32 vcc, 3, v91
	s_mov_b32 s29, 0
	v_mov_b32_e32 v55, 0
	v_mov_b32_e32 v56, 0
	;; [unrolled: 1-line block ×5, first 2 shown]
	s_and_saveexec_b64 s[30:31], vcc
	s_cbranch_execz .LBB578_14
; %bb.13:
	s_load_dwordx2 s[36:37], s[0:1], 0x0
	s_waitcnt lgkmcnt(0)
	s_ashr_i32 s11, s8, 31
	s_mul_hi_u32 s17, s5, s8
	s_mul_i32 s11, s5, s11
	s_add_i32 s39, s17, s11
	s_mul_i32 s38, s5, s8
	s_lshl_b64 s[38:39], s[38:39], 1
	s_add_u32 s5, s36, s38
	s_mul_i32 s28, s4, 0x180
	s_addc_u32 s8, s37, s39
	s_lshl_b64 s[36:37], s[28:29], 1
	v_lshlrev_b32_e32 v4, 2, v1
	s_add_u32 s36, s5, s36
	v_and_b32_e32 v4, 0xf0, v4
	s_addc_u32 s37, s8, s37
	v_lshl_or_b32 v4, v91, 8, v4
	global_load_dwordx4 v[56:59], v4, s[36:37]
.LBB578_14:
	s_or_b64 exec, exec, s[30:31]
	s_waitcnt lgkmcnt(0)
	s_mul_i32 s28, s4, s10
	s_lshl_b64 s[4:5], s[28:29], 1
	s_add_u32 s10, s4, s26
	s_waitcnt vmcnt(4)
	v_mad_i64_i32 v[4:5], s[30:31], v3, s9, 0
	s_addc_u32 s11, s5, s27
	v_and_b32_e32 v3, 15, v0
	v_lshl_add_u64 v[4:5], v[4:5], 1, s[10:11]
	v_lshlrev_b32_e32 v54, 4, v3
	v_lshl_add_u64 v[4:5], v[4:5], 0, v[54:55]
	global_load_dwordx4 v[8:11], v[4:5], off
	global_load_dwordx4 v[84:87], v[4:5], off offset:256
	global_load_dwordx4 v[30:33], v[4:5], off offset:512
	;; [unrolled: 1-line block ×15, first 2 shown]
	v_mov_b32_e32 v89, 1.0
	v_mov_b32_e32 v88, 0
	s_and_saveexec_b64 s[10:11], vcc
	s_cbranch_execz .LBB578_16
; %bb.15:
	s_load_dwordx2 s[26:27], s[0:1], 0x40
	v_add_u32_e32 v88, s33, v91
	v_mov_b32_e32 v89, 0
	s_waitcnt lgkmcnt(0)
	v_lshl_add_u64 v[4:5], v[88:89], 2, s[26:27]
	global_load_dword v88, v[4:5], off
.LBB578_16:
	s_or_b64 exec, exec, s[10:11]
	s_waitcnt vmcnt(15)
	v_mfma_f32_4x4x4_16b_bf16 a[0:3], v[56:57], v[8:9], 0 cbsz:4
	v_mul_hi_i32 v3, v2, s9
	v_ashrrev_i32_e32 v3, 31, v3
	v_mfma_f32_4x4x4_16b_bf16 a[0:3], v[58:59], v[10:11], a[0:3] cbsz:4
	v_lshrrev_b32_e32 v94, 29, v3
	v_mov_b32_e32 v95, 0
	s_waitcnt vmcnt(14)
	v_mfma_f32_4x4x4_16b_bf16 a[0:3], v[56:57], v[84:85], a[0:3] cbsz:4 abid:1
	v_mad_i64_i32 v[2:3], s[10:11], v2, s9, v[94:95]
	s_nop 0
	v_mfma_f32_4x4x4_16b_bf16 a[0:3], v[58:59], v[86:87], a[0:3] cbsz:4 abid:1
	s_add_u32 s4, s24, s4
	v_lshlrev_b64 v[2:3], 1, v[2:3]
	s_waitcnt vmcnt(13)
	v_mfma_f32_4x4x4_16b_bf16 a[0:3], v[56:57], v[30:31], a[0:3] cbsz:4 abid:2
	s_addc_u32 s5, s25, s5
	v_and_b32_e32 v2, -16, v2
	v_mfma_f32_4x4x4_16b_bf16 a[0:3], v[58:59], v[32:33], a[0:3] cbsz:4 abid:2
	v_lshl_add_u64 v[2:3], s[4:5], 0, v[2:3]
	v_lshlrev_b32_e32 v54, 5, v1
	s_waitcnt vmcnt(12)
	v_mfma_f32_4x4x4_16b_bf16 a[0:3], v[56:57], v[26:27], a[0:3] cbsz:4 abid:3
	s_load_dword s0, s[0:1], 0x1c
	v_lshl_add_u64 v[48:49], v[2:3], 0, v[54:55]
	v_mfma_f32_4x4x4_16b_bf16 a[0:3], v[58:59], v[28:29], a[0:3] cbsz:4 abid:3
	global_load_dwordx4 v[2:5], v[48:49], off
	global_load_dwordx4 v[6:9], v[48:49], off offset:16
	s_waitcnt vmcnt(13)
	v_mfma_f32_4x4x4_16b_bf16 a[0:3], v[56:57], v[22:23], a[0:3] cbsz:4 abid:4
	global_load_dwordx4 v[14:17], v[48:49], off offset:2048
	global_load_dwordx4 v[10:13], v[48:49], off offset:2064
	v_mfma_f32_4x4x4_16b_bf16 a[0:3], v[58:59], v[24:25], a[0:3] cbsz:4 abid:4
	v_mul_hi_i32 v48, v35, s9
	v_ashrrev_i32_e32 v48, 31, v48
	s_waitcnt vmcnt(14)
	v_mfma_f32_4x4x4_16b_bf16 a[0:3], v[56:57], v[18:19], a[0:3] cbsz:4 abid:5
	v_lshrrev_b32_e32 v94, 29, v48
	v_mad_i64_i32 v[30:31], s[10:11], v35, s9, v[94:95]
	v_mfma_f32_4x4x4_16b_bf16 a[0:3], v[58:59], v[20:21], a[0:3] cbsz:4 abid:5
	v_mul_hi_i32 v35, v34, s9
	v_ashrrev_i32_e32 v35, 31, v35
	s_waitcnt vmcnt(13)
	v_mfma_f32_4x4x4_16b_bf16 a[0:3], v[56:57], v[80:81], a[0:3] cbsz:4 abid:6
	v_lshrrev_b32_e32 v94, 29, v35
	v_mad_i64_i32 v[34:35], s[10:11], v34, s9, v[94:95]
	v_mfma_f32_4x4x4_16b_bf16 a[0:3], v[58:59], v[82:83], a[0:3] cbsz:4 abid:6
	v_cmp_eq_u32_e32 vcc, 0, v91
	v_lshlrev_b64 v[26:27], 1, v[30:31]
	s_waitcnt vmcnt(12)
	v_mfma_f32_4x4x4_16b_bf16 a[0:3], v[56:57], v[76:77], a[0:3] cbsz:4 abid:7
	v_lshlrev_b64 v[34:35], 1, v[34:35]
	v_and_b32_e32 v26, -16, v26
	v_mfma_f32_4x4x4_16b_bf16 a[0:3], v[58:59], v[78:79], a[0:3] cbsz:4 abid:7
	v_and_b32_e32 v34, -16, v34
	v_lshl_add_u64 v[22:23], s[4:5], 0, v[26:27]
	s_waitcnt vmcnt(11)
	v_mfma_f32_4x4x4_16b_bf16 a[0:3], v[56:57], v[44:45], a[0:3] cbsz:4 abid:8
	v_lshl_add_u64 v[34:35], s[4:5], 0, v[34:35]
	v_lshl_add_u64 v[48:49], v[22:23], 0, v[54:55]
	v_mfma_f32_4x4x4_16b_bf16 a[0:3], v[58:59], v[46:47], a[0:3] cbsz:4 abid:8
	v_lshl_add_u64 v[76:77], v[34:35], 0, v[54:55]
	global_load_dwordx4 v[22:25], v[48:49], off
	global_load_dwordx4 v[30:33], v[48:49], off offset:16
	s_waitcnt vmcnt(12)
	v_mfma_f32_4x4x4_16b_bf16 a[0:3], v[56:57], v[40:41], a[0:3] cbsz:4 abid:9
	global_load_dwordx4 v[18:21], v[48:49], off offset:2048
	global_load_dwordx4 v[26:29], v[48:49], off offset:2064
	v_mfma_f32_4x4x4_16b_bf16 a[0:3], v[58:59], v[42:43], a[0:3] cbsz:4 abid:9
	s_waitcnt vmcnt(13)
	s_nop 0
	v_mfma_f32_4x4x4_16b_bf16 a[0:3], v[56:57], v[36:37], a[0:3] cbsz:4 abid:10
	global_load_dwordx4 v[46:49], v[76:77], off
	global_load_dwordx4 v[34:37], v[76:77], off offset:16
	v_mfma_f32_4x4x4_16b_bf16 a[0:3], v[58:59], v[38:39], a[0:3] cbsz:4 abid:10
	global_load_dwordx4 v[38:41], v[76:77], off offset:2048
	global_load_dwordx4 v[42:45], v[76:77], off offset:2064
	s_waitcnt vmcnt(16)
	v_mfma_f32_4x4x4_16b_bf16 a[0:3], v[56:57], v[72:73], a[0:3] cbsz:4 abid:11
	v_mul_hi_i32 v72, v93, s9
	v_ashrrev_i32_e32 v72, 31, v72
	v_mfma_f32_4x4x4_16b_bf16 a[0:3], v[58:59], v[74:75], a[0:3] cbsz:4 abid:11
	v_lshrrev_b32_e32 v94, 29, v72
	v_mov_b32_e32 v73, 0xff7fffff
	s_waitcnt vmcnt(15)
	v_mfma_f32_4x4x4_16b_bf16 a[0:3], v[56:57], v[68:69], a[0:3] cbsz:4 abid:12
	v_mad_i64_i32 v[68:69], s[8:9], v93, s9, v[94:95]
	s_nop 0
	v_mfma_f32_4x4x4_16b_bf16 a[0:3], v[58:59], v[70:71], a[0:3] cbsz:4 abid:12
	s_waitcnt vmcnt(14)
	s_nop 0
	v_mfma_f32_4x4x4_16b_bf16 a[0:3], v[56:57], v[64:65], a[0:3] cbsz:4 abid:13
	v_lshlrev_b64 v[64:65], 1, v[68:69]
	v_and_b32_e32 v64, -16, v64
	v_mfma_f32_4x4x4_16b_bf16 a[0:3], v[58:59], v[66:67], a[0:3] cbsz:4 abid:13
	s_waitcnt vmcnt(13)
	s_nop 0
	v_mfma_f32_4x4x4_16b_bf16 a[0:3], v[56:57], v[50:51], a[0:3] cbsz:4 abid:14
	v_lshl_add_u64 v[50:51], s[4:5], 0, v[64:65]
	v_lshl_add_u64 v[66:67], v[50:51], 0, v[54:55]
	v_mfma_f32_4x4x4_16b_bf16 a[0:3], v[58:59], v[52:53], a[0:3] cbsz:4 abid:14
	s_waitcnt vmcnt(12)
	s_nop 0
	v_mfma_f32_4x4x4_16b_bf16 a[0:3], v[56:57], v[60:61], a[0:3] cbsz:4 abid:15
	global_load_dwordx4 v[50:53], v[66:67], off
	global_load_dwordx4 v[54:57], v[66:67], off offset:16
	v_mfma_f32_4x4x4_16b_bf16 a[0:3], v[58:59], v[62:63], a[0:3] cbsz:4 abid:15
	s_nop 4
	v_accvgpr_read_b32 v61, a1
	v_accvgpr_read_b32 v60, a0
	s_waitcnt lgkmcnt(0)
	v_pk_mul_f32 v[60:61], s[0:1], v[60:61] op_sel_hi:[0,1]
	v_accvgpr_read_b32 v59, a3
	v_accvgpr_read_b32 v58, a2
	v_pk_mul_f32 v[68:69], s[0:1], v[58:59] op_sel_hi:[0,1]
	v_cndmask_b32_e64 v58, 0, 1.0, vcc
	v_cmp_eq_u32_e32 vcc, 1, v91
	s_nop 0
	v_mfma_f32_4x4x1_16b_f32 a[0:3], v60, v58, 0
	v_cndmask_b32_e64 v58, 0, 1.0, vcc
	v_cmp_eq_u32_e32 vcc, 2, v91
	s_nop 0
	v_mfma_f32_4x4x1_16b_f32 a[0:3], v61, v58, a[0:3]
	v_cndmask_b32_e64 v58, 0, 1.0, vcc
	s_nop 1
	v_mfma_f32_4x4x1_16b_f32 a[0:3], v68, v58, a[0:3]
	global_load_dwordx4 v[58:61], v[66:67], off offset:2048
	global_load_dwordx4 v[62:65], v[66:67], off offset:2064
	v_and_b32_e32 v66, -4, v92
	v_subrev_u32_e32 v67, s3, v66
	v_add_u32_e32 v68, 1, v67
	v_mfma_f32_4x4x1_16b_f32 a[0:3], v69, v89, a[0:3]
	v_cvt_f32_i32_e32 v68, v68
	v_add_u32_e32 v69, 2, v67
	v_cvt_f32_i32_e32 v69, v69
	v_cmp_gt_i32_e32 vcc, s3, v66
	v_accvgpr_read_b32 v70, a0
	v_fma_f32 v68, v88, v68, v70
	v_accvgpr_read_b32 v70, a1
	v_fma_f32 v69, v88, v69, v70
	v_add_u32_e32 v70, 3, v67
	v_cvt_f32_i32_e32 v70, v70
	v_add_u32_e32 v67, 4, v67
	v_max_f32_e32 v72, 0xff7fffff, v68
	v_cvt_f32_i32_e32 v67, v67
	v_cndmask_b32_e32 v72, v73, v72, vcc
	v_or_b32_e32 v73, 1, v66
	v_accvgpr_read_b32 v71, a2
	v_max_f32_e32 v74, v72, v69
	v_cmp_gt_i32_e64 s[0:1], s3, v73
	v_fma_f32 v70, v88, v70, v71
	v_or_b32_e32 v66, 2, v66
	v_cndmask_b32_e64 v72, v72, v74, s[0:1]
	v_accvgpr_read_b32 v71, a3
	v_max_f32_e32 v73, v72, v70
	v_cmp_gt_i32_e64 s[4:5], s3, v66
	v_fmac_f32_e32 v71, v88, v67
	v_lshlrev_b32_e32 v67, 2, v0
	v_cndmask_b32_e64 v66, v72, v73, s[4:5]
	v_or_b32_e32 v72, 3, v92
	v_max_f32_e32 v73, v66, v71
	v_cmp_gt_i32_e64 s[8:9], s3, v72
	v_and_or_b32 v67, v67, 48, v91
	s_nop 0
	v_cndmask_b32_e64 v66, v66, v73, s[8:9]
	;;#ASMSTART
	v_nop
 v_nop
 v_max_f32_dpp v66, v66, v66 row_ror:4
	;;#ASMEND
	v_lshlrev_b32_e32 v73, 2, v67
	;;#ASMSTART
	v_nop
 v_nop
 v_max_f32_dpp v66, v66, v66 row_ror:8
	;;#ASMEND
	ds_bpermute_b32 v66, v73, v66
	s_waitcnt lgkmcnt(0)
	;;#ASMSTART
	v_nop
 v_nop
 v_max_f32_dpp v66, v66, v66 row_ror:4
	;;#ASMEND
	s_nop 0
	;;#ASMSTART
	v_nop
 v_nop
 v_max_f32_dpp v72, v66, v66 row_ror:8
	;;#ASMEND
	s_nop 0
	v_sub_f32_e32 v66, v68, v72
	v_mul_f32_e32 v66, 0x3fb8aa3b, v66
	v_sub_f32_e32 v67, v69, v72
	v_exp_f32_e32 v66, v66
	v_mul_f32_e32 v67, 0x3fb8aa3b, v67
	v_sub_f32_e32 v69, v70, v72
	v_exp_f32_e32 v67, v67
	;; [unrolled: 3-line block ×3, first 2 shown]
	v_mul_f32_e32 v70, 0x3fb8aa3b, v70
	v_exp_f32_e32 v70, v70
	v_cndmask_b32_e32 v66, 0, v66, vcc
	v_add_f32_e32 v68, 0, v66
	v_cndmask_b32_e64 v67, 0, v67, s[0:1]
	v_add_f32_e32 v71, v68, v67
	v_cndmask_b32_e64 v68, 0, v69, s[4:5]
	;; [unrolled: 2-line block ×3, first 2 shown]
	v_add_f32_e32 v70, v71, v69
	;;#ASMSTART
	v_nop
 v_nop
 v_add_f32_dpp v70, v70, v70 row_ror:4
	;;#ASMEND
	v_cmp_gt_u32_e32 vcc, 4, v1
	;;#ASMSTART
	v_nop
 v_nop
 v_add_f32_dpp v70, v70, v70 row_ror:8
	;;#ASMEND
	ds_bpermute_b32 v70, v73, v70
	s_waitcnt lgkmcnt(0)
	;;#ASMSTART
	v_nop
 v_nop
 v_add_f32_dpp v70, v70, v70 row_ror:4
	;;#ASMEND
	s_nop 0
	;;#ASMSTART
	v_nop
 v_nop
 v_add_f32_dpp v70, v70, v70 row_ror:8
	;;#ASMEND
	s_and_saveexec_b64 s[0:1], vcc
	s_cbranch_execz .LBB578_18
; %bb.17:
	v_mul_u32_u24_e32 v71, 20, v90
	v_lshl_add_u32 v71, v91, 2, v71
	v_add_u32_e32 v71, 0x1400, v71
	ds_write2_b32 v71, v72, v70 offset1:20
.LBB578_18:
	s_or_b64 exec, exec, s[0:1]
.LBB578_19:
	s_or_b64 exec, exec, s[22:23]
	s_waitcnt lgkmcnt(0)
	s_barrier
	s_load_dword s0, s[20:21], 0x8
	v_lshlrev_b32_e32 v70, 2, v91
	v_add_u32_e32 v73, 0x1400, v70
	ds_read2_b32 v[70:71], v73 offset1:5
	ds_read2_b32 v[76:77], v73 offset0:10 offset1:15
	s_mul_i32 s1, s2, s34
	s_waitcnt lgkmcnt(0)
	s_mul_i32 s0, s1, s0
	s_mov_b32 s1, 0xff7fffff
	v_max3_f32 v74, v70, s1, v71
	v_max3_f32 v74, v74, v76, v77
	v_sub_f32_e32 v70, v70, v74
	v_mul_f32_e32 v70, 0x3fb8aa3b, v70
	v_exp_f32_e32 v75, v70
	v_sub_f32_e32 v70, v71, v74
	ds_read2_b32 v[78:79], v73 offset0:20 offset1:25
	v_mul_f32_e32 v70, 0x3fb8aa3b, v70
	v_exp_f32_e32 v80, v70
	ds_read2_b32 v[70:71], v73 offset0:30 offset1:35
	v_sub_f32_e32 v73, v76, v74
	v_mul_f32_e32 v73, 0x3fb8aa3b, v73
	v_sub_f32_e32 v76, v77, v74
	v_exp_f32_e32 v73, v73
	v_mul_f32_e32 v76, 0x3fb8aa3b, v76
	v_exp_f32_e32 v76, v76
	s_waitcnt lgkmcnt(1)
	v_fma_f32 v75, v75, v78, 0
	v_fmac_f32_e32 v75, v80, v79
	s_waitcnt lgkmcnt(0)
	v_fmac_f32_e32 v75, v73, v70
	s_mul_i32 s0, s0, 3
	v_fmac_f32_e32 v75, v76, v71
	v_cmp_ne_u32_e32 vcc, 3, v91
	s_and_saveexec_b64 s[2:3], vcc
	s_cbranch_execz .LBB578_21
; %bb.20:
	s_mov_b32 s1, 0
	s_lshl_b64 s[4:5], s[0:1], 2
	s_add_u32 s10, s12, s4
	s_mov_b32 s17, s1
	s_addc_u32 s11, s13, s5
	s_lshl_b64 s[8:9], s[16:17], 2
	s_add_u32 s10, s10, s8
	s_addc_u32 s11, s11, s9
	s_add_u32 s1, s14, s4
	s_addc_u32 s5, s15, s5
	v_add_u32_e32 v70, s33, v91
	s_add_u32 s4, s1, s8
	v_mul_lo_u32 v70, s34, v70
	v_mov_b32_e32 v71, 0
	s_addc_u32 s5, s5, s9
	v_lshlrev_b64 v[70:71], 2, v[70:71]
	v_lshl_add_u64 v[76:77], s[10:11], 0, v[70:71]
	v_lshl_add_u64 v[70:71], s[4:5], 0, v[70:71]
	global_store_dword v[70:71], v74, off
	global_store_dword v[76:77], v75, off
.LBB578_21:
	s_or_b64 exec, exec, s[2:3]
	v_lshlrev_b32_e32 v73, 3, v90
                                        ; implicit-def: $sgpr1
	s_and_saveexec_b64 s[2:3], s[6:7]
	s_xor_b64 s[2:3], exec, s[2:3]
	s_cbranch_execz .LBB578_23
; %bb.22:
	s_waitcnt vmcnt(15)
	v_mov_b32_e32 v2, 0
	v_mad_u32_u24 v4, v1, 40, v73
	s_mov_b32 s1, 0
	v_mov_b32_e32 v3, v2
	ds_write_b64 v4, v[2:3]
                                        ; implicit-def: $vgpr69
                                        ; implicit-def: $vgpr67
                                        ; implicit-def: $vgpr3
                                        ; implicit-def: $vgpr7
                                        ; implicit-def: $vgpr23
                                        ; implicit-def: $vgpr31
                                        ; implicit-def: $vgpr47
                                        ; implicit-def: $vgpr35
                                        ; implicit-def: $vgpr51
                                        ; implicit-def: $vgpr55
                                        ; implicit-def: $vgpr15
                                        ; implicit-def: $vgpr11
                                        ; implicit-def: $vgpr19
                                        ; implicit-def: $vgpr27
                                        ; implicit-def: $vgpr39
                                        ; implicit-def: $vgpr43
                                        ; implicit-def: $vgpr59
                                        ; implicit-def: $vgpr63
                                        ; implicit-def: $vgpr72
                                        ; implicit-def: $vgpr74
                                        ; implicit-def: $vgpr75
.LBB578_23:
	s_or_saveexec_b64 s[2:3], s[2:3]
	v_mov_b32_e32 v70, s1
	v_mov_b32_e32 v71, s1
	s_xor_b64 exec, exec, s[2:3]
	s_cbranch_execz .LBB578_25
; %bb.24:
	v_add_f32_e32 v70, 0x358637bd, v75
	v_div_scale_f32 v71, s[4:5], v70, v70, 1.0
	v_rcp_f32_e32 v75, v71
	v_sub_f32_e32 v72, v72, v74
	v_mul_f32_e32 v72, 0x3fb8aa3b, v72
	v_exp_f32_e32 v72, v72
	v_fma_f32 v74, -v71, v75, 1.0
	v_fmac_f32_e32 v75, v74, v75
	v_div_scale_f32 v74, vcc, 1.0, v70, 1.0
	v_mul_f32_e32 v76, v74, v75
	v_fma_f32 v77, -v71, v76, v74
	v_fmac_f32_e32 v76, v77, v75
	v_fma_f32 v71, -v71, v76, v74
	v_div_fmas_f32 v71, v71, v75, v76
	v_div_fixup_f32 v70, v71, v70, 1.0
	v_mul_f32_e32 v70, v72, v70
	v_pk_mul_f32 v[66:67], v[66:67], v[70:71] op_sel_hi:[1,0]
	v_pk_mul_f32 v[68:69], v[68:69], v[70:71] op_sel_hi:[1,0]
	v_bfe_u32 v70, v67, 16, 1
	v_bfe_u32 v71, v66, 16, 1
	s_movk_i32 s1, 0x7fff
	v_add3_u32 v66, v66, v71, s1
	v_add3_u32 v67, v67, v70, s1
	s_mov_b32 s4, 0x7060302
	v_perm_b32 v66, v67, v66, s4
	v_bfe_u32 v67, v69, 16, 1
	v_bfe_u32 v70, v68, 16, 1
	v_add3_u32 v68, v68, v70, s1
	v_add3_u32 v67, v69, v67, s1
	v_perm_b32 v67, v67, v68, s4
	s_waitcnt vmcnt(15)
	s_nop 0
	v_mfma_f32_4x4x4_16b_bf16 a[0:3], v[66:67], v[2:3], 0 cbsz:4
	s_nop 1
	v_mfma_f32_4x4x4_16b_bf16 a[0:3], v[66:67], v[4:5], a[0:3] cbsz:4 abid:1
	s_waitcnt vmcnt(13)
	v_mfma_f32_4x4x4_16b_bf16 a[4:7], v[66:67], v[14:15], 0 cbsz:4
	v_mfma_f32_4x4x4_16b_bf16 a[0:3], v[66:67], v[6:7], a[0:3] cbsz:4 abid:2
	s_nop 0
	v_mfma_f32_4x4x4_16b_bf16 a[4:7], v[66:67], v[16:17], a[4:7] cbsz:4 abid:1
	v_mfma_f32_4x4x4_16b_bf16 a[0:3], v[66:67], v[8:9], a[0:3] cbsz:4 abid:3
	s_waitcnt vmcnt(12)
	v_mfma_f32_4x4x4_16b_bf16 a[4:7], v[66:67], v[10:11], a[4:7] cbsz:4 abid:2
	s_waitcnt vmcnt(11)
	v_mfma_f32_4x4x4_16b_bf16 a[0:3], v[66:67], v[22:23], a[0:3] cbsz:4 abid:4
	s_nop 1
	v_mfma_f32_4x4x4_16b_bf16 a[0:3], v[66:67], v[24:25], a[0:3] cbsz:4 abid:5
	s_waitcnt vmcnt(10)
	s_nop 0
	v_mfma_f32_4x4x4_16b_bf16 a[0:3], v[66:67], v[30:31], a[0:3] cbsz:4 abid:6
	s_nop 1
	v_mfma_f32_4x4x4_16b_bf16 a[0:3], v[66:67], v[32:33], a[0:3] cbsz:4 abid:7
	s_waitcnt vmcnt(7)
	s_nop 0
	;; [unrolled: 5-line block ×5, first 2 shown]
	v_mfma_f32_4x4x4_16b_bf16 a[0:3], v[66:67], v[54:55], a[0:3] cbsz:4 abid:14
	s_nop 1
	v_mfma_f32_4x4x4_16b_bf16 a[0:3], v[66:67], v[56:57], a[0:3] cbsz:4 abid:15
	s_nop 4
	v_accvgpr_read_b32 v3, a2
	v_accvgpr_read_b32 v4, a3
	;; [unrolled: 1-line block ×4, first 2 shown]
	v_mfma_f32_4x4x4_16b_bf16 a[0:3], v[66:67], v[12:13], a[4:7] cbsz:4 abid:3
	v_bfe_u32 v6, v5, 16, 1
	v_bfe_u32 v7, v2, 16, 1
	v_mfma_f32_4x4x4_16b_bf16 a[0:3], v[66:67], v[18:19], a[0:3] cbsz:4 abid:4
	v_add3_u32 v2, v2, v7, s1
	v_add3_u32 v5, v5, v6, s1
	v_mfma_f32_4x4x4_16b_bf16 a[0:3], v[66:67], v[20:21], a[0:3] cbsz:4 abid:5
	v_perm_b32 v2, v5, v2, s4
	v_bfe_u32 v5, v4, 16, 1
	v_mfma_f32_4x4x4_16b_bf16 a[0:3], v[66:67], v[26:27], a[0:3] cbsz:4 abid:6
	v_bfe_u32 v6, v3, 16, 1
	v_add3_u32 v3, v3, v6, s1
	v_mfma_f32_4x4x4_16b_bf16 a[0:3], v[66:67], v[28:29], a[0:3] cbsz:4 abid:7
	v_add3_u32 v4, v4, v5, s1
	v_perm_b32 v3, v4, v3, s4
	v_mfma_f32_4x4x4_16b_bf16 a[0:3], v[66:67], v[38:39], a[0:3] cbsz:4 abid:8
	v_mad_u32_u24 v4, v1, 40, v73
	ds_write_b64 v4, v[2:3]
	v_mfma_f32_4x4x4_16b_bf16 a[0:3], v[66:67], v[40:41], a[0:3] cbsz:4 abid:9
	s_nop 1
	v_mfma_f32_4x4x4_16b_bf16 a[0:3], v[66:67], v[42:43], a[0:3] cbsz:4 abid:10
	s_nop 1
	v_mfma_f32_4x4x4_16b_bf16 a[0:3], v[66:67], v[44:45], a[0:3] cbsz:4 abid:11
	s_waitcnt vmcnt(1)
	s_nop 0
	v_mfma_f32_4x4x4_16b_bf16 a[0:3], v[66:67], v[58:59], a[0:3] cbsz:4 abid:12
	s_nop 1
	v_mfma_f32_4x4x4_16b_bf16 a[0:3], v[66:67], v[60:61], a[0:3] cbsz:4 abid:13
	s_waitcnt vmcnt(0)
	s_nop 0
	v_mfma_f32_4x4x4_16b_bf16 a[0:3], v[66:67], v[62:63], a[0:3] cbsz:4 abid:14
	s_nop 1
	v_mfma_f32_4x4x4_16b_bf16 a[0:3], v[66:67], v[64:65], a[0:3] cbsz:4 abid:15
	s_nop 4
	v_accvgpr_read_b32 v4, a0
	v_accvgpr_read_b32 v5, a1
	;; [unrolled: 1-line block ×4, first 2 shown]
	v_bfe_u32 v6, v5, 16, 1
	v_bfe_u32 v7, v4, 16, 1
	v_add3_u32 v4, v4, v7, s1
	v_add3_u32 v5, v5, v6, s1
	v_bfe_u32 v6, v3, 16, 1
	v_bfe_u32 v7, v2, 16, 1
	v_add3_u32 v2, v2, v7, s1
	v_add3_u32 v3, v3, v6, s1
	v_perm_b32 v71, v3, v2, s4
	v_perm_b32 v70, v5, v4, s4
.LBB578_25:
	s_or_b64 exec, exec, s[2:3]
	s_waitcnt vmcnt(15)
	v_mad_u32_u24 v2, v1, 40, v73
	v_cmp_gt_u32_e32 vcc, 64, v0
	ds_write_b64 v2, v[70:71] offset:2560
	s_waitcnt lgkmcnt(0)
	s_barrier
	s_and_saveexec_b64 s[2:3], vcc
	s_cbranch_execz .LBB578_27
; %bb.26:
	s_waitcnt vmcnt(14)
	v_mul_u32_u24_e32 v6, 40, v1
	ds_read2_b64 v[2:5], v6 offset1:1
	ds_read2_b64 v[6:9], v6 offset0:2 offset1:3
	s_mov_b32 s1, 0
	s_lshl_b32 s0, s0, 7
	s_lshl_b64 s[2:3], s[0:1], 1
	s_waitcnt vmcnt(12) lgkmcnt(1)
	v_and_b32_e32 v10, 0xffff0000, v2
	v_lshlrev_b32_e32 v3, 16, v3
	v_add_f32_e32 v10, 0, v10
	v_add_f32_e32 v3, 0, v3
	v_and_b32_e32 v10, 0xffff0000, v10
	v_and_b32_e32 v11, 0xffff0000, v4
	;; [unrolled: 1-line block ×3, first 2 shown]
	v_add_f32_e32 v10, v10, v11
	v_lshlrev_b32_e32 v5, 16, v5
	v_and_b32_e32 v10, 0xffff0000, v10
	v_add_f32_e32 v3, v3, v5
	s_waitcnt lgkmcnt(0)
	v_and_b32_e32 v5, 0xffff0000, v6
	v_and_b32_e32 v3, 0xffff0000, v3
	v_add_f32_e32 v5, v10, v5
	v_lshlrev_b32_e32 v7, 16, v7
	v_and_b32_e32 v5, 0xffff0000, v5
	v_add_f32_e32 v3, v3, v7
	v_and_b32_e32 v7, 0xffff0000, v8
	s_waitcnt vmcnt(9)
	v_add_f32_e32 v18, v5, v7
	v_mov_b32_e32 v7, 0xa00
	v_mad_u32_u24 v7, v1, 40, v7
	ds_read2_b64 v[10:13], v7 offset1:1
	v_and_b32_e32 v3, 0xffff0000, v3
	v_lshlrev_b32_e32 v5, 16, v9
	v_add_f32_e32 v9, v3, v5
	v_mov_b32_e32 v3, 0xa10
	v_mad_u32_u24 v1, v1, 40, v3
	ds_read2_b64 v[14:17], v1 offset1:1
	s_waitcnt lgkmcnt(1)
	v_lshlrev_b32_e32 v1, 16, v10
	v_add_f32_e32 v1, 0, v1
	v_and_b32_e32 v3, 0xffff0000, v10
	v_and_b32_e32 v1, 0xffff0000, v1
	v_add_f32_e32 v3, 0, v3
	v_lshlrev_b32_e32 v5, 16, v11
	v_lshlrev_b32_e32 v7, 16, v12
	v_and_b32_e32 v3, 0xffff0000, v3
	v_add_f32_e32 v5, 0, v5
	v_add_f32_e32 v1, v1, v7
	v_and_b32_e32 v7, 0xffff0000, v12
	v_and_b32_e32 v5, 0xffff0000, v5
	v_add_f32_e32 v3, v3, v7
	v_lshlrev_b32_e32 v7, 16, v13
	v_and_b32_e32 v1, 0xffff0000, v1
	v_add_f32_e32 v5, v5, v7
	s_waitcnt lgkmcnt(0)
	v_lshlrev_b32_e32 v7, 16, v14
	v_and_b32_e32 v3, 0xffff0000, v3
	v_add_f32_e32 v1, v1, v7
	v_and_b32_e32 v7, 0xffff0000, v14
	v_and_b32_e32 v5, 0xffff0000, v5
	v_add_f32_e32 v3, v3, v7
	v_lshlrev_b32_e32 v7, 16, v15
	v_and_b32_e32 v1, 0xffff0000, v1
	v_add_f32_e32 v5, v5, v7
	v_lshlrev_b32_e32 v7, 16, v16
	v_and_b32_e32 v3, 0xffff0000, v3
	v_add_f32_e32 v10, v1, v7
	v_and_b32_e32 v1, 0xffff0000, v16
	v_and_b32_e32 v5, 0xffff0000, v5
	v_add_f32_e32 v11, v3, v1
	v_lshlrev_b32_e32 v1, 16, v17
	v_add_f32_e32 v12, v5, v1
	v_lshlrev_b32_e32 v1, 16, v2
	s_add_u32 s2, s18, s2
	v_add_f32_e32 v1, 0, v1
	s_addc_u32 s3, s19, s3
	s_lshl_b32 s0, s16, 7
	v_and_b32_e32 v1, 0xffff0000, v1
	v_lshlrev_b32_e32 v2, 16, v4
	s_lshl_b64 s[0:1], s[0:1], 1
	v_add_f32_e32 v1, v1, v2
	s_add_u32 s0, s2, s0
	v_and_b32_e32 v1, 0xffff0000, v1
	v_lshlrev_b32_e32 v2, 16, v6
	s_addc_u32 s1, s3, s1
	s_lshl_b32 s2, s34, 7
	v_add_f32_e32 v1, v1, v2
	v_and_b32_e32 v1, 0xffff0000, v1
	v_lshlrev_b32_e32 v2, 16, v8
	s_mul_i32 s3, s2, s33
	v_add_f32_e32 v1, v1, v2
	v_or_b32_e32 v2, s3, v0
	v_mov_b32_e32 v3, 0
	s_add_i32 s3, s3, s2
	v_lshl_add_u64 v[4:5], v[2:3], 1, s[0:1]
	v_or_b32_e32 v2, s3, v0
	s_add_i32 s3, s3, s2
	v_lshl_add_u64 v[6:7], v[2:3], 1, s[0:1]
	v_or_b32_e32 v2, s3, v0
	global_store_short_d16_hi v[4:5], v1, off
	v_lshl_add_u64 v[0:1], v[2:3], 1, s[0:1]
	global_store_short_d16_hi v[6:7], v18, off
	global_store_short_d16_hi v[0:1], v9, off
	global_store_short_d16_hi v[4:5], v10, off offset:128
	global_store_short_d16_hi v[6:7], v11, off offset:128
	;; [unrolled: 1-line block ×3, first 2 shown]
.LBB578_27:
	s_endpgm
	.section	.rodata,"a",@progbits
	.p2align	6, 0x0
	.amdhsa_kernel _Z38paged_attention_ll4mi_QKV_mfma4_kernelI14__hip_bfloat16S0_LN4vllm18Fp8KVCacheDataTypeE0EhLi16ELi128ELi256ELb1ELi3EEvPKT_PKT0_S8_ifPKiSA_SA_iPKfiiiPfSD_PS3_PT2_iSC_SC_
		.amdhsa_group_segment_fixed_size 5280
		.amdhsa_private_segment_fixed_size 0
		.amdhsa_kernarg_size 400
		.amdhsa_user_sgpr_count 2
		.amdhsa_user_sgpr_dispatch_ptr 0
		.amdhsa_user_sgpr_queue_ptr 0
		.amdhsa_user_sgpr_kernarg_segment_ptr 1
		.amdhsa_user_sgpr_dispatch_id 0
		.amdhsa_user_sgpr_kernarg_preload_length 0
		.amdhsa_user_sgpr_kernarg_preload_offset 0
		.amdhsa_user_sgpr_private_segment_size 0
		.amdhsa_uses_dynamic_stack 0
		.amdhsa_enable_private_segment 0
		.amdhsa_system_sgpr_workgroup_id_x 1
		.amdhsa_system_sgpr_workgroup_id_y 1
		.amdhsa_system_sgpr_workgroup_id_z 1
		.amdhsa_system_sgpr_workgroup_info 0
		.amdhsa_system_vgpr_workitem_id 0
		.amdhsa_next_free_vgpr 104
		.amdhsa_next_free_sgpr 40
		.amdhsa_accum_offset 96
		.amdhsa_reserve_vcc 1
		.amdhsa_float_round_mode_32 0
		.amdhsa_float_round_mode_16_64 0
		.amdhsa_float_denorm_mode_32 3
		.amdhsa_float_denorm_mode_16_64 3
		.amdhsa_dx10_clamp 1
		.amdhsa_ieee_mode 1
		.amdhsa_fp16_overflow 0
		.amdhsa_tg_split 0
		.amdhsa_exception_fp_ieee_invalid_op 0
		.amdhsa_exception_fp_denorm_src 0
		.amdhsa_exception_fp_ieee_div_zero 0
		.amdhsa_exception_fp_ieee_overflow 0
		.amdhsa_exception_fp_ieee_underflow 0
		.amdhsa_exception_fp_ieee_inexact 0
		.amdhsa_exception_int_div_zero 0
	.end_amdhsa_kernel
	.section	.text._Z38paged_attention_ll4mi_QKV_mfma4_kernelI14__hip_bfloat16S0_LN4vllm18Fp8KVCacheDataTypeE0EhLi16ELi128ELi256ELb1ELi3EEvPKT_PKT0_S8_ifPKiSA_SA_iPKfiiiPfSD_PS3_PT2_iSC_SC_,"axG",@progbits,_Z38paged_attention_ll4mi_QKV_mfma4_kernelI14__hip_bfloat16S0_LN4vllm18Fp8KVCacheDataTypeE0EhLi16ELi128ELi256ELb1ELi3EEvPKT_PKT0_S8_ifPKiSA_SA_iPKfiiiPfSD_PS3_PT2_iSC_SC_,comdat
.Lfunc_end578:
	.size	_Z38paged_attention_ll4mi_QKV_mfma4_kernelI14__hip_bfloat16S0_LN4vllm18Fp8KVCacheDataTypeE0EhLi16ELi128ELi256ELb1ELi3EEvPKT_PKT0_S8_ifPKiSA_SA_iPKfiiiPfSD_PS3_PT2_iSC_SC_, .Lfunc_end578-_Z38paged_attention_ll4mi_QKV_mfma4_kernelI14__hip_bfloat16S0_LN4vllm18Fp8KVCacheDataTypeE0EhLi16ELi128ELi256ELb1ELi3EEvPKT_PKT0_S8_ifPKiSA_SA_iPKfiiiPfSD_PS3_PT2_iSC_SC_
                                        ; -- End function
	.section	.AMDGPU.csdata,"",@progbits
; Kernel info:
; codeLenInByte = 4404
; NumSgprs: 46
; NumVgprs: 96
; NumAgprs: 8
; TotalNumVgprs: 104
; ScratchSize: 0
; MemoryBound: 0
; FloatMode: 240
; IeeeMode: 1
; LDSByteSize: 5280 bytes/workgroup (compile time only)
; SGPRBlocks: 5
; VGPRBlocks: 12
; NumSGPRsForWavesPerEU: 46
; NumVGPRsForWavesPerEU: 104
; AccumOffset: 96
; Occupancy: 4
; WaveLimiterHint : 1
; COMPUTE_PGM_RSRC2:SCRATCH_EN: 0
; COMPUTE_PGM_RSRC2:USER_SGPR: 2
; COMPUTE_PGM_RSRC2:TRAP_HANDLER: 0
; COMPUTE_PGM_RSRC2:TGID_X_EN: 1
; COMPUTE_PGM_RSRC2:TGID_Y_EN: 1
; COMPUTE_PGM_RSRC2:TGID_Z_EN: 1
; COMPUTE_PGM_RSRC2:TIDIG_COMP_CNT: 0
; COMPUTE_PGM_RSRC3_GFX90A:ACCUM_OFFSET: 23
; COMPUTE_PGM_RSRC3_GFX90A:TG_SPLIT: 0
	.section	.text._Z38paged_attention_ll4mi_QKV_mfma4_kernelI14__hip_bfloat16S0_LN4vllm18Fp8KVCacheDataTypeE0EhLi16ELi128ELi256ELb1ELi4EEvPKT_PKT0_S8_ifPKiSA_SA_iPKfiiiPfSD_PS3_PT2_iSC_SC_,"axG",@progbits,_Z38paged_attention_ll4mi_QKV_mfma4_kernelI14__hip_bfloat16S0_LN4vllm18Fp8KVCacheDataTypeE0EhLi16ELi128ELi256ELb1ELi4EEvPKT_PKT0_S8_ifPKiSA_SA_iPKfiiiPfSD_PS3_PT2_iSC_SC_,comdat
	.protected	_Z38paged_attention_ll4mi_QKV_mfma4_kernelI14__hip_bfloat16S0_LN4vllm18Fp8KVCacheDataTypeE0EhLi16ELi128ELi256ELb1ELi4EEvPKT_PKT0_S8_ifPKiSA_SA_iPKfiiiPfSD_PS3_PT2_iSC_SC_ ; -- Begin function _Z38paged_attention_ll4mi_QKV_mfma4_kernelI14__hip_bfloat16S0_LN4vllm18Fp8KVCacheDataTypeE0EhLi16ELi128ELi256ELb1ELi4EEvPKT_PKT0_S8_ifPKiSA_SA_iPKfiiiPfSD_PS3_PT2_iSC_SC_
	.globl	_Z38paged_attention_ll4mi_QKV_mfma4_kernelI14__hip_bfloat16S0_LN4vllm18Fp8KVCacheDataTypeE0EhLi16ELi128ELi256ELb1ELi4EEvPKT_PKT0_S8_ifPKiSA_SA_iPKfiiiPfSD_PS3_PT2_iSC_SC_
	.p2align	8
	.type	_Z38paged_attention_ll4mi_QKV_mfma4_kernelI14__hip_bfloat16S0_LN4vllm18Fp8KVCacheDataTypeE0EhLi16ELi128ELi256ELb1ELi4EEvPKT_PKT0_S8_ifPKiSA_SA_iPKfiiiPfSD_PS3_PT2_iSC_SC_,@function
_Z38paged_attention_ll4mi_QKV_mfma4_kernelI14__hip_bfloat16S0_LN4vllm18Fp8KVCacheDataTypeE0EhLi16ELi128ELi256ELb1ELi4EEvPKT_PKT0_S8_ifPKiSA_SA_iPKfiiiPfSD_PS3_PT2_iSC_SC_: ; @_Z38paged_attention_ll4mi_QKV_mfma4_kernelI14__hip_bfloat16S0_LN4vllm18Fp8KVCacheDataTypeE0EhLi16ELi128ELi256ELb1ELi4EEvPKT_PKT0_S8_ifPKiSA_SA_iPKfiiiPfSD_PS3_PT2_iSC_SC_
; %bb.0:
	s_load_dwordx2 s[8:9], s[0:1], 0x30
	s_mov_b32 s20, s3
	s_mov_b64 s[6:7], 0
	s_waitcnt lgkmcnt(0)
	s_cmp_lg_u64 s[8:9], 0
	s_cselect_b64 s[10:11], -1, 0
	s_and_b64 vcc, exec, s[10:11]
	s_cbranch_vccz .LBB579_20
; %bb.1:
	s_add_i32 s12, s2, 1
	s_mov_b32 s13, 0
	s_lshl_b64 s[14:15], s[12:13], 2
	s_add_u32 s14, s8, s14
	s_mov_b32 s3, s13
	s_addc_u32 s15, s9, s15
	s_lshl_b64 s[12:13], s[2:3], 2
	s_add_u32 s12, s8, s12
	s_addc_u32 s13, s9, s13
	s_load_dword s5, s[14:15], 0x0
	s_load_dword s16, s[12:13], 0x0
	s_mov_b64 s[34:35], s[2:3]
	s_waitcnt lgkmcnt(0)
	s_sub_i32 s5, s5, s16
	s_cmp_eq_u32 s5, 1
	s_cselect_b64 s[12:13], -1, 0
	s_andn2_b64 vcc, exec, s[6:7]
	s_cbranch_vccnz .LBB579_3
.LBB579_2:
	s_mov_b32 s3, 0
	s_mov_b64 s[12:13], -1
	s_mov_b64 s[34:35], s[2:3]
.LBB579_3:
	s_andn2_b64 vcc, exec, s[12:13]
	s_cbranch_vccnz .LBB579_19
; %bb.4:
	s_load_dword s3, s[0:1], 0x9c
	s_load_dwordx2 s[6:7], s[0:1], 0x28
	s_add_u32 s24, s0, 0x90
	s_addc_u32 s25, s1, 0
	s_lshl_b64 s[36:37], s[34:35], 2
	s_waitcnt lgkmcnt(0)
	s_and_b32 s5, s3, 0xffff
	s_add_u32 s6, s6, s36
	s_addc_u32 s7, s7, s37
	s_load_dword s3, s[6:7], 0x0
	s_mul_i32 s5, s20, s5
	s_waitcnt lgkmcnt(0)
	s_cmp_ge_i32 s5, s3
	s_cbranch_scc1 .LBB579_19
; %bb.5:
	v_and_b32_e32 v1, 0xc0, v0
	v_and_b32_e32 v73, 3, v0
	s_lshl_b32 s33, s4, 2
	v_add_u32_e32 v2, s5, v1
	v_lshrrev_b32_e32 v72, 6, v0
	v_cmp_le_i32_e64 s[6:7], s3, v2
	v_or_b32_e32 v66, s33, v73
                                        ; implicit-def: $sgpr17
                                        ; implicit-def: $sgpr16
	s_and_saveexec_b64 s[12:13], s[6:7]
	s_xor_b64 s[12:13], exec, s[12:13]
	s_cbranch_execz .LBB579_7
; %bb.6:
	v_mul_u32_u24_e32 v1, 20, v72
	v_or_b32_e32 v1, 0x1400, v1
	v_mov_b32_e32 v2, 0x1450
	v_mov_b32_e32 v3, 0xff7fffff
	v_mad_u32_u24 v2, v72, 20, v2
	ds_write2_b32 v1, v3, v3 offset1:1
	v_mov_b32_e32 v1, 0
	ds_write2_b32 v2, v1, v1 offset1:1
	v_mov_b32_e32 v2, 0x1408
	s_mov_b32 s16, 0xff7fffff
	s_mov_b32 s17, 0
	v_mad_u32_u24 v2, v72, 20, v2
	v_mov_b32_e32 v4, 0x1458
	v_or_b32_e32 v66, s33, v73
	v_mad_u32_u24 v4, v72, 20, v4
	ds_write2_b32 v2, v3, v3 offset1:1
	ds_write2_b32 v4, v1, v1 offset1:1
                                        ; implicit-def: $vgpr2
.LBB579_7:
	s_or_saveexec_b64 s[26:27], s[12:13]
	s_load_dwordx2 s[22:23], s[0:1], 0x68
	s_load_dwordx4 s[12:15], s[0:1], 0x58
	s_load_dword s40, s[24:25], 0x4
	v_and_b32_e32 v1, 63, v0
	v_mov_b32_e32 v71, s17
	v_mov_b32_e32 v74, s16
	;; [unrolled: 1-line block ×5, first 2 shown]
                                        ; implicit-def: $vgpr51
                                        ; implicit-def: $vgpr55
                                        ; implicit-def: $vgpr11
                                        ; implicit-def: $vgpr23
                                        ; implicit-def: $vgpr39
                                        ; implicit-def: $vgpr3
                                        ; implicit-def: $vgpr19
                                        ; implicit-def: $vgpr27
                                        ; implicit-def: $vgpr63
                                        ; implicit-def: $vgpr59
                                        ; implicit-def: $vgpr7
                                        ; implicit-def: $vgpr15
                                        ; implicit-def: $vgpr31
                                        ; implicit-def: $vgpr35
                                        ; implicit-def: $vgpr43
                                        ; implicit-def: $vgpr47
	s_xor_b64 exec, exec, s[26:27]
	s_cbranch_execz .LBB579_13
; %bb.8:
	s_add_i32 s19, s3, 15
	s_load_dwordx2 s[16:17], s[0:1], 0x20
	s_load_dword s18, s[0:1], 0x38
	s_ashr_i32 s21, s19, 31
	s_lshr_b32 s21, s21, 28
	v_add_u32_e32 v68, s5, v0
	s_add_i32 s19, s19, s21
	v_ashrrev_i32_e32 v3, 31, v68
	s_ashr_i32 s19, s19, 4
	v_lshrrev_b32_e32 v3, 28, v3
	s_add_i32 s21, s19, -1
	v_add_u32_e32 v3, v68, v3
	s_waitcnt lgkmcnt(0)
	s_mul_i32 s38, s2, s18
	s_mov_b32 s39, 0
	v_ashrrev_i32_e32 v3, 4, v3
	v_mov_b32_e32 v4, s21
	v_cmp_gt_i32_e32 vcc, s3, v68
	s_lshl_b64 s[18:19], s[38:39], 2
	s_add_u32 s16, s16, s18
	v_cndmask_b32_e32 v4, v4, v3, vcc
	v_ashrrev_i32_e32 v3, 31, v2
	v_lshrrev_b32_e32 v3, 28, v3
	s_addc_u32 s17, s17, s19
	v_ashrrev_i32_e32 v5, 31, v4
	v_add_u32_e32 v2, v2, v3
	v_lshl_add_u64 v[8:9], v[4:5], 2, s[16:17]
	v_ashrrev_i32_e32 v4, 4, v2
	v_min_i32_e32 v2, s21, v4
	v_ashrrev_i32_e32 v3, 31, v2
	v_lshl_add_u64 v[10:11], v[2:3], 2, s[16:17]
	v_add_u32_e32 v2, 1, v4
	v_min_i32_e32 v2, s21, v2
	v_ashrrev_i32_e32 v3, 31, v2
	v_lshl_add_u64 v[12:13], v[2:3], 2, s[16:17]
	v_add_u32_e32 v2, 2, v4
	;; [unrolled: 4-line block ×3, first 2 shown]
	v_min_i32_e32 v2, s21, v2
	v_ashrrev_i32_e32 v3, 31, v2
	v_lshl_add_u64 v[16:17], v[2:3], 2, s[16:17]
	global_load_dword v2, v[8:9], off
	global_load_dword v4, v[10:11], off
	;; [unrolled: 1-line block ×5, first 2 shown]
	s_load_dwordx2 s[30:31], s[0:1], 0x40
	s_load_dwordx4 s[16:19], s[0:1], 0x0
	s_load_dwordx2 s[28:29], s[0:1], 0x10
	s_andn2_b64 vcc, exec, s[10:11]
	s_cbranch_vccnz .LBB579_10
; %bb.9:
	s_add_u32 s8, s8, s36
	s_addc_u32 s9, s9, s37
	s_load_dword s38, s[8:9], 0x0
	s_waitcnt lgkmcnt(0)
	s_mov_b64 s[34:35], s[38:39]
.LBB579_10:
	s_load_dwordx4 s[8:11], s[0:1], 0x48
	v_lshlrev_b32_e32 v3, 2, v1
	v_and_b32_e32 v3, 0xf0, v3
	v_lshl_or_b32 v3, v73, 8, v3
	v_and_b32_e32 v8, 15, v0
	s_waitcnt lgkmcnt(0)
	s_ashr_i32 s5, s8, 31
	s_mul_hi_u32 s11, s34, s8
	s_mul_i32 s5, s34, s5
	s_mul_i32 s21, s35, s8
	s_add_i32 s5, s11, s5
	s_mul_i32 s36, s34, s8
	s_add_i32 s37, s5, s21
	s_lshl_b64 s[34:35], s[36:37], 1
	s_add_u32 s5, s16, s34
	s_addc_u32 s8, s17, s35
	s_lshl_b32 s38, s4, 9
	s_lshl_b64 s[16:17], s[38:39], 1
	s_add_u32 s16, s5, s16
	s_addc_u32 s17, s8, s17
	global_load_dwordx4 v[74:77], v3, s[16:17]
	s_mul_i32 s38, s4, s10
	s_lshl_b64 s[4:5], s[38:39], 1
	s_add_u32 s10, s4, s18
	s_waitcnt vmcnt(5)
	v_mad_i64_i32 v[2:3], s[16:17], v2, s9, 0
	s_addc_u32 s11, s5, s19
	v_lshl_add_u64 v[2:3], v[2:3], 1, s[10:11]
	v_lshlrev_b32_e32 v50, 4, v8
	v_mov_b32_e32 v51, 0
	v_lshl_add_u64 v[2:3], v[2:3], 0, v[50:51]
	global_load_dwordx4 v[8:11], v[2:3], off
	global_load_dwordx4 v[12:15], v[2:3], off offset:256
	global_load_dwordx4 v[16:19], v[2:3], off offset:512
	;; [unrolled: 1-line block ×13, first 2 shown]
	v_mov_b32_e32 v67, v51
	v_lshl_add_u64 v[86:87], v[66:67], 2, s[30:31]
	global_load_dword v99, v[86:87], off
	global_load_dwordx4 v[82:85], v[2:3], off offset:3584
	v_and_b32_e32 v93, -4, v68
	global_load_dwordx4 v[86:89], v[2:3], off offset:3840
	v_subrev_u32_e32 v50, s3, v93
	v_lshlrev_b32_e32 v48, 2, v0
	v_add_u32_e32 v67, 1, v50
	v_add_u32_e32 v96, 2, v50
	;; [unrolled: 1-line block ×4, first 2 shown]
	s_waitcnt vmcnt(20)
	v_mul_hi_i32 v50, v7, s9
	s_waitcnt vmcnt(19)
	v_mul_hi_i32 v64, v6, s9
	;; [unrolled: 2-line block ×3, first 2 shown]
	v_and_or_b32 v95, v48, 48, v73
	v_mul_hi_i32 v48, v4, s9
	v_ashrrev_i32_e32 v2, 31, v50
	v_ashrrev_i32_e32 v3, 31, v64
	;; [unrolled: 1-line block ×3, first 2 shown]
	v_mov_b32_e32 v49, v51
	v_mov_b32_e32 v65, v51
	;; [unrolled: 1-line block ×3, first 2 shown]
	v_ashrrev_i32_e32 v100, 31, v48
	v_lshrrev_b32_e32 v48, 29, v2
	v_lshrrev_b32_e32 v64, 29, v3
	v_lshrrev_b32_e32 v70, 29, v50
	v_mad_i64_i32 v[2:3], s[10:11], v7, s9, v[48:49]
	v_mad_i64_i32 v[6:7], s[10:11], v6, s9, v[64:65]
	v_lshrrev_b32_e32 v50, 29, v100
	v_lshlrev_b64 v[2:3], 1, v[2:3]
	v_lshlrev_b64 v[6:7], 1, v[6:7]
	s_add_u32 s4, s28, s4
	v_and_b32_e32 v2, -16, v2
	v_and_b32_e32 v6, -16, v6
	s_addc_u32 s5, s29, s5
	v_lshl_add_u64 v[2:3], s[4:5], 0, v[2:3]
	v_lshl_add_u64 v[6:7], s[4:5], 0, v[6:7]
	s_load_dword s0, s[0:1], 0x1c
	v_cmp_eq_u32_e32 vcc, 0, v73
	v_cvt_f32_i32_e32 v67, v67
	v_mov_b32_e32 v94, 0xff7fffff
	v_cndmask_b32_e64 v69, 0, 1.0, vcc
	v_cmp_eq_u32_e32 vcc, 1, v73
	v_or_b32_e32 v68, 3, v68
	s_waitcnt vmcnt(16)
	v_mfma_f32_4x4x4_16b_bf16 a[0:3], v[74:75], v[8:9], 0 cbsz:4
	v_mad_i64_i32 v[8:9], s[10:11], v5, s9, v[70:71]
	s_nop 0
	v_mfma_f32_4x4x4_16b_bf16 a[0:3], v[76:77], v[10:11], a[0:3] cbsz:4
	v_lshlrev_b64 v[8:9], 1, v[8:9]
	v_mad_i64_i32 v[4:5], s[8:9], v4, s9, v[50:51]
	s_waitcnt vmcnt(15)
	v_mfma_f32_4x4x4_16b_bf16 a[0:3], v[74:75], v[12:13], a[0:3] cbsz:4 abid:1
	v_and_b32_e32 v8, -16, v8
	v_lshlrev_b64 v[64:65], 1, v[4:5]
	v_mfma_f32_4x4x4_16b_bf16 a[0:3], v[76:77], v[14:15], a[0:3] cbsz:4 abid:1
	v_lshlrev_b32_e32 v50, 5, v1
	v_lshl_add_u64 v[8:9], s[4:5], 0, v[8:9]
	s_waitcnt vmcnt(14)
	v_mfma_f32_4x4x4_16b_bf16 a[0:3], v[74:75], v[16:17], a[0:3] cbsz:4 abid:2
	v_and_b32_e32 v64, -16, v64
	v_lshl_add_u64 v[2:3], v[2:3], 0, v[50:51]
	v_mfma_f32_4x4x4_16b_bf16 a[0:3], v[76:77], v[18:19], a[0:3] cbsz:4 abid:2
	v_lshl_add_u64 v[18:19], v[6:7], 0, v[50:51]
	v_lshl_add_u64 v[70:71], v[8:9], 0, v[50:51]
	s_waitcnt vmcnt(13)
	v_mfma_f32_4x4x4_16b_bf16 a[0:3], v[74:75], v[20:21], a[0:3] cbsz:4 abid:3
	v_cndmask_b32_e64 v90, 0, 1.0, vcc
	v_cmp_eq_u32_e32 vcc, 2, v73
	v_mfma_f32_4x4x4_16b_bf16 a[0:3], v[76:77], v[22:23], a[0:3] cbsz:4 abid:3
	v_cmp_gt_i32_e64 s[8:9], s3, v68
	v_cndmask_b32_e64 v91, 0, 1.0, vcc
	s_waitcnt vmcnt(12)
	v_mfma_f32_4x4x4_16b_bf16 a[0:3], v[74:75], v[24:25], a[0:3] cbsz:4 abid:4
	global_load_dwordx4 v[10:13], v[2:3], off
	global_load_dwordx4 v[22:25], v[2:3], off offset:16
	v_mfma_f32_4x4x4_16b_bf16 a[0:3], v[76:77], v[26:27], a[0:3] cbsz:4 abid:4
	global_load_dwordx4 v[6:9], v[2:3], off offset:2048
	global_load_dwordx4 v[14:17], v[2:3], off offset:2064
	s_waitcnt vmcnt(15)
	v_mfma_f32_4x4x4_16b_bf16 a[0:3], v[74:75], v[28:29], a[0:3] cbsz:4 abid:5
	v_cmp_eq_u32_e32 vcc, 3, v73
	s_nop 0
	v_mfma_f32_4x4x4_16b_bf16 a[0:3], v[76:77], v[30:31], a[0:3] cbsz:4 abid:5
	v_cndmask_b32_e64 v92, 0, 1.0, vcc
	v_cmp_gt_i32_e32 vcc, s3, v93
	s_waitcnt vmcnt(14)
	v_mfma_f32_4x4x4_16b_bf16 a[0:3], v[74:75], v[32:33], a[0:3] cbsz:4 abid:6
	s_nop 1
	v_mfma_f32_4x4x4_16b_bf16 a[0:3], v[76:77], v[34:35], a[0:3] cbsz:4 abid:6
	s_waitcnt vmcnt(13)
	s_nop 0
	v_mfma_f32_4x4x4_16b_bf16 a[0:3], v[74:75], v[36:37], a[0:3] cbsz:4 abid:7
	s_nop 1
	v_mfma_f32_4x4x4_16b_bf16 a[0:3], v[76:77], v[38:39], a[0:3] cbsz:4 abid:7
	s_waitcnt vmcnt(12)
	s_nop 0
	v_mfma_f32_4x4x4_16b_bf16 a[0:3], v[74:75], v[40:41], a[0:3] cbsz:4 abid:8
	global_load_dwordx4 v[38:41], v[18:19], off
	global_load_dwordx4 v[2:5], v[18:19], off offset:16
	v_mfma_f32_4x4x4_16b_bf16 a[0:3], v[76:77], v[42:43], a[0:3] cbsz:4 abid:8
	global_load_dwordx4 v[30:33], v[18:19], off offset:2048
	global_load_dwordx4 v[34:37], v[18:19], off offset:2064
	s_waitcnt vmcnt(15)
	v_mfma_f32_4x4x4_16b_bf16 a[0:3], v[74:75], v[44:45], a[0:3] cbsz:4 abid:9
	global_load_dwordx4 v[18:21], v[70:71], off
	global_load_dwordx4 v[26:29], v[70:71], off offset:16
	v_mfma_f32_4x4x4_16b_bf16 a[0:3], v[76:77], v[46:47], a[0:3] cbsz:4 abid:9
	global_load_dwordx4 v[42:45], v[70:71], off offset:2048
	global_load_dwordx4 v[46:49], v[70:71], off offset:2064
	s_waitcnt vmcnt(18)
	v_mfma_f32_4x4x4_16b_bf16 a[0:3], v[74:75], v[52:53], a[0:3] cbsz:4 abid:10
	v_lshl_add_u64 v[52:53], s[4:5], 0, v[64:65]
	v_lshl_add_u64 v[70:71], v[52:53], 0, v[50:51]
	v_mfma_f32_4x4x4_16b_bf16 a[0:3], v[76:77], v[54:55], a[0:3] cbsz:4 abid:10
	s_waitcnt vmcnt(17)
	s_nop 0
	v_mfma_f32_4x4x4_16b_bf16 a[0:3], v[74:75], v[56:57], a[0:3] cbsz:4 abid:11
	global_load_dwordx4 v[50:53], v[70:71], off
	global_load_dwordx4 v[54:57], v[70:71], off offset:16
	v_mfma_f32_4x4x4_16b_bf16 a[0:3], v[76:77], v[58:59], a[0:3] cbsz:4 abid:11
	s_waitcnt vmcnt(18)
	s_nop 0
	v_mfma_f32_4x4x4_16b_bf16 a[0:3], v[74:75], v[60:61], a[0:3] cbsz:4 abid:12
	s_nop 1
	v_mfma_f32_4x4x4_16b_bf16 a[0:3], v[76:77], v[62:63], a[0:3] cbsz:4 abid:12
	global_load_dwordx4 v[62:65], v[70:71], off offset:2048
	global_load_dwordx4 v[58:61], v[70:71], off offset:2064
	s_waitcnt vmcnt(19)
	v_mfma_f32_4x4x4_16b_bf16 a[0:3], v[74:75], v[78:79], a[0:3] cbsz:4 abid:13
	s_nop 1
	v_mfma_f32_4x4x4_16b_bf16 a[0:3], v[76:77], v[80:81], a[0:3] cbsz:4 abid:13
	s_waitcnt vmcnt(17)
	s_nop 0
	v_mfma_f32_4x4x4_16b_bf16 a[0:3], v[74:75], v[82:83], a[0:3] cbsz:4 abid:14
	s_nop 1
	v_mfma_f32_4x4x4_16b_bf16 a[0:3], v[76:77], v[84:85], a[0:3] cbsz:4 abid:14
	s_waitcnt vmcnt(16)
	s_nop 0
	v_mfma_f32_4x4x4_16b_bf16 a[0:3], v[74:75], v[86:87], a[0:3] cbsz:4 abid:15
	s_nop 1
	v_mfma_f32_4x4x4_16b_bf16 a[0:3], v[76:77], v[88:89], a[0:3] cbsz:4 abid:15
	s_nop 4
	v_accvgpr_read_b32 v71, a1
	v_accvgpr_read_b32 v70, a0
	s_waitcnt lgkmcnt(0)
	v_pk_mul_f32 v[70:71], s[0:1], v[70:71] op_sel_hi:[0,1]
	v_accvgpr_read_b32 v75, a3
	v_accvgpr_read_b32 v74, a2
	v_pk_mul_f32 v[74:75], s[0:1], v[74:75] op_sel_hi:[0,1]
	v_mfma_f32_4x4x1_16b_f32 a[0:3], v70, v69, 0
	v_cvt_f32_i32_e32 v69, v96
	s_nop 0
	v_mfma_f32_4x4x1_16b_f32 a[0:3], v71, v90, a[0:3]
	v_cvt_f32_i32_e32 v71, v98
	v_cvt_f32_i32_e32 v70, v97
	v_mfma_f32_4x4x1_16b_f32 a[0:3], v74, v91, a[0:3]
	s_nop 1
	v_mfma_f32_4x4x1_16b_f32 a[0:3], v75, v92, a[0:3]
	s_nop 3
	v_accvgpr_read_b32 v74, a0
	v_accvgpr_read_b32 v77, a3
	v_fma_f32 v67, v99, v67, v74
	v_accvgpr_read_b32 v75, a1
	v_fmac_f32_e32 v77, v99, v71
	v_max_f32_e32 v71, 0xff7fffff, v67
	v_fma_f32 v69, v99, v69, v75
	v_cndmask_b32_e32 v71, v94, v71, vcc
	v_or_b32_e32 v74, 1, v93
	v_accvgpr_read_b32 v76, a2
	v_max_f32_e32 v75, v71, v69
	v_cmp_gt_i32_e64 s[0:1], s3, v74
	v_fma_f32 v70, v99, v70, v76
	v_or_b32_e32 v74, 2, v93
	v_cndmask_b32_e64 v71, v71, v75, s[0:1]
	v_max_f32_e32 v75, v71, v70
	v_cmp_gt_i32_e64 s[4:5], s3, v74
	s_nop 1
	v_cndmask_b32_e64 v71, v71, v75, s[4:5]
	v_max_f32_e32 v74, v71, v77
	v_cndmask_b32_e64 v68, v71, v74, s[8:9]
	;;#ASMSTART
	v_nop
 v_nop
 v_max_f32_dpp v68, v68, v68 row_ror:4
	;;#ASMEND
	v_lshlrev_b32_e32 v75, 2, v95
	;;#ASMSTART
	v_nop
 v_nop
 v_max_f32_dpp v68, v68, v68 row_ror:8
	;;#ASMEND
	ds_bpermute_b32 v68, v75, v68
	s_waitcnt lgkmcnt(0)
	;;#ASMSTART
	v_nop
 v_nop
 v_max_f32_dpp v68, v68, v68 row_ror:4
	;;#ASMEND
	s_nop 0
	;;#ASMSTART
	v_nop
 v_nop
 v_max_f32_dpp v74, v68, v68 row_ror:8
	;;#ASMEND
	s_nop 0
	v_sub_f32_e32 v67, v67, v74
	v_mul_f32_e32 v67, 0x3fb8aa3b, v67
	v_sub_f32_e32 v68, v69, v74
	v_exp_f32_e32 v67, v67
	v_mul_f32_e32 v68, 0x3fb8aa3b, v68
	v_sub_f32_e32 v70, v70, v74
	v_exp_f32_e32 v69, v68
	;; [unrolled: 3-line block ×3, first 2 shown]
	v_mul_f32_e32 v71, 0x3fb8aa3b, v71
	v_exp_f32_e32 v71, v71
	v_cndmask_b32_e32 v68, 0, v67, vcc
	v_add_f32_e32 v67, 0, v68
	v_cndmask_b32_e64 v69, 0, v69, s[0:1]
	v_add_f32_e32 v67, v67, v69
	v_cndmask_b32_e64 v70, 0, v70, s[4:5]
	;; [unrolled: 2-line block ×3, first 2 shown]
	v_add_f32_e32 v67, v67, v71
	;;#ASMSTART
	v_nop
 v_nop
 v_add_f32_dpp v67, v67, v67 row_ror:4
	;;#ASMEND
	v_cmp_gt_u32_e32 vcc, 4, v1
	;;#ASMSTART
	v_nop
 v_nop
 v_add_f32_dpp v67, v67, v67 row_ror:8
	;;#ASMEND
	ds_bpermute_b32 v67, v75, v67
	s_waitcnt lgkmcnt(0)
	;;#ASMSTART
	v_nop
 v_nop
 v_add_f32_dpp v67, v67, v67 row_ror:4
	;;#ASMEND
	s_nop 0
	;;#ASMSTART
	v_nop
 v_nop
 v_add_f32_dpp v67, v67, v67 row_ror:8
	;;#ASMEND
	s_and_saveexec_b64 s[0:1], vcc
	s_cbranch_execz .LBB579_12
; %bb.11:
	v_mul_u32_u24_e32 v75, 20, v72
	v_lshl_add_u32 v75, v73, 2, v75
	v_add_u32_e32 v75, 0x1400, v75
	ds_write2_b32 v75, v74, v67 offset1:20
.LBB579_12:
	s_or_b64 exec, exec, s[0:1]
.LBB579_13:
	s_or_b64 exec, exec, s[26:27]
	v_lshlrev_b32_e32 v67, 2, v73
	v_add_u32_e32 v67, 0x1400, v67
	s_waitcnt lgkmcnt(0)
	s_barrier
	s_load_dword s0, s[24:25], 0x8
	ds_read2_b32 v[76:77], v67 offset1:5
	ds_read2_b32 v[78:79], v67 offset0:10 offset1:15
	s_mov_b32 s4, 0xff7fffff
	s_mul_i32 s1, s2, s40
	ds_read2_b32 v[80:81], v67 offset0:20 offset1:25
	s_waitcnt lgkmcnt(0)
	v_max3_f32 v73, v76, s4, v77
	s_mul_i32 s1, s1, s0
	v_max3_f32 v73, v73, v78, v79
	s_lshl_b32 s0, s1, 2
	s_mov_b32 s1, 0
	v_sub_f32_e32 v75, v76, v73
	v_sub_f32_e32 v76, v77, v73
	s_lshl_b64 s[2:3], s[0:1], 2
	v_mul_f32_e32 v75, 0x3fb8aa3b, v75
	v_mul_f32_e32 v76, 0x3fb8aa3b, v76
	s_add_u32 s8, s12, s2
	v_exp_f32_e32 v75, v75
	v_exp_f32_e32 v82, v76
	ds_read2_b32 v[76:77], v67 offset0:30 offset1:35
	v_sub_f32_e32 v67, v78, v73
	s_addc_u32 s9, s13, s3
	v_mul_f32_e32 v67, 0x3fb8aa3b, v67
	v_sub_f32_e32 v78, v79, v73
	s_mov_b32 s21, s1
	s_add_u32 s4, s14, s2
	v_exp_f32_e32 v67, v67
	v_mul_f32_e32 v78, 0x3fb8aa3b, v78
	s_addc_u32 s5, s15, s3
	s_lshl_b64 s[2:3], s[20:21], 2
	v_exp_f32_e32 v78, v78
	s_add_u32 s4, s4, s2
	v_fma_f32 v75, v75, v80, 0
	s_addc_u32 s5, s5, s3
	v_fmac_f32_e32 v75, v82, v81
	s_waitcnt lgkmcnt(0)
	v_fmac_f32_e32 v75, v67, v76
	s_add_u32 s2, s8, s2
	v_mul_lo_u32 v66, s40, v66
	v_mov_b32_e32 v67, 0
	v_fmac_f32_e32 v75, v78, v77
	s_addc_u32 s3, s9, s3
	v_lshlrev_b64 v[76:77], 2, v[66:67]
	v_lshl_add_u64 v[78:79], s[4:5], 0, v[76:77]
	v_lshl_add_u64 v[76:77], s[2:3], 0, v[76:77]
	v_lshlrev_b32_e32 v72, 3, v72
	global_store_dword v[78:79], v73, off
	global_store_dword v[76:77], v75, off
	s_and_saveexec_b64 s[2:3], s[6:7]
	s_xor_b64 s[2:3], exec, s[2:3]
	s_cbranch_execz .LBB579_15
; %bb.14:
	s_waitcnt vmcnt(12)
	v_mad_u32_u24 v2, v1, 40, v72
	v_mov_b32_e32 v66, v67
	ds_write_b64 v2, v[66:67]
                                        ; implicit-def: $vgpr71
                                        ; implicit-def: $vgpr69
                                        ; implicit-def: $vgpr51
                                        ; implicit-def: $vgpr55
                                        ; implicit-def: $vgpr11
                                        ; implicit-def: $vgpr23
                                        ; implicit-def: $vgpr39
                                        ; implicit-def: $vgpr3
                                        ; implicit-def: $vgpr19
                                        ; implicit-def: $vgpr27
                                        ; implicit-def: $vgpr63
                                        ; implicit-def: $vgpr59
                                        ; implicit-def: $vgpr7
                                        ; implicit-def: $vgpr15
                                        ; implicit-def: $vgpr31
                                        ; implicit-def: $vgpr35
                                        ; implicit-def: $vgpr43
                                        ; implicit-def: $vgpr47
                                        ; implicit-def: $vgpr74
                                        ; implicit-def: $vgpr73
                                        ; implicit-def: $vgpr75
.LBB579_15:
	s_or_saveexec_b64 s[2:3], s[2:3]
	v_mov_b32_e32 v66, s1
	v_mov_b32_e32 v67, s1
	s_xor_b64 exec, exec, s[2:3]
	s_cbranch_execz .LBB579_17
; %bb.16:
	v_add_f32_e32 v66, 0x358637bd, v75
	v_div_scale_f32 v67, s[4:5], v66, v66, 1.0
	v_rcp_f32_e32 v75, v67
	v_sub_f32_e32 v73, v74, v73
	v_mul_f32_e32 v73, 0x3fb8aa3b, v73
	v_exp_f32_e32 v73, v73
	v_fma_f32 v74, -v67, v75, 1.0
	v_fmac_f32_e32 v75, v74, v75
	v_div_scale_f32 v74, vcc, 1.0, v66, 1.0
	v_mul_f32_e32 v76, v74, v75
	v_fma_f32 v77, -v67, v76, v74
	v_fmac_f32_e32 v76, v77, v75
	v_fma_f32 v67, -v67, v76, v74
	v_div_fmas_f32 v67, v67, v75, v76
	v_div_fixup_f32 v66, v67, v66, 1.0
	v_mul_f32_e32 v66, v73, v66
	v_pk_mul_f32 v[70:71], v[70:71], v[66:67] op_sel_hi:[1,0]
	v_pk_mul_f32 v[66:67], v[68:69], v[66:67] op_sel_hi:[1,0]
	s_movk_i32 s1, 0x7fff
	v_bfe_u32 v68, v67, 16, 1
	v_bfe_u32 v69, v66, 16, 1
	v_add3_u32 v66, v66, v69, s1
	v_add3_u32 v67, v67, v68, s1
	s_mov_b32 s4, 0x7060302
	v_perm_b32 v66, v67, v66, s4
	v_bfe_u32 v67, v71, 16, 1
	v_bfe_u32 v68, v70, 16, 1
	v_add3_u32 v68, v70, v68, s1
	v_add3_u32 v67, v71, v67, s1
	v_perm_b32 v67, v67, v68, s4
	s_waitcnt vmcnt(5)
	s_nop 0
	v_mfma_f32_4x4x4_16b_bf16 a[0:3], v[66:67], v[50:51], 0 cbsz:4
	s_nop 1
	v_mfma_f32_4x4x4_16b_bf16 a[0:3], v[66:67], v[52:53], a[0:3] cbsz:4 abid:1
	s_waitcnt vmcnt(3)
	v_mfma_f32_4x4x4_16b_bf16 a[4:7], v[66:67], v[62:63], 0 cbsz:4
	v_mfma_f32_4x4x4_16b_bf16 a[0:3], v[66:67], v[54:55], a[0:3] cbsz:4 abid:2
	s_nop 0
	v_mfma_f32_4x4x4_16b_bf16 a[4:7], v[66:67], v[64:65], a[4:7] cbsz:4 abid:1
	v_mfma_f32_4x4x4_16b_bf16 a[0:3], v[66:67], v[56:57], a[0:3] cbsz:4 abid:3
	s_waitcnt vmcnt(2)
	v_mfma_f32_4x4x4_16b_bf16 a[4:7], v[66:67], v[58:59], a[4:7] cbsz:4 abid:2
	v_mfma_f32_4x4x4_16b_bf16 a[0:3], v[66:67], v[10:11], a[0:3] cbsz:4 abid:4
	s_nop 1
	v_mfma_f32_4x4x4_16b_bf16 a[0:3], v[66:67], v[12:13], a[0:3] cbsz:4 abid:5
	s_nop 1
	v_mfma_f32_4x4x4_16b_bf16 a[0:3], v[66:67], v[22:23], a[0:3] cbsz:4 abid:6
	s_nop 1
	v_mfma_f32_4x4x4_16b_bf16 a[0:3], v[66:67], v[24:25], a[0:3] cbsz:4 abid:7
	s_nop 1
	v_mfma_f32_4x4x4_16b_bf16 a[0:3], v[66:67], v[38:39], a[0:3] cbsz:4 abid:8
	s_nop 1
	v_mfma_f32_4x4x4_16b_bf16 a[0:3], v[66:67], v[40:41], a[0:3] cbsz:4 abid:9
	s_nop 1
	v_mfma_f32_4x4x4_16b_bf16 a[0:3], v[66:67], v[2:3], a[0:3] cbsz:4 abid:10
	s_nop 1
	v_mfma_f32_4x4x4_16b_bf16 a[0:3], v[66:67], v[4:5], a[0:3] cbsz:4 abid:11
	s_nop 1
	v_mfma_f32_4x4x4_16b_bf16 a[0:3], v[66:67], v[18:19], a[0:3] cbsz:4 abid:12
	s_nop 1
	v_mfma_f32_4x4x4_16b_bf16 a[0:3], v[66:67], v[20:21], a[0:3] cbsz:4 abid:13
	s_nop 1
	v_mfma_f32_4x4x4_16b_bf16 a[0:3], v[66:67], v[26:27], a[0:3] cbsz:4 abid:14
	s_nop 1
	v_mfma_f32_4x4x4_16b_bf16 a[0:3], v[66:67], v[28:29], a[0:3] cbsz:4 abid:15
	s_nop 4
	v_accvgpr_read_b32 v3, a2
	v_accvgpr_read_b32 v4, a3
	;; [unrolled: 1-line block ×4, first 2 shown]
	v_mfma_f32_4x4x4_16b_bf16 a[0:3], v[66:67], v[60:61], a[4:7] cbsz:4 abid:3
	v_bfe_u32 v10, v5, 16, 1
	v_add3_u32 v5, v5, v10, s1
	v_mfma_f32_4x4x4_16b_bf16 a[0:3], v[66:67], v[6:7], a[0:3] cbsz:4 abid:4
	v_bfe_u32 v6, v2, 16, 1
	v_add3_u32 v2, v2, v6, s1
	v_mfma_f32_4x4x4_16b_bf16 a[0:3], v[66:67], v[8:9], a[0:3] cbsz:4 abid:5
	v_perm_b32 v2, v5, v2, s4
	v_bfe_u32 v5, v4, 16, 1
	v_mfma_f32_4x4x4_16b_bf16 a[0:3], v[66:67], v[14:15], a[0:3] cbsz:4 abid:6
	v_bfe_u32 v6, v3, 16, 1
	v_add3_u32 v3, v3, v6, s1
	v_mfma_f32_4x4x4_16b_bf16 a[0:3], v[66:67], v[16:17], a[0:3] cbsz:4 abid:7
	v_add3_u32 v4, v4, v5, s1
	v_perm_b32 v3, v4, v3, s4
	v_mfma_f32_4x4x4_16b_bf16 a[0:3], v[66:67], v[30:31], a[0:3] cbsz:4 abid:8
	v_mad_u32_u24 v4, v1, 40, v72
	ds_write_b64 v4, v[2:3]
	v_mfma_f32_4x4x4_16b_bf16 a[0:3], v[66:67], v[32:33], a[0:3] cbsz:4 abid:9
	s_nop 1
	v_mfma_f32_4x4x4_16b_bf16 a[0:3], v[66:67], v[34:35], a[0:3] cbsz:4 abid:10
	s_nop 1
	;; [unrolled: 2-line block ×7, first 2 shown]
	v_accvgpr_read_b32 v4, a0
	v_accvgpr_read_b32 v5, a1
	;; [unrolled: 1-line block ×4, first 2 shown]
	v_bfe_u32 v6, v5, 16, 1
	v_bfe_u32 v7, v4, 16, 1
	v_add3_u32 v4, v4, v7, s1
	v_add3_u32 v5, v5, v6, s1
	v_bfe_u32 v6, v3, 16, 1
	v_bfe_u32 v7, v2, 16, 1
	v_add3_u32 v2, v2, v7, s1
	v_add3_u32 v3, v3, v6, s1
	v_perm_b32 v67, v3, v2, s4
	v_perm_b32 v66, v5, v4, s4
.LBB579_17:
	s_or_b64 exec, exec, s[2:3]
	s_waitcnt vmcnt(12)
	v_mad_u32_u24 v2, v1, 40, v72
	v_cmp_gt_u32_e32 vcc, 64, v0
	ds_write_b64 v2, v[66:67] offset:2560
	s_waitcnt lgkmcnt(0)
	s_barrier
	s_and_saveexec_b64 s[2:3], vcc
	s_cbranch_execz .LBB579_19
; %bb.18:
	v_mul_u32_u24_e32 v6, 40, v1
	ds_read2_b64 v[2:5], v6 offset1:1
	ds_read2_b64 v[6:9], v6 offset0:2 offset1:3
	s_mov_b32 s1, 0
	s_lshl_b32 s0, s0, 7
	s_lshl_b64 s[2:3], s[0:1], 1
	s_waitcnt lgkmcnt(1)
	v_lshlrev_b32_e32 v10, 16, v2
	v_and_b32_e32 v2, 0xffff0000, v2
	v_add_f32_e32 v2, 0, v2
	v_lshlrev_b32_e32 v11, 16, v3
	v_and_b32_e32 v3, 0xffff0000, v3
	v_and_b32_e32 v2, 0xffff0000, v2
	v_add_f32_e32 v11, 0, v11
	v_add_f32_e32 v3, 0, v3
	v_lshlrev_b32_e32 v12, 16, v4
	v_and_b32_e32 v4, 0xffff0000, v4
	v_add_f32_e32 v10, 0, v10
	v_and_b32_e32 v11, 0xffff0000, v11
	v_and_b32_e32 v3, 0xffff0000, v3
	v_add_f32_e32 v2, v2, v4
	v_lshlrev_b32_e32 v4, 16, v5
	v_and_b32_e32 v5, 0xffff0000, v5
	v_and_b32_e32 v10, 0xffff0000, v10
	;; [unrolled: 1-line block ×3, first 2 shown]
	v_add_f32_e32 v4, v11, v4
	v_add_f32_e32 v3, v3, v5
	s_waitcnt lgkmcnt(0)
	v_lshlrev_b32_e32 v5, 16, v6
	v_and_b32_e32 v6, 0xffff0000, v6
	v_add_f32_e32 v10, v10, v12
	v_and_b32_e32 v4, 0xffff0000, v4
	v_add_f32_e32 v2, v2, v6
	v_lshlrev_b32_e32 v6, 16, v7
	v_and_b32_e32 v10, 0xffff0000, v10
	v_and_b32_e32 v3, 0xffff0000, v3
	v_add_f32_e32 v4, v4, v6
	v_and_b32_e32 v6, 0xffff0000, v7
	v_add_f32_e32 v5, v10, v5
	v_add_f32_e32 v3, v3, v6
	v_and_b32_e32 v5, 0xffff0000, v5
	v_and_b32_e32 v6, 0xffff0000, v3
	v_lshlrev_b32_e32 v3, 16, v8
	v_and_b32_e32 v2, 0xffff0000, v2
	v_add_f32_e32 v10, v5, v3
	v_and_b32_e32 v3, 0xffff0000, v8
	v_and_b32_e32 v4, 0xffff0000, v4
	v_add_f32_e32 v11, v2, v3
	v_lshlrev_b32_e32 v2, 16, v9
	v_add_f32_e32 v12, v4, v2
	v_mov_b32_e32 v2, 0xa00
	v_mad_u32_u24 v2, v1, 40, v2
	ds_read2_b64 v[2:5], v2 offset1:1
	v_and_b32_e32 v7, 0xffff0000, v9
	v_add_f32_e32 v13, v6, v7
	v_mov_b32_e32 v6, 0xa10
	v_mad_u32_u24 v1, v1, 40, v6
	ds_read2_b64 v[6:9], v1 offset1:1
	s_waitcnt lgkmcnt(1)
	v_lshlrev_b32_e32 v1, 16, v2
	v_and_b32_e32 v2, 0xffff0000, v2
	v_add_f32_e32 v1, 0, v1
	v_add_f32_e32 v2, 0, v2
	v_lshlrev_b32_e32 v14, 16, v3
	v_and_b32_e32 v3, 0xffff0000, v3
	v_and_b32_e32 v1, 0xffff0000, v1
	;; [unrolled: 1-line block ×3, first 2 shown]
	v_add_f32_e32 v3, 0, v3
	v_lshlrev_b32_e32 v15, 16, v4
	v_and_b32_e32 v4, 0xffff0000, v4
	v_add_f32_e32 v14, 0, v14
	v_and_b32_e32 v3, 0xffff0000, v3
	v_add_f32_e32 v1, v1, v15
	v_add_f32_e32 v2, v2, v4
	v_lshlrev_b32_e32 v4, 16, v5
	v_and_b32_e32 v5, 0xffff0000, v5
	v_and_b32_e32 v14, 0xffff0000, v14
	;; [unrolled: 1-line block ×3, first 2 shown]
	v_add_f32_e32 v3, v3, v5
	s_waitcnt lgkmcnt(0)
	v_lshlrev_b32_e32 v5, 16, v6
	v_and_b32_e32 v2, 0xffff0000, v2
	v_add_f32_e32 v4, v14, v4
	v_add_f32_e32 v1, v1, v5
	v_and_b32_e32 v5, 0xffff0000, v6
	v_and_b32_e32 v4, 0xffff0000, v4
	v_add_f32_e32 v2, v2, v5
	v_lshlrev_b32_e32 v5, 16, v7
	s_add_u32 s2, s22, s2
	v_and_b32_e32 v3, 0xffff0000, v3
	v_add_f32_e32 v4, v4, v5
	v_and_b32_e32 v5, 0xffff0000, v7
	s_addc_u32 s3, s23, s3
	s_lshl_b32 s0, s20, 7
	v_and_b32_e32 v1, 0xffff0000, v1
	v_add_f32_e32 v3, v3, v5
	v_lshlrev_b32_e32 v5, 16, v8
	s_lshl_b64 s[0:1], s[0:1], 1
	v_and_b32_e32 v2, 0xffff0000, v2
	v_add_f32_e32 v14, v1, v5
	v_and_b32_e32 v1, 0xffff0000, v8
	s_add_u32 s0, s2, s0
	v_and_b32_e32 v4, 0xffff0000, v4
	v_add_f32_e32 v15, v2, v1
	v_lshlrev_b32_e32 v1, 16, v9
	s_addc_u32 s1, s3, s1
	s_lshl_b32 s2, s40, 7
	v_and_b32_e32 v3, 0xffff0000, v3
	v_add_f32_e32 v16, v4, v1
	v_and_b32_e32 v1, 0xffff0000, v9
	s_mul_i32 s3, s2, s33
	v_add_f32_e32 v17, v3, v1
	v_or_b32_e32 v2, s3, v0
	v_mov_b32_e32 v3, 0
	s_add_i32 s3, s3, s2
	v_lshl_add_u64 v[4:5], v[2:3], 1, s[0:1]
	v_or_b32_e32 v2, s3, v0
	s_add_i32 s3, s3, s2
	v_lshl_add_u64 v[6:7], v[2:3], 1, s[0:1]
	v_or_b32_e32 v2, s3, v0
	;; [unrolled: 3-line block ×3, first 2 shown]
	v_lshl_add_u64 v[0:1], v[2:3], 1, s[0:1]
	global_store_short_d16_hi v[4:5], v10, off
	global_store_short_d16_hi v[6:7], v11, off
	;; [unrolled: 1-line block ×4, first 2 shown]
	global_store_short_d16_hi v[4:5], v14, off offset:128
	global_store_short_d16_hi v[6:7], v15, off offset:128
	;; [unrolled: 1-line block ×4, first 2 shown]
.LBB579_19:
	s_endpgm
.LBB579_20:
	s_mov_b64 s[12:13], 0
                                        ; implicit-def: $sgpr34_sgpr35
	s_branch .LBB579_2
	.section	.rodata,"a",@progbits
	.p2align	6, 0x0
	.amdhsa_kernel _Z38paged_attention_ll4mi_QKV_mfma4_kernelI14__hip_bfloat16S0_LN4vllm18Fp8KVCacheDataTypeE0EhLi16ELi128ELi256ELb1ELi4EEvPKT_PKT0_S8_ifPKiSA_SA_iPKfiiiPfSD_PS3_PT2_iSC_SC_
		.amdhsa_group_segment_fixed_size 5280
		.amdhsa_private_segment_fixed_size 0
		.amdhsa_kernarg_size 400
		.amdhsa_user_sgpr_count 2
		.amdhsa_user_sgpr_dispatch_ptr 0
		.amdhsa_user_sgpr_queue_ptr 0
		.amdhsa_user_sgpr_kernarg_segment_ptr 1
		.amdhsa_user_sgpr_dispatch_id 0
		.amdhsa_user_sgpr_kernarg_preload_length 0
		.amdhsa_user_sgpr_kernarg_preload_offset 0
		.amdhsa_user_sgpr_private_segment_size 0
		.amdhsa_uses_dynamic_stack 0
		.amdhsa_enable_private_segment 0
		.amdhsa_system_sgpr_workgroup_id_x 1
		.amdhsa_system_sgpr_workgroup_id_y 1
		.amdhsa_system_sgpr_workgroup_id_z 1
		.amdhsa_system_sgpr_workgroup_info 0
		.amdhsa_system_vgpr_workitem_id 0
		.amdhsa_next_free_vgpr 112
		.amdhsa_next_free_sgpr 41
		.amdhsa_accum_offset 104
		.amdhsa_reserve_vcc 1
		.amdhsa_float_round_mode_32 0
		.amdhsa_float_round_mode_16_64 0
		.amdhsa_float_denorm_mode_32 3
		.amdhsa_float_denorm_mode_16_64 3
		.amdhsa_dx10_clamp 1
		.amdhsa_ieee_mode 1
		.amdhsa_fp16_overflow 0
		.amdhsa_tg_split 0
		.amdhsa_exception_fp_ieee_invalid_op 0
		.amdhsa_exception_fp_denorm_src 0
		.amdhsa_exception_fp_ieee_div_zero 0
		.amdhsa_exception_fp_ieee_overflow 0
		.amdhsa_exception_fp_ieee_underflow 0
		.amdhsa_exception_fp_ieee_inexact 0
		.amdhsa_exception_int_div_zero 0
	.end_amdhsa_kernel
	.section	.text._Z38paged_attention_ll4mi_QKV_mfma4_kernelI14__hip_bfloat16S0_LN4vllm18Fp8KVCacheDataTypeE0EhLi16ELi128ELi256ELb1ELi4EEvPKT_PKT0_S8_ifPKiSA_SA_iPKfiiiPfSD_PS3_PT2_iSC_SC_,"axG",@progbits,_Z38paged_attention_ll4mi_QKV_mfma4_kernelI14__hip_bfloat16S0_LN4vllm18Fp8KVCacheDataTypeE0EhLi16ELi128ELi256ELb1ELi4EEvPKT_PKT0_S8_ifPKiSA_SA_iPKfiiiPfSD_PS3_PT2_iSC_SC_,comdat
.Lfunc_end579:
	.size	_Z38paged_attention_ll4mi_QKV_mfma4_kernelI14__hip_bfloat16S0_LN4vllm18Fp8KVCacheDataTypeE0EhLi16ELi128ELi256ELb1ELi4EEvPKT_PKT0_S8_ifPKiSA_SA_iPKfiiiPfSD_PS3_PT2_iSC_SC_, .Lfunc_end579-_Z38paged_attention_ll4mi_QKV_mfma4_kernelI14__hip_bfloat16S0_LN4vllm18Fp8KVCacheDataTypeE0EhLi16ELi128ELi256ELb1ELi4EEvPKT_PKT0_S8_ifPKiSA_SA_iPKfiiiPfSD_PS3_PT2_iSC_SC_
                                        ; -- End function
	.section	.AMDGPU.csdata,"",@progbits
; Kernel info:
; codeLenInByte = 4516
; NumSgprs: 47
; NumVgprs: 101
; NumAgprs: 8
; TotalNumVgprs: 112
; ScratchSize: 0
; MemoryBound: 0
; FloatMode: 240
; IeeeMode: 1
; LDSByteSize: 5280 bytes/workgroup (compile time only)
; SGPRBlocks: 5
; VGPRBlocks: 13
; NumSGPRsForWavesPerEU: 47
; NumVGPRsForWavesPerEU: 112
; AccumOffset: 104
; Occupancy: 4
; WaveLimiterHint : 1
; COMPUTE_PGM_RSRC2:SCRATCH_EN: 0
; COMPUTE_PGM_RSRC2:USER_SGPR: 2
; COMPUTE_PGM_RSRC2:TRAP_HANDLER: 0
; COMPUTE_PGM_RSRC2:TGID_X_EN: 1
; COMPUTE_PGM_RSRC2:TGID_Y_EN: 1
; COMPUTE_PGM_RSRC2:TGID_Z_EN: 1
; COMPUTE_PGM_RSRC2:TIDIG_COMP_CNT: 0
; COMPUTE_PGM_RSRC3_GFX90A:ACCUM_OFFSET: 25
; COMPUTE_PGM_RSRC3_GFX90A:TG_SPLIT: 0
	.section	.text._Z39paged_attention_ll4mi_QKV_mfma16_kernelI14__hip_bfloat16S0_LN4vllm18Fp8KVCacheDataTypeE0EhLi16ELi128ELi256ELb1ELi5EEvPKT_PKT0_S8_ifPKiSA_SA_iPKfiiiPfSD_PS3_PT2_iSC_SC_,"axG",@progbits,_Z39paged_attention_ll4mi_QKV_mfma16_kernelI14__hip_bfloat16S0_LN4vllm18Fp8KVCacheDataTypeE0EhLi16ELi128ELi256ELb1ELi5EEvPKT_PKT0_S8_ifPKiSA_SA_iPKfiiiPfSD_PS3_PT2_iSC_SC_,comdat
	.protected	_Z39paged_attention_ll4mi_QKV_mfma16_kernelI14__hip_bfloat16S0_LN4vllm18Fp8KVCacheDataTypeE0EhLi16ELi128ELi256ELb1ELi5EEvPKT_PKT0_S8_ifPKiSA_SA_iPKfiiiPfSD_PS3_PT2_iSC_SC_ ; -- Begin function _Z39paged_attention_ll4mi_QKV_mfma16_kernelI14__hip_bfloat16S0_LN4vllm18Fp8KVCacheDataTypeE0EhLi16ELi128ELi256ELb1ELi5EEvPKT_PKT0_S8_ifPKiSA_SA_iPKfiiiPfSD_PS3_PT2_iSC_SC_
	.globl	_Z39paged_attention_ll4mi_QKV_mfma16_kernelI14__hip_bfloat16S0_LN4vllm18Fp8KVCacheDataTypeE0EhLi16ELi128ELi256ELb1ELi5EEvPKT_PKT0_S8_ifPKiSA_SA_iPKfiiiPfSD_PS3_PT2_iSC_SC_
	.p2align	8
	.type	_Z39paged_attention_ll4mi_QKV_mfma16_kernelI14__hip_bfloat16S0_LN4vllm18Fp8KVCacheDataTypeE0EhLi16ELi128ELi256ELb1ELi5EEvPKT_PKT0_S8_ifPKiSA_SA_iPKfiiiPfSD_PS3_PT2_iSC_SC_,@function
_Z39paged_attention_ll4mi_QKV_mfma16_kernelI14__hip_bfloat16S0_LN4vllm18Fp8KVCacheDataTypeE0EhLi16ELi128ELi256ELb1ELi5EEvPKT_PKT0_S8_ifPKiSA_SA_iPKfiiiPfSD_PS3_PT2_iSC_SC_: ; @_Z39paged_attention_ll4mi_QKV_mfma16_kernelI14__hip_bfloat16S0_LN4vllm18Fp8KVCacheDataTypeE0EhLi16ELi128ELi256ELb1ELi5EEvPKT_PKT0_S8_ifPKiSA_SA_iPKfiiiPfSD_PS3_PT2_iSC_SC_
; %bb.0:
	s_load_dwordx2 s[8:9], s[0:1], 0x30
	s_mov_b32 s26, s3
	s_mov_b64 s[6:7], 0
	s_waitcnt lgkmcnt(0)
	s_cmp_lg_u64 s[8:9], 0
	s_cselect_b64 s[10:11], -1, 0
	s_and_b64 vcc, exec, s[10:11]
	s_cbranch_vccz .LBB580_7
; %bb.1:
	s_add_i32 s12, s2, 1
	s_mov_b32 s13, 0
	s_lshl_b64 s[14:15], s[12:13], 2
	s_add_u32 s14, s8, s14
	s_mov_b32 s3, s13
	s_addc_u32 s15, s9, s15
	s_lshl_b64 s[12:13], s[2:3], 2
	s_add_u32 s12, s8, s12
	s_addc_u32 s13, s9, s13
	s_load_dword s5, s[14:15], 0x0
	s_load_dword s16, s[12:13], 0x0
	s_waitcnt lgkmcnt(0)
	s_sub_i32 s5, s5, s16
	s_cmp_eq_u32 s5, 1
	s_cselect_b64 s[12:13], -1, 0
	s_andn2_b64 vcc, exec, s[6:7]
	s_cbranch_vccnz .LBB580_3
.LBB580_2:
	s_mov_b32 s3, 0
	s_mov_b64 s[12:13], -1
.LBB580_3:
	s_andn2_b64 vcc, exec, s[12:13]
	s_cbranch_vccnz .LBB580_20
; %bb.4:
	s_load_dwordx2 s[6:7], s[0:1], 0x28
	s_lshl_b64 s[12:13], s[2:3], 2
	s_waitcnt lgkmcnt(0)
	s_add_u32 s6, s6, s12
	s_addc_u32 s7, s7, s13
	s_load_dword s27, s[6:7], 0x0
	s_lshl_b32 s18, s26, 8
	s_waitcnt lgkmcnt(0)
	s_cmp_ge_i32 s18, s27
	s_cbranch_scc1 .LBB580_20
; %bb.5:
	s_load_dwordx2 s[6:7], s[0:1], 0x20
	s_load_dword s5, s[0:1], 0x38
	s_add_i32 s14, s27, 15
	s_ashr_i32 s15, s14, 31
	v_and_b32_e32 v1, 0xcf, v0
	s_lshr_b32 s15, s15, 28
	v_add_u32_e32 v1, s18, v1
	s_add_i32 s14, s14, s15
	v_ashrrev_i32_e32 v2, 31, v1
	s_ashr_i32 s19, s14, 4
	v_lshrrev_b32_e32 v4, 28, v2
	s_add_i32 s19, s19, -1
	s_waitcnt lgkmcnt(0)
	s_mul_i32 s14, s2, s5
	s_mov_b32 s15, 0
	v_add_u32_e32 v2, v1, v4
	s_lshl_b64 s[14:15], s[14:15], 2
	v_ashrrev_i32_e32 v2, 4, v2
	v_mov_b32_e32 v5, s19
	v_cmp_gt_i32_e32 vcc, s27, v1
	s_add_u32 s6, s6, s14
	s_addc_u32 s7, s7, s15
	v_cndmask_b32_e32 v2, v5, v2, vcc
	v_ashrrev_i32_e32 v3, 31, v2
	v_lshl_add_u64 v[6:7], v[2:3], 2, s[6:7]
	v_or_b32_e32 v2, 16, v1
	v_add_u32_e32 v3, v2, v4
	v_ashrrev_i32_e32 v3, 4, v3
	v_cmp_gt_i32_e32 vcc, s27, v2
	s_load_dwordx2 s[14:15], s[0:1], 0x8
	s_nop 0
	v_cndmask_b32_e32 v2, v5, v3, vcc
	v_ashrrev_i32_e32 v3, 31, v2
	v_lshl_add_u64 v[8:9], v[2:3], 2, s[6:7]
	v_or_b32_e32 v2, 32, v1
	v_add_u32_e32 v3, v2, v4
	v_ashrrev_i32_e32 v3, 4, v3
	v_cmp_gt_i32_e32 vcc, s27, v2
	v_or_b32_e32 v1, 48, v1
	s_nop 0
	v_cndmask_b32_e32 v2, v5, v3, vcc
	v_ashrrev_i32_e32 v3, 31, v2
	v_lshl_add_u64 v[10:11], v[2:3], 2, s[6:7]
	v_add_u32_e32 v2, v1, v4
	v_ashrrev_i32_e32 v2, 4, v2
	v_cmp_gt_i32_e32 vcc, s27, v1
	s_nop 1
	v_cndmask_b32_e32 v2, v5, v2, vcc
	v_ashrrev_i32_e32 v3, 31, v2
	v_lshl_add_u64 v[12:13], v[2:3], 2, s[6:7]
	global_load_dword v5, v[6:7], off
	global_load_dword v4, v[8:9], off
	global_load_dword v3, v[10:11], off
	global_load_dword v2, v[12:13], off
	s_andn2_b64 vcc, exec, s[10:11]
	s_cbranch_vccnz .LBB580_8
; %bb.6:
	s_add_u32 s8, s8, s12
	s_addc_u32 s9, s9, s13
	s_load_dword s5, s[8:9], 0x0
	s_branch .LBB580_9
.LBB580_7:
	s_mov_b64 s[12:13], 0
	s_branch .LBB580_2
.LBB580_8:
	s_mov_b32 s5, s2
.LBB580_9:
	s_load_dwordx2 s[12:13], s[0:1], 0x10
	s_load_dwordx4 s[8:11], s[0:1], 0x48
	v_lshrrev_b32_e32 v85, 6, v0
	v_bfe_u32 v88, v0, 4, 2
	v_and_b32_e32 v84, 15, v0
	v_lshl_or_b32 v1, v85, 2, v88
	v_lshlrev_b32_e32 v6, 3, v84
	s_mul_i32 s40, s4, 5
	v_cmp_gt_u32_e32 vcc, 5, v1
	v_lshlrev_b32_e32 v82, 1, v6
	s_and_saveexec_b64 s[16:17], vcc
	s_cbranch_execz .LBB580_11
; %bb.10:
	s_load_dwordx2 s[20:21], s[0:1], 0x0
	s_waitcnt lgkmcnt(0)
	s_ashr_i32 s11, s8, 31
	s_mul_hi_u32 s22, s5, s8
	s_mul_i32 s11, s5, s11
	s_add_i32 s23, s22, s11
	s_mul_i32 s22, s5, s8
	s_lshl_b64 s[22:23], s[22:23], 1
	s_add_u32 s20, s20, s22
	v_add_lshl_u32 v6, v1, s40, 7
	s_addc_u32 s21, s21, s23
	v_ashrrev_i32_e32 v7, 31, v6
	v_lshl_add_u64 v[6:7], v[6:7], 1, s[20:21]
	v_mov_b32_e32 v83, 0
	v_lshl_add_u64 v[6:7], v[6:7], 0, v[82:83]
	global_load_dwordx4 v[6:9], v[6:7], off
	v_and_b32_e32 v10, 3, v0
	v_lshlrev_b32_e32 v11, 9, v84
	v_lshlrev_b32_e32 v1, 5, v1
	;; [unrolled: 1-line block ×3, first 2 shown]
	v_and_b32_e32 v11, 0x1800, v11
	v_or3_b32 v1, v11, v10, v1
	s_waitcnt vmcnt(0)
	ds_write_b128 v1, v[6:9]
.LBB580_11:
	s_or_b64 exec, exec, s[16:17]
	s_waitcnt lgkmcnt(0)
	s_mul_i32 s4, s4, s10
	s_mov_b32 s5, 0
	s_lshl_b64 s[4:5], s[4:5], 1
	s_add_u32 s10, s14, s4
	v_lshlrev_b32_e32 v1, 4, v0
	s_addc_u32 s11, s15, s5
	v_and_b32_e32 v86, 0xf0, v1
	v_mov_b32_e32 v87, 0
	v_lshl_add_u64 v[6:7], s[10:11], 0, v[86:87]
	s_waitcnt vmcnt(3)
	v_mad_i64_i32 v[8:9], s[10:11], v5, s9, 0
	s_waitcnt vmcnt(2)
	v_mad_i64_i32 v[4:5], s[10:11], v4, s9, 0
	v_lshl_add_u64 v[8:9], v[8:9], 1, v[6:7]
	v_and_b32_e32 v86, 0x300, v1
	v_lshl_add_u64 v[4:5], v[4:5], 1, v[6:7]
	v_lshl_add_u64 v[8:9], v[8:9], 0, v[86:87]
	v_lshl_add_u64 v[4:5], v[4:5], 0, v[86:87]
	s_barrier
	global_load_dwordx4 v[78:81], v[8:9], off
	global_load_dwordx4 v[74:77], v[8:9], off offset:1024
	global_load_dwordx4 v[70:73], v[8:9], off offset:2048
	;; [unrolled: 1-line block ×3, first 2 shown]
	global_load_dwordx4 v[66:69], v[4:5], off
	global_load_dwordx4 v[62:65], v[4:5], off offset:1024
	global_load_dwordx4 v[58:61], v[4:5], off offset:2048
	;; [unrolled: 1-line block ×3, first 2 shown]
	s_waitcnt vmcnt(9)
	v_mad_i64_i32 v[4:5], s[10:11], v3, s9, 0
	s_waitcnt vmcnt(8)
	v_mad_i64_i32 v[2:3], s[10:11], v2, s9, 0
	v_lshl_add_u64 v[4:5], v[4:5], 1, v[6:7]
	v_lshl_add_u64 v[2:3], v[2:3], 1, v[6:7]
	;; [unrolled: 1-line block ×4, first 2 shown]
	global_load_dwordx4 v[30:33], v[4:5], off
	global_load_dwordx4 v[26:29], v[4:5], off offset:1024
	global_load_dwordx4 v[22:25], v[4:5], off offset:2048
	;; [unrolled: 1-line block ×3, first 2 shown]
	global_load_dwordx4 v[6:9], v[34:35], off
	s_nop 0
	global_load_dwordx4 v[2:5], v[34:35], off offset:1024
	global_load_dwordx4 v[38:41], v[34:35], off offset:2048
	s_nop 0
	global_load_dwordx4 v[34:37], v[34:35], off offset:3072
	v_mul_lo_u16_e32 v42, 52, v84
	v_mov_b32_e32 v43, 5
	v_mul_lo_u16_sdwa v42, v42, v43 dst_sel:DWORD dst_unused:UNUSED_PAD src0_sel:BYTE_1 src1_sel:DWORD
	v_sub_u16_e32 v42, v84, v42
	v_lshlrev_b32_sdwa v42, v43, v42 dst_sel:DWORD dst_unused:UNUSED_PAD src0_sel:DWORD src1_sel:BYTE_0
	v_lshl_add_u32 v42, v88, 9, v42
	ds_read_b128 v[54:57], v42
	ds_read_b128 v[50:53], v42 offset:2048
	ds_read_b128 v[46:49], v42 offset:4096
	;; [unrolled: 1-line block ×3, first 2 shown]
	v_and_b32_e32 v83, 63, v0
	v_cmp_gt_u32_e32 vcc, 5, v84
	v_mov_b32_e32 v89, 0
	s_and_saveexec_b64 s[10:11], vcc
	s_cbranch_execz .LBB580_13
; %bb.12:
	s_load_dwordx2 s[14:15], s[0:1], 0x40
	v_add_u32_e32 v90, s40, v84
	v_ashrrev_i32_e32 v91, 31, v90
	s_waitcnt lgkmcnt(0)
	v_lshl_add_u64 v[90:91], v[90:91], 2, s[14:15]
	global_load_dword v89, v[90:91], off
.LBB580_13:
	s_or_b64 exec, exec, s[10:11]
	s_waitcnt vmcnt(15) lgkmcnt(3)
	v_mfma_f32_16x16x16_bf16 v[90:93], v[78:79], v[54:55], 0
	s_add_u32 s4, s12, s4
	s_addc_u32 s5, s13, s5
	s_mov_b32 s33, 0xff7fffff
	v_mfma_f32_16x16x16_bf16 v[78:81], v[80:81], v[56:57], v[90:93]
	s_waitcnt vmcnt(14) lgkmcnt(2)
	v_mfma_f32_16x16x16_bf16 v[78:81], v[74:75], v[50:51], v[78:81]
	s_nop 0
	v_lshl_or_b32 v90, v85, 4, v84
	v_lshlrev_b32_e32 v86, 5, v90
	v_mfma_f32_16x16x16_bf16 v[74:77], v[76:77], v[52:53], v[78:81]
	s_waitcnt vmcnt(13) lgkmcnt(1)
	v_mfma_f32_16x16x16_bf16 v[74:77], v[70:71], v[46:47], v[74:77]
	v_mfma_f32_16x16x16_bf16 v[70:73], v[72:73], v[48:49], v[74:77]
	s_waitcnt vmcnt(11)
	v_mfma_f32_16x16x16_bf16 v[74:77], v[66:67], v[54:55], 0
	v_mfma_f32_16x16x16_bf16 v[66:69], v[68:69], v[56:57], v[74:77]
	s_nop 5
	v_and_or_b32 v74, v0, 48, s18
	s_waitcnt lgkmcnt(0)
	v_mfma_f32_16x16x16_bf16 v[70:73], v[10:11], v[42:43], v[70:73]
	v_ashrrev_i32_e32 v10, 4, v74
	v_mov_b32_e32 v75, s19
	v_cmp_gt_i32_e32 vcc, s27, v74
	s_waitcnt vmcnt(10)
	v_mfma_f32_16x16x16_bf16 v[66:69], v[62:63], v[50:51], v[66:69]
	v_cndmask_b32_e32 v10, v75, v10, vcc
	v_ashrrev_i32_e32 v11, 31, v10
	v_lshl_add_u64 v[10:11], v[10:11], 2, s[6:7]
	global_load_dword v76, v[10:11], off
	v_mfma_f32_16x16x16_bf16 v[62:65], v[64:65], v[52:53], v[66:69]
	v_or_b32_e32 v10, 64, v74
	v_ashrrev_i32_e32 v11, 4, v10
	v_cmp_gt_i32_e32 vcc, s27, v10
	s_waitcnt vmcnt(10)
	v_mfma_f32_16x16x16_bf16 v[62:65], v[58:59], v[46:47], v[62:65]
	v_cndmask_b32_e32 v10, v75, v11, vcc
	v_ashrrev_i32_e32 v11, 31, v10
	v_lshl_add_u64 v[10:11], v[10:11], 2, s[6:7]
	global_load_dword v78, v[10:11], off
	v_or_b32_e32 v10, 0x80, v74
	v_mfma_f32_16x16x16_bf16 v[58:61], v[60:61], v[48:49], v[62:65]
	v_ashrrev_i32_e32 v11, 4, v10
	v_cmp_gt_i32_e32 vcc, s27, v10
	s_waitcnt vmcnt(9)
	v_mfma_f32_16x16x16_bf16 v[62:65], v[30:31], v[54:55], 0
	v_cndmask_b32_e32 v10, v75, v11, vcc
	v_ashrrev_i32_e32 v11, 31, v10
	v_lshl_add_u64 v[10:11], v[10:11], 2, s[6:7]
	v_mfma_f32_16x16x16_bf16 v[30:33], v[32:33], v[56:57], v[62:65]
	s_nop 2
	global_load_dword v62, v[10:11], off
	v_or_b32_e32 v10, 0xc0, v74
	v_ashrrev_i32_e32 v11, 4, v10
	v_cmp_gt_i32_e32 vcc, s27, v10
	s_waitcnt vmcnt(9)
	v_mfma_f32_16x16x16_bf16 v[30:33], v[26:27], v[50:51], v[30:33]
	v_cndmask_b32_e32 v10, v75, v11, vcc
	v_ashrrev_i32_e32 v11, 31, v10
	v_lshl_add_u64 v[10:11], v[10:11], 2, s[6:7]
	global_load_dword v63, v[10:11], off
	v_mfma_f32_16x16x16_bf16 v[26:29], v[28:29], v[52:53], v[30:33]
	s_load_dword s6, s[0:1], 0x1c
	s_waitcnt vmcnt(3)
	v_mad_i64_i32 v[10:11], s[10:11], v76, s9, 0
	v_mfma_f32_16x16x16_bf16 v[26:29], v[22:23], v[46:47], v[26:29]
	v_lshlrev_b64 v[76:77], 1, v[10:11]
	v_mfma_f32_16x16x16_bf16 v[64:67], v[12:13], v[44:45], v[70:73]
	v_mfma_f32_16x16x16_bf16 v[10:13], v[24:25], v[48:49], v[26:29]
	s_nop 1
	v_lshl_add_u64 v[72:73], s[4:5], 0, v[86:87]
	v_or_b32_e32 v86, 0x800, v86
	v_mfma_f32_16x16x16_bf16 v[30:33], v[14:15], v[42:43], v[58:61]
	v_lshl_add_u64 v[14:15], v[72:73], 0, v[76:77]
	v_mfma_f32_16x16x16_bf16 v[10:13], v[18:19], v[42:43], v[10:13]
	v_mfma_f32_16x16x16_bf16 v[68:71], v[16:17], v[44:45], v[30:33]
	s_nop 3
	global_load_dwordx4 v[30:33], v[14:15], off
	global_load_dwordx4 v[26:29], v[14:15], off offset:16
	s_waitcnt vmcnt(4)
	v_mad_i64_i32 v[14:15], s[10:11], v78, s9, 0
	v_lshlrev_b64 v[58:59], 1, v[14:15]
	v_mfma_f32_16x16x16_bf16 v[92:95], v[20:21], v[44:45], v[10:13]
	s_waitcnt lgkmcnt(0)
	v_pk_mul_f32 v[78:79], s[6:7], v[66:67] op_sel_hi:[0,1]
	s_nop 0
	v_lshl_add_u64 v[10:11], v[72:73], 0, v[58:59]
	global_load_dwordx4 v[22:25], v[10:11], off
	global_load_dwordx4 v[18:21], v[10:11], off offset:16
	v_mfma_f32_16x16x16_bf16 v[10:13], v[6:7], v[54:55], 0
	s_waitcnt vmcnt(5)
	v_mad_i64_i32 v[6:7], s[10:11], v62, s9, 0
	v_lshlrev_b64 v[54:55], 1, v[6:7]
	v_mfma_f32_16x16x16_bf16 v[6:9], v[8:9], v[56:57], v[10:13]
	v_mfma_f32_16x16x16_bf16 v[6:9], v[2:3], v[50:51], v[6:9]
	s_waitcnt vmcnt(4)
	v_mad_i64_i32 v[2:3], s[8:9], v63, s9, 0
	v_lshlrev_b64 v[50:51], 1, v[2:3]
	v_mfma_f32_16x16x16_bf16 v[60:63], v[4:5], v[52:53], v[6:9]
	v_lshl_add_u64 v[10:11], v[72:73], 0, v[54:55]
	v_lshl_add_u64 v[2:3], v[72:73], 0, v[50:51]
	v_pk_mul_f32 v[52:53], s[6:7], v[64:65] op_sel_hi:[0,1]
	v_mfma_f32_16x16x16_bf16 v[72:75], v[38:39], v[46:47], v[60:63]
	global_load_dwordx4 v[14:17], v[10:11], off
	s_nop 0
	global_load_dwordx4 v[10:13], v[10:11], off offset:16
	v_lshl_add_u64 v[62:63], s[4:5], 0, v[86:87]
	v_lshl_add_u64 v[38:39], v[62:63], 0, v[76:77]
	v_mfma_f32_16x16x16_bf16 v[46:49], v[40:41], v[48:49], v[72:75]
	v_pk_mul_f32 v[76:77], s[6:7], v[68:69] op_sel_hi:[0,1]
	v_lshl_add_u64 v[54:55], v[62:63], 0, v[54:55]
	v_lshl_add_u64 v[50:51], v[62:63], 0, v[50:51]
	v_mfma_f32_16x16x16_bf16 v[40:43], v[34:35], v[42:43], v[46:49]
	v_pk_mul_f32 v[74:75], s[6:7], v[70:71] op_sel_hi:[0,1]
	v_pk_mul_f32 v[70:71], s[6:7], v[94:95] op_sel_hi:[0,1]
	;; [unrolled: 1-line block ×3, first 2 shown]
	v_mfma_f32_16x16x16_bf16 v[34:37], v[36:37], v[44:45], v[40:43]
	global_load_dwordx4 v[6:9], v[2:3], off
	s_nop 0
	global_load_dwordx4 v[2:5], v[2:3], off offset:16
	s_nop 3
	v_pk_mul_f32 v[68:69], s[6:7], v[34:35] op_sel_hi:[0,1]
	v_and_b32_e32 v34, 0xc0, v0
	v_add_u32_e32 v34, s18, v34
	v_lshl_or_b32 v34, v88, 2, v34
	v_or_b32_e32 v35, 1, v34
	v_pk_mul_f32 v[66:67], s[6:7], v[36:37] op_sel_hi:[0,1]
	v_subrev_u32_e32 v36, s27, v35
	v_add_u32_e32 v40, 1, v36
	v_add_u32_e32 v41, 2, v36
	v_cvt_f32_i32_e32 v37, v36
	v_cvt_f32_i32_e32 v40, v40
	;; [unrolled: 1-line block ×3, first 2 shown]
	v_add_u32_e32 v42, 3, v36
	v_fma_f32 v52, v89, v37, v52
	v_fmac_f32_e32 v53, v89, v40
	v_fma_f32 v78, v89, v41, v78
	v_add_u32_e32 v37, 16, v36
	v_add_u32_e32 v40, 17, v36
	v_add_u32_e32 v41, 18, v36
	v_cvt_f32_i32_e32 v42, v42
	v_cvt_f32_i32_e32 v37, v37
	;; [unrolled: 1-line block ×4, first 2 shown]
	v_fmac_f32_e32 v79, v89, v42
	v_add_u32_e32 v42, 19, v36
	v_fma_f32 v76, v89, v37, v76
	v_fmac_f32_e32 v77, v89, v40
	v_fma_f32 v74, v89, v41, v74
	v_add_u32_e32 v37, 32, v36
	v_add_u32_e32 v40, 33, v36
	;; [unrolled: 1-line block ×3, first 2 shown]
	v_cvt_f32_i32_e32 v42, v42
	v_cvt_f32_i32_e32 v37, v37
	;; [unrolled: 1-line block ×4, first 2 shown]
	v_fmac_f32_e32 v75, v89, v42
	v_add_u32_e32 v42, 35, v36
	v_fma_f32 v72, v89, v37, v72
	v_fmac_f32_e32 v73, v89, v40
	v_fma_f32 v70, v89, v41, v70
	v_add_u32_e32 v37, 48, v36
	v_add_u32_e32 v40, 49, v36
	;; [unrolled: 1-line block ×4, first 2 shown]
	v_cvt_f32_i32_e32 v36, v36
	v_cvt_f32_i32_e32 v37, v37
	;; [unrolled: 1-line block ×3, first 2 shown]
	v_cmp_gt_i32_e64 s[28:29], s27, v34
	v_fmac_f32_e32 v67, v89, v36
	v_mov_b32_e32 v36, 0xff7fffff
	v_cmp_gt_i32_e64 s[30:31], s27, v35
	v_fma_f32 v68, v89, v37, v68
	v_cndmask_b32_e64 v37, v36, v52, s[28:29]
	v_cndmask_b32_e64 v35, v36, v53, s[30:31]
	v_fmac_f32_e32 v69, v89, v40
	v_max3_f32 v35, v37, s33, v35
	v_or_b32_e32 v37, 2, v34
	v_or_b32_e32 v40, 3, v34
	v_cmp_gt_i32_e64 s[34:35], s27, v37
	v_cmp_gt_i32_e64 s[36:37], s27, v40
	v_cvt_f32_i32_e32 v42, v42
	v_cndmask_b32_e64 v37, v36, v78, s[34:35]
	v_cndmask_b32_e64 v40, v36, v79, s[36:37]
	v_max3_f32 v35, v35, v37, v40
	v_or_b32_e32 v37, 16, v34
	v_or_b32_e32 v40, 17, v34
	v_cmp_gt_i32_e64 s[22:23], s27, v37
	v_cmp_gt_i32_e64 s[24:25], s27, v40
	v_fmac_f32_e32 v71, v89, v42
	v_cndmask_b32_e64 v37, v36, v76, s[22:23]
	v_cndmask_b32_e64 v40, v36, v77, s[24:25]
	v_max3_f32 v35, v35, v37, v40
	v_or_b32_e32 v37, 18, v34
	v_or_b32_e32 v40, 19, v34
	v_cmp_gt_i32_e64 s[18:19], s27, v37
	v_cmp_gt_i32_e64 s[20:21], s27, v40
	v_cvt_f32_i32_e32 v41, v41
	v_cndmask_b32_e64 v37, v36, v74, s[18:19]
	v_cndmask_b32_e64 v40, v36, v75, s[20:21]
	v_max3_f32 v35, v35, v37, v40
	v_or_b32_e32 v37, 32, v34
	v_or_b32_e32 v40, 33, v34
	v_cmp_gt_i32_e64 s[14:15], s27, v37
	v_cmp_gt_i32_e64 s[16:17], s27, v40
	v_fma_f32 v66, v89, v41, v66
	v_cndmask_b32_e64 v37, v36, v72, s[14:15]
	v_cndmask_b32_e64 v40, v36, v73, s[16:17]
	v_max3_f32 v35, v35, v37, v40
	v_or_b32_e32 v37, 34, v34
	v_or_b32_e32 v40, 35, v34
	v_cmp_gt_i32_e64 s[10:11], s27, v37
	v_cmp_gt_i32_e64 s[12:13], s27, v40
	s_nop 0
	v_cndmask_b32_e64 v37, v36, v70, s[10:11]
	v_cndmask_b32_e64 v40, v36, v71, s[12:13]
	v_max3_f32 v35, v35, v37, v40
	v_or_b32_e32 v37, 48, v34
	v_or_b32_e32 v40, 49, v34
	v_cmp_gt_i32_e64 s[6:7], s27, v37
	v_cmp_gt_i32_e64 s[8:9], s27, v40
	s_nop 0
	v_cndmask_b32_e64 v37, v36, v68, s[6:7]
	v_cndmask_b32_e64 v40, v36, v69, s[8:9]
	v_max3_f32 v35, v35, v37, v40
	v_or_b32_e32 v37, 50, v34
	v_or_b32_e32 v34, 51, v34
	v_cmp_gt_i32_e32 vcc, s27, v37
	v_cmp_gt_i32_e64 s[4:5], s27, v34
	global_load_dwordx4 v[46:49], v[38:39], off
	s_nop 0
	global_load_dwordx4 v[38:41], v[38:39], off offset:16
	v_cndmask_b32_e32 v37, v36, v66, vcc
	v_cndmask_b32_e64 v34, v36, v67, s[4:5]
	v_max3_f32 v56, v35, v37, v34
	v_mbcnt_lo_u32_b32 v34, -1, 0
	v_mbcnt_hi_u32_b32 v57, -1, v34
	v_and_b32_e32 v34, 64, v57
	v_add_u32_e32 v60, 64, v34
	v_xor_b32_e32 v34, 32, v57
	v_cmp_lt_i32_e64 s[38:39], v34, v60
	s_nop 1
	v_cndmask_b32_e64 v34, v57, v34, s[38:39]
	v_lshlrev_b32_e32 v87, 2, v34
	ds_bpermute_b32 v61, v87, v56
	v_lshl_add_u64 v[34:35], v[62:63], 0, v[58:59]
	global_load_dwordx4 v[42:45], v[34:35], off
	s_nop 0
	global_load_dwordx4 v[34:37], v[34:35], off offset:16
	s_waitcnt lgkmcnt(0)
	v_max_f32_e32 v58, v61, v61
	v_max_f32_e32 v64, v56, v58
	v_xor_b32_e32 v56, 16, v57
	v_cmp_lt_i32_e64 s[38:39], v56, v60
	s_nop 1
	v_cndmask_b32_e64 v56, v57, v56, s[38:39]
	v_lshlrev_b32_e32 v89, 2, v56
	ds_bpermute_b32 v65, v89, v64
	global_load_dwordx4 v[58:61], v[54:55], off
	s_nop 0
	global_load_dwordx4 v[54:57], v[54:55], off offset:16
	s_waitcnt lgkmcnt(0)
	v_max_f32_e32 v62, v65, v65
	v_max_f32_e32 v86, v64, v62
	v_sub_f32_e32 v52, v52, v86
	v_mul_f32_e32 v52, 0x3fb8aa3b, v52
	v_exp_f32_e32 v80, v52
	v_sub_f32_e32 v52, v53, v86
	v_mul_f32_e32 v52, 0x3fb8aa3b, v52
	v_exp_f32_e32 v81, v52
	global_load_dwordx4 v[62:65], v[50:51], off
	s_nop 0
	global_load_dwordx4 v[50:53], v[50:51], off offset:16
	v_sub_f32_e32 v78, v78, v86
	v_mul_f32_e32 v78, 0x3fb8aa3b, v78
	v_sub_f32_e32 v79, v79, v86
	v_exp_f32_e32 v78, v78
	v_mul_f32_e32 v79, 0x3fb8aa3b, v79
	v_sub_f32_e32 v76, v76, v86
	v_exp_f32_e32 v79, v79
	v_mul_f32_e32 v76, 0x3fb8aa3b, v76
	v_sub_f32_e32 v77, v77, v86
	v_cndmask_b32_e64 v80, 0, v80, s[28:29]
	v_exp_f32_e32 v76, v76
	v_mul_f32_e32 v77, 0x3fb8aa3b, v77
	v_sub_f32_e32 v74, v74, v86
	v_add_f32_e32 v91, 0, v80
	v_cndmask_b32_e64 v81, 0, v81, s[30:31]
	v_exp_f32_e32 v77, v77
	v_mul_f32_e32 v74, 0x3fb8aa3b, v74
	v_sub_f32_e32 v75, v75, v86
	v_add_f32_e32 v91, v91, v81
	;; [unrolled: 5-line block ×10, first 2 shown]
	v_cndmask_b32_e64 v70, 0, v70, s[10:11]
	v_exp_f32_e32 v66, v66
	v_mul_f32_e32 v67, 0x3fb8aa3b, v67
	v_add_f32_e32 v91, v91, v70
	v_cndmask_b32_e64 v71, 0, v71, s[12:13]
	v_exp_f32_e32 v67, v67
	v_add_f32_e32 v91, v91, v71
	v_cndmask_b32_e64 v68, 0, v68, s[6:7]
	v_add_f32_e32 v91, v91, v68
	v_cndmask_b32_e64 v69, 0, v69, s[8:9]
	v_add_f32_e32 v91, v91, v69
	v_cndmask_b32_e32 v66, 0, v66, vcc
	v_add_f32_e32 v91, v91, v66
	v_cndmask_b32_e64 v67, 0, v67, s[4:5]
	v_add_f32_e32 v91, v91, v67
	ds_bpermute_b32 v87, v87, v91
	s_load_dword s9, s[0:1], 0x98
	v_cmp_gt_u32_e64 s[4:5], 16, v83
	s_waitcnt lgkmcnt(0)
	s_barrier
	v_add_f32_e32 v87, v91, v87
	ds_bpermute_b32 v89, v89, v87
	s_waitcnt lgkmcnt(0)
	s_and_saveexec_b64 s[6:7], s[4:5]
	s_cbranch_execz .LBB580_15
; %bb.14:
	v_add_f32_e32 v83, v87, v89
	v_lshlrev_b32_e32 v87, 2, v90
	ds_write2st64_b32 v87, v86, v83 offset1:1
.LBB580_15:
	s_or_b64 exec, exec, s[6:7]
	v_lshlrev_b32_e32 v89, 2, v84
	s_load_dword s8, s[0:1], 0x94
	s_waitcnt lgkmcnt(0)
	s_barrier
	ds_read2_b32 v[86:87], v89 offset1:16
	ds_read2_b32 v[90:91], v89 offset0:32 offset1:48
	ds_read2_b32 v[92:93], v89 offset0:64 offset1:80
	;; [unrolled: 1-line block ×3, first 2 shown]
	s_movk_i32 s10, 0x7fff
	s_waitcnt lgkmcnt(3)
	v_max3_f32 v83, v86, s33, v87
	s_waitcnt lgkmcnt(2)
	v_max3_f32 v83, v83, v90, v91
	v_sub_f32_e32 v86, v86, v83
	v_mul_f32_e32 v86, 0x3fb8aa3b, v86
	v_exp_f32_e32 v1, v86
	v_sub_f32_e32 v86, v87, v83
	v_mul_f32_e32 v86, 0x3fb8aa3b, v86
	v_exp_f32_e32 v87, v86
	;; [unrolled: 3-line block ×4, first 2 shown]
	s_waitcnt lgkmcnt(1)
	v_fma_f32 v86, v1, v92, 0
	v_fmac_f32_e32 v86, v87, v93
	s_waitcnt lgkmcnt(0)
	v_fmac_f32_e32 v86, v90, v94
	v_fmac_f32_e32 v86, v89, v95
	v_add_f32_e32 v91, 0x358637bd, v86
	v_div_scale_f32 v92, s[6:7], v91, v91, 1.0
	v_rcp_f32_e32 v93, v92
	s_mov_b32 s11, 0x7060302
	s_mul_i32 s9, s9, 5
	v_fma_f32 v94, -v92, v93, 1.0
	v_fmac_f32_e32 v93, v94, v93
	v_div_scale_f32 v94, vcc, 1.0, v91, 1.0
	v_mul_f32_e32 v95, v94, v93
	v_fma_f32 v88, -v92, v95, v94
	v_fmac_f32_e32 v95, v88, v93
	v_fma_f32 v88, -v92, v95, v94
	v_div_fmas_f32 v88, v88, v93, v95
	v_cmp_eq_u32_e32 vcc, 1, v85
	v_div_fixup_f32 v88, v88, v91, 1.0
	s_barrier
	v_cndmask_b32_e32 v1, v1, v87, vcc
	v_cmp_eq_u32_e32 vcc, 2, v85
	s_nop 1
	v_cndmask_b32_e32 v1, v1, v90, vcc
	v_cmp_eq_u32_e32 vcc, 3, v85
	s_nop 1
	v_cndmask_b32_e32 v1, v1, v89, vcc
	v_mul_f32_e32 v90, v1, v88
	v_pk_mul_f32 v[80:81], v[90:91], v[80:81] op_sel_hi:[0,1]
	v_bfe_u32 v1, v81, 16, 1
	v_bfe_u32 v87, v80, 16, 1
	v_pk_mul_f32 v[78:79], v[90:91], v[78:79] op_sel_hi:[0,1]
	v_add3_u32 v80, v80, v87, s10
	v_add3_u32 v1, v81, v1, s10
	v_perm_b32 v80, v1, v80, s11
	v_bfe_u32 v1, v79, 16, 1
	v_bfe_u32 v81, v78, 16, 1
	v_add3_u32 v78, v78, v81, s10
	v_add3_u32 v1, v79, v1, s10
	v_bfe_u32 v87, v0, 4, 2
	v_perm_b32 v81, v1, v78, s11
	v_lshlrev_b32_e32 v1, 3, v87
	v_lshlrev_b32_e32 v79, 5, v84
	;; [unrolled: 1-line block ×3, first 2 shown]
	v_pk_mul_f32 v[76:77], v[90:91], v[76:77] op_sel_hi:[0,1]
	v_or3_b32 v78, v78, v79, v1
	v_bfe_u32 v1, v77, 16, 1
	v_bfe_u32 v85, v76, 16, 1
	v_pk_mul_f32 v[74:75], v[90:91], v[74:75] op_sel_hi:[0,1]
	v_add3_u32 v76, v76, v85, s10
	v_add3_u32 v1, v77, v1, s10
	v_perm_b32 v76, v1, v76, s11
	v_bfe_u32 v1, v75, 16, 1
	v_bfe_u32 v77, v74, 16, 1
	v_add3_u32 v74, v74, v77, s10
	v_add3_u32 v1, v75, v1, s10
	v_pk_mul_f32 v[72:73], v[90:91], v[72:73] op_sel_hi:[0,1]
	v_perm_b32 v77, v1, v74, s11
	v_bfe_u32 v1, v73, 16, 1
	v_bfe_u32 v74, v72, 16, 1
	v_pk_mul_f32 v[70:71], v[90:91], v[70:71] op_sel_hi:[0,1]
	v_add3_u32 v72, v72, v74, s10
	v_add3_u32 v1, v73, v1, s10
	v_perm_b32 v72, v1, v72, s11
	v_bfe_u32 v1, v71, 16, 1
	v_bfe_u32 v73, v70, 16, 1
	v_add3_u32 v70, v70, v73, s10
	v_add3_u32 v1, v71, v1, s10
	v_pk_mul_f32 v[68:69], v[90:91], v[68:69] op_sel_hi:[0,1]
	v_perm_b32 v73, v1, v70, s11
	v_bfe_u32 v1, v69, 16, 1
	v_bfe_u32 v70, v68, 16, 1
	v_pk_mul_f32 v[66:67], v[90:91], v[66:67] op_sel_hi:[0,1]
	v_add3_u32 v68, v68, v70, s10
	v_add3_u32 v1, v69, v1, s10
	v_perm_b32 v68, v1, v68, s11
	v_bfe_u32 v1, v67, 16, 1
	v_bfe_u32 v69, v66, 16, 1
	v_add3_u32 v66, v66, v69, s10
	v_add3_u32 v1, v67, v1, s10
	v_perm_b32 v69, v1, v66, s11
	v_cmp_gt_u32_e32 vcc, 5, v0
	ds_write2st64_b64 v78, v[80:81], v[76:77] offset1:1
	ds_write2st64_b64 v78, v[72:73], v[68:69] offset0:2 offset1:3
	s_and_saveexec_b64 s[6:7], vcc
	s_cbranch_execz .LBB580_17
; %bb.16:
	s_mov_b32 s41, 0
	v_mov_b32_e32 v85, 0
	v_lshl_add_u64 v[66:67], s[40:41], 0, v[84:85]
	v_mov_b32_e32 v1, s9
	v_mad_u64_u32 v[66:67], s[16:17], s2, v1, v[66:67]
	s_mul_i32 s3, s3, s9
	v_mov_b32_e32 v68, s26
	v_mov_b32_e32 v69, v85
	s_load_dwordx4 s[12:15], s[0:1], 0x58
	v_add_u32_e32 v1, s3, v67
	v_mad_u64_u32 v[66:67], s[16:17], v66, s8, v[68:69]
	v_mov_b32_e32 v68, v67
	v_mad_u64_u32 v[68:69], s[16:17], v1, s8, v[68:69]
	v_mov_b32_e32 v67, v68
	v_lshlrev_b64 v[66:67], 2, v[66:67]
	s_waitcnt lgkmcnt(0)
	v_lshl_add_u64 v[68:69], s[14:15], 0, v[66:67]
	v_lshl_add_u64 v[66:67], s[12:13], 0, v[66:67]
	global_store_dword v[68:69], v83, off
	global_store_dword v[66:67], v86, off
.LBB580_17:
	s_or_b64 exec, exec, s[6:7]
	v_lshl_or_b32 v1, v87, 9, v79
	s_waitcnt lgkmcnt(0)
	s_barrier
	ds_read_b128 v[70:73], v1
	ds_read_b128 v[66:69], v1 offset:16
	s_waitcnt vmcnt(15) lgkmcnt(1)
	v_mfma_f32_16x16x16_bf16 v[74:77], v[30:31], v[70:71], 0
	s_mov_b32 s3, 0
	v_cmp_gt_u32_e32 vcc, 64, v0
	v_mfma_f32_16x16x16_bf16 v[30:33], v[32:33], v[72:73], v[74:77]
	s_waitcnt vmcnt(14) lgkmcnt(0)
	v_mfma_f32_16x16x16_bf16 v[30:33], v[26:27], v[66:67], v[30:33]
	v_mfma_f32_16x16x16_bf16 v[26:29], v[28:29], v[68:69], v[30:33]
	s_nop 5
	ds_read_b128 v[30:33], v1 offset:2048
	ds_read_b128 v[74:77], v1 offset:2064
	s_waitcnt vmcnt(13) lgkmcnt(1)
	v_mfma_f32_16x16x16_bf16 v[26:29], v[22:23], v[30:31], v[26:29]
	v_mfma_f32_16x16x16_bf16 v[22:25], v[24:25], v[32:33], v[26:29]
	s_waitcnt vmcnt(12) lgkmcnt(0)
	v_mfma_f32_16x16x16_bf16 v[22:25], v[18:19], v[74:75], v[22:25]
	v_mfma_f32_16x16x16_bf16 v[18:21], v[20:21], v[76:77], v[22:25]
	s_nop 5
	ds_read_b128 v[22:25], v1 offset:4096
	ds_read_b128 v[26:29], v1 offset:4112
	s_waitcnt vmcnt(11) lgkmcnt(1)
	v_mfma_f32_16x16x16_bf16 v[18:21], v[14:15], v[22:23], v[18:21]
	v_mfma_f32_16x16x16_bf16 v[14:17], v[16:17], v[24:25], v[18:21]
	s_waitcnt vmcnt(10) lgkmcnt(0)
	v_mfma_f32_16x16x16_bf16 v[14:17], v[10:11], v[26:27], v[14:17]
	v_mfma_f32_16x16x16_bf16 v[10:13], v[12:13], v[28:29], v[14:17]
	s_nop 5
	ds_read_b128 v[14:17], v1 offset:6144
	ds_read_b128 v[18:21], v1 offset:6160
	s_waitcnt lgkmcnt(0)
	s_barrier
	s_waitcnt vmcnt(9)
	v_mfma_f32_16x16x16_bf16 v[10:13], v[6:7], v[14:15], v[10:13]
	v_mfma_f32_16x16x16_bf16 v[6:9], v[8:9], v[16:17], v[10:13]
	s_waitcnt vmcnt(8)
	v_mfma_f32_16x16x16_bf16 v[6:9], v[2:3], v[18:19], v[6:9]
	v_mfma_f32_16x16x16_bf16 v[2:5], v[4:5], v[20:21], v[6:9]
	;; [unrolled: 3-line block ×3, first 2 shown]
	s_nop 3
	v_bfe_u32 v1, v3, 16, 1
	v_bfe_u32 v10, v2, 16, 1
	v_add3_u32 v2, v2, v10, s10
	s_waitcnt vmcnt(6)
	v_mfma_f32_16x16x16_bf16 v[6:9], v[38:39], v[66:67], v[6:9]
	v_add3_u32 v1, v3, v1, s10
	v_perm_b32 v10, v1, v2, s11
	v_bfe_u32 v1, v5, 16, 1
	v_mfma_f32_16x16x16_bf16 v[6:9], v[40:41], v[68:69], v[6:9]
	v_bfe_u32 v2, v4, 16, 1
	v_add3_u32 v2, v4, v2, s10
	v_add3_u32 v1, v5, v1, s10
	s_waitcnt vmcnt(5)
	v_mfma_f32_16x16x16_bf16 v[6:9], v[42:43], v[30:31], v[6:9]
	v_perm_b32 v11, v1, v2, s11
	v_mfma_f32_16x16x16_bf16 v[6:9], v[44:45], v[32:33], v[6:9]
	s_waitcnt vmcnt(4)
	v_mfma_f32_16x16x16_bf16 v[6:9], v[34:35], v[74:75], v[6:9]
	v_mfma_f32_16x16x16_bf16 v[6:9], v[36:37], v[76:77], v[6:9]
	s_waitcnt vmcnt(3)
	v_mfma_f32_16x16x16_bf16 v[6:9], v[58:59], v[22:23], v[6:9]
	;; [unrolled: 3-line block ×5, first 2 shown]
	v_mfma_f32_16x16x16_bf16 v[2:5], v[52:53], v[20:21], v[6:9]
	s_nop 6
	v_bfe_u32 v1, v3, 16, 1
	v_bfe_u32 v6, v2, 16, 1
	v_add3_u32 v2, v2, v6, s10
	v_add3_u32 v1, v3, v1, s10
	v_perm_b32 v2, v1, v2, s11
	v_bfe_u32 v1, v5, 16, 1
	v_bfe_u32 v3, v4, 16, 1
	v_add3_u32 v3, v4, v3, s10
	v_add3_u32 v1, v5, v1, s10
	v_perm_b32 v3, v1, v3, s11
	ds_write2st64_b64 v78, v[10:11], v[2:3] offset1:1
	s_waitcnt lgkmcnt(0)
	s_barrier
	s_and_saveexec_b64 s[6:7], vcc
	s_cbranch_execz .LBB580_20
; %bb.18:
	s_load_dwordx2 s[6:7], s[0:1], 0x68
	s_lshl_b32 s0, s8, 7
	s_mul_i32 s1, s9, s2
	v_lshlrev_b32_e32 v3, 6, v84
	s_mul_hi_u32 s9, s1, s0
	s_mul_i32 s8, s1, s0
	v_lshlrev_b32_e32 v2, 4, v0
	v_lshl_or_b32 v0, v0, 10, v3
	s_lshl_b64 s[8:9], s[8:9], 1
	v_lshlrev_b32_e32 v1, 5, v87
	v_and_b32_e32 v2, 16, v2
	v_and_b32_e32 v0, 0x1a00, v0
	s_waitcnt lgkmcnt(0)
	s_add_u32 s1, s6, s8
	v_or3_b32 v2, v0, v1, v2
	s_addc_u32 s6, s7, s9
	s_lshl_b32 s2, s26, 7
	s_lshl_b64 s[2:3], s[2:3], 1
	ds_read_b128 v[4:7], v2
	s_add_u32 s2, s1, s2
	s_addc_u32 s3, s6, s3
	v_mov_b32_e32 v83, 0
	v_add_u32_e32 v3, s40, v87
	v_lshl_add_u64 v[0:1], s[2:3], 0, v[82:83]
	v_mad_u64_u32 v[8:9], s[2:3], v3, s0, 0
	v_lshl_add_u64 v[8:9], v[8:9], 1, v[0:1]
	s_waitcnt lgkmcnt(0)
	global_store_dwordx4 v[8:9], v[4:7], off
	s_and_b64 exec, exec, s[4:5]
	s_cbranch_execz .LBB580_20
; %bb.19:
	ds_read_b128 v[2:5], v2 offset:128
	v_add3_u32 v6, s40, v87, 4
	v_mad_u64_u32 v[6:7], s[0:1], v6, s0, 0
	v_lshl_add_u64 v[0:1], v[6:7], 1, v[0:1]
	s_waitcnt lgkmcnt(0)
	global_store_dwordx4 v[0:1], v[2:5], off
.LBB580_20:
	s_endpgm
	.section	.rodata,"a",@progbits
	.p2align	6, 0x0
	.amdhsa_kernel _Z39paged_attention_ll4mi_QKV_mfma16_kernelI14__hip_bfloat16S0_LN4vllm18Fp8KVCacheDataTypeE0EhLi16ELi128ELi256ELb1ELi5EEvPKT_PKT0_S8_ifPKiSA_SA_iPKfiiiPfSD_PS3_PT2_iSC_SC_
		.amdhsa_group_segment_fixed_size 8192
		.amdhsa_private_segment_fixed_size 0
		.amdhsa_kernarg_size 400
		.amdhsa_user_sgpr_count 2
		.amdhsa_user_sgpr_dispatch_ptr 0
		.amdhsa_user_sgpr_queue_ptr 0
		.amdhsa_user_sgpr_kernarg_segment_ptr 1
		.amdhsa_user_sgpr_dispatch_id 0
		.amdhsa_user_sgpr_kernarg_preload_length 0
		.amdhsa_user_sgpr_kernarg_preload_offset 0
		.amdhsa_user_sgpr_private_segment_size 0
		.amdhsa_uses_dynamic_stack 0
		.amdhsa_enable_private_segment 0
		.amdhsa_system_sgpr_workgroup_id_x 1
		.amdhsa_system_sgpr_workgroup_id_y 1
		.amdhsa_system_sgpr_workgroup_id_z 1
		.amdhsa_system_sgpr_workgroup_info 0
		.amdhsa_system_vgpr_workitem_id 0
		.amdhsa_next_free_vgpr 96
		.amdhsa_next_free_sgpr 42
		.amdhsa_accum_offset 96
		.amdhsa_reserve_vcc 1
		.amdhsa_float_round_mode_32 0
		.amdhsa_float_round_mode_16_64 0
		.amdhsa_float_denorm_mode_32 3
		.amdhsa_float_denorm_mode_16_64 3
		.amdhsa_dx10_clamp 1
		.amdhsa_ieee_mode 1
		.amdhsa_fp16_overflow 0
		.amdhsa_tg_split 0
		.amdhsa_exception_fp_ieee_invalid_op 0
		.amdhsa_exception_fp_denorm_src 0
		.amdhsa_exception_fp_ieee_div_zero 0
		.amdhsa_exception_fp_ieee_overflow 0
		.amdhsa_exception_fp_ieee_underflow 0
		.amdhsa_exception_fp_ieee_inexact 0
		.amdhsa_exception_int_div_zero 0
	.end_amdhsa_kernel
	.section	.text._Z39paged_attention_ll4mi_QKV_mfma16_kernelI14__hip_bfloat16S0_LN4vllm18Fp8KVCacheDataTypeE0EhLi16ELi128ELi256ELb1ELi5EEvPKT_PKT0_S8_ifPKiSA_SA_iPKfiiiPfSD_PS3_PT2_iSC_SC_,"axG",@progbits,_Z39paged_attention_ll4mi_QKV_mfma16_kernelI14__hip_bfloat16S0_LN4vllm18Fp8KVCacheDataTypeE0EhLi16ELi128ELi256ELb1ELi5EEvPKT_PKT0_S8_ifPKiSA_SA_iPKfiiiPfSD_PS3_PT2_iSC_SC_,comdat
.Lfunc_end580:
	.size	_Z39paged_attention_ll4mi_QKV_mfma16_kernelI14__hip_bfloat16S0_LN4vllm18Fp8KVCacheDataTypeE0EhLi16ELi128ELi256ELb1ELi5EEvPKT_PKT0_S8_ifPKiSA_SA_iPKfiiiPfSD_PS3_PT2_iSC_SC_, .Lfunc_end580-_Z39paged_attention_ll4mi_QKV_mfma16_kernelI14__hip_bfloat16S0_LN4vllm18Fp8KVCacheDataTypeE0EhLi16ELi128ELi256ELb1ELi5EEvPKT_PKT0_S8_ifPKiSA_SA_iPKfiiiPfSD_PS3_PT2_iSC_SC_
                                        ; -- End function
	.section	.AMDGPU.csdata,"",@progbits
; Kernel info:
; codeLenInByte = 4980
; NumSgprs: 48
; NumVgprs: 96
; NumAgprs: 0
; TotalNumVgprs: 96
; ScratchSize: 0
; MemoryBound: 0
; FloatMode: 240
; IeeeMode: 1
; LDSByteSize: 8192 bytes/workgroup (compile time only)
; SGPRBlocks: 5
; VGPRBlocks: 11
; NumSGPRsForWavesPerEU: 48
; NumVGPRsForWavesPerEU: 96
; AccumOffset: 96
; Occupancy: 5
; WaveLimiterHint : 1
; COMPUTE_PGM_RSRC2:SCRATCH_EN: 0
; COMPUTE_PGM_RSRC2:USER_SGPR: 2
; COMPUTE_PGM_RSRC2:TRAP_HANDLER: 0
; COMPUTE_PGM_RSRC2:TGID_X_EN: 1
; COMPUTE_PGM_RSRC2:TGID_Y_EN: 1
; COMPUTE_PGM_RSRC2:TGID_Z_EN: 1
; COMPUTE_PGM_RSRC2:TIDIG_COMP_CNT: 0
; COMPUTE_PGM_RSRC3_GFX90A:ACCUM_OFFSET: 23
; COMPUTE_PGM_RSRC3_GFX90A:TG_SPLIT: 0
	.section	.text._Z39paged_attention_ll4mi_QKV_mfma16_kernelI14__hip_bfloat16S0_LN4vllm18Fp8KVCacheDataTypeE0EhLi16ELi128ELi256ELb1ELi6EEvPKT_PKT0_S8_ifPKiSA_SA_iPKfiiiPfSD_PS3_PT2_iSC_SC_,"axG",@progbits,_Z39paged_attention_ll4mi_QKV_mfma16_kernelI14__hip_bfloat16S0_LN4vllm18Fp8KVCacheDataTypeE0EhLi16ELi128ELi256ELb1ELi6EEvPKT_PKT0_S8_ifPKiSA_SA_iPKfiiiPfSD_PS3_PT2_iSC_SC_,comdat
	.protected	_Z39paged_attention_ll4mi_QKV_mfma16_kernelI14__hip_bfloat16S0_LN4vllm18Fp8KVCacheDataTypeE0EhLi16ELi128ELi256ELb1ELi6EEvPKT_PKT0_S8_ifPKiSA_SA_iPKfiiiPfSD_PS3_PT2_iSC_SC_ ; -- Begin function _Z39paged_attention_ll4mi_QKV_mfma16_kernelI14__hip_bfloat16S0_LN4vllm18Fp8KVCacheDataTypeE0EhLi16ELi128ELi256ELb1ELi6EEvPKT_PKT0_S8_ifPKiSA_SA_iPKfiiiPfSD_PS3_PT2_iSC_SC_
	.globl	_Z39paged_attention_ll4mi_QKV_mfma16_kernelI14__hip_bfloat16S0_LN4vllm18Fp8KVCacheDataTypeE0EhLi16ELi128ELi256ELb1ELi6EEvPKT_PKT0_S8_ifPKiSA_SA_iPKfiiiPfSD_PS3_PT2_iSC_SC_
	.p2align	8
	.type	_Z39paged_attention_ll4mi_QKV_mfma16_kernelI14__hip_bfloat16S0_LN4vllm18Fp8KVCacheDataTypeE0EhLi16ELi128ELi256ELb1ELi6EEvPKT_PKT0_S8_ifPKiSA_SA_iPKfiiiPfSD_PS3_PT2_iSC_SC_,@function
_Z39paged_attention_ll4mi_QKV_mfma16_kernelI14__hip_bfloat16S0_LN4vllm18Fp8KVCacheDataTypeE0EhLi16ELi128ELi256ELb1ELi6EEvPKT_PKT0_S8_ifPKiSA_SA_iPKfiiiPfSD_PS3_PT2_iSC_SC_: ; @_Z39paged_attention_ll4mi_QKV_mfma16_kernelI14__hip_bfloat16S0_LN4vllm18Fp8KVCacheDataTypeE0EhLi16ELi128ELi256ELb1ELi6EEvPKT_PKT0_S8_ifPKiSA_SA_iPKfiiiPfSD_PS3_PT2_iSC_SC_
; %bb.0:
	s_load_dwordx2 s[8:9], s[0:1], 0x30
	s_mov_b32 s26, s3
	s_mov_b64 s[6:7], 0
	s_waitcnt lgkmcnt(0)
	s_cmp_lg_u64 s[8:9], 0
	s_cselect_b64 s[10:11], -1, 0
	s_and_b64 vcc, exec, s[10:11]
	s_cbranch_vccz .LBB581_7
; %bb.1:
	s_add_i32 s12, s2, 1
	s_mov_b32 s13, 0
	s_lshl_b64 s[14:15], s[12:13], 2
	s_add_u32 s14, s8, s14
	s_mov_b32 s3, s13
	s_addc_u32 s15, s9, s15
	s_lshl_b64 s[12:13], s[2:3], 2
	s_add_u32 s12, s8, s12
	s_addc_u32 s13, s9, s13
	s_load_dword s5, s[14:15], 0x0
	s_load_dword s16, s[12:13], 0x0
	s_waitcnt lgkmcnt(0)
	s_sub_i32 s5, s5, s16
	s_cmp_eq_u32 s5, 1
	s_cselect_b64 s[12:13], -1, 0
	s_andn2_b64 vcc, exec, s[6:7]
	s_cbranch_vccnz .LBB581_3
.LBB581_2:
	s_mov_b32 s3, 0
	s_mov_b64 s[12:13], -1
.LBB581_3:
	s_andn2_b64 vcc, exec, s[12:13]
	s_cbranch_vccnz .LBB581_20
; %bb.4:
	s_load_dwordx2 s[6:7], s[0:1], 0x28
	s_lshl_b64 s[12:13], s[2:3], 2
	s_waitcnt lgkmcnt(0)
	s_add_u32 s6, s6, s12
	s_addc_u32 s7, s7, s13
	s_load_dword s27, s[6:7], 0x0
	s_lshl_b32 s18, s26, 8
	s_waitcnt lgkmcnt(0)
	s_cmp_ge_i32 s18, s27
	s_cbranch_scc1 .LBB581_20
; %bb.5:
	s_load_dwordx2 s[6:7], s[0:1], 0x20
	s_load_dword s5, s[0:1], 0x38
	s_add_i32 s14, s27, 15
	s_ashr_i32 s15, s14, 31
	v_and_b32_e32 v1, 0xcf, v0
	s_lshr_b32 s15, s15, 28
	v_add_u32_e32 v1, s18, v1
	s_add_i32 s14, s14, s15
	v_ashrrev_i32_e32 v2, 31, v1
	s_ashr_i32 s19, s14, 4
	v_lshrrev_b32_e32 v4, 28, v2
	s_add_i32 s19, s19, -1
	s_waitcnt lgkmcnt(0)
	s_mul_i32 s14, s2, s5
	s_mov_b32 s15, 0
	v_add_u32_e32 v2, v1, v4
	s_lshl_b64 s[14:15], s[14:15], 2
	v_ashrrev_i32_e32 v2, 4, v2
	v_mov_b32_e32 v5, s19
	v_cmp_gt_i32_e32 vcc, s27, v1
	s_add_u32 s6, s6, s14
	s_addc_u32 s7, s7, s15
	v_cndmask_b32_e32 v2, v5, v2, vcc
	v_ashrrev_i32_e32 v3, 31, v2
	v_lshl_add_u64 v[6:7], v[2:3], 2, s[6:7]
	v_or_b32_e32 v2, 16, v1
	v_add_u32_e32 v3, v2, v4
	v_ashrrev_i32_e32 v3, 4, v3
	v_cmp_gt_i32_e32 vcc, s27, v2
	s_load_dwordx2 s[14:15], s[0:1], 0x8
	s_nop 0
	v_cndmask_b32_e32 v2, v5, v3, vcc
	v_ashrrev_i32_e32 v3, 31, v2
	v_lshl_add_u64 v[8:9], v[2:3], 2, s[6:7]
	v_or_b32_e32 v2, 32, v1
	v_add_u32_e32 v3, v2, v4
	v_ashrrev_i32_e32 v3, 4, v3
	v_cmp_gt_i32_e32 vcc, s27, v2
	v_or_b32_e32 v1, 48, v1
	s_nop 0
	v_cndmask_b32_e32 v2, v5, v3, vcc
	v_ashrrev_i32_e32 v3, 31, v2
	v_lshl_add_u64 v[10:11], v[2:3], 2, s[6:7]
	v_add_u32_e32 v2, v1, v4
	v_ashrrev_i32_e32 v2, 4, v2
	v_cmp_gt_i32_e32 vcc, s27, v1
	s_nop 1
	v_cndmask_b32_e32 v2, v5, v2, vcc
	v_ashrrev_i32_e32 v3, 31, v2
	v_lshl_add_u64 v[12:13], v[2:3], 2, s[6:7]
	global_load_dword v5, v[6:7], off
	global_load_dword v4, v[8:9], off
	;; [unrolled: 1-line block ×4, first 2 shown]
	s_andn2_b64 vcc, exec, s[10:11]
	s_cbranch_vccnz .LBB581_8
; %bb.6:
	s_add_u32 s8, s8, s12
	s_addc_u32 s9, s9, s13
	s_load_dword s5, s[8:9], 0x0
	s_branch .LBB581_9
.LBB581_7:
	s_mov_b64 s[12:13], 0
	s_branch .LBB581_2
.LBB581_8:
	s_mov_b32 s5, s2
.LBB581_9:
	s_load_dwordx2 s[12:13], s[0:1], 0x10
	s_load_dwordx4 s[8:11], s[0:1], 0x48
	v_lshrrev_b32_e32 v85, 6, v0
	v_bfe_u32 v88, v0, 4, 2
	v_and_b32_e32 v84, 15, v0
	v_lshl_or_b32 v1, v85, 2, v88
	v_lshlrev_b32_e32 v6, 3, v84
	s_mul_i32 s40, s4, 6
	v_cmp_gt_u32_e32 vcc, 6, v1
	v_lshlrev_b32_e32 v82, 1, v6
	s_and_saveexec_b64 s[16:17], vcc
	s_cbranch_execz .LBB581_11
; %bb.10:
	s_load_dwordx2 s[20:21], s[0:1], 0x0
	s_waitcnt lgkmcnt(0)
	s_ashr_i32 s11, s8, 31
	s_mul_hi_u32 s22, s5, s8
	s_mul_i32 s11, s5, s11
	s_add_i32 s23, s22, s11
	s_mul_i32 s22, s5, s8
	s_lshl_b64 s[22:23], s[22:23], 1
	s_add_u32 s20, s20, s22
	v_add_lshl_u32 v6, v1, s40, 7
	s_addc_u32 s21, s21, s23
	v_ashrrev_i32_e32 v7, 31, v6
	v_lshl_add_u64 v[6:7], v[6:7], 1, s[20:21]
	v_mov_b32_e32 v83, 0
	v_lshl_add_u64 v[6:7], v[6:7], 0, v[82:83]
	global_load_dwordx4 v[6:9], v[6:7], off
	v_and_b32_e32 v10, 3, v0
	v_lshlrev_b32_e32 v11, 9, v84
	v_lshlrev_b32_e32 v1, 5, v1
	;; [unrolled: 1-line block ×3, first 2 shown]
	v_and_b32_e32 v11, 0x1800, v11
	v_or3_b32 v1, v11, v10, v1
	s_waitcnt vmcnt(0)
	ds_write_b128 v1, v[6:9]
.LBB581_11:
	s_or_b64 exec, exec, s[16:17]
	s_waitcnt lgkmcnt(0)
	s_mul_i32 s4, s4, s10
	s_mov_b32 s5, 0
	s_lshl_b64 s[4:5], s[4:5], 1
	s_add_u32 s10, s14, s4
	v_lshlrev_b32_e32 v1, 4, v0
	s_addc_u32 s11, s15, s5
	v_and_b32_e32 v86, 0xf0, v1
	v_mov_b32_e32 v87, 0
	v_lshl_add_u64 v[6:7], s[10:11], 0, v[86:87]
	s_waitcnt vmcnt(3)
	v_mad_i64_i32 v[8:9], s[10:11], v5, s9, 0
	s_waitcnt vmcnt(2)
	v_mad_i64_i32 v[4:5], s[10:11], v4, s9, 0
	v_lshl_add_u64 v[8:9], v[8:9], 1, v[6:7]
	v_and_b32_e32 v86, 0x300, v1
	v_lshl_add_u64 v[4:5], v[4:5], 1, v[6:7]
	v_lshl_add_u64 v[8:9], v[8:9], 0, v[86:87]
	;; [unrolled: 1-line block ×3, first 2 shown]
	s_barrier
	global_load_dwordx4 v[78:81], v[8:9], off
	global_load_dwordx4 v[74:77], v[8:9], off offset:1024
	global_load_dwordx4 v[70:73], v[8:9], off offset:2048
	;; [unrolled: 1-line block ×3, first 2 shown]
	global_load_dwordx4 v[66:69], v[4:5], off
	global_load_dwordx4 v[62:65], v[4:5], off offset:1024
	global_load_dwordx4 v[58:61], v[4:5], off offset:2048
	;; [unrolled: 1-line block ×3, first 2 shown]
	s_waitcnt vmcnt(9)
	v_mad_i64_i32 v[4:5], s[10:11], v3, s9, 0
	s_waitcnt vmcnt(8)
	v_mad_i64_i32 v[2:3], s[10:11], v2, s9, 0
	v_lshl_add_u64 v[4:5], v[4:5], 1, v[6:7]
	v_lshl_add_u64 v[2:3], v[2:3], 1, v[6:7]
	;; [unrolled: 1-line block ×4, first 2 shown]
	global_load_dwordx4 v[30:33], v[4:5], off
	global_load_dwordx4 v[26:29], v[4:5], off offset:1024
	global_load_dwordx4 v[22:25], v[4:5], off offset:2048
	;; [unrolled: 1-line block ×3, first 2 shown]
	global_load_dwordx4 v[6:9], v[34:35], off
	s_nop 0
	global_load_dwordx4 v[2:5], v[34:35], off offset:1024
	global_load_dwordx4 v[38:41], v[34:35], off offset:2048
	s_nop 0
	global_load_dwordx4 v[34:37], v[34:35], off offset:3072
	v_mul_lo_u16_e32 v42, 43, v84
	v_mov_b32_e32 v43, 6
	v_mul_lo_u16_sdwa v42, v42, v43 dst_sel:DWORD dst_unused:UNUSED_PAD src0_sel:BYTE_1 src1_sel:DWORD
	v_sub_u16_e32 v42, v84, v42
	v_mov_b32_e32 v43, 5
	v_lshlrev_b32_sdwa v42, v43, v42 dst_sel:DWORD dst_unused:UNUSED_PAD src0_sel:DWORD src1_sel:BYTE_0
	v_lshl_add_u32 v42, v88, 9, v42
	ds_read_b128 v[54:57], v42
	ds_read_b128 v[50:53], v42 offset:2048
	ds_read_b128 v[46:49], v42 offset:4096
	;; [unrolled: 1-line block ×3, first 2 shown]
	v_and_b32_e32 v83, 63, v0
	v_cmp_gt_u32_e32 vcc, 6, v84
	v_mov_b32_e32 v89, 0
	s_and_saveexec_b64 s[10:11], vcc
	s_cbranch_execz .LBB581_13
; %bb.12:
	s_load_dwordx2 s[14:15], s[0:1], 0x40
	v_add_u32_e32 v90, s40, v84
	v_ashrrev_i32_e32 v91, 31, v90
	s_waitcnt lgkmcnt(0)
	v_lshl_add_u64 v[90:91], v[90:91], 2, s[14:15]
	global_load_dword v89, v[90:91], off
.LBB581_13:
	s_or_b64 exec, exec, s[10:11]
	s_waitcnt vmcnt(15) lgkmcnt(3)
	v_mfma_f32_16x16x16_bf16 v[90:93], v[78:79], v[54:55], 0
	s_add_u32 s4, s12, s4
	s_addc_u32 s5, s13, s5
	s_mov_b32 s33, 0xff7fffff
	v_mfma_f32_16x16x16_bf16 v[78:81], v[80:81], v[56:57], v[90:93]
	s_waitcnt vmcnt(14) lgkmcnt(2)
	v_mfma_f32_16x16x16_bf16 v[78:81], v[74:75], v[50:51], v[78:81]
	s_nop 0
	v_lshl_or_b32 v90, v85, 4, v84
	v_lshlrev_b32_e32 v86, 5, v90
	v_mfma_f32_16x16x16_bf16 v[74:77], v[76:77], v[52:53], v[78:81]
	s_waitcnt vmcnt(13) lgkmcnt(1)
	v_mfma_f32_16x16x16_bf16 v[74:77], v[70:71], v[46:47], v[74:77]
	v_mfma_f32_16x16x16_bf16 v[70:73], v[72:73], v[48:49], v[74:77]
	s_waitcnt vmcnt(11)
	v_mfma_f32_16x16x16_bf16 v[74:77], v[66:67], v[54:55], 0
	v_mfma_f32_16x16x16_bf16 v[66:69], v[68:69], v[56:57], v[74:77]
	s_nop 5
	v_and_or_b32 v74, v0, 48, s18
	s_waitcnt lgkmcnt(0)
	v_mfma_f32_16x16x16_bf16 v[70:73], v[10:11], v[42:43], v[70:73]
	v_ashrrev_i32_e32 v10, 4, v74
	v_mov_b32_e32 v75, s19
	v_cmp_gt_i32_e32 vcc, s27, v74
	s_waitcnt vmcnt(10)
	v_mfma_f32_16x16x16_bf16 v[66:69], v[62:63], v[50:51], v[66:69]
	v_cndmask_b32_e32 v10, v75, v10, vcc
	v_ashrrev_i32_e32 v11, 31, v10
	v_lshl_add_u64 v[10:11], v[10:11], 2, s[6:7]
	global_load_dword v76, v[10:11], off
	v_mfma_f32_16x16x16_bf16 v[62:65], v[64:65], v[52:53], v[66:69]
	v_or_b32_e32 v10, 64, v74
	v_ashrrev_i32_e32 v11, 4, v10
	v_cmp_gt_i32_e32 vcc, s27, v10
	s_waitcnt vmcnt(10)
	v_mfma_f32_16x16x16_bf16 v[62:65], v[58:59], v[46:47], v[62:65]
	v_cndmask_b32_e32 v10, v75, v11, vcc
	v_ashrrev_i32_e32 v11, 31, v10
	v_lshl_add_u64 v[10:11], v[10:11], 2, s[6:7]
	global_load_dword v78, v[10:11], off
	v_or_b32_e32 v10, 0x80, v74
	v_mfma_f32_16x16x16_bf16 v[58:61], v[60:61], v[48:49], v[62:65]
	v_ashrrev_i32_e32 v11, 4, v10
	v_cmp_gt_i32_e32 vcc, s27, v10
	s_waitcnt vmcnt(9)
	v_mfma_f32_16x16x16_bf16 v[62:65], v[30:31], v[54:55], 0
	v_cndmask_b32_e32 v10, v75, v11, vcc
	v_ashrrev_i32_e32 v11, 31, v10
	v_lshl_add_u64 v[10:11], v[10:11], 2, s[6:7]
	v_mfma_f32_16x16x16_bf16 v[30:33], v[32:33], v[56:57], v[62:65]
	s_nop 2
	global_load_dword v62, v[10:11], off
	v_or_b32_e32 v10, 0xc0, v74
	v_ashrrev_i32_e32 v11, 4, v10
	v_cmp_gt_i32_e32 vcc, s27, v10
	s_waitcnt vmcnt(9)
	v_mfma_f32_16x16x16_bf16 v[30:33], v[26:27], v[50:51], v[30:33]
	v_cndmask_b32_e32 v10, v75, v11, vcc
	v_ashrrev_i32_e32 v11, 31, v10
	v_lshl_add_u64 v[10:11], v[10:11], 2, s[6:7]
	global_load_dword v63, v[10:11], off
	v_mfma_f32_16x16x16_bf16 v[26:29], v[28:29], v[52:53], v[30:33]
	s_load_dword s6, s[0:1], 0x1c
	s_waitcnt vmcnt(3)
	v_mad_i64_i32 v[10:11], s[10:11], v76, s9, 0
	v_mfma_f32_16x16x16_bf16 v[26:29], v[22:23], v[46:47], v[26:29]
	v_lshlrev_b64 v[76:77], 1, v[10:11]
	v_mfma_f32_16x16x16_bf16 v[64:67], v[12:13], v[44:45], v[70:73]
	v_mfma_f32_16x16x16_bf16 v[10:13], v[24:25], v[48:49], v[26:29]
	s_nop 1
	v_lshl_add_u64 v[72:73], s[4:5], 0, v[86:87]
	v_or_b32_e32 v86, 0x800, v86
	v_mfma_f32_16x16x16_bf16 v[30:33], v[14:15], v[42:43], v[58:61]
	v_lshl_add_u64 v[14:15], v[72:73], 0, v[76:77]
	v_mfma_f32_16x16x16_bf16 v[10:13], v[18:19], v[42:43], v[10:13]
	v_mfma_f32_16x16x16_bf16 v[68:71], v[16:17], v[44:45], v[30:33]
	s_nop 3
	global_load_dwordx4 v[30:33], v[14:15], off
	global_load_dwordx4 v[26:29], v[14:15], off offset:16
	s_waitcnt vmcnt(4)
	v_mad_i64_i32 v[14:15], s[10:11], v78, s9, 0
	v_lshlrev_b64 v[58:59], 1, v[14:15]
	v_mfma_f32_16x16x16_bf16 v[92:95], v[20:21], v[44:45], v[10:13]
	s_waitcnt lgkmcnt(0)
	v_pk_mul_f32 v[78:79], s[6:7], v[66:67] op_sel_hi:[0,1]
	s_nop 0
	v_lshl_add_u64 v[10:11], v[72:73], 0, v[58:59]
	global_load_dwordx4 v[22:25], v[10:11], off
	global_load_dwordx4 v[18:21], v[10:11], off offset:16
	v_mfma_f32_16x16x16_bf16 v[10:13], v[6:7], v[54:55], 0
	s_waitcnt vmcnt(5)
	v_mad_i64_i32 v[6:7], s[10:11], v62, s9, 0
	v_lshlrev_b64 v[54:55], 1, v[6:7]
	v_mfma_f32_16x16x16_bf16 v[6:9], v[8:9], v[56:57], v[10:13]
	v_mfma_f32_16x16x16_bf16 v[6:9], v[2:3], v[50:51], v[6:9]
	s_waitcnt vmcnt(4)
	v_mad_i64_i32 v[2:3], s[8:9], v63, s9, 0
	v_lshlrev_b64 v[50:51], 1, v[2:3]
	v_mfma_f32_16x16x16_bf16 v[60:63], v[4:5], v[52:53], v[6:9]
	v_lshl_add_u64 v[10:11], v[72:73], 0, v[54:55]
	v_lshl_add_u64 v[2:3], v[72:73], 0, v[50:51]
	v_pk_mul_f32 v[52:53], s[6:7], v[64:65] op_sel_hi:[0,1]
	v_mfma_f32_16x16x16_bf16 v[72:75], v[38:39], v[46:47], v[60:63]
	global_load_dwordx4 v[14:17], v[10:11], off
	s_nop 0
	global_load_dwordx4 v[10:13], v[10:11], off offset:16
	v_lshl_add_u64 v[62:63], s[4:5], 0, v[86:87]
	v_lshl_add_u64 v[38:39], v[62:63], 0, v[76:77]
	v_mfma_f32_16x16x16_bf16 v[46:49], v[40:41], v[48:49], v[72:75]
	v_pk_mul_f32 v[76:77], s[6:7], v[68:69] op_sel_hi:[0,1]
	v_lshl_add_u64 v[54:55], v[62:63], 0, v[54:55]
	v_lshl_add_u64 v[50:51], v[62:63], 0, v[50:51]
	v_mfma_f32_16x16x16_bf16 v[40:43], v[34:35], v[42:43], v[46:49]
	v_pk_mul_f32 v[74:75], s[6:7], v[70:71] op_sel_hi:[0,1]
	v_pk_mul_f32 v[70:71], s[6:7], v[94:95] op_sel_hi:[0,1]
	;; [unrolled: 1-line block ×3, first 2 shown]
	v_mfma_f32_16x16x16_bf16 v[34:37], v[36:37], v[44:45], v[40:43]
	global_load_dwordx4 v[6:9], v[2:3], off
	s_nop 0
	global_load_dwordx4 v[2:5], v[2:3], off offset:16
	s_nop 3
	v_pk_mul_f32 v[68:69], s[6:7], v[34:35] op_sel_hi:[0,1]
	v_and_b32_e32 v34, 0xc0, v0
	v_add_u32_e32 v34, s18, v34
	v_lshl_or_b32 v34, v88, 2, v34
	v_or_b32_e32 v35, 1, v34
	v_pk_mul_f32 v[66:67], s[6:7], v[36:37] op_sel_hi:[0,1]
	v_subrev_u32_e32 v36, s27, v35
	v_add_u32_e32 v40, 1, v36
	v_add_u32_e32 v41, 2, v36
	v_cvt_f32_i32_e32 v37, v36
	v_cvt_f32_i32_e32 v40, v40
	;; [unrolled: 1-line block ×3, first 2 shown]
	v_add_u32_e32 v42, 3, v36
	v_fma_f32 v52, v89, v37, v52
	v_fmac_f32_e32 v53, v89, v40
	v_fma_f32 v78, v89, v41, v78
	v_add_u32_e32 v37, 16, v36
	v_add_u32_e32 v40, 17, v36
	;; [unrolled: 1-line block ×3, first 2 shown]
	v_cvt_f32_i32_e32 v42, v42
	v_cvt_f32_i32_e32 v37, v37
	;; [unrolled: 1-line block ×4, first 2 shown]
	v_fmac_f32_e32 v79, v89, v42
	v_add_u32_e32 v42, 19, v36
	v_fma_f32 v76, v89, v37, v76
	v_fmac_f32_e32 v77, v89, v40
	v_fma_f32 v74, v89, v41, v74
	v_add_u32_e32 v37, 32, v36
	v_add_u32_e32 v40, 33, v36
	v_add_u32_e32 v41, 34, v36
	v_cvt_f32_i32_e32 v42, v42
	v_cvt_f32_i32_e32 v37, v37
	;; [unrolled: 1-line block ×4, first 2 shown]
	v_fmac_f32_e32 v75, v89, v42
	v_add_u32_e32 v42, 35, v36
	v_fma_f32 v72, v89, v37, v72
	v_fmac_f32_e32 v73, v89, v40
	v_fma_f32 v70, v89, v41, v70
	v_add_u32_e32 v37, 48, v36
	v_add_u32_e32 v40, 49, v36
	;; [unrolled: 1-line block ×4, first 2 shown]
	v_cvt_f32_i32_e32 v36, v36
	v_cvt_f32_i32_e32 v37, v37
	;; [unrolled: 1-line block ×3, first 2 shown]
	v_cmp_gt_i32_e64 s[28:29], s27, v34
	v_fmac_f32_e32 v67, v89, v36
	v_mov_b32_e32 v36, 0xff7fffff
	v_cmp_gt_i32_e64 s[30:31], s27, v35
	v_fma_f32 v68, v89, v37, v68
	v_cndmask_b32_e64 v37, v36, v52, s[28:29]
	v_cndmask_b32_e64 v35, v36, v53, s[30:31]
	v_fmac_f32_e32 v69, v89, v40
	v_max3_f32 v35, v37, s33, v35
	v_or_b32_e32 v37, 2, v34
	v_or_b32_e32 v40, 3, v34
	v_cmp_gt_i32_e64 s[34:35], s27, v37
	v_cmp_gt_i32_e64 s[36:37], s27, v40
	v_cvt_f32_i32_e32 v42, v42
	v_cndmask_b32_e64 v37, v36, v78, s[34:35]
	v_cndmask_b32_e64 v40, v36, v79, s[36:37]
	v_max3_f32 v35, v35, v37, v40
	v_or_b32_e32 v37, 16, v34
	v_or_b32_e32 v40, 17, v34
	v_cmp_gt_i32_e64 s[22:23], s27, v37
	v_cmp_gt_i32_e64 s[24:25], s27, v40
	v_fmac_f32_e32 v71, v89, v42
	v_cndmask_b32_e64 v37, v36, v76, s[22:23]
	v_cndmask_b32_e64 v40, v36, v77, s[24:25]
	v_max3_f32 v35, v35, v37, v40
	v_or_b32_e32 v37, 18, v34
	v_or_b32_e32 v40, 19, v34
	v_cmp_gt_i32_e64 s[18:19], s27, v37
	v_cmp_gt_i32_e64 s[20:21], s27, v40
	v_cvt_f32_i32_e32 v41, v41
	v_cndmask_b32_e64 v37, v36, v74, s[18:19]
	v_cndmask_b32_e64 v40, v36, v75, s[20:21]
	v_max3_f32 v35, v35, v37, v40
	v_or_b32_e32 v37, 32, v34
	v_or_b32_e32 v40, 33, v34
	v_cmp_gt_i32_e64 s[14:15], s27, v37
	v_cmp_gt_i32_e64 s[16:17], s27, v40
	v_fma_f32 v66, v89, v41, v66
	v_cndmask_b32_e64 v37, v36, v72, s[14:15]
	v_cndmask_b32_e64 v40, v36, v73, s[16:17]
	v_max3_f32 v35, v35, v37, v40
	v_or_b32_e32 v37, 34, v34
	v_or_b32_e32 v40, 35, v34
	v_cmp_gt_i32_e64 s[10:11], s27, v37
	v_cmp_gt_i32_e64 s[12:13], s27, v40
	s_nop 0
	v_cndmask_b32_e64 v37, v36, v70, s[10:11]
	v_cndmask_b32_e64 v40, v36, v71, s[12:13]
	v_max3_f32 v35, v35, v37, v40
	v_or_b32_e32 v37, 48, v34
	v_or_b32_e32 v40, 49, v34
	v_cmp_gt_i32_e64 s[6:7], s27, v37
	v_cmp_gt_i32_e64 s[8:9], s27, v40
	s_nop 0
	v_cndmask_b32_e64 v37, v36, v68, s[6:7]
	v_cndmask_b32_e64 v40, v36, v69, s[8:9]
	v_max3_f32 v35, v35, v37, v40
	v_or_b32_e32 v37, 50, v34
	v_or_b32_e32 v34, 51, v34
	v_cmp_gt_i32_e32 vcc, s27, v37
	v_cmp_gt_i32_e64 s[4:5], s27, v34
	global_load_dwordx4 v[46:49], v[38:39], off
	s_nop 0
	global_load_dwordx4 v[38:41], v[38:39], off offset:16
	v_cndmask_b32_e32 v37, v36, v66, vcc
	v_cndmask_b32_e64 v34, v36, v67, s[4:5]
	v_max3_f32 v56, v35, v37, v34
	v_mbcnt_lo_u32_b32 v34, -1, 0
	v_mbcnt_hi_u32_b32 v57, -1, v34
	v_and_b32_e32 v34, 64, v57
	v_add_u32_e32 v60, 64, v34
	v_xor_b32_e32 v34, 32, v57
	v_cmp_lt_i32_e64 s[38:39], v34, v60
	s_nop 1
	v_cndmask_b32_e64 v34, v57, v34, s[38:39]
	v_lshlrev_b32_e32 v87, 2, v34
	ds_bpermute_b32 v61, v87, v56
	v_lshl_add_u64 v[34:35], v[62:63], 0, v[58:59]
	global_load_dwordx4 v[42:45], v[34:35], off
	s_nop 0
	global_load_dwordx4 v[34:37], v[34:35], off offset:16
	s_waitcnt lgkmcnt(0)
	v_max_f32_e32 v58, v61, v61
	v_max_f32_e32 v64, v56, v58
	v_xor_b32_e32 v56, 16, v57
	v_cmp_lt_i32_e64 s[38:39], v56, v60
	s_nop 1
	v_cndmask_b32_e64 v56, v57, v56, s[38:39]
	v_lshlrev_b32_e32 v89, 2, v56
	ds_bpermute_b32 v65, v89, v64
	global_load_dwordx4 v[58:61], v[54:55], off
	s_nop 0
	global_load_dwordx4 v[54:57], v[54:55], off offset:16
	s_waitcnt lgkmcnt(0)
	v_max_f32_e32 v62, v65, v65
	v_max_f32_e32 v86, v64, v62
	v_sub_f32_e32 v52, v52, v86
	v_mul_f32_e32 v52, 0x3fb8aa3b, v52
	v_exp_f32_e32 v80, v52
	v_sub_f32_e32 v52, v53, v86
	v_mul_f32_e32 v52, 0x3fb8aa3b, v52
	v_exp_f32_e32 v81, v52
	global_load_dwordx4 v[62:65], v[50:51], off
	s_nop 0
	global_load_dwordx4 v[50:53], v[50:51], off offset:16
	v_sub_f32_e32 v78, v78, v86
	v_mul_f32_e32 v78, 0x3fb8aa3b, v78
	v_sub_f32_e32 v79, v79, v86
	v_exp_f32_e32 v78, v78
	v_mul_f32_e32 v79, 0x3fb8aa3b, v79
	v_sub_f32_e32 v76, v76, v86
	v_exp_f32_e32 v79, v79
	v_mul_f32_e32 v76, 0x3fb8aa3b, v76
	v_sub_f32_e32 v77, v77, v86
	v_cndmask_b32_e64 v80, 0, v80, s[28:29]
	v_exp_f32_e32 v76, v76
	v_mul_f32_e32 v77, 0x3fb8aa3b, v77
	v_sub_f32_e32 v74, v74, v86
	v_add_f32_e32 v91, 0, v80
	v_cndmask_b32_e64 v81, 0, v81, s[30:31]
	v_exp_f32_e32 v77, v77
	v_mul_f32_e32 v74, 0x3fb8aa3b, v74
	v_sub_f32_e32 v75, v75, v86
	v_add_f32_e32 v91, v91, v81
	;; [unrolled: 5-line block ×10, first 2 shown]
	v_cndmask_b32_e64 v70, 0, v70, s[10:11]
	v_exp_f32_e32 v66, v66
	v_mul_f32_e32 v67, 0x3fb8aa3b, v67
	v_add_f32_e32 v91, v91, v70
	v_cndmask_b32_e64 v71, 0, v71, s[12:13]
	v_exp_f32_e32 v67, v67
	v_add_f32_e32 v91, v91, v71
	v_cndmask_b32_e64 v68, 0, v68, s[6:7]
	v_add_f32_e32 v91, v91, v68
	v_cndmask_b32_e64 v69, 0, v69, s[8:9]
	v_add_f32_e32 v91, v91, v69
	v_cndmask_b32_e32 v66, 0, v66, vcc
	v_add_f32_e32 v91, v91, v66
	v_cndmask_b32_e64 v67, 0, v67, s[4:5]
	v_add_f32_e32 v91, v91, v67
	ds_bpermute_b32 v87, v87, v91
	s_load_dword s7, s[0:1], 0x98
	v_cmp_gt_u32_e32 vcc, 16, v83
	s_waitcnt lgkmcnt(0)
	s_barrier
	v_add_f32_e32 v87, v91, v87
	ds_bpermute_b32 v89, v89, v87
	s_waitcnt lgkmcnt(0)
	s_and_saveexec_b64 s[4:5], vcc
	s_cbranch_execz .LBB581_15
; %bb.14:
	v_add_f32_e32 v83, v87, v89
	v_lshlrev_b32_e32 v87, 2, v90
	ds_write2st64_b32 v87, v86, v83 offset1:1
.LBB581_15:
	s_or_b64 exec, exec, s[4:5]
	v_lshlrev_b32_e32 v89, 2, v84
	s_load_dword s6, s[0:1], 0x94
	s_waitcnt lgkmcnt(0)
	s_barrier
	ds_read2_b32 v[86:87], v89 offset1:16
	ds_read2_b32 v[90:91], v89 offset0:32 offset1:48
	ds_read2_b32 v[92:93], v89 offset0:64 offset1:80
	;; [unrolled: 1-line block ×3, first 2 shown]
	s_movk_i32 s8, 0x7fff
	s_waitcnt lgkmcnt(3)
	v_max3_f32 v83, v86, s33, v87
	s_waitcnt lgkmcnt(2)
	v_max3_f32 v83, v83, v90, v91
	v_sub_f32_e32 v86, v86, v83
	v_mul_f32_e32 v86, 0x3fb8aa3b, v86
	v_exp_f32_e32 v1, v86
	v_sub_f32_e32 v86, v87, v83
	v_mul_f32_e32 v86, 0x3fb8aa3b, v86
	v_exp_f32_e32 v87, v86
	v_sub_f32_e32 v86, v90, v83
	v_mul_f32_e32 v86, 0x3fb8aa3b, v86
	v_exp_f32_e32 v90, v86
	v_sub_f32_e32 v86, v91, v83
	v_mul_f32_e32 v86, 0x3fb8aa3b, v86
	v_exp_f32_e32 v89, v86
	s_waitcnt lgkmcnt(1)
	v_fma_f32 v86, v1, v92, 0
	v_fmac_f32_e32 v86, v87, v93
	s_waitcnt lgkmcnt(0)
	v_fmac_f32_e32 v86, v90, v94
	v_fmac_f32_e32 v86, v89, v95
	v_add_f32_e32 v91, 0x358637bd, v86
	v_div_scale_f32 v92, s[4:5], v91, v91, 1.0
	v_rcp_f32_e32 v93, v92
	s_mov_b32 s9, 0x7060302
	s_mul_i32 s7, s7, 6
	v_fma_f32 v94, -v92, v93, 1.0
	v_fmac_f32_e32 v93, v94, v93
	v_div_scale_f32 v94, vcc, 1.0, v91, 1.0
	v_mul_f32_e32 v95, v94, v93
	v_fma_f32 v88, -v92, v95, v94
	v_fmac_f32_e32 v95, v88, v93
	v_fma_f32 v88, -v92, v95, v94
	v_div_fmas_f32 v88, v88, v93, v95
	v_cmp_eq_u32_e32 vcc, 1, v85
	v_div_fixup_f32 v88, v88, v91, 1.0
	s_barrier
	v_cndmask_b32_e32 v1, v1, v87, vcc
	v_cmp_eq_u32_e32 vcc, 2, v85
	s_nop 1
	v_cndmask_b32_e32 v1, v1, v90, vcc
	v_cmp_eq_u32_e32 vcc, 3, v85
	s_nop 1
	v_cndmask_b32_e32 v1, v1, v89, vcc
	v_mul_f32_e32 v90, v1, v88
	v_pk_mul_f32 v[80:81], v[90:91], v[80:81] op_sel_hi:[0,1]
	v_bfe_u32 v1, v81, 16, 1
	v_bfe_u32 v87, v80, 16, 1
	v_pk_mul_f32 v[78:79], v[90:91], v[78:79] op_sel_hi:[0,1]
	v_add3_u32 v80, v80, v87, s8
	v_add3_u32 v1, v81, v1, s8
	v_perm_b32 v80, v1, v80, s9
	v_bfe_u32 v1, v79, 16, 1
	v_bfe_u32 v81, v78, 16, 1
	v_add3_u32 v78, v78, v81, s8
	v_add3_u32 v1, v79, v1, s8
	v_bfe_u32 v87, v0, 4, 2
	v_perm_b32 v81, v1, v78, s9
	v_lshlrev_b32_e32 v1, 3, v87
	v_lshlrev_b32_e32 v79, 5, v84
	v_lshlrev_b32_e32 v78, 11, v85
	v_pk_mul_f32 v[76:77], v[90:91], v[76:77] op_sel_hi:[0,1]
	v_or3_b32 v78, v78, v79, v1
	v_bfe_u32 v1, v77, 16, 1
	v_bfe_u32 v85, v76, 16, 1
	v_pk_mul_f32 v[74:75], v[90:91], v[74:75] op_sel_hi:[0,1]
	v_add3_u32 v76, v76, v85, s8
	v_add3_u32 v1, v77, v1, s8
	v_perm_b32 v76, v1, v76, s9
	v_bfe_u32 v1, v75, 16, 1
	v_bfe_u32 v77, v74, 16, 1
	v_add3_u32 v74, v74, v77, s8
	v_add3_u32 v1, v75, v1, s8
	v_pk_mul_f32 v[72:73], v[90:91], v[72:73] op_sel_hi:[0,1]
	v_perm_b32 v77, v1, v74, s9
	v_bfe_u32 v1, v73, 16, 1
	v_bfe_u32 v74, v72, 16, 1
	v_pk_mul_f32 v[70:71], v[90:91], v[70:71] op_sel_hi:[0,1]
	v_add3_u32 v72, v72, v74, s8
	v_add3_u32 v1, v73, v1, s8
	v_perm_b32 v72, v1, v72, s9
	v_bfe_u32 v1, v71, 16, 1
	v_bfe_u32 v73, v70, 16, 1
	v_add3_u32 v70, v70, v73, s8
	v_add3_u32 v1, v71, v1, s8
	v_pk_mul_f32 v[68:69], v[90:91], v[68:69] op_sel_hi:[0,1]
	v_perm_b32 v73, v1, v70, s9
	v_bfe_u32 v1, v69, 16, 1
	v_bfe_u32 v70, v68, 16, 1
	v_pk_mul_f32 v[66:67], v[90:91], v[66:67] op_sel_hi:[0,1]
	v_add3_u32 v68, v68, v70, s8
	v_add3_u32 v1, v69, v1, s8
	v_perm_b32 v68, v1, v68, s9
	v_bfe_u32 v1, v67, 16, 1
	v_bfe_u32 v69, v66, 16, 1
	v_add3_u32 v66, v66, v69, s8
	v_add3_u32 v1, v67, v1, s8
	v_perm_b32 v69, v1, v66, s9
	v_cmp_gt_u32_e32 vcc, 6, v0
	ds_write2st64_b64 v78, v[80:81], v[76:77] offset1:1
	ds_write2st64_b64 v78, v[72:73], v[68:69] offset0:2 offset1:3
	s_and_saveexec_b64 s[4:5], vcc
	s_cbranch_execz .LBB581_17
; %bb.16:
	s_mov_b32 s41, 0
	v_mov_b32_e32 v85, 0
	v_lshl_add_u64 v[66:67], s[40:41], 0, v[84:85]
	v_mov_b32_e32 v1, s7
	v_mad_u64_u32 v[66:67], s[10:11], s2, v1, v[66:67]
	s_mul_i32 s3, s3, s7
	v_mov_b32_e32 v68, s26
	v_mov_b32_e32 v69, v85
	s_load_dwordx4 s[12:15], s[0:1], 0x58
	v_add_u32_e32 v1, s3, v67
	v_mad_u64_u32 v[66:67], s[10:11], v66, s6, v[68:69]
	v_mov_b32_e32 v68, v67
	v_mad_u64_u32 v[68:69], s[10:11], v1, s6, v[68:69]
	v_mov_b32_e32 v67, v68
	v_lshlrev_b64 v[66:67], 2, v[66:67]
	s_waitcnt lgkmcnt(0)
	v_lshl_add_u64 v[68:69], s[14:15], 0, v[66:67]
	v_lshl_add_u64 v[66:67], s[12:13], 0, v[66:67]
	global_store_dword v[68:69], v83, off
	global_store_dword v[66:67], v86, off
.LBB581_17:
	s_or_b64 exec, exec, s[4:5]
	v_lshl_or_b32 v1, v87, 9, v79
	s_waitcnt lgkmcnt(0)
	s_barrier
	ds_read_b128 v[70:73], v1
	ds_read_b128 v[66:69], v1 offset:16
	s_waitcnt vmcnt(15) lgkmcnt(1)
	v_mfma_f32_16x16x16_bf16 v[74:77], v[30:31], v[70:71], 0
	s_mov_b32 s3, 0
	v_cmp_gt_u32_e32 vcc, 64, v0
	v_mfma_f32_16x16x16_bf16 v[30:33], v[32:33], v[72:73], v[74:77]
	s_waitcnt vmcnt(14) lgkmcnt(0)
	v_mfma_f32_16x16x16_bf16 v[30:33], v[26:27], v[66:67], v[30:33]
	v_mfma_f32_16x16x16_bf16 v[26:29], v[28:29], v[68:69], v[30:33]
	s_nop 5
	ds_read_b128 v[30:33], v1 offset:2048
	ds_read_b128 v[74:77], v1 offset:2064
	s_waitcnt vmcnt(13) lgkmcnt(1)
	v_mfma_f32_16x16x16_bf16 v[26:29], v[22:23], v[30:31], v[26:29]
	v_mfma_f32_16x16x16_bf16 v[22:25], v[24:25], v[32:33], v[26:29]
	s_waitcnt vmcnt(12) lgkmcnt(0)
	v_mfma_f32_16x16x16_bf16 v[22:25], v[18:19], v[74:75], v[22:25]
	v_mfma_f32_16x16x16_bf16 v[18:21], v[20:21], v[76:77], v[22:25]
	s_nop 5
	ds_read_b128 v[22:25], v1 offset:4096
	ds_read_b128 v[26:29], v1 offset:4112
	s_waitcnt vmcnt(11) lgkmcnt(1)
	v_mfma_f32_16x16x16_bf16 v[18:21], v[14:15], v[22:23], v[18:21]
	v_mfma_f32_16x16x16_bf16 v[14:17], v[16:17], v[24:25], v[18:21]
	s_waitcnt vmcnt(10) lgkmcnt(0)
	v_mfma_f32_16x16x16_bf16 v[14:17], v[10:11], v[26:27], v[14:17]
	v_mfma_f32_16x16x16_bf16 v[10:13], v[12:13], v[28:29], v[14:17]
	s_nop 5
	ds_read_b128 v[14:17], v1 offset:6144
	ds_read_b128 v[18:21], v1 offset:6160
	s_waitcnt lgkmcnt(0)
	s_barrier
	s_waitcnt vmcnt(9)
	v_mfma_f32_16x16x16_bf16 v[10:13], v[6:7], v[14:15], v[10:13]
	v_mfma_f32_16x16x16_bf16 v[6:9], v[8:9], v[16:17], v[10:13]
	s_waitcnt vmcnt(8)
	v_mfma_f32_16x16x16_bf16 v[6:9], v[2:3], v[18:19], v[6:9]
	v_mfma_f32_16x16x16_bf16 v[2:5], v[4:5], v[20:21], v[6:9]
	;; [unrolled: 3-line block ×3, first 2 shown]
	s_nop 3
	v_bfe_u32 v1, v3, 16, 1
	v_bfe_u32 v10, v2, 16, 1
	v_add3_u32 v2, v2, v10, s8
	s_waitcnt vmcnt(6)
	v_mfma_f32_16x16x16_bf16 v[6:9], v[38:39], v[66:67], v[6:9]
	v_add3_u32 v1, v3, v1, s8
	v_perm_b32 v10, v1, v2, s9
	v_bfe_u32 v1, v5, 16, 1
	v_mfma_f32_16x16x16_bf16 v[6:9], v[40:41], v[68:69], v[6:9]
	v_bfe_u32 v2, v4, 16, 1
	v_add3_u32 v2, v4, v2, s8
	v_add3_u32 v1, v5, v1, s8
	s_waitcnt vmcnt(5)
	v_mfma_f32_16x16x16_bf16 v[6:9], v[42:43], v[30:31], v[6:9]
	v_perm_b32 v11, v1, v2, s9
	v_mfma_f32_16x16x16_bf16 v[6:9], v[44:45], v[32:33], v[6:9]
	s_waitcnt vmcnt(4)
	v_mfma_f32_16x16x16_bf16 v[6:9], v[34:35], v[74:75], v[6:9]
	v_mfma_f32_16x16x16_bf16 v[6:9], v[36:37], v[76:77], v[6:9]
	s_waitcnt vmcnt(3)
	v_mfma_f32_16x16x16_bf16 v[6:9], v[58:59], v[22:23], v[6:9]
	;; [unrolled: 3-line block ×5, first 2 shown]
	v_mfma_f32_16x16x16_bf16 v[2:5], v[52:53], v[20:21], v[6:9]
	s_nop 6
	v_bfe_u32 v1, v3, 16, 1
	v_bfe_u32 v6, v2, 16, 1
	v_add3_u32 v2, v2, v6, s8
	v_add3_u32 v1, v3, v1, s8
	v_perm_b32 v2, v1, v2, s9
	v_bfe_u32 v1, v5, 16, 1
	v_bfe_u32 v3, v4, 16, 1
	v_add3_u32 v3, v4, v3, s8
	v_add3_u32 v1, v5, v1, s8
	v_perm_b32 v3, v1, v3, s9
	ds_write2st64_b64 v78, v[10:11], v[2:3] offset1:1
	s_waitcnt lgkmcnt(0)
	s_barrier
	s_and_saveexec_b64 s[4:5], vcc
	s_cbranch_execz .LBB581_20
; %bb.18:
	s_load_dwordx2 s[4:5], s[0:1], 0x68
	s_lshl_b32 s0, s6, 7
	s_mul_i32 s1, s7, s2
	v_lshlrev_b32_e32 v4, 6, v84
	s_mul_hi_u32 s7, s1, s0
	s_mul_i32 s6, s1, s0
	v_lshlrev_b32_e32 v3, 4, v0
	v_lshl_or_b32 v0, v0, 10, v4
	s_lshl_b64 s[6:7], s[6:7], 1
	v_lshlrev_b32_e32 v1, 5, v87
	v_and_b32_e32 v3, 16, v3
	v_and_b32_e32 v0, 0x1a00, v0
	s_waitcnt lgkmcnt(0)
	s_add_u32 s1, s4, s6
	v_or3_b32 v3, v0, v1, v3
	s_addc_u32 s4, s5, s7
	s_lshl_b32 s2, s26, 7
	s_lshl_b64 s[2:3], s[2:3], 1
	ds_read_b128 v[4:7], v3
	s_add_u32 s2, s1, s2
	s_addc_u32 s3, s4, s3
	v_mov_b32_e32 v83, 0
	v_add_u32_e32 v8, s40, v87
	v_or_b32_e32 v2, 4, v87
	v_lshl_add_u64 v[0:1], s[2:3], 0, v[82:83]
	v_mad_u64_u32 v[8:9], s[2:3], v8, s0, 0
	v_lshl_add_u64 v[8:9], v[8:9], 1, v[0:1]
	v_cmp_gt_u32_e32 vcc, 6, v2
	s_waitcnt lgkmcnt(0)
	global_store_dwordx4 v[8:9], v[4:7], off
	s_and_b64 exec, exec, vcc
	s_cbranch_execz .LBB581_20
; %bb.19:
	ds_read_b128 v[4:7], v3 offset:128
	v_add_u32_e32 v2, s40, v2
	v_mad_u64_u32 v[2:3], s[0:1], v2, s0, 0
	v_lshl_add_u64 v[0:1], v[2:3], 1, v[0:1]
	s_waitcnt lgkmcnt(0)
	global_store_dwordx4 v[0:1], v[4:7], off
.LBB581_20:
	s_endpgm
	.section	.rodata,"a",@progbits
	.p2align	6, 0x0
	.amdhsa_kernel _Z39paged_attention_ll4mi_QKV_mfma16_kernelI14__hip_bfloat16S0_LN4vllm18Fp8KVCacheDataTypeE0EhLi16ELi128ELi256ELb1ELi6EEvPKT_PKT0_S8_ifPKiSA_SA_iPKfiiiPfSD_PS3_PT2_iSC_SC_
		.amdhsa_group_segment_fixed_size 8192
		.amdhsa_private_segment_fixed_size 0
		.amdhsa_kernarg_size 400
		.amdhsa_user_sgpr_count 2
		.amdhsa_user_sgpr_dispatch_ptr 0
		.amdhsa_user_sgpr_queue_ptr 0
		.amdhsa_user_sgpr_kernarg_segment_ptr 1
		.amdhsa_user_sgpr_dispatch_id 0
		.amdhsa_user_sgpr_kernarg_preload_length 0
		.amdhsa_user_sgpr_kernarg_preload_offset 0
		.amdhsa_user_sgpr_private_segment_size 0
		.amdhsa_uses_dynamic_stack 0
		.amdhsa_enable_private_segment 0
		.amdhsa_system_sgpr_workgroup_id_x 1
		.amdhsa_system_sgpr_workgroup_id_y 1
		.amdhsa_system_sgpr_workgroup_id_z 1
		.amdhsa_system_sgpr_workgroup_info 0
		.amdhsa_system_vgpr_workitem_id 0
		.amdhsa_next_free_vgpr 96
		.amdhsa_next_free_sgpr 42
		.amdhsa_accum_offset 96
		.amdhsa_reserve_vcc 1
		.amdhsa_float_round_mode_32 0
		.amdhsa_float_round_mode_16_64 0
		.amdhsa_float_denorm_mode_32 3
		.amdhsa_float_denorm_mode_16_64 3
		.amdhsa_dx10_clamp 1
		.amdhsa_ieee_mode 1
		.amdhsa_fp16_overflow 0
		.amdhsa_tg_split 0
		.amdhsa_exception_fp_ieee_invalid_op 0
		.amdhsa_exception_fp_denorm_src 0
		.amdhsa_exception_fp_ieee_div_zero 0
		.amdhsa_exception_fp_ieee_overflow 0
		.amdhsa_exception_fp_ieee_underflow 0
		.amdhsa_exception_fp_ieee_inexact 0
		.amdhsa_exception_int_div_zero 0
	.end_amdhsa_kernel
	.section	.text._Z39paged_attention_ll4mi_QKV_mfma16_kernelI14__hip_bfloat16S0_LN4vllm18Fp8KVCacheDataTypeE0EhLi16ELi128ELi256ELb1ELi6EEvPKT_PKT0_S8_ifPKiSA_SA_iPKfiiiPfSD_PS3_PT2_iSC_SC_,"axG",@progbits,_Z39paged_attention_ll4mi_QKV_mfma16_kernelI14__hip_bfloat16S0_LN4vllm18Fp8KVCacheDataTypeE0EhLi16ELi128ELi256ELb1ELi6EEvPKT_PKT0_S8_ifPKiSA_SA_iPKfiiiPfSD_PS3_PT2_iSC_SC_,comdat
.Lfunc_end581:
	.size	_Z39paged_attention_ll4mi_QKV_mfma16_kernelI14__hip_bfloat16S0_LN4vllm18Fp8KVCacheDataTypeE0EhLi16ELi128ELi256ELb1ELi6EEvPKT_PKT0_S8_ifPKiSA_SA_iPKfiiiPfSD_PS3_PT2_iSC_SC_, .Lfunc_end581-_Z39paged_attention_ll4mi_QKV_mfma16_kernelI14__hip_bfloat16S0_LN4vllm18Fp8KVCacheDataTypeE0EhLi16ELi128ELi256ELb1ELi6EEvPKT_PKT0_S8_ifPKiSA_SA_iPKfiiiPfSD_PS3_PT2_iSC_SC_
                                        ; -- End function
	.section	.AMDGPU.csdata,"",@progbits
; Kernel info:
; codeLenInByte = 4984
; NumSgprs: 48
; NumVgprs: 96
; NumAgprs: 0
; TotalNumVgprs: 96
; ScratchSize: 0
; MemoryBound: 0
; FloatMode: 240
; IeeeMode: 1
; LDSByteSize: 8192 bytes/workgroup (compile time only)
; SGPRBlocks: 5
; VGPRBlocks: 11
; NumSGPRsForWavesPerEU: 48
; NumVGPRsForWavesPerEU: 96
; AccumOffset: 96
; Occupancy: 5
; WaveLimiterHint : 1
; COMPUTE_PGM_RSRC2:SCRATCH_EN: 0
; COMPUTE_PGM_RSRC2:USER_SGPR: 2
; COMPUTE_PGM_RSRC2:TRAP_HANDLER: 0
; COMPUTE_PGM_RSRC2:TGID_X_EN: 1
; COMPUTE_PGM_RSRC2:TGID_Y_EN: 1
; COMPUTE_PGM_RSRC2:TGID_Z_EN: 1
; COMPUTE_PGM_RSRC2:TIDIG_COMP_CNT: 0
; COMPUTE_PGM_RSRC3_GFX90A:ACCUM_OFFSET: 23
; COMPUTE_PGM_RSRC3_GFX90A:TG_SPLIT: 0
	.section	.text._Z39paged_attention_ll4mi_QKV_mfma16_kernelI14__hip_bfloat16S0_LN4vllm18Fp8KVCacheDataTypeE0EhLi16ELi128ELi256ELb1ELi7EEvPKT_PKT0_S8_ifPKiSA_SA_iPKfiiiPfSD_PS3_PT2_iSC_SC_,"axG",@progbits,_Z39paged_attention_ll4mi_QKV_mfma16_kernelI14__hip_bfloat16S0_LN4vllm18Fp8KVCacheDataTypeE0EhLi16ELi128ELi256ELb1ELi7EEvPKT_PKT0_S8_ifPKiSA_SA_iPKfiiiPfSD_PS3_PT2_iSC_SC_,comdat
	.protected	_Z39paged_attention_ll4mi_QKV_mfma16_kernelI14__hip_bfloat16S0_LN4vllm18Fp8KVCacheDataTypeE0EhLi16ELi128ELi256ELb1ELi7EEvPKT_PKT0_S8_ifPKiSA_SA_iPKfiiiPfSD_PS3_PT2_iSC_SC_ ; -- Begin function _Z39paged_attention_ll4mi_QKV_mfma16_kernelI14__hip_bfloat16S0_LN4vllm18Fp8KVCacheDataTypeE0EhLi16ELi128ELi256ELb1ELi7EEvPKT_PKT0_S8_ifPKiSA_SA_iPKfiiiPfSD_PS3_PT2_iSC_SC_
	.globl	_Z39paged_attention_ll4mi_QKV_mfma16_kernelI14__hip_bfloat16S0_LN4vllm18Fp8KVCacheDataTypeE0EhLi16ELi128ELi256ELb1ELi7EEvPKT_PKT0_S8_ifPKiSA_SA_iPKfiiiPfSD_PS3_PT2_iSC_SC_
	.p2align	8
	.type	_Z39paged_attention_ll4mi_QKV_mfma16_kernelI14__hip_bfloat16S0_LN4vllm18Fp8KVCacheDataTypeE0EhLi16ELi128ELi256ELb1ELi7EEvPKT_PKT0_S8_ifPKiSA_SA_iPKfiiiPfSD_PS3_PT2_iSC_SC_,@function
_Z39paged_attention_ll4mi_QKV_mfma16_kernelI14__hip_bfloat16S0_LN4vllm18Fp8KVCacheDataTypeE0EhLi16ELi128ELi256ELb1ELi7EEvPKT_PKT0_S8_ifPKiSA_SA_iPKfiiiPfSD_PS3_PT2_iSC_SC_: ; @_Z39paged_attention_ll4mi_QKV_mfma16_kernelI14__hip_bfloat16S0_LN4vllm18Fp8KVCacheDataTypeE0EhLi16ELi128ELi256ELb1ELi7EEvPKT_PKT0_S8_ifPKiSA_SA_iPKfiiiPfSD_PS3_PT2_iSC_SC_
; %bb.0:
	s_load_dwordx2 s[8:9], s[0:1], 0x30
	s_mov_b32 s26, s3
	s_mov_b64 s[6:7], 0
	s_waitcnt lgkmcnt(0)
	s_cmp_lg_u64 s[8:9], 0
	s_cselect_b64 s[10:11], -1, 0
	s_and_b64 vcc, exec, s[10:11]
	s_cbranch_vccz .LBB582_7
; %bb.1:
	s_add_i32 s12, s2, 1
	s_mov_b32 s13, 0
	s_lshl_b64 s[14:15], s[12:13], 2
	s_add_u32 s14, s8, s14
	s_mov_b32 s3, s13
	s_addc_u32 s15, s9, s15
	s_lshl_b64 s[12:13], s[2:3], 2
	s_add_u32 s12, s8, s12
	s_addc_u32 s13, s9, s13
	s_load_dword s5, s[14:15], 0x0
	s_load_dword s16, s[12:13], 0x0
	s_waitcnt lgkmcnt(0)
	s_sub_i32 s5, s5, s16
	s_cmp_eq_u32 s5, 1
	s_cselect_b64 s[12:13], -1, 0
	s_andn2_b64 vcc, exec, s[6:7]
	s_cbranch_vccnz .LBB582_3
.LBB582_2:
	s_mov_b32 s3, 0
	s_mov_b64 s[12:13], -1
.LBB582_3:
	s_andn2_b64 vcc, exec, s[12:13]
	s_cbranch_vccnz .LBB582_20
; %bb.4:
	s_load_dwordx2 s[6:7], s[0:1], 0x28
	s_lshl_b64 s[12:13], s[2:3], 2
	s_waitcnt lgkmcnt(0)
	s_add_u32 s6, s6, s12
	s_addc_u32 s7, s7, s13
	s_load_dword s27, s[6:7], 0x0
	s_lshl_b32 s18, s26, 8
	s_waitcnt lgkmcnt(0)
	s_cmp_ge_i32 s18, s27
	s_cbranch_scc1 .LBB582_20
; %bb.5:
	s_load_dwordx2 s[6:7], s[0:1], 0x20
	s_load_dword s5, s[0:1], 0x38
	s_add_i32 s14, s27, 15
	s_ashr_i32 s15, s14, 31
	v_and_b32_e32 v1, 0xcf, v0
	s_lshr_b32 s15, s15, 28
	v_add_u32_e32 v1, s18, v1
	s_add_i32 s14, s14, s15
	v_ashrrev_i32_e32 v2, 31, v1
	s_ashr_i32 s19, s14, 4
	v_lshrrev_b32_e32 v4, 28, v2
	s_add_i32 s19, s19, -1
	s_waitcnt lgkmcnt(0)
	s_mul_i32 s14, s2, s5
	s_mov_b32 s15, 0
	v_add_u32_e32 v2, v1, v4
	s_lshl_b64 s[14:15], s[14:15], 2
	v_ashrrev_i32_e32 v2, 4, v2
	v_mov_b32_e32 v5, s19
	v_cmp_gt_i32_e32 vcc, s27, v1
	s_add_u32 s6, s6, s14
	s_addc_u32 s7, s7, s15
	v_cndmask_b32_e32 v2, v5, v2, vcc
	v_ashrrev_i32_e32 v3, 31, v2
	v_lshl_add_u64 v[6:7], v[2:3], 2, s[6:7]
	v_or_b32_e32 v2, 16, v1
	v_add_u32_e32 v3, v2, v4
	v_ashrrev_i32_e32 v3, 4, v3
	v_cmp_gt_i32_e32 vcc, s27, v2
	s_load_dwordx2 s[14:15], s[0:1], 0x8
	s_nop 0
	v_cndmask_b32_e32 v2, v5, v3, vcc
	v_ashrrev_i32_e32 v3, 31, v2
	v_lshl_add_u64 v[8:9], v[2:3], 2, s[6:7]
	v_or_b32_e32 v2, 32, v1
	v_add_u32_e32 v3, v2, v4
	v_ashrrev_i32_e32 v3, 4, v3
	v_cmp_gt_i32_e32 vcc, s27, v2
	v_or_b32_e32 v1, 48, v1
	s_nop 0
	v_cndmask_b32_e32 v2, v5, v3, vcc
	v_ashrrev_i32_e32 v3, 31, v2
	v_lshl_add_u64 v[10:11], v[2:3], 2, s[6:7]
	v_add_u32_e32 v2, v1, v4
	v_ashrrev_i32_e32 v2, 4, v2
	v_cmp_gt_i32_e32 vcc, s27, v1
	s_nop 1
	v_cndmask_b32_e32 v2, v5, v2, vcc
	v_ashrrev_i32_e32 v3, 31, v2
	v_lshl_add_u64 v[12:13], v[2:3], 2, s[6:7]
	global_load_dword v5, v[6:7], off
	global_load_dword v4, v[8:9], off
	;; [unrolled: 1-line block ×4, first 2 shown]
	s_andn2_b64 vcc, exec, s[10:11]
	s_cbranch_vccnz .LBB582_8
; %bb.6:
	s_add_u32 s8, s8, s12
	s_addc_u32 s9, s9, s13
	s_load_dword s5, s[8:9], 0x0
	s_branch .LBB582_9
.LBB582_7:
	s_mov_b64 s[12:13], 0
	s_branch .LBB582_2
.LBB582_8:
	s_mov_b32 s5, s2
.LBB582_9:
	s_load_dwordx2 s[12:13], s[0:1], 0x10
	s_load_dwordx4 s[8:11], s[0:1], 0x48
	v_lshrrev_b32_e32 v85, 6, v0
	v_bfe_u32 v88, v0, 4, 2
	v_and_b32_e32 v84, 15, v0
	v_lshl_or_b32 v1, v85, 2, v88
	v_lshlrev_b32_e32 v6, 3, v84
	s_mul_i32 s40, s4, 7
	v_cmp_gt_u32_e32 vcc, 7, v1
	v_lshlrev_b32_e32 v82, 1, v6
	s_and_saveexec_b64 s[16:17], vcc
	s_cbranch_execz .LBB582_11
; %bb.10:
	s_load_dwordx2 s[20:21], s[0:1], 0x0
	s_waitcnt lgkmcnt(0)
	s_ashr_i32 s11, s8, 31
	s_mul_hi_u32 s22, s5, s8
	s_mul_i32 s11, s5, s11
	s_add_i32 s23, s22, s11
	s_mul_i32 s22, s5, s8
	s_lshl_b64 s[22:23], s[22:23], 1
	s_add_u32 s20, s20, s22
	v_add_lshl_u32 v6, v1, s40, 7
	s_addc_u32 s21, s21, s23
	v_ashrrev_i32_e32 v7, 31, v6
	v_lshl_add_u64 v[6:7], v[6:7], 1, s[20:21]
	v_mov_b32_e32 v83, 0
	v_lshl_add_u64 v[6:7], v[6:7], 0, v[82:83]
	global_load_dwordx4 v[6:9], v[6:7], off
	v_and_b32_e32 v10, 3, v0
	v_lshlrev_b32_e32 v11, 9, v84
	v_lshlrev_b32_e32 v1, 5, v1
	;; [unrolled: 1-line block ×3, first 2 shown]
	v_and_b32_e32 v11, 0x1800, v11
	v_or3_b32 v1, v11, v10, v1
	s_waitcnt vmcnt(0)
	ds_write_b128 v1, v[6:9]
.LBB582_11:
	s_or_b64 exec, exec, s[16:17]
	s_waitcnt lgkmcnt(0)
	s_mul_i32 s4, s4, s10
	s_mov_b32 s5, 0
	s_lshl_b64 s[4:5], s[4:5], 1
	s_add_u32 s10, s14, s4
	v_lshlrev_b32_e32 v1, 4, v0
	s_addc_u32 s11, s15, s5
	v_and_b32_e32 v86, 0xf0, v1
	v_mov_b32_e32 v87, 0
	v_lshl_add_u64 v[6:7], s[10:11], 0, v[86:87]
	s_waitcnt vmcnt(3)
	v_mad_i64_i32 v[8:9], s[10:11], v5, s9, 0
	s_waitcnt vmcnt(2)
	v_mad_i64_i32 v[4:5], s[10:11], v4, s9, 0
	v_lshl_add_u64 v[8:9], v[8:9], 1, v[6:7]
	v_and_b32_e32 v86, 0x300, v1
	v_lshl_add_u64 v[4:5], v[4:5], 1, v[6:7]
	v_lshl_add_u64 v[8:9], v[8:9], 0, v[86:87]
	;; [unrolled: 1-line block ×3, first 2 shown]
	s_barrier
	global_load_dwordx4 v[78:81], v[8:9], off
	global_load_dwordx4 v[74:77], v[8:9], off offset:1024
	global_load_dwordx4 v[70:73], v[8:9], off offset:2048
	;; [unrolled: 1-line block ×3, first 2 shown]
	global_load_dwordx4 v[66:69], v[4:5], off
	global_load_dwordx4 v[62:65], v[4:5], off offset:1024
	global_load_dwordx4 v[58:61], v[4:5], off offset:2048
	;; [unrolled: 1-line block ×3, first 2 shown]
	s_waitcnt vmcnt(9)
	v_mad_i64_i32 v[4:5], s[10:11], v3, s9, 0
	s_waitcnt vmcnt(8)
	v_mad_i64_i32 v[2:3], s[10:11], v2, s9, 0
	v_lshl_add_u64 v[4:5], v[4:5], 1, v[6:7]
	v_lshl_add_u64 v[2:3], v[2:3], 1, v[6:7]
	;; [unrolled: 1-line block ×4, first 2 shown]
	global_load_dwordx4 v[30:33], v[4:5], off
	global_load_dwordx4 v[26:29], v[4:5], off offset:1024
	global_load_dwordx4 v[22:25], v[4:5], off offset:2048
	;; [unrolled: 1-line block ×3, first 2 shown]
	global_load_dwordx4 v[6:9], v[34:35], off
	s_nop 0
	global_load_dwordx4 v[2:5], v[34:35], off offset:1024
	global_load_dwordx4 v[38:41], v[34:35], off offset:2048
	s_nop 0
	global_load_dwordx4 v[34:37], v[34:35], off offset:3072
	v_mul_lo_u16_e32 v42, 37, v84
	v_mov_b32_e32 v43, 7
	v_mul_lo_u16_sdwa v42, v42, v43 dst_sel:DWORD dst_unused:UNUSED_PAD src0_sel:BYTE_1 src1_sel:DWORD
	v_sub_u16_e32 v42, v84, v42
	v_mov_b32_e32 v43, 5
	v_lshlrev_b32_sdwa v42, v43, v42 dst_sel:DWORD dst_unused:UNUSED_PAD src0_sel:DWORD src1_sel:BYTE_0
	v_lshl_add_u32 v42, v88, 9, v42
	ds_read_b128 v[54:57], v42
	ds_read_b128 v[50:53], v42 offset:2048
	ds_read_b128 v[46:49], v42 offset:4096
	;; [unrolled: 1-line block ×3, first 2 shown]
	v_and_b32_e32 v83, 63, v0
	v_cmp_gt_u32_e32 vcc, 7, v84
	v_mov_b32_e32 v89, 0
	s_and_saveexec_b64 s[10:11], vcc
	s_cbranch_execz .LBB582_13
; %bb.12:
	s_load_dwordx2 s[14:15], s[0:1], 0x40
	v_add_u32_e32 v90, s40, v84
	v_ashrrev_i32_e32 v91, 31, v90
	s_waitcnt lgkmcnt(0)
	v_lshl_add_u64 v[90:91], v[90:91], 2, s[14:15]
	global_load_dword v89, v[90:91], off
.LBB582_13:
	s_or_b64 exec, exec, s[10:11]
	s_waitcnt vmcnt(15) lgkmcnt(3)
	v_mfma_f32_16x16x16_bf16 v[90:93], v[78:79], v[54:55], 0
	s_add_u32 s4, s12, s4
	s_addc_u32 s5, s13, s5
	s_mov_b32 s33, 0xff7fffff
	v_mfma_f32_16x16x16_bf16 v[78:81], v[80:81], v[56:57], v[90:93]
	s_waitcnt vmcnt(14) lgkmcnt(2)
	v_mfma_f32_16x16x16_bf16 v[78:81], v[74:75], v[50:51], v[78:81]
	s_nop 0
	v_lshl_or_b32 v90, v85, 4, v84
	v_lshlrev_b32_e32 v86, 5, v90
	v_mfma_f32_16x16x16_bf16 v[74:77], v[76:77], v[52:53], v[78:81]
	s_waitcnt vmcnt(13) lgkmcnt(1)
	v_mfma_f32_16x16x16_bf16 v[74:77], v[70:71], v[46:47], v[74:77]
	v_mfma_f32_16x16x16_bf16 v[70:73], v[72:73], v[48:49], v[74:77]
	s_waitcnt vmcnt(11)
	v_mfma_f32_16x16x16_bf16 v[74:77], v[66:67], v[54:55], 0
	v_mfma_f32_16x16x16_bf16 v[66:69], v[68:69], v[56:57], v[74:77]
	s_nop 5
	v_and_or_b32 v74, v0, 48, s18
	s_waitcnt lgkmcnt(0)
	v_mfma_f32_16x16x16_bf16 v[70:73], v[10:11], v[42:43], v[70:73]
	v_ashrrev_i32_e32 v10, 4, v74
	v_mov_b32_e32 v75, s19
	v_cmp_gt_i32_e32 vcc, s27, v74
	s_waitcnt vmcnt(10)
	v_mfma_f32_16x16x16_bf16 v[66:69], v[62:63], v[50:51], v[66:69]
	v_cndmask_b32_e32 v10, v75, v10, vcc
	v_ashrrev_i32_e32 v11, 31, v10
	v_lshl_add_u64 v[10:11], v[10:11], 2, s[6:7]
	global_load_dword v76, v[10:11], off
	v_mfma_f32_16x16x16_bf16 v[62:65], v[64:65], v[52:53], v[66:69]
	v_or_b32_e32 v10, 64, v74
	v_ashrrev_i32_e32 v11, 4, v10
	v_cmp_gt_i32_e32 vcc, s27, v10
	s_waitcnt vmcnt(10)
	v_mfma_f32_16x16x16_bf16 v[62:65], v[58:59], v[46:47], v[62:65]
	v_cndmask_b32_e32 v10, v75, v11, vcc
	v_ashrrev_i32_e32 v11, 31, v10
	v_lshl_add_u64 v[10:11], v[10:11], 2, s[6:7]
	global_load_dword v78, v[10:11], off
	v_or_b32_e32 v10, 0x80, v74
	v_mfma_f32_16x16x16_bf16 v[58:61], v[60:61], v[48:49], v[62:65]
	v_ashrrev_i32_e32 v11, 4, v10
	v_cmp_gt_i32_e32 vcc, s27, v10
	s_waitcnt vmcnt(9)
	v_mfma_f32_16x16x16_bf16 v[62:65], v[30:31], v[54:55], 0
	v_cndmask_b32_e32 v10, v75, v11, vcc
	v_ashrrev_i32_e32 v11, 31, v10
	v_lshl_add_u64 v[10:11], v[10:11], 2, s[6:7]
	v_mfma_f32_16x16x16_bf16 v[30:33], v[32:33], v[56:57], v[62:65]
	s_nop 2
	global_load_dword v62, v[10:11], off
	v_or_b32_e32 v10, 0xc0, v74
	v_ashrrev_i32_e32 v11, 4, v10
	v_cmp_gt_i32_e32 vcc, s27, v10
	s_waitcnt vmcnt(9)
	v_mfma_f32_16x16x16_bf16 v[30:33], v[26:27], v[50:51], v[30:33]
	v_cndmask_b32_e32 v10, v75, v11, vcc
	v_ashrrev_i32_e32 v11, 31, v10
	v_lshl_add_u64 v[10:11], v[10:11], 2, s[6:7]
	global_load_dword v63, v[10:11], off
	v_mfma_f32_16x16x16_bf16 v[26:29], v[28:29], v[52:53], v[30:33]
	s_load_dword s6, s[0:1], 0x1c
	s_waitcnt vmcnt(3)
	v_mad_i64_i32 v[10:11], s[10:11], v76, s9, 0
	v_mfma_f32_16x16x16_bf16 v[26:29], v[22:23], v[46:47], v[26:29]
	v_lshlrev_b64 v[76:77], 1, v[10:11]
	v_mfma_f32_16x16x16_bf16 v[64:67], v[12:13], v[44:45], v[70:73]
	v_mfma_f32_16x16x16_bf16 v[10:13], v[24:25], v[48:49], v[26:29]
	s_nop 1
	v_lshl_add_u64 v[72:73], s[4:5], 0, v[86:87]
	v_or_b32_e32 v86, 0x800, v86
	v_mfma_f32_16x16x16_bf16 v[30:33], v[14:15], v[42:43], v[58:61]
	v_lshl_add_u64 v[14:15], v[72:73], 0, v[76:77]
	v_mfma_f32_16x16x16_bf16 v[10:13], v[18:19], v[42:43], v[10:13]
	v_mfma_f32_16x16x16_bf16 v[68:71], v[16:17], v[44:45], v[30:33]
	s_nop 3
	global_load_dwordx4 v[30:33], v[14:15], off
	global_load_dwordx4 v[26:29], v[14:15], off offset:16
	s_waitcnt vmcnt(4)
	v_mad_i64_i32 v[14:15], s[10:11], v78, s9, 0
	v_lshlrev_b64 v[58:59], 1, v[14:15]
	v_mfma_f32_16x16x16_bf16 v[92:95], v[20:21], v[44:45], v[10:13]
	s_waitcnt lgkmcnt(0)
	v_pk_mul_f32 v[78:79], s[6:7], v[66:67] op_sel_hi:[0,1]
	s_nop 0
	v_lshl_add_u64 v[10:11], v[72:73], 0, v[58:59]
	global_load_dwordx4 v[22:25], v[10:11], off
	global_load_dwordx4 v[18:21], v[10:11], off offset:16
	v_mfma_f32_16x16x16_bf16 v[10:13], v[6:7], v[54:55], 0
	s_waitcnt vmcnt(5)
	v_mad_i64_i32 v[6:7], s[10:11], v62, s9, 0
	v_lshlrev_b64 v[54:55], 1, v[6:7]
	v_mfma_f32_16x16x16_bf16 v[6:9], v[8:9], v[56:57], v[10:13]
	v_mfma_f32_16x16x16_bf16 v[6:9], v[2:3], v[50:51], v[6:9]
	s_waitcnt vmcnt(4)
	v_mad_i64_i32 v[2:3], s[8:9], v63, s9, 0
	v_lshlrev_b64 v[50:51], 1, v[2:3]
	v_mfma_f32_16x16x16_bf16 v[60:63], v[4:5], v[52:53], v[6:9]
	v_lshl_add_u64 v[10:11], v[72:73], 0, v[54:55]
	v_lshl_add_u64 v[2:3], v[72:73], 0, v[50:51]
	v_pk_mul_f32 v[52:53], s[6:7], v[64:65] op_sel_hi:[0,1]
	v_mfma_f32_16x16x16_bf16 v[72:75], v[38:39], v[46:47], v[60:63]
	global_load_dwordx4 v[14:17], v[10:11], off
	s_nop 0
	global_load_dwordx4 v[10:13], v[10:11], off offset:16
	v_lshl_add_u64 v[62:63], s[4:5], 0, v[86:87]
	v_lshl_add_u64 v[38:39], v[62:63], 0, v[76:77]
	v_mfma_f32_16x16x16_bf16 v[46:49], v[40:41], v[48:49], v[72:75]
	v_pk_mul_f32 v[76:77], s[6:7], v[68:69] op_sel_hi:[0,1]
	v_lshl_add_u64 v[54:55], v[62:63], 0, v[54:55]
	v_lshl_add_u64 v[50:51], v[62:63], 0, v[50:51]
	v_mfma_f32_16x16x16_bf16 v[40:43], v[34:35], v[42:43], v[46:49]
	v_pk_mul_f32 v[74:75], s[6:7], v[70:71] op_sel_hi:[0,1]
	v_pk_mul_f32 v[70:71], s[6:7], v[94:95] op_sel_hi:[0,1]
	;; [unrolled: 1-line block ×3, first 2 shown]
	v_mfma_f32_16x16x16_bf16 v[34:37], v[36:37], v[44:45], v[40:43]
	global_load_dwordx4 v[6:9], v[2:3], off
	s_nop 0
	global_load_dwordx4 v[2:5], v[2:3], off offset:16
	s_nop 3
	v_pk_mul_f32 v[68:69], s[6:7], v[34:35] op_sel_hi:[0,1]
	v_and_b32_e32 v34, 0xc0, v0
	v_add_u32_e32 v34, s18, v34
	v_lshl_or_b32 v34, v88, 2, v34
	v_or_b32_e32 v35, 1, v34
	v_pk_mul_f32 v[66:67], s[6:7], v[36:37] op_sel_hi:[0,1]
	v_subrev_u32_e32 v36, s27, v35
	v_add_u32_e32 v40, 1, v36
	v_add_u32_e32 v41, 2, v36
	v_cvt_f32_i32_e32 v37, v36
	v_cvt_f32_i32_e32 v40, v40
	v_cvt_f32_i32_e32 v41, v41
	v_add_u32_e32 v42, 3, v36
	v_fma_f32 v52, v89, v37, v52
	v_fmac_f32_e32 v53, v89, v40
	v_fma_f32 v78, v89, v41, v78
	v_add_u32_e32 v37, 16, v36
	v_add_u32_e32 v40, 17, v36
	v_add_u32_e32 v41, 18, v36
	v_cvt_f32_i32_e32 v42, v42
	v_cvt_f32_i32_e32 v37, v37
	;; [unrolled: 1-line block ×4, first 2 shown]
	v_fmac_f32_e32 v79, v89, v42
	v_add_u32_e32 v42, 19, v36
	v_fma_f32 v76, v89, v37, v76
	v_fmac_f32_e32 v77, v89, v40
	v_fma_f32 v74, v89, v41, v74
	v_add_u32_e32 v37, 32, v36
	v_add_u32_e32 v40, 33, v36
	;; [unrolled: 1-line block ×3, first 2 shown]
	v_cvt_f32_i32_e32 v42, v42
	v_cvt_f32_i32_e32 v37, v37
	;; [unrolled: 1-line block ×4, first 2 shown]
	v_fmac_f32_e32 v75, v89, v42
	v_add_u32_e32 v42, 35, v36
	v_fma_f32 v72, v89, v37, v72
	v_fmac_f32_e32 v73, v89, v40
	v_fma_f32 v70, v89, v41, v70
	v_add_u32_e32 v37, 48, v36
	v_add_u32_e32 v40, 49, v36
	;; [unrolled: 1-line block ×4, first 2 shown]
	v_cvt_f32_i32_e32 v36, v36
	v_cvt_f32_i32_e32 v37, v37
	;; [unrolled: 1-line block ×3, first 2 shown]
	v_cmp_gt_i32_e64 s[28:29], s27, v34
	v_fmac_f32_e32 v67, v89, v36
	v_mov_b32_e32 v36, 0xff7fffff
	v_cmp_gt_i32_e64 s[30:31], s27, v35
	v_fma_f32 v68, v89, v37, v68
	v_cndmask_b32_e64 v37, v36, v52, s[28:29]
	v_cndmask_b32_e64 v35, v36, v53, s[30:31]
	v_fmac_f32_e32 v69, v89, v40
	v_max3_f32 v35, v37, s33, v35
	v_or_b32_e32 v37, 2, v34
	v_or_b32_e32 v40, 3, v34
	v_cmp_gt_i32_e64 s[34:35], s27, v37
	v_cmp_gt_i32_e64 s[36:37], s27, v40
	v_cvt_f32_i32_e32 v42, v42
	v_cndmask_b32_e64 v37, v36, v78, s[34:35]
	v_cndmask_b32_e64 v40, v36, v79, s[36:37]
	v_max3_f32 v35, v35, v37, v40
	v_or_b32_e32 v37, 16, v34
	v_or_b32_e32 v40, 17, v34
	v_cmp_gt_i32_e64 s[22:23], s27, v37
	v_cmp_gt_i32_e64 s[24:25], s27, v40
	v_fmac_f32_e32 v71, v89, v42
	v_cndmask_b32_e64 v37, v36, v76, s[22:23]
	v_cndmask_b32_e64 v40, v36, v77, s[24:25]
	v_max3_f32 v35, v35, v37, v40
	v_or_b32_e32 v37, 18, v34
	v_or_b32_e32 v40, 19, v34
	v_cmp_gt_i32_e64 s[18:19], s27, v37
	v_cmp_gt_i32_e64 s[20:21], s27, v40
	v_cvt_f32_i32_e32 v41, v41
	v_cndmask_b32_e64 v37, v36, v74, s[18:19]
	v_cndmask_b32_e64 v40, v36, v75, s[20:21]
	v_max3_f32 v35, v35, v37, v40
	v_or_b32_e32 v37, 32, v34
	v_or_b32_e32 v40, 33, v34
	v_cmp_gt_i32_e64 s[14:15], s27, v37
	v_cmp_gt_i32_e64 s[16:17], s27, v40
	v_fma_f32 v66, v89, v41, v66
	v_cndmask_b32_e64 v37, v36, v72, s[14:15]
	v_cndmask_b32_e64 v40, v36, v73, s[16:17]
	v_max3_f32 v35, v35, v37, v40
	v_or_b32_e32 v37, 34, v34
	v_or_b32_e32 v40, 35, v34
	v_cmp_gt_i32_e64 s[10:11], s27, v37
	v_cmp_gt_i32_e64 s[12:13], s27, v40
	s_nop 0
	v_cndmask_b32_e64 v37, v36, v70, s[10:11]
	v_cndmask_b32_e64 v40, v36, v71, s[12:13]
	v_max3_f32 v35, v35, v37, v40
	v_or_b32_e32 v37, 48, v34
	v_or_b32_e32 v40, 49, v34
	v_cmp_gt_i32_e64 s[6:7], s27, v37
	v_cmp_gt_i32_e64 s[8:9], s27, v40
	s_nop 0
	v_cndmask_b32_e64 v37, v36, v68, s[6:7]
	v_cndmask_b32_e64 v40, v36, v69, s[8:9]
	v_max3_f32 v35, v35, v37, v40
	v_or_b32_e32 v37, 50, v34
	v_or_b32_e32 v34, 51, v34
	v_cmp_gt_i32_e32 vcc, s27, v37
	v_cmp_gt_i32_e64 s[4:5], s27, v34
	global_load_dwordx4 v[46:49], v[38:39], off
	s_nop 0
	global_load_dwordx4 v[38:41], v[38:39], off offset:16
	v_cndmask_b32_e32 v37, v36, v66, vcc
	v_cndmask_b32_e64 v34, v36, v67, s[4:5]
	v_max3_f32 v56, v35, v37, v34
	v_mbcnt_lo_u32_b32 v34, -1, 0
	v_mbcnt_hi_u32_b32 v57, -1, v34
	v_and_b32_e32 v34, 64, v57
	v_add_u32_e32 v60, 64, v34
	v_xor_b32_e32 v34, 32, v57
	v_cmp_lt_i32_e64 s[38:39], v34, v60
	s_nop 1
	v_cndmask_b32_e64 v34, v57, v34, s[38:39]
	v_lshlrev_b32_e32 v87, 2, v34
	ds_bpermute_b32 v61, v87, v56
	v_lshl_add_u64 v[34:35], v[62:63], 0, v[58:59]
	global_load_dwordx4 v[42:45], v[34:35], off
	s_nop 0
	global_load_dwordx4 v[34:37], v[34:35], off offset:16
	s_waitcnt lgkmcnt(0)
	v_max_f32_e32 v58, v61, v61
	v_max_f32_e32 v64, v56, v58
	v_xor_b32_e32 v56, 16, v57
	v_cmp_lt_i32_e64 s[38:39], v56, v60
	s_nop 1
	v_cndmask_b32_e64 v56, v57, v56, s[38:39]
	v_lshlrev_b32_e32 v89, 2, v56
	ds_bpermute_b32 v65, v89, v64
	global_load_dwordx4 v[58:61], v[54:55], off
	s_nop 0
	global_load_dwordx4 v[54:57], v[54:55], off offset:16
	s_waitcnt lgkmcnt(0)
	v_max_f32_e32 v62, v65, v65
	v_max_f32_e32 v86, v64, v62
	v_sub_f32_e32 v52, v52, v86
	v_mul_f32_e32 v52, 0x3fb8aa3b, v52
	v_exp_f32_e32 v80, v52
	v_sub_f32_e32 v52, v53, v86
	v_mul_f32_e32 v52, 0x3fb8aa3b, v52
	v_exp_f32_e32 v81, v52
	global_load_dwordx4 v[62:65], v[50:51], off
	s_nop 0
	global_load_dwordx4 v[50:53], v[50:51], off offset:16
	v_sub_f32_e32 v78, v78, v86
	v_mul_f32_e32 v78, 0x3fb8aa3b, v78
	v_sub_f32_e32 v79, v79, v86
	v_exp_f32_e32 v78, v78
	v_mul_f32_e32 v79, 0x3fb8aa3b, v79
	v_sub_f32_e32 v76, v76, v86
	v_exp_f32_e32 v79, v79
	v_mul_f32_e32 v76, 0x3fb8aa3b, v76
	v_sub_f32_e32 v77, v77, v86
	v_cndmask_b32_e64 v80, 0, v80, s[28:29]
	v_exp_f32_e32 v76, v76
	v_mul_f32_e32 v77, 0x3fb8aa3b, v77
	v_sub_f32_e32 v74, v74, v86
	v_add_f32_e32 v91, 0, v80
	v_cndmask_b32_e64 v81, 0, v81, s[30:31]
	v_exp_f32_e32 v77, v77
	v_mul_f32_e32 v74, 0x3fb8aa3b, v74
	v_sub_f32_e32 v75, v75, v86
	v_add_f32_e32 v91, v91, v81
	;; [unrolled: 5-line block ×10, first 2 shown]
	v_cndmask_b32_e64 v70, 0, v70, s[10:11]
	v_exp_f32_e32 v66, v66
	v_mul_f32_e32 v67, 0x3fb8aa3b, v67
	v_add_f32_e32 v91, v91, v70
	v_cndmask_b32_e64 v71, 0, v71, s[12:13]
	v_exp_f32_e32 v67, v67
	v_add_f32_e32 v91, v91, v71
	v_cndmask_b32_e64 v68, 0, v68, s[6:7]
	v_add_f32_e32 v91, v91, v68
	v_cndmask_b32_e64 v69, 0, v69, s[8:9]
	v_add_f32_e32 v91, v91, v69
	v_cndmask_b32_e32 v66, 0, v66, vcc
	v_add_f32_e32 v91, v91, v66
	v_cndmask_b32_e64 v67, 0, v67, s[4:5]
	v_add_f32_e32 v91, v91, v67
	ds_bpermute_b32 v87, v87, v91
	s_load_dword s7, s[0:1], 0x98
	v_cmp_gt_u32_e32 vcc, 16, v83
	s_waitcnt lgkmcnt(0)
	s_barrier
	v_add_f32_e32 v87, v91, v87
	ds_bpermute_b32 v89, v89, v87
	s_waitcnt lgkmcnt(0)
	s_and_saveexec_b64 s[4:5], vcc
	s_cbranch_execz .LBB582_15
; %bb.14:
	v_add_f32_e32 v83, v87, v89
	v_lshlrev_b32_e32 v87, 2, v90
	ds_write2st64_b32 v87, v86, v83 offset1:1
.LBB582_15:
	s_or_b64 exec, exec, s[4:5]
	v_lshlrev_b32_e32 v89, 2, v84
	s_load_dword s6, s[0:1], 0x94
	s_waitcnt lgkmcnt(0)
	s_barrier
	ds_read2_b32 v[86:87], v89 offset1:16
	ds_read2_b32 v[90:91], v89 offset0:32 offset1:48
	ds_read2_b32 v[92:93], v89 offset0:64 offset1:80
	ds_read2_b32 v[94:95], v89 offset0:96 offset1:112
	s_movk_i32 s8, 0x7fff
	s_waitcnt lgkmcnt(3)
	v_max3_f32 v83, v86, s33, v87
	s_waitcnt lgkmcnt(2)
	v_max3_f32 v83, v83, v90, v91
	v_sub_f32_e32 v86, v86, v83
	v_mul_f32_e32 v86, 0x3fb8aa3b, v86
	v_exp_f32_e32 v1, v86
	v_sub_f32_e32 v86, v87, v83
	v_mul_f32_e32 v86, 0x3fb8aa3b, v86
	v_exp_f32_e32 v87, v86
	;; [unrolled: 3-line block ×4, first 2 shown]
	s_waitcnt lgkmcnt(1)
	v_fma_f32 v86, v1, v92, 0
	v_fmac_f32_e32 v86, v87, v93
	s_waitcnt lgkmcnt(0)
	v_fmac_f32_e32 v86, v90, v94
	v_fmac_f32_e32 v86, v89, v95
	v_add_f32_e32 v91, 0x358637bd, v86
	v_div_scale_f32 v92, s[4:5], v91, v91, 1.0
	v_rcp_f32_e32 v93, v92
	s_mov_b32 s9, 0x7060302
	s_mul_i32 s7, s7, 7
	v_fma_f32 v94, -v92, v93, 1.0
	v_fmac_f32_e32 v93, v94, v93
	v_div_scale_f32 v94, vcc, 1.0, v91, 1.0
	v_mul_f32_e32 v95, v94, v93
	v_fma_f32 v88, -v92, v95, v94
	v_fmac_f32_e32 v95, v88, v93
	v_fma_f32 v88, -v92, v95, v94
	v_div_fmas_f32 v88, v88, v93, v95
	v_cmp_eq_u32_e32 vcc, 1, v85
	v_div_fixup_f32 v88, v88, v91, 1.0
	s_barrier
	v_cndmask_b32_e32 v1, v1, v87, vcc
	v_cmp_eq_u32_e32 vcc, 2, v85
	s_nop 1
	v_cndmask_b32_e32 v1, v1, v90, vcc
	v_cmp_eq_u32_e32 vcc, 3, v85
	s_nop 1
	v_cndmask_b32_e32 v1, v1, v89, vcc
	v_mul_f32_e32 v90, v1, v88
	v_pk_mul_f32 v[80:81], v[90:91], v[80:81] op_sel_hi:[0,1]
	v_bfe_u32 v1, v81, 16, 1
	v_bfe_u32 v87, v80, 16, 1
	v_pk_mul_f32 v[78:79], v[90:91], v[78:79] op_sel_hi:[0,1]
	v_add3_u32 v80, v80, v87, s8
	v_add3_u32 v1, v81, v1, s8
	v_perm_b32 v80, v1, v80, s9
	v_bfe_u32 v1, v79, 16, 1
	v_bfe_u32 v81, v78, 16, 1
	v_add3_u32 v78, v78, v81, s8
	v_add3_u32 v1, v79, v1, s8
	v_bfe_u32 v87, v0, 4, 2
	v_perm_b32 v81, v1, v78, s9
	v_lshlrev_b32_e32 v1, 3, v87
	v_lshlrev_b32_e32 v79, 5, v84
	;; [unrolled: 1-line block ×3, first 2 shown]
	v_pk_mul_f32 v[76:77], v[90:91], v[76:77] op_sel_hi:[0,1]
	v_or3_b32 v78, v78, v79, v1
	v_bfe_u32 v1, v77, 16, 1
	v_bfe_u32 v85, v76, 16, 1
	v_pk_mul_f32 v[74:75], v[90:91], v[74:75] op_sel_hi:[0,1]
	v_add3_u32 v76, v76, v85, s8
	v_add3_u32 v1, v77, v1, s8
	v_perm_b32 v76, v1, v76, s9
	v_bfe_u32 v1, v75, 16, 1
	v_bfe_u32 v77, v74, 16, 1
	v_add3_u32 v74, v74, v77, s8
	v_add3_u32 v1, v75, v1, s8
	v_pk_mul_f32 v[72:73], v[90:91], v[72:73] op_sel_hi:[0,1]
	v_perm_b32 v77, v1, v74, s9
	v_bfe_u32 v1, v73, 16, 1
	v_bfe_u32 v74, v72, 16, 1
	v_pk_mul_f32 v[70:71], v[90:91], v[70:71] op_sel_hi:[0,1]
	v_add3_u32 v72, v72, v74, s8
	v_add3_u32 v1, v73, v1, s8
	v_perm_b32 v72, v1, v72, s9
	v_bfe_u32 v1, v71, 16, 1
	v_bfe_u32 v73, v70, 16, 1
	v_add3_u32 v70, v70, v73, s8
	v_add3_u32 v1, v71, v1, s8
	v_pk_mul_f32 v[68:69], v[90:91], v[68:69] op_sel_hi:[0,1]
	v_perm_b32 v73, v1, v70, s9
	v_bfe_u32 v1, v69, 16, 1
	v_bfe_u32 v70, v68, 16, 1
	v_pk_mul_f32 v[66:67], v[90:91], v[66:67] op_sel_hi:[0,1]
	v_add3_u32 v68, v68, v70, s8
	v_add3_u32 v1, v69, v1, s8
	v_perm_b32 v68, v1, v68, s9
	v_bfe_u32 v1, v67, 16, 1
	v_bfe_u32 v69, v66, 16, 1
	v_add3_u32 v66, v66, v69, s8
	v_add3_u32 v1, v67, v1, s8
	v_perm_b32 v69, v1, v66, s9
	v_cmp_gt_u32_e32 vcc, 7, v0
	ds_write2st64_b64 v78, v[80:81], v[76:77] offset1:1
	ds_write2st64_b64 v78, v[72:73], v[68:69] offset0:2 offset1:3
	s_and_saveexec_b64 s[4:5], vcc
	s_cbranch_execz .LBB582_17
; %bb.16:
	s_mov_b32 s41, 0
	v_mov_b32_e32 v85, 0
	v_lshl_add_u64 v[66:67], s[40:41], 0, v[84:85]
	v_mov_b32_e32 v1, s7
	v_mad_u64_u32 v[66:67], s[10:11], s2, v1, v[66:67]
	s_mul_i32 s3, s3, s7
	v_mov_b32_e32 v68, s26
	v_mov_b32_e32 v69, v85
	s_load_dwordx4 s[12:15], s[0:1], 0x58
	v_add_u32_e32 v1, s3, v67
	v_mad_u64_u32 v[66:67], s[10:11], v66, s6, v[68:69]
	v_mov_b32_e32 v68, v67
	v_mad_u64_u32 v[68:69], s[10:11], v1, s6, v[68:69]
	v_mov_b32_e32 v67, v68
	v_lshlrev_b64 v[66:67], 2, v[66:67]
	s_waitcnt lgkmcnt(0)
	v_lshl_add_u64 v[68:69], s[14:15], 0, v[66:67]
	v_lshl_add_u64 v[66:67], s[12:13], 0, v[66:67]
	global_store_dword v[68:69], v83, off
	global_store_dword v[66:67], v86, off
.LBB582_17:
	s_or_b64 exec, exec, s[4:5]
	v_lshl_or_b32 v1, v87, 9, v79
	s_waitcnt lgkmcnt(0)
	s_barrier
	ds_read_b128 v[70:73], v1
	ds_read_b128 v[66:69], v1 offset:16
	s_waitcnt vmcnt(15) lgkmcnt(1)
	v_mfma_f32_16x16x16_bf16 v[74:77], v[30:31], v[70:71], 0
	s_mov_b32 s3, 0
	v_cmp_gt_u32_e32 vcc, 64, v0
	v_mfma_f32_16x16x16_bf16 v[30:33], v[32:33], v[72:73], v[74:77]
	s_waitcnt vmcnt(14) lgkmcnt(0)
	v_mfma_f32_16x16x16_bf16 v[30:33], v[26:27], v[66:67], v[30:33]
	v_mfma_f32_16x16x16_bf16 v[26:29], v[28:29], v[68:69], v[30:33]
	s_nop 5
	ds_read_b128 v[30:33], v1 offset:2048
	ds_read_b128 v[74:77], v1 offset:2064
	s_waitcnt vmcnt(13) lgkmcnt(1)
	v_mfma_f32_16x16x16_bf16 v[26:29], v[22:23], v[30:31], v[26:29]
	v_mfma_f32_16x16x16_bf16 v[22:25], v[24:25], v[32:33], v[26:29]
	s_waitcnt vmcnt(12) lgkmcnt(0)
	v_mfma_f32_16x16x16_bf16 v[22:25], v[18:19], v[74:75], v[22:25]
	v_mfma_f32_16x16x16_bf16 v[18:21], v[20:21], v[76:77], v[22:25]
	s_nop 5
	ds_read_b128 v[22:25], v1 offset:4096
	ds_read_b128 v[26:29], v1 offset:4112
	s_waitcnt vmcnt(11) lgkmcnt(1)
	v_mfma_f32_16x16x16_bf16 v[18:21], v[14:15], v[22:23], v[18:21]
	v_mfma_f32_16x16x16_bf16 v[14:17], v[16:17], v[24:25], v[18:21]
	s_waitcnt vmcnt(10) lgkmcnt(0)
	v_mfma_f32_16x16x16_bf16 v[14:17], v[10:11], v[26:27], v[14:17]
	v_mfma_f32_16x16x16_bf16 v[10:13], v[12:13], v[28:29], v[14:17]
	s_nop 5
	ds_read_b128 v[14:17], v1 offset:6144
	ds_read_b128 v[18:21], v1 offset:6160
	s_waitcnt lgkmcnt(0)
	s_barrier
	s_waitcnt vmcnt(9)
	v_mfma_f32_16x16x16_bf16 v[10:13], v[6:7], v[14:15], v[10:13]
	v_mfma_f32_16x16x16_bf16 v[6:9], v[8:9], v[16:17], v[10:13]
	s_waitcnt vmcnt(8)
	v_mfma_f32_16x16x16_bf16 v[6:9], v[2:3], v[18:19], v[6:9]
	v_mfma_f32_16x16x16_bf16 v[2:5], v[4:5], v[20:21], v[6:9]
	;; [unrolled: 3-line block ×3, first 2 shown]
	s_nop 3
	v_bfe_u32 v1, v3, 16, 1
	v_bfe_u32 v10, v2, 16, 1
	v_add3_u32 v2, v2, v10, s8
	s_waitcnt vmcnt(6)
	v_mfma_f32_16x16x16_bf16 v[6:9], v[38:39], v[66:67], v[6:9]
	v_add3_u32 v1, v3, v1, s8
	v_perm_b32 v10, v1, v2, s9
	v_bfe_u32 v1, v5, 16, 1
	v_mfma_f32_16x16x16_bf16 v[6:9], v[40:41], v[68:69], v[6:9]
	v_bfe_u32 v2, v4, 16, 1
	v_add3_u32 v2, v4, v2, s8
	v_add3_u32 v1, v5, v1, s8
	s_waitcnt vmcnt(5)
	v_mfma_f32_16x16x16_bf16 v[6:9], v[42:43], v[30:31], v[6:9]
	v_perm_b32 v11, v1, v2, s9
	v_mfma_f32_16x16x16_bf16 v[6:9], v[44:45], v[32:33], v[6:9]
	s_waitcnt vmcnt(4)
	v_mfma_f32_16x16x16_bf16 v[6:9], v[34:35], v[74:75], v[6:9]
	v_mfma_f32_16x16x16_bf16 v[6:9], v[36:37], v[76:77], v[6:9]
	s_waitcnt vmcnt(3)
	v_mfma_f32_16x16x16_bf16 v[6:9], v[58:59], v[22:23], v[6:9]
	;; [unrolled: 3-line block ×5, first 2 shown]
	v_mfma_f32_16x16x16_bf16 v[2:5], v[52:53], v[20:21], v[6:9]
	s_nop 6
	v_bfe_u32 v1, v3, 16, 1
	v_bfe_u32 v6, v2, 16, 1
	v_add3_u32 v2, v2, v6, s8
	v_add3_u32 v1, v3, v1, s8
	v_perm_b32 v2, v1, v2, s9
	v_bfe_u32 v1, v5, 16, 1
	v_bfe_u32 v3, v4, 16, 1
	v_add3_u32 v3, v4, v3, s8
	v_add3_u32 v1, v5, v1, s8
	v_perm_b32 v3, v1, v3, s9
	ds_write2st64_b64 v78, v[10:11], v[2:3] offset1:1
	s_waitcnt lgkmcnt(0)
	s_barrier
	s_and_saveexec_b64 s[4:5], vcc
	s_cbranch_execz .LBB582_20
; %bb.18:
	s_load_dwordx2 s[4:5], s[0:1], 0x68
	s_lshl_b32 s0, s6, 7
	s_mul_i32 s1, s7, s2
	v_lshlrev_b32_e32 v3, 6, v84
	s_mul_hi_u32 s7, s1, s0
	s_mul_i32 s6, s1, s0
	v_lshlrev_b32_e32 v2, 4, v0
	v_lshl_or_b32 v0, v0, 10, v3
	s_lshl_b64 s[6:7], s[6:7], 1
	v_lshlrev_b32_e32 v1, 5, v87
	v_and_b32_e32 v2, 16, v2
	v_and_b32_e32 v0, 0x1a00, v0
	s_waitcnt lgkmcnt(0)
	s_add_u32 s1, s4, s6
	v_or3_b32 v2, v0, v1, v2
	s_addc_u32 s4, s5, s7
	s_lshl_b32 s2, s26, 7
	s_lshl_b64 s[2:3], s[2:3], 1
	ds_read_b128 v[4:7], v2
	s_add_u32 s2, s1, s2
	s_addc_u32 s3, s4, s3
	v_mov_b32_e32 v83, 0
	v_add_u32_e32 v3, s40, v87
	v_lshl_add_u64 v[0:1], s[2:3], 0, v[82:83]
	v_mad_u64_u32 v[8:9], s[2:3], v3, s0, 0
	v_lshl_add_u64 v[8:9], v[8:9], 1, v[0:1]
	v_cmp_ne_u32_e32 vcc, 3, v87
	s_waitcnt lgkmcnt(0)
	global_store_dwordx4 v[8:9], v[4:7], off
	s_and_b64 exec, exec, vcc
	s_cbranch_execz .LBB582_20
; %bb.19:
	ds_read_b128 v[2:5], v2 offset:128
	v_add3_u32 v6, s40, v87, 4
	v_mad_u64_u32 v[6:7], s[0:1], v6, s0, 0
	v_lshl_add_u64 v[0:1], v[6:7], 1, v[0:1]
	s_waitcnt lgkmcnt(0)
	global_store_dwordx4 v[0:1], v[2:5], off
.LBB582_20:
	s_endpgm
	.section	.rodata,"a",@progbits
	.p2align	6, 0x0
	.amdhsa_kernel _Z39paged_attention_ll4mi_QKV_mfma16_kernelI14__hip_bfloat16S0_LN4vllm18Fp8KVCacheDataTypeE0EhLi16ELi128ELi256ELb1ELi7EEvPKT_PKT0_S8_ifPKiSA_SA_iPKfiiiPfSD_PS3_PT2_iSC_SC_
		.amdhsa_group_segment_fixed_size 8192
		.amdhsa_private_segment_fixed_size 0
		.amdhsa_kernarg_size 400
		.amdhsa_user_sgpr_count 2
		.amdhsa_user_sgpr_dispatch_ptr 0
		.amdhsa_user_sgpr_queue_ptr 0
		.amdhsa_user_sgpr_kernarg_segment_ptr 1
		.amdhsa_user_sgpr_dispatch_id 0
		.amdhsa_user_sgpr_kernarg_preload_length 0
		.amdhsa_user_sgpr_kernarg_preload_offset 0
		.amdhsa_user_sgpr_private_segment_size 0
		.amdhsa_uses_dynamic_stack 0
		.amdhsa_enable_private_segment 0
		.amdhsa_system_sgpr_workgroup_id_x 1
		.amdhsa_system_sgpr_workgroup_id_y 1
		.amdhsa_system_sgpr_workgroup_id_z 1
		.amdhsa_system_sgpr_workgroup_info 0
		.amdhsa_system_vgpr_workitem_id 0
		.amdhsa_next_free_vgpr 96
		.amdhsa_next_free_sgpr 42
		.amdhsa_accum_offset 96
		.amdhsa_reserve_vcc 1
		.amdhsa_float_round_mode_32 0
		.amdhsa_float_round_mode_16_64 0
		.amdhsa_float_denorm_mode_32 3
		.amdhsa_float_denorm_mode_16_64 3
		.amdhsa_dx10_clamp 1
		.amdhsa_ieee_mode 1
		.amdhsa_fp16_overflow 0
		.amdhsa_tg_split 0
		.amdhsa_exception_fp_ieee_invalid_op 0
		.amdhsa_exception_fp_denorm_src 0
		.amdhsa_exception_fp_ieee_div_zero 0
		.amdhsa_exception_fp_ieee_overflow 0
		.amdhsa_exception_fp_ieee_underflow 0
		.amdhsa_exception_fp_ieee_inexact 0
		.amdhsa_exception_int_div_zero 0
	.end_amdhsa_kernel
	.section	.text._Z39paged_attention_ll4mi_QKV_mfma16_kernelI14__hip_bfloat16S0_LN4vllm18Fp8KVCacheDataTypeE0EhLi16ELi128ELi256ELb1ELi7EEvPKT_PKT0_S8_ifPKiSA_SA_iPKfiiiPfSD_PS3_PT2_iSC_SC_,"axG",@progbits,_Z39paged_attention_ll4mi_QKV_mfma16_kernelI14__hip_bfloat16S0_LN4vllm18Fp8KVCacheDataTypeE0EhLi16ELi128ELi256ELb1ELi7EEvPKT_PKT0_S8_ifPKiSA_SA_iPKfiiiPfSD_PS3_PT2_iSC_SC_,comdat
.Lfunc_end582:
	.size	_Z39paged_attention_ll4mi_QKV_mfma16_kernelI14__hip_bfloat16S0_LN4vllm18Fp8KVCacheDataTypeE0EhLi16ELi128ELi256ELb1ELi7EEvPKT_PKT0_S8_ifPKiSA_SA_iPKfiiiPfSD_PS3_PT2_iSC_SC_, .Lfunc_end582-_Z39paged_attention_ll4mi_QKV_mfma16_kernelI14__hip_bfloat16S0_LN4vllm18Fp8KVCacheDataTypeE0EhLi16ELi128ELi256ELb1ELi7EEvPKT_PKT0_S8_ifPKiSA_SA_iPKfiiiPfSD_PS3_PT2_iSC_SC_
                                        ; -- End function
	.section	.AMDGPU.csdata,"",@progbits
; Kernel info:
; codeLenInByte = 4984
; NumSgprs: 48
; NumVgprs: 96
; NumAgprs: 0
; TotalNumVgprs: 96
; ScratchSize: 0
; MemoryBound: 0
; FloatMode: 240
; IeeeMode: 1
; LDSByteSize: 8192 bytes/workgroup (compile time only)
; SGPRBlocks: 5
; VGPRBlocks: 11
; NumSGPRsForWavesPerEU: 48
; NumVGPRsForWavesPerEU: 96
; AccumOffset: 96
; Occupancy: 5
; WaveLimiterHint : 1
; COMPUTE_PGM_RSRC2:SCRATCH_EN: 0
; COMPUTE_PGM_RSRC2:USER_SGPR: 2
; COMPUTE_PGM_RSRC2:TRAP_HANDLER: 0
; COMPUTE_PGM_RSRC2:TGID_X_EN: 1
; COMPUTE_PGM_RSRC2:TGID_Y_EN: 1
; COMPUTE_PGM_RSRC2:TGID_Z_EN: 1
; COMPUTE_PGM_RSRC2:TIDIG_COMP_CNT: 0
; COMPUTE_PGM_RSRC3_GFX90A:ACCUM_OFFSET: 23
; COMPUTE_PGM_RSRC3_GFX90A:TG_SPLIT: 0
	.section	.text._Z39paged_attention_ll4mi_QKV_mfma16_kernelI14__hip_bfloat16S0_LN4vllm18Fp8KVCacheDataTypeE0EhLi16ELi128ELi256ELb1ELi8EEvPKT_PKT0_S8_ifPKiSA_SA_iPKfiiiPfSD_PS3_PT2_iSC_SC_,"axG",@progbits,_Z39paged_attention_ll4mi_QKV_mfma16_kernelI14__hip_bfloat16S0_LN4vllm18Fp8KVCacheDataTypeE0EhLi16ELi128ELi256ELb1ELi8EEvPKT_PKT0_S8_ifPKiSA_SA_iPKfiiiPfSD_PS3_PT2_iSC_SC_,comdat
	.protected	_Z39paged_attention_ll4mi_QKV_mfma16_kernelI14__hip_bfloat16S0_LN4vllm18Fp8KVCacheDataTypeE0EhLi16ELi128ELi256ELb1ELi8EEvPKT_PKT0_S8_ifPKiSA_SA_iPKfiiiPfSD_PS3_PT2_iSC_SC_ ; -- Begin function _Z39paged_attention_ll4mi_QKV_mfma16_kernelI14__hip_bfloat16S0_LN4vllm18Fp8KVCacheDataTypeE0EhLi16ELi128ELi256ELb1ELi8EEvPKT_PKT0_S8_ifPKiSA_SA_iPKfiiiPfSD_PS3_PT2_iSC_SC_
	.globl	_Z39paged_attention_ll4mi_QKV_mfma16_kernelI14__hip_bfloat16S0_LN4vllm18Fp8KVCacheDataTypeE0EhLi16ELi128ELi256ELb1ELi8EEvPKT_PKT0_S8_ifPKiSA_SA_iPKfiiiPfSD_PS3_PT2_iSC_SC_
	.p2align	8
	.type	_Z39paged_attention_ll4mi_QKV_mfma16_kernelI14__hip_bfloat16S0_LN4vllm18Fp8KVCacheDataTypeE0EhLi16ELi128ELi256ELb1ELi8EEvPKT_PKT0_S8_ifPKiSA_SA_iPKfiiiPfSD_PS3_PT2_iSC_SC_,@function
_Z39paged_attention_ll4mi_QKV_mfma16_kernelI14__hip_bfloat16S0_LN4vllm18Fp8KVCacheDataTypeE0EhLi16ELi128ELi256ELb1ELi8EEvPKT_PKT0_S8_ifPKiSA_SA_iPKfiiiPfSD_PS3_PT2_iSC_SC_: ; @_Z39paged_attention_ll4mi_QKV_mfma16_kernelI14__hip_bfloat16S0_LN4vllm18Fp8KVCacheDataTypeE0EhLi16ELi128ELi256ELb1ELi8EEvPKT_PKT0_S8_ifPKiSA_SA_iPKfiiiPfSD_PS3_PT2_iSC_SC_
; %bb.0:
	s_load_dwordx2 s[8:9], s[0:1], 0x30
	s_mov_b32 s26, s3
	s_mov_b64 s[6:7], 0
	s_waitcnt lgkmcnt(0)
	s_cmp_lg_u64 s[8:9], 0
	s_cselect_b64 s[10:11], -1, 0
	s_and_b64 vcc, exec, s[10:11]
	s_cbranch_vccz .LBB583_7
; %bb.1:
	s_add_i32 s12, s2, 1
	s_mov_b32 s13, 0
	s_lshl_b64 s[14:15], s[12:13], 2
	s_add_u32 s14, s8, s14
	s_mov_b32 s3, s13
	s_addc_u32 s15, s9, s15
	s_lshl_b64 s[12:13], s[2:3], 2
	s_add_u32 s12, s8, s12
	s_addc_u32 s13, s9, s13
	s_load_dword s5, s[14:15], 0x0
	s_load_dword s16, s[12:13], 0x0
	s_waitcnt lgkmcnt(0)
	s_sub_i32 s5, s5, s16
	s_cmp_eq_u32 s5, 1
	s_cselect_b64 s[12:13], -1, 0
	s_andn2_b64 vcc, exec, s[6:7]
	s_cbranch_vccnz .LBB583_3
.LBB583_2:
	s_mov_b32 s3, 0
	s_mov_b64 s[12:13], -1
.LBB583_3:
	s_andn2_b64 vcc, exec, s[12:13]
	s_cbranch_vccnz .LBB583_19
; %bb.4:
	s_load_dwordx2 s[6:7], s[0:1], 0x28
	s_lshl_b64 s[12:13], s[2:3], 2
	s_waitcnt lgkmcnt(0)
	s_add_u32 s6, s6, s12
	s_addc_u32 s7, s7, s13
	s_load_dword s33, s[6:7], 0x0
	s_lshl_b32 s18, s26, 8
	s_waitcnt lgkmcnt(0)
	s_cmp_ge_i32 s18, s33
	s_cbranch_scc1 .LBB583_19
; %bb.5:
	s_load_dwordx2 s[6:7], s[0:1], 0x20
	s_load_dword s5, s[0:1], 0x38
	s_add_i32 s14, s33, 15
	s_ashr_i32 s15, s14, 31
	v_and_b32_e32 v1, 0xcf, v0
	s_lshr_b32 s15, s15, 28
	v_add_u32_e32 v1, s18, v1
	s_add_i32 s14, s14, s15
	v_ashrrev_i32_e32 v2, 31, v1
	s_ashr_i32 s19, s14, 4
	v_lshrrev_b32_e32 v4, 28, v2
	s_add_i32 s19, s19, -1
	s_waitcnt lgkmcnt(0)
	s_mul_i32 s14, s2, s5
	s_mov_b32 s15, 0
	v_add_u32_e32 v2, v1, v4
	s_lshl_b64 s[14:15], s[14:15], 2
	v_ashrrev_i32_e32 v2, 4, v2
	v_mov_b32_e32 v5, s19
	v_cmp_gt_i32_e32 vcc, s33, v1
	s_add_u32 s6, s6, s14
	s_addc_u32 s7, s7, s15
	v_cndmask_b32_e32 v2, v5, v2, vcc
	v_ashrrev_i32_e32 v3, 31, v2
	v_lshl_add_u64 v[6:7], v[2:3], 2, s[6:7]
	v_or_b32_e32 v2, 16, v1
	v_add_u32_e32 v3, v2, v4
	v_ashrrev_i32_e32 v3, 4, v3
	v_cmp_gt_i32_e32 vcc, s33, v2
	s_load_dwordx2 s[14:15], s[0:1], 0x8
	s_nop 0
	v_cndmask_b32_e32 v2, v5, v3, vcc
	v_ashrrev_i32_e32 v3, 31, v2
	v_lshl_add_u64 v[8:9], v[2:3], 2, s[6:7]
	v_or_b32_e32 v2, 32, v1
	v_add_u32_e32 v3, v2, v4
	v_ashrrev_i32_e32 v3, 4, v3
	v_cmp_gt_i32_e32 vcc, s33, v2
	v_or_b32_e32 v1, 48, v1
	s_nop 0
	v_cndmask_b32_e32 v2, v5, v3, vcc
	v_ashrrev_i32_e32 v3, 31, v2
	v_lshl_add_u64 v[10:11], v[2:3], 2, s[6:7]
	v_add_u32_e32 v2, v1, v4
	v_ashrrev_i32_e32 v2, 4, v2
	v_cmp_gt_i32_e32 vcc, s33, v1
	s_nop 1
	v_cndmask_b32_e32 v2, v5, v2, vcc
	v_ashrrev_i32_e32 v3, 31, v2
	v_lshl_add_u64 v[12:13], v[2:3], 2, s[6:7]
	global_load_dword v5, v[6:7], off
	global_load_dword v4, v[8:9], off
	;; [unrolled: 1-line block ×4, first 2 shown]
	s_andn2_b64 vcc, exec, s[10:11]
	s_cbranch_vccnz .LBB583_8
; %bb.6:
	s_add_u32 s8, s8, s12
	s_addc_u32 s9, s9, s13
	s_load_dword s5, s[8:9], 0x0
	s_branch .LBB583_9
.LBB583_7:
	s_mov_b64 s[12:13], 0
	s_branch .LBB583_2
.LBB583_8:
	s_mov_b32 s5, s2
.LBB583_9:
	s_load_dwordx2 s[12:13], s[0:1], 0x10
	s_load_dwordx4 s[8:11], s[0:1], 0x48
	v_and_b32_e32 v86, 15, v0
	v_lshlrev_b32_e32 v6, 3, v86
	s_waitcnt lgkmcnt(0)
	s_movk_i32 s11, 0x80
	v_lshrrev_b32_e32 v87, 6, v0
	v_bfe_u32 v1, v0, 4, 2
	s_lshl_b32 s27, s4, 3
	v_cmp_gt_u32_e32 vcc, s11, v0
	v_lshlrev_b32_e32 v82, 1, v6
	s_and_saveexec_b64 s[16:17], vcc
	s_cbranch_execz .LBB583_11
; %bb.10:
	s_load_dwordx2 s[20:21], s[0:1], 0x0
	s_ashr_i32 s11, s8, 31
	s_mul_hi_u32 s22, s5, s8
	s_mul_i32 s11, s5, s11
	s_add_i32 s23, s22, s11
	s_mul_i32 s22, s5, s8
	v_lshl_or_b32 v10, v87, 2, v1
	s_lshl_b64 s[22:23], s[22:23], 1
	s_waitcnt lgkmcnt(0)
	s_add_u32 s20, s20, s22
	v_add_lshl_u32 v6, v10, s27, 7
	s_addc_u32 s21, s21, s23
	v_ashrrev_i32_e32 v7, 31, v6
	v_lshl_add_u64 v[6:7], v[6:7], 1, s[20:21]
	v_mov_b32_e32 v83, 0
	v_lshl_add_u64 v[6:7], v[6:7], 0, v[82:83]
	global_load_dwordx4 v[6:9], v[6:7], off
	v_and_b32_e32 v11, 3, v0
	v_lshlrev_b32_e32 v12, 9, v86
	v_lshlrev_b32_e32 v10, 5, v10
	;; [unrolled: 1-line block ×3, first 2 shown]
	v_and_b32_e32 v12, 0x1800, v12
	v_or3_b32 v10, v12, v11, v10
	s_waitcnt vmcnt(0)
	ds_write_b128 v10, v[6:9]
.LBB583_11:
	s_or_b64 exec, exec, s[16:17]
	s_mul_i32 s4, s4, s10
	s_mov_b32 s5, 0
	s_lshl_b64 s[4:5], s[4:5], 1
	s_add_u32 s10, s14, s4
	v_lshlrev_b32_e32 v10, 4, v0
	s_addc_u32 s11, s15, s5
	v_and_b32_e32 v84, 0xf0, v10
	v_mov_b32_e32 v85, 0
	v_lshl_add_u64 v[6:7], s[10:11], 0, v[84:85]
	s_waitcnt vmcnt(3)
	v_mad_i64_i32 v[8:9], s[10:11], v5, s9, 0
	s_waitcnt vmcnt(2)
	v_mad_i64_i32 v[4:5], s[10:11], v4, s9, 0
	v_lshl_add_u64 v[8:9], v[8:9], 1, v[6:7]
	v_and_b32_e32 v84, 0x300, v10
	v_lshl_add_u64 v[4:5], v[4:5], 1, v[6:7]
	v_lshl_add_u64 v[8:9], v[8:9], 0, v[84:85]
	;; [unrolled: 1-line block ×3, first 2 shown]
	s_waitcnt lgkmcnt(0)
	s_barrier
	global_load_dwordx4 v[78:81], v[8:9], off
	global_load_dwordx4 v[74:77], v[8:9], off offset:1024
	global_load_dwordx4 v[70:73], v[8:9], off offset:2048
	;; [unrolled: 1-line block ×3, first 2 shown]
	global_load_dwordx4 v[66:69], v[4:5], off
	global_load_dwordx4 v[62:65], v[4:5], off offset:1024
	global_load_dwordx4 v[58:61], v[4:5], off offset:2048
	;; [unrolled: 1-line block ×3, first 2 shown]
	s_waitcnt vmcnt(9)
	v_mad_i64_i32 v[4:5], s[10:11], v3, s9, 0
	s_waitcnt vmcnt(8)
	v_mad_i64_i32 v[2:3], s[10:11], v2, s9, 0
	v_lshl_add_u64 v[4:5], v[4:5], 1, v[6:7]
	v_lshl_add_u64 v[2:3], v[2:3], 1, v[6:7]
	;; [unrolled: 1-line block ×4, first 2 shown]
	global_load_dwordx4 v[54:57], v[4:5], off
	global_load_dwordx4 v[30:33], v[4:5], off offset:1024
	global_load_dwordx4 v[26:29], v[4:5], off offset:2048
	;; [unrolled: 1-line block ×3, first 2 shown]
	global_load_dwordx4 v[6:9], v[14:15], off
	s_nop 0
	global_load_dwordx4 v[2:5], v[14:15], off offset:1024
	global_load_dwordx4 v[42:45], v[14:15], off offset:2048
	;; [unrolled: 1-line block ×3, first 2 shown]
	v_and_b32_e32 v14, 7, v0
	v_lshlrev_b32_e32 v14, 5, v14
	v_lshl_or_b32 v38, v1, 9, v14
	ds_read_b128 v[14:17], v38
	ds_read_b128 v[50:53], v38 offset:2048
	ds_read_b128 v[46:49], v38 offset:4096
	;; [unrolled: 1-line block ×3, first 2 shown]
	v_and_b32_e32 v88, 63, v0
	v_cmp_gt_u32_e32 vcc, 8, v86
	v_mov_b32_e32 v89, 0
	s_and_saveexec_b64 s[10:11], vcc
	s_cbranch_execz .LBB583_13
; %bb.12:
	s_load_dwordx2 s[14:15], s[0:1], 0x40
	v_or_b32_e32 v90, s27, v86
	v_ashrrev_i32_e32 v91, 31, v90
	s_waitcnt lgkmcnt(0)
	v_lshl_add_u64 v[90:91], v[90:91], 2, s[14:15]
	global_load_dword v89, v[90:91], off
.LBB583_13:
	s_or_b64 exec, exec, s[10:11]
	s_waitcnt vmcnt(15) lgkmcnt(3)
	v_mfma_f32_16x16x16_bf16 v[90:93], v[78:79], v[14:15], 0
	s_add_u32 s4, s12, s4
	s_addc_u32 s5, s13, s5
	s_mov_b32 s40, 0xff7fffff
	v_mfma_f32_16x16x16_bf16 v[78:81], v[80:81], v[16:17], v[90:93]
	s_waitcnt vmcnt(14) lgkmcnt(2)
	v_mfma_f32_16x16x16_bf16 v[78:81], v[74:75], v[50:51], v[78:81]
	s_nop 0
	v_lshl_or_b32 v90, v87, 4, v86
	v_lshlrev_b32_e32 v84, 5, v90
	v_mfma_f32_16x16x16_bf16 v[74:77], v[76:77], v[52:53], v[78:81]
	s_waitcnt vmcnt(13) lgkmcnt(1)
	v_mfma_f32_16x16x16_bf16 v[74:77], v[70:71], v[46:47], v[74:77]
	v_mfma_f32_16x16x16_bf16 v[70:73], v[72:73], v[48:49], v[74:77]
	s_waitcnt vmcnt(11)
	v_mfma_f32_16x16x16_bf16 v[74:77], v[66:67], v[14:15], 0
	v_mfma_f32_16x16x16_bf16 v[66:69], v[68:69], v[16:17], v[74:77]
	s_nop 5
	v_and_or_b32 v74, v0, 48, s18
	s_waitcnt lgkmcnt(0)
	v_mfma_f32_16x16x16_bf16 v[70:73], v[10:11], v[38:39], v[70:73]
	v_ashrrev_i32_e32 v10, 4, v74
	v_mov_b32_e32 v75, s19
	v_cmp_gt_i32_e32 vcc, s33, v74
	s_waitcnt vmcnt(10)
	v_mfma_f32_16x16x16_bf16 v[66:69], v[62:63], v[50:51], v[66:69]
	v_cndmask_b32_e32 v10, v75, v10, vcc
	v_ashrrev_i32_e32 v11, 31, v10
	v_lshl_add_u64 v[10:11], v[10:11], 2, s[6:7]
	v_mfma_f32_16x16x16_bf16 v[62:65], v[64:65], v[52:53], v[66:69]
	s_nop 2
	global_load_dword v68, v[10:11], off
	v_or_b32_e32 v10, 64, v74
	v_ashrrev_i32_e32 v11, 4, v10
	v_cmp_gt_i32_e32 vcc, s33, v10
	s_waitcnt vmcnt(10)
	v_mfma_f32_16x16x16_bf16 v[62:65], v[58:59], v[46:47], v[62:65]
	v_cndmask_b32_e32 v10, v75, v11, vcc
	v_ashrrev_i32_e32 v11, 31, v10
	v_lshl_add_u64 v[10:11], v[10:11], 2, s[6:7]
	global_load_dword v69, v[10:11], off
	v_or_b32_e32 v10, 0x80, v74
	v_ashrrev_i32_e32 v11, 4, v10
	v_cmp_gt_i32_e32 vcc, s33, v10
	v_mfma_f32_16x16x16_bf16 v[58:61], v[60:61], v[48:49], v[62:65]
	s_nop 0
	v_cndmask_b32_e32 v10, v75, v11, vcc
	v_ashrrev_i32_e32 v11, 31, v10
	v_lshl_add_u64 v[10:11], v[10:11], 2, s[6:7]
	global_load_dword v78, v[10:11], off
	v_or_b32_e32 v10, 0xc0, v74
	v_ashrrev_i32_e32 v11, 4, v10
	v_cmp_gt_i32_e32 vcc, s33, v10
	s_waitcnt vmcnt(10)
	v_mfma_f32_16x16x16_bf16 v[62:65], v[54:55], v[14:15], 0
	v_cndmask_b32_e32 v10, v75, v11, vcc
	v_ashrrev_i32_e32 v11, 31, v10
	v_lshl_add_u64 v[10:11], v[10:11], 2, s[6:7]
	global_load_dword v74, v[10:11], off
	v_mfma_f32_16x16x16_bf16 v[54:57], v[56:57], v[16:17], v[62:65]
	s_load_dword s6, s[0:1], 0x1c
	s_waitcnt vmcnt(3)
	v_mad_i64_i32 v[10:11], s[10:11], v68, s9, 0
	v_mfma_f32_16x16x16_bf16 v[54:57], v[30:31], v[50:51], v[54:57]
	v_lshlrev_b64 v[76:77], 1, v[10:11]
	v_lshl_add_u64 v[62:63], s[4:5], 0, v[84:85]
	v_or_b32_e32 v84, 0x800, v84
	v_mfma_f32_16x16x16_bf16 v[30:33], v[32:33], v[52:53], v[54:57]
	v_mfma_f32_16x16x16_bf16 v[30:33], v[26:27], v[46:47], v[30:33]
	;; [unrolled: 1-line block ×3, first 2 shown]
	v_lshl_add_u64 v[18:19], v[62:63], 0, v[76:77]
	v_mfma_f32_16x16x16_bf16 v[58:61], v[12:13], v[40:41], v[70:73]
	v_mfma_f32_16x16x16_bf16 v[10:13], v[28:29], v[48:49], v[30:33]
	s_nop 2
	global_load_dwordx4 v[30:33], v[18:19], off
	global_load_dwordx4 v[26:29], v[18:19], off offset:16
	s_waitcnt vmcnt(4)
	v_mad_i64_i32 v[18:19], s[10:11], v69, s9, 0
	v_mfma_f32_16x16x16_bf16 v[10:13], v[22:23], v[38:39], v[10:13]
	v_mfma_f32_16x16x16_bf16 v[64:67], v[20:21], v[40:41], v[54:57]
	s_nop 2
	v_lshlrev_b64 v[54:55], 1, v[18:19]
	v_mfma_f32_16x16x16_bf16 v[68:71], v[24:25], v[40:41], v[10:13]
	s_nop 2
	v_lshl_add_u64 v[10:11], v[62:63], 0, v[54:55]
	global_load_dwordx4 v[22:25], v[10:11], off
	global_load_dwordx4 v[18:21], v[10:11], off offset:16
	v_mfma_f32_16x16x16_bf16 v[10:13], v[6:7], v[14:15], 0
	s_waitcnt vmcnt(5)
	v_mad_i64_i32 v[6:7], s[10:11], v78, s9, 0
	v_lshlrev_b64 v[56:57], 1, v[6:7]
	v_mfma_f32_16x16x16_bf16 v[6:9], v[8:9], v[16:17], v[10:13]
	s_waitcnt lgkmcnt(0)
	v_pk_mul_f32 v[78:79], s[6:7], v[60:61] op_sel_hi:[0,1]
	v_pk_mul_f32 v[70:71], s[6:7], v[70:71] op_sel_hi:[0,1]
	v_mfma_f32_16x16x16_bf16 v[6:9], v[2:3], v[50:51], v[6:9]
	s_waitcnt vmcnt(4)
	v_mad_i64_i32 v[2:3], s[8:9], v74, s9, 0
	v_lshlrev_b64 v[50:51], 1, v[2:3]
	v_mfma_f32_16x16x16_bf16 v[72:75], v[4:5], v[52:53], v[6:9]
	v_pk_mul_f32 v[52:53], s[6:7], v[58:59] op_sel_hi:[0,1]
	v_lshl_add_u64 v[10:11], v[62:63], 0, v[56:57]
	v_lshl_add_u64 v[2:3], v[62:63], 0, v[50:51]
	v_mfma_f32_16x16x16_bf16 v[72:75], v[42:43], v[46:47], v[72:75]
	v_lshl_add_u64 v[62:63], s[4:5], 0, v[84:85]
	v_lshl_add_u64 v[42:43], v[62:63], 0, v[76:77]
	v_pk_mul_f32 v[76:77], s[6:7], v[64:65] op_sel_hi:[0,1]
	v_mfma_f32_16x16x16_bf16 v[44:47], v[44:45], v[48:49], v[72:75]
	v_lshl_add_u64 v[50:51], v[62:63], 0, v[50:51]
	global_load_dwordx4 v[14:17], v[10:11], off
	s_nop 0
	global_load_dwordx4 v[10:13], v[10:11], off offset:16
	v_pk_mul_f32 v[72:73], s[6:7], v[68:69] op_sel_hi:[0,1]
	v_mfma_f32_16x16x16_bf16 v[44:47], v[34:35], v[38:39], v[44:47]
	v_pk_mul_f32 v[74:75], s[6:7], v[66:67] op_sel_hi:[0,1]
	global_load_dwordx4 v[6:9], v[2:3], off
	s_nop 0
	global_load_dwordx4 v[2:5], v[2:3], off offset:16
	v_mfma_f32_16x16x16_bf16 v[34:37], v[36:37], v[40:41], v[44:47]
	s_nop 6
	v_pk_mul_f32 v[68:69], s[6:7], v[34:35] op_sel_hi:[0,1]
	v_and_b32_e32 v34, 0xc0, v0
	v_add_u32_e32 v34, s18, v34
	v_lshl_or_b32 v34, v1, 2, v34
	v_or_b32_e32 v35, 1, v34
	v_pk_mul_f32 v[66:67], s[6:7], v[36:37] op_sel_hi:[0,1]
	v_subrev_u32_e32 v36, s33, v35
	v_add_u32_e32 v38, 1, v36
	v_add_u32_e32 v39, 2, v36
	v_cvt_f32_i32_e32 v37, v36
	v_cvt_f32_i32_e32 v38, v38
	;; [unrolled: 1-line block ×3, first 2 shown]
	v_add_u32_e32 v40, 3, v36
	v_fma_f32 v52, v89, v37, v52
	v_fmac_f32_e32 v53, v89, v38
	v_fma_f32 v78, v89, v39, v78
	v_add_u32_e32 v37, 16, v36
	v_add_u32_e32 v38, 17, v36
	;; [unrolled: 1-line block ×3, first 2 shown]
	v_cvt_f32_i32_e32 v40, v40
	v_cvt_f32_i32_e32 v37, v37
	;; [unrolled: 1-line block ×4, first 2 shown]
	v_fmac_f32_e32 v79, v89, v40
	v_add_u32_e32 v40, 19, v36
	v_fma_f32 v76, v89, v37, v76
	v_fmac_f32_e32 v77, v89, v38
	v_fma_f32 v74, v89, v39, v74
	v_add_u32_e32 v37, 32, v36
	v_add_u32_e32 v38, 33, v36
	;; [unrolled: 1-line block ×3, first 2 shown]
	v_cvt_f32_i32_e32 v40, v40
	v_cvt_f32_i32_e32 v37, v37
	;; [unrolled: 1-line block ×4, first 2 shown]
	v_fmac_f32_e32 v75, v89, v40
	v_add_u32_e32 v40, 35, v36
	v_fma_f32 v72, v89, v37, v72
	v_fmac_f32_e32 v73, v89, v38
	v_fma_f32 v70, v89, v39, v70
	v_add_u32_e32 v37, 48, v36
	v_add_u32_e32 v38, 49, v36
	v_add_u32_e32 v39, 50, v36
	v_add_u32_e32 v36, 51, v36
	v_cvt_f32_i32_e32 v36, v36
	v_cvt_f32_i32_e32 v37, v37
	;; [unrolled: 1-line block ×3, first 2 shown]
	v_cmp_gt_i32_e64 s[28:29], s33, v34
	v_fmac_f32_e32 v67, v89, v36
	v_mov_b32_e32 v36, 0xff7fffff
	v_cmp_gt_i32_e64 s[30:31], s33, v35
	v_fma_f32 v68, v89, v37, v68
	v_cndmask_b32_e64 v37, v36, v52, s[28:29]
	v_cndmask_b32_e64 v35, v36, v53, s[30:31]
	v_fmac_f32_e32 v69, v89, v38
	v_max3_f32 v35, v37, s40, v35
	v_or_b32_e32 v37, 2, v34
	v_or_b32_e32 v38, 3, v34
	v_cmp_gt_i32_e64 s[34:35], s33, v37
	v_cmp_gt_i32_e64 s[36:37], s33, v38
	v_cvt_f32_i32_e32 v40, v40
	v_cndmask_b32_e64 v37, v36, v78, s[34:35]
	v_cndmask_b32_e64 v38, v36, v79, s[36:37]
	v_max3_f32 v35, v35, v37, v38
	v_or_b32_e32 v37, 16, v34
	v_or_b32_e32 v38, 17, v34
	v_cmp_gt_i32_e64 s[22:23], s33, v37
	v_cmp_gt_i32_e64 s[24:25], s33, v38
	v_fmac_f32_e32 v71, v89, v40
	v_cndmask_b32_e64 v37, v36, v76, s[22:23]
	v_cndmask_b32_e64 v38, v36, v77, s[24:25]
	v_max3_f32 v35, v35, v37, v38
	v_or_b32_e32 v37, 18, v34
	v_or_b32_e32 v38, 19, v34
	v_cmp_gt_i32_e64 s[18:19], s33, v37
	v_cmp_gt_i32_e64 s[20:21], s33, v38
	v_cvt_f32_i32_e32 v39, v39
	v_cndmask_b32_e64 v37, v36, v74, s[18:19]
	v_cndmask_b32_e64 v38, v36, v75, s[20:21]
	v_max3_f32 v35, v35, v37, v38
	v_or_b32_e32 v37, 32, v34
	v_or_b32_e32 v38, 33, v34
	v_cmp_gt_i32_e64 s[14:15], s33, v37
	v_cmp_gt_i32_e64 s[16:17], s33, v38
	v_fma_f32 v66, v89, v39, v66
	v_cndmask_b32_e64 v37, v36, v72, s[14:15]
	v_cndmask_b32_e64 v38, v36, v73, s[16:17]
	v_max3_f32 v35, v35, v37, v38
	v_or_b32_e32 v37, 34, v34
	v_or_b32_e32 v38, 35, v34
	v_cmp_gt_i32_e64 s[10:11], s33, v37
	v_cmp_gt_i32_e64 s[12:13], s33, v38
	s_nop 0
	v_cndmask_b32_e64 v37, v36, v70, s[10:11]
	v_cndmask_b32_e64 v38, v36, v71, s[12:13]
	v_max3_f32 v35, v35, v37, v38
	v_or_b32_e32 v37, 48, v34
	v_or_b32_e32 v38, 49, v34
	v_cmp_gt_i32_e64 s[6:7], s33, v37
	v_cmp_gt_i32_e64 s[8:9], s33, v38
	s_nop 0
	v_cndmask_b32_e64 v37, v36, v68, s[6:7]
	v_cndmask_b32_e64 v38, v36, v69, s[8:9]
	v_max3_f32 v35, v35, v37, v38
	v_or_b32_e32 v37, 50, v34
	v_or_b32_e32 v34, 51, v34
	v_cmp_gt_i32_e32 vcc, s33, v37
	v_cmp_gt_i32_e64 s[4:5], s33, v34
	global_load_dwordx4 v[46:49], v[42:43], off
	global_load_dwordx4 v[38:41], v[42:43], off offset:16
	v_cndmask_b32_e32 v37, v36, v66, vcc
	v_cndmask_b32_e64 v34, v36, v67, s[4:5]
	v_max3_f32 v58, v35, v37, v34
	v_mbcnt_lo_u32_b32 v34, -1, 0
	v_mbcnt_hi_u32_b32 v59, -1, v34
	v_and_b32_e32 v34, 64, v59
	v_add_u32_e32 v60, 64, v34
	v_xor_b32_e32 v34, 32, v59
	v_cmp_lt_i32_e64 s[38:39], v34, v60
	s_nop 1
	v_cndmask_b32_e64 v34, v59, v34, s[38:39]
	v_lshlrev_b32_e32 v85, 2, v34
	ds_bpermute_b32 v61, v85, v58
	v_lshl_add_u64 v[34:35], v[62:63], 0, v[54:55]
	global_load_dwordx4 v[42:45], v[34:35], off
	s_nop 0
	global_load_dwordx4 v[34:37], v[34:35], off offset:16
	s_waitcnt lgkmcnt(0)
	v_max_f32_e32 v54, v61, v61
	v_max_f32_e32 v64, v58, v54
	v_xor_b32_e32 v54, 16, v59
	v_cmp_lt_i32_e64 s[38:39], v54, v60
	s_nop 1
	v_cndmask_b32_e64 v54, v59, v54, s[38:39]
	v_lshlrev_b32_e32 v89, 2, v54
	ds_bpermute_b32 v65, v89, v64
	v_lshl_add_u64 v[54:55], v[62:63], 0, v[56:57]
	global_load_dwordx4 v[58:61], v[54:55], off
	s_nop 0
	global_load_dwordx4 v[54:57], v[54:55], off offset:16
	s_waitcnt lgkmcnt(0)
	v_max_f32_e32 v62, v65, v65
	v_max_f32_e32 v84, v64, v62
	v_sub_f32_e32 v52, v52, v84
	v_mul_f32_e32 v52, 0x3fb8aa3b, v52
	v_exp_f32_e32 v80, v52
	v_sub_f32_e32 v52, v53, v84
	v_mul_f32_e32 v52, 0x3fb8aa3b, v52
	v_exp_f32_e32 v81, v52
	global_load_dwordx4 v[62:65], v[50:51], off
	s_nop 0
	global_load_dwordx4 v[50:53], v[50:51], off offset:16
	v_sub_f32_e32 v78, v78, v84
	v_mul_f32_e32 v78, 0x3fb8aa3b, v78
	v_sub_f32_e32 v79, v79, v84
	v_exp_f32_e32 v78, v78
	v_mul_f32_e32 v79, 0x3fb8aa3b, v79
	v_sub_f32_e32 v76, v76, v84
	v_exp_f32_e32 v79, v79
	v_mul_f32_e32 v76, 0x3fb8aa3b, v76
	v_sub_f32_e32 v77, v77, v84
	v_cndmask_b32_e64 v80, 0, v80, s[28:29]
	v_exp_f32_e32 v76, v76
	v_mul_f32_e32 v77, 0x3fb8aa3b, v77
	v_sub_f32_e32 v74, v74, v84
	v_add_f32_e32 v91, 0, v80
	v_cndmask_b32_e64 v81, 0, v81, s[30:31]
	v_exp_f32_e32 v77, v77
	v_mul_f32_e32 v74, 0x3fb8aa3b, v74
	v_sub_f32_e32 v75, v75, v84
	v_add_f32_e32 v91, v91, v81
	;; [unrolled: 5-line block ×10, first 2 shown]
	v_cndmask_b32_e64 v70, 0, v70, s[10:11]
	v_exp_f32_e32 v66, v66
	v_mul_f32_e32 v67, 0x3fb8aa3b, v67
	v_add_f32_e32 v91, v91, v70
	v_cndmask_b32_e64 v71, 0, v71, s[12:13]
	v_exp_f32_e32 v67, v67
	v_add_f32_e32 v91, v91, v71
	v_cndmask_b32_e64 v68, 0, v68, s[6:7]
	v_add_f32_e32 v91, v91, v68
	v_cndmask_b32_e64 v69, 0, v69, s[8:9]
	v_add_f32_e32 v91, v91, v69
	v_cndmask_b32_e32 v66, 0, v66, vcc
	v_add_f32_e32 v91, v91, v66
	v_cndmask_b32_e64 v67, 0, v67, s[4:5]
	v_add_f32_e32 v91, v91, v67
	ds_bpermute_b32 v85, v85, v91
	s_load_dword s7, s[0:1], 0x98
	v_cmp_gt_u32_e32 vcc, 16, v88
	s_waitcnt lgkmcnt(0)
	s_barrier
	v_add_f32_e32 v85, v91, v85
	ds_bpermute_b32 v89, v89, v85
	s_waitcnt lgkmcnt(0)
	s_and_saveexec_b64 s[4:5], vcc
	s_cbranch_execz .LBB583_15
; %bb.14:
	v_add_f32_e32 v85, v85, v89
	v_lshlrev_b32_e32 v88, 2, v90
	ds_write2st64_b32 v88, v84, v85 offset1:1
.LBB583_15:
	s_or_b64 exec, exec, s[4:5]
	v_lshlrev_b32_e32 v85, 2, v86
	s_load_dword s6, s[0:1], 0x94
	s_waitcnt lgkmcnt(0)
	s_barrier
	ds_read2_b32 v[88:89], v85 offset1:16
	ds_read2_b32 v[90:91], v85 offset0:32 offset1:48
	ds_read2_b32 v[92:93], v85 offset0:64 offset1:80
	s_movk_i32 s8, 0x7fff
	s_mov_b32 s9, 0x7060302
	s_waitcnt lgkmcnt(2)
	v_max3_f32 v84, v88, s40, v89
	s_waitcnt lgkmcnt(1)
	v_max3_f32 v84, v84, v90, v91
	v_sub_f32_e32 v88, v88, v84
	v_mul_f32_e32 v88, 0x3fb8aa3b, v88
	v_exp_f32_e32 v94, v88
	v_sub_f32_e32 v88, v89, v84
	v_mul_f32_e32 v88, 0x3fb8aa3b, v88
	v_exp_f32_e32 v95, v88
	;; [unrolled: 3-line block ×3, first 2 shown]
	ds_read2_b32 v[88:89], v85 offset0:96 offset1:112
	v_sub_f32_e32 v85, v91, v84
	v_mul_f32_e32 v85, 0x3fb8aa3b, v85
	v_exp_f32_e32 v91, v85
	s_waitcnt lgkmcnt(1)
	v_fma_f32 v85, v94, v92, 0
	v_fmac_f32_e32 v85, v95, v93
	s_waitcnt lgkmcnt(0)
	v_fmac_f32_e32 v85, v90, v88
	v_fmac_f32_e32 v85, v91, v89
	v_add_f32_e32 v88, 0x358637bd, v85
	v_div_scale_f32 v89, s[4:5], v88, v88, 1.0
	v_rcp_f32_e32 v92, v89
	s_lshl_b32 s7, s7, 3
	s_barrier
	v_fma_f32 v93, -v89, v92, 1.0
	v_fmac_f32_e32 v92, v93, v92
	v_div_scale_f32 v93, vcc, 1.0, v88, 1.0
	v_mul_f32_e32 v83, v93, v92
	v_fma_f32 v1, -v89, v83, v93
	v_fmac_f32_e32 v83, v1, v92
	v_fma_f32 v1, -v89, v83, v93
	v_div_fmas_f32 v1, v1, v92, v83
	v_cmp_eq_u32_e32 vcc, 1, v87
	v_div_fixup_f32 v1, v1, v88, 1.0
	s_nop 0
	v_cndmask_b32_e32 v83, v94, v95, vcc
	v_cmp_eq_u32_e32 vcc, 2, v87
	s_nop 1
	v_cndmask_b32_e32 v83, v83, v90, vcc
	v_cmp_eq_u32_e32 vcc, 3, v87
	s_nop 1
	v_cndmask_b32_e32 v83, v83, v91, vcc
	v_mul_f32_e32 v88, v83, v1
	v_pk_mul_f32 v[80:81], v[88:89], v[80:81] op_sel_hi:[0,1]
	v_bfe_u32 v1, v81, 16, 1
	v_bfe_u32 v83, v80, 16, 1
	v_pk_mul_f32 v[78:79], v[88:89], v[78:79] op_sel_hi:[0,1]
	v_add3_u32 v80, v80, v83, s8
	v_add3_u32 v1, v81, v1, s8
	v_perm_b32 v80, v1, v80, s9
	v_bfe_u32 v1, v79, 16, 1
	v_bfe_u32 v81, v78, 16, 1
	v_add3_u32 v78, v78, v81, s8
	v_add3_u32 v1, v79, v1, s8
	v_bfe_u32 v89, v0, 4, 2
	v_perm_b32 v81, v1, v78, s9
	v_lshlrev_b32_e32 v1, 3, v89
	v_lshlrev_b32_e32 v79, 5, v86
	;; [unrolled: 1-line block ×3, first 2 shown]
	v_pk_mul_f32 v[76:77], v[88:89], v[76:77] op_sel_hi:[0,1]
	v_or3_b32 v78, v78, v79, v1
	v_bfe_u32 v1, v77, 16, 1
	v_bfe_u32 v83, v76, 16, 1
	v_pk_mul_f32 v[74:75], v[88:89], v[74:75] op_sel_hi:[0,1]
	v_add3_u32 v76, v76, v83, s8
	v_add3_u32 v1, v77, v1, s8
	v_perm_b32 v76, v1, v76, s9
	v_bfe_u32 v1, v75, 16, 1
	v_bfe_u32 v77, v74, 16, 1
	v_add3_u32 v74, v74, v77, s8
	v_add3_u32 v1, v75, v1, s8
	v_pk_mul_f32 v[72:73], v[88:89], v[72:73] op_sel_hi:[0,1]
	v_perm_b32 v77, v1, v74, s9
	v_bfe_u32 v1, v73, 16, 1
	v_bfe_u32 v74, v72, 16, 1
	v_pk_mul_f32 v[70:71], v[88:89], v[70:71] op_sel_hi:[0,1]
	v_add3_u32 v72, v72, v74, s8
	v_add3_u32 v1, v73, v1, s8
	v_perm_b32 v72, v1, v72, s9
	v_bfe_u32 v1, v71, 16, 1
	v_bfe_u32 v73, v70, 16, 1
	v_add3_u32 v70, v70, v73, s8
	v_add3_u32 v1, v71, v1, s8
	v_pk_mul_f32 v[68:69], v[88:89], v[68:69] op_sel_hi:[0,1]
	v_perm_b32 v73, v1, v70, s9
	v_bfe_u32 v1, v69, 16, 1
	v_bfe_u32 v70, v68, 16, 1
	v_pk_mul_f32 v[66:67], v[88:89], v[66:67] op_sel_hi:[0,1]
	v_add3_u32 v68, v68, v70, s8
	v_add3_u32 v1, v69, v1, s8
	v_perm_b32 v68, v1, v68, s9
	v_bfe_u32 v1, v67, 16, 1
	v_bfe_u32 v69, v66, 16, 1
	v_add3_u32 v66, v66, v69, s8
	v_add3_u32 v1, v67, v1, s8
	v_perm_b32 v69, v1, v66, s9
	v_cmp_gt_u32_e32 vcc, 8, v0
	ds_write2st64_b64 v78, v[80:81], v[76:77] offset1:1
	ds_write2st64_b64 v78, v[72:73], v[68:69] offset0:2 offset1:3
	s_and_saveexec_b64 s[4:5], vcc
	s_cbranch_execz .LBB583_17
; %bb.16:
	v_or_b32_e32 v66, s27, v0
	v_mov_b32_e32 v67, 0
	v_mov_b32_e32 v1, s7
	v_mad_u64_u32 v[68:69], s[10:11], s2, v1, v[66:67]
	v_mov_b32_e32 v66, s26
	s_load_dwordx4 s[12:15], s[0:1], 0x58
	s_mul_i32 s3, s3, s7
	v_mad_u64_u32 v[66:67], s[10:11], v68, s6, v[66:67]
	v_add_u32_e32 v1, s3, v69
	v_mov_b32_e32 v68, v67
	v_mad_u64_u32 v[68:69], s[10:11], v1, s6, v[68:69]
	v_mov_b32_e32 v67, v68
	v_lshlrev_b64 v[66:67], 2, v[66:67]
	s_waitcnt lgkmcnt(0)
	v_lshl_add_u64 v[68:69], s[14:15], 0, v[66:67]
	v_lshl_add_u64 v[66:67], s[12:13], 0, v[66:67]
	global_store_dword v[68:69], v84, off
	global_store_dword v[66:67], v85, off
.LBB583_17:
	s_or_b64 exec, exec, s[4:5]
	v_lshl_or_b32 v1, v89, 9, v79
	s_waitcnt lgkmcnt(0)
	s_barrier
	ds_read_b128 v[70:73], v1
	ds_read_b128 v[66:69], v1 offset:16
	s_waitcnt vmcnt(15) lgkmcnt(1)
	v_mfma_f32_16x16x16_bf16 v[74:77], v[30:31], v[70:71], 0
	s_mov_b32 s3, 0
	v_cmp_gt_u32_e32 vcc, 64, v0
	v_mfma_f32_16x16x16_bf16 v[30:33], v[32:33], v[72:73], v[74:77]
	s_waitcnt vmcnt(14) lgkmcnt(0)
	v_mfma_f32_16x16x16_bf16 v[30:33], v[26:27], v[66:67], v[30:33]
	v_mfma_f32_16x16x16_bf16 v[26:29], v[28:29], v[68:69], v[30:33]
	s_nop 5
	ds_read_b128 v[30:33], v1 offset:2048
	ds_read_b128 v[74:77], v1 offset:2064
	s_waitcnt vmcnt(13) lgkmcnt(1)
	v_mfma_f32_16x16x16_bf16 v[26:29], v[22:23], v[30:31], v[26:29]
	v_mfma_f32_16x16x16_bf16 v[22:25], v[24:25], v[32:33], v[26:29]
	s_waitcnt vmcnt(12) lgkmcnt(0)
	v_mfma_f32_16x16x16_bf16 v[22:25], v[18:19], v[74:75], v[22:25]
	v_mfma_f32_16x16x16_bf16 v[18:21], v[20:21], v[76:77], v[22:25]
	s_nop 5
	ds_read_b128 v[22:25], v1 offset:4096
	ds_read_b128 v[26:29], v1 offset:4112
	s_waitcnt vmcnt(11) lgkmcnt(1)
	v_mfma_f32_16x16x16_bf16 v[18:21], v[14:15], v[22:23], v[18:21]
	v_mfma_f32_16x16x16_bf16 v[14:17], v[16:17], v[24:25], v[18:21]
	s_waitcnt vmcnt(10) lgkmcnt(0)
	v_mfma_f32_16x16x16_bf16 v[14:17], v[10:11], v[26:27], v[14:17]
	v_mfma_f32_16x16x16_bf16 v[10:13], v[12:13], v[28:29], v[14:17]
	s_nop 5
	ds_read_b128 v[14:17], v1 offset:6144
	ds_read_b128 v[18:21], v1 offset:6160
	s_waitcnt lgkmcnt(0)
	s_barrier
	s_waitcnt vmcnt(9)
	v_mfma_f32_16x16x16_bf16 v[10:13], v[6:7], v[14:15], v[10:13]
	v_mfma_f32_16x16x16_bf16 v[6:9], v[8:9], v[16:17], v[10:13]
	s_waitcnt vmcnt(8)
	v_mfma_f32_16x16x16_bf16 v[6:9], v[2:3], v[18:19], v[6:9]
	v_mfma_f32_16x16x16_bf16 v[2:5], v[4:5], v[20:21], v[6:9]
	;; [unrolled: 3-line block ×3, first 2 shown]
	s_nop 3
	v_bfe_u32 v1, v3, 16, 1
	v_bfe_u32 v10, v2, 16, 1
	v_add3_u32 v2, v2, v10, s8
	s_waitcnt vmcnt(6)
	v_mfma_f32_16x16x16_bf16 v[6:9], v[38:39], v[66:67], v[6:9]
	v_add3_u32 v1, v3, v1, s8
	v_perm_b32 v10, v1, v2, s9
	v_bfe_u32 v1, v5, 16, 1
	v_mfma_f32_16x16x16_bf16 v[6:9], v[40:41], v[68:69], v[6:9]
	v_bfe_u32 v2, v4, 16, 1
	v_add3_u32 v2, v4, v2, s8
	v_add3_u32 v1, v5, v1, s8
	s_waitcnt vmcnt(5)
	v_mfma_f32_16x16x16_bf16 v[6:9], v[42:43], v[30:31], v[6:9]
	v_perm_b32 v11, v1, v2, s9
	v_mfma_f32_16x16x16_bf16 v[6:9], v[44:45], v[32:33], v[6:9]
	s_waitcnt vmcnt(4)
	v_mfma_f32_16x16x16_bf16 v[6:9], v[34:35], v[74:75], v[6:9]
	v_mfma_f32_16x16x16_bf16 v[6:9], v[36:37], v[76:77], v[6:9]
	s_waitcnt vmcnt(3)
	v_mfma_f32_16x16x16_bf16 v[6:9], v[58:59], v[22:23], v[6:9]
	;; [unrolled: 3-line block ×5, first 2 shown]
	v_mfma_f32_16x16x16_bf16 v[2:5], v[52:53], v[20:21], v[6:9]
	s_nop 6
	v_bfe_u32 v1, v3, 16, 1
	v_bfe_u32 v6, v2, 16, 1
	v_add3_u32 v2, v2, v6, s8
	v_add3_u32 v1, v3, v1, s8
	v_perm_b32 v2, v1, v2, s9
	v_bfe_u32 v1, v5, 16, 1
	v_bfe_u32 v3, v4, 16, 1
	v_add3_u32 v3, v4, v3, s8
	v_add3_u32 v1, v5, v1, s8
	v_perm_b32 v3, v1, v3, s9
	ds_write2st64_b64 v78, v[10:11], v[2:3] offset1:1
	s_waitcnt lgkmcnt(0)
	s_barrier
	s_and_saveexec_b64 s[4:5], vcc
	s_cbranch_execz .LBB583_19
; %bb.18:
	s_load_dwordx2 s[0:1], s[0:1], 0x68
	s_lshl_b32 s6, s6, 7
	s_mul_i32 s2, s7, s2
	s_mul_hi_u32 s5, s2, s6
	s_mul_i32 s4, s2, s6
	v_lshlrev_b32_e32 v3, 6, v86
	s_lshl_b64 s[4:5], s[4:5], 1
	v_lshlrev_b32_e32 v2, 4, v0
	v_lshl_or_b32 v0, v0, 10, v3
	s_waitcnt lgkmcnt(0)
	s_add_u32 s4, s0, s4
	v_lshlrev_b32_e32 v1, 5, v89
	v_and_b32_e32 v2, 16, v2
	v_and_b32_e32 v0, 0x1a00, v0
	s_addc_u32 s5, s1, s5
	s_lshl_b32 s2, s26, 7
	v_or3_b32 v0, v0, v1, v2
	s_lshl_b64 s[0:1], s[2:3], 1
	ds_read_b128 v[2:5], v0
	ds_read_b128 v[6:9], v0 offset:128
	s_add_u32 s0, s4, s0
	s_addc_u32 s1, s5, s1
	v_mov_b32_e32 v83, 0
	v_or_b32_e32 v12, s27, v89
	v_lshl_add_u64 v[10:11], s[0:1], 0, v[82:83]
	v_mad_u64_u32 v[0:1], s[0:1], v12, s6, 0
	v_lshl_add_u64 v[0:1], v[0:1], 1, v[10:11]
	s_waitcnt lgkmcnt(1)
	global_store_dwordx4 v[0:1], v[2:5], off
	v_or_b32_e32 v0, 4, v12
	v_mad_u64_u32 v[0:1], s[0:1], v0, s6, 0
	v_lshl_add_u64 v[0:1], v[0:1], 1, v[10:11]
	s_waitcnt lgkmcnt(0)
	global_store_dwordx4 v[0:1], v[6:9], off
.LBB583_19:
	s_endpgm
	.section	.rodata,"a",@progbits
	.p2align	6, 0x0
	.amdhsa_kernel _Z39paged_attention_ll4mi_QKV_mfma16_kernelI14__hip_bfloat16S0_LN4vllm18Fp8KVCacheDataTypeE0EhLi16ELi128ELi256ELb1ELi8EEvPKT_PKT0_S8_ifPKiSA_SA_iPKfiiiPfSD_PS3_PT2_iSC_SC_
		.amdhsa_group_segment_fixed_size 8192
		.amdhsa_private_segment_fixed_size 0
		.amdhsa_kernarg_size 400
		.amdhsa_user_sgpr_count 2
		.amdhsa_user_sgpr_dispatch_ptr 0
		.amdhsa_user_sgpr_queue_ptr 0
		.amdhsa_user_sgpr_kernarg_segment_ptr 1
		.amdhsa_user_sgpr_dispatch_id 0
		.amdhsa_user_sgpr_kernarg_preload_length 0
		.amdhsa_user_sgpr_kernarg_preload_offset 0
		.amdhsa_user_sgpr_private_segment_size 0
		.amdhsa_uses_dynamic_stack 0
		.amdhsa_enable_private_segment 0
		.amdhsa_system_sgpr_workgroup_id_x 1
		.amdhsa_system_sgpr_workgroup_id_y 1
		.amdhsa_system_sgpr_workgroup_id_z 1
		.amdhsa_system_sgpr_workgroup_info 0
		.amdhsa_system_vgpr_workitem_id 0
		.amdhsa_next_free_vgpr 96
		.amdhsa_next_free_sgpr 41
		.amdhsa_accum_offset 96
		.amdhsa_reserve_vcc 1
		.amdhsa_float_round_mode_32 0
		.amdhsa_float_round_mode_16_64 0
		.amdhsa_float_denorm_mode_32 3
		.amdhsa_float_denorm_mode_16_64 3
		.amdhsa_dx10_clamp 1
		.amdhsa_ieee_mode 1
		.amdhsa_fp16_overflow 0
		.amdhsa_tg_split 0
		.amdhsa_exception_fp_ieee_invalid_op 0
		.amdhsa_exception_fp_denorm_src 0
		.amdhsa_exception_fp_ieee_div_zero 0
		.amdhsa_exception_fp_ieee_overflow 0
		.amdhsa_exception_fp_ieee_underflow 0
		.amdhsa_exception_fp_ieee_inexact 0
		.amdhsa_exception_int_div_zero 0
	.end_amdhsa_kernel
	.section	.text._Z39paged_attention_ll4mi_QKV_mfma16_kernelI14__hip_bfloat16S0_LN4vllm18Fp8KVCacheDataTypeE0EhLi16ELi128ELi256ELb1ELi8EEvPKT_PKT0_S8_ifPKiSA_SA_iPKfiiiPfSD_PS3_PT2_iSC_SC_,"axG",@progbits,_Z39paged_attention_ll4mi_QKV_mfma16_kernelI14__hip_bfloat16S0_LN4vllm18Fp8KVCacheDataTypeE0EhLi16ELi128ELi256ELb1ELi8EEvPKT_PKT0_S8_ifPKiSA_SA_iPKfiiiPfSD_PS3_PT2_iSC_SC_,comdat
.Lfunc_end583:
	.size	_Z39paged_attention_ll4mi_QKV_mfma16_kernelI14__hip_bfloat16S0_LN4vllm18Fp8KVCacheDataTypeE0EhLi16ELi128ELi256ELb1ELi8EEvPKT_PKT0_S8_ifPKiSA_SA_iPKfiiiPfSD_PS3_PT2_iSC_SC_, .Lfunc_end583-_Z39paged_attention_ll4mi_QKV_mfma16_kernelI14__hip_bfloat16S0_LN4vllm18Fp8KVCacheDataTypeE0EhLi16ELi128ELi256ELb1ELi8EEvPKT_PKT0_S8_ifPKiSA_SA_iPKfiiiPfSD_PS3_PT2_iSC_SC_
                                        ; -- End function
	.section	.AMDGPU.csdata,"",@progbits
; Kernel info:
; codeLenInByte = 4936
; NumSgprs: 47
; NumVgprs: 96
; NumAgprs: 0
; TotalNumVgprs: 96
; ScratchSize: 0
; MemoryBound: 0
; FloatMode: 240
; IeeeMode: 1
; LDSByteSize: 8192 bytes/workgroup (compile time only)
; SGPRBlocks: 5
; VGPRBlocks: 11
; NumSGPRsForWavesPerEU: 47
; NumVGPRsForWavesPerEU: 96
; AccumOffset: 96
; Occupancy: 5
; WaveLimiterHint : 1
; COMPUTE_PGM_RSRC2:SCRATCH_EN: 0
; COMPUTE_PGM_RSRC2:USER_SGPR: 2
; COMPUTE_PGM_RSRC2:TRAP_HANDLER: 0
; COMPUTE_PGM_RSRC2:TGID_X_EN: 1
; COMPUTE_PGM_RSRC2:TGID_Y_EN: 1
; COMPUTE_PGM_RSRC2:TGID_Z_EN: 1
; COMPUTE_PGM_RSRC2:TIDIG_COMP_CNT: 0
; COMPUTE_PGM_RSRC3_GFX90A:ACCUM_OFFSET: 23
; COMPUTE_PGM_RSRC3_GFX90A:TG_SPLIT: 0
	.section	.text._Z39paged_attention_ll4mi_QKV_mfma16_kernelI14__hip_bfloat16S0_LN4vllm18Fp8KVCacheDataTypeE0EhLi16ELi128ELi256ELb1ELi9EEvPKT_PKT0_S8_ifPKiSA_SA_iPKfiiiPfSD_PS3_PT2_iSC_SC_,"axG",@progbits,_Z39paged_attention_ll4mi_QKV_mfma16_kernelI14__hip_bfloat16S0_LN4vllm18Fp8KVCacheDataTypeE0EhLi16ELi128ELi256ELb1ELi9EEvPKT_PKT0_S8_ifPKiSA_SA_iPKfiiiPfSD_PS3_PT2_iSC_SC_,comdat
	.protected	_Z39paged_attention_ll4mi_QKV_mfma16_kernelI14__hip_bfloat16S0_LN4vllm18Fp8KVCacheDataTypeE0EhLi16ELi128ELi256ELb1ELi9EEvPKT_PKT0_S8_ifPKiSA_SA_iPKfiiiPfSD_PS3_PT2_iSC_SC_ ; -- Begin function _Z39paged_attention_ll4mi_QKV_mfma16_kernelI14__hip_bfloat16S0_LN4vllm18Fp8KVCacheDataTypeE0EhLi16ELi128ELi256ELb1ELi9EEvPKT_PKT0_S8_ifPKiSA_SA_iPKfiiiPfSD_PS3_PT2_iSC_SC_
	.globl	_Z39paged_attention_ll4mi_QKV_mfma16_kernelI14__hip_bfloat16S0_LN4vllm18Fp8KVCacheDataTypeE0EhLi16ELi128ELi256ELb1ELi9EEvPKT_PKT0_S8_ifPKiSA_SA_iPKfiiiPfSD_PS3_PT2_iSC_SC_
	.p2align	8
	.type	_Z39paged_attention_ll4mi_QKV_mfma16_kernelI14__hip_bfloat16S0_LN4vllm18Fp8KVCacheDataTypeE0EhLi16ELi128ELi256ELb1ELi9EEvPKT_PKT0_S8_ifPKiSA_SA_iPKfiiiPfSD_PS3_PT2_iSC_SC_,@function
_Z39paged_attention_ll4mi_QKV_mfma16_kernelI14__hip_bfloat16S0_LN4vllm18Fp8KVCacheDataTypeE0EhLi16ELi128ELi256ELb1ELi9EEvPKT_PKT0_S8_ifPKiSA_SA_iPKfiiiPfSD_PS3_PT2_iSC_SC_: ; @_Z39paged_attention_ll4mi_QKV_mfma16_kernelI14__hip_bfloat16S0_LN4vllm18Fp8KVCacheDataTypeE0EhLi16ELi128ELi256ELb1ELi9EEvPKT_PKT0_S8_ifPKiSA_SA_iPKfiiiPfSD_PS3_PT2_iSC_SC_
; %bb.0:
	s_load_dwordx2 s[8:9], s[0:1], 0x30
	s_mov_b32 s26, s3
	s_mov_b64 s[6:7], 0
	s_waitcnt lgkmcnt(0)
	s_cmp_lg_u64 s[8:9], 0
	s_cselect_b64 s[10:11], -1, 0
	s_and_b64 vcc, exec, s[10:11]
	s_cbranch_vccz .LBB584_7
; %bb.1:
	s_add_i32 s12, s2, 1
	s_mov_b32 s13, 0
	s_lshl_b64 s[14:15], s[12:13], 2
	s_add_u32 s14, s8, s14
	s_mov_b32 s3, s13
	s_addc_u32 s15, s9, s15
	s_lshl_b64 s[12:13], s[2:3], 2
	s_add_u32 s12, s8, s12
	s_addc_u32 s13, s9, s13
	s_load_dword s5, s[14:15], 0x0
	s_load_dword s16, s[12:13], 0x0
	s_waitcnt lgkmcnt(0)
	s_sub_i32 s5, s5, s16
	s_cmp_eq_u32 s5, 1
	s_cselect_b64 s[12:13], -1, 0
	s_andn2_b64 vcc, exec, s[6:7]
	s_cbranch_vccnz .LBB584_3
.LBB584_2:
	s_mov_b32 s3, 0
	s_mov_b64 s[12:13], -1
.LBB584_3:
	s_andn2_b64 vcc, exec, s[12:13]
	s_cbranch_vccnz .LBB584_20
; %bb.4:
	s_load_dwordx2 s[6:7], s[0:1], 0x28
	s_lshl_b64 s[12:13], s[2:3], 2
	s_waitcnt lgkmcnt(0)
	s_add_u32 s6, s6, s12
	s_addc_u32 s7, s7, s13
	s_load_dword s27, s[6:7], 0x0
	s_lshl_b32 s18, s26, 8
	s_waitcnt lgkmcnt(0)
	s_cmp_ge_i32 s18, s27
	s_cbranch_scc1 .LBB584_20
; %bb.5:
	s_load_dwordx2 s[6:7], s[0:1], 0x20
	s_load_dword s5, s[0:1], 0x38
	s_add_i32 s14, s27, 15
	s_ashr_i32 s15, s14, 31
	v_and_b32_e32 v1, 0xcf, v0
	s_lshr_b32 s15, s15, 28
	v_add_u32_e32 v1, s18, v1
	s_add_i32 s14, s14, s15
	v_ashrrev_i32_e32 v2, 31, v1
	s_ashr_i32 s19, s14, 4
	v_lshrrev_b32_e32 v4, 28, v2
	s_add_i32 s19, s19, -1
	s_waitcnt lgkmcnt(0)
	s_mul_i32 s14, s2, s5
	s_mov_b32 s15, 0
	v_add_u32_e32 v2, v1, v4
	s_lshl_b64 s[14:15], s[14:15], 2
	v_ashrrev_i32_e32 v2, 4, v2
	v_mov_b32_e32 v5, s19
	v_cmp_gt_i32_e32 vcc, s27, v1
	s_add_u32 s6, s6, s14
	s_addc_u32 s7, s7, s15
	v_cndmask_b32_e32 v2, v5, v2, vcc
	v_ashrrev_i32_e32 v3, 31, v2
	v_lshl_add_u64 v[6:7], v[2:3], 2, s[6:7]
	v_or_b32_e32 v2, 16, v1
	v_add_u32_e32 v3, v2, v4
	v_ashrrev_i32_e32 v3, 4, v3
	v_cmp_gt_i32_e32 vcc, s27, v2
	s_load_dwordx2 s[14:15], s[0:1], 0x8
	s_nop 0
	v_cndmask_b32_e32 v2, v5, v3, vcc
	v_ashrrev_i32_e32 v3, 31, v2
	v_lshl_add_u64 v[8:9], v[2:3], 2, s[6:7]
	v_or_b32_e32 v2, 32, v1
	v_add_u32_e32 v3, v2, v4
	v_ashrrev_i32_e32 v3, 4, v3
	v_cmp_gt_i32_e32 vcc, s27, v2
	v_or_b32_e32 v1, 48, v1
	s_nop 0
	v_cndmask_b32_e32 v2, v5, v3, vcc
	v_ashrrev_i32_e32 v3, 31, v2
	v_lshl_add_u64 v[10:11], v[2:3], 2, s[6:7]
	v_add_u32_e32 v2, v1, v4
	v_ashrrev_i32_e32 v2, 4, v2
	v_cmp_gt_i32_e32 vcc, s27, v1
	s_nop 1
	v_cndmask_b32_e32 v2, v5, v2, vcc
	v_ashrrev_i32_e32 v3, 31, v2
	v_lshl_add_u64 v[12:13], v[2:3], 2, s[6:7]
	global_load_dword v5, v[6:7], off
	global_load_dword v4, v[8:9], off
	;; [unrolled: 1-line block ×4, first 2 shown]
	s_andn2_b64 vcc, exec, s[10:11]
	s_cbranch_vccnz .LBB584_8
; %bb.6:
	s_add_u32 s8, s8, s12
	s_addc_u32 s9, s9, s13
	s_load_dword s5, s[8:9], 0x0
	s_branch .LBB584_9
.LBB584_7:
	s_mov_b64 s[12:13], 0
	s_branch .LBB584_2
.LBB584_8:
	s_mov_b32 s5, s2
.LBB584_9:
	s_load_dwordx2 s[12:13], s[0:1], 0x10
	s_load_dwordx4 s[8:11], s[0:1], 0x48
	v_lshrrev_b32_e32 v85, 6, v0
	v_bfe_u32 v88, v0, 4, 2
	v_and_b32_e32 v84, 15, v0
	v_lshl_or_b32 v1, v85, 2, v88
	v_lshlrev_b32_e32 v6, 3, v84
	s_mul_i32 s40, s4, 9
	v_cmp_gt_u32_e32 vcc, 9, v1
	v_lshlrev_b32_e32 v82, 1, v6
	s_and_saveexec_b64 s[16:17], vcc
	s_cbranch_execz .LBB584_11
; %bb.10:
	s_load_dwordx2 s[20:21], s[0:1], 0x0
	s_waitcnt lgkmcnt(0)
	s_ashr_i32 s11, s8, 31
	s_mul_hi_u32 s22, s5, s8
	s_mul_i32 s11, s5, s11
	s_add_i32 s23, s22, s11
	s_mul_i32 s22, s5, s8
	s_lshl_b64 s[22:23], s[22:23], 1
	s_add_u32 s20, s20, s22
	v_add_lshl_u32 v6, v1, s40, 7
	s_addc_u32 s21, s21, s23
	v_ashrrev_i32_e32 v7, 31, v6
	v_lshl_add_u64 v[6:7], v[6:7], 1, s[20:21]
	v_mov_b32_e32 v83, 0
	v_lshl_add_u64 v[6:7], v[6:7], 0, v[82:83]
	global_load_dwordx4 v[6:9], v[6:7], off
	v_and_b32_e32 v10, 3, v0
	v_lshlrev_b32_e32 v11, 9, v84
	v_lshlrev_b32_e32 v1, 5, v1
	;; [unrolled: 1-line block ×3, first 2 shown]
	v_and_b32_e32 v11, 0x1800, v11
	v_or3_b32 v1, v11, v10, v1
	s_waitcnt vmcnt(0)
	ds_write_b128 v1, v[6:9]
.LBB584_11:
	s_or_b64 exec, exec, s[16:17]
	s_waitcnt lgkmcnt(0)
	s_mul_i32 s4, s4, s10
	s_mov_b32 s5, 0
	s_lshl_b64 s[4:5], s[4:5], 1
	s_add_u32 s10, s14, s4
	v_lshlrev_b32_e32 v1, 4, v0
	s_addc_u32 s11, s15, s5
	v_and_b32_e32 v86, 0xf0, v1
	v_mov_b32_e32 v87, 0
	v_lshl_add_u64 v[6:7], s[10:11], 0, v[86:87]
	s_waitcnt vmcnt(3)
	v_mad_i64_i32 v[8:9], s[10:11], v5, s9, 0
	s_waitcnt vmcnt(2)
	v_mad_i64_i32 v[4:5], s[10:11], v4, s9, 0
	v_lshl_add_u64 v[8:9], v[8:9], 1, v[6:7]
	v_and_b32_e32 v86, 0x300, v1
	v_lshl_add_u64 v[4:5], v[4:5], 1, v[6:7]
	v_lshl_add_u64 v[8:9], v[8:9], 0, v[86:87]
	;; [unrolled: 1-line block ×3, first 2 shown]
	s_barrier
	global_load_dwordx4 v[78:81], v[8:9], off
	global_load_dwordx4 v[74:77], v[8:9], off offset:1024
	global_load_dwordx4 v[70:73], v[8:9], off offset:2048
	;; [unrolled: 1-line block ×3, first 2 shown]
	global_load_dwordx4 v[66:69], v[4:5], off
	global_load_dwordx4 v[62:65], v[4:5], off offset:1024
	global_load_dwordx4 v[58:61], v[4:5], off offset:2048
	global_load_dwordx4 v[14:17], v[4:5], off offset:3072
	s_waitcnt vmcnt(9)
	v_mad_i64_i32 v[4:5], s[10:11], v3, s9, 0
	s_waitcnt vmcnt(8)
	v_mad_i64_i32 v[2:3], s[10:11], v2, s9, 0
	v_lshl_add_u64 v[4:5], v[4:5], 1, v[6:7]
	v_lshl_add_u64 v[2:3], v[2:3], 1, v[6:7]
	;; [unrolled: 1-line block ×4, first 2 shown]
	global_load_dwordx4 v[30:33], v[4:5], off
	global_load_dwordx4 v[26:29], v[4:5], off offset:1024
	global_load_dwordx4 v[22:25], v[4:5], off offset:2048
	;; [unrolled: 1-line block ×3, first 2 shown]
	global_load_dwordx4 v[6:9], v[34:35], off
	s_nop 0
	global_load_dwordx4 v[2:5], v[34:35], off offset:1024
	global_load_dwordx4 v[38:41], v[34:35], off offset:2048
	s_nop 0
	global_load_dwordx4 v[34:37], v[34:35], off offset:3072
	v_add_u32_e32 v42, -9, v84
	v_cmp_gt_u32_e32 vcc, 9, v84
	v_and_b32_e32 v83, 63, v0
	v_mov_b32_e32 v89, 0
	v_cndmask_b32_e32 v42, v42, v84, vcc
	v_lshlrev_b32_e32 v42, 5, v42
	v_lshl_add_u32 v42, v88, 9, v42
	ds_read_b128 v[54:57], v42
	ds_read_b128 v[50:53], v42 offset:2048
	ds_read_b128 v[46:49], v42 offset:4096
	;; [unrolled: 1-line block ×3, first 2 shown]
	s_and_saveexec_b64 s[10:11], vcc
	s_cbranch_execz .LBB584_13
; %bb.12:
	s_load_dwordx2 s[14:15], s[0:1], 0x40
	v_add_u32_e32 v90, s40, v84
	v_ashrrev_i32_e32 v91, 31, v90
	s_waitcnt lgkmcnt(0)
	v_lshl_add_u64 v[90:91], v[90:91], 2, s[14:15]
	global_load_dword v89, v[90:91], off
.LBB584_13:
	s_or_b64 exec, exec, s[10:11]
	s_waitcnt vmcnt(15) lgkmcnt(3)
	v_mfma_f32_16x16x16_bf16 v[90:93], v[78:79], v[54:55], 0
	s_add_u32 s4, s12, s4
	s_addc_u32 s5, s13, s5
	s_mov_b32 s33, 0xff7fffff
	v_mfma_f32_16x16x16_bf16 v[78:81], v[80:81], v[56:57], v[90:93]
	s_waitcnt vmcnt(14) lgkmcnt(2)
	v_mfma_f32_16x16x16_bf16 v[78:81], v[74:75], v[50:51], v[78:81]
	s_nop 0
	v_lshl_or_b32 v90, v85, 4, v84
	v_lshlrev_b32_e32 v86, 5, v90
	v_mfma_f32_16x16x16_bf16 v[74:77], v[76:77], v[52:53], v[78:81]
	s_waitcnt vmcnt(13) lgkmcnt(1)
	v_mfma_f32_16x16x16_bf16 v[74:77], v[70:71], v[46:47], v[74:77]
	v_mfma_f32_16x16x16_bf16 v[70:73], v[72:73], v[48:49], v[74:77]
	s_waitcnt vmcnt(11)
	v_mfma_f32_16x16x16_bf16 v[74:77], v[66:67], v[54:55], 0
	v_mfma_f32_16x16x16_bf16 v[66:69], v[68:69], v[56:57], v[74:77]
	s_nop 5
	v_and_or_b32 v74, v0, 48, s18
	s_waitcnt lgkmcnt(0)
	v_mfma_f32_16x16x16_bf16 v[70:73], v[10:11], v[42:43], v[70:73]
	v_ashrrev_i32_e32 v10, 4, v74
	v_mov_b32_e32 v75, s19
	v_cmp_gt_i32_e32 vcc, s27, v74
	s_waitcnt vmcnt(10)
	v_mfma_f32_16x16x16_bf16 v[66:69], v[62:63], v[50:51], v[66:69]
	v_cndmask_b32_e32 v10, v75, v10, vcc
	v_ashrrev_i32_e32 v11, 31, v10
	v_lshl_add_u64 v[10:11], v[10:11], 2, s[6:7]
	global_load_dword v76, v[10:11], off
	v_mfma_f32_16x16x16_bf16 v[62:65], v[64:65], v[52:53], v[66:69]
	v_or_b32_e32 v10, 64, v74
	v_ashrrev_i32_e32 v11, 4, v10
	v_cmp_gt_i32_e32 vcc, s27, v10
	s_waitcnt vmcnt(10)
	v_mfma_f32_16x16x16_bf16 v[62:65], v[58:59], v[46:47], v[62:65]
	v_cndmask_b32_e32 v10, v75, v11, vcc
	v_ashrrev_i32_e32 v11, 31, v10
	v_lshl_add_u64 v[10:11], v[10:11], 2, s[6:7]
	global_load_dword v78, v[10:11], off
	v_or_b32_e32 v10, 0x80, v74
	v_mfma_f32_16x16x16_bf16 v[58:61], v[60:61], v[48:49], v[62:65]
	v_ashrrev_i32_e32 v11, 4, v10
	v_cmp_gt_i32_e32 vcc, s27, v10
	s_waitcnt vmcnt(9)
	v_mfma_f32_16x16x16_bf16 v[62:65], v[30:31], v[54:55], 0
	v_cndmask_b32_e32 v10, v75, v11, vcc
	v_ashrrev_i32_e32 v11, 31, v10
	v_lshl_add_u64 v[10:11], v[10:11], 2, s[6:7]
	v_mfma_f32_16x16x16_bf16 v[30:33], v[32:33], v[56:57], v[62:65]
	s_nop 2
	global_load_dword v62, v[10:11], off
	v_or_b32_e32 v10, 0xc0, v74
	v_ashrrev_i32_e32 v11, 4, v10
	v_cmp_gt_i32_e32 vcc, s27, v10
	s_waitcnt vmcnt(9)
	v_mfma_f32_16x16x16_bf16 v[30:33], v[26:27], v[50:51], v[30:33]
	v_cndmask_b32_e32 v10, v75, v11, vcc
	v_ashrrev_i32_e32 v11, 31, v10
	v_lshl_add_u64 v[10:11], v[10:11], 2, s[6:7]
	global_load_dword v63, v[10:11], off
	v_mfma_f32_16x16x16_bf16 v[26:29], v[28:29], v[52:53], v[30:33]
	s_load_dword s6, s[0:1], 0x1c
	s_waitcnt vmcnt(3)
	v_mad_i64_i32 v[10:11], s[10:11], v76, s9, 0
	v_mfma_f32_16x16x16_bf16 v[26:29], v[22:23], v[46:47], v[26:29]
	v_lshlrev_b64 v[76:77], 1, v[10:11]
	v_mfma_f32_16x16x16_bf16 v[64:67], v[12:13], v[44:45], v[70:73]
	v_mfma_f32_16x16x16_bf16 v[10:13], v[24:25], v[48:49], v[26:29]
	s_nop 1
	v_lshl_add_u64 v[72:73], s[4:5], 0, v[86:87]
	v_or_b32_e32 v86, 0x800, v86
	v_mfma_f32_16x16x16_bf16 v[30:33], v[14:15], v[42:43], v[58:61]
	v_lshl_add_u64 v[14:15], v[72:73], 0, v[76:77]
	v_mfma_f32_16x16x16_bf16 v[10:13], v[18:19], v[42:43], v[10:13]
	v_mfma_f32_16x16x16_bf16 v[68:71], v[16:17], v[44:45], v[30:33]
	s_nop 3
	global_load_dwordx4 v[30:33], v[14:15], off
	global_load_dwordx4 v[26:29], v[14:15], off offset:16
	s_waitcnt vmcnt(4)
	v_mad_i64_i32 v[14:15], s[10:11], v78, s9, 0
	v_lshlrev_b64 v[58:59], 1, v[14:15]
	v_mfma_f32_16x16x16_bf16 v[92:95], v[20:21], v[44:45], v[10:13]
	s_waitcnt lgkmcnt(0)
	v_pk_mul_f32 v[78:79], s[6:7], v[66:67] op_sel_hi:[0,1]
	s_nop 0
	v_lshl_add_u64 v[10:11], v[72:73], 0, v[58:59]
	global_load_dwordx4 v[22:25], v[10:11], off
	global_load_dwordx4 v[18:21], v[10:11], off offset:16
	v_mfma_f32_16x16x16_bf16 v[10:13], v[6:7], v[54:55], 0
	s_waitcnt vmcnt(5)
	v_mad_i64_i32 v[6:7], s[10:11], v62, s9, 0
	v_lshlrev_b64 v[54:55], 1, v[6:7]
	v_mfma_f32_16x16x16_bf16 v[6:9], v[8:9], v[56:57], v[10:13]
	v_mfma_f32_16x16x16_bf16 v[6:9], v[2:3], v[50:51], v[6:9]
	s_waitcnt vmcnt(4)
	v_mad_i64_i32 v[2:3], s[8:9], v63, s9, 0
	v_lshlrev_b64 v[50:51], 1, v[2:3]
	v_mfma_f32_16x16x16_bf16 v[60:63], v[4:5], v[52:53], v[6:9]
	v_lshl_add_u64 v[10:11], v[72:73], 0, v[54:55]
	v_lshl_add_u64 v[2:3], v[72:73], 0, v[50:51]
	v_pk_mul_f32 v[52:53], s[6:7], v[64:65] op_sel_hi:[0,1]
	v_mfma_f32_16x16x16_bf16 v[72:75], v[38:39], v[46:47], v[60:63]
	global_load_dwordx4 v[14:17], v[10:11], off
	s_nop 0
	global_load_dwordx4 v[10:13], v[10:11], off offset:16
	v_lshl_add_u64 v[62:63], s[4:5], 0, v[86:87]
	v_lshl_add_u64 v[38:39], v[62:63], 0, v[76:77]
	v_mfma_f32_16x16x16_bf16 v[46:49], v[40:41], v[48:49], v[72:75]
	v_pk_mul_f32 v[76:77], s[6:7], v[68:69] op_sel_hi:[0,1]
	v_lshl_add_u64 v[54:55], v[62:63], 0, v[54:55]
	v_lshl_add_u64 v[50:51], v[62:63], 0, v[50:51]
	v_mfma_f32_16x16x16_bf16 v[40:43], v[34:35], v[42:43], v[46:49]
	v_pk_mul_f32 v[74:75], s[6:7], v[70:71] op_sel_hi:[0,1]
	v_pk_mul_f32 v[70:71], s[6:7], v[94:95] op_sel_hi:[0,1]
	;; [unrolled: 1-line block ×3, first 2 shown]
	v_mfma_f32_16x16x16_bf16 v[34:37], v[36:37], v[44:45], v[40:43]
	global_load_dwordx4 v[6:9], v[2:3], off
	s_nop 0
	global_load_dwordx4 v[2:5], v[2:3], off offset:16
	s_nop 3
	v_pk_mul_f32 v[68:69], s[6:7], v[34:35] op_sel_hi:[0,1]
	v_and_b32_e32 v34, 0xc0, v0
	v_add_u32_e32 v34, s18, v34
	v_lshl_or_b32 v34, v88, 2, v34
	v_or_b32_e32 v35, 1, v34
	v_pk_mul_f32 v[66:67], s[6:7], v[36:37] op_sel_hi:[0,1]
	v_subrev_u32_e32 v36, s27, v35
	v_add_u32_e32 v40, 1, v36
	v_add_u32_e32 v41, 2, v36
	v_cvt_f32_i32_e32 v37, v36
	v_cvt_f32_i32_e32 v40, v40
	;; [unrolled: 1-line block ×3, first 2 shown]
	v_add_u32_e32 v42, 3, v36
	v_fma_f32 v52, v89, v37, v52
	v_fmac_f32_e32 v53, v89, v40
	v_fma_f32 v78, v89, v41, v78
	v_add_u32_e32 v37, 16, v36
	v_add_u32_e32 v40, 17, v36
	;; [unrolled: 1-line block ×3, first 2 shown]
	v_cvt_f32_i32_e32 v42, v42
	v_cvt_f32_i32_e32 v37, v37
	;; [unrolled: 1-line block ×4, first 2 shown]
	v_fmac_f32_e32 v79, v89, v42
	v_add_u32_e32 v42, 19, v36
	v_fma_f32 v76, v89, v37, v76
	v_fmac_f32_e32 v77, v89, v40
	v_fma_f32 v74, v89, v41, v74
	v_add_u32_e32 v37, 32, v36
	v_add_u32_e32 v40, 33, v36
	;; [unrolled: 1-line block ×3, first 2 shown]
	v_cvt_f32_i32_e32 v42, v42
	v_cvt_f32_i32_e32 v37, v37
	;; [unrolled: 1-line block ×4, first 2 shown]
	v_fmac_f32_e32 v75, v89, v42
	v_add_u32_e32 v42, 35, v36
	v_fma_f32 v72, v89, v37, v72
	v_fmac_f32_e32 v73, v89, v40
	v_fma_f32 v70, v89, v41, v70
	v_add_u32_e32 v37, 48, v36
	v_add_u32_e32 v40, 49, v36
	;; [unrolled: 1-line block ×4, first 2 shown]
	v_cvt_f32_i32_e32 v36, v36
	v_cvt_f32_i32_e32 v37, v37
	;; [unrolled: 1-line block ×3, first 2 shown]
	v_cmp_gt_i32_e64 s[28:29], s27, v34
	v_fmac_f32_e32 v67, v89, v36
	v_mov_b32_e32 v36, 0xff7fffff
	v_cmp_gt_i32_e64 s[30:31], s27, v35
	v_fma_f32 v68, v89, v37, v68
	v_cndmask_b32_e64 v37, v36, v52, s[28:29]
	v_cndmask_b32_e64 v35, v36, v53, s[30:31]
	v_fmac_f32_e32 v69, v89, v40
	v_max3_f32 v35, v37, s33, v35
	v_or_b32_e32 v37, 2, v34
	v_or_b32_e32 v40, 3, v34
	v_cmp_gt_i32_e64 s[34:35], s27, v37
	v_cmp_gt_i32_e64 s[36:37], s27, v40
	v_cvt_f32_i32_e32 v42, v42
	v_cndmask_b32_e64 v37, v36, v78, s[34:35]
	v_cndmask_b32_e64 v40, v36, v79, s[36:37]
	v_max3_f32 v35, v35, v37, v40
	v_or_b32_e32 v37, 16, v34
	v_or_b32_e32 v40, 17, v34
	v_cmp_gt_i32_e64 s[22:23], s27, v37
	v_cmp_gt_i32_e64 s[24:25], s27, v40
	v_fmac_f32_e32 v71, v89, v42
	v_cndmask_b32_e64 v37, v36, v76, s[22:23]
	v_cndmask_b32_e64 v40, v36, v77, s[24:25]
	v_max3_f32 v35, v35, v37, v40
	v_or_b32_e32 v37, 18, v34
	v_or_b32_e32 v40, 19, v34
	v_cmp_gt_i32_e64 s[18:19], s27, v37
	v_cmp_gt_i32_e64 s[20:21], s27, v40
	v_cvt_f32_i32_e32 v41, v41
	v_cndmask_b32_e64 v37, v36, v74, s[18:19]
	v_cndmask_b32_e64 v40, v36, v75, s[20:21]
	v_max3_f32 v35, v35, v37, v40
	v_or_b32_e32 v37, 32, v34
	v_or_b32_e32 v40, 33, v34
	v_cmp_gt_i32_e64 s[14:15], s27, v37
	v_cmp_gt_i32_e64 s[16:17], s27, v40
	v_fma_f32 v66, v89, v41, v66
	v_cndmask_b32_e64 v37, v36, v72, s[14:15]
	v_cndmask_b32_e64 v40, v36, v73, s[16:17]
	v_max3_f32 v35, v35, v37, v40
	v_or_b32_e32 v37, 34, v34
	v_or_b32_e32 v40, 35, v34
	v_cmp_gt_i32_e64 s[10:11], s27, v37
	v_cmp_gt_i32_e64 s[12:13], s27, v40
	s_nop 0
	v_cndmask_b32_e64 v37, v36, v70, s[10:11]
	v_cndmask_b32_e64 v40, v36, v71, s[12:13]
	v_max3_f32 v35, v35, v37, v40
	v_or_b32_e32 v37, 48, v34
	v_or_b32_e32 v40, 49, v34
	v_cmp_gt_i32_e64 s[6:7], s27, v37
	v_cmp_gt_i32_e64 s[8:9], s27, v40
	s_nop 0
	v_cndmask_b32_e64 v37, v36, v68, s[6:7]
	v_cndmask_b32_e64 v40, v36, v69, s[8:9]
	v_max3_f32 v35, v35, v37, v40
	v_or_b32_e32 v37, 50, v34
	v_or_b32_e32 v34, 51, v34
	v_cmp_gt_i32_e32 vcc, s27, v37
	v_cmp_gt_i32_e64 s[4:5], s27, v34
	global_load_dwordx4 v[46:49], v[38:39], off
	s_nop 0
	global_load_dwordx4 v[38:41], v[38:39], off offset:16
	v_cndmask_b32_e32 v37, v36, v66, vcc
	v_cndmask_b32_e64 v34, v36, v67, s[4:5]
	v_max3_f32 v56, v35, v37, v34
	v_mbcnt_lo_u32_b32 v34, -1, 0
	v_mbcnt_hi_u32_b32 v57, -1, v34
	v_and_b32_e32 v34, 64, v57
	v_add_u32_e32 v60, 64, v34
	v_xor_b32_e32 v34, 32, v57
	v_cmp_lt_i32_e64 s[38:39], v34, v60
	s_nop 1
	v_cndmask_b32_e64 v34, v57, v34, s[38:39]
	v_lshlrev_b32_e32 v87, 2, v34
	ds_bpermute_b32 v61, v87, v56
	v_lshl_add_u64 v[34:35], v[62:63], 0, v[58:59]
	global_load_dwordx4 v[42:45], v[34:35], off
	s_nop 0
	global_load_dwordx4 v[34:37], v[34:35], off offset:16
	s_waitcnt lgkmcnt(0)
	v_max_f32_e32 v58, v61, v61
	v_max_f32_e32 v64, v56, v58
	v_xor_b32_e32 v56, 16, v57
	v_cmp_lt_i32_e64 s[38:39], v56, v60
	s_nop 1
	v_cndmask_b32_e64 v56, v57, v56, s[38:39]
	v_lshlrev_b32_e32 v89, 2, v56
	ds_bpermute_b32 v65, v89, v64
	global_load_dwordx4 v[58:61], v[54:55], off
	s_nop 0
	global_load_dwordx4 v[54:57], v[54:55], off offset:16
	s_waitcnt lgkmcnt(0)
	v_max_f32_e32 v62, v65, v65
	v_max_f32_e32 v86, v64, v62
	v_sub_f32_e32 v52, v52, v86
	v_mul_f32_e32 v52, 0x3fb8aa3b, v52
	v_exp_f32_e32 v80, v52
	v_sub_f32_e32 v52, v53, v86
	v_mul_f32_e32 v52, 0x3fb8aa3b, v52
	v_exp_f32_e32 v81, v52
	global_load_dwordx4 v[62:65], v[50:51], off
	s_nop 0
	global_load_dwordx4 v[50:53], v[50:51], off offset:16
	v_sub_f32_e32 v78, v78, v86
	v_mul_f32_e32 v78, 0x3fb8aa3b, v78
	v_sub_f32_e32 v79, v79, v86
	v_exp_f32_e32 v78, v78
	v_mul_f32_e32 v79, 0x3fb8aa3b, v79
	v_sub_f32_e32 v76, v76, v86
	v_exp_f32_e32 v79, v79
	v_mul_f32_e32 v76, 0x3fb8aa3b, v76
	v_sub_f32_e32 v77, v77, v86
	v_cndmask_b32_e64 v80, 0, v80, s[28:29]
	v_exp_f32_e32 v76, v76
	v_mul_f32_e32 v77, 0x3fb8aa3b, v77
	v_sub_f32_e32 v74, v74, v86
	v_add_f32_e32 v91, 0, v80
	v_cndmask_b32_e64 v81, 0, v81, s[30:31]
	v_exp_f32_e32 v77, v77
	v_mul_f32_e32 v74, 0x3fb8aa3b, v74
	v_sub_f32_e32 v75, v75, v86
	v_add_f32_e32 v91, v91, v81
	;; [unrolled: 5-line block ×10, first 2 shown]
	v_cndmask_b32_e64 v70, 0, v70, s[10:11]
	v_exp_f32_e32 v66, v66
	v_mul_f32_e32 v67, 0x3fb8aa3b, v67
	v_add_f32_e32 v91, v91, v70
	v_cndmask_b32_e64 v71, 0, v71, s[12:13]
	v_exp_f32_e32 v67, v67
	v_add_f32_e32 v91, v91, v71
	v_cndmask_b32_e64 v68, 0, v68, s[6:7]
	v_add_f32_e32 v91, v91, v68
	v_cndmask_b32_e64 v69, 0, v69, s[8:9]
	v_add_f32_e32 v91, v91, v69
	v_cndmask_b32_e32 v66, 0, v66, vcc
	v_add_f32_e32 v91, v91, v66
	v_cndmask_b32_e64 v67, 0, v67, s[4:5]
	v_add_f32_e32 v91, v91, v67
	ds_bpermute_b32 v87, v87, v91
	s_load_dword s9, s[0:1], 0x98
	v_cmp_gt_u32_e64 s[4:5], 16, v83
	s_waitcnt lgkmcnt(0)
	s_barrier
	v_add_f32_e32 v87, v91, v87
	ds_bpermute_b32 v89, v89, v87
	s_waitcnt lgkmcnt(0)
	s_and_saveexec_b64 s[6:7], s[4:5]
	s_cbranch_execz .LBB584_15
; %bb.14:
	v_add_f32_e32 v83, v87, v89
	v_lshlrev_b32_e32 v87, 2, v90
	ds_write2st64_b32 v87, v86, v83 offset1:1
.LBB584_15:
	s_or_b64 exec, exec, s[6:7]
	v_lshlrev_b32_e32 v89, 2, v84
	s_load_dword s8, s[0:1], 0x94
	s_waitcnt lgkmcnt(0)
	s_barrier
	ds_read2_b32 v[86:87], v89 offset1:16
	ds_read2_b32 v[90:91], v89 offset0:32 offset1:48
	ds_read2_b32 v[92:93], v89 offset0:64 offset1:80
	;; [unrolled: 1-line block ×3, first 2 shown]
	s_movk_i32 s10, 0x7fff
	s_waitcnt lgkmcnt(3)
	v_max3_f32 v83, v86, s33, v87
	s_waitcnt lgkmcnt(2)
	v_max3_f32 v83, v83, v90, v91
	v_sub_f32_e32 v86, v86, v83
	v_mul_f32_e32 v86, 0x3fb8aa3b, v86
	v_exp_f32_e32 v1, v86
	v_sub_f32_e32 v86, v87, v83
	v_mul_f32_e32 v86, 0x3fb8aa3b, v86
	v_exp_f32_e32 v87, v86
	;; [unrolled: 3-line block ×4, first 2 shown]
	s_waitcnt lgkmcnt(1)
	v_fma_f32 v86, v1, v92, 0
	v_fmac_f32_e32 v86, v87, v93
	s_waitcnt lgkmcnt(0)
	v_fmac_f32_e32 v86, v90, v94
	v_fmac_f32_e32 v86, v89, v95
	v_add_f32_e32 v91, 0x358637bd, v86
	v_div_scale_f32 v92, s[6:7], v91, v91, 1.0
	v_rcp_f32_e32 v93, v92
	s_mov_b32 s11, 0x7060302
	s_mul_i32 s9, s9, 9
	v_fma_f32 v94, -v92, v93, 1.0
	v_fmac_f32_e32 v93, v94, v93
	v_div_scale_f32 v94, vcc, 1.0, v91, 1.0
	v_mul_f32_e32 v95, v94, v93
	v_fma_f32 v88, -v92, v95, v94
	v_fmac_f32_e32 v95, v88, v93
	v_fma_f32 v88, -v92, v95, v94
	v_div_fmas_f32 v88, v88, v93, v95
	v_cmp_eq_u32_e32 vcc, 1, v85
	v_div_fixup_f32 v88, v88, v91, 1.0
	s_barrier
	v_cndmask_b32_e32 v1, v1, v87, vcc
	v_cmp_eq_u32_e32 vcc, 2, v85
	s_nop 1
	v_cndmask_b32_e32 v1, v1, v90, vcc
	v_cmp_eq_u32_e32 vcc, 3, v85
	s_nop 1
	v_cndmask_b32_e32 v1, v1, v89, vcc
	v_mul_f32_e32 v90, v1, v88
	v_pk_mul_f32 v[80:81], v[90:91], v[80:81] op_sel_hi:[0,1]
	v_bfe_u32 v1, v81, 16, 1
	v_bfe_u32 v87, v80, 16, 1
	v_pk_mul_f32 v[78:79], v[90:91], v[78:79] op_sel_hi:[0,1]
	v_add3_u32 v80, v80, v87, s10
	v_add3_u32 v1, v81, v1, s10
	v_perm_b32 v80, v1, v80, s11
	v_bfe_u32 v1, v79, 16, 1
	v_bfe_u32 v81, v78, 16, 1
	v_add3_u32 v78, v78, v81, s10
	v_add3_u32 v1, v79, v1, s10
	v_bfe_u32 v87, v0, 4, 2
	v_perm_b32 v81, v1, v78, s11
	v_lshlrev_b32_e32 v1, 3, v87
	v_lshlrev_b32_e32 v79, 5, v84
	;; [unrolled: 1-line block ×3, first 2 shown]
	v_pk_mul_f32 v[76:77], v[90:91], v[76:77] op_sel_hi:[0,1]
	v_or3_b32 v78, v78, v79, v1
	v_bfe_u32 v1, v77, 16, 1
	v_bfe_u32 v85, v76, 16, 1
	v_pk_mul_f32 v[74:75], v[90:91], v[74:75] op_sel_hi:[0,1]
	v_add3_u32 v76, v76, v85, s10
	v_add3_u32 v1, v77, v1, s10
	v_perm_b32 v76, v1, v76, s11
	v_bfe_u32 v1, v75, 16, 1
	v_bfe_u32 v77, v74, 16, 1
	v_add3_u32 v74, v74, v77, s10
	v_add3_u32 v1, v75, v1, s10
	v_pk_mul_f32 v[72:73], v[90:91], v[72:73] op_sel_hi:[0,1]
	v_perm_b32 v77, v1, v74, s11
	v_bfe_u32 v1, v73, 16, 1
	v_bfe_u32 v74, v72, 16, 1
	v_pk_mul_f32 v[70:71], v[90:91], v[70:71] op_sel_hi:[0,1]
	v_add3_u32 v72, v72, v74, s10
	v_add3_u32 v1, v73, v1, s10
	v_perm_b32 v72, v1, v72, s11
	v_bfe_u32 v1, v71, 16, 1
	v_bfe_u32 v73, v70, 16, 1
	v_add3_u32 v70, v70, v73, s10
	v_add3_u32 v1, v71, v1, s10
	v_pk_mul_f32 v[68:69], v[90:91], v[68:69] op_sel_hi:[0,1]
	v_perm_b32 v73, v1, v70, s11
	v_bfe_u32 v1, v69, 16, 1
	v_bfe_u32 v70, v68, 16, 1
	v_pk_mul_f32 v[66:67], v[90:91], v[66:67] op_sel_hi:[0,1]
	v_add3_u32 v68, v68, v70, s10
	v_add3_u32 v1, v69, v1, s10
	v_perm_b32 v68, v1, v68, s11
	v_bfe_u32 v1, v67, 16, 1
	v_bfe_u32 v69, v66, 16, 1
	v_add3_u32 v66, v66, v69, s10
	v_add3_u32 v1, v67, v1, s10
	v_perm_b32 v69, v1, v66, s11
	v_cmp_gt_u32_e32 vcc, 9, v0
	ds_write2st64_b64 v78, v[80:81], v[76:77] offset1:1
	ds_write2st64_b64 v78, v[72:73], v[68:69] offset0:2 offset1:3
	s_and_saveexec_b64 s[6:7], vcc
	s_cbranch_execz .LBB584_17
; %bb.16:
	s_mov_b32 s41, 0
	v_mov_b32_e32 v85, 0
	v_lshl_add_u64 v[66:67], s[40:41], 0, v[84:85]
	v_mov_b32_e32 v1, s9
	v_mad_u64_u32 v[66:67], s[16:17], s2, v1, v[66:67]
	s_mul_i32 s3, s3, s9
	v_mov_b32_e32 v68, s26
	v_mov_b32_e32 v69, v85
	s_load_dwordx4 s[12:15], s[0:1], 0x58
	v_add_u32_e32 v1, s3, v67
	v_mad_u64_u32 v[66:67], s[16:17], v66, s8, v[68:69]
	v_mov_b32_e32 v68, v67
	v_mad_u64_u32 v[68:69], s[16:17], v1, s8, v[68:69]
	v_mov_b32_e32 v67, v68
	v_lshlrev_b64 v[66:67], 2, v[66:67]
	s_waitcnt lgkmcnt(0)
	v_lshl_add_u64 v[68:69], s[14:15], 0, v[66:67]
	v_lshl_add_u64 v[66:67], s[12:13], 0, v[66:67]
	global_store_dword v[68:69], v83, off
	global_store_dword v[66:67], v86, off
.LBB584_17:
	s_or_b64 exec, exec, s[6:7]
	v_lshl_or_b32 v1, v87, 9, v79
	s_waitcnt lgkmcnt(0)
	s_barrier
	ds_read_b128 v[70:73], v1
	ds_read_b128 v[66:69], v1 offset:16
	s_waitcnt vmcnt(15) lgkmcnt(1)
	v_mfma_f32_16x16x16_bf16 v[74:77], v[30:31], v[70:71], 0
	s_mov_b32 s3, 0
	v_cmp_gt_u32_e32 vcc, 64, v0
	v_mfma_f32_16x16x16_bf16 v[30:33], v[32:33], v[72:73], v[74:77]
	s_waitcnt vmcnt(14) lgkmcnt(0)
	v_mfma_f32_16x16x16_bf16 v[30:33], v[26:27], v[66:67], v[30:33]
	v_mfma_f32_16x16x16_bf16 v[26:29], v[28:29], v[68:69], v[30:33]
	s_nop 5
	ds_read_b128 v[30:33], v1 offset:2048
	ds_read_b128 v[74:77], v1 offset:2064
	s_waitcnt vmcnt(13) lgkmcnt(1)
	v_mfma_f32_16x16x16_bf16 v[26:29], v[22:23], v[30:31], v[26:29]
	v_mfma_f32_16x16x16_bf16 v[22:25], v[24:25], v[32:33], v[26:29]
	s_waitcnt vmcnt(12) lgkmcnt(0)
	v_mfma_f32_16x16x16_bf16 v[22:25], v[18:19], v[74:75], v[22:25]
	v_mfma_f32_16x16x16_bf16 v[18:21], v[20:21], v[76:77], v[22:25]
	s_nop 5
	ds_read_b128 v[22:25], v1 offset:4096
	ds_read_b128 v[26:29], v1 offset:4112
	s_waitcnt vmcnt(11) lgkmcnt(1)
	v_mfma_f32_16x16x16_bf16 v[18:21], v[14:15], v[22:23], v[18:21]
	v_mfma_f32_16x16x16_bf16 v[14:17], v[16:17], v[24:25], v[18:21]
	s_waitcnt vmcnt(10) lgkmcnt(0)
	v_mfma_f32_16x16x16_bf16 v[14:17], v[10:11], v[26:27], v[14:17]
	v_mfma_f32_16x16x16_bf16 v[10:13], v[12:13], v[28:29], v[14:17]
	s_nop 5
	ds_read_b128 v[14:17], v1 offset:6144
	ds_read_b128 v[18:21], v1 offset:6160
	s_waitcnt lgkmcnt(0)
	s_barrier
	s_waitcnt vmcnt(9)
	v_mfma_f32_16x16x16_bf16 v[10:13], v[6:7], v[14:15], v[10:13]
	v_mfma_f32_16x16x16_bf16 v[6:9], v[8:9], v[16:17], v[10:13]
	s_waitcnt vmcnt(8)
	v_mfma_f32_16x16x16_bf16 v[6:9], v[2:3], v[18:19], v[6:9]
	v_mfma_f32_16x16x16_bf16 v[2:5], v[4:5], v[20:21], v[6:9]
	;; [unrolled: 3-line block ×3, first 2 shown]
	s_nop 3
	v_bfe_u32 v1, v3, 16, 1
	v_bfe_u32 v10, v2, 16, 1
	v_add3_u32 v2, v2, v10, s10
	s_waitcnt vmcnt(6)
	v_mfma_f32_16x16x16_bf16 v[6:9], v[38:39], v[66:67], v[6:9]
	v_add3_u32 v1, v3, v1, s10
	v_perm_b32 v10, v1, v2, s11
	v_bfe_u32 v1, v5, 16, 1
	v_mfma_f32_16x16x16_bf16 v[6:9], v[40:41], v[68:69], v[6:9]
	v_bfe_u32 v2, v4, 16, 1
	v_add3_u32 v2, v4, v2, s10
	v_add3_u32 v1, v5, v1, s10
	s_waitcnt vmcnt(5)
	v_mfma_f32_16x16x16_bf16 v[6:9], v[42:43], v[30:31], v[6:9]
	v_perm_b32 v11, v1, v2, s11
	v_mfma_f32_16x16x16_bf16 v[6:9], v[44:45], v[32:33], v[6:9]
	s_waitcnt vmcnt(4)
	v_mfma_f32_16x16x16_bf16 v[6:9], v[34:35], v[74:75], v[6:9]
	v_mfma_f32_16x16x16_bf16 v[6:9], v[36:37], v[76:77], v[6:9]
	s_waitcnt vmcnt(3)
	v_mfma_f32_16x16x16_bf16 v[6:9], v[58:59], v[22:23], v[6:9]
	;; [unrolled: 3-line block ×5, first 2 shown]
	v_mfma_f32_16x16x16_bf16 v[2:5], v[52:53], v[20:21], v[6:9]
	s_nop 6
	v_bfe_u32 v1, v3, 16, 1
	v_bfe_u32 v6, v2, 16, 1
	v_add3_u32 v2, v2, v6, s10
	v_add3_u32 v1, v3, v1, s10
	v_perm_b32 v2, v1, v2, s11
	v_bfe_u32 v1, v5, 16, 1
	v_bfe_u32 v3, v4, 16, 1
	v_add3_u32 v3, v4, v3, s10
	v_add3_u32 v1, v5, v1, s10
	v_perm_b32 v3, v1, v3, s11
	ds_write2st64_b64 v78, v[10:11], v[2:3] offset1:1
	s_waitcnt lgkmcnt(0)
	s_barrier
	s_and_saveexec_b64 s[6:7], vcc
	s_cbranch_execz .LBB584_20
; %bb.18:
	s_load_dwordx2 s[6:7], s[0:1], 0x68
	s_lshl_b32 s0, s8, 7
	s_mul_i32 s1, s9, s2
	v_lshlrev_b32_e32 v3, 6, v84
	s_mul_hi_u32 s9, s1, s0
	s_mul_i32 s8, s1, s0
	v_lshlrev_b32_e32 v2, 4, v0
	v_lshl_or_b32 v0, v0, 10, v3
	s_lshl_b64 s[8:9], s[8:9], 1
	v_lshlrev_b32_e32 v1, 5, v87
	v_and_b32_e32 v2, 16, v2
	v_and_b32_e32 v0, 0x1a00, v0
	s_waitcnt lgkmcnt(0)
	s_add_u32 s1, s6, s8
	v_or3_b32 v2, v0, v1, v2
	s_addc_u32 s6, s7, s9
	s_lshl_b32 s2, s26, 7
	s_lshl_b64 s[2:3], s[2:3], 1
	ds_read_b128 v[4:7], v2 offset:128
	ds_read_b128 v[8:11], v2
	s_add_u32 s2, s1, s2
	s_addc_u32 s3, s6, s3
	v_mov_b32_e32 v83, 0
	v_add_u32_e32 v3, s40, v87
	v_lshl_add_u64 v[0:1], s[2:3], 0, v[82:83]
	v_mad_u64_u32 v[12:13], s[2:3], v3, s0, 0
	v_lshl_add_u64 v[12:13], v[12:13], 1, v[0:1]
	v_add_u32_e32 v3, 4, v3
	s_waitcnt lgkmcnt(0)
	global_store_dwordx4 v[12:13], v[8:11], off
	s_nop 1
	v_mad_u64_u32 v[8:9], s[2:3], v3, s0, 0
	v_lshl_add_u64 v[8:9], v[8:9], 1, v[0:1]
	global_store_dwordx4 v[8:9], v[4:7], off
	s_and_b64 exec, exec, s[4:5]
	s_cbranch_execz .LBB584_20
; %bb.19:
	ds_read_b128 v[2:5], v2 offset:256
	v_add3_u32 v6, s40, v87, 8
	v_mad_u64_u32 v[6:7], s[0:1], v6, s0, 0
	v_lshl_add_u64 v[0:1], v[6:7], 1, v[0:1]
	s_waitcnt lgkmcnt(0)
	global_store_dwordx4 v[0:1], v[2:5], off
.LBB584_20:
	s_endpgm
	.section	.rodata,"a",@progbits
	.p2align	6, 0x0
	.amdhsa_kernel _Z39paged_attention_ll4mi_QKV_mfma16_kernelI14__hip_bfloat16S0_LN4vllm18Fp8KVCacheDataTypeE0EhLi16ELi128ELi256ELb1ELi9EEvPKT_PKT0_S8_ifPKiSA_SA_iPKfiiiPfSD_PS3_PT2_iSC_SC_
		.amdhsa_group_segment_fixed_size 8192
		.amdhsa_private_segment_fixed_size 0
		.amdhsa_kernarg_size 400
		.amdhsa_user_sgpr_count 2
		.amdhsa_user_sgpr_dispatch_ptr 0
		.amdhsa_user_sgpr_queue_ptr 0
		.amdhsa_user_sgpr_kernarg_segment_ptr 1
		.amdhsa_user_sgpr_dispatch_id 0
		.amdhsa_user_sgpr_kernarg_preload_length 0
		.amdhsa_user_sgpr_kernarg_preload_offset 0
		.amdhsa_user_sgpr_private_segment_size 0
		.amdhsa_uses_dynamic_stack 0
		.amdhsa_enable_private_segment 0
		.amdhsa_system_sgpr_workgroup_id_x 1
		.amdhsa_system_sgpr_workgroup_id_y 1
		.amdhsa_system_sgpr_workgroup_id_z 1
		.amdhsa_system_sgpr_workgroup_info 0
		.amdhsa_system_vgpr_workitem_id 0
		.amdhsa_next_free_vgpr 96
		.amdhsa_next_free_sgpr 42
		.amdhsa_accum_offset 96
		.amdhsa_reserve_vcc 1
		.amdhsa_float_round_mode_32 0
		.amdhsa_float_round_mode_16_64 0
		.amdhsa_float_denorm_mode_32 3
		.amdhsa_float_denorm_mode_16_64 3
		.amdhsa_dx10_clamp 1
		.amdhsa_ieee_mode 1
		.amdhsa_fp16_overflow 0
		.amdhsa_tg_split 0
		.amdhsa_exception_fp_ieee_invalid_op 0
		.amdhsa_exception_fp_denorm_src 0
		.amdhsa_exception_fp_ieee_div_zero 0
		.amdhsa_exception_fp_ieee_overflow 0
		.amdhsa_exception_fp_ieee_underflow 0
		.amdhsa_exception_fp_ieee_inexact 0
		.amdhsa_exception_int_div_zero 0
	.end_amdhsa_kernel
	.section	.text._Z39paged_attention_ll4mi_QKV_mfma16_kernelI14__hip_bfloat16S0_LN4vllm18Fp8KVCacheDataTypeE0EhLi16ELi128ELi256ELb1ELi9EEvPKT_PKT0_S8_ifPKiSA_SA_iPKfiiiPfSD_PS3_PT2_iSC_SC_,"axG",@progbits,_Z39paged_attention_ll4mi_QKV_mfma16_kernelI14__hip_bfloat16S0_LN4vllm18Fp8KVCacheDataTypeE0EhLi16ELi128ELi256ELb1ELi9EEvPKT_PKT0_S8_ifPKiSA_SA_iPKfiiiPfSD_PS3_PT2_iSC_SC_,comdat
.Lfunc_end584:
	.size	_Z39paged_attention_ll4mi_QKV_mfma16_kernelI14__hip_bfloat16S0_LN4vllm18Fp8KVCacheDataTypeE0EhLi16ELi128ELi256ELb1ELi9EEvPKT_PKT0_S8_ifPKiSA_SA_iPKfiiiPfSD_PS3_PT2_iSC_SC_, .Lfunc_end584-_Z39paged_attention_ll4mi_QKV_mfma16_kernelI14__hip_bfloat16S0_LN4vllm18Fp8KVCacheDataTypeE0EhLi16ELi128ELi256ELb1ELi9EEvPKT_PKT0_S8_ifPKiSA_SA_iPKfiiiPfSD_PS3_PT2_iSC_SC_
                                        ; -- End function
	.section	.AMDGPU.csdata,"",@progbits
; Kernel info:
; codeLenInByte = 5004
; NumSgprs: 48
; NumVgprs: 96
; NumAgprs: 0
; TotalNumVgprs: 96
; ScratchSize: 0
; MemoryBound: 0
; FloatMode: 240
; IeeeMode: 1
; LDSByteSize: 8192 bytes/workgroup (compile time only)
; SGPRBlocks: 5
; VGPRBlocks: 11
; NumSGPRsForWavesPerEU: 48
; NumVGPRsForWavesPerEU: 96
; AccumOffset: 96
; Occupancy: 5
; WaveLimiterHint : 1
; COMPUTE_PGM_RSRC2:SCRATCH_EN: 0
; COMPUTE_PGM_RSRC2:USER_SGPR: 2
; COMPUTE_PGM_RSRC2:TRAP_HANDLER: 0
; COMPUTE_PGM_RSRC2:TGID_X_EN: 1
; COMPUTE_PGM_RSRC2:TGID_Y_EN: 1
; COMPUTE_PGM_RSRC2:TGID_Z_EN: 1
; COMPUTE_PGM_RSRC2:TIDIG_COMP_CNT: 0
; COMPUTE_PGM_RSRC3_GFX90A:ACCUM_OFFSET: 23
; COMPUTE_PGM_RSRC3_GFX90A:TG_SPLIT: 0
	.section	.text._Z39paged_attention_ll4mi_QKV_mfma16_kernelI14__hip_bfloat16S0_LN4vllm18Fp8KVCacheDataTypeE0EhLi16ELi128ELi256ELb1ELi10EEvPKT_PKT0_S8_ifPKiSA_SA_iPKfiiiPfSD_PS3_PT2_iSC_SC_,"axG",@progbits,_Z39paged_attention_ll4mi_QKV_mfma16_kernelI14__hip_bfloat16S0_LN4vllm18Fp8KVCacheDataTypeE0EhLi16ELi128ELi256ELb1ELi10EEvPKT_PKT0_S8_ifPKiSA_SA_iPKfiiiPfSD_PS3_PT2_iSC_SC_,comdat
	.protected	_Z39paged_attention_ll4mi_QKV_mfma16_kernelI14__hip_bfloat16S0_LN4vllm18Fp8KVCacheDataTypeE0EhLi16ELi128ELi256ELb1ELi10EEvPKT_PKT0_S8_ifPKiSA_SA_iPKfiiiPfSD_PS3_PT2_iSC_SC_ ; -- Begin function _Z39paged_attention_ll4mi_QKV_mfma16_kernelI14__hip_bfloat16S0_LN4vllm18Fp8KVCacheDataTypeE0EhLi16ELi128ELi256ELb1ELi10EEvPKT_PKT0_S8_ifPKiSA_SA_iPKfiiiPfSD_PS3_PT2_iSC_SC_
	.globl	_Z39paged_attention_ll4mi_QKV_mfma16_kernelI14__hip_bfloat16S0_LN4vllm18Fp8KVCacheDataTypeE0EhLi16ELi128ELi256ELb1ELi10EEvPKT_PKT0_S8_ifPKiSA_SA_iPKfiiiPfSD_PS3_PT2_iSC_SC_
	.p2align	8
	.type	_Z39paged_attention_ll4mi_QKV_mfma16_kernelI14__hip_bfloat16S0_LN4vllm18Fp8KVCacheDataTypeE0EhLi16ELi128ELi256ELb1ELi10EEvPKT_PKT0_S8_ifPKiSA_SA_iPKfiiiPfSD_PS3_PT2_iSC_SC_,@function
_Z39paged_attention_ll4mi_QKV_mfma16_kernelI14__hip_bfloat16S0_LN4vllm18Fp8KVCacheDataTypeE0EhLi16ELi128ELi256ELb1ELi10EEvPKT_PKT0_S8_ifPKiSA_SA_iPKfiiiPfSD_PS3_PT2_iSC_SC_: ; @_Z39paged_attention_ll4mi_QKV_mfma16_kernelI14__hip_bfloat16S0_LN4vllm18Fp8KVCacheDataTypeE0EhLi16ELi128ELi256ELb1ELi10EEvPKT_PKT0_S8_ifPKiSA_SA_iPKfiiiPfSD_PS3_PT2_iSC_SC_
; %bb.0:
	s_load_dwordx2 s[8:9], s[0:1], 0x30
	s_mov_b32 s26, s3
	s_mov_b64 s[6:7], 0
	s_waitcnt lgkmcnt(0)
	s_cmp_lg_u64 s[8:9], 0
	s_cselect_b64 s[10:11], -1, 0
	s_and_b64 vcc, exec, s[10:11]
	s_cbranch_vccz .LBB585_7
; %bb.1:
	s_add_i32 s12, s2, 1
	s_mov_b32 s13, 0
	s_lshl_b64 s[14:15], s[12:13], 2
	s_add_u32 s14, s8, s14
	s_mov_b32 s3, s13
	s_addc_u32 s15, s9, s15
	s_lshl_b64 s[12:13], s[2:3], 2
	s_add_u32 s12, s8, s12
	s_addc_u32 s13, s9, s13
	s_load_dword s5, s[14:15], 0x0
	s_load_dword s16, s[12:13], 0x0
	s_waitcnt lgkmcnt(0)
	s_sub_i32 s5, s5, s16
	s_cmp_eq_u32 s5, 1
	s_cselect_b64 s[12:13], -1, 0
	s_andn2_b64 vcc, exec, s[6:7]
	s_cbranch_vccnz .LBB585_3
.LBB585_2:
	s_mov_b32 s3, 0
	s_mov_b64 s[12:13], -1
.LBB585_3:
	s_andn2_b64 vcc, exec, s[12:13]
	s_cbranch_vccnz .LBB585_20
; %bb.4:
	s_load_dwordx2 s[6:7], s[0:1], 0x28
	s_lshl_b64 s[12:13], s[2:3], 2
	s_waitcnt lgkmcnt(0)
	s_add_u32 s6, s6, s12
	s_addc_u32 s7, s7, s13
	s_load_dword s27, s[6:7], 0x0
	s_lshl_b32 s18, s26, 8
	s_waitcnt lgkmcnt(0)
	s_cmp_ge_i32 s18, s27
	s_cbranch_scc1 .LBB585_20
; %bb.5:
	s_load_dwordx2 s[6:7], s[0:1], 0x20
	s_load_dword s5, s[0:1], 0x38
	s_add_i32 s14, s27, 15
	s_ashr_i32 s15, s14, 31
	v_and_b32_e32 v1, 0xcf, v0
	s_lshr_b32 s15, s15, 28
	v_add_u32_e32 v1, s18, v1
	s_add_i32 s14, s14, s15
	v_ashrrev_i32_e32 v2, 31, v1
	s_ashr_i32 s19, s14, 4
	v_lshrrev_b32_e32 v4, 28, v2
	s_add_i32 s19, s19, -1
	s_waitcnt lgkmcnt(0)
	s_mul_i32 s14, s2, s5
	s_mov_b32 s15, 0
	v_add_u32_e32 v2, v1, v4
	s_lshl_b64 s[14:15], s[14:15], 2
	v_ashrrev_i32_e32 v2, 4, v2
	v_mov_b32_e32 v5, s19
	v_cmp_gt_i32_e32 vcc, s27, v1
	s_add_u32 s6, s6, s14
	s_addc_u32 s7, s7, s15
	v_cndmask_b32_e32 v2, v5, v2, vcc
	v_ashrrev_i32_e32 v3, 31, v2
	v_lshl_add_u64 v[6:7], v[2:3], 2, s[6:7]
	v_or_b32_e32 v2, 16, v1
	v_add_u32_e32 v3, v2, v4
	v_ashrrev_i32_e32 v3, 4, v3
	v_cmp_gt_i32_e32 vcc, s27, v2
	s_load_dwordx2 s[14:15], s[0:1], 0x8
	s_nop 0
	v_cndmask_b32_e32 v2, v5, v3, vcc
	v_ashrrev_i32_e32 v3, 31, v2
	v_lshl_add_u64 v[8:9], v[2:3], 2, s[6:7]
	v_or_b32_e32 v2, 32, v1
	v_add_u32_e32 v3, v2, v4
	v_ashrrev_i32_e32 v3, 4, v3
	v_cmp_gt_i32_e32 vcc, s27, v2
	v_or_b32_e32 v1, 48, v1
	s_nop 0
	v_cndmask_b32_e32 v2, v5, v3, vcc
	v_ashrrev_i32_e32 v3, 31, v2
	v_lshl_add_u64 v[10:11], v[2:3], 2, s[6:7]
	v_add_u32_e32 v2, v1, v4
	v_ashrrev_i32_e32 v2, 4, v2
	v_cmp_gt_i32_e32 vcc, s27, v1
	s_nop 1
	v_cndmask_b32_e32 v2, v5, v2, vcc
	v_ashrrev_i32_e32 v3, 31, v2
	v_lshl_add_u64 v[12:13], v[2:3], 2, s[6:7]
	global_load_dword v5, v[6:7], off
	global_load_dword v4, v[8:9], off
	;; [unrolled: 1-line block ×4, first 2 shown]
	s_andn2_b64 vcc, exec, s[10:11]
	s_cbranch_vccnz .LBB585_8
; %bb.6:
	s_add_u32 s8, s8, s12
	s_addc_u32 s9, s9, s13
	s_load_dword s5, s[8:9], 0x0
	s_branch .LBB585_9
.LBB585_7:
	s_mov_b64 s[12:13], 0
	s_branch .LBB585_2
.LBB585_8:
	s_mov_b32 s5, s2
.LBB585_9:
	s_load_dwordx2 s[12:13], s[0:1], 0x10
	s_load_dwordx4 s[8:11], s[0:1], 0x48
	v_lshrrev_b32_e32 v85, 6, v0
	v_bfe_u32 v88, v0, 4, 2
	v_and_b32_e32 v84, 15, v0
	v_lshl_or_b32 v1, v85, 2, v88
	v_lshlrev_b32_e32 v6, 3, v84
	s_mul_i32 s40, s4, 10
	v_cmp_gt_u32_e32 vcc, 10, v1
	v_lshlrev_b32_e32 v82, 1, v6
	s_and_saveexec_b64 s[16:17], vcc
	s_cbranch_execz .LBB585_11
; %bb.10:
	s_load_dwordx2 s[20:21], s[0:1], 0x0
	s_waitcnt lgkmcnt(0)
	s_ashr_i32 s11, s8, 31
	s_mul_hi_u32 s22, s5, s8
	s_mul_i32 s11, s5, s11
	s_add_i32 s23, s22, s11
	s_mul_i32 s22, s5, s8
	s_lshl_b64 s[22:23], s[22:23], 1
	s_add_u32 s20, s20, s22
	v_add_lshl_u32 v6, v1, s40, 7
	s_addc_u32 s21, s21, s23
	v_ashrrev_i32_e32 v7, 31, v6
	v_lshl_add_u64 v[6:7], v[6:7], 1, s[20:21]
	v_mov_b32_e32 v83, 0
	v_lshl_add_u64 v[6:7], v[6:7], 0, v[82:83]
	global_load_dwordx4 v[6:9], v[6:7], off
	v_and_b32_e32 v10, 3, v0
	v_lshlrev_b32_e32 v11, 9, v84
	v_lshlrev_b32_e32 v1, 5, v1
	;; [unrolled: 1-line block ×3, first 2 shown]
	v_and_b32_e32 v11, 0x1800, v11
	v_or3_b32 v1, v11, v10, v1
	s_waitcnt vmcnt(0)
	ds_write_b128 v1, v[6:9]
.LBB585_11:
	s_or_b64 exec, exec, s[16:17]
	s_waitcnt lgkmcnt(0)
	s_mul_i32 s4, s4, s10
	s_mov_b32 s5, 0
	s_lshl_b64 s[4:5], s[4:5], 1
	s_add_u32 s10, s14, s4
	v_lshlrev_b32_e32 v1, 4, v0
	s_addc_u32 s11, s15, s5
	v_and_b32_e32 v86, 0xf0, v1
	v_mov_b32_e32 v87, 0
	v_lshl_add_u64 v[6:7], s[10:11], 0, v[86:87]
	s_waitcnt vmcnt(3)
	v_mad_i64_i32 v[8:9], s[10:11], v5, s9, 0
	s_waitcnt vmcnt(2)
	v_mad_i64_i32 v[4:5], s[10:11], v4, s9, 0
	v_lshl_add_u64 v[8:9], v[8:9], 1, v[6:7]
	v_and_b32_e32 v86, 0x300, v1
	v_lshl_add_u64 v[4:5], v[4:5], 1, v[6:7]
	v_lshl_add_u64 v[8:9], v[8:9], 0, v[86:87]
	v_lshl_add_u64 v[4:5], v[4:5], 0, v[86:87]
	s_barrier
	global_load_dwordx4 v[78:81], v[8:9], off
	global_load_dwordx4 v[74:77], v[8:9], off offset:1024
	global_load_dwordx4 v[70:73], v[8:9], off offset:2048
	;; [unrolled: 1-line block ×3, first 2 shown]
	global_load_dwordx4 v[66:69], v[4:5], off
	global_load_dwordx4 v[62:65], v[4:5], off offset:1024
	global_load_dwordx4 v[58:61], v[4:5], off offset:2048
	;; [unrolled: 1-line block ×3, first 2 shown]
	s_waitcnt vmcnt(9)
	v_mad_i64_i32 v[4:5], s[10:11], v3, s9, 0
	s_waitcnt vmcnt(8)
	v_mad_i64_i32 v[2:3], s[10:11], v2, s9, 0
	v_lshl_add_u64 v[4:5], v[4:5], 1, v[6:7]
	v_lshl_add_u64 v[2:3], v[2:3], 1, v[6:7]
	;; [unrolled: 1-line block ×4, first 2 shown]
	global_load_dwordx4 v[30:33], v[4:5], off
	global_load_dwordx4 v[26:29], v[4:5], off offset:1024
	global_load_dwordx4 v[22:25], v[4:5], off offset:2048
	;; [unrolled: 1-line block ×3, first 2 shown]
	global_load_dwordx4 v[6:9], v[34:35], off
	s_nop 0
	global_load_dwordx4 v[2:5], v[34:35], off offset:1024
	global_load_dwordx4 v[38:41], v[34:35], off offset:2048
	s_nop 0
	global_load_dwordx4 v[34:37], v[34:35], off offset:3072
	v_add_u32_e32 v42, -10, v84
	v_cmp_gt_u32_e32 vcc, 10, v84
	v_and_b32_e32 v83, 63, v0
	v_mov_b32_e32 v89, 0
	v_cndmask_b32_e32 v42, v42, v84, vcc
	v_lshlrev_b32_e32 v42, 5, v42
	v_lshl_add_u32 v42, v88, 9, v42
	ds_read_b128 v[54:57], v42
	ds_read_b128 v[50:53], v42 offset:2048
	ds_read_b128 v[46:49], v42 offset:4096
	;; [unrolled: 1-line block ×3, first 2 shown]
	s_and_saveexec_b64 s[10:11], vcc
	s_cbranch_execz .LBB585_13
; %bb.12:
	s_load_dwordx2 s[14:15], s[0:1], 0x40
	v_add_u32_e32 v90, s40, v84
	v_ashrrev_i32_e32 v91, 31, v90
	s_waitcnt lgkmcnt(0)
	v_lshl_add_u64 v[90:91], v[90:91], 2, s[14:15]
	global_load_dword v89, v[90:91], off
.LBB585_13:
	s_or_b64 exec, exec, s[10:11]
	s_waitcnt vmcnt(15) lgkmcnt(3)
	v_mfma_f32_16x16x16_bf16 v[90:93], v[78:79], v[54:55], 0
	s_add_u32 s4, s12, s4
	s_addc_u32 s5, s13, s5
	s_mov_b32 s33, 0xff7fffff
	v_mfma_f32_16x16x16_bf16 v[78:81], v[80:81], v[56:57], v[90:93]
	s_waitcnt vmcnt(14) lgkmcnt(2)
	v_mfma_f32_16x16x16_bf16 v[78:81], v[74:75], v[50:51], v[78:81]
	s_nop 0
	v_lshl_or_b32 v90, v85, 4, v84
	v_lshlrev_b32_e32 v86, 5, v90
	v_mfma_f32_16x16x16_bf16 v[74:77], v[76:77], v[52:53], v[78:81]
	s_waitcnt vmcnt(13) lgkmcnt(1)
	v_mfma_f32_16x16x16_bf16 v[74:77], v[70:71], v[46:47], v[74:77]
	v_mfma_f32_16x16x16_bf16 v[70:73], v[72:73], v[48:49], v[74:77]
	s_waitcnt vmcnt(11)
	v_mfma_f32_16x16x16_bf16 v[74:77], v[66:67], v[54:55], 0
	v_mfma_f32_16x16x16_bf16 v[66:69], v[68:69], v[56:57], v[74:77]
	s_nop 5
	v_and_or_b32 v74, v0, 48, s18
	s_waitcnt lgkmcnt(0)
	v_mfma_f32_16x16x16_bf16 v[70:73], v[10:11], v[42:43], v[70:73]
	v_ashrrev_i32_e32 v10, 4, v74
	v_mov_b32_e32 v75, s19
	v_cmp_gt_i32_e32 vcc, s27, v74
	s_waitcnt vmcnt(10)
	v_mfma_f32_16x16x16_bf16 v[66:69], v[62:63], v[50:51], v[66:69]
	v_cndmask_b32_e32 v10, v75, v10, vcc
	v_ashrrev_i32_e32 v11, 31, v10
	v_lshl_add_u64 v[10:11], v[10:11], 2, s[6:7]
	global_load_dword v76, v[10:11], off
	v_mfma_f32_16x16x16_bf16 v[62:65], v[64:65], v[52:53], v[66:69]
	v_or_b32_e32 v10, 64, v74
	v_ashrrev_i32_e32 v11, 4, v10
	v_cmp_gt_i32_e32 vcc, s27, v10
	s_waitcnt vmcnt(10)
	v_mfma_f32_16x16x16_bf16 v[62:65], v[58:59], v[46:47], v[62:65]
	v_cndmask_b32_e32 v10, v75, v11, vcc
	v_ashrrev_i32_e32 v11, 31, v10
	v_lshl_add_u64 v[10:11], v[10:11], 2, s[6:7]
	global_load_dword v78, v[10:11], off
	v_or_b32_e32 v10, 0x80, v74
	v_mfma_f32_16x16x16_bf16 v[58:61], v[60:61], v[48:49], v[62:65]
	v_ashrrev_i32_e32 v11, 4, v10
	v_cmp_gt_i32_e32 vcc, s27, v10
	s_waitcnt vmcnt(9)
	v_mfma_f32_16x16x16_bf16 v[62:65], v[30:31], v[54:55], 0
	v_cndmask_b32_e32 v10, v75, v11, vcc
	v_ashrrev_i32_e32 v11, 31, v10
	v_lshl_add_u64 v[10:11], v[10:11], 2, s[6:7]
	v_mfma_f32_16x16x16_bf16 v[30:33], v[32:33], v[56:57], v[62:65]
	s_nop 2
	global_load_dword v62, v[10:11], off
	v_or_b32_e32 v10, 0xc0, v74
	v_ashrrev_i32_e32 v11, 4, v10
	v_cmp_gt_i32_e32 vcc, s27, v10
	s_waitcnt vmcnt(9)
	v_mfma_f32_16x16x16_bf16 v[30:33], v[26:27], v[50:51], v[30:33]
	v_cndmask_b32_e32 v10, v75, v11, vcc
	v_ashrrev_i32_e32 v11, 31, v10
	v_lshl_add_u64 v[10:11], v[10:11], 2, s[6:7]
	global_load_dword v63, v[10:11], off
	v_mfma_f32_16x16x16_bf16 v[26:29], v[28:29], v[52:53], v[30:33]
	s_load_dword s6, s[0:1], 0x1c
	s_waitcnt vmcnt(3)
	v_mad_i64_i32 v[10:11], s[10:11], v76, s9, 0
	v_mfma_f32_16x16x16_bf16 v[26:29], v[22:23], v[46:47], v[26:29]
	v_lshlrev_b64 v[76:77], 1, v[10:11]
	v_mfma_f32_16x16x16_bf16 v[64:67], v[12:13], v[44:45], v[70:73]
	v_mfma_f32_16x16x16_bf16 v[10:13], v[24:25], v[48:49], v[26:29]
	s_nop 1
	v_lshl_add_u64 v[72:73], s[4:5], 0, v[86:87]
	v_or_b32_e32 v86, 0x800, v86
	v_mfma_f32_16x16x16_bf16 v[30:33], v[14:15], v[42:43], v[58:61]
	v_lshl_add_u64 v[14:15], v[72:73], 0, v[76:77]
	v_mfma_f32_16x16x16_bf16 v[10:13], v[18:19], v[42:43], v[10:13]
	v_mfma_f32_16x16x16_bf16 v[68:71], v[16:17], v[44:45], v[30:33]
	s_nop 3
	global_load_dwordx4 v[30:33], v[14:15], off
	global_load_dwordx4 v[26:29], v[14:15], off offset:16
	s_waitcnt vmcnt(4)
	v_mad_i64_i32 v[14:15], s[10:11], v78, s9, 0
	v_lshlrev_b64 v[58:59], 1, v[14:15]
	v_mfma_f32_16x16x16_bf16 v[92:95], v[20:21], v[44:45], v[10:13]
	s_waitcnt lgkmcnt(0)
	v_pk_mul_f32 v[78:79], s[6:7], v[66:67] op_sel_hi:[0,1]
	s_nop 0
	v_lshl_add_u64 v[10:11], v[72:73], 0, v[58:59]
	global_load_dwordx4 v[22:25], v[10:11], off
	global_load_dwordx4 v[18:21], v[10:11], off offset:16
	v_mfma_f32_16x16x16_bf16 v[10:13], v[6:7], v[54:55], 0
	s_waitcnt vmcnt(5)
	v_mad_i64_i32 v[6:7], s[10:11], v62, s9, 0
	v_lshlrev_b64 v[54:55], 1, v[6:7]
	v_mfma_f32_16x16x16_bf16 v[6:9], v[8:9], v[56:57], v[10:13]
	v_mfma_f32_16x16x16_bf16 v[6:9], v[2:3], v[50:51], v[6:9]
	s_waitcnt vmcnt(4)
	v_mad_i64_i32 v[2:3], s[8:9], v63, s9, 0
	v_lshlrev_b64 v[50:51], 1, v[2:3]
	v_mfma_f32_16x16x16_bf16 v[60:63], v[4:5], v[52:53], v[6:9]
	v_lshl_add_u64 v[10:11], v[72:73], 0, v[54:55]
	v_lshl_add_u64 v[2:3], v[72:73], 0, v[50:51]
	v_pk_mul_f32 v[52:53], s[6:7], v[64:65] op_sel_hi:[0,1]
	v_mfma_f32_16x16x16_bf16 v[72:75], v[38:39], v[46:47], v[60:63]
	global_load_dwordx4 v[14:17], v[10:11], off
	s_nop 0
	global_load_dwordx4 v[10:13], v[10:11], off offset:16
	v_lshl_add_u64 v[62:63], s[4:5], 0, v[86:87]
	v_lshl_add_u64 v[38:39], v[62:63], 0, v[76:77]
	v_mfma_f32_16x16x16_bf16 v[46:49], v[40:41], v[48:49], v[72:75]
	v_pk_mul_f32 v[76:77], s[6:7], v[68:69] op_sel_hi:[0,1]
	v_lshl_add_u64 v[54:55], v[62:63], 0, v[54:55]
	v_lshl_add_u64 v[50:51], v[62:63], 0, v[50:51]
	v_mfma_f32_16x16x16_bf16 v[40:43], v[34:35], v[42:43], v[46:49]
	v_pk_mul_f32 v[74:75], s[6:7], v[70:71] op_sel_hi:[0,1]
	v_pk_mul_f32 v[70:71], s[6:7], v[94:95] op_sel_hi:[0,1]
	;; [unrolled: 1-line block ×3, first 2 shown]
	v_mfma_f32_16x16x16_bf16 v[34:37], v[36:37], v[44:45], v[40:43]
	global_load_dwordx4 v[6:9], v[2:3], off
	s_nop 0
	global_load_dwordx4 v[2:5], v[2:3], off offset:16
	s_nop 3
	v_pk_mul_f32 v[68:69], s[6:7], v[34:35] op_sel_hi:[0,1]
	v_and_b32_e32 v34, 0xc0, v0
	v_add_u32_e32 v34, s18, v34
	v_lshl_or_b32 v34, v88, 2, v34
	v_or_b32_e32 v35, 1, v34
	v_pk_mul_f32 v[66:67], s[6:7], v[36:37] op_sel_hi:[0,1]
	v_subrev_u32_e32 v36, s27, v35
	v_add_u32_e32 v40, 1, v36
	v_add_u32_e32 v41, 2, v36
	v_cvt_f32_i32_e32 v37, v36
	v_cvt_f32_i32_e32 v40, v40
	;; [unrolled: 1-line block ×3, first 2 shown]
	v_add_u32_e32 v42, 3, v36
	v_fma_f32 v52, v89, v37, v52
	v_fmac_f32_e32 v53, v89, v40
	v_fma_f32 v78, v89, v41, v78
	v_add_u32_e32 v37, 16, v36
	v_add_u32_e32 v40, 17, v36
	;; [unrolled: 1-line block ×3, first 2 shown]
	v_cvt_f32_i32_e32 v42, v42
	v_cvt_f32_i32_e32 v37, v37
	v_cvt_f32_i32_e32 v40, v40
	v_cvt_f32_i32_e32 v41, v41
	v_fmac_f32_e32 v79, v89, v42
	v_add_u32_e32 v42, 19, v36
	v_fma_f32 v76, v89, v37, v76
	v_fmac_f32_e32 v77, v89, v40
	v_fma_f32 v74, v89, v41, v74
	v_add_u32_e32 v37, 32, v36
	v_add_u32_e32 v40, 33, v36
	;; [unrolled: 1-line block ×3, first 2 shown]
	v_cvt_f32_i32_e32 v42, v42
	v_cvt_f32_i32_e32 v37, v37
	;; [unrolled: 1-line block ×4, first 2 shown]
	v_fmac_f32_e32 v75, v89, v42
	v_add_u32_e32 v42, 35, v36
	v_fma_f32 v72, v89, v37, v72
	v_fmac_f32_e32 v73, v89, v40
	v_fma_f32 v70, v89, v41, v70
	v_add_u32_e32 v37, 48, v36
	v_add_u32_e32 v40, 49, v36
	;; [unrolled: 1-line block ×4, first 2 shown]
	v_cvt_f32_i32_e32 v36, v36
	v_cvt_f32_i32_e32 v37, v37
	;; [unrolled: 1-line block ×3, first 2 shown]
	v_cmp_gt_i32_e64 s[28:29], s27, v34
	v_fmac_f32_e32 v67, v89, v36
	v_mov_b32_e32 v36, 0xff7fffff
	v_cmp_gt_i32_e64 s[30:31], s27, v35
	v_fma_f32 v68, v89, v37, v68
	v_cndmask_b32_e64 v37, v36, v52, s[28:29]
	v_cndmask_b32_e64 v35, v36, v53, s[30:31]
	v_fmac_f32_e32 v69, v89, v40
	v_max3_f32 v35, v37, s33, v35
	v_or_b32_e32 v37, 2, v34
	v_or_b32_e32 v40, 3, v34
	v_cmp_gt_i32_e64 s[34:35], s27, v37
	v_cmp_gt_i32_e64 s[36:37], s27, v40
	v_cvt_f32_i32_e32 v42, v42
	v_cndmask_b32_e64 v37, v36, v78, s[34:35]
	v_cndmask_b32_e64 v40, v36, v79, s[36:37]
	v_max3_f32 v35, v35, v37, v40
	v_or_b32_e32 v37, 16, v34
	v_or_b32_e32 v40, 17, v34
	v_cmp_gt_i32_e64 s[22:23], s27, v37
	v_cmp_gt_i32_e64 s[24:25], s27, v40
	v_fmac_f32_e32 v71, v89, v42
	v_cndmask_b32_e64 v37, v36, v76, s[22:23]
	v_cndmask_b32_e64 v40, v36, v77, s[24:25]
	v_max3_f32 v35, v35, v37, v40
	v_or_b32_e32 v37, 18, v34
	v_or_b32_e32 v40, 19, v34
	v_cmp_gt_i32_e64 s[18:19], s27, v37
	v_cmp_gt_i32_e64 s[20:21], s27, v40
	v_cvt_f32_i32_e32 v41, v41
	v_cndmask_b32_e64 v37, v36, v74, s[18:19]
	v_cndmask_b32_e64 v40, v36, v75, s[20:21]
	v_max3_f32 v35, v35, v37, v40
	v_or_b32_e32 v37, 32, v34
	v_or_b32_e32 v40, 33, v34
	v_cmp_gt_i32_e64 s[14:15], s27, v37
	v_cmp_gt_i32_e64 s[16:17], s27, v40
	v_fma_f32 v66, v89, v41, v66
	v_cndmask_b32_e64 v37, v36, v72, s[14:15]
	v_cndmask_b32_e64 v40, v36, v73, s[16:17]
	v_max3_f32 v35, v35, v37, v40
	v_or_b32_e32 v37, 34, v34
	v_or_b32_e32 v40, 35, v34
	v_cmp_gt_i32_e64 s[10:11], s27, v37
	v_cmp_gt_i32_e64 s[12:13], s27, v40
	s_nop 0
	v_cndmask_b32_e64 v37, v36, v70, s[10:11]
	v_cndmask_b32_e64 v40, v36, v71, s[12:13]
	v_max3_f32 v35, v35, v37, v40
	v_or_b32_e32 v37, 48, v34
	v_or_b32_e32 v40, 49, v34
	v_cmp_gt_i32_e64 s[6:7], s27, v37
	v_cmp_gt_i32_e64 s[8:9], s27, v40
	s_nop 0
	v_cndmask_b32_e64 v37, v36, v68, s[6:7]
	v_cndmask_b32_e64 v40, v36, v69, s[8:9]
	v_max3_f32 v35, v35, v37, v40
	v_or_b32_e32 v37, 50, v34
	v_or_b32_e32 v34, 51, v34
	v_cmp_gt_i32_e32 vcc, s27, v37
	v_cmp_gt_i32_e64 s[4:5], s27, v34
	global_load_dwordx4 v[46:49], v[38:39], off
	s_nop 0
	global_load_dwordx4 v[38:41], v[38:39], off offset:16
	v_cndmask_b32_e32 v37, v36, v66, vcc
	v_cndmask_b32_e64 v34, v36, v67, s[4:5]
	v_max3_f32 v56, v35, v37, v34
	v_mbcnt_lo_u32_b32 v34, -1, 0
	v_mbcnt_hi_u32_b32 v57, -1, v34
	v_and_b32_e32 v34, 64, v57
	v_add_u32_e32 v60, 64, v34
	v_xor_b32_e32 v34, 32, v57
	v_cmp_lt_i32_e64 s[38:39], v34, v60
	s_nop 1
	v_cndmask_b32_e64 v34, v57, v34, s[38:39]
	v_lshlrev_b32_e32 v87, 2, v34
	ds_bpermute_b32 v61, v87, v56
	v_lshl_add_u64 v[34:35], v[62:63], 0, v[58:59]
	global_load_dwordx4 v[42:45], v[34:35], off
	s_nop 0
	global_load_dwordx4 v[34:37], v[34:35], off offset:16
	s_waitcnt lgkmcnt(0)
	v_max_f32_e32 v58, v61, v61
	v_max_f32_e32 v64, v56, v58
	v_xor_b32_e32 v56, 16, v57
	v_cmp_lt_i32_e64 s[38:39], v56, v60
	s_nop 1
	v_cndmask_b32_e64 v56, v57, v56, s[38:39]
	v_lshlrev_b32_e32 v89, 2, v56
	ds_bpermute_b32 v65, v89, v64
	global_load_dwordx4 v[58:61], v[54:55], off
	s_nop 0
	global_load_dwordx4 v[54:57], v[54:55], off offset:16
	s_waitcnt lgkmcnt(0)
	v_max_f32_e32 v62, v65, v65
	v_max_f32_e32 v86, v64, v62
	v_sub_f32_e32 v52, v52, v86
	v_mul_f32_e32 v52, 0x3fb8aa3b, v52
	v_exp_f32_e32 v80, v52
	v_sub_f32_e32 v52, v53, v86
	v_mul_f32_e32 v52, 0x3fb8aa3b, v52
	v_exp_f32_e32 v81, v52
	global_load_dwordx4 v[62:65], v[50:51], off
	s_nop 0
	global_load_dwordx4 v[50:53], v[50:51], off offset:16
	v_sub_f32_e32 v78, v78, v86
	v_mul_f32_e32 v78, 0x3fb8aa3b, v78
	v_sub_f32_e32 v79, v79, v86
	v_exp_f32_e32 v78, v78
	v_mul_f32_e32 v79, 0x3fb8aa3b, v79
	v_sub_f32_e32 v76, v76, v86
	v_exp_f32_e32 v79, v79
	v_mul_f32_e32 v76, 0x3fb8aa3b, v76
	v_sub_f32_e32 v77, v77, v86
	v_cndmask_b32_e64 v80, 0, v80, s[28:29]
	v_exp_f32_e32 v76, v76
	v_mul_f32_e32 v77, 0x3fb8aa3b, v77
	v_sub_f32_e32 v74, v74, v86
	v_add_f32_e32 v91, 0, v80
	v_cndmask_b32_e64 v81, 0, v81, s[30:31]
	v_exp_f32_e32 v77, v77
	v_mul_f32_e32 v74, 0x3fb8aa3b, v74
	v_sub_f32_e32 v75, v75, v86
	v_add_f32_e32 v91, v91, v81
	;; [unrolled: 5-line block ×10, first 2 shown]
	v_cndmask_b32_e64 v70, 0, v70, s[10:11]
	v_exp_f32_e32 v66, v66
	v_mul_f32_e32 v67, 0x3fb8aa3b, v67
	v_add_f32_e32 v91, v91, v70
	v_cndmask_b32_e64 v71, 0, v71, s[12:13]
	v_exp_f32_e32 v67, v67
	v_add_f32_e32 v91, v91, v71
	v_cndmask_b32_e64 v68, 0, v68, s[6:7]
	v_add_f32_e32 v91, v91, v68
	v_cndmask_b32_e64 v69, 0, v69, s[8:9]
	v_add_f32_e32 v91, v91, v69
	v_cndmask_b32_e32 v66, 0, v66, vcc
	v_add_f32_e32 v91, v91, v66
	v_cndmask_b32_e64 v67, 0, v67, s[4:5]
	v_add_f32_e32 v91, v91, v67
	ds_bpermute_b32 v87, v87, v91
	s_load_dword s7, s[0:1], 0x98
	v_cmp_gt_u32_e32 vcc, 16, v83
	s_waitcnt lgkmcnt(0)
	s_barrier
	v_add_f32_e32 v87, v91, v87
	ds_bpermute_b32 v89, v89, v87
	s_waitcnt lgkmcnt(0)
	s_and_saveexec_b64 s[4:5], vcc
	s_cbranch_execz .LBB585_15
; %bb.14:
	v_add_f32_e32 v83, v87, v89
	v_lshlrev_b32_e32 v87, 2, v90
	ds_write2st64_b32 v87, v86, v83 offset1:1
.LBB585_15:
	s_or_b64 exec, exec, s[4:5]
	v_lshlrev_b32_e32 v89, 2, v84
	s_load_dword s6, s[0:1], 0x94
	s_waitcnt lgkmcnt(0)
	s_barrier
	ds_read2_b32 v[86:87], v89 offset1:16
	ds_read2_b32 v[90:91], v89 offset0:32 offset1:48
	ds_read2_b32 v[92:93], v89 offset0:64 offset1:80
	;; [unrolled: 1-line block ×3, first 2 shown]
	s_movk_i32 s8, 0x7fff
	s_waitcnt lgkmcnt(3)
	v_max3_f32 v83, v86, s33, v87
	s_waitcnt lgkmcnt(2)
	v_max3_f32 v83, v83, v90, v91
	v_sub_f32_e32 v86, v86, v83
	v_mul_f32_e32 v86, 0x3fb8aa3b, v86
	v_exp_f32_e32 v1, v86
	v_sub_f32_e32 v86, v87, v83
	v_mul_f32_e32 v86, 0x3fb8aa3b, v86
	v_exp_f32_e32 v87, v86
	;; [unrolled: 3-line block ×4, first 2 shown]
	s_waitcnt lgkmcnt(1)
	v_fma_f32 v86, v1, v92, 0
	v_fmac_f32_e32 v86, v87, v93
	s_waitcnt lgkmcnt(0)
	v_fmac_f32_e32 v86, v90, v94
	v_fmac_f32_e32 v86, v89, v95
	v_add_f32_e32 v91, 0x358637bd, v86
	v_div_scale_f32 v92, s[4:5], v91, v91, 1.0
	v_rcp_f32_e32 v93, v92
	s_mov_b32 s9, 0x7060302
	s_mul_i32 s7, s7, 10
	v_fma_f32 v94, -v92, v93, 1.0
	v_fmac_f32_e32 v93, v94, v93
	v_div_scale_f32 v94, vcc, 1.0, v91, 1.0
	v_mul_f32_e32 v95, v94, v93
	v_fma_f32 v88, -v92, v95, v94
	v_fmac_f32_e32 v95, v88, v93
	v_fma_f32 v88, -v92, v95, v94
	v_div_fmas_f32 v88, v88, v93, v95
	v_cmp_eq_u32_e32 vcc, 1, v85
	v_div_fixup_f32 v88, v88, v91, 1.0
	s_barrier
	v_cndmask_b32_e32 v1, v1, v87, vcc
	v_cmp_eq_u32_e32 vcc, 2, v85
	s_nop 1
	v_cndmask_b32_e32 v1, v1, v90, vcc
	v_cmp_eq_u32_e32 vcc, 3, v85
	s_nop 1
	v_cndmask_b32_e32 v1, v1, v89, vcc
	v_mul_f32_e32 v90, v1, v88
	v_pk_mul_f32 v[80:81], v[90:91], v[80:81] op_sel_hi:[0,1]
	v_bfe_u32 v1, v81, 16, 1
	v_bfe_u32 v87, v80, 16, 1
	v_pk_mul_f32 v[78:79], v[90:91], v[78:79] op_sel_hi:[0,1]
	v_add3_u32 v80, v80, v87, s8
	v_add3_u32 v1, v81, v1, s8
	v_perm_b32 v80, v1, v80, s9
	v_bfe_u32 v1, v79, 16, 1
	v_bfe_u32 v81, v78, 16, 1
	v_add3_u32 v78, v78, v81, s8
	v_add3_u32 v1, v79, v1, s8
	v_bfe_u32 v87, v0, 4, 2
	v_perm_b32 v81, v1, v78, s9
	v_lshlrev_b32_e32 v1, 3, v87
	v_lshlrev_b32_e32 v79, 5, v84
	;; [unrolled: 1-line block ×3, first 2 shown]
	v_pk_mul_f32 v[76:77], v[90:91], v[76:77] op_sel_hi:[0,1]
	v_or3_b32 v78, v78, v79, v1
	v_bfe_u32 v1, v77, 16, 1
	v_bfe_u32 v85, v76, 16, 1
	v_pk_mul_f32 v[74:75], v[90:91], v[74:75] op_sel_hi:[0,1]
	v_add3_u32 v76, v76, v85, s8
	v_add3_u32 v1, v77, v1, s8
	v_perm_b32 v76, v1, v76, s9
	v_bfe_u32 v1, v75, 16, 1
	v_bfe_u32 v77, v74, 16, 1
	v_add3_u32 v74, v74, v77, s8
	v_add3_u32 v1, v75, v1, s8
	v_pk_mul_f32 v[72:73], v[90:91], v[72:73] op_sel_hi:[0,1]
	v_perm_b32 v77, v1, v74, s9
	v_bfe_u32 v1, v73, 16, 1
	v_bfe_u32 v74, v72, 16, 1
	v_pk_mul_f32 v[70:71], v[90:91], v[70:71] op_sel_hi:[0,1]
	v_add3_u32 v72, v72, v74, s8
	v_add3_u32 v1, v73, v1, s8
	v_perm_b32 v72, v1, v72, s9
	v_bfe_u32 v1, v71, 16, 1
	v_bfe_u32 v73, v70, 16, 1
	v_add3_u32 v70, v70, v73, s8
	v_add3_u32 v1, v71, v1, s8
	v_pk_mul_f32 v[68:69], v[90:91], v[68:69] op_sel_hi:[0,1]
	v_perm_b32 v73, v1, v70, s9
	v_bfe_u32 v1, v69, 16, 1
	v_bfe_u32 v70, v68, 16, 1
	v_pk_mul_f32 v[66:67], v[90:91], v[66:67] op_sel_hi:[0,1]
	v_add3_u32 v68, v68, v70, s8
	v_add3_u32 v1, v69, v1, s8
	v_perm_b32 v68, v1, v68, s9
	v_bfe_u32 v1, v67, 16, 1
	v_bfe_u32 v69, v66, 16, 1
	v_add3_u32 v66, v66, v69, s8
	v_add3_u32 v1, v67, v1, s8
	v_perm_b32 v69, v1, v66, s9
	v_cmp_gt_u32_e32 vcc, 10, v0
	ds_write2st64_b64 v78, v[80:81], v[76:77] offset1:1
	ds_write2st64_b64 v78, v[72:73], v[68:69] offset0:2 offset1:3
	s_and_saveexec_b64 s[4:5], vcc
	s_cbranch_execz .LBB585_17
; %bb.16:
	s_mov_b32 s41, 0
	v_mov_b32_e32 v85, 0
	v_lshl_add_u64 v[66:67], s[40:41], 0, v[84:85]
	v_mov_b32_e32 v1, s7
	v_mad_u64_u32 v[66:67], s[10:11], s2, v1, v[66:67]
	s_mul_i32 s3, s3, s7
	v_mov_b32_e32 v68, s26
	v_mov_b32_e32 v69, v85
	s_load_dwordx4 s[12:15], s[0:1], 0x58
	v_add_u32_e32 v1, s3, v67
	v_mad_u64_u32 v[66:67], s[10:11], v66, s6, v[68:69]
	v_mov_b32_e32 v68, v67
	v_mad_u64_u32 v[68:69], s[10:11], v1, s6, v[68:69]
	v_mov_b32_e32 v67, v68
	v_lshlrev_b64 v[66:67], 2, v[66:67]
	s_waitcnt lgkmcnt(0)
	v_lshl_add_u64 v[68:69], s[14:15], 0, v[66:67]
	v_lshl_add_u64 v[66:67], s[12:13], 0, v[66:67]
	global_store_dword v[68:69], v83, off
	global_store_dword v[66:67], v86, off
.LBB585_17:
	s_or_b64 exec, exec, s[4:5]
	v_lshl_or_b32 v1, v87, 9, v79
	s_waitcnt lgkmcnt(0)
	s_barrier
	ds_read_b128 v[70:73], v1
	ds_read_b128 v[66:69], v1 offset:16
	s_waitcnt vmcnt(15) lgkmcnt(1)
	v_mfma_f32_16x16x16_bf16 v[74:77], v[30:31], v[70:71], 0
	s_mov_b32 s3, 0
	v_cmp_gt_u32_e32 vcc, 64, v0
	v_mfma_f32_16x16x16_bf16 v[30:33], v[32:33], v[72:73], v[74:77]
	s_waitcnt vmcnt(14) lgkmcnt(0)
	v_mfma_f32_16x16x16_bf16 v[30:33], v[26:27], v[66:67], v[30:33]
	v_mfma_f32_16x16x16_bf16 v[26:29], v[28:29], v[68:69], v[30:33]
	s_nop 5
	ds_read_b128 v[30:33], v1 offset:2048
	ds_read_b128 v[74:77], v1 offset:2064
	s_waitcnt vmcnt(13) lgkmcnt(1)
	v_mfma_f32_16x16x16_bf16 v[26:29], v[22:23], v[30:31], v[26:29]
	v_mfma_f32_16x16x16_bf16 v[22:25], v[24:25], v[32:33], v[26:29]
	s_waitcnt vmcnt(12) lgkmcnt(0)
	v_mfma_f32_16x16x16_bf16 v[22:25], v[18:19], v[74:75], v[22:25]
	v_mfma_f32_16x16x16_bf16 v[18:21], v[20:21], v[76:77], v[22:25]
	s_nop 5
	ds_read_b128 v[22:25], v1 offset:4096
	ds_read_b128 v[26:29], v1 offset:4112
	s_waitcnt vmcnt(11) lgkmcnt(1)
	v_mfma_f32_16x16x16_bf16 v[18:21], v[14:15], v[22:23], v[18:21]
	v_mfma_f32_16x16x16_bf16 v[14:17], v[16:17], v[24:25], v[18:21]
	s_waitcnt vmcnt(10) lgkmcnt(0)
	v_mfma_f32_16x16x16_bf16 v[14:17], v[10:11], v[26:27], v[14:17]
	v_mfma_f32_16x16x16_bf16 v[10:13], v[12:13], v[28:29], v[14:17]
	s_nop 5
	ds_read_b128 v[14:17], v1 offset:6144
	ds_read_b128 v[18:21], v1 offset:6160
	s_waitcnt lgkmcnt(0)
	s_barrier
	s_waitcnt vmcnt(9)
	v_mfma_f32_16x16x16_bf16 v[10:13], v[6:7], v[14:15], v[10:13]
	v_mfma_f32_16x16x16_bf16 v[6:9], v[8:9], v[16:17], v[10:13]
	s_waitcnt vmcnt(8)
	v_mfma_f32_16x16x16_bf16 v[6:9], v[2:3], v[18:19], v[6:9]
	v_mfma_f32_16x16x16_bf16 v[2:5], v[4:5], v[20:21], v[6:9]
	;; [unrolled: 3-line block ×3, first 2 shown]
	s_nop 3
	v_bfe_u32 v1, v3, 16, 1
	v_bfe_u32 v10, v2, 16, 1
	v_add3_u32 v2, v2, v10, s8
	s_waitcnt vmcnt(6)
	v_mfma_f32_16x16x16_bf16 v[6:9], v[38:39], v[66:67], v[6:9]
	v_add3_u32 v1, v3, v1, s8
	v_perm_b32 v10, v1, v2, s9
	v_bfe_u32 v1, v5, 16, 1
	v_mfma_f32_16x16x16_bf16 v[6:9], v[40:41], v[68:69], v[6:9]
	v_bfe_u32 v2, v4, 16, 1
	v_add3_u32 v2, v4, v2, s8
	v_add3_u32 v1, v5, v1, s8
	s_waitcnt vmcnt(5)
	v_mfma_f32_16x16x16_bf16 v[6:9], v[42:43], v[30:31], v[6:9]
	v_perm_b32 v11, v1, v2, s9
	v_mfma_f32_16x16x16_bf16 v[6:9], v[44:45], v[32:33], v[6:9]
	s_waitcnt vmcnt(4)
	v_mfma_f32_16x16x16_bf16 v[6:9], v[34:35], v[74:75], v[6:9]
	v_mfma_f32_16x16x16_bf16 v[6:9], v[36:37], v[76:77], v[6:9]
	s_waitcnt vmcnt(3)
	v_mfma_f32_16x16x16_bf16 v[6:9], v[58:59], v[22:23], v[6:9]
	;; [unrolled: 3-line block ×5, first 2 shown]
	v_mfma_f32_16x16x16_bf16 v[2:5], v[52:53], v[20:21], v[6:9]
	s_nop 6
	v_bfe_u32 v1, v3, 16, 1
	v_bfe_u32 v6, v2, 16, 1
	v_add3_u32 v2, v2, v6, s8
	v_add3_u32 v1, v3, v1, s8
	v_perm_b32 v2, v1, v2, s9
	v_bfe_u32 v1, v5, 16, 1
	v_bfe_u32 v3, v4, 16, 1
	v_add3_u32 v3, v4, v3, s8
	v_add3_u32 v1, v5, v1, s8
	v_perm_b32 v3, v1, v3, s9
	ds_write2st64_b64 v78, v[10:11], v[2:3] offset1:1
	s_waitcnt lgkmcnt(0)
	s_barrier
	s_and_saveexec_b64 s[4:5], vcc
	s_cbranch_execz .LBB585_20
; %bb.18:
	s_load_dwordx2 s[4:5], s[0:1], 0x68
	s_lshl_b32 s0, s6, 7
	s_mul_i32 s1, s7, s2
	v_lshlrev_b32_e32 v3, 6, v84
	s_mul_hi_u32 s7, s1, s0
	s_mul_i32 s6, s1, s0
	v_lshlrev_b32_e32 v2, 4, v0
	v_lshl_or_b32 v0, v0, 10, v3
	s_lshl_b64 s[6:7], s[6:7], 1
	v_lshlrev_b32_e32 v1, 5, v87
	v_and_b32_e32 v2, 16, v2
	v_and_b32_e32 v0, 0x1a00, v0
	s_waitcnt lgkmcnt(0)
	s_add_u32 s1, s4, s6
	v_or3_b32 v2, v0, v1, v2
	s_addc_u32 s4, s5, s7
	s_lshl_b32 s2, s26, 7
	s_lshl_b64 s[2:3], s[2:3], 1
	ds_read_b128 v[4:7], v2 offset:128
	ds_read_b128 v[8:11], v2
	s_add_u32 s2, s1, s2
	s_addc_u32 s3, s4, s3
	v_mov_b32_e32 v83, 0
	v_add_u32_e32 v14, s40, v87
	v_lshl_add_u64 v[0:1], s[2:3], 0, v[82:83]
	v_mad_u64_u32 v[12:13], s[2:3], v14, s0, 0
	v_lshl_add_u64 v[12:13], v[12:13], 1, v[0:1]
	s_waitcnt lgkmcnt(0)
	global_store_dwordx4 v[12:13], v[8:11], off
	v_or_b32_e32 v3, 8, v87
	v_cmp_gt_u32_e32 vcc, 10, v3
	v_add_u32_e32 v8, 4, v14
	v_mad_u64_u32 v[8:9], s[2:3], v8, s0, 0
	v_lshl_add_u64 v[8:9], v[8:9], 1, v[0:1]
	global_store_dwordx4 v[8:9], v[4:7], off
	s_and_b64 exec, exec, vcc
	s_cbranch_execz .LBB585_20
; %bb.19:
	ds_read_b128 v[4:7], v2 offset:256
	v_add_u32_e32 v2, s40, v3
	v_mad_u64_u32 v[2:3], s[0:1], v2, s0, 0
	v_lshl_add_u64 v[0:1], v[2:3], 1, v[0:1]
	s_waitcnt lgkmcnt(0)
	global_store_dwordx4 v[0:1], v[4:7], off
.LBB585_20:
	s_endpgm
	.section	.rodata,"a",@progbits
	.p2align	6, 0x0
	.amdhsa_kernel _Z39paged_attention_ll4mi_QKV_mfma16_kernelI14__hip_bfloat16S0_LN4vllm18Fp8KVCacheDataTypeE0EhLi16ELi128ELi256ELb1ELi10EEvPKT_PKT0_S8_ifPKiSA_SA_iPKfiiiPfSD_PS3_PT2_iSC_SC_
		.amdhsa_group_segment_fixed_size 8192
		.amdhsa_private_segment_fixed_size 0
		.amdhsa_kernarg_size 400
		.amdhsa_user_sgpr_count 2
		.amdhsa_user_sgpr_dispatch_ptr 0
		.amdhsa_user_sgpr_queue_ptr 0
		.amdhsa_user_sgpr_kernarg_segment_ptr 1
		.amdhsa_user_sgpr_dispatch_id 0
		.amdhsa_user_sgpr_kernarg_preload_length 0
		.amdhsa_user_sgpr_kernarg_preload_offset 0
		.amdhsa_user_sgpr_private_segment_size 0
		.amdhsa_uses_dynamic_stack 0
		.amdhsa_enable_private_segment 0
		.amdhsa_system_sgpr_workgroup_id_x 1
		.amdhsa_system_sgpr_workgroup_id_y 1
		.amdhsa_system_sgpr_workgroup_id_z 1
		.amdhsa_system_sgpr_workgroup_info 0
		.amdhsa_system_vgpr_workitem_id 0
		.amdhsa_next_free_vgpr 96
		.amdhsa_next_free_sgpr 42
		.amdhsa_accum_offset 96
		.amdhsa_reserve_vcc 1
		.amdhsa_float_round_mode_32 0
		.amdhsa_float_round_mode_16_64 0
		.amdhsa_float_denorm_mode_32 3
		.amdhsa_float_denorm_mode_16_64 3
		.amdhsa_dx10_clamp 1
		.amdhsa_ieee_mode 1
		.amdhsa_fp16_overflow 0
		.amdhsa_tg_split 0
		.amdhsa_exception_fp_ieee_invalid_op 0
		.amdhsa_exception_fp_denorm_src 0
		.amdhsa_exception_fp_ieee_div_zero 0
		.amdhsa_exception_fp_ieee_overflow 0
		.amdhsa_exception_fp_ieee_underflow 0
		.amdhsa_exception_fp_ieee_inexact 0
		.amdhsa_exception_int_div_zero 0
	.end_amdhsa_kernel
	.section	.text._Z39paged_attention_ll4mi_QKV_mfma16_kernelI14__hip_bfloat16S0_LN4vllm18Fp8KVCacheDataTypeE0EhLi16ELi128ELi256ELb1ELi10EEvPKT_PKT0_S8_ifPKiSA_SA_iPKfiiiPfSD_PS3_PT2_iSC_SC_,"axG",@progbits,_Z39paged_attention_ll4mi_QKV_mfma16_kernelI14__hip_bfloat16S0_LN4vllm18Fp8KVCacheDataTypeE0EhLi16ELi128ELi256ELb1ELi10EEvPKT_PKT0_S8_ifPKiSA_SA_iPKfiiiPfSD_PS3_PT2_iSC_SC_,comdat
.Lfunc_end585:
	.size	_Z39paged_attention_ll4mi_QKV_mfma16_kernelI14__hip_bfloat16S0_LN4vllm18Fp8KVCacheDataTypeE0EhLi16ELi128ELi256ELb1ELi10EEvPKT_PKT0_S8_ifPKiSA_SA_iPKfiiiPfSD_PS3_PT2_iSC_SC_, .Lfunc_end585-_Z39paged_attention_ll4mi_QKV_mfma16_kernelI14__hip_bfloat16S0_LN4vllm18Fp8KVCacheDataTypeE0EhLi16ELi128ELi256ELb1ELi10EEvPKT_PKT0_S8_ifPKiSA_SA_iPKfiiiPfSD_PS3_PT2_iSC_SC_
                                        ; -- End function
	.section	.AMDGPU.csdata,"",@progbits
; Kernel info:
; codeLenInByte = 5000
; NumSgprs: 48
; NumVgprs: 96
; NumAgprs: 0
; TotalNumVgprs: 96
; ScratchSize: 0
; MemoryBound: 0
; FloatMode: 240
; IeeeMode: 1
; LDSByteSize: 8192 bytes/workgroup (compile time only)
; SGPRBlocks: 5
; VGPRBlocks: 11
; NumSGPRsForWavesPerEU: 48
; NumVGPRsForWavesPerEU: 96
; AccumOffset: 96
; Occupancy: 5
; WaveLimiterHint : 1
; COMPUTE_PGM_RSRC2:SCRATCH_EN: 0
; COMPUTE_PGM_RSRC2:USER_SGPR: 2
; COMPUTE_PGM_RSRC2:TRAP_HANDLER: 0
; COMPUTE_PGM_RSRC2:TGID_X_EN: 1
; COMPUTE_PGM_RSRC2:TGID_Y_EN: 1
; COMPUTE_PGM_RSRC2:TGID_Z_EN: 1
; COMPUTE_PGM_RSRC2:TIDIG_COMP_CNT: 0
; COMPUTE_PGM_RSRC3_GFX90A:ACCUM_OFFSET: 23
; COMPUTE_PGM_RSRC3_GFX90A:TG_SPLIT: 0
	.section	.text._Z39paged_attention_ll4mi_QKV_mfma16_kernelI14__hip_bfloat16S0_LN4vllm18Fp8KVCacheDataTypeE0EhLi16ELi128ELi256ELb1ELi11EEvPKT_PKT0_S8_ifPKiSA_SA_iPKfiiiPfSD_PS3_PT2_iSC_SC_,"axG",@progbits,_Z39paged_attention_ll4mi_QKV_mfma16_kernelI14__hip_bfloat16S0_LN4vllm18Fp8KVCacheDataTypeE0EhLi16ELi128ELi256ELb1ELi11EEvPKT_PKT0_S8_ifPKiSA_SA_iPKfiiiPfSD_PS3_PT2_iSC_SC_,comdat
	.protected	_Z39paged_attention_ll4mi_QKV_mfma16_kernelI14__hip_bfloat16S0_LN4vllm18Fp8KVCacheDataTypeE0EhLi16ELi128ELi256ELb1ELi11EEvPKT_PKT0_S8_ifPKiSA_SA_iPKfiiiPfSD_PS3_PT2_iSC_SC_ ; -- Begin function _Z39paged_attention_ll4mi_QKV_mfma16_kernelI14__hip_bfloat16S0_LN4vllm18Fp8KVCacheDataTypeE0EhLi16ELi128ELi256ELb1ELi11EEvPKT_PKT0_S8_ifPKiSA_SA_iPKfiiiPfSD_PS3_PT2_iSC_SC_
	.globl	_Z39paged_attention_ll4mi_QKV_mfma16_kernelI14__hip_bfloat16S0_LN4vllm18Fp8KVCacheDataTypeE0EhLi16ELi128ELi256ELb1ELi11EEvPKT_PKT0_S8_ifPKiSA_SA_iPKfiiiPfSD_PS3_PT2_iSC_SC_
	.p2align	8
	.type	_Z39paged_attention_ll4mi_QKV_mfma16_kernelI14__hip_bfloat16S0_LN4vllm18Fp8KVCacheDataTypeE0EhLi16ELi128ELi256ELb1ELi11EEvPKT_PKT0_S8_ifPKiSA_SA_iPKfiiiPfSD_PS3_PT2_iSC_SC_,@function
_Z39paged_attention_ll4mi_QKV_mfma16_kernelI14__hip_bfloat16S0_LN4vllm18Fp8KVCacheDataTypeE0EhLi16ELi128ELi256ELb1ELi11EEvPKT_PKT0_S8_ifPKiSA_SA_iPKfiiiPfSD_PS3_PT2_iSC_SC_: ; @_Z39paged_attention_ll4mi_QKV_mfma16_kernelI14__hip_bfloat16S0_LN4vllm18Fp8KVCacheDataTypeE0EhLi16ELi128ELi256ELb1ELi11EEvPKT_PKT0_S8_ifPKiSA_SA_iPKfiiiPfSD_PS3_PT2_iSC_SC_
; %bb.0:
	s_load_dwordx2 s[8:9], s[0:1], 0x30
	s_mov_b32 s26, s3
	s_mov_b64 s[6:7], 0
	s_waitcnt lgkmcnt(0)
	s_cmp_lg_u64 s[8:9], 0
	s_cselect_b64 s[10:11], -1, 0
	s_and_b64 vcc, exec, s[10:11]
	s_cbranch_vccz .LBB586_7
; %bb.1:
	s_add_i32 s12, s2, 1
	s_mov_b32 s13, 0
	s_lshl_b64 s[14:15], s[12:13], 2
	s_add_u32 s14, s8, s14
	s_mov_b32 s3, s13
	s_addc_u32 s15, s9, s15
	s_lshl_b64 s[12:13], s[2:3], 2
	s_add_u32 s12, s8, s12
	s_addc_u32 s13, s9, s13
	s_load_dword s5, s[14:15], 0x0
	s_load_dword s16, s[12:13], 0x0
	s_waitcnt lgkmcnt(0)
	s_sub_i32 s5, s5, s16
	s_cmp_eq_u32 s5, 1
	s_cselect_b64 s[12:13], -1, 0
	s_andn2_b64 vcc, exec, s[6:7]
	s_cbranch_vccnz .LBB586_3
.LBB586_2:
	s_mov_b32 s3, 0
	s_mov_b64 s[12:13], -1
.LBB586_3:
	s_andn2_b64 vcc, exec, s[12:13]
	s_cbranch_vccnz .LBB586_20
; %bb.4:
	s_load_dwordx2 s[6:7], s[0:1], 0x28
	s_lshl_b64 s[12:13], s[2:3], 2
	s_waitcnt lgkmcnt(0)
	s_add_u32 s6, s6, s12
	s_addc_u32 s7, s7, s13
	s_load_dword s27, s[6:7], 0x0
	s_lshl_b32 s18, s26, 8
	s_waitcnt lgkmcnt(0)
	s_cmp_ge_i32 s18, s27
	s_cbranch_scc1 .LBB586_20
; %bb.5:
	s_load_dwordx2 s[6:7], s[0:1], 0x20
	s_load_dword s5, s[0:1], 0x38
	s_add_i32 s14, s27, 15
	s_ashr_i32 s15, s14, 31
	v_and_b32_e32 v1, 0xcf, v0
	s_lshr_b32 s15, s15, 28
	v_add_u32_e32 v1, s18, v1
	s_add_i32 s14, s14, s15
	v_ashrrev_i32_e32 v2, 31, v1
	s_ashr_i32 s19, s14, 4
	v_lshrrev_b32_e32 v4, 28, v2
	s_add_i32 s19, s19, -1
	s_waitcnt lgkmcnt(0)
	s_mul_i32 s14, s2, s5
	s_mov_b32 s15, 0
	v_add_u32_e32 v2, v1, v4
	s_lshl_b64 s[14:15], s[14:15], 2
	v_ashrrev_i32_e32 v2, 4, v2
	v_mov_b32_e32 v5, s19
	v_cmp_gt_i32_e32 vcc, s27, v1
	s_add_u32 s6, s6, s14
	s_addc_u32 s7, s7, s15
	v_cndmask_b32_e32 v2, v5, v2, vcc
	v_ashrrev_i32_e32 v3, 31, v2
	v_lshl_add_u64 v[6:7], v[2:3], 2, s[6:7]
	v_or_b32_e32 v2, 16, v1
	v_add_u32_e32 v3, v2, v4
	v_ashrrev_i32_e32 v3, 4, v3
	v_cmp_gt_i32_e32 vcc, s27, v2
	s_load_dwordx2 s[14:15], s[0:1], 0x8
	s_nop 0
	v_cndmask_b32_e32 v2, v5, v3, vcc
	v_ashrrev_i32_e32 v3, 31, v2
	v_lshl_add_u64 v[8:9], v[2:3], 2, s[6:7]
	v_or_b32_e32 v2, 32, v1
	v_add_u32_e32 v3, v2, v4
	v_ashrrev_i32_e32 v3, 4, v3
	v_cmp_gt_i32_e32 vcc, s27, v2
	v_or_b32_e32 v1, 48, v1
	s_nop 0
	v_cndmask_b32_e32 v2, v5, v3, vcc
	v_ashrrev_i32_e32 v3, 31, v2
	v_lshl_add_u64 v[10:11], v[2:3], 2, s[6:7]
	v_add_u32_e32 v2, v1, v4
	v_ashrrev_i32_e32 v2, 4, v2
	v_cmp_gt_i32_e32 vcc, s27, v1
	s_nop 1
	v_cndmask_b32_e32 v2, v5, v2, vcc
	v_ashrrev_i32_e32 v3, 31, v2
	v_lshl_add_u64 v[12:13], v[2:3], 2, s[6:7]
	global_load_dword v5, v[6:7], off
	global_load_dword v4, v[8:9], off
	;; [unrolled: 1-line block ×4, first 2 shown]
	s_andn2_b64 vcc, exec, s[10:11]
	s_cbranch_vccnz .LBB586_8
; %bb.6:
	s_add_u32 s8, s8, s12
	s_addc_u32 s9, s9, s13
	s_load_dword s5, s[8:9], 0x0
	s_branch .LBB586_9
.LBB586_7:
	s_mov_b64 s[12:13], 0
	s_branch .LBB586_2
.LBB586_8:
	s_mov_b32 s5, s2
.LBB586_9:
	s_load_dwordx2 s[12:13], s[0:1], 0x10
	s_load_dwordx4 s[8:11], s[0:1], 0x48
	v_lshrrev_b32_e32 v85, 6, v0
	v_bfe_u32 v88, v0, 4, 2
	v_and_b32_e32 v84, 15, v0
	v_lshl_or_b32 v1, v85, 2, v88
	v_lshlrev_b32_e32 v6, 3, v84
	s_mul_i32 s40, s4, 11
	v_cmp_gt_u32_e32 vcc, 11, v1
	v_lshlrev_b32_e32 v82, 1, v6
	s_and_saveexec_b64 s[16:17], vcc
	s_cbranch_execz .LBB586_11
; %bb.10:
	s_load_dwordx2 s[20:21], s[0:1], 0x0
	s_waitcnt lgkmcnt(0)
	s_ashr_i32 s11, s8, 31
	s_mul_hi_u32 s22, s5, s8
	s_mul_i32 s11, s5, s11
	s_add_i32 s23, s22, s11
	s_mul_i32 s22, s5, s8
	s_lshl_b64 s[22:23], s[22:23], 1
	s_add_u32 s20, s20, s22
	v_add_lshl_u32 v6, v1, s40, 7
	s_addc_u32 s21, s21, s23
	v_ashrrev_i32_e32 v7, 31, v6
	v_lshl_add_u64 v[6:7], v[6:7], 1, s[20:21]
	v_mov_b32_e32 v83, 0
	v_lshl_add_u64 v[6:7], v[6:7], 0, v[82:83]
	global_load_dwordx4 v[6:9], v[6:7], off
	v_and_b32_e32 v10, 3, v0
	v_lshlrev_b32_e32 v11, 9, v84
	v_lshlrev_b32_e32 v1, 5, v1
	;; [unrolled: 1-line block ×3, first 2 shown]
	v_and_b32_e32 v11, 0x1800, v11
	v_or3_b32 v1, v11, v10, v1
	s_waitcnt vmcnt(0)
	ds_write_b128 v1, v[6:9]
.LBB586_11:
	s_or_b64 exec, exec, s[16:17]
	s_waitcnt lgkmcnt(0)
	s_mul_i32 s4, s4, s10
	s_mov_b32 s5, 0
	s_lshl_b64 s[4:5], s[4:5], 1
	s_add_u32 s10, s14, s4
	v_lshlrev_b32_e32 v1, 4, v0
	s_addc_u32 s11, s15, s5
	v_and_b32_e32 v86, 0xf0, v1
	v_mov_b32_e32 v87, 0
	v_lshl_add_u64 v[6:7], s[10:11], 0, v[86:87]
	s_waitcnt vmcnt(3)
	v_mad_i64_i32 v[8:9], s[10:11], v5, s9, 0
	s_waitcnt vmcnt(2)
	v_mad_i64_i32 v[4:5], s[10:11], v4, s9, 0
	v_lshl_add_u64 v[8:9], v[8:9], 1, v[6:7]
	v_and_b32_e32 v86, 0x300, v1
	v_lshl_add_u64 v[4:5], v[4:5], 1, v[6:7]
	v_lshl_add_u64 v[8:9], v[8:9], 0, v[86:87]
	;; [unrolled: 1-line block ×3, first 2 shown]
	s_barrier
	global_load_dwordx4 v[78:81], v[8:9], off
	global_load_dwordx4 v[74:77], v[8:9], off offset:1024
	global_load_dwordx4 v[70:73], v[8:9], off offset:2048
	;; [unrolled: 1-line block ×3, first 2 shown]
	global_load_dwordx4 v[66:69], v[4:5], off
	global_load_dwordx4 v[62:65], v[4:5], off offset:1024
	global_load_dwordx4 v[58:61], v[4:5], off offset:2048
	;; [unrolled: 1-line block ×3, first 2 shown]
	s_waitcnt vmcnt(9)
	v_mad_i64_i32 v[4:5], s[10:11], v3, s9, 0
	s_waitcnt vmcnt(8)
	v_mad_i64_i32 v[2:3], s[10:11], v2, s9, 0
	v_lshl_add_u64 v[4:5], v[4:5], 1, v[6:7]
	v_lshl_add_u64 v[2:3], v[2:3], 1, v[6:7]
	;; [unrolled: 1-line block ×4, first 2 shown]
	global_load_dwordx4 v[30:33], v[4:5], off
	global_load_dwordx4 v[26:29], v[4:5], off offset:1024
	global_load_dwordx4 v[22:25], v[4:5], off offset:2048
	;; [unrolled: 1-line block ×3, first 2 shown]
	global_load_dwordx4 v[6:9], v[34:35], off
	s_nop 0
	global_load_dwordx4 v[2:5], v[34:35], off offset:1024
	global_load_dwordx4 v[38:41], v[34:35], off offset:2048
	s_nop 0
	global_load_dwordx4 v[34:37], v[34:35], off offset:3072
	v_add_u32_e32 v42, -11, v84
	v_cmp_gt_u32_e32 vcc, 11, v84
	v_and_b32_e32 v83, 63, v0
	v_mov_b32_e32 v89, 0
	v_cndmask_b32_e32 v42, v42, v84, vcc
	v_lshlrev_b32_e32 v42, 5, v42
	v_lshl_add_u32 v42, v88, 9, v42
	ds_read_b128 v[54:57], v42
	ds_read_b128 v[50:53], v42 offset:2048
	ds_read_b128 v[46:49], v42 offset:4096
	ds_read_b128 v[42:45], v42 offset:6144
	s_and_saveexec_b64 s[10:11], vcc
	s_cbranch_execz .LBB586_13
; %bb.12:
	s_load_dwordx2 s[14:15], s[0:1], 0x40
	v_add_u32_e32 v90, s40, v84
	v_ashrrev_i32_e32 v91, 31, v90
	s_waitcnt lgkmcnt(0)
	v_lshl_add_u64 v[90:91], v[90:91], 2, s[14:15]
	global_load_dword v89, v[90:91], off
.LBB586_13:
	s_or_b64 exec, exec, s[10:11]
	s_waitcnt vmcnt(15) lgkmcnt(3)
	v_mfma_f32_16x16x16_bf16 v[90:93], v[78:79], v[54:55], 0
	s_add_u32 s4, s12, s4
	s_addc_u32 s5, s13, s5
	s_mov_b32 s33, 0xff7fffff
	v_mfma_f32_16x16x16_bf16 v[78:81], v[80:81], v[56:57], v[90:93]
	s_waitcnt vmcnt(14) lgkmcnt(2)
	v_mfma_f32_16x16x16_bf16 v[78:81], v[74:75], v[50:51], v[78:81]
	s_nop 0
	v_lshl_or_b32 v90, v85, 4, v84
	v_lshlrev_b32_e32 v86, 5, v90
	v_mfma_f32_16x16x16_bf16 v[74:77], v[76:77], v[52:53], v[78:81]
	s_waitcnt vmcnt(13) lgkmcnt(1)
	v_mfma_f32_16x16x16_bf16 v[74:77], v[70:71], v[46:47], v[74:77]
	v_mfma_f32_16x16x16_bf16 v[70:73], v[72:73], v[48:49], v[74:77]
	s_waitcnt vmcnt(11)
	v_mfma_f32_16x16x16_bf16 v[74:77], v[66:67], v[54:55], 0
	v_mfma_f32_16x16x16_bf16 v[66:69], v[68:69], v[56:57], v[74:77]
	s_nop 5
	v_and_or_b32 v74, v0, 48, s18
	s_waitcnt lgkmcnt(0)
	v_mfma_f32_16x16x16_bf16 v[70:73], v[10:11], v[42:43], v[70:73]
	v_ashrrev_i32_e32 v10, 4, v74
	v_mov_b32_e32 v75, s19
	v_cmp_gt_i32_e32 vcc, s27, v74
	s_waitcnt vmcnt(10)
	v_mfma_f32_16x16x16_bf16 v[66:69], v[62:63], v[50:51], v[66:69]
	v_cndmask_b32_e32 v10, v75, v10, vcc
	v_ashrrev_i32_e32 v11, 31, v10
	v_lshl_add_u64 v[10:11], v[10:11], 2, s[6:7]
	global_load_dword v76, v[10:11], off
	v_mfma_f32_16x16x16_bf16 v[62:65], v[64:65], v[52:53], v[66:69]
	v_or_b32_e32 v10, 64, v74
	v_ashrrev_i32_e32 v11, 4, v10
	v_cmp_gt_i32_e32 vcc, s27, v10
	s_waitcnt vmcnt(10)
	v_mfma_f32_16x16x16_bf16 v[62:65], v[58:59], v[46:47], v[62:65]
	v_cndmask_b32_e32 v10, v75, v11, vcc
	v_ashrrev_i32_e32 v11, 31, v10
	v_lshl_add_u64 v[10:11], v[10:11], 2, s[6:7]
	global_load_dword v78, v[10:11], off
	v_or_b32_e32 v10, 0x80, v74
	v_mfma_f32_16x16x16_bf16 v[58:61], v[60:61], v[48:49], v[62:65]
	v_ashrrev_i32_e32 v11, 4, v10
	v_cmp_gt_i32_e32 vcc, s27, v10
	s_waitcnt vmcnt(9)
	v_mfma_f32_16x16x16_bf16 v[62:65], v[30:31], v[54:55], 0
	v_cndmask_b32_e32 v10, v75, v11, vcc
	v_ashrrev_i32_e32 v11, 31, v10
	v_lshl_add_u64 v[10:11], v[10:11], 2, s[6:7]
	v_mfma_f32_16x16x16_bf16 v[30:33], v[32:33], v[56:57], v[62:65]
	s_nop 2
	global_load_dword v62, v[10:11], off
	v_or_b32_e32 v10, 0xc0, v74
	v_ashrrev_i32_e32 v11, 4, v10
	v_cmp_gt_i32_e32 vcc, s27, v10
	s_waitcnt vmcnt(9)
	v_mfma_f32_16x16x16_bf16 v[30:33], v[26:27], v[50:51], v[30:33]
	v_cndmask_b32_e32 v10, v75, v11, vcc
	v_ashrrev_i32_e32 v11, 31, v10
	v_lshl_add_u64 v[10:11], v[10:11], 2, s[6:7]
	global_load_dword v63, v[10:11], off
	v_mfma_f32_16x16x16_bf16 v[26:29], v[28:29], v[52:53], v[30:33]
	s_load_dword s6, s[0:1], 0x1c
	s_waitcnt vmcnt(3)
	v_mad_i64_i32 v[10:11], s[10:11], v76, s9, 0
	v_mfma_f32_16x16x16_bf16 v[26:29], v[22:23], v[46:47], v[26:29]
	v_lshlrev_b64 v[76:77], 1, v[10:11]
	v_mfma_f32_16x16x16_bf16 v[64:67], v[12:13], v[44:45], v[70:73]
	v_mfma_f32_16x16x16_bf16 v[10:13], v[24:25], v[48:49], v[26:29]
	s_nop 1
	v_lshl_add_u64 v[72:73], s[4:5], 0, v[86:87]
	v_or_b32_e32 v86, 0x800, v86
	v_mfma_f32_16x16x16_bf16 v[30:33], v[14:15], v[42:43], v[58:61]
	v_lshl_add_u64 v[14:15], v[72:73], 0, v[76:77]
	v_mfma_f32_16x16x16_bf16 v[10:13], v[18:19], v[42:43], v[10:13]
	v_mfma_f32_16x16x16_bf16 v[68:71], v[16:17], v[44:45], v[30:33]
	s_nop 3
	global_load_dwordx4 v[30:33], v[14:15], off
	global_load_dwordx4 v[26:29], v[14:15], off offset:16
	s_waitcnt vmcnt(4)
	v_mad_i64_i32 v[14:15], s[10:11], v78, s9, 0
	v_lshlrev_b64 v[58:59], 1, v[14:15]
	v_mfma_f32_16x16x16_bf16 v[92:95], v[20:21], v[44:45], v[10:13]
	s_waitcnt lgkmcnt(0)
	v_pk_mul_f32 v[78:79], s[6:7], v[66:67] op_sel_hi:[0,1]
	s_nop 0
	v_lshl_add_u64 v[10:11], v[72:73], 0, v[58:59]
	global_load_dwordx4 v[22:25], v[10:11], off
	global_load_dwordx4 v[18:21], v[10:11], off offset:16
	v_mfma_f32_16x16x16_bf16 v[10:13], v[6:7], v[54:55], 0
	s_waitcnt vmcnt(5)
	v_mad_i64_i32 v[6:7], s[10:11], v62, s9, 0
	v_lshlrev_b64 v[54:55], 1, v[6:7]
	v_mfma_f32_16x16x16_bf16 v[6:9], v[8:9], v[56:57], v[10:13]
	v_mfma_f32_16x16x16_bf16 v[6:9], v[2:3], v[50:51], v[6:9]
	s_waitcnt vmcnt(4)
	v_mad_i64_i32 v[2:3], s[8:9], v63, s9, 0
	v_lshlrev_b64 v[50:51], 1, v[2:3]
	v_mfma_f32_16x16x16_bf16 v[60:63], v[4:5], v[52:53], v[6:9]
	v_lshl_add_u64 v[10:11], v[72:73], 0, v[54:55]
	v_lshl_add_u64 v[2:3], v[72:73], 0, v[50:51]
	v_pk_mul_f32 v[52:53], s[6:7], v[64:65] op_sel_hi:[0,1]
	v_mfma_f32_16x16x16_bf16 v[72:75], v[38:39], v[46:47], v[60:63]
	global_load_dwordx4 v[14:17], v[10:11], off
	s_nop 0
	global_load_dwordx4 v[10:13], v[10:11], off offset:16
	v_lshl_add_u64 v[62:63], s[4:5], 0, v[86:87]
	v_lshl_add_u64 v[38:39], v[62:63], 0, v[76:77]
	v_mfma_f32_16x16x16_bf16 v[46:49], v[40:41], v[48:49], v[72:75]
	v_pk_mul_f32 v[76:77], s[6:7], v[68:69] op_sel_hi:[0,1]
	v_lshl_add_u64 v[54:55], v[62:63], 0, v[54:55]
	v_lshl_add_u64 v[50:51], v[62:63], 0, v[50:51]
	v_mfma_f32_16x16x16_bf16 v[40:43], v[34:35], v[42:43], v[46:49]
	v_pk_mul_f32 v[74:75], s[6:7], v[70:71] op_sel_hi:[0,1]
	v_pk_mul_f32 v[70:71], s[6:7], v[94:95] op_sel_hi:[0,1]
	;; [unrolled: 1-line block ×3, first 2 shown]
	v_mfma_f32_16x16x16_bf16 v[34:37], v[36:37], v[44:45], v[40:43]
	global_load_dwordx4 v[6:9], v[2:3], off
	s_nop 0
	global_load_dwordx4 v[2:5], v[2:3], off offset:16
	s_nop 3
	v_pk_mul_f32 v[68:69], s[6:7], v[34:35] op_sel_hi:[0,1]
	v_and_b32_e32 v34, 0xc0, v0
	v_add_u32_e32 v34, s18, v34
	v_lshl_or_b32 v34, v88, 2, v34
	v_or_b32_e32 v35, 1, v34
	v_pk_mul_f32 v[66:67], s[6:7], v[36:37] op_sel_hi:[0,1]
	v_subrev_u32_e32 v36, s27, v35
	v_add_u32_e32 v40, 1, v36
	v_add_u32_e32 v41, 2, v36
	v_cvt_f32_i32_e32 v37, v36
	v_cvt_f32_i32_e32 v40, v40
	;; [unrolled: 1-line block ×3, first 2 shown]
	v_add_u32_e32 v42, 3, v36
	v_fma_f32 v52, v89, v37, v52
	v_fmac_f32_e32 v53, v89, v40
	v_fma_f32 v78, v89, v41, v78
	v_add_u32_e32 v37, 16, v36
	v_add_u32_e32 v40, 17, v36
	;; [unrolled: 1-line block ×3, first 2 shown]
	v_cvt_f32_i32_e32 v42, v42
	v_cvt_f32_i32_e32 v37, v37
	;; [unrolled: 1-line block ×4, first 2 shown]
	v_fmac_f32_e32 v79, v89, v42
	v_add_u32_e32 v42, 19, v36
	v_fma_f32 v76, v89, v37, v76
	v_fmac_f32_e32 v77, v89, v40
	v_fma_f32 v74, v89, v41, v74
	v_add_u32_e32 v37, 32, v36
	v_add_u32_e32 v40, 33, v36
	;; [unrolled: 1-line block ×3, first 2 shown]
	v_cvt_f32_i32_e32 v42, v42
	v_cvt_f32_i32_e32 v37, v37
	;; [unrolled: 1-line block ×4, first 2 shown]
	v_fmac_f32_e32 v75, v89, v42
	v_add_u32_e32 v42, 35, v36
	v_fma_f32 v72, v89, v37, v72
	v_fmac_f32_e32 v73, v89, v40
	v_fma_f32 v70, v89, v41, v70
	v_add_u32_e32 v37, 48, v36
	v_add_u32_e32 v40, 49, v36
	;; [unrolled: 1-line block ×4, first 2 shown]
	v_cvt_f32_i32_e32 v36, v36
	v_cvt_f32_i32_e32 v37, v37
	v_cvt_f32_i32_e32 v40, v40
	v_cmp_gt_i32_e64 s[28:29], s27, v34
	v_fmac_f32_e32 v67, v89, v36
	v_mov_b32_e32 v36, 0xff7fffff
	v_cmp_gt_i32_e64 s[30:31], s27, v35
	v_fma_f32 v68, v89, v37, v68
	v_cndmask_b32_e64 v37, v36, v52, s[28:29]
	v_cndmask_b32_e64 v35, v36, v53, s[30:31]
	v_fmac_f32_e32 v69, v89, v40
	v_max3_f32 v35, v37, s33, v35
	v_or_b32_e32 v37, 2, v34
	v_or_b32_e32 v40, 3, v34
	v_cmp_gt_i32_e64 s[34:35], s27, v37
	v_cmp_gt_i32_e64 s[36:37], s27, v40
	v_cvt_f32_i32_e32 v42, v42
	v_cndmask_b32_e64 v37, v36, v78, s[34:35]
	v_cndmask_b32_e64 v40, v36, v79, s[36:37]
	v_max3_f32 v35, v35, v37, v40
	v_or_b32_e32 v37, 16, v34
	v_or_b32_e32 v40, 17, v34
	v_cmp_gt_i32_e64 s[22:23], s27, v37
	v_cmp_gt_i32_e64 s[24:25], s27, v40
	v_fmac_f32_e32 v71, v89, v42
	v_cndmask_b32_e64 v37, v36, v76, s[22:23]
	v_cndmask_b32_e64 v40, v36, v77, s[24:25]
	v_max3_f32 v35, v35, v37, v40
	v_or_b32_e32 v37, 18, v34
	v_or_b32_e32 v40, 19, v34
	v_cmp_gt_i32_e64 s[18:19], s27, v37
	v_cmp_gt_i32_e64 s[20:21], s27, v40
	v_cvt_f32_i32_e32 v41, v41
	v_cndmask_b32_e64 v37, v36, v74, s[18:19]
	v_cndmask_b32_e64 v40, v36, v75, s[20:21]
	v_max3_f32 v35, v35, v37, v40
	v_or_b32_e32 v37, 32, v34
	v_or_b32_e32 v40, 33, v34
	v_cmp_gt_i32_e64 s[14:15], s27, v37
	v_cmp_gt_i32_e64 s[16:17], s27, v40
	v_fma_f32 v66, v89, v41, v66
	v_cndmask_b32_e64 v37, v36, v72, s[14:15]
	v_cndmask_b32_e64 v40, v36, v73, s[16:17]
	v_max3_f32 v35, v35, v37, v40
	v_or_b32_e32 v37, 34, v34
	v_or_b32_e32 v40, 35, v34
	v_cmp_gt_i32_e64 s[10:11], s27, v37
	v_cmp_gt_i32_e64 s[12:13], s27, v40
	s_nop 0
	v_cndmask_b32_e64 v37, v36, v70, s[10:11]
	v_cndmask_b32_e64 v40, v36, v71, s[12:13]
	v_max3_f32 v35, v35, v37, v40
	v_or_b32_e32 v37, 48, v34
	v_or_b32_e32 v40, 49, v34
	v_cmp_gt_i32_e64 s[6:7], s27, v37
	v_cmp_gt_i32_e64 s[8:9], s27, v40
	s_nop 0
	v_cndmask_b32_e64 v37, v36, v68, s[6:7]
	v_cndmask_b32_e64 v40, v36, v69, s[8:9]
	v_max3_f32 v35, v35, v37, v40
	v_or_b32_e32 v37, 50, v34
	v_or_b32_e32 v34, 51, v34
	v_cmp_gt_i32_e32 vcc, s27, v37
	v_cmp_gt_i32_e64 s[4:5], s27, v34
	global_load_dwordx4 v[46:49], v[38:39], off
	s_nop 0
	global_load_dwordx4 v[38:41], v[38:39], off offset:16
	v_cndmask_b32_e32 v37, v36, v66, vcc
	v_cndmask_b32_e64 v34, v36, v67, s[4:5]
	v_max3_f32 v56, v35, v37, v34
	v_mbcnt_lo_u32_b32 v34, -1, 0
	v_mbcnt_hi_u32_b32 v57, -1, v34
	v_and_b32_e32 v34, 64, v57
	v_add_u32_e32 v60, 64, v34
	v_xor_b32_e32 v34, 32, v57
	v_cmp_lt_i32_e64 s[38:39], v34, v60
	s_nop 1
	v_cndmask_b32_e64 v34, v57, v34, s[38:39]
	v_lshlrev_b32_e32 v87, 2, v34
	ds_bpermute_b32 v61, v87, v56
	v_lshl_add_u64 v[34:35], v[62:63], 0, v[58:59]
	global_load_dwordx4 v[42:45], v[34:35], off
	s_nop 0
	global_load_dwordx4 v[34:37], v[34:35], off offset:16
	s_waitcnt lgkmcnt(0)
	v_max_f32_e32 v58, v61, v61
	v_max_f32_e32 v64, v56, v58
	v_xor_b32_e32 v56, 16, v57
	v_cmp_lt_i32_e64 s[38:39], v56, v60
	s_nop 1
	v_cndmask_b32_e64 v56, v57, v56, s[38:39]
	v_lshlrev_b32_e32 v89, 2, v56
	ds_bpermute_b32 v65, v89, v64
	global_load_dwordx4 v[58:61], v[54:55], off
	s_nop 0
	global_load_dwordx4 v[54:57], v[54:55], off offset:16
	s_waitcnt lgkmcnt(0)
	v_max_f32_e32 v62, v65, v65
	v_max_f32_e32 v86, v64, v62
	v_sub_f32_e32 v52, v52, v86
	v_mul_f32_e32 v52, 0x3fb8aa3b, v52
	v_exp_f32_e32 v80, v52
	v_sub_f32_e32 v52, v53, v86
	v_mul_f32_e32 v52, 0x3fb8aa3b, v52
	v_exp_f32_e32 v81, v52
	global_load_dwordx4 v[62:65], v[50:51], off
	s_nop 0
	global_load_dwordx4 v[50:53], v[50:51], off offset:16
	v_sub_f32_e32 v78, v78, v86
	v_mul_f32_e32 v78, 0x3fb8aa3b, v78
	v_sub_f32_e32 v79, v79, v86
	v_exp_f32_e32 v78, v78
	v_mul_f32_e32 v79, 0x3fb8aa3b, v79
	v_sub_f32_e32 v76, v76, v86
	v_exp_f32_e32 v79, v79
	v_mul_f32_e32 v76, 0x3fb8aa3b, v76
	v_sub_f32_e32 v77, v77, v86
	v_cndmask_b32_e64 v80, 0, v80, s[28:29]
	v_exp_f32_e32 v76, v76
	v_mul_f32_e32 v77, 0x3fb8aa3b, v77
	v_sub_f32_e32 v74, v74, v86
	v_add_f32_e32 v91, 0, v80
	v_cndmask_b32_e64 v81, 0, v81, s[30:31]
	v_exp_f32_e32 v77, v77
	v_mul_f32_e32 v74, 0x3fb8aa3b, v74
	v_sub_f32_e32 v75, v75, v86
	v_add_f32_e32 v91, v91, v81
	v_cndmask_b32_e64 v78, 0, v78, s[34:35]
	v_exp_f32_e32 v74, v74
	v_mul_f32_e32 v75, 0x3fb8aa3b, v75
	v_sub_f32_e32 v72, v72, v86
	v_add_f32_e32 v91, v91, v78
	v_cndmask_b32_e64 v79, 0, v79, s[36:37]
	v_exp_f32_e32 v75, v75
	v_mul_f32_e32 v72, 0x3fb8aa3b, v72
	v_sub_f32_e32 v73, v73, v86
	v_add_f32_e32 v91, v91, v79
	v_cndmask_b32_e64 v76, 0, v76, s[22:23]
	v_exp_f32_e32 v72, v72
	v_mul_f32_e32 v73, 0x3fb8aa3b, v73
	v_sub_f32_e32 v70, v70, v86
	v_add_f32_e32 v91, v91, v76
	v_cndmask_b32_e64 v77, 0, v77, s[24:25]
	v_exp_f32_e32 v73, v73
	v_mul_f32_e32 v70, 0x3fb8aa3b, v70
	v_sub_f32_e32 v71, v71, v86
	v_add_f32_e32 v91, v91, v77
	v_cndmask_b32_e64 v74, 0, v74, s[18:19]
	v_exp_f32_e32 v70, v70
	v_mul_f32_e32 v71, 0x3fb8aa3b, v71
	v_sub_f32_e32 v68, v68, v86
	v_add_f32_e32 v91, v91, v74
	v_cndmask_b32_e64 v75, 0, v75, s[20:21]
	v_exp_f32_e32 v71, v71
	v_mul_f32_e32 v68, 0x3fb8aa3b, v68
	v_sub_f32_e32 v69, v69, v86
	v_add_f32_e32 v91, v91, v75
	v_cndmask_b32_e64 v72, 0, v72, s[14:15]
	v_exp_f32_e32 v68, v68
	v_mul_f32_e32 v69, 0x3fb8aa3b, v69
	v_sub_f32_e32 v66, v66, v86
	v_add_f32_e32 v91, v91, v72
	v_cndmask_b32_e64 v73, 0, v73, s[16:17]
	v_exp_f32_e32 v69, v69
	v_mul_f32_e32 v66, 0x3fb8aa3b, v66
	v_sub_f32_e32 v67, v67, v86
	v_add_f32_e32 v91, v91, v73
	v_cndmask_b32_e64 v70, 0, v70, s[10:11]
	v_exp_f32_e32 v66, v66
	v_mul_f32_e32 v67, 0x3fb8aa3b, v67
	v_add_f32_e32 v91, v91, v70
	v_cndmask_b32_e64 v71, 0, v71, s[12:13]
	v_exp_f32_e32 v67, v67
	v_add_f32_e32 v91, v91, v71
	v_cndmask_b32_e64 v68, 0, v68, s[6:7]
	v_add_f32_e32 v91, v91, v68
	v_cndmask_b32_e64 v69, 0, v69, s[8:9]
	v_add_f32_e32 v91, v91, v69
	v_cndmask_b32_e32 v66, 0, v66, vcc
	v_add_f32_e32 v91, v91, v66
	v_cndmask_b32_e64 v67, 0, v67, s[4:5]
	v_add_f32_e32 v91, v91, v67
	ds_bpermute_b32 v87, v87, v91
	s_load_dword s7, s[0:1], 0x98
	v_cmp_gt_u32_e32 vcc, 16, v83
	s_waitcnt lgkmcnt(0)
	s_barrier
	v_add_f32_e32 v87, v91, v87
	ds_bpermute_b32 v89, v89, v87
	s_waitcnt lgkmcnt(0)
	s_and_saveexec_b64 s[4:5], vcc
	s_cbranch_execz .LBB586_15
; %bb.14:
	v_add_f32_e32 v83, v87, v89
	v_lshlrev_b32_e32 v87, 2, v90
	ds_write2st64_b32 v87, v86, v83 offset1:1
.LBB586_15:
	s_or_b64 exec, exec, s[4:5]
	v_lshlrev_b32_e32 v89, 2, v84
	s_load_dword s6, s[0:1], 0x94
	s_waitcnt lgkmcnt(0)
	s_barrier
	ds_read2_b32 v[86:87], v89 offset1:16
	ds_read2_b32 v[90:91], v89 offset0:32 offset1:48
	ds_read2_b32 v[92:93], v89 offset0:64 offset1:80
	;; [unrolled: 1-line block ×3, first 2 shown]
	s_movk_i32 s8, 0x7fff
	s_waitcnt lgkmcnt(3)
	v_max3_f32 v83, v86, s33, v87
	s_waitcnt lgkmcnt(2)
	v_max3_f32 v83, v83, v90, v91
	v_sub_f32_e32 v86, v86, v83
	v_mul_f32_e32 v86, 0x3fb8aa3b, v86
	v_exp_f32_e32 v1, v86
	v_sub_f32_e32 v86, v87, v83
	v_mul_f32_e32 v86, 0x3fb8aa3b, v86
	v_exp_f32_e32 v87, v86
	;; [unrolled: 3-line block ×4, first 2 shown]
	s_waitcnt lgkmcnt(1)
	v_fma_f32 v86, v1, v92, 0
	v_fmac_f32_e32 v86, v87, v93
	s_waitcnt lgkmcnt(0)
	v_fmac_f32_e32 v86, v90, v94
	v_fmac_f32_e32 v86, v89, v95
	v_add_f32_e32 v91, 0x358637bd, v86
	v_div_scale_f32 v92, s[4:5], v91, v91, 1.0
	v_rcp_f32_e32 v93, v92
	s_mov_b32 s9, 0x7060302
	s_mul_i32 s7, s7, 11
	v_fma_f32 v94, -v92, v93, 1.0
	v_fmac_f32_e32 v93, v94, v93
	v_div_scale_f32 v94, vcc, 1.0, v91, 1.0
	v_mul_f32_e32 v95, v94, v93
	v_fma_f32 v88, -v92, v95, v94
	v_fmac_f32_e32 v95, v88, v93
	v_fma_f32 v88, -v92, v95, v94
	v_div_fmas_f32 v88, v88, v93, v95
	v_cmp_eq_u32_e32 vcc, 1, v85
	v_div_fixup_f32 v88, v88, v91, 1.0
	s_barrier
	v_cndmask_b32_e32 v1, v1, v87, vcc
	v_cmp_eq_u32_e32 vcc, 2, v85
	s_nop 1
	v_cndmask_b32_e32 v1, v1, v90, vcc
	v_cmp_eq_u32_e32 vcc, 3, v85
	s_nop 1
	v_cndmask_b32_e32 v1, v1, v89, vcc
	v_mul_f32_e32 v90, v1, v88
	v_pk_mul_f32 v[80:81], v[90:91], v[80:81] op_sel_hi:[0,1]
	v_bfe_u32 v1, v81, 16, 1
	v_bfe_u32 v87, v80, 16, 1
	v_pk_mul_f32 v[78:79], v[90:91], v[78:79] op_sel_hi:[0,1]
	v_add3_u32 v80, v80, v87, s8
	v_add3_u32 v1, v81, v1, s8
	v_perm_b32 v80, v1, v80, s9
	v_bfe_u32 v1, v79, 16, 1
	v_bfe_u32 v81, v78, 16, 1
	v_add3_u32 v78, v78, v81, s8
	v_add3_u32 v1, v79, v1, s8
	v_bfe_u32 v87, v0, 4, 2
	v_perm_b32 v81, v1, v78, s9
	v_lshlrev_b32_e32 v1, 3, v87
	v_lshlrev_b32_e32 v79, 5, v84
	;; [unrolled: 1-line block ×3, first 2 shown]
	v_pk_mul_f32 v[76:77], v[90:91], v[76:77] op_sel_hi:[0,1]
	v_or3_b32 v78, v78, v79, v1
	v_bfe_u32 v1, v77, 16, 1
	v_bfe_u32 v85, v76, 16, 1
	v_pk_mul_f32 v[74:75], v[90:91], v[74:75] op_sel_hi:[0,1]
	v_add3_u32 v76, v76, v85, s8
	v_add3_u32 v1, v77, v1, s8
	v_perm_b32 v76, v1, v76, s9
	v_bfe_u32 v1, v75, 16, 1
	v_bfe_u32 v77, v74, 16, 1
	v_add3_u32 v74, v74, v77, s8
	v_add3_u32 v1, v75, v1, s8
	v_pk_mul_f32 v[72:73], v[90:91], v[72:73] op_sel_hi:[0,1]
	v_perm_b32 v77, v1, v74, s9
	v_bfe_u32 v1, v73, 16, 1
	v_bfe_u32 v74, v72, 16, 1
	v_pk_mul_f32 v[70:71], v[90:91], v[70:71] op_sel_hi:[0,1]
	v_add3_u32 v72, v72, v74, s8
	v_add3_u32 v1, v73, v1, s8
	v_perm_b32 v72, v1, v72, s9
	v_bfe_u32 v1, v71, 16, 1
	v_bfe_u32 v73, v70, 16, 1
	v_add3_u32 v70, v70, v73, s8
	v_add3_u32 v1, v71, v1, s8
	v_pk_mul_f32 v[68:69], v[90:91], v[68:69] op_sel_hi:[0,1]
	v_perm_b32 v73, v1, v70, s9
	v_bfe_u32 v1, v69, 16, 1
	v_bfe_u32 v70, v68, 16, 1
	v_pk_mul_f32 v[66:67], v[90:91], v[66:67] op_sel_hi:[0,1]
	v_add3_u32 v68, v68, v70, s8
	v_add3_u32 v1, v69, v1, s8
	v_perm_b32 v68, v1, v68, s9
	v_bfe_u32 v1, v67, 16, 1
	v_bfe_u32 v69, v66, 16, 1
	v_add3_u32 v66, v66, v69, s8
	v_add3_u32 v1, v67, v1, s8
	v_perm_b32 v69, v1, v66, s9
	v_cmp_gt_u32_e32 vcc, 11, v0
	ds_write2st64_b64 v78, v[80:81], v[76:77] offset1:1
	ds_write2st64_b64 v78, v[72:73], v[68:69] offset0:2 offset1:3
	s_and_saveexec_b64 s[4:5], vcc
	s_cbranch_execz .LBB586_17
; %bb.16:
	s_mov_b32 s41, 0
	v_mov_b32_e32 v85, 0
	v_lshl_add_u64 v[66:67], s[40:41], 0, v[84:85]
	v_mov_b32_e32 v1, s7
	v_mad_u64_u32 v[66:67], s[10:11], s2, v1, v[66:67]
	s_mul_i32 s3, s3, s7
	v_mov_b32_e32 v68, s26
	v_mov_b32_e32 v69, v85
	s_load_dwordx4 s[12:15], s[0:1], 0x58
	v_add_u32_e32 v1, s3, v67
	v_mad_u64_u32 v[66:67], s[10:11], v66, s6, v[68:69]
	v_mov_b32_e32 v68, v67
	v_mad_u64_u32 v[68:69], s[10:11], v1, s6, v[68:69]
	v_mov_b32_e32 v67, v68
	v_lshlrev_b64 v[66:67], 2, v[66:67]
	s_waitcnt lgkmcnt(0)
	v_lshl_add_u64 v[68:69], s[14:15], 0, v[66:67]
	v_lshl_add_u64 v[66:67], s[12:13], 0, v[66:67]
	global_store_dword v[68:69], v83, off
	global_store_dword v[66:67], v86, off
.LBB586_17:
	s_or_b64 exec, exec, s[4:5]
	v_lshl_or_b32 v1, v87, 9, v79
	s_waitcnt lgkmcnt(0)
	s_barrier
	ds_read_b128 v[70:73], v1
	ds_read_b128 v[66:69], v1 offset:16
	s_waitcnt vmcnt(15) lgkmcnt(1)
	v_mfma_f32_16x16x16_bf16 v[74:77], v[30:31], v[70:71], 0
	s_mov_b32 s3, 0
	v_cmp_gt_u32_e32 vcc, 64, v0
	v_mfma_f32_16x16x16_bf16 v[30:33], v[32:33], v[72:73], v[74:77]
	s_waitcnt vmcnt(14) lgkmcnt(0)
	v_mfma_f32_16x16x16_bf16 v[30:33], v[26:27], v[66:67], v[30:33]
	v_mfma_f32_16x16x16_bf16 v[26:29], v[28:29], v[68:69], v[30:33]
	s_nop 5
	ds_read_b128 v[30:33], v1 offset:2048
	ds_read_b128 v[74:77], v1 offset:2064
	s_waitcnt vmcnt(13) lgkmcnt(1)
	v_mfma_f32_16x16x16_bf16 v[26:29], v[22:23], v[30:31], v[26:29]
	v_mfma_f32_16x16x16_bf16 v[22:25], v[24:25], v[32:33], v[26:29]
	s_waitcnt vmcnt(12) lgkmcnt(0)
	v_mfma_f32_16x16x16_bf16 v[22:25], v[18:19], v[74:75], v[22:25]
	v_mfma_f32_16x16x16_bf16 v[18:21], v[20:21], v[76:77], v[22:25]
	s_nop 5
	ds_read_b128 v[22:25], v1 offset:4096
	ds_read_b128 v[26:29], v1 offset:4112
	s_waitcnt vmcnt(11) lgkmcnt(1)
	v_mfma_f32_16x16x16_bf16 v[18:21], v[14:15], v[22:23], v[18:21]
	v_mfma_f32_16x16x16_bf16 v[14:17], v[16:17], v[24:25], v[18:21]
	s_waitcnt vmcnt(10) lgkmcnt(0)
	v_mfma_f32_16x16x16_bf16 v[14:17], v[10:11], v[26:27], v[14:17]
	v_mfma_f32_16x16x16_bf16 v[10:13], v[12:13], v[28:29], v[14:17]
	s_nop 5
	ds_read_b128 v[14:17], v1 offset:6144
	ds_read_b128 v[18:21], v1 offset:6160
	s_waitcnt lgkmcnt(0)
	s_barrier
	s_waitcnt vmcnt(9)
	v_mfma_f32_16x16x16_bf16 v[10:13], v[6:7], v[14:15], v[10:13]
	v_mfma_f32_16x16x16_bf16 v[6:9], v[8:9], v[16:17], v[10:13]
	s_waitcnt vmcnt(8)
	v_mfma_f32_16x16x16_bf16 v[6:9], v[2:3], v[18:19], v[6:9]
	v_mfma_f32_16x16x16_bf16 v[2:5], v[4:5], v[20:21], v[6:9]
	;; [unrolled: 3-line block ×3, first 2 shown]
	s_nop 3
	v_bfe_u32 v1, v3, 16, 1
	v_bfe_u32 v10, v2, 16, 1
	v_add3_u32 v2, v2, v10, s8
	s_waitcnt vmcnt(6)
	v_mfma_f32_16x16x16_bf16 v[6:9], v[38:39], v[66:67], v[6:9]
	v_add3_u32 v1, v3, v1, s8
	v_perm_b32 v10, v1, v2, s9
	v_bfe_u32 v1, v5, 16, 1
	v_mfma_f32_16x16x16_bf16 v[6:9], v[40:41], v[68:69], v[6:9]
	v_bfe_u32 v2, v4, 16, 1
	v_add3_u32 v2, v4, v2, s8
	v_add3_u32 v1, v5, v1, s8
	s_waitcnt vmcnt(5)
	v_mfma_f32_16x16x16_bf16 v[6:9], v[42:43], v[30:31], v[6:9]
	v_perm_b32 v11, v1, v2, s9
	v_mfma_f32_16x16x16_bf16 v[6:9], v[44:45], v[32:33], v[6:9]
	s_waitcnt vmcnt(4)
	v_mfma_f32_16x16x16_bf16 v[6:9], v[34:35], v[74:75], v[6:9]
	v_mfma_f32_16x16x16_bf16 v[6:9], v[36:37], v[76:77], v[6:9]
	s_waitcnt vmcnt(3)
	v_mfma_f32_16x16x16_bf16 v[6:9], v[58:59], v[22:23], v[6:9]
	;; [unrolled: 3-line block ×5, first 2 shown]
	v_mfma_f32_16x16x16_bf16 v[2:5], v[52:53], v[20:21], v[6:9]
	s_nop 6
	v_bfe_u32 v1, v3, 16, 1
	v_bfe_u32 v6, v2, 16, 1
	v_add3_u32 v2, v2, v6, s8
	v_add3_u32 v1, v3, v1, s8
	v_perm_b32 v2, v1, v2, s9
	v_bfe_u32 v1, v5, 16, 1
	v_bfe_u32 v3, v4, 16, 1
	v_add3_u32 v3, v4, v3, s8
	v_add3_u32 v1, v5, v1, s8
	v_perm_b32 v3, v1, v3, s9
	ds_write2st64_b64 v78, v[10:11], v[2:3] offset1:1
	s_waitcnt lgkmcnt(0)
	s_barrier
	s_and_saveexec_b64 s[4:5], vcc
	s_cbranch_execz .LBB586_20
; %bb.18:
	s_load_dwordx2 s[4:5], s[0:1], 0x68
	s_lshl_b32 s0, s6, 7
	s_mul_i32 s1, s7, s2
	v_lshlrev_b32_e32 v3, 6, v84
	s_mul_hi_u32 s7, s1, s0
	s_mul_i32 s6, s1, s0
	v_lshlrev_b32_e32 v2, 4, v0
	v_lshl_or_b32 v0, v0, 10, v3
	s_lshl_b64 s[6:7], s[6:7], 1
	v_lshlrev_b32_e32 v1, 5, v87
	v_and_b32_e32 v2, 16, v2
	v_and_b32_e32 v0, 0x1a00, v0
	s_waitcnt lgkmcnt(0)
	s_add_u32 s1, s4, s6
	v_or3_b32 v2, v0, v1, v2
	s_addc_u32 s4, s5, s7
	s_lshl_b32 s2, s26, 7
	s_lshl_b64 s[2:3], s[2:3], 1
	ds_read_b128 v[4:7], v2 offset:128
	ds_read_b128 v[8:11], v2
	s_add_u32 s2, s1, s2
	s_addc_u32 s3, s4, s3
	v_mov_b32_e32 v83, 0
	v_add_u32_e32 v3, s40, v87
	v_lshl_add_u64 v[0:1], s[2:3], 0, v[82:83]
	v_mad_u64_u32 v[12:13], s[2:3], v3, s0, 0
	v_lshl_add_u64 v[12:13], v[12:13], 1, v[0:1]
	v_add_u32_e32 v3, 4, v3
	s_waitcnt lgkmcnt(0)
	global_store_dwordx4 v[12:13], v[8:11], off
	v_cmp_ne_u32_e32 vcc, 3, v87
	s_nop 0
	v_mad_u64_u32 v[8:9], s[2:3], v3, s0, 0
	v_lshl_add_u64 v[8:9], v[8:9], 1, v[0:1]
	global_store_dwordx4 v[8:9], v[4:7], off
	s_and_b64 exec, exec, vcc
	s_cbranch_execz .LBB586_20
; %bb.19:
	ds_read_b128 v[2:5], v2 offset:256
	v_add3_u32 v6, s40, v87, 8
	v_mad_u64_u32 v[6:7], s[0:1], v6, s0, 0
	v_lshl_add_u64 v[0:1], v[6:7], 1, v[0:1]
	s_waitcnt lgkmcnt(0)
	global_store_dwordx4 v[0:1], v[2:5], off
.LBB586_20:
	s_endpgm
	.section	.rodata,"a",@progbits
	.p2align	6, 0x0
	.amdhsa_kernel _Z39paged_attention_ll4mi_QKV_mfma16_kernelI14__hip_bfloat16S0_LN4vllm18Fp8KVCacheDataTypeE0EhLi16ELi128ELi256ELb1ELi11EEvPKT_PKT0_S8_ifPKiSA_SA_iPKfiiiPfSD_PS3_PT2_iSC_SC_
		.amdhsa_group_segment_fixed_size 8192
		.amdhsa_private_segment_fixed_size 0
		.amdhsa_kernarg_size 400
		.amdhsa_user_sgpr_count 2
		.amdhsa_user_sgpr_dispatch_ptr 0
		.amdhsa_user_sgpr_queue_ptr 0
		.amdhsa_user_sgpr_kernarg_segment_ptr 1
		.amdhsa_user_sgpr_dispatch_id 0
		.amdhsa_user_sgpr_kernarg_preload_length 0
		.amdhsa_user_sgpr_kernarg_preload_offset 0
		.amdhsa_user_sgpr_private_segment_size 0
		.amdhsa_uses_dynamic_stack 0
		.amdhsa_enable_private_segment 0
		.amdhsa_system_sgpr_workgroup_id_x 1
		.amdhsa_system_sgpr_workgroup_id_y 1
		.amdhsa_system_sgpr_workgroup_id_z 1
		.amdhsa_system_sgpr_workgroup_info 0
		.amdhsa_system_vgpr_workitem_id 0
		.amdhsa_next_free_vgpr 96
		.amdhsa_next_free_sgpr 42
		.amdhsa_accum_offset 96
		.amdhsa_reserve_vcc 1
		.amdhsa_float_round_mode_32 0
		.amdhsa_float_round_mode_16_64 0
		.amdhsa_float_denorm_mode_32 3
		.amdhsa_float_denorm_mode_16_64 3
		.amdhsa_dx10_clamp 1
		.amdhsa_ieee_mode 1
		.amdhsa_fp16_overflow 0
		.amdhsa_tg_split 0
		.amdhsa_exception_fp_ieee_invalid_op 0
		.amdhsa_exception_fp_denorm_src 0
		.amdhsa_exception_fp_ieee_div_zero 0
		.amdhsa_exception_fp_ieee_overflow 0
		.amdhsa_exception_fp_ieee_underflow 0
		.amdhsa_exception_fp_ieee_inexact 0
		.amdhsa_exception_int_div_zero 0
	.end_amdhsa_kernel
	.section	.text._Z39paged_attention_ll4mi_QKV_mfma16_kernelI14__hip_bfloat16S0_LN4vllm18Fp8KVCacheDataTypeE0EhLi16ELi128ELi256ELb1ELi11EEvPKT_PKT0_S8_ifPKiSA_SA_iPKfiiiPfSD_PS3_PT2_iSC_SC_,"axG",@progbits,_Z39paged_attention_ll4mi_QKV_mfma16_kernelI14__hip_bfloat16S0_LN4vllm18Fp8KVCacheDataTypeE0EhLi16ELi128ELi256ELb1ELi11EEvPKT_PKT0_S8_ifPKiSA_SA_iPKfiiiPfSD_PS3_PT2_iSC_SC_,comdat
.Lfunc_end586:
	.size	_Z39paged_attention_ll4mi_QKV_mfma16_kernelI14__hip_bfloat16S0_LN4vllm18Fp8KVCacheDataTypeE0EhLi16ELi128ELi256ELb1ELi11EEvPKT_PKT0_S8_ifPKiSA_SA_iPKfiiiPfSD_PS3_PT2_iSC_SC_, .Lfunc_end586-_Z39paged_attention_ll4mi_QKV_mfma16_kernelI14__hip_bfloat16S0_LN4vllm18Fp8KVCacheDataTypeE0EhLi16ELi128ELi256ELb1ELi11EEvPKT_PKT0_S8_ifPKiSA_SA_iPKfiiiPfSD_PS3_PT2_iSC_SC_
                                        ; -- End function
	.section	.AMDGPU.csdata,"",@progbits
; Kernel info:
; codeLenInByte = 5004
; NumSgprs: 48
; NumVgprs: 96
; NumAgprs: 0
; TotalNumVgprs: 96
; ScratchSize: 0
; MemoryBound: 0
; FloatMode: 240
; IeeeMode: 1
; LDSByteSize: 8192 bytes/workgroup (compile time only)
; SGPRBlocks: 5
; VGPRBlocks: 11
; NumSGPRsForWavesPerEU: 48
; NumVGPRsForWavesPerEU: 96
; AccumOffset: 96
; Occupancy: 5
; WaveLimiterHint : 1
; COMPUTE_PGM_RSRC2:SCRATCH_EN: 0
; COMPUTE_PGM_RSRC2:USER_SGPR: 2
; COMPUTE_PGM_RSRC2:TRAP_HANDLER: 0
; COMPUTE_PGM_RSRC2:TGID_X_EN: 1
; COMPUTE_PGM_RSRC2:TGID_Y_EN: 1
; COMPUTE_PGM_RSRC2:TGID_Z_EN: 1
; COMPUTE_PGM_RSRC2:TIDIG_COMP_CNT: 0
; COMPUTE_PGM_RSRC3_GFX90A:ACCUM_OFFSET: 23
; COMPUTE_PGM_RSRC3_GFX90A:TG_SPLIT: 0
	.section	.text._Z39paged_attention_ll4mi_QKV_mfma16_kernelI14__hip_bfloat16S0_LN4vllm18Fp8KVCacheDataTypeE0EhLi16ELi128ELi256ELb1ELi12EEvPKT_PKT0_S8_ifPKiSA_SA_iPKfiiiPfSD_PS3_PT2_iSC_SC_,"axG",@progbits,_Z39paged_attention_ll4mi_QKV_mfma16_kernelI14__hip_bfloat16S0_LN4vllm18Fp8KVCacheDataTypeE0EhLi16ELi128ELi256ELb1ELi12EEvPKT_PKT0_S8_ifPKiSA_SA_iPKfiiiPfSD_PS3_PT2_iSC_SC_,comdat
	.protected	_Z39paged_attention_ll4mi_QKV_mfma16_kernelI14__hip_bfloat16S0_LN4vllm18Fp8KVCacheDataTypeE0EhLi16ELi128ELi256ELb1ELi12EEvPKT_PKT0_S8_ifPKiSA_SA_iPKfiiiPfSD_PS3_PT2_iSC_SC_ ; -- Begin function _Z39paged_attention_ll4mi_QKV_mfma16_kernelI14__hip_bfloat16S0_LN4vllm18Fp8KVCacheDataTypeE0EhLi16ELi128ELi256ELb1ELi12EEvPKT_PKT0_S8_ifPKiSA_SA_iPKfiiiPfSD_PS3_PT2_iSC_SC_
	.globl	_Z39paged_attention_ll4mi_QKV_mfma16_kernelI14__hip_bfloat16S0_LN4vllm18Fp8KVCacheDataTypeE0EhLi16ELi128ELi256ELb1ELi12EEvPKT_PKT0_S8_ifPKiSA_SA_iPKfiiiPfSD_PS3_PT2_iSC_SC_
	.p2align	8
	.type	_Z39paged_attention_ll4mi_QKV_mfma16_kernelI14__hip_bfloat16S0_LN4vllm18Fp8KVCacheDataTypeE0EhLi16ELi128ELi256ELb1ELi12EEvPKT_PKT0_S8_ifPKiSA_SA_iPKfiiiPfSD_PS3_PT2_iSC_SC_,@function
_Z39paged_attention_ll4mi_QKV_mfma16_kernelI14__hip_bfloat16S0_LN4vllm18Fp8KVCacheDataTypeE0EhLi16ELi128ELi256ELb1ELi12EEvPKT_PKT0_S8_ifPKiSA_SA_iPKfiiiPfSD_PS3_PT2_iSC_SC_: ; @_Z39paged_attention_ll4mi_QKV_mfma16_kernelI14__hip_bfloat16S0_LN4vllm18Fp8KVCacheDataTypeE0EhLi16ELi128ELi256ELb1ELi12EEvPKT_PKT0_S8_ifPKiSA_SA_iPKfiiiPfSD_PS3_PT2_iSC_SC_
; %bb.0:
	s_load_dwordx2 s[8:9], s[0:1], 0x30
	s_mov_b32 s26, s3
	s_mov_b64 s[6:7], 0
	s_waitcnt lgkmcnt(0)
	s_cmp_lg_u64 s[8:9], 0
	s_cselect_b64 s[10:11], -1, 0
	s_and_b64 vcc, exec, s[10:11]
	s_cbranch_vccz .LBB587_7
; %bb.1:
	s_add_i32 s12, s2, 1
	s_mov_b32 s13, 0
	s_lshl_b64 s[14:15], s[12:13], 2
	s_add_u32 s14, s8, s14
	s_mov_b32 s3, s13
	s_addc_u32 s15, s9, s15
	s_lshl_b64 s[12:13], s[2:3], 2
	s_add_u32 s12, s8, s12
	s_addc_u32 s13, s9, s13
	s_load_dword s5, s[14:15], 0x0
	s_load_dword s16, s[12:13], 0x0
	s_waitcnt lgkmcnt(0)
	s_sub_i32 s5, s5, s16
	s_cmp_eq_u32 s5, 1
	s_cselect_b64 s[12:13], -1, 0
	s_andn2_b64 vcc, exec, s[6:7]
	s_cbranch_vccnz .LBB587_3
.LBB587_2:
	s_mov_b32 s3, 0
	s_mov_b64 s[12:13], -1
.LBB587_3:
	s_andn2_b64 vcc, exec, s[12:13]
	s_cbranch_vccnz .LBB587_19
; %bb.4:
	s_load_dwordx2 s[6:7], s[0:1], 0x28
	s_lshl_b64 s[12:13], s[2:3], 2
	s_waitcnt lgkmcnt(0)
	s_add_u32 s6, s6, s12
	s_addc_u32 s7, s7, s13
	s_load_dword s27, s[6:7], 0x0
	s_lshl_b32 s18, s26, 8
	s_waitcnt lgkmcnt(0)
	s_cmp_ge_i32 s18, s27
	s_cbranch_scc1 .LBB587_19
; %bb.5:
	s_load_dwordx2 s[6:7], s[0:1], 0x20
	s_load_dword s5, s[0:1], 0x38
	s_add_i32 s14, s27, 15
	s_ashr_i32 s15, s14, 31
	v_and_b32_e32 v1, 0xcf, v0
	s_lshr_b32 s15, s15, 28
	v_add_u32_e32 v1, s18, v1
	s_add_i32 s14, s14, s15
	v_ashrrev_i32_e32 v2, 31, v1
	s_ashr_i32 s19, s14, 4
	v_lshrrev_b32_e32 v4, 28, v2
	s_add_i32 s19, s19, -1
	s_waitcnt lgkmcnt(0)
	s_mul_i32 s14, s2, s5
	s_mov_b32 s15, 0
	v_add_u32_e32 v2, v1, v4
	s_lshl_b64 s[14:15], s[14:15], 2
	v_ashrrev_i32_e32 v2, 4, v2
	v_mov_b32_e32 v5, s19
	v_cmp_gt_i32_e32 vcc, s27, v1
	s_add_u32 s6, s6, s14
	s_addc_u32 s7, s7, s15
	v_cndmask_b32_e32 v2, v5, v2, vcc
	v_ashrrev_i32_e32 v3, 31, v2
	v_lshl_add_u64 v[6:7], v[2:3], 2, s[6:7]
	v_or_b32_e32 v2, 16, v1
	v_add_u32_e32 v3, v2, v4
	v_ashrrev_i32_e32 v3, 4, v3
	v_cmp_gt_i32_e32 vcc, s27, v2
	s_load_dwordx2 s[14:15], s[0:1], 0x8
	s_nop 0
	v_cndmask_b32_e32 v2, v5, v3, vcc
	v_ashrrev_i32_e32 v3, 31, v2
	v_lshl_add_u64 v[8:9], v[2:3], 2, s[6:7]
	v_or_b32_e32 v2, 32, v1
	v_add_u32_e32 v3, v2, v4
	v_ashrrev_i32_e32 v3, 4, v3
	v_cmp_gt_i32_e32 vcc, s27, v2
	v_or_b32_e32 v1, 48, v1
	s_nop 0
	v_cndmask_b32_e32 v2, v5, v3, vcc
	v_ashrrev_i32_e32 v3, 31, v2
	v_lshl_add_u64 v[10:11], v[2:3], 2, s[6:7]
	v_add_u32_e32 v2, v1, v4
	v_ashrrev_i32_e32 v2, 4, v2
	v_cmp_gt_i32_e32 vcc, s27, v1
	s_nop 1
	v_cndmask_b32_e32 v2, v5, v2, vcc
	v_ashrrev_i32_e32 v3, 31, v2
	v_lshl_add_u64 v[12:13], v[2:3], 2, s[6:7]
	global_load_dword v5, v[6:7], off
	global_load_dword v4, v[8:9], off
	;; [unrolled: 1-line block ×4, first 2 shown]
	s_andn2_b64 vcc, exec, s[10:11]
	s_cbranch_vccnz .LBB587_8
; %bb.6:
	s_add_u32 s8, s8, s12
	s_addc_u32 s9, s9, s13
	s_load_dword s5, s[8:9], 0x0
	s_branch .LBB587_9
.LBB587_7:
	s_mov_b64 s[12:13], 0
	s_branch .LBB587_2
.LBB587_8:
	s_mov_b32 s5, s2
.LBB587_9:
	s_load_dwordx2 s[12:13], s[0:1], 0x10
	s_load_dwordx4 s[8:11], s[0:1], 0x48
	v_and_b32_e32 v84, 15, v0
	v_lshlrev_b32_e32 v6, 3, v84
	s_waitcnt lgkmcnt(0)
	s_movk_i32 s11, 0xc0
	v_lshrrev_b32_e32 v85, 6, v0
	v_bfe_u32 v1, v0, 4, 2
	s_mul_i32 s40, s4, 12
	v_cmp_gt_u32_e32 vcc, s11, v0
	v_lshlrev_b32_e32 v82, 1, v6
	s_and_saveexec_b64 s[16:17], vcc
	s_cbranch_execz .LBB587_11
; %bb.10:
	s_load_dwordx2 s[20:21], s[0:1], 0x0
	s_ashr_i32 s11, s8, 31
	s_mul_hi_u32 s22, s5, s8
	s_mul_i32 s11, s5, s11
	s_add_i32 s23, s22, s11
	s_mul_i32 s22, s5, s8
	v_lshl_or_b32 v10, v85, 2, v1
	s_lshl_b64 s[22:23], s[22:23], 1
	s_waitcnt lgkmcnt(0)
	s_add_u32 s20, s20, s22
	v_add_lshl_u32 v6, v10, s40, 7
	s_addc_u32 s21, s21, s23
	v_ashrrev_i32_e32 v7, 31, v6
	v_lshl_add_u64 v[6:7], v[6:7], 1, s[20:21]
	v_mov_b32_e32 v83, 0
	v_lshl_add_u64 v[6:7], v[6:7], 0, v[82:83]
	global_load_dwordx4 v[6:9], v[6:7], off
	v_and_b32_e32 v11, 3, v0
	v_lshlrev_b32_e32 v12, 9, v84
	v_lshlrev_b32_e32 v10, 5, v10
	;; [unrolled: 1-line block ×3, first 2 shown]
	v_and_b32_e32 v12, 0x1800, v12
	v_or3_b32 v10, v12, v11, v10
	s_waitcnt vmcnt(0)
	ds_write_b128 v10, v[6:9]
.LBB587_11:
	s_or_b64 exec, exec, s[16:17]
	s_mul_i32 s4, s4, s10
	s_mov_b32 s5, 0
	s_lshl_b64 s[4:5], s[4:5], 1
	s_add_u32 s10, s14, s4
	v_lshlrev_b32_e32 v10, 4, v0
	s_addc_u32 s11, s15, s5
	v_and_b32_e32 v86, 0xf0, v10
	v_mov_b32_e32 v87, 0
	v_lshl_add_u64 v[6:7], s[10:11], 0, v[86:87]
	s_waitcnt vmcnt(3)
	v_mad_i64_i32 v[8:9], s[10:11], v5, s9, 0
	s_waitcnt vmcnt(2)
	v_mad_i64_i32 v[4:5], s[10:11], v4, s9, 0
	v_lshl_add_u64 v[8:9], v[8:9], 1, v[6:7]
	v_and_b32_e32 v86, 0x300, v10
	v_lshl_add_u64 v[4:5], v[4:5], 1, v[6:7]
	v_lshl_add_u64 v[8:9], v[8:9], 0, v[86:87]
	v_lshl_add_u64 v[4:5], v[4:5], 0, v[86:87]
	s_waitcnt lgkmcnt(0)
	s_barrier
	global_load_dwordx4 v[78:81], v[8:9], off
	global_load_dwordx4 v[74:77], v[8:9], off offset:1024
	global_load_dwordx4 v[70:73], v[8:9], off offset:2048
	;; [unrolled: 1-line block ×3, first 2 shown]
	global_load_dwordx4 v[66:69], v[4:5], off
	global_load_dwordx4 v[62:65], v[4:5], off offset:1024
	global_load_dwordx4 v[58:61], v[4:5], off offset:2048
	global_load_dwordx4 v[14:17], v[4:5], off offset:3072
	s_waitcnt vmcnt(9)
	v_mad_i64_i32 v[4:5], s[10:11], v3, s9, 0
	s_waitcnt vmcnt(8)
	v_mad_i64_i32 v[2:3], s[10:11], v2, s9, 0
	v_lshl_add_u64 v[4:5], v[4:5], 1, v[6:7]
	v_lshl_add_u64 v[2:3], v[2:3], 1, v[6:7]
	;; [unrolled: 1-line block ×4, first 2 shown]
	global_load_dwordx4 v[30:33], v[4:5], off
	global_load_dwordx4 v[26:29], v[4:5], off offset:1024
	global_load_dwordx4 v[22:25], v[4:5], off offset:2048
	;; [unrolled: 1-line block ×3, first 2 shown]
	global_load_dwordx4 v[6:9], v[34:35], off
	s_nop 0
	global_load_dwordx4 v[2:5], v[34:35], off offset:1024
	global_load_dwordx4 v[38:41], v[34:35], off offset:2048
	s_nop 0
	global_load_dwordx4 v[34:37], v[34:35], off offset:3072
	v_add_u32_e32 v42, -12, v84
	v_cmp_gt_u32_e32 vcc, 12, v84
	v_and_b32_e32 v88, 63, v0
	v_mov_b32_e32 v89, 0
	v_cndmask_b32_e32 v42, v42, v84, vcc
	v_lshlrev_b32_e32 v42, 5, v42
	v_lshl_add_u32 v42, v1, 9, v42
	ds_read_b128 v[54:57], v42
	ds_read_b128 v[50:53], v42 offset:2048
	ds_read_b128 v[46:49], v42 offset:4096
	;; [unrolled: 1-line block ×3, first 2 shown]
	s_and_saveexec_b64 s[10:11], vcc
	s_cbranch_execz .LBB587_13
; %bb.12:
	s_load_dwordx2 s[14:15], s[0:1], 0x40
	v_add_u32_e32 v90, s40, v84
	v_ashrrev_i32_e32 v91, 31, v90
	s_waitcnt lgkmcnt(0)
	v_lshl_add_u64 v[90:91], v[90:91], 2, s[14:15]
	global_load_dword v89, v[90:91], off
.LBB587_13:
	s_or_b64 exec, exec, s[10:11]
	s_waitcnt vmcnt(15) lgkmcnt(3)
	v_mfma_f32_16x16x16_bf16 v[90:93], v[78:79], v[54:55], 0
	s_add_u32 s4, s12, s4
	s_addc_u32 s5, s13, s5
	v_bfe_u32 v1, v0, 4, 2
	v_mfma_f32_16x16x16_bf16 v[78:81], v[80:81], v[56:57], v[90:93]
	s_mov_b32 s33, 0xff7fffff
	s_waitcnt vmcnt(14) lgkmcnt(2)
	v_mfma_f32_16x16x16_bf16 v[78:81], v[74:75], v[50:51], v[78:81]
	v_lshl_or_b32 v90, v85, 4, v84
	v_lshlrev_b32_e32 v86, 5, v90
	v_mfma_f32_16x16x16_bf16 v[74:77], v[76:77], v[52:53], v[78:81]
	s_waitcnt vmcnt(13) lgkmcnt(1)
	v_mfma_f32_16x16x16_bf16 v[74:77], v[70:71], v[46:47], v[74:77]
	v_mfma_f32_16x16x16_bf16 v[70:73], v[72:73], v[48:49], v[74:77]
	s_waitcnt vmcnt(11)
	v_mfma_f32_16x16x16_bf16 v[74:77], v[66:67], v[54:55], 0
	v_mfma_f32_16x16x16_bf16 v[66:69], v[68:69], v[56:57], v[74:77]
	s_nop 5
	v_and_or_b32 v74, v0, 48, s18
	s_waitcnt lgkmcnt(0)
	v_mfma_f32_16x16x16_bf16 v[70:73], v[10:11], v[42:43], v[70:73]
	v_ashrrev_i32_e32 v10, 4, v74
	v_mov_b32_e32 v75, s19
	v_cmp_gt_i32_e32 vcc, s27, v74
	s_waitcnt vmcnt(10)
	v_mfma_f32_16x16x16_bf16 v[66:69], v[62:63], v[50:51], v[66:69]
	v_cndmask_b32_e32 v10, v75, v10, vcc
	v_ashrrev_i32_e32 v11, 31, v10
	v_lshl_add_u64 v[10:11], v[10:11], 2, s[6:7]
	global_load_dword v76, v[10:11], off
	v_mfma_f32_16x16x16_bf16 v[62:65], v[64:65], v[52:53], v[66:69]
	v_or_b32_e32 v10, 64, v74
	v_ashrrev_i32_e32 v11, 4, v10
	v_cmp_gt_i32_e32 vcc, s27, v10
	s_waitcnt vmcnt(10)
	v_mfma_f32_16x16x16_bf16 v[62:65], v[58:59], v[46:47], v[62:65]
	v_cndmask_b32_e32 v10, v75, v11, vcc
	v_ashrrev_i32_e32 v11, 31, v10
	v_lshl_add_u64 v[10:11], v[10:11], 2, s[6:7]
	global_load_dword v78, v[10:11], off
	v_or_b32_e32 v10, 0x80, v74
	v_mfma_f32_16x16x16_bf16 v[58:61], v[60:61], v[48:49], v[62:65]
	v_ashrrev_i32_e32 v11, 4, v10
	v_cmp_gt_i32_e32 vcc, s27, v10
	s_waitcnt vmcnt(9)
	v_mfma_f32_16x16x16_bf16 v[62:65], v[30:31], v[54:55], 0
	v_cndmask_b32_e32 v10, v75, v11, vcc
	v_ashrrev_i32_e32 v11, 31, v10
	v_lshl_add_u64 v[10:11], v[10:11], 2, s[6:7]
	v_mfma_f32_16x16x16_bf16 v[30:33], v[32:33], v[56:57], v[62:65]
	s_nop 2
	global_load_dword v62, v[10:11], off
	v_or_b32_e32 v10, 0xc0, v74
	v_ashrrev_i32_e32 v11, 4, v10
	v_cmp_gt_i32_e32 vcc, s27, v10
	s_waitcnt vmcnt(9)
	v_mfma_f32_16x16x16_bf16 v[30:33], v[26:27], v[50:51], v[30:33]
	v_cndmask_b32_e32 v10, v75, v11, vcc
	v_ashrrev_i32_e32 v11, 31, v10
	v_lshl_add_u64 v[10:11], v[10:11], 2, s[6:7]
	global_load_dword v63, v[10:11], off
	v_mfma_f32_16x16x16_bf16 v[26:29], v[28:29], v[52:53], v[30:33]
	s_load_dword s6, s[0:1], 0x1c
	s_waitcnt vmcnt(3)
	v_mad_i64_i32 v[10:11], s[10:11], v76, s9, 0
	v_mfma_f32_16x16x16_bf16 v[26:29], v[22:23], v[46:47], v[26:29]
	v_lshlrev_b64 v[76:77], 1, v[10:11]
	v_mfma_f32_16x16x16_bf16 v[64:67], v[12:13], v[44:45], v[70:73]
	v_mfma_f32_16x16x16_bf16 v[10:13], v[24:25], v[48:49], v[26:29]
	s_nop 1
	v_lshl_add_u64 v[72:73], s[4:5], 0, v[86:87]
	v_or_b32_e32 v86, 0x800, v86
	v_mfma_f32_16x16x16_bf16 v[30:33], v[14:15], v[42:43], v[58:61]
	v_lshl_add_u64 v[14:15], v[72:73], 0, v[76:77]
	v_mfma_f32_16x16x16_bf16 v[10:13], v[18:19], v[42:43], v[10:13]
	v_mfma_f32_16x16x16_bf16 v[68:71], v[16:17], v[44:45], v[30:33]
	s_nop 3
	global_load_dwordx4 v[30:33], v[14:15], off
	global_load_dwordx4 v[26:29], v[14:15], off offset:16
	s_waitcnt vmcnt(4)
	v_mad_i64_i32 v[14:15], s[10:11], v78, s9, 0
	v_lshlrev_b64 v[58:59], 1, v[14:15]
	v_mfma_f32_16x16x16_bf16 v[92:95], v[20:21], v[44:45], v[10:13]
	s_waitcnt lgkmcnt(0)
	v_pk_mul_f32 v[78:79], s[6:7], v[66:67] op_sel_hi:[0,1]
	s_nop 0
	v_lshl_add_u64 v[10:11], v[72:73], 0, v[58:59]
	global_load_dwordx4 v[22:25], v[10:11], off
	global_load_dwordx4 v[18:21], v[10:11], off offset:16
	v_mfma_f32_16x16x16_bf16 v[10:13], v[6:7], v[54:55], 0
	s_waitcnt vmcnt(5)
	v_mad_i64_i32 v[6:7], s[10:11], v62, s9, 0
	v_lshlrev_b64 v[54:55], 1, v[6:7]
	v_mfma_f32_16x16x16_bf16 v[6:9], v[8:9], v[56:57], v[10:13]
	v_mfma_f32_16x16x16_bf16 v[6:9], v[2:3], v[50:51], v[6:9]
	s_waitcnt vmcnt(4)
	v_mad_i64_i32 v[2:3], s[8:9], v63, s9, 0
	v_lshlrev_b64 v[50:51], 1, v[2:3]
	v_mfma_f32_16x16x16_bf16 v[60:63], v[4:5], v[52:53], v[6:9]
	v_lshl_add_u64 v[10:11], v[72:73], 0, v[54:55]
	v_lshl_add_u64 v[2:3], v[72:73], 0, v[50:51]
	v_pk_mul_f32 v[52:53], s[6:7], v[64:65] op_sel_hi:[0,1]
	v_mfma_f32_16x16x16_bf16 v[72:75], v[38:39], v[46:47], v[60:63]
	global_load_dwordx4 v[14:17], v[10:11], off
	s_nop 0
	global_load_dwordx4 v[10:13], v[10:11], off offset:16
	v_lshl_add_u64 v[62:63], s[4:5], 0, v[86:87]
	v_lshl_add_u64 v[38:39], v[62:63], 0, v[76:77]
	v_mfma_f32_16x16x16_bf16 v[46:49], v[40:41], v[48:49], v[72:75]
	v_pk_mul_f32 v[76:77], s[6:7], v[68:69] op_sel_hi:[0,1]
	v_lshl_add_u64 v[54:55], v[62:63], 0, v[54:55]
	v_lshl_add_u64 v[50:51], v[62:63], 0, v[50:51]
	v_mfma_f32_16x16x16_bf16 v[40:43], v[34:35], v[42:43], v[46:49]
	v_pk_mul_f32 v[74:75], s[6:7], v[70:71] op_sel_hi:[0,1]
	v_pk_mul_f32 v[70:71], s[6:7], v[94:95] op_sel_hi:[0,1]
	;; [unrolled: 1-line block ×3, first 2 shown]
	v_mfma_f32_16x16x16_bf16 v[34:37], v[36:37], v[44:45], v[40:43]
	global_load_dwordx4 v[6:9], v[2:3], off
	s_nop 0
	global_load_dwordx4 v[2:5], v[2:3], off offset:16
	s_nop 3
	v_pk_mul_f32 v[68:69], s[6:7], v[34:35] op_sel_hi:[0,1]
	v_and_b32_e32 v34, 0xc0, v0
	v_add_u32_e32 v34, s18, v34
	v_lshl_or_b32 v34, v1, 2, v34
	v_or_b32_e32 v35, 1, v34
	v_pk_mul_f32 v[66:67], s[6:7], v[36:37] op_sel_hi:[0,1]
	v_subrev_u32_e32 v36, s27, v35
	v_add_u32_e32 v40, 1, v36
	v_add_u32_e32 v41, 2, v36
	v_cvt_f32_i32_e32 v37, v36
	v_cvt_f32_i32_e32 v40, v40
	;; [unrolled: 1-line block ×3, first 2 shown]
	v_add_u32_e32 v42, 3, v36
	v_fma_f32 v52, v89, v37, v52
	v_fmac_f32_e32 v53, v89, v40
	v_fma_f32 v78, v89, v41, v78
	v_add_u32_e32 v37, 16, v36
	v_add_u32_e32 v40, 17, v36
	;; [unrolled: 1-line block ×3, first 2 shown]
	v_cvt_f32_i32_e32 v42, v42
	v_cvt_f32_i32_e32 v37, v37
	;; [unrolled: 1-line block ×4, first 2 shown]
	v_fmac_f32_e32 v79, v89, v42
	v_add_u32_e32 v42, 19, v36
	v_fma_f32 v76, v89, v37, v76
	v_fmac_f32_e32 v77, v89, v40
	v_fma_f32 v74, v89, v41, v74
	v_add_u32_e32 v37, 32, v36
	v_add_u32_e32 v40, 33, v36
	;; [unrolled: 1-line block ×3, first 2 shown]
	v_cvt_f32_i32_e32 v42, v42
	v_cvt_f32_i32_e32 v37, v37
	;; [unrolled: 1-line block ×4, first 2 shown]
	v_fmac_f32_e32 v75, v89, v42
	v_add_u32_e32 v42, 35, v36
	v_fma_f32 v72, v89, v37, v72
	v_fmac_f32_e32 v73, v89, v40
	v_fma_f32 v70, v89, v41, v70
	v_add_u32_e32 v37, 48, v36
	v_add_u32_e32 v40, 49, v36
	;; [unrolled: 1-line block ×4, first 2 shown]
	v_cvt_f32_i32_e32 v36, v36
	v_cvt_f32_i32_e32 v37, v37
	;; [unrolled: 1-line block ×3, first 2 shown]
	v_cmp_gt_i32_e64 s[28:29], s27, v34
	v_fmac_f32_e32 v67, v89, v36
	v_mov_b32_e32 v36, 0xff7fffff
	v_cmp_gt_i32_e64 s[30:31], s27, v35
	v_fma_f32 v68, v89, v37, v68
	v_cndmask_b32_e64 v37, v36, v52, s[28:29]
	v_cndmask_b32_e64 v35, v36, v53, s[30:31]
	v_fmac_f32_e32 v69, v89, v40
	v_max3_f32 v35, v37, s33, v35
	v_or_b32_e32 v37, 2, v34
	v_or_b32_e32 v40, 3, v34
	v_cmp_gt_i32_e64 s[34:35], s27, v37
	v_cmp_gt_i32_e64 s[36:37], s27, v40
	v_cvt_f32_i32_e32 v42, v42
	v_cndmask_b32_e64 v37, v36, v78, s[34:35]
	v_cndmask_b32_e64 v40, v36, v79, s[36:37]
	v_max3_f32 v35, v35, v37, v40
	v_or_b32_e32 v37, 16, v34
	v_or_b32_e32 v40, 17, v34
	v_cmp_gt_i32_e64 s[22:23], s27, v37
	v_cmp_gt_i32_e64 s[24:25], s27, v40
	v_fmac_f32_e32 v71, v89, v42
	v_cndmask_b32_e64 v37, v36, v76, s[22:23]
	v_cndmask_b32_e64 v40, v36, v77, s[24:25]
	v_max3_f32 v35, v35, v37, v40
	v_or_b32_e32 v37, 18, v34
	v_or_b32_e32 v40, 19, v34
	v_cmp_gt_i32_e64 s[18:19], s27, v37
	v_cmp_gt_i32_e64 s[20:21], s27, v40
	v_cvt_f32_i32_e32 v41, v41
	v_cndmask_b32_e64 v37, v36, v74, s[18:19]
	v_cndmask_b32_e64 v40, v36, v75, s[20:21]
	v_max3_f32 v35, v35, v37, v40
	v_or_b32_e32 v37, 32, v34
	v_or_b32_e32 v40, 33, v34
	v_cmp_gt_i32_e64 s[14:15], s27, v37
	v_cmp_gt_i32_e64 s[16:17], s27, v40
	v_fma_f32 v66, v89, v41, v66
	v_cndmask_b32_e64 v37, v36, v72, s[14:15]
	v_cndmask_b32_e64 v40, v36, v73, s[16:17]
	v_max3_f32 v35, v35, v37, v40
	v_or_b32_e32 v37, 34, v34
	v_or_b32_e32 v40, 35, v34
	v_cmp_gt_i32_e64 s[10:11], s27, v37
	v_cmp_gt_i32_e64 s[12:13], s27, v40
	s_nop 0
	v_cndmask_b32_e64 v37, v36, v70, s[10:11]
	v_cndmask_b32_e64 v40, v36, v71, s[12:13]
	v_max3_f32 v35, v35, v37, v40
	v_or_b32_e32 v37, 48, v34
	v_or_b32_e32 v40, 49, v34
	v_cmp_gt_i32_e64 s[6:7], s27, v37
	v_cmp_gt_i32_e64 s[8:9], s27, v40
	s_nop 0
	v_cndmask_b32_e64 v37, v36, v68, s[6:7]
	v_cndmask_b32_e64 v40, v36, v69, s[8:9]
	v_max3_f32 v35, v35, v37, v40
	v_or_b32_e32 v37, 50, v34
	v_or_b32_e32 v34, 51, v34
	v_cmp_gt_i32_e32 vcc, s27, v37
	v_cmp_gt_i32_e64 s[4:5], s27, v34
	global_load_dwordx4 v[46:49], v[38:39], off
	s_nop 0
	global_load_dwordx4 v[38:41], v[38:39], off offset:16
	v_cndmask_b32_e32 v37, v36, v66, vcc
	v_cndmask_b32_e64 v34, v36, v67, s[4:5]
	v_max3_f32 v56, v35, v37, v34
	v_mbcnt_lo_u32_b32 v34, -1, 0
	v_mbcnt_hi_u32_b32 v57, -1, v34
	v_and_b32_e32 v34, 64, v57
	v_add_u32_e32 v60, 64, v34
	v_xor_b32_e32 v34, 32, v57
	v_cmp_lt_i32_e64 s[38:39], v34, v60
	s_nop 1
	v_cndmask_b32_e64 v34, v57, v34, s[38:39]
	v_lshlrev_b32_e32 v87, 2, v34
	ds_bpermute_b32 v61, v87, v56
	v_lshl_add_u64 v[34:35], v[62:63], 0, v[58:59]
	global_load_dwordx4 v[42:45], v[34:35], off
	s_nop 0
	global_load_dwordx4 v[34:37], v[34:35], off offset:16
	s_waitcnt lgkmcnt(0)
	v_max_f32_e32 v58, v61, v61
	v_max_f32_e32 v64, v56, v58
	v_xor_b32_e32 v56, 16, v57
	v_cmp_lt_i32_e64 s[38:39], v56, v60
	s_nop 1
	v_cndmask_b32_e64 v56, v57, v56, s[38:39]
	v_lshlrev_b32_e32 v89, 2, v56
	ds_bpermute_b32 v65, v89, v64
	global_load_dwordx4 v[58:61], v[54:55], off
	s_nop 0
	global_load_dwordx4 v[54:57], v[54:55], off offset:16
	s_waitcnt lgkmcnt(0)
	v_max_f32_e32 v62, v65, v65
	v_max_f32_e32 v86, v64, v62
	v_sub_f32_e32 v52, v52, v86
	v_mul_f32_e32 v52, 0x3fb8aa3b, v52
	v_exp_f32_e32 v80, v52
	v_sub_f32_e32 v52, v53, v86
	v_mul_f32_e32 v52, 0x3fb8aa3b, v52
	v_exp_f32_e32 v81, v52
	global_load_dwordx4 v[62:65], v[50:51], off
	s_nop 0
	global_load_dwordx4 v[50:53], v[50:51], off offset:16
	v_sub_f32_e32 v78, v78, v86
	v_mul_f32_e32 v78, 0x3fb8aa3b, v78
	v_sub_f32_e32 v79, v79, v86
	v_exp_f32_e32 v78, v78
	v_mul_f32_e32 v79, 0x3fb8aa3b, v79
	v_sub_f32_e32 v76, v76, v86
	v_exp_f32_e32 v79, v79
	v_mul_f32_e32 v76, 0x3fb8aa3b, v76
	v_sub_f32_e32 v77, v77, v86
	v_cndmask_b32_e64 v80, 0, v80, s[28:29]
	v_exp_f32_e32 v76, v76
	v_mul_f32_e32 v77, 0x3fb8aa3b, v77
	v_sub_f32_e32 v74, v74, v86
	v_add_f32_e32 v91, 0, v80
	v_cndmask_b32_e64 v81, 0, v81, s[30:31]
	v_exp_f32_e32 v77, v77
	v_mul_f32_e32 v74, 0x3fb8aa3b, v74
	v_sub_f32_e32 v75, v75, v86
	v_add_f32_e32 v91, v91, v81
	;; [unrolled: 5-line block ×10, first 2 shown]
	v_cndmask_b32_e64 v70, 0, v70, s[10:11]
	v_exp_f32_e32 v66, v66
	v_mul_f32_e32 v67, 0x3fb8aa3b, v67
	v_add_f32_e32 v91, v91, v70
	v_cndmask_b32_e64 v71, 0, v71, s[12:13]
	v_exp_f32_e32 v67, v67
	v_add_f32_e32 v91, v91, v71
	v_cndmask_b32_e64 v68, 0, v68, s[6:7]
	v_add_f32_e32 v91, v91, v68
	v_cndmask_b32_e64 v69, 0, v69, s[8:9]
	v_add_f32_e32 v91, v91, v69
	v_cndmask_b32_e32 v66, 0, v66, vcc
	v_add_f32_e32 v91, v91, v66
	v_cndmask_b32_e64 v67, 0, v67, s[4:5]
	v_add_f32_e32 v91, v91, v67
	ds_bpermute_b32 v87, v87, v91
	s_load_dword s7, s[0:1], 0x98
	v_cmp_gt_u32_e32 vcc, 16, v88
	s_waitcnt lgkmcnt(0)
	s_barrier
	v_add_f32_e32 v87, v91, v87
	ds_bpermute_b32 v89, v89, v87
	s_waitcnt lgkmcnt(0)
	s_and_saveexec_b64 s[4:5], vcc
	s_cbranch_execz .LBB587_15
; %bb.14:
	v_add_f32_e32 v87, v87, v89
	v_lshlrev_b32_e32 v88, 2, v90
	ds_write2st64_b32 v88, v86, v87 offset1:1
.LBB587_15:
	s_or_b64 exec, exec, s[4:5]
	v_lshlrev_b32_e32 v87, 2, v84
	s_load_dword s6, s[0:1], 0x94
	s_waitcnt lgkmcnt(0)
	s_barrier
	ds_read2_b32 v[88:89], v87 offset1:16
	ds_read2_b32 v[90:91], v87 offset0:32 offset1:48
	ds_read2_b32 v[92:93], v87 offset0:64 offset1:80
	s_movk_i32 s8, 0x7fff
	s_mov_b32 s9, 0x7060302
	s_waitcnt lgkmcnt(2)
	v_max3_f32 v86, v88, s33, v89
	s_waitcnt lgkmcnt(1)
	v_max3_f32 v86, v86, v90, v91
	v_sub_f32_e32 v88, v88, v86
	v_mul_f32_e32 v88, 0x3fb8aa3b, v88
	v_exp_f32_e32 v94, v88
	v_sub_f32_e32 v88, v89, v86
	v_mul_f32_e32 v88, 0x3fb8aa3b, v88
	v_exp_f32_e32 v95, v88
	;; [unrolled: 3-line block ×3, first 2 shown]
	ds_read2_b32 v[88:89], v87 offset0:96 offset1:112
	v_sub_f32_e32 v87, v91, v86
	v_mul_f32_e32 v87, 0x3fb8aa3b, v87
	v_exp_f32_e32 v91, v87
	s_waitcnt lgkmcnt(1)
	v_fma_f32 v87, v94, v92, 0
	v_fmac_f32_e32 v87, v95, v93
	s_waitcnt lgkmcnt(0)
	v_fmac_f32_e32 v87, v90, v88
	v_fmac_f32_e32 v87, v91, v89
	v_add_f32_e32 v88, 0x358637bd, v87
	v_div_scale_f32 v89, s[4:5], v88, v88, 1.0
	v_rcp_f32_e32 v92, v89
	s_mul_i32 s7, s7, 12
	s_barrier
	v_fma_f32 v93, -v89, v92, 1.0
	v_fmac_f32_e32 v92, v93, v92
	v_div_scale_f32 v93, vcc, 1.0, v88, 1.0
	v_mul_f32_e32 v83, v93, v92
	v_fma_f32 v1, -v89, v83, v93
	v_fmac_f32_e32 v83, v1, v92
	v_fma_f32 v1, -v89, v83, v93
	v_div_fmas_f32 v1, v1, v92, v83
	v_cmp_eq_u32_e32 vcc, 1, v85
	v_div_fixup_f32 v1, v1, v88, 1.0
	s_nop 0
	v_cndmask_b32_e32 v83, v94, v95, vcc
	v_cmp_eq_u32_e32 vcc, 2, v85
	s_nop 1
	v_cndmask_b32_e32 v83, v83, v90, vcc
	v_cmp_eq_u32_e32 vcc, 3, v85
	s_nop 1
	v_cndmask_b32_e32 v83, v83, v91, vcc
	v_mul_f32_e32 v88, v83, v1
	v_pk_mul_f32 v[80:81], v[88:89], v[80:81] op_sel_hi:[0,1]
	v_bfe_u32 v1, v81, 16, 1
	v_bfe_u32 v83, v80, 16, 1
	v_pk_mul_f32 v[78:79], v[88:89], v[78:79] op_sel_hi:[0,1]
	v_add3_u32 v80, v80, v83, s8
	v_add3_u32 v1, v81, v1, s8
	v_perm_b32 v80, v1, v80, s9
	v_bfe_u32 v1, v79, 16, 1
	v_bfe_u32 v81, v78, 16, 1
	v_add3_u32 v78, v78, v81, s8
	v_add3_u32 v1, v79, v1, s8
	v_bfe_u32 v89, v0, 4, 2
	v_perm_b32 v81, v1, v78, s9
	v_lshlrev_b32_e32 v1, 3, v89
	v_lshlrev_b32_e32 v79, 5, v84
	;; [unrolled: 1-line block ×3, first 2 shown]
	v_pk_mul_f32 v[76:77], v[88:89], v[76:77] op_sel_hi:[0,1]
	v_or3_b32 v78, v78, v79, v1
	v_bfe_u32 v1, v77, 16, 1
	v_bfe_u32 v83, v76, 16, 1
	v_pk_mul_f32 v[74:75], v[88:89], v[74:75] op_sel_hi:[0,1]
	v_add3_u32 v76, v76, v83, s8
	v_add3_u32 v1, v77, v1, s8
	v_perm_b32 v76, v1, v76, s9
	v_bfe_u32 v1, v75, 16, 1
	v_bfe_u32 v77, v74, 16, 1
	v_add3_u32 v74, v74, v77, s8
	v_add3_u32 v1, v75, v1, s8
	v_pk_mul_f32 v[72:73], v[88:89], v[72:73] op_sel_hi:[0,1]
	v_perm_b32 v77, v1, v74, s9
	v_bfe_u32 v1, v73, 16, 1
	v_bfe_u32 v74, v72, 16, 1
	v_pk_mul_f32 v[70:71], v[88:89], v[70:71] op_sel_hi:[0,1]
	v_add3_u32 v72, v72, v74, s8
	v_add3_u32 v1, v73, v1, s8
	v_perm_b32 v72, v1, v72, s9
	v_bfe_u32 v1, v71, 16, 1
	v_bfe_u32 v73, v70, 16, 1
	v_add3_u32 v70, v70, v73, s8
	v_add3_u32 v1, v71, v1, s8
	v_pk_mul_f32 v[68:69], v[88:89], v[68:69] op_sel_hi:[0,1]
	v_perm_b32 v73, v1, v70, s9
	v_bfe_u32 v1, v69, 16, 1
	v_bfe_u32 v70, v68, 16, 1
	v_pk_mul_f32 v[66:67], v[88:89], v[66:67] op_sel_hi:[0,1]
	v_add3_u32 v68, v68, v70, s8
	v_add3_u32 v1, v69, v1, s8
	v_perm_b32 v68, v1, v68, s9
	v_bfe_u32 v1, v67, 16, 1
	v_bfe_u32 v69, v66, 16, 1
	v_add3_u32 v66, v66, v69, s8
	v_add3_u32 v1, v67, v1, s8
	v_perm_b32 v69, v1, v66, s9
	v_cmp_gt_u32_e32 vcc, 12, v0
	ds_write2st64_b64 v78, v[80:81], v[76:77] offset1:1
	ds_write2st64_b64 v78, v[72:73], v[68:69] offset0:2 offset1:3
	s_and_saveexec_b64 s[4:5], vcc
	s_cbranch_execz .LBB587_17
; %bb.16:
	s_mov_b32 s41, 0
	v_mov_b32_e32 v85, 0
	v_lshl_add_u64 v[66:67], s[40:41], 0, v[84:85]
	v_mov_b32_e32 v1, s7
	v_mad_u64_u32 v[66:67], s[10:11], s2, v1, v[66:67]
	s_mul_i32 s3, s3, s7
	v_mov_b32_e32 v68, s26
	v_mov_b32_e32 v69, v85
	s_load_dwordx4 s[12:15], s[0:1], 0x58
	v_add_u32_e32 v1, s3, v67
	v_mad_u64_u32 v[66:67], s[10:11], v66, s6, v[68:69]
	v_mov_b32_e32 v68, v67
	v_mad_u64_u32 v[68:69], s[10:11], v1, s6, v[68:69]
	v_mov_b32_e32 v67, v68
	v_lshlrev_b64 v[66:67], 2, v[66:67]
	s_waitcnt lgkmcnt(0)
	v_lshl_add_u64 v[68:69], s[14:15], 0, v[66:67]
	v_lshl_add_u64 v[66:67], s[12:13], 0, v[66:67]
	global_store_dword v[68:69], v86, off
	global_store_dword v[66:67], v87, off
.LBB587_17:
	s_or_b64 exec, exec, s[4:5]
	v_lshl_or_b32 v1, v89, 9, v79
	s_waitcnt lgkmcnt(0)
	s_barrier
	ds_read_b128 v[70:73], v1
	ds_read_b128 v[66:69], v1 offset:16
	s_waitcnt vmcnt(15) lgkmcnt(1)
	v_mfma_f32_16x16x16_bf16 v[74:77], v[30:31], v[70:71], 0
	s_mov_b32 s3, 0
	v_cmp_gt_u32_e32 vcc, 64, v0
	v_mfma_f32_16x16x16_bf16 v[30:33], v[32:33], v[72:73], v[74:77]
	s_waitcnt vmcnt(14) lgkmcnt(0)
	v_mfma_f32_16x16x16_bf16 v[30:33], v[26:27], v[66:67], v[30:33]
	v_mfma_f32_16x16x16_bf16 v[26:29], v[28:29], v[68:69], v[30:33]
	s_nop 5
	ds_read_b128 v[30:33], v1 offset:2048
	ds_read_b128 v[74:77], v1 offset:2064
	s_waitcnt vmcnt(13) lgkmcnt(1)
	v_mfma_f32_16x16x16_bf16 v[26:29], v[22:23], v[30:31], v[26:29]
	v_mfma_f32_16x16x16_bf16 v[22:25], v[24:25], v[32:33], v[26:29]
	s_waitcnt vmcnt(12) lgkmcnt(0)
	v_mfma_f32_16x16x16_bf16 v[22:25], v[18:19], v[74:75], v[22:25]
	v_mfma_f32_16x16x16_bf16 v[18:21], v[20:21], v[76:77], v[22:25]
	s_nop 5
	ds_read_b128 v[22:25], v1 offset:4096
	ds_read_b128 v[26:29], v1 offset:4112
	s_waitcnt vmcnt(11) lgkmcnt(1)
	v_mfma_f32_16x16x16_bf16 v[18:21], v[14:15], v[22:23], v[18:21]
	v_mfma_f32_16x16x16_bf16 v[14:17], v[16:17], v[24:25], v[18:21]
	s_waitcnt vmcnt(10) lgkmcnt(0)
	v_mfma_f32_16x16x16_bf16 v[14:17], v[10:11], v[26:27], v[14:17]
	v_mfma_f32_16x16x16_bf16 v[10:13], v[12:13], v[28:29], v[14:17]
	s_nop 5
	ds_read_b128 v[14:17], v1 offset:6144
	ds_read_b128 v[18:21], v1 offset:6160
	s_waitcnt lgkmcnt(0)
	s_barrier
	s_waitcnt vmcnt(9)
	v_mfma_f32_16x16x16_bf16 v[10:13], v[6:7], v[14:15], v[10:13]
	v_mfma_f32_16x16x16_bf16 v[6:9], v[8:9], v[16:17], v[10:13]
	s_waitcnt vmcnt(8)
	v_mfma_f32_16x16x16_bf16 v[6:9], v[2:3], v[18:19], v[6:9]
	v_mfma_f32_16x16x16_bf16 v[2:5], v[4:5], v[20:21], v[6:9]
	;; [unrolled: 3-line block ×3, first 2 shown]
	s_nop 3
	v_bfe_u32 v1, v3, 16, 1
	v_bfe_u32 v10, v2, 16, 1
	v_add3_u32 v2, v2, v10, s8
	s_waitcnt vmcnt(6)
	v_mfma_f32_16x16x16_bf16 v[6:9], v[38:39], v[66:67], v[6:9]
	v_add3_u32 v1, v3, v1, s8
	v_perm_b32 v10, v1, v2, s9
	v_bfe_u32 v1, v5, 16, 1
	v_mfma_f32_16x16x16_bf16 v[6:9], v[40:41], v[68:69], v[6:9]
	v_bfe_u32 v2, v4, 16, 1
	v_add3_u32 v2, v4, v2, s8
	v_add3_u32 v1, v5, v1, s8
	s_waitcnt vmcnt(5)
	v_mfma_f32_16x16x16_bf16 v[6:9], v[42:43], v[30:31], v[6:9]
	v_perm_b32 v11, v1, v2, s9
	v_mfma_f32_16x16x16_bf16 v[6:9], v[44:45], v[32:33], v[6:9]
	s_waitcnt vmcnt(4)
	v_mfma_f32_16x16x16_bf16 v[6:9], v[34:35], v[74:75], v[6:9]
	v_mfma_f32_16x16x16_bf16 v[6:9], v[36:37], v[76:77], v[6:9]
	s_waitcnt vmcnt(3)
	v_mfma_f32_16x16x16_bf16 v[6:9], v[58:59], v[22:23], v[6:9]
	;; [unrolled: 3-line block ×5, first 2 shown]
	v_mfma_f32_16x16x16_bf16 v[2:5], v[52:53], v[20:21], v[6:9]
	s_nop 6
	v_bfe_u32 v1, v3, 16, 1
	v_bfe_u32 v6, v2, 16, 1
	v_add3_u32 v2, v2, v6, s8
	v_add3_u32 v1, v3, v1, s8
	v_perm_b32 v2, v1, v2, s9
	v_bfe_u32 v1, v5, 16, 1
	v_bfe_u32 v3, v4, 16, 1
	v_add3_u32 v3, v4, v3, s8
	v_add3_u32 v1, v5, v1, s8
	v_perm_b32 v3, v1, v3, s9
	ds_write2st64_b64 v78, v[10:11], v[2:3] offset1:1
	s_waitcnt lgkmcnt(0)
	s_barrier
	s_and_saveexec_b64 s[4:5], vcc
	s_cbranch_execz .LBB587_19
; %bb.18:
	s_load_dwordx2 s[0:1], s[0:1], 0x68
	s_lshl_b32 s6, s6, 7
	s_mul_i32 s2, s7, s2
	s_mul_hi_u32 s5, s2, s6
	s_mul_i32 s4, s2, s6
	s_lshl_b64 s[4:5], s[4:5], 1
	v_lshlrev_b32_e32 v3, 6, v84
	s_waitcnt lgkmcnt(0)
	s_add_u32 s4, s0, s4
	v_lshlrev_b32_e32 v2, 4, v0
	v_lshl_or_b32 v0, v0, 10, v3
	s_addc_u32 s5, s1, s5
	s_lshl_b32 s2, s26, 7
	v_lshlrev_b32_e32 v1, 5, v89
	v_and_b32_e32 v2, 16, v2
	v_and_b32_e32 v0, 0x1a00, v0
	s_lshl_b64 s[0:1], s[2:3], 1
	v_or3_b32 v0, v0, v1, v2
	s_add_u32 s0, s4, s0
	ds_read_b128 v[2:5], v0
	ds_read_b128 v[6:9], v0 offset:128
	ds_read_b128 v[10:13], v0 offset:256
	s_addc_u32 s1, s5, s1
	v_or_b32_e32 v16, s40, v89
	v_mov_b32_e32 v83, 0
	v_lshl_add_u64 v[0:1], s[0:1], 0, v[82:83]
	v_mad_u64_u32 v[14:15], s[0:1], v16, s6, 0
	v_lshl_add_u64 v[14:15], v[14:15], 1, v[0:1]
	s_waitcnt lgkmcnt(2)
	global_store_dwordx4 v[14:15], v[2:5], off
	s_nop 1
	v_add_u32_e32 v2, 4, v16
	v_mad_u64_u32 v[2:3], s[0:1], v2, s6, 0
	v_lshl_add_u64 v[2:3], v[2:3], 1, v[0:1]
	s_waitcnt lgkmcnt(1)
	global_store_dwordx4 v[2:3], v[6:9], off
	v_add_u32_e32 v2, 8, v16
	v_mad_u64_u32 v[2:3], s[0:1], v2, s6, 0
	v_lshl_add_u64 v[0:1], v[2:3], 1, v[0:1]
	s_waitcnt lgkmcnt(0)
	global_store_dwordx4 v[0:1], v[10:13], off
.LBB587_19:
	s_endpgm
	.section	.rodata,"a",@progbits
	.p2align	6, 0x0
	.amdhsa_kernel _Z39paged_attention_ll4mi_QKV_mfma16_kernelI14__hip_bfloat16S0_LN4vllm18Fp8KVCacheDataTypeE0EhLi16ELi128ELi256ELb1ELi12EEvPKT_PKT0_S8_ifPKiSA_SA_iPKfiiiPfSD_PS3_PT2_iSC_SC_
		.amdhsa_group_segment_fixed_size 8192
		.amdhsa_private_segment_fixed_size 0
		.amdhsa_kernarg_size 400
		.amdhsa_user_sgpr_count 2
		.amdhsa_user_sgpr_dispatch_ptr 0
		.amdhsa_user_sgpr_queue_ptr 0
		.amdhsa_user_sgpr_kernarg_segment_ptr 1
		.amdhsa_user_sgpr_dispatch_id 0
		.amdhsa_user_sgpr_kernarg_preload_length 0
		.amdhsa_user_sgpr_kernarg_preload_offset 0
		.amdhsa_user_sgpr_private_segment_size 0
		.amdhsa_uses_dynamic_stack 0
		.amdhsa_enable_private_segment 0
		.amdhsa_system_sgpr_workgroup_id_x 1
		.amdhsa_system_sgpr_workgroup_id_y 1
		.amdhsa_system_sgpr_workgroup_id_z 1
		.amdhsa_system_sgpr_workgroup_info 0
		.amdhsa_system_vgpr_workitem_id 0
		.amdhsa_next_free_vgpr 96
		.amdhsa_next_free_sgpr 42
		.amdhsa_accum_offset 96
		.amdhsa_reserve_vcc 1
		.amdhsa_float_round_mode_32 0
		.amdhsa_float_round_mode_16_64 0
		.amdhsa_float_denorm_mode_32 3
		.amdhsa_float_denorm_mode_16_64 3
		.amdhsa_dx10_clamp 1
		.amdhsa_ieee_mode 1
		.amdhsa_fp16_overflow 0
		.amdhsa_tg_split 0
		.amdhsa_exception_fp_ieee_invalid_op 0
		.amdhsa_exception_fp_denorm_src 0
		.amdhsa_exception_fp_ieee_div_zero 0
		.amdhsa_exception_fp_ieee_overflow 0
		.amdhsa_exception_fp_ieee_underflow 0
		.amdhsa_exception_fp_ieee_inexact 0
		.amdhsa_exception_int_div_zero 0
	.end_amdhsa_kernel
	.section	.text._Z39paged_attention_ll4mi_QKV_mfma16_kernelI14__hip_bfloat16S0_LN4vllm18Fp8KVCacheDataTypeE0EhLi16ELi128ELi256ELb1ELi12EEvPKT_PKT0_S8_ifPKiSA_SA_iPKfiiiPfSD_PS3_PT2_iSC_SC_,"axG",@progbits,_Z39paged_attention_ll4mi_QKV_mfma16_kernelI14__hip_bfloat16S0_LN4vllm18Fp8KVCacheDataTypeE0EhLi16ELi128ELi256ELb1ELi12EEvPKT_PKT0_S8_ifPKiSA_SA_iPKfiiiPfSD_PS3_PT2_iSC_SC_,comdat
.Lfunc_end587:
	.size	_Z39paged_attention_ll4mi_QKV_mfma16_kernelI14__hip_bfloat16S0_LN4vllm18Fp8KVCacheDataTypeE0EhLi16ELi128ELi256ELb1ELi12EEvPKT_PKT0_S8_ifPKiSA_SA_iPKfiiiPfSD_PS3_PT2_iSC_SC_, .Lfunc_end587-_Z39paged_attention_ll4mi_QKV_mfma16_kernelI14__hip_bfloat16S0_LN4vllm18Fp8KVCacheDataTypeE0EhLi16ELi128ELi256ELb1ELi12EEvPKT_PKT0_S8_ifPKiSA_SA_iPKfiiiPfSD_PS3_PT2_iSC_SC_
                                        ; -- End function
	.section	.AMDGPU.csdata,"",@progbits
; Kernel info:
; codeLenInByte = 5008
; NumSgprs: 48
; NumVgprs: 96
; NumAgprs: 0
; TotalNumVgprs: 96
; ScratchSize: 0
; MemoryBound: 0
; FloatMode: 240
; IeeeMode: 1
; LDSByteSize: 8192 bytes/workgroup (compile time only)
; SGPRBlocks: 5
; VGPRBlocks: 11
; NumSGPRsForWavesPerEU: 48
; NumVGPRsForWavesPerEU: 96
; AccumOffset: 96
; Occupancy: 5
; WaveLimiterHint : 1
; COMPUTE_PGM_RSRC2:SCRATCH_EN: 0
; COMPUTE_PGM_RSRC2:USER_SGPR: 2
; COMPUTE_PGM_RSRC2:TRAP_HANDLER: 0
; COMPUTE_PGM_RSRC2:TGID_X_EN: 1
; COMPUTE_PGM_RSRC2:TGID_Y_EN: 1
; COMPUTE_PGM_RSRC2:TGID_Z_EN: 1
; COMPUTE_PGM_RSRC2:TIDIG_COMP_CNT: 0
; COMPUTE_PGM_RSRC3_GFX90A:ACCUM_OFFSET: 23
; COMPUTE_PGM_RSRC3_GFX90A:TG_SPLIT: 0
	.section	.text._Z39paged_attention_ll4mi_QKV_mfma16_kernelI14__hip_bfloat16S0_LN4vllm18Fp8KVCacheDataTypeE0EhLi16ELi128ELi256ELb1ELi13EEvPKT_PKT0_S8_ifPKiSA_SA_iPKfiiiPfSD_PS3_PT2_iSC_SC_,"axG",@progbits,_Z39paged_attention_ll4mi_QKV_mfma16_kernelI14__hip_bfloat16S0_LN4vllm18Fp8KVCacheDataTypeE0EhLi16ELi128ELi256ELb1ELi13EEvPKT_PKT0_S8_ifPKiSA_SA_iPKfiiiPfSD_PS3_PT2_iSC_SC_,comdat
	.protected	_Z39paged_attention_ll4mi_QKV_mfma16_kernelI14__hip_bfloat16S0_LN4vllm18Fp8KVCacheDataTypeE0EhLi16ELi128ELi256ELb1ELi13EEvPKT_PKT0_S8_ifPKiSA_SA_iPKfiiiPfSD_PS3_PT2_iSC_SC_ ; -- Begin function _Z39paged_attention_ll4mi_QKV_mfma16_kernelI14__hip_bfloat16S0_LN4vllm18Fp8KVCacheDataTypeE0EhLi16ELi128ELi256ELb1ELi13EEvPKT_PKT0_S8_ifPKiSA_SA_iPKfiiiPfSD_PS3_PT2_iSC_SC_
	.globl	_Z39paged_attention_ll4mi_QKV_mfma16_kernelI14__hip_bfloat16S0_LN4vllm18Fp8KVCacheDataTypeE0EhLi16ELi128ELi256ELb1ELi13EEvPKT_PKT0_S8_ifPKiSA_SA_iPKfiiiPfSD_PS3_PT2_iSC_SC_
	.p2align	8
	.type	_Z39paged_attention_ll4mi_QKV_mfma16_kernelI14__hip_bfloat16S0_LN4vllm18Fp8KVCacheDataTypeE0EhLi16ELi128ELi256ELb1ELi13EEvPKT_PKT0_S8_ifPKiSA_SA_iPKfiiiPfSD_PS3_PT2_iSC_SC_,@function
_Z39paged_attention_ll4mi_QKV_mfma16_kernelI14__hip_bfloat16S0_LN4vllm18Fp8KVCacheDataTypeE0EhLi16ELi128ELi256ELb1ELi13EEvPKT_PKT0_S8_ifPKiSA_SA_iPKfiiiPfSD_PS3_PT2_iSC_SC_: ; @_Z39paged_attention_ll4mi_QKV_mfma16_kernelI14__hip_bfloat16S0_LN4vllm18Fp8KVCacheDataTypeE0EhLi16ELi128ELi256ELb1ELi13EEvPKT_PKT0_S8_ifPKiSA_SA_iPKfiiiPfSD_PS3_PT2_iSC_SC_
; %bb.0:
	s_load_dwordx2 s[8:9], s[0:1], 0x30
	s_mov_b32 s26, s3
	s_mov_b64 s[6:7], 0
	s_waitcnt lgkmcnt(0)
	s_cmp_lg_u64 s[8:9], 0
	s_cselect_b64 s[10:11], -1, 0
	s_and_b64 vcc, exec, s[10:11]
	s_cbranch_vccz .LBB588_7
; %bb.1:
	s_add_i32 s12, s2, 1
	s_mov_b32 s13, 0
	s_lshl_b64 s[14:15], s[12:13], 2
	s_add_u32 s14, s8, s14
	s_mov_b32 s3, s13
	s_addc_u32 s15, s9, s15
	s_lshl_b64 s[12:13], s[2:3], 2
	s_add_u32 s12, s8, s12
	s_addc_u32 s13, s9, s13
	s_load_dword s5, s[14:15], 0x0
	s_load_dword s16, s[12:13], 0x0
	s_waitcnt lgkmcnt(0)
	s_sub_i32 s5, s5, s16
	s_cmp_eq_u32 s5, 1
	s_cselect_b64 s[12:13], -1, 0
	s_andn2_b64 vcc, exec, s[6:7]
	s_cbranch_vccnz .LBB588_3
.LBB588_2:
	s_mov_b32 s3, 0
	s_mov_b64 s[12:13], -1
.LBB588_3:
	s_andn2_b64 vcc, exec, s[12:13]
	s_cbranch_vccnz .LBB588_20
; %bb.4:
	s_load_dwordx2 s[6:7], s[0:1], 0x28
	s_lshl_b64 s[12:13], s[2:3], 2
	s_waitcnt lgkmcnt(0)
	s_add_u32 s6, s6, s12
	s_addc_u32 s7, s7, s13
	s_load_dword s27, s[6:7], 0x0
	s_lshl_b32 s18, s26, 8
	s_waitcnt lgkmcnt(0)
	s_cmp_ge_i32 s18, s27
	s_cbranch_scc1 .LBB588_20
; %bb.5:
	s_load_dwordx2 s[6:7], s[0:1], 0x20
	s_load_dword s5, s[0:1], 0x38
	s_add_i32 s14, s27, 15
	s_ashr_i32 s15, s14, 31
	v_and_b32_e32 v1, 0xcf, v0
	s_lshr_b32 s15, s15, 28
	v_add_u32_e32 v1, s18, v1
	s_add_i32 s14, s14, s15
	v_ashrrev_i32_e32 v2, 31, v1
	s_ashr_i32 s19, s14, 4
	v_lshrrev_b32_e32 v4, 28, v2
	s_add_i32 s19, s19, -1
	s_waitcnt lgkmcnt(0)
	s_mul_i32 s14, s2, s5
	s_mov_b32 s15, 0
	v_add_u32_e32 v2, v1, v4
	s_lshl_b64 s[14:15], s[14:15], 2
	v_ashrrev_i32_e32 v2, 4, v2
	v_mov_b32_e32 v5, s19
	v_cmp_gt_i32_e32 vcc, s27, v1
	s_add_u32 s6, s6, s14
	s_addc_u32 s7, s7, s15
	v_cndmask_b32_e32 v2, v5, v2, vcc
	v_ashrrev_i32_e32 v3, 31, v2
	v_lshl_add_u64 v[6:7], v[2:3], 2, s[6:7]
	v_or_b32_e32 v2, 16, v1
	v_add_u32_e32 v3, v2, v4
	v_ashrrev_i32_e32 v3, 4, v3
	v_cmp_gt_i32_e32 vcc, s27, v2
	s_load_dwordx2 s[14:15], s[0:1], 0x8
	s_nop 0
	v_cndmask_b32_e32 v2, v5, v3, vcc
	v_ashrrev_i32_e32 v3, 31, v2
	v_lshl_add_u64 v[8:9], v[2:3], 2, s[6:7]
	v_or_b32_e32 v2, 32, v1
	v_add_u32_e32 v3, v2, v4
	v_ashrrev_i32_e32 v3, 4, v3
	v_cmp_gt_i32_e32 vcc, s27, v2
	v_or_b32_e32 v1, 48, v1
	s_nop 0
	v_cndmask_b32_e32 v2, v5, v3, vcc
	v_ashrrev_i32_e32 v3, 31, v2
	v_lshl_add_u64 v[10:11], v[2:3], 2, s[6:7]
	v_add_u32_e32 v2, v1, v4
	v_ashrrev_i32_e32 v2, 4, v2
	v_cmp_gt_i32_e32 vcc, s27, v1
	s_nop 1
	v_cndmask_b32_e32 v2, v5, v2, vcc
	v_ashrrev_i32_e32 v3, 31, v2
	v_lshl_add_u64 v[12:13], v[2:3], 2, s[6:7]
	global_load_dword v5, v[6:7], off
	global_load_dword v4, v[8:9], off
	;; [unrolled: 1-line block ×4, first 2 shown]
	s_andn2_b64 vcc, exec, s[10:11]
	s_cbranch_vccnz .LBB588_8
; %bb.6:
	s_add_u32 s8, s8, s12
	s_addc_u32 s9, s9, s13
	s_load_dword s5, s[8:9], 0x0
	s_branch .LBB588_9
.LBB588_7:
	s_mov_b64 s[12:13], 0
	s_branch .LBB588_2
.LBB588_8:
	s_mov_b32 s5, s2
.LBB588_9:
	s_load_dwordx2 s[12:13], s[0:1], 0x10
	s_load_dwordx4 s[8:11], s[0:1], 0x48
	v_lshrrev_b32_e32 v85, 6, v0
	v_bfe_u32 v88, v0, 4, 2
	v_and_b32_e32 v84, 15, v0
	v_lshl_or_b32 v1, v85, 2, v88
	v_lshlrev_b32_e32 v6, 3, v84
	s_mul_i32 s40, s4, 13
	v_cmp_gt_u32_e32 vcc, 13, v1
	v_lshlrev_b32_e32 v82, 1, v6
	s_and_saveexec_b64 s[16:17], vcc
	s_cbranch_execz .LBB588_11
; %bb.10:
	s_load_dwordx2 s[20:21], s[0:1], 0x0
	s_waitcnt lgkmcnt(0)
	s_ashr_i32 s11, s8, 31
	s_mul_hi_u32 s22, s5, s8
	s_mul_i32 s11, s5, s11
	s_add_i32 s23, s22, s11
	s_mul_i32 s22, s5, s8
	s_lshl_b64 s[22:23], s[22:23], 1
	s_add_u32 s20, s20, s22
	v_add_lshl_u32 v6, v1, s40, 7
	s_addc_u32 s21, s21, s23
	v_ashrrev_i32_e32 v7, 31, v6
	v_lshl_add_u64 v[6:7], v[6:7], 1, s[20:21]
	v_mov_b32_e32 v83, 0
	v_lshl_add_u64 v[6:7], v[6:7], 0, v[82:83]
	global_load_dwordx4 v[6:9], v[6:7], off
	v_and_b32_e32 v10, 3, v0
	v_lshlrev_b32_e32 v11, 9, v84
	v_lshlrev_b32_e32 v1, 5, v1
	;; [unrolled: 1-line block ×3, first 2 shown]
	v_and_b32_e32 v11, 0x1800, v11
	v_or3_b32 v1, v11, v10, v1
	s_waitcnt vmcnt(0)
	ds_write_b128 v1, v[6:9]
.LBB588_11:
	s_or_b64 exec, exec, s[16:17]
	s_waitcnt lgkmcnt(0)
	s_mul_i32 s4, s4, s10
	s_mov_b32 s5, 0
	s_lshl_b64 s[4:5], s[4:5], 1
	s_add_u32 s10, s14, s4
	v_lshlrev_b32_e32 v1, 4, v0
	s_addc_u32 s11, s15, s5
	v_and_b32_e32 v86, 0xf0, v1
	v_mov_b32_e32 v87, 0
	v_lshl_add_u64 v[6:7], s[10:11], 0, v[86:87]
	s_waitcnt vmcnt(3)
	v_mad_i64_i32 v[8:9], s[10:11], v5, s9, 0
	s_waitcnt vmcnt(2)
	v_mad_i64_i32 v[4:5], s[10:11], v4, s9, 0
	v_lshl_add_u64 v[8:9], v[8:9], 1, v[6:7]
	v_and_b32_e32 v86, 0x300, v1
	v_lshl_add_u64 v[4:5], v[4:5], 1, v[6:7]
	v_lshl_add_u64 v[8:9], v[8:9], 0, v[86:87]
	;; [unrolled: 1-line block ×3, first 2 shown]
	s_barrier
	global_load_dwordx4 v[78:81], v[8:9], off
	global_load_dwordx4 v[74:77], v[8:9], off offset:1024
	global_load_dwordx4 v[70:73], v[8:9], off offset:2048
	;; [unrolled: 1-line block ×3, first 2 shown]
	global_load_dwordx4 v[66:69], v[4:5], off
	global_load_dwordx4 v[62:65], v[4:5], off offset:1024
	global_load_dwordx4 v[58:61], v[4:5], off offset:2048
	;; [unrolled: 1-line block ×3, first 2 shown]
	s_waitcnt vmcnt(9)
	v_mad_i64_i32 v[4:5], s[10:11], v3, s9, 0
	s_waitcnt vmcnt(8)
	v_mad_i64_i32 v[2:3], s[10:11], v2, s9, 0
	v_lshl_add_u64 v[4:5], v[4:5], 1, v[6:7]
	v_lshl_add_u64 v[2:3], v[2:3], 1, v[6:7]
	;; [unrolled: 1-line block ×4, first 2 shown]
	global_load_dwordx4 v[30:33], v[4:5], off
	global_load_dwordx4 v[26:29], v[4:5], off offset:1024
	global_load_dwordx4 v[22:25], v[4:5], off offset:2048
	;; [unrolled: 1-line block ×3, first 2 shown]
	global_load_dwordx4 v[6:9], v[34:35], off
	s_nop 0
	global_load_dwordx4 v[2:5], v[34:35], off offset:1024
	global_load_dwordx4 v[38:41], v[34:35], off offset:2048
	s_nop 0
	global_load_dwordx4 v[34:37], v[34:35], off offset:3072
	v_add_u32_e32 v42, -13, v84
	v_cmp_gt_u32_e32 vcc, 13, v84
	v_and_b32_e32 v83, 63, v0
	v_mov_b32_e32 v89, 0
	v_cndmask_b32_e32 v42, v42, v84, vcc
	v_lshlrev_b32_e32 v42, 5, v42
	v_lshl_add_u32 v42, v88, 9, v42
	ds_read_b128 v[54:57], v42
	ds_read_b128 v[50:53], v42 offset:2048
	ds_read_b128 v[46:49], v42 offset:4096
	;; [unrolled: 1-line block ×3, first 2 shown]
	s_and_saveexec_b64 s[10:11], vcc
	s_cbranch_execz .LBB588_13
; %bb.12:
	s_load_dwordx2 s[14:15], s[0:1], 0x40
	v_add_u32_e32 v90, s40, v84
	v_ashrrev_i32_e32 v91, 31, v90
	s_waitcnt lgkmcnt(0)
	v_lshl_add_u64 v[90:91], v[90:91], 2, s[14:15]
	global_load_dword v89, v[90:91], off
.LBB588_13:
	s_or_b64 exec, exec, s[10:11]
	s_waitcnt vmcnt(15) lgkmcnt(3)
	v_mfma_f32_16x16x16_bf16 v[90:93], v[78:79], v[54:55], 0
	s_add_u32 s4, s12, s4
	s_addc_u32 s5, s13, s5
	s_mov_b32 s33, 0xff7fffff
	v_mfma_f32_16x16x16_bf16 v[78:81], v[80:81], v[56:57], v[90:93]
	s_waitcnt vmcnt(14) lgkmcnt(2)
	v_mfma_f32_16x16x16_bf16 v[78:81], v[74:75], v[50:51], v[78:81]
	s_nop 0
	v_lshl_or_b32 v90, v85, 4, v84
	v_lshlrev_b32_e32 v86, 5, v90
	v_mfma_f32_16x16x16_bf16 v[74:77], v[76:77], v[52:53], v[78:81]
	s_waitcnt vmcnt(13) lgkmcnt(1)
	v_mfma_f32_16x16x16_bf16 v[74:77], v[70:71], v[46:47], v[74:77]
	v_mfma_f32_16x16x16_bf16 v[70:73], v[72:73], v[48:49], v[74:77]
	s_waitcnt vmcnt(11)
	v_mfma_f32_16x16x16_bf16 v[74:77], v[66:67], v[54:55], 0
	v_mfma_f32_16x16x16_bf16 v[66:69], v[68:69], v[56:57], v[74:77]
	s_nop 5
	v_and_or_b32 v74, v0, 48, s18
	s_waitcnt lgkmcnt(0)
	v_mfma_f32_16x16x16_bf16 v[70:73], v[10:11], v[42:43], v[70:73]
	v_ashrrev_i32_e32 v10, 4, v74
	v_mov_b32_e32 v75, s19
	v_cmp_gt_i32_e32 vcc, s27, v74
	s_waitcnt vmcnt(10)
	v_mfma_f32_16x16x16_bf16 v[66:69], v[62:63], v[50:51], v[66:69]
	v_cndmask_b32_e32 v10, v75, v10, vcc
	v_ashrrev_i32_e32 v11, 31, v10
	v_lshl_add_u64 v[10:11], v[10:11], 2, s[6:7]
	global_load_dword v76, v[10:11], off
	v_mfma_f32_16x16x16_bf16 v[62:65], v[64:65], v[52:53], v[66:69]
	v_or_b32_e32 v10, 64, v74
	v_ashrrev_i32_e32 v11, 4, v10
	v_cmp_gt_i32_e32 vcc, s27, v10
	s_waitcnt vmcnt(10)
	v_mfma_f32_16x16x16_bf16 v[62:65], v[58:59], v[46:47], v[62:65]
	v_cndmask_b32_e32 v10, v75, v11, vcc
	v_ashrrev_i32_e32 v11, 31, v10
	v_lshl_add_u64 v[10:11], v[10:11], 2, s[6:7]
	global_load_dword v78, v[10:11], off
	v_or_b32_e32 v10, 0x80, v74
	v_mfma_f32_16x16x16_bf16 v[58:61], v[60:61], v[48:49], v[62:65]
	v_ashrrev_i32_e32 v11, 4, v10
	v_cmp_gt_i32_e32 vcc, s27, v10
	s_waitcnt vmcnt(9)
	v_mfma_f32_16x16x16_bf16 v[62:65], v[30:31], v[54:55], 0
	v_cndmask_b32_e32 v10, v75, v11, vcc
	v_ashrrev_i32_e32 v11, 31, v10
	v_lshl_add_u64 v[10:11], v[10:11], 2, s[6:7]
	v_mfma_f32_16x16x16_bf16 v[30:33], v[32:33], v[56:57], v[62:65]
	s_nop 2
	global_load_dword v62, v[10:11], off
	v_or_b32_e32 v10, 0xc0, v74
	v_ashrrev_i32_e32 v11, 4, v10
	v_cmp_gt_i32_e32 vcc, s27, v10
	s_waitcnt vmcnt(9)
	v_mfma_f32_16x16x16_bf16 v[30:33], v[26:27], v[50:51], v[30:33]
	v_cndmask_b32_e32 v10, v75, v11, vcc
	v_ashrrev_i32_e32 v11, 31, v10
	v_lshl_add_u64 v[10:11], v[10:11], 2, s[6:7]
	global_load_dword v63, v[10:11], off
	v_mfma_f32_16x16x16_bf16 v[26:29], v[28:29], v[52:53], v[30:33]
	s_load_dword s6, s[0:1], 0x1c
	s_waitcnt vmcnt(3)
	v_mad_i64_i32 v[10:11], s[10:11], v76, s9, 0
	v_mfma_f32_16x16x16_bf16 v[26:29], v[22:23], v[46:47], v[26:29]
	v_lshlrev_b64 v[76:77], 1, v[10:11]
	v_mfma_f32_16x16x16_bf16 v[64:67], v[12:13], v[44:45], v[70:73]
	v_mfma_f32_16x16x16_bf16 v[10:13], v[24:25], v[48:49], v[26:29]
	s_nop 1
	v_lshl_add_u64 v[72:73], s[4:5], 0, v[86:87]
	v_or_b32_e32 v86, 0x800, v86
	v_mfma_f32_16x16x16_bf16 v[30:33], v[14:15], v[42:43], v[58:61]
	v_lshl_add_u64 v[14:15], v[72:73], 0, v[76:77]
	v_mfma_f32_16x16x16_bf16 v[10:13], v[18:19], v[42:43], v[10:13]
	v_mfma_f32_16x16x16_bf16 v[68:71], v[16:17], v[44:45], v[30:33]
	s_nop 3
	global_load_dwordx4 v[30:33], v[14:15], off
	global_load_dwordx4 v[26:29], v[14:15], off offset:16
	s_waitcnt vmcnt(4)
	v_mad_i64_i32 v[14:15], s[10:11], v78, s9, 0
	v_lshlrev_b64 v[58:59], 1, v[14:15]
	v_mfma_f32_16x16x16_bf16 v[92:95], v[20:21], v[44:45], v[10:13]
	s_waitcnt lgkmcnt(0)
	v_pk_mul_f32 v[78:79], s[6:7], v[66:67] op_sel_hi:[0,1]
	s_nop 0
	v_lshl_add_u64 v[10:11], v[72:73], 0, v[58:59]
	global_load_dwordx4 v[22:25], v[10:11], off
	global_load_dwordx4 v[18:21], v[10:11], off offset:16
	v_mfma_f32_16x16x16_bf16 v[10:13], v[6:7], v[54:55], 0
	s_waitcnt vmcnt(5)
	v_mad_i64_i32 v[6:7], s[10:11], v62, s9, 0
	v_lshlrev_b64 v[54:55], 1, v[6:7]
	v_mfma_f32_16x16x16_bf16 v[6:9], v[8:9], v[56:57], v[10:13]
	v_mfma_f32_16x16x16_bf16 v[6:9], v[2:3], v[50:51], v[6:9]
	s_waitcnt vmcnt(4)
	v_mad_i64_i32 v[2:3], s[8:9], v63, s9, 0
	v_lshlrev_b64 v[50:51], 1, v[2:3]
	v_mfma_f32_16x16x16_bf16 v[60:63], v[4:5], v[52:53], v[6:9]
	v_lshl_add_u64 v[10:11], v[72:73], 0, v[54:55]
	v_lshl_add_u64 v[2:3], v[72:73], 0, v[50:51]
	v_pk_mul_f32 v[52:53], s[6:7], v[64:65] op_sel_hi:[0,1]
	v_mfma_f32_16x16x16_bf16 v[72:75], v[38:39], v[46:47], v[60:63]
	global_load_dwordx4 v[14:17], v[10:11], off
	s_nop 0
	global_load_dwordx4 v[10:13], v[10:11], off offset:16
	v_lshl_add_u64 v[62:63], s[4:5], 0, v[86:87]
	v_lshl_add_u64 v[38:39], v[62:63], 0, v[76:77]
	v_mfma_f32_16x16x16_bf16 v[46:49], v[40:41], v[48:49], v[72:75]
	v_pk_mul_f32 v[76:77], s[6:7], v[68:69] op_sel_hi:[0,1]
	v_lshl_add_u64 v[54:55], v[62:63], 0, v[54:55]
	v_lshl_add_u64 v[50:51], v[62:63], 0, v[50:51]
	v_mfma_f32_16x16x16_bf16 v[40:43], v[34:35], v[42:43], v[46:49]
	v_pk_mul_f32 v[74:75], s[6:7], v[70:71] op_sel_hi:[0,1]
	v_pk_mul_f32 v[70:71], s[6:7], v[94:95] op_sel_hi:[0,1]
	;; [unrolled: 1-line block ×3, first 2 shown]
	v_mfma_f32_16x16x16_bf16 v[34:37], v[36:37], v[44:45], v[40:43]
	global_load_dwordx4 v[6:9], v[2:3], off
	s_nop 0
	global_load_dwordx4 v[2:5], v[2:3], off offset:16
	s_nop 3
	v_pk_mul_f32 v[68:69], s[6:7], v[34:35] op_sel_hi:[0,1]
	v_and_b32_e32 v34, 0xc0, v0
	v_add_u32_e32 v34, s18, v34
	v_lshl_or_b32 v34, v88, 2, v34
	v_or_b32_e32 v35, 1, v34
	v_pk_mul_f32 v[66:67], s[6:7], v[36:37] op_sel_hi:[0,1]
	v_subrev_u32_e32 v36, s27, v35
	v_add_u32_e32 v40, 1, v36
	v_add_u32_e32 v41, 2, v36
	v_cvt_f32_i32_e32 v37, v36
	v_cvt_f32_i32_e32 v40, v40
	;; [unrolled: 1-line block ×3, first 2 shown]
	v_add_u32_e32 v42, 3, v36
	v_fma_f32 v52, v89, v37, v52
	v_fmac_f32_e32 v53, v89, v40
	v_fma_f32 v78, v89, v41, v78
	v_add_u32_e32 v37, 16, v36
	v_add_u32_e32 v40, 17, v36
	;; [unrolled: 1-line block ×3, first 2 shown]
	v_cvt_f32_i32_e32 v42, v42
	v_cvt_f32_i32_e32 v37, v37
	;; [unrolled: 1-line block ×4, first 2 shown]
	v_fmac_f32_e32 v79, v89, v42
	v_add_u32_e32 v42, 19, v36
	v_fma_f32 v76, v89, v37, v76
	v_fmac_f32_e32 v77, v89, v40
	v_fma_f32 v74, v89, v41, v74
	v_add_u32_e32 v37, 32, v36
	v_add_u32_e32 v40, 33, v36
	;; [unrolled: 1-line block ×3, first 2 shown]
	v_cvt_f32_i32_e32 v42, v42
	v_cvt_f32_i32_e32 v37, v37
	;; [unrolled: 1-line block ×4, first 2 shown]
	v_fmac_f32_e32 v75, v89, v42
	v_add_u32_e32 v42, 35, v36
	v_fma_f32 v72, v89, v37, v72
	v_fmac_f32_e32 v73, v89, v40
	v_fma_f32 v70, v89, v41, v70
	v_add_u32_e32 v37, 48, v36
	v_add_u32_e32 v40, 49, v36
	;; [unrolled: 1-line block ×4, first 2 shown]
	v_cvt_f32_i32_e32 v36, v36
	v_cvt_f32_i32_e32 v37, v37
	;; [unrolled: 1-line block ×3, first 2 shown]
	v_cmp_gt_i32_e64 s[28:29], s27, v34
	v_fmac_f32_e32 v67, v89, v36
	v_mov_b32_e32 v36, 0xff7fffff
	v_cmp_gt_i32_e64 s[30:31], s27, v35
	v_fma_f32 v68, v89, v37, v68
	v_cndmask_b32_e64 v37, v36, v52, s[28:29]
	v_cndmask_b32_e64 v35, v36, v53, s[30:31]
	v_fmac_f32_e32 v69, v89, v40
	v_max3_f32 v35, v37, s33, v35
	v_or_b32_e32 v37, 2, v34
	v_or_b32_e32 v40, 3, v34
	v_cmp_gt_i32_e64 s[34:35], s27, v37
	v_cmp_gt_i32_e64 s[36:37], s27, v40
	v_cvt_f32_i32_e32 v42, v42
	v_cndmask_b32_e64 v37, v36, v78, s[34:35]
	v_cndmask_b32_e64 v40, v36, v79, s[36:37]
	v_max3_f32 v35, v35, v37, v40
	v_or_b32_e32 v37, 16, v34
	v_or_b32_e32 v40, 17, v34
	v_cmp_gt_i32_e64 s[22:23], s27, v37
	v_cmp_gt_i32_e64 s[24:25], s27, v40
	v_fmac_f32_e32 v71, v89, v42
	v_cndmask_b32_e64 v37, v36, v76, s[22:23]
	v_cndmask_b32_e64 v40, v36, v77, s[24:25]
	v_max3_f32 v35, v35, v37, v40
	v_or_b32_e32 v37, 18, v34
	v_or_b32_e32 v40, 19, v34
	v_cmp_gt_i32_e64 s[18:19], s27, v37
	v_cmp_gt_i32_e64 s[20:21], s27, v40
	v_cvt_f32_i32_e32 v41, v41
	v_cndmask_b32_e64 v37, v36, v74, s[18:19]
	v_cndmask_b32_e64 v40, v36, v75, s[20:21]
	v_max3_f32 v35, v35, v37, v40
	v_or_b32_e32 v37, 32, v34
	v_or_b32_e32 v40, 33, v34
	v_cmp_gt_i32_e64 s[14:15], s27, v37
	v_cmp_gt_i32_e64 s[16:17], s27, v40
	v_fma_f32 v66, v89, v41, v66
	v_cndmask_b32_e64 v37, v36, v72, s[14:15]
	v_cndmask_b32_e64 v40, v36, v73, s[16:17]
	v_max3_f32 v35, v35, v37, v40
	v_or_b32_e32 v37, 34, v34
	v_or_b32_e32 v40, 35, v34
	v_cmp_gt_i32_e64 s[10:11], s27, v37
	v_cmp_gt_i32_e64 s[12:13], s27, v40
	s_nop 0
	v_cndmask_b32_e64 v37, v36, v70, s[10:11]
	v_cndmask_b32_e64 v40, v36, v71, s[12:13]
	v_max3_f32 v35, v35, v37, v40
	v_or_b32_e32 v37, 48, v34
	v_or_b32_e32 v40, 49, v34
	v_cmp_gt_i32_e64 s[6:7], s27, v37
	v_cmp_gt_i32_e64 s[8:9], s27, v40
	s_nop 0
	v_cndmask_b32_e64 v37, v36, v68, s[6:7]
	v_cndmask_b32_e64 v40, v36, v69, s[8:9]
	v_max3_f32 v35, v35, v37, v40
	v_or_b32_e32 v37, 50, v34
	v_or_b32_e32 v34, 51, v34
	v_cmp_gt_i32_e32 vcc, s27, v37
	v_cmp_gt_i32_e64 s[4:5], s27, v34
	global_load_dwordx4 v[46:49], v[38:39], off
	s_nop 0
	global_load_dwordx4 v[38:41], v[38:39], off offset:16
	v_cndmask_b32_e32 v37, v36, v66, vcc
	v_cndmask_b32_e64 v34, v36, v67, s[4:5]
	v_max3_f32 v56, v35, v37, v34
	v_mbcnt_lo_u32_b32 v34, -1, 0
	v_mbcnt_hi_u32_b32 v57, -1, v34
	v_and_b32_e32 v34, 64, v57
	v_add_u32_e32 v60, 64, v34
	v_xor_b32_e32 v34, 32, v57
	v_cmp_lt_i32_e64 s[38:39], v34, v60
	s_nop 1
	v_cndmask_b32_e64 v34, v57, v34, s[38:39]
	v_lshlrev_b32_e32 v87, 2, v34
	ds_bpermute_b32 v61, v87, v56
	v_lshl_add_u64 v[34:35], v[62:63], 0, v[58:59]
	global_load_dwordx4 v[42:45], v[34:35], off
	s_nop 0
	global_load_dwordx4 v[34:37], v[34:35], off offset:16
	s_waitcnt lgkmcnt(0)
	v_max_f32_e32 v58, v61, v61
	v_max_f32_e32 v64, v56, v58
	v_xor_b32_e32 v56, 16, v57
	v_cmp_lt_i32_e64 s[38:39], v56, v60
	s_nop 1
	v_cndmask_b32_e64 v56, v57, v56, s[38:39]
	v_lshlrev_b32_e32 v89, 2, v56
	ds_bpermute_b32 v65, v89, v64
	global_load_dwordx4 v[58:61], v[54:55], off
	s_nop 0
	global_load_dwordx4 v[54:57], v[54:55], off offset:16
	s_waitcnt lgkmcnt(0)
	v_max_f32_e32 v62, v65, v65
	v_max_f32_e32 v86, v64, v62
	v_sub_f32_e32 v52, v52, v86
	v_mul_f32_e32 v52, 0x3fb8aa3b, v52
	v_exp_f32_e32 v80, v52
	v_sub_f32_e32 v52, v53, v86
	v_mul_f32_e32 v52, 0x3fb8aa3b, v52
	v_exp_f32_e32 v81, v52
	global_load_dwordx4 v[62:65], v[50:51], off
	s_nop 0
	global_load_dwordx4 v[50:53], v[50:51], off offset:16
	v_sub_f32_e32 v78, v78, v86
	v_mul_f32_e32 v78, 0x3fb8aa3b, v78
	v_sub_f32_e32 v79, v79, v86
	v_exp_f32_e32 v78, v78
	v_mul_f32_e32 v79, 0x3fb8aa3b, v79
	v_sub_f32_e32 v76, v76, v86
	v_exp_f32_e32 v79, v79
	v_mul_f32_e32 v76, 0x3fb8aa3b, v76
	v_sub_f32_e32 v77, v77, v86
	v_cndmask_b32_e64 v80, 0, v80, s[28:29]
	v_exp_f32_e32 v76, v76
	v_mul_f32_e32 v77, 0x3fb8aa3b, v77
	v_sub_f32_e32 v74, v74, v86
	v_add_f32_e32 v91, 0, v80
	v_cndmask_b32_e64 v81, 0, v81, s[30:31]
	v_exp_f32_e32 v77, v77
	v_mul_f32_e32 v74, 0x3fb8aa3b, v74
	v_sub_f32_e32 v75, v75, v86
	v_add_f32_e32 v91, v91, v81
	;; [unrolled: 5-line block ×10, first 2 shown]
	v_cndmask_b32_e64 v70, 0, v70, s[10:11]
	v_exp_f32_e32 v66, v66
	v_mul_f32_e32 v67, 0x3fb8aa3b, v67
	v_add_f32_e32 v91, v91, v70
	v_cndmask_b32_e64 v71, 0, v71, s[12:13]
	v_exp_f32_e32 v67, v67
	v_add_f32_e32 v91, v91, v71
	v_cndmask_b32_e64 v68, 0, v68, s[6:7]
	v_add_f32_e32 v91, v91, v68
	v_cndmask_b32_e64 v69, 0, v69, s[8:9]
	v_add_f32_e32 v91, v91, v69
	v_cndmask_b32_e32 v66, 0, v66, vcc
	v_add_f32_e32 v91, v91, v66
	v_cndmask_b32_e64 v67, 0, v67, s[4:5]
	v_add_f32_e32 v91, v91, v67
	ds_bpermute_b32 v87, v87, v91
	s_load_dword s9, s[0:1], 0x98
	v_cmp_gt_u32_e64 s[4:5], 16, v83
	s_waitcnt lgkmcnt(0)
	s_barrier
	v_add_f32_e32 v87, v91, v87
	ds_bpermute_b32 v89, v89, v87
	s_waitcnt lgkmcnt(0)
	s_and_saveexec_b64 s[6:7], s[4:5]
	s_cbranch_execz .LBB588_15
; %bb.14:
	v_add_f32_e32 v83, v87, v89
	v_lshlrev_b32_e32 v87, 2, v90
	ds_write2st64_b32 v87, v86, v83 offset1:1
.LBB588_15:
	s_or_b64 exec, exec, s[6:7]
	v_lshlrev_b32_e32 v89, 2, v84
	s_load_dword s8, s[0:1], 0x94
	s_waitcnt lgkmcnt(0)
	s_barrier
	ds_read2_b32 v[86:87], v89 offset1:16
	ds_read2_b32 v[90:91], v89 offset0:32 offset1:48
	ds_read2_b32 v[92:93], v89 offset0:64 offset1:80
	;; [unrolled: 1-line block ×3, first 2 shown]
	s_movk_i32 s10, 0x7fff
	s_waitcnt lgkmcnt(3)
	v_max3_f32 v83, v86, s33, v87
	s_waitcnt lgkmcnt(2)
	v_max3_f32 v83, v83, v90, v91
	v_sub_f32_e32 v86, v86, v83
	v_mul_f32_e32 v86, 0x3fb8aa3b, v86
	v_exp_f32_e32 v1, v86
	v_sub_f32_e32 v86, v87, v83
	v_mul_f32_e32 v86, 0x3fb8aa3b, v86
	v_exp_f32_e32 v87, v86
	;; [unrolled: 3-line block ×4, first 2 shown]
	s_waitcnt lgkmcnt(1)
	v_fma_f32 v86, v1, v92, 0
	v_fmac_f32_e32 v86, v87, v93
	s_waitcnt lgkmcnt(0)
	v_fmac_f32_e32 v86, v90, v94
	v_fmac_f32_e32 v86, v89, v95
	v_add_f32_e32 v91, 0x358637bd, v86
	v_div_scale_f32 v92, s[6:7], v91, v91, 1.0
	v_rcp_f32_e32 v93, v92
	s_mov_b32 s11, 0x7060302
	s_mul_i32 s9, s9, 13
	v_fma_f32 v94, -v92, v93, 1.0
	v_fmac_f32_e32 v93, v94, v93
	v_div_scale_f32 v94, vcc, 1.0, v91, 1.0
	v_mul_f32_e32 v95, v94, v93
	v_fma_f32 v88, -v92, v95, v94
	v_fmac_f32_e32 v95, v88, v93
	v_fma_f32 v88, -v92, v95, v94
	v_div_fmas_f32 v88, v88, v93, v95
	v_cmp_eq_u32_e32 vcc, 1, v85
	v_div_fixup_f32 v88, v88, v91, 1.0
	s_barrier
	v_cndmask_b32_e32 v1, v1, v87, vcc
	v_cmp_eq_u32_e32 vcc, 2, v85
	s_nop 1
	v_cndmask_b32_e32 v1, v1, v90, vcc
	v_cmp_eq_u32_e32 vcc, 3, v85
	s_nop 1
	v_cndmask_b32_e32 v1, v1, v89, vcc
	v_mul_f32_e32 v90, v1, v88
	v_pk_mul_f32 v[80:81], v[90:91], v[80:81] op_sel_hi:[0,1]
	v_bfe_u32 v1, v81, 16, 1
	v_bfe_u32 v87, v80, 16, 1
	v_pk_mul_f32 v[78:79], v[90:91], v[78:79] op_sel_hi:[0,1]
	v_add3_u32 v80, v80, v87, s10
	v_add3_u32 v1, v81, v1, s10
	v_perm_b32 v80, v1, v80, s11
	v_bfe_u32 v1, v79, 16, 1
	v_bfe_u32 v81, v78, 16, 1
	v_add3_u32 v78, v78, v81, s10
	v_add3_u32 v1, v79, v1, s10
	v_bfe_u32 v87, v0, 4, 2
	v_perm_b32 v81, v1, v78, s11
	v_lshlrev_b32_e32 v1, 3, v87
	v_lshlrev_b32_e32 v79, 5, v84
	;; [unrolled: 1-line block ×3, first 2 shown]
	v_pk_mul_f32 v[76:77], v[90:91], v[76:77] op_sel_hi:[0,1]
	v_or3_b32 v78, v78, v79, v1
	v_bfe_u32 v1, v77, 16, 1
	v_bfe_u32 v85, v76, 16, 1
	v_pk_mul_f32 v[74:75], v[90:91], v[74:75] op_sel_hi:[0,1]
	v_add3_u32 v76, v76, v85, s10
	v_add3_u32 v1, v77, v1, s10
	v_perm_b32 v76, v1, v76, s11
	v_bfe_u32 v1, v75, 16, 1
	v_bfe_u32 v77, v74, 16, 1
	v_add3_u32 v74, v74, v77, s10
	v_add3_u32 v1, v75, v1, s10
	v_pk_mul_f32 v[72:73], v[90:91], v[72:73] op_sel_hi:[0,1]
	v_perm_b32 v77, v1, v74, s11
	v_bfe_u32 v1, v73, 16, 1
	v_bfe_u32 v74, v72, 16, 1
	v_pk_mul_f32 v[70:71], v[90:91], v[70:71] op_sel_hi:[0,1]
	v_add3_u32 v72, v72, v74, s10
	v_add3_u32 v1, v73, v1, s10
	v_perm_b32 v72, v1, v72, s11
	v_bfe_u32 v1, v71, 16, 1
	v_bfe_u32 v73, v70, 16, 1
	v_add3_u32 v70, v70, v73, s10
	v_add3_u32 v1, v71, v1, s10
	v_pk_mul_f32 v[68:69], v[90:91], v[68:69] op_sel_hi:[0,1]
	v_perm_b32 v73, v1, v70, s11
	v_bfe_u32 v1, v69, 16, 1
	v_bfe_u32 v70, v68, 16, 1
	v_pk_mul_f32 v[66:67], v[90:91], v[66:67] op_sel_hi:[0,1]
	v_add3_u32 v68, v68, v70, s10
	v_add3_u32 v1, v69, v1, s10
	v_perm_b32 v68, v1, v68, s11
	v_bfe_u32 v1, v67, 16, 1
	v_bfe_u32 v69, v66, 16, 1
	v_add3_u32 v66, v66, v69, s10
	v_add3_u32 v1, v67, v1, s10
	v_perm_b32 v69, v1, v66, s11
	v_cmp_gt_u32_e32 vcc, 13, v0
	ds_write2st64_b64 v78, v[80:81], v[76:77] offset1:1
	ds_write2st64_b64 v78, v[72:73], v[68:69] offset0:2 offset1:3
	s_and_saveexec_b64 s[6:7], vcc
	s_cbranch_execz .LBB588_17
; %bb.16:
	s_mov_b32 s41, 0
	v_mov_b32_e32 v85, 0
	v_lshl_add_u64 v[66:67], s[40:41], 0, v[84:85]
	v_mov_b32_e32 v1, s9
	v_mad_u64_u32 v[66:67], s[16:17], s2, v1, v[66:67]
	s_mul_i32 s3, s3, s9
	v_mov_b32_e32 v68, s26
	v_mov_b32_e32 v69, v85
	s_load_dwordx4 s[12:15], s[0:1], 0x58
	v_add_u32_e32 v1, s3, v67
	v_mad_u64_u32 v[66:67], s[16:17], v66, s8, v[68:69]
	v_mov_b32_e32 v68, v67
	v_mad_u64_u32 v[68:69], s[16:17], v1, s8, v[68:69]
	v_mov_b32_e32 v67, v68
	v_lshlrev_b64 v[66:67], 2, v[66:67]
	s_waitcnt lgkmcnt(0)
	v_lshl_add_u64 v[68:69], s[14:15], 0, v[66:67]
	v_lshl_add_u64 v[66:67], s[12:13], 0, v[66:67]
	global_store_dword v[68:69], v83, off
	global_store_dword v[66:67], v86, off
.LBB588_17:
	s_or_b64 exec, exec, s[6:7]
	v_lshl_or_b32 v1, v87, 9, v79
	s_waitcnt lgkmcnt(0)
	s_barrier
	ds_read_b128 v[70:73], v1
	ds_read_b128 v[66:69], v1 offset:16
	s_waitcnt vmcnt(15) lgkmcnt(1)
	v_mfma_f32_16x16x16_bf16 v[74:77], v[30:31], v[70:71], 0
	s_mov_b32 s3, 0
	v_cmp_gt_u32_e32 vcc, 64, v0
	v_mfma_f32_16x16x16_bf16 v[30:33], v[32:33], v[72:73], v[74:77]
	s_waitcnt vmcnt(14) lgkmcnt(0)
	v_mfma_f32_16x16x16_bf16 v[30:33], v[26:27], v[66:67], v[30:33]
	v_mfma_f32_16x16x16_bf16 v[26:29], v[28:29], v[68:69], v[30:33]
	s_nop 5
	ds_read_b128 v[30:33], v1 offset:2048
	ds_read_b128 v[74:77], v1 offset:2064
	s_waitcnt vmcnt(13) lgkmcnt(1)
	v_mfma_f32_16x16x16_bf16 v[26:29], v[22:23], v[30:31], v[26:29]
	v_mfma_f32_16x16x16_bf16 v[22:25], v[24:25], v[32:33], v[26:29]
	s_waitcnt vmcnt(12) lgkmcnt(0)
	v_mfma_f32_16x16x16_bf16 v[22:25], v[18:19], v[74:75], v[22:25]
	v_mfma_f32_16x16x16_bf16 v[18:21], v[20:21], v[76:77], v[22:25]
	s_nop 5
	ds_read_b128 v[22:25], v1 offset:4096
	ds_read_b128 v[26:29], v1 offset:4112
	s_waitcnt vmcnt(11) lgkmcnt(1)
	v_mfma_f32_16x16x16_bf16 v[18:21], v[14:15], v[22:23], v[18:21]
	v_mfma_f32_16x16x16_bf16 v[14:17], v[16:17], v[24:25], v[18:21]
	s_waitcnt vmcnt(10) lgkmcnt(0)
	v_mfma_f32_16x16x16_bf16 v[14:17], v[10:11], v[26:27], v[14:17]
	v_mfma_f32_16x16x16_bf16 v[10:13], v[12:13], v[28:29], v[14:17]
	s_nop 5
	ds_read_b128 v[14:17], v1 offset:6144
	ds_read_b128 v[18:21], v1 offset:6160
	s_waitcnt lgkmcnt(0)
	s_barrier
	s_waitcnt vmcnt(9)
	v_mfma_f32_16x16x16_bf16 v[10:13], v[6:7], v[14:15], v[10:13]
	v_mfma_f32_16x16x16_bf16 v[6:9], v[8:9], v[16:17], v[10:13]
	s_waitcnt vmcnt(8)
	v_mfma_f32_16x16x16_bf16 v[6:9], v[2:3], v[18:19], v[6:9]
	v_mfma_f32_16x16x16_bf16 v[2:5], v[4:5], v[20:21], v[6:9]
	;; [unrolled: 3-line block ×3, first 2 shown]
	s_nop 3
	v_bfe_u32 v1, v3, 16, 1
	v_bfe_u32 v10, v2, 16, 1
	v_add3_u32 v2, v2, v10, s10
	s_waitcnt vmcnt(6)
	v_mfma_f32_16x16x16_bf16 v[6:9], v[38:39], v[66:67], v[6:9]
	v_add3_u32 v1, v3, v1, s10
	v_perm_b32 v10, v1, v2, s11
	v_bfe_u32 v1, v5, 16, 1
	v_mfma_f32_16x16x16_bf16 v[6:9], v[40:41], v[68:69], v[6:9]
	v_bfe_u32 v2, v4, 16, 1
	v_add3_u32 v2, v4, v2, s10
	v_add3_u32 v1, v5, v1, s10
	s_waitcnt vmcnt(5)
	v_mfma_f32_16x16x16_bf16 v[6:9], v[42:43], v[30:31], v[6:9]
	v_perm_b32 v11, v1, v2, s11
	v_mfma_f32_16x16x16_bf16 v[6:9], v[44:45], v[32:33], v[6:9]
	s_waitcnt vmcnt(4)
	v_mfma_f32_16x16x16_bf16 v[6:9], v[34:35], v[74:75], v[6:9]
	v_mfma_f32_16x16x16_bf16 v[6:9], v[36:37], v[76:77], v[6:9]
	s_waitcnt vmcnt(3)
	v_mfma_f32_16x16x16_bf16 v[6:9], v[58:59], v[22:23], v[6:9]
	;; [unrolled: 3-line block ×5, first 2 shown]
	v_mfma_f32_16x16x16_bf16 v[2:5], v[52:53], v[20:21], v[6:9]
	s_nop 6
	v_bfe_u32 v1, v3, 16, 1
	v_bfe_u32 v6, v2, 16, 1
	v_add3_u32 v2, v2, v6, s10
	v_add3_u32 v1, v3, v1, s10
	v_perm_b32 v2, v1, v2, s11
	v_bfe_u32 v1, v5, 16, 1
	v_bfe_u32 v3, v4, 16, 1
	v_add3_u32 v3, v4, v3, s10
	v_add3_u32 v1, v5, v1, s10
	v_perm_b32 v3, v1, v3, s11
	ds_write2st64_b64 v78, v[10:11], v[2:3] offset1:1
	s_waitcnt lgkmcnt(0)
	s_barrier
	s_and_saveexec_b64 s[6:7], vcc
	s_cbranch_execz .LBB588_20
; %bb.18:
	s_load_dwordx2 s[6:7], s[0:1], 0x68
	s_lshl_b32 s0, s8, 7
	s_mul_i32 s1, s9, s2
	v_lshlrev_b32_e32 v3, 6, v84
	s_mul_hi_u32 s9, s1, s0
	s_mul_i32 s8, s1, s0
	v_lshlrev_b32_e32 v2, 4, v0
	v_lshl_or_b32 v0, v0, 10, v3
	s_lshl_b64 s[8:9], s[8:9], 1
	v_lshlrev_b32_e32 v1, 5, v87
	v_and_b32_e32 v2, 16, v2
	v_and_b32_e32 v0, 0x1a00, v0
	s_waitcnt lgkmcnt(0)
	s_add_u32 s1, s6, s8
	v_or3_b32 v2, v0, v1, v2
	s_addc_u32 s6, s7, s9
	s_lshl_b32 s2, s26, 7
	ds_read_b128 v[4:7], v2 offset:256
	s_lshl_b64 s[2:3], s[2:3], 1
	ds_read_b128 v[8:11], v2 offset:128
	ds_read_b128 v[12:15], v2
	s_add_u32 s2, s1, s2
	s_addc_u32 s3, s6, s3
	v_mov_b32_e32 v83, 0
	v_add_u32_e32 v3, s40, v87
	v_lshl_add_u64 v[0:1], s[2:3], 0, v[82:83]
	v_mad_u64_u32 v[16:17], s[2:3], v3, s0, 0
	v_lshl_add_u64 v[16:17], v[16:17], 1, v[0:1]
	s_waitcnt lgkmcnt(0)
	global_store_dwordx4 v[16:17], v[12:15], off
	s_nop 1
	v_add_u32_e32 v12, 4, v3
	v_mad_u64_u32 v[12:13], s[2:3], v12, s0, 0
	v_lshl_add_u64 v[12:13], v[12:13], 1, v[0:1]
	v_add_u32_e32 v3, 8, v3
	global_store_dwordx4 v[12:13], v[8:11], off
	s_nop 1
	v_mad_u64_u32 v[8:9], s[2:3], v3, s0, 0
	v_lshl_add_u64 v[8:9], v[8:9], 1, v[0:1]
	global_store_dwordx4 v[8:9], v[4:7], off
	s_and_b64 exec, exec, s[4:5]
	s_cbranch_execz .LBB588_20
; %bb.19:
	ds_read_b128 v[2:5], v2 offset:384
	v_add3_u32 v6, s40, v87, 12
	v_mad_u64_u32 v[6:7], s[0:1], v6, s0, 0
	v_lshl_add_u64 v[0:1], v[6:7], 1, v[0:1]
	s_waitcnt lgkmcnt(0)
	global_store_dwordx4 v[0:1], v[2:5], off
.LBB588_20:
	s_endpgm
	.section	.rodata,"a",@progbits
	.p2align	6, 0x0
	.amdhsa_kernel _Z39paged_attention_ll4mi_QKV_mfma16_kernelI14__hip_bfloat16S0_LN4vllm18Fp8KVCacheDataTypeE0EhLi16ELi128ELi256ELb1ELi13EEvPKT_PKT0_S8_ifPKiSA_SA_iPKfiiiPfSD_PS3_PT2_iSC_SC_
		.amdhsa_group_segment_fixed_size 8192
		.amdhsa_private_segment_fixed_size 0
		.amdhsa_kernarg_size 400
		.amdhsa_user_sgpr_count 2
		.amdhsa_user_sgpr_dispatch_ptr 0
		.amdhsa_user_sgpr_queue_ptr 0
		.amdhsa_user_sgpr_kernarg_segment_ptr 1
		.amdhsa_user_sgpr_dispatch_id 0
		.amdhsa_user_sgpr_kernarg_preload_length 0
		.amdhsa_user_sgpr_kernarg_preload_offset 0
		.amdhsa_user_sgpr_private_segment_size 0
		.amdhsa_uses_dynamic_stack 0
		.amdhsa_enable_private_segment 0
		.amdhsa_system_sgpr_workgroup_id_x 1
		.amdhsa_system_sgpr_workgroup_id_y 1
		.amdhsa_system_sgpr_workgroup_id_z 1
		.amdhsa_system_sgpr_workgroup_info 0
		.amdhsa_system_vgpr_workitem_id 0
		.amdhsa_next_free_vgpr 96
		.amdhsa_next_free_sgpr 42
		.amdhsa_accum_offset 96
		.amdhsa_reserve_vcc 1
		.amdhsa_float_round_mode_32 0
		.amdhsa_float_round_mode_16_64 0
		.amdhsa_float_denorm_mode_32 3
		.amdhsa_float_denorm_mode_16_64 3
		.amdhsa_dx10_clamp 1
		.amdhsa_ieee_mode 1
		.amdhsa_fp16_overflow 0
		.amdhsa_tg_split 0
		.amdhsa_exception_fp_ieee_invalid_op 0
		.amdhsa_exception_fp_denorm_src 0
		.amdhsa_exception_fp_ieee_div_zero 0
		.amdhsa_exception_fp_ieee_overflow 0
		.amdhsa_exception_fp_ieee_underflow 0
		.amdhsa_exception_fp_ieee_inexact 0
		.amdhsa_exception_int_div_zero 0
	.end_amdhsa_kernel
	.section	.text._Z39paged_attention_ll4mi_QKV_mfma16_kernelI14__hip_bfloat16S0_LN4vllm18Fp8KVCacheDataTypeE0EhLi16ELi128ELi256ELb1ELi13EEvPKT_PKT0_S8_ifPKiSA_SA_iPKfiiiPfSD_PS3_PT2_iSC_SC_,"axG",@progbits,_Z39paged_attention_ll4mi_QKV_mfma16_kernelI14__hip_bfloat16S0_LN4vllm18Fp8KVCacheDataTypeE0EhLi16ELi128ELi256ELb1ELi13EEvPKT_PKT0_S8_ifPKiSA_SA_iPKfiiiPfSD_PS3_PT2_iSC_SC_,comdat
.Lfunc_end588:
	.size	_Z39paged_attention_ll4mi_QKV_mfma16_kernelI14__hip_bfloat16S0_LN4vllm18Fp8KVCacheDataTypeE0EhLi16ELi128ELi256ELb1ELi13EEvPKT_PKT0_S8_ifPKiSA_SA_iPKfiiiPfSD_PS3_PT2_iSC_SC_, .Lfunc_end588-_Z39paged_attention_ll4mi_QKV_mfma16_kernelI14__hip_bfloat16S0_LN4vllm18Fp8KVCacheDataTypeE0EhLi16ELi128ELi256ELb1ELi13EEvPKT_PKT0_S8_ifPKiSA_SA_iPKfiiiPfSD_PS3_PT2_iSC_SC_
                                        ; -- End function
	.section	.AMDGPU.csdata,"",@progbits
; Kernel info:
; codeLenInByte = 5044
; NumSgprs: 48
; NumVgprs: 96
; NumAgprs: 0
; TotalNumVgprs: 96
; ScratchSize: 0
; MemoryBound: 0
; FloatMode: 240
; IeeeMode: 1
; LDSByteSize: 8192 bytes/workgroup (compile time only)
; SGPRBlocks: 5
; VGPRBlocks: 11
; NumSGPRsForWavesPerEU: 48
; NumVGPRsForWavesPerEU: 96
; AccumOffset: 96
; Occupancy: 5
; WaveLimiterHint : 1
; COMPUTE_PGM_RSRC2:SCRATCH_EN: 0
; COMPUTE_PGM_RSRC2:USER_SGPR: 2
; COMPUTE_PGM_RSRC2:TRAP_HANDLER: 0
; COMPUTE_PGM_RSRC2:TGID_X_EN: 1
; COMPUTE_PGM_RSRC2:TGID_Y_EN: 1
; COMPUTE_PGM_RSRC2:TGID_Z_EN: 1
; COMPUTE_PGM_RSRC2:TIDIG_COMP_CNT: 0
; COMPUTE_PGM_RSRC3_GFX90A:ACCUM_OFFSET: 23
; COMPUTE_PGM_RSRC3_GFX90A:TG_SPLIT: 0
	.section	.text._Z39paged_attention_ll4mi_QKV_mfma16_kernelI14__hip_bfloat16S0_LN4vllm18Fp8KVCacheDataTypeE0EhLi16ELi128ELi256ELb1ELi14EEvPKT_PKT0_S8_ifPKiSA_SA_iPKfiiiPfSD_PS3_PT2_iSC_SC_,"axG",@progbits,_Z39paged_attention_ll4mi_QKV_mfma16_kernelI14__hip_bfloat16S0_LN4vllm18Fp8KVCacheDataTypeE0EhLi16ELi128ELi256ELb1ELi14EEvPKT_PKT0_S8_ifPKiSA_SA_iPKfiiiPfSD_PS3_PT2_iSC_SC_,comdat
	.protected	_Z39paged_attention_ll4mi_QKV_mfma16_kernelI14__hip_bfloat16S0_LN4vllm18Fp8KVCacheDataTypeE0EhLi16ELi128ELi256ELb1ELi14EEvPKT_PKT0_S8_ifPKiSA_SA_iPKfiiiPfSD_PS3_PT2_iSC_SC_ ; -- Begin function _Z39paged_attention_ll4mi_QKV_mfma16_kernelI14__hip_bfloat16S0_LN4vllm18Fp8KVCacheDataTypeE0EhLi16ELi128ELi256ELb1ELi14EEvPKT_PKT0_S8_ifPKiSA_SA_iPKfiiiPfSD_PS3_PT2_iSC_SC_
	.globl	_Z39paged_attention_ll4mi_QKV_mfma16_kernelI14__hip_bfloat16S0_LN4vllm18Fp8KVCacheDataTypeE0EhLi16ELi128ELi256ELb1ELi14EEvPKT_PKT0_S8_ifPKiSA_SA_iPKfiiiPfSD_PS3_PT2_iSC_SC_
	.p2align	8
	.type	_Z39paged_attention_ll4mi_QKV_mfma16_kernelI14__hip_bfloat16S0_LN4vllm18Fp8KVCacheDataTypeE0EhLi16ELi128ELi256ELb1ELi14EEvPKT_PKT0_S8_ifPKiSA_SA_iPKfiiiPfSD_PS3_PT2_iSC_SC_,@function
_Z39paged_attention_ll4mi_QKV_mfma16_kernelI14__hip_bfloat16S0_LN4vllm18Fp8KVCacheDataTypeE0EhLi16ELi128ELi256ELb1ELi14EEvPKT_PKT0_S8_ifPKiSA_SA_iPKfiiiPfSD_PS3_PT2_iSC_SC_: ; @_Z39paged_attention_ll4mi_QKV_mfma16_kernelI14__hip_bfloat16S0_LN4vllm18Fp8KVCacheDataTypeE0EhLi16ELi128ELi256ELb1ELi14EEvPKT_PKT0_S8_ifPKiSA_SA_iPKfiiiPfSD_PS3_PT2_iSC_SC_
; %bb.0:
	s_load_dwordx2 s[8:9], s[0:1], 0x30
	s_mov_b32 s26, s3
	s_mov_b64 s[6:7], 0
	s_waitcnt lgkmcnt(0)
	s_cmp_lg_u64 s[8:9], 0
	s_cselect_b64 s[10:11], -1, 0
	s_and_b64 vcc, exec, s[10:11]
	s_cbranch_vccz .LBB589_7
; %bb.1:
	s_add_i32 s12, s2, 1
	s_mov_b32 s13, 0
	s_lshl_b64 s[14:15], s[12:13], 2
	s_add_u32 s14, s8, s14
	s_mov_b32 s3, s13
	s_addc_u32 s15, s9, s15
	s_lshl_b64 s[12:13], s[2:3], 2
	s_add_u32 s12, s8, s12
	s_addc_u32 s13, s9, s13
	s_load_dword s5, s[14:15], 0x0
	s_load_dword s16, s[12:13], 0x0
	s_waitcnt lgkmcnt(0)
	s_sub_i32 s5, s5, s16
	s_cmp_eq_u32 s5, 1
	s_cselect_b64 s[12:13], -1, 0
	s_andn2_b64 vcc, exec, s[6:7]
	s_cbranch_vccnz .LBB589_3
.LBB589_2:
	s_mov_b32 s3, 0
	s_mov_b64 s[12:13], -1
.LBB589_3:
	s_andn2_b64 vcc, exec, s[12:13]
	s_cbranch_vccnz .LBB589_20
; %bb.4:
	s_load_dwordx2 s[6:7], s[0:1], 0x28
	s_lshl_b64 s[12:13], s[2:3], 2
	s_waitcnt lgkmcnt(0)
	s_add_u32 s6, s6, s12
	s_addc_u32 s7, s7, s13
	s_load_dword s27, s[6:7], 0x0
	s_lshl_b32 s18, s26, 8
	s_waitcnt lgkmcnt(0)
	s_cmp_ge_i32 s18, s27
	s_cbranch_scc1 .LBB589_20
; %bb.5:
	s_load_dwordx2 s[6:7], s[0:1], 0x20
	s_load_dword s5, s[0:1], 0x38
	s_add_i32 s14, s27, 15
	s_ashr_i32 s15, s14, 31
	v_and_b32_e32 v1, 0xcf, v0
	s_lshr_b32 s15, s15, 28
	v_add_u32_e32 v1, s18, v1
	s_add_i32 s14, s14, s15
	v_ashrrev_i32_e32 v2, 31, v1
	s_ashr_i32 s19, s14, 4
	v_lshrrev_b32_e32 v4, 28, v2
	s_add_i32 s19, s19, -1
	s_waitcnt lgkmcnt(0)
	s_mul_i32 s14, s2, s5
	s_mov_b32 s15, 0
	v_add_u32_e32 v2, v1, v4
	s_lshl_b64 s[14:15], s[14:15], 2
	v_ashrrev_i32_e32 v2, 4, v2
	v_mov_b32_e32 v5, s19
	v_cmp_gt_i32_e32 vcc, s27, v1
	s_add_u32 s6, s6, s14
	s_addc_u32 s7, s7, s15
	v_cndmask_b32_e32 v2, v5, v2, vcc
	v_ashrrev_i32_e32 v3, 31, v2
	v_lshl_add_u64 v[6:7], v[2:3], 2, s[6:7]
	v_or_b32_e32 v2, 16, v1
	v_add_u32_e32 v3, v2, v4
	v_ashrrev_i32_e32 v3, 4, v3
	v_cmp_gt_i32_e32 vcc, s27, v2
	s_load_dwordx2 s[14:15], s[0:1], 0x8
	s_nop 0
	v_cndmask_b32_e32 v2, v5, v3, vcc
	v_ashrrev_i32_e32 v3, 31, v2
	v_lshl_add_u64 v[8:9], v[2:3], 2, s[6:7]
	v_or_b32_e32 v2, 32, v1
	v_add_u32_e32 v3, v2, v4
	v_ashrrev_i32_e32 v3, 4, v3
	v_cmp_gt_i32_e32 vcc, s27, v2
	v_or_b32_e32 v1, 48, v1
	s_nop 0
	v_cndmask_b32_e32 v2, v5, v3, vcc
	v_ashrrev_i32_e32 v3, 31, v2
	v_lshl_add_u64 v[10:11], v[2:3], 2, s[6:7]
	v_add_u32_e32 v2, v1, v4
	v_ashrrev_i32_e32 v2, 4, v2
	v_cmp_gt_i32_e32 vcc, s27, v1
	s_nop 1
	v_cndmask_b32_e32 v2, v5, v2, vcc
	v_ashrrev_i32_e32 v3, 31, v2
	v_lshl_add_u64 v[12:13], v[2:3], 2, s[6:7]
	global_load_dword v5, v[6:7], off
	global_load_dword v4, v[8:9], off
	;; [unrolled: 1-line block ×4, first 2 shown]
	s_andn2_b64 vcc, exec, s[10:11]
	s_cbranch_vccnz .LBB589_8
; %bb.6:
	s_add_u32 s8, s8, s12
	s_addc_u32 s9, s9, s13
	s_load_dword s5, s[8:9], 0x0
	s_branch .LBB589_9
.LBB589_7:
	s_mov_b64 s[12:13], 0
	s_branch .LBB589_2
.LBB589_8:
	s_mov_b32 s5, s2
.LBB589_9:
	s_load_dwordx2 s[12:13], s[0:1], 0x10
	s_load_dwordx4 s[8:11], s[0:1], 0x48
	v_lshrrev_b32_e32 v85, 6, v0
	v_bfe_u32 v88, v0, 4, 2
	v_and_b32_e32 v84, 15, v0
	v_lshl_or_b32 v1, v85, 2, v88
	v_lshlrev_b32_e32 v6, 3, v84
	s_mul_i32 s40, s4, 14
	v_cmp_gt_u32_e32 vcc, 14, v1
	v_lshlrev_b32_e32 v82, 1, v6
	s_and_saveexec_b64 s[16:17], vcc
	s_cbranch_execz .LBB589_11
; %bb.10:
	s_load_dwordx2 s[20:21], s[0:1], 0x0
	s_waitcnt lgkmcnt(0)
	s_ashr_i32 s11, s8, 31
	s_mul_hi_u32 s22, s5, s8
	s_mul_i32 s11, s5, s11
	s_add_i32 s23, s22, s11
	s_mul_i32 s22, s5, s8
	s_lshl_b64 s[22:23], s[22:23], 1
	s_add_u32 s20, s20, s22
	v_add_lshl_u32 v6, v1, s40, 7
	s_addc_u32 s21, s21, s23
	v_ashrrev_i32_e32 v7, 31, v6
	v_lshl_add_u64 v[6:7], v[6:7], 1, s[20:21]
	v_mov_b32_e32 v83, 0
	v_lshl_add_u64 v[6:7], v[6:7], 0, v[82:83]
	global_load_dwordx4 v[6:9], v[6:7], off
	v_and_b32_e32 v10, 3, v0
	v_lshlrev_b32_e32 v11, 9, v84
	v_lshlrev_b32_e32 v1, 5, v1
	;; [unrolled: 1-line block ×3, first 2 shown]
	v_and_b32_e32 v11, 0x1800, v11
	v_or3_b32 v1, v11, v10, v1
	s_waitcnt vmcnt(0)
	ds_write_b128 v1, v[6:9]
.LBB589_11:
	s_or_b64 exec, exec, s[16:17]
	s_waitcnt lgkmcnt(0)
	s_mul_i32 s4, s4, s10
	s_mov_b32 s5, 0
	s_lshl_b64 s[4:5], s[4:5], 1
	s_add_u32 s10, s14, s4
	v_lshlrev_b32_e32 v1, 4, v0
	s_addc_u32 s11, s15, s5
	v_and_b32_e32 v86, 0xf0, v1
	v_mov_b32_e32 v87, 0
	v_lshl_add_u64 v[6:7], s[10:11], 0, v[86:87]
	s_waitcnt vmcnt(3)
	v_mad_i64_i32 v[8:9], s[10:11], v5, s9, 0
	s_waitcnt vmcnt(2)
	v_mad_i64_i32 v[4:5], s[10:11], v4, s9, 0
	v_lshl_add_u64 v[8:9], v[8:9], 1, v[6:7]
	v_and_b32_e32 v86, 0x300, v1
	v_lshl_add_u64 v[4:5], v[4:5], 1, v[6:7]
	v_lshl_add_u64 v[8:9], v[8:9], 0, v[86:87]
	;; [unrolled: 1-line block ×3, first 2 shown]
	s_barrier
	global_load_dwordx4 v[78:81], v[8:9], off
	global_load_dwordx4 v[74:77], v[8:9], off offset:1024
	global_load_dwordx4 v[70:73], v[8:9], off offset:2048
	;; [unrolled: 1-line block ×3, first 2 shown]
	global_load_dwordx4 v[66:69], v[4:5], off
	global_load_dwordx4 v[62:65], v[4:5], off offset:1024
	global_load_dwordx4 v[58:61], v[4:5], off offset:2048
	;; [unrolled: 1-line block ×3, first 2 shown]
	s_waitcnt vmcnt(9)
	v_mad_i64_i32 v[4:5], s[10:11], v3, s9, 0
	s_waitcnt vmcnt(8)
	v_mad_i64_i32 v[2:3], s[10:11], v2, s9, 0
	v_lshl_add_u64 v[4:5], v[4:5], 1, v[6:7]
	v_lshl_add_u64 v[2:3], v[2:3], 1, v[6:7]
	;; [unrolled: 1-line block ×4, first 2 shown]
	global_load_dwordx4 v[30:33], v[4:5], off
	global_load_dwordx4 v[26:29], v[4:5], off offset:1024
	global_load_dwordx4 v[22:25], v[4:5], off offset:2048
	;; [unrolled: 1-line block ×3, first 2 shown]
	global_load_dwordx4 v[6:9], v[34:35], off
	s_nop 0
	global_load_dwordx4 v[2:5], v[34:35], off offset:1024
	global_load_dwordx4 v[38:41], v[34:35], off offset:2048
	s_nop 0
	global_load_dwordx4 v[34:37], v[34:35], off offset:3072
	v_add_u32_e32 v42, -14, v84
	v_cmp_gt_u32_e32 vcc, 14, v84
	v_and_b32_e32 v83, 63, v0
	v_mov_b32_e32 v89, 0
	v_cndmask_b32_e32 v42, v42, v84, vcc
	v_lshlrev_b32_e32 v42, 5, v42
	v_lshl_add_u32 v42, v88, 9, v42
	ds_read_b128 v[54:57], v42
	ds_read_b128 v[50:53], v42 offset:2048
	ds_read_b128 v[46:49], v42 offset:4096
	;; [unrolled: 1-line block ×3, first 2 shown]
	s_and_saveexec_b64 s[10:11], vcc
	s_cbranch_execz .LBB589_13
; %bb.12:
	s_load_dwordx2 s[14:15], s[0:1], 0x40
	v_add_u32_e32 v90, s40, v84
	v_ashrrev_i32_e32 v91, 31, v90
	s_waitcnt lgkmcnt(0)
	v_lshl_add_u64 v[90:91], v[90:91], 2, s[14:15]
	global_load_dword v89, v[90:91], off
.LBB589_13:
	s_or_b64 exec, exec, s[10:11]
	s_waitcnt vmcnt(15) lgkmcnt(3)
	v_mfma_f32_16x16x16_bf16 v[90:93], v[78:79], v[54:55], 0
	s_add_u32 s4, s12, s4
	s_addc_u32 s5, s13, s5
	s_mov_b32 s33, 0xff7fffff
	v_mfma_f32_16x16x16_bf16 v[78:81], v[80:81], v[56:57], v[90:93]
	s_waitcnt vmcnt(14) lgkmcnt(2)
	v_mfma_f32_16x16x16_bf16 v[78:81], v[74:75], v[50:51], v[78:81]
	s_nop 0
	v_lshl_or_b32 v90, v85, 4, v84
	v_lshlrev_b32_e32 v86, 5, v90
	v_mfma_f32_16x16x16_bf16 v[74:77], v[76:77], v[52:53], v[78:81]
	s_waitcnt vmcnt(13) lgkmcnt(1)
	v_mfma_f32_16x16x16_bf16 v[74:77], v[70:71], v[46:47], v[74:77]
	v_mfma_f32_16x16x16_bf16 v[70:73], v[72:73], v[48:49], v[74:77]
	s_waitcnt vmcnt(11)
	v_mfma_f32_16x16x16_bf16 v[74:77], v[66:67], v[54:55], 0
	v_mfma_f32_16x16x16_bf16 v[66:69], v[68:69], v[56:57], v[74:77]
	s_nop 5
	v_and_or_b32 v74, v0, 48, s18
	s_waitcnt lgkmcnt(0)
	v_mfma_f32_16x16x16_bf16 v[70:73], v[10:11], v[42:43], v[70:73]
	v_ashrrev_i32_e32 v10, 4, v74
	v_mov_b32_e32 v75, s19
	v_cmp_gt_i32_e32 vcc, s27, v74
	s_waitcnt vmcnt(10)
	v_mfma_f32_16x16x16_bf16 v[66:69], v[62:63], v[50:51], v[66:69]
	v_cndmask_b32_e32 v10, v75, v10, vcc
	v_ashrrev_i32_e32 v11, 31, v10
	v_lshl_add_u64 v[10:11], v[10:11], 2, s[6:7]
	global_load_dword v76, v[10:11], off
	v_mfma_f32_16x16x16_bf16 v[62:65], v[64:65], v[52:53], v[66:69]
	v_or_b32_e32 v10, 64, v74
	v_ashrrev_i32_e32 v11, 4, v10
	v_cmp_gt_i32_e32 vcc, s27, v10
	s_waitcnt vmcnt(10)
	v_mfma_f32_16x16x16_bf16 v[62:65], v[58:59], v[46:47], v[62:65]
	v_cndmask_b32_e32 v10, v75, v11, vcc
	v_ashrrev_i32_e32 v11, 31, v10
	v_lshl_add_u64 v[10:11], v[10:11], 2, s[6:7]
	global_load_dword v78, v[10:11], off
	v_or_b32_e32 v10, 0x80, v74
	v_mfma_f32_16x16x16_bf16 v[58:61], v[60:61], v[48:49], v[62:65]
	v_ashrrev_i32_e32 v11, 4, v10
	v_cmp_gt_i32_e32 vcc, s27, v10
	s_waitcnt vmcnt(9)
	v_mfma_f32_16x16x16_bf16 v[62:65], v[30:31], v[54:55], 0
	v_cndmask_b32_e32 v10, v75, v11, vcc
	v_ashrrev_i32_e32 v11, 31, v10
	v_lshl_add_u64 v[10:11], v[10:11], 2, s[6:7]
	v_mfma_f32_16x16x16_bf16 v[30:33], v[32:33], v[56:57], v[62:65]
	s_nop 2
	global_load_dword v62, v[10:11], off
	v_or_b32_e32 v10, 0xc0, v74
	v_ashrrev_i32_e32 v11, 4, v10
	v_cmp_gt_i32_e32 vcc, s27, v10
	s_waitcnt vmcnt(9)
	v_mfma_f32_16x16x16_bf16 v[30:33], v[26:27], v[50:51], v[30:33]
	v_cndmask_b32_e32 v10, v75, v11, vcc
	v_ashrrev_i32_e32 v11, 31, v10
	v_lshl_add_u64 v[10:11], v[10:11], 2, s[6:7]
	global_load_dword v63, v[10:11], off
	v_mfma_f32_16x16x16_bf16 v[26:29], v[28:29], v[52:53], v[30:33]
	s_load_dword s6, s[0:1], 0x1c
	s_waitcnt vmcnt(3)
	v_mad_i64_i32 v[10:11], s[10:11], v76, s9, 0
	v_mfma_f32_16x16x16_bf16 v[26:29], v[22:23], v[46:47], v[26:29]
	v_lshlrev_b64 v[76:77], 1, v[10:11]
	v_mfma_f32_16x16x16_bf16 v[64:67], v[12:13], v[44:45], v[70:73]
	v_mfma_f32_16x16x16_bf16 v[10:13], v[24:25], v[48:49], v[26:29]
	s_nop 1
	v_lshl_add_u64 v[72:73], s[4:5], 0, v[86:87]
	v_or_b32_e32 v86, 0x800, v86
	v_mfma_f32_16x16x16_bf16 v[30:33], v[14:15], v[42:43], v[58:61]
	v_lshl_add_u64 v[14:15], v[72:73], 0, v[76:77]
	v_mfma_f32_16x16x16_bf16 v[10:13], v[18:19], v[42:43], v[10:13]
	v_mfma_f32_16x16x16_bf16 v[68:71], v[16:17], v[44:45], v[30:33]
	s_nop 3
	global_load_dwordx4 v[30:33], v[14:15], off
	global_load_dwordx4 v[26:29], v[14:15], off offset:16
	s_waitcnt vmcnt(4)
	v_mad_i64_i32 v[14:15], s[10:11], v78, s9, 0
	v_lshlrev_b64 v[58:59], 1, v[14:15]
	v_mfma_f32_16x16x16_bf16 v[92:95], v[20:21], v[44:45], v[10:13]
	s_waitcnt lgkmcnt(0)
	v_pk_mul_f32 v[78:79], s[6:7], v[66:67] op_sel_hi:[0,1]
	s_nop 0
	v_lshl_add_u64 v[10:11], v[72:73], 0, v[58:59]
	global_load_dwordx4 v[22:25], v[10:11], off
	global_load_dwordx4 v[18:21], v[10:11], off offset:16
	v_mfma_f32_16x16x16_bf16 v[10:13], v[6:7], v[54:55], 0
	s_waitcnt vmcnt(5)
	v_mad_i64_i32 v[6:7], s[10:11], v62, s9, 0
	v_lshlrev_b64 v[54:55], 1, v[6:7]
	v_mfma_f32_16x16x16_bf16 v[6:9], v[8:9], v[56:57], v[10:13]
	v_mfma_f32_16x16x16_bf16 v[6:9], v[2:3], v[50:51], v[6:9]
	s_waitcnt vmcnt(4)
	v_mad_i64_i32 v[2:3], s[8:9], v63, s9, 0
	v_lshlrev_b64 v[50:51], 1, v[2:3]
	v_mfma_f32_16x16x16_bf16 v[60:63], v[4:5], v[52:53], v[6:9]
	v_lshl_add_u64 v[10:11], v[72:73], 0, v[54:55]
	v_lshl_add_u64 v[2:3], v[72:73], 0, v[50:51]
	v_pk_mul_f32 v[52:53], s[6:7], v[64:65] op_sel_hi:[0,1]
	v_mfma_f32_16x16x16_bf16 v[72:75], v[38:39], v[46:47], v[60:63]
	global_load_dwordx4 v[14:17], v[10:11], off
	s_nop 0
	global_load_dwordx4 v[10:13], v[10:11], off offset:16
	v_lshl_add_u64 v[62:63], s[4:5], 0, v[86:87]
	v_lshl_add_u64 v[38:39], v[62:63], 0, v[76:77]
	v_mfma_f32_16x16x16_bf16 v[46:49], v[40:41], v[48:49], v[72:75]
	v_pk_mul_f32 v[76:77], s[6:7], v[68:69] op_sel_hi:[0,1]
	v_lshl_add_u64 v[54:55], v[62:63], 0, v[54:55]
	v_lshl_add_u64 v[50:51], v[62:63], 0, v[50:51]
	v_mfma_f32_16x16x16_bf16 v[40:43], v[34:35], v[42:43], v[46:49]
	v_pk_mul_f32 v[74:75], s[6:7], v[70:71] op_sel_hi:[0,1]
	v_pk_mul_f32 v[70:71], s[6:7], v[94:95] op_sel_hi:[0,1]
	;; [unrolled: 1-line block ×3, first 2 shown]
	v_mfma_f32_16x16x16_bf16 v[34:37], v[36:37], v[44:45], v[40:43]
	global_load_dwordx4 v[6:9], v[2:3], off
	s_nop 0
	global_load_dwordx4 v[2:5], v[2:3], off offset:16
	s_nop 3
	v_pk_mul_f32 v[68:69], s[6:7], v[34:35] op_sel_hi:[0,1]
	v_and_b32_e32 v34, 0xc0, v0
	v_add_u32_e32 v34, s18, v34
	v_lshl_or_b32 v34, v88, 2, v34
	v_or_b32_e32 v35, 1, v34
	v_pk_mul_f32 v[66:67], s[6:7], v[36:37] op_sel_hi:[0,1]
	v_subrev_u32_e32 v36, s27, v35
	v_add_u32_e32 v40, 1, v36
	v_add_u32_e32 v41, 2, v36
	v_cvt_f32_i32_e32 v37, v36
	v_cvt_f32_i32_e32 v40, v40
	;; [unrolled: 1-line block ×3, first 2 shown]
	v_add_u32_e32 v42, 3, v36
	v_fma_f32 v52, v89, v37, v52
	v_fmac_f32_e32 v53, v89, v40
	v_fma_f32 v78, v89, v41, v78
	v_add_u32_e32 v37, 16, v36
	v_add_u32_e32 v40, 17, v36
	;; [unrolled: 1-line block ×3, first 2 shown]
	v_cvt_f32_i32_e32 v42, v42
	v_cvt_f32_i32_e32 v37, v37
	v_cvt_f32_i32_e32 v40, v40
	v_cvt_f32_i32_e32 v41, v41
	v_fmac_f32_e32 v79, v89, v42
	v_add_u32_e32 v42, 19, v36
	v_fma_f32 v76, v89, v37, v76
	v_fmac_f32_e32 v77, v89, v40
	v_fma_f32 v74, v89, v41, v74
	v_add_u32_e32 v37, 32, v36
	v_add_u32_e32 v40, 33, v36
	v_add_u32_e32 v41, 34, v36
	v_cvt_f32_i32_e32 v42, v42
	v_cvt_f32_i32_e32 v37, v37
	;; [unrolled: 1-line block ×4, first 2 shown]
	v_fmac_f32_e32 v75, v89, v42
	v_add_u32_e32 v42, 35, v36
	v_fma_f32 v72, v89, v37, v72
	v_fmac_f32_e32 v73, v89, v40
	v_fma_f32 v70, v89, v41, v70
	v_add_u32_e32 v37, 48, v36
	v_add_u32_e32 v40, 49, v36
	;; [unrolled: 1-line block ×4, first 2 shown]
	v_cvt_f32_i32_e32 v36, v36
	v_cvt_f32_i32_e32 v37, v37
	;; [unrolled: 1-line block ×3, first 2 shown]
	v_cmp_gt_i32_e64 s[28:29], s27, v34
	v_fmac_f32_e32 v67, v89, v36
	v_mov_b32_e32 v36, 0xff7fffff
	v_cmp_gt_i32_e64 s[30:31], s27, v35
	v_fma_f32 v68, v89, v37, v68
	v_cndmask_b32_e64 v37, v36, v52, s[28:29]
	v_cndmask_b32_e64 v35, v36, v53, s[30:31]
	v_fmac_f32_e32 v69, v89, v40
	v_max3_f32 v35, v37, s33, v35
	v_or_b32_e32 v37, 2, v34
	v_or_b32_e32 v40, 3, v34
	v_cmp_gt_i32_e64 s[34:35], s27, v37
	v_cmp_gt_i32_e64 s[36:37], s27, v40
	v_cvt_f32_i32_e32 v42, v42
	v_cndmask_b32_e64 v37, v36, v78, s[34:35]
	v_cndmask_b32_e64 v40, v36, v79, s[36:37]
	v_max3_f32 v35, v35, v37, v40
	v_or_b32_e32 v37, 16, v34
	v_or_b32_e32 v40, 17, v34
	v_cmp_gt_i32_e64 s[22:23], s27, v37
	v_cmp_gt_i32_e64 s[24:25], s27, v40
	v_fmac_f32_e32 v71, v89, v42
	v_cndmask_b32_e64 v37, v36, v76, s[22:23]
	v_cndmask_b32_e64 v40, v36, v77, s[24:25]
	v_max3_f32 v35, v35, v37, v40
	v_or_b32_e32 v37, 18, v34
	v_or_b32_e32 v40, 19, v34
	v_cmp_gt_i32_e64 s[18:19], s27, v37
	v_cmp_gt_i32_e64 s[20:21], s27, v40
	v_cvt_f32_i32_e32 v41, v41
	v_cndmask_b32_e64 v37, v36, v74, s[18:19]
	v_cndmask_b32_e64 v40, v36, v75, s[20:21]
	v_max3_f32 v35, v35, v37, v40
	v_or_b32_e32 v37, 32, v34
	v_or_b32_e32 v40, 33, v34
	v_cmp_gt_i32_e64 s[14:15], s27, v37
	v_cmp_gt_i32_e64 s[16:17], s27, v40
	v_fma_f32 v66, v89, v41, v66
	v_cndmask_b32_e64 v37, v36, v72, s[14:15]
	v_cndmask_b32_e64 v40, v36, v73, s[16:17]
	v_max3_f32 v35, v35, v37, v40
	v_or_b32_e32 v37, 34, v34
	v_or_b32_e32 v40, 35, v34
	v_cmp_gt_i32_e64 s[10:11], s27, v37
	v_cmp_gt_i32_e64 s[12:13], s27, v40
	s_nop 0
	v_cndmask_b32_e64 v37, v36, v70, s[10:11]
	v_cndmask_b32_e64 v40, v36, v71, s[12:13]
	v_max3_f32 v35, v35, v37, v40
	v_or_b32_e32 v37, 48, v34
	v_or_b32_e32 v40, 49, v34
	v_cmp_gt_i32_e64 s[6:7], s27, v37
	v_cmp_gt_i32_e64 s[8:9], s27, v40
	s_nop 0
	v_cndmask_b32_e64 v37, v36, v68, s[6:7]
	v_cndmask_b32_e64 v40, v36, v69, s[8:9]
	v_max3_f32 v35, v35, v37, v40
	v_or_b32_e32 v37, 50, v34
	v_or_b32_e32 v34, 51, v34
	v_cmp_gt_i32_e32 vcc, s27, v37
	v_cmp_gt_i32_e64 s[4:5], s27, v34
	global_load_dwordx4 v[46:49], v[38:39], off
	s_nop 0
	global_load_dwordx4 v[38:41], v[38:39], off offset:16
	v_cndmask_b32_e32 v37, v36, v66, vcc
	v_cndmask_b32_e64 v34, v36, v67, s[4:5]
	v_max3_f32 v56, v35, v37, v34
	v_mbcnt_lo_u32_b32 v34, -1, 0
	v_mbcnt_hi_u32_b32 v57, -1, v34
	v_and_b32_e32 v34, 64, v57
	v_add_u32_e32 v60, 64, v34
	v_xor_b32_e32 v34, 32, v57
	v_cmp_lt_i32_e64 s[38:39], v34, v60
	s_nop 1
	v_cndmask_b32_e64 v34, v57, v34, s[38:39]
	v_lshlrev_b32_e32 v87, 2, v34
	ds_bpermute_b32 v61, v87, v56
	v_lshl_add_u64 v[34:35], v[62:63], 0, v[58:59]
	global_load_dwordx4 v[42:45], v[34:35], off
	s_nop 0
	global_load_dwordx4 v[34:37], v[34:35], off offset:16
	s_waitcnt lgkmcnt(0)
	v_max_f32_e32 v58, v61, v61
	v_max_f32_e32 v64, v56, v58
	v_xor_b32_e32 v56, 16, v57
	v_cmp_lt_i32_e64 s[38:39], v56, v60
	s_nop 1
	v_cndmask_b32_e64 v56, v57, v56, s[38:39]
	v_lshlrev_b32_e32 v89, 2, v56
	ds_bpermute_b32 v65, v89, v64
	global_load_dwordx4 v[58:61], v[54:55], off
	s_nop 0
	global_load_dwordx4 v[54:57], v[54:55], off offset:16
	s_waitcnt lgkmcnt(0)
	v_max_f32_e32 v62, v65, v65
	v_max_f32_e32 v86, v64, v62
	v_sub_f32_e32 v52, v52, v86
	v_mul_f32_e32 v52, 0x3fb8aa3b, v52
	v_exp_f32_e32 v80, v52
	v_sub_f32_e32 v52, v53, v86
	v_mul_f32_e32 v52, 0x3fb8aa3b, v52
	v_exp_f32_e32 v81, v52
	global_load_dwordx4 v[62:65], v[50:51], off
	s_nop 0
	global_load_dwordx4 v[50:53], v[50:51], off offset:16
	v_sub_f32_e32 v78, v78, v86
	v_mul_f32_e32 v78, 0x3fb8aa3b, v78
	v_sub_f32_e32 v79, v79, v86
	v_exp_f32_e32 v78, v78
	v_mul_f32_e32 v79, 0x3fb8aa3b, v79
	v_sub_f32_e32 v76, v76, v86
	v_exp_f32_e32 v79, v79
	v_mul_f32_e32 v76, 0x3fb8aa3b, v76
	v_sub_f32_e32 v77, v77, v86
	v_cndmask_b32_e64 v80, 0, v80, s[28:29]
	v_exp_f32_e32 v76, v76
	v_mul_f32_e32 v77, 0x3fb8aa3b, v77
	v_sub_f32_e32 v74, v74, v86
	v_add_f32_e32 v91, 0, v80
	v_cndmask_b32_e64 v81, 0, v81, s[30:31]
	v_exp_f32_e32 v77, v77
	v_mul_f32_e32 v74, 0x3fb8aa3b, v74
	v_sub_f32_e32 v75, v75, v86
	v_add_f32_e32 v91, v91, v81
	;; [unrolled: 5-line block ×10, first 2 shown]
	v_cndmask_b32_e64 v70, 0, v70, s[10:11]
	v_exp_f32_e32 v66, v66
	v_mul_f32_e32 v67, 0x3fb8aa3b, v67
	v_add_f32_e32 v91, v91, v70
	v_cndmask_b32_e64 v71, 0, v71, s[12:13]
	v_exp_f32_e32 v67, v67
	v_add_f32_e32 v91, v91, v71
	v_cndmask_b32_e64 v68, 0, v68, s[6:7]
	v_add_f32_e32 v91, v91, v68
	v_cndmask_b32_e64 v69, 0, v69, s[8:9]
	v_add_f32_e32 v91, v91, v69
	v_cndmask_b32_e32 v66, 0, v66, vcc
	v_add_f32_e32 v91, v91, v66
	v_cndmask_b32_e64 v67, 0, v67, s[4:5]
	v_add_f32_e32 v91, v91, v67
	ds_bpermute_b32 v87, v87, v91
	s_load_dword s7, s[0:1], 0x98
	v_cmp_gt_u32_e32 vcc, 16, v83
	s_waitcnt lgkmcnt(0)
	s_barrier
	v_add_f32_e32 v87, v91, v87
	ds_bpermute_b32 v89, v89, v87
	s_waitcnt lgkmcnt(0)
	s_and_saveexec_b64 s[4:5], vcc
	s_cbranch_execz .LBB589_15
; %bb.14:
	v_add_f32_e32 v83, v87, v89
	v_lshlrev_b32_e32 v87, 2, v90
	ds_write2st64_b32 v87, v86, v83 offset1:1
.LBB589_15:
	s_or_b64 exec, exec, s[4:5]
	v_lshlrev_b32_e32 v89, 2, v84
	s_load_dword s6, s[0:1], 0x94
	s_waitcnt lgkmcnt(0)
	s_barrier
	ds_read2_b32 v[86:87], v89 offset1:16
	ds_read2_b32 v[90:91], v89 offset0:32 offset1:48
	ds_read2_b32 v[92:93], v89 offset0:64 offset1:80
	;; [unrolled: 1-line block ×3, first 2 shown]
	s_movk_i32 s8, 0x7fff
	s_waitcnt lgkmcnt(3)
	v_max3_f32 v83, v86, s33, v87
	s_waitcnt lgkmcnt(2)
	v_max3_f32 v83, v83, v90, v91
	v_sub_f32_e32 v86, v86, v83
	v_mul_f32_e32 v86, 0x3fb8aa3b, v86
	v_exp_f32_e32 v1, v86
	v_sub_f32_e32 v86, v87, v83
	v_mul_f32_e32 v86, 0x3fb8aa3b, v86
	v_exp_f32_e32 v87, v86
	;; [unrolled: 3-line block ×4, first 2 shown]
	s_waitcnt lgkmcnt(1)
	v_fma_f32 v86, v1, v92, 0
	v_fmac_f32_e32 v86, v87, v93
	s_waitcnt lgkmcnt(0)
	v_fmac_f32_e32 v86, v90, v94
	v_fmac_f32_e32 v86, v89, v95
	v_add_f32_e32 v91, 0x358637bd, v86
	v_div_scale_f32 v92, s[4:5], v91, v91, 1.0
	v_rcp_f32_e32 v93, v92
	s_mov_b32 s9, 0x7060302
	s_mul_i32 s7, s7, 14
	v_fma_f32 v94, -v92, v93, 1.0
	v_fmac_f32_e32 v93, v94, v93
	v_div_scale_f32 v94, vcc, 1.0, v91, 1.0
	v_mul_f32_e32 v95, v94, v93
	v_fma_f32 v88, -v92, v95, v94
	v_fmac_f32_e32 v95, v88, v93
	v_fma_f32 v88, -v92, v95, v94
	v_div_fmas_f32 v88, v88, v93, v95
	v_cmp_eq_u32_e32 vcc, 1, v85
	v_div_fixup_f32 v88, v88, v91, 1.0
	s_barrier
	v_cndmask_b32_e32 v1, v1, v87, vcc
	v_cmp_eq_u32_e32 vcc, 2, v85
	s_nop 1
	v_cndmask_b32_e32 v1, v1, v90, vcc
	v_cmp_eq_u32_e32 vcc, 3, v85
	s_nop 1
	v_cndmask_b32_e32 v1, v1, v89, vcc
	v_mul_f32_e32 v90, v1, v88
	v_pk_mul_f32 v[80:81], v[90:91], v[80:81] op_sel_hi:[0,1]
	v_bfe_u32 v1, v81, 16, 1
	v_bfe_u32 v87, v80, 16, 1
	v_pk_mul_f32 v[78:79], v[90:91], v[78:79] op_sel_hi:[0,1]
	v_add3_u32 v80, v80, v87, s8
	v_add3_u32 v1, v81, v1, s8
	v_perm_b32 v80, v1, v80, s9
	v_bfe_u32 v1, v79, 16, 1
	v_bfe_u32 v81, v78, 16, 1
	v_add3_u32 v78, v78, v81, s8
	v_add3_u32 v1, v79, v1, s8
	v_bfe_u32 v87, v0, 4, 2
	v_perm_b32 v81, v1, v78, s9
	v_lshlrev_b32_e32 v1, 3, v87
	v_lshlrev_b32_e32 v79, 5, v84
	;; [unrolled: 1-line block ×3, first 2 shown]
	v_pk_mul_f32 v[76:77], v[90:91], v[76:77] op_sel_hi:[0,1]
	v_or3_b32 v78, v78, v79, v1
	v_bfe_u32 v1, v77, 16, 1
	v_bfe_u32 v85, v76, 16, 1
	v_pk_mul_f32 v[74:75], v[90:91], v[74:75] op_sel_hi:[0,1]
	v_add3_u32 v76, v76, v85, s8
	v_add3_u32 v1, v77, v1, s8
	v_perm_b32 v76, v1, v76, s9
	v_bfe_u32 v1, v75, 16, 1
	v_bfe_u32 v77, v74, 16, 1
	v_add3_u32 v74, v74, v77, s8
	v_add3_u32 v1, v75, v1, s8
	v_pk_mul_f32 v[72:73], v[90:91], v[72:73] op_sel_hi:[0,1]
	v_perm_b32 v77, v1, v74, s9
	v_bfe_u32 v1, v73, 16, 1
	v_bfe_u32 v74, v72, 16, 1
	v_pk_mul_f32 v[70:71], v[90:91], v[70:71] op_sel_hi:[0,1]
	v_add3_u32 v72, v72, v74, s8
	v_add3_u32 v1, v73, v1, s8
	v_perm_b32 v72, v1, v72, s9
	v_bfe_u32 v1, v71, 16, 1
	v_bfe_u32 v73, v70, 16, 1
	v_add3_u32 v70, v70, v73, s8
	v_add3_u32 v1, v71, v1, s8
	v_pk_mul_f32 v[68:69], v[90:91], v[68:69] op_sel_hi:[0,1]
	v_perm_b32 v73, v1, v70, s9
	v_bfe_u32 v1, v69, 16, 1
	v_bfe_u32 v70, v68, 16, 1
	v_pk_mul_f32 v[66:67], v[90:91], v[66:67] op_sel_hi:[0,1]
	v_add3_u32 v68, v68, v70, s8
	v_add3_u32 v1, v69, v1, s8
	v_perm_b32 v68, v1, v68, s9
	v_bfe_u32 v1, v67, 16, 1
	v_bfe_u32 v69, v66, 16, 1
	v_add3_u32 v66, v66, v69, s8
	v_add3_u32 v1, v67, v1, s8
	v_perm_b32 v69, v1, v66, s9
	v_cmp_gt_u32_e32 vcc, 14, v0
	ds_write2st64_b64 v78, v[80:81], v[76:77] offset1:1
	ds_write2st64_b64 v78, v[72:73], v[68:69] offset0:2 offset1:3
	s_and_saveexec_b64 s[4:5], vcc
	s_cbranch_execz .LBB589_17
; %bb.16:
	s_mov_b32 s41, 0
	v_mov_b32_e32 v85, 0
	v_lshl_add_u64 v[66:67], s[40:41], 0, v[84:85]
	v_mov_b32_e32 v1, s7
	v_mad_u64_u32 v[66:67], s[10:11], s2, v1, v[66:67]
	s_mul_i32 s3, s3, s7
	v_mov_b32_e32 v68, s26
	v_mov_b32_e32 v69, v85
	s_load_dwordx4 s[12:15], s[0:1], 0x58
	v_add_u32_e32 v1, s3, v67
	v_mad_u64_u32 v[66:67], s[10:11], v66, s6, v[68:69]
	v_mov_b32_e32 v68, v67
	v_mad_u64_u32 v[68:69], s[10:11], v1, s6, v[68:69]
	v_mov_b32_e32 v67, v68
	v_lshlrev_b64 v[66:67], 2, v[66:67]
	s_waitcnt lgkmcnt(0)
	v_lshl_add_u64 v[68:69], s[14:15], 0, v[66:67]
	v_lshl_add_u64 v[66:67], s[12:13], 0, v[66:67]
	global_store_dword v[68:69], v83, off
	global_store_dword v[66:67], v86, off
.LBB589_17:
	s_or_b64 exec, exec, s[4:5]
	v_lshl_or_b32 v1, v87, 9, v79
	s_waitcnt lgkmcnt(0)
	s_barrier
	ds_read_b128 v[70:73], v1
	ds_read_b128 v[66:69], v1 offset:16
	s_waitcnt vmcnt(15) lgkmcnt(1)
	v_mfma_f32_16x16x16_bf16 v[74:77], v[30:31], v[70:71], 0
	s_mov_b32 s3, 0
	v_cmp_gt_u32_e32 vcc, 64, v0
	v_mfma_f32_16x16x16_bf16 v[30:33], v[32:33], v[72:73], v[74:77]
	s_waitcnt vmcnt(14) lgkmcnt(0)
	v_mfma_f32_16x16x16_bf16 v[30:33], v[26:27], v[66:67], v[30:33]
	v_mfma_f32_16x16x16_bf16 v[26:29], v[28:29], v[68:69], v[30:33]
	s_nop 5
	ds_read_b128 v[30:33], v1 offset:2048
	ds_read_b128 v[74:77], v1 offset:2064
	s_waitcnt vmcnt(13) lgkmcnt(1)
	v_mfma_f32_16x16x16_bf16 v[26:29], v[22:23], v[30:31], v[26:29]
	v_mfma_f32_16x16x16_bf16 v[22:25], v[24:25], v[32:33], v[26:29]
	s_waitcnt vmcnt(12) lgkmcnt(0)
	v_mfma_f32_16x16x16_bf16 v[22:25], v[18:19], v[74:75], v[22:25]
	v_mfma_f32_16x16x16_bf16 v[18:21], v[20:21], v[76:77], v[22:25]
	s_nop 5
	ds_read_b128 v[22:25], v1 offset:4096
	ds_read_b128 v[26:29], v1 offset:4112
	s_waitcnt vmcnt(11) lgkmcnt(1)
	v_mfma_f32_16x16x16_bf16 v[18:21], v[14:15], v[22:23], v[18:21]
	v_mfma_f32_16x16x16_bf16 v[14:17], v[16:17], v[24:25], v[18:21]
	s_waitcnt vmcnt(10) lgkmcnt(0)
	v_mfma_f32_16x16x16_bf16 v[14:17], v[10:11], v[26:27], v[14:17]
	v_mfma_f32_16x16x16_bf16 v[10:13], v[12:13], v[28:29], v[14:17]
	s_nop 5
	ds_read_b128 v[14:17], v1 offset:6144
	ds_read_b128 v[18:21], v1 offset:6160
	s_waitcnt lgkmcnt(0)
	s_barrier
	s_waitcnt vmcnt(9)
	v_mfma_f32_16x16x16_bf16 v[10:13], v[6:7], v[14:15], v[10:13]
	v_mfma_f32_16x16x16_bf16 v[6:9], v[8:9], v[16:17], v[10:13]
	s_waitcnt vmcnt(8)
	v_mfma_f32_16x16x16_bf16 v[6:9], v[2:3], v[18:19], v[6:9]
	v_mfma_f32_16x16x16_bf16 v[2:5], v[4:5], v[20:21], v[6:9]
	;; [unrolled: 3-line block ×3, first 2 shown]
	s_nop 3
	v_bfe_u32 v1, v3, 16, 1
	v_bfe_u32 v10, v2, 16, 1
	v_add3_u32 v2, v2, v10, s8
	s_waitcnt vmcnt(6)
	v_mfma_f32_16x16x16_bf16 v[6:9], v[38:39], v[66:67], v[6:9]
	v_add3_u32 v1, v3, v1, s8
	v_perm_b32 v10, v1, v2, s9
	v_bfe_u32 v1, v5, 16, 1
	v_mfma_f32_16x16x16_bf16 v[6:9], v[40:41], v[68:69], v[6:9]
	v_bfe_u32 v2, v4, 16, 1
	v_add3_u32 v2, v4, v2, s8
	v_add3_u32 v1, v5, v1, s8
	s_waitcnt vmcnt(5)
	v_mfma_f32_16x16x16_bf16 v[6:9], v[42:43], v[30:31], v[6:9]
	v_perm_b32 v11, v1, v2, s9
	v_mfma_f32_16x16x16_bf16 v[6:9], v[44:45], v[32:33], v[6:9]
	s_waitcnt vmcnt(4)
	v_mfma_f32_16x16x16_bf16 v[6:9], v[34:35], v[74:75], v[6:9]
	v_mfma_f32_16x16x16_bf16 v[6:9], v[36:37], v[76:77], v[6:9]
	s_waitcnt vmcnt(3)
	v_mfma_f32_16x16x16_bf16 v[6:9], v[58:59], v[22:23], v[6:9]
	;; [unrolled: 3-line block ×5, first 2 shown]
	v_mfma_f32_16x16x16_bf16 v[2:5], v[52:53], v[20:21], v[6:9]
	s_nop 6
	v_bfe_u32 v1, v3, 16, 1
	v_bfe_u32 v6, v2, 16, 1
	v_add3_u32 v2, v2, v6, s8
	v_add3_u32 v1, v3, v1, s8
	v_perm_b32 v2, v1, v2, s9
	v_bfe_u32 v1, v5, 16, 1
	v_bfe_u32 v3, v4, 16, 1
	v_add3_u32 v3, v4, v3, s8
	v_add3_u32 v1, v5, v1, s8
	v_perm_b32 v3, v1, v3, s9
	ds_write2st64_b64 v78, v[10:11], v[2:3] offset1:1
	s_waitcnt lgkmcnt(0)
	s_barrier
	s_and_saveexec_b64 s[4:5], vcc
	s_cbranch_execz .LBB589_20
; %bb.18:
	s_load_dwordx2 s[4:5], s[0:1], 0x68
	s_lshl_b32 s0, s6, 7
	s_mul_i32 s1, s7, s2
	v_lshlrev_b32_e32 v3, 6, v84
	s_mul_hi_u32 s7, s1, s0
	s_mul_i32 s6, s1, s0
	v_lshlrev_b32_e32 v2, 4, v0
	v_lshl_or_b32 v0, v0, 10, v3
	s_lshl_b64 s[6:7], s[6:7], 1
	v_lshlrev_b32_e32 v1, 5, v87
	v_and_b32_e32 v2, 16, v2
	v_and_b32_e32 v0, 0x1a00, v0
	s_waitcnt lgkmcnt(0)
	s_add_u32 s1, s4, s6
	v_or3_b32 v2, v0, v1, v2
	s_addc_u32 s4, s5, s7
	s_lshl_b32 s2, s26, 7
	ds_read_b128 v[4:7], v2 offset:256
	s_lshl_b64 s[2:3], s[2:3], 1
	ds_read_b128 v[8:11], v2 offset:128
	ds_read_b128 v[12:15], v2
	s_add_u32 s2, s1, s2
	s_addc_u32 s3, s4, s3
	v_mov_b32_e32 v83, 0
	v_add_u32_e32 v18, s40, v87
	v_lshl_add_u64 v[0:1], s[2:3], 0, v[82:83]
	v_mad_u64_u32 v[16:17], s[2:3], v18, s0, 0
	v_lshl_add_u64 v[16:17], v[16:17], 1, v[0:1]
	s_waitcnt lgkmcnt(0)
	global_store_dwordx4 v[16:17], v[12:15], off
	v_or_b32_e32 v3, 12, v87
	v_cmp_gt_u32_e32 vcc, 14, v3
	v_add_u32_e32 v12, 4, v18
	v_mad_u64_u32 v[12:13], s[2:3], v12, s0, 0
	v_lshl_add_u64 v[12:13], v[12:13], 1, v[0:1]
	global_store_dwordx4 v[12:13], v[8:11], off
	s_nop 1
	v_add_u32_e32 v8, 8, v18
	v_mad_u64_u32 v[8:9], s[2:3], v8, s0, 0
	v_lshl_add_u64 v[8:9], v[8:9], 1, v[0:1]
	global_store_dwordx4 v[8:9], v[4:7], off
	s_and_b64 exec, exec, vcc
	s_cbranch_execz .LBB589_20
; %bb.19:
	ds_read_b128 v[4:7], v2 offset:384
	v_add_u32_e32 v2, s40, v3
	v_mad_u64_u32 v[2:3], s[0:1], v2, s0, 0
	v_lshl_add_u64 v[0:1], v[2:3], 1, v[0:1]
	s_waitcnt lgkmcnt(0)
	global_store_dwordx4 v[0:1], v[4:7], off
.LBB589_20:
	s_endpgm
	.section	.rodata,"a",@progbits
	.p2align	6, 0x0
	.amdhsa_kernel _Z39paged_attention_ll4mi_QKV_mfma16_kernelI14__hip_bfloat16S0_LN4vllm18Fp8KVCacheDataTypeE0EhLi16ELi128ELi256ELb1ELi14EEvPKT_PKT0_S8_ifPKiSA_SA_iPKfiiiPfSD_PS3_PT2_iSC_SC_
		.amdhsa_group_segment_fixed_size 8192
		.amdhsa_private_segment_fixed_size 0
		.amdhsa_kernarg_size 400
		.amdhsa_user_sgpr_count 2
		.amdhsa_user_sgpr_dispatch_ptr 0
		.amdhsa_user_sgpr_queue_ptr 0
		.amdhsa_user_sgpr_kernarg_segment_ptr 1
		.amdhsa_user_sgpr_dispatch_id 0
		.amdhsa_user_sgpr_kernarg_preload_length 0
		.amdhsa_user_sgpr_kernarg_preload_offset 0
		.amdhsa_user_sgpr_private_segment_size 0
		.amdhsa_uses_dynamic_stack 0
		.amdhsa_enable_private_segment 0
		.amdhsa_system_sgpr_workgroup_id_x 1
		.amdhsa_system_sgpr_workgroup_id_y 1
		.amdhsa_system_sgpr_workgroup_id_z 1
		.amdhsa_system_sgpr_workgroup_info 0
		.amdhsa_system_vgpr_workitem_id 0
		.amdhsa_next_free_vgpr 96
		.amdhsa_next_free_sgpr 42
		.amdhsa_accum_offset 96
		.amdhsa_reserve_vcc 1
		.amdhsa_float_round_mode_32 0
		.amdhsa_float_round_mode_16_64 0
		.amdhsa_float_denorm_mode_32 3
		.amdhsa_float_denorm_mode_16_64 3
		.amdhsa_dx10_clamp 1
		.amdhsa_ieee_mode 1
		.amdhsa_fp16_overflow 0
		.amdhsa_tg_split 0
		.amdhsa_exception_fp_ieee_invalid_op 0
		.amdhsa_exception_fp_denorm_src 0
		.amdhsa_exception_fp_ieee_div_zero 0
		.amdhsa_exception_fp_ieee_overflow 0
		.amdhsa_exception_fp_ieee_underflow 0
		.amdhsa_exception_fp_ieee_inexact 0
		.amdhsa_exception_int_div_zero 0
	.end_amdhsa_kernel
	.section	.text._Z39paged_attention_ll4mi_QKV_mfma16_kernelI14__hip_bfloat16S0_LN4vllm18Fp8KVCacheDataTypeE0EhLi16ELi128ELi256ELb1ELi14EEvPKT_PKT0_S8_ifPKiSA_SA_iPKfiiiPfSD_PS3_PT2_iSC_SC_,"axG",@progbits,_Z39paged_attention_ll4mi_QKV_mfma16_kernelI14__hip_bfloat16S0_LN4vllm18Fp8KVCacheDataTypeE0EhLi16ELi128ELi256ELb1ELi14EEvPKT_PKT0_S8_ifPKiSA_SA_iPKfiiiPfSD_PS3_PT2_iSC_SC_,comdat
.Lfunc_end589:
	.size	_Z39paged_attention_ll4mi_QKV_mfma16_kernelI14__hip_bfloat16S0_LN4vllm18Fp8KVCacheDataTypeE0EhLi16ELi128ELi256ELb1ELi14EEvPKT_PKT0_S8_ifPKiSA_SA_iPKfiiiPfSD_PS3_PT2_iSC_SC_, .Lfunc_end589-_Z39paged_attention_ll4mi_QKV_mfma16_kernelI14__hip_bfloat16S0_LN4vllm18Fp8KVCacheDataTypeE0EhLi16ELi128ELi256ELb1ELi14EEvPKT_PKT0_S8_ifPKiSA_SA_iPKfiiiPfSD_PS3_PT2_iSC_SC_
                                        ; -- End function
	.section	.AMDGPU.csdata,"",@progbits
; Kernel info:
; codeLenInByte = 5040
; NumSgprs: 48
; NumVgprs: 96
; NumAgprs: 0
; TotalNumVgprs: 96
; ScratchSize: 0
; MemoryBound: 0
; FloatMode: 240
; IeeeMode: 1
; LDSByteSize: 8192 bytes/workgroup (compile time only)
; SGPRBlocks: 5
; VGPRBlocks: 11
; NumSGPRsForWavesPerEU: 48
; NumVGPRsForWavesPerEU: 96
; AccumOffset: 96
; Occupancy: 5
; WaveLimiterHint : 1
; COMPUTE_PGM_RSRC2:SCRATCH_EN: 0
; COMPUTE_PGM_RSRC2:USER_SGPR: 2
; COMPUTE_PGM_RSRC2:TRAP_HANDLER: 0
; COMPUTE_PGM_RSRC2:TGID_X_EN: 1
; COMPUTE_PGM_RSRC2:TGID_Y_EN: 1
; COMPUTE_PGM_RSRC2:TGID_Z_EN: 1
; COMPUTE_PGM_RSRC2:TIDIG_COMP_CNT: 0
; COMPUTE_PGM_RSRC3_GFX90A:ACCUM_OFFSET: 23
; COMPUTE_PGM_RSRC3_GFX90A:TG_SPLIT: 0
	.section	.text._Z39paged_attention_ll4mi_QKV_mfma16_kernelI14__hip_bfloat16S0_LN4vllm18Fp8KVCacheDataTypeE0EhLi16ELi128ELi256ELb1ELi15EEvPKT_PKT0_S8_ifPKiSA_SA_iPKfiiiPfSD_PS3_PT2_iSC_SC_,"axG",@progbits,_Z39paged_attention_ll4mi_QKV_mfma16_kernelI14__hip_bfloat16S0_LN4vllm18Fp8KVCacheDataTypeE0EhLi16ELi128ELi256ELb1ELi15EEvPKT_PKT0_S8_ifPKiSA_SA_iPKfiiiPfSD_PS3_PT2_iSC_SC_,comdat
	.protected	_Z39paged_attention_ll4mi_QKV_mfma16_kernelI14__hip_bfloat16S0_LN4vllm18Fp8KVCacheDataTypeE0EhLi16ELi128ELi256ELb1ELi15EEvPKT_PKT0_S8_ifPKiSA_SA_iPKfiiiPfSD_PS3_PT2_iSC_SC_ ; -- Begin function _Z39paged_attention_ll4mi_QKV_mfma16_kernelI14__hip_bfloat16S0_LN4vllm18Fp8KVCacheDataTypeE0EhLi16ELi128ELi256ELb1ELi15EEvPKT_PKT0_S8_ifPKiSA_SA_iPKfiiiPfSD_PS3_PT2_iSC_SC_
	.globl	_Z39paged_attention_ll4mi_QKV_mfma16_kernelI14__hip_bfloat16S0_LN4vllm18Fp8KVCacheDataTypeE0EhLi16ELi128ELi256ELb1ELi15EEvPKT_PKT0_S8_ifPKiSA_SA_iPKfiiiPfSD_PS3_PT2_iSC_SC_
	.p2align	8
	.type	_Z39paged_attention_ll4mi_QKV_mfma16_kernelI14__hip_bfloat16S0_LN4vllm18Fp8KVCacheDataTypeE0EhLi16ELi128ELi256ELb1ELi15EEvPKT_PKT0_S8_ifPKiSA_SA_iPKfiiiPfSD_PS3_PT2_iSC_SC_,@function
_Z39paged_attention_ll4mi_QKV_mfma16_kernelI14__hip_bfloat16S0_LN4vllm18Fp8KVCacheDataTypeE0EhLi16ELi128ELi256ELb1ELi15EEvPKT_PKT0_S8_ifPKiSA_SA_iPKfiiiPfSD_PS3_PT2_iSC_SC_: ; @_Z39paged_attention_ll4mi_QKV_mfma16_kernelI14__hip_bfloat16S0_LN4vllm18Fp8KVCacheDataTypeE0EhLi16ELi128ELi256ELb1ELi15EEvPKT_PKT0_S8_ifPKiSA_SA_iPKfiiiPfSD_PS3_PT2_iSC_SC_
; %bb.0:
	s_load_dwordx2 s[8:9], s[0:1], 0x30
	s_mov_b32 s26, s3
	s_mov_b64 s[6:7], 0
	s_waitcnt lgkmcnt(0)
	s_cmp_lg_u64 s[8:9], 0
	s_cselect_b64 s[10:11], -1, 0
	s_and_b64 vcc, exec, s[10:11]
	s_cbranch_vccz .LBB590_7
; %bb.1:
	s_add_i32 s12, s2, 1
	s_mov_b32 s13, 0
	s_lshl_b64 s[14:15], s[12:13], 2
	s_add_u32 s14, s8, s14
	s_mov_b32 s3, s13
	s_addc_u32 s15, s9, s15
	s_lshl_b64 s[12:13], s[2:3], 2
	s_add_u32 s12, s8, s12
	s_addc_u32 s13, s9, s13
	s_load_dword s5, s[14:15], 0x0
	s_load_dword s16, s[12:13], 0x0
	s_waitcnt lgkmcnt(0)
	s_sub_i32 s5, s5, s16
	s_cmp_eq_u32 s5, 1
	s_cselect_b64 s[12:13], -1, 0
	s_andn2_b64 vcc, exec, s[6:7]
	s_cbranch_vccnz .LBB590_3
.LBB590_2:
	s_mov_b32 s3, 0
	s_mov_b64 s[12:13], -1
.LBB590_3:
	s_andn2_b64 vcc, exec, s[12:13]
	s_cbranch_vccnz .LBB590_20
; %bb.4:
	s_load_dwordx2 s[6:7], s[0:1], 0x28
	s_lshl_b64 s[12:13], s[2:3], 2
	s_waitcnt lgkmcnt(0)
	s_add_u32 s6, s6, s12
	s_addc_u32 s7, s7, s13
	s_load_dword s27, s[6:7], 0x0
	s_lshl_b32 s18, s26, 8
	s_waitcnt lgkmcnt(0)
	s_cmp_ge_i32 s18, s27
	s_cbranch_scc1 .LBB590_20
; %bb.5:
	s_load_dwordx2 s[6:7], s[0:1], 0x20
	s_load_dword s5, s[0:1], 0x38
	s_add_i32 s14, s27, 15
	s_ashr_i32 s15, s14, 31
	v_and_b32_e32 v1, 0xcf, v0
	s_lshr_b32 s15, s15, 28
	v_add_u32_e32 v1, s18, v1
	s_add_i32 s14, s14, s15
	v_ashrrev_i32_e32 v2, 31, v1
	s_ashr_i32 s19, s14, 4
	v_lshrrev_b32_e32 v4, 28, v2
	s_add_i32 s19, s19, -1
	s_waitcnt lgkmcnt(0)
	s_mul_i32 s14, s2, s5
	s_mov_b32 s15, 0
	v_add_u32_e32 v2, v1, v4
	s_lshl_b64 s[14:15], s[14:15], 2
	v_ashrrev_i32_e32 v2, 4, v2
	v_mov_b32_e32 v5, s19
	v_cmp_gt_i32_e32 vcc, s27, v1
	s_add_u32 s6, s6, s14
	s_addc_u32 s7, s7, s15
	v_cndmask_b32_e32 v2, v5, v2, vcc
	v_ashrrev_i32_e32 v3, 31, v2
	v_lshl_add_u64 v[6:7], v[2:3], 2, s[6:7]
	v_or_b32_e32 v2, 16, v1
	v_add_u32_e32 v3, v2, v4
	v_ashrrev_i32_e32 v3, 4, v3
	v_cmp_gt_i32_e32 vcc, s27, v2
	s_load_dwordx2 s[14:15], s[0:1], 0x8
	s_nop 0
	v_cndmask_b32_e32 v2, v5, v3, vcc
	v_ashrrev_i32_e32 v3, 31, v2
	v_lshl_add_u64 v[8:9], v[2:3], 2, s[6:7]
	v_or_b32_e32 v2, 32, v1
	v_add_u32_e32 v3, v2, v4
	v_ashrrev_i32_e32 v3, 4, v3
	v_cmp_gt_i32_e32 vcc, s27, v2
	v_or_b32_e32 v1, 48, v1
	s_nop 0
	v_cndmask_b32_e32 v2, v5, v3, vcc
	v_ashrrev_i32_e32 v3, 31, v2
	v_lshl_add_u64 v[10:11], v[2:3], 2, s[6:7]
	v_add_u32_e32 v2, v1, v4
	v_ashrrev_i32_e32 v2, 4, v2
	v_cmp_gt_i32_e32 vcc, s27, v1
	s_nop 1
	v_cndmask_b32_e32 v2, v5, v2, vcc
	v_ashrrev_i32_e32 v3, 31, v2
	v_lshl_add_u64 v[12:13], v[2:3], 2, s[6:7]
	global_load_dword v5, v[6:7], off
	global_load_dword v4, v[8:9], off
	;; [unrolled: 1-line block ×4, first 2 shown]
	s_andn2_b64 vcc, exec, s[10:11]
	s_cbranch_vccnz .LBB590_8
; %bb.6:
	s_add_u32 s8, s8, s12
	s_addc_u32 s9, s9, s13
	s_load_dword s5, s[8:9], 0x0
	s_branch .LBB590_9
.LBB590_7:
	s_mov_b64 s[12:13], 0
	s_branch .LBB590_2
.LBB590_8:
	s_mov_b32 s5, s2
.LBB590_9:
	s_load_dwordx2 s[12:13], s[0:1], 0x10
	s_load_dwordx4 s[8:11], s[0:1], 0x48
	v_lshrrev_b32_e32 v85, 6, v0
	v_bfe_u32 v88, v0, 4, 2
	v_and_b32_e32 v84, 15, v0
	v_lshl_or_b32 v1, v85, 2, v88
	v_lshlrev_b32_e32 v6, 3, v84
	s_mul_i32 s40, s4, 15
	v_cmp_gt_u32_e32 vcc, 15, v1
	v_lshlrev_b32_e32 v82, 1, v6
	s_and_saveexec_b64 s[16:17], vcc
	s_cbranch_execz .LBB590_11
; %bb.10:
	s_load_dwordx2 s[20:21], s[0:1], 0x0
	s_waitcnt lgkmcnt(0)
	s_ashr_i32 s11, s8, 31
	s_mul_hi_u32 s22, s5, s8
	s_mul_i32 s11, s5, s11
	s_add_i32 s23, s22, s11
	s_mul_i32 s22, s5, s8
	s_lshl_b64 s[22:23], s[22:23], 1
	s_add_u32 s20, s20, s22
	v_add_lshl_u32 v6, v1, s40, 7
	s_addc_u32 s21, s21, s23
	v_ashrrev_i32_e32 v7, 31, v6
	v_lshl_add_u64 v[6:7], v[6:7], 1, s[20:21]
	v_mov_b32_e32 v83, 0
	v_lshl_add_u64 v[6:7], v[6:7], 0, v[82:83]
	global_load_dwordx4 v[6:9], v[6:7], off
	v_and_b32_e32 v10, 3, v0
	v_lshlrev_b32_e32 v11, 9, v84
	v_lshlrev_b32_e32 v1, 5, v1
	;; [unrolled: 1-line block ×3, first 2 shown]
	v_and_b32_e32 v11, 0x1800, v11
	v_or3_b32 v1, v11, v10, v1
	s_waitcnt vmcnt(0)
	ds_write_b128 v1, v[6:9]
.LBB590_11:
	s_or_b64 exec, exec, s[16:17]
	s_waitcnt lgkmcnt(0)
	s_mov_b32 s5, 0
	s_mul_i32 s4, s4, s10
	s_lshl_b64 s[4:5], s[4:5], 1
	s_add_u32 s10, s14, s4
	v_lshlrev_b32_e32 v1, 4, v0
	v_mov_b32_e32 v87, 0
	s_addc_u32 s11, s15, s5
	v_and_b32_e32 v86, 0xf0, v1
	v_lshl_add_u64 v[6:7], s[10:11], 0, v[86:87]
	s_waitcnt vmcnt(3)
	v_mad_i64_i32 v[8:9], s[10:11], v5, s9, 0
	s_waitcnt vmcnt(2)
	v_mad_i64_i32 v[4:5], s[10:11], v4, s9, 0
	v_lshl_add_u64 v[8:9], v[8:9], 1, v[6:7]
	v_and_b32_e32 v86, 0x300, v1
	v_lshl_add_u64 v[4:5], v[4:5], 1, v[6:7]
	v_lshl_add_u64 v[8:9], v[8:9], 0, v[86:87]
	;; [unrolled: 1-line block ×3, first 2 shown]
	s_barrier
	global_load_dwordx4 v[78:81], v[8:9], off
	global_load_dwordx4 v[74:77], v[8:9], off offset:1024
	global_load_dwordx4 v[70:73], v[8:9], off offset:2048
	;; [unrolled: 1-line block ×3, first 2 shown]
	global_load_dwordx4 v[66:69], v[4:5], off
	global_load_dwordx4 v[62:65], v[4:5], off offset:1024
	global_load_dwordx4 v[58:61], v[4:5], off offset:2048
	;; [unrolled: 1-line block ×3, first 2 shown]
	s_waitcnt vmcnt(9)
	v_mad_i64_i32 v[4:5], s[10:11], v3, s9, 0
	s_waitcnt vmcnt(8)
	v_mad_i64_i32 v[2:3], s[10:11], v2, s9, 0
	v_lshl_add_u64 v[4:5], v[4:5], 1, v[6:7]
	v_lshl_add_u64 v[2:3], v[2:3], 1, v[6:7]
	v_lshl_add_u64 v[4:5], v[4:5], 0, v[86:87]
	v_lshl_add_u64 v[34:35], v[2:3], 0, v[86:87]
	global_load_dwordx4 v[30:33], v[4:5], off
	global_load_dwordx4 v[26:29], v[4:5], off offset:1024
	global_load_dwordx4 v[22:25], v[4:5], off offset:2048
	;; [unrolled: 1-line block ×3, first 2 shown]
	global_load_dwordx4 v[6:9], v[34:35], off
	s_nop 0
	global_load_dwordx4 v[2:5], v[34:35], off offset:1024
	global_load_dwordx4 v[38:41], v[34:35], off offset:2048
	s_nop 0
	global_load_dwordx4 v[34:37], v[34:35], off offset:3072
	v_cmp_ne_u32_e32 vcc, 15, v84
	v_and_b32_e32 v83, 63, v0
	v_mov_b32_e32 v89, 0
	v_cndmask_b32_e32 v42, 0, v84, vcc
	v_lshlrev_b32_e32 v42, 5, v42
	v_lshl_or_b32 v42, v88, 9, v42
	ds_read_b128 v[54:57], v42
	ds_read_b128 v[50:53], v42 offset:2048
	ds_read_b128 v[46:49], v42 offset:4096
	;; [unrolled: 1-line block ×3, first 2 shown]
	s_and_saveexec_b64 s[10:11], vcc
	s_cbranch_execz .LBB590_13
; %bb.12:
	s_load_dwordx2 s[14:15], s[0:1], 0x40
	v_add_u32_e32 v90, s40, v84
	v_ashrrev_i32_e32 v91, 31, v90
	s_waitcnt lgkmcnt(0)
	v_lshl_add_u64 v[90:91], v[90:91], 2, s[14:15]
	global_load_dword v89, v[90:91], off
.LBB590_13:
	s_or_b64 exec, exec, s[10:11]
	s_waitcnt vmcnt(15) lgkmcnt(3)
	v_mfma_f32_16x16x16_bf16 v[90:93], v[78:79], v[54:55], 0
	s_add_u32 s4, s12, s4
	s_addc_u32 s5, s13, s5
	s_mov_b32 s33, 0xff7fffff
	v_mfma_f32_16x16x16_bf16 v[78:81], v[80:81], v[56:57], v[90:93]
	s_waitcnt vmcnt(14) lgkmcnt(2)
	v_mfma_f32_16x16x16_bf16 v[78:81], v[74:75], v[50:51], v[78:81]
	s_nop 0
	v_lshl_or_b32 v90, v85, 4, v84
	v_lshlrev_b32_e32 v86, 5, v90
	v_mfma_f32_16x16x16_bf16 v[74:77], v[76:77], v[52:53], v[78:81]
	s_waitcnt vmcnt(13) lgkmcnt(1)
	v_mfma_f32_16x16x16_bf16 v[74:77], v[70:71], v[46:47], v[74:77]
	v_mfma_f32_16x16x16_bf16 v[70:73], v[72:73], v[48:49], v[74:77]
	s_waitcnt vmcnt(11)
	v_mfma_f32_16x16x16_bf16 v[74:77], v[66:67], v[54:55], 0
	v_mfma_f32_16x16x16_bf16 v[66:69], v[68:69], v[56:57], v[74:77]
	s_nop 5
	v_and_or_b32 v74, v0, 48, s18
	s_waitcnt lgkmcnt(0)
	v_mfma_f32_16x16x16_bf16 v[70:73], v[10:11], v[42:43], v[70:73]
	v_ashrrev_i32_e32 v10, 4, v74
	v_mov_b32_e32 v75, s19
	v_cmp_gt_i32_e32 vcc, s27, v74
	s_waitcnt vmcnt(10)
	v_mfma_f32_16x16x16_bf16 v[66:69], v[62:63], v[50:51], v[66:69]
	v_cndmask_b32_e32 v10, v75, v10, vcc
	v_ashrrev_i32_e32 v11, 31, v10
	v_lshl_add_u64 v[10:11], v[10:11], 2, s[6:7]
	global_load_dword v76, v[10:11], off
	v_mfma_f32_16x16x16_bf16 v[62:65], v[64:65], v[52:53], v[66:69]
	v_or_b32_e32 v10, 64, v74
	v_ashrrev_i32_e32 v11, 4, v10
	v_cmp_gt_i32_e32 vcc, s27, v10
	s_waitcnt vmcnt(10)
	v_mfma_f32_16x16x16_bf16 v[62:65], v[58:59], v[46:47], v[62:65]
	v_cndmask_b32_e32 v10, v75, v11, vcc
	v_ashrrev_i32_e32 v11, 31, v10
	v_lshl_add_u64 v[10:11], v[10:11], 2, s[6:7]
	global_load_dword v78, v[10:11], off
	v_or_b32_e32 v10, 0x80, v74
	v_mfma_f32_16x16x16_bf16 v[58:61], v[60:61], v[48:49], v[62:65]
	v_ashrrev_i32_e32 v11, 4, v10
	v_cmp_gt_i32_e32 vcc, s27, v10
	s_waitcnt vmcnt(9)
	v_mfma_f32_16x16x16_bf16 v[62:65], v[30:31], v[54:55], 0
	v_cndmask_b32_e32 v10, v75, v11, vcc
	v_ashrrev_i32_e32 v11, 31, v10
	v_lshl_add_u64 v[10:11], v[10:11], 2, s[6:7]
	v_mfma_f32_16x16x16_bf16 v[30:33], v[32:33], v[56:57], v[62:65]
	s_nop 2
	global_load_dword v62, v[10:11], off
	v_or_b32_e32 v10, 0xc0, v74
	v_ashrrev_i32_e32 v11, 4, v10
	v_cmp_gt_i32_e32 vcc, s27, v10
	s_waitcnt vmcnt(9)
	v_mfma_f32_16x16x16_bf16 v[30:33], v[26:27], v[50:51], v[30:33]
	v_cndmask_b32_e32 v10, v75, v11, vcc
	v_ashrrev_i32_e32 v11, 31, v10
	v_lshl_add_u64 v[10:11], v[10:11], 2, s[6:7]
	global_load_dword v63, v[10:11], off
	v_mfma_f32_16x16x16_bf16 v[26:29], v[28:29], v[52:53], v[30:33]
	s_load_dword s6, s[0:1], 0x1c
	s_waitcnt vmcnt(3)
	v_mad_i64_i32 v[10:11], s[10:11], v76, s9, 0
	v_mfma_f32_16x16x16_bf16 v[26:29], v[22:23], v[46:47], v[26:29]
	v_lshlrev_b64 v[76:77], 1, v[10:11]
	v_mfma_f32_16x16x16_bf16 v[64:67], v[12:13], v[44:45], v[70:73]
	v_mfma_f32_16x16x16_bf16 v[10:13], v[24:25], v[48:49], v[26:29]
	s_nop 1
	v_lshl_add_u64 v[72:73], s[4:5], 0, v[86:87]
	v_or_b32_e32 v86, 0x800, v86
	v_mfma_f32_16x16x16_bf16 v[30:33], v[14:15], v[42:43], v[58:61]
	v_lshl_add_u64 v[14:15], v[72:73], 0, v[76:77]
	v_mfma_f32_16x16x16_bf16 v[10:13], v[18:19], v[42:43], v[10:13]
	v_mfma_f32_16x16x16_bf16 v[68:71], v[16:17], v[44:45], v[30:33]
	s_nop 3
	global_load_dwordx4 v[30:33], v[14:15], off
	global_load_dwordx4 v[26:29], v[14:15], off offset:16
	s_waitcnt vmcnt(4)
	v_mad_i64_i32 v[14:15], s[10:11], v78, s9, 0
	v_lshlrev_b64 v[58:59], 1, v[14:15]
	v_mfma_f32_16x16x16_bf16 v[92:95], v[20:21], v[44:45], v[10:13]
	s_waitcnt lgkmcnt(0)
	v_pk_mul_f32 v[78:79], s[6:7], v[66:67] op_sel_hi:[0,1]
	s_nop 0
	v_lshl_add_u64 v[10:11], v[72:73], 0, v[58:59]
	global_load_dwordx4 v[22:25], v[10:11], off
	global_load_dwordx4 v[18:21], v[10:11], off offset:16
	v_mfma_f32_16x16x16_bf16 v[10:13], v[6:7], v[54:55], 0
	s_waitcnt vmcnt(5)
	v_mad_i64_i32 v[6:7], s[10:11], v62, s9, 0
	v_lshlrev_b64 v[54:55], 1, v[6:7]
	v_mfma_f32_16x16x16_bf16 v[6:9], v[8:9], v[56:57], v[10:13]
	v_mfma_f32_16x16x16_bf16 v[6:9], v[2:3], v[50:51], v[6:9]
	s_waitcnt vmcnt(4)
	v_mad_i64_i32 v[2:3], s[8:9], v63, s9, 0
	v_lshlrev_b64 v[50:51], 1, v[2:3]
	v_mfma_f32_16x16x16_bf16 v[60:63], v[4:5], v[52:53], v[6:9]
	v_lshl_add_u64 v[10:11], v[72:73], 0, v[54:55]
	v_lshl_add_u64 v[2:3], v[72:73], 0, v[50:51]
	v_pk_mul_f32 v[52:53], s[6:7], v[64:65] op_sel_hi:[0,1]
	v_mfma_f32_16x16x16_bf16 v[72:75], v[38:39], v[46:47], v[60:63]
	global_load_dwordx4 v[14:17], v[10:11], off
	s_nop 0
	global_load_dwordx4 v[10:13], v[10:11], off offset:16
	v_lshl_add_u64 v[62:63], s[4:5], 0, v[86:87]
	v_lshl_add_u64 v[38:39], v[62:63], 0, v[76:77]
	v_mfma_f32_16x16x16_bf16 v[46:49], v[40:41], v[48:49], v[72:75]
	v_pk_mul_f32 v[76:77], s[6:7], v[68:69] op_sel_hi:[0,1]
	v_lshl_add_u64 v[54:55], v[62:63], 0, v[54:55]
	v_lshl_add_u64 v[50:51], v[62:63], 0, v[50:51]
	v_mfma_f32_16x16x16_bf16 v[40:43], v[34:35], v[42:43], v[46:49]
	v_pk_mul_f32 v[74:75], s[6:7], v[70:71] op_sel_hi:[0,1]
	v_pk_mul_f32 v[70:71], s[6:7], v[94:95] op_sel_hi:[0,1]
	;; [unrolled: 1-line block ×3, first 2 shown]
	v_mfma_f32_16x16x16_bf16 v[34:37], v[36:37], v[44:45], v[40:43]
	global_load_dwordx4 v[6:9], v[2:3], off
	s_nop 0
	global_load_dwordx4 v[2:5], v[2:3], off offset:16
	s_nop 3
	v_pk_mul_f32 v[68:69], s[6:7], v[34:35] op_sel_hi:[0,1]
	v_and_b32_e32 v34, 0xc0, v0
	v_add_u32_e32 v34, s18, v34
	v_lshl_or_b32 v34, v88, 2, v34
	v_or_b32_e32 v35, 1, v34
	v_pk_mul_f32 v[66:67], s[6:7], v[36:37] op_sel_hi:[0,1]
	v_subrev_u32_e32 v36, s27, v35
	v_add_u32_e32 v40, 1, v36
	v_add_u32_e32 v41, 2, v36
	v_cvt_f32_i32_e32 v37, v36
	v_cvt_f32_i32_e32 v40, v40
	;; [unrolled: 1-line block ×3, first 2 shown]
	v_add_u32_e32 v42, 3, v36
	v_fma_f32 v52, v89, v37, v52
	v_fmac_f32_e32 v53, v89, v40
	v_fma_f32 v78, v89, v41, v78
	v_add_u32_e32 v37, 16, v36
	v_add_u32_e32 v40, 17, v36
	;; [unrolled: 1-line block ×3, first 2 shown]
	v_cvt_f32_i32_e32 v42, v42
	v_cvt_f32_i32_e32 v37, v37
	;; [unrolled: 1-line block ×4, first 2 shown]
	v_fmac_f32_e32 v79, v89, v42
	v_add_u32_e32 v42, 19, v36
	v_fma_f32 v76, v89, v37, v76
	v_fmac_f32_e32 v77, v89, v40
	v_fma_f32 v74, v89, v41, v74
	v_add_u32_e32 v37, 32, v36
	v_add_u32_e32 v40, 33, v36
	;; [unrolled: 1-line block ×3, first 2 shown]
	v_cvt_f32_i32_e32 v42, v42
	v_cvt_f32_i32_e32 v37, v37
	;; [unrolled: 1-line block ×4, first 2 shown]
	v_fmac_f32_e32 v75, v89, v42
	v_add_u32_e32 v42, 35, v36
	v_fma_f32 v72, v89, v37, v72
	v_fmac_f32_e32 v73, v89, v40
	v_fma_f32 v70, v89, v41, v70
	v_add_u32_e32 v37, 48, v36
	v_add_u32_e32 v40, 49, v36
	;; [unrolled: 1-line block ×4, first 2 shown]
	v_cvt_f32_i32_e32 v36, v36
	v_cvt_f32_i32_e32 v37, v37
	;; [unrolled: 1-line block ×3, first 2 shown]
	v_cmp_gt_i32_e64 s[28:29], s27, v34
	v_fmac_f32_e32 v67, v89, v36
	v_mov_b32_e32 v36, 0xff7fffff
	v_cmp_gt_i32_e64 s[30:31], s27, v35
	v_fma_f32 v68, v89, v37, v68
	v_cndmask_b32_e64 v37, v36, v52, s[28:29]
	v_cndmask_b32_e64 v35, v36, v53, s[30:31]
	v_fmac_f32_e32 v69, v89, v40
	v_max3_f32 v35, v37, s33, v35
	v_or_b32_e32 v37, 2, v34
	v_or_b32_e32 v40, 3, v34
	v_cmp_gt_i32_e64 s[34:35], s27, v37
	v_cmp_gt_i32_e64 s[36:37], s27, v40
	v_cvt_f32_i32_e32 v42, v42
	v_cndmask_b32_e64 v37, v36, v78, s[34:35]
	v_cndmask_b32_e64 v40, v36, v79, s[36:37]
	v_max3_f32 v35, v35, v37, v40
	v_or_b32_e32 v37, 16, v34
	v_or_b32_e32 v40, 17, v34
	v_cmp_gt_i32_e64 s[22:23], s27, v37
	v_cmp_gt_i32_e64 s[24:25], s27, v40
	v_fmac_f32_e32 v71, v89, v42
	v_cndmask_b32_e64 v37, v36, v76, s[22:23]
	v_cndmask_b32_e64 v40, v36, v77, s[24:25]
	v_max3_f32 v35, v35, v37, v40
	v_or_b32_e32 v37, 18, v34
	v_or_b32_e32 v40, 19, v34
	v_cmp_gt_i32_e64 s[18:19], s27, v37
	v_cmp_gt_i32_e64 s[20:21], s27, v40
	v_cvt_f32_i32_e32 v41, v41
	v_cndmask_b32_e64 v37, v36, v74, s[18:19]
	v_cndmask_b32_e64 v40, v36, v75, s[20:21]
	v_max3_f32 v35, v35, v37, v40
	v_or_b32_e32 v37, 32, v34
	v_or_b32_e32 v40, 33, v34
	v_cmp_gt_i32_e64 s[14:15], s27, v37
	v_cmp_gt_i32_e64 s[16:17], s27, v40
	v_fma_f32 v66, v89, v41, v66
	v_cndmask_b32_e64 v37, v36, v72, s[14:15]
	v_cndmask_b32_e64 v40, v36, v73, s[16:17]
	v_max3_f32 v35, v35, v37, v40
	v_or_b32_e32 v37, 34, v34
	v_or_b32_e32 v40, 35, v34
	v_cmp_gt_i32_e64 s[10:11], s27, v37
	v_cmp_gt_i32_e64 s[12:13], s27, v40
	s_nop 0
	v_cndmask_b32_e64 v37, v36, v70, s[10:11]
	v_cndmask_b32_e64 v40, v36, v71, s[12:13]
	v_max3_f32 v35, v35, v37, v40
	v_or_b32_e32 v37, 48, v34
	v_or_b32_e32 v40, 49, v34
	v_cmp_gt_i32_e64 s[6:7], s27, v37
	v_cmp_gt_i32_e64 s[8:9], s27, v40
	s_nop 0
	v_cndmask_b32_e64 v37, v36, v68, s[6:7]
	v_cndmask_b32_e64 v40, v36, v69, s[8:9]
	v_max3_f32 v35, v35, v37, v40
	v_or_b32_e32 v37, 50, v34
	v_or_b32_e32 v34, 51, v34
	v_cmp_gt_i32_e32 vcc, s27, v37
	v_cmp_gt_i32_e64 s[4:5], s27, v34
	global_load_dwordx4 v[46:49], v[38:39], off
	s_nop 0
	global_load_dwordx4 v[38:41], v[38:39], off offset:16
	v_cndmask_b32_e32 v37, v36, v66, vcc
	v_cndmask_b32_e64 v34, v36, v67, s[4:5]
	v_max3_f32 v56, v35, v37, v34
	v_mbcnt_lo_u32_b32 v34, -1, 0
	v_mbcnt_hi_u32_b32 v57, -1, v34
	v_and_b32_e32 v34, 64, v57
	v_add_u32_e32 v60, 64, v34
	v_xor_b32_e32 v34, 32, v57
	v_cmp_lt_i32_e64 s[38:39], v34, v60
	s_nop 1
	v_cndmask_b32_e64 v34, v57, v34, s[38:39]
	v_lshlrev_b32_e32 v87, 2, v34
	ds_bpermute_b32 v61, v87, v56
	v_lshl_add_u64 v[34:35], v[62:63], 0, v[58:59]
	global_load_dwordx4 v[42:45], v[34:35], off
	s_nop 0
	global_load_dwordx4 v[34:37], v[34:35], off offset:16
	s_waitcnt lgkmcnt(0)
	v_max_f32_e32 v58, v61, v61
	v_max_f32_e32 v64, v56, v58
	v_xor_b32_e32 v56, 16, v57
	v_cmp_lt_i32_e64 s[38:39], v56, v60
	s_nop 1
	v_cndmask_b32_e64 v56, v57, v56, s[38:39]
	v_lshlrev_b32_e32 v89, 2, v56
	ds_bpermute_b32 v65, v89, v64
	global_load_dwordx4 v[58:61], v[54:55], off
	s_nop 0
	global_load_dwordx4 v[54:57], v[54:55], off offset:16
	s_waitcnt lgkmcnt(0)
	v_max_f32_e32 v62, v65, v65
	v_max_f32_e32 v86, v64, v62
	v_sub_f32_e32 v52, v52, v86
	v_mul_f32_e32 v52, 0x3fb8aa3b, v52
	v_exp_f32_e32 v80, v52
	v_sub_f32_e32 v52, v53, v86
	v_mul_f32_e32 v52, 0x3fb8aa3b, v52
	v_exp_f32_e32 v81, v52
	global_load_dwordx4 v[62:65], v[50:51], off
	s_nop 0
	global_load_dwordx4 v[50:53], v[50:51], off offset:16
	v_sub_f32_e32 v78, v78, v86
	v_mul_f32_e32 v78, 0x3fb8aa3b, v78
	v_sub_f32_e32 v79, v79, v86
	v_exp_f32_e32 v78, v78
	v_mul_f32_e32 v79, 0x3fb8aa3b, v79
	v_sub_f32_e32 v76, v76, v86
	v_exp_f32_e32 v79, v79
	v_mul_f32_e32 v76, 0x3fb8aa3b, v76
	v_sub_f32_e32 v77, v77, v86
	v_cndmask_b32_e64 v80, 0, v80, s[28:29]
	v_exp_f32_e32 v76, v76
	v_mul_f32_e32 v77, 0x3fb8aa3b, v77
	v_sub_f32_e32 v74, v74, v86
	v_add_f32_e32 v91, 0, v80
	v_cndmask_b32_e64 v81, 0, v81, s[30:31]
	v_exp_f32_e32 v77, v77
	v_mul_f32_e32 v74, 0x3fb8aa3b, v74
	v_sub_f32_e32 v75, v75, v86
	v_add_f32_e32 v91, v91, v81
	;; [unrolled: 5-line block ×10, first 2 shown]
	v_cndmask_b32_e64 v70, 0, v70, s[10:11]
	v_exp_f32_e32 v66, v66
	v_mul_f32_e32 v67, 0x3fb8aa3b, v67
	v_add_f32_e32 v91, v91, v70
	v_cndmask_b32_e64 v71, 0, v71, s[12:13]
	v_exp_f32_e32 v67, v67
	v_add_f32_e32 v91, v91, v71
	v_cndmask_b32_e64 v68, 0, v68, s[6:7]
	v_add_f32_e32 v91, v91, v68
	v_cndmask_b32_e64 v69, 0, v69, s[8:9]
	v_add_f32_e32 v91, v91, v69
	v_cndmask_b32_e32 v66, 0, v66, vcc
	v_add_f32_e32 v91, v91, v66
	v_cndmask_b32_e64 v67, 0, v67, s[4:5]
	v_add_f32_e32 v91, v91, v67
	ds_bpermute_b32 v87, v87, v91
	s_load_dword s7, s[0:1], 0x98
	v_cmp_gt_u32_e32 vcc, 16, v83
	s_waitcnt lgkmcnt(0)
	s_barrier
	v_add_f32_e32 v87, v91, v87
	ds_bpermute_b32 v89, v89, v87
	s_waitcnt lgkmcnt(0)
	s_and_saveexec_b64 s[4:5], vcc
	s_cbranch_execz .LBB590_15
; %bb.14:
	v_add_f32_e32 v83, v87, v89
	v_lshlrev_b32_e32 v87, 2, v90
	ds_write2st64_b32 v87, v86, v83 offset1:1
.LBB590_15:
	s_or_b64 exec, exec, s[4:5]
	v_lshlrev_b32_e32 v89, 2, v84
	s_load_dword s6, s[0:1], 0x94
	s_waitcnt lgkmcnt(0)
	s_barrier
	ds_read2_b32 v[86:87], v89 offset1:16
	ds_read2_b32 v[90:91], v89 offset0:32 offset1:48
	ds_read2_b32 v[92:93], v89 offset0:64 offset1:80
	;; [unrolled: 1-line block ×3, first 2 shown]
	s_movk_i32 s8, 0x7fff
	s_waitcnt lgkmcnt(3)
	v_max3_f32 v83, v86, s33, v87
	s_waitcnt lgkmcnt(2)
	v_max3_f32 v83, v83, v90, v91
	v_sub_f32_e32 v86, v86, v83
	v_mul_f32_e32 v86, 0x3fb8aa3b, v86
	v_exp_f32_e32 v1, v86
	v_sub_f32_e32 v86, v87, v83
	v_mul_f32_e32 v86, 0x3fb8aa3b, v86
	v_exp_f32_e32 v87, v86
	;; [unrolled: 3-line block ×4, first 2 shown]
	s_waitcnt lgkmcnt(1)
	v_fma_f32 v86, v1, v92, 0
	v_fmac_f32_e32 v86, v87, v93
	s_waitcnt lgkmcnt(0)
	v_fmac_f32_e32 v86, v90, v94
	v_fmac_f32_e32 v86, v89, v95
	v_add_f32_e32 v91, 0x358637bd, v86
	v_div_scale_f32 v92, s[4:5], v91, v91, 1.0
	v_rcp_f32_e32 v93, v92
	s_mov_b32 s9, 0x7060302
	s_mul_i32 s7, s7, 15
	v_fma_f32 v94, -v92, v93, 1.0
	v_fmac_f32_e32 v93, v94, v93
	v_div_scale_f32 v94, vcc, 1.0, v91, 1.0
	v_mul_f32_e32 v95, v94, v93
	v_fma_f32 v88, -v92, v95, v94
	v_fmac_f32_e32 v95, v88, v93
	v_fma_f32 v88, -v92, v95, v94
	v_div_fmas_f32 v88, v88, v93, v95
	v_cmp_eq_u32_e32 vcc, 1, v85
	v_div_fixup_f32 v88, v88, v91, 1.0
	s_barrier
	v_cndmask_b32_e32 v1, v1, v87, vcc
	v_cmp_eq_u32_e32 vcc, 2, v85
	s_nop 1
	v_cndmask_b32_e32 v1, v1, v90, vcc
	v_cmp_eq_u32_e32 vcc, 3, v85
	s_nop 1
	v_cndmask_b32_e32 v1, v1, v89, vcc
	v_mul_f32_e32 v90, v1, v88
	v_pk_mul_f32 v[80:81], v[90:91], v[80:81] op_sel_hi:[0,1]
	v_bfe_u32 v1, v81, 16, 1
	v_bfe_u32 v87, v80, 16, 1
	v_pk_mul_f32 v[78:79], v[90:91], v[78:79] op_sel_hi:[0,1]
	v_add3_u32 v80, v80, v87, s8
	v_add3_u32 v1, v81, v1, s8
	v_perm_b32 v80, v1, v80, s9
	v_bfe_u32 v1, v79, 16, 1
	v_bfe_u32 v81, v78, 16, 1
	v_add3_u32 v78, v78, v81, s8
	v_add3_u32 v1, v79, v1, s8
	v_bfe_u32 v87, v0, 4, 2
	v_perm_b32 v81, v1, v78, s9
	v_lshlrev_b32_e32 v1, 3, v87
	v_lshlrev_b32_e32 v79, 5, v84
	;; [unrolled: 1-line block ×3, first 2 shown]
	v_pk_mul_f32 v[76:77], v[90:91], v[76:77] op_sel_hi:[0,1]
	v_or3_b32 v78, v78, v79, v1
	v_bfe_u32 v1, v77, 16, 1
	v_bfe_u32 v85, v76, 16, 1
	v_pk_mul_f32 v[74:75], v[90:91], v[74:75] op_sel_hi:[0,1]
	v_add3_u32 v76, v76, v85, s8
	v_add3_u32 v1, v77, v1, s8
	v_perm_b32 v76, v1, v76, s9
	v_bfe_u32 v1, v75, 16, 1
	v_bfe_u32 v77, v74, 16, 1
	v_add3_u32 v74, v74, v77, s8
	v_add3_u32 v1, v75, v1, s8
	v_pk_mul_f32 v[72:73], v[90:91], v[72:73] op_sel_hi:[0,1]
	v_perm_b32 v77, v1, v74, s9
	v_bfe_u32 v1, v73, 16, 1
	v_bfe_u32 v74, v72, 16, 1
	v_pk_mul_f32 v[70:71], v[90:91], v[70:71] op_sel_hi:[0,1]
	v_add3_u32 v72, v72, v74, s8
	v_add3_u32 v1, v73, v1, s8
	v_perm_b32 v72, v1, v72, s9
	v_bfe_u32 v1, v71, 16, 1
	v_bfe_u32 v73, v70, 16, 1
	v_add3_u32 v70, v70, v73, s8
	v_add3_u32 v1, v71, v1, s8
	v_pk_mul_f32 v[68:69], v[90:91], v[68:69] op_sel_hi:[0,1]
	v_perm_b32 v73, v1, v70, s9
	v_bfe_u32 v1, v69, 16, 1
	v_bfe_u32 v70, v68, 16, 1
	v_pk_mul_f32 v[66:67], v[90:91], v[66:67] op_sel_hi:[0,1]
	v_add3_u32 v68, v68, v70, s8
	v_add3_u32 v1, v69, v1, s8
	v_perm_b32 v68, v1, v68, s9
	v_bfe_u32 v1, v67, 16, 1
	v_bfe_u32 v69, v66, 16, 1
	v_add3_u32 v66, v66, v69, s8
	v_add3_u32 v1, v67, v1, s8
	v_perm_b32 v69, v1, v66, s9
	v_cmp_gt_u32_e32 vcc, 15, v0
	ds_write2st64_b64 v78, v[80:81], v[76:77] offset1:1
	ds_write2st64_b64 v78, v[72:73], v[68:69] offset0:2 offset1:3
	s_and_saveexec_b64 s[4:5], vcc
	s_cbranch_execz .LBB590_17
; %bb.16:
	s_mov_b32 s41, 0
	v_mov_b32_e32 v85, 0
	v_lshl_add_u64 v[66:67], s[40:41], 0, v[84:85]
	v_mov_b32_e32 v1, s7
	v_mad_u64_u32 v[66:67], s[10:11], s2, v1, v[66:67]
	s_mul_i32 s3, s3, s7
	v_mov_b32_e32 v68, s26
	v_mov_b32_e32 v69, v85
	s_load_dwordx4 s[12:15], s[0:1], 0x58
	v_add_u32_e32 v1, s3, v67
	v_mad_u64_u32 v[66:67], s[10:11], v66, s6, v[68:69]
	v_mov_b32_e32 v68, v67
	v_mad_u64_u32 v[68:69], s[10:11], v1, s6, v[68:69]
	v_mov_b32_e32 v67, v68
	v_lshlrev_b64 v[66:67], 2, v[66:67]
	s_waitcnt lgkmcnt(0)
	v_lshl_add_u64 v[68:69], s[14:15], 0, v[66:67]
	v_lshl_add_u64 v[66:67], s[12:13], 0, v[66:67]
	global_store_dword v[68:69], v83, off
	global_store_dword v[66:67], v86, off
.LBB590_17:
	s_or_b64 exec, exec, s[4:5]
	v_lshl_or_b32 v1, v87, 9, v79
	s_waitcnt lgkmcnt(0)
	s_barrier
	ds_read_b128 v[70:73], v1
	ds_read_b128 v[66:69], v1 offset:16
	s_waitcnt vmcnt(15) lgkmcnt(1)
	v_mfma_f32_16x16x16_bf16 v[74:77], v[30:31], v[70:71], 0
	s_mov_b32 s3, 0
	v_cmp_gt_u32_e32 vcc, 64, v0
	v_mfma_f32_16x16x16_bf16 v[30:33], v[32:33], v[72:73], v[74:77]
	s_waitcnt vmcnt(14) lgkmcnt(0)
	v_mfma_f32_16x16x16_bf16 v[30:33], v[26:27], v[66:67], v[30:33]
	v_mfma_f32_16x16x16_bf16 v[26:29], v[28:29], v[68:69], v[30:33]
	s_nop 5
	ds_read_b128 v[30:33], v1 offset:2048
	ds_read_b128 v[74:77], v1 offset:2064
	s_waitcnt vmcnt(13) lgkmcnt(1)
	v_mfma_f32_16x16x16_bf16 v[26:29], v[22:23], v[30:31], v[26:29]
	v_mfma_f32_16x16x16_bf16 v[22:25], v[24:25], v[32:33], v[26:29]
	s_waitcnt vmcnt(12) lgkmcnt(0)
	v_mfma_f32_16x16x16_bf16 v[22:25], v[18:19], v[74:75], v[22:25]
	v_mfma_f32_16x16x16_bf16 v[18:21], v[20:21], v[76:77], v[22:25]
	s_nop 5
	ds_read_b128 v[22:25], v1 offset:4096
	ds_read_b128 v[26:29], v1 offset:4112
	s_waitcnt vmcnt(11) lgkmcnt(1)
	v_mfma_f32_16x16x16_bf16 v[18:21], v[14:15], v[22:23], v[18:21]
	v_mfma_f32_16x16x16_bf16 v[14:17], v[16:17], v[24:25], v[18:21]
	s_waitcnt vmcnt(10) lgkmcnt(0)
	v_mfma_f32_16x16x16_bf16 v[14:17], v[10:11], v[26:27], v[14:17]
	v_mfma_f32_16x16x16_bf16 v[10:13], v[12:13], v[28:29], v[14:17]
	s_nop 5
	ds_read_b128 v[14:17], v1 offset:6144
	ds_read_b128 v[18:21], v1 offset:6160
	s_waitcnt lgkmcnt(0)
	s_barrier
	s_waitcnt vmcnt(9)
	v_mfma_f32_16x16x16_bf16 v[10:13], v[6:7], v[14:15], v[10:13]
	v_mfma_f32_16x16x16_bf16 v[6:9], v[8:9], v[16:17], v[10:13]
	s_waitcnt vmcnt(8)
	v_mfma_f32_16x16x16_bf16 v[6:9], v[2:3], v[18:19], v[6:9]
	v_mfma_f32_16x16x16_bf16 v[2:5], v[4:5], v[20:21], v[6:9]
	;; [unrolled: 3-line block ×3, first 2 shown]
	s_nop 3
	v_bfe_u32 v1, v3, 16, 1
	v_bfe_u32 v10, v2, 16, 1
	v_add3_u32 v2, v2, v10, s8
	s_waitcnt vmcnt(6)
	v_mfma_f32_16x16x16_bf16 v[6:9], v[38:39], v[66:67], v[6:9]
	v_add3_u32 v1, v3, v1, s8
	v_perm_b32 v10, v1, v2, s9
	v_bfe_u32 v1, v5, 16, 1
	v_mfma_f32_16x16x16_bf16 v[6:9], v[40:41], v[68:69], v[6:9]
	v_bfe_u32 v2, v4, 16, 1
	v_add3_u32 v2, v4, v2, s8
	v_add3_u32 v1, v5, v1, s8
	s_waitcnt vmcnt(5)
	v_mfma_f32_16x16x16_bf16 v[6:9], v[42:43], v[30:31], v[6:9]
	v_perm_b32 v11, v1, v2, s9
	v_mfma_f32_16x16x16_bf16 v[6:9], v[44:45], v[32:33], v[6:9]
	s_waitcnt vmcnt(4)
	v_mfma_f32_16x16x16_bf16 v[6:9], v[34:35], v[74:75], v[6:9]
	v_mfma_f32_16x16x16_bf16 v[6:9], v[36:37], v[76:77], v[6:9]
	s_waitcnt vmcnt(3)
	v_mfma_f32_16x16x16_bf16 v[6:9], v[58:59], v[22:23], v[6:9]
	;; [unrolled: 3-line block ×5, first 2 shown]
	v_mfma_f32_16x16x16_bf16 v[2:5], v[52:53], v[20:21], v[6:9]
	s_nop 6
	v_bfe_u32 v1, v3, 16, 1
	v_bfe_u32 v6, v2, 16, 1
	v_add3_u32 v2, v2, v6, s8
	v_add3_u32 v1, v3, v1, s8
	v_perm_b32 v2, v1, v2, s9
	v_bfe_u32 v1, v5, 16, 1
	v_bfe_u32 v3, v4, 16, 1
	v_add3_u32 v3, v4, v3, s8
	v_add3_u32 v1, v5, v1, s8
	v_perm_b32 v3, v1, v3, s9
	ds_write2st64_b64 v78, v[10:11], v[2:3] offset1:1
	s_waitcnt lgkmcnt(0)
	s_barrier
	s_and_saveexec_b64 s[4:5], vcc
	s_cbranch_execz .LBB590_20
; %bb.18:
	s_load_dwordx2 s[4:5], s[0:1], 0x68
	s_lshl_b32 s0, s6, 7
	s_mul_i32 s1, s7, s2
	v_lshlrev_b32_e32 v3, 6, v84
	s_mul_hi_u32 s7, s1, s0
	s_mul_i32 s6, s1, s0
	v_lshlrev_b32_e32 v2, 4, v0
	v_lshl_or_b32 v0, v0, 10, v3
	s_lshl_b64 s[6:7], s[6:7], 1
	v_lshlrev_b32_e32 v1, 5, v87
	v_and_b32_e32 v2, 16, v2
	v_and_b32_e32 v0, 0x1a00, v0
	s_waitcnt lgkmcnt(0)
	s_add_u32 s1, s4, s6
	v_or3_b32 v2, v0, v1, v2
	s_addc_u32 s4, s5, s7
	s_lshl_b32 s2, s26, 7
	ds_read_b128 v[4:7], v2 offset:256
	s_lshl_b64 s[2:3], s[2:3], 1
	ds_read_b128 v[8:11], v2 offset:128
	ds_read_b128 v[12:15], v2
	s_add_u32 s2, s1, s2
	s_addc_u32 s3, s4, s3
	v_mov_b32_e32 v83, 0
	v_add_u32_e32 v3, s40, v87
	v_lshl_add_u64 v[0:1], s[2:3], 0, v[82:83]
	v_mad_u64_u32 v[16:17], s[2:3], v3, s0, 0
	v_lshl_add_u64 v[16:17], v[16:17], 1, v[0:1]
	s_waitcnt lgkmcnt(0)
	global_store_dwordx4 v[16:17], v[12:15], off
	v_cmp_ne_u32_e32 vcc, 3, v87
	s_nop 0
	v_add_u32_e32 v12, 4, v3
	v_mad_u64_u32 v[12:13], s[2:3], v12, s0, 0
	v_lshl_add_u64 v[12:13], v[12:13], 1, v[0:1]
	v_add_u32_e32 v3, 8, v3
	global_store_dwordx4 v[12:13], v[8:11], off
	s_nop 1
	v_mad_u64_u32 v[8:9], s[2:3], v3, s0, 0
	v_lshl_add_u64 v[8:9], v[8:9], 1, v[0:1]
	global_store_dwordx4 v[8:9], v[4:7], off
	s_and_b64 exec, exec, vcc
	s_cbranch_execz .LBB590_20
; %bb.19:
	ds_read_b128 v[2:5], v2 offset:384
	v_add3_u32 v6, s40, v87, 12
	v_mad_u64_u32 v[6:7], s[0:1], v6, s0, 0
	v_lshl_add_u64 v[0:1], v[6:7], 1, v[0:1]
	s_waitcnt lgkmcnt(0)
	global_store_dwordx4 v[0:1], v[2:5], off
.LBB590_20:
	s_endpgm
	.section	.rodata,"a",@progbits
	.p2align	6, 0x0
	.amdhsa_kernel _Z39paged_attention_ll4mi_QKV_mfma16_kernelI14__hip_bfloat16S0_LN4vllm18Fp8KVCacheDataTypeE0EhLi16ELi128ELi256ELb1ELi15EEvPKT_PKT0_S8_ifPKiSA_SA_iPKfiiiPfSD_PS3_PT2_iSC_SC_
		.amdhsa_group_segment_fixed_size 8192
		.amdhsa_private_segment_fixed_size 0
		.amdhsa_kernarg_size 400
		.amdhsa_user_sgpr_count 2
		.amdhsa_user_sgpr_dispatch_ptr 0
		.amdhsa_user_sgpr_queue_ptr 0
		.amdhsa_user_sgpr_kernarg_segment_ptr 1
		.amdhsa_user_sgpr_dispatch_id 0
		.amdhsa_user_sgpr_kernarg_preload_length 0
		.amdhsa_user_sgpr_kernarg_preload_offset 0
		.amdhsa_user_sgpr_private_segment_size 0
		.amdhsa_uses_dynamic_stack 0
		.amdhsa_enable_private_segment 0
		.amdhsa_system_sgpr_workgroup_id_x 1
		.amdhsa_system_sgpr_workgroup_id_y 1
		.amdhsa_system_sgpr_workgroup_id_z 1
		.amdhsa_system_sgpr_workgroup_info 0
		.amdhsa_system_vgpr_workitem_id 0
		.amdhsa_next_free_vgpr 96
		.amdhsa_next_free_sgpr 42
		.amdhsa_accum_offset 96
		.amdhsa_reserve_vcc 1
		.amdhsa_float_round_mode_32 0
		.amdhsa_float_round_mode_16_64 0
		.amdhsa_float_denorm_mode_32 3
		.amdhsa_float_denorm_mode_16_64 3
		.amdhsa_dx10_clamp 1
		.amdhsa_ieee_mode 1
		.amdhsa_fp16_overflow 0
		.amdhsa_tg_split 0
		.amdhsa_exception_fp_ieee_invalid_op 0
		.amdhsa_exception_fp_denorm_src 0
		.amdhsa_exception_fp_ieee_div_zero 0
		.amdhsa_exception_fp_ieee_overflow 0
		.amdhsa_exception_fp_ieee_underflow 0
		.amdhsa_exception_fp_ieee_inexact 0
		.amdhsa_exception_int_div_zero 0
	.end_amdhsa_kernel
	.section	.text._Z39paged_attention_ll4mi_QKV_mfma16_kernelI14__hip_bfloat16S0_LN4vllm18Fp8KVCacheDataTypeE0EhLi16ELi128ELi256ELb1ELi15EEvPKT_PKT0_S8_ifPKiSA_SA_iPKfiiiPfSD_PS3_PT2_iSC_SC_,"axG",@progbits,_Z39paged_attention_ll4mi_QKV_mfma16_kernelI14__hip_bfloat16S0_LN4vllm18Fp8KVCacheDataTypeE0EhLi16ELi128ELi256ELb1ELi15EEvPKT_PKT0_S8_ifPKiSA_SA_iPKfiiiPfSD_PS3_PT2_iSC_SC_,comdat
.Lfunc_end590:
	.size	_Z39paged_attention_ll4mi_QKV_mfma16_kernelI14__hip_bfloat16S0_LN4vllm18Fp8KVCacheDataTypeE0EhLi16ELi128ELi256ELb1ELi15EEvPKT_PKT0_S8_ifPKiSA_SA_iPKfiiiPfSD_PS3_PT2_iSC_SC_, .Lfunc_end590-_Z39paged_attention_ll4mi_QKV_mfma16_kernelI14__hip_bfloat16S0_LN4vllm18Fp8KVCacheDataTypeE0EhLi16ELi128ELi256ELb1ELi15EEvPKT_PKT0_S8_ifPKiSA_SA_iPKfiiiPfSD_PS3_PT2_iSC_SC_
                                        ; -- End function
	.section	.AMDGPU.csdata,"",@progbits
; Kernel info:
; codeLenInByte = 5040
; NumSgprs: 48
; NumVgprs: 96
; NumAgprs: 0
; TotalNumVgprs: 96
; ScratchSize: 0
; MemoryBound: 0
; FloatMode: 240
; IeeeMode: 1
; LDSByteSize: 8192 bytes/workgroup (compile time only)
; SGPRBlocks: 5
; VGPRBlocks: 11
; NumSGPRsForWavesPerEU: 48
; NumVGPRsForWavesPerEU: 96
; AccumOffset: 96
; Occupancy: 5
; WaveLimiterHint : 1
; COMPUTE_PGM_RSRC2:SCRATCH_EN: 0
; COMPUTE_PGM_RSRC2:USER_SGPR: 2
; COMPUTE_PGM_RSRC2:TRAP_HANDLER: 0
; COMPUTE_PGM_RSRC2:TGID_X_EN: 1
; COMPUTE_PGM_RSRC2:TGID_Y_EN: 1
; COMPUTE_PGM_RSRC2:TGID_Z_EN: 1
; COMPUTE_PGM_RSRC2:TIDIG_COMP_CNT: 0
; COMPUTE_PGM_RSRC3_GFX90A:ACCUM_OFFSET: 23
; COMPUTE_PGM_RSRC3_GFX90A:TG_SPLIT: 0
	.section	.text._Z39paged_attention_ll4mi_QKV_mfma16_kernelI14__hip_bfloat16S0_LN4vllm18Fp8KVCacheDataTypeE0EhLi16ELi128ELi256ELb1ELi16EEvPKT_PKT0_S8_ifPKiSA_SA_iPKfiiiPfSD_PS3_PT2_iSC_SC_,"axG",@progbits,_Z39paged_attention_ll4mi_QKV_mfma16_kernelI14__hip_bfloat16S0_LN4vllm18Fp8KVCacheDataTypeE0EhLi16ELi128ELi256ELb1ELi16EEvPKT_PKT0_S8_ifPKiSA_SA_iPKfiiiPfSD_PS3_PT2_iSC_SC_,comdat
	.protected	_Z39paged_attention_ll4mi_QKV_mfma16_kernelI14__hip_bfloat16S0_LN4vllm18Fp8KVCacheDataTypeE0EhLi16ELi128ELi256ELb1ELi16EEvPKT_PKT0_S8_ifPKiSA_SA_iPKfiiiPfSD_PS3_PT2_iSC_SC_ ; -- Begin function _Z39paged_attention_ll4mi_QKV_mfma16_kernelI14__hip_bfloat16S0_LN4vllm18Fp8KVCacheDataTypeE0EhLi16ELi128ELi256ELb1ELi16EEvPKT_PKT0_S8_ifPKiSA_SA_iPKfiiiPfSD_PS3_PT2_iSC_SC_
	.globl	_Z39paged_attention_ll4mi_QKV_mfma16_kernelI14__hip_bfloat16S0_LN4vllm18Fp8KVCacheDataTypeE0EhLi16ELi128ELi256ELb1ELi16EEvPKT_PKT0_S8_ifPKiSA_SA_iPKfiiiPfSD_PS3_PT2_iSC_SC_
	.p2align	8
	.type	_Z39paged_attention_ll4mi_QKV_mfma16_kernelI14__hip_bfloat16S0_LN4vllm18Fp8KVCacheDataTypeE0EhLi16ELi128ELi256ELb1ELi16EEvPKT_PKT0_S8_ifPKiSA_SA_iPKfiiiPfSD_PS3_PT2_iSC_SC_,@function
_Z39paged_attention_ll4mi_QKV_mfma16_kernelI14__hip_bfloat16S0_LN4vllm18Fp8KVCacheDataTypeE0EhLi16ELi128ELi256ELb1ELi16EEvPKT_PKT0_S8_ifPKiSA_SA_iPKfiiiPfSD_PS3_PT2_iSC_SC_: ; @_Z39paged_attention_ll4mi_QKV_mfma16_kernelI14__hip_bfloat16S0_LN4vllm18Fp8KVCacheDataTypeE0EhLi16ELi128ELi256ELb1ELi16EEvPKT_PKT0_S8_ifPKiSA_SA_iPKfiiiPfSD_PS3_PT2_iSC_SC_
; %bb.0:
	s_load_dwordx2 s[8:9], s[0:1], 0x30
	s_mov_b32 s26, s3
	s_mov_b64 s[6:7], 0
	s_waitcnt lgkmcnt(0)
	s_cmp_lg_u64 s[8:9], 0
	s_cselect_b64 s[10:11], -1, 0
	s_and_b64 vcc, exec, s[10:11]
	s_cbranch_vccz .LBB591_7
; %bb.1:
	s_add_i32 s12, s2, 1
	s_mov_b32 s13, 0
	s_lshl_b64 s[14:15], s[12:13], 2
	s_add_u32 s14, s8, s14
	s_mov_b32 s3, s13
	s_addc_u32 s15, s9, s15
	s_lshl_b64 s[12:13], s[2:3], 2
	s_add_u32 s12, s8, s12
	s_addc_u32 s13, s9, s13
	s_load_dword s5, s[14:15], 0x0
	s_load_dword s16, s[12:13], 0x0
	s_waitcnt lgkmcnt(0)
	s_sub_i32 s5, s5, s16
	s_cmp_eq_u32 s5, 1
	s_cselect_b64 s[12:13], -1, 0
	s_andn2_b64 vcc, exec, s[6:7]
	s_cbranch_vccnz .LBB591_3
.LBB591_2:
	s_mov_b32 s3, 0
	s_mov_b64 s[12:13], -1
.LBB591_3:
	s_andn2_b64 vcc, exec, s[12:13]
	s_cbranch_vccnz .LBB591_17
; %bb.4:
	s_load_dwordx2 s[6:7], s[0:1], 0x28
	s_lshl_b64 s[18:19], s[2:3], 2
	s_waitcnt lgkmcnt(0)
	s_add_u32 s6, s6, s18
	s_addc_u32 s7, s7, s19
	s_load_dword s38, s[6:7], 0x0
	s_lshl_b32 s20, s26, 8
	s_waitcnt lgkmcnt(0)
	s_cmp_ge_i32 s20, s38
	s_cbranch_scc1 .LBB591_17
; %bb.5:
	s_load_dwordx2 s[6:7], s[0:1], 0x20
	s_load_dword s5, s[0:1], 0x38
	s_add_i32 s12, s38, 15
	s_ashr_i32 s13, s12, 31
	v_and_b32_e32 v1, 0xcf, v0
	s_lshr_b32 s13, s13, 28
	v_add_u32_e32 v1, s20, v1
	s_add_i32 s12, s12, s13
	v_ashrrev_i32_e32 v2, 31, v1
	s_ashr_i32 s21, s12, 4
	v_lshrrev_b32_e32 v4, 28, v2
	s_add_i32 s21, s21, -1
	s_waitcnt lgkmcnt(0)
	s_mul_i32 s12, s2, s5
	s_mov_b32 s13, 0
	v_add_u32_e32 v2, v1, v4
	s_lshl_b64 s[12:13], s[12:13], 2
	v_ashrrev_i32_e32 v2, 4, v2
	v_mov_b32_e32 v5, s21
	v_cmp_gt_i32_e32 vcc, s38, v1
	s_add_u32 s6, s6, s12
	s_addc_u32 s7, s7, s13
	v_cndmask_b32_e32 v2, v5, v2, vcc
	v_ashrrev_i32_e32 v3, 31, v2
	v_lshl_add_u64 v[6:7], v[2:3], 2, s[6:7]
	v_or_b32_e32 v2, 16, v1
	v_add_u32_e32 v3, v2, v4
	v_ashrrev_i32_e32 v3, 4, v3
	v_cmp_gt_i32_e32 vcc, s38, v2
	s_nop 1
	v_cndmask_b32_e32 v2, v5, v3, vcc
	v_ashrrev_i32_e32 v3, 31, v2
	v_lshl_add_u64 v[8:9], v[2:3], 2, s[6:7]
	v_or_b32_e32 v2, 32, v1
	v_add_u32_e32 v3, v2, v4
	v_ashrrev_i32_e32 v3, 4, v3
	v_cmp_gt_i32_e32 vcc, s38, v2
	v_or_b32_e32 v1, 48, v1
	s_nop 0
	v_cndmask_b32_e32 v2, v5, v3, vcc
	v_ashrrev_i32_e32 v3, 31, v2
	v_lshl_add_u64 v[10:11], v[2:3], 2, s[6:7]
	v_add_u32_e32 v2, v1, v4
	v_ashrrev_i32_e32 v2, 4, v2
	v_cmp_gt_i32_e32 vcc, s38, v1
	s_nop 1
	v_cndmask_b32_e32 v2, v5, v2, vcc
	v_ashrrev_i32_e32 v3, 31, v2
	v_lshl_add_u64 v[12:13], v[2:3], 2, s[6:7]
	global_load_dword v4, v[6:7], off
	global_load_dword v3, v[8:9], off
	;; [unrolled: 1-line block ×4, first 2 shown]
	s_load_dwordx2 s[16:17], s[0:1], 0x40
	s_load_dwordx4 s[12:15], s[0:1], 0x8
	s_andn2_b64 vcc, exec, s[10:11]
	s_cbranch_vccnz .LBB591_8
; %bb.6:
	s_add_u32 s8, s8, s18
	s_addc_u32 s9, s9, s19
	s_load_dword s5, s[8:9], 0x0
	s_branch .LBB591_9
.LBB591_7:
	s_mov_b64 s[12:13], 0
	s_branch .LBB591_2
.LBB591_8:
	s_mov_b32 s5, s2
.LBB591_9:
	s_load_dwordx4 s[8:11], s[0:1], 0x48
	v_and_b32_e32 v86, 15, v0
	v_lshlrev_b32_e32 v5, 3, v86
	s_waitcnt lgkmcnt(0)
	s_movk_i32 s11, 0x100
	v_lshrrev_b32_e32 v88, 6, v0
	v_and_b32_e32 v89, 63, v0
	v_bfe_u32 v1, v0, 4, 2
	s_lshl_b32 s27, s4, 4
	v_cmp_gt_u32_e32 vcc, s11, v0
	v_lshlrev_b32_e32 v6, 1, v5
	scratch_store_dwordx2 off, v[6:7], off  ; 8-byte Folded Spill
	s_and_saveexec_b64 s[18:19], vcc
	s_cbranch_execz .LBB591_11
; %bb.10:
	scratch_load_dwordx2 v[8:9], off, off   ; 8-byte Folded Reload
	s_load_dwordx2 s[22:23], s[0:1], 0x0
	s_ashr_i32 s11, s8, 31
	s_mul_hi_u32 s24, s5, s8
	s_mul_i32 s11, s5, s11
	s_add_i32 s25, s24, s11
	s_mul_i32 s24, s5, s8
	v_lshl_or_b32 v5, v88, 2, v1
	s_lshl_b64 s[24:25], s[24:25], 1
	s_waitcnt lgkmcnt(0)
	s_add_u32 s22, s22, s24
	v_add_lshl_u32 v6, v5, s27, 7
	s_addc_u32 s23, s23, s25
	v_ashrrev_i32_e32 v7, 31, v6
	v_lshl_add_u64 v[6:7], v[6:7], 1, s[22:23]
	v_mov_b32_e32 v11, 0
	v_lshlrev_b32_e32 v5, 5, v5
	s_waitcnt vmcnt(0)
	v_mov_b32_e32 v10, v8
	v_lshl_add_u64 v[6:7], v[6:7], 0, v[10:11]
	scratch_store_dwordx2 off, v[8:9], off  ; 8-byte Folded Spill
	global_load_dwordx4 v[6:9], v[6:7], off
	v_and_b32_e32 v10, 3, v0
	v_lshlrev_b32_e32 v11, 9, v86
	v_lshlrev_b32_e32 v10, 9, v10
	v_and_b32_e32 v11, 0x1800, v11
	v_or3_b32 v5, v11, v10, v5
	s_waitcnt vmcnt(0)
	ds_write_b128 v5, v[6:9]
.LBB591_11:
	s_or_b64 exec, exec, s[18:19]
	s_mul_i32 s4, s4, s10
	s_mov_b32 s5, 0
	s_lshl_b64 s[4:5], s[4:5], 1
	s_add_u32 s10, s12, s4
	v_lshlrev_b32_e32 v6, 4, v0
	s_addc_u32 s11, s13, s5
	v_and_b32_e32 v38, 0xf0, v6
	v_mov_b32_e32 v39, 0
	v_lshl_add_u64 v[40:41], s[10:11], 0, v[38:39]
	s_waitcnt vmcnt(4)
	v_mad_i64_i32 v[4:5], s[10:11], v4, s9, 0
	v_lshl_add_u64 v[4:5], v[4:5], 1, v[40:41]
	v_and_b32_e32 v38, 0x300, v6
	v_lshl_add_u64 v[34:35], v[4:5], 0, v[38:39]
	s_waitcnt vmcnt(3)
	v_mad_i64_i32 v[4:5], s[10:11], v3, s9, 0
	s_load_dword s33, s[0:1], 0x98
	s_load_dword s8, s[0:1], 0x1c
	s_waitcnt lgkmcnt(0)
	s_barrier
	global_load_dwordx4 v[10:13], v[34:35], off
	v_lshl_add_u64 v[4:5], v[4:5], 1, v[40:41]
	v_lshl_add_u64 v[42:43], v[4:5], 0, v[38:39]
	global_load_dwordx4 v[14:17], v[42:43], off
	s_waitcnt vmcnt(4)
	v_mad_i64_i32 v[2:3], s[10:11], v2, s9, 0
	v_lshl_add_u64 v[2:3], v[2:3], 1, v[40:41]
	v_lshl_add_u64 v[44:45], v[2:3], 0, v[38:39]
	global_load_dwordx4 v[30:33], v[44:45], off
	global_load_dwordx4 v[22:25], v[34:35], off offset:1024
	global_load_dwordx4 v[18:21], v[42:43], off offset:1024
	;; [unrolled: 1-line block ×3, first 2 shown]
	v_lshlrev_b32_e32 v2, 5, v86
	scratch_store_dword off, v2, off offset:8 ; 4-byte Folded Spill
	v_lshl_or_b32 v87, v1, 9, v2
	ds_read_b128 v[6:9], v87
	ds_read_b128 v[2:5], v87 offset:2048
	global_load_dwordx4 v[50:53], v[34:35], off offset:2048
	global_load_dwordx4 v[58:61], v[42:43], off offset:2048
	global_load_dwordx4 v[66:69], v[44:45], off offset:2048
	global_load_dwordx4 v[70:73], v[34:35], off offset:3072
	v_and_or_b32 v74, v0, 48, s20
	v_mov_b32_e32 v75, s21
	v_cmp_gt_i32_e32 vcc, s38, v74
	s_waitcnt vmcnt(12)
	v_mad_i64_i32 v[76:77], s[10:11], v36, s9, 0
	v_or_b32_e32 v78, 64, v74
	v_or_b32_e32 v79, 0x80, v74
	;; [unrolled: 1-line block ×3, first 2 shown]
	v_ashrrev_i32_e32 v81, 4, v80
	s_add_u32 s4, s14, s4
	s_addc_u32 s5, s15, s5
	s_mov_b32 s40, 0xff7fffff
	s_waitcnt vmcnt(8) lgkmcnt(1)
	v_mfma_f32_16x16x16_bf16 v[62:65], v[30:31], v[6:7], 0
	v_mfma_f32_16x16x16_bf16 v[46:49], v[10:11], v[6:7], 0
	;; [unrolled: 1-line block ×4, first 2 shown]
	s_nop 4
	ds_read_b128 v[46:49], v87 offset:4096
	ds_read_b128 v[34:37], v87 offset:6144
	v_mfma_f32_16x16x16_bf16 v[14:17], v[16:17], v[8:9], v[54:57]
	s_nop 2
	v_ashrrev_i32_e32 v54, 4, v74
	v_mfma_f32_16x16x16_bf16 v[30:33], v[32:33], v[8:9], v[62:65]
	v_ashrrev_i32_e32 v74, 4, v79
	s_waitcnt vmcnt(7) lgkmcnt(2)
	v_mfma_f32_16x16x16_bf16 v[10:13], v[22:23], v[2:3], v[10:13]
	v_cndmask_b32_e32 v22, v75, v54, vcc
	global_load_dwordx4 v[54:57], v[42:43], off offset:3072
	v_ashrrev_i32_e32 v23, 31, v22
	global_load_dwordx4 v[42:45], v[44:45], off offset:3072
	v_ashrrev_i32_e32 v62, 4, v78
	s_waitcnt vmcnt(8)
	v_mfma_f32_16x16x16_bf16 v[14:17], v[18:19], v[2:3], v[14:17]
	v_lshl_add_u64 v[18:19], v[22:23], 2, s[6:7]
	v_cmp_gt_i32_e32 vcc, s38, v78
	v_lshl_add_u64 v[22:23], v[76:77], 1, v[40:41]
	s_waitcnt vmcnt(7)
	v_mfma_f32_16x16x16_bf16 v[30:33], v[26:27], v[2:3], v[30:33]
	global_load_dword v26, v[18:19], off
	v_cndmask_b32_e32 v18, v75, v62, vcc
	v_ashrrev_i32_e32 v19, 31, v18
	v_lshl_add_u64 v[22:23], v[22:23], 0, v[38:39]
	v_lshl_add_u64 v[18:19], v[18:19], 2, s[6:7]
	global_load_dwordx4 v[62:65], v[22:23], off
	global_load_dword v91, v[18:19], off
	v_mfma_f32_16x16x16_bf16 v[10:13], v[24:25], v[4:5], v[10:13]
	v_cmp_gt_i32_e32 vcc, s38, v79
	global_load_dwordx4 v[76:79], v[22:23], off offset:1024
	s_nop 0
	v_cndmask_b32_e32 v24, v75, v74, vcc
	v_ashrrev_i32_e32 v25, 31, v24
	v_lshl_add_u64 v[24:25], v[24:25], 2, s[6:7]
	s_waitcnt vmcnt(9) lgkmcnt(1)
	v_mfma_f32_16x16x16_bf16 v[10:13], v[50:51], v[46:47], v[10:13]
	global_load_dword v50, v[24:25], off
	v_cmp_gt_i32_e32 vcc, s38, v80
	v_mfma_f32_16x16x16_bf16 v[14:17], v[20:21], v[4:5], v[14:17]
	s_nop 0
	v_cndmask_b32_e32 v24, v75, v81, vcc
	global_load_dwordx4 v[80:83], v[22:23], off offset:2048
	v_ashrrev_i32_e32 v25, 31, v24
	s_waitcnt vmcnt(10)
	v_mfma_f32_16x16x16_bf16 v[14:17], v[58:59], v[46:47], v[14:17]
	v_lshl_add_u64 v[24:25], v[24:25], 2, s[6:7]
	global_load_dword v74, v[24:25], off
	v_mfma_f32_16x16x16_bf16 v[14:17], v[60:61], v[48:49], v[14:17]
	global_load_dwordx4 v[58:61], v[22:23], off offset:3072
	v_mfma_f32_16x16x16_bf16 v[18:21], v[28:29], v[4:5], v[30:33]
	s_waitcnt vmcnt(11)
	v_mfma_f32_16x16x16_bf16 v[18:21], v[66:67], v[46:47], v[18:21]
	v_or_b32_e32 v66, s27, v86
	v_ashrrev_i32_e32 v67, 31, v66
	v_lshl_add_u64 v[22:23], v[66:67], 2, s[16:17]
	global_load_dword v75, v[22:23], off
	v_mfma_f32_16x16x16_bf16 v[10:13], v[52:53], v[48:49], v[10:13]
	v_lshl_or_b32 v67, v88, 4, v86
	v_lshlrev_b32_e32 v38, 5, v67
	v_lshl_add_u64 v[40:41], s[4:5], 0, v[38:39]
	v_mfma_f32_16x16x16_bf16 v[18:21], v[68:69], v[48:49], v[18:21]
	v_or_b32_e32 v38, 0x800, v38
	s_waitcnt vmcnt(8)
	v_mad_i64_i32 v[22:23], s[6:7], v26, s9, 0
	s_waitcnt lgkmcnt(0)
	v_mfma_f32_16x16x16_bf16 v[10:13], v[70:71], v[34:35], v[10:13]
	v_lshlrev_b64 v[84:85], 1, v[22:23]
	v_mfma_f32_16x16x16_bf16 v[18:21], v[42:43], v[34:35], v[18:21]
	v_mfma_f32_16x16x16_bf16 v[68:71], v[72:73], v[36:37], v[10:13]
	s_nop 3
	v_lshl_add_u64 v[10:11], v[40:41], 0, v[84:85]
	global_load_dwordx4 v[30:33], v[10:11], off
	global_load_dwordx4 v[26:29], v[10:11], off offset:16
	s_waitcnt vmcnt(8)
	v_mad_i64_i32 v[10:11], s[6:7], v91, s9, 0
	v_lshlrev_b64 v[42:43], 1, v[10:11]
	v_lshl_add_u64 v[10:11], v[40:41], 0, v[42:43]
	v_mfma_f32_16x16x16_bf16 v[92:95], v[44:45], v[36:37], v[18:21]
	global_load_dwordx4 v[22:25], v[10:11], off
	s_nop 1
	global_load_dwordx4 v[18:21], v[10:11], off offset:16
	v_mfma_f32_16x16x16_bf16 v[10:13], v[62:63], v[6:7], 0
	s_waitcnt vmcnt(8)
	v_mad_i64_i32 v[6:7], s[6:7], v50, s9, 0
	v_lshlrev_b64 v[50:51], 1, v[6:7]
	v_mfma_f32_16x16x16_bf16 v[6:9], v[64:65], v[8:9], v[10:13]
	v_pk_mul_f32 v[72:73], s[8:9], v[94:95] op_sel_hi:[0,1]
	v_mfma_f32_16x16x16_bf16 v[6:9], v[76:77], v[2:3], v[6:9]
	s_waitcnt vmcnt(6)
	v_mad_i64_i32 v[2:3], s[6:7], v74, s9, 0
	v_lshlrev_b64 v[52:53], 1, v[2:3]
	v_mfma_f32_16x16x16_bf16 v[62:65], v[78:79], v[4:5], v[6:9]
	v_lshl_add_u64 v[10:11], v[40:41], 0, v[50:51]
	v_lshl_add_u64 v[2:3], v[40:41], 0, v[52:53]
	v_pk_mul_f32 v[76:77], s[8:9], v[92:93] op_sel_hi:[0,1]
	v_mfma_f32_16x16x16_bf16 v[44:47], v[80:81], v[46:47], v[62:65]
	v_mfma_f32_16x16x16_bf16 v[44:47], v[82:83], v[48:49], v[44:47]
	v_pk_mul_f32 v[82:83], s[8:9], v[70:71] op_sel_hi:[0,1]
	s_nop 0
	v_pk_mul_f32 v[62:63], s[8:9], v[68:69] op_sel_hi:[0,1]
	v_lshl_add_u64 v[64:65], s[4:5], 0, v[38:39]
	v_mfma_f32_16x16x16_bf16 v[14:17], v[54:55], v[34:35], v[14:17]
	v_lshl_add_u64 v[38:39], v[64:65], 0, v[84:85]
	v_lshl_add_u64 v[50:51], v[64:65], 0, v[50:51]
	s_waitcnt vmcnt(5)
	v_mfma_f32_16x16x16_bf16 v[44:47], v[58:59], v[34:35], v[44:47]
	v_mfma_f32_16x16x16_bf16 v[54:57], v[56:57], v[36:37], v[14:17]
	s_nop 2
	global_load_dwordx4 v[14:17], v[10:11], off
	s_nop 0
	global_load_dwordx4 v[10:13], v[10:11], off offset:16
	s_nop 0
	global_load_dwordx4 v[6:9], v[2:3], off
	s_nop 0
	global_load_dwordx4 v[2:5], v[2:3], off offset:16
	v_pk_mul_f32 v[78:79], s[8:9], v[56:57] op_sel_hi:[0,1]
	v_mfma_f32_16x16x16_bf16 v[34:37], v[60:61], v[36:37], v[44:47]
	v_pk_mul_f32 v[80:81], s[8:9], v[54:55] op_sel_hi:[0,1]
	s_nop 5
	v_pk_mul_f32 v[70:71], s[8:9], v[34:35] op_sel_hi:[0,1]
	v_and_b32_e32 v34, 0xc0, v0
	v_add_u32_e32 v34, s20, v34
	v_lshl_or_b32 v34, v1, 2, v34
	v_or_b32_e32 v35, 1, v34
	v_pk_mul_f32 v[68:69], s[8:9], v[36:37] op_sel_hi:[0,1]
	v_subrev_u32_e32 v36, s38, v35
	v_add_u32_e32 v40, 1, v36
	v_add_u32_e32 v41, 2, v36
	v_cvt_f32_i32_e32 v37, v36
	v_cvt_f32_i32_e32 v40, v40
	;; [unrolled: 1-line block ×3, first 2 shown]
	v_add_u32_e32 v44, 3, v36
	s_waitcnt vmcnt(8)
	v_fma_f32 v62, v75, v37, v62
	v_fmac_f32_e32 v63, v75, v40
	v_fma_f32 v74, v75, v41, v82
	v_add_u32_e32 v37, 16, v36
	v_add_u32_e32 v40, 17, v36
	;; [unrolled: 1-line block ×3, first 2 shown]
	v_cvt_f32_i32_e32 v44, v44
	v_cvt_f32_i32_e32 v37, v37
	v_cvt_f32_i32_e32 v40, v40
	v_cvt_f32_i32_e32 v41, v41
	v_fmac_f32_e32 v83, v75, v44
	v_add_u32_e32 v44, 19, v36
	v_fma_f32 v80, v75, v37, v80
	v_fmac_f32_e32 v81, v75, v40
	v_fma_f32 v78, v75, v41, v78
	v_add_u32_e32 v37, 32, v36
	v_add_u32_e32 v40, 33, v36
	;; [unrolled: 1-line block ×3, first 2 shown]
	v_cvt_f32_i32_e32 v44, v44
	v_cvt_f32_i32_e32 v37, v37
	;; [unrolled: 1-line block ×4, first 2 shown]
	v_fmac_f32_e32 v79, v75, v44
	v_add_u32_e32 v44, 35, v36
	v_fma_f32 v76, v75, v37, v76
	v_fmac_f32_e32 v77, v75, v40
	v_fma_f32 v72, v75, v41, v72
	v_add_u32_e32 v37, 48, v36
	v_add_u32_e32 v40, 49, v36
	;; [unrolled: 1-line block ×4, first 2 shown]
	v_cvt_f32_i32_e32 v36, v36
	v_cvt_f32_i32_e32 v37, v37
	;; [unrolled: 1-line block ×3, first 2 shown]
	v_cmp_gt_i32_e64 s[28:29], s38, v34
	v_fmac_f32_e32 v69, v75, v36
	v_mov_b32_e32 v36, 0xff7fffff
	v_cmp_gt_i32_e64 s[30:31], s38, v35
	v_fma_f32 v70, v75, v37, v70
	v_cndmask_b32_e64 v37, v36, v62, s[28:29]
	v_cndmask_b32_e64 v35, v36, v63, s[30:31]
	v_fmac_f32_e32 v71, v75, v40
	v_max3_f32 v35, v37, s40, v35
	v_or_b32_e32 v37, 2, v34
	v_or_b32_e32 v40, 3, v34
	v_cmp_gt_i32_e64 s[34:35], s38, v37
	v_cmp_gt_i32_e64 s[36:37], s38, v40
	v_cvt_f32_i32_e32 v44, v44
	v_cndmask_b32_e64 v37, v36, v74, s[34:35]
	v_cndmask_b32_e64 v40, v36, v83, s[36:37]
	v_max3_f32 v35, v35, v37, v40
	v_or_b32_e32 v37, 16, v34
	v_or_b32_e32 v40, 17, v34
	v_cmp_gt_i32_e64 s[22:23], s38, v37
	v_cmp_gt_i32_e64 s[24:25], s38, v40
	v_fmac_f32_e32 v73, v75, v44
	v_cndmask_b32_e64 v37, v36, v80, s[22:23]
	v_cndmask_b32_e64 v40, v36, v81, s[24:25]
	v_max3_f32 v35, v35, v37, v40
	v_or_b32_e32 v37, 18, v34
	v_or_b32_e32 v40, 19, v34
	v_cmp_gt_i32_e64 s[18:19], s38, v37
	v_cmp_gt_i32_e64 s[20:21], s38, v40
	v_cvt_f32_i32_e32 v41, v41
	v_cndmask_b32_e64 v37, v36, v78, s[18:19]
	v_cndmask_b32_e64 v40, v36, v79, s[20:21]
	v_max3_f32 v35, v35, v37, v40
	v_or_b32_e32 v37, 32, v34
	v_or_b32_e32 v40, 33, v34
	v_cmp_gt_i32_e64 s[14:15], s38, v37
	v_cmp_gt_i32_e64 s[16:17], s38, v40
	v_fma_f32 v68, v75, v41, v68
	v_cndmask_b32_e64 v37, v36, v76, s[14:15]
	v_cndmask_b32_e64 v40, v36, v77, s[16:17]
	v_max3_f32 v35, v35, v37, v40
	v_or_b32_e32 v37, 34, v34
	v_or_b32_e32 v40, 35, v34
	v_cmp_gt_i32_e64 s[10:11], s38, v37
	v_cmp_gt_i32_e64 s[12:13], s38, v40
	s_nop 0
	v_cndmask_b32_e64 v37, v36, v72, s[10:11]
	v_cndmask_b32_e64 v40, v36, v73, s[12:13]
	v_max3_f32 v35, v35, v37, v40
	v_or_b32_e32 v37, 48, v34
	v_or_b32_e32 v40, 49, v34
	v_cmp_gt_i32_e64 s[6:7], s38, v37
	v_cmp_gt_i32_e64 s[8:9], s38, v40
	s_nop 0
	v_cndmask_b32_e64 v37, v36, v70, s[6:7]
	v_cndmask_b32_e64 v40, v36, v71, s[8:9]
	v_max3_f32 v35, v35, v37, v40
	v_or_b32_e32 v37, 50, v34
	v_or_b32_e32 v34, 51, v34
	v_cmp_gt_i32_e32 vcc, s38, v37
	v_cmp_gt_i32_e64 s[4:5], s38, v34
	global_load_dwordx4 v[46:49], v[38:39], off
	s_nop 0
	global_load_dwordx4 v[38:41], v[38:39], off offset:16
	v_cndmask_b32_e32 v37, v36, v68, vcc
	v_cndmask_b32_e64 v34, v36, v69, s[4:5]
	v_max3_f32 v54, v35, v37, v34
	v_mbcnt_lo_u32_b32 v34, -1, 0
	v_mbcnt_hi_u32_b32 v55, -1, v34
	v_and_b32_e32 v34, 64, v55
	v_add_u32_e32 v56, 64, v34
	v_xor_b32_e32 v34, 32, v55
	v_cmp_lt_i32_e64 s[38:39], v34, v56
	s_nop 1
	v_cndmask_b32_e64 v34, v55, v34, s[38:39]
	v_lshlrev_b32_e32 v75, 2, v34
	ds_bpermute_b32 v57, v75, v54
	v_lshl_add_u64 v[34:35], v[64:65], 0, v[42:43]
	global_load_dwordx4 v[42:45], v[34:35], off
	s_nop 0
	global_load_dwordx4 v[34:37], v[34:35], off offset:16
	s_waitcnt lgkmcnt(0)
	v_max_f32_e32 v57, v57, v57
	v_max_f32_e32 v82, v54, v57
	v_xor_b32_e32 v54, 16, v55
	v_cmp_lt_i32_e64 s[38:39], v54, v56
	s_nop 1
	v_cndmask_b32_e64 v54, v55, v54, s[38:39]
	v_lshlrev_b32_e32 v93, 2, v54
	ds_bpermute_b32 v84, v93, v82
	global_load_dwordx4 v[58:61], v[50:51], off
	global_load_dwordx4 v[54:57], v[50:51], off offset:16
	v_lshl_add_u64 v[50:51], v[64:65], 0, v[52:53]
	s_waitcnt lgkmcnt(0)
	v_max_f32_e32 v52, v84, v84
	v_max_f32_e32 v91, v82, v52
	v_sub_f32_e32 v52, v62, v91
	v_mul_f32_e32 v52, 0x3fb8aa3b, v52
	v_exp_f32_e32 v82, v52
	v_sub_f32_e32 v52, v63, v91
	v_mul_f32_e32 v52, 0x3fb8aa3b, v52
	v_exp_f32_e32 v85, v52
	global_load_dwordx4 v[62:65], v[50:51], off
	s_nop 0
	global_load_dwordx4 v[50:53], v[50:51], off offset:16
	v_sub_f32_e32 v74, v74, v91
	v_mul_f32_e32 v74, 0x3fb8aa3b, v74
	v_sub_f32_e32 v83, v83, v91
	v_exp_f32_e32 v74, v74
	v_mul_f32_e32 v83, 0x3fb8aa3b, v83
	v_sub_f32_e32 v80, v80, v91
	v_exp_f32_e32 v83, v83
	v_mul_f32_e32 v80, 0x3fb8aa3b, v80
	v_sub_f32_e32 v81, v81, v91
	v_cndmask_b32_e64 v84, 0, v82, s[28:29]
	v_exp_f32_e32 v80, v80
	v_mul_f32_e32 v81, 0x3fb8aa3b, v81
	v_sub_f32_e32 v78, v78, v91
	v_add_f32_e32 v82, 0, v84
	v_cndmask_b32_e64 v85, 0, v85, s[30:31]
	v_exp_f32_e32 v81, v81
	v_mul_f32_e32 v78, 0x3fb8aa3b, v78
	v_sub_f32_e32 v79, v79, v91
	v_add_f32_e32 v92, v82, v85
	;; [unrolled: 5-line block ×10, first 2 shown]
	v_cndmask_b32_e64 v72, 0, v72, s[10:11]
	v_exp_f32_e32 v68, v68
	v_mul_f32_e32 v69, 0x3fb8aa3b, v69
	v_add_f32_e32 v74, v74, v72
	v_cndmask_b32_e64 v73, 0, v73, s[12:13]
	v_exp_f32_e32 v69, v69
	v_add_f32_e32 v74, v74, v73
	v_cndmask_b32_e64 v70, 0, v70, s[6:7]
	v_add_f32_e32 v74, v74, v70
	v_cndmask_b32_e64 v71, 0, v71, s[8:9]
	v_add_f32_e32 v74, v74, v71
	v_cndmask_b32_e32 v68, 0, v68, vcc
	v_add_f32_e32 v74, v74, v68
	v_cndmask_b32_e64 v69, 0, v69, s[4:5]
	v_add_f32_e32 v74, v74, v69
	ds_bpermute_b32 v75, v75, v74
	v_cmp_gt_u32_e32 vcc, 16, v89
	s_waitcnt lgkmcnt(0)
	s_barrier
	v_add_f32_e32 v92, v74, v75
	ds_bpermute_b32 v93, v93, v92
	s_and_saveexec_b64 s[4:5], vcc
	s_cbranch_execz .LBB591_13
; %bb.12:
	s_waitcnt lgkmcnt(0)
	v_add_f32_e32 v74, v92, v93
	v_lshlrev_b32_e32 v67, 2, v67
	ds_write2st64_b32 v67, v91, v74 offset1:1
.LBB591_13:
	s_or_b64 exec, exec, s[4:5]
	v_lshlrev_b32_e32 v67, 2, v86
	s_load_dword s6, s[0:1], 0x94
	s_waitcnt lgkmcnt(0)
	s_barrier
	ds_read2_b32 v[92:93], v67 offset1:16
	ds_read2_b32 v[94:95], v67 offset0:32 offset1:48
	s_movk_i32 s8, 0x7fff
	s_mov_b32 s9, 0x7060302
	s_lshl_b32 s7, s33, 4
	s_waitcnt lgkmcnt(1)
	v_max3_f32 v74, v92, s40, v93
	s_waitcnt lgkmcnt(0)
	v_max3_f32 v89, v74, v94, v95
	v_sub_f32_e32 v74, v92, v89
	v_mul_f32_e32 v74, 0x3fb8aa3b, v74
	v_sub_f32_e32 v91, v93, v89
	v_exp_f32_e32 v1, v74
	ds_read2_b32 v[74:75], v67 offset0:64 offset1:80
	v_mul_f32_e32 v91, 0x3fb8aa3b, v91
	v_exp_f32_e32 v90, v91
	v_sub_f32_e32 v91, v94, v89
	v_mul_f32_e32 v91, 0x3fb8aa3b, v91
	ds_read2_b32 v[92:93], v67 offset0:96 offset1:112
	v_sub_f32_e32 v67, v95, v89
	v_exp_f32_e32 v94, v91
	v_mul_f32_e32 v67, 0x3fb8aa3b, v67
	v_exp_f32_e32 v67, v67
	s_waitcnt lgkmcnt(1)
	v_fma_f32 v91, v1, v74, 0
	v_fmac_f32_e32 v91, v90, v75
	s_waitcnt lgkmcnt(0)
	v_fmac_f32_e32 v91, v94, v92
	v_fmac_f32_e32 v91, v67, v93
	v_add_f32_e32 v74, 0x358637bd, v91
	v_div_scale_f32 v75, s[4:5], v74, v74, 1.0
	v_rcp_f32_e32 v92, v75
	s_barrier
	v_fma_f32 v93, -v75, v92, 1.0
	v_fmac_f32_e32 v92, v93, v92
	v_div_scale_f32 v93, vcc, 1.0, v74, 1.0
	v_mul_f32_e32 v95, v93, v92
	v_fma_f32 v86, -v75, v95, v93
	v_fmac_f32_e32 v95, v86, v92
	v_fma_f32 v75, -v75, v95, v93
	v_div_fmas_f32 v75, v75, v92, v95
	v_cmp_eq_u32_e32 vcc, 1, v88
	v_div_fixup_f32 v74, v75, v74, 1.0
	s_nop 0
	v_cndmask_b32_e32 v1, v1, v90, vcc
	v_cmp_eq_u32_e32 vcc, 2, v88
	s_nop 1
	v_cndmask_b32_e32 v1, v1, v94, vcc
	v_cmp_eq_u32_e32 vcc, 3, v88
	s_nop 1
	v_cndmask_b32_e32 v1, v1, v67, vcc
	v_mul_f32_e32 v74, v1, v74
	v_pk_mul_f32 v[84:85], v[74:75], v[84:85] op_sel_hi:[0,1]
	v_bfe_u32 v1, v85, 16, 1
	v_bfe_u32 v67, v84, 16, 1
	v_pk_mul_f32 v[82:83], v[74:75], v[82:83] op_sel_hi:[0,1]
	v_add3_u32 v67, v84, v67, s8
	v_add3_u32 v1, v85, v1, s8
	v_perm_b32 v84, v1, v67, s9
	v_bfe_u32 v67, v82, 16, 1
	v_add3_u32 v67, v82, v67, s8
	scratch_load_dword v82, off, off offset:8 ; 4-byte Folded Reload
	v_bfe_u32 v1, v83, 16, 1
	v_add3_u32 v1, v83, v1, s8
	v_bfe_u32 v75, v0, 4, 2
	v_perm_b32 v85, v1, v67, s9
	v_lshlrev_b32_e32 v1, 3, v75
	v_lshlrev_b32_e32 v67, 11, v88
	v_pk_mul_f32 v[80:81], v[74:75], v[80:81] op_sel_hi:[0,1]
	v_pk_mul_f32 v[78:79], v[74:75], v[78:79] op_sel_hi:[0,1]
	;; [unrolled: 1-line block ×6, first 2 shown]
	v_cmp_gt_u32_e32 vcc, 16, v0
	s_waitcnt vmcnt(0)
	v_or3_b32 v82, v67, v82, v1
	v_bfe_u32 v1, v81, 16, 1
	v_bfe_u32 v67, v80, 16, 1
	v_add3_u32 v67, v80, v67, s8
	v_add3_u32 v1, v81, v1, s8
	v_perm_b32 v80, v1, v67, s9
	v_bfe_u32 v1, v79, 16, 1
	v_bfe_u32 v67, v78, 16, 1
	v_add3_u32 v67, v78, v67, s8
	v_add3_u32 v1, v79, v1, s8
	v_perm_b32 v81, v1, v67, s9
	;; [unrolled: 5-line block ×6, first 2 shown]
	ds_write2st64_b64 v82, v[84:85], v[80:81] offset1:1
	ds_write2st64_b64 v82, v[76:77], v[70:71] offset0:2 offset1:3
	s_and_saveexec_b64 s[4:5], vcc
	s_cbranch_execz .LBB591_15
; %bb.14:
	v_mov_b32_e32 v67, 0
	v_mov_b32_e32 v1, s7
	v_mad_u64_u32 v[68:69], s[10:11], s2, v1, v[66:67]
	v_mov_b32_e32 v66, s26
	s_load_dwordx4 s[12:15], s[0:1], 0x58
	s_mul_i32 s3, s3, s7
	v_mad_u64_u32 v[66:67], s[10:11], v68, s6, v[66:67]
	v_add_u32_e32 v1, s3, v69
	v_mov_b32_e32 v68, v67
	v_mad_u64_u32 v[68:69], s[10:11], v1, s6, v[68:69]
	v_mov_b32_e32 v67, v68
	v_lshlrev_b64 v[66:67], 2, v[66:67]
	s_waitcnt lgkmcnt(0)
	v_lshl_add_u64 v[68:69], s[14:15], 0, v[66:67]
	v_lshl_add_u64 v[66:67], s[12:13], 0, v[66:67]
	global_store_dword v[68:69], v89, off
	global_store_dword v[66:67], v91, off
.LBB591_15:
	s_or_b64 exec, exec, s[4:5]
	s_waitcnt lgkmcnt(0)
	s_barrier
	ds_read_b128 v[70:73], v87
	ds_read_b128 v[66:69], v87 offset:16
	s_waitcnt lgkmcnt(1)
	v_mfma_f32_16x16x16_bf16 v[76:79], v[30:31], v[70:71], 0
	s_mov_b32 s3, 0
	v_cmp_gt_u32_e32 vcc, 64, v0
	v_mfma_f32_16x16x16_bf16 v[30:33], v[32:33], v[72:73], v[76:79]
	s_waitcnt lgkmcnt(0)
	v_mfma_f32_16x16x16_bf16 v[30:33], v[26:27], v[66:67], v[30:33]
	v_mfma_f32_16x16x16_bf16 v[26:29], v[28:29], v[68:69], v[30:33]
	s_nop 5
	ds_read_b128 v[30:33], v87 offset:2048
	ds_read_b128 v[76:79], v87 offset:2064
	s_waitcnt lgkmcnt(1)
	v_mfma_f32_16x16x16_bf16 v[26:29], v[22:23], v[30:31], v[26:29]
	v_mfma_f32_16x16x16_bf16 v[22:25], v[24:25], v[32:33], v[26:29]
	s_waitcnt lgkmcnt(0)
	v_mfma_f32_16x16x16_bf16 v[22:25], v[18:19], v[76:77], v[22:25]
	v_mfma_f32_16x16x16_bf16 v[18:21], v[20:21], v[78:79], v[22:25]
	s_nop 5
	ds_read_b128 v[22:25], v87 offset:4096
	ds_read_b128 v[26:29], v87 offset:4112
	s_waitcnt lgkmcnt(1)
	v_mfma_f32_16x16x16_bf16 v[18:21], v[14:15], v[22:23], v[18:21]
	v_mfma_f32_16x16x16_bf16 v[14:17], v[16:17], v[24:25], v[18:21]
	s_waitcnt lgkmcnt(0)
	v_mfma_f32_16x16x16_bf16 v[14:17], v[10:11], v[26:27], v[14:17]
	v_mfma_f32_16x16x16_bf16 v[10:13], v[12:13], v[28:29], v[14:17]
	s_nop 5
	ds_read_b128 v[14:17], v87 offset:6144
	ds_read_b128 v[18:21], v87 offset:6160
	s_waitcnt lgkmcnt(0)
	s_barrier
	v_mfma_f32_16x16x16_bf16 v[10:13], v[6:7], v[14:15], v[10:13]
	v_mfma_f32_16x16x16_bf16 v[6:9], v[8:9], v[16:17], v[10:13]
	;; [unrolled: 1-line block ×6, first 2 shown]
	s_nop 4
	v_bfe_u32 v1, v3, 16, 1
	v_bfe_u32 v10, v2, 16, 1
	v_add3_u32 v2, v2, v10, s8
	v_mfma_f32_16x16x16_bf16 v[6:9], v[38:39], v[66:67], v[6:9]
	v_add3_u32 v1, v3, v1, s8
	v_perm_b32 v10, v1, v2, s9
	v_bfe_u32 v1, v5, 16, 1
	v_mfma_f32_16x16x16_bf16 v[6:9], v[40:41], v[68:69], v[6:9]
	v_bfe_u32 v2, v4, 16, 1
	v_add3_u32 v2, v4, v2, s8
	v_add3_u32 v1, v5, v1, s8
	v_mfma_f32_16x16x16_bf16 v[6:9], v[42:43], v[30:31], v[6:9]
	v_perm_b32 v11, v1, v2, s9
	v_mfma_f32_16x16x16_bf16 v[6:9], v[44:45], v[32:33], v[6:9]
	v_mfma_f32_16x16x16_bf16 v[6:9], v[34:35], v[76:77], v[6:9]
	;; [unrolled: 1-line block ×11, first 2 shown]
	s_nop 6
	v_bfe_u32 v1, v3, 16, 1
	v_bfe_u32 v6, v2, 16, 1
	v_add3_u32 v2, v2, v6, s8
	v_add3_u32 v1, v3, v1, s8
	v_perm_b32 v2, v1, v2, s9
	v_bfe_u32 v1, v5, 16, 1
	v_bfe_u32 v3, v4, 16, 1
	v_add3_u32 v3, v4, v3, s8
	v_add3_u32 v1, v5, v1, s8
	v_perm_b32 v3, v1, v3, s9
	ds_write2st64_b64 v82, v[10:11], v[2:3] offset1:1
	s_waitcnt lgkmcnt(0)
	s_barrier
	s_and_saveexec_b64 s[4:5], vcc
	s_cbranch_execz .LBB591_17
; %bb.16:
	v_and_b32_e32 v3, 15, v0
	v_lshlrev_b32_e32 v3, 6, v3
	v_lshlrev_b32_e32 v2, 4, v0
	v_lshl_or_b32 v0, v0, 10, v3
	v_lshlrev_b32_e32 v1, 5, v75
	v_and_b32_e32 v2, 16, v2
	v_and_b32_e32 v0, 0x1a00, v0
	v_or3_b32 v0, v0, v1, v2
	ds_read_b128 v[2:5], v0
	ds_read_b128 v[6:9], v0 offset:128
	ds_read_b128 v[10:13], v0 offset:256
	;; [unrolled: 1-line block ×3, first 2 shown]
	scratch_load_dwordx2 v[0:1], off, off   ; 8-byte Folded Reload
	s_load_dwordx2 s[0:1], s[0:1], 0x68
	s_lshl_b32 s6, s6, 7
	s_mul_i32 s2, s7, s2
	s_mul_hi_u32 s5, s2, s6
	s_mul_i32 s4, s2, s6
	s_lshl_b64 s[4:5], s[4:5], 1
	s_waitcnt lgkmcnt(0)
	s_add_u32 s4, s0, s4
	s_addc_u32 s5, s1, s5
	s_lshl_b32 s2, s26, 7
	s_lshl_b64 s[0:1], s[2:3], 1
	s_add_u32 s0, s4, s0
	s_addc_u32 s1, s5, s1
	s_waitcnt vmcnt(0)
	v_mov_b32_e32 v1, 0
	v_or_b32_e32 v20, s27, v75
	v_lshl_add_u64 v[18:19], s[0:1], 0, v[0:1]
	v_mad_u64_u32 v[0:1], s[0:1], v20, s6, 0
	v_lshl_add_u64 v[0:1], v[0:1], 1, v[18:19]
	global_store_dwordx4 v[0:1], v[2:5], off
	v_or_b32_e32 v0, 4, v20
	v_mad_u64_u32 v[0:1], s[0:1], v0, s6, 0
	v_lshl_add_u64 v[0:1], v[0:1], 1, v[18:19]
	global_store_dwordx4 v[0:1], v[6:9], off
	v_or_b32_e32 v0, 8, v20
	v_mad_u64_u32 v[0:1], s[0:1], v0, s6, 0
	v_lshl_add_u64 v[0:1], v[0:1], 1, v[18:19]
	global_store_dwordx4 v[0:1], v[10:13], off
	v_or_b32_e32 v0, 12, v20
	v_mad_u64_u32 v[0:1], s[0:1], v0, s6, 0
	v_lshl_add_u64 v[0:1], v[0:1], 1, v[18:19]
	global_store_dwordx4 v[0:1], v[14:17], off
.LBB591_17:
	s_endpgm
	.section	.rodata,"a",@progbits
	.p2align	6, 0x0
	.amdhsa_kernel _Z39paged_attention_ll4mi_QKV_mfma16_kernelI14__hip_bfloat16S0_LN4vllm18Fp8KVCacheDataTypeE0EhLi16ELi128ELi256ELb1ELi16EEvPKT_PKT0_S8_ifPKiSA_SA_iPKfiiiPfSD_PS3_PT2_iSC_SC_
		.amdhsa_group_segment_fixed_size 8192
		.amdhsa_private_segment_fixed_size 16
		.amdhsa_kernarg_size 400
		.amdhsa_user_sgpr_count 2
		.amdhsa_user_sgpr_dispatch_ptr 0
		.amdhsa_user_sgpr_queue_ptr 0
		.amdhsa_user_sgpr_kernarg_segment_ptr 1
		.amdhsa_user_sgpr_dispatch_id 0
		.amdhsa_user_sgpr_kernarg_preload_length 0
		.amdhsa_user_sgpr_kernarg_preload_offset 0
		.amdhsa_user_sgpr_private_segment_size 0
		.amdhsa_uses_dynamic_stack 0
		.amdhsa_enable_private_segment 1
		.amdhsa_system_sgpr_workgroup_id_x 1
		.amdhsa_system_sgpr_workgroup_id_y 1
		.amdhsa_system_sgpr_workgroup_id_z 1
		.amdhsa_system_sgpr_workgroup_info 0
		.amdhsa_system_vgpr_workitem_id 0
		.amdhsa_next_free_vgpr 96
		.amdhsa_next_free_sgpr 41
		.amdhsa_accum_offset 96
		.amdhsa_reserve_vcc 1
		.amdhsa_float_round_mode_32 0
		.amdhsa_float_round_mode_16_64 0
		.amdhsa_float_denorm_mode_32 3
		.amdhsa_float_denorm_mode_16_64 3
		.amdhsa_dx10_clamp 1
		.amdhsa_ieee_mode 1
		.amdhsa_fp16_overflow 0
		.amdhsa_tg_split 0
		.amdhsa_exception_fp_ieee_invalid_op 0
		.amdhsa_exception_fp_denorm_src 0
		.amdhsa_exception_fp_ieee_div_zero 0
		.amdhsa_exception_fp_ieee_overflow 0
		.amdhsa_exception_fp_ieee_underflow 0
		.amdhsa_exception_fp_ieee_inexact 0
		.amdhsa_exception_int_div_zero 0
	.end_amdhsa_kernel
	.section	.text._Z39paged_attention_ll4mi_QKV_mfma16_kernelI14__hip_bfloat16S0_LN4vllm18Fp8KVCacheDataTypeE0EhLi16ELi128ELi256ELb1ELi16EEvPKT_PKT0_S8_ifPKiSA_SA_iPKfiiiPfSD_PS3_PT2_iSC_SC_,"axG",@progbits,_Z39paged_attention_ll4mi_QKV_mfma16_kernelI14__hip_bfloat16S0_LN4vllm18Fp8KVCacheDataTypeE0EhLi16ELi128ELi256ELb1ELi16EEvPKT_PKT0_S8_ifPKiSA_SA_iPKfiiiPfSD_PS3_PT2_iSC_SC_,comdat
.Lfunc_end591:
	.size	_Z39paged_attention_ll4mi_QKV_mfma16_kernelI14__hip_bfloat16S0_LN4vllm18Fp8KVCacheDataTypeE0EhLi16ELi128ELi256ELb1ELi16EEvPKT_PKT0_S8_ifPKiSA_SA_iPKfiiiPfSD_PS3_PT2_iSC_SC_, .Lfunc_end591-_Z39paged_attention_ll4mi_QKV_mfma16_kernelI14__hip_bfloat16S0_LN4vllm18Fp8KVCacheDataTypeE0EhLi16ELi128ELi256ELb1ELi16EEvPKT_PKT0_S8_ifPKiSA_SA_iPKfiiiPfSD_PS3_PT2_iSC_SC_
                                        ; -- End function
	.section	.AMDGPU.csdata,"",@progbits
; Kernel info:
; codeLenInByte = 4984
; NumSgprs: 47
; NumVgprs: 96
; NumAgprs: 0
; TotalNumVgprs: 96
; ScratchSize: 16
; MemoryBound: 0
; FloatMode: 240
; IeeeMode: 1
; LDSByteSize: 8192 bytes/workgroup (compile time only)
; SGPRBlocks: 5
; VGPRBlocks: 11
; NumSGPRsForWavesPerEU: 47
; NumVGPRsForWavesPerEU: 96
; AccumOffset: 96
; Occupancy: 5
; WaveLimiterHint : 1
; COMPUTE_PGM_RSRC2:SCRATCH_EN: 1
; COMPUTE_PGM_RSRC2:USER_SGPR: 2
; COMPUTE_PGM_RSRC2:TRAP_HANDLER: 0
; COMPUTE_PGM_RSRC2:TGID_X_EN: 1
; COMPUTE_PGM_RSRC2:TGID_Y_EN: 1
; COMPUTE_PGM_RSRC2:TGID_Z_EN: 1
; COMPUTE_PGM_RSRC2:TIDIG_COMP_CNT: 0
; COMPUTE_PGM_RSRC3_GFX90A:ACCUM_OFFSET: 23
; COMPUTE_PGM_RSRC3_GFX90A:TG_SPLIT: 0
	.section	.text._Z35paged_attention_ll4mi_reduce_kernelI14__hip_bfloat16hLi128ELi128ELi256ELi1EEvPT0_PKfS4_PKT_PKiS9_iS4_,"axG",@progbits,_Z35paged_attention_ll4mi_reduce_kernelI14__hip_bfloat16hLi128ELi128ELi256ELi1EEvPT0_PKfS4_PKT_PKiS9_iS4_,comdat
	.protected	_Z35paged_attention_ll4mi_reduce_kernelI14__hip_bfloat16hLi128ELi128ELi256ELi1EEvPT0_PKfS4_PKT_PKiS9_iS4_ ; -- Begin function _Z35paged_attention_ll4mi_reduce_kernelI14__hip_bfloat16hLi128ELi128ELi256ELi1EEvPT0_PKfS4_PKT_PKiS9_iS4_
	.globl	_Z35paged_attention_ll4mi_reduce_kernelI14__hip_bfloat16hLi128ELi128ELi256ELi1EEvPT0_PKfS4_PKT_PKiS9_iS4_
	.p2align	8
	.type	_Z35paged_attention_ll4mi_reduce_kernelI14__hip_bfloat16hLi128ELi128ELi256ELi1EEvPT0_PKfS4_PKT_PKiS9_iS4_,@function
_Z35paged_attention_ll4mi_reduce_kernelI14__hip_bfloat16hLi128ELi128ELi256ELi1EEvPT0_PKfS4_PKT_PKiS9_iS4_: ; @_Z35paged_attention_ll4mi_reduce_kernelI14__hip_bfloat16hLi128ELi128ELi256ELi1EEvPT0_PKfS4_PKT_PKiS9_iS4_
; %bb.0:
	s_load_dwordx2 s[14:15], s[0:1], 0x28
	s_mov_b32 s12, s3
	s_mov_b64 s[4:5], 0
	s_waitcnt lgkmcnt(0)
	s_cmp_lg_u64 s[14:15], 0
	s_cselect_b64 s[16:17], -1, 0
	s_and_b64 vcc, exec, s[16:17]
	s_cbranch_vccz .LBB592_19
; %bb.1:
	s_add_i32 s6, s12, 1
	s_mov_b32 s7, 0
	s_lshl_b64 s[8:9], s[6:7], 2
	s_add_u32 s8, s14, s8
	s_mov_b32 s13, s7
	s_addc_u32 s9, s15, s9
	s_lshl_b64 s[6:7], s[12:13], 2
	s_add_u32 s6, s14, s6
	s_addc_u32 s7, s15, s7
	s_load_dword s3, s[8:9], 0x0
	s_load_dword s10, s[6:7], 0x0
	s_waitcnt lgkmcnt(0)
	s_sub_i32 s3, s3, s10
	s_cmp_eq_u32 s3, 1
	s_cselect_b64 s[6:7], -1, 0
	s_andn2_b64 vcc, exec, s[4:5]
	s_cbranch_vccnz .LBB592_3
.LBB592_2:
	s_mov_b32 s13, 0
	s_mov_b64 s[6:7], -1
.LBB592_3:
	s_andn2_b64 vcc, exec, s[6:7]
	s_cbranch_vccz .LBB592_5
; %bb.4:
	s_endpgm
.LBB592_5:
	s_load_dwordx4 s[8:11], s[0:1], 0x18
	s_load_dword s20, s[0:1], 0x30
	s_lshl_b64 s[18:19], s[12:13], 2
	v_cmp_lt_u32_e32 vcc, 63, v0
	s_waitcnt lgkmcnt(0)
	s_add_u32 s4, s10, s18
	s_addc_u32 s5, s11, s19
	s_load_dword s24, s[4:5], 0x0
	s_load_dword s3, s[0:1], 0x40
	s_mul_i32 s10, s2, s20
	s_mul_i32 s6, s12, s20
	s_waitcnt lgkmcnt(0)
	s_add_i32 s7, s24, 0xff
	s_ashr_i32 s4, s7, 31
	s_lshr_b32 s4, s4, 24
	s_add_i32 s7, s7, s4
	s_and_saveexec_b64 s[4:5], vcc
	s_xor_b64 s[4:5], exec, s[4:5]
	s_or_saveexec_b64 s[20:21], s[4:5]
	s_ashr_i32 s25, s7, 8
	v_mov_b32_e32 v1, s10
	s_mul_i32 s22, s6, s3
	s_xor_b64 exec, exec, s[20:21]
	s_cbranch_execz .LBB592_9
; %bb.6:
	s_load_dwordx4 s[4:7], s[0:1], 0x8
	s_mov_b32 s23, 0
	s_lshl_b64 s[26:27], s[22:23], 2
	s_mov_b32 s11, s23
	v_cmp_gt_u32_e32 vcc, s25, v0
	s_waitcnt lgkmcnt(0)
	s_add_u32 s23, s6, s26
	s_addc_u32 s29, s7, s27
	s_lshl_b64 s[6:7], s[10:11], 2
	s_add_u32 s28, s23, s6
	s_addc_u32 s29, s29, s7
	s_add_i32 s11, s25, -1
	v_mov_b32_e32 v1, s11
	v_cndmask_b32_e32 v2, v1, v0, vcc
	v_ashrrev_i32_e32 v3, 31, v2
	v_lshlrev_b64 v[2:3], 2, v[2:3]
	v_lshl_add_u64 v[4:5], s[28:29], 0, v[2:3]
	global_load_dword v1, v[4:5], off
	s_add_u32 s4, s4, s26
	s_addc_u32 s5, s5, s27
	s_add_u32 s4, s4, s6
	s_addc_u32 s5, s5, s7
	v_lshl_add_u64 v[2:3], s[4:5], 0, v[2:3]
	global_load_dword v2, v[2:3], off
	v_mbcnt_lo_u32_b32 v3, -1, 0
	v_mbcnt_hi_u32_b32 v3, -1, v3
	v_and_b32_e32 v4, 64, v3
	v_xor_b32_e32 v5, 32, v3
	v_add_u32_e32 v4, 64, v4
	v_cmp_lt_i32_e64 s[4:5], v5, v4
	v_xor_b32_e32 v6, 16, v3
	v_xor_b32_e32 v9, 8, v3
	v_cndmask_b32_e64 v5, v3, v5, s[4:5]
	v_lshlrev_b32_e32 v5, 2, v5
	v_cmp_lt_i32_e64 s[4:5], v6, v4
	v_xor_b32_e32 v10, 4, v3
	v_xor_b32_e32 v11, 2, v3
	v_cndmask_b32_e64 v6, v3, v6, s[4:5]
	v_lshlrev_b32_e32 v6, 2, v6
	v_cmp_lt_i32_e64 s[4:5], v9, v4
	v_xor_b32_e32 v12, 1, v3
	s_mov_b32 s6, 0x42b17218
	v_cndmask_b32_e64 v9, v3, v9, s[4:5]
	v_lshlrev_b32_e32 v9, 2, v9
	v_cmp_lt_i32_e64 s[4:5], v10, v4
	s_waitcnt vmcnt(1)
	ds_bpermute_b32 v7, v5, v1
	v_max_f32_e32 v8, v1, v1
	v_cndmask_b32_e64 v10, v3, v10, s[4:5]
	v_lshlrev_b32_e32 v10, 2, v10
	v_cmp_lt_i32_e64 s[4:5], v11, v4
	s_waitcnt lgkmcnt(0)
	v_max_f32_e32 v7, v7, v7
	v_max_f32_e32 v7, v8, v7
	ds_bpermute_b32 v8, v6, v7
	v_cndmask_b32_e64 v11, v3, v11, s[4:5]
	v_lshlrev_b32_e32 v11, 2, v11
	v_cmp_lt_i32_e64 s[4:5], v12, v4
	s_waitcnt lgkmcnt(0)
	v_max_f32_e32 v8, v8, v8
	v_max_f32_e32 v7, v7, v8
	ds_bpermute_b32 v8, v9, v7
	v_cndmask_b32_e64 v3, v3, v12, s[4:5]
	v_lshlrev_b32_e32 v3, 2, v3
	s_mov_b32 s4, 0x3fb8aa3b
	s_waitcnt lgkmcnt(0)
	v_max_f32_e32 v8, v8, v8
	v_max_f32_e32 v7, v7, v8
	ds_bpermute_b32 v8, v10, v7
	s_waitcnt lgkmcnt(0)
	v_max_f32_e32 v8, v8, v8
	v_max_f32_e32 v7, v7, v8
	ds_bpermute_b32 v8, v11, v7
	;; [unrolled: 4-line block ×3, first 2 shown]
	s_waitcnt lgkmcnt(0)
	v_max_f32_e32 v7, v7, v7
	v_max_f32_e32 v4, v4, v7
	v_sub_f32_e32 v1, v1, v4
	v_mul_f32_e32 v4, 0x3fb8aa3b, v1
	v_fma_f32 v7, v1, s4, -v4
	v_rndne_f32_e32 v8, v4
	v_fmamk_f32 v7, v1, 0x32a5705f, v7
	v_sub_f32_e32 v4, v4, v8
	v_add_f32_e32 v4, v4, v7
	v_cvt_i32_f32_e32 v8, v8
	v_exp_f32_e32 v4, v4
	s_mov_b32 s4, 0xc2ce8ed0
	v_cmp_ngt_f32_e64 s[4:5], s4, v1
	v_mov_b32_e32 v7, 0x7f800000
	v_ldexp_f32 v4, v4, v8
	v_cndmask_b32_e64 v4, 0, v4, s[4:5]
	v_cmp_nlt_f32_e64 s[4:5], s6, v1
	s_nop 1
	v_cndmask_b32_e64 v1, v7, v4, s[4:5]
	v_cndmask_b32_e32 v1, 0, v1, vcc
	s_waitcnt vmcnt(0)
	v_mul_f32_e32 v4, v1, v2
	ds_bpermute_b32 v1, v5, v4
	v_cmp_eq_u32_e32 vcc, 0, v0
	s_waitcnt lgkmcnt(0)
	v_add_f32_e32 v1, v4, v1
	ds_bpermute_b32 v2, v6, v1
	s_waitcnt lgkmcnt(0)
	v_add_f32_e32 v1, v1, v2
	ds_bpermute_b32 v2, v9, v1
	;; [unrolled: 3-line block ×5, first 2 shown]
	v_lshlrev_b32_e32 v3, 2, v0
	ds_write_b32 v3, v4
	s_and_saveexec_b64 s[4:5], vcc
	s_cbranch_execz .LBB592_8
; %bb.7:
	s_waitcnt lgkmcnt(1)
	v_add_f32_e32 v1, v1, v2
	v_mov_b32_e32 v2, 0
	ds_write_b32 v2, v1 offset:256
.LBB592_8:
	s_or_b64 exec, exec, s[4:5]
	v_mov_b32_e32 v1, s10
.LBB592_9:
	s_or_b64 exec, exec, s[20:21]
	s_lshl_b32 s4, s22, 7
	s_mov_b32 s5, 0
	s_lshl_b64 s[4:5], s[4:5], 1
	s_add_u32 s4, s8, s4
	s_addc_u32 s5, s9, s5
	s_lshl_b32 s6, s25, 7
	s_waitcnt lgkmcnt(1)
	v_lshlrev_b32_e32 v2, 7, v1
	v_mov_b32_e32 v1, 0
	s_addk_i32 s6, 0xff80
	v_mov_b32_e32 v3, v1
	s_cmp_lt_i32 s24, 1
	v_lshl_add_u64 v[2:3], v[2:3], 1, s[4:5]
	s_cselect_b32 s4, s6, 0
	v_lshlrev_b32_e32 v4, 1, v0
	v_mov_b32_e32 v5, v1
	s_ashr_i32 s5, s4, 31
	v_lshl_add_u64 v[2:3], v[2:3], 0, v[4:5]
	s_cmpk_lt_i32 s24, 0x101
	v_lshl_add_u64 v[4:5], s[4:5], 1, v[2:3]
	s_cselect_b32 s4, s6, 0x80
	s_ashr_i32 s5, s4, 31
	s_cmpk_lt_i32 s24, 0x201
	v_lshl_add_u64 v[6:7], s[4:5], 1, v[2:3]
	s_cselect_b32 s4, s6, 0x100
	s_ashr_i32 s5, s4, 31
	;; [unrolled: 4-line block ×8, first 2 shown]
	s_cmpk_lt_i32 s24, 0x901
	global_load_ushort v23, v[4:5], off
	global_load_ushort v22, v[6:7], off
	;; [unrolled: 1-line block ×8, first 2 shown]
	v_lshl_add_u64 v[4:5], s[4:5], 1, v[2:3]
	s_cselect_b32 s4, s6, 0x480
	s_ashr_i32 s5, s4, 31
	s_cmpk_lt_i32 s24, 0xa01
	v_lshl_add_u64 v[6:7], s[4:5], 1, v[2:3]
	s_cselect_b32 s4, s6, 0x500
	s_ashr_i32 s5, s4, 31
	s_cmpk_lt_i32 s24, 0xb01
	;; [unrolled: 4-line block ×6, first 2 shown]
	v_lshl_add_u64 v[32:33], s[4:5], 1, v[2:3]
	s_cselect_b32 s4, s6, 0x780
	s_ashr_i32 s5, s4, 31
	v_lshl_add_u64 v[34:35], s[4:5], 1, v[2:3]
	global_load_ushort v30, v[4:5], off
	global_load_ushort v31, v[6:7], off
	;; [unrolled: 1-line block ×8, first 2 shown]
	s_cmpk_gt_i32 s24, 0x1000
	s_cselect_b64 s[4:5], -1, 0
	s_cmpk_lt_i32 s24, 0x1001
	v_mov_b32_e32 v40, 0
	v_mov_b32_e32 v41, 0
	v_mov_b32_e32 v42, 0
	v_mov_b32_e32 v43, 0
	v_mov_b32_e32 v44, 0
	v_mov_b32_e32 v45, 0
	v_mov_b32_e32 v46, 0
	v_mov_b32_e32 v47, 0
	v_mov_b32_e32 v32, 0
	v_mov_b32_e32 v33, 0
	v_mov_b32_e32 v34, 0
	v_mov_b32_e32 v35, 0
	v_mov_b32_e32 v36, 0
	v_mov_b32_e32 v37, 0
	v_mov_b32_e32 v38, 0
	v_mov_b32_e32 v39, 0
	v_mov_b32_e32 v4, 0
	v_mov_b32_e32 v5, 0
	v_mov_b32_e32 v6, 0
	v_mov_b32_e32 v7, 0
	v_mov_b32_e32 v8, 0
	v_mov_b32_e32 v9, 0
	v_mov_b32_e32 v10, 0
	v_mov_b32_e32 v11, 0
	v_mov_b32_e32 v12, 0
	v_mov_b32_e32 v13, 0
	v_mov_b32_e32 v14, 0
	v_mov_b32_e32 v15, 0
	v_mov_b32_e32 v48, 0
	v_mov_b32_e32 v50, 0
	v_mov_b32_e32 v49, 0
	v_mov_b32_e32 v51, 0
	v_mov_b32_e32 v52, 0
	v_mov_b32_e32 v54, 0
	v_mov_b32_e32 v53, 0
	v_mov_b32_e32 v56, 0
	v_mov_b32_e32 v55, 0
	v_mov_b32_e32 v58, 0
	v_mov_b32_e32 v57, 0
	v_mov_b32_e32 v60, 0
	v_mov_b32_e32 v59, 0
	v_mov_b32_e32 v62, 0
	v_mov_b32_e32 v61, 0
	v_mov_b32_e32 v64, 0
	v_mov_b32_e32 v63, 0
	v_mov_b32_e32 v66, 0
	v_mov_b32_e32 v65, 0
	v_mov_b32_e32 v67, 0
	s_waitcnt lgkmcnt(0)
	s_barrier
	s_cbranch_scc1 .LBB592_12
; %bb.10:
	s_cmpk_lt_u32 s24, 0x1101
	s_cselect_b32 s8, s6, 0x880
	s_ashr_i32 s9, s8, 31
	s_cmpk_lt_u32 s24, 0x1201
	v_lshl_add_u64 v[6:7], s[8:9], 1, v[2:3]
	s_cselect_b32 s8, s6, 0x900
	s_ashr_i32 s9, s8, 31
	s_cmpk_lt_u32 s24, 0x1301
	v_lshl_add_u64 v[8:9], s[8:9], 1, v[2:3]
	s_cselect_b32 s8, s6, 0x980
	s_ashr_i32 s9, s8, 31
	s_cmpk_lt_u32 s24, 0x1401
	v_lshl_add_u64 v[10:11], s[8:9], 1, v[2:3]
	s_cselect_b32 s8, s6, 0xa00
	s_ashr_i32 s9, s8, 31
	s_cmpk_lt_u32 s24, 0x1501
	v_lshl_add_u64 v[12:13], s[8:9], 1, v[2:3]
	s_cselect_b32 s8, s6, 0xa80
	s_ashr_i32 s9, s8, 31
	s_cmpk_lt_u32 s24, 0x1601
	v_lshl_add_u64 v[14:15], s[8:9], 1, v[2:3]
	s_cselect_b32 s8, s6, 0xb00
	s_ashr_i32 s9, s8, 31
	s_cmpk_lt_u32 s24, 0x1701
	v_lshl_add_u64 v[40:41], s[8:9], 1, v[2:3]
	s_cselect_b32 s8, s6, 0xb80
	s_ashr_i32 s9, s8, 31
	s_cmpk_lt_u32 s24, 0x1801
	v_lshl_add_u64 v[42:43], s[8:9], 1, v[2:3]
	s_cselect_b32 s8, s6, 0xc00
	v_add_co_u32_e32 v4, vcc, 0x1000, v2
	s_ashr_i32 s9, s8, 31
	s_nop 0
	v_addc_co_u32_e32 v5, vcc, 0, v3, vcc
	s_cmpk_lt_u32 s24, 0x1901
	global_load_ushort v39, v[4:5], off
	global_load_ushort v38, v[6:7], off
	;; [unrolled: 1-line block ×8, first 2 shown]
	v_lshl_add_u64 v[4:5], s[8:9], 1, v[2:3]
	s_cselect_b32 s8, s6, 0xc80
	s_ashr_i32 s9, s8, 31
	s_cmpk_lt_u32 s24, 0x1a01
	v_lshl_add_u64 v[6:7], s[8:9], 1, v[2:3]
	s_cselect_b32 s8, s6, 0xd00
	s_ashr_i32 s9, s8, 31
	s_cmpk_lt_u32 s24, 0x1b01
	;; [unrolled: 4-line block ×6, first 2 shown]
	v_lshl_add_u64 v[48:49], s[8:9], 1, v[2:3]
	s_cselect_b32 s8, s6, 0xf80
	s_ashr_i32 s9, s8, 31
	v_lshl_add_u64 v[50:51], s[8:9], 1, v[2:3]
	global_load_ushort v47, v[4:5], off
	global_load_ushort v46, v[6:7], off
	;; [unrolled: 1-line block ×8, first 2 shown]
	s_cmpk_lt_u32 s24, 0x2001
	v_mov_b32_e32 v67, 0
	v_mov_b32_e32 v65, 0
	;; [unrolled: 1-line block ×32, first 2 shown]
	s_cbranch_scc1 .LBB592_12
; %bb.11:
	s_cmpk_lt_u32 s24, 0x2101
	s_cselect_b32 s8, s6, 0x1080
	s_ashr_i32 s9, s8, 31
	s_cmpk_lt_u32 s24, 0x2201
	v_lshl_add_u64 v[4:5], s[8:9], 1, v[2:3]
	s_cselect_b32 s8, s6, 0x1100
	s_ashr_i32 s9, s8, 31
	s_cmpk_lt_u32 s24, 0x2301
	v_lshl_add_u64 v[6:7], s[8:9], 1, v[2:3]
	;; [unrolled: 4-line block ×29, first 2 shown]
	s_cselect_b32 s8, s6, 0x1f00
	s_ashr_i32 s9, s8, 31
	s_cmpk_lt_u32 s24, 0x3f01
	s_movk_i32 s7, 0x2000
	s_cselect_b32 s6, s6, 0x1f80
	v_add_co_u32_e32 v96, vcc, s7, v2
	s_ashr_i32 s7, s6, 31
	v_lshl_add_u64 v[94:95], s[8:9], 1, v[2:3]
	v_addc_co_u32_e32 v97, vcc, 0, v3, vcc
	v_lshl_add_u64 v[2:3], s[6:7], 1, v[2:3]
	global_load_ushort v98, v[96:97], off
	global_load_ushort v99, v[4:5], off
	global_load_ushort v100, v[6:7], off
	global_load_ushort v101, v[8:9], off
	global_load_ushort v102, v[10:11], off
	global_load_ushort v103, v[12:13], off
	global_load_ushort v104, v[14:15], off
	global_load_ushort v105, v[48:49], off
	global_load_ushort v106, v[50:51], off
	global_load_ushort v107, v[52:53], off
	global_load_ushort v108, v[54:55], off
	global_load_ushort v109, v[56:57], off
	global_load_ushort v110, v[58:59], off
	global_load_ushort v111, v[60:61], off
	global_load_ushort v112, v[62:63], off
                                        ; kill: killed $vgpr54_vgpr55
                                        ; kill: killed $vgpr6_vgpr7
                                        ; kill: killed $vgpr60_vgpr61
                                        ; kill: killed $vgpr12_vgpr13
                                        ; kill: killed $vgpr50_vgpr51
                                        ; kill: killed $vgpr56_vgpr57
                                        ; kill: killed $vgpr8_vgpr9
                                        ; kill: killed $vgpr62_vgpr63
                                        ; kill: killed $vgpr14_vgpr15
                                        ; kill: killed $vgpr96 killed $vgpr97
                                        ; kill: killed $vgpr52_vgpr53
                                        ; kill: killed $vgpr4_vgpr5
                                        ; kill: killed $vgpr58_vgpr59
                                        ; kill: killed $vgpr10_vgpr11
                                        ; kill: killed $vgpr48_vgpr49
	global_load_ushort v4, v[64:65], off
	global_load_ushort v5, v[66:67], off
	;; [unrolled: 1-line block ×15, first 2 shown]
                                        ; kill: killed $vgpr70_vgpr71
                                        ; kill: killed $vgpr92_vgpr93
                                        ; kill: killed $vgpr76_vgpr77
                                        ; kill: killed $vgpr82_vgpr83
                                        ; kill: killed $vgpr66_vgpr67
                                        ; kill: killed $vgpr88_vgpr89
                                        ; kill: killed $vgpr72_vgpr73
                                        ; kill: killed $vgpr94_vgpr95
                                        ; kill: killed $vgpr78_vgpr79
                                        ; kill: killed $vgpr84_vgpr85
                                        ; kill: killed $vgpr68_vgpr69
                                        ; kill: killed $vgpr90_vgpr91
                                        ; kill: killed $vgpr74_vgpr75
                                        ; kill: killed $vgpr80_vgpr81
                                        ; kill: killed $vgpr64_vgpr65
	global_load_ushort v68, v[86:87], off
	s_waitcnt vmcnt(30)
	v_lshlrev_b32_e32 v67, 16, v98
	global_load_ushort v2, v[2:3], off
	s_waitcnt vmcnt(30)
	v_lshlrev_b32_e32 v65, 16, v99
	s_waitcnt vmcnt(28)
	v_lshlrev_b32_e32 v63, 16, v101
	v_lshlrev_b32_e32 v66, 16, v100
	s_waitcnt vmcnt(26)
	v_lshlrev_b32_e32 v61, 16, v103
	;; [unrolled: 3-line block ×7, first 2 shown]
	s_waitcnt vmcnt(16)
	v_lshlrev_b32_e32 v52, 16, v4
	s_waitcnt vmcnt(15)
	v_lshlrev_b32_e32 v51, 16, v5
	;; [unrolled: 2-line block ×7, first 2 shown]
	v_lshlrev_b32_e32 v12, 16, v11
	v_lshlrev_b32_e32 v13, 16, v10
	;; [unrolled: 1-line block ×3, first 2 shown]
	s_waitcnt vmcnt(6)
	v_lshlrev_b32_e32 v11, 16, v96
	s_waitcnt vmcnt(2)
	v_lshlrev_b32_e32 v9, 16, v115
	v_lshlrev_b32_e32 v6, 16, v114
	;; [unrolled: 1-line block ×4, first 2 shown]
	s_waitcnt vmcnt(1)
	v_lshlrev_b32_e32 v8, 16, v68
	s_waitcnt vmcnt(0)
	v_lshlrev_b32_e32 v5, 16, v2
.LBB592_12:
	ds_read_b128 v[68:71], v1
	s_waitcnt vmcnt(15)
	v_lshlrev_b32_e32 v2, 16, v23
	ds_read_b128 v[72:75], v1 offset:16
	ds_read_b128 v[76:79], v1 offset:32
	;; [unrolled: 1-line block ×3, first 2 shown]
	s_waitcnt vmcnt(10)
	v_lshlrev_b32_e32 v3, 16, v19
	s_load_dwordx2 s[6:7], s[0:1], 0x38
	s_waitcnt lgkmcnt(0)
	v_fma_f32 v23, v68, v2, 0
	v_lshlrev_b32_e32 v2, 16, v22
	v_fmac_f32_e32 v23, v69, v2
	v_lshlrev_b32_e32 v2, 16, v21
	v_fmac_f32_e32 v23, v70, v2
	;; [unrolled: 2-line block ×3, first 2 shown]
	v_lshlrev_b32_e32 v2, 16, v18
	v_pk_mul_f32 v[2:3], v[72:73], v[2:3]
	s_andn2_b64 vcc, exec, s[4:5]
	v_add_f32_e32 v2, v23, v2
	v_add_f32_e32 v18, v2, v3
	s_waitcnt vmcnt(8)
	v_lshlrev_b32_e32 v3, 16, v17
	v_lshlrev_b32_e32 v2, 16, v16
	v_pk_mul_f32 v[2:3], v[74:75], v[2:3]
	s_nop 0
	v_add_f32_e32 v2, v18, v2
	v_add_f32_e32 v16, v2, v3
	s_waitcnt vmcnt(6)
	v_lshlrev_b32_e32 v3, 16, v31
	v_lshlrev_b32_e32 v2, 16, v30
	v_pk_mul_f32 v[2:3], v[76:77], v[2:3]
	s_nop 0
	;; [unrolled: 7-line block ×5, first 2 shown]
	v_add_f32_e32 v2, v16, v2
	v_add_f32_e32 v2, v2, v3
	s_cbranch_vccnz .LBB592_15
; %bb.13:
	ds_read_b128 v[16:19], v1 offset:64
	v_lshlrev_b32_e32 v3, 16, v39
	ds_read_b128 v[20:23], v1 offset:80
	ds_read_b128 v[24:27], v1 offset:96
	;; [unrolled: 1-line block ×3, first 2 shown]
	s_cmpk_lt_u32 s24, 0x2001
	s_waitcnt lgkmcnt(3)
	v_fmac_f32_e32 v2, v16, v3
	v_lshlrev_b32_e32 v3, 16, v38
	v_fmac_f32_e32 v2, v17, v3
	v_lshlrev_b32_e32 v3, 16, v37
	v_fmac_f32_e32 v2, v18, v3
	v_lshlrev_b32_e32 v3, 16, v36
	v_fmac_f32_e32 v2, v19, v3
	v_lshlrev_b32_e32 v3, 16, v35
	s_waitcnt lgkmcnt(2)
	v_fmac_f32_e32 v2, v20, v3
	v_lshlrev_b32_e32 v3, 16, v34
	v_fmac_f32_e32 v2, v21, v3
	v_lshlrev_b32_e32 v3, 16, v33
	v_fmac_f32_e32 v2, v22, v3
	v_lshlrev_b32_e32 v3, 16, v32
	v_fmac_f32_e32 v2, v23, v3
	v_lshlrev_b32_e32 v3, 16, v47
	s_waitcnt lgkmcnt(1)
	v_fmac_f32_e32 v2, v24, v3
	v_lshlrev_b32_e32 v3, 16, v46
	v_fmac_f32_e32 v2, v25, v3
	v_lshlrev_b32_e32 v3, 16, v45
	v_fmac_f32_e32 v2, v26, v3
	v_lshlrev_b32_e32 v3, 16, v44
	v_fmac_f32_e32 v2, v27, v3
	v_lshlrev_b32_e32 v3, 16, v43
	s_waitcnt lgkmcnt(0)
	v_fmac_f32_e32 v2, v28, v3
	v_lshlrev_b32_e32 v3, 16, v42
	v_fmac_f32_e32 v2, v29, v3
	v_lshlrev_b32_e32 v3, 16, v41
	;; [unrolled: 2-line block ×3, first 2 shown]
	v_fmac_f32_e32 v2, v31, v3
	s_cbranch_scc1 .LBB592_15
; %bb.14:
	v_mov_b32_e32 v32, 0
	ds_read_b128 v[16:19], v32 offset:128
	ds_read_b128 v[20:23], v32 offset:144
	;; [unrolled: 1-line block ×4, first 2 shown]
	s_waitcnt lgkmcnt(3)
	v_fmac_f32_e32 v2, v16, v67
	v_fmac_f32_e32 v2, v17, v65
	v_fmac_f32_e32 v2, v18, v66
	v_fmac_f32_e32 v2, v19, v63
	s_waitcnt lgkmcnt(2)
	v_fmac_f32_e32 v2, v20, v64
	v_fmac_f32_e32 v2, v21, v61
	v_fmac_f32_e32 v2, v22, v62
	v_fmac_f32_e32 v2, v23, v59
	;; [unrolled: 5-line block ×3, first 2 shown]
	ds_read_b128 v[16:19], v32 offset:192
	ds_read_b128 v[20:23], v32 offset:208
	s_waitcnt lgkmcnt(2)
	v_fmac_f32_e32 v2, v28, v56
	v_fmac_f32_e32 v2, v29, v53
	;; [unrolled: 1-line block ×4, first 2 shown]
	s_waitcnt lgkmcnt(1)
	v_fmac_f32_e32 v2, v16, v51
	v_fmac_f32_e32 v2, v17, v49
	;; [unrolled: 1-line block ×4, first 2 shown]
	s_waitcnt lgkmcnt(0)
	v_pk_mul_f32 v[14:15], v[20:21], v[14:15]
	s_nop 0
	v_add_f32_e32 v2, v2, v14
	v_add_f32_e32 v18, v2, v15
	ds_read_b128 v[14:17], v32 offset:224
	v_pk_mul_f32 v[2:3], v[22:23], v[12:13]
	s_nop 0
	v_add_f32_e32 v2, v18, v2
	ds_read_b128 v[18:21], v32 offset:240
	v_add_f32_e32 v12, v2, v3
	s_waitcnt lgkmcnt(1)
	v_pk_mul_f32 v[2:3], v[14:15], v[10:11]
	s_nop 0
	v_add_f32_e32 v2, v12, v2
	v_add_f32_e32 v10, v2, v3
	v_pk_mul_f32 v[2:3], v[16:17], v[8:9]
	s_nop 0
	v_add_f32_e32 v2, v10, v2
	v_add_f32_e32 v8, v2, v3
	s_waitcnt lgkmcnt(0)
	v_pk_mul_f32 v[2:3], v[18:19], v[6:7]
	s_nop 0
	v_add_f32_e32 v2, v8, v2
	v_add_f32_e32 v6, v2, v3
	v_pk_mul_f32 v[2:3], v[20:21], v[4:5]
	s_nop 0
	v_add_f32_e32 v2, v6, v2
	v_add_f32_e32 v2, v2, v3
.LBB592_15:
	s_load_dwordx2 s[0:1], s[0:1], 0x0
	ds_read_b32 v3, v1 offset:256
	s_cmp_eq_u64 s[6:7], 0
	s_cbranch_scc1 .LBB592_20
; %bb.16:
	s_load_dword s6, s[6:7], 0x0
	s_waitcnt lgkmcnt(0)
	v_div_scale_f32 v4, s[4:5], s6, s6, 1.0
	v_rcp_f32_e32 v5, v4
	v_div_scale_f32 v6, vcc, 1.0, s6, 1.0
	v_fma_f32 v7, -v4, v5, 1.0
	v_fmac_f32_e32 v5, v7, v5
	v_mul_f32_e32 v7, v6, v5
	v_fma_f32 v8, -v4, v7, v6
	v_fmac_f32_e32 v7, v8, v5
	v_fma_f32 v4, -v4, v7, v6
	v_div_fmas_f32 v4, v4, v5, v7
	v_div_fixup_f32 v4, v4, s6, 1.0
	s_andn2_b64 vcc, exec, s[16:17]
	s_cbranch_vccnz .LBB592_18
.LBB592_17:
	s_add_u32 s4, s14, s18
	s_addc_u32 s5, s15, s19
	s_load_dword s12, s[4:5], 0x0
	s_mov_b32 s13, 0
.LBB592_18:
	s_waitcnt lgkmcnt(0)
	v_add_f32_e32 v3, 0x358637bd, v3
	v_div_scale_f32 v5, s[4:5], v3, v3, 1.0
	v_rcp_f32_e32 v6, v5
	v_div_scale_f32 v7, vcc, 1.0, v3, 1.0
	s_mul_i32 s4, s3, s13
	v_fma_f32 v8, -v5, v6, 1.0
	v_fmac_f32_e32 v6, v8, v6
	v_mul_f32_e32 v8, v7, v6
	v_fma_f32 v9, -v5, v8, v7
	v_fmac_f32_e32 v8, v9, v6
	v_fma_f32 v5, -v5, v8, v7
	s_mul_hi_u32 s5, s3, s12
	v_div_fmas_f32 v5, v5, v6, v8
	s_add_i32 s5, s5, s4
	s_mul_i32 s4, s3, s12
	v_div_fixup_f32 v3, v5, v3, 1.0
	s_lshl_b64 s[4:5], s[4:5], 7
	v_mul_f32_e32 v2, v2, v3
	s_add_u32 s4, s0, s4
	s_mov_b32 s3, 0
	v_mul_f32_e32 v2, v2, v4
	s_addc_u32 s5, s1, s5
	s_lshl_b64 s[0:1], s[2:3], 7
	s_mov_b32 s2, 0x7f800000
	s_mov_b32 s3, 0x43700000
	v_mov_b32_e32 v3, 0xc3700000
	v_med3_f32 v3, v2, s3, v3
	v_cmp_nlg_f32_e64 vcc, |v2|, s2
	s_add_u32 s0, s4, s0
	s_addc_u32 s1, s5, s1
	v_cndmask_b32_e32 v2, v3, v2, vcc
	v_mov_b32_e32 v3, 0
	v_cvt_pk_fp8_f32 v3, v2, v2
	v_lshl_add_u64 v[0:1], s[0:1], 0, v[0:1]
	global_store_byte v[0:1], v3, off
	s_endpgm
.LBB592_19:
	s_mov_b64 s[6:7], 0
	s_branch .LBB592_2
.LBB592_20:
	v_mov_b32_e32 v4, 1.0
	s_andn2_b64 vcc, exec, s[16:17]
	s_cbranch_vccz .LBB592_17
	s_branch .LBB592_18
	.section	.rodata,"a",@progbits
	.p2align	6, 0x0
	.amdhsa_kernel _Z35paged_attention_ll4mi_reduce_kernelI14__hip_bfloat16hLi128ELi128ELi256ELi1EEvPT0_PKfS4_PKT_PKiS9_iS4_
		.amdhsa_group_segment_fixed_size 260
		.amdhsa_private_segment_fixed_size 0
		.amdhsa_kernarg_size 320
		.amdhsa_user_sgpr_count 2
		.amdhsa_user_sgpr_dispatch_ptr 0
		.amdhsa_user_sgpr_queue_ptr 0
		.amdhsa_user_sgpr_kernarg_segment_ptr 1
		.amdhsa_user_sgpr_dispatch_id 0
		.amdhsa_user_sgpr_kernarg_preload_length 0
		.amdhsa_user_sgpr_kernarg_preload_offset 0
		.amdhsa_user_sgpr_private_segment_size 0
		.amdhsa_uses_dynamic_stack 0
		.amdhsa_enable_private_segment 0
		.amdhsa_system_sgpr_workgroup_id_x 1
		.amdhsa_system_sgpr_workgroup_id_y 1
		.amdhsa_system_sgpr_workgroup_id_z 0
		.amdhsa_system_sgpr_workgroup_info 0
		.amdhsa_system_vgpr_workitem_id 0
		.amdhsa_next_free_vgpr 116
		.amdhsa_next_free_sgpr 30
		.amdhsa_accum_offset 116
		.amdhsa_reserve_vcc 1
		.amdhsa_float_round_mode_32 0
		.amdhsa_float_round_mode_16_64 0
		.amdhsa_float_denorm_mode_32 3
		.amdhsa_float_denorm_mode_16_64 3
		.amdhsa_dx10_clamp 1
		.amdhsa_ieee_mode 1
		.amdhsa_fp16_overflow 0
		.amdhsa_tg_split 0
		.amdhsa_exception_fp_ieee_invalid_op 0
		.amdhsa_exception_fp_denorm_src 0
		.amdhsa_exception_fp_ieee_div_zero 0
		.amdhsa_exception_fp_ieee_overflow 0
		.amdhsa_exception_fp_ieee_underflow 0
		.amdhsa_exception_fp_ieee_inexact 0
		.amdhsa_exception_int_div_zero 0
	.end_amdhsa_kernel
	.section	.text._Z35paged_attention_ll4mi_reduce_kernelI14__hip_bfloat16hLi128ELi128ELi256ELi1EEvPT0_PKfS4_PKT_PKiS9_iS4_,"axG",@progbits,_Z35paged_attention_ll4mi_reduce_kernelI14__hip_bfloat16hLi128ELi128ELi256ELi1EEvPT0_PKfS4_PKT_PKiS9_iS4_,comdat
.Lfunc_end592:
	.size	_Z35paged_attention_ll4mi_reduce_kernelI14__hip_bfloat16hLi128ELi128ELi256ELi1EEvPT0_PKfS4_PKT_PKiS9_iS4_, .Lfunc_end592-_Z35paged_attention_ll4mi_reduce_kernelI14__hip_bfloat16hLi128ELi128ELi256ELi1EEvPT0_PKfS4_PKT_PKiS9_iS4_
                                        ; -- End function
	.section	.AMDGPU.csdata,"",@progbits
; Kernel info:
; codeLenInByte = 4732
; NumSgprs: 36
; NumVgprs: 116
; NumAgprs: 0
; TotalNumVgprs: 116
; ScratchSize: 0
; MemoryBound: 0
; FloatMode: 240
; IeeeMode: 1
; LDSByteSize: 260 bytes/workgroup (compile time only)
; SGPRBlocks: 4
; VGPRBlocks: 14
; NumSGPRsForWavesPerEU: 36
; NumVGPRsForWavesPerEU: 116
; AccumOffset: 116
; Occupancy: 4
; WaveLimiterHint : 1
; COMPUTE_PGM_RSRC2:SCRATCH_EN: 0
; COMPUTE_PGM_RSRC2:USER_SGPR: 2
; COMPUTE_PGM_RSRC2:TRAP_HANDLER: 0
; COMPUTE_PGM_RSRC2:TGID_X_EN: 1
; COMPUTE_PGM_RSRC2:TGID_Y_EN: 1
; COMPUTE_PGM_RSRC2:TGID_Z_EN: 0
; COMPUTE_PGM_RSRC2:TIDIG_COMP_CNT: 0
; COMPUTE_PGM_RSRC3_GFX90A:ACCUM_OFFSET: 28
; COMPUTE_PGM_RSRC3_GFX90A:TG_SPLIT: 0
	.section	.text._Z35paged_attention_ll4mi_reduce_kernelI14__hip_bfloat16hLi128ELi128ELi256ELi2EEvPT0_PKfS4_PKT_PKiS9_iS4_,"axG",@progbits,_Z35paged_attention_ll4mi_reduce_kernelI14__hip_bfloat16hLi128ELi128ELi256ELi2EEvPT0_PKfS4_PKT_PKiS9_iS4_,comdat
	.protected	_Z35paged_attention_ll4mi_reduce_kernelI14__hip_bfloat16hLi128ELi128ELi256ELi2EEvPT0_PKfS4_PKT_PKiS9_iS4_ ; -- Begin function _Z35paged_attention_ll4mi_reduce_kernelI14__hip_bfloat16hLi128ELi128ELi256ELi2EEvPT0_PKfS4_PKT_PKiS9_iS4_
	.globl	_Z35paged_attention_ll4mi_reduce_kernelI14__hip_bfloat16hLi128ELi128ELi256ELi2EEvPT0_PKfS4_PKT_PKiS9_iS4_
	.p2align	8
	.type	_Z35paged_attention_ll4mi_reduce_kernelI14__hip_bfloat16hLi128ELi128ELi256ELi2EEvPT0_PKfS4_PKT_PKiS9_iS4_,@function
_Z35paged_attention_ll4mi_reduce_kernelI14__hip_bfloat16hLi128ELi128ELi256ELi2EEvPT0_PKfS4_PKT_PKiS9_iS4_: ; @_Z35paged_attention_ll4mi_reduce_kernelI14__hip_bfloat16hLi128ELi128ELi256ELi2EEvPT0_PKfS4_PKT_PKiS9_iS4_
; %bb.0:
	s_load_dwordx2 s[18:19], s[0:1], 0x28
	s_mov_b32 s16, s3
	s_mov_b64 s[4:5], 0
	s_waitcnt lgkmcnt(0)
	s_cmp_lg_u64 s[18:19], 0
	s_cselect_b64 s[20:21], -1, 0
	s_and_b64 vcc, exec, s[20:21]
	s_cbranch_vccz .LBB593_21
; %bb.1:
	s_add_i32 s6, s16, 1
	s_mov_b32 s7, 0
	s_lshl_b64 s[8:9], s[6:7], 2
	s_add_u32 s8, s18, s8
	s_mov_b32 s17, s7
	s_addc_u32 s9, s19, s9
	s_lshl_b64 s[6:7], s[16:17], 2
	s_add_u32 s6, s18, s6
	s_addc_u32 s7, s19, s7
	s_load_dword s3, s[8:9], 0x0
	s_load_dword s10, s[6:7], 0x0
	s_waitcnt lgkmcnt(0)
	s_sub_i32 s3, s3, s10
	s_cmp_eq_u32 s3, 1
	s_cselect_b64 s[6:7], -1, 0
	s_andn2_b64 vcc, exec, s[4:5]
	s_cbranch_vccnz .LBB593_3
.LBB593_2:
	s_mov_b32 s17, 0
	s_mov_b64 s[6:7], -1
.LBB593_3:
	s_andn2_b64 vcc, exec, s[6:7]
	s_cbranch_vccz .LBB593_5
; %bb.4:
	s_endpgm
.LBB593_5:
	s_load_dwordx4 s[8:11], s[0:1], 0x18
	s_load_dword s12, s[0:1], 0x30
	s_lshl_b64 s[22:23], s[16:17], 2
	v_cmp_lt_u32_e32 vcc, 63, v0
	s_waitcnt lgkmcnt(0)
	s_add_u32 s4, s10, s22
	s_addc_u32 s5, s11, s23
	s_load_dword s28, s[4:5], 0x0
	s_load_dword s3, s[0:1], 0x40
	s_mul_i32 s10, s2, s12
	s_mul_i32 s6, s16, s12
	s_waitcnt lgkmcnt(0)
	s_add_i32 s7, s28, 0xff
	s_ashr_i32 s4, s7, 31
	s_lshr_b32 s4, s4, 24
	s_add_i32 s7, s7, s4
	s_and_saveexec_b64 s[4:5], vcc
	s_xor_b64 s[4:5], exec, s[4:5]
	s_or_saveexec_b64 s[24:25], s[4:5]
	s_ashr_i32 s29, s7, 8
	v_mov_b32_e32 v1, s10
	s_mul_i32 s26, s6, s3
	s_xor_b64 exec, exec, s[24:25]
	s_cbranch_execz .LBB593_9
; %bb.6:
	s_load_dwordx4 s[12:15], s[0:1], 0x8
	s_mov_b32 s27, 0
	s_add_i32 s4, s29, -1
	v_or_b32_e32 v3, 64, v0
	s_lshl_b64 s[30:31], s[26:27], 2
	s_mov_b32 s11, s27
	v_mov_b32_e32 v1, s4
	v_cmp_gt_u32_e64 s[4:5], s29, v3
	s_waitcnt lgkmcnt(0)
	s_add_u32 s6, s14, s30
	v_cmp_gt_u32_e32 vcc, s29, v0
	v_cndmask_b32_e64 v4, v1, v3, s[4:5]
	s_addc_u32 s7, s15, s31
	s_lshl_b64 s[14:15], s[10:11], 2
	v_cndmask_b32_e32 v2, v1, v0, vcc
	s_add_u32 s6, s6, s14
	v_ashrrev_i32_e32 v5, 31, v4
	s_addc_u32 s7, s7, s15
	v_ashrrev_i32_e32 v3, 31, v2
	v_lshlrev_b64 v[4:5], 2, v[4:5]
	v_lshlrev_b64 v[2:3], 2, v[2:3]
	v_lshl_add_u64 v[8:9], s[6:7], 0, v[4:5]
	v_lshl_add_u64 v[6:7], s[6:7], 0, v[2:3]
	global_load_dword v1, v[8:9], off
	global_load_dword v10, v[6:7], off
	v_mbcnt_lo_u32_b32 v6, -1, 0
	v_mbcnt_hi_u32_b32 v6, -1, v6
	v_and_b32_e32 v7, 64, v6
	v_xor_b32_e32 v8, 32, v6
	v_add_u32_e32 v7, 64, v7
	v_cmp_lt_i32_e64 s[6:7], v8, v7
	v_xor_b32_e32 v12, 4, v6
	v_xor_b32_e32 v13, 2, v6
	v_cndmask_b32_e64 v8, v6, v8, s[6:7]
	s_add_u32 s6, s12, s30
	s_addc_u32 s7, s13, s31
	s_add_u32 s6, s6, s14
	s_addc_u32 s7, s7, s15
	v_lshl_add_u64 v[2:3], s[6:7], 0, v[2:3]
	v_lshl_add_u64 v[4:5], s[6:7], 0, v[4:5]
	global_load_dword v9, v[2:3], off
	global_load_dword v11, v[4:5], off
	v_lshlrev_b32_e32 v2, 2, v8
	v_xor_b32_e32 v5, 16, v6
	v_cmp_lt_i32_e64 s[6:7], v5, v7
	v_xor_b32_e32 v8, 8, v6
	v_xor_b32_e32 v14, 1, v6
	v_cndmask_b32_e64 v5, v6, v5, s[6:7]
	v_lshlrev_b32_e32 v5, 2, v5
	v_cmp_lt_i32_e64 s[6:7], v8, v7
	s_mov_b32 s11, 0xc2ce8ed0
	s_mov_b32 s12, 0x42b17218
	v_cndmask_b32_e64 v8, v6, v8, s[6:7]
	v_lshlrev_b32_e32 v8, 2, v8
	v_cmp_lt_i32_e64 s[6:7], v12, v7
	s_waitcnt vmcnt(3)
	v_max_f32_e32 v3, v1, v1
	s_waitcnt vmcnt(2)
	v_max_f32_e32 v4, v10, v10
	v_max_f32_e32 v3, v4, v3
	ds_bpermute_b32 v4, v2, v3
	v_cndmask_b32_e64 v12, v6, v12, s[6:7]
	v_lshlrev_b32_e32 v12, 2, v12
	v_cmp_lt_i32_e64 s[6:7], v13, v7
	s_waitcnt lgkmcnt(0)
	v_max_f32_e32 v4, v4, v4
	v_max_f32_e32 v3, v3, v4
	ds_bpermute_b32 v4, v5, v3
	v_cndmask_b32_e64 v13, v6, v13, s[6:7]
	v_lshlrev_b32_e32 v13, 2, v13
	v_cmp_lt_i32_e64 s[6:7], v14, v7
	s_waitcnt lgkmcnt(0)
	v_max_f32_e32 v4, v4, v4
	v_max_f32_e32 v3, v3, v4
	ds_bpermute_b32 v4, v8, v3
	v_cndmask_b32_e64 v6, v6, v14, s[6:7]
	v_lshlrev_b32_e32 v6, 2, v6
	s_mov_b32 s6, 0x3fb8aa3b
	s_waitcnt lgkmcnt(0)
	v_max_f32_e32 v4, v4, v4
	v_max_f32_e32 v3, v3, v4
	ds_bpermute_b32 v4, v12, v3
	s_waitcnt lgkmcnt(0)
	v_max_f32_e32 v4, v4, v4
	v_max_f32_e32 v3, v3, v4
	ds_bpermute_b32 v4, v13, v3
	;; [unrolled: 4-line block ×3, first 2 shown]
	s_waitcnt lgkmcnt(0)
	v_max_f32_e32 v4, v4, v4
	v_max_f32_e32 v3, v3, v4
	v_sub_f32_e32 v4, v10, v3
	v_sub_f32_e32 v1, v1, v3
	v_mul_f32_e32 v3, 0x3fb8aa3b, v4
	v_mul_f32_e32 v7, 0x3fb8aa3b, v1
	v_fma_f32 v10, v4, s6, -v3
	v_rndne_f32_e32 v14, v3
	v_fma_f32 v15, v1, s6, -v7
	v_rndne_f32_e32 v16, v7
	v_fmac_f32_e32 v10, 0x32a5705f, v4
	v_sub_f32_e32 v3, v3, v14
	v_fmac_f32_e32 v15, 0x32a5705f, v1
	v_sub_f32_e32 v7, v7, v16
	v_add_f32_e32 v3, v3, v10
	v_cvt_i32_f32_e32 v14, v14
	v_add_f32_e32 v7, v7, v15
	v_exp_f32_e32 v3, v3
	v_cvt_i32_f32_e32 v16, v16
	v_exp_f32_e32 v7, v7
	v_cmp_ngt_f32_e64 s[6:7], s11, v4
	v_ldexp_f32 v3, v3, v14
	v_mov_b32_e32 v10, 0x7f800000
	v_ldexp_f32 v7, v7, v16
	v_cndmask_b32_e64 v3, 0, v3, s[6:7]
	v_cmp_ngt_f32_e64 s[6:7], s11, v1
	v_lshlrev_b32_e32 v15, 2, v0
	s_nop 0
	v_cndmask_b32_e64 v7, 0, v7, s[6:7]
	v_cmp_nlt_f32_e64 s[6:7], s12, v4
	s_nop 1
	v_cndmask_b32_e64 v3, v10, v3, s[6:7]
	v_cmp_nlt_f32_e64 s[6:7], s12, v1
	v_cndmask_b32_e32 v3, 0, v3, vcc
	s_waitcnt vmcnt(1)
	v_mul_f32_e32 v3, v9, v3
	v_cndmask_b32_e64 v1, v10, v7, s[6:7]
	v_cndmask_b32_e64 v1, 0, v1, s[4:5]
	s_waitcnt vmcnt(0)
	v_mul_f32_e32 v4, v11, v1
	ds_write2st64_b32 v15, v3, v4 offset1:1
	v_fmac_f32_e32 v3, v11, v1
	ds_bpermute_b32 v1, v2, v3
	v_cmp_eq_u32_e32 vcc, 0, v0
	s_waitcnt lgkmcnt(0)
	v_add_f32_e32 v1, v3, v1
	ds_bpermute_b32 v2, v5, v1
	s_waitcnt lgkmcnt(0)
	v_add_f32_e32 v1, v1, v2
	ds_bpermute_b32 v2, v8, v1
	;; [unrolled: 3-line block ×5, first 2 shown]
	s_and_saveexec_b64 s[4:5], vcc
	s_cbranch_execz .LBB593_8
; %bb.7:
	s_waitcnt lgkmcnt(0)
	v_add_f32_e32 v1, v1, v2
	v_mov_b32_e32 v2, 0
	ds_write_b32 v2, v1 offset:512
.LBB593_8:
	s_or_b64 exec, exec, s[4:5]
	v_mov_b32_e32 v1, s10
.LBB593_9:
	s_or_b64 exec, exec, s[24:25]
	s_lshl_b32 s4, s26, 7
	s_mov_b32 s5, 0
	s_lshl_b64 s[4:5], s[4:5], 1
	s_add_u32 s4, s8, s4
	s_addc_u32 s5, s9, s5
	s_lshl_b32 s6, s29, 7
	s_waitcnt lgkmcnt(0)
	v_lshlrev_b32_e32 v2, 7, v1
	v_mov_b32_e32 v1, 0
	s_addk_i32 s6, 0xff80
	v_mov_b32_e32 v3, v1
	s_cmp_lt_i32 s28, 1
	v_lshl_add_u64 v[2:3], v[2:3], 1, s[4:5]
	s_cselect_b32 s4, s6, 0
	v_lshlrev_b32_e32 v4, 1, v0
	v_mov_b32_e32 v5, v1
	s_ashr_i32 s5, s4, 31
	v_lshl_add_u64 v[2:3], v[2:3], 0, v[4:5]
	s_cmpk_lt_i32 s28, 0x101
	v_lshl_add_u64 v[4:5], s[4:5], 1, v[2:3]
	s_cselect_b32 s4, s6, 0x80
	s_ashr_i32 s5, s4, 31
	s_cmpk_lt_i32 s28, 0x201
	v_lshl_add_u64 v[6:7], s[4:5], 1, v[2:3]
	s_cselect_b32 s4, s6, 0x100
	s_ashr_i32 s5, s4, 31
	;; [unrolled: 4-line block ×8, first 2 shown]
	s_cmpk_lt_i32 s28, 0x901
	global_load_ushort v23, v[4:5], off
	global_load_ushort v22, v[6:7], off
	;; [unrolled: 1-line block ×8, first 2 shown]
	v_lshl_add_u64 v[4:5], s[4:5], 1, v[2:3]
	s_cselect_b32 s4, s6, 0x480
	s_ashr_i32 s5, s4, 31
	s_cmpk_lt_i32 s28, 0xa01
	v_lshl_add_u64 v[6:7], s[4:5], 1, v[2:3]
	s_cselect_b32 s4, s6, 0x500
	s_ashr_i32 s5, s4, 31
	s_cmpk_lt_i32 s28, 0xb01
	;; [unrolled: 4-line block ×6, first 2 shown]
	v_lshl_add_u64 v[32:33], s[4:5], 1, v[2:3]
	s_cselect_b32 s4, s6, 0x780
	s_ashr_i32 s5, s4, 31
	v_lshl_add_u64 v[34:35], s[4:5], 1, v[2:3]
	global_load_ushort v30, v[4:5], off
	global_load_ushort v31, v[6:7], off
	;; [unrolled: 1-line block ×8, first 2 shown]
	s_cmpk_gt_i32 s28, 0x1000
	s_cselect_b64 s[4:5], -1, 0
	s_cmpk_lt_i32 s28, 0x1001
	v_mov_b32_e32 v40, 0
	v_mov_b32_e32 v41, 0
	;; [unrolled: 1-line block ×48, first 2 shown]
	s_barrier
	s_cbranch_scc1 .LBB593_12
; %bb.10:
	s_cmpk_lt_u32 s28, 0x1101
	s_cselect_b32 s8, s6, 0x880
	s_ashr_i32 s9, s8, 31
	s_cmpk_lt_u32 s28, 0x1201
	v_lshl_add_u64 v[6:7], s[8:9], 1, v[2:3]
	s_cselect_b32 s8, s6, 0x900
	s_ashr_i32 s9, s8, 31
	s_cmpk_lt_u32 s28, 0x1301
	v_lshl_add_u64 v[8:9], s[8:9], 1, v[2:3]
	;; [unrolled: 4-line block ×7, first 2 shown]
	s_cselect_b32 s8, s6, 0xc00
	v_add_co_u32_e32 v4, vcc, 0x1000, v2
	s_ashr_i32 s9, s8, 31
	s_nop 0
	v_addc_co_u32_e32 v5, vcc, 0, v3, vcc
	s_cmpk_lt_u32 s28, 0x1901
	global_load_ushort v39, v[4:5], off
	global_load_ushort v38, v[6:7], off
	;; [unrolled: 1-line block ×8, first 2 shown]
	v_lshl_add_u64 v[4:5], s[8:9], 1, v[2:3]
	s_cselect_b32 s8, s6, 0xc80
	s_ashr_i32 s9, s8, 31
	s_cmpk_lt_u32 s28, 0x1a01
	v_lshl_add_u64 v[6:7], s[8:9], 1, v[2:3]
	s_cselect_b32 s8, s6, 0xd00
	s_ashr_i32 s9, s8, 31
	s_cmpk_lt_u32 s28, 0x1b01
	;; [unrolled: 4-line block ×6, first 2 shown]
	v_lshl_add_u64 v[48:49], s[8:9], 1, v[2:3]
	s_cselect_b32 s8, s6, 0xf80
	s_ashr_i32 s9, s8, 31
	v_lshl_add_u64 v[50:51], s[8:9], 1, v[2:3]
	global_load_ushort v47, v[4:5], off
	global_load_ushort v46, v[6:7], off
	;; [unrolled: 1-line block ×8, first 2 shown]
	s_cmpk_lt_u32 s28, 0x2001
	v_mov_b32_e32 v67, 0
	v_mov_b32_e32 v65, 0
	;; [unrolled: 1-line block ×32, first 2 shown]
	s_cbranch_scc1 .LBB593_12
; %bb.11:
	s_cmpk_lt_u32 s28, 0x2101
	s_cselect_b32 s8, s6, 0x1080
	s_ashr_i32 s9, s8, 31
	s_cmpk_lt_u32 s28, 0x2201
	v_lshl_add_u64 v[4:5], s[8:9], 1, v[2:3]
	s_cselect_b32 s8, s6, 0x1100
	s_ashr_i32 s9, s8, 31
	s_cmpk_lt_u32 s28, 0x2301
	v_lshl_add_u64 v[6:7], s[8:9], 1, v[2:3]
	;; [unrolled: 4-line block ×29, first 2 shown]
	s_cselect_b32 s8, s6, 0x1f00
	s_ashr_i32 s9, s8, 31
	s_movk_i32 s7, 0x2000
	s_cmpk_lt_u32 s28, 0x3f01
	v_lshl_add_u64 v[94:95], s[8:9], 1, v[2:3]
	v_add_co_u32_e32 v96, vcc, s7, v2
	s_cselect_b32 s8, s6, 0x1f80
	s_nop 0
	v_addc_co_u32_e32 v97, vcc, 0, v3, vcc
	s_ashr_i32 s9, s8, 31
	global_load_ushort v98, v[96:97], off
	global_load_ushort v99, v[4:5], off
	;; [unrolled: 1-line block ×15, first 2 shown]
                                        ; kill: killed $vgpr58_vgpr59
                                        ; kill: killed $vgpr10_vgpr11
                                        ; kill: killed $vgpr48_vgpr49
                                        ; kill: killed $vgpr54_vgpr55
                                        ; kill: killed $vgpr6_vgpr7
                                        ; kill: killed $vgpr60_vgpr61
                                        ; kill: killed $vgpr12_vgpr13
                                        ; kill: killed $vgpr50_vgpr51
                                        ; kill: killed $vgpr56_vgpr57
                                        ; kill: killed $vgpr8_vgpr9
                                        ; kill: killed $vgpr62_vgpr63
                                        ; kill: killed $vgpr14_vgpr15
                                        ; kill: killed $vgpr96 killed $vgpr97
                                        ; kill: killed $vgpr52_vgpr53
                                        ; kill: killed $vgpr4_vgpr5
	global_load_ushort v6, v[64:65], off
	global_load_ushort v7, v[66:67], off
	;; [unrolled: 1-line block ×15, first 2 shown]
                                        ; kill: killed $vgpr90_vgpr91
                                        ; kill: killed $vgpr74_vgpr75
                                        ; kill: killed $vgpr80_vgpr81
                                        ; kill: killed $vgpr64_vgpr65
                                        ; kill: killed $vgpr70_vgpr71
                                        ; kill: killed $vgpr92_vgpr93
                                        ; kill: killed $vgpr76_vgpr77
                                        ; kill: killed $vgpr82_vgpr83
                                        ; kill: killed $vgpr66_vgpr67
                                        ; kill: killed $vgpr88_vgpr89
                                        ; kill: killed $vgpr72_vgpr73
                                        ; kill: killed $vgpr94_vgpr95
                                        ; kill: killed $vgpr78_vgpr79
                                        ; kill: killed $vgpr84_vgpr85
                                        ; kill: killed $vgpr68_vgpr69
	global_load_ushort v68, v[86:87], off
	v_lshl_add_u64 v[4:5], s[8:9], 1, v[2:3]
	global_load_ushort v5, v[4:5], off
	s_waitcnt vmcnt(31)
	v_lshlrev_b32_e32 v67, 16, v98
	s_waitcnt vmcnt(30)
	v_lshlrev_b32_e32 v65, 16, v99
	;; [unrolled: 2-line block ×32, first 2 shown]
.LBB593_12:
	ds_read_b128 v[68:71], v1
	s_waitcnt vmcnt(15)
	v_lshlrev_b32_e32 v23, 16, v23
	ds_read_b128 v[72:75], v1 offset:16
	ds_read_b128 v[76:79], v1 offset:32
	;; [unrolled: 1-line block ×3, first 2 shown]
	s_waitcnt vmcnt(14)
	v_lshlrev_b32_e32 v22, 16, v22
	s_waitcnt vmcnt(13)
	v_lshlrev_b32_e32 v21, 16, v21
	s_waitcnt lgkmcnt(3)
	v_fma_f32 v23, v68, v23, 0
	v_fmac_f32_e32 v23, v69, v22
	v_fmac_f32_e32 v23, v70, v21
	s_waitcnt vmcnt(12)
	v_lshlrev_b32_e32 v20, 16, v20
	s_waitcnt vmcnt(10)
	v_lshlrev_b32_e32 v19, 16, v19
	v_lshlrev_b32_e32 v18, 16, v18
	v_fmac_f32_e32 v23, v71, v20
	s_waitcnt lgkmcnt(2)
	v_pk_mul_f32 v[18:19], v[72:73], v[18:19]
	s_waitcnt vmcnt(8)
	v_lshlrev_b32_e32 v17, 16, v17
	v_add_f32_e32 v18, v23, v18
	v_lshlrev_b32_e32 v16, 16, v16
	v_add_f32_e32 v18, v18, v19
	v_pk_mul_f32 v[16:17], v[74:75], v[16:17]
	s_andn2_b64 vcc, exec, s[4:5]
	v_add_f32_e32 v16, v18, v16
	v_add_f32_e32 v18, v16, v17
	s_waitcnt vmcnt(6)
	v_lshlrev_b32_e32 v17, 16, v31
	v_lshlrev_b32_e32 v16, 16, v30
	s_waitcnt lgkmcnt(1)
	v_pk_mul_f32 v[16:17], v[76:77], v[16:17]
	s_nop 0
	v_add_f32_e32 v16, v18, v16
	v_add_f32_e32 v18, v16, v17
	s_waitcnt vmcnt(4)
	v_lshlrev_b32_e32 v17, 16, v29
	v_lshlrev_b32_e32 v16, 16, v28
	v_pk_mul_f32 v[16:17], v[78:79], v[16:17]
	s_nop 0
	v_add_f32_e32 v16, v18, v16
	v_add_f32_e32 v18, v16, v17
	s_waitcnt vmcnt(2)
	v_lshlrev_b32_e32 v17, 16, v27
	v_lshlrev_b32_e32 v16, 16, v26
	s_waitcnt lgkmcnt(0)
	v_pk_mul_f32 v[16:17], v[80:81], v[16:17]
	s_nop 0
	v_add_f32_e32 v16, v18, v16
	v_add_f32_e32 v18, v16, v17
	s_waitcnt vmcnt(0)
	v_lshlrev_b32_e32 v17, 16, v25
	v_lshlrev_b32_e32 v16, 16, v24
	v_pk_mul_f32 v[16:17], v[82:83], v[16:17]
	s_nop 0
	v_add_f32_e32 v16, v18, v16
	v_add_f32_e32 v108, v16, v17
	s_cbranch_vccnz .LBB593_15
; %bb.13:
	ds_read_b128 v[16:19], v1 offset:64
	v_lshlrev_b32_e32 v39, 16, v39
	ds_read_b128 v[20:23], v1 offset:80
	ds_read_b128 v[24:27], v1 offset:96
	;; [unrolled: 1-line block ×3, first 2 shown]
	s_cmpk_lt_u32 s28, 0x2001
	s_waitcnt lgkmcnt(3)
	v_fmac_f32_e32 v108, v16, v39
	v_lshlrev_b32_e32 v16, 16, v38
	v_fmac_f32_e32 v108, v17, v16
	v_lshlrev_b32_e32 v16, 16, v37
	v_fmac_f32_e32 v108, v18, v16
	v_lshlrev_b32_e32 v16, 16, v36
	v_fmac_f32_e32 v108, v19, v16
	v_lshlrev_b32_e32 v16, 16, v35
	s_waitcnt lgkmcnt(2)
	v_fmac_f32_e32 v108, v20, v16
	v_lshlrev_b32_e32 v16, 16, v34
	v_fmac_f32_e32 v108, v21, v16
	v_lshlrev_b32_e32 v16, 16, v33
	v_fmac_f32_e32 v108, v22, v16
	v_lshlrev_b32_e32 v16, 16, v32
	v_fmac_f32_e32 v108, v23, v16
	v_lshlrev_b32_e32 v16, 16, v47
	s_waitcnt lgkmcnt(1)
	v_fmac_f32_e32 v108, v24, v16
	v_lshlrev_b32_e32 v16, 16, v46
	v_fmac_f32_e32 v108, v25, v16
	v_lshlrev_b32_e32 v16, 16, v45
	v_fmac_f32_e32 v108, v26, v16
	v_lshlrev_b32_e32 v16, 16, v44
	v_fmac_f32_e32 v108, v27, v16
	v_lshlrev_b32_e32 v16, 16, v43
	s_waitcnt lgkmcnt(0)
	v_fmac_f32_e32 v108, v28, v16
	v_lshlrev_b32_e32 v16, 16, v42
	v_fmac_f32_e32 v108, v29, v16
	v_lshlrev_b32_e32 v16, 16, v41
	;; [unrolled: 2-line block ×3, first 2 shown]
	v_fmac_f32_e32 v108, v31, v16
	s_cbranch_scc1 .LBB593_15
; %bb.14:
	v_mov_b32_e32 v32, 0
	ds_read_b128 v[16:19], v32 offset:128
	ds_read_b128 v[20:23], v32 offset:144
	;; [unrolled: 1-line block ×4, first 2 shown]
	s_waitcnt lgkmcnt(3)
	v_fmac_f32_e32 v108, v16, v67
	v_fmac_f32_e32 v108, v17, v65
	v_fmac_f32_e32 v108, v18, v66
	v_fmac_f32_e32 v108, v19, v63
	s_waitcnt lgkmcnt(2)
	v_fmac_f32_e32 v108, v20, v64
	v_fmac_f32_e32 v108, v21, v61
	v_fmac_f32_e32 v108, v22, v62
	v_fmac_f32_e32 v108, v23, v59
	;; [unrolled: 5-line block ×3, first 2 shown]
	ds_read_b128 v[16:19], v32 offset:192
	ds_read_b128 v[20:23], v32 offset:208
	s_waitcnt lgkmcnt(2)
	v_fmac_f32_e32 v108, v28, v56
	v_fmac_f32_e32 v108, v29, v53
	;; [unrolled: 1-line block ×4, first 2 shown]
	s_waitcnt lgkmcnt(1)
	v_fmac_f32_e32 v108, v16, v51
	v_fmac_f32_e32 v108, v17, v49
	;; [unrolled: 1-line block ×4, first 2 shown]
	s_waitcnt lgkmcnt(0)
	v_pk_mul_f32 v[14:15], v[20:21], v[14:15]
	v_pk_mul_f32 v[12:13], v[22:23], v[12:13]
	v_add_f32_e32 v14, v108, v14
	v_add_f32_e32 v18, v14, v15
	ds_read_b128 v[14:17], v32 offset:224
	v_add_f32_e32 v12, v18, v12
	ds_read_b128 v[18:21], v32 offset:240
	v_add_f32_e32 v12, v12, v13
	s_waitcnt lgkmcnt(1)
	v_pk_mul_f32 v[10:11], v[14:15], v[10:11]
	s_nop 0
	v_add_f32_e32 v10, v12, v10
	v_add_f32_e32 v10, v10, v11
	v_pk_mul_f32 v[8:9], v[16:17], v[8:9]
	s_waitcnt lgkmcnt(0)
	v_pk_mul_f32 v[6:7], v[18:19], v[6:7]
	v_add_f32_e32 v8, v10, v8
	v_add_f32_e32 v8, v8, v9
	;; [unrolled: 1-line block ×4, first 2 shown]
	v_pk_mul_f32 v[4:5], v[20:21], v[4:5]
	s_nop 0
	v_add_f32_e32 v4, v6, v4
	v_add_f32_e32 v108, v4, v5
.LBB593_15:
	s_load_dwordx2 s[4:5], s[0:1], 0x38
	s_cmpk_lt_i32 s28, 0x4001
	s_cbranch_scc1 .LBB593_17
; %bb.16:
	s_cmpk_lt_u32 s28, 0x4101
	s_cselect_b32 s8, s6, 0x2080
	s_ashr_i32 s9, s8, 31
	s_cmpk_lt_u32 s28, 0x4201
	v_lshl_add_u64 v[106:107], s[8:9], 1, v[2:3]
	s_cselect_b32 s8, s6, 0x2100
	s_ashr_i32 s9, s8, 31
	s_cmpk_lt_u32 s28, 0x4301
	v_lshl_add_u64 v[86:87], s[8:9], 1, v[2:3]
	;; [unrolled: 4-line block ×36, first 2 shown]
	s_cselect_b32 s8, s6, 0x3280
	s_ashr_i32 s9, s8, 31
	s_movk_i32 s7, 0x4000
	s_cmpk_lt_u32 s28, 0x6601
	v_add_co_u32_e32 v70, vcc, s7, v2
	v_lshl_add_u64 v[44:45], s[8:9], 1, v[2:3]
	s_cselect_b32 s8, s6, 0x3300
	v_addc_co_u32_e32 v71, vcc, 0, v3, vcc
	s_ashr_i32 s9, s8, 31
	global_load_ushort v109, v[70:71], off
	global_load_ushort v115, v[76:77], off
	s_cmpk_lt_u32 s28, 0x6701
	global_load_ushort v106, v[106:107], off
	v_lshl_add_u64 v[46:47], s[8:9], 1, v[2:3]
	global_load_ushort v111, v[102:103], off
	s_cselect_b32 s8, s6, 0x3380
	global_load_ushort v107, v[86:87], off
	global_load_ushort v113, v[88:89], off
	s_ashr_i32 s9, s8, 31
	global_load_ushort v104, v[104:105], off
	s_cmpk_lt_u32 s28, 0x6801
	global_load_ushort v105, v[100:101], off
	global_load_ushort v110, v[94:95], off
	;; [unrolled: 1-line block ×3, first 2 shown]
	v_lshl_add_u64 v[48:49], s[8:9], 1, v[2:3]
	global_load_ushort v98, v[98:99], off
	s_cselect_b32 s8, s6, 0x3400
	s_ashr_i32 s9, s8, 31
	s_cmpk_lt_u32 s28, 0x6901
	v_lshl_add_u64 v[50:51], s[8:9], 1, v[2:3]
	s_cselect_b32 s8, s6, 0x3480
	s_ashr_i32 s9, s8, 31
	global_load_ushort v99, v[92:93], off
	s_cmpk_lt_u32 s28, 0x6a01
	global_load_ushort v90, v[90:91], off
	v_lshl_add_u64 v[52:53], s[8:9], 1, v[2:3]
	s_cselect_b32 s8, s6, 0x3500
	s_ashr_i32 s9, s8, 31
	s_cmpk_lt_u32 s28, 0x6b01
	v_lshl_add_u64 v[54:55], s[8:9], 1, v[2:3]
	s_cselect_b32 s8, s6, 0x3580
	s_ashr_i32 s9, s8, 31
	s_cmpk_lt_u32 s28, 0x6c01
	;; [unrolled: 4-line block ×8, first 2 shown]
	v_lshl_add_u64 v[68:69], s[8:9], 1, v[2:3]
	s_cselect_b32 s8, s6, 0x3900
	global_load_ushort v91, v[82:83], off
	s_ashr_i32 s9, s8, 31
	global_load_ushort v84, v[84:85], off
	s_cmpk_lt_u32 s28, 0x7301
	global_load_ushort v85, v[80:81], off
	global_load_ushort v114, v[78:79], off
	v_lshl_add_u64 v[72:73], s[8:9], 1, v[2:3]
	s_cselect_b32 s8, s6, 0x3980
	s_ashr_i32 s9, s8, 31
	s_cmpk_lt_u32 s28, 0x7401
	v_lshl_add_u64 v[70:71], s[8:9], 1, v[2:3]
	s_cselect_b32 s8, s6, 0x3a00
	s_ashr_i32 s9, s8, 31
	s_cmpk_lt_u32 s28, 0x7501
	;; [unrolled: 4-line block ×12, first 2 shown]
	s_cselect_b32 s6, s6, 0x3f80
	s_ashr_i32 s7, s6, 31
	v_lshl_add_u64 v[78:79], s[8:9], 1, v[2:3]
	v_lshl_add_u64 v[2:3], s[6:7], 1, v[2:3]
	global_load_ushort v116, v[4:5], off
	global_load_ushort v117, v[6:7], off
	;; [unrolled: 1-line block ×10, first 2 shown]
	v_mov_b32_e32 v81, 0
	global_load_ushort v82, v[8:9], off
	ds_read_b128 v[2:5], v81 offset:256
	ds_read_b128 v[6:9], v81 offset:272
	s_waitcnt vmcnt(27)
	v_lshlrev_b32_e32 v80, 16, v109
	global_load_ushort v83, v[10:11], off
	global_load_ushort v88, v[14:15], off
	ds_read_b128 v[10:13], v81 offset:288
	ds_read_b128 v[76:79], v81 offset:304
	s_waitcnt lgkmcnt(0)
	v_fmac_f32_e32 v108, v2, v80
	s_waitcnt vmcnt(27)
	v_lshlrev_b32_e32 v2, 16, v106
	v_fmac_f32_e32 v108, v3, v2
	s_waitcnt vmcnt(25)
	v_lshlrev_b32_e32 v2, 16, v107
	;; [unrolled: 3-line block ×3, first 2 shown]
	v_fmac_f32_e32 v108, v5, v2
	v_lshlrev_b32_e32 v2, 16, v104
	v_fmac_f32_e32 v108, v6, v2
	v_lshlrev_b32_e32 v2, 16, v105
	;; [unrolled: 2-line block ×3, first 2 shown]
	v_fmac_f32_e32 v108, v8, v2
	s_waitcnt vmcnt(20)
	v_lshlrev_b32_e32 v2, 16, v112
	v_fmac_f32_e32 v108, v9, v2
	s_waitcnt vmcnt(19)
	v_lshlrev_b32_e32 v2, 16, v98
	global_load_ushort v14, v[16:17], off
	global_load_ushort v15, v[18:19], off
	v_fmac_f32_e32 v108, v10, v2
	global_load_ushort v10, v[40:41], off
	s_waitcnt vmcnt(21)
	v_lshlrev_b32_e32 v2, 16, v99
	v_fmac_f32_e32 v108, v11, v2
	v_lshlrev_b32_e32 v2, 16, v113
	v_fmac_f32_e32 v108, v12, v2
	global_load_ushort v12, v[48:49], off
	global_load_ushort v16, v[20:21], off
	;; [unrolled: 1-line block ×6, first 2 shown]
	s_waitcnt vmcnt(26)
	v_lshlrev_b32_e32 v2, 16, v90
	v_fmac_f32_e32 v108, v13, v2
	global_load_ushort v13, v[50:51], off
	global_load_ushort v20, v[28:29], off
	global_load_ushort v21, v[30:31], off
	global_load_ushort v22, v[32:33], off
	global_load_ushort v23, v[34:35], off
	global_load_ushort v24, v[36:37], off
	global_load_ushort v25, v[38:39], off
	global_load_ushort v26, v[42:43], off
	global_load_ushort v27, v[46:47], off
	global_load_ushort v28, v[52:53], off
	global_load_ushort v29, v[54:55], off
	global_load_ushort v30, v[56:57], off
	global_load_ushort v31, v[58:59], off
	global_load_ushort v32, v[60:61], off
	global_load_ushort v33, v[62:63], off
	global_load_ushort v34, v[64:65], off
	global_load_ushort v36, v[66:67], off
	s_waitcnt vmcnt(42)
	v_lshlrev_b32_e32 v2, 16, v91
	v_fmac_f32_e32 v108, v76, v2
	s_waitcnt vmcnt(41)
	v_lshlrev_b32_e32 v2, 16, v84
	v_fmac_f32_e32 v108, v77, v2
	;; [unrolled: 3-line block ×4, first 2 shown]
	ds_read_b128 v[2:5], v81 offset:320
	ds_read_b128 v[6:9], v81 offset:336
	v_lshlrev_b32_e32 v35, 16, v115
	global_load_ushort v37, v[72:73], off
	s_waitcnt lgkmcnt(1)
	v_fmac_f32_e32 v108, v2, v35
	global_load_ushort v35, v[68:69], off
	global_load_ushort v38, v[70:71], off
	;; [unrolled: 1-line block ×7, first 2 shown]
	s_waitcnt vmcnt(46)
	v_lshlrev_b32_e32 v2, 16, v116
	v_fmac_f32_e32 v108, v3, v2
	s_waitcnt vmcnt(45)
	v_lshlrev_b32_e32 v2, 16, v117
	v_fmac_f32_e32 v108, v4, v2
	;; [unrolled: 3-line block ×3, first 2 shown]
	s_waitcnt vmcnt(36)
	v_lshlrev_b32_e32 v2, 16, v82
	s_waitcnt lgkmcnt(0)
	v_fmac_f32_e32 v108, v6, v2
	s_waitcnt vmcnt(35)
	v_lshlrev_b32_e32 v2, 16, v83
	v_fmac_f32_e32 v108, v7, v2
	s_waitcnt vmcnt(34)
	v_lshlrev_b32_e32 v2, 16, v88
	v_fmac_f32_e32 v108, v8, v2
	ds_read_b128 v[2:5], v81 offset:352
	s_waitcnt vmcnt(33)
	v_lshlrev_b32_e32 v6, 16, v14
	v_fmac_f32_e32 v108, v9, v6
	ds_read_b128 v[6:9], v81 offset:368
	s_waitcnt vmcnt(32)
	v_lshlrev_b32_e32 v14, 16, v15
	s_waitcnt lgkmcnt(1)
	v_fmac_f32_e32 v108, v2, v14
	s_waitcnt vmcnt(29)
	v_lshlrev_b32_e32 v2, 16, v16
	v_fmac_f32_e32 v108, v3, v2
	s_waitcnt vmcnt(28)
	v_lshlrev_b32_e32 v2, 16, v17
	;; [unrolled: 3-line block ×4, first 2 shown]
	s_waitcnt lgkmcnt(0)
	v_fmac_f32_e32 v108, v6, v2
	s_waitcnt vmcnt(23)
	v_lshlrev_b32_e32 v2, 16, v20
	v_fmac_f32_e32 v108, v7, v2
	s_waitcnt vmcnt(22)
	v_lshlrev_b32_e32 v2, 16, v21
	v_fmac_f32_e32 v108, v8, v2
	ds_read_b128 v[2:5], v81 offset:384
	s_waitcnt vmcnt(21)
	v_lshlrev_b32_e32 v6, 16, v22
	v_fmac_f32_e32 v108, v9, v6
	ds_read_b128 v[6:9], v81 offset:400
	s_waitcnt vmcnt(20)
	v_lshlrev_b32_e32 v14, 16, v23
	s_waitcnt lgkmcnt(1)
	v_fmac_f32_e32 v108, v2, v14
	s_waitcnt vmcnt(19)
	v_lshlrev_b32_e32 v2, 16, v24
	v_fmac_f32_e32 v108, v3, v2
	s_waitcnt vmcnt(18)
	v_lshlrev_b32_e32 v2, 16, v25
	v_fmac_f32_e32 v108, v4, v2
	v_lshlrev_b32_e32 v2, 16, v10
	v_fmac_f32_e32 v108, v5, v2
	s_waitcnt vmcnt(17)
	v_lshlrev_b32_e32 v2, 16, v26
	s_waitcnt lgkmcnt(0)
	v_fmac_f32_e32 v108, v6, v2
	v_lshlrev_b32_e32 v2, 16, v11
	v_fmac_f32_e32 v108, v7, v2
	s_waitcnt vmcnt(16)
	v_lshlrev_b32_e32 v2, 16, v27
	v_fmac_f32_e32 v108, v8, v2
	ds_read_b128 v[2:5], v81 offset:416
	v_lshlrev_b32_e32 v6, 16, v12
	v_fmac_f32_e32 v108, v9, v6
	ds_read_b128 v[6:9], v81 offset:432
	v_lshlrev_b32_e32 v10, 16, v13
	s_waitcnt lgkmcnt(1)
	v_fmac_f32_e32 v108, v2, v10
	s_waitcnt vmcnt(15)
	v_lshlrev_b32_e32 v2, 16, v28
	v_fmac_f32_e32 v108, v3, v2
	s_waitcnt vmcnt(14)
	v_lshlrev_b32_e32 v2, 16, v29
	;; [unrolled: 3-line block ×4, first 2 shown]
	s_waitcnt lgkmcnt(0)
	v_fmac_f32_e32 v108, v6, v2
	s_waitcnt vmcnt(11)
	v_lshlrev_b32_e32 v2, 16, v32
	v_fmac_f32_e32 v108, v7, v2
	s_waitcnt vmcnt(10)
	v_lshlrev_b32_e32 v2, 16, v33
	v_fmac_f32_e32 v108, v8, v2
	ds_read_b128 v[2:5], v81 offset:448
	s_waitcnt vmcnt(9)
	v_lshlrev_b32_e32 v6, 16, v34
	v_fmac_f32_e32 v108, v9, v6
	ds_read_b128 v[6:9], v81 offset:464
	s_waitcnt vmcnt(8)
	v_lshlrev_b32_e32 v10, 16, v36
	s_waitcnt lgkmcnt(1)
	v_fmac_f32_e32 v108, v2, v10
	s_waitcnt vmcnt(6)
	v_lshlrev_b32_e32 v2, 16, v35
	v_fmac_f32_e32 v108, v3, v2
	v_lshlrev_b32_e32 v2, 16, v37
	v_fmac_f32_e32 v108, v4, v2
	s_waitcnt vmcnt(5)
	v_lshlrev_b32_e32 v2, 16, v38
	v_fmac_f32_e32 v108, v5, v2
	s_waitcnt vmcnt(3)
	v_lshlrev_b32_e32 v3, 16, v40
	v_lshlrev_b32_e32 v2, 16, v39
	s_waitcnt lgkmcnt(0)
	v_pk_mul_f32 v[2:3], v[6:7], v[2:3]
	v_lshlrev_b32_e32 v11, 16, v118
	v_add_f32_e32 v2, v108, v2
	v_add_f32_e32 v4, v2, v3
	s_waitcnt vmcnt(1)
	v_lshlrev_b32_e32 v3, 16, v42
	v_lshlrev_b32_e32 v2, 16, v41
	v_pk_mul_f32 v[6:7], v[8:9], v[2:3]
	s_waitcnt vmcnt(0)
	v_lshlrev_b32_e32 v10, 16, v43
	v_add_f32_e32 v6, v4, v6
	ds_read_b128 v[2:5], v81 offset:480
	v_add_f32_e32 v12, v6, v7
	ds_read_b128 v[6:9], v81 offset:496
	s_waitcnt lgkmcnt(1)
	v_pk_mul_f32 v[2:3], v[2:3], v[10:11]
	s_nop 0
	v_add_f32_e32 v2, v12, v2
	v_add_f32_e32 v10, v2, v3
	v_lshlrev_b32_e32 v3, 16, v120
	v_lshlrev_b32_e32 v2, 16, v119
	v_pk_mul_f32 v[2:3], v[4:5], v[2:3]
	s_nop 0
	v_add_f32_e32 v2, v10, v2
	v_add_f32_e32 v4, v2, v3
	v_lshlrev_b32_e32 v3, 16, v122
	v_lshlrev_b32_e32 v2, 16, v121
	s_waitcnt lgkmcnt(0)
	v_pk_mul_f32 v[2:3], v[6:7], v[2:3]
	s_nop 0
	v_add_f32_e32 v2, v4, v2
	v_add_f32_e32 v4, v2, v3
	v_lshlrev_b32_e32 v3, 16, v124
	v_lshlrev_b32_e32 v2, 16, v123
	v_pk_mul_f32 v[2:3], v[8:9], v[2:3]
	s_nop 0
	v_add_f32_e32 v2, v4, v2
	v_add_f32_e32 v108, v2, v3
.LBB593_17:
	v_mov_b32_e32 v2, 0
	s_load_dwordx2 s[0:1], s[0:1], 0x0
	ds_read_b32 v2, v2 offset:512
	s_waitcnt lgkmcnt(0)
	s_cmp_eq_u64 s[4:5], 0
	s_cbranch_scc1 .LBB593_22
; %bb.18:
	s_load_dword s6, s[4:5], 0x0
	s_waitcnt lgkmcnt(0)
	v_div_scale_f32 v3, s[4:5], s6, s6, 1.0
	v_rcp_f32_e32 v4, v3
	v_div_scale_f32 v5, vcc, 1.0, s6, 1.0
	v_fma_f32 v6, -v3, v4, 1.0
	v_fmac_f32_e32 v4, v6, v4
	v_mul_f32_e32 v6, v5, v4
	v_fma_f32 v7, -v3, v6, v5
	v_fmac_f32_e32 v6, v7, v4
	v_fma_f32 v3, -v3, v6, v5
	v_div_fmas_f32 v3, v3, v4, v6
	v_div_fixup_f32 v3, v3, s6, 1.0
	s_andn2_b64 vcc, exec, s[20:21]
	s_cbranch_vccnz .LBB593_20
.LBB593_19:
	s_add_u32 s4, s18, s22
	s_addc_u32 s5, s19, s23
	s_load_dword s16, s[4:5], 0x0
	s_mov_b32 s17, 0
.LBB593_20:
	v_add_f32_e32 v2, 0x358637bd, v2
	v_div_scale_f32 v4, s[4:5], v2, v2, 1.0
	v_rcp_f32_e32 v5, v4
	v_div_scale_f32 v6, vcc, 1.0, v2, 1.0
	s_mul_i32 s4, s3, s17
	v_fma_f32 v7, -v4, v5, 1.0
	v_fmac_f32_e32 v5, v7, v5
	v_mul_f32_e32 v7, v6, v5
	v_fma_f32 v8, -v4, v7, v6
	v_fmac_f32_e32 v7, v8, v5
	v_fma_f32 v4, -v4, v7, v6
	s_waitcnt lgkmcnt(0)
	s_mul_hi_u32 s5, s3, s16
	v_div_fmas_f32 v4, v4, v5, v7
	s_add_i32 s5, s5, s4
	s_mul_i32 s4, s3, s16
	v_div_fixup_f32 v2, v4, v2, 1.0
	s_lshl_b64 s[4:5], s[4:5], 7
	v_mul_f32_e32 v2, v108, v2
	s_add_u32 s4, s0, s4
	s_mov_b32 s3, 0
	v_mul_f32_e32 v2, v2, v3
	s_addc_u32 s5, s1, s5
	s_lshl_b64 s[0:1], s[2:3], 7
	s_mov_b32 s2, 0x7f800000
	s_mov_b32 s3, 0x43700000
	v_mov_b32_e32 v3, 0xc3700000
	v_med3_f32 v3, v2, s3, v3
	v_cmp_nlg_f32_e64 vcc, |v2|, s2
	s_add_u32 s0, s4, s0
	s_addc_u32 s1, s5, s1
	v_cndmask_b32_e32 v2, v3, v2, vcc
	v_mov_b32_e32 v3, 0
	v_cvt_pk_fp8_f32 v3, v2, v2
	v_lshl_add_u64 v[0:1], s[0:1], 0, v[0:1]
	global_store_byte v[0:1], v3, off
	s_endpgm
.LBB593_21:
	s_mov_b64 s[6:7], 0
	s_branch .LBB593_2
.LBB593_22:
	v_mov_b32_e32 v3, 1.0
	s_andn2_b64 vcc, exec, s[20:21]
	s_cbranch_vccz .LBB593_19
	s_branch .LBB593_20
	.section	.rodata,"a",@progbits
	.p2align	6, 0x0
	.amdhsa_kernel _Z35paged_attention_ll4mi_reduce_kernelI14__hip_bfloat16hLi128ELi128ELi256ELi2EEvPT0_PKfS4_PKT_PKiS9_iS4_
		.amdhsa_group_segment_fixed_size 516
		.amdhsa_private_segment_fixed_size 0
		.amdhsa_kernarg_size 320
		.amdhsa_user_sgpr_count 2
		.amdhsa_user_sgpr_dispatch_ptr 0
		.amdhsa_user_sgpr_queue_ptr 0
		.amdhsa_user_sgpr_kernarg_segment_ptr 1
		.amdhsa_user_sgpr_dispatch_id 0
		.amdhsa_user_sgpr_kernarg_preload_length 0
		.amdhsa_user_sgpr_kernarg_preload_offset 0
		.amdhsa_user_sgpr_private_segment_size 0
		.amdhsa_uses_dynamic_stack 0
		.amdhsa_enable_private_segment 0
		.amdhsa_system_sgpr_workgroup_id_x 1
		.amdhsa_system_sgpr_workgroup_id_y 1
		.amdhsa_system_sgpr_workgroup_id_z 0
		.amdhsa_system_sgpr_workgroup_info 0
		.amdhsa_system_vgpr_workitem_id 0
		.amdhsa_next_free_vgpr 126
		.amdhsa_next_free_sgpr 32
		.amdhsa_accum_offset 128
		.amdhsa_reserve_vcc 1
		.amdhsa_float_round_mode_32 0
		.amdhsa_float_round_mode_16_64 0
		.amdhsa_float_denorm_mode_32 3
		.amdhsa_float_denorm_mode_16_64 3
		.amdhsa_dx10_clamp 1
		.amdhsa_ieee_mode 1
		.amdhsa_fp16_overflow 0
		.amdhsa_tg_split 0
		.amdhsa_exception_fp_ieee_invalid_op 0
		.amdhsa_exception_fp_denorm_src 0
		.amdhsa_exception_fp_ieee_div_zero 0
		.amdhsa_exception_fp_ieee_overflow 0
		.amdhsa_exception_fp_ieee_underflow 0
		.amdhsa_exception_fp_ieee_inexact 0
		.amdhsa_exception_int_div_zero 0
	.end_amdhsa_kernel
	.section	.text._Z35paged_attention_ll4mi_reduce_kernelI14__hip_bfloat16hLi128ELi128ELi256ELi2EEvPT0_PKfS4_PKT_PKiS9_iS4_,"axG",@progbits,_Z35paged_attention_ll4mi_reduce_kernelI14__hip_bfloat16hLi128ELi128ELi256ELi2EEvPT0_PKfS4_PKT_PKiS9_iS4_,comdat
.Lfunc_end593:
	.size	_Z35paged_attention_ll4mi_reduce_kernelI14__hip_bfloat16hLi128ELi128ELi256ELi2EEvPT0_PKfS4_PKT_PKiS9_iS4_, .Lfunc_end593-_Z35paged_attention_ll4mi_reduce_kernelI14__hip_bfloat16hLi128ELi128ELi256ELi2EEvPT0_PKfS4_PKT_PKiS9_iS4_
                                        ; -- End function
	.section	.AMDGPU.csdata,"",@progbits
; Kernel info:
; codeLenInByte = 7964
; NumSgprs: 38
; NumVgprs: 126
; NumAgprs: 0
; TotalNumVgprs: 126
; ScratchSize: 0
; MemoryBound: 0
; FloatMode: 240
; IeeeMode: 1
; LDSByteSize: 516 bytes/workgroup (compile time only)
; SGPRBlocks: 4
; VGPRBlocks: 15
; NumSGPRsForWavesPerEU: 38
; NumVGPRsForWavesPerEU: 126
; AccumOffset: 128
; Occupancy: 4
; WaveLimiterHint : 1
; COMPUTE_PGM_RSRC2:SCRATCH_EN: 0
; COMPUTE_PGM_RSRC2:USER_SGPR: 2
; COMPUTE_PGM_RSRC2:TRAP_HANDLER: 0
; COMPUTE_PGM_RSRC2:TGID_X_EN: 1
; COMPUTE_PGM_RSRC2:TGID_Y_EN: 1
; COMPUTE_PGM_RSRC2:TGID_Z_EN: 0
; COMPUTE_PGM_RSRC2:TIDIG_COMP_CNT: 0
; COMPUTE_PGM_RSRC3_GFX90A:ACCUM_OFFSET: 31
; COMPUTE_PGM_RSRC3_GFX90A:TG_SPLIT: 0
	.section	.text._Z35paged_attention_ll4mi_reduce_kernelI14__hip_bfloat16hLi128ELi128ELi256ELi3EEvPT0_PKfS4_PKT_PKiS9_iS4_,"axG",@progbits,_Z35paged_attention_ll4mi_reduce_kernelI14__hip_bfloat16hLi128ELi128ELi256ELi3EEvPT0_PKfS4_PKT_PKiS9_iS4_,comdat
	.protected	_Z35paged_attention_ll4mi_reduce_kernelI14__hip_bfloat16hLi128ELi128ELi256ELi3EEvPT0_PKfS4_PKT_PKiS9_iS4_ ; -- Begin function _Z35paged_attention_ll4mi_reduce_kernelI14__hip_bfloat16hLi128ELi128ELi256ELi3EEvPT0_PKfS4_PKT_PKiS9_iS4_
	.globl	_Z35paged_attention_ll4mi_reduce_kernelI14__hip_bfloat16hLi128ELi128ELi256ELi3EEvPT0_PKfS4_PKT_PKiS9_iS4_
	.p2align	8
	.type	_Z35paged_attention_ll4mi_reduce_kernelI14__hip_bfloat16hLi128ELi128ELi256ELi3EEvPT0_PKfS4_PKT_PKiS9_iS4_,@function
_Z35paged_attention_ll4mi_reduce_kernelI14__hip_bfloat16hLi128ELi128ELi256ELi3EEvPT0_PKfS4_PKT_PKiS9_iS4_: ; @_Z35paged_attention_ll4mi_reduce_kernelI14__hip_bfloat16hLi128ELi128ELi256ELi3EEvPT0_PKfS4_PKT_PKiS9_iS4_
; %bb.0:
	s_load_dwordx2 s[20:21], s[0:1], 0x28
	s_mov_b32 s10, s3
	s_mov_b64 s[4:5], 0
	s_waitcnt lgkmcnt(0)
	s_cmp_lg_u64 s[20:21], 0
	s_cselect_b64 s[22:23], -1, 0
	s_and_b64 vcc, exec, s[22:23]
	s_cbranch_vccz .LBB594_23
; %bb.1:
	s_add_i32 s6, s10, 1
	s_mov_b32 s7, 0
	s_lshl_b64 s[8:9], s[6:7], 2
	s_add_u32 s8, s20, s8
	s_mov_b32 s11, s7
	s_addc_u32 s9, s21, s9
	s_lshl_b64 s[6:7], s[10:11], 2
	s_add_u32 s6, s20, s6
	s_addc_u32 s7, s21, s7
	s_load_dword s3, s[8:9], 0x0
	s_load_dword s12, s[6:7], 0x0
	s_waitcnt lgkmcnt(0)
	s_sub_i32 s3, s3, s12
	s_cmp_eq_u32 s3, 1
	s_cselect_b64 s[6:7], -1, 0
	s_andn2_b64 vcc, exec, s[4:5]
	s_cbranch_vccnz .LBB594_3
.LBB594_2:
	s_mov_b32 s11, 0
	s_mov_b64 s[6:7], -1
.LBB594_3:
	s_andn2_b64 vcc, exec, s[6:7]
	s_cbranch_vccz .LBB594_5
; %bb.4:
	s_endpgm
.LBB594_5:
	s_load_dwordx4 s[12:15], s[0:1], 0x18
	s_load_dword s8, s[0:1], 0x30
	s_lshl_b64 s[24:25], s[10:11], 2
	v_cmp_lt_u32_e32 vcc, 63, v0
	s_waitcnt lgkmcnt(0)
	s_add_u32 s4, s14, s24
	s_addc_u32 s5, s15, s25
	s_load_dword s30, s[4:5], 0x0
	s_load_dword s3, s[0:1], 0x40
	s_mul_i32 s14, s2, s8
	s_mul_i32 s6, s10, s8
	s_waitcnt lgkmcnt(0)
	s_add_i32 s7, s30, 0xff
	s_ashr_i32 s4, s7, 31
	s_lshr_b32 s4, s4, 24
	s_add_i32 s7, s7, s4
	s_and_saveexec_b64 s[4:5], vcc
	s_xor_b64 s[4:5], exec, s[4:5]
	s_or_saveexec_b64 s[26:27], s[4:5]
	s_ashr_i32 s31, s7, 8
	v_mov_b32_e32 v1, s14
	s_mul_i32 s28, s6, s3
	s_xor_b64 exec, exec, s[26:27]
	s_cbranch_execz .LBB594_9
; %bb.6:
	s_load_dwordx4 s[16:19], s[0:1], 0x8
	s_mov_b32 s29, 0
	s_add_i32 s4, s31, -1
	v_or_b32_e32 v3, 64, v0
	v_mov_b32_e32 v1, s4
	v_cmp_gt_u32_e64 s[4:5], s31, v3
	s_lshl_b64 s[34:35], s[28:29], 2
	s_mov_b32 s15, s29
	v_cmp_gt_u32_e32 vcc, s31, v0
	v_cndmask_b32_e64 v4, v1, v3, s[4:5]
	v_or_b32_e32 v3, 0x80, v0
	s_waitcnt lgkmcnt(0)
	s_add_u32 s8, s18, s34
	v_cndmask_b32_e32 v2, v1, v0, vcc
	v_cmp_gt_u32_e64 s[6:7], s31, v3
	s_addc_u32 s9, s19, s35
	s_lshl_b64 s[18:19], s[14:15], 2
	v_cndmask_b32_e64 v6, v1, v3, s[6:7]
	s_add_u32 s8, s8, s18
	v_ashrrev_i32_e32 v3, 31, v2
	s_addc_u32 s9, s9, s19
	v_lshlrev_b64 v[2:3], 2, v[2:3]
	v_ashrrev_i32_e32 v5, 31, v4
	v_ashrrev_i32_e32 v7, 31, v6
	v_lshl_add_u64 v[8:9], s[8:9], 0, v[2:3]
	v_lshlrev_b64 v[4:5], 2, v[4:5]
	v_lshlrev_b64 v[6:7], 2, v[6:7]
	v_lshl_add_u64 v[10:11], s[8:9], 0, v[4:5]
	v_lshl_add_u64 v[12:13], s[8:9], 0, v[6:7]
	global_load_dword v1, v[8:9], off
	global_load_dword v14, v[10:11], off
	;; [unrolled: 1-line block ×3, first 2 shown]
	v_mbcnt_lo_u32_b32 v8, -1, 0
	v_mbcnt_hi_u32_b32 v8, -1, v8
	v_and_b32_e32 v9, 64, v8
	v_xor_b32_e32 v10, 32, v8
	v_add_u32_e32 v9, 64, v9
	v_xor_b32_e32 v11, 16, v8
	v_cmp_lt_i32_e64 s[8:9], v10, v9
	v_xor_b32_e32 v12, 8, v8
	s_mov_b32 s15, 0xc2ce8ed0
	v_cndmask_b32_e64 v10, v8, v10, s[8:9]
	v_cmp_lt_i32_e64 s[8:9], v11, v9
	v_lshlrev_b32_e32 v10, 2, v10
	s_waitcnt vmcnt(0)
	v_max3_f32 v13, v1, v14, v15
	v_cndmask_b32_e64 v11, v8, v11, s[8:9]
	v_cmp_lt_i32_e64 s[8:9], v12, v9
	ds_bpermute_b32 v16, v10, v13
	v_lshlrev_b32_e32 v11, 2, v11
	v_cndmask_b32_e64 v12, v8, v12, s[8:9]
	s_add_u32 s8, s16, s34
	s_addc_u32 s9, s17, s35
	s_add_u32 s8, s8, s18
	s_addc_u32 s9, s9, s19
	v_lshl_add_u64 v[2:3], s[8:9], 0, v[2:3]
	v_lshl_add_u64 v[4:5], s[8:9], 0, v[4:5]
	global_load_dword v17, v[2:3], off
	global_load_dword v18, v[4:5], off
	v_lshl_add_u64 v[2:3], s[8:9], 0, v[6:7]
	global_load_dword v3, v[2:3], off
	s_waitcnt lgkmcnt(0)
	v_max_f32_e32 v16, v16, v16
	v_max_f32_e32 v13, v13, v16
	ds_bpermute_b32 v16, v11, v13
	v_lshlrev_b32_e32 v12, 2, v12
	v_xor_b32_e32 v5, 4, v8
	v_cmp_lt_i32_e64 s[8:9], v5, v9
	v_xor_b32_e32 v6, 2, v8
	s_waitcnt lgkmcnt(0)
	v_max_f32_e32 v2, v16, v16
	v_max_f32_e32 v2, v13, v2
	ds_bpermute_b32 v4, v12, v2
	v_cndmask_b32_e64 v5, v8, v5, s[8:9]
	v_lshlrev_b32_e32 v5, 2, v5
	v_cmp_lt_i32_e64 s[8:9], v6, v9
	v_xor_b32_e32 v7, 1, v8
	s_waitcnt lgkmcnt(0)
	v_max_f32_e32 v4, v4, v4
	v_max_f32_e32 v2, v2, v4
	ds_bpermute_b32 v4, v5, v2
	v_cndmask_b32_e64 v6, v8, v6, s[8:9]
	v_lshlrev_b32_e32 v6, 2, v6
	v_cmp_lt_i32_e64 s[8:9], v7, v9
	s_mov_b32 s16, 0x42b17218
	s_waitcnt lgkmcnt(0)
	v_max_f32_e32 v4, v4, v4
	v_max_f32_e32 v2, v2, v4
	ds_bpermute_b32 v4, v6, v2
	v_cndmask_b32_e64 v7, v8, v7, s[8:9]
	v_lshlrev_b32_e32 v7, 2, v7
	s_mov_b32 s8, 0x3fb8aa3b
	v_mov_b32_e32 v8, 0x7f800000
	s_waitcnt lgkmcnt(0)
	v_max_f32_e32 v4, v4, v4
	v_max_f32_e32 v2, v2, v4
	ds_bpermute_b32 v4, v7, v2
	s_waitcnt lgkmcnt(0)
	v_max_f32_e32 v4, v4, v4
	v_max_f32_e32 v2, v2, v4
	v_sub_f32_e32 v1, v1, v2
	v_sub_f32_e32 v4, v14, v2
	v_mul_f32_e32 v9, 0x3fb8aa3b, v1
	v_sub_f32_e32 v2, v15, v2
	v_mul_f32_e32 v13, 0x3fb8aa3b, v4
	v_fma_f32 v15, v1, s8, -v9
	v_rndne_f32_e32 v16, v9
	v_mul_f32_e32 v14, 0x3fb8aa3b, v2
	v_fma_f32 v19, v4, s8, -v13
	v_rndne_f32_e32 v20, v13
	v_fmac_f32_e32 v15, 0x32a5705f, v1
	v_sub_f32_e32 v9, v9, v16
	v_fma_f32 v21, v2, s8, -v14
	v_rndne_f32_e32 v22, v14
	v_fmac_f32_e32 v19, 0x32a5705f, v4
	v_sub_f32_e32 v13, v13, v20
	v_add_f32_e32 v9, v9, v15
	v_cvt_i32_f32_e32 v16, v16
	v_fmac_f32_e32 v21, 0x32a5705f, v2
	v_sub_f32_e32 v14, v14, v22
	v_add_f32_e32 v13, v13, v19
	v_exp_f32_e32 v9, v9
	v_cvt_i32_f32_e32 v20, v20
	v_add_f32_e32 v14, v14, v21
	v_exp_f32_e32 v13, v13
	v_cvt_i32_f32_e32 v22, v22
	v_exp_f32_e32 v14, v14
	v_ldexp_f32 v9, v9, v16
	v_cmp_ngt_f32_e64 s[8:9], s15, v1
	v_ldexp_f32 v13, v13, v20
	v_ldexp_f32 v14, v14, v22
	v_cndmask_b32_e64 v9, 0, v9, s[8:9]
	v_cmp_ngt_f32_e64 s[8:9], s15, v4
	v_lshlrev_b32_e32 v15, 2, v0
	s_nop 0
	v_cndmask_b32_e64 v13, 0, v13, s[8:9]
	v_cmp_ngt_f32_e64 s[8:9], s15, v2
	s_nop 1
	v_cndmask_b32_e64 v14, 0, v14, s[8:9]
	v_cmp_nlt_f32_e64 s[8:9], s16, v1
	s_nop 1
	v_cndmask_b32_e64 v1, v8, v9, s[8:9]
	v_cmp_nlt_f32_e64 s[8:9], s16, v4
	v_cndmask_b32_e32 v1, 0, v1, vcc
	s_waitcnt vmcnt(2)
	v_mul_f32_e32 v1, v17, v1
	v_cndmask_b32_e64 v4, v8, v13, s[8:9]
	v_cmp_nlt_f32_e64 s[8:9], s16, v2
	v_cndmask_b32_e64 v4, 0, v4, s[4:5]
	v_cmp_eq_u32_e32 vcc, 0, v0
	v_cndmask_b32_e64 v2, v8, v14, s[8:9]
	v_cndmask_b32_e64 v8, 0, v2, s[6:7]
	s_waitcnt vmcnt(1)
	v_mul_f32_e32 v2, v18, v4
	ds_write2st64_b32 v15, v1, v2 offset1:1
	v_fmac_f32_e32 v1, v18, v4
	s_waitcnt vmcnt(0)
	v_fmac_f32_e32 v1, v3, v8
	ds_bpermute_b32 v2, v10, v1
	v_mul_f32_e32 v3, v3, v8
	ds_write_b32 v15, v3 offset:512
	s_waitcnt lgkmcnt(1)
	v_add_f32_e32 v1, v1, v2
	ds_bpermute_b32 v2, v11, v1
	s_waitcnt lgkmcnt(0)
	v_add_f32_e32 v1, v1, v2
	ds_bpermute_b32 v2, v12, v1
	;; [unrolled: 3-line block ×5, first 2 shown]
	s_and_saveexec_b64 s[4:5], vcc
	s_cbranch_execz .LBB594_8
; %bb.7:
	s_waitcnt lgkmcnt(0)
	v_add_f32_e32 v1, v1, v2
	v_mov_b32_e32 v2, 0
	ds_write_b32 v2, v1 offset:768
.LBB594_8:
	s_or_b64 exec, exec, s[4:5]
	v_mov_b32_e32 v1, s14
.LBB594_9:
	s_or_b64 exec, exec, s[26:27]
	s_lshl_b32 s4, s28, 7
	s_mov_b32 s5, 0
	s_lshl_b64 s[4:5], s[4:5], 1
	s_add_u32 s4, s12, s4
	s_addc_u32 s5, s13, s5
	s_lshl_b32 s6, s31, 7
	s_waitcnt lgkmcnt(0)
	v_lshlrev_b32_e32 v2, 7, v1
	v_mov_b32_e32 v1, 0
	s_addk_i32 s6, 0xff80
	v_mov_b32_e32 v3, v1
	s_cmp_lt_i32 s30, 1
	v_lshl_add_u64 v[2:3], v[2:3], 1, s[4:5]
	s_cselect_b32 s4, s6, 0
	v_lshlrev_b32_e32 v4, 1, v0
	v_mov_b32_e32 v5, v1
	s_ashr_i32 s5, s4, 31
	v_lshl_add_u64 v[2:3], v[2:3], 0, v[4:5]
	s_cmpk_lt_i32 s30, 0x101
	v_lshl_add_u64 v[4:5], s[4:5], 1, v[2:3]
	s_cselect_b32 s4, s6, 0x80
	s_ashr_i32 s5, s4, 31
	s_cmpk_lt_i32 s30, 0x201
	v_lshl_add_u64 v[6:7], s[4:5], 1, v[2:3]
	s_cselect_b32 s4, s6, 0x100
	s_ashr_i32 s5, s4, 31
	;; [unrolled: 4-line block ×8, first 2 shown]
	s_cmpk_lt_i32 s30, 0x901
	global_load_ushort v23, v[4:5], off
	global_load_ushort v22, v[6:7], off
	;; [unrolled: 1-line block ×8, first 2 shown]
	v_lshl_add_u64 v[4:5], s[4:5], 1, v[2:3]
	s_cselect_b32 s4, s6, 0x480
	s_ashr_i32 s5, s4, 31
	s_cmpk_lt_i32 s30, 0xa01
	v_lshl_add_u64 v[6:7], s[4:5], 1, v[2:3]
	s_cselect_b32 s4, s6, 0x500
	s_ashr_i32 s5, s4, 31
	s_cmpk_lt_i32 s30, 0xb01
	;; [unrolled: 4-line block ×6, first 2 shown]
	v_lshl_add_u64 v[32:33], s[4:5], 1, v[2:3]
	s_cselect_b32 s4, s6, 0x780
	s_ashr_i32 s5, s4, 31
	v_lshl_add_u64 v[34:35], s[4:5], 1, v[2:3]
	global_load_ushort v30, v[4:5], off
	global_load_ushort v31, v[6:7], off
	;; [unrolled: 1-line block ×8, first 2 shown]
	s_cmpk_gt_i32 s30, 0x1000
	s_cselect_b64 s[4:5], -1, 0
	s_cmpk_lt_i32 s30, 0x1001
	v_mov_b32_e32 v40, 0
	v_mov_b32_e32 v41, 0
	;; [unrolled: 1-line block ×48, first 2 shown]
	s_barrier
	s_cbranch_scc1 .LBB594_12
; %bb.10:
	s_cmpk_lt_u32 s30, 0x1101
	s_cselect_b32 s8, s6, 0x880
	s_ashr_i32 s9, s8, 31
	s_cmpk_lt_u32 s30, 0x1201
	v_lshl_add_u64 v[6:7], s[8:9], 1, v[2:3]
	s_cselect_b32 s8, s6, 0x900
	s_ashr_i32 s9, s8, 31
	s_cmpk_lt_u32 s30, 0x1301
	v_lshl_add_u64 v[8:9], s[8:9], 1, v[2:3]
	;; [unrolled: 4-line block ×7, first 2 shown]
	s_cselect_b32 s8, s6, 0xc00
	v_add_co_u32_e32 v4, vcc, 0x1000, v2
	s_ashr_i32 s9, s8, 31
	s_nop 0
	v_addc_co_u32_e32 v5, vcc, 0, v3, vcc
	s_cmpk_lt_u32 s30, 0x1901
	global_load_ushort v39, v[4:5], off
	global_load_ushort v38, v[6:7], off
	;; [unrolled: 1-line block ×8, first 2 shown]
	v_lshl_add_u64 v[4:5], s[8:9], 1, v[2:3]
	s_cselect_b32 s8, s6, 0xc80
	s_ashr_i32 s9, s8, 31
	s_cmpk_lt_u32 s30, 0x1a01
	v_lshl_add_u64 v[6:7], s[8:9], 1, v[2:3]
	s_cselect_b32 s8, s6, 0xd00
	s_ashr_i32 s9, s8, 31
	s_cmpk_lt_u32 s30, 0x1b01
	;; [unrolled: 4-line block ×6, first 2 shown]
	v_lshl_add_u64 v[48:49], s[8:9], 1, v[2:3]
	s_cselect_b32 s8, s6, 0xf80
	s_ashr_i32 s9, s8, 31
	v_lshl_add_u64 v[50:51], s[8:9], 1, v[2:3]
	global_load_ushort v47, v[4:5], off
	global_load_ushort v46, v[6:7], off
	;; [unrolled: 1-line block ×8, first 2 shown]
	s_cmpk_lt_u32 s30, 0x2001
	v_mov_b32_e32 v67, 0
	v_mov_b32_e32 v65, 0
	;; [unrolled: 1-line block ×32, first 2 shown]
	s_cbranch_scc1 .LBB594_12
; %bb.11:
	s_cmpk_lt_u32 s30, 0x2101
	s_cselect_b32 s8, s6, 0x1080
	s_ashr_i32 s9, s8, 31
	s_cmpk_lt_u32 s30, 0x2201
	v_lshl_add_u64 v[4:5], s[8:9], 1, v[2:3]
	s_cselect_b32 s8, s6, 0x1100
	s_ashr_i32 s9, s8, 31
	s_cmpk_lt_u32 s30, 0x2301
	v_lshl_add_u64 v[6:7], s[8:9], 1, v[2:3]
	;; [unrolled: 4-line block ×29, first 2 shown]
	s_cselect_b32 s8, s6, 0x1f00
	s_ashr_i32 s9, s8, 31
	s_movk_i32 s7, 0x2000
	s_cmpk_lt_u32 s30, 0x3f01
	v_lshl_add_u64 v[94:95], s[8:9], 1, v[2:3]
	v_add_co_u32_e32 v96, vcc, s7, v2
	s_cselect_b32 s8, s6, 0x1f80
	s_nop 0
	v_addc_co_u32_e32 v97, vcc, 0, v3, vcc
	s_ashr_i32 s9, s8, 31
	global_load_ushort v98, v[96:97], off
	global_load_ushort v99, v[4:5], off
	;; [unrolled: 1-line block ×15, first 2 shown]
                                        ; kill: killed $vgpr62_vgpr63
                                        ; kill: killed $vgpr14_vgpr15
                                        ; kill: killed $vgpr96 killed $vgpr97
                                        ; kill: killed $vgpr52_vgpr53
                                        ; kill: killed $vgpr4_vgpr5
                                        ; kill: killed $vgpr58_vgpr59
                                        ; kill: killed $vgpr10_vgpr11
                                        ; kill: killed $vgpr48_vgpr49
                                        ; kill: killed $vgpr54_vgpr55
                                        ; kill: killed $vgpr6_vgpr7
                                        ; kill: killed $vgpr60_vgpr61
                                        ; kill: killed $vgpr12_vgpr13
                                        ; kill: killed $vgpr50_vgpr51
                                        ; kill: killed $vgpr56_vgpr57
                                        ; kill: killed $vgpr8_vgpr9
	global_load_ushort v6, v[64:65], off
	global_load_ushort v7, v[66:67], off
	;; [unrolled: 1-line block ×15, first 2 shown]
                                        ; kill: killed $vgpr94_vgpr95
                                        ; kill: killed $vgpr78_vgpr79
                                        ; kill: killed $vgpr84_vgpr85
                                        ; kill: killed $vgpr68_vgpr69
                                        ; kill: killed $vgpr90_vgpr91
                                        ; kill: killed $vgpr74_vgpr75
                                        ; kill: killed $vgpr80_vgpr81
                                        ; kill: killed $vgpr64_vgpr65
                                        ; kill: killed $vgpr70_vgpr71
                                        ; kill: killed $vgpr92_vgpr93
                                        ; kill: killed $vgpr76_vgpr77
                                        ; kill: killed $vgpr82_vgpr83
                                        ; kill: killed $vgpr66_vgpr67
                                        ; kill: killed $vgpr88_vgpr89
                                        ; kill: killed $vgpr72_vgpr73
	global_load_ushort v68, v[86:87], off
	v_lshl_add_u64 v[4:5], s[8:9], 1, v[2:3]
	global_load_ushort v5, v[4:5], off
	s_waitcnt vmcnt(31)
	v_lshlrev_b32_e32 v67, 16, v98
	s_waitcnt vmcnt(30)
	v_lshlrev_b32_e32 v65, 16, v99
	;; [unrolled: 2-line block ×32, first 2 shown]
.LBB594_12:
	ds_read_b128 v[68:71], v1
	s_waitcnt vmcnt(15)
	v_lshlrev_b32_e32 v23, 16, v23
	ds_read_b128 v[72:75], v1 offset:16
	ds_read_b128 v[76:79], v1 offset:32
	;; [unrolled: 1-line block ×3, first 2 shown]
	s_waitcnt vmcnt(14)
	v_lshlrev_b32_e32 v22, 16, v22
	s_waitcnt vmcnt(13)
	v_lshlrev_b32_e32 v21, 16, v21
	s_waitcnt lgkmcnt(3)
	v_fma_f32 v23, v68, v23, 0
	v_fmac_f32_e32 v23, v69, v22
	v_fmac_f32_e32 v23, v70, v21
	s_waitcnt vmcnt(12)
	v_lshlrev_b32_e32 v20, 16, v20
	s_waitcnt vmcnt(10)
	v_lshlrev_b32_e32 v19, 16, v19
	v_lshlrev_b32_e32 v18, 16, v18
	v_fmac_f32_e32 v23, v71, v20
	s_waitcnt lgkmcnt(2)
	v_pk_mul_f32 v[18:19], v[72:73], v[18:19]
	s_waitcnt vmcnt(8)
	v_lshlrev_b32_e32 v17, 16, v17
	v_add_f32_e32 v18, v23, v18
	v_lshlrev_b32_e32 v16, 16, v16
	v_add_f32_e32 v18, v18, v19
	v_pk_mul_f32 v[16:17], v[74:75], v[16:17]
	s_andn2_b64 vcc, exec, s[4:5]
	v_add_f32_e32 v16, v18, v16
	v_add_f32_e32 v18, v16, v17
	s_waitcnt vmcnt(6)
	v_lshlrev_b32_e32 v17, 16, v31
	v_lshlrev_b32_e32 v16, 16, v30
	s_waitcnt lgkmcnt(1)
	v_pk_mul_f32 v[16:17], v[76:77], v[16:17]
	s_nop 0
	v_add_f32_e32 v16, v18, v16
	v_add_f32_e32 v18, v16, v17
	s_waitcnt vmcnt(4)
	v_lshlrev_b32_e32 v17, 16, v29
	v_lshlrev_b32_e32 v16, 16, v28
	v_pk_mul_f32 v[16:17], v[78:79], v[16:17]
	s_nop 0
	v_add_f32_e32 v16, v18, v16
	v_add_f32_e32 v18, v16, v17
	s_waitcnt vmcnt(2)
	v_lshlrev_b32_e32 v17, 16, v27
	v_lshlrev_b32_e32 v16, 16, v26
	s_waitcnt lgkmcnt(0)
	v_pk_mul_f32 v[16:17], v[80:81], v[16:17]
	s_nop 0
	v_add_f32_e32 v16, v18, v16
	v_add_f32_e32 v18, v16, v17
	s_waitcnt vmcnt(0)
	v_lshlrev_b32_e32 v17, 16, v25
	v_lshlrev_b32_e32 v16, 16, v24
	v_pk_mul_f32 v[16:17], v[82:83], v[16:17]
	s_nop 0
	v_add_f32_e32 v16, v18, v16
	v_add_f32_e32 v108, v16, v17
	s_cbranch_vccnz .LBB594_15
; %bb.13:
	ds_read_b128 v[16:19], v1 offset:64
	v_lshlrev_b32_e32 v39, 16, v39
	ds_read_b128 v[20:23], v1 offset:80
	ds_read_b128 v[24:27], v1 offset:96
	;; [unrolled: 1-line block ×3, first 2 shown]
	s_cmpk_lt_u32 s30, 0x2001
	s_waitcnt lgkmcnt(3)
	v_fmac_f32_e32 v108, v16, v39
	v_lshlrev_b32_e32 v16, 16, v38
	v_fmac_f32_e32 v108, v17, v16
	v_lshlrev_b32_e32 v16, 16, v37
	v_fmac_f32_e32 v108, v18, v16
	v_lshlrev_b32_e32 v16, 16, v36
	v_fmac_f32_e32 v108, v19, v16
	v_lshlrev_b32_e32 v16, 16, v35
	s_waitcnt lgkmcnt(2)
	v_fmac_f32_e32 v108, v20, v16
	v_lshlrev_b32_e32 v16, 16, v34
	v_fmac_f32_e32 v108, v21, v16
	v_lshlrev_b32_e32 v16, 16, v33
	v_fmac_f32_e32 v108, v22, v16
	v_lshlrev_b32_e32 v16, 16, v32
	v_fmac_f32_e32 v108, v23, v16
	v_lshlrev_b32_e32 v16, 16, v47
	s_waitcnt lgkmcnt(1)
	v_fmac_f32_e32 v108, v24, v16
	v_lshlrev_b32_e32 v16, 16, v46
	v_fmac_f32_e32 v108, v25, v16
	v_lshlrev_b32_e32 v16, 16, v45
	v_fmac_f32_e32 v108, v26, v16
	v_lshlrev_b32_e32 v16, 16, v44
	v_fmac_f32_e32 v108, v27, v16
	v_lshlrev_b32_e32 v16, 16, v43
	s_waitcnt lgkmcnt(0)
	v_fmac_f32_e32 v108, v28, v16
	v_lshlrev_b32_e32 v16, 16, v42
	v_fmac_f32_e32 v108, v29, v16
	v_lshlrev_b32_e32 v16, 16, v41
	;; [unrolled: 2-line block ×3, first 2 shown]
	v_fmac_f32_e32 v108, v31, v16
	s_cbranch_scc1 .LBB594_15
; %bb.14:
	v_mov_b32_e32 v32, 0
	ds_read_b128 v[16:19], v32 offset:128
	ds_read_b128 v[20:23], v32 offset:144
	;; [unrolled: 1-line block ×4, first 2 shown]
	s_waitcnt lgkmcnt(3)
	v_fmac_f32_e32 v108, v16, v67
	v_fmac_f32_e32 v108, v17, v65
	v_fmac_f32_e32 v108, v18, v66
	v_fmac_f32_e32 v108, v19, v63
	s_waitcnt lgkmcnt(2)
	v_fmac_f32_e32 v108, v20, v64
	v_fmac_f32_e32 v108, v21, v61
	v_fmac_f32_e32 v108, v22, v62
	v_fmac_f32_e32 v108, v23, v59
	;; [unrolled: 5-line block ×3, first 2 shown]
	ds_read_b128 v[16:19], v32 offset:192
	ds_read_b128 v[20:23], v32 offset:208
	s_waitcnt lgkmcnt(2)
	v_fmac_f32_e32 v108, v28, v56
	v_fmac_f32_e32 v108, v29, v53
	;; [unrolled: 1-line block ×4, first 2 shown]
	s_waitcnt lgkmcnt(1)
	v_fmac_f32_e32 v108, v16, v51
	v_fmac_f32_e32 v108, v17, v49
	;; [unrolled: 1-line block ×4, first 2 shown]
	s_waitcnt lgkmcnt(0)
	v_pk_mul_f32 v[14:15], v[20:21], v[14:15]
	v_pk_mul_f32 v[12:13], v[22:23], v[12:13]
	v_add_f32_e32 v14, v108, v14
	v_add_f32_e32 v18, v14, v15
	ds_read_b128 v[14:17], v32 offset:224
	v_add_f32_e32 v12, v18, v12
	ds_read_b128 v[18:21], v32 offset:240
	v_add_f32_e32 v12, v12, v13
	s_waitcnt lgkmcnt(1)
	v_pk_mul_f32 v[10:11], v[14:15], v[10:11]
	s_nop 0
	v_add_f32_e32 v10, v12, v10
	v_add_f32_e32 v10, v10, v11
	v_pk_mul_f32 v[8:9], v[16:17], v[8:9]
	s_waitcnt lgkmcnt(0)
	v_pk_mul_f32 v[6:7], v[18:19], v[6:7]
	v_add_f32_e32 v8, v10, v8
	v_add_f32_e32 v8, v8, v9
	v_add_f32_e32 v6, v8, v6
	v_add_f32_e32 v6, v6, v7
	v_pk_mul_f32 v[4:5], v[20:21], v[4:5]
	s_nop 0
	v_add_f32_e32 v4, v6, v4
	v_add_f32_e32 v108, v4, v5
.LBB594_15:
	s_cmpk_lt_i32 s30, 0x4001
	s_cbranch_scc1 .LBB594_17
; %bb.16:
	s_cmpk_lt_i32 s30, 0x4101
	s_cselect_b32 s4, s6, 0x2080
	s_ashr_i32 s5, s4, 31
	s_cmpk_lt_i32 s30, 0x4201
	v_lshl_add_u64 v[106:107], s[4:5], 1, v[2:3]
	s_cselect_b32 s4, s6, 0x2100
	s_ashr_i32 s5, s4, 31
	s_cmpk_lt_i32 s30, 0x4301
	v_lshl_add_u64 v[92:93], s[4:5], 1, v[2:3]
	;; [unrolled: 4-line block ×36, first 2 shown]
	s_cselect_b32 s4, s6, 0x3280
	s_ashr_i32 s5, s4, 31
	s_movk_i32 s7, 0x4000
	s_cmpk_lt_i32 s30, 0x6601
	v_add_co_u32_e32 v70, vcc, s7, v2
	v_lshl_add_u64 v[44:45], s[4:5], 1, v[2:3]
	s_cselect_b32 s4, s6, 0x3300
	v_addc_co_u32_e32 v71, vcc, 0, v3, vcc
	s_ashr_i32 s5, s4, 31
	global_load_ushort v109, v[70:71], off
	global_load_ushort v115, v[76:77], off
	s_cmpk_lt_i32 s30, 0x6701
	global_load_ushort v106, v[106:107], off
	v_lshl_add_u64 v[46:47], s[4:5], 1, v[2:3]
	global_load_ushort v111, v[102:103], off
	s_cselect_b32 s4, s6, 0x3380
	global_load_ushort v107, v[92:93], off
	global_load_ushort v110, v[94:95], off
	;; [unrolled: 1-line block ×3, first 2 shown]
	s_ashr_i32 s5, s4, 31
	global_load_ushort v98, v[98:99], off
	s_cmpk_lt_i32 s30, 0x6801
	global_load_ushort v104, v[104:105], off
	v_lshl_add_u64 v[48:49], s[4:5], 1, v[2:3]
	global_load_ushort v105, v[100:101], off
	s_cselect_b32 s4, s6, 0x3400
	s_ashr_i32 s5, s4, 31
	s_cmpk_lt_i32 s30, 0x6901
	v_lshl_add_u64 v[50:51], s[4:5], 1, v[2:3]
	s_cselect_b32 s4, s6, 0x3480
	s_ashr_i32 s5, s4, 31
	global_load_ushort v99, v[90:91], off
	s_cmpk_lt_i32 s30, 0x6a01
	global_load_ushort v113, v[86:87], off
	v_lshl_add_u64 v[52:53], s[4:5], 1, v[2:3]
	global_load_ushort v88, v[88:89], off
	s_cselect_b32 s4, s6, 0x3500
	s_ashr_i32 s5, s4, 31
	global_load_ushort v89, v[82:83], off
	s_cmpk_lt_i32 s30, 0x6b01
	global_load_ushort v84, v[84:85], off
	v_lshl_add_u64 v[54:55], s[4:5], 1, v[2:3]
	s_cselect_b32 s4, s6, 0x3580
	s_ashr_i32 s5, s4, 31
	global_load_ushort v85, v[80:81], off
	global_load_ushort v114, v[78:79], off
	s_cmpk_lt_i32 s30, 0x6c01
	v_lshl_add_u64 v[56:57], s[4:5], 1, v[2:3]
	s_cselect_b32 s4, s6, 0x3600
	s_ashr_i32 s5, s4, 31
	s_cmpk_lt_i32 s30, 0x6d01
	v_lshl_add_u64 v[58:59], s[4:5], 1, v[2:3]
	s_cselect_b32 s4, s6, 0x3680
	s_ashr_i32 s5, s4, 31
	;; [unrolled: 4-line block ×20, first 2 shown]
	v_lshl_add_u64 v[76:77], s[4:5], 1, v[2:3]
	global_load_ushort v116, v[4:5], off
	global_load_ushort v117, v[6:7], off
	;; [unrolled: 1-line block ×10, first 2 shown]
	v_mov_b32_e32 v81, 0
	global_load_ushort v82, v[8:9], off
	ds_read_b128 v[4:7], v81 offset:256
	ds_read_b128 v[76:79], v81 offset:272
	s_waitcnt vmcnt(27)
	v_lshlrev_b32_e32 v80, 16, v109
	global_load_ushort v83, v[10:11], off
	global_load_ushort v86, v[14:15], off
	ds_read_b128 v[8:11], v81 offset:288
	ds_read_b128 v[12:15], v81 offset:304
	s_waitcnt lgkmcnt(3)
	v_fmac_f32_e32 v108, v4, v80
	s_waitcnt vmcnt(27)
	v_lshlrev_b32_e32 v4, 16, v106
	v_fmac_f32_e32 v108, v5, v4
	s_waitcnt vmcnt(25)
	v_lshlrev_b32_e32 v4, 16, v107
	;; [unrolled: 3-line block ×4, first 2 shown]
	s_waitcnt lgkmcnt(2)
	v_fmac_f32_e32 v108, v76, v4
	s_waitcnt vmcnt(20)
	v_lshlrev_b32_e32 v4, 16, v105
	v_fmac_f32_e32 v108, v77, v4
	v_lshlrev_b32_e32 v4, 16, v111
	v_fmac_f32_e32 v108, v78, v4
	;; [unrolled: 2-line block ×3, first 2 shown]
	v_lshlrev_b32_e32 v4, 16, v98
	s_waitcnt lgkmcnt(1)
	v_fmac_f32_e32 v108, v8, v4
	s_waitcnt vmcnt(19)
	v_lshlrev_b32_e32 v4, 16, v99
	v_fmac_f32_e32 v108, v9, v4
	s_waitcnt vmcnt(18)
	v_lshlrev_b32_e32 v4, 16, v113
	;; [unrolled: 3-line block ×3, first 2 shown]
	global_load_ushort v16, v[16:17], off
	v_fmac_f32_e32 v108, v11, v4
	s_waitcnt vmcnt(17)
	v_lshlrev_b32_e32 v4, 16, v89
	s_waitcnt lgkmcnt(0)
	v_fmac_f32_e32 v108, v12, v4
	global_load_ushort v12, v[52:53], off
	global_load_ushort v17, v[18:19], off
	s_waitcnt vmcnt(18)
	v_lshlrev_b32_e32 v4, 16, v84
	v_fmac_f32_e32 v108, v13, v4
	global_load_ushort v13, v[56:57], off
	global_load_ushort v18, v[20:21], off
	;; [unrolled: 1-line block ×3, first 2 shown]
	s_waitcnt vmcnt(20)
	v_lshlrev_b32_e32 v4, 16, v85
	v_fmac_f32_e32 v108, v14, v4
	global_load_ushort v14, v[60:61], off
	global_load_ushort v20, v[24:25], off
	;; [unrolled: 1-line block ×5, first 2 shown]
	s_waitcnt vmcnt(24)
	v_lshlrev_b32_e32 v4, 16, v114
	v_fmac_f32_e32 v108, v15, v4
	global_load_ushort v15, v[64:65], off
	global_load_ushort v24, v[32:33], off
	;; [unrolled: 1-line block ×15, first 2 shown]
	ds_read_b128 v[4:7], v81 offset:320
	ds_read_b128 v[8:11], v81 offset:336
	v_lshlrev_b32_e32 v37, 16, v115
	global_load_ushort v39, v[72:73], off
	s_waitcnt lgkmcnt(1)
	v_fmac_f32_e32 v108, v4, v37
	global_load_ushort v37, v[68:69], off
	global_load_ushort v40, v[70:71], off
	;; [unrolled: 1-line block ×7, first 2 shown]
	s_waitcnt vmcnt(46)
	v_lshlrev_b32_e32 v4, 16, v116
	v_fmac_f32_e32 v108, v5, v4
	s_waitcnt vmcnt(45)
	v_lshlrev_b32_e32 v4, 16, v117
	v_fmac_f32_e32 v108, v6, v4
	s_waitcnt vmcnt(37)
	v_lshlrev_b32_e32 v4, 16, v125
	v_fmac_f32_e32 v108, v7, v4
	s_waitcnt vmcnt(36)
	v_lshlrev_b32_e32 v4, 16, v82
	s_waitcnt lgkmcnt(0)
	v_fmac_f32_e32 v108, v8, v4
	s_waitcnt vmcnt(35)
	v_lshlrev_b32_e32 v4, 16, v83
	v_fmac_f32_e32 v108, v9, v4
	s_waitcnt vmcnt(34)
	v_lshlrev_b32_e32 v4, 16, v86
	v_fmac_f32_e32 v108, v10, v4
	ds_read_b128 v[4:7], v81 offset:352
	s_waitcnt vmcnt(33)
	v_lshlrev_b32_e32 v8, 16, v16
	v_fmac_f32_e32 v108, v11, v8
	ds_read_b128 v[8:11], v81 offset:368
	s_waitcnt vmcnt(31)
	v_lshlrev_b32_e32 v16, 16, v17
	s_waitcnt lgkmcnt(1)
	v_fmac_f32_e32 v108, v4, v16
	s_waitcnt vmcnt(29)
	v_lshlrev_b32_e32 v4, 16, v18
	v_fmac_f32_e32 v108, v5, v4
	s_waitcnt vmcnt(28)
	v_lshlrev_b32_e32 v4, 16, v19
	v_fmac_f32_e32 v108, v6, v4
	s_waitcnt vmcnt(26)
	v_lshlrev_b32_e32 v4, 16, v20
	v_fmac_f32_e32 v108, v7, v4
	s_waitcnt vmcnt(25)
	v_lshlrev_b32_e32 v4, 16, v21
	s_waitcnt lgkmcnt(0)
	v_fmac_f32_e32 v108, v8, v4
	s_waitcnt vmcnt(24)
	v_lshlrev_b32_e32 v4, 16, v22
	v_fmac_f32_e32 v108, v9, v4
	s_waitcnt vmcnt(23)
	v_lshlrev_b32_e32 v4, 16, v23
	v_fmac_f32_e32 v108, v10, v4
	ds_read_b128 v[4:7], v81 offset:384
	s_waitcnt vmcnt(21)
	v_lshlrev_b32_e32 v8, 16, v24
	v_fmac_f32_e32 v108, v11, v8
	ds_read_b128 v[8:11], v81 offset:400
	s_waitcnt vmcnt(20)
	v_lshlrev_b32_e32 v16, 16, v25
	s_waitcnt lgkmcnt(1)
	v_fmac_f32_e32 v108, v4, v16
	;; [unrolled: 28-line block ×3, first 2 shown]
	v_lshlrev_b32_e32 v4, 16, v12
	v_fmac_f32_e32 v108, v5, v4
	s_waitcnt vmcnt(11)
	v_lshlrev_b32_e32 v4, 16, v34
	v_fmac_f32_e32 v108, v6, v4
	v_lshlrev_b32_e32 v4, 16, v13
	v_fmac_f32_e32 v108, v7, v4
	s_waitcnt vmcnt(10)
	v_lshlrev_b32_e32 v4, 16, v35
	s_waitcnt lgkmcnt(0)
	v_fmac_f32_e32 v108, v8, v4
	v_lshlrev_b32_e32 v4, 16, v14
	v_fmac_f32_e32 v108, v9, v4
	s_waitcnt vmcnt(9)
	v_lshlrev_b32_e32 v4, 16, v36
	v_fmac_f32_e32 v108, v10, v4
	ds_read_b128 v[4:7], v81 offset:448
	v_lshlrev_b32_e32 v8, 16, v15
	v_fmac_f32_e32 v108, v11, v8
	ds_read_b128 v[8:11], v81 offset:464
	s_waitcnt vmcnt(8)
	v_lshlrev_b32_e32 v12, 16, v38
	s_waitcnt lgkmcnt(1)
	v_fmac_f32_e32 v108, v4, v12
	s_waitcnt vmcnt(6)
	v_lshlrev_b32_e32 v4, 16, v37
	v_fmac_f32_e32 v108, v5, v4
	v_lshlrev_b32_e32 v4, 16, v39
	v_fmac_f32_e32 v108, v6, v4
	s_waitcnt vmcnt(5)
	v_lshlrev_b32_e32 v4, 16, v40
	v_fmac_f32_e32 v108, v7, v4
	s_waitcnt vmcnt(3)
	v_lshlrev_b32_e32 v5, 16, v42
	v_lshlrev_b32_e32 v4, 16, v41
	s_waitcnt lgkmcnt(0)
	v_pk_mul_f32 v[4:5], v[8:9], v[4:5]
	v_lshlrev_b32_e32 v13, 16, v118
	v_add_f32_e32 v4, v108, v4
	v_add_f32_e32 v6, v4, v5
	s_waitcnt vmcnt(1)
	v_lshlrev_b32_e32 v5, 16, v44
	v_lshlrev_b32_e32 v4, 16, v43
	v_pk_mul_f32 v[8:9], v[10:11], v[4:5]
	s_waitcnt vmcnt(0)
	v_lshlrev_b32_e32 v12, 16, v45
	v_add_f32_e32 v8, v6, v8
	ds_read_b128 v[4:7], v81 offset:480
	v_add_f32_e32 v14, v8, v9
	ds_read_b128 v[8:11], v81 offset:496
	s_waitcnt lgkmcnt(1)
	v_pk_mul_f32 v[4:5], v[4:5], v[12:13]
	s_nop 0
	v_add_f32_e32 v4, v14, v4
	v_add_f32_e32 v12, v4, v5
	v_lshlrev_b32_e32 v5, 16, v120
	v_lshlrev_b32_e32 v4, 16, v119
	v_pk_mul_f32 v[4:5], v[6:7], v[4:5]
	s_nop 0
	v_add_f32_e32 v4, v12, v4
	v_add_f32_e32 v6, v4, v5
	v_lshlrev_b32_e32 v5, 16, v122
	v_lshlrev_b32_e32 v4, 16, v121
	s_waitcnt lgkmcnt(0)
	v_pk_mul_f32 v[4:5], v[8:9], v[4:5]
	s_nop 0
	v_add_f32_e32 v4, v6, v4
	v_add_f32_e32 v6, v4, v5
	v_lshlrev_b32_e32 v5, 16, v124
	v_lshlrev_b32_e32 v4, 16, v123
	v_pk_mul_f32 v[4:5], v[10:11], v[4:5]
	s_nop 0
	v_add_f32_e32 v4, v6, v4
	v_add_f32_e32 v108, v4, v5
.LBB594_17:
	s_load_dwordx2 s[4:5], s[0:1], 0x38
	s_cmp_lt_i32 s30, 0x8001
	s_cbranch_scc1 .LBB594_19
; %bb.18:
	s_cmp_lt_i32 s30, 0x8101
	s_cselect_b32 s8, s6, 0x4080
	s_ashr_i32 s9, s8, 31
	s_cmp_lt_i32 s30, 0x8201
	v_lshl_add_u64 v[106:107], s[8:9], 1, v[2:3]
	s_cselect_b32 s8, s6, 0x4100
	s_ashr_i32 s9, s8, 31
	s_cmp_lt_i32 s30, 0x8301
	v_lshl_add_u64 v[90:91], s[8:9], 1, v[2:3]
	;; [unrolled: 4-line block ×36, first 2 shown]
	s_cselect_b32 s8, s6, 0x5280
	s_ashr_i32 s9, s8, 31
	s_mov_b32 s7, 0x8000
	s_cmp_lt_i32 s30, 0xa601
	v_add_co_u32_e32 v70, vcc, s7, v2
	v_lshl_add_u64 v[44:45], s[8:9], 1, v[2:3]
	s_cselect_b32 s8, s6, 0x5300
	v_addc_co_u32_e32 v71, vcc, 0, v3, vcc
	s_ashr_i32 s9, s8, 31
	global_load_ushort v109, v[70:71], off
	global_load_ushort v115, v[76:77], off
	s_cmp_lt_i32 s30, 0xa701
	global_load_ushort v106, v[106:107], off
	v_lshl_add_u64 v[46:47], s[8:9], 1, v[2:3]
	global_load_ushort v111, v[102:103], off
	s_cselect_b32 s8, s6, 0x5380
	global_load_ushort v107, v[90:91], off
	global_load_ushort v110, v[92:93], off
	s_ashr_i32 s9, s8, 31
	global_load_ushort v104, v[104:105], off
	s_cmp_lt_i32 s30, 0xa801
	global_load_ushort v105, v[100:101], off
	v_lshl_add_u64 v[48:49], s[8:9], 1, v[2:3]
	s_cselect_b32 s8, s6, 0x5400
	s_ashr_i32 s9, s8, 31
	s_cmp_lt_i32 s30, 0xa901
	global_load_ushort v112, v[96:97], off
	v_lshl_add_u64 v[50:51], s[8:9], 1, v[2:3]
	global_load_ushort v98, v[98:99], off
	s_cselect_b32 s8, s6, 0x5480
	s_ashr_i32 s9, s8, 31
	global_load_ushort v99, v[94:95], off
	s_cmp_lt_i32 s30, 0xaa01
	global_load_ushort v113, v[86:87], off
	v_lshl_add_u64 v[52:53], s[8:9], 1, v[2:3]
	global_load_ushort v88, v[88:89], off
	s_cselect_b32 s8, s6, 0x5500
	s_ashr_i32 s9, s8, 31
	s_cmp_lt_i32 s30, 0xab01
	v_lshl_add_u64 v[54:55], s[8:9], 1, v[2:3]
	s_cselect_b32 s8, s6, 0x5580
	s_ashr_i32 s9, s8, 31
	s_cmp_lt_i32 s30, 0xac01
	v_lshl_add_u64 v[56:57], s[8:9], 1, v[2:3]
	s_cselect_b32 s8, s6, 0x5600
	s_ashr_i32 s9, s8, 31
	s_cmp_lt_i32 s30, 0xad01
	v_lshl_add_u64 v[58:59], s[8:9], 1, v[2:3]
	s_cselect_b32 s8, s6, 0x5680
	s_ashr_i32 s9, s8, 31
	s_cmp_lt_i32 s30, 0xae01
	v_lshl_add_u64 v[60:61], s[8:9], 1, v[2:3]
	s_cselect_b32 s8, s6, 0x5700
	s_ashr_i32 s9, s8, 31
	s_cmp_lt_i32 s30, 0xaf01
	v_lshl_add_u64 v[62:63], s[8:9], 1, v[2:3]
	s_cselect_b32 s8, s6, 0x5780
	s_ashr_i32 s9, s8, 31
	s_cmp_lt_i32 s30, 0xb001
	v_lshl_add_u64 v[64:65], s[8:9], 1, v[2:3]
	s_cselect_b32 s8, s6, 0x5800
	s_ashr_i32 s9, s8, 31
	s_cmp_lt_i32 s30, 0xb101
	v_lshl_add_u64 v[66:67], s[8:9], 1, v[2:3]
	s_cselect_b32 s8, s6, 0x5880
	s_ashr_i32 s9, s8, 31
	s_cmp_lt_i32 s30, 0xb201
	v_lshl_add_u64 v[68:69], s[8:9], 1, v[2:3]
	s_cselect_b32 s8, s6, 0x5900
	global_load_ushort v89, v[82:83], off
	s_ashr_i32 s9, s8, 31
	global_load_ushort v84, v[84:85], off
	s_cmp_lt_i32 s30, 0xb301
	global_load_ushort v85, v[80:81], off
	global_load_ushort v114, v[78:79], off
	v_lshl_add_u64 v[72:73], s[8:9], 1, v[2:3]
	s_cselect_b32 s8, s6, 0x5980
	s_ashr_i32 s9, s8, 31
	s_cmp_lt_i32 s30, 0xb401
	v_lshl_add_u64 v[70:71], s[8:9], 1, v[2:3]
	s_cselect_b32 s8, s6, 0x5a00
	s_ashr_i32 s9, s8, 31
	s_cmp_lt_i32 s30, 0xb501
	;; [unrolled: 4-line block ×12, first 2 shown]
	s_cselect_b32 s6, s6, 0x5f80
	s_ashr_i32 s7, s6, 31
	v_lshl_add_u64 v[78:79], s[8:9], 1, v[2:3]
	v_lshl_add_u64 v[2:3], s[6:7], 1, v[2:3]
	global_load_ushort v116, v[4:5], off
	global_load_ushort v117, v[6:7], off
	;; [unrolled: 1-line block ×10, first 2 shown]
	v_mov_b32_e32 v81, 0
	global_load_ushort v82, v[10:11], off
	ds_read_b128 v[2:5], v81 offset:512
	ds_read_b128 v[6:9], v81 offset:528
	s_waitcnt vmcnt(27)
	v_lshlrev_b32_e32 v80, 16, v109
	global_load_ushort v83, v[12:13], off
	global_load_ushort v86, v[14:15], off
	ds_read_b128 v[10:13], v81 offset:544
	ds_read_b128 v[76:79], v81 offset:560
	s_waitcnt lgkmcnt(0)
	v_fmac_f32_e32 v108, v2, v80
	s_waitcnt vmcnt(27)
	v_lshlrev_b32_e32 v2, 16, v106
	v_fmac_f32_e32 v108, v3, v2
	s_waitcnt vmcnt(25)
	v_lshlrev_b32_e32 v2, 16, v107
	;; [unrolled: 3-line block ×5, first 2 shown]
	v_fmac_f32_e32 v108, v7, v2
	v_lshlrev_b32_e32 v2, 16, v111
	v_fmac_f32_e32 v108, v8, v2
	s_waitcnt vmcnt(21)
	v_lshlrev_b32_e32 v2, 16, v112
	v_fmac_f32_e32 v108, v9, v2
	s_waitcnt vmcnt(20)
	v_lshlrev_b32_e32 v2, 16, v98
	global_load_ushort v14, v[16:17], off
	global_load_ushort v15, v[18:19], off
	v_fmac_f32_e32 v108, v10, v2
	global_load_ushort v10, v[40:41], off
	s_waitcnt vmcnt(22)
	v_lshlrev_b32_e32 v2, 16, v99
	v_fmac_f32_e32 v108, v11, v2
	s_waitcnt vmcnt(21)
	v_lshlrev_b32_e32 v2, 16, v113
	v_fmac_f32_e32 v108, v12, v2
	global_load_ushort v12, v[48:49], off
	global_load_ushort v16, v[20:21], off
	;; [unrolled: 1-line block ×6, first 2 shown]
	s_waitcnt vmcnt(26)
	v_lshlrev_b32_e32 v2, 16, v88
	v_fmac_f32_e32 v108, v13, v2
	global_load_ushort v13, v[50:51], off
	global_load_ushort v20, v[28:29], off
	global_load_ushort v21, v[30:31], off
	global_load_ushort v22, v[32:33], off
	global_load_ushort v23, v[34:35], off
	global_load_ushort v24, v[36:37], off
	global_load_ushort v25, v[38:39], off
	global_load_ushort v26, v[42:43], off
	global_load_ushort v27, v[46:47], off
	global_load_ushort v28, v[52:53], off
	global_load_ushort v29, v[54:55], off
	global_load_ushort v30, v[56:57], off
	global_load_ushort v31, v[58:59], off
	global_load_ushort v32, v[60:61], off
	global_load_ushort v33, v[62:63], off
	global_load_ushort v34, v[64:65], off
	global_load_ushort v36, v[66:67], off
	s_waitcnt vmcnt(42)
	v_lshlrev_b32_e32 v2, 16, v89
	v_fmac_f32_e32 v108, v76, v2
	s_waitcnt vmcnt(41)
	v_lshlrev_b32_e32 v2, 16, v84
	v_fmac_f32_e32 v108, v77, v2
	;; [unrolled: 3-line block ×4, first 2 shown]
	ds_read_b128 v[2:5], v81 offset:576
	ds_read_b128 v[6:9], v81 offset:592
	v_lshlrev_b32_e32 v35, 16, v115
	global_load_ushort v37, v[72:73], off
	s_waitcnt lgkmcnt(1)
	v_fmac_f32_e32 v108, v2, v35
	global_load_ushort v35, v[68:69], off
	global_load_ushort v38, v[70:71], off
	;; [unrolled: 1-line block ×7, first 2 shown]
	s_waitcnt vmcnt(46)
	v_lshlrev_b32_e32 v2, 16, v116
	v_fmac_f32_e32 v108, v3, v2
	s_waitcnt vmcnt(45)
	v_lshlrev_b32_e32 v2, 16, v117
	v_fmac_f32_e32 v108, v4, v2
	;; [unrolled: 3-line block ×3, first 2 shown]
	s_waitcnt vmcnt(36)
	v_lshlrev_b32_e32 v2, 16, v82
	s_waitcnt lgkmcnt(0)
	v_fmac_f32_e32 v108, v6, v2
	s_waitcnt vmcnt(35)
	v_lshlrev_b32_e32 v2, 16, v83
	v_fmac_f32_e32 v108, v7, v2
	s_waitcnt vmcnt(34)
	v_lshlrev_b32_e32 v2, 16, v86
	v_fmac_f32_e32 v108, v8, v2
	ds_read_b128 v[2:5], v81 offset:608
	s_waitcnt vmcnt(33)
	v_lshlrev_b32_e32 v6, 16, v14
	v_fmac_f32_e32 v108, v9, v6
	ds_read_b128 v[6:9], v81 offset:624
	s_waitcnt vmcnt(32)
	v_lshlrev_b32_e32 v14, 16, v15
	s_waitcnt lgkmcnt(1)
	v_fmac_f32_e32 v108, v2, v14
	s_waitcnt vmcnt(29)
	v_lshlrev_b32_e32 v2, 16, v16
	v_fmac_f32_e32 v108, v3, v2
	s_waitcnt vmcnt(28)
	v_lshlrev_b32_e32 v2, 16, v17
	;; [unrolled: 3-line block ×4, first 2 shown]
	s_waitcnt lgkmcnt(0)
	v_fmac_f32_e32 v108, v6, v2
	s_waitcnt vmcnt(23)
	v_lshlrev_b32_e32 v2, 16, v20
	v_fmac_f32_e32 v108, v7, v2
	s_waitcnt vmcnt(22)
	v_lshlrev_b32_e32 v2, 16, v21
	v_fmac_f32_e32 v108, v8, v2
	ds_read_b128 v[2:5], v81 offset:640
	s_waitcnt vmcnt(21)
	v_lshlrev_b32_e32 v6, 16, v22
	v_fmac_f32_e32 v108, v9, v6
	ds_read_b128 v[6:9], v81 offset:656
	s_waitcnt vmcnt(20)
	v_lshlrev_b32_e32 v14, 16, v23
	s_waitcnt lgkmcnt(1)
	v_fmac_f32_e32 v108, v2, v14
	s_waitcnt vmcnt(19)
	v_lshlrev_b32_e32 v2, 16, v24
	v_fmac_f32_e32 v108, v3, v2
	s_waitcnt vmcnt(18)
	v_lshlrev_b32_e32 v2, 16, v25
	v_fmac_f32_e32 v108, v4, v2
	v_lshlrev_b32_e32 v2, 16, v10
	v_fmac_f32_e32 v108, v5, v2
	s_waitcnt vmcnt(17)
	v_lshlrev_b32_e32 v2, 16, v26
	s_waitcnt lgkmcnt(0)
	v_fmac_f32_e32 v108, v6, v2
	v_lshlrev_b32_e32 v2, 16, v11
	v_fmac_f32_e32 v108, v7, v2
	s_waitcnt vmcnt(16)
	v_lshlrev_b32_e32 v2, 16, v27
	v_fmac_f32_e32 v108, v8, v2
	ds_read_b128 v[2:5], v81 offset:672
	v_lshlrev_b32_e32 v6, 16, v12
	v_fmac_f32_e32 v108, v9, v6
	ds_read_b128 v[6:9], v81 offset:688
	v_lshlrev_b32_e32 v10, 16, v13
	s_waitcnt lgkmcnt(1)
	v_fmac_f32_e32 v108, v2, v10
	s_waitcnt vmcnt(15)
	v_lshlrev_b32_e32 v2, 16, v28
	v_fmac_f32_e32 v108, v3, v2
	s_waitcnt vmcnt(14)
	v_lshlrev_b32_e32 v2, 16, v29
	;; [unrolled: 3-line block ×4, first 2 shown]
	s_waitcnt lgkmcnt(0)
	v_fmac_f32_e32 v108, v6, v2
	s_waitcnt vmcnt(11)
	v_lshlrev_b32_e32 v2, 16, v32
	v_fmac_f32_e32 v108, v7, v2
	s_waitcnt vmcnt(10)
	v_lshlrev_b32_e32 v2, 16, v33
	v_fmac_f32_e32 v108, v8, v2
	ds_read_b128 v[2:5], v81 offset:704
	s_waitcnt vmcnt(9)
	v_lshlrev_b32_e32 v6, 16, v34
	v_fmac_f32_e32 v108, v9, v6
	ds_read_b128 v[6:9], v81 offset:720
	s_waitcnt vmcnt(8)
	v_lshlrev_b32_e32 v10, 16, v36
	s_waitcnt lgkmcnt(1)
	v_fmac_f32_e32 v108, v2, v10
	s_waitcnt vmcnt(6)
	v_lshlrev_b32_e32 v2, 16, v35
	v_fmac_f32_e32 v108, v3, v2
	v_lshlrev_b32_e32 v2, 16, v37
	v_fmac_f32_e32 v108, v4, v2
	s_waitcnt vmcnt(5)
	v_lshlrev_b32_e32 v2, 16, v38
	v_fmac_f32_e32 v108, v5, v2
	s_waitcnt vmcnt(3)
	v_lshlrev_b32_e32 v3, 16, v40
	v_lshlrev_b32_e32 v2, 16, v39
	s_waitcnt lgkmcnt(0)
	v_pk_mul_f32 v[2:3], v[6:7], v[2:3]
	v_lshlrev_b32_e32 v11, 16, v118
	v_add_f32_e32 v2, v108, v2
	v_add_f32_e32 v4, v2, v3
	s_waitcnt vmcnt(1)
	v_lshlrev_b32_e32 v3, 16, v42
	v_lshlrev_b32_e32 v2, 16, v41
	v_pk_mul_f32 v[6:7], v[8:9], v[2:3]
	s_waitcnt vmcnt(0)
	v_lshlrev_b32_e32 v10, 16, v43
	v_add_f32_e32 v6, v4, v6
	ds_read_b128 v[2:5], v81 offset:736
	v_add_f32_e32 v12, v6, v7
	ds_read_b128 v[6:9], v81 offset:752
	s_waitcnt lgkmcnt(1)
	v_pk_mul_f32 v[2:3], v[2:3], v[10:11]
	s_nop 0
	v_add_f32_e32 v2, v12, v2
	v_add_f32_e32 v10, v2, v3
	v_lshlrev_b32_e32 v3, 16, v120
	v_lshlrev_b32_e32 v2, 16, v119
	v_pk_mul_f32 v[2:3], v[4:5], v[2:3]
	s_nop 0
	v_add_f32_e32 v2, v10, v2
	v_add_f32_e32 v4, v2, v3
	v_lshlrev_b32_e32 v3, 16, v122
	v_lshlrev_b32_e32 v2, 16, v121
	s_waitcnt lgkmcnt(0)
	v_pk_mul_f32 v[2:3], v[6:7], v[2:3]
	s_nop 0
	v_add_f32_e32 v2, v4, v2
	v_add_f32_e32 v4, v2, v3
	v_lshlrev_b32_e32 v3, 16, v124
	v_lshlrev_b32_e32 v2, 16, v123
	v_pk_mul_f32 v[2:3], v[8:9], v[2:3]
	s_nop 0
	v_add_f32_e32 v2, v4, v2
	v_add_f32_e32 v108, v2, v3
.LBB594_19:
	v_mov_b32_e32 v2, 0
	s_load_dwordx2 s[0:1], s[0:1], 0x0
	ds_read_b32 v2, v2 offset:768
	s_waitcnt lgkmcnt(0)
	s_cmp_eq_u64 s[4:5], 0
	s_cbranch_scc1 .LBB594_24
; %bb.20:
	s_load_dword s6, s[4:5], 0x0
	s_waitcnt lgkmcnt(0)
	v_div_scale_f32 v3, s[4:5], s6, s6, 1.0
	v_rcp_f32_e32 v4, v3
	v_div_scale_f32 v5, vcc, 1.0, s6, 1.0
	v_fma_f32 v6, -v3, v4, 1.0
	v_fmac_f32_e32 v4, v6, v4
	v_mul_f32_e32 v6, v5, v4
	v_fma_f32 v7, -v3, v6, v5
	v_fmac_f32_e32 v6, v7, v4
	v_fma_f32 v3, -v3, v6, v5
	v_div_fmas_f32 v3, v3, v4, v6
	v_div_fixup_f32 v3, v3, s6, 1.0
	s_andn2_b64 vcc, exec, s[22:23]
	s_cbranch_vccnz .LBB594_22
.LBB594_21:
	s_add_u32 s4, s20, s24
	s_addc_u32 s5, s21, s25
	s_load_dword s10, s[4:5], 0x0
	s_mov_b32 s11, 0
.LBB594_22:
	v_add_f32_e32 v2, 0x358637bd, v2
	v_div_scale_f32 v4, s[4:5], v2, v2, 1.0
	v_rcp_f32_e32 v5, v4
	v_div_scale_f32 v6, vcc, 1.0, v2, 1.0
	s_mul_i32 s4, s3, s11
	v_fma_f32 v7, -v4, v5, 1.0
	v_fmac_f32_e32 v5, v7, v5
	v_mul_f32_e32 v7, v6, v5
	v_fma_f32 v8, -v4, v7, v6
	v_fmac_f32_e32 v7, v8, v5
	v_fma_f32 v4, -v4, v7, v6
	s_waitcnt lgkmcnt(0)
	s_mul_hi_u32 s5, s3, s10
	v_div_fmas_f32 v4, v4, v5, v7
	s_add_i32 s5, s5, s4
	s_mul_i32 s4, s3, s10
	v_div_fixup_f32 v2, v4, v2, 1.0
	s_lshl_b64 s[4:5], s[4:5], 7
	v_mul_f32_e32 v2, v108, v2
	s_add_u32 s4, s0, s4
	s_mov_b32 s3, 0
	v_mul_f32_e32 v2, v2, v3
	s_addc_u32 s5, s1, s5
	s_lshl_b64 s[0:1], s[2:3], 7
	s_mov_b32 s2, 0x7f800000
	s_mov_b32 s3, 0x43700000
	v_mov_b32_e32 v3, 0xc3700000
	v_med3_f32 v3, v2, s3, v3
	v_cmp_nlg_f32_e64 vcc, |v2|, s2
	s_add_u32 s0, s4, s0
	s_addc_u32 s1, s5, s1
	v_cndmask_b32_e32 v2, v3, v2, vcc
	v_mov_b32_e32 v3, 0
	v_cvt_pk_fp8_f32 v3, v2, v2
	v_lshl_add_u64 v[0:1], s[0:1], 0, v[0:1]
	global_store_byte v[0:1], v3, off
	s_endpgm
.LBB594_23:
	s_mov_b64 s[6:7], 0
	s_branch .LBB594_2
.LBB594_24:
	v_mov_b32_e32 v3, 1.0
	s_andn2_b64 vcc, exec, s[22:23]
	s_cbranch_vccz .LBB594_21
	s_branch .LBB594_22
	.section	.rodata,"a",@progbits
	.p2align	6, 0x0
	.amdhsa_kernel _Z35paged_attention_ll4mi_reduce_kernelI14__hip_bfloat16hLi128ELi128ELi256ELi3EEvPT0_PKfS4_PKT_PKiS9_iS4_
		.amdhsa_group_segment_fixed_size 772
		.amdhsa_private_segment_fixed_size 0
		.amdhsa_kernarg_size 320
		.amdhsa_user_sgpr_count 2
		.amdhsa_user_sgpr_dispatch_ptr 0
		.amdhsa_user_sgpr_queue_ptr 0
		.amdhsa_user_sgpr_kernarg_segment_ptr 1
		.amdhsa_user_sgpr_dispatch_id 0
		.amdhsa_user_sgpr_kernarg_preload_length 0
		.amdhsa_user_sgpr_kernarg_preload_offset 0
		.amdhsa_user_sgpr_private_segment_size 0
		.amdhsa_uses_dynamic_stack 0
		.amdhsa_enable_private_segment 0
		.amdhsa_system_sgpr_workgroup_id_x 1
		.amdhsa_system_sgpr_workgroup_id_y 1
		.amdhsa_system_sgpr_workgroup_id_z 0
		.amdhsa_system_sgpr_workgroup_info 0
		.amdhsa_system_vgpr_workitem_id 0
		.amdhsa_next_free_vgpr 126
		.amdhsa_next_free_sgpr 36
		.amdhsa_accum_offset 128
		.amdhsa_reserve_vcc 1
		.amdhsa_float_round_mode_32 0
		.amdhsa_float_round_mode_16_64 0
		.amdhsa_float_denorm_mode_32 3
		.amdhsa_float_denorm_mode_16_64 3
		.amdhsa_dx10_clamp 1
		.amdhsa_ieee_mode 1
		.amdhsa_fp16_overflow 0
		.amdhsa_tg_split 0
		.amdhsa_exception_fp_ieee_invalid_op 0
		.amdhsa_exception_fp_denorm_src 0
		.amdhsa_exception_fp_ieee_div_zero 0
		.amdhsa_exception_fp_ieee_overflow 0
		.amdhsa_exception_fp_ieee_underflow 0
		.amdhsa_exception_fp_ieee_inexact 0
		.amdhsa_exception_int_div_zero 0
	.end_amdhsa_kernel
	.section	.text._Z35paged_attention_ll4mi_reduce_kernelI14__hip_bfloat16hLi128ELi128ELi256ELi3EEvPT0_PKfS4_PKT_PKiS9_iS4_,"axG",@progbits,_Z35paged_attention_ll4mi_reduce_kernelI14__hip_bfloat16hLi128ELi128ELi256ELi3EEvPT0_PKfS4_PKT_PKiS9_iS4_,comdat
.Lfunc_end594:
	.size	_Z35paged_attention_ll4mi_reduce_kernelI14__hip_bfloat16hLi128ELi128ELi256ELi3EEvPT0_PKfS4_PKT_PKiS9_iS4_, .Lfunc_end594-_Z35paged_attention_ll4mi_reduce_kernelI14__hip_bfloat16hLi128ELi128ELi256ELi3EEvPT0_PKfS4_PKT_PKiS9_iS4_
                                        ; -- End function
	.section	.AMDGPU.csdata,"",@progbits
; Kernel info:
; codeLenInByte = 11416
; NumSgprs: 42
; NumVgprs: 126
; NumAgprs: 0
; TotalNumVgprs: 126
; ScratchSize: 0
; MemoryBound: 0
; FloatMode: 240
; IeeeMode: 1
; LDSByteSize: 772 bytes/workgroup (compile time only)
; SGPRBlocks: 5
; VGPRBlocks: 15
; NumSGPRsForWavesPerEU: 42
; NumVGPRsForWavesPerEU: 126
; AccumOffset: 128
; Occupancy: 4
; WaveLimiterHint : 1
; COMPUTE_PGM_RSRC2:SCRATCH_EN: 0
; COMPUTE_PGM_RSRC2:USER_SGPR: 2
; COMPUTE_PGM_RSRC2:TRAP_HANDLER: 0
; COMPUTE_PGM_RSRC2:TGID_X_EN: 1
; COMPUTE_PGM_RSRC2:TGID_Y_EN: 1
; COMPUTE_PGM_RSRC2:TGID_Z_EN: 0
; COMPUTE_PGM_RSRC2:TIDIG_COMP_CNT: 0
; COMPUTE_PGM_RSRC3_GFX90A:ACCUM_OFFSET: 31
; COMPUTE_PGM_RSRC3_GFX90A:TG_SPLIT: 0
	.section	.text._Z35paged_attention_ll4mi_reduce_kernelI14__hip_bfloat16hLi128ELi128ELi256ELi4EEvPT0_PKfS4_PKT_PKiS9_iS4_,"axG",@progbits,_Z35paged_attention_ll4mi_reduce_kernelI14__hip_bfloat16hLi128ELi128ELi256ELi4EEvPT0_PKfS4_PKT_PKiS9_iS4_,comdat
	.protected	_Z35paged_attention_ll4mi_reduce_kernelI14__hip_bfloat16hLi128ELi128ELi256ELi4EEvPT0_PKfS4_PKT_PKiS9_iS4_ ; -- Begin function _Z35paged_attention_ll4mi_reduce_kernelI14__hip_bfloat16hLi128ELi128ELi256ELi4EEvPT0_PKfS4_PKT_PKiS9_iS4_
	.globl	_Z35paged_attention_ll4mi_reduce_kernelI14__hip_bfloat16hLi128ELi128ELi256ELi4EEvPT0_PKfS4_PKT_PKiS9_iS4_
	.p2align	8
	.type	_Z35paged_attention_ll4mi_reduce_kernelI14__hip_bfloat16hLi128ELi128ELi256ELi4EEvPT0_PKfS4_PKT_PKiS9_iS4_,@function
_Z35paged_attention_ll4mi_reduce_kernelI14__hip_bfloat16hLi128ELi128ELi256ELi4EEvPT0_PKfS4_PKT_PKiS9_iS4_: ; @_Z35paged_attention_ll4mi_reduce_kernelI14__hip_bfloat16hLi128ELi128ELi256ELi4EEvPT0_PKfS4_PKT_PKiS9_iS4_
; %bb.0:
	s_load_dwordx2 s[22:23], s[0:1], 0x28
	s_mov_b32 s20, s3
	s_mov_b64 s[4:5], 0
	s_waitcnt lgkmcnt(0)
	s_cmp_lg_u64 s[22:23], 0
	s_cselect_b64 s[24:25], -1, 0
	s_and_b64 vcc, exec, s[24:25]
	s_cbranch_vccz .LBB595_23
; %bb.1:
	s_add_i32 s6, s20, 1
	s_mov_b32 s7, 0
	s_lshl_b64 s[8:9], s[6:7], 2
	s_add_u32 s8, s22, s8
	s_mov_b32 s21, s7
	s_addc_u32 s9, s23, s9
	s_lshl_b64 s[6:7], s[20:21], 2
	s_add_u32 s6, s22, s6
	s_addc_u32 s7, s23, s7
	s_load_dword s3, s[8:9], 0x0
	s_load_dword s10, s[6:7], 0x0
	s_waitcnt lgkmcnt(0)
	s_sub_i32 s3, s3, s10
	s_cmp_eq_u32 s3, 1
	s_cselect_b64 s[6:7], -1, 0
	s_andn2_b64 vcc, exec, s[4:5]
	s_cbranch_vccnz .LBB595_3
.LBB595_2:
	s_mov_b32 s21, 0
	s_mov_b64 s[6:7], -1
.LBB595_3:
	s_andn2_b64 vcc, exec, s[6:7]
	s_cbranch_vccz .LBB595_5
; %bb.4:
	s_endpgm
.LBB595_5:
	s_load_dwordx4 s[12:15], s[0:1], 0x18
	s_load_dword s8, s[0:1], 0x30
	s_lshl_b64 s[26:27], s[20:21], 2
	v_cmp_lt_u32_e32 vcc, 63, v0
	s_waitcnt lgkmcnt(0)
	s_add_u32 s4, s14, s26
	s_addc_u32 s5, s15, s27
	s_load_dword s34, s[4:5], 0x0
	s_load_dword s3, s[0:1], 0x40
	s_mul_i32 s14, s2, s8
	s_mul_i32 s6, s20, s8
	s_waitcnt lgkmcnt(0)
	s_add_i32 s7, s34, 0xff
	s_ashr_i32 s4, s7, 31
	s_lshr_b32 s4, s4, 24
	s_add_i32 s7, s7, s4
	s_and_saveexec_b64 s[4:5], vcc
	s_xor_b64 s[4:5], exec, s[4:5]
	s_or_saveexec_b64 s[28:29], s[4:5]
	s_ashr_i32 s33, s7, 8
	v_mov_b32_e32 v1, s14
	s_mul_i32 s30, s6, s3
	s_xor_b64 exec, exec, s[28:29]
	s_cbranch_execz .LBB595_9
; %bb.6:
	s_load_dwordx4 s[16:19], s[0:1], 0x8
	s_add_i32 s4, s33, -1
	v_or_b32_e32 v3, 64, v0
	v_mov_b32_e32 v1, s4
	v_cmp_gt_u32_e64 s[8:9], s33, v3
	s_mov_b32 s31, 0
	s_lshl_b64 s[36:37], s[30:31], 2
	v_cndmask_b32_e64 v4, v1, v3, s[8:9]
	v_or_b32_e32 v3, 0x80, v0
	v_cmp_gt_u32_e64 s[4:5], s33, v3
	s_mov_b32 s15, s31
	v_cmp_gt_u32_e64 s[6:7], s33, v0
	v_cndmask_b32_e64 v6, v1, v3, s[4:5]
	v_or_b32_e32 v3, 0xc0, v0
	s_waitcnt lgkmcnt(0)
	s_add_u32 s10, s18, s36
	v_cndmask_b32_e64 v2, v1, v0, s[6:7]
	v_cmp_gt_u32_e32 vcc, s33, v3
	s_addc_u32 s11, s19, s37
	s_lshl_b64 s[18:19], s[14:15], 2
	v_cndmask_b32_e32 v8, v1, v3, vcc
	s_add_u32 s10, s10, s18
	v_ashrrev_i32_e32 v3, 31, v2
	s_addc_u32 s11, s11, s19
	v_lshlrev_b64 v[2:3], 2, v[2:3]
	v_ashrrev_i32_e32 v5, 31, v4
	v_lshl_add_u64 v[10:11], s[10:11], 0, v[2:3]
	v_lshlrev_b64 v[4:5], 2, v[4:5]
	v_ashrrev_i32_e32 v7, 31, v6
	v_lshl_add_u64 v[12:13], s[10:11], 0, v[4:5]
	v_lshlrev_b64 v[6:7], 2, v[6:7]
	v_ashrrev_i32_e32 v9, 31, v8
	global_load_dword v1, v[10:11], off
	global_load_dword v16, v[12:13], off
	v_lshl_add_u64 v[14:15], s[10:11], 0, v[6:7]
	v_lshlrev_b64 v[8:9], 2, v[8:9]
	v_lshl_add_u64 v[10:11], s[10:11], 0, v[8:9]
	global_load_dword v12, v[14:15], off
	global_load_dword v13, v[10:11], off
	v_mbcnt_lo_u32_b32 v10, -1, 0
	v_mbcnt_hi_u32_b32 v10, -1, v10
	v_and_b32_e32 v11, 64, v10
	v_xor_b32_e32 v14, 32, v10
	v_add_u32_e32 v11, 64, v11
	v_cmp_lt_i32_e64 s[10:11], v14, v11
	v_xor_b32_e32 v15, 16, v10
	v_xor_b32_e32 v17, 8, v10
	v_cndmask_b32_e64 v14, v10, v14, s[10:11]
	v_cmp_lt_i32_e64 s[10:11], v15, v11
	v_lshlrev_b32_e32 v14, 2, v14
	v_xor_b32_e32 v18, 4, v10
	v_cndmask_b32_e64 v15, v10, v15, s[10:11]
	s_add_u32 s10, s16, s36
	s_addc_u32 s11, s17, s37
	s_add_u32 s16, s10, s18
	s_addc_u32 s17, s11, s19
	v_lshl_add_u64 v[2:3], s[16:17], 0, v[2:3]
	v_lshl_add_u64 v[4:5], s[16:17], 0, v[4:5]
	global_load_dword v22, v[2:3], off
	global_load_dword v23, v[4:5], off
	v_lshlrev_b32_e32 v15, 2, v15
	v_cmp_lt_i32_e64 s[10:11], v17, v11
	v_xor_b32_e32 v19, 2, v10
	s_mov_b32 s15, 0x3fb8aa3b
	v_cndmask_b32_e64 v4, v10, v17, s[10:11]
	v_lshlrev_b32_e32 v17, 2, v4
	v_cmp_lt_i32_e64 s[10:11], v18, v11
	s_waitcnt vmcnt(5)
	v_max_f32_e32 v21, v1, v1
	s_waitcnt vmcnt(4)
	v_max_f32_e32 v20, v16, v16
	v_max_f32_e32 v20, v21, v20
	v_cndmask_b32_e64 v5, v10, v18, s[10:11]
	v_cmp_lt_i32_e64 s[10:11], v19, v11
	s_waitcnt vmcnt(2)
	v_max3_f32 v20, v20, v12, v13
	ds_bpermute_b32 v21, v14, v20
	v_cndmask_b32_e64 v4, v10, v19, s[10:11]
	v_lshlrev_b32_e32 v18, 2, v5
	v_lshlrev_b32_e32 v19, 2, v4
	v_lshl_add_u64 v[4:5], s[16:17], 0, v[8:9]
	s_waitcnt lgkmcnt(0)
	v_max_f32_e32 v2, v21, v21
	v_max_f32_e32 v2, v20, v2
	ds_bpermute_b32 v3, v15, v2
	s_waitcnt lgkmcnt(0)
	v_max_f32_e32 v3, v3, v3
	v_max_f32_e32 v2, v2, v3
	ds_bpermute_b32 v3, v17, v2
	s_waitcnt lgkmcnt(0)
	v_max_f32_e32 v3, v3, v3
	v_max_f32_e32 v20, v2, v3
	v_lshl_add_u64 v[2:3], s[16:17], 0, v[6:7]
	global_load_dword v6, v[2:3], off
	global_load_dword v7, v[4:5], off
	ds_bpermute_b32 v21, v18, v20
	v_xor_b32_e32 v4, 1, v10
	v_cmp_lt_i32_e64 s[10:11], v4, v11
	s_mov_b32 s16, 0xc2ce8ed0
	s_mov_b32 s17, 0x42b17218
	s_waitcnt lgkmcnt(0)
	v_max_f32_e32 v2, v21, v21
	v_max_f32_e32 v2, v20, v2
	ds_bpermute_b32 v3, v19, v2
	v_cndmask_b32_e64 v4, v10, v4, s[10:11]
	v_lshlrev_b32_e32 v4, 2, v4
	v_mov_b32_e32 v5, 0x7f800000
	s_waitcnt lgkmcnt(0)
	v_max_f32_e32 v3, v3, v3
	v_max_f32_e32 v2, v2, v3
	ds_bpermute_b32 v3, v4, v2
	s_waitcnt lgkmcnt(0)
	v_max_f32_e32 v3, v3, v3
	v_max_f32_e32 v2, v2, v3
	v_sub_f32_e32 v1, v1, v2
	v_sub_f32_e32 v3, v16, v2
	v_mul_f32_e32 v9, 0x3fb8aa3b, v1
	v_sub_f32_e32 v8, v12, v2
	v_mul_f32_e32 v10, 0x3fb8aa3b, v3
	v_fma_f32 v12, v1, s15, -v9
	v_rndne_f32_e32 v16, v9
	v_mul_f32_e32 v11, 0x3fb8aa3b, v8
	v_fma_f32 v20, v3, s15, -v10
	v_rndne_f32_e32 v21, v10
	v_fmac_f32_e32 v12, 0x32a5705f, v1
	v_sub_f32_e32 v9, v9, v16
	v_fma_f32 v24, v8, s15, -v11
	v_rndne_f32_e32 v25, v11
	v_fmac_f32_e32 v20, 0x32a5705f, v3
	v_sub_f32_e32 v10, v10, v21
	v_add_f32_e32 v9, v9, v12
	v_cvt_i32_f32_e32 v16, v16
	v_fmac_f32_e32 v24, 0x32a5705f, v8
	v_sub_f32_e32 v11, v11, v25
	v_add_f32_e32 v10, v10, v20
	v_exp_f32_e32 v9, v9
	v_cvt_i32_f32_e32 v21, v21
	v_add_f32_e32 v11, v11, v24
	v_exp_f32_e32 v10, v10
	v_cvt_i32_f32_e32 v25, v25
	v_exp_f32_e32 v11, v11
	v_ldexp_f32 v9, v9, v16
	v_cmp_ngt_f32_e64 s[10:11], s16, v1
	v_ldexp_f32 v10, v10, v21
	v_ldexp_f32 v11, v11, v25
	v_cndmask_b32_e64 v9, 0, v9, s[10:11]
	v_cmp_ngt_f32_e64 s[10:11], s16, v3
	v_sub_f32_e32 v2, v13, v2
	s_nop 0
	v_cndmask_b32_e64 v10, 0, v10, s[10:11]
	v_cmp_ngt_f32_e64 s[10:11], s16, v8
	s_nop 1
	v_cndmask_b32_e64 v11, 0, v11, s[10:11]
	v_cmp_nlt_f32_e64 s[10:11], s17, v1
	s_nop 1
	v_cndmask_b32_e64 v1, v5, v9, s[10:11]
	v_cmp_nlt_f32_e64 s[10:11], s17, v3
	v_cndmask_b32_e64 v1, 0, v1, s[6:7]
	v_cmp_nlt_f32_e64 s[6:7], s17, v8
	v_cndmask_b32_e64 v3, v5, v10, s[10:11]
	v_mul_f32_e32 v10, 0x3fb8aa3b, v2
	v_fma_f32 v12, v2, s15, -v10
	v_rndne_f32_e32 v13, v10
	v_fmac_f32_e32 v12, 0x32a5705f, v2
	v_sub_f32_e32 v10, v10, v13
	v_add_f32_e32 v10, v10, v12
	v_exp_f32_e32 v10, v10
	v_cvt_i32_f32_e32 v12, v13
	v_cndmask_b32_e64 v8, v5, v11, s[6:7]
	v_cndmask_b32_e64 v8, 0, v8, s[4:5]
	v_cmp_ngt_f32_e64 s[4:5], s16, v2
	v_ldexp_f32 v10, v10, v12
	v_cndmask_b32_e64 v3, 0, v3, s[8:9]
	v_cndmask_b32_e64 v10, 0, v10, s[4:5]
	v_cmp_nlt_f32_e64 s[4:5], s17, v2
	s_waitcnt vmcnt(3)
	v_mul_f32_e32 v1, v22, v1
	s_waitcnt vmcnt(2)
	v_mul_f32_e32 v9, v23, v3
	v_cndmask_b32_e64 v2, v5, v10, s[4:5]
	v_lshlrev_b32_e32 v10, 2, v0
	ds_write2st64_b32 v10, v1, v9 offset1:1
	v_fmac_f32_e32 v1, v23, v3
	v_cndmask_b32_e32 v5, 0, v2, vcc
	s_waitcnt vmcnt(1)
	v_fmac_f32_e32 v1, v6, v8
	s_waitcnt vmcnt(0)
	v_fmac_f32_e32 v1, v7, v5
	ds_bpermute_b32 v2, v14, v1
	v_mul_f32_e32 v3, v6, v8
	v_cmp_eq_u32_e32 vcc, 0, v0
	s_waitcnt lgkmcnt(0)
	v_add_f32_e32 v1, v1, v2
	ds_bpermute_b32 v2, v15, v1
	s_waitcnt lgkmcnt(0)
	v_add_f32_e32 v1, v1, v2
	ds_bpermute_b32 v2, v17, v1
	;; [unrolled: 3-line block ×5, first 2 shown]
	v_mul_f32_e32 v4, v7, v5
	ds_write2st64_b32 v10, v3, v4 offset0:2 offset1:3
	s_and_saveexec_b64 s[4:5], vcc
	s_cbranch_execz .LBB595_8
; %bb.7:
	s_waitcnt lgkmcnt(1)
	v_add_f32_e32 v1, v1, v2
	v_mov_b32_e32 v2, 0
	ds_write_b32 v2, v1 offset:1024
.LBB595_8:
	s_or_b64 exec, exec, s[4:5]
	v_mov_b32_e32 v1, s14
.LBB595_9:
	s_or_b64 exec, exec, s[28:29]
	s_lshl_b32 s4, s30, 7
	s_mov_b32 s5, 0
	s_lshl_b64 s[4:5], s[4:5], 1
	s_add_u32 s4, s12, s4
	s_addc_u32 s5, s13, s5
	s_lshl_b32 s10, s33, 7
	s_waitcnt lgkmcnt(1)
	v_lshlrev_b32_e32 v2, 7, v1
	v_mov_b32_e32 v1, 0
	s_add_i32 s11, s10, 0xffffff80
	v_mov_b32_e32 v3, v1
	s_cmp_lt_i32 s34, 1
	v_lshl_add_u64 v[2:3], v[2:3], 1, s[4:5]
	s_cselect_b32 s4, s11, 0
	v_lshlrev_b32_e32 v4, 1, v0
	v_mov_b32_e32 v5, v1
	s_ashr_i32 s5, s4, 31
	v_lshl_add_u64 v[2:3], v[2:3], 0, v[4:5]
	s_cmpk_lt_i32 s34, 0x101
	v_lshl_add_u64 v[4:5], s[4:5], 1, v[2:3]
	s_cselect_b32 s4, s11, 0x80
	s_ashr_i32 s5, s4, 31
	s_cmpk_lt_i32 s34, 0x201
	v_lshl_add_u64 v[6:7], s[4:5], 1, v[2:3]
	s_cselect_b32 s4, s11, 0x100
	s_ashr_i32 s5, s4, 31
	;; [unrolled: 4-line block ×8, first 2 shown]
	s_cmpk_lt_i32 s34, 0x901
	global_load_ushort v23, v[4:5], off
	global_load_ushort v22, v[6:7], off
	;; [unrolled: 1-line block ×8, first 2 shown]
	v_lshl_add_u64 v[4:5], s[4:5], 1, v[2:3]
	s_cselect_b32 s4, s11, 0x480
	s_ashr_i32 s5, s4, 31
	s_cmpk_lt_i32 s34, 0xa01
	v_lshl_add_u64 v[6:7], s[4:5], 1, v[2:3]
	s_cselect_b32 s4, s11, 0x500
	s_ashr_i32 s5, s4, 31
	s_cmpk_lt_i32 s34, 0xb01
	;; [unrolled: 4-line block ×6, first 2 shown]
	v_lshl_add_u64 v[32:33], s[4:5], 1, v[2:3]
	s_cselect_b32 s4, s11, 0x780
	s_ashr_i32 s5, s4, 31
	v_lshl_add_u64 v[34:35], s[4:5], 1, v[2:3]
	global_load_ushort v30, v[4:5], off
	global_load_ushort v31, v[6:7], off
	;; [unrolled: 1-line block ×8, first 2 shown]
	s_cmpk_gt_i32 s34, 0x1000
	s_cselect_b64 s[8:9], -1, 0
	s_cmpk_lt_i32 s34, 0x1001
	v_mov_b32_e32 v40, 0
	v_mov_b32_e32 v41, 0
	;; [unrolled: 1-line block ×48, first 2 shown]
	s_waitcnt lgkmcnt(0)
	s_barrier
	s_cbranch_scc1 .LBB595_12
; %bb.10:
	s_cmpk_lt_u32 s34, 0x1101
	s_cselect_b32 s4, s11, 0x880
	s_ashr_i32 s5, s4, 31
	s_cmpk_lt_u32 s34, 0x1201
	v_lshl_add_u64 v[6:7], s[4:5], 1, v[2:3]
	s_cselect_b32 s4, s11, 0x900
	s_ashr_i32 s5, s4, 31
	s_cmpk_lt_u32 s34, 0x1301
	v_lshl_add_u64 v[8:9], s[4:5], 1, v[2:3]
	;; [unrolled: 4-line block ×7, first 2 shown]
	s_cselect_b32 s4, s11, 0xc00
	v_add_co_u32_e32 v4, vcc, 0x1000, v2
	s_ashr_i32 s5, s4, 31
	s_nop 0
	v_addc_co_u32_e32 v5, vcc, 0, v3, vcc
	s_cmpk_lt_u32 s34, 0x1901
	global_load_ushort v39, v[4:5], off
	global_load_ushort v38, v[6:7], off
	;; [unrolled: 1-line block ×8, first 2 shown]
	v_lshl_add_u64 v[4:5], s[4:5], 1, v[2:3]
	s_cselect_b32 s4, s11, 0xc80
	s_ashr_i32 s5, s4, 31
	s_cmpk_lt_u32 s34, 0x1a01
	v_lshl_add_u64 v[6:7], s[4:5], 1, v[2:3]
	s_cselect_b32 s4, s11, 0xd00
	s_ashr_i32 s5, s4, 31
	s_cmpk_lt_u32 s34, 0x1b01
	;; [unrolled: 4-line block ×6, first 2 shown]
	v_lshl_add_u64 v[48:49], s[4:5], 1, v[2:3]
	s_cselect_b32 s4, s11, 0xf80
	s_ashr_i32 s5, s4, 31
	v_lshl_add_u64 v[50:51], s[4:5], 1, v[2:3]
	global_load_ushort v47, v[4:5], off
	global_load_ushort v46, v[6:7], off
	;; [unrolled: 1-line block ×8, first 2 shown]
	s_cmpk_lt_u32 s34, 0x2001
	v_mov_b32_e32 v67, 0
	v_mov_b32_e32 v65, 0
	;; [unrolled: 1-line block ×32, first 2 shown]
	s_cbranch_scc1 .LBB595_12
; %bb.11:
	s_cmpk_lt_u32 s34, 0x2101
	s_cselect_b32 s4, s11, 0x1080
	s_ashr_i32 s5, s4, 31
	s_cmpk_lt_u32 s34, 0x2201
	v_lshl_add_u64 v[4:5], s[4:5], 1, v[2:3]
	s_cselect_b32 s4, s11, 0x1100
	s_ashr_i32 s5, s4, 31
	s_cmpk_lt_u32 s34, 0x2301
	v_lshl_add_u64 v[6:7], s[4:5], 1, v[2:3]
	;; [unrolled: 4-line block ×29, first 2 shown]
	s_cselect_b32 s4, s11, 0x1f00
	s_ashr_i32 s5, s4, 31
	v_lshl_add_u64 v[94:95], s[4:5], 1, v[2:3]
	s_movk_i32 s4, 0x2000
	s_cmpk_lt_u32 s34, 0x3f01
	v_add_co_u32_e32 v96, vcc, s4, v2
	s_cselect_b32 s4, s11, 0x1f80
	s_nop 0
	v_addc_co_u32_e32 v97, vcc, 0, v3, vcc
	s_ashr_i32 s5, s4, 31
	global_load_ushort v98, v[96:97], off
	global_load_ushort v99, v[4:5], off
	;; [unrolled: 1-line block ×15, first 2 shown]
                                        ; kill: killed $vgpr48_vgpr49
                                        ; kill: killed $vgpr54_vgpr55
                                        ; kill: killed $vgpr6_vgpr7
                                        ; kill: killed $vgpr60_vgpr61
                                        ; kill: killed $vgpr12_vgpr13
                                        ; kill: killed $vgpr50_vgpr51
                                        ; kill: killed $vgpr56_vgpr57
                                        ; kill: killed $vgpr8_vgpr9
                                        ; kill: killed $vgpr62_vgpr63
                                        ; kill: killed $vgpr14_vgpr15
                                        ; kill: killed $vgpr96 killed $vgpr97
                                        ; kill: killed $vgpr52_vgpr53
                                        ; kill: killed $vgpr4_vgpr5
                                        ; kill: killed $vgpr58_vgpr59
                                        ; kill: killed $vgpr10_vgpr11
	global_load_ushort v6, v[64:65], off
	global_load_ushort v7, v[66:67], off
	;; [unrolled: 1-line block ×15, first 2 shown]
                                        ; kill: killed $vgpr80_vgpr81
                                        ; kill: killed $vgpr64_vgpr65
                                        ; kill: killed $vgpr70_vgpr71
                                        ; kill: killed $vgpr92_vgpr93
                                        ; kill: killed $vgpr76_vgpr77
                                        ; kill: killed $vgpr82_vgpr83
                                        ; kill: killed $vgpr66_vgpr67
                                        ; kill: killed $vgpr88_vgpr89
                                        ; kill: killed $vgpr72_vgpr73
                                        ; kill: killed $vgpr94_vgpr95
                                        ; kill: killed $vgpr78_vgpr79
                                        ; kill: killed $vgpr84_vgpr85
                                        ; kill: killed $vgpr68_vgpr69
                                        ; kill: killed $vgpr90_vgpr91
                                        ; kill: killed $vgpr74_vgpr75
	global_load_ushort v68, v[86:87], off
	v_lshl_add_u64 v[4:5], s[4:5], 1, v[2:3]
	global_load_ushort v5, v[4:5], off
	s_waitcnt vmcnt(31)
	v_lshlrev_b32_e32 v67, 16, v98
	s_waitcnt vmcnt(30)
	v_lshlrev_b32_e32 v65, 16, v99
	;; [unrolled: 2-line block ×32, first 2 shown]
.LBB595_12:
	s_load_dwordx2 s[4:5], s[0:1], 0x0
	s_load_dwordx2 s[6:7], s[0:1], 0x38
	ds_read_b128 v[68:71], v1
	s_waitcnt vmcnt(15)
	v_lshlrev_b32_e32 v23, 16, v23
	ds_read_b128 v[72:75], v1 offset:16
	ds_read_b128 v[76:79], v1 offset:32
	;; [unrolled: 1-line block ×3, first 2 shown]
	s_waitcnt vmcnt(14)
	v_lshlrev_b32_e32 v22, 16, v22
	s_waitcnt vmcnt(13)
	v_lshlrev_b32_e32 v21, 16, v21
	s_waitcnt lgkmcnt(0)
	v_fma_f32 v23, v68, v23, 0
	v_fmac_f32_e32 v23, v69, v22
	v_fmac_f32_e32 v23, v70, v21
	s_waitcnt vmcnt(12)
	v_lshlrev_b32_e32 v20, 16, v20
	s_waitcnt vmcnt(10)
	v_lshlrev_b32_e32 v19, 16, v19
	v_lshlrev_b32_e32 v18, 16, v18
	v_fmac_f32_e32 v23, v71, v20
	v_pk_mul_f32 v[18:19], v[72:73], v[18:19]
	s_waitcnt vmcnt(8)
	v_lshlrev_b32_e32 v17, 16, v17
	v_add_f32_e32 v18, v23, v18
	v_lshlrev_b32_e32 v16, 16, v16
	v_add_f32_e32 v18, v18, v19
	v_pk_mul_f32 v[16:17], v[74:75], v[16:17]
	s_and_b64 vcc, exec, s[8:9]
	v_add_f32_e32 v16, v18, v16
	v_add_f32_e32 v18, v16, v17
	s_waitcnt vmcnt(6)
	v_lshlrev_b32_e32 v17, 16, v31
	v_lshlrev_b32_e32 v16, 16, v30
	v_pk_mul_f32 v[16:17], v[76:77], v[16:17]
	s_nop 0
	v_add_f32_e32 v16, v18, v16
	v_add_f32_e32 v18, v16, v17
	s_waitcnt vmcnt(4)
	v_lshlrev_b32_e32 v17, 16, v29
	v_lshlrev_b32_e32 v16, 16, v28
	v_pk_mul_f32 v[16:17], v[78:79], v[16:17]
	s_nop 0
	;; [unrolled: 7-line block ×4, first 2 shown]
	v_add_f32_e32 v16, v18, v16
	v_add_f32_e32 v110, v16, v17
	s_cbranch_vccz .LBB595_15
; %bb.13:
	ds_read_b128 v[16:19], v1 offset:64
	v_lshlrev_b32_e32 v39, 16, v39
	ds_read_b128 v[20:23], v1 offset:80
	ds_read_b128 v[24:27], v1 offset:96
	;; [unrolled: 1-line block ×3, first 2 shown]
	s_cmpk_lt_u32 s34, 0x2001
	s_waitcnt lgkmcnt(3)
	v_fmac_f32_e32 v110, v16, v39
	v_lshlrev_b32_e32 v16, 16, v38
	v_fmac_f32_e32 v110, v17, v16
	v_lshlrev_b32_e32 v16, 16, v37
	v_fmac_f32_e32 v110, v18, v16
	v_lshlrev_b32_e32 v16, 16, v36
	v_fmac_f32_e32 v110, v19, v16
	v_lshlrev_b32_e32 v16, 16, v35
	s_waitcnt lgkmcnt(2)
	v_fmac_f32_e32 v110, v20, v16
	v_lshlrev_b32_e32 v16, 16, v34
	v_fmac_f32_e32 v110, v21, v16
	v_lshlrev_b32_e32 v16, 16, v33
	v_fmac_f32_e32 v110, v22, v16
	v_lshlrev_b32_e32 v16, 16, v32
	v_fmac_f32_e32 v110, v23, v16
	v_lshlrev_b32_e32 v16, 16, v47
	;; [unrolled: 9-line block ×3, first 2 shown]
	s_waitcnt lgkmcnt(0)
	v_fmac_f32_e32 v110, v28, v16
	v_lshlrev_b32_e32 v16, 16, v42
	v_fmac_f32_e32 v110, v29, v16
	v_lshlrev_b32_e32 v16, 16, v41
	;; [unrolled: 2-line block ×3, first 2 shown]
	v_fmac_f32_e32 v110, v31, v16
	s_cbranch_scc1 .LBB595_15
; %bb.14:
	v_mov_b32_e32 v32, 0
	ds_read_b128 v[16:19], v32 offset:128
	ds_read_b128 v[20:23], v32 offset:144
	;; [unrolled: 1-line block ×4, first 2 shown]
	s_waitcnt lgkmcnt(3)
	v_fmac_f32_e32 v110, v16, v67
	v_fmac_f32_e32 v110, v17, v65
	v_fmac_f32_e32 v110, v18, v66
	v_fmac_f32_e32 v110, v19, v63
	s_waitcnt lgkmcnt(2)
	v_fmac_f32_e32 v110, v20, v64
	v_fmac_f32_e32 v110, v21, v61
	v_fmac_f32_e32 v110, v22, v62
	v_fmac_f32_e32 v110, v23, v59
	;; [unrolled: 5-line block ×3, first 2 shown]
	ds_read_b128 v[16:19], v32 offset:192
	ds_read_b128 v[20:23], v32 offset:208
	s_waitcnt lgkmcnt(2)
	v_fmac_f32_e32 v110, v28, v56
	v_fmac_f32_e32 v110, v29, v53
	;; [unrolled: 1-line block ×4, first 2 shown]
	s_waitcnt lgkmcnt(1)
	v_fmac_f32_e32 v110, v16, v51
	v_fmac_f32_e32 v110, v17, v49
	;; [unrolled: 1-line block ×4, first 2 shown]
	s_waitcnt lgkmcnt(0)
	v_pk_mul_f32 v[14:15], v[20:21], v[14:15]
	v_pk_mul_f32 v[12:13], v[22:23], v[12:13]
	v_add_f32_e32 v14, v110, v14
	v_add_f32_e32 v18, v14, v15
	ds_read_b128 v[14:17], v32 offset:224
	v_add_f32_e32 v12, v18, v12
	ds_read_b128 v[18:21], v32 offset:240
	v_add_f32_e32 v12, v12, v13
	s_waitcnt lgkmcnt(1)
	v_pk_mul_f32 v[10:11], v[14:15], v[10:11]
	s_nop 0
	v_add_f32_e32 v10, v12, v10
	v_add_f32_e32 v10, v10, v11
	v_pk_mul_f32 v[8:9], v[16:17], v[8:9]
	s_waitcnt lgkmcnt(0)
	v_pk_mul_f32 v[6:7], v[18:19], v[6:7]
	v_add_f32_e32 v8, v10, v8
	v_add_f32_e32 v8, v8, v9
	;; [unrolled: 1-line block ×4, first 2 shown]
	v_pk_mul_f32 v[4:5], v[20:21], v[4:5]
	s_nop 0
	v_add_f32_e32 v4, v6, v4
	v_add_f32_e32 v110, v4, v5
.LBB595_15:
	s_movk_i32 s0, 0x3f80
	s_movk_i32 s1, 0x100
	s_mov_b32 s8, 64
	s_branch .LBB595_17
.LBB595_16:                             ;   in Loop: Header=BB595_17 Depth=1
	s_addk_i32 s0, 0x2000
	s_addk_i32 s1, 0x100
	s_add_i32 s8, s8, 64
	s_cmpk_eq_u32 s0, 0x9f80
	s_cbranch_scc1 .LBB595_19
.LBB595_17:                             ; =>This Inner Loop Header: Depth=1
	s_cmp_le_i32 s33, s8
	s_cbranch_scc1 .LBB595_16
; %bb.18:                               ;   in Loop: Header=BB595_17 Depth=1
	s_add_i32 s9, s0, 0xffffe080
	s_cmp_lt_i32 s9, s10
	s_cselect_b32 s12, s9, s11
	s_ashr_i32 s13, s12, 31
	s_add_i32 s9, s0, 0xffffe100
	s_cmp_lt_i32 s9, s10
	v_lshl_add_u64 v[42:43], s[12:13], 1, v[2:3]
	s_cselect_b32 s12, s9, s11
	s_ashr_i32 s13, s12, 31
	s_add_i32 s9, s0, 0xffffe180
	s_cmp_lt_i32 s9, s10
	v_lshl_add_u64 v[4:5], s[12:13], 1, v[2:3]
	;; [unrolled: 5-line block ×21, first 2 shown]
	s_cselect_b32 s12, s9, s11
	s_ashr_i32 s13, s12, 31
	s_add_i32 s9, s0, 0xffffeb80
	s_cmp_lt_i32 s9, s10
	global_load_ushort v111, v[42:43], off
	global_load_ushort v121, v[44:45], off
	v_lshl_add_u64 v[32:33], s[12:13], 1, v[2:3]
	s_cselect_b32 s12, s9, s11
	global_load_ushort v112, v[4:5], off
	global_load_ushort v113, v[6:7], off
	;; [unrolled: 1-line block ×8, first 2 shown]
	s_ashr_i32 s13, s12, 31
	s_add_i32 s9, s0, 0xffffec00
	s_cmp_lt_i32 s9, s10
	v_lshl_add_u64 v[34:35], s[12:13], 1, v[2:3]
	s_cselect_b32 s12, s9, s11
	s_ashr_i32 s13, s12, 31
	s_add_i32 s9, s0, 0xffffec80
	s_cmp_lt_i32 s9, s10
	v_lshl_add_u64 v[48:49], s[12:13], 1, v[2:3]
	s_cselect_b32 s12, s9, s11
	;; [unrolled: 5-line block ×3, first 2 shown]
	global_load_ushort v120, v[28:29], off
	s_ashr_i32 s13, s12, 31
	s_add_i32 s9, s0, 0xffffed80
	s_cmp_lt_i32 s9, s10
	global_load_ushort v122, v[54:55], off
	global_load_ushort v123, v[56:57], off
	v_lshl_add_u64 v[18:19], s[12:13], 1, v[2:3]
	global_load_ushort v58, v[58:59], off
	s_cselect_b32 s12, s9, s11
	s_ashr_i32 s13, s12, 31
	s_add_i32 s9, s0, 0xffffee00
	s_cmp_lt_i32 s9, s10
	v_lshl_add_u64 v[20:21], s[12:13], 1, v[2:3]
	s_cselect_b32 s12, s9, s11
	s_ashr_i32 s13, s12, 31
	s_add_i32 s9, s0, 0xffffee80
	s_cmp_lt_i32 s9, s10
	v_lshl_add_u64 v[38:39], s[12:13], 1, v[2:3]
	;; [unrolled: 5-line block ×3, first 2 shown]
	s_cselect_b32 s12, s9, s11
	global_load_ushort v59, v[60:61], off
	s_ashr_i32 s13, s12, 31
	s_add_i32 s9, s0, 0xffffef80
	global_load_ushort v60, v[66:67], off
	global_load_ushort v61, v[62:63], off
	s_cmp_lt_i32 s9, s10
	v_lshl_add_u64 v[50:51], s[12:13], 1, v[2:3]
	s_cselect_b32 s12, s9, s11
	s_ashr_i32 s13, s12, 31
	s_add_i32 s9, s0, 0xfffff000
	s_cmp_lt_i32 s9, s10
	v_lshl_add_u64 v[52:53], s[12:13], 1, v[2:3]
	s_cselect_b32 s12, s9, s11
	s_ashr_i32 s13, s12, 31
	s_add_i32 s9, s0, 0xfffff080
	;; [unrolled: 5-line block ×3, first 2 shown]
	s_cmp_lt_i32 s9, s10
	v_lshl_add_u64 v[68:69], s[12:13], 1, v[2:3]
	s_cselect_b32 s12, s9, s11
	global_load_ushort v62, v[24:25], off
	s_ashr_i32 s13, s12, 31
	s_add_i32 s9, s0, 0xfffff180
	global_load_ushort v66, v[30:31], off
	global_load_ushort v124, v[32:33], off
	;; [unrolled: 1-line block ×4, first 2 shown]
	s_cmp_lt_i32 s9, s10
	v_lshl_add_u64 v[70:71], s[12:13], 1, v[2:3]
	s_cselect_b32 s12, s9, s11
	global_load_ushort v67, v[46:47], off
	s_ashr_i32 s13, s12, 31
	s_add_i32 s9, s0, 0xfffff200
	s_cmp_lt_i32 s9, s10
	v_lshl_add_u64 v[72:73], s[12:13], 1, v[2:3]
	s_cselect_b32 s12, s9, s11
	s_ashr_i32 s13, s12, 31
	s_add_i32 s9, s0, 0xfffff280
	s_cmp_lt_i32 s9, s10
	v_lshl_add_u64 v[74:75], s[12:13], 1, v[2:3]
	s_cselect_b32 s12, s9, s11
	s_ashr_i32 s13, s12, 31
	s_add_i32 s9, s0, 0xfffff300
	s_cmp_lt_i32 s9, s10
	v_mov_b32_e32 v125, s1
	v_lshl_add_u64 v[76:77], s[12:13], 1, v[2:3]
	s_cselect_b32 s12, s9, s11
	ds_read_b128 v[28:31], v125
	ds_read_b128 v[32:35], v125 offset:16
	global_load_ushort v48, v[48:49], off
	s_ashr_i32 s13, s12, 31
	s_add_i32 s9, s0, 0xfffff380
	s_cmp_lt_i32 s9, s10
	v_lshl_add_u64 v[78:79], s[12:13], 1, v[2:3]
	s_cselect_b32 s12, s9, s11
	ds_read_b128 v[44:47], v125 offset:32
	ds_read_b128 v[54:57], v125 offset:48
	global_load_ushort v36, v[36:37], off
	s_ashr_i32 s13, s12, 31
	v_lshl_add_u64 v[80:81], s[12:13], 1, v[2:3]
	global_load_ushort v49, v[80:81], off
	global_load_ushort v37, v[18:19], off
	s_add_i32 s9, s0, 0xfffff400
	global_load_ushort v38, v[38:39], off
	s_cmp_lt_i32 s9, s10
	s_cselect_b32 s12, s9, s11
	s_ashr_i32 s13, s12, 31
	s_add_i32 s9, s0, 0xfffff480
	s_cmp_lt_i32 s9, s10
	v_lshl_add_u64 v[82:83], s[12:13], 1, v[2:3]
	s_cselect_b32 s12, s9, s11
	s_ashr_i32 s13, s12, 31
	s_add_i32 s9, s0, 0xfffff500
	s_cmp_lt_i32 s9, s10
	v_lshl_add_u64 v[84:85], s[12:13], 1, v[2:3]
	;; [unrolled: 5-line block ×5, first 2 shown]
	s_cselect_b32 s12, s9, s11
	s_ashr_i32 s13, s12, 31
	s_add_i32 s9, s0, 0xfffff700
	s_waitcnt vmcnt(27)
	v_lshlrev_b32_e32 v111, 16, v111
	s_cmp_lt_i32 s9, s10
	s_waitcnt lgkmcnt(3)
	v_fmac_f32_e32 v110, v28, v111
	s_waitcnt vmcnt(25)
	v_lshlrev_b32_e32 v28, 16, v112
	v_lshl_add_u64 v[92:93], s[12:13], 1, v[2:3]
	s_cselect_b32 s12, s9, s11
	v_fmac_f32_e32 v110, v29, v28
	s_waitcnt vmcnt(24)
	v_lshlrev_b32_e32 v28, 16, v113
	s_ashr_i32 s13, s12, 31
	s_add_i32 s9, s0, 0xfffff780
	v_fmac_f32_e32 v110, v30, v28
	s_waitcnt vmcnt(23)
	v_lshlrev_b32_e32 v28, 16, v114
	s_cmp_lt_i32 s9, s10
	v_fmac_f32_e32 v110, v31, v28
	s_waitcnt vmcnt(22)
	v_lshlrev_b32_e32 v18, 16, v115
	v_lshl_add_u64 v[94:95], s[12:13], 1, v[2:3]
	s_cselect_b32 s12, s9, s11
	s_waitcnt lgkmcnt(2)
	v_fmac_f32_e32 v110, v32, v18
	global_load_ushort v32, v[20:21], off
	s_ashr_i32 s13, s12, 31
	s_add_i32 s9, s0, 0xfffff800
	s_waitcnt vmcnt(22)
	v_lshlrev_b32_e32 v18, 16, v116
	s_cmp_lt_i32 s9, s10
	v_fmac_f32_e32 v110, v33, v18
	global_load_ushort v33, v[40:41], off
	s_waitcnt vmcnt(22)
	v_lshlrev_b32_e32 v18, 16, v117
	v_lshl_add_u64 v[96:97], s[12:13], 1, v[2:3]
	s_cselect_b32 s12, s9, s11
	v_fmac_f32_e32 v110, v34, v18
	global_load_ushort v34, v[50:51], off
	s_waitcnt vmcnt(22)
	v_lshlrev_b32_e32 v18, 16, v118
	s_ashr_i32 s13, s12, 31
	s_add_i32 s9, s0, 0xfffff880
	v_fmac_f32_e32 v110, v35, v18
	global_load_ushort v35, v[52:53], off
	global_load_ushort v39, v[64:65], off
	s_waitcnt vmcnt(23)
	v_lshlrev_b32_e32 v18, 16, v119
	s_cmp_lt_i32 s9, s10
	s_waitcnt lgkmcnt(1)
	v_fmac_f32_e32 v110, v44, v18
	global_load_ushort v44, v[72:73], off
	s_waitcnt vmcnt(23)
	v_lshlrev_b32_e32 v18, 16, v120
	v_lshl_add_u64 v[98:99], s[12:13], 1, v[2:3]
	s_cselect_b32 s12, s9, s11
	v_fmac_f32_e32 v110, v45, v18
	v_lshlrev_b32_e32 v18, 16, v121
	s_ashr_i32 s13, s12, 31
	s_add_i32 s9, s0, 0xfffff900
	v_fmac_f32_e32 v110, v46, v18
	global_load_ushort v46, v[76:77], off
	s_waitcnt vmcnt(23)
	v_lshlrev_b32_e32 v18, 16, v122
	s_cmp_lt_i32 s9, s10
	v_fmac_f32_e32 v110, v47, v18
	s_waitcnt vmcnt(22)
	v_lshlrev_b32_e32 v18, 16, v123
	v_lshl_add_u64 v[102:103], s[12:13], 1, v[2:3]
	s_cselect_b32 s12, s9, s11
	s_waitcnt lgkmcnt(0)
	v_fmac_f32_e32 v110, v54, v18
	global_load_ushort v54, v[88:89], off
	global_load_ushort v40, v[68:69], off
	;; [unrolled: 1-line block ×8, first 2 shown]
	s_ashr_i32 s13, s12, 31
	s_add_i32 s9, s0, 0xfffff980
	s_cmp_lt_i32 s9, s10
	v_lshl_add_u64 v[104:105], s[12:13], 1, v[2:3]
	s_cselect_b32 s12, s9, s11
	s_ashr_i32 s13, s12, 31
	s_add_i32 s9, s0, 0xfffffa00
	s_cmp_lt_i32 s9, s10
	v_lshl_add_u64 v[106:107], s[12:13], 1, v[2:3]
	s_cselect_b32 s12, s9, s11
	s_ashr_i32 s13, s12, 31
	s_add_i32 s9, s0, 0xfffffa80
	s_waitcnt vmcnt(29)
	v_lshlrev_b32_e32 v18, 16, v58
	s_cmp_lt_i32 s9, s10
	v_fmac_f32_e32 v110, v55, v18
	global_load_ushort v55, v[90:91], off
	s_waitcnt vmcnt(29)
	v_lshlrev_b32_e32 v18, 16, v59
	v_lshl_add_u64 v[100:101], s[12:13], 1, v[2:3]
	s_cselect_b32 s12, s9, s11
	v_fmac_f32_e32 v110, v56, v18
	s_waitcnt vmcnt(28)
	v_lshlrev_b32_e32 v18, 16, v60
	s_ashr_i32 s13, s12, 31
	s_add_i32 s9, s0, 0xfffffb00
	v_fmac_f32_e32 v110, v57, v18
	ds_read_b128 v[18:21], v125 offset:64
	ds_read_b128 v[28:31], v125 offset:80
	s_cmp_lt_i32 s9, s10
	v_lshl_add_u64 v[42:43], s[12:13], 1, v[2:3]
	s_cselect_b32 s12, s9, s11
	s_ashr_i32 s13, s12, 31
	s_add_i32 s9, s0, 0xfffffb80
	s_cmp_lt_i32 s9, s10
	s_waitcnt vmcnt(27)
	v_lshlrev_b32_e32 v53, 16, v61
	v_lshl_add_u64 v[108:109], s[12:13], 1, v[2:3]
	s_cselect_b32 s12, s9, s11
	s_waitcnt lgkmcnt(1)
	v_fmac_f32_e32 v110, v18, v53
	global_load_ushort v53, v[92:93], off
	global_load_ushort v56, v[94:95], off
	;; [unrolled: 1-line block ×6, first 2 shown]
	s_ashr_i32 s13, s12, 31
	s_add_i32 s9, s0, 0xfffffc00
	s_cmp_lt_i32 s9, s10
	v_lshl_add_u64 v[4:5], s[12:13], 1, v[2:3]
	s_cselect_b32 s12, s9, s11
	s_ashr_i32 s13, s12, 31
	s_add_i32 s9, s0, 0xfffffc80
	s_cmp_lt_i32 s9, s10
	s_waitcnt vmcnt(32)
	v_lshlrev_b32_e32 v18, 16, v62
	v_lshl_add_u64 v[6:7], s[12:13], 1, v[2:3]
	s_cselect_b32 s12, s9, s11
	v_fmac_f32_e32 v110, v19, v18
	s_waitcnt vmcnt(28)
	v_lshlrev_b32_e32 v18, 16, v63
	s_ashr_i32 s13, s12, 31
	s_add_i32 s9, s0, 0xfffffd00
	v_fmac_f32_e32 v110, v20, v18
	v_lshlrev_b32_e32 v18, 16, v66
	s_cmp_lt_i32 s9, s10
	v_fmac_f32_e32 v110, v21, v18
	s_waitcnt vmcnt(27)
	v_lshlrev_b32_e32 v18, 16, v67
	v_lshl_add_u64 v[8:9], s[12:13], 1, v[2:3]
	s_cselect_b32 s12, s9, s11
	s_waitcnt lgkmcnt(0)
	v_fmac_f32_e32 v110, v28, v18
	global_load_ushort v28, v[106:107], off
	s_ashr_i32 s13, s12, 31
	s_add_i32 s9, s0, 0xfffffd80
	s_cmp_lt_i32 s9, s10
	global_load_ushort v61, v[100:101], off
	global_load_ushort v62, v[42:43], off
	;; [unrolled: 1-line block ×3, first 2 shown]
	v_lshl_add_u64 v[12:13], s[12:13], 1, v[2:3]
	s_cselect_b32 s12, s9, s11
	v_lshlrev_b32_e32 v18, 16, v124
	s_ashr_i32 s13, s12, 31
	s_add_i32 s9, s0, 0xfffffe00
	v_fmac_f32_e32 v110, v29, v18
	v_lshlrev_b32_e32 v18, 16, v126
	s_cmp_lt_i32 s9, s10
	v_fmac_f32_e32 v110, v30, v18
	global_load_ushort v29, v[4:5], off
	global_load_ushort v30, v[6:7], off
	v_lshl_add_u64 v[10:11], s[12:13], 1, v[2:3]
	s_cselect_b32 s12, s9, s11
	s_ashr_i32 s13, s12, 31
	s_add_i32 s9, s0, 0xfffffe80
	s_cmp_lt_i32 s9, s10
	s_waitcnt vmcnt(32)
	v_lshlrev_b32_e32 v4, 16, v48
	v_lshl_add_u64 v[22:23], s[12:13], 1, v[2:3]
	s_cselect_b32 s12, s9, s11
	v_fmac_f32_e32 v110, v31, v4
	ds_read_b128 v[4:7], v125 offset:96
	s_ashr_i32 s13, s12, 31
	s_add_i32 s9, s0, 0xffffff00
	s_cmp_lt_i32 s9, s10
	s_waitcnt vmcnt(31)
	v_lshlrev_b32_e32 v31, 16, v36
	global_load_ushort v36, v[8:9], off
	global_load_ushort v42, v[12:13], off
	v_lshl_add_u64 v[14:15], s[12:13], 1, v[2:3]
	s_cselect_b32 s12, s9, s11
	s_ashr_i32 s13, s12, 31
	s_add_i32 s9, s0, 0xffffff80
	s_cmp_lt_i32 s9, s10
	ds_read_b128 v[18:21], v125 offset:112
	s_waitcnt lgkmcnt(1)
	v_fmac_f32_e32 v110, v4, v31
	s_waitcnt vmcnt(31)
	v_lshlrev_b32_e32 v4, 16, v37
	global_load_ushort v31, v[10:11], off
	global_load_ushort v37, v[22:23], off
	v_lshl_add_u64 v[24:25], s[12:13], 1, v[2:3]
	s_cselect_b32 s12, s9, s11
	s_ashr_i32 s13, s12, 31
	s_cmp_lt_i32 s0, s10
	global_load_ushort v22, v[14:15], off
	global_load_ushort v23, v[24:25], off
	v_lshl_add_u64 v[16:17], s[12:13], 1, v[2:3]
	s_cselect_b32 s12, s0, s11
	s_ashr_i32 s13, s12, 31
	v_lshl_add_u64 v[26:27], s[12:13], 1, v[2:3]
	global_load_ushort v14, v[16:17], off
	global_load_ushort v15, v[26:27], off
	v_fmac_f32_e32 v110, v5, v4
	s_waitcnt vmcnt(35)
	v_lshlrev_b32_e32 v4, 16, v32
	v_fmac_f32_e32 v110, v6, v4
	v_lshlrev_b32_e32 v4, 16, v38
	v_fmac_f32_e32 v110, v7, v4
	s_waitcnt vmcnt(34)
	v_lshlrev_b32_e32 v4, 16, v33
	s_waitcnt lgkmcnt(0)
	v_fmac_f32_e32 v110, v18, v4
	s_waitcnt vmcnt(33)
	v_lshlrev_b32_e32 v4, 16, v34
	v_fmac_f32_e32 v110, v19, v4
	s_waitcnt vmcnt(32)
	v_lshlrev_b32_e32 v4, 16, v35
	v_fmac_f32_e32 v110, v20, v4
	ds_read_b128 v[4:7], v125 offset:128
	s_waitcnt vmcnt(31)
	v_lshlrev_b32_e32 v8, 16, v39
	v_fmac_f32_e32 v110, v21, v8
	ds_read_b128 v[8:11], v125 offset:144
	s_waitcnt vmcnt(27)
	v_lshlrev_b32_e32 v12, 16, v40
	s_waitcnt lgkmcnt(1)
	v_fmac_f32_e32 v110, v4, v12
	s_waitcnt vmcnt(26)
	v_lshlrev_b32_e32 v4, 16, v41
	v_fmac_f32_e32 v110, v5, v4
	v_lshlrev_b32_e32 v4, 16, v44
	v_fmac_f32_e32 v110, v6, v4
	s_waitcnt vmcnt(25)
	v_lshlrev_b32_e32 v4, 16, v45
	v_fmac_f32_e32 v110, v7, v4
	v_lshlrev_b32_e32 v4, 16, v46
	s_waitcnt lgkmcnt(0)
	v_fmac_f32_e32 v110, v8, v4
	s_waitcnt vmcnt(24)
	v_lshlrev_b32_e32 v4, 16, v47
	v_fmac_f32_e32 v110, v9, v4
	v_lshlrev_b32_e32 v4, 16, v49
	v_fmac_f32_e32 v110, v10, v4
	ds_read_b128 v[4:7], v125 offset:160
	s_waitcnt vmcnt(23)
	v_lshlrev_b32_e32 v8, 16, v50
	v_fmac_f32_e32 v110, v11, v8
	ds_read_b128 v[8:11], v125 offset:176
	s_waitcnt vmcnt(22)
	v_lshlrev_b32_e32 v12, 16, v51
	s_waitcnt lgkmcnt(1)
	v_fmac_f32_e32 v110, v4, v12
	s_waitcnt vmcnt(21)
	v_lshlrev_b32_e32 v4, 16, v52
	v_fmac_f32_e32 v110, v5, v4
	v_lshlrev_b32_e32 v4, 16, v54
	v_fmac_f32_e32 v110, v6, v4
	s_waitcnt vmcnt(20)
	v_lshlrev_b32_e32 v4, 16, v55
	v_fmac_f32_e32 v110, v7, v4
	s_waitcnt vmcnt(19)
	v_lshlrev_b32_e32 v4, 16, v53
	s_waitcnt lgkmcnt(0)
	v_fmac_f32_e32 v110, v8, v4
	s_waitcnt vmcnt(18)
	v_lshlrev_b32_e32 v4, 16, v56
	v_fmac_f32_e32 v110, v9, v4
	s_waitcnt vmcnt(17)
	v_lshlrev_b32_e32 v4, 16, v57
	v_fmac_f32_e32 v110, v10, v4
	ds_read_b128 v[4:7], v125 offset:192
	s_waitcnt vmcnt(16)
	v_lshlrev_b32_e32 v8, 16, v58
	v_fmac_f32_e32 v110, v11, v8
	ds_read_b128 v[8:11], v125 offset:208
	s_waitcnt vmcnt(15)
	v_lshlrev_b32_e32 v12, 16, v59
	s_waitcnt lgkmcnt(1)
	v_fmac_f32_e32 v110, v4, v12
	s_waitcnt vmcnt(14)
	v_lshlrev_b32_e32 v4, 16, v60
	v_fmac_f32_e32 v110, v5, v4
	s_waitcnt vmcnt(13)
	v_lshlrev_b32_e32 v4, 16, v28
	;; [unrolled: 3-line block ×4, first 2 shown]
	v_lshlrev_b32_e32 v4, 16, v62
	s_waitcnt lgkmcnt(0)
	v_pk_mul_f32 v[4:5], v[8:9], v[4:5]
	s_waitcnt vmcnt(6)
	v_lshlrev_b32_e32 v13, 16, v42
	v_add_f32_e32 v4, v110, v4
	v_add_f32_e32 v6, v4, v5
	v_lshlrev_b32_e32 v5, 16, v30
	v_lshlrev_b32_e32 v4, 16, v29
	v_pk_mul_f32 v[8:9], v[10:11], v[4:5]
	v_lshlrev_b32_e32 v12, 16, v36
	v_add_f32_e32 v8, v6, v8
	ds_read_b128 v[4:7], v125 offset:224
	v_add_f32_e32 v16, v8, v9
	ds_read_b128 v[8:11], v125 offset:240
	s_waitcnt lgkmcnt(1)
	v_pk_mul_f32 v[4:5], v[4:5], v[12:13]
	s_nop 0
	v_add_f32_e32 v4, v16, v4
	v_add_f32_e32 v12, v4, v5
	s_waitcnt vmcnt(4)
	v_lshlrev_b32_e32 v5, 16, v37
	v_lshlrev_b32_e32 v4, 16, v31
	v_pk_mul_f32 v[4:5], v[6:7], v[4:5]
	s_nop 0
	v_add_f32_e32 v4, v12, v4
	v_add_f32_e32 v6, v4, v5
	s_waitcnt vmcnt(2)
	v_lshlrev_b32_e32 v5, 16, v23
	v_lshlrev_b32_e32 v4, 16, v22
	s_waitcnt lgkmcnt(0)
	v_pk_mul_f32 v[4:5], v[8:9], v[4:5]
	s_nop 0
	v_add_f32_e32 v4, v6, v4
	v_add_f32_e32 v6, v4, v5
	s_waitcnt vmcnt(1)
	v_lshlrev_b32_e32 v4, 16, v14
	s_waitcnt vmcnt(0)
	v_lshlrev_b32_e32 v5, 16, v15
	v_pk_mul_f32 v[4:5], v[10:11], v[4:5]
	s_nop 0
	v_add_f32_e32 v4, v6, v4
	v_add_f32_e32 v110, v4, v5
	s_branch .LBB595_16
.LBB595_19:
	v_mov_b32_e32 v2, 0
	ds_read_b32 v2, v2 offset:1024
	s_cmp_lg_u64 s[6:7], 0
	s_cbranch_scc0 .LBB595_24
; %bb.20:
	s_load_dword s6, s[6:7], 0x0
	s_waitcnt lgkmcnt(0)
	v_div_scale_f32 v3, s[0:1], s6, s6, 1.0
	v_rcp_f32_e32 v4, v3
	v_div_scale_f32 v5, vcc, 1.0, s6, 1.0
	v_fma_f32 v6, -v3, v4, 1.0
	v_fmac_f32_e32 v4, v6, v4
	v_mul_f32_e32 v6, v5, v4
	v_fma_f32 v7, -v3, v6, v5
	v_fmac_f32_e32 v6, v7, v4
	v_fma_f32 v3, -v3, v6, v5
	v_div_fmas_f32 v3, v3, v4, v6
	v_div_fixup_f32 v3, v3, s6, 1.0
	s_andn2_b64 vcc, exec, s[24:25]
	s_cbranch_vccnz .LBB595_22
.LBB595_21:
	s_add_u32 s0, s22, s26
	s_addc_u32 s1, s23, s27
	s_load_dword s20, s[0:1], 0x0
	s_mov_b32 s21, 0
.LBB595_22:
	s_waitcnt lgkmcnt(0)
	v_add_f32_e32 v2, 0x358637bd, v2
	v_div_scale_f32 v4, s[0:1], v2, v2, 1.0
	v_rcp_f32_e32 v5, v4
	v_div_scale_f32 v6, vcc, 1.0, v2, 1.0
	s_mul_i32 s0, s3, s21
	v_fma_f32 v7, -v4, v5, 1.0
	v_fmac_f32_e32 v5, v7, v5
	v_mul_f32_e32 v7, v6, v5
	v_fma_f32 v8, -v4, v7, v6
	v_fmac_f32_e32 v7, v8, v5
	v_fma_f32 v4, -v4, v7, v6
	s_mul_hi_u32 s1, s3, s20
	v_div_fmas_f32 v4, v4, v5, v7
	s_add_i32 s1, s1, s0
	s_mul_i32 s0, s3, s20
	v_div_fixup_f32 v2, v4, v2, 1.0
	s_lshl_b64 s[0:1], s[0:1], 7
	v_mul_f32_e32 v2, v110, v2
	s_add_u32 s4, s4, s0
	s_mov_b32 s3, 0
	v_mul_f32_e32 v2, v2, v3
	s_addc_u32 s5, s5, s1
	s_lshl_b64 s[0:1], s[2:3], 7
	s_mov_b32 s2, 0x7f800000
	s_mov_b32 s3, 0x43700000
	v_mov_b32_e32 v3, 0xc3700000
	v_med3_f32 v3, v2, s3, v3
	v_cmp_nlg_f32_e64 vcc, |v2|, s2
	s_add_u32 s0, s4, s0
	s_addc_u32 s1, s5, s1
	v_cndmask_b32_e32 v2, v3, v2, vcc
	v_mov_b32_e32 v3, 0
	v_cvt_pk_fp8_f32 v3, v2, v2
	v_lshl_add_u64 v[0:1], s[0:1], 0, v[0:1]
	global_store_byte v[0:1], v3, off
	s_endpgm
.LBB595_23:
	s_mov_b64 s[6:7], 0
	s_branch .LBB595_2
.LBB595_24:
	v_mov_b32_e32 v3, 1.0
	s_andn2_b64 vcc, exec, s[24:25]
	s_cbranch_vccz .LBB595_21
	s_branch .LBB595_22
	.section	.rodata,"a",@progbits
	.p2align	6, 0x0
	.amdhsa_kernel _Z35paged_attention_ll4mi_reduce_kernelI14__hip_bfloat16hLi128ELi128ELi256ELi4EEvPT0_PKfS4_PKT_PKiS9_iS4_
		.amdhsa_group_segment_fixed_size 1028
		.amdhsa_private_segment_fixed_size 0
		.amdhsa_kernarg_size 320
		.amdhsa_user_sgpr_count 2
		.amdhsa_user_sgpr_dispatch_ptr 0
		.amdhsa_user_sgpr_queue_ptr 0
		.amdhsa_user_sgpr_kernarg_segment_ptr 1
		.amdhsa_user_sgpr_dispatch_id 0
		.amdhsa_user_sgpr_kernarg_preload_length 0
		.amdhsa_user_sgpr_kernarg_preload_offset 0
		.amdhsa_user_sgpr_private_segment_size 0
		.amdhsa_uses_dynamic_stack 0
		.amdhsa_enable_private_segment 0
		.amdhsa_system_sgpr_workgroup_id_x 1
		.amdhsa_system_sgpr_workgroup_id_y 1
		.amdhsa_system_sgpr_workgroup_id_z 0
		.amdhsa_system_sgpr_workgroup_info 0
		.amdhsa_system_vgpr_workitem_id 0
		.amdhsa_next_free_vgpr 127
		.amdhsa_next_free_sgpr 38
		.amdhsa_accum_offset 128
		.amdhsa_reserve_vcc 1
		.amdhsa_float_round_mode_32 0
		.amdhsa_float_round_mode_16_64 0
		.amdhsa_float_denorm_mode_32 3
		.amdhsa_float_denorm_mode_16_64 3
		.amdhsa_dx10_clamp 1
		.amdhsa_ieee_mode 1
		.amdhsa_fp16_overflow 0
		.amdhsa_tg_split 0
		.amdhsa_exception_fp_ieee_invalid_op 0
		.amdhsa_exception_fp_denorm_src 0
		.amdhsa_exception_fp_ieee_div_zero 0
		.amdhsa_exception_fp_ieee_overflow 0
		.amdhsa_exception_fp_ieee_underflow 0
		.amdhsa_exception_fp_ieee_inexact 0
		.amdhsa_exception_int_div_zero 0
	.end_amdhsa_kernel
	.section	.text._Z35paged_attention_ll4mi_reduce_kernelI14__hip_bfloat16hLi128ELi128ELi256ELi4EEvPT0_PKfS4_PKT_PKiS9_iS4_,"axG",@progbits,_Z35paged_attention_ll4mi_reduce_kernelI14__hip_bfloat16hLi128ELi128ELi256ELi4EEvPT0_PKfS4_PKT_PKiS9_iS4_,comdat
.Lfunc_end595:
	.size	_Z35paged_attention_ll4mi_reduce_kernelI14__hip_bfloat16hLi128ELi128ELi256ELi4EEvPT0_PKfS4_PKT_PKiS9_iS4_, .Lfunc_end595-_Z35paged_attention_ll4mi_reduce_kernelI14__hip_bfloat16hLi128ELi128ELi256ELi4EEvPT0_PKfS4_PKT_PKiS9_iS4_
                                        ; -- End function
	.section	.AMDGPU.csdata,"",@progbits
; Kernel info:
; codeLenInByte = 8660
; NumSgprs: 44
; NumVgprs: 127
; NumAgprs: 0
; TotalNumVgprs: 127
; ScratchSize: 0
; MemoryBound: 0
; FloatMode: 240
; IeeeMode: 1
; LDSByteSize: 1028 bytes/workgroup (compile time only)
; SGPRBlocks: 5
; VGPRBlocks: 15
; NumSGPRsForWavesPerEU: 44
; NumVGPRsForWavesPerEU: 127
; AccumOffset: 128
; Occupancy: 4
; WaveLimiterHint : 1
; COMPUTE_PGM_RSRC2:SCRATCH_EN: 0
; COMPUTE_PGM_RSRC2:USER_SGPR: 2
; COMPUTE_PGM_RSRC2:TRAP_HANDLER: 0
; COMPUTE_PGM_RSRC2:TGID_X_EN: 1
; COMPUTE_PGM_RSRC2:TGID_Y_EN: 1
; COMPUTE_PGM_RSRC2:TGID_Z_EN: 0
; COMPUTE_PGM_RSRC2:TIDIG_COMP_CNT: 0
; COMPUTE_PGM_RSRC3_GFX90A:ACCUM_OFFSET: 31
; COMPUTE_PGM_RSRC3_GFX90A:TG_SPLIT: 0
	.section	.text._Z35paged_attention_ll4mi_reduce_kernelI14__hip_bfloat16hLi128ELi128ELi256ELi5EEvPT0_PKfS4_PKT_PKiS9_iS4_,"axG",@progbits,_Z35paged_attention_ll4mi_reduce_kernelI14__hip_bfloat16hLi128ELi128ELi256ELi5EEvPT0_PKfS4_PKT_PKiS9_iS4_,comdat
	.protected	_Z35paged_attention_ll4mi_reduce_kernelI14__hip_bfloat16hLi128ELi128ELi256ELi5EEvPT0_PKfS4_PKT_PKiS9_iS4_ ; -- Begin function _Z35paged_attention_ll4mi_reduce_kernelI14__hip_bfloat16hLi128ELi128ELi256ELi5EEvPT0_PKfS4_PKT_PKiS9_iS4_
	.globl	_Z35paged_attention_ll4mi_reduce_kernelI14__hip_bfloat16hLi128ELi128ELi256ELi5EEvPT0_PKfS4_PKT_PKiS9_iS4_
	.p2align	8
	.type	_Z35paged_attention_ll4mi_reduce_kernelI14__hip_bfloat16hLi128ELi128ELi256ELi5EEvPT0_PKfS4_PKT_PKiS9_iS4_,@function
_Z35paged_attention_ll4mi_reduce_kernelI14__hip_bfloat16hLi128ELi128ELi256ELi5EEvPT0_PKfS4_PKT_PKiS9_iS4_: ; @_Z35paged_attention_ll4mi_reduce_kernelI14__hip_bfloat16hLi128ELi128ELi256ELi5EEvPT0_PKfS4_PKT_PKiS9_iS4_
; %bb.0:
	s_load_dwordx2 s[24:25], s[0:1], 0x28
	s_mov_b32 s14, s3
	s_mov_b64 s[4:5], 0
	s_waitcnt lgkmcnt(0)
	s_cmp_lg_u64 s[24:25], 0
	s_cselect_b64 s[26:27], -1, 0
	s_and_b64 vcc, exec, s[26:27]
	s_cbranch_vccz .LBB596_23
; %bb.1:
	s_add_i32 s6, s14, 1
	s_mov_b32 s7, 0
	s_lshl_b64 s[8:9], s[6:7], 2
	s_add_u32 s8, s24, s8
	s_mov_b32 s15, s7
	s_addc_u32 s9, s25, s9
	s_lshl_b64 s[6:7], s[14:15], 2
	s_add_u32 s6, s24, s6
	s_addc_u32 s7, s25, s7
	s_load_dword s3, s[8:9], 0x0
	s_load_dword s10, s[6:7], 0x0
	s_waitcnt lgkmcnt(0)
	s_sub_i32 s3, s3, s10
	s_cmp_eq_u32 s3, 1
	s_cselect_b64 s[6:7], -1, 0
	s_andn2_b64 vcc, exec, s[4:5]
	s_cbranch_vccnz .LBB596_3
.LBB596_2:
	s_mov_b32 s15, 0
	s_mov_b64 s[6:7], -1
.LBB596_3:
	s_andn2_b64 vcc, exec, s[6:7]
	s_cbranch_vccz .LBB596_5
; %bb.4:
	s_endpgm
.LBB596_5:
	s_load_dwordx4 s[16:19], s[0:1], 0x18
	s_load_dword s8, s[0:1], 0x30
	s_lshl_b64 s[28:29], s[14:15], 2
	v_cmp_lt_u32_e32 vcc, 63, v0
	s_waitcnt lgkmcnt(0)
	s_add_u32 s4, s18, s28
	s_addc_u32 s5, s19, s29
	s_load_dword s38, s[4:5], 0x0
	s_load_dword s3, s[0:1], 0x40
	s_mul_i32 s18, s2, s8
	s_mul_i32 s6, s14, s8
	s_waitcnt lgkmcnt(0)
	s_add_i32 s7, s38, 0xff
	s_ashr_i32 s4, s7, 31
	s_lshr_b32 s4, s4, 24
	s_add_i32 s7, s7, s4
	s_and_saveexec_b64 s[4:5], vcc
	s_xor_b64 s[4:5], exec, s[4:5]
	s_or_saveexec_b64 s[30:31], s[4:5]
	s_ashr_i32 s33, s7, 8
	v_mov_b32_e32 v1, s18
	s_mul_i32 s34, s6, s3
	s_xor_b64 exec, exec, s[30:31]
	s_cbranch_execz .LBB596_9
; %bb.6:
	s_add_i32 s4, s33, -1
	v_or_b32_e32 v3, 64, v0
	s_load_dwordx4 s[20:23], s[0:1], 0x8
	v_mov_b32_e32 v1, s4
	v_cmp_gt_u32_e64 s[8:9], s33, v3
	s_mov_b32 s35, 0
	s_lshl_b64 s[36:37], s[34:35], 2
	v_cndmask_b32_e64 v4, v1, v3, s[8:9]
	v_or_b32_e32 v3, 0x80, v0
	v_cmp_gt_u32_e64 s[6:7], s33, v3
	s_mov_b32 s19, s35
	v_cmp_gt_u32_e64 s[10:11], s33, v0
	v_cndmask_b32_e64 v6, v1, v3, s[6:7]
	v_or_b32_e32 v3, 0xc0, v0
	v_cmp_gt_u32_e64 s[4:5], s33, v3
	s_waitcnt lgkmcnt(0)
	s_add_u32 s12, s22, s36
	v_cndmask_b32_e64 v2, v1, v0, s[10:11]
	v_cndmask_b32_e64 v8, v1, v3, s[4:5]
	v_or_b32_e32 v3, 0x100, v0
	v_cmp_gt_u32_e32 vcc, s33, v3
	s_addc_u32 s13, s23, s37
	s_lshl_b64 s[22:23], s[18:19], 2
	v_cndmask_b32_e32 v10, v1, v3, vcc
	s_add_u32 s12, s12, s22
	v_ashrrev_i32_e32 v3, 31, v2
	s_addc_u32 s13, s13, s23
	v_lshlrev_b64 v[2:3], 2, v[2:3]
	v_ashrrev_i32_e32 v5, 31, v4
	v_ashrrev_i32_e32 v7, 31, v6
	;; [unrolled: 1-line block ×4, first 2 shown]
	v_lshl_add_u64 v[12:13], s[12:13], 0, v[2:3]
	v_lshlrev_b64 v[4:5], 2, v[4:5]
	v_lshlrev_b64 v[6:7], 2, v[6:7]
	v_lshlrev_b64 v[8:9], 2, v[8:9]
	v_lshlrev_b64 v[10:11], 2, v[10:11]
	v_lshl_add_u64 v[14:15], s[12:13], 0, v[4:5]
	v_lshl_add_u64 v[16:17], s[12:13], 0, v[6:7]
	;; [unrolled: 1-line block ×4, first 2 shown]
	global_load_dword v1, v[12:13], off
	global_load_dword v22, v[14:15], off
	;; [unrolled: 1-line block ×5, first 2 shown]
	v_mbcnt_lo_u32_b32 v12, -1, 0
	v_mbcnt_hi_u32_b32 v12, -1, v12
	v_and_b32_e32 v14, 64, v12
	v_xor_b32_e32 v15, 32, v12
	v_add_u32_e32 v14, 64, v14
	v_cmp_lt_i32_e64 s[12:13], v15, v14
	v_xor_b32_e32 v16, 16, v12
	v_xor_b32_e32 v17, 8, v12
	v_cndmask_b32_e64 v15, v12, v15, s[12:13]
	s_add_u32 s12, s20, s36
	s_addc_u32 s13, s21, s37
	s_add_u32 s20, s12, s22
	s_addc_u32 s21, s13, s23
	v_lshl_add_u64 v[2:3], s[20:21], 0, v[2:3]
	global_load_dword v18, v[2:3], off
	v_lshlrev_b32_e32 v15, 2, v15
	v_cmp_lt_i32_e64 s[12:13], v16, v14
	s_mov_b32 s19, 0x3fb8aa3b
	s_mov_b32 s35, 0xc2ce8ed0
	v_cndmask_b32_e64 v16, v12, v16, s[12:13]
	v_lshlrev_b32_e32 v16, 2, v16
	v_cmp_lt_i32_e64 s[12:13], v17, v14
	s_mov_b32 s39, 0x42b17218
	v_mov_b32_e32 v13, 0x7f800000
	s_waitcnt vmcnt(3)
	v_max3_f32 v2, v1, v22, v23
	s_waitcnt vmcnt(1)
	v_max3_f32 v19, v2, v24, v25
	ds_bpermute_b32 v20, v15, v19
	v_lshl_add_u64 v[2:3], s[20:21], 0, v[4:5]
	global_load_dword v21, v[2:3], off
	v_cndmask_b32_e64 v5, v12, v17, s[12:13]
	v_lshlrev_b32_e32 v17, 2, v5
	s_waitcnt lgkmcnt(0)
	v_max_f32_e32 v2, v20, v20
	v_max_f32_e32 v2, v19, v2
	ds_bpermute_b32 v3, v16, v2
	v_xor_b32_e32 v4, 4, v12
	v_cmp_lt_i32_e64 s[12:13], v4, v14
	v_xor_b32_e32 v5, 2, v12
	s_waitcnt lgkmcnt(0)
	v_max_f32_e32 v3, v3, v3
	v_max_f32_e32 v2, v2, v3
	ds_bpermute_b32 v3, v17, v2
	v_cndmask_b32_e64 v4, v12, v4, s[12:13]
	v_lshlrev_b32_e32 v19, 2, v4
	v_cmp_lt_i32_e64 s[12:13], v5, v14
	v_xor_b32_e32 v4, 1, v12
	s_waitcnt lgkmcnt(0)
	v_max_f32_e32 v3, v3, v3
	v_max_f32_e32 v2, v2, v3
	ds_bpermute_b32 v3, v19, v2
	v_cndmask_b32_e64 v5, v12, v5, s[12:13]
	v_lshlrev_b32_e32 v20, 2, v5
	v_cmp_lt_i32_e64 s[12:13], v4, v14
	s_waitcnt lgkmcnt(0)
	v_max_f32_e32 v3, v3, v3
	v_max_f32_e32 v26, v2, v3
	ds_bpermute_b32 v27, v20, v26
	v_cndmask_b32_e64 v2, v12, v4, s[12:13]
	v_lshlrev_b32_e32 v12, 2, v2
	v_lshl_add_u64 v[2:3], s[20:21], 0, v[6:7]
	v_lshl_add_u64 v[4:5], s[20:21], 0, v[8:9]
	s_waitcnt lgkmcnt(0)
	v_max_f32_e32 v6, v27, v27
	v_max_f32_e32 v8, v26, v6
	v_lshl_add_u64 v[6:7], s[20:21], 0, v[10:11]
	global_load_dword v10, v[2:3], off
	global_load_dword v11, v[4:5], off
	;; [unrolled: 1-line block ×3, first 2 shown]
	ds_bpermute_b32 v9, v12, v8
	s_waitcnt lgkmcnt(0)
	v_max_f32_e32 v2, v9, v9
	v_max_f32_e32 v2, v8, v2
	v_sub_f32_e32 v1, v1, v2
	v_sub_f32_e32 v3, v22, v2
	v_mul_f32_e32 v5, 0x3fb8aa3b, v1
	v_mul_f32_e32 v6, 0x3fb8aa3b, v3
	v_fma_f32 v8, v1, s19, -v5
	v_rndne_f32_e32 v9, v5
	v_sub_f32_e32 v4, v23, v2
	v_fma_f32 v22, v3, s19, -v6
	v_rndne_f32_e32 v23, v6
	v_fmac_f32_e32 v8, 0x32a5705f, v1
	v_sub_f32_e32 v5, v5, v9
	v_fmac_f32_e32 v22, 0x32a5705f, v3
	v_sub_f32_e32 v6, v6, v23
	v_add_f32_e32 v5, v5, v8
	v_cvt_i32_f32_e32 v9, v9
	v_add_f32_e32 v6, v6, v22
	v_exp_f32_e32 v5, v5
	v_mul_f32_e32 v7, 0x3fb8aa3b, v4
	v_cvt_i32_f32_e32 v23, v23
	v_exp_f32_e32 v6, v6
	v_fma_f32 v26, v4, s19, -v7
	v_rndne_f32_e32 v27, v7
	v_fmac_f32_e32 v26, 0x32a5705f, v4
	v_sub_f32_e32 v7, v7, v27
	v_add_f32_e32 v7, v7, v26
	v_ldexp_f32 v5, v5, v9
	v_cmp_ngt_f32_e64 s[12:13], s35, v1
	v_cvt_i32_f32_e32 v27, v27
	v_exp_f32_e32 v7, v7
	v_ldexp_f32 v6, v6, v23
	v_cndmask_b32_e64 v5, 0, v5, s[12:13]
	v_cmp_ngt_f32_e64 s[12:13], s35, v3
	s_nop 1
	v_cndmask_b32_e64 v6, 0, v6, s[12:13]
	v_cmp_nlt_f32_e64 s[12:13], s39, v1
	s_nop 1
	v_cndmask_b32_e64 v1, v13, v5, s[12:13]
	v_cndmask_b32_e64 v1, 0, v1, s[10:11]
	v_cmp_nlt_f32_e64 s[10:11], s39, v3
	s_waitcnt vmcnt(4)
	v_mul_f32_e32 v1, v18, v1
	v_cndmask_b32_e64 v3, v13, v6, s[10:11]
	v_ldexp_f32 v6, v7, v27
	v_sub_f32_e32 v7, v24, v2
	v_mul_f32_e32 v8, 0x3fb8aa3b, v7
	v_fma_f32 v9, v7, s19, -v8
	v_rndne_f32_e32 v18, v8
	v_fmac_f32_e32 v9, 0x32a5705f, v7
	v_sub_f32_e32 v8, v8, v18
	v_add_f32_e32 v8, v8, v9
	v_exp_f32_e32 v8, v8
	v_cvt_i32_f32_e32 v9, v18
	v_cndmask_b32_e64 v3, 0, v3, s[8:9]
	v_cmp_ngt_f32_e64 s[8:9], s35, v4
	v_sub_f32_e32 v2, v25, v2
	s_waitcnt vmcnt(3)
	v_mul_f32_e32 v5, v21, v3
	v_cndmask_b32_e64 v6, 0, v6, s[8:9]
	v_cmp_nlt_f32_e64 s[8:9], s39, v4
	s_nop 1
	v_cndmask_b32_e64 v4, v13, v6, s[8:9]
	v_ldexp_f32 v6, v8, v9
	v_mul_f32_e32 v8, 0x3fb8aa3b, v2
	v_fma_f32 v9, v2, s19, -v8
	v_rndne_f32_e32 v18, v8
	v_fmac_f32_e32 v9, 0x32a5705f, v2
	v_sub_f32_e32 v8, v8, v18
	v_add_f32_e32 v8, v8, v9
	v_exp_f32_e32 v8, v8
	v_cvt_i32_f32_e32 v9, v18
	v_cndmask_b32_e64 v4, 0, v4, s[6:7]
	v_cmp_ngt_f32_e64 s[6:7], s35, v7
	s_nop 1
	v_cndmask_b32_e64 v6, 0, v6, s[6:7]
	v_cmp_nlt_f32_e64 s[6:7], s39, v7
	v_ldexp_f32 v7, v8, v9
	v_lshlrev_b32_e32 v8, 2, v0
	v_cndmask_b32_e64 v6, v13, v6, s[6:7]
	v_cndmask_b32_e64 v6, 0, v6, s[4:5]
	v_cmp_ngt_f32_e64 s[4:5], s35, v2
	ds_write2st64_b32 v8, v1, v5 offset1:1
	v_fmac_f32_e32 v1, v21, v3
	v_cndmask_b32_e64 v7, 0, v7, s[4:5]
	v_cmp_nlt_f32_e64 s[4:5], s39, v2
	s_waitcnt vmcnt(2)
	v_fmac_f32_e32 v1, v10, v4
	s_waitcnt vmcnt(1)
	v_fmac_f32_e32 v1, v11, v6
	v_cndmask_b32_e64 v2, v13, v7, s[4:5]
	v_cndmask_b32_e32 v7, 0, v2, vcc
	s_waitcnt vmcnt(0)
	v_fmac_f32_e32 v1, v14, v7
	ds_bpermute_b32 v2, v15, v1
	v_mul_f32_e32 v3, v10, v4
	v_mul_f32_e32 v4, v11, v6
	v_cmp_eq_u32_e32 vcc, 0, v0
	v_mul_f32_e32 v5, v14, v7
	s_waitcnt lgkmcnt(0)
	v_add_f32_e32 v1, v1, v2
	ds_bpermute_b32 v2, v16, v1
	ds_write2st64_b32 v8, v3, v4 offset0:2 offset1:3
	ds_write_b32 v8, v5 offset:1024
	s_waitcnt lgkmcnt(2)
	v_add_f32_e32 v1, v1, v2
	ds_bpermute_b32 v2, v17, v1
	s_waitcnt lgkmcnt(0)
	v_add_f32_e32 v1, v1, v2
	ds_bpermute_b32 v2, v19, v1
	s_waitcnt lgkmcnt(0)
	v_add_f32_e32 v1, v1, v2
	ds_bpermute_b32 v2, v20, v1
	s_waitcnt lgkmcnt(0)
	v_add_f32_e32 v1, v1, v2
	ds_bpermute_b32 v2, v12, v1
	s_and_saveexec_b64 s[4:5], vcc
	s_cbranch_execz .LBB596_8
; %bb.7:
	s_waitcnt lgkmcnt(0)
	v_add_f32_e32 v1, v1, v2
	v_mov_b32_e32 v2, 0
	ds_write_b32 v2, v1 offset:1280
.LBB596_8:
	s_or_b64 exec, exec, s[4:5]
	v_mov_b32_e32 v1, s18
.LBB596_9:
	s_or_b64 exec, exec, s[30:31]
	s_lshl_b32 s4, s34, 7
	s_mov_b32 s5, 0
	s_lshl_b64 s[4:5], s[4:5], 1
	s_add_u32 s4, s16, s4
	s_addc_u32 s5, s17, s5
	s_lshl_b32 s10, s33, 7
	s_waitcnt lgkmcnt(0)
	v_lshlrev_b32_e32 v2, 7, v1
	v_mov_b32_e32 v1, 0
	s_add_i32 s11, s10, 0xffffff80
	v_mov_b32_e32 v3, v1
	s_cmp_lt_i32 s38, 1
	v_lshl_add_u64 v[2:3], v[2:3], 1, s[4:5]
	s_cselect_b32 s4, s11, 0
	v_lshlrev_b32_e32 v4, 1, v0
	v_mov_b32_e32 v5, v1
	s_ashr_i32 s5, s4, 31
	v_lshl_add_u64 v[2:3], v[2:3], 0, v[4:5]
	s_cmpk_lt_i32 s38, 0x101
	v_lshl_add_u64 v[4:5], s[4:5], 1, v[2:3]
	s_cselect_b32 s4, s11, 0x80
	s_ashr_i32 s5, s4, 31
	s_cmpk_lt_i32 s38, 0x201
	v_lshl_add_u64 v[6:7], s[4:5], 1, v[2:3]
	s_cselect_b32 s4, s11, 0x100
	s_ashr_i32 s5, s4, 31
	;; [unrolled: 4-line block ×8, first 2 shown]
	s_cmpk_lt_i32 s38, 0x901
	global_load_ushort v23, v[4:5], off
	global_load_ushort v22, v[6:7], off
	;; [unrolled: 1-line block ×8, first 2 shown]
	v_lshl_add_u64 v[4:5], s[4:5], 1, v[2:3]
	s_cselect_b32 s4, s11, 0x480
	s_ashr_i32 s5, s4, 31
	s_cmpk_lt_i32 s38, 0xa01
	v_lshl_add_u64 v[6:7], s[4:5], 1, v[2:3]
	s_cselect_b32 s4, s11, 0x500
	s_ashr_i32 s5, s4, 31
	s_cmpk_lt_i32 s38, 0xb01
	;; [unrolled: 4-line block ×6, first 2 shown]
	v_lshl_add_u64 v[32:33], s[4:5], 1, v[2:3]
	s_cselect_b32 s4, s11, 0x780
	s_ashr_i32 s5, s4, 31
	v_lshl_add_u64 v[34:35], s[4:5], 1, v[2:3]
	global_load_ushort v30, v[4:5], off
	global_load_ushort v31, v[6:7], off
	;; [unrolled: 1-line block ×8, first 2 shown]
	s_cmpk_gt_i32 s38, 0x1000
	s_cselect_b64 s[8:9], -1, 0
	s_cmpk_lt_i32 s38, 0x1001
	v_mov_b32_e32 v40, 0
	v_mov_b32_e32 v41, 0
	;; [unrolled: 1-line block ×48, first 2 shown]
	s_barrier
	s_cbranch_scc1 .LBB596_12
; %bb.10:
	s_cmpk_lt_u32 s38, 0x1101
	s_cselect_b32 s4, s11, 0x880
	s_ashr_i32 s5, s4, 31
	s_cmpk_lt_u32 s38, 0x1201
	v_lshl_add_u64 v[6:7], s[4:5], 1, v[2:3]
	s_cselect_b32 s4, s11, 0x900
	s_ashr_i32 s5, s4, 31
	s_cmpk_lt_u32 s38, 0x1301
	v_lshl_add_u64 v[8:9], s[4:5], 1, v[2:3]
	;; [unrolled: 4-line block ×7, first 2 shown]
	s_cselect_b32 s4, s11, 0xc00
	v_add_co_u32_e32 v4, vcc, 0x1000, v2
	s_ashr_i32 s5, s4, 31
	s_nop 0
	v_addc_co_u32_e32 v5, vcc, 0, v3, vcc
	s_cmpk_lt_u32 s38, 0x1901
	global_load_ushort v39, v[4:5], off
	global_load_ushort v38, v[6:7], off
	;; [unrolled: 1-line block ×8, first 2 shown]
	v_lshl_add_u64 v[4:5], s[4:5], 1, v[2:3]
	s_cselect_b32 s4, s11, 0xc80
	s_ashr_i32 s5, s4, 31
	s_cmpk_lt_u32 s38, 0x1a01
	v_lshl_add_u64 v[6:7], s[4:5], 1, v[2:3]
	s_cselect_b32 s4, s11, 0xd00
	s_ashr_i32 s5, s4, 31
	s_cmpk_lt_u32 s38, 0x1b01
	;; [unrolled: 4-line block ×6, first 2 shown]
	v_lshl_add_u64 v[48:49], s[4:5], 1, v[2:3]
	s_cselect_b32 s4, s11, 0xf80
	s_ashr_i32 s5, s4, 31
	v_lshl_add_u64 v[50:51], s[4:5], 1, v[2:3]
	global_load_ushort v47, v[4:5], off
	global_load_ushort v46, v[6:7], off
	;; [unrolled: 1-line block ×8, first 2 shown]
	s_cmpk_lt_u32 s38, 0x2001
	v_mov_b32_e32 v67, 0
	v_mov_b32_e32 v65, 0
	;; [unrolled: 1-line block ×32, first 2 shown]
	s_cbranch_scc1 .LBB596_12
; %bb.11:
	s_cmpk_lt_u32 s38, 0x2101
	s_cselect_b32 s4, s11, 0x1080
	s_ashr_i32 s5, s4, 31
	s_cmpk_lt_u32 s38, 0x2201
	v_lshl_add_u64 v[4:5], s[4:5], 1, v[2:3]
	s_cselect_b32 s4, s11, 0x1100
	s_ashr_i32 s5, s4, 31
	s_cmpk_lt_u32 s38, 0x2301
	v_lshl_add_u64 v[6:7], s[4:5], 1, v[2:3]
	;; [unrolled: 4-line block ×29, first 2 shown]
	s_cselect_b32 s4, s11, 0x1f00
	s_ashr_i32 s5, s4, 31
	v_lshl_add_u64 v[94:95], s[4:5], 1, v[2:3]
	s_movk_i32 s4, 0x2000
	s_cmpk_lt_u32 s38, 0x3f01
	v_add_co_u32_e32 v96, vcc, s4, v2
	s_cselect_b32 s4, s11, 0x1f80
	s_nop 0
	v_addc_co_u32_e32 v97, vcc, 0, v3, vcc
	s_ashr_i32 s5, s4, 31
	global_load_ushort v98, v[96:97], off
	global_load_ushort v99, v[4:5], off
	;; [unrolled: 1-line block ×15, first 2 shown]
                                        ; kill: killed $vgpr54_vgpr55
                                        ; kill: killed $vgpr6_vgpr7
                                        ; kill: killed $vgpr60_vgpr61
                                        ; kill: killed $vgpr12_vgpr13
                                        ; kill: killed $vgpr50_vgpr51
                                        ; kill: killed $vgpr56_vgpr57
                                        ; kill: killed $vgpr8_vgpr9
                                        ; kill: killed $vgpr62_vgpr63
                                        ; kill: killed $vgpr14_vgpr15
                                        ; kill: killed $vgpr96 killed $vgpr97
                                        ; kill: killed $vgpr52_vgpr53
                                        ; kill: killed $vgpr4_vgpr5
                                        ; kill: killed $vgpr58_vgpr59
                                        ; kill: killed $vgpr10_vgpr11
                                        ; kill: killed $vgpr48_vgpr49
	global_load_ushort v6, v[64:65], off
	global_load_ushort v7, v[66:67], off
	;; [unrolled: 1-line block ×15, first 2 shown]
                                        ; kill: killed $vgpr70_vgpr71
                                        ; kill: killed $vgpr92_vgpr93
                                        ; kill: killed $vgpr76_vgpr77
                                        ; kill: killed $vgpr82_vgpr83
                                        ; kill: killed $vgpr66_vgpr67
                                        ; kill: killed $vgpr88_vgpr89
                                        ; kill: killed $vgpr72_vgpr73
                                        ; kill: killed $vgpr94_vgpr95
                                        ; kill: killed $vgpr78_vgpr79
                                        ; kill: killed $vgpr84_vgpr85
                                        ; kill: killed $vgpr68_vgpr69
                                        ; kill: killed $vgpr90_vgpr91
                                        ; kill: killed $vgpr74_vgpr75
                                        ; kill: killed $vgpr80_vgpr81
                                        ; kill: killed $vgpr64_vgpr65
	global_load_ushort v68, v[86:87], off
	v_lshl_add_u64 v[4:5], s[4:5], 1, v[2:3]
	global_load_ushort v5, v[4:5], off
	s_waitcnt vmcnt(31)
	v_lshlrev_b32_e32 v67, 16, v98
	s_waitcnt vmcnt(30)
	v_lshlrev_b32_e32 v65, 16, v99
	;; [unrolled: 2-line block ×32, first 2 shown]
.LBB596_12:
	s_load_dwordx2 s[4:5], s[0:1], 0x0
	s_load_dwordx2 s[6:7], s[0:1], 0x38
	ds_read_b128 v[68:71], v1
	s_waitcnt vmcnt(15)
	v_lshlrev_b32_e32 v23, 16, v23
	ds_read_b128 v[72:75], v1 offset:16
	ds_read_b128 v[76:79], v1 offset:32
	;; [unrolled: 1-line block ×3, first 2 shown]
	s_waitcnt vmcnt(14)
	v_lshlrev_b32_e32 v22, 16, v22
	s_waitcnt vmcnt(13)
	v_lshlrev_b32_e32 v21, 16, v21
	s_waitcnt lgkmcnt(0)
	v_fma_f32 v23, v68, v23, 0
	v_fmac_f32_e32 v23, v69, v22
	v_fmac_f32_e32 v23, v70, v21
	s_waitcnt vmcnt(12)
	v_lshlrev_b32_e32 v20, 16, v20
	s_waitcnt vmcnt(10)
	v_lshlrev_b32_e32 v19, 16, v19
	v_lshlrev_b32_e32 v18, 16, v18
	v_fmac_f32_e32 v23, v71, v20
	v_pk_mul_f32 v[18:19], v[72:73], v[18:19]
	s_waitcnt vmcnt(8)
	v_lshlrev_b32_e32 v17, 16, v17
	v_add_f32_e32 v18, v23, v18
	v_lshlrev_b32_e32 v16, 16, v16
	v_add_f32_e32 v18, v18, v19
	v_pk_mul_f32 v[16:17], v[74:75], v[16:17]
	s_and_b64 vcc, exec, s[8:9]
	v_add_f32_e32 v16, v18, v16
	v_add_f32_e32 v18, v16, v17
	s_waitcnt vmcnt(6)
	v_lshlrev_b32_e32 v17, 16, v31
	v_lshlrev_b32_e32 v16, 16, v30
	v_pk_mul_f32 v[16:17], v[76:77], v[16:17]
	s_nop 0
	v_add_f32_e32 v16, v18, v16
	v_add_f32_e32 v18, v16, v17
	s_waitcnt vmcnt(4)
	v_lshlrev_b32_e32 v17, 16, v29
	v_lshlrev_b32_e32 v16, 16, v28
	v_pk_mul_f32 v[16:17], v[78:79], v[16:17]
	s_nop 0
	;; [unrolled: 7-line block ×4, first 2 shown]
	v_add_f32_e32 v16, v18, v16
	v_add_f32_e32 v110, v16, v17
	s_cbranch_vccz .LBB596_15
; %bb.13:
	ds_read_b128 v[16:19], v1 offset:64
	v_lshlrev_b32_e32 v39, 16, v39
	ds_read_b128 v[20:23], v1 offset:80
	ds_read_b128 v[24:27], v1 offset:96
	;; [unrolled: 1-line block ×3, first 2 shown]
	s_cmpk_lt_u32 s38, 0x2001
	s_waitcnt lgkmcnt(3)
	v_fmac_f32_e32 v110, v16, v39
	v_lshlrev_b32_e32 v16, 16, v38
	v_fmac_f32_e32 v110, v17, v16
	v_lshlrev_b32_e32 v16, 16, v37
	v_fmac_f32_e32 v110, v18, v16
	v_lshlrev_b32_e32 v16, 16, v36
	v_fmac_f32_e32 v110, v19, v16
	v_lshlrev_b32_e32 v16, 16, v35
	s_waitcnt lgkmcnt(2)
	v_fmac_f32_e32 v110, v20, v16
	v_lshlrev_b32_e32 v16, 16, v34
	v_fmac_f32_e32 v110, v21, v16
	v_lshlrev_b32_e32 v16, 16, v33
	v_fmac_f32_e32 v110, v22, v16
	v_lshlrev_b32_e32 v16, 16, v32
	v_fmac_f32_e32 v110, v23, v16
	v_lshlrev_b32_e32 v16, 16, v47
	;; [unrolled: 9-line block ×3, first 2 shown]
	s_waitcnt lgkmcnt(0)
	v_fmac_f32_e32 v110, v28, v16
	v_lshlrev_b32_e32 v16, 16, v42
	v_fmac_f32_e32 v110, v29, v16
	v_lshlrev_b32_e32 v16, 16, v41
	;; [unrolled: 2-line block ×3, first 2 shown]
	v_fmac_f32_e32 v110, v31, v16
	s_cbranch_scc1 .LBB596_15
; %bb.14:
	v_mov_b32_e32 v32, 0
	ds_read_b128 v[16:19], v32 offset:128
	ds_read_b128 v[20:23], v32 offset:144
	;; [unrolled: 1-line block ×4, first 2 shown]
	s_waitcnt lgkmcnt(3)
	v_fmac_f32_e32 v110, v16, v67
	v_fmac_f32_e32 v110, v17, v65
	v_fmac_f32_e32 v110, v18, v66
	v_fmac_f32_e32 v110, v19, v63
	s_waitcnt lgkmcnt(2)
	v_fmac_f32_e32 v110, v20, v64
	v_fmac_f32_e32 v110, v21, v61
	v_fmac_f32_e32 v110, v22, v62
	v_fmac_f32_e32 v110, v23, v59
	;; [unrolled: 5-line block ×3, first 2 shown]
	ds_read_b128 v[16:19], v32 offset:192
	ds_read_b128 v[20:23], v32 offset:208
	s_waitcnt lgkmcnt(2)
	v_fmac_f32_e32 v110, v28, v56
	v_fmac_f32_e32 v110, v29, v53
	;; [unrolled: 1-line block ×4, first 2 shown]
	s_waitcnt lgkmcnt(1)
	v_fmac_f32_e32 v110, v16, v51
	v_fmac_f32_e32 v110, v17, v49
	v_fmac_f32_e32 v110, v18, v50
	v_fmac_f32_e32 v110, v19, v48
	s_waitcnt lgkmcnt(0)
	v_pk_mul_f32 v[14:15], v[20:21], v[14:15]
	v_pk_mul_f32 v[12:13], v[22:23], v[12:13]
	v_add_f32_e32 v14, v110, v14
	v_add_f32_e32 v18, v14, v15
	ds_read_b128 v[14:17], v32 offset:224
	v_add_f32_e32 v12, v18, v12
	ds_read_b128 v[18:21], v32 offset:240
	v_add_f32_e32 v12, v12, v13
	s_waitcnt lgkmcnt(1)
	v_pk_mul_f32 v[10:11], v[14:15], v[10:11]
	s_nop 0
	v_add_f32_e32 v10, v12, v10
	v_add_f32_e32 v10, v10, v11
	v_pk_mul_f32 v[8:9], v[16:17], v[8:9]
	s_waitcnt lgkmcnt(0)
	v_pk_mul_f32 v[6:7], v[18:19], v[6:7]
	v_add_f32_e32 v8, v10, v8
	v_add_f32_e32 v8, v8, v9
	;; [unrolled: 1-line block ×4, first 2 shown]
	v_pk_mul_f32 v[4:5], v[20:21], v[4:5]
	s_nop 0
	v_add_f32_e32 v4, v6, v4
	v_add_f32_e32 v110, v4, v5
.LBB596_15:
	s_movk_i32 s0, 0x3f80
	s_movk_i32 s1, 0x100
	s_mov_b32 s8, 64
	s_branch .LBB596_17
.LBB596_16:                             ;   in Loop: Header=BB596_17 Depth=1
	s_addk_i32 s0, 0x2000
	s_addk_i32 s1, 0x100
	s_add_i32 s8, s8, 64
	s_cmpk_eq_u32 s0, 0xbf80
	s_cbranch_scc1 .LBB596_19
.LBB596_17:                             ; =>This Inner Loop Header: Depth=1
	s_cmp_le_i32 s33, s8
	s_cbranch_scc1 .LBB596_16
; %bb.18:                               ;   in Loop: Header=BB596_17 Depth=1
	s_add_i32 s9, s0, 0xffffe080
	s_cmp_lt_i32 s9, s10
	s_cselect_b32 s12, s9, s11
	s_ashr_i32 s13, s12, 31
	s_add_i32 s9, s0, 0xffffe100
	s_cmp_lt_i32 s9, s10
	v_lshl_add_u64 v[42:43], s[12:13], 1, v[2:3]
	s_cselect_b32 s12, s9, s11
	s_ashr_i32 s13, s12, 31
	s_add_i32 s9, s0, 0xffffe180
	s_cmp_lt_i32 s9, s10
	v_lshl_add_u64 v[4:5], s[12:13], 1, v[2:3]
	;; [unrolled: 5-line block ×21, first 2 shown]
	s_cselect_b32 s12, s9, s11
	s_ashr_i32 s13, s12, 31
	s_add_i32 s9, s0, 0xffffeb80
	s_cmp_lt_i32 s9, s10
	global_load_ushort v111, v[42:43], off
	global_load_ushort v121, v[44:45], off
	v_lshl_add_u64 v[32:33], s[12:13], 1, v[2:3]
	s_cselect_b32 s12, s9, s11
	global_load_ushort v112, v[4:5], off
	global_load_ushort v113, v[6:7], off
	;; [unrolled: 1-line block ×8, first 2 shown]
	s_ashr_i32 s13, s12, 31
	s_add_i32 s9, s0, 0xffffec00
	s_cmp_lt_i32 s9, s10
	v_lshl_add_u64 v[34:35], s[12:13], 1, v[2:3]
	s_cselect_b32 s12, s9, s11
	s_ashr_i32 s13, s12, 31
	s_add_i32 s9, s0, 0xffffec80
	s_cmp_lt_i32 s9, s10
	v_lshl_add_u64 v[48:49], s[12:13], 1, v[2:3]
	s_cselect_b32 s12, s9, s11
	;; [unrolled: 5-line block ×3, first 2 shown]
	global_load_ushort v120, v[28:29], off
	s_ashr_i32 s13, s12, 31
	s_add_i32 s9, s0, 0xffffed80
	s_cmp_lt_i32 s9, s10
	global_load_ushort v122, v[54:55], off
	global_load_ushort v123, v[56:57], off
	v_lshl_add_u64 v[18:19], s[12:13], 1, v[2:3]
	global_load_ushort v58, v[58:59], off
	s_cselect_b32 s12, s9, s11
	s_ashr_i32 s13, s12, 31
	s_add_i32 s9, s0, 0xffffee00
	s_cmp_lt_i32 s9, s10
	v_lshl_add_u64 v[20:21], s[12:13], 1, v[2:3]
	s_cselect_b32 s12, s9, s11
	s_ashr_i32 s13, s12, 31
	s_add_i32 s9, s0, 0xffffee80
	s_cmp_lt_i32 s9, s10
	v_lshl_add_u64 v[38:39], s[12:13], 1, v[2:3]
	;; [unrolled: 5-line block ×3, first 2 shown]
	s_cselect_b32 s12, s9, s11
	global_load_ushort v59, v[60:61], off
	s_ashr_i32 s13, s12, 31
	s_add_i32 s9, s0, 0xffffef80
	global_load_ushort v60, v[66:67], off
	global_load_ushort v61, v[62:63], off
	s_cmp_lt_i32 s9, s10
	v_lshl_add_u64 v[50:51], s[12:13], 1, v[2:3]
	s_cselect_b32 s12, s9, s11
	s_ashr_i32 s13, s12, 31
	s_add_i32 s9, s0, 0xfffff000
	s_cmp_lt_i32 s9, s10
	v_lshl_add_u64 v[52:53], s[12:13], 1, v[2:3]
	s_cselect_b32 s12, s9, s11
	s_ashr_i32 s13, s12, 31
	s_add_i32 s9, s0, 0xfffff080
	;; [unrolled: 5-line block ×3, first 2 shown]
	s_cmp_lt_i32 s9, s10
	v_lshl_add_u64 v[68:69], s[12:13], 1, v[2:3]
	s_cselect_b32 s12, s9, s11
	global_load_ushort v62, v[24:25], off
	s_ashr_i32 s13, s12, 31
	s_add_i32 s9, s0, 0xfffff180
	global_load_ushort v66, v[30:31], off
	global_load_ushort v124, v[32:33], off
	global_load_ushort v126, v[34:35], off
	global_load_ushort v63, v[26:27], off
	s_cmp_lt_i32 s9, s10
	v_lshl_add_u64 v[70:71], s[12:13], 1, v[2:3]
	s_cselect_b32 s12, s9, s11
	global_load_ushort v67, v[46:47], off
	s_ashr_i32 s13, s12, 31
	s_add_i32 s9, s0, 0xfffff200
	s_cmp_lt_i32 s9, s10
	v_lshl_add_u64 v[72:73], s[12:13], 1, v[2:3]
	s_cselect_b32 s12, s9, s11
	s_ashr_i32 s13, s12, 31
	s_add_i32 s9, s0, 0xfffff280
	s_cmp_lt_i32 s9, s10
	v_lshl_add_u64 v[74:75], s[12:13], 1, v[2:3]
	s_cselect_b32 s12, s9, s11
	s_ashr_i32 s13, s12, 31
	s_add_i32 s9, s0, 0xfffff300
	s_cmp_lt_i32 s9, s10
	v_mov_b32_e32 v125, s1
	v_lshl_add_u64 v[76:77], s[12:13], 1, v[2:3]
	s_cselect_b32 s12, s9, s11
	ds_read_b128 v[28:31], v125
	ds_read_b128 v[32:35], v125 offset:16
	global_load_ushort v48, v[48:49], off
	s_ashr_i32 s13, s12, 31
	s_add_i32 s9, s0, 0xfffff380
	s_cmp_lt_i32 s9, s10
	v_lshl_add_u64 v[78:79], s[12:13], 1, v[2:3]
	s_cselect_b32 s12, s9, s11
	ds_read_b128 v[44:47], v125 offset:32
	ds_read_b128 v[54:57], v125 offset:48
	global_load_ushort v36, v[36:37], off
	s_ashr_i32 s13, s12, 31
	v_lshl_add_u64 v[80:81], s[12:13], 1, v[2:3]
	global_load_ushort v49, v[80:81], off
	global_load_ushort v37, v[18:19], off
	s_add_i32 s9, s0, 0xfffff400
	global_load_ushort v38, v[38:39], off
	s_cmp_lt_i32 s9, s10
	s_cselect_b32 s12, s9, s11
	s_ashr_i32 s13, s12, 31
	s_add_i32 s9, s0, 0xfffff480
	s_cmp_lt_i32 s9, s10
	v_lshl_add_u64 v[82:83], s[12:13], 1, v[2:3]
	s_cselect_b32 s12, s9, s11
	s_ashr_i32 s13, s12, 31
	s_add_i32 s9, s0, 0xfffff500
	s_cmp_lt_i32 s9, s10
	v_lshl_add_u64 v[84:85], s[12:13], 1, v[2:3]
	;; [unrolled: 5-line block ×5, first 2 shown]
	s_cselect_b32 s12, s9, s11
	s_ashr_i32 s13, s12, 31
	s_add_i32 s9, s0, 0xfffff700
	s_waitcnt vmcnt(27)
	v_lshlrev_b32_e32 v111, 16, v111
	s_cmp_lt_i32 s9, s10
	s_waitcnt lgkmcnt(3)
	v_fmac_f32_e32 v110, v28, v111
	s_waitcnt vmcnt(25)
	v_lshlrev_b32_e32 v28, 16, v112
	v_lshl_add_u64 v[92:93], s[12:13], 1, v[2:3]
	s_cselect_b32 s12, s9, s11
	v_fmac_f32_e32 v110, v29, v28
	s_waitcnt vmcnt(24)
	v_lshlrev_b32_e32 v28, 16, v113
	s_ashr_i32 s13, s12, 31
	s_add_i32 s9, s0, 0xfffff780
	v_fmac_f32_e32 v110, v30, v28
	s_waitcnt vmcnt(23)
	v_lshlrev_b32_e32 v28, 16, v114
	s_cmp_lt_i32 s9, s10
	v_fmac_f32_e32 v110, v31, v28
	s_waitcnt vmcnt(22)
	v_lshlrev_b32_e32 v18, 16, v115
	v_lshl_add_u64 v[94:95], s[12:13], 1, v[2:3]
	s_cselect_b32 s12, s9, s11
	s_waitcnt lgkmcnt(2)
	v_fmac_f32_e32 v110, v32, v18
	global_load_ushort v32, v[20:21], off
	s_ashr_i32 s13, s12, 31
	s_add_i32 s9, s0, 0xfffff800
	s_waitcnt vmcnt(22)
	v_lshlrev_b32_e32 v18, 16, v116
	s_cmp_lt_i32 s9, s10
	v_fmac_f32_e32 v110, v33, v18
	global_load_ushort v33, v[40:41], off
	s_waitcnt vmcnt(22)
	v_lshlrev_b32_e32 v18, 16, v117
	v_lshl_add_u64 v[96:97], s[12:13], 1, v[2:3]
	s_cselect_b32 s12, s9, s11
	v_fmac_f32_e32 v110, v34, v18
	global_load_ushort v34, v[50:51], off
	s_waitcnt vmcnt(22)
	v_lshlrev_b32_e32 v18, 16, v118
	s_ashr_i32 s13, s12, 31
	s_add_i32 s9, s0, 0xfffff880
	v_fmac_f32_e32 v110, v35, v18
	global_load_ushort v35, v[52:53], off
	global_load_ushort v39, v[64:65], off
	s_waitcnt vmcnt(23)
	v_lshlrev_b32_e32 v18, 16, v119
	s_cmp_lt_i32 s9, s10
	s_waitcnt lgkmcnt(1)
	v_fmac_f32_e32 v110, v44, v18
	global_load_ushort v44, v[72:73], off
	s_waitcnt vmcnt(23)
	v_lshlrev_b32_e32 v18, 16, v120
	v_lshl_add_u64 v[98:99], s[12:13], 1, v[2:3]
	s_cselect_b32 s12, s9, s11
	v_fmac_f32_e32 v110, v45, v18
	v_lshlrev_b32_e32 v18, 16, v121
	s_ashr_i32 s13, s12, 31
	s_add_i32 s9, s0, 0xfffff900
	v_fmac_f32_e32 v110, v46, v18
	global_load_ushort v46, v[76:77], off
	s_waitcnt vmcnt(23)
	v_lshlrev_b32_e32 v18, 16, v122
	s_cmp_lt_i32 s9, s10
	v_fmac_f32_e32 v110, v47, v18
	s_waitcnt vmcnt(22)
	v_lshlrev_b32_e32 v18, 16, v123
	v_lshl_add_u64 v[102:103], s[12:13], 1, v[2:3]
	s_cselect_b32 s12, s9, s11
	s_waitcnt lgkmcnt(0)
	v_fmac_f32_e32 v110, v54, v18
	global_load_ushort v54, v[88:89], off
	global_load_ushort v40, v[68:69], off
	;; [unrolled: 1-line block ×8, first 2 shown]
	s_ashr_i32 s13, s12, 31
	s_add_i32 s9, s0, 0xfffff980
	s_cmp_lt_i32 s9, s10
	v_lshl_add_u64 v[104:105], s[12:13], 1, v[2:3]
	s_cselect_b32 s12, s9, s11
	s_ashr_i32 s13, s12, 31
	s_add_i32 s9, s0, 0xfffffa00
	s_cmp_lt_i32 s9, s10
	v_lshl_add_u64 v[106:107], s[12:13], 1, v[2:3]
	s_cselect_b32 s12, s9, s11
	s_ashr_i32 s13, s12, 31
	s_add_i32 s9, s0, 0xfffffa80
	s_waitcnt vmcnt(29)
	v_lshlrev_b32_e32 v18, 16, v58
	s_cmp_lt_i32 s9, s10
	v_fmac_f32_e32 v110, v55, v18
	global_load_ushort v55, v[90:91], off
	s_waitcnt vmcnt(29)
	v_lshlrev_b32_e32 v18, 16, v59
	v_lshl_add_u64 v[100:101], s[12:13], 1, v[2:3]
	s_cselect_b32 s12, s9, s11
	v_fmac_f32_e32 v110, v56, v18
	s_waitcnt vmcnt(28)
	v_lshlrev_b32_e32 v18, 16, v60
	s_ashr_i32 s13, s12, 31
	s_add_i32 s9, s0, 0xfffffb00
	v_fmac_f32_e32 v110, v57, v18
	ds_read_b128 v[18:21], v125 offset:64
	ds_read_b128 v[28:31], v125 offset:80
	s_cmp_lt_i32 s9, s10
	v_lshl_add_u64 v[42:43], s[12:13], 1, v[2:3]
	s_cselect_b32 s12, s9, s11
	s_ashr_i32 s13, s12, 31
	s_add_i32 s9, s0, 0xfffffb80
	s_cmp_lt_i32 s9, s10
	s_waitcnt vmcnt(27)
	v_lshlrev_b32_e32 v53, 16, v61
	v_lshl_add_u64 v[108:109], s[12:13], 1, v[2:3]
	s_cselect_b32 s12, s9, s11
	s_waitcnt lgkmcnt(1)
	v_fmac_f32_e32 v110, v18, v53
	global_load_ushort v53, v[92:93], off
	global_load_ushort v56, v[94:95], off
	;; [unrolled: 1-line block ×6, first 2 shown]
	s_ashr_i32 s13, s12, 31
	s_add_i32 s9, s0, 0xfffffc00
	s_cmp_lt_i32 s9, s10
	v_lshl_add_u64 v[4:5], s[12:13], 1, v[2:3]
	s_cselect_b32 s12, s9, s11
	s_ashr_i32 s13, s12, 31
	s_add_i32 s9, s0, 0xfffffc80
	s_cmp_lt_i32 s9, s10
	s_waitcnt vmcnt(32)
	v_lshlrev_b32_e32 v18, 16, v62
	v_lshl_add_u64 v[6:7], s[12:13], 1, v[2:3]
	s_cselect_b32 s12, s9, s11
	v_fmac_f32_e32 v110, v19, v18
	s_waitcnt vmcnt(28)
	v_lshlrev_b32_e32 v18, 16, v63
	s_ashr_i32 s13, s12, 31
	s_add_i32 s9, s0, 0xfffffd00
	v_fmac_f32_e32 v110, v20, v18
	v_lshlrev_b32_e32 v18, 16, v66
	s_cmp_lt_i32 s9, s10
	v_fmac_f32_e32 v110, v21, v18
	s_waitcnt vmcnt(27)
	v_lshlrev_b32_e32 v18, 16, v67
	v_lshl_add_u64 v[8:9], s[12:13], 1, v[2:3]
	s_cselect_b32 s12, s9, s11
	s_waitcnt lgkmcnt(0)
	v_fmac_f32_e32 v110, v28, v18
	global_load_ushort v28, v[106:107], off
	s_ashr_i32 s13, s12, 31
	s_add_i32 s9, s0, 0xfffffd80
	s_cmp_lt_i32 s9, s10
	global_load_ushort v61, v[100:101], off
	global_load_ushort v62, v[42:43], off
	;; [unrolled: 1-line block ×3, first 2 shown]
	v_lshl_add_u64 v[12:13], s[12:13], 1, v[2:3]
	s_cselect_b32 s12, s9, s11
	v_lshlrev_b32_e32 v18, 16, v124
	s_ashr_i32 s13, s12, 31
	s_add_i32 s9, s0, 0xfffffe00
	v_fmac_f32_e32 v110, v29, v18
	v_lshlrev_b32_e32 v18, 16, v126
	s_cmp_lt_i32 s9, s10
	v_fmac_f32_e32 v110, v30, v18
	global_load_ushort v29, v[4:5], off
	global_load_ushort v30, v[6:7], off
	v_lshl_add_u64 v[10:11], s[12:13], 1, v[2:3]
	s_cselect_b32 s12, s9, s11
	s_ashr_i32 s13, s12, 31
	s_add_i32 s9, s0, 0xfffffe80
	s_cmp_lt_i32 s9, s10
	s_waitcnt vmcnt(32)
	v_lshlrev_b32_e32 v4, 16, v48
	v_lshl_add_u64 v[22:23], s[12:13], 1, v[2:3]
	s_cselect_b32 s12, s9, s11
	v_fmac_f32_e32 v110, v31, v4
	ds_read_b128 v[4:7], v125 offset:96
	s_ashr_i32 s13, s12, 31
	s_add_i32 s9, s0, 0xffffff00
	s_cmp_lt_i32 s9, s10
	s_waitcnt vmcnt(31)
	v_lshlrev_b32_e32 v31, 16, v36
	global_load_ushort v36, v[8:9], off
	global_load_ushort v42, v[12:13], off
	v_lshl_add_u64 v[14:15], s[12:13], 1, v[2:3]
	s_cselect_b32 s12, s9, s11
	s_ashr_i32 s13, s12, 31
	s_add_i32 s9, s0, 0xffffff80
	s_cmp_lt_i32 s9, s10
	ds_read_b128 v[18:21], v125 offset:112
	s_waitcnt lgkmcnt(1)
	v_fmac_f32_e32 v110, v4, v31
	s_waitcnt vmcnt(31)
	v_lshlrev_b32_e32 v4, 16, v37
	global_load_ushort v31, v[10:11], off
	global_load_ushort v37, v[22:23], off
	v_lshl_add_u64 v[24:25], s[12:13], 1, v[2:3]
	s_cselect_b32 s12, s9, s11
	s_ashr_i32 s13, s12, 31
	s_cmp_lt_i32 s0, s10
	global_load_ushort v22, v[14:15], off
	global_load_ushort v23, v[24:25], off
	v_lshl_add_u64 v[16:17], s[12:13], 1, v[2:3]
	s_cselect_b32 s12, s0, s11
	s_ashr_i32 s13, s12, 31
	v_lshl_add_u64 v[26:27], s[12:13], 1, v[2:3]
	global_load_ushort v14, v[16:17], off
	global_load_ushort v15, v[26:27], off
	v_fmac_f32_e32 v110, v5, v4
	s_waitcnt vmcnt(35)
	v_lshlrev_b32_e32 v4, 16, v32
	v_fmac_f32_e32 v110, v6, v4
	v_lshlrev_b32_e32 v4, 16, v38
	v_fmac_f32_e32 v110, v7, v4
	s_waitcnt vmcnt(34)
	v_lshlrev_b32_e32 v4, 16, v33
	s_waitcnt lgkmcnt(0)
	v_fmac_f32_e32 v110, v18, v4
	s_waitcnt vmcnt(33)
	v_lshlrev_b32_e32 v4, 16, v34
	v_fmac_f32_e32 v110, v19, v4
	s_waitcnt vmcnt(32)
	v_lshlrev_b32_e32 v4, 16, v35
	v_fmac_f32_e32 v110, v20, v4
	ds_read_b128 v[4:7], v125 offset:128
	s_waitcnt vmcnt(31)
	v_lshlrev_b32_e32 v8, 16, v39
	v_fmac_f32_e32 v110, v21, v8
	ds_read_b128 v[8:11], v125 offset:144
	s_waitcnt vmcnt(27)
	v_lshlrev_b32_e32 v12, 16, v40
	s_waitcnt lgkmcnt(1)
	v_fmac_f32_e32 v110, v4, v12
	s_waitcnt vmcnt(26)
	v_lshlrev_b32_e32 v4, 16, v41
	v_fmac_f32_e32 v110, v5, v4
	v_lshlrev_b32_e32 v4, 16, v44
	v_fmac_f32_e32 v110, v6, v4
	s_waitcnt vmcnt(25)
	v_lshlrev_b32_e32 v4, 16, v45
	v_fmac_f32_e32 v110, v7, v4
	v_lshlrev_b32_e32 v4, 16, v46
	s_waitcnt lgkmcnt(0)
	v_fmac_f32_e32 v110, v8, v4
	s_waitcnt vmcnt(24)
	v_lshlrev_b32_e32 v4, 16, v47
	v_fmac_f32_e32 v110, v9, v4
	v_lshlrev_b32_e32 v4, 16, v49
	v_fmac_f32_e32 v110, v10, v4
	ds_read_b128 v[4:7], v125 offset:160
	s_waitcnt vmcnt(23)
	v_lshlrev_b32_e32 v8, 16, v50
	v_fmac_f32_e32 v110, v11, v8
	ds_read_b128 v[8:11], v125 offset:176
	s_waitcnt vmcnt(22)
	v_lshlrev_b32_e32 v12, 16, v51
	s_waitcnt lgkmcnt(1)
	v_fmac_f32_e32 v110, v4, v12
	s_waitcnt vmcnt(21)
	v_lshlrev_b32_e32 v4, 16, v52
	v_fmac_f32_e32 v110, v5, v4
	v_lshlrev_b32_e32 v4, 16, v54
	v_fmac_f32_e32 v110, v6, v4
	s_waitcnt vmcnt(20)
	v_lshlrev_b32_e32 v4, 16, v55
	v_fmac_f32_e32 v110, v7, v4
	s_waitcnt vmcnt(19)
	v_lshlrev_b32_e32 v4, 16, v53
	s_waitcnt lgkmcnt(0)
	v_fmac_f32_e32 v110, v8, v4
	s_waitcnt vmcnt(18)
	v_lshlrev_b32_e32 v4, 16, v56
	v_fmac_f32_e32 v110, v9, v4
	s_waitcnt vmcnt(17)
	v_lshlrev_b32_e32 v4, 16, v57
	v_fmac_f32_e32 v110, v10, v4
	ds_read_b128 v[4:7], v125 offset:192
	s_waitcnt vmcnt(16)
	v_lshlrev_b32_e32 v8, 16, v58
	v_fmac_f32_e32 v110, v11, v8
	ds_read_b128 v[8:11], v125 offset:208
	s_waitcnt vmcnt(15)
	v_lshlrev_b32_e32 v12, 16, v59
	s_waitcnt lgkmcnt(1)
	v_fmac_f32_e32 v110, v4, v12
	s_waitcnt vmcnt(14)
	v_lshlrev_b32_e32 v4, 16, v60
	v_fmac_f32_e32 v110, v5, v4
	s_waitcnt vmcnt(13)
	v_lshlrev_b32_e32 v4, 16, v28
	;; [unrolled: 3-line block ×4, first 2 shown]
	v_lshlrev_b32_e32 v4, 16, v62
	s_waitcnt lgkmcnt(0)
	v_pk_mul_f32 v[4:5], v[8:9], v[4:5]
	s_waitcnt vmcnt(6)
	v_lshlrev_b32_e32 v13, 16, v42
	v_add_f32_e32 v4, v110, v4
	v_add_f32_e32 v6, v4, v5
	v_lshlrev_b32_e32 v5, 16, v30
	v_lshlrev_b32_e32 v4, 16, v29
	v_pk_mul_f32 v[8:9], v[10:11], v[4:5]
	v_lshlrev_b32_e32 v12, 16, v36
	v_add_f32_e32 v8, v6, v8
	ds_read_b128 v[4:7], v125 offset:224
	v_add_f32_e32 v16, v8, v9
	ds_read_b128 v[8:11], v125 offset:240
	s_waitcnt lgkmcnt(1)
	v_pk_mul_f32 v[4:5], v[4:5], v[12:13]
	s_nop 0
	v_add_f32_e32 v4, v16, v4
	v_add_f32_e32 v12, v4, v5
	s_waitcnt vmcnt(4)
	v_lshlrev_b32_e32 v5, 16, v37
	v_lshlrev_b32_e32 v4, 16, v31
	v_pk_mul_f32 v[4:5], v[6:7], v[4:5]
	s_nop 0
	v_add_f32_e32 v4, v12, v4
	v_add_f32_e32 v6, v4, v5
	s_waitcnt vmcnt(2)
	v_lshlrev_b32_e32 v5, 16, v23
	v_lshlrev_b32_e32 v4, 16, v22
	s_waitcnt lgkmcnt(0)
	v_pk_mul_f32 v[4:5], v[8:9], v[4:5]
	s_nop 0
	v_add_f32_e32 v4, v6, v4
	v_add_f32_e32 v6, v4, v5
	s_waitcnt vmcnt(1)
	v_lshlrev_b32_e32 v4, 16, v14
	s_waitcnt vmcnt(0)
	v_lshlrev_b32_e32 v5, 16, v15
	v_pk_mul_f32 v[4:5], v[10:11], v[4:5]
	s_nop 0
	v_add_f32_e32 v4, v6, v4
	v_add_f32_e32 v110, v4, v5
	s_branch .LBB596_16
.LBB596_19:
	v_mov_b32_e32 v2, 0
	ds_read_b32 v2, v2 offset:1280
	s_cmp_lg_u64 s[6:7], 0
	s_cbranch_scc0 .LBB596_24
; %bb.20:
	s_load_dword s6, s[6:7], 0x0
	s_waitcnt lgkmcnt(0)
	v_div_scale_f32 v3, s[0:1], s6, s6, 1.0
	v_rcp_f32_e32 v4, v3
	v_div_scale_f32 v5, vcc, 1.0, s6, 1.0
	v_fma_f32 v6, -v3, v4, 1.0
	v_fmac_f32_e32 v4, v6, v4
	v_mul_f32_e32 v6, v5, v4
	v_fma_f32 v7, -v3, v6, v5
	v_fmac_f32_e32 v6, v7, v4
	v_fma_f32 v3, -v3, v6, v5
	v_div_fmas_f32 v3, v3, v4, v6
	v_div_fixup_f32 v3, v3, s6, 1.0
	s_andn2_b64 vcc, exec, s[26:27]
	s_cbranch_vccnz .LBB596_22
.LBB596_21:
	s_add_u32 s0, s24, s28
	s_addc_u32 s1, s25, s29
	s_load_dword s14, s[0:1], 0x0
	s_mov_b32 s15, 0
.LBB596_22:
	s_waitcnt lgkmcnt(0)
	v_add_f32_e32 v2, 0x358637bd, v2
	v_div_scale_f32 v4, s[0:1], v2, v2, 1.0
	v_rcp_f32_e32 v5, v4
	v_div_scale_f32 v6, vcc, 1.0, v2, 1.0
	s_mul_i32 s0, s3, s15
	v_fma_f32 v7, -v4, v5, 1.0
	v_fmac_f32_e32 v5, v7, v5
	v_mul_f32_e32 v7, v6, v5
	v_fma_f32 v8, -v4, v7, v6
	v_fmac_f32_e32 v7, v8, v5
	v_fma_f32 v4, -v4, v7, v6
	s_mul_hi_u32 s1, s3, s14
	v_div_fmas_f32 v4, v4, v5, v7
	s_add_i32 s1, s1, s0
	s_mul_i32 s0, s3, s14
	v_div_fixup_f32 v2, v4, v2, 1.0
	s_lshl_b64 s[0:1], s[0:1], 7
	v_mul_f32_e32 v2, v110, v2
	s_add_u32 s4, s4, s0
	s_mov_b32 s3, 0
	v_mul_f32_e32 v2, v2, v3
	s_addc_u32 s5, s5, s1
	s_lshl_b64 s[0:1], s[2:3], 7
	s_mov_b32 s2, 0x7f800000
	s_mov_b32 s3, 0x43700000
	v_mov_b32_e32 v3, 0xc3700000
	v_med3_f32 v3, v2, s3, v3
	v_cmp_nlg_f32_e64 vcc, |v2|, s2
	s_add_u32 s0, s4, s0
	s_addc_u32 s1, s5, s1
	v_cndmask_b32_e32 v2, v3, v2, vcc
	v_mov_b32_e32 v3, 0
	v_cvt_pk_fp8_f32 v3, v2, v2
	v_lshl_add_u64 v[0:1], s[0:1], 0, v[0:1]
	global_store_byte v[0:1], v3, off
	s_endpgm
.LBB596_23:
	s_mov_b64 s[6:7], 0
	s_branch .LBB596_2
.LBB596_24:
	v_mov_b32_e32 v3, 1.0
	s_andn2_b64 vcc, exec, s[26:27]
	s_cbranch_vccz .LBB596_21
	s_branch .LBB596_22
	.section	.rodata,"a",@progbits
	.p2align	6, 0x0
	.amdhsa_kernel _Z35paged_attention_ll4mi_reduce_kernelI14__hip_bfloat16hLi128ELi128ELi256ELi5EEvPT0_PKfS4_PKT_PKiS9_iS4_
		.amdhsa_group_segment_fixed_size 1284
		.amdhsa_private_segment_fixed_size 0
		.amdhsa_kernarg_size 320
		.amdhsa_user_sgpr_count 2
		.amdhsa_user_sgpr_dispatch_ptr 0
		.amdhsa_user_sgpr_queue_ptr 0
		.amdhsa_user_sgpr_kernarg_segment_ptr 1
		.amdhsa_user_sgpr_dispatch_id 0
		.amdhsa_user_sgpr_kernarg_preload_length 0
		.amdhsa_user_sgpr_kernarg_preload_offset 0
		.amdhsa_user_sgpr_private_segment_size 0
		.amdhsa_uses_dynamic_stack 0
		.amdhsa_enable_private_segment 0
		.amdhsa_system_sgpr_workgroup_id_x 1
		.amdhsa_system_sgpr_workgroup_id_y 1
		.amdhsa_system_sgpr_workgroup_id_z 0
		.amdhsa_system_sgpr_workgroup_info 0
		.amdhsa_system_vgpr_workitem_id 0
		.amdhsa_next_free_vgpr 127
		.amdhsa_next_free_sgpr 40
		.amdhsa_accum_offset 128
		.amdhsa_reserve_vcc 1
		.amdhsa_float_round_mode_32 0
		.amdhsa_float_round_mode_16_64 0
		.amdhsa_float_denorm_mode_32 3
		.amdhsa_float_denorm_mode_16_64 3
		.amdhsa_dx10_clamp 1
		.amdhsa_ieee_mode 1
		.amdhsa_fp16_overflow 0
		.amdhsa_tg_split 0
		.amdhsa_exception_fp_ieee_invalid_op 0
		.amdhsa_exception_fp_denorm_src 0
		.amdhsa_exception_fp_ieee_div_zero 0
		.amdhsa_exception_fp_ieee_overflow 0
		.amdhsa_exception_fp_ieee_underflow 0
		.amdhsa_exception_fp_ieee_inexact 0
		.amdhsa_exception_int_div_zero 0
	.end_amdhsa_kernel
	.section	.text._Z35paged_attention_ll4mi_reduce_kernelI14__hip_bfloat16hLi128ELi128ELi256ELi5EEvPT0_PKfS4_PKT_PKiS9_iS4_,"axG",@progbits,_Z35paged_attention_ll4mi_reduce_kernelI14__hip_bfloat16hLi128ELi128ELi256ELi5EEvPT0_PKfS4_PKT_PKiS9_iS4_,comdat
.Lfunc_end596:
	.size	_Z35paged_attention_ll4mi_reduce_kernelI14__hip_bfloat16hLi128ELi128ELi256ELi5EEvPT0_PKfS4_PKT_PKiS9_iS4_, .Lfunc_end596-_Z35paged_attention_ll4mi_reduce_kernelI14__hip_bfloat16hLi128ELi128ELi256ELi5EEvPT0_PKfS4_PKT_PKiS9_iS4_
                                        ; -- End function
	.section	.AMDGPU.csdata,"",@progbits
; Kernel info:
; codeLenInByte = 8836
; NumSgprs: 46
; NumVgprs: 127
; NumAgprs: 0
; TotalNumVgprs: 127
; ScratchSize: 0
; MemoryBound: 0
; FloatMode: 240
; IeeeMode: 1
; LDSByteSize: 1284 bytes/workgroup (compile time only)
; SGPRBlocks: 5
; VGPRBlocks: 15
; NumSGPRsForWavesPerEU: 46
; NumVGPRsForWavesPerEU: 127
; AccumOffset: 128
; Occupancy: 4
; WaveLimiterHint : 1
; COMPUTE_PGM_RSRC2:SCRATCH_EN: 0
; COMPUTE_PGM_RSRC2:USER_SGPR: 2
; COMPUTE_PGM_RSRC2:TRAP_HANDLER: 0
; COMPUTE_PGM_RSRC2:TGID_X_EN: 1
; COMPUTE_PGM_RSRC2:TGID_Y_EN: 1
; COMPUTE_PGM_RSRC2:TGID_Z_EN: 0
; COMPUTE_PGM_RSRC2:TIDIG_COMP_CNT: 0
; COMPUTE_PGM_RSRC3_GFX90A:ACCUM_OFFSET: 31
; COMPUTE_PGM_RSRC3_GFX90A:TG_SPLIT: 0
	.section	.text._Z35paged_attention_ll4mi_reduce_kernelI14__hip_bfloat16hLi128ELi128ELi256ELi6EEvPT0_PKfS4_PKT_PKiS9_iS4_,"axG",@progbits,_Z35paged_attention_ll4mi_reduce_kernelI14__hip_bfloat16hLi128ELi128ELi256ELi6EEvPT0_PKfS4_PKT_PKiS9_iS4_,comdat
	.protected	_Z35paged_attention_ll4mi_reduce_kernelI14__hip_bfloat16hLi128ELi128ELi256ELi6EEvPT0_PKfS4_PKT_PKiS9_iS4_ ; -- Begin function _Z35paged_attention_ll4mi_reduce_kernelI14__hip_bfloat16hLi128ELi128ELi256ELi6EEvPT0_PKfS4_PKT_PKiS9_iS4_
	.globl	_Z35paged_attention_ll4mi_reduce_kernelI14__hip_bfloat16hLi128ELi128ELi256ELi6EEvPT0_PKfS4_PKT_PKiS9_iS4_
	.p2align	8
	.type	_Z35paged_attention_ll4mi_reduce_kernelI14__hip_bfloat16hLi128ELi128ELi256ELi6EEvPT0_PKfS4_PKT_PKiS9_iS4_,@function
_Z35paged_attention_ll4mi_reduce_kernelI14__hip_bfloat16hLi128ELi128ELi256ELi6EEvPT0_PKfS4_PKT_PKiS9_iS4_: ; @_Z35paged_attention_ll4mi_reduce_kernelI14__hip_bfloat16hLi128ELi128ELi256ELi6EEvPT0_PKfS4_PKT_PKiS9_iS4_
; %bb.0:
	s_load_dwordx2 s[26:27], s[0:1], 0x28
	s_mov_b32 s24, s3
	s_mov_b64 s[4:5], 0
	s_waitcnt lgkmcnt(0)
	s_cmp_lg_u64 s[26:27], 0
	s_cselect_b64 s[28:29], -1, 0
	s_and_b64 vcc, exec, s[28:29]
	s_cbranch_vccz .LBB597_23
; %bb.1:
	s_add_i32 s6, s24, 1
	s_mov_b32 s7, 0
	s_lshl_b64 s[8:9], s[6:7], 2
	s_add_u32 s8, s26, s8
	s_mov_b32 s25, s7
	s_addc_u32 s9, s27, s9
	s_lshl_b64 s[6:7], s[24:25], 2
	s_add_u32 s6, s26, s6
	s_addc_u32 s7, s27, s7
	s_load_dword s3, s[8:9], 0x0
	s_load_dword s10, s[6:7], 0x0
	s_waitcnt lgkmcnt(0)
	s_sub_i32 s3, s3, s10
	s_cmp_eq_u32 s3, 1
	s_cselect_b64 s[6:7], -1, 0
	s_andn2_b64 vcc, exec, s[4:5]
	s_cbranch_vccnz .LBB597_3
.LBB597_2:
	s_mov_b32 s25, 0
	s_mov_b64 s[6:7], -1
.LBB597_3:
	s_andn2_b64 vcc, exec, s[6:7]
	s_cbranch_vccz .LBB597_5
; %bb.4:
	s_endpgm
.LBB597_5:
	s_load_dwordx4 s[16:19], s[0:1], 0x18
	s_load_dword s8, s[0:1], 0x30
	s_lshl_b64 s[30:31], s[24:25], 2
	v_cmp_lt_u32_e32 vcc, 63, v0
	s_waitcnt lgkmcnt(0)
	s_add_u32 s4, s18, s30
	s_addc_u32 s5, s19, s31
	s_load_dword s38, s[4:5], 0x0
	s_load_dword s3, s[0:1], 0x40
	s_mul_i32 s18, s2, s8
	s_mul_i32 s6, s24, s8
	s_waitcnt lgkmcnt(0)
	s_add_i32 s7, s38, 0xff
	s_ashr_i32 s4, s7, 31
	s_lshr_b32 s4, s4, 24
	s_add_i32 s7, s7, s4
	s_and_saveexec_b64 s[4:5], vcc
	s_xor_b64 s[4:5], exec, s[4:5]
	s_or_saveexec_b64 s[34:35], s[4:5]
	s_ashr_i32 s33, s7, 8
	v_mov_b32_e32 v1, s18
	s_mul_i32 s36, s6, s3
	s_xor_b64 exec, exec, s[34:35]
	s_cbranch_execz .LBB597_9
; %bb.6:
	s_add_i32 s4, s33, -1
	v_or_b32_e32 v3, 64, v0
	v_mov_b32_e32 v1, s4
	v_cmp_gt_u32_e64 s[10:11], s33, v3
	s_load_dwordx4 s[20:23], s[0:1], 0x8
	s_mov_b32 s37, 0
	v_cndmask_b32_e64 v4, v1, v3, s[10:11]
	v_or_b32_e32 v3, 0x80, v0
	v_cmp_gt_u32_e64 s[8:9], s33, v3
	s_lshl_b64 s[14:15], s[36:37], 2
	s_mov_b32 s19, s37
	v_cndmask_b32_e64 v6, v1, v3, s[8:9]
	v_or_b32_e32 v3, 0xc0, v0
	v_cmp_gt_u32_e64 s[6:7], s33, v3
	v_cmp_gt_u32_e64 s[12:13], s33, v0
	s_waitcnt lgkmcnt(0)
	s_add_u32 s37, s22, s14
	v_cndmask_b32_e64 v8, v1, v3, s[6:7]
	v_or_b32_e32 v3, 0x100, v0
	v_cmp_gt_u32_e64 s[4:5], s33, v3
	v_cndmask_b32_e64 v2, v1, v0, s[12:13]
	s_addc_u32 s39, s23, s15
	v_cndmask_b32_e64 v10, v1, v3, s[4:5]
	v_or_b32_e32 v3, 0x140, v0
	v_cmp_gt_u32_e32 vcc, s33, v3
	s_lshl_b64 s[22:23], s[18:19], 2
	s_add_u32 s40, s37, s22
	v_cndmask_b32_e32 v12, v1, v3, vcc
	v_ashrrev_i32_e32 v3, 31, v2
	s_addc_u32 s41, s39, s23
	v_lshlrev_b64 v[2:3], 2, v[2:3]
	v_ashrrev_i32_e32 v5, 31, v4
	v_ashrrev_i32_e32 v7, 31, v6
	;; [unrolled: 1-line block ×5, first 2 shown]
	v_lshl_add_u64 v[14:15], s[40:41], 0, v[2:3]
	v_lshlrev_b64 v[4:5], 2, v[4:5]
	v_lshlrev_b64 v[6:7], 2, v[6:7]
	;; [unrolled: 1-line block ×5, first 2 shown]
	v_lshl_add_u64 v[16:17], s[40:41], 0, v[4:5]
	v_lshl_add_u64 v[18:19], s[40:41], 0, v[6:7]
	;; [unrolled: 1-line block ×5, first 2 shown]
	global_load_dword v1, v[14:15], off
	global_load_dword v26, v[16:17], off
	;; [unrolled: 1-line block ×6, first 2 shown]
	v_mbcnt_lo_u32_b32 v14, -1, 0
	s_add_u32 s14, s20, s14
	v_mbcnt_hi_u32_b32 v14, -1, v14
	s_addc_u32 s15, s21, s15
	v_and_b32_e32 v15, 64, v14
	s_add_u32 s20, s14, s22
	v_xor_b32_e32 v16, 32, v14
	v_add_u32_e32 v15, 64, v15
	s_addc_u32 s21, s15, s23
	v_lshl_add_u64 v[2:3], s[20:21], 0, v[2:3]
	v_cmp_lt_i32_e64 s[14:15], v16, v15
	global_load_dword v20, v[2:3], off
	v_xor_b32_e32 v17, 16, v14
	v_cndmask_b32_e64 v2, v14, v16, s[14:15]
	v_lshlrev_b32_e32 v16, 2, v2
	v_cmp_lt_i32_e64 s[14:15], v17, v15
	v_xor_b32_e32 v18, 8, v14
	v_xor_b32_e32 v19, 4, v14
	s_mov_b32 s19, 0x3fb8aa3b
	s_mov_b32 s37, 0xc2ce8ed0
	s_waitcnt vmcnt(6)
	v_max_f32_e32 v3, v1, v1
	s_waitcnt vmcnt(5)
	v_max_f32_e32 v2, v26, v26
	v_max_f32_e32 v2, v3, v2
	s_waitcnt vmcnt(3)
	v_max3_f32 v2, v2, v27, v28
	s_waitcnt vmcnt(1)
	v_max3_f32 v21, v2, v29, v30
	ds_bpermute_b32 v22, v16, v21
	v_cndmask_b32_e64 v2, v14, v17, s[14:15]
	v_lshlrev_b32_e32 v17, 2, v2
	v_lshl_add_u64 v[2:3], s[20:21], 0, v[4:5]
	global_load_dword v23, v[2:3], off
	s_waitcnt lgkmcnt(0)
	v_max_f32_e32 v2, v22, v22
	v_max_f32_e32 v2, v21, v2
	ds_bpermute_b32 v3, v17, v2
	v_cmp_lt_i32_e64 s[14:15], v18, v15
	v_xor_b32_e32 v4, 2, v14
	s_waitcnt lgkmcnt(0)
	v_max_f32_e32 v3, v3, v3
	v_cndmask_b32_e64 v5, v14, v18, s[14:15]
	v_lshlrev_b32_e32 v18, 2, v5
	v_max_f32_e32 v5, v2, v3
	ds_bpermute_b32 v21, v18, v5
	v_cmp_lt_i32_e64 s[14:15], v19, v15
	s_nop 1
	v_cndmask_b32_e64 v2, v14, v19, s[14:15]
	v_lshlrev_b32_e32 v19, 2, v2
	v_lshl_add_u64 v[2:3], s[20:21], 0, v[6:7]
	global_load_dword v6, v[2:3], off
	s_waitcnt lgkmcnt(0)
	v_max_f32_e32 v2, v21, v21
	v_max_f32_e32 v2, v5, v2
	ds_bpermute_b32 v3, v19, v2
	v_xor_b32_e32 v5, 1, v14
	v_cmp_lt_i32_e64 s[14:15], v4, v15
	s_waitcnt lgkmcnt(0)
	v_max_f32_e32 v3, v3, v3
	v_cndmask_b32_e64 v4, v14, v4, s[14:15]
	v_cmp_lt_i32_e64 s[14:15], v5, v15
	v_max_f32_e32 v21, v2, v3
	v_lshlrev_b32_e32 v7, 2, v4
	v_cndmask_b32_e64 v2, v14, v5, s[14:15]
	v_lshlrev_b32_e32 v14, 2, v2
	v_lshl_add_u64 v[2:3], s[20:21], 0, v[8:9]
	v_lshl_add_u64 v[4:5], s[20:21], 0, v[10:11]
	global_load_dword v10, v[2:3], off
	v_lshl_add_u64 v[2:3], s[20:21], 0, v[12:13]
	global_load_dword v11, v[4:5], off
	global_load_dword v12, v[2:3], off
	ds_bpermute_b32 v22, v7, v21
	s_mov_b32 s20, 0x42b17218
	s_waitcnt lgkmcnt(0)
	v_max_f32_e32 v8, v22, v22
	v_max_f32_e32 v8, v21, v8
	ds_bpermute_b32 v9, v14, v8
	s_waitcnt lgkmcnt(0)
	v_max_f32_e32 v2, v9, v9
	v_max_f32_e32 v2, v8, v2
	v_sub_f32_e32 v1, v1, v2
	v_mul_f32_e32 v4, 0x3fb8aa3b, v1
	v_fma_f32 v8, v1, s19, -v4
	v_rndne_f32_e32 v9, v4
	v_sub_f32_e32 v3, v26, v2
	v_fmac_f32_e32 v8, 0x32a5705f, v1
	v_sub_f32_e32 v4, v4, v9
	v_mul_f32_e32 v5, 0x3fb8aa3b, v3
	v_add_f32_e32 v4, v4, v8
	v_fma_f32 v13, v3, s19, -v5
	v_rndne_f32_e32 v15, v5
	v_cvt_i32_f32_e32 v9, v9
	v_exp_f32_e32 v4, v4
	v_fmac_f32_e32 v13, 0x32a5705f, v3
	v_sub_f32_e32 v5, v5, v15
	v_add_f32_e32 v5, v5, v13
	v_cvt_i32_f32_e32 v15, v15
	v_exp_f32_e32 v5, v5
	v_ldexp_f32 v4, v4, v9
	v_cmp_ngt_f32_e64 s[14:15], s37, v1
	v_mov_b32_e32 v8, 0x7f800000
	v_ldexp_f32 v5, v5, v15
	v_cndmask_b32_e64 v4, 0, v4, s[14:15]
	v_cmp_nlt_f32_e64 s[14:15], s20, v1
	s_nop 1
	v_cndmask_b32_e64 v1, v8, v4, s[14:15]
	v_cndmask_b32_e64 v1, 0, v1, s[12:13]
	v_cmp_ngt_f32_e64 s[12:13], s37, v3
	s_waitcnt vmcnt(5)
	v_mul_f32_e32 v4, v20, v1
	v_cndmask_b32_e64 v1, 0, v5, s[12:13]
	v_sub_f32_e32 v5, v27, v2
	v_mul_f32_e32 v9, 0x3fb8aa3b, v5
	v_fma_f32 v13, v5, s19, -v9
	v_rndne_f32_e32 v15, v9
	v_fmac_f32_e32 v13, 0x32a5705f, v5
	v_sub_f32_e32 v9, v9, v15
	v_add_f32_e32 v9, v9, v13
	v_exp_f32_e32 v9, v9
	v_cvt_i32_f32_e32 v13, v15
	v_cmp_nlt_f32_e64 s[12:13], s20, v3
	s_nop 1
	v_cndmask_b32_e64 v1, v8, v1, s[12:13]
	v_cndmask_b32_e64 v1, 0, v1, s[10:11]
	s_waitcnt vmcnt(4)
	v_mul_f32_e32 v3, v23, v1
	v_ldexp_f32 v1, v9, v13
	v_sub_f32_e32 v9, v28, v2
	v_mul_f32_e32 v13, 0x3fb8aa3b, v9
	v_fma_f32 v15, v9, s19, -v13
	v_rndne_f32_e32 v20, v13
	v_fmac_f32_e32 v15, 0x32a5705f, v9
	v_sub_f32_e32 v13, v13, v20
	v_cmp_ngt_f32_e64 s[10:11], s37, v5
	v_add_f32_e32 v13, v13, v15
	v_exp_f32_e32 v13, v13
	v_cndmask_b32_e64 v1, 0, v1, s[10:11]
	v_cvt_i32_f32_e32 v15, v20
	v_cmp_nlt_f32_e64 s[10:11], s20, v5
	s_nop 1
	v_cndmask_b32_e64 v1, v8, v1, s[10:11]
	v_cndmask_b32_e64 v1, 0, v1, s[8:9]
	s_waitcnt vmcnt(3)
	v_mul_f32_e32 v5, v6, v1
	v_sub_f32_e32 v6, v29, v2
	v_ldexp_f32 v1, v13, v15
	v_mul_f32_e32 v13, 0x3fb8aa3b, v6
	v_fma_f32 v15, v6, s19, -v13
	v_rndne_f32_e32 v20, v13
	v_fmac_f32_e32 v15, 0x32a5705f, v6
	v_sub_f32_e32 v13, v13, v20
	v_cmp_ngt_f32_e64 s[8:9], s37, v9
	v_add_f32_e32 v13, v13, v15
	v_exp_f32_e32 v13, v13
	v_cndmask_b32_e64 v1, 0, v1, s[8:9]
	v_cvt_i32_f32_e32 v15, v20
	v_cmp_nlt_f32_e64 s[8:9], s20, v9
	v_sub_f32_e32 v2, v30, v2
	s_nop 0
	v_cndmask_b32_e64 v1, v8, v1, s[8:9]
	v_cndmask_b32_e64 v1, 0, v1, s[6:7]
	s_waitcnt vmcnt(2)
	v_mul_f32_e32 v9, v10, v1
	v_mul_f32_e32 v10, 0x3fb8aa3b, v2
	v_ldexp_f32 v1, v13, v15
	v_fma_f32 v13, v2, s19, -v10
	v_rndne_f32_e32 v15, v10
	v_fmac_f32_e32 v13, 0x32a5705f, v2
	v_sub_f32_e32 v10, v10, v15
	v_add_f32_e32 v10, v10, v13
	v_cmp_ngt_f32_e64 s[6:7], s37, v6
	v_exp_f32_e32 v10, v10
	v_cvt_i32_f32_e32 v13, v15
	v_cndmask_b32_e64 v1, 0, v1, s[6:7]
	v_cmp_nlt_f32_e64 s[6:7], s20, v6
	s_nop 1
	v_cndmask_b32_e64 v1, v8, v1, s[6:7]
	v_cndmask_b32_e64 v1, 0, v1, s[4:5]
	s_waitcnt vmcnt(1)
	v_mul_f32_e32 v6, v11, v1
	v_ldexp_f32 v1, v10, v13
	v_cmp_ngt_f32_e64 s[4:5], s37, v2
	s_nop 1
	v_cndmask_b32_e64 v1, 0, v1, s[4:5]
	v_cmp_nlt_f32_e64 s[4:5], s20, v2
	s_nop 1
	v_cndmask_b32_e64 v1, v8, v1, s[4:5]
	v_cndmask_b32_e32 v1, 0, v1, vcc
	s_waitcnt vmcnt(0)
	v_mul_f32_e32 v8, v12, v1
	v_add_f32_e32 v1, v4, v3
	v_add_f32_e32 v1, v1, v5
	;; [unrolled: 1-line block ×5, first 2 shown]
	ds_bpermute_b32 v2, v16, v1
	v_cmp_eq_u32_e32 vcc, 0, v0
	s_waitcnt lgkmcnt(0)
	v_add_f32_e32 v1, v1, v2
	ds_bpermute_b32 v2, v17, v1
	s_waitcnt lgkmcnt(0)
	v_add_f32_e32 v1, v1, v2
	ds_bpermute_b32 v2, v18, v1
	;; [unrolled: 3-line block ×4, first 2 shown]
	v_lshlrev_b32_e32 v7, 2, v0
	ds_write2st64_b32 v7, v4, v3 offset1:1
	ds_write2st64_b32 v7, v5, v9 offset0:2 offset1:3
	ds_write2st64_b32 v7, v6, v8 offset0:4 offset1:5
	s_waitcnt lgkmcnt(3)
	v_add_f32_e32 v1, v1, v2
	ds_bpermute_b32 v2, v14, v1
	s_and_saveexec_b64 s[4:5], vcc
	s_cbranch_execz .LBB597_8
; %bb.7:
	s_waitcnt lgkmcnt(0)
	v_add_f32_e32 v1, v1, v2
	v_mov_b32_e32 v2, 0
	ds_write_b32 v2, v1 offset:1536
.LBB597_8:
	s_or_b64 exec, exec, s[4:5]
	v_mov_b32_e32 v1, s18
.LBB597_9:
	s_or_b64 exec, exec, s[34:35]
	s_lshl_b32 s4, s36, 7
	s_mov_b32 s5, 0
	s_lshl_b64 s[4:5], s[4:5], 1
	s_add_u32 s4, s16, s4
	s_addc_u32 s5, s17, s5
	s_lshl_b32 s10, s33, 7
	s_waitcnt lgkmcnt(0)
	v_lshlrev_b32_e32 v2, 7, v1
	v_mov_b32_e32 v1, 0
	s_add_i32 s11, s10, 0xffffff80
	v_mov_b32_e32 v3, v1
	s_cmp_lt_i32 s38, 1
	v_lshl_add_u64 v[2:3], v[2:3], 1, s[4:5]
	s_cselect_b32 s4, s11, 0
	v_lshlrev_b32_e32 v4, 1, v0
	v_mov_b32_e32 v5, v1
	s_ashr_i32 s5, s4, 31
	v_lshl_add_u64 v[2:3], v[2:3], 0, v[4:5]
	s_cmpk_lt_i32 s38, 0x101
	v_lshl_add_u64 v[4:5], s[4:5], 1, v[2:3]
	s_cselect_b32 s4, s11, 0x80
	s_ashr_i32 s5, s4, 31
	s_cmpk_lt_i32 s38, 0x201
	v_lshl_add_u64 v[6:7], s[4:5], 1, v[2:3]
	s_cselect_b32 s4, s11, 0x100
	s_ashr_i32 s5, s4, 31
	s_cmpk_lt_i32 s38, 0x301
	v_lshl_add_u64 v[8:9], s[4:5], 1, v[2:3]
	s_cselect_b32 s4, s11, 0x180
	s_ashr_i32 s5, s4, 31
	s_cmpk_lt_i32 s38, 0x401
	v_lshl_add_u64 v[10:11], s[4:5], 1, v[2:3]
	s_cselect_b32 s4, s11, 0x200
	s_ashr_i32 s5, s4, 31
	s_cmpk_lt_i32 s38, 0x501
	v_lshl_add_u64 v[12:13], s[4:5], 1, v[2:3]
	s_cselect_b32 s4, s11, 0x280
	s_ashr_i32 s5, s4, 31
	s_cmpk_lt_i32 s38, 0x601
	v_lshl_add_u64 v[14:15], s[4:5], 1, v[2:3]
	s_cselect_b32 s4, s11, 0x300
	s_ashr_i32 s5, s4, 31
	s_cmpk_lt_i32 s38, 0x701
	v_lshl_add_u64 v[24:25], s[4:5], 1, v[2:3]
	s_cselect_b32 s4, s11, 0x380
	s_ashr_i32 s5, s4, 31
	s_cmpk_lt_i32 s38, 0x801
	v_lshl_add_u64 v[26:27], s[4:5], 1, v[2:3]
	s_cselect_b32 s4, s11, 0x400
	s_ashr_i32 s5, s4, 31
	s_cmpk_lt_i32 s38, 0x901
	global_load_ushort v23, v[4:5], off
	global_load_ushort v22, v[6:7], off
	;; [unrolled: 1-line block ×8, first 2 shown]
	v_lshl_add_u64 v[4:5], s[4:5], 1, v[2:3]
	s_cselect_b32 s4, s11, 0x480
	s_ashr_i32 s5, s4, 31
	s_cmpk_lt_i32 s38, 0xa01
	v_lshl_add_u64 v[6:7], s[4:5], 1, v[2:3]
	s_cselect_b32 s4, s11, 0x500
	s_ashr_i32 s5, s4, 31
	s_cmpk_lt_i32 s38, 0xb01
	;; [unrolled: 4-line block ×6, first 2 shown]
	v_lshl_add_u64 v[32:33], s[4:5], 1, v[2:3]
	s_cselect_b32 s4, s11, 0x780
	s_ashr_i32 s5, s4, 31
	v_lshl_add_u64 v[34:35], s[4:5], 1, v[2:3]
	global_load_ushort v30, v[4:5], off
	global_load_ushort v31, v[6:7], off
	;; [unrolled: 1-line block ×8, first 2 shown]
	s_cmpk_gt_i32 s38, 0x1000
	s_cselect_b64 s[8:9], -1, 0
	s_cmpk_lt_i32 s38, 0x1001
	v_mov_b32_e32 v40, 0
	v_mov_b32_e32 v41, 0
	;; [unrolled: 1-line block ×48, first 2 shown]
	s_barrier
	s_cbranch_scc1 .LBB597_12
; %bb.10:
	s_cmpk_lt_u32 s38, 0x1101
	s_cselect_b32 s4, s11, 0x880
	s_ashr_i32 s5, s4, 31
	s_cmpk_lt_u32 s38, 0x1201
	v_lshl_add_u64 v[6:7], s[4:5], 1, v[2:3]
	s_cselect_b32 s4, s11, 0x900
	s_ashr_i32 s5, s4, 31
	s_cmpk_lt_u32 s38, 0x1301
	v_lshl_add_u64 v[8:9], s[4:5], 1, v[2:3]
	;; [unrolled: 4-line block ×7, first 2 shown]
	s_cselect_b32 s4, s11, 0xc00
	v_add_co_u32_e32 v4, vcc, 0x1000, v2
	s_ashr_i32 s5, s4, 31
	s_nop 0
	v_addc_co_u32_e32 v5, vcc, 0, v3, vcc
	s_cmpk_lt_u32 s38, 0x1901
	global_load_ushort v39, v[4:5], off
	global_load_ushort v38, v[6:7], off
	;; [unrolled: 1-line block ×8, first 2 shown]
	v_lshl_add_u64 v[4:5], s[4:5], 1, v[2:3]
	s_cselect_b32 s4, s11, 0xc80
	s_ashr_i32 s5, s4, 31
	s_cmpk_lt_u32 s38, 0x1a01
	v_lshl_add_u64 v[6:7], s[4:5], 1, v[2:3]
	s_cselect_b32 s4, s11, 0xd00
	s_ashr_i32 s5, s4, 31
	s_cmpk_lt_u32 s38, 0x1b01
	;; [unrolled: 4-line block ×6, first 2 shown]
	v_lshl_add_u64 v[48:49], s[4:5], 1, v[2:3]
	s_cselect_b32 s4, s11, 0xf80
	s_ashr_i32 s5, s4, 31
	v_lshl_add_u64 v[50:51], s[4:5], 1, v[2:3]
	global_load_ushort v47, v[4:5], off
	global_load_ushort v46, v[6:7], off
	;; [unrolled: 1-line block ×8, first 2 shown]
	s_cmpk_lt_u32 s38, 0x2001
	v_mov_b32_e32 v67, 0
	v_mov_b32_e32 v65, 0
	;; [unrolled: 1-line block ×32, first 2 shown]
	s_cbranch_scc1 .LBB597_12
; %bb.11:
	s_cmpk_lt_u32 s38, 0x2101
	s_cselect_b32 s4, s11, 0x1080
	s_ashr_i32 s5, s4, 31
	s_cmpk_lt_u32 s38, 0x2201
	v_lshl_add_u64 v[4:5], s[4:5], 1, v[2:3]
	s_cselect_b32 s4, s11, 0x1100
	s_ashr_i32 s5, s4, 31
	s_cmpk_lt_u32 s38, 0x2301
	v_lshl_add_u64 v[6:7], s[4:5], 1, v[2:3]
	;; [unrolled: 4-line block ×29, first 2 shown]
	s_cselect_b32 s4, s11, 0x1f00
	s_ashr_i32 s5, s4, 31
	v_lshl_add_u64 v[94:95], s[4:5], 1, v[2:3]
	s_movk_i32 s4, 0x2000
	s_cmpk_lt_u32 s38, 0x3f01
	v_add_co_u32_e32 v96, vcc, s4, v2
	s_cselect_b32 s4, s11, 0x1f80
	s_nop 0
	v_addc_co_u32_e32 v97, vcc, 0, v3, vcc
	s_ashr_i32 s5, s4, 31
	global_load_ushort v98, v[96:97], off
	global_load_ushort v99, v[4:5], off
	;; [unrolled: 1-line block ×15, first 2 shown]
                                        ; kill: killed $vgpr48_vgpr49
                                        ; kill: killed $vgpr54_vgpr55
                                        ; kill: killed $vgpr6_vgpr7
                                        ; kill: killed $vgpr60_vgpr61
                                        ; kill: killed $vgpr12_vgpr13
                                        ; kill: killed $vgpr50_vgpr51
                                        ; kill: killed $vgpr56_vgpr57
                                        ; kill: killed $vgpr8_vgpr9
                                        ; kill: killed $vgpr62_vgpr63
                                        ; kill: killed $vgpr14_vgpr15
                                        ; kill: killed $vgpr96 killed $vgpr97
                                        ; kill: killed $vgpr52_vgpr53
                                        ; kill: killed $vgpr4_vgpr5
                                        ; kill: killed $vgpr58_vgpr59
                                        ; kill: killed $vgpr10_vgpr11
	global_load_ushort v6, v[64:65], off
	global_load_ushort v7, v[66:67], off
	;; [unrolled: 1-line block ×15, first 2 shown]
                                        ; kill: killed $vgpr80_vgpr81
                                        ; kill: killed $vgpr64_vgpr65
                                        ; kill: killed $vgpr70_vgpr71
                                        ; kill: killed $vgpr92_vgpr93
                                        ; kill: killed $vgpr76_vgpr77
                                        ; kill: killed $vgpr82_vgpr83
                                        ; kill: killed $vgpr66_vgpr67
                                        ; kill: killed $vgpr88_vgpr89
                                        ; kill: killed $vgpr72_vgpr73
                                        ; kill: killed $vgpr94_vgpr95
                                        ; kill: killed $vgpr78_vgpr79
                                        ; kill: killed $vgpr84_vgpr85
                                        ; kill: killed $vgpr68_vgpr69
                                        ; kill: killed $vgpr90_vgpr91
                                        ; kill: killed $vgpr74_vgpr75
	global_load_ushort v68, v[86:87], off
	v_lshl_add_u64 v[4:5], s[4:5], 1, v[2:3]
	global_load_ushort v5, v[4:5], off
	s_waitcnt vmcnt(31)
	v_lshlrev_b32_e32 v67, 16, v98
	s_waitcnt vmcnt(30)
	v_lshlrev_b32_e32 v65, 16, v99
	;; [unrolled: 2-line block ×32, first 2 shown]
.LBB597_12:
	s_load_dwordx2 s[4:5], s[0:1], 0x0
	s_load_dwordx2 s[6:7], s[0:1], 0x38
	ds_read_b128 v[68:71], v1
	s_waitcnt vmcnt(15)
	v_lshlrev_b32_e32 v23, 16, v23
	ds_read_b128 v[72:75], v1 offset:16
	ds_read_b128 v[76:79], v1 offset:32
	;; [unrolled: 1-line block ×3, first 2 shown]
	s_waitcnt vmcnt(14)
	v_lshlrev_b32_e32 v22, 16, v22
	s_waitcnt vmcnt(13)
	v_lshlrev_b32_e32 v21, 16, v21
	s_waitcnt lgkmcnt(0)
	v_fma_f32 v23, v68, v23, 0
	v_fmac_f32_e32 v23, v69, v22
	v_fmac_f32_e32 v23, v70, v21
	s_waitcnt vmcnt(12)
	v_lshlrev_b32_e32 v20, 16, v20
	s_waitcnt vmcnt(10)
	v_lshlrev_b32_e32 v19, 16, v19
	v_lshlrev_b32_e32 v18, 16, v18
	v_fmac_f32_e32 v23, v71, v20
	v_pk_mul_f32 v[18:19], v[72:73], v[18:19]
	s_waitcnt vmcnt(8)
	v_lshlrev_b32_e32 v17, 16, v17
	v_add_f32_e32 v18, v23, v18
	v_lshlrev_b32_e32 v16, 16, v16
	v_add_f32_e32 v18, v18, v19
	v_pk_mul_f32 v[16:17], v[74:75], v[16:17]
	s_and_b64 vcc, exec, s[8:9]
	v_add_f32_e32 v16, v18, v16
	v_add_f32_e32 v18, v16, v17
	s_waitcnt vmcnt(6)
	v_lshlrev_b32_e32 v17, 16, v31
	v_lshlrev_b32_e32 v16, 16, v30
	v_pk_mul_f32 v[16:17], v[76:77], v[16:17]
	s_nop 0
	v_add_f32_e32 v16, v18, v16
	v_add_f32_e32 v18, v16, v17
	s_waitcnt vmcnt(4)
	v_lshlrev_b32_e32 v17, 16, v29
	v_lshlrev_b32_e32 v16, 16, v28
	v_pk_mul_f32 v[16:17], v[78:79], v[16:17]
	s_nop 0
	;; [unrolled: 7-line block ×4, first 2 shown]
	v_add_f32_e32 v16, v18, v16
	v_add_f32_e32 v110, v16, v17
	s_cbranch_vccz .LBB597_15
; %bb.13:
	ds_read_b128 v[16:19], v1 offset:64
	v_lshlrev_b32_e32 v39, 16, v39
	ds_read_b128 v[20:23], v1 offset:80
	ds_read_b128 v[24:27], v1 offset:96
	;; [unrolled: 1-line block ×3, first 2 shown]
	s_cmpk_lt_u32 s38, 0x2001
	s_waitcnt lgkmcnt(3)
	v_fmac_f32_e32 v110, v16, v39
	v_lshlrev_b32_e32 v16, 16, v38
	v_fmac_f32_e32 v110, v17, v16
	v_lshlrev_b32_e32 v16, 16, v37
	v_fmac_f32_e32 v110, v18, v16
	v_lshlrev_b32_e32 v16, 16, v36
	v_fmac_f32_e32 v110, v19, v16
	v_lshlrev_b32_e32 v16, 16, v35
	s_waitcnt lgkmcnt(2)
	v_fmac_f32_e32 v110, v20, v16
	v_lshlrev_b32_e32 v16, 16, v34
	v_fmac_f32_e32 v110, v21, v16
	v_lshlrev_b32_e32 v16, 16, v33
	v_fmac_f32_e32 v110, v22, v16
	v_lshlrev_b32_e32 v16, 16, v32
	v_fmac_f32_e32 v110, v23, v16
	v_lshlrev_b32_e32 v16, 16, v47
	;; [unrolled: 9-line block ×3, first 2 shown]
	s_waitcnt lgkmcnt(0)
	v_fmac_f32_e32 v110, v28, v16
	v_lshlrev_b32_e32 v16, 16, v42
	v_fmac_f32_e32 v110, v29, v16
	v_lshlrev_b32_e32 v16, 16, v41
	;; [unrolled: 2-line block ×3, first 2 shown]
	v_fmac_f32_e32 v110, v31, v16
	s_cbranch_scc1 .LBB597_15
; %bb.14:
	v_mov_b32_e32 v32, 0
	ds_read_b128 v[16:19], v32 offset:128
	ds_read_b128 v[20:23], v32 offset:144
	;; [unrolled: 1-line block ×4, first 2 shown]
	s_waitcnt lgkmcnt(3)
	v_fmac_f32_e32 v110, v16, v67
	v_fmac_f32_e32 v110, v17, v65
	v_fmac_f32_e32 v110, v18, v66
	v_fmac_f32_e32 v110, v19, v63
	s_waitcnt lgkmcnt(2)
	v_fmac_f32_e32 v110, v20, v64
	v_fmac_f32_e32 v110, v21, v61
	v_fmac_f32_e32 v110, v22, v62
	v_fmac_f32_e32 v110, v23, v59
	;; [unrolled: 5-line block ×3, first 2 shown]
	ds_read_b128 v[16:19], v32 offset:192
	ds_read_b128 v[20:23], v32 offset:208
	s_waitcnt lgkmcnt(2)
	v_fmac_f32_e32 v110, v28, v56
	v_fmac_f32_e32 v110, v29, v53
	;; [unrolled: 1-line block ×4, first 2 shown]
	s_waitcnt lgkmcnt(1)
	v_fmac_f32_e32 v110, v16, v51
	v_fmac_f32_e32 v110, v17, v49
	;; [unrolled: 1-line block ×4, first 2 shown]
	s_waitcnt lgkmcnt(0)
	v_pk_mul_f32 v[14:15], v[20:21], v[14:15]
	v_pk_mul_f32 v[12:13], v[22:23], v[12:13]
	v_add_f32_e32 v14, v110, v14
	v_add_f32_e32 v18, v14, v15
	ds_read_b128 v[14:17], v32 offset:224
	v_add_f32_e32 v12, v18, v12
	ds_read_b128 v[18:21], v32 offset:240
	v_add_f32_e32 v12, v12, v13
	s_waitcnt lgkmcnt(1)
	v_pk_mul_f32 v[10:11], v[14:15], v[10:11]
	s_nop 0
	v_add_f32_e32 v10, v12, v10
	v_add_f32_e32 v10, v10, v11
	v_pk_mul_f32 v[8:9], v[16:17], v[8:9]
	s_waitcnt lgkmcnt(0)
	v_pk_mul_f32 v[6:7], v[18:19], v[6:7]
	v_add_f32_e32 v8, v10, v8
	v_add_f32_e32 v8, v8, v9
	;; [unrolled: 1-line block ×4, first 2 shown]
	v_pk_mul_f32 v[4:5], v[20:21], v[4:5]
	s_nop 0
	v_add_f32_e32 v4, v6, v4
	v_add_f32_e32 v110, v4, v5
.LBB597_15:
	s_movk_i32 s0, 0x3f80
	s_movk_i32 s1, 0x100
	s_mov_b32 s8, 64
	s_branch .LBB597_17
.LBB597_16:                             ;   in Loop: Header=BB597_17 Depth=1
	s_addk_i32 s0, 0x2000
	s_addk_i32 s1, 0x100
	s_add_i32 s8, s8, 64
	s_cmpk_eq_u32 s0, 0xdf80
	s_cbranch_scc1 .LBB597_19
.LBB597_17:                             ; =>This Inner Loop Header: Depth=1
	s_cmp_le_i32 s33, s8
	s_cbranch_scc1 .LBB597_16
; %bb.18:                               ;   in Loop: Header=BB597_17 Depth=1
	s_add_i32 s9, s0, 0xffffe080
	s_cmp_lt_i32 s9, s10
	s_cselect_b32 s12, s9, s11
	s_ashr_i32 s13, s12, 31
	s_add_i32 s9, s0, 0xffffe100
	s_cmp_lt_i32 s9, s10
	v_lshl_add_u64 v[42:43], s[12:13], 1, v[2:3]
	s_cselect_b32 s12, s9, s11
	s_ashr_i32 s13, s12, 31
	s_add_i32 s9, s0, 0xffffe180
	s_cmp_lt_i32 s9, s10
	v_lshl_add_u64 v[4:5], s[12:13], 1, v[2:3]
	;; [unrolled: 5-line block ×21, first 2 shown]
	s_cselect_b32 s12, s9, s11
	s_ashr_i32 s13, s12, 31
	s_add_i32 s9, s0, 0xffffeb80
	s_cmp_lt_i32 s9, s10
	global_load_ushort v111, v[42:43], off
	global_load_ushort v121, v[44:45], off
	v_lshl_add_u64 v[32:33], s[12:13], 1, v[2:3]
	s_cselect_b32 s12, s9, s11
	global_load_ushort v112, v[4:5], off
	global_load_ushort v113, v[6:7], off
	;; [unrolled: 1-line block ×8, first 2 shown]
	s_ashr_i32 s13, s12, 31
	s_add_i32 s9, s0, 0xffffec00
	s_cmp_lt_i32 s9, s10
	v_lshl_add_u64 v[34:35], s[12:13], 1, v[2:3]
	s_cselect_b32 s12, s9, s11
	s_ashr_i32 s13, s12, 31
	s_add_i32 s9, s0, 0xffffec80
	s_cmp_lt_i32 s9, s10
	v_lshl_add_u64 v[48:49], s[12:13], 1, v[2:3]
	s_cselect_b32 s12, s9, s11
	;; [unrolled: 5-line block ×3, first 2 shown]
	global_load_ushort v120, v[28:29], off
	s_ashr_i32 s13, s12, 31
	s_add_i32 s9, s0, 0xffffed80
	s_cmp_lt_i32 s9, s10
	global_load_ushort v122, v[54:55], off
	global_load_ushort v123, v[56:57], off
	v_lshl_add_u64 v[18:19], s[12:13], 1, v[2:3]
	global_load_ushort v58, v[58:59], off
	s_cselect_b32 s12, s9, s11
	s_ashr_i32 s13, s12, 31
	s_add_i32 s9, s0, 0xffffee00
	s_cmp_lt_i32 s9, s10
	v_lshl_add_u64 v[20:21], s[12:13], 1, v[2:3]
	s_cselect_b32 s12, s9, s11
	s_ashr_i32 s13, s12, 31
	s_add_i32 s9, s0, 0xffffee80
	s_cmp_lt_i32 s9, s10
	v_lshl_add_u64 v[38:39], s[12:13], 1, v[2:3]
	;; [unrolled: 5-line block ×3, first 2 shown]
	s_cselect_b32 s12, s9, s11
	global_load_ushort v59, v[60:61], off
	s_ashr_i32 s13, s12, 31
	s_add_i32 s9, s0, 0xffffef80
	global_load_ushort v60, v[66:67], off
	global_load_ushort v61, v[62:63], off
	s_cmp_lt_i32 s9, s10
	v_lshl_add_u64 v[50:51], s[12:13], 1, v[2:3]
	s_cselect_b32 s12, s9, s11
	s_ashr_i32 s13, s12, 31
	s_add_i32 s9, s0, 0xfffff000
	s_cmp_lt_i32 s9, s10
	v_lshl_add_u64 v[52:53], s[12:13], 1, v[2:3]
	s_cselect_b32 s12, s9, s11
	s_ashr_i32 s13, s12, 31
	s_add_i32 s9, s0, 0xfffff080
	;; [unrolled: 5-line block ×3, first 2 shown]
	s_cmp_lt_i32 s9, s10
	v_lshl_add_u64 v[68:69], s[12:13], 1, v[2:3]
	s_cselect_b32 s12, s9, s11
	global_load_ushort v62, v[24:25], off
	s_ashr_i32 s13, s12, 31
	s_add_i32 s9, s0, 0xfffff180
	global_load_ushort v66, v[30:31], off
	global_load_ushort v124, v[32:33], off
	;; [unrolled: 1-line block ×4, first 2 shown]
	s_cmp_lt_i32 s9, s10
	v_lshl_add_u64 v[70:71], s[12:13], 1, v[2:3]
	s_cselect_b32 s12, s9, s11
	global_load_ushort v67, v[46:47], off
	s_ashr_i32 s13, s12, 31
	s_add_i32 s9, s0, 0xfffff200
	s_cmp_lt_i32 s9, s10
	v_lshl_add_u64 v[72:73], s[12:13], 1, v[2:3]
	s_cselect_b32 s12, s9, s11
	s_ashr_i32 s13, s12, 31
	s_add_i32 s9, s0, 0xfffff280
	s_cmp_lt_i32 s9, s10
	v_lshl_add_u64 v[74:75], s[12:13], 1, v[2:3]
	s_cselect_b32 s12, s9, s11
	s_ashr_i32 s13, s12, 31
	s_add_i32 s9, s0, 0xfffff300
	s_cmp_lt_i32 s9, s10
	v_mov_b32_e32 v125, s1
	v_lshl_add_u64 v[76:77], s[12:13], 1, v[2:3]
	s_cselect_b32 s12, s9, s11
	ds_read_b128 v[28:31], v125
	ds_read_b128 v[32:35], v125 offset:16
	global_load_ushort v48, v[48:49], off
	s_ashr_i32 s13, s12, 31
	s_add_i32 s9, s0, 0xfffff380
	s_cmp_lt_i32 s9, s10
	v_lshl_add_u64 v[78:79], s[12:13], 1, v[2:3]
	s_cselect_b32 s12, s9, s11
	ds_read_b128 v[44:47], v125 offset:32
	ds_read_b128 v[54:57], v125 offset:48
	global_load_ushort v36, v[36:37], off
	s_ashr_i32 s13, s12, 31
	v_lshl_add_u64 v[80:81], s[12:13], 1, v[2:3]
	global_load_ushort v49, v[80:81], off
	global_load_ushort v37, v[18:19], off
	s_add_i32 s9, s0, 0xfffff400
	global_load_ushort v38, v[38:39], off
	s_cmp_lt_i32 s9, s10
	s_cselect_b32 s12, s9, s11
	s_ashr_i32 s13, s12, 31
	s_add_i32 s9, s0, 0xfffff480
	s_cmp_lt_i32 s9, s10
	v_lshl_add_u64 v[82:83], s[12:13], 1, v[2:3]
	s_cselect_b32 s12, s9, s11
	s_ashr_i32 s13, s12, 31
	s_add_i32 s9, s0, 0xfffff500
	s_cmp_lt_i32 s9, s10
	v_lshl_add_u64 v[84:85], s[12:13], 1, v[2:3]
	;; [unrolled: 5-line block ×5, first 2 shown]
	s_cselect_b32 s12, s9, s11
	s_ashr_i32 s13, s12, 31
	s_add_i32 s9, s0, 0xfffff700
	s_waitcnt vmcnt(27)
	v_lshlrev_b32_e32 v111, 16, v111
	s_cmp_lt_i32 s9, s10
	s_waitcnt lgkmcnt(3)
	v_fmac_f32_e32 v110, v28, v111
	s_waitcnt vmcnt(25)
	v_lshlrev_b32_e32 v28, 16, v112
	v_lshl_add_u64 v[92:93], s[12:13], 1, v[2:3]
	s_cselect_b32 s12, s9, s11
	v_fmac_f32_e32 v110, v29, v28
	s_waitcnt vmcnt(24)
	v_lshlrev_b32_e32 v28, 16, v113
	s_ashr_i32 s13, s12, 31
	s_add_i32 s9, s0, 0xfffff780
	v_fmac_f32_e32 v110, v30, v28
	s_waitcnt vmcnt(23)
	v_lshlrev_b32_e32 v28, 16, v114
	s_cmp_lt_i32 s9, s10
	v_fmac_f32_e32 v110, v31, v28
	s_waitcnt vmcnt(22)
	v_lshlrev_b32_e32 v18, 16, v115
	v_lshl_add_u64 v[94:95], s[12:13], 1, v[2:3]
	s_cselect_b32 s12, s9, s11
	s_waitcnt lgkmcnt(2)
	v_fmac_f32_e32 v110, v32, v18
	global_load_ushort v32, v[20:21], off
	s_ashr_i32 s13, s12, 31
	s_add_i32 s9, s0, 0xfffff800
	s_waitcnt vmcnt(22)
	v_lshlrev_b32_e32 v18, 16, v116
	s_cmp_lt_i32 s9, s10
	v_fmac_f32_e32 v110, v33, v18
	global_load_ushort v33, v[40:41], off
	s_waitcnt vmcnt(22)
	v_lshlrev_b32_e32 v18, 16, v117
	v_lshl_add_u64 v[96:97], s[12:13], 1, v[2:3]
	s_cselect_b32 s12, s9, s11
	v_fmac_f32_e32 v110, v34, v18
	global_load_ushort v34, v[50:51], off
	s_waitcnt vmcnt(22)
	v_lshlrev_b32_e32 v18, 16, v118
	s_ashr_i32 s13, s12, 31
	s_add_i32 s9, s0, 0xfffff880
	v_fmac_f32_e32 v110, v35, v18
	global_load_ushort v35, v[52:53], off
	global_load_ushort v39, v[64:65], off
	s_waitcnt vmcnt(23)
	v_lshlrev_b32_e32 v18, 16, v119
	s_cmp_lt_i32 s9, s10
	s_waitcnt lgkmcnt(1)
	v_fmac_f32_e32 v110, v44, v18
	global_load_ushort v44, v[72:73], off
	s_waitcnt vmcnt(23)
	v_lshlrev_b32_e32 v18, 16, v120
	v_lshl_add_u64 v[100:101], s[12:13], 1, v[2:3]
	s_cselect_b32 s12, s9, s11
	v_fmac_f32_e32 v110, v45, v18
	v_lshlrev_b32_e32 v18, 16, v121
	s_ashr_i32 s13, s12, 31
	s_add_i32 s9, s0, 0xfffff900
	v_fmac_f32_e32 v110, v46, v18
	global_load_ushort v46, v[76:77], off
	s_waitcnt vmcnt(23)
	v_lshlrev_b32_e32 v18, 16, v122
	s_cmp_lt_i32 s9, s10
	v_fmac_f32_e32 v110, v47, v18
	s_waitcnt vmcnt(22)
	v_lshlrev_b32_e32 v18, 16, v123
	v_lshl_add_u64 v[102:103], s[12:13], 1, v[2:3]
	s_cselect_b32 s12, s9, s11
	s_waitcnt lgkmcnt(0)
	v_fmac_f32_e32 v110, v54, v18
	global_load_ushort v54, v[88:89], off
	global_load_ushort v40, v[68:69], off
	;; [unrolled: 1-line block ×8, first 2 shown]
	s_ashr_i32 s13, s12, 31
	s_add_i32 s9, s0, 0xfffff980
	s_cmp_lt_i32 s9, s10
	v_lshl_add_u64 v[104:105], s[12:13], 1, v[2:3]
	s_cselect_b32 s12, s9, s11
	s_ashr_i32 s13, s12, 31
	s_add_i32 s9, s0, 0xfffffa00
	s_cmp_lt_i32 s9, s10
	v_lshl_add_u64 v[106:107], s[12:13], 1, v[2:3]
	s_cselect_b32 s12, s9, s11
	s_ashr_i32 s13, s12, 31
	s_add_i32 s9, s0, 0xfffffa80
	s_waitcnt vmcnt(29)
	v_lshlrev_b32_e32 v18, 16, v58
	s_cmp_lt_i32 s9, s10
	v_fmac_f32_e32 v110, v55, v18
	global_load_ushort v55, v[90:91], off
	s_waitcnt vmcnt(29)
	v_lshlrev_b32_e32 v18, 16, v59
	v_lshl_add_u64 v[98:99], s[12:13], 1, v[2:3]
	s_cselect_b32 s12, s9, s11
	v_fmac_f32_e32 v110, v56, v18
	s_waitcnt vmcnt(28)
	v_lshlrev_b32_e32 v18, 16, v60
	s_ashr_i32 s13, s12, 31
	s_add_i32 s9, s0, 0xfffffb00
	v_fmac_f32_e32 v110, v57, v18
	ds_read_b128 v[18:21], v125 offset:64
	ds_read_b128 v[28:31], v125 offset:80
	s_cmp_lt_i32 s9, s10
	v_lshl_add_u64 v[42:43], s[12:13], 1, v[2:3]
	s_cselect_b32 s12, s9, s11
	s_ashr_i32 s13, s12, 31
	s_add_i32 s9, s0, 0xfffffb80
	s_cmp_lt_i32 s9, s10
	s_waitcnt vmcnt(27)
	v_lshlrev_b32_e32 v53, 16, v61
	v_lshl_add_u64 v[108:109], s[12:13], 1, v[2:3]
	s_cselect_b32 s12, s9, s11
	s_waitcnt lgkmcnt(1)
	v_fmac_f32_e32 v110, v18, v53
	global_load_ushort v53, v[92:93], off
	global_load_ushort v56, v[94:95], off
	;; [unrolled: 1-line block ×6, first 2 shown]
	s_ashr_i32 s13, s12, 31
	s_add_i32 s9, s0, 0xfffffc00
	s_cmp_lt_i32 s9, s10
	v_lshl_add_u64 v[4:5], s[12:13], 1, v[2:3]
	s_cselect_b32 s12, s9, s11
	s_ashr_i32 s13, s12, 31
	s_add_i32 s9, s0, 0xfffffc80
	s_cmp_lt_i32 s9, s10
	s_waitcnt vmcnt(32)
	v_lshlrev_b32_e32 v18, 16, v62
	v_lshl_add_u64 v[6:7], s[12:13], 1, v[2:3]
	s_cselect_b32 s12, s9, s11
	v_fmac_f32_e32 v110, v19, v18
	s_waitcnt vmcnt(28)
	v_lshlrev_b32_e32 v18, 16, v63
	s_ashr_i32 s13, s12, 31
	s_add_i32 s9, s0, 0xfffffd00
	v_fmac_f32_e32 v110, v20, v18
	v_lshlrev_b32_e32 v18, 16, v66
	s_cmp_lt_i32 s9, s10
	v_fmac_f32_e32 v110, v21, v18
	s_waitcnt vmcnt(27)
	v_lshlrev_b32_e32 v18, 16, v67
	v_lshl_add_u64 v[8:9], s[12:13], 1, v[2:3]
	s_cselect_b32 s12, s9, s11
	s_waitcnt lgkmcnt(0)
	v_fmac_f32_e32 v110, v28, v18
	global_load_ushort v28, v[106:107], off
	s_ashr_i32 s13, s12, 31
	s_add_i32 s9, s0, 0xfffffd80
	s_cmp_lt_i32 s9, s10
	global_load_ushort v61, v[98:99], off
	global_load_ushort v62, v[42:43], off
	;; [unrolled: 1-line block ×3, first 2 shown]
	v_lshl_add_u64 v[12:13], s[12:13], 1, v[2:3]
	s_cselect_b32 s12, s9, s11
	v_lshlrev_b32_e32 v18, 16, v124
	s_ashr_i32 s13, s12, 31
	s_add_i32 s9, s0, 0xfffffe00
	v_fmac_f32_e32 v110, v29, v18
	v_lshlrev_b32_e32 v18, 16, v126
	s_cmp_lt_i32 s9, s10
	v_fmac_f32_e32 v110, v30, v18
	global_load_ushort v29, v[4:5], off
	global_load_ushort v30, v[6:7], off
	v_lshl_add_u64 v[10:11], s[12:13], 1, v[2:3]
	s_cselect_b32 s12, s9, s11
	s_ashr_i32 s13, s12, 31
	s_add_i32 s9, s0, 0xfffffe80
	s_cmp_lt_i32 s9, s10
	s_waitcnt vmcnt(32)
	v_lshlrev_b32_e32 v4, 16, v48
	v_lshl_add_u64 v[22:23], s[12:13], 1, v[2:3]
	s_cselect_b32 s12, s9, s11
	v_fmac_f32_e32 v110, v31, v4
	ds_read_b128 v[4:7], v125 offset:96
	s_ashr_i32 s13, s12, 31
	s_add_i32 s9, s0, 0xffffff00
	s_cmp_lt_i32 s9, s10
	s_waitcnt vmcnt(31)
	v_lshlrev_b32_e32 v31, 16, v36
	global_load_ushort v36, v[8:9], off
	global_load_ushort v42, v[12:13], off
	v_lshl_add_u64 v[14:15], s[12:13], 1, v[2:3]
	s_cselect_b32 s12, s9, s11
	s_ashr_i32 s13, s12, 31
	s_add_i32 s9, s0, 0xffffff80
	s_cmp_lt_i32 s9, s10
	ds_read_b128 v[18:21], v125 offset:112
	s_waitcnt lgkmcnt(1)
	v_fmac_f32_e32 v110, v4, v31
	s_waitcnt vmcnt(31)
	v_lshlrev_b32_e32 v4, 16, v37
	global_load_ushort v31, v[10:11], off
	global_load_ushort v37, v[22:23], off
	v_lshl_add_u64 v[24:25], s[12:13], 1, v[2:3]
	s_cselect_b32 s12, s9, s11
	s_ashr_i32 s13, s12, 31
	s_cmp_lt_i32 s0, s10
	global_load_ushort v22, v[14:15], off
	global_load_ushort v23, v[24:25], off
	v_lshl_add_u64 v[16:17], s[12:13], 1, v[2:3]
	s_cselect_b32 s12, s0, s11
	s_ashr_i32 s13, s12, 31
	v_lshl_add_u64 v[26:27], s[12:13], 1, v[2:3]
	global_load_ushort v14, v[16:17], off
	global_load_ushort v15, v[26:27], off
	v_fmac_f32_e32 v110, v5, v4
	s_waitcnt vmcnt(35)
	v_lshlrev_b32_e32 v4, 16, v32
	v_fmac_f32_e32 v110, v6, v4
	v_lshlrev_b32_e32 v4, 16, v38
	v_fmac_f32_e32 v110, v7, v4
	s_waitcnt vmcnt(34)
	v_lshlrev_b32_e32 v4, 16, v33
	s_waitcnt lgkmcnt(0)
	v_fmac_f32_e32 v110, v18, v4
	s_waitcnt vmcnt(33)
	v_lshlrev_b32_e32 v4, 16, v34
	v_fmac_f32_e32 v110, v19, v4
	s_waitcnt vmcnt(32)
	v_lshlrev_b32_e32 v4, 16, v35
	v_fmac_f32_e32 v110, v20, v4
	ds_read_b128 v[4:7], v125 offset:128
	s_waitcnt vmcnt(31)
	v_lshlrev_b32_e32 v8, 16, v39
	v_fmac_f32_e32 v110, v21, v8
	ds_read_b128 v[8:11], v125 offset:144
	s_waitcnt vmcnt(27)
	v_lshlrev_b32_e32 v12, 16, v40
	s_waitcnt lgkmcnt(1)
	v_fmac_f32_e32 v110, v4, v12
	s_waitcnt vmcnt(26)
	v_lshlrev_b32_e32 v4, 16, v41
	v_fmac_f32_e32 v110, v5, v4
	v_lshlrev_b32_e32 v4, 16, v44
	v_fmac_f32_e32 v110, v6, v4
	s_waitcnt vmcnt(25)
	v_lshlrev_b32_e32 v4, 16, v45
	v_fmac_f32_e32 v110, v7, v4
	v_lshlrev_b32_e32 v4, 16, v46
	s_waitcnt lgkmcnt(0)
	v_fmac_f32_e32 v110, v8, v4
	s_waitcnt vmcnt(24)
	v_lshlrev_b32_e32 v4, 16, v47
	v_fmac_f32_e32 v110, v9, v4
	v_lshlrev_b32_e32 v4, 16, v49
	v_fmac_f32_e32 v110, v10, v4
	ds_read_b128 v[4:7], v125 offset:160
	s_waitcnt vmcnt(23)
	v_lshlrev_b32_e32 v8, 16, v50
	v_fmac_f32_e32 v110, v11, v8
	ds_read_b128 v[8:11], v125 offset:176
	s_waitcnt vmcnt(22)
	v_lshlrev_b32_e32 v12, 16, v51
	s_waitcnt lgkmcnt(1)
	v_fmac_f32_e32 v110, v4, v12
	s_waitcnt vmcnt(21)
	v_lshlrev_b32_e32 v4, 16, v52
	v_fmac_f32_e32 v110, v5, v4
	v_lshlrev_b32_e32 v4, 16, v54
	v_fmac_f32_e32 v110, v6, v4
	s_waitcnt vmcnt(20)
	v_lshlrev_b32_e32 v4, 16, v55
	v_fmac_f32_e32 v110, v7, v4
	s_waitcnt vmcnt(19)
	v_lshlrev_b32_e32 v4, 16, v53
	s_waitcnt lgkmcnt(0)
	v_fmac_f32_e32 v110, v8, v4
	s_waitcnt vmcnt(18)
	v_lshlrev_b32_e32 v4, 16, v56
	v_fmac_f32_e32 v110, v9, v4
	s_waitcnt vmcnt(17)
	v_lshlrev_b32_e32 v4, 16, v57
	v_fmac_f32_e32 v110, v10, v4
	ds_read_b128 v[4:7], v125 offset:192
	s_waitcnt vmcnt(16)
	v_lshlrev_b32_e32 v8, 16, v58
	v_fmac_f32_e32 v110, v11, v8
	ds_read_b128 v[8:11], v125 offset:208
	s_waitcnt vmcnt(15)
	v_lshlrev_b32_e32 v12, 16, v59
	s_waitcnt lgkmcnt(1)
	v_fmac_f32_e32 v110, v4, v12
	s_waitcnt vmcnt(14)
	v_lshlrev_b32_e32 v4, 16, v60
	v_fmac_f32_e32 v110, v5, v4
	s_waitcnt vmcnt(13)
	v_lshlrev_b32_e32 v4, 16, v28
	v_fmac_f32_e32 v110, v6, v4
	s_waitcnt vmcnt(12)
	v_lshlrev_b32_e32 v4, 16, v61
	v_fmac_f32_e32 v110, v7, v4
	s_waitcnt vmcnt(10)
	v_lshlrev_b32_e32 v5, 16, v63
	v_lshlrev_b32_e32 v4, 16, v62
	s_waitcnt lgkmcnt(0)
	v_pk_mul_f32 v[4:5], v[8:9], v[4:5]
	s_waitcnt vmcnt(6)
	v_lshlrev_b32_e32 v13, 16, v42
	v_add_f32_e32 v4, v110, v4
	v_add_f32_e32 v6, v4, v5
	v_lshlrev_b32_e32 v5, 16, v30
	v_lshlrev_b32_e32 v4, 16, v29
	v_pk_mul_f32 v[8:9], v[10:11], v[4:5]
	v_lshlrev_b32_e32 v12, 16, v36
	v_add_f32_e32 v8, v6, v8
	ds_read_b128 v[4:7], v125 offset:224
	v_add_f32_e32 v16, v8, v9
	ds_read_b128 v[8:11], v125 offset:240
	s_waitcnt lgkmcnt(1)
	v_pk_mul_f32 v[4:5], v[4:5], v[12:13]
	s_nop 0
	v_add_f32_e32 v4, v16, v4
	v_add_f32_e32 v12, v4, v5
	s_waitcnt vmcnt(4)
	v_lshlrev_b32_e32 v5, 16, v37
	v_lshlrev_b32_e32 v4, 16, v31
	v_pk_mul_f32 v[4:5], v[6:7], v[4:5]
	s_nop 0
	v_add_f32_e32 v4, v12, v4
	v_add_f32_e32 v6, v4, v5
	s_waitcnt vmcnt(2)
	v_lshlrev_b32_e32 v5, 16, v23
	v_lshlrev_b32_e32 v4, 16, v22
	s_waitcnt lgkmcnt(0)
	v_pk_mul_f32 v[4:5], v[8:9], v[4:5]
	s_nop 0
	v_add_f32_e32 v4, v6, v4
	v_add_f32_e32 v6, v4, v5
	s_waitcnt vmcnt(1)
	v_lshlrev_b32_e32 v4, 16, v14
	s_waitcnt vmcnt(0)
	v_lshlrev_b32_e32 v5, 16, v15
	v_pk_mul_f32 v[4:5], v[10:11], v[4:5]
	s_nop 0
	v_add_f32_e32 v4, v6, v4
	v_add_f32_e32 v110, v4, v5
	s_branch .LBB597_16
.LBB597_19:
	v_mov_b32_e32 v2, 0
	ds_read_b32 v2, v2 offset:1536
	s_cmp_lg_u64 s[6:7], 0
	s_cbranch_scc0 .LBB597_24
; %bb.20:
	s_load_dword s6, s[6:7], 0x0
	s_waitcnt lgkmcnt(0)
	v_div_scale_f32 v3, s[0:1], s6, s6, 1.0
	v_rcp_f32_e32 v4, v3
	v_div_scale_f32 v5, vcc, 1.0, s6, 1.0
	v_fma_f32 v6, -v3, v4, 1.0
	v_fmac_f32_e32 v4, v6, v4
	v_mul_f32_e32 v6, v5, v4
	v_fma_f32 v7, -v3, v6, v5
	v_fmac_f32_e32 v6, v7, v4
	v_fma_f32 v3, -v3, v6, v5
	v_div_fmas_f32 v3, v3, v4, v6
	v_div_fixup_f32 v3, v3, s6, 1.0
	s_andn2_b64 vcc, exec, s[28:29]
	s_cbranch_vccnz .LBB597_22
.LBB597_21:
	s_add_u32 s0, s26, s30
	s_addc_u32 s1, s27, s31
	s_load_dword s24, s[0:1], 0x0
	s_mov_b32 s25, 0
.LBB597_22:
	s_waitcnt lgkmcnt(0)
	v_add_f32_e32 v2, 0x358637bd, v2
	v_div_scale_f32 v4, s[0:1], v2, v2, 1.0
	v_rcp_f32_e32 v5, v4
	v_div_scale_f32 v6, vcc, 1.0, v2, 1.0
	s_mul_i32 s0, s3, s25
	v_fma_f32 v7, -v4, v5, 1.0
	v_fmac_f32_e32 v5, v7, v5
	v_mul_f32_e32 v7, v6, v5
	v_fma_f32 v8, -v4, v7, v6
	v_fmac_f32_e32 v7, v8, v5
	v_fma_f32 v4, -v4, v7, v6
	s_mul_hi_u32 s1, s3, s24
	v_div_fmas_f32 v4, v4, v5, v7
	s_add_i32 s1, s1, s0
	s_mul_i32 s0, s3, s24
	v_div_fixup_f32 v2, v4, v2, 1.0
	s_lshl_b64 s[0:1], s[0:1], 7
	v_mul_f32_e32 v2, v110, v2
	s_add_u32 s4, s4, s0
	s_mov_b32 s3, 0
	v_mul_f32_e32 v2, v2, v3
	s_addc_u32 s5, s5, s1
	s_lshl_b64 s[0:1], s[2:3], 7
	s_mov_b32 s2, 0x7f800000
	s_mov_b32 s3, 0x43700000
	v_mov_b32_e32 v3, 0xc3700000
	v_med3_f32 v3, v2, s3, v3
	v_cmp_nlg_f32_e64 vcc, |v2|, s2
	s_add_u32 s0, s4, s0
	s_addc_u32 s1, s5, s1
	v_cndmask_b32_e32 v2, v3, v2, vcc
	v_mov_b32_e32 v3, 0
	v_cvt_pk_fp8_f32 v3, v2, v2
	v_lshl_add_u64 v[0:1], s[0:1], 0, v[0:1]
	global_store_byte v[0:1], v3, off
	s_endpgm
.LBB597_23:
	s_mov_b64 s[6:7], 0
	s_branch .LBB597_2
.LBB597_24:
	v_mov_b32_e32 v3, 1.0
	s_andn2_b64 vcc, exec, s[28:29]
	s_cbranch_vccz .LBB597_21
	s_branch .LBB597_22
	.section	.rodata,"a",@progbits
	.p2align	6, 0x0
	.amdhsa_kernel _Z35paged_attention_ll4mi_reduce_kernelI14__hip_bfloat16hLi128ELi128ELi256ELi6EEvPT0_PKfS4_PKT_PKiS9_iS4_
		.amdhsa_group_segment_fixed_size 1540
		.amdhsa_private_segment_fixed_size 0
		.amdhsa_kernarg_size 320
		.amdhsa_user_sgpr_count 2
		.amdhsa_user_sgpr_dispatch_ptr 0
		.amdhsa_user_sgpr_queue_ptr 0
		.amdhsa_user_sgpr_kernarg_segment_ptr 1
		.amdhsa_user_sgpr_dispatch_id 0
		.amdhsa_user_sgpr_kernarg_preload_length 0
		.amdhsa_user_sgpr_kernarg_preload_offset 0
		.amdhsa_user_sgpr_private_segment_size 0
		.amdhsa_uses_dynamic_stack 0
		.amdhsa_enable_private_segment 0
		.amdhsa_system_sgpr_workgroup_id_x 1
		.amdhsa_system_sgpr_workgroup_id_y 1
		.amdhsa_system_sgpr_workgroup_id_z 0
		.amdhsa_system_sgpr_workgroup_info 0
		.amdhsa_system_vgpr_workitem_id 0
		.amdhsa_next_free_vgpr 127
		.amdhsa_next_free_sgpr 42
		.amdhsa_accum_offset 128
		.amdhsa_reserve_vcc 1
		.amdhsa_float_round_mode_32 0
		.amdhsa_float_round_mode_16_64 0
		.amdhsa_float_denorm_mode_32 3
		.amdhsa_float_denorm_mode_16_64 3
		.amdhsa_dx10_clamp 1
		.amdhsa_ieee_mode 1
		.amdhsa_fp16_overflow 0
		.amdhsa_tg_split 0
		.amdhsa_exception_fp_ieee_invalid_op 0
		.amdhsa_exception_fp_denorm_src 0
		.amdhsa_exception_fp_ieee_div_zero 0
		.amdhsa_exception_fp_ieee_overflow 0
		.amdhsa_exception_fp_ieee_underflow 0
		.amdhsa_exception_fp_ieee_inexact 0
		.amdhsa_exception_int_div_zero 0
	.end_amdhsa_kernel
	.section	.text._Z35paged_attention_ll4mi_reduce_kernelI14__hip_bfloat16hLi128ELi128ELi256ELi6EEvPT0_PKfS4_PKT_PKiS9_iS4_,"axG",@progbits,_Z35paged_attention_ll4mi_reduce_kernelI14__hip_bfloat16hLi128ELi128ELi256ELi6EEvPT0_PKfS4_PKT_PKiS9_iS4_,comdat
.Lfunc_end597:
	.size	_Z35paged_attention_ll4mi_reduce_kernelI14__hip_bfloat16hLi128ELi128ELi256ELi6EEvPT0_PKfS4_PKT_PKiS9_iS4_, .Lfunc_end597-_Z35paged_attention_ll4mi_reduce_kernelI14__hip_bfloat16hLi128ELi128ELi256ELi6EEvPT0_PKfS4_PKT_PKiS9_iS4_
                                        ; -- End function
	.section	.AMDGPU.csdata,"",@progbits
; Kernel info:
; codeLenInByte = 9048
; NumSgprs: 48
; NumVgprs: 127
; NumAgprs: 0
; TotalNumVgprs: 127
; ScratchSize: 0
; MemoryBound: 0
; FloatMode: 240
; IeeeMode: 1
; LDSByteSize: 1540 bytes/workgroup (compile time only)
; SGPRBlocks: 5
; VGPRBlocks: 15
; NumSGPRsForWavesPerEU: 48
; NumVGPRsForWavesPerEU: 127
; AccumOffset: 128
; Occupancy: 4
; WaveLimiterHint : 1
; COMPUTE_PGM_RSRC2:SCRATCH_EN: 0
; COMPUTE_PGM_RSRC2:USER_SGPR: 2
; COMPUTE_PGM_RSRC2:TRAP_HANDLER: 0
; COMPUTE_PGM_RSRC2:TGID_X_EN: 1
; COMPUTE_PGM_RSRC2:TGID_Y_EN: 1
; COMPUTE_PGM_RSRC2:TGID_Z_EN: 0
; COMPUTE_PGM_RSRC2:TIDIG_COMP_CNT: 0
; COMPUTE_PGM_RSRC3_GFX90A:ACCUM_OFFSET: 31
; COMPUTE_PGM_RSRC3_GFX90A:TG_SPLIT: 0
	.section	.text._Z35paged_attention_ll4mi_reduce_kernelI14__hip_bfloat16hLi128ELi128ELi256ELi7EEvPT0_PKfS4_PKT_PKiS9_iS4_,"axG",@progbits,_Z35paged_attention_ll4mi_reduce_kernelI14__hip_bfloat16hLi128ELi128ELi256ELi7EEvPT0_PKfS4_PKT_PKiS9_iS4_,comdat
	.protected	_Z35paged_attention_ll4mi_reduce_kernelI14__hip_bfloat16hLi128ELi128ELi256ELi7EEvPT0_PKfS4_PKT_PKiS9_iS4_ ; -- Begin function _Z35paged_attention_ll4mi_reduce_kernelI14__hip_bfloat16hLi128ELi128ELi256ELi7EEvPT0_PKfS4_PKT_PKiS9_iS4_
	.globl	_Z35paged_attention_ll4mi_reduce_kernelI14__hip_bfloat16hLi128ELi128ELi256ELi7EEvPT0_PKfS4_PKT_PKiS9_iS4_
	.p2align	8
	.type	_Z35paged_attention_ll4mi_reduce_kernelI14__hip_bfloat16hLi128ELi128ELi256ELi7EEvPT0_PKfS4_PKT_PKiS9_iS4_,@function
_Z35paged_attention_ll4mi_reduce_kernelI14__hip_bfloat16hLi128ELi128ELi256ELi7EEvPT0_PKfS4_PKT_PKiS9_iS4_: ; @_Z35paged_attention_ll4mi_reduce_kernelI14__hip_bfloat16hLi128ELi128ELi256ELi7EEvPT0_PKfS4_PKT_PKiS9_iS4_
; %bb.0:
	s_load_dwordx2 s[26:27], s[0:1], 0x28
	s_mov_b32 s24, s3
	s_mov_b64 s[4:5], 0
	s_waitcnt lgkmcnt(0)
	s_cmp_lg_u64 s[26:27], 0
	s_cselect_b64 s[28:29], -1, 0
	s_and_b64 vcc, exec, s[28:29]
	s_cbranch_vccz .LBB598_23
; %bb.1:
	s_add_i32 s6, s24, 1
	s_mov_b32 s7, 0
	s_lshl_b64 s[8:9], s[6:7], 2
	s_add_u32 s8, s26, s8
	s_mov_b32 s25, s7
	s_addc_u32 s9, s27, s9
	s_lshl_b64 s[6:7], s[24:25], 2
	s_add_u32 s6, s26, s6
	s_addc_u32 s7, s27, s7
	s_load_dword s3, s[8:9], 0x0
	s_load_dword s10, s[6:7], 0x0
	s_waitcnt lgkmcnt(0)
	s_sub_i32 s3, s3, s10
	s_cmp_eq_u32 s3, 1
	s_cselect_b64 s[6:7], -1, 0
	s_andn2_b64 vcc, exec, s[4:5]
	s_cbranch_vccnz .LBB598_3
.LBB598_2:
	s_mov_b32 s25, 0
	s_mov_b64 s[6:7], -1
.LBB598_3:
	s_andn2_b64 vcc, exec, s[6:7]
	s_cbranch_vccz .LBB598_5
; %bb.4:
	s_endpgm
.LBB598_5:
	s_load_dwordx4 s[20:23], s[0:1], 0x18
	s_load_dword s8, s[0:1], 0x30
	s_lshl_b64 s[30:31], s[24:25], 2
	v_cmp_lt_u32_e32 vcc, 63, v0
	s_waitcnt lgkmcnt(0)
	s_add_u32 s4, s22, s30
	s_addc_u32 s5, s23, s31
	s_load_dword s40, s[4:5], 0x0
	s_load_dword s3, s[0:1], 0x40
	s_mul_i32 s22, s2, s8
	s_mul_i32 s6, s24, s8
	s_waitcnt lgkmcnt(0)
	s_add_i32 s7, s40, 0xff
	s_ashr_i32 s4, s7, 31
	s_lshr_b32 s4, s4, 24
	s_add_i32 s7, s7, s4
	s_and_saveexec_b64 s[4:5], vcc
	s_xor_b64 s[4:5], exec, s[4:5]
	s_or_saveexec_b64 s[34:35], s[4:5]
	s_ashr_i32 s33, s7, 8
	v_mov_b32_e32 v1, s22
	s_mul_i32 s36, s6, s3
	s_xor_b64 exec, exec, s[34:35]
	s_cbranch_execz .LBB598_9
; %bb.6:
	s_add_i32 s4, s33, -1
	v_or_b32_e32 v3, 64, v0
	v_mov_b32_e32 v1, s4
	v_cmp_gt_u32_e64 s[12:13], s33, v3
	s_load_dwordx4 s[16:19], s[0:1], 0x8
	s_mov_b32 s37, 0
	v_cndmask_b32_e64 v4, v1, v3, s[12:13]
	v_or_b32_e32 v3, 0x80, v0
	v_cmp_gt_u32_e64 s[10:11], s33, v3
	s_lshl_b64 s[38:39], s[36:37], 2
	s_mov_b32 s23, s37
	v_cndmask_b32_e64 v6, v1, v3, s[10:11]
	v_or_b32_e32 v3, 0xc0, v0
	v_cmp_gt_u32_e64 s[8:9], s33, v3
	v_cmp_gt_u32_e64 s[14:15], s33, v0
	s_waitcnt lgkmcnt(0)
	s_add_u32 s37, s18, s38
	v_cndmask_b32_e64 v8, v1, v3, s[8:9]
	v_or_b32_e32 v3, 0x100, v0
	v_cmp_gt_u32_e64 s[6:7], s33, v3
	v_cndmask_b32_e64 v2, v1, v0, s[14:15]
	s_addc_u32 s41, s19, s39
	v_cndmask_b32_e64 v10, v1, v3, s[6:7]
	v_or_b32_e32 v3, 0x140, v0
	v_cmp_gt_u32_e64 s[4:5], s33, v3
	s_lshl_b64 s[18:19], s[22:23], 2
	s_add_u32 s42, s37, s18
	v_cndmask_b32_e64 v12, v1, v3, s[4:5]
	v_or_b32_e32 v3, 0x180, v0
	v_cmp_gt_u32_e32 vcc, s33, v3
	s_addc_u32 s43, s41, s19
	v_ashrrev_i32_e32 v5, 31, v4
	v_cndmask_b32_e32 v14, v1, v3, vcc
	v_ashrrev_i32_e32 v3, 31, v2
	v_lshlrev_b64 v[2:3], 2, v[2:3]
	v_ashrrev_i32_e32 v7, 31, v6
	v_ashrrev_i32_e32 v9, 31, v8
	;; [unrolled: 1-line block ×5, first 2 shown]
	v_lshl_add_u64 v[16:17], s[42:43], 0, v[2:3]
	v_lshlrev_b64 v[4:5], 2, v[4:5]
	v_lshlrev_b64 v[6:7], 2, v[6:7]
	;; [unrolled: 1-line block ×6, first 2 shown]
	v_lshl_add_u64 v[18:19], s[42:43], 0, v[4:5]
	v_lshl_add_u64 v[20:21], s[42:43], 0, v[6:7]
	;; [unrolled: 1-line block ×6, first 2 shown]
	global_load_dword v1, v[16:17], off
	global_load_dword v30, v[18:19], off
	;; [unrolled: 1-line block ×7, first 2 shown]
	v_mbcnt_lo_u32_b32 v16, -1, 0
	s_add_u32 s16, s16, s38
	v_mbcnt_hi_u32_b32 v16, -1, v16
	s_addc_u32 s17, s17, s39
	v_and_b32_e32 v18, 64, v16
	s_add_u32 s18, s16, s18
	v_xor_b32_e32 v19, 32, v16
	s_addc_u32 s19, s17, s19
	v_add_u32_e32 v18, 64, v18
	v_lshl_add_u64 v[2:3], s[18:19], 0, v[2:3]
	v_cmp_lt_i32_e64 s[16:17], v19, v18
	global_load_dword v22, v[2:3], off
	v_xor_b32_e32 v20, 16, v16
	v_cndmask_b32_e64 v2, v16, v19, s[16:17]
	v_lshlrev_b32_e32 v19, 2, v2
	v_cmp_lt_i32_e64 s[16:17], v20, v18
	v_xor_b32_e32 v21, 8, v16
	v_xor_b32_e32 v23, 4, v16
	;; [unrolled: 1-line block ×3, first 2 shown]
	s_mov_b32 s41, 0x3fb8aa3b
	s_mov_b32 s23, 0xc2ce8ed0
	;; [unrolled: 1-line block ×3, first 2 shown]
	v_mov_b32_e32 v17, 0x7f800000
	s_waitcnt vmcnt(5)
	v_max3_f32 v2, v1, v30, v31
	s_waitcnt vmcnt(3)
	v_max3_f32 v2, v2, v32, v33
	s_waitcnt vmcnt(1)
	v_max3_f32 v25, v2, v34, v35
	ds_bpermute_b32 v26, v19, v25
	v_cndmask_b32_e64 v2, v16, v20, s[16:17]
	v_lshlrev_b32_e32 v20, 2, v2
	v_lshl_add_u64 v[2:3], s[18:19], 0, v[4:5]
	global_load_dword v27, v[2:3], off
	s_waitcnt lgkmcnt(0)
	v_max_f32_e32 v2, v26, v26
	v_max_f32_e32 v2, v25, v2
	ds_bpermute_b32 v3, v20, v2
	v_cmp_lt_i32_e64 s[16:17], v21, v18
	v_xor_b32_e32 v4, 1, v16
	s_waitcnt lgkmcnt(0)
	v_max_f32_e32 v3, v3, v3
	v_cndmask_b32_e64 v5, v16, v21, s[16:17]
	v_lshlrev_b32_e32 v21, 2, v5
	v_max_f32_e32 v5, v2, v3
	ds_bpermute_b32 v25, v21, v5
	v_cmp_lt_i32_e64 s[16:17], v23, v18
	s_nop 1
	v_cndmask_b32_e64 v2, v16, v23, s[16:17]
	v_lshlrev_b32_e32 v23, 2, v2
	v_lshl_add_u64 v[2:3], s[18:19], 0, v[6:7]
	global_load_dword v26, v[2:3], off
	s_waitcnt lgkmcnt(0)
	v_max_f32_e32 v2, v25, v25
	v_max_f32_e32 v2, v5, v2
	ds_bpermute_b32 v3, v23, v2
	v_cmp_lt_i32_e64 s[16:17], v24, v18
	v_lshl_add_u64 v[6:7], s[18:19], 0, v[12:13]
	s_waitcnt lgkmcnt(0)
	v_max_f32_e32 v3, v3, v3
	v_cndmask_b32_e64 v5, v16, v24, s[16:17]
	v_cmp_lt_i32_e64 s[16:17], v4, v18
	v_max_f32_e32 v18, v2, v3
	v_lshl_add_u64 v[2:3], s[18:19], 0, v[8:9]
	global_load_dword v9, v[2:3], off
	v_cndmask_b32_e64 v4, v16, v4, s[16:17]
	v_lshlrev_b32_e32 v16, 2, v5
	v_lshlrev_b32_e32 v25, 2, v4
	v_lshl_add_u64 v[4:5], s[18:19], 0, v[10:11]
	v_lshl_add_u64 v[2:3], s[18:19], 0, v[14:15]
	global_load_dword v11, v[4:5], off
	global_load_dword v12, v[6:7], off
	;; [unrolled: 1-line block ×3, first 2 shown]
	ds_bpermute_b32 v24, v16, v18
	s_waitcnt lgkmcnt(0)
	v_max_f32_e32 v8, v24, v24
	v_max_f32_e32 v8, v18, v8
	ds_bpermute_b32 v10, v25, v8
	s_waitcnt lgkmcnt(0)
	v_max_f32_e32 v2, v10, v10
	v_max_f32_e32 v2, v8, v2
	v_sub_f32_e32 v1, v1, v2
	v_mul_f32_e32 v4, 0x3fb8aa3b, v1
	v_fma_f32 v5, v1, s41, -v4
	v_rndne_f32_e32 v6, v4
	v_fmac_f32_e32 v5, 0x32a5705f, v1
	v_sub_f32_e32 v4, v4, v6
	v_add_f32_e32 v4, v4, v5
	v_cvt_i32_f32_e32 v6, v6
	v_exp_f32_e32 v4, v4
	v_sub_f32_e32 v3, v30, v2
	v_mul_f32_e32 v5, 0x3fb8aa3b, v3
	v_fma_f32 v7, v3, s41, -v5
	v_ldexp_f32 v4, v4, v6
	v_rndne_f32_e32 v6, v5
	v_fmac_f32_e32 v7, 0x32a5705f, v3
	v_sub_f32_e32 v5, v5, v6
	v_add_f32_e32 v5, v5, v7
	v_exp_f32_e32 v5, v5
	v_cvt_i32_f32_e32 v6, v6
	v_cmp_ngt_f32_e64 s[16:17], s23, v1
	s_nop 1
	v_cndmask_b32_e64 v4, 0, v4, s[16:17]
	v_cmp_nlt_f32_e64 s[16:17], s37, v1
	s_nop 1
	v_cndmask_b32_e64 v1, v17, v4, s[16:17]
	v_ldexp_f32 v4, v5, v6
	v_sub_f32_e32 v5, v31, v2
	v_mul_f32_e32 v6, 0x3fb8aa3b, v5
	v_fma_f32 v7, v5, s41, -v6
	v_rndne_f32_e32 v8, v6
	v_fmac_f32_e32 v7, 0x32a5705f, v5
	v_sub_f32_e32 v6, v6, v8
	v_add_f32_e32 v6, v6, v7
	v_exp_f32_e32 v6, v6
	v_cvt_i32_f32_e32 v7, v8
	v_cndmask_b32_e64 v1, 0, v1, s[14:15]
	v_cmp_ngt_f32_e64 s[14:15], s23, v3
	s_waitcnt vmcnt(6)
	v_mul_f32_e32 v1, v22, v1
	v_cndmask_b32_e64 v4, 0, v4, s[14:15]
	v_cmp_nlt_f32_e64 s[14:15], s37, v3
	s_nop 1
	v_cndmask_b32_e64 v3, v17, v4, s[14:15]
	v_ldexp_f32 v4, v6, v7
	v_sub_f32_e32 v6, v32, v2
	v_mul_f32_e32 v7, 0x3fb8aa3b, v6
	v_fma_f32 v8, v6, s41, -v7
	v_rndne_f32_e32 v10, v7
	v_fmac_f32_e32 v8, 0x32a5705f, v6
	v_sub_f32_e32 v7, v7, v10
	v_add_f32_e32 v7, v7, v8
	v_exp_f32_e32 v7, v7
	v_cvt_i32_f32_e32 v8, v10
	v_cndmask_b32_e64 v3, 0, v3, s[12:13]
	v_cmp_ngt_f32_e64 s[12:13], s23, v5
	s_waitcnt vmcnt(5)
	v_mul_f32_e32 v3, v27, v3
	v_cndmask_b32_e64 v4, 0, v4, s[12:13]
	v_cmp_nlt_f32_e64 s[12:13], s37, v5
	v_ldexp_f32 v5, v7, v8
	v_sub_f32_e32 v7, v33, v2
	v_mul_f32_e32 v8, 0x3fb8aa3b, v7
	v_fma_f32 v10, v7, s41, -v8
	v_rndne_f32_e32 v14, v8
	v_fmac_f32_e32 v10, 0x32a5705f, v7
	v_sub_f32_e32 v8, v8, v14
	v_add_f32_e32 v8, v8, v10
	v_cndmask_b32_e64 v4, v17, v4, s[12:13]
	v_exp_f32_e32 v8, v8
	v_cvt_i32_f32_e32 v10, v14
	v_cndmask_b32_e64 v4, 0, v4, s[10:11]
	v_cmp_ngt_f32_e64 s[10:11], s23, v6
	s_waitcnt vmcnt(4)
	v_mul_f32_e32 v4, v26, v4
	v_cndmask_b32_e64 v5, 0, v5, s[10:11]
	v_cmp_nlt_f32_e64 s[10:11], s37, v6
	v_ldexp_f32 v6, v8, v10
	v_sub_f32_e32 v8, v34, v2
	v_cndmask_b32_e64 v5, v17, v5, s[10:11]
	v_cndmask_b32_e64 v5, 0, v5, s[8:9]
	s_waitcnt vmcnt(3)
	v_mul_f32_e32 v5, v9, v5
	v_mul_f32_e32 v9, 0x3fb8aa3b, v8
	v_fma_f32 v10, v8, s41, -v9
	v_rndne_f32_e32 v14, v9
	v_fmac_f32_e32 v10, 0x32a5705f, v8
	v_sub_f32_e32 v9, v9, v14
	v_add_f32_e32 v9, v9, v10
	v_exp_f32_e32 v9, v9
	v_cvt_i32_f32_e32 v10, v14
	v_cmp_ngt_f32_e64 s[8:9], s23, v7
	v_sub_f32_e32 v2, v35, v2
	s_nop 0
	v_cndmask_b32_e64 v6, 0, v6, s[8:9]
	v_cmp_nlt_f32_e64 s[8:9], s37, v7
	v_ldexp_f32 v7, v9, v10
	v_mul_f32_e32 v9, 0x3fb8aa3b, v2
	v_cndmask_b32_e64 v6, v17, v6, s[8:9]
	v_cndmask_b32_e64 v6, 0, v6, s[6:7]
	s_waitcnt vmcnt(2)
	v_mul_f32_e32 v6, v11, v6
	v_fma_f32 v10, v2, s41, -v9
	v_rndne_f32_e32 v11, v9
	v_fmac_f32_e32 v10, 0x32a5705f, v2
	v_sub_f32_e32 v9, v9, v11
	v_add_f32_e32 v9, v9, v10
	v_exp_f32_e32 v9, v9
	v_cvt_i32_f32_e32 v10, v11
	v_cmp_ngt_f32_e64 s[6:7], s23, v8
	v_lshlrev_b32_e32 v11, 2, v0
	ds_write2st64_b32 v11, v1, v3 offset1:1
	v_cndmask_b32_e64 v7, 0, v7, s[6:7]
	v_cmp_nlt_f32_e64 s[6:7], s37, v8
	v_ldexp_f32 v8, v9, v10
	s_nop 0
	v_cndmask_b32_e64 v7, v17, v7, s[6:7]
	v_cndmask_b32_e64 v7, 0, v7, s[4:5]
	v_cmp_ngt_f32_e64 s[4:5], s23, v2
	s_waitcnt vmcnt(1)
	v_mul_f32_e32 v7, v12, v7
	v_cndmask_b32_e64 v8, 0, v8, s[4:5]
	v_cmp_nlt_f32_e64 s[4:5], s37, v2
	s_nop 1
	v_cndmask_b32_e64 v2, v17, v8, s[4:5]
	v_add_f32_e32 v8, v1, v3
	v_add_f32_e32 v8, v8, v4
	v_add_f32_e32 v8, v8, v5
	v_add_f32_e32 v8, v8, v6
	v_cndmask_b32_e32 v2, 0, v2, vcc
	v_add_f32_e32 v8, v8, v7
	s_waitcnt vmcnt(0)
	v_fmac_f32_e32 v8, v13, v2
	ds_bpermute_b32 v9, v19, v8
	v_mul_f32_e32 v10, v13, v2
	v_cmp_eq_u32_e32 vcc, 0, v0
	ds_write2st64_b32 v11, v4, v5 offset0:2 offset1:3
	ds_write2st64_b32 v11, v6, v7 offset0:4 offset1:5
	ds_write_b32 v11, v10 offset:1536
	s_waitcnt lgkmcnt(3)
	v_add_f32_e32 v8, v8, v9
	ds_bpermute_b32 v9, v20, v8
	s_waitcnt lgkmcnt(0)
	v_add_f32_e32 v8, v8, v9
	ds_bpermute_b32 v9, v21, v8
	;; [unrolled: 3-line block ×5, first 2 shown]
	s_and_saveexec_b64 s[4:5], vcc
	s_cbranch_execz .LBB598_8
; %bb.7:
	s_waitcnt lgkmcnt(0)
	v_add_f32_e32 v1, v1, v2
	v_mov_b32_e32 v2, 0
	ds_write_b32 v2, v1 offset:1792
.LBB598_8:
	s_or_b64 exec, exec, s[4:5]
	v_mov_b32_e32 v1, s22
.LBB598_9:
	s_or_b64 exec, exec, s[34:35]
	s_lshl_b32 s4, s36, 7
	s_mov_b32 s5, 0
	s_lshl_b64 s[4:5], s[4:5], 1
	s_add_u32 s4, s20, s4
	s_addc_u32 s5, s21, s5
	s_lshl_b32 s10, s33, 7
	s_waitcnt lgkmcnt(0)
	v_lshlrev_b32_e32 v2, 7, v1
	v_mov_b32_e32 v1, 0
	s_add_i32 s11, s10, 0xffffff80
	v_mov_b32_e32 v3, v1
	s_cmp_lt_i32 s40, 1
	v_lshl_add_u64 v[2:3], v[2:3], 1, s[4:5]
	s_cselect_b32 s4, s11, 0
	v_lshlrev_b32_e32 v4, 1, v0
	v_mov_b32_e32 v5, v1
	s_ashr_i32 s5, s4, 31
	v_lshl_add_u64 v[2:3], v[2:3], 0, v[4:5]
	s_cmpk_lt_i32 s40, 0x101
	v_lshl_add_u64 v[4:5], s[4:5], 1, v[2:3]
	s_cselect_b32 s4, s11, 0x80
	s_ashr_i32 s5, s4, 31
	s_cmpk_lt_i32 s40, 0x201
	v_lshl_add_u64 v[6:7], s[4:5], 1, v[2:3]
	s_cselect_b32 s4, s11, 0x100
	s_ashr_i32 s5, s4, 31
	;; [unrolled: 4-line block ×8, first 2 shown]
	s_cmpk_lt_i32 s40, 0x901
	global_load_ushort v23, v[4:5], off
	global_load_ushort v22, v[6:7], off
	;; [unrolled: 1-line block ×8, first 2 shown]
	v_lshl_add_u64 v[4:5], s[4:5], 1, v[2:3]
	s_cselect_b32 s4, s11, 0x480
	s_ashr_i32 s5, s4, 31
	s_cmpk_lt_i32 s40, 0xa01
	v_lshl_add_u64 v[6:7], s[4:5], 1, v[2:3]
	s_cselect_b32 s4, s11, 0x500
	s_ashr_i32 s5, s4, 31
	s_cmpk_lt_i32 s40, 0xb01
	;; [unrolled: 4-line block ×6, first 2 shown]
	v_lshl_add_u64 v[32:33], s[4:5], 1, v[2:3]
	s_cselect_b32 s4, s11, 0x780
	s_ashr_i32 s5, s4, 31
	v_lshl_add_u64 v[34:35], s[4:5], 1, v[2:3]
	global_load_ushort v30, v[4:5], off
	global_load_ushort v31, v[6:7], off
	global_load_ushort v28, v[8:9], off
	global_load_ushort v29, v[10:11], off
	global_load_ushort v26, v[12:13], off
	global_load_ushort v27, v[14:15], off
	global_load_ushort v24, v[32:33], off
	global_load_ushort v25, v[34:35], off
	s_cmpk_gt_i32 s40, 0x1000
	s_cselect_b64 s[8:9], -1, 0
	s_cmpk_lt_i32 s40, 0x1001
	v_mov_b32_e32 v40, 0
	v_mov_b32_e32 v41, 0
	;; [unrolled: 1-line block ×48, first 2 shown]
	s_barrier
	s_cbranch_scc1 .LBB598_12
; %bb.10:
	s_cmpk_lt_u32 s40, 0x1101
	s_cselect_b32 s4, s11, 0x880
	s_ashr_i32 s5, s4, 31
	s_cmpk_lt_u32 s40, 0x1201
	v_lshl_add_u64 v[6:7], s[4:5], 1, v[2:3]
	s_cselect_b32 s4, s11, 0x900
	s_ashr_i32 s5, s4, 31
	s_cmpk_lt_u32 s40, 0x1301
	v_lshl_add_u64 v[8:9], s[4:5], 1, v[2:3]
	s_cselect_b32 s4, s11, 0x980
	s_ashr_i32 s5, s4, 31
	s_cmpk_lt_u32 s40, 0x1401
	v_lshl_add_u64 v[10:11], s[4:5], 1, v[2:3]
	s_cselect_b32 s4, s11, 0xa00
	s_ashr_i32 s5, s4, 31
	s_cmpk_lt_u32 s40, 0x1501
	v_lshl_add_u64 v[12:13], s[4:5], 1, v[2:3]
	s_cselect_b32 s4, s11, 0xa80
	s_ashr_i32 s5, s4, 31
	s_cmpk_lt_u32 s40, 0x1601
	v_lshl_add_u64 v[14:15], s[4:5], 1, v[2:3]
	s_cselect_b32 s4, s11, 0xb00
	s_ashr_i32 s5, s4, 31
	s_cmpk_lt_u32 s40, 0x1701
	v_lshl_add_u64 v[40:41], s[4:5], 1, v[2:3]
	s_cselect_b32 s4, s11, 0xb80
	s_ashr_i32 s5, s4, 31
	s_cmpk_lt_u32 s40, 0x1801
	v_lshl_add_u64 v[42:43], s[4:5], 1, v[2:3]
	s_cselect_b32 s4, s11, 0xc00
	v_add_co_u32_e32 v4, vcc, 0x1000, v2
	s_ashr_i32 s5, s4, 31
	s_nop 0
	v_addc_co_u32_e32 v5, vcc, 0, v3, vcc
	s_cmpk_lt_u32 s40, 0x1901
	global_load_ushort v39, v[4:5], off
	global_load_ushort v38, v[6:7], off
	;; [unrolled: 1-line block ×8, first 2 shown]
	v_lshl_add_u64 v[4:5], s[4:5], 1, v[2:3]
	s_cselect_b32 s4, s11, 0xc80
	s_ashr_i32 s5, s4, 31
	s_cmpk_lt_u32 s40, 0x1a01
	v_lshl_add_u64 v[6:7], s[4:5], 1, v[2:3]
	s_cselect_b32 s4, s11, 0xd00
	s_ashr_i32 s5, s4, 31
	s_cmpk_lt_u32 s40, 0x1b01
	;; [unrolled: 4-line block ×6, first 2 shown]
	v_lshl_add_u64 v[48:49], s[4:5], 1, v[2:3]
	s_cselect_b32 s4, s11, 0xf80
	s_ashr_i32 s5, s4, 31
	v_lshl_add_u64 v[50:51], s[4:5], 1, v[2:3]
	global_load_ushort v47, v[4:5], off
	global_load_ushort v46, v[6:7], off
	;; [unrolled: 1-line block ×8, first 2 shown]
	s_cmpk_lt_u32 s40, 0x2001
	v_mov_b32_e32 v67, 0
	v_mov_b32_e32 v65, 0
	;; [unrolled: 1-line block ×32, first 2 shown]
	s_cbranch_scc1 .LBB598_12
; %bb.11:
	s_cmpk_lt_u32 s40, 0x2101
	s_cselect_b32 s4, s11, 0x1080
	s_ashr_i32 s5, s4, 31
	s_cmpk_lt_u32 s40, 0x2201
	v_lshl_add_u64 v[4:5], s[4:5], 1, v[2:3]
	s_cselect_b32 s4, s11, 0x1100
	s_ashr_i32 s5, s4, 31
	s_cmpk_lt_u32 s40, 0x2301
	v_lshl_add_u64 v[6:7], s[4:5], 1, v[2:3]
	;; [unrolled: 4-line block ×29, first 2 shown]
	s_cselect_b32 s4, s11, 0x1f00
	s_ashr_i32 s5, s4, 31
	v_lshl_add_u64 v[94:95], s[4:5], 1, v[2:3]
	s_movk_i32 s4, 0x2000
	s_cmpk_lt_u32 s40, 0x3f01
	v_add_co_u32_e32 v96, vcc, s4, v2
	s_cselect_b32 s4, s11, 0x1f80
	s_nop 0
	v_addc_co_u32_e32 v97, vcc, 0, v3, vcc
	s_ashr_i32 s5, s4, 31
	global_load_ushort v98, v[96:97], off
	global_load_ushort v99, v[4:5], off
	;; [unrolled: 1-line block ×15, first 2 shown]
                                        ; kill: killed $vgpr48_vgpr49
                                        ; kill: killed $vgpr54_vgpr55
                                        ; kill: killed $vgpr6_vgpr7
                                        ; kill: killed $vgpr60_vgpr61
                                        ; kill: killed $vgpr12_vgpr13
                                        ; kill: killed $vgpr50_vgpr51
                                        ; kill: killed $vgpr56_vgpr57
                                        ; kill: killed $vgpr8_vgpr9
                                        ; kill: killed $vgpr62_vgpr63
                                        ; kill: killed $vgpr14_vgpr15
                                        ; kill: killed $vgpr96 killed $vgpr97
                                        ; kill: killed $vgpr52_vgpr53
                                        ; kill: killed $vgpr4_vgpr5
                                        ; kill: killed $vgpr58_vgpr59
                                        ; kill: killed $vgpr10_vgpr11
	global_load_ushort v6, v[64:65], off
	global_load_ushort v7, v[66:67], off
	global_load_ushort v8, v[68:69], off
	global_load_ushort v9, v[70:71], off
	global_load_ushort v10, v[72:73], off
	global_load_ushort v11, v[82:83], off
	global_load_ushort v13, v[80:81], off
	global_load_ushort v12, v[78:79], off
	global_load_ushort v15, v[76:77], off
	global_load_ushort v14, v[74:75], off
	global_load_ushort v96, v[84:85], off
	global_load_ushort v97, v[94:95], off
	global_load_ushort v113, v[92:93], off
	global_load_ushort v114, v[90:91], off
	global_load_ushort v115, v[88:89], off
                                        ; kill: killed $vgpr80_vgpr81
                                        ; kill: killed $vgpr64_vgpr65
                                        ; kill: killed $vgpr70_vgpr71
                                        ; kill: killed $vgpr92_vgpr93
                                        ; kill: killed $vgpr76_vgpr77
                                        ; kill: killed $vgpr82_vgpr83
                                        ; kill: killed $vgpr66_vgpr67
                                        ; kill: killed $vgpr88_vgpr89
                                        ; kill: killed $vgpr72_vgpr73
                                        ; kill: killed $vgpr94_vgpr95
                                        ; kill: killed $vgpr78_vgpr79
                                        ; kill: killed $vgpr84_vgpr85
                                        ; kill: killed $vgpr68_vgpr69
                                        ; kill: killed $vgpr90_vgpr91
                                        ; kill: killed $vgpr74_vgpr75
	global_load_ushort v68, v[86:87], off
	v_lshl_add_u64 v[4:5], s[4:5], 1, v[2:3]
	global_load_ushort v5, v[4:5], off
	s_waitcnt vmcnt(31)
	v_lshlrev_b32_e32 v67, 16, v98
	s_waitcnt vmcnt(30)
	v_lshlrev_b32_e32 v65, 16, v99
	;; [unrolled: 2-line block ×32, first 2 shown]
.LBB598_12:
	s_load_dwordx2 s[4:5], s[0:1], 0x0
	s_load_dwordx2 s[6:7], s[0:1], 0x38
	ds_read_b128 v[68:71], v1
	s_waitcnt vmcnt(15)
	v_lshlrev_b32_e32 v23, 16, v23
	ds_read_b128 v[72:75], v1 offset:16
	ds_read_b128 v[76:79], v1 offset:32
	;; [unrolled: 1-line block ×3, first 2 shown]
	s_waitcnt vmcnt(14)
	v_lshlrev_b32_e32 v22, 16, v22
	s_waitcnt vmcnt(13)
	v_lshlrev_b32_e32 v21, 16, v21
	s_waitcnt lgkmcnt(0)
	v_fma_f32 v23, v68, v23, 0
	v_fmac_f32_e32 v23, v69, v22
	v_fmac_f32_e32 v23, v70, v21
	s_waitcnt vmcnt(12)
	v_lshlrev_b32_e32 v20, 16, v20
	s_waitcnt vmcnt(10)
	v_lshlrev_b32_e32 v19, 16, v19
	v_lshlrev_b32_e32 v18, 16, v18
	v_fmac_f32_e32 v23, v71, v20
	v_pk_mul_f32 v[18:19], v[72:73], v[18:19]
	s_waitcnt vmcnt(8)
	v_lshlrev_b32_e32 v17, 16, v17
	v_add_f32_e32 v18, v23, v18
	v_lshlrev_b32_e32 v16, 16, v16
	v_add_f32_e32 v18, v18, v19
	v_pk_mul_f32 v[16:17], v[74:75], v[16:17]
	s_and_b64 vcc, exec, s[8:9]
	v_add_f32_e32 v16, v18, v16
	v_add_f32_e32 v18, v16, v17
	s_waitcnt vmcnt(6)
	v_lshlrev_b32_e32 v17, 16, v31
	v_lshlrev_b32_e32 v16, 16, v30
	v_pk_mul_f32 v[16:17], v[76:77], v[16:17]
	s_nop 0
	v_add_f32_e32 v16, v18, v16
	v_add_f32_e32 v18, v16, v17
	s_waitcnt vmcnt(4)
	v_lshlrev_b32_e32 v17, 16, v29
	v_lshlrev_b32_e32 v16, 16, v28
	v_pk_mul_f32 v[16:17], v[78:79], v[16:17]
	s_nop 0
	;; [unrolled: 7-line block ×4, first 2 shown]
	v_add_f32_e32 v16, v18, v16
	v_add_f32_e32 v110, v16, v17
	s_cbranch_vccz .LBB598_15
; %bb.13:
	ds_read_b128 v[16:19], v1 offset:64
	v_lshlrev_b32_e32 v39, 16, v39
	ds_read_b128 v[20:23], v1 offset:80
	ds_read_b128 v[24:27], v1 offset:96
	;; [unrolled: 1-line block ×3, first 2 shown]
	s_cmpk_lt_u32 s40, 0x2001
	s_waitcnt lgkmcnt(3)
	v_fmac_f32_e32 v110, v16, v39
	v_lshlrev_b32_e32 v16, 16, v38
	v_fmac_f32_e32 v110, v17, v16
	v_lshlrev_b32_e32 v16, 16, v37
	v_fmac_f32_e32 v110, v18, v16
	v_lshlrev_b32_e32 v16, 16, v36
	v_fmac_f32_e32 v110, v19, v16
	v_lshlrev_b32_e32 v16, 16, v35
	s_waitcnt lgkmcnt(2)
	v_fmac_f32_e32 v110, v20, v16
	v_lshlrev_b32_e32 v16, 16, v34
	v_fmac_f32_e32 v110, v21, v16
	v_lshlrev_b32_e32 v16, 16, v33
	v_fmac_f32_e32 v110, v22, v16
	v_lshlrev_b32_e32 v16, 16, v32
	v_fmac_f32_e32 v110, v23, v16
	v_lshlrev_b32_e32 v16, 16, v47
	;; [unrolled: 9-line block ×3, first 2 shown]
	s_waitcnt lgkmcnt(0)
	v_fmac_f32_e32 v110, v28, v16
	v_lshlrev_b32_e32 v16, 16, v42
	v_fmac_f32_e32 v110, v29, v16
	v_lshlrev_b32_e32 v16, 16, v41
	;; [unrolled: 2-line block ×3, first 2 shown]
	v_fmac_f32_e32 v110, v31, v16
	s_cbranch_scc1 .LBB598_15
; %bb.14:
	v_mov_b32_e32 v32, 0
	ds_read_b128 v[16:19], v32 offset:128
	ds_read_b128 v[20:23], v32 offset:144
	;; [unrolled: 1-line block ×4, first 2 shown]
	s_waitcnt lgkmcnt(3)
	v_fmac_f32_e32 v110, v16, v67
	v_fmac_f32_e32 v110, v17, v65
	v_fmac_f32_e32 v110, v18, v66
	v_fmac_f32_e32 v110, v19, v63
	s_waitcnt lgkmcnt(2)
	v_fmac_f32_e32 v110, v20, v64
	v_fmac_f32_e32 v110, v21, v61
	v_fmac_f32_e32 v110, v22, v62
	v_fmac_f32_e32 v110, v23, v59
	;; [unrolled: 5-line block ×3, first 2 shown]
	ds_read_b128 v[16:19], v32 offset:192
	ds_read_b128 v[20:23], v32 offset:208
	s_waitcnt lgkmcnt(2)
	v_fmac_f32_e32 v110, v28, v56
	v_fmac_f32_e32 v110, v29, v53
	;; [unrolled: 1-line block ×4, first 2 shown]
	s_waitcnt lgkmcnt(1)
	v_fmac_f32_e32 v110, v16, v51
	v_fmac_f32_e32 v110, v17, v49
	;; [unrolled: 1-line block ×4, first 2 shown]
	s_waitcnt lgkmcnt(0)
	v_pk_mul_f32 v[14:15], v[20:21], v[14:15]
	v_pk_mul_f32 v[12:13], v[22:23], v[12:13]
	v_add_f32_e32 v14, v110, v14
	v_add_f32_e32 v18, v14, v15
	ds_read_b128 v[14:17], v32 offset:224
	v_add_f32_e32 v12, v18, v12
	ds_read_b128 v[18:21], v32 offset:240
	v_add_f32_e32 v12, v12, v13
	s_waitcnt lgkmcnt(1)
	v_pk_mul_f32 v[10:11], v[14:15], v[10:11]
	s_nop 0
	v_add_f32_e32 v10, v12, v10
	v_add_f32_e32 v10, v10, v11
	v_pk_mul_f32 v[8:9], v[16:17], v[8:9]
	s_waitcnt lgkmcnt(0)
	v_pk_mul_f32 v[6:7], v[18:19], v[6:7]
	v_add_f32_e32 v8, v10, v8
	v_add_f32_e32 v8, v8, v9
	;; [unrolled: 1-line block ×4, first 2 shown]
	v_pk_mul_f32 v[4:5], v[20:21], v[4:5]
	s_nop 0
	v_add_f32_e32 v4, v6, v4
	v_add_f32_e32 v110, v4, v5
.LBB598_15:
	s_movk_i32 s0, 0x3f80
	s_movk_i32 s1, 0x100
	s_mov_b32 s8, 64
	s_branch .LBB598_17
.LBB598_16:                             ;   in Loop: Header=BB598_17 Depth=1
	s_addk_i32 s0, 0x2000
	s_addk_i32 s1, 0x100
	s_add_i32 s8, s8, 64
	s_cmpk_eq_u32 s0, 0xff80
	s_cbranch_scc1 .LBB598_19
.LBB598_17:                             ; =>This Inner Loop Header: Depth=1
	s_cmp_le_i32 s33, s8
	s_cbranch_scc1 .LBB598_16
; %bb.18:                               ;   in Loop: Header=BB598_17 Depth=1
	s_add_i32 s9, s0, 0xffffe080
	s_cmp_lt_i32 s9, s10
	s_cselect_b32 s12, s9, s11
	s_ashr_i32 s13, s12, 31
	s_add_i32 s9, s0, 0xffffe100
	s_cmp_lt_i32 s9, s10
	v_lshl_add_u64 v[42:43], s[12:13], 1, v[2:3]
	s_cselect_b32 s12, s9, s11
	s_ashr_i32 s13, s12, 31
	s_add_i32 s9, s0, 0xffffe180
	s_cmp_lt_i32 s9, s10
	v_lshl_add_u64 v[4:5], s[12:13], 1, v[2:3]
	;; [unrolled: 5-line block ×21, first 2 shown]
	s_cselect_b32 s12, s9, s11
	s_ashr_i32 s13, s12, 31
	s_add_i32 s9, s0, 0xffffeb80
	s_cmp_lt_i32 s9, s10
	global_load_ushort v111, v[42:43], off
	global_load_ushort v121, v[44:45], off
	v_lshl_add_u64 v[32:33], s[12:13], 1, v[2:3]
	s_cselect_b32 s12, s9, s11
	global_load_ushort v112, v[4:5], off
	global_load_ushort v113, v[6:7], off
	;; [unrolled: 1-line block ×8, first 2 shown]
	s_ashr_i32 s13, s12, 31
	s_add_i32 s9, s0, 0xffffec00
	s_cmp_lt_i32 s9, s10
	v_lshl_add_u64 v[34:35], s[12:13], 1, v[2:3]
	s_cselect_b32 s12, s9, s11
	s_ashr_i32 s13, s12, 31
	s_add_i32 s9, s0, 0xffffec80
	s_cmp_lt_i32 s9, s10
	v_lshl_add_u64 v[48:49], s[12:13], 1, v[2:3]
	s_cselect_b32 s12, s9, s11
	;; [unrolled: 5-line block ×3, first 2 shown]
	global_load_ushort v120, v[28:29], off
	s_ashr_i32 s13, s12, 31
	s_add_i32 s9, s0, 0xffffed80
	s_cmp_lt_i32 s9, s10
	global_load_ushort v122, v[54:55], off
	global_load_ushort v123, v[56:57], off
	v_lshl_add_u64 v[18:19], s[12:13], 1, v[2:3]
	global_load_ushort v58, v[58:59], off
	s_cselect_b32 s12, s9, s11
	s_ashr_i32 s13, s12, 31
	s_add_i32 s9, s0, 0xffffee00
	s_cmp_lt_i32 s9, s10
	v_lshl_add_u64 v[20:21], s[12:13], 1, v[2:3]
	s_cselect_b32 s12, s9, s11
	s_ashr_i32 s13, s12, 31
	s_add_i32 s9, s0, 0xffffee80
	s_cmp_lt_i32 s9, s10
	v_lshl_add_u64 v[38:39], s[12:13], 1, v[2:3]
	;; [unrolled: 5-line block ×3, first 2 shown]
	s_cselect_b32 s12, s9, s11
	global_load_ushort v59, v[60:61], off
	s_ashr_i32 s13, s12, 31
	s_add_i32 s9, s0, 0xffffef80
	global_load_ushort v60, v[66:67], off
	global_load_ushort v61, v[62:63], off
	s_cmp_lt_i32 s9, s10
	v_lshl_add_u64 v[50:51], s[12:13], 1, v[2:3]
	s_cselect_b32 s12, s9, s11
	s_ashr_i32 s13, s12, 31
	s_add_i32 s9, s0, 0xfffff000
	s_cmp_lt_i32 s9, s10
	v_lshl_add_u64 v[52:53], s[12:13], 1, v[2:3]
	s_cselect_b32 s12, s9, s11
	s_ashr_i32 s13, s12, 31
	s_add_i32 s9, s0, 0xfffff080
	;; [unrolled: 5-line block ×3, first 2 shown]
	s_cmp_lt_i32 s9, s10
	v_lshl_add_u64 v[68:69], s[12:13], 1, v[2:3]
	s_cselect_b32 s12, s9, s11
	global_load_ushort v62, v[24:25], off
	s_ashr_i32 s13, s12, 31
	s_add_i32 s9, s0, 0xfffff180
	global_load_ushort v66, v[30:31], off
	global_load_ushort v124, v[32:33], off
	;; [unrolled: 1-line block ×4, first 2 shown]
	s_cmp_lt_i32 s9, s10
	v_lshl_add_u64 v[70:71], s[12:13], 1, v[2:3]
	s_cselect_b32 s12, s9, s11
	global_load_ushort v67, v[46:47], off
	s_ashr_i32 s13, s12, 31
	s_add_i32 s9, s0, 0xfffff200
	s_cmp_lt_i32 s9, s10
	v_lshl_add_u64 v[72:73], s[12:13], 1, v[2:3]
	s_cselect_b32 s12, s9, s11
	s_ashr_i32 s13, s12, 31
	s_add_i32 s9, s0, 0xfffff280
	s_cmp_lt_i32 s9, s10
	v_lshl_add_u64 v[74:75], s[12:13], 1, v[2:3]
	s_cselect_b32 s12, s9, s11
	s_ashr_i32 s13, s12, 31
	s_add_i32 s9, s0, 0xfffff300
	s_cmp_lt_i32 s9, s10
	v_mov_b32_e32 v125, s1
	v_lshl_add_u64 v[76:77], s[12:13], 1, v[2:3]
	s_cselect_b32 s12, s9, s11
	ds_read_b128 v[28:31], v125
	ds_read_b128 v[32:35], v125 offset:16
	global_load_ushort v48, v[48:49], off
	s_ashr_i32 s13, s12, 31
	s_add_i32 s9, s0, 0xfffff380
	s_cmp_lt_i32 s9, s10
	v_lshl_add_u64 v[78:79], s[12:13], 1, v[2:3]
	s_cselect_b32 s12, s9, s11
	ds_read_b128 v[44:47], v125 offset:32
	ds_read_b128 v[54:57], v125 offset:48
	global_load_ushort v36, v[36:37], off
	s_ashr_i32 s13, s12, 31
	v_lshl_add_u64 v[80:81], s[12:13], 1, v[2:3]
	global_load_ushort v49, v[80:81], off
	global_load_ushort v37, v[18:19], off
	s_add_i32 s9, s0, 0xfffff400
	global_load_ushort v38, v[38:39], off
	s_cmp_lt_i32 s9, s10
	s_cselect_b32 s12, s9, s11
	s_ashr_i32 s13, s12, 31
	s_add_i32 s9, s0, 0xfffff480
	s_cmp_lt_i32 s9, s10
	v_lshl_add_u64 v[82:83], s[12:13], 1, v[2:3]
	s_cselect_b32 s12, s9, s11
	s_ashr_i32 s13, s12, 31
	s_add_i32 s9, s0, 0xfffff500
	s_cmp_lt_i32 s9, s10
	v_lshl_add_u64 v[84:85], s[12:13], 1, v[2:3]
	;; [unrolled: 5-line block ×5, first 2 shown]
	s_cselect_b32 s12, s9, s11
	s_ashr_i32 s13, s12, 31
	s_add_i32 s9, s0, 0xfffff700
	s_waitcnt vmcnt(27)
	v_lshlrev_b32_e32 v111, 16, v111
	s_cmp_lt_i32 s9, s10
	s_waitcnt lgkmcnt(3)
	v_fmac_f32_e32 v110, v28, v111
	s_waitcnt vmcnt(25)
	v_lshlrev_b32_e32 v28, 16, v112
	v_lshl_add_u64 v[92:93], s[12:13], 1, v[2:3]
	s_cselect_b32 s12, s9, s11
	v_fmac_f32_e32 v110, v29, v28
	s_waitcnt vmcnt(24)
	v_lshlrev_b32_e32 v28, 16, v113
	s_ashr_i32 s13, s12, 31
	s_add_i32 s9, s0, 0xfffff780
	v_fmac_f32_e32 v110, v30, v28
	s_waitcnt vmcnt(23)
	v_lshlrev_b32_e32 v28, 16, v114
	s_cmp_lt_i32 s9, s10
	v_fmac_f32_e32 v110, v31, v28
	s_waitcnt vmcnt(22)
	v_lshlrev_b32_e32 v18, 16, v115
	v_lshl_add_u64 v[94:95], s[12:13], 1, v[2:3]
	s_cselect_b32 s12, s9, s11
	s_waitcnt lgkmcnt(2)
	v_fmac_f32_e32 v110, v32, v18
	global_load_ushort v32, v[20:21], off
	s_ashr_i32 s13, s12, 31
	s_add_i32 s9, s0, 0xfffff800
	s_waitcnt vmcnt(22)
	v_lshlrev_b32_e32 v18, 16, v116
	s_cmp_lt_i32 s9, s10
	v_fmac_f32_e32 v110, v33, v18
	global_load_ushort v33, v[40:41], off
	s_waitcnt vmcnt(22)
	v_lshlrev_b32_e32 v18, 16, v117
	v_lshl_add_u64 v[96:97], s[12:13], 1, v[2:3]
	s_cselect_b32 s12, s9, s11
	v_fmac_f32_e32 v110, v34, v18
	global_load_ushort v34, v[50:51], off
	s_waitcnt vmcnt(22)
	v_lshlrev_b32_e32 v18, 16, v118
	s_ashr_i32 s13, s12, 31
	s_add_i32 s9, s0, 0xfffff880
	v_fmac_f32_e32 v110, v35, v18
	global_load_ushort v35, v[52:53], off
	global_load_ushort v39, v[64:65], off
	s_waitcnt vmcnt(23)
	v_lshlrev_b32_e32 v18, 16, v119
	s_cmp_lt_i32 s9, s10
	s_waitcnt lgkmcnt(1)
	v_fmac_f32_e32 v110, v44, v18
	global_load_ushort v44, v[72:73], off
	s_waitcnt vmcnt(23)
	v_lshlrev_b32_e32 v18, 16, v120
	v_lshl_add_u64 v[98:99], s[12:13], 1, v[2:3]
	s_cselect_b32 s12, s9, s11
	v_fmac_f32_e32 v110, v45, v18
	v_lshlrev_b32_e32 v18, 16, v121
	s_ashr_i32 s13, s12, 31
	s_add_i32 s9, s0, 0xfffff900
	v_fmac_f32_e32 v110, v46, v18
	global_load_ushort v46, v[76:77], off
	s_waitcnt vmcnt(23)
	v_lshlrev_b32_e32 v18, 16, v122
	s_cmp_lt_i32 s9, s10
	v_fmac_f32_e32 v110, v47, v18
	s_waitcnt vmcnt(22)
	v_lshlrev_b32_e32 v18, 16, v123
	v_lshl_add_u64 v[102:103], s[12:13], 1, v[2:3]
	s_cselect_b32 s12, s9, s11
	s_waitcnt lgkmcnt(0)
	v_fmac_f32_e32 v110, v54, v18
	global_load_ushort v54, v[88:89], off
	global_load_ushort v40, v[68:69], off
	;; [unrolled: 1-line block ×8, first 2 shown]
	s_ashr_i32 s13, s12, 31
	s_add_i32 s9, s0, 0xfffff980
	s_cmp_lt_i32 s9, s10
	v_lshl_add_u64 v[104:105], s[12:13], 1, v[2:3]
	s_cselect_b32 s12, s9, s11
	s_ashr_i32 s13, s12, 31
	s_add_i32 s9, s0, 0xfffffa00
	s_cmp_lt_i32 s9, s10
	v_lshl_add_u64 v[106:107], s[12:13], 1, v[2:3]
	s_cselect_b32 s12, s9, s11
	s_ashr_i32 s13, s12, 31
	s_add_i32 s9, s0, 0xfffffa80
	s_waitcnt vmcnt(29)
	v_lshlrev_b32_e32 v18, 16, v58
	s_cmp_lt_i32 s9, s10
	v_fmac_f32_e32 v110, v55, v18
	global_load_ushort v55, v[90:91], off
	s_waitcnt vmcnt(29)
	v_lshlrev_b32_e32 v18, 16, v59
	v_lshl_add_u64 v[100:101], s[12:13], 1, v[2:3]
	s_cselect_b32 s12, s9, s11
	v_fmac_f32_e32 v110, v56, v18
	s_waitcnt vmcnt(28)
	v_lshlrev_b32_e32 v18, 16, v60
	s_ashr_i32 s13, s12, 31
	s_add_i32 s9, s0, 0xfffffb00
	v_fmac_f32_e32 v110, v57, v18
	ds_read_b128 v[18:21], v125 offset:64
	ds_read_b128 v[28:31], v125 offset:80
	s_cmp_lt_i32 s9, s10
	v_lshl_add_u64 v[42:43], s[12:13], 1, v[2:3]
	s_cselect_b32 s12, s9, s11
	s_ashr_i32 s13, s12, 31
	s_add_i32 s9, s0, 0xfffffb80
	s_cmp_lt_i32 s9, s10
	s_waitcnt vmcnt(27)
	v_lshlrev_b32_e32 v53, 16, v61
	v_lshl_add_u64 v[108:109], s[12:13], 1, v[2:3]
	s_cselect_b32 s12, s9, s11
	s_waitcnt lgkmcnt(1)
	v_fmac_f32_e32 v110, v18, v53
	global_load_ushort v53, v[92:93], off
	global_load_ushort v56, v[94:95], off
	;; [unrolled: 1-line block ×6, first 2 shown]
	s_ashr_i32 s13, s12, 31
	s_add_i32 s9, s0, 0xfffffc00
	s_cmp_lt_i32 s9, s10
	v_lshl_add_u64 v[4:5], s[12:13], 1, v[2:3]
	s_cselect_b32 s12, s9, s11
	s_ashr_i32 s13, s12, 31
	s_add_i32 s9, s0, 0xfffffc80
	s_cmp_lt_i32 s9, s10
	s_waitcnt vmcnt(32)
	v_lshlrev_b32_e32 v18, 16, v62
	v_lshl_add_u64 v[6:7], s[12:13], 1, v[2:3]
	s_cselect_b32 s12, s9, s11
	v_fmac_f32_e32 v110, v19, v18
	s_waitcnt vmcnt(28)
	v_lshlrev_b32_e32 v18, 16, v63
	s_ashr_i32 s13, s12, 31
	s_add_i32 s9, s0, 0xfffffd00
	v_fmac_f32_e32 v110, v20, v18
	v_lshlrev_b32_e32 v18, 16, v66
	s_cmp_lt_i32 s9, s10
	v_fmac_f32_e32 v110, v21, v18
	s_waitcnt vmcnt(27)
	v_lshlrev_b32_e32 v18, 16, v67
	v_lshl_add_u64 v[8:9], s[12:13], 1, v[2:3]
	s_cselect_b32 s12, s9, s11
	s_waitcnt lgkmcnt(0)
	v_fmac_f32_e32 v110, v28, v18
	global_load_ushort v28, v[106:107], off
	s_ashr_i32 s13, s12, 31
	s_add_i32 s9, s0, 0xfffffd80
	s_cmp_lt_i32 s9, s10
	global_load_ushort v61, v[100:101], off
	global_load_ushort v62, v[42:43], off
	global_load_ushort v63, v[108:109], off
	v_lshl_add_u64 v[12:13], s[12:13], 1, v[2:3]
	s_cselect_b32 s12, s9, s11
	v_lshlrev_b32_e32 v18, 16, v124
	s_ashr_i32 s13, s12, 31
	s_add_i32 s9, s0, 0xfffffe00
	v_fmac_f32_e32 v110, v29, v18
	v_lshlrev_b32_e32 v18, 16, v126
	s_cmp_lt_i32 s9, s10
	v_fmac_f32_e32 v110, v30, v18
	global_load_ushort v29, v[4:5], off
	global_load_ushort v30, v[6:7], off
	v_lshl_add_u64 v[10:11], s[12:13], 1, v[2:3]
	s_cselect_b32 s12, s9, s11
	s_ashr_i32 s13, s12, 31
	s_add_i32 s9, s0, 0xfffffe80
	s_cmp_lt_i32 s9, s10
	s_waitcnt vmcnt(32)
	v_lshlrev_b32_e32 v4, 16, v48
	v_lshl_add_u64 v[22:23], s[12:13], 1, v[2:3]
	s_cselect_b32 s12, s9, s11
	v_fmac_f32_e32 v110, v31, v4
	ds_read_b128 v[4:7], v125 offset:96
	s_ashr_i32 s13, s12, 31
	s_add_i32 s9, s0, 0xffffff00
	s_cmp_lt_i32 s9, s10
	s_waitcnt vmcnt(31)
	v_lshlrev_b32_e32 v31, 16, v36
	global_load_ushort v36, v[8:9], off
	global_load_ushort v42, v[12:13], off
	v_lshl_add_u64 v[14:15], s[12:13], 1, v[2:3]
	s_cselect_b32 s12, s9, s11
	s_ashr_i32 s13, s12, 31
	s_add_i32 s9, s0, 0xffffff80
	s_cmp_lt_i32 s9, s10
	ds_read_b128 v[18:21], v125 offset:112
	s_waitcnt lgkmcnt(1)
	v_fmac_f32_e32 v110, v4, v31
	s_waitcnt vmcnt(31)
	v_lshlrev_b32_e32 v4, 16, v37
	global_load_ushort v31, v[10:11], off
	global_load_ushort v37, v[22:23], off
	v_lshl_add_u64 v[24:25], s[12:13], 1, v[2:3]
	s_cselect_b32 s12, s9, s11
	s_ashr_i32 s13, s12, 31
	s_cmp_lt_i32 s0, s10
	global_load_ushort v22, v[14:15], off
	global_load_ushort v23, v[24:25], off
	v_lshl_add_u64 v[16:17], s[12:13], 1, v[2:3]
	s_cselect_b32 s12, s0, s11
	s_ashr_i32 s13, s12, 31
	v_lshl_add_u64 v[26:27], s[12:13], 1, v[2:3]
	global_load_ushort v14, v[16:17], off
	global_load_ushort v15, v[26:27], off
	v_fmac_f32_e32 v110, v5, v4
	s_waitcnt vmcnt(35)
	v_lshlrev_b32_e32 v4, 16, v32
	v_fmac_f32_e32 v110, v6, v4
	v_lshlrev_b32_e32 v4, 16, v38
	v_fmac_f32_e32 v110, v7, v4
	s_waitcnt vmcnt(34)
	v_lshlrev_b32_e32 v4, 16, v33
	s_waitcnt lgkmcnt(0)
	v_fmac_f32_e32 v110, v18, v4
	s_waitcnt vmcnt(33)
	v_lshlrev_b32_e32 v4, 16, v34
	v_fmac_f32_e32 v110, v19, v4
	s_waitcnt vmcnt(32)
	v_lshlrev_b32_e32 v4, 16, v35
	v_fmac_f32_e32 v110, v20, v4
	ds_read_b128 v[4:7], v125 offset:128
	s_waitcnt vmcnt(31)
	v_lshlrev_b32_e32 v8, 16, v39
	v_fmac_f32_e32 v110, v21, v8
	ds_read_b128 v[8:11], v125 offset:144
	s_waitcnt vmcnt(27)
	v_lshlrev_b32_e32 v12, 16, v40
	s_waitcnt lgkmcnt(1)
	v_fmac_f32_e32 v110, v4, v12
	s_waitcnt vmcnt(26)
	v_lshlrev_b32_e32 v4, 16, v41
	v_fmac_f32_e32 v110, v5, v4
	v_lshlrev_b32_e32 v4, 16, v44
	v_fmac_f32_e32 v110, v6, v4
	s_waitcnt vmcnt(25)
	v_lshlrev_b32_e32 v4, 16, v45
	v_fmac_f32_e32 v110, v7, v4
	v_lshlrev_b32_e32 v4, 16, v46
	s_waitcnt lgkmcnt(0)
	v_fmac_f32_e32 v110, v8, v4
	s_waitcnt vmcnt(24)
	v_lshlrev_b32_e32 v4, 16, v47
	v_fmac_f32_e32 v110, v9, v4
	v_lshlrev_b32_e32 v4, 16, v49
	v_fmac_f32_e32 v110, v10, v4
	ds_read_b128 v[4:7], v125 offset:160
	s_waitcnt vmcnt(23)
	v_lshlrev_b32_e32 v8, 16, v50
	v_fmac_f32_e32 v110, v11, v8
	ds_read_b128 v[8:11], v125 offset:176
	s_waitcnt vmcnt(22)
	v_lshlrev_b32_e32 v12, 16, v51
	s_waitcnt lgkmcnt(1)
	v_fmac_f32_e32 v110, v4, v12
	s_waitcnt vmcnt(21)
	v_lshlrev_b32_e32 v4, 16, v52
	v_fmac_f32_e32 v110, v5, v4
	v_lshlrev_b32_e32 v4, 16, v54
	v_fmac_f32_e32 v110, v6, v4
	s_waitcnt vmcnt(20)
	v_lshlrev_b32_e32 v4, 16, v55
	v_fmac_f32_e32 v110, v7, v4
	s_waitcnt vmcnt(19)
	v_lshlrev_b32_e32 v4, 16, v53
	s_waitcnt lgkmcnt(0)
	v_fmac_f32_e32 v110, v8, v4
	s_waitcnt vmcnt(18)
	v_lshlrev_b32_e32 v4, 16, v56
	v_fmac_f32_e32 v110, v9, v4
	s_waitcnt vmcnt(17)
	v_lshlrev_b32_e32 v4, 16, v57
	v_fmac_f32_e32 v110, v10, v4
	ds_read_b128 v[4:7], v125 offset:192
	s_waitcnt vmcnt(16)
	v_lshlrev_b32_e32 v8, 16, v58
	v_fmac_f32_e32 v110, v11, v8
	ds_read_b128 v[8:11], v125 offset:208
	s_waitcnt vmcnt(15)
	v_lshlrev_b32_e32 v12, 16, v59
	s_waitcnt lgkmcnt(1)
	v_fmac_f32_e32 v110, v4, v12
	s_waitcnt vmcnt(14)
	v_lshlrev_b32_e32 v4, 16, v60
	v_fmac_f32_e32 v110, v5, v4
	s_waitcnt vmcnt(13)
	v_lshlrev_b32_e32 v4, 16, v28
	;; [unrolled: 3-line block ×4, first 2 shown]
	v_lshlrev_b32_e32 v4, 16, v62
	s_waitcnt lgkmcnt(0)
	v_pk_mul_f32 v[4:5], v[8:9], v[4:5]
	s_waitcnt vmcnt(6)
	v_lshlrev_b32_e32 v13, 16, v42
	v_add_f32_e32 v4, v110, v4
	v_add_f32_e32 v6, v4, v5
	v_lshlrev_b32_e32 v5, 16, v30
	v_lshlrev_b32_e32 v4, 16, v29
	v_pk_mul_f32 v[8:9], v[10:11], v[4:5]
	v_lshlrev_b32_e32 v12, 16, v36
	v_add_f32_e32 v8, v6, v8
	ds_read_b128 v[4:7], v125 offset:224
	v_add_f32_e32 v16, v8, v9
	ds_read_b128 v[8:11], v125 offset:240
	s_waitcnt lgkmcnt(1)
	v_pk_mul_f32 v[4:5], v[4:5], v[12:13]
	s_nop 0
	v_add_f32_e32 v4, v16, v4
	v_add_f32_e32 v12, v4, v5
	s_waitcnt vmcnt(4)
	v_lshlrev_b32_e32 v5, 16, v37
	v_lshlrev_b32_e32 v4, 16, v31
	v_pk_mul_f32 v[4:5], v[6:7], v[4:5]
	s_nop 0
	v_add_f32_e32 v4, v12, v4
	v_add_f32_e32 v6, v4, v5
	s_waitcnt vmcnt(2)
	v_lshlrev_b32_e32 v5, 16, v23
	v_lshlrev_b32_e32 v4, 16, v22
	s_waitcnt lgkmcnt(0)
	v_pk_mul_f32 v[4:5], v[8:9], v[4:5]
	s_nop 0
	v_add_f32_e32 v4, v6, v4
	v_add_f32_e32 v6, v4, v5
	s_waitcnt vmcnt(1)
	v_lshlrev_b32_e32 v4, 16, v14
	s_waitcnt vmcnt(0)
	v_lshlrev_b32_e32 v5, 16, v15
	v_pk_mul_f32 v[4:5], v[10:11], v[4:5]
	s_nop 0
	v_add_f32_e32 v4, v6, v4
	v_add_f32_e32 v110, v4, v5
	s_branch .LBB598_16
.LBB598_19:
	v_mov_b32_e32 v2, 0
	ds_read_b32 v2, v2 offset:1792
	s_cmp_lg_u64 s[6:7], 0
	s_cbranch_scc0 .LBB598_24
; %bb.20:
	s_load_dword s6, s[6:7], 0x0
	s_waitcnt lgkmcnt(0)
	v_div_scale_f32 v3, s[0:1], s6, s6, 1.0
	v_rcp_f32_e32 v4, v3
	v_div_scale_f32 v5, vcc, 1.0, s6, 1.0
	v_fma_f32 v6, -v3, v4, 1.0
	v_fmac_f32_e32 v4, v6, v4
	v_mul_f32_e32 v6, v5, v4
	v_fma_f32 v7, -v3, v6, v5
	v_fmac_f32_e32 v6, v7, v4
	v_fma_f32 v3, -v3, v6, v5
	v_div_fmas_f32 v3, v3, v4, v6
	v_div_fixup_f32 v3, v3, s6, 1.0
	s_andn2_b64 vcc, exec, s[28:29]
	s_cbranch_vccnz .LBB598_22
.LBB598_21:
	s_add_u32 s0, s26, s30
	s_addc_u32 s1, s27, s31
	s_load_dword s24, s[0:1], 0x0
	s_mov_b32 s25, 0
.LBB598_22:
	s_waitcnt lgkmcnt(0)
	v_add_f32_e32 v2, 0x358637bd, v2
	v_div_scale_f32 v4, s[0:1], v2, v2, 1.0
	v_rcp_f32_e32 v5, v4
	v_div_scale_f32 v6, vcc, 1.0, v2, 1.0
	s_mul_i32 s0, s3, s25
	v_fma_f32 v7, -v4, v5, 1.0
	v_fmac_f32_e32 v5, v7, v5
	v_mul_f32_e32 v7, v6, v5
	v_fma_f32 v8, -v4, v7, v6
	v_fmac_f32_e32 v7, v8, v5
	v_fma_f32 v4, -v4, v7, v6
	s_mul_hi_u32 s1, s3, s24
	v_div_fmas_f32 v4, v4, v5, v7
	s_add_i32 s1, s1, s0
	s_mul_i32 s0, s3, s24
	v_div_fixup_f32 v2, v4, v2, 1.0
	s_lshl_b64 s[0:1], s[0:1], 7
	v_mul_f32_e32 v2, v110, v2
	s_add_u32 s4, s4, s0
	s_mov_b32 s3, 0
	v_mul_f32_e32 v2, v2, v3
	s_addc_u32 s5, s5, s1
	s_lshl_b64 s[0:1], s[2:3], 7
	s_mov_b32 s2, 0x7f800000
	s_mov_b32 s3, 0x43700000
	v_mov_b32_e32 v3, 0xc3700000
	v_med3_f32 v3, v2, s3, v3
	v_cmp_nlg_f32_e64 vcc, |v2|, s2
	s_add_u32 s0, s4, s0
	s_addc_u32 s1, s5, s1
	v_cndmask_b32_e32 v2, v3, v2, vcc
	v_mov_b32_e32 v3, 0
	v_cvt_pk_fp8_f32 v3, v2, v2
	v_lshl_add_u64 v[0:1], s[0:1], 0, v[0:1]
	global_store_byte v[0:1], v3, off
	s_endpgm
.LBB598_23:
	s_mov_b64 s[6:7], 0
	s_branch .LBB598_2
.LBB598_24:
	v_mov_b32_e32 v3, 1.0
	s_andn2_b64 vcc, exec, s[28:29]
	s_cbranch_vccz .LBB598_21
	s_branch .LBB598_22
	.section	.rodata,"a",@progbits
	.p2align	6, 0x0
	.amdhsa_kernel _Z35paged_attention_ll4mi_reduce_kernelI14__hip_bfloat16hLi128ELi128ELi256ELi7EEvPT0_PKfS4_PKT_PKiS9_iS4_
		.amdhsa_group_segment_fixed_size 1796
		.amdhsa_private_segment_fixed_size 0
		.amdhsa_kernarg_size 320
		.amdhsa_user_sgpr_count 2
		.amdhsa_user_sgpr_dispatch_ptr 0
		.amdhsa_user_sgpr_queue_ptr 0
		.amdhsa_user_sgpr_kernarg_segment_ptr 1
		.amdhsa_user_sgpr_dispatch_id 0
		.amdhsa_user_sgpr_kernarg_preload_length 0
		.amdhsa_user_sgpr_kernarg_preload_offset 0
		.amdhsa_user_sgpr_private_segment_size 0
		.amdhsa_uses_dynamic_stack 0
		.amdhsa_enable_private_segment 0
		.amdhsa_system_sgpr_workgroup_id_x 1
		.amdhsa_system_sgpr_workgroup_id_y 1
		.amdhsa_system_sgpr_workgroup_id_z 0
		.amdhsa_system_sgpr_workgroup_info 0
		.amdhsa_system_vgpr_workitem_id 0
		.amdhsa_next_free_vgpr 127
		.amdhsa_next_free_sgpr 44
		.amdhsa_accum_offset 128
		.amdhsa_reserve_vcc 1
		.amdhsa_float_round_mode_32 0
		.amdhsa_float_round_mode_16_64 0
		.amdhsa_float_denorm_mode_32 3
		.amdhsa_float_denorm_mode_16_64 3
		.amdhsa_dx10_clamp 1
		.amdhsa_ieee_mode 1
		.amdhsa_fp16_overflow 0
		.amdhsa_tg_split 0
		.amdhsa_exception_fp_ieee_invalid_op 0
		.amdhsa_exception_fp_denorm_src 0
		.amdhsa_exception_fp_ieee_div_zero 0
		.amdhsa_exception_fp_ieee_overflow 0
		.amdhsa_exception_fp_ieee_underflow 0
		.amdhsa_exception_fp_ieee_inexact 0
		.amdhsa_exception_int_div_zero 0
	.end_amdhsa_kernel
	.section	.text._Z35paged_attention_ll4mi_reduce_kernelI14__hip_bfloat16hLi128ELi128ELi256ELi7EEvPT0_PKfS4_PKT_PKiS9_iS4_,"axG",@progbits,_Z35paged_attention_ll4mi_reduce_kernelI14__hip_bfloat16hLi128ELi128ELi256ELi7EEvPT0_PKfS4_PKT_PKiS9_iS4_,comdat
.Lfunc_end598:
	.size	_Z35paged_attention_ll4mi_reduce_kernelI14__hip_bfloat16hLi128ELi128ELi256ELi7EEvPT0_PKfS4_PKT_PKiS9_iS4_, .Lfunc_end598-_Z35paged_attention_ll4mi_reduce_kernelI14__hip_bfloat16hLi128ELi128ELi256ELi7EEvPT0_PKfS4_PKT_PKiS9_iS4_
                                        ; -- End function
	.section	.AMDGPU.csdata,"",@progbits
; Kernel info:
; codeLenInByte = 9220
; NumSgprs: 50
; NumVgprs: 127
; NumAgprs: 0
; TotalNumVgprs: 127
; ScratchSize: 0
; MemoryBound: 0
; FloatMode: 240
; IeeeMode: 1
; LDSByteSize: 1796 bytes/workgroup (compile time only)
; SGPRBlocks: 6
; VGPRBlocks: 15
; NumSGPRsForWavesPerEU: 50
; NumVGPRsForWavesPerEU: 127
; AccumOffset: 128
; Occupancy: 4
; WaveLimiterHint : 1
; COMPUTE_PGM_RSRC2:SCRATCH_EN: 0
; COMPUTE_PGM_RSRC2:USER_SGPR: 2
; COMPUTE_PGM_RSRC2:TRAP_HANDLER: 0
; COMPUTE_PGM_RSRC2:TGID_X_EN: 1
; COMPUTE_PGM_RSRC2:TGID_Y_EN: 1
; COMPUTE_PGM_RSRC2:TGID_Z_EN: 0
; COMPUTE_PGM_RSRC2:TIDIG_COMP_CNT: 0
; COMPUTE_PGM_RSRC3_GFX90A:ACCUM_OFFSET: 31
; COMPUTE_PGM_RSRC3_GFX90A:TG_SPLIT: 0
	.section	.text._Z35paged_attention_ll4mi_reduce_kernelI14__hip_bfloat16hLi128ELi128ELi256ELi8EEvPT0_PKfS4_PKT_PKiS9_iS4_,"axG",@progbits,_Z35paged_attention_ll4mi_reduce_kernelI14__hip_bfloat16hLi128ELi128ELi256ELi8EEvPT0_PKfS4_PKT_PKiS9_iS4_,comdat
	.protected	_Z35paged_attention_ll4mi_reduce_kernelI14__hip_bfloat16hLi128ELi128ELi256ELi8EEvPT0_PKfS4_PKT_PKiS9_iS4_ ; -- Begin function _Z35paged_attention_ll4mi_reduce_kernelI14__hip_bfloat16hLi128ELi128ELi256ELi8EEvPT0_PKfS4_PKT_PKiS9_iS4_
	.globl	_Z35paged_attention_ll4mi_reduce_kernelI14__hip_bfloat16hLi128ELi128ELi256ELi8EEvPT0_PKfS4_PKT_PKiS9_iS4_
	.p2align	8
	.type	_Z35paged_attention_ll4mi_reduce_kernelI14__hip_bfloat16hLi128ELi128ELi256ELi8EEvPT0_PKfS4_PKT_PKiS9_iS4_,@function
_Z35paged_attention_ll4mi_reduce_kernelI14__hip_bfloat16hLi128ELi128ELi256ELi8EEvPT0_PKfS4_PKT_PKiS9_iS4_: ; @_Z35paged_attention_ll4mi_reduce_kernelI14__hip_bfloat16hLi128ELi128ELi256ELi8EEvPT0_PKfS4_PKT_PKiS9_iS4_
; %bb.0:
	s_load_dwordx2 s[30:31], s[0:1], 0x28
	s_mov_b32 s28, s3
	s_mov_b64 s[4:5], 0
	s_waitcnt lgkmcnt(0)
	s_cmp_lg_u64 s[30:31], 0
	s_cselect_b64 s[34:35], -1, 0
	s_and_b64 vcc, exec, s[34:35]
	s_cbranch_vccz .LBB599_23
; %bb.1:
	s_add_i32 s6, s28, 1
	s_mov_b32 s7, 0
	s_lshl_b64 s[8:9], s[6:7], 2
	s_add_u32 s8, s30, s8
	s_mov_b32 s29, s7
	s_addc_u32 s9, s31, s9
	s_lshl_b64 s[6:7], s[28:29], 2
	s_add_u32 s6, s30, s6
	s_addc_u32 s7, s31, s7
	s_load_dword s3, s[8:9], 0x0
	s_load_dword s10, s[6:7], 0x0
	s_waitcnt lgkmcnt(0)
	s_sub_i32 s3, s3, s10
	s_cmp_eq_u32 s3, 1
	s_cselect_b64 s[6:7], -1, 0
	s_andn2_b64 vcc, exec, s[4:5]
	s_cbranch_vccnz .LBB599_3
.LBB599_2:
	s_mov_b32 s29, 0
	s_mov_b64 s[6:7], -1
.LBB599_3:
	s_andn2_b64 vcc, exec, s[6:7]
	s_cbranch_vccz .LBB599_5
; %bb.4:
	s_endpgm
.LBB599_5:
	s_load_dwordx4 s[20:23], s[0:1], 0x18
	s_load_dword s8, s[0:1], 0x30
	s_lshl_b64 s[36:37], s[28:29], 2
	v_cmp_lt_u32_e32 vcc, 63, v0
	s_waitcnt lgkmcnt(0)
	s_add_u32 s4, s22, s36
	s_addc_u32 s5, s23, s37
	s_load_dword s44, s[4:5], 0x0
	s_load_dword s3, s[0:1], 0x40
	s_mul_i32 s22, s2, s8
	s_mul_i32 s6, s28, s8
	s_waitcnt lgkmcnt(0)
	s_add_i32 s7, s44, 0xff
	s_ashr_i32 s4, s7, 31
	s_lshr_b32 s4, s4, 24
	s_add_i32 s7, s7, s4
	s_and_saveexec_b64 s[4:5], vcc
	s_xor_b64 s[4:5], exec, s[4:5]
	s_or_saveexec_b64 s[38:39], s[4:5]
	s_ashr_i32 s33, s7, 8
	v_mov_b32_e32 v1, s22
	s_mul_i32 s40, s6, s3
	s_xor_b64 exec, exec, s[38:39]
	s_cbranch_execz .LBB599_9
; %bb.6:
	s_add_i32 s4, s33, -1
	v_or_b32_e32 v3, 64, v0
	v_mov_b32_e32 v1, s4
	v_cmp_gt_u32_e64 s[14:15], s33, v3
	s_load_dwordx4 s[24:27], s[0:1], 0x8
	s_mov_b32 s41, 0
	v_cndmask_b32_e64 v4, v1, v3, s[14:15]
	v_or_b32_e32 v3, 0x80, v0
	v_cmp_gt_u32_e64 s[12:13], s33, v3
	s_lshl_b64 s[42:43], s[40:41], 2
	s_mov_b32 s23, s41
	v_cndmask_b32_e64 v6, v1, v3, s[12:13]
	v_or_b32_e32 v3, 0xc0, v0
	v_cmp_gt_u32_e64 s[10:11], s33, v3
	v_cmp_gt_u32_e64 s[16:17], s33, v0
	s_waitcnt lgkmcnt(0)
	s_add_u32 s18, s26, s42
	v_cndmask_b32_e64 v8, v1, v3, s[10:11]
	v_or_b32_e32 v3, 0x100, v0
	v_cmp_gt_u32_e64 s[8:9], s33, v3
	v_cndmask_b32_e64 v2, v1, v0, s[16:17]
	s_addc_u32 s19, s27, s43
	v_cndmask_b32_e64 v10, v1, v3, s[8:9]
	v_or_b32_e32 v3, 0x140, v0
	v_cmp_gt_u32_e64 s[6:7], s33, v3
	s_lshl_b64 s[26:27], s[22:23], 2
	s_add_u32 s18, s18, s26
	v_cndmask_b32_e64 v12, v1, v3, s[6:7]
	v_or_b32_e32 v3, 0x180, v0
	v_cmp_gt_u32_e64 s[4:5], s33, v3
	s_addc_u32 s19, s19, s27
	v_ashrrev_i32_e32 v5, 31, v4
	v_cndmask_b32_e64 v14, v1, v3, s[4:5]
	v_or_b32_e32 v3, 0x1c0, v0
	v_cmp_gt_u32_e32 vcc, s33, v3
	v_ashrrev_i32_e32 v7, 31, v6
	v_ashrrev_i32_e32 v9, 31, v8
	v_cndmask_b32_e32 v16, v1, v3, vcc
	v_ashrrev_i32_e32 v3, 31, v2
	v_lshlrev_b64 v[2:3], 2, v[2:3]
	v_ashrrev_i32_e32 v11, 31, v10
	v_ashrrev_i32_e32 v13, 31, v12
	;; [unrolled: 1-line block ×4, first 2 shown]
	v_lshl_add_u64 v[18:19], s[18:19], 0, v[2:3]
	v_lshlrev_b64 v[4:5], 2, v[4:5]
	v_lshlrev_b64 v[6:7], 2, v[6:7]
	;; [unrolled: 1-line block ×7, first 2 shown]
	v_lshl_add_u64 v[20:21], s[18:19], 0, v[4:5]
	v_lshl_add_u64 v[22:23], s[18:19], 0, v[6:7]
	v_lshl_add_u64 v[24:25], s[18:19], 0, v[8:9]
	v_lshl_add_u64 v[26:27], s[18:19], 0, v[10:11]
	v_lshl_add_u64 v[28:29], s[18:19], 0, v[12:13]
	v_lshl_add_u64 v[30:31], s[18:19], 0, v[14:15]
	v_lshl_add_u64 v[32:33], s[18:19], 0, v[16:17]
	global_load_dword v1, v[18:19], off
	global_load_dword v34, v[20:21], off
	;; [unrolled: 1-line block ×8, first 2 shown]
	v_mbcnt_lo_u32_b32 v18, -1, 0
	v_mbcnt_hi_u32_b32 v18, -1, v18
	v_and_b32_e32 v19, 64, v18
	v_xor_b32_e32 v20, 32, v18
	v_add_u32_e32 v19, 64, v19
	v_cmp_lt_i32_e64 s[18:19], v20, v19
	v_xor_b32_e32 v21, 16, v18
	v_xor_b32_e32 v22, 8, v18
	v_cndmask_b32_e64 v20, v18, v20, s[18:19]
	s_add_u32 s18, s24, s42
	s_addc_u32 s19, s25, s43
	s_add_u32 s24, s18, s26
	s_addc_u32 s25, s19, s27
	v_lshl_add_u64 v[2:3], s[24:25], 0, v[2:3]
	global_load_dword v24, v[2:3], off
	v_lshlrev_b32_e32 v20, 2, v20
	v_cmp_lt_i32_e64 s[18:19], v21, v19
	v_xor_b32_e32 v23, 4, v18
	v_xor_b32_e32 v25, 2, v18
	v_cndmask_b32_e64 v21, v18, v21, s[18:19]
	v_lshlrev_b32_e32 v21, 2, v21
	v_cmp_lt_i32_e64 s[18:19], v22, v19
	s_mov_b32 s23, 0x3fb8aa3b
	s_waitcnt vmcnt(8)
	v_max_f32_e32 v3, v1, v1
	s_waitcnt vmcnt(7)
	v_max_f32_e32 v2, v34, v34
	v_max_f32_e32 v2, v3, v2
	s_waitcnt vmcnt(5)
	v_max3_f32 v2, v2, v35, v36
	s_waitcnt vmcnt(3)
	v_max3_f32 v2, v2, v37, v38
	;; [unrolled: 2-line block ×3, first 2 shown]
	ds_bpermute_b32 v3, v20, v2
	s_waitcnt lgkmcnt(0)
	v_max_f32_e32 v3, v3, v3
	v_max_f32_e32 v26, v2, v3
	ds_bpermute_b32 v27, v21, v26
	v_cndmask_b32_e64 v2, v18, v22, s[18:19]
	v_lshlrev_b32_e32 v22, 2, v2
	v_lshl_add_u64 v[2:3], s[24:25], 0, v[4:5]
	global_load_dword v28, v[2:3], off
	s_waitcnt lgkmcnt(0)
	v_max_f32_e32 v2, v27, v27
	v_max_f32_e32 v2, v26, v2
	ds_bpermute_b32 v3, v22, v2
	v_cmp_lt_i32_e64 s[18:19], v23, v19
	v_xor_b32_e32 v4, 1, v18
	s_waitcnt lgkmcnt(0)
	v_max_f32_e32 v3, v3, v3
	v_cndmask_b32_e64 v5, v18, v23, s[18:19]
	v_lshlrev_b32_e32 v23, 2, v5
	v_max_f32_e32 v5, v2, v3
	ds_bpermute_b32 v26, v23, v5
	v_cmp_lt_i32_e64 s[18:19], v25, v19
	s_nop 1
	v_cndmask_b32_e64 v2, v18, v25, s[18:19]
	v_lshlrev_b32_e32 v25, 2, v2
	v_lshl_add_u64 v[2:3], s[24:25], 0, v[6:7]
	global_load_dword v27, v[2:3], off
	s_waitcnt lgkmcnt(0)
	v_max_f32_e32 v2, v26, v26
	v_max_f32_e32 v5, v5, v2
	ds_bpermute_b32 v6, v25, v5
	v_cmp_lt_i32_e64 s[18:19], v4, v19
	s_nop 1
	v_cndmask_b32_e64 v2, v18, v4, s[18:19]
	s_waitcnt lgkmcnt(0)
	v_max_f32_e32 v4, v6, v6
	v_lshlrev_b32_e32 v18, 2, v2
	v_lshl_add_u64 v[2:3], s[24:25], 0, v[8:9]
	v_max_f32_e32 v19, v5, v4
	ds_bpermute_b32 v26, v18, v19
	global_load_dword v2, v[2:3], off
	v_lshl_add_u64 v[6:7], s[24:25], 0, v[12:13]
	v_lshl_add_u64 v[8:9], s[24:25], 0, v[14:15]
	;; [unrolled: 1-line block ×3, first 2 shown]
	s_waitcnt lgkmcnt(0)
	v_max_f32_e32 v12, v26, v26
	v_max_f32_e32 v12, v19, v12
	v_sub_f32_e32 v1, v1, v12
	v_mul_f32_e32 v3, 0x3fb8aa3b, v1
	v_fma_f32 v13, v1, s23, -v3
	v_rndne_f32_e32 v14, v3
	v_fmac_f32_e32 v13, 0x32a5705f, v1
	v_sub_f32_e32 v3, v3, v14
	v_lshl_add_u64 v[10:11], s[24:25], 0, v[16:17]
	v_add_f32_e32 v3, v3, v13
	v_cvt_i32_f32_e32 v13, v14
	global_load_dword v14, v[4:5], off
	global_load_dword v15, v[6:7], off
	;; [unrolled: 1-line block ×4, first 2 shown]
	v_sub_f32_e32 v5, v34, v12
	v_mul_f32_e32 v6, 0x3fb8aa3b, v5
	v_fma_f32 v7, v5, s23, -v6
	v_rndne_f32_e32 v8, v6
	v_exp_f32_e32 v3, v3
	v_fmac_f32_e32 v7, 0x32a5705f, v5
	v_sub_f32_e32 v6, v6, v8
	v_add_f32_e32 v6, v6, v7
	v_exp_f32_e32 v6, v6
	v_cvt_i32_f32_e32 v7, v8
	s_mov_b32 s24, 0xc2ce8ed0
	v_ldexp_f32 v3, v3, v13
	v_cmp_ngt_f32_e64 s[18:19], s24, v1
	s_mov_b32 s25, 0x42b17218
	v_mov_b32_e32 v4, 0x7f800000
	v_cndmask_b32_e64 v3, 0, v3, s[18:19]
	v_cmp_nlt_f32_e64 s[18:19], s25, v1
	s_nop 1
	v_cndmask_b32_e64 v1, v4, v3, s[18:19]
	v_ldexp_f32 v3, v6, v7
	v_sub_f32_e32 v6, v35, v12
	v_mul_f32_e32 v7, 0x3fb8aa3b, v6
	v_fma_f32 v8, v6, s23, -v7
	v_rndne_f32_e32 v9, v7
	v_fmac_f32_e32 v8, 0x32a5705f, v6
	v_sub_f32_e32 v7, v7, v9
	v_add_f32_e32 v7, v7, v8
	v_exp_f32_e32 v7, v7
	v_cvt_i32_f32_e32 v8, v9
	v_cndmask_b32_e64 v1, 0, v1, s[16:17]
	v_cmp_ngt_f32_e64 s[16:17], s24, v5
	s_waitcnt vmcnt(7)
	v_mul_f32_e32 v1, v24, v1
	v_cndmask_b32_e64 v3, 0, v3, s[16:17]
	v_cmp_nlt_f32_e64 s[16:17], s25, v5
	v_ldexp_f32 v5, v7, v8
	v_sub_f32_e32 v7, v36, v12
	v_mul_f32_e32 v8, 0x3fb8aa3b, v7
	v_fma_f32 v9, v7, s23, -v8
	v_rndne_f32_e32 v10, v8
	v_fmac_f32_e32 v9, 0x32a5705f, v7
	v_sub_f32_e32 v8, v8, v10
	v_add_f32_e32 v8, v8, v9
	v_exp_f32_e32 v8, v8
	v_cvt_i32_f32_e32 v9, v10
	v_cndmask_b32_e64 v3, v4, v3, s[16:17]
	v_cndmask_b32_e64 v3, 0, v3, s[14:15]
	v_cmp_ngt_f32_e64 s[14:15], s24, v6
	s_waitcnt vmcnt(6)
	v_mul_f32_e32 v3, v28, v3
	v_cndmask_b32_e64 v5, 0, v5, s[14:15]
	v_cmp_nlt_f32_e64 s[14:15], s25, v6
	v_ldexp_f32 v6, v8, v9
	v_sub_f32_e32 v8, v37, v12
	v_mul_f32_e32 v9, 0x3fb8aa3b, v8
	v_fma_f32 v10, v8, s23, -v9
	v_rndne_f32_e32 v11, v9
	v_fmac_f32_e32 v10, 0x32a5705f, v8
	v_sub_f32_e32 v9, v9, v11
	v_cndmask_b32_e64 v5, v4, v5, s[14:15]
	v_add_f32_e32 v9, v9, v10
	v_cndmask_b32_e64 v5, 0, v5, s[12:13]
	v_cmp_ngt_f32_e64 s[12:13], s24, v7
	v_exp_f32_e32 v9, v9
	v_cvt_i32_f32_e32 v10, v11
	v_cndmask_b32_e64 v6, 0, v6, s[12:13]
	v_cmp_nlt_f32_e64 s[12:13], s25, v7
	v_sub_f32_e32 v7, v38, v12
	s_waitcnt vmcnt(5)
	v_mul_f32_e32 v5, v27, v5
	v_cndmask_b32_e64 v6, v4, v6, s[12:13]
	v_cndmask_b32_e64 v6, 0, v6, s[10:11]
	s_waitcnt vmcnt(4)
	v_mul_f32_e32 v6, v2, v6
	v_ldexp_f32 v2, v9, v10
	v_mul_f32_e32 v9, 0x3fb8aa3b, v7
	v_fma_f32 v10, v7, s23, -v9
	v_rndne_f32_e32 v11, v9
	v_fmac_f32_e32 v10, 0x32a5705f, v7
	v_sub_f32_e32 v9, v9, v11
	v_add_f32_e32 v9, v9, v10
	v_cmp_ngt_f32_e64 s[10:11], s24, v8
	v_exp_f32_e32 v9, v9
	v_cvt_i32_f32_e32 v10, v11
	v_cndmask_b32_e64 v2, 0, v2, s[10:11]
	v_cmp_nlt_f32_e64 s[10:11], s25, v8
	s_nop 1
	v_cndmask_b32_e64 v2, v4, v2, s[10:11]
	v_cndmask_b32_e64 v2, 0, v2, s[8:9]
	s_waitcnt vmcnt(3)
	v_mul_f32_e32 v8, v14, v2
	v_ldexp_f32 v2, v9, v10
	v_sub_f32_e32 v9, v39, v12
	v_mul_f32_e32 v10, 0x3fb8aa3b, v9
	v_fma_f32 v11, v9, s23, -v10
	v_rndne_f32_e32 v13, v10
	v_fmac_f32_e32 v11, 0x32a5705f, v9
	v_sub_f32_e32 v10, v10, v13
	v_add_f32_e32 v10, v10, v11
	v_cmp_ngt_f32_e64 s[8:9], s24, v7
	v_exp_f32_e32 v10, v10
	v_cvt_i32_f32_e32 v11, v13
	v_cndmask_b32_e64 v2, 0, v2, s[8:9]
	v_cmp_nlt_f32_e64 s[8:9], s25, v7
	s_nop 1
	v_cndmask_b32_e64 v2, v4, v2, s[8:9]
	v_cndmask_b32_e64 v2, 0, v2, s[6:7]
	s_waitcnt vmcnt(2)
	v_mul_f32_e32 v7, v15, v2
	v_ldexp_f32 v2, v10, v11
	v_sub_f32_e32 v10, v40, v12
	v_mul_f32_e32 v11, 0x3fb8aa3b, v10
	v_fma_f32 v12, v10, s23, -v11
	v_rndne_f32_e32 v13, v11
	v_fmac_f32_e32 v12, 0x32a5705f, v10
	v_sub_f32_e32 v11, v11, v13
	v_add_f32_e32 v11, v11, v12
	v_exp_f32_e32 v11, v11
	v_cvt_i32_f32_e32 v12, v13
	v_cmp_ngt_f32_e64 s[6:7], s24, v9
	s_nop 1
	v_cndmask_b32_e64 v2, 0, v2, s[6:7]
	v_cmp_nlt_f32_e64 s[6:7], s25, v9
	v_ldexp_f32 v9, v11, v12
	v_lshlrev_b32_e32 v12, 2, v0
	v_cndmask_b32_e64 v2, v4, v2, s[6:7]
	v_cndmask_b32_e64 v2, 0, v2, s[4:5]
	v_cmp_ngt_f32_e64 s[4:5], s24, v10
	ds_write2st64_b32 v12, v1, v3 offset1:1
	s_waitcnt vmcnt(1)
	v_mul_f32_e32 v11, v16, v2
	v_cndmask_b32_e64 v9, 0, v9, s[4:5]
	v_cmp_nlt_f32_e64 s[4:5], s25, v10
	s_nop 1
	v_cndmask_b32_e64 v4, v4, v9, s[4:5]
	v_add_f32_e32 v9, v1, v3
	v_add_f32_e32 v9, v9, v5
	;; [unrolled: 1-line block ×5, first 2 shown]
	v_cndmask_b32_e32 v4, 0, v4, vcc
	v_fmac_f32_e32 v9, v16, v2
	s_waitcnt vmcnt(0)
	v_fmac_f32_e32 v9, v17, v4
	ds_bpermute_b32 v10, v20, v9
	v_cmp_eq_u32_e32 vcc, 0, v0
	v_mul_f32_e32 v4, v17, v4
	ds_write2st64_b32 v12, v5, v6 offset0:2 offset1:3
	ds_write2st64_b32 v12, v8, v7 offset0:4 offset1:5
	;; [unrolled: 1-line block ×3, first 2 shown]
	s_waitcnt lgkmcnt(3)
	v_add_f32_e32 v9, v9, v10
	ds_bpermute_b32 v10, v21, v9
	s_waitcnt lgkmcnt(0)
	v_add_f32_e32 v9, v9, v10
	ds_bpermute_b32 v10, v22, v9
	;; [unrolled: 3-line block ×5, first 2 shown]
	s_and_saveexec_b64 s[4:5], vcc
	s_cbranch_execz .LBB599_8
; %bb.7:
	s_waitcnt lgkmcnt(0)
	v_add_f32_e32 v1, v1, v2
	v_mov_b32_e32 v2, 0
	ds_write_b32 v2, v1 offset:2048
.LBB599_8:
	s_or_b64 exec, exec, s[4:5]
	v_mov_b32_e32 v1, s22
.LBB599_9:
	s_or_b64 exec, exec, s[38:39]
	s_lshl_b32 s4, s40, 7
	s_mov_b32 s5, 0
	s_lshl_b64 s[4:5], s[4:5], 1
	s_add_u32 s4, s20, s4
	s_addc_u32 s5, s21, s5
	s_lshl_b32 s10, s33, 7
	s_waitcnt lgkmcnt(0)
	v_lshlrev_b32_e32 v2, 7, v1
	v_mov_b32_e32 v1, 0
	s_add_i32 s11, s10, 0xffffff80
	v_mov_b32_e32 v3, v1
	s_cmp_lt_i32 s44, 1
	v_lshl_add_u64 v[2:3], v[2:3], 1, s[4:5]
	s_cselect_b32 s4, s11, 0
	v_lshlrev_b32_e32 v4, 1, v0
	v_mov_b32_e32 v5, v1
	s_ashr_i32 s5, s4, 31
	v_lshl_add_u64 v[2:3], v[2:3], 0, v[4:5]
	s_cmpk_lt_i32 s44, 0x101
	v_lshl_add_u64 v[4:5], s[4:5], 1, v[2:3]
	s_cselect_b32 s4, s11, 0x80
	s_ashr_i32 s5, s4, 31
	s_cmpk_lt_i32 s44, 0x201
	v_lshl_add_u64 v[6:7], s[4:5], 1, v[2:3]
	s_cselect_b32 s4, s11, 0x100
	s_ashr_i32 s5, s4, 31
	;; [unrolled: 4-line block ×8, first 2 shown]
	s_cmpk_lt_i32 s44, 0x901
	global_load_ushort v23, v[4:5], off
	global_load_ushort v22, v[6:7], off
	;; [unrolled: 1-line block ×8, first 2 shown]
	v_lshl_add_u64 v[4:5], s[4:5], 1, v[2:3]
	s_cselect_b32 s4, s11, 0x480
	s_ashr_i32 s5, s4, 31
	s_cmpk_lt_i32 s44, 0xa01
	v_lshl_add_u64 v[6:7], s[4:5], 1, v[2:3]
	s_cselect_b32 s4, s11, 0x500
	s_ashr_i32 s5, s4, 31
	s_cmpk_lt_i32 s44, 0xb01
	;; [unrolled: 4-line block ×6, first 2 shown]
	v_lshl_add_u64 v[32:33], s[4:5], 1, v[2:3]
	s_cselect_b32 s4, s11, 0x780
	s_ashr_i32 s5, s4, 31
	v_lshl_add_u64 v[34:35], s[4:5], 1, v[2:3]
	global_load_ushort v30, v[4:5], off
	global_load_ushort v31, v[6:7], off
	;; [unrolled: 1-line block ×8, first 2 shown]
	s_cmpk_gt_i32 s44, 0x1000
	s_cselect_b64 s[8:9], -1, 0
	s_cmpk_lt_i32 s44, 0x1001
	v_mov_b32_e32 v40, 0
	v_mov_b32_e32 v41, 0
	;; [unrolled: 1-line block ×48, first 2 shown]
	s_barrier
	s_cbranch_scc1 .LBB599_12
; %bb.10:
	s_cmpk_lt_u32 s44, 0x1101
	s_cselect_b32 s4, s11, 0x880
	s_ashr_i32 s5, s4, 31
	s_cmpk_lt_u32 s44, 0x1201
	v_lshl_add_u64 v[6:7], s[4:5], 1, v[2:3]
	s_cselect_b32 s4, s11, 0x900
	s_ashr_i32 s5, s4, 31
	s_cmpk_lt_u32 s44, 0x1301
	v_lshl_add_u64 v[8:9], s[4:5], 1, v[2:3]
	;; [unrolled: 4-line block ×7, first 2 shown]
	s_cselect_b32 s4, s11, 0xc00
	v_add_co_u32_e32 v4, vcc, 0x1000, v2
	s_ashr_i32 s5, s4, 31
	s_nop 0
	v_addc_co_u32_e32 v5, vcc, 0, v3, vcc
	s_cmpk_lt_u32 s44, 0x1901
	global_load_ushort v39, v[4:5], off
	global_load_ushort v38, v[6:7], off
	;; [unrolled: 1-line block ×8, first 2 shown]
	v_lshl_add_u64 v[4:5], s[4:5], 1, v[2:3]
	s_cselect_b32 s4, s11, 0xc80
	s_ashr_i32 s5, s4, 31
	s_cmpk_lt_u32 s44, 0x1a01
	v_lshl_add_u64 v[6:7], s[4:5], 1, v[2:3]
	s_cselect_b32 s4, s11, 0xd00
	s_ashr_i32 s5, s4, 31
	s_cmpk_lt_u32 s44, 0x1b01
	;; [unrolled: 4-line block ×6, first 2 shown]
	v_lshl_add_u64 v[48:49], s[4:5], 1, v[2:3]
	s_cselect_b32 s4, s11, 0xf80
	s_ashr_i32 s5, s4, 31
	v_lshl_add_u64 v[50:51], s[4:5], 1, v[2:3]
	global_load_ushort v47, v[4:5], off
	global_load_ushort v46, v[6:7], off
	;; [unrolled: 1-line block ×8, first 2 shown]
	s_cmpk_lt_u32 s44, 0x2001
	v_mov_b32_e32 v67, 0
	v_mov_b32_e32 v65, 0
	;; [unrolled: 1-line block ×32, first 2 shown]
	s_cbranch_scc1 .LBB599_12
; %bb.11:
	s_cmpk_lt_u32 s44, 0x2101
	s_cselect_b32 s4, s11, 0x1080
	s_ashr_i32 s5, s4, 31
	s_cmpk_lt_u32 s44, 0x2201
	v_lshl_add_u64 v[4:5], s[4:5], 1, v[2:3]
	s_cselect_b32 s4, s11, 0x1100
	s_ashr_i32 s5, s4, 31
	s_cmpk_lt_u32 s44, 0x2301
	v_lshl_add_u64 v[6:7], s[4:5], 1, v[2:3]
	;; [unrolled: 4-line block ×29, first 2 shown]
	s_cselect_b32 s4, s11, 0x1f00
	s_ashr_i32 s5, s4, 31
	v_lshl_add_u64 v[94:95], s[4:5], 1, v[2:3]
	s_movk_i32 s4, 0x2000
	s_cmpk_lt_u32 s44, 0x3f01
	v_add_co_u32_e32 v96, vcc, s4, v2
	s_cselect_b32 s4, s11, 0x1f80
	s_nop 0
	v_addc_co_u32_e32 v97, vcc, 0, v3, vcc
	s_ashr_i32 s5, s4, 31
	global_load_ushort v98, v[96:97], off
	global_load_ushort v99, v[4:5], off
	global_load_ushort v100, v[6:7], off
	global_load_ushort v101, v[8:9], off
	global_load_ushort v102, v[10:11], off
	global_load_ushort v103, v[12:13], off
	global_load_ushort v104, v[14:15], off
	global_load_ushort v105, v[48:49], off
	global_load_ushort v106, v[50:51], off
	global_load_ushort v107, v[52:53], off
	global_load_ushort v108, v[54:55], off
	global_load_ushort v109, v[56:57], off
	global_load_ushort v110, v[58:59], off
	global_load_ushort v111, v[60:61], off
	global_load_ushort v112, v[62:63], off
                                        ; kill: killed $vgpr48_vgpr49
                                        ; kill: killed $vgpr54_vgpr55
                                        ; kill: killed $vgpr6_vgpr7
                                        ; kill: killed $vgpr60_vgpr61
                                        ; kill: killed $vgpr12_vgpr13
                                        ; kill: killed $vgpr50_vgpr51
                                        ; kill: killed $vgpr56_vgpr57
                                        ; kill: killed $vgpr8_vgpr9
                                        ; kill: killed $vgpr62_vgpr63
                                        ; kill: killed $vgpr14_vgpr15
                                        ; kill: killed $vgpr96 killed $vgpr97
                                        ; kill: killed $vgpr52_vgpr53
                                        ; kill: killed $vgpr4_vgpr5
                                        ; kill: killed $vgpr58_vgpr59
                                        ; kill: killed $vgpr10_vgpr11
	global_load_ushort v6, v[64:65], off
	global_load_ushort v7, v[66:67], off
	;; [unrolled: 1-line block ×15, first 2 shown]
                                        ; kill: killed $vgpr80_vgpr81
                                        ; kill: killed $vgpr64_vgpr65
                                        ; kill: killed $vgpr70_vgpr71
                                        ; kill: killed $vgpr92_vgpr93
                                        ; kill: killed $vgpr76_vgpr77
                                        ; kill: killed $vgpr82_vgpr83
                                        ; kill: killed $vgpr66_vgpr67
                                        ; kill: killed $vgpr88_vgpr89
                                        ; kill: killed $vgpr72_vgpr73
                                        ; kill: killed $vgpr94_vgpr95
                                        ; kill: killed $vgpr78_vgpr79
                                        ; kill: killed $vgpr84_vgpr85
                                        ; kill: killed $vgpr68_vgpr69
                                        ; kill: killed $vgpr90_vgpr91
                                        ; kill: killed $vgpr74_vgpr75
	global_load_ushort v68, v[86:87], off
	v_lshl_add_u64 v[4:5], s[4:5], 1, v[2:3]
	global_load_ushort v5, v[4:5], off
	s_waitcnt vmcnt(31)
	v_lshlrev_b32_e32 v67, 16, v98
	s_waitcnt vmcnt(30)
	v_lshlrev_b32_e32 v65, 16, v99
	;; [unrolled: 2-line block ×32, first 2 shown]
.LBB599_12:
	s_load_dwordx2 s[4:5], s[0:1], 0x0
	s_load_dwordx2 s[6:7], s[0:1], 0x38
	ds_read_b128 v[68:71], v1
	s_waitcnt vmcnt(15)
	v_lshlrev_b32_e32 v23, 16, v23
	ds_read_b128 v[72:75], v1 offset:16
	ds_read_b128 v[76:79], v1 offset:32
	;; [unrolled: 1-line block ×3, first 2 shown]
	s_waitcnt vmcnt(14)
	v_lshlrev_b32_e32 v22, 16, v22
	s_waitcnt vmcnt(13)
	v_lshlrev_b32_e32 v21, 16, v21
	s_waitcnt lgkmcnt(0)
	v_fma_f32 v23, v68, v23, 0
	v_fmac_f32_e32 v23, v69, v22
	v_fmac_f32_e32 v23, v70, v21
	s_waitcnt vmcnt(12)
	v_lshlrev_b32_e32 v20, 16, v20
	s_waitcnt vmcnt(10)
	v_lshlrev_b32_e32 v19, 16, v19
	v_lshlrev_b32_e32 v18, 16, v18
	v_fmac_f32_e32 v23, v71, v20
	v_pk_mul_f32 v[18:19], v[72:73], v[18:19]
	s_waitcnt vmcnt(8)
	v_lshlrev_b32_e32 v17, 16, v17
	v_add_f32_e32 v18, v23, v18
	v_lshlrev_b32_e32 v16, 16, v16
	v_add_f32_e32 v18, v18, v19
	v_pk_mul_f32 v[16:17], v[74:75], v[16:17]
	s_and_b64 vcc, exec, s[8:9]
	v_add_f32_e32 v16, v18, v16
	v_add_f32_e32 v18, v16, v17
	s_waitcnt vmcnt(6)
	v_lshlrev_b32_e32 v17, 16, v31
	v_lshlrev_b32_e32 v16, 16, v30
	v_pk_mul_f32 v[16:17], v[76:77], v[16:17]
	s_nop 0
	v_add_f32_e32 v16, v18, v16
	v_add_f32_e32 v18, v16, v17
	s_waitcnt vmcnt(4)
	v_lshlrev_b32_e32 v17, 16, v29
	v_lshlrev_b32_e32 v16, 16, v28
	v_pk_mul_f32 v[16:17], v[78:79], v[16:17]
	s_nop 0
	;; [unrolled: 7-line block ×4, first 2 shown]
	v_add_f32_e32 v16, v18, v16
	v_add_f32_e32 v110, v16, v17
	s_cbranch_vccz .LBB599_15
; %bb.13:
	ds_read_b128 v[16:19], v1 offset:64
	v_lshlrev_b32_e32 v39, 16, v39
	ds_read_b128 v[20:23], v1 offset:80
	ds_read_b128 v[24:27], v1 offset:96
	;; [unrolled: 1-line block ×3, first 2 shown]
	s_cmpk_lt_u32 s44, 0x2001
	s_waitcnt lgkmcnt(3)
	v_fmac_f32_e32 v110, v16, v39
	v_lshlrev_b32_e32 v16, 16, v38
	v_fmac_f32_e32 v110, v17, v16
	v_lshlrev_b32_e32 v16, 16, v37
	v_fmac_f32_e32 v110, v18, v16
	v_lshlrev_b32_e32 v16, 16, v36
	v_fmac_f32_e32 v110, v19, v16
	v_lshlrev_b32_e32 v16, 16, v35
	s_waitcnt lgkmcnt(2)
	v_fmac_f32_e32 v110, v20, v16
	v_lshlrev_b32_e32 v16, 16, v34
	v_fmac_f32_e32 v110, v21, v16
	v_lshlrev_b32_e32 v16, 16, v33
	v_fmac_f32_e32 v110, v22, v16
	v_lshlrev_b32_e32 v16, 16, v32
	v_fmac_f32_e32 v110, v23, v16
	v_lshlrev_b32_e32 v16, 16, v47
	;; [unrolled: 9-line block ×3, first 2 shown]
	s_waitcnt lgkmcnt(0)
	v_fmac_f32_e32 v110, v28, v16
	v_lshlrev_b32_e32 v16, 16, v42
	v_fmac_f32_e32 v110, v29, v16
	v_lshlrev_b32_e32 v16, 16, v41
	;; [unrolled: 2-line block ×3, first 2 shown]
	v_fmac_f32_e32 v110, v31, v16
	s_cbranch_scc1 .LBB599_15
; %bb.14:
	v_mov_b32_e32 v32, 0
	ds_read_b128 v[16:19], v32 offset:128
	ds_read_b128 v[20:23], v32 offset:144
	ds_read_b128 v[24:27], v32 offset:160
	ds_read_b128 v[28:31], v32 offset:176
	s_waitcnt lgkmcnt(3)
	v_fmac_f32_e32 v110, v16, v67
	v_fmac_f32_e32 v110, v17, v65
	v_fmac_f32_e32 v110, v18, v66
	v_fmac_f32_e32 v110, v19, v63
	s_waitcnt lgkmcnt(2)
	v_fmac_f32_e32 v110, v20, v64
	v_fmac_f32_e32 v110, v21, v61
	v_fmac_f32_e32 v110, v22, v62
	v_fmac_f32_e32 v110, v23, v59
	;; [unrolled: 5-line block ×3, first 2 shown]
	ds_read_b128 v[16:19], v32 offset:192
	ds_read_b128 v[20:23], v32 offset:208
	s_waitcnt lgkmcnt(2)
	v_fmac_f32_e32 v110, v28, v56
	v_fmac_f32_e32 v110, v29, v53
	;; [unrolled: 1-line block ×4, first 2 shown]
	s_waitcnt lgkmcnt(1)
	v_fmac_f32_e32 v110, v16, v51
	v_fmac_f32_e32 v110, v17, v49
	;; [unrolled: 1-line block ×4, first 2 shown]
	s_waitcnt lgkmcnt(0)
	v_pk_mul_f32 v[14:15], v[20:21], v[14:15]
	v_pk_mul_f32 v[12:13], v[22:23], v[12:13]
	v_add_f32_e32 v14, v110, v14
	v_add_f32_e32 v18, v14, v15
	ds_read_b128 v[14:17], v32 offset:224
	v_add_f32_e32 v12, v18, v12
	ds_read_b128 v[18:21], v32 offset:240
	v_add_f32_e32 v12, v12, v13
	s_waitcnt lgkmcnt(1)
	v_pk_mul_f32 v[10:11], v[14:15], v[10:11]
	s_nop 0
	v_add_f32_e32 v10, v12, v10
	v_add_f32_e32 v10, v10, v11
	v_pk_mul_f32 v[8:9], v[16:17], v[8:9]
	s_waitcnt lgkmcnt(0)
	v_pk_mul_f32 v[6:7], v[18:19], v[6:7]
	v_add_f32_e32 v8, v10, v8
	v_add_f32_e32 v8, v8, v9
	;; [unrolled: 1-line block ×4, first 2 shown]
	v_pk_mul_f32 v[4:5], v[20:21], v[4:5]
	s_nop 0
	v_add_f32_e32 v4, v6, v4
	v_add_f32_e32 v110, v4, v5
.LBB599_15:
	s_movk_i32 s0, 0x3f80
	s_movk_i32 s1, 0x100
	s_mov_b32 s8, 64
	s_branch .LBB599_17
.LBB599_16:                             ;   in Loop: Header=BB599_17 Depth=1
	s_addk_i32 s0, 0x2000
	s_addk_i32 s1, 0x100
	s_add_i32 s8, s8, 64
	s_cmp_eq_u32 s0, 0x11f80
	s_cbranch_scc1 .LBB599_19
.LBB599_17:                             ; =>This Inner Loop Header: Depth=1
	s_cmp_le_i32 s33, s8
	s_cbranch_scc1 .LBB599_16
; %bb.18:                               ;   in Loop: Header=BB599_17 Depth=1
	s_add_i32 s9, s0, 0xffffe080
	s_cmp_lt_i32 s9, s10
	s_cselect_b32 s12, s9, s11
	s_ashr_i32 s13, s12, 31
	s_add_i32 s9, s0, 0xffffe100
	s_cmp_lt_i32 s9, s10
	v_lshl_add_u64 v[42:43], s[12:13], 1, v[2:3]
	s_cselect_b32 s12, s9, s11
	s_ashr_i32 s13, s12, 31
	s_add_i32 s9, s0, 0xffffe180
	s_cmp_lt_i32 s9, s10
	v_lshl_add_u64 v[4:5], s[12:13], 1, v[2:3]
	;; [unrolled: 5-line block ×21, first 2 shown]
	s_cselect_b32 s12, s9, s11
	s_ashr_i32 s13, s12, 31
	s_add_i32 s9, s0, 0xffffeb80
	s_cmp_lt_i32 s9, s10
	global_load_ushort v111, v[42:43], off
	global_load_ushort v121, v[44:45], off
	v_lshl_add_u64 v[32:33], s[12:13], 1, v[2:3]
	s_cselect_b32 s12, s9, s11
	global_load_ushort v112, v[4:5], off
	global_load_ushort v113, v[6:7], off
	;; [unrolled: 1-line block ×8, first 2 shown]
	s_ashr_i32 s13, s12, 31
	s_add_i32 s9, s0, 0xffffec00
	s_cmp_lt_i32 s9, s10
	v_lshl_add_u64 v[34:35], s[12:13], 1, v[2:3]
	s_cselect_b32 s12, s9, s11
	s_ashr_i32 s13, s12, 31
	s_add_i32 s9, s0, 0xffffec80
	s_cmp_lt_i32 s9, s10
	v_lshl_add_u64 v[48:49], s[12:13], 1, v[2:3]
	s_cselect_b32 s12, s9, s11
	;; [unrolled: 5-line block ×3, first 2 shown]
	global_load_ushort v120, v[28:29], off
	s_ashr_i32 s13, s12, 31
	s_add_i32 s9, s0, 0xffffed80
	s_cmp_lt_i32 s9, s10
	global_load_ushort v122, v[54:55], off
	global_load_ushort v123, v[56:57], off
	v_lshl_add_u64 v[18:19], s[12:13], 1, v[2:3]
	global_load_ushort v58, v[58:59], off
	s_cselect_b32 s12, s9, s11
	s_ashr_i32 s13, s12, 31
	s_add_i32 s9, s0, 0xffffee00
	s_cmp_lt_i32 s9, s10
	v_lshl_add_u64 v[20:21], s[12:13], 1, v[2:3]
	s_cselect_b32 s12, s9, s11
	s_ashr_i32 s13, s12, 31
	s_add_i32 s9, s0, 0xffffee80
	s_cmp_lt_i32 s9, s10
	v_lshl_add_u64 v[38:39], s[12:13], 1, v[2:3]
	;; [unrolled: 5-line block ×3, first 2 shown]
	s_cselect_b32 s12, s9, s11
	global_load_ushort v59, v[60:61], off
	s_ashr_i32 s13, s12, 31
	s_add_i32 s9, s0, 0xffffef80
	global_load_ushort v60, v[66:67], off
	global_load_ushort v61, v[62:63], off
	s_cmp_lt_i32 s9, s10
	v_lshl_add_u64 v[50:51], s[12:13], 1, v[2:3]
	s_cselect_b32 s12, s9, s11
	s_ashr_i32 s13, s12, 31
	s_add_i32 s9, s0, 0xfffff000
	s_cmp_lt_i32 s9, s10
	v_lshl_add_u64 v[52:53], s[12:13], 1, v[2:3]
	s_cselect_b32 s12, s9, s11
	s_ashr_i32 s13, s12, 31
	s_add_i32 s9, s0, 0xfffff080
	;; [unrolled: 5-line block ×3, first 2 shown]
	s_cmp_lt_i32 s9, s10
	v_lshl_add_u64 v[68:69], s[12:13], 1, v[2:3]
	s_cselect_b32 s12, s9, s11
	global_load_ushort v62, v[24:25], off
	s_ashr_i32 s13, s12, 31
	s_add_i32 s9, s0, 0xfffff180
	global_load_ushort v66, v[30:31], off
	global_load_ushort v124, v[32:33], off
	;; [unrolled: 1-line block ×4, first 2 shown]
	s_cmp_lt_i32 s9, s10
	v_lshl_add_u64 v[70:71], s[12:13], 1, v[2:3]
	s_cselect_b32 s12, s9, s11
	global_load_ushort v67, v[46:47], off
	s_ashr_i32 s13, s12, 31
	s_add_i32 s9, s0, 0xfffff200
	s_cmp_lt_i32 s9, s10
	v_lshl_add_u64 v[72:73], s[12:13], 1, v[2:3]
	s_cselect_b32 s12, s9, s11
	s_ashr_i32 s13, s12, 31
	s_add_i32 s9, s0, 0xfffff280
	s_cmp_lt_i32 s9, s10
	v_lshl_add_u64 v[74:75], s[12:13], 1, v[2:3]
	s_cselect_b32 s12, s9, s11
	s_ashr_i32 s13, s12, 31
	s_add_i32 s9, s0, 0xfffff300
	s_cmp_lt_i32 s9, s10
	v_mov_b32_e32 v125, s1
	v_lshl_add_u64 v[76:77], s[12:13], 1, v[2:3]
	s_cselect_b32 s12, s9, s11
	ds_read_b128 v[28:31], v125
	ds_read_b128 v[32:35], v125 offset:16
	global_load_ushort v48, v[48:49], off
	s_ashr_i32 s13, s12, 31
	s_add_i32 s9, s0, 0xfffff380
	s_cmp_lt_i32 s9, s10
	v_lshl_add_u64 v[78:79], s[12:13], 1, v[2:3]
	s_cselect_b32 s12, s9, s11
	ds_read_b128 v[44:47], v125 offset:32
	ds_read_b128 v[54:57], v125 offset:48
	global_load_ushort v36, v[36:37], off
	s_ashr_i32 s13, s12, 31
	v_lshl_add_u64 v[80:81], s[12:13], 1, v[2:3]
	global_load_ushort v49, v[80:81], off
	global_load_ushort v37, v[18:19], off
	s_add_i32 s9, s0, 0xfffff400
	global_load_ushort v38, v[38:39], off
	s_cmp_lt_i32 s9, s10
	s_cselect_b32 s12, s9, s11
	s_ashr_i32 s13, s12, 31
	s_add_i32 s9, s0, 0xfffff480
	s_cmp_lt_i32 s9, s10
	v_lshl_add_u64 v[82:83], s[12:13], 1, v[2:3]
	s_cselect_b32 s12, s9, s11
	s_ashr_i32 s13, s12, 31
	s_add_i32 s9, s0, 0xfffff500
	s_cmp_lt_i32 s9, s10
	v_lshl_add_u64 v[84:85], s[12:13], 1, v[2:3]
	;; [unrolled: 5-line block ×5, first 2 shown]
	s_cselect_b32 s12, s9, s11
	s_ashr_i32 s13, s12, 31
	s_add_i32 s9, s0, 0xfffff700
	s_waitcnt vmcnt(27)
	v_lshlrev_b32_e32 v111, 16, v111
	s_cmp_lt_i32 s9, s10
	s_waitcnt lgkmcnt(3)
	v_fmac_f32_e32 v110, v28, v111
	s_waitcnt vmcnt(25)
	v_lshlrev_b32_e32 v28, 16, v112
	v_lshl_add_u64 v[92:93], s[12:13], 1, v[2:3]
	s_cselect_b32 s12, s9, s11
	v_fmac_f32_e32 v110, v29, v28
	s_waitcnt vmcnt(24)
	v_lshlrev_b32_e32 v28, 16, v113
	s_ashr_i32 s13, s12, 31
	s_add_i32 s9, s0, 0xfffff780
	v_fmac_f32_e32 v110, v30, v28
	s_waitcnt vmcnt(23)
	v_lshlrev_b32_e32 v28, 16, v114
	s_cmp_lt_i32 s9, s10
	v_fmac_f32_e32 v110, v31, v28
	s_waitcnt vmcnt(22)
	v_lshlrev_b32_e32 v18, 16, v115
	v_lshl_add_u64 v[94:95], s[12:13], 1, v[2:3]
	s_cselect_b32 s12, s9, s11
	s_waitcnt lgkmcnt(2)
	v_fmac_f32_e32 v110, v32, v18
	global_load_ushort v32, v[20:21], off
	s_ashr_i32 s13, s12, 31
	s_add_i32 s9, s0, 0xfffff800
	s_waitcnt vmcnt(22)
	v_lshlrev_b32_e32 v18, 16, v116
	s_cmp_lt_i32 s9, s10
	v_fmac_f32_e32 v110, v33, v18
	global_load_ushort v33, v[40:41], off
	s_waitcnt vmcnt(22)
	v_lshlrev_b32_e32 v18, 16, v117
	v_lshl_add_u64 v[96:97], s[12:13], 1, v[2:3]
	s_cselect_b32 s12, s9, s11
	v_fmac_f32_e32 v110, v34, v18
	global_load_ushort v34, v[50:51], off
	s_waitcnt vmcnt(22)
	v_lshlrev_b32_e32 v18, 16, v118
	s_ashr_i32 s13, s12, 31
	s_add_i32 s9, s0, 0xfffff880
	v_fmac_f32_e32 v110, v35, v18
	global_load_ushort v35, v[52:53], off
	global_load_ushort v39, v[64:65], off
	s_waitcnt vmcnt(23)
	v_lshlrev_b32_e32 v18, 16, v119
	s_cmp_lt_i32 s9, s10
	s_waitcnt lgkmcnt(1)
	v_fmac_f32_e32 v110, v44, v18
	global_load_ushort v44, v[72:73], off
	s_waitcnt vmcnt(23)
	v_lshlrev_b32_e32 v18, 16, v120
	v_lshl_add_u64 v[98:99], s[12:13], 1, v[2:3]
	s_cselect_b32 s12, s9, s11
	v_fmac_f32_e32 v110, v45, v18
	v_lshlrev_b32_e32 v18, 16, v121
	s_ashr_i32 s13, s12, 31
	s_add_i32 s9, s0, 0xfffff900
	v_fmac_f32_e32 v110, v46, v18
	global_load_ushort v46, v[76:77], off
	s_waitcnt vmcnt(23)
	v_lshlrev_b32_e32 v18, 16, v122
	s_cmp_lt_i32 s9, s10
	v_fmac_f32_e32 v110, v47, v18
	s_waitcnt vmcnt(22)
	v_lshlrev_b32_e32 v18, 16, v123
	v_lshl_add_u64 v[102:103], s[12:13], 1, v[2:3]
	s_cselect_b32 s12, s9, s11
	s_waitcnt lgkmcnt(0)
	v_fmac_f32_e32 v110, v54, v18
	global_load_ushort v54, v[88:89], off
	global_load_ushort v40, v[68:69], off
	;; [unrolled: 1-line block ×8, first 2 shown]
	s_ashr_i32 s13, s12, 31
	s_add_i32 s9, s0, 0xfffff980
	s_cmp_lt_i32 s9, s10
	v_lshl_add_u64 v[104:105], s[12:13], 1, v[2:3]
	s_cselect_b32 s12, s9, s11
	s_ashr_i32 s13, s12, 31
	s_add_i32 s9, s0, 0xfffffa00
	s_cmp_lt_i32 s9, s10
	v_lshl_add_u64 v[106:107], s[12:13], 1, v[2:3]
	s_cselect_b32 s12, s9, s11
	s_ashr_i32 s13, s12, 31
	s_add_i32 s9, s0, 0xfffffa80
	s_waitcnt vmcnt(29)
	v_lshlrev_b32_e32 v18, 16, v58
	s_cmp_lt_i32 s9, s10
	v_fmac_f32_e32 v110, v55, v18
	global_load_ushort v55, v[90:91], off
	s_waitcnt vmcnt(29)
	v_lshlrev_b32_e32 v18, 16, v59
	v_lshl_add_u64 v[100:101], s[12:13], 1, v[2:3]
	s_cselect_b32 s12, s9, s11
	v_fmac_f32_e32 v110, v56, v18
	s_waitcnt vmcnt(28)
	v_lshlrev_b32_e32 v18, 16, v60
	s_ashr_i32 s13, s12, 31
	s_add_i32 s9, s0, 0xfffffb00
	v_fmac_f32_e32 v110, v57, v18
	ds_read_b128 v[18:21], v125 offset:64
	ds_read_b128 v[28:31], v125 offset:80
	s_cmp_lt_i32 s9, s10
	v_lshl_add_u64 v[42:43], s[12:13], 1, v[2:3]
	s_cselect_b32 s12, s9, s11
	s_ashr_i32 s13, s12, 31
	s_add_i32 s9, s0, 0xfffffb80
	s_cmp_lt_i32 s9, s10
	s_waitcnt vmcnt(27)
	v_lshlrev_b32_e32 v53, 16, v61
	v_lshl_add_u64 v[108:109], s[12:13], 1, v[2:3]
	s_cselect_b32 s12, s9, s11
	s_waitcnt lgkmcnt(1)
	v_fmac_f32_e32 v110, v18, v53
	global_load_ushort v53, v[92:93], off
	global_load_ushort v56, v[94:95], off
	;; [unrolled: 1-line block ×6, first 2 shown]
	s_ashr_i32 s13, s12, 31
	s_add_i32 s9, s0, 0xfffffc00
	s_cmp_lt_i32 s9, s10
	v_lshl_add_u64 v[4:5], s[12:13], 1, v[2:3]
	s_cselect_b32 s12, s9, s11
	s_ashr_i32 s13, s12, 31
	s_add_i32 s9, s0, 0xfffffc80
	s_cmp_lt_i32 s9, s10
	s_waitcnt vmcnt(32)
	v_lshlrev_b32_e32 v18, 16, v62
	v_lshl_add_u64 v[6:7], s[12:13], 1, v[2:3]
	s_cselect_b32 s12, s9, s11
	v_fmac_f32_e32 v110, v19, v18
	s_waitcnt vmcnt(28)
	v_lshlrev_b32_e32 v18, 16, v63
	s_ashr_i32 s13, s12, 31
	s_add_i32 s9, s0, 0xfffffd00
	v_fmac_f32_e32 v110, v20, v18
	v_lshlrev_b32_e32 v18, 16, v66
	s_cmp_lt_i32 s9, s10
	v_fmac_f32_e32 v110, v21, v18
	s_waitcnt vmcnt(27)
	v_lshlrev_b32_e32 v18, 16, v67
	v_lshl_add_u64 v[8:9], s[12:13], 1, v[2:3]
	s_cselect_b32 s12, s9, s11
	s_waitcnt lgkmcnt(0)
	v_fmac_f32_e32 v110, v28, v18
	global_load_ushort v28, v[106:107], off
	s_ashr_i32 s13, s12, 31
	s_add_i32 s9, s0, 0xfffffd80
	s_cmp_lt_i32 s9, s10
	global_load_ushort v61, v[100:101], off
	global_load_ushort v62, v[42:43], off
	;; [unrolled: 1-line block ×3, first 2 shown]
	v_lshl_add_u64 v[12:13], s[12:13], 1, v[2:3]
	s_cselect_b32 s12, s9, s11
	v_lshlrev_b32_e32 v18, 16, v124
	s_ashr_i32 s13, s12, 31
	s_add_i32 s9, s0, 0xfffffe00
	v_fmac_f32_e32 v110, v29, v18
	v_lshlrev_b32_e32 v18, 16, v126
	s_cmp_lt_i32 s9, s10
	v_fmac_f32_e32 v110, v30, v18
	global_load_ushort v29, v[4:5], off
	global_load_ushort v30, v[6:7], off
	v_lshl_add_u64 v[10:11], s[12:13], 1, v[2:3]
	s_cselect_b32 s12, s9, s11
	s_ashr_i32 s13, s12, 31
	s_add_i32 s9, s0, 0xfffffe80
	s_cmp_lt_i32 s9, s10
	s_waitcnt vmcnt(32)
	v_lshlrev_b32_e32 v4, 16, v48
	v_lshl_add_u64 v[22:23], s[12:13], 1, v[2:3]
	s_cselect_b32 s12, s9, s11
	v_fmac_f32_e32 v110, v31, v4
	ds_read_b128 v[4:7], v125 offset:96
	s_ashr_i32 s13, s12, 31
	s_add_i32 s9, s0, 0xffffff00
	s_cmp_lt_i32 s9, s10
	s_waitcnt vmcnt(31)
	v_lshlrev_b32_e32 v31, 16, v36
	global_load_ushort v36, v[8:9], off
	global_load_ushort v42, v[12:13], off
	v_lshl_add_u64 v[14:15], s[12:13], 1, v[2:3]
	s_cselect_b32 s12, s9, s11
	s_ashr_i32 s13, s12, 31
	s_add_i32 s9, s0, 0xffffff80
	s_cmp_lt_i32 s9, s10
	ds_read_b128 v[18:21], v125 offset:112
	s_waitcnt lgkmcnt(1)
	v_fmac_f32_e32 v110, v4, v31
	s_waitcnt vmcnt(31)
	v_lshlrev_b32_e32 v4, 16, v37
	global_load_ushort v31, v[10:11], off
	global_load_ushort v37, v[22:23], off
	v_lshl_add_u64 v[24:25], s[12:13], 1, v[2:3]
	s_cselect_b32 s12, s9, s11
	s_ashr_i32 s13, s12, 31
	s_cmp_lt_i32 s0, s10
	global_load_ushort v22, v[14:15], off
	global_load_ushort v23, v[24:25], off
	v_lshl_add_u64 v[16:17], s[12:13], 1, v[2:3]
	s_cselect_b32 s12, s0, s11
	s_ashr_i32 s13, s12, 31
	v_lshl_add_u64 v[26:27], s[12:13], 1, v[2:3]
	global_load_ushort v14, v[16:17], off
	global_load_ushort v15, v[26:27], off
	v_fmac_f32_e32 v110, v5, v4
	s_waitcnt vmcnt(35)
	v_lshlrev_b32_e32 v4, 16, v32
	v_fmac_f32_e32 v110, v6, v4
	v_lshlrev_b32_e32 v4, 16, v38
	v_fmac_f32_e32 v110, v7, v4
	s_waitcnt vmcnt(34)
	v_lshlrev_b32_e32 v4, 16, v33
	s_waitcnt lgkmcnt(0)
	v_fmac_f32_e32 v110, v18, v4
	s_waitcnt vmcnt(33)
	v_lshlrev_b32_e32 v4, 16, v34
	v_fmac_f32_e32 v110, v19, v4
	s_waitcnt vmcnt(32)
	v_lshlrev_b32_e32 v4, 16, v35
	v_fmac_f32_e32 v110, v20, v4
	ds_read_b128 v[4:7], v125 offset:128
	s_waitcnt vmcnt(31)
	v_lshlrev_b32_e32 v8, 16, v39
	v_fmac_f32_e32 v110, v21, v8
	ds_read_b128 v[8:11], v125 offset:144
	s_waitcnt vmcnt(27)
	v_lshlrev_b32_e32 v12, 16, v40
	s_waitcnt lgkmcnt(1)
	v_fmac_f32_e32 v110, v4, v12
	s_waitcnt vmcnt(26)
	v_lshlrev_b32_e32 v4, 16, v41
	v_fmac_f32_e32 v110, v5, v4
	v_lshlrev_b32_e32 v4, 16, v44
	v_fmac_f32_e32 v110, v6, v4
	s_waitcnt vmcnt(25)
	v_lshlrev_b32_e32 v4, 16, v45
	v_fmac_f32_e32 v110, v7, v4
	v_lshlrev_b32_e32 v4, 16, v46
	s_waitcnt lgkmcnt(0)
	v_fmac_f32_e32 v110, v8, v4
	s_waitcnt vmcnt(24)
	v_lshlrev_b32_e32 v4, 16, v47
	v_fmac_f32_e32 v110, v9, v4
	v_lshlrev_b32_e32 v4, 16, v49
	v_fmac_f32_e32 v110, v10, v4
	ds_read_b128 v[4:7], v125 offset:160
	s_waitcnt vmcnt(23)
	v_lshlrev_b32_e32 v8, 16, v50
	v_fmac_f32_e32 v110, v11, v8
	ds_read_b128 v[8:11], v125 offset:176
	s_waitcnt vmcnt(22)
	v_lshlrev_b32_e32 v12, 16, v51
	s_waitcnt lgkmcnt(1)
	v_fmac_f32_e32 v110, v4, v12
	s_waitcnt vmcnt(21)
	v_lshlrev_b32_e32 v4, 16, v52
	v_fmac_f32_e32 v110, v5, v4
	v_lshlrev_b32_e32 v4, 16, v54
	v_fmac_f32_e32 v110, v6, v4
	s_waitcnt vmcnt(20)
	v_lshlrev_b32_e32 v4, 16, v55
	v_fmac_f32_e32 v110, v7, v4
	s_waitcnt vmcnt(19)
	v_lshlrev_b32_e32 v4, 16, v53
	s_waitcnt lgkmcnt(0)
	v_fmac_f32_e32 v110, v8, v4
	s_waitcnt vmcnt(18)
	v_lshlrev_b32_e32 v4, 16, v56
	v_fmac_f32_e32 v110, v9, v4
	s_waitcnt vmcnt(17)
	v_lshlrev_b32_e32 v4, 16, v57
	v_fmac_f32_e32 v110, v10, v4
	ds_read_b128 v[4:7], v125 offset:192
	s_waitcnt vmcnt(16)
	v_lshlrev_b32_e32 v8, 16, v58
	v_fmac_f32_e32 v110, v11, v8
	ds_read_b128 v[8:11], v125 offset:208
	s_waitcnt vmcnt(15)
	v_lshlrev_b32_e32 v12, 16, v59
	s_waitcnt lgkmcnt(1)
	v_fmac_f32_e32 v110, v4, v12
	s_waitcnt vmcnt(14)
	v_lshlrev_b32_e32 v4, 16, v60
	v_fmac_f32_e32 v110, v5, v4
	s_waitcnt vmcnt(13)
	v_lshlrev_b32_e32 v4, 16, v28
	;; [unrolled: 3-line block ×4, first 2 shown]
	v_lshlrev_b32_e32 v4, 16, v62
	s_waitcnt lgkmcnt(0)
	v_pk_mul_f32 v[4:5], v[8:9], v[4:5]
	s_waitcnt vmcnt(6)
	v_lshlrev_b32_e32 v13, 16, v42
	v_add_f32_e32 v4, v110, v4
	v_add_f32_e32 v6, v4, v5
	v_lshlrev_b32_e32 v5, 16, v30
	v_lshlrev_b32_e32 v4, 16, v29
	v_pk_mul_f32 v[8:9], v[10:11], v[4:5]
	v_lshlrev_b32_e32 v12, 16, v36
	v_add_f32_e32 v8, v6, v8
	ds_read_b128 v[4:7], v125 offset:224
	v_add_f32_e32 v16, v8, v9
	ds_read_b128 v[8:11], v125 offset:240
	s_waitcnt lgkmcnt(1)
	v_pk_mul_f32 v[4:5], v[4:5], v[12:13]
	s_nop 0
	v_add_f32_e32 v4, v16, v4
	v_add_f32_e32 v12, v4, v5
	s_waitcnt vmcnt(4)
	v_lshlrev_b32_e32 v5, 16, v37
	v_lshlrev_b32_e32 v4, 16, v31
	v_pk_mul_f32 v[4:5], v[6:7], v[4:5]
	s_nop 0
	v_add_f32_e32 v4, v12, v4
	v_add_f32_e32 v6, v4, v5
	s_waitcnt vmcnt(2)
	v_lshlrev_b32_e32 v5, 16, v23
	v_lshlrev_b32_e32 v4, 16, v22
	s_waitcnt lgkmcnt(0)
	v_pk_mul_f32 v[4:5], v[8:9], v[4:5]
	s_nop 0
	v_add_f32_e32 v4, v6, v4
	v_add_f32_e32 v6, v4, v5
	s_waitcnt vmcnt(1)
	v_lshlrev_b32_e32 v4, 16, v14
	s_waitcnt vmcnt(0)
	v_lshlrev_b32_e32 v5, 16, v15
	v_pk_mul_f32 v[4:5], v[10:11], v[4:5]
	s_nop 0
	v_add_f32_e32 v4, v6, v4
	v_add_f32_e32 v110, v4, v5
	s_branch .LBB599_16
.LBB599_19:
	v_mov_b32_e32 v2, 0
	ds_read_b32 v2, v2 offset:2048
	s_cmp_lg_u64 s[6:7], 0
	s_cbranch_scc0 .LBB599_24
; %bb.20:
	s_load_dword s6, s[6:7], 0x0
	s_waitcnt lgkmcnt(0)
	v_div_scale_f32 v3, s[0:1], s6, s6, 1.0
	v_rcp_f32_e32 v4, v3
	v_div_scale_f32 v5, vcc, 1.0, s6, 1.0
	v_fma_f32 v6, -v3, v4, 1.0
	v_fmac_f32_e32 v4, v6, v4
	v_mul_f32_e32 v6, v5, v4
	v_fma_f32 v7, -v3, v6, v5
	v_fmac_f32_e32 v6, v7, v4
	v_fma_f32 v3, -v3, v6, v5
	v_div_fmas_f32 v3, v3, v4, v6
	v_div_fixup_f32 v3, v3, s6, 1.0
	s_andn2_b64 vcc, exec, s[34:35]
	s_cbranch_vccnz .LBB599_22
.LBB599_21:
	s_add_u32 s0, s30, s36
	s_addc_u32 s1, s31, s37
	s_load_dword s28, s[0:1], 0x0
	s_mov_b32 s29, 0
.LBB599_22:
	s_waitcnt lgkmcnt(0)
	v_add_f32_e32 v2, 0x358637bd, v2
	v_div_scale_f32 v4, s[0:1], v2, v2, 1.0
	v_rcp_f32_e32 v5, v4
	v_div_scale_f32 v6, vcc, 1.0, v2, 1.0
	s_mul_i32 s0, s3, s29
	v_fma_f32 v7, -v4, v5, 1.0
	v_fmac_f32_e32 v5, v7, v5
	v_mul_f32_e32 v7, v6, v5
	v_fma_f32 v8, -v4, v7, v6
	v_fmac_f32_e32 v7, v8, v5
	v_fma_f32 v4, -v4, v7, v6
	s_mul_hi_u32 s1, s3, s28
	v_div_fmas_f32 v4, v4, v5, v7
	s_add_i32 s1, s1, s0
	s_mul_i32 s0, s3, s28
	v_div_fixup_f32 v2, v4, v2, 1.0
	s_lshl_b64 s[0:1], s[0:1], 7
	v_mul_f32_e32 v2, v110, v2
	s_add_u32 s4, s4, s0
	s_mov_b32 s3, 0
	v_mul_f32_e32 v2, v2, v3
	s_addc_u32 s5, s5, s1
	s_lshl_b64 s[0:1], s[2:3], 7
	s_mov_b32 s2, 0x7f800000
	s_mov_b32 s3, 0x43700000
	v_mov_b32_e32 v3, 0xc3700000
	v_med3_f32 v3, v2, s3, v3
	v_cmp_nlg_f32_e64 vcc, |v2|, s2
	s_add_u32 s0, s4, s0
	s_addc_u32 s1, s5, s1
	v_cndmask_b32_e32 v2, v3, v2, vcc
	v_mov_b32_e32 v3, 0
	v_cvt_pk_fp8_f32 v3, v2, v2
	v_lshl_add_u64 v[0:1], s[0:1], 0, v[0:1]
	global_store_byte v[0:1], v3, off
	s_endpgm
.LBB599_23:
	s_mov_b64 s[6:7], 0
	s_branch .LBB599_2
.LBB599_24:
	v_mov_b32_e32 v3, 1.0
	s_andn2_b64 vcc, exec, s[34:35]
	s_cbranch_vccz .LBB599_21
	s_branch .LBB599_22
	.section	.rodata,"a",@progbits
	.p2align	6, 0x0
	.amdhsa_kernel _Z35paged_attention_ll4mi_reduce_kernelI14__hip_bfloat16hLi128ELi128ELi256ELi8EEvPT0_PKfS4_PKT_PKiS9_iS4_
		.amdhsa_group_segment_fixed_size 2052
		.amdhsa_private_segment_fixed_size 0
		.amdhsa_kernarg_size 320
		.amdhsa_user_sgpr_count 2
		.amdhsa_user_sgpr_dispatch_ptr 0
		.amdhsa_user_sgpr_queue_ptr 0
		.amdhsa_user_sgpr_kernarg_segment_ptr 1
		.amdhsa_user_sgpr_dispatch_id 0
		.amdhsa_user_sgpr_kernarg_preload_length 0
		.amdhsa_user_sgpr_kernarg_preload_offset 0
		.amdhsa_user_sgpr_private_segment_size 0
		.amdhsa_uses_dynamic_stack 0
		.amdhsa_enable_private_segment 0
		.amdhsa_system_sgpr_workgroup_id_x 1
		.amdhsa_system_sgpr_workgroup_id_y 1
		.amdhsa_system_sgpr_workgroup_id_z 0
		.amdhsa_system_sgpr_workgroup_info 0
		.amdhsa_system_vgpr_workitem_id 0
		.amdhsa_next_free_vgpr 127
		.amdhsa_next_free_sgpr 45
		.amdhsa_accum_offset 128
		.amdhsa_reserve_vcc 1
		.amdhsa_float_round_mode_32 0
		.amdhsa_float_round_mode_16_64 0
		.amdhsa_float_denorm_mode_32 3
		.amdhsa_float_denorm_mode_16_64 3
		.amdhsa_dx10_clamp 1
		.amdhsa_ieee_mode 1
		.amdhsa_fp16_overflow 0
		.amdhsa_tg_split 0
		.amdhsa_exception_fp_ieee_invalid_op 0
		.amdhsa_exception_fp_denorm_src 0
		.amdhsa_exception_fp_ieee_div_zero 0
		.amdhsa_exception_fp_ieee_overflow 0
		.amdhsa_exception_fp_ieee_underflow 0
		.amdhsa_exception_fp_ieee_inexact 0
		.amdhsa_exception_int_div_zero 0
	.end_amdhsa_kernel
	.section	.text._Z35paged_attention_ll4mi_reduce_kernelI14__hip_bfloat16hLi128ELi128ELi256ELi8EEvPT0_PKfS4_PKT_PKiS9_iS4_,"axG",@progbits,_Z35paged_attention_ll4mi_reduce_kernelI14__hip_bfloat16hLi128ELi128ELi256ELi8EEvPT0_PKfS4_PKT_PKiS9_iS4_,comdat
.Lfunc_end599:
	.size	_Z35paged_attention_ll4mi_reduce_kernelI14__hip_bfloat16hLi128ELi128ELi256ELi8EEvPT0_PKfS4_PKT_PKiS9_iS4_, .Lfunc_end599-_Z35paged_attention_ll4mi_reduce_kernelI14__hip_bfloat16hLi128ELi128ELi256ELi8EEvPT0_PKfS4_PKT_PKiS9_iS4_
                                        ; -- End function
	.section	.AMDGPU.csdata,"",@progbits
; Kernel info:
; codeLenInByte = 9420
; NumSgprs: 51
; NumVgprs: 127
; NumAgprs: 0
; TotalNumVgprs: 127
; ScratchSize: 0
; MemoryBound: 0
; FloatMode: 240
; IeeeMode: 1
; LDSByteSize: 2052 bytes/workgroup (compile time only)
; SGPRBlocks: 6
; VGPRBlocks: 15
; NumSGPRsForWavesPerEU: 51
; NumVGPRsForWavesPerEU: 127
; AccumOffset: 128
; Occupancy: 4
; WaveLimiterHint : 1
; COMPUTE_PGM_RSRC2:SCRATCH_EN: 0
; COMPUTE_PGM_RSRC2:USER_SGPR: 2
; COMPUTE_PGM_RSRC2:TRAP_HANDLER: 0
; COMPUTE_PGM_RSRC2:TGID_X_EN: 1
; COMPUTE_PGM_RSRC2:TGID_Y_EN: 1
; COMPUTE_PGM_RSRC2:TGID_Z_EN: 0
; COMPUTE_PGM_RSRC2:TIDIG_COMP_CNT: 0
; COMPUTE_PGM_RSRC3_GFX90A:ACCUM_OFFSET: 31
; COMPUTE_PGM_RSRC3_GFX90A:TG_SPLIT: 0
	.section	.text._Z39paged_attention_ll4mi_QKV_mfma16_kernelI14__hip_bfloat16S0_LN4vllm18Fp8KVCacheDataTypeE0EhLi16ELi128ELi256ELb1ELi1EEvPKT_PKT0_S8_ifPKiSA_SA_iPKfiiiPfSD_PS3_PT2_iSC_SC_,"axG",@progbits,_Z39paged_attention_ll4mi_QKV_mfma16_kernelI14__hip_bfloat16S0_LN4vllm18Fp8KVCacheDataTypeE0EhLi16ELi128ELi256ELb1ELi1EEvPKT_PKT0_S8_ifPKiSA_SA_iPKfiiiPfSD_PS3_PT2_iSC_SC_,comdat
	.protected	_Z39paged_attention_ll4mi_QKV_mfma16_kernelI14__hip_bfloat16S0_LN4vllm18Fp8KVCacheDataTypeE0EhLi16ELi128ELi256ELb1ELi1EEvPKT_PKT0_S8_ifPKiSA_SA_iPKfiiiPfSD_PS3_PT2_iSC_SC_ ; -- Begin function _Z39paged_attention_ll4mi_QKV_mfma16_kernelI14__hip_bfloat16S0_LN4vllm18Fp8KVCacheDataTypeE0EhLi16ELi128ELi256ELb1ELi1EEvPKT_PKT0_S8_ifPKiSA_SA_iPKfiiiPfSD_PS3_PT2_iSC_SC_
	.globl	_Z39paged_attention_ll4mi_QKV_mfma16_kernelI14__hip_bfloat16S0_LN4vllm18Fp8KVCacheDataTypeE0EhLi16ELi128ELi256ELb1ELi1EEvPKT_PKT0_S8_ifPKiSA_SA_iPKfiiiPfSD_PS3_PT2_iSC_SC_
	.p2align	8
	.type	_Z39paged_attention_ll4mi_QKV_mfma16_kernelI14__hip_bfloat16S0_LN4vllm18Fp8KVCacheDataTypeE0EhLi16ELi128ELi256ELb1ELi1EEvPKT_PKT0_S8_ifPKiSA_SA_iPKfiiiPfSD_PS3_PT2_iSC_SC_,@function
_Z39paged_attention_ll4mi_QKV_mfma16_kernelI14__hip_bfloat16S0_LN4vllm18Fp8KVCacheDataTypeE0EhLi16ELi128ELi256ELb1ELi1EEvPKT_PKT0_S8_ifPKiSA_SA_iPKfiiiPfSD_PS3_PT2_iSC_SC_: ; @_Z39paged_attention_ll4mi_QKV_mfma16_kernelI14__hip_bfloat16S0_LN4vllm18Fp8KVCacheDataTypeE0EhLi16ELi128ELi256ELb1ELi1EEvPKT_PKT0_S8_ifPKiSA_SA_iPKfiiiPfSD_PS3_PT2_iSC_SC_
; %bb.0:
	s_load_dwordx2 s[8:9], s[0:1], 0x30
	s_mov_b32 s28, s3
	s_mov_b64 s[6:7], 0
	s_waitcnt lgkmcnt(0)
	s_cmp_lg_u64 s[8:9], 0
	s_cselect_b64 s[10:11], -1, 0
	s_and_b64 vcc, exec, s[10:11]
	s_cbranch_vccz .LBB600_7
; %bb.1:
	s_add_i32 s12, s2, 1
	s_mov_b32 s13, 0
	s_lshl_b64 s[14:15], s[12:13], 2
	s_add_u32 s14, s8, s14
	s_mov_b32 s3, s13
	s_addc_u32 s15, s9, s15
	s_lshl_b64 s[12:13], s[2:3], 2
	s_add_u32 s12, s8, s12
	s_addc_u32 s13, s9, s13
	s_load_dword s5, s[14:15], 0x0
	s_load_dword s16, s[12:13], 0x0
	s_waitcnt lgkmcnt(0)
	s_sub_i32 s5, s5, s16
	s_cmp_eq_u32 s5, 1
	s_cselect_b64 s[12:13], -1, 0
	s_andn2_b64 vcc, exec, s[6:7]
	s_cbranch_vccnz .LBB600_3
.LBB600_2:
	s_mov_b32 s3, 0
	s_mov_b64 s[12:13], -1
.LBB600_3:
	s_andn2_b64 vcc, exec, s[12:13]
	s_cbranch_vccnz .LBB600_19
; %bb.4:
	s_load_dwordx2 s[6:7], s[0:1], 0x28
	s_lshl_b64 s[12:13], s[2:3], 2
	s_waitcnt lgkmcnt(0)
	s_add_u32 s6, s6, s12
	s_addc_u32 s7, s7, s13
	s_load_dword s29, s[6:7], 0x0
	s_lshl_b32 s18, s28, 8
	s_waitcnt lgkmcnt(0)
	s_cmp_ge_i32 s18, s29
	s_cbranch_scc1 .LBB600_19
; %bb.5:
	s_load_dwordx2 s[6:7], s[0:1], 0x20
	s_load_dword s5, s[0:1], 0x38
	s_add_i32 s14, s29, 15
	s_ashr_i32 s15, s14, 31
	v_and_b32_e32 v1, 0xcf, v0
	s_lshr_b32 s15, s15, 28
	v_add_u32_e32 v1, s18, v1
	s_add_i32 s14, s14, s15
	v_ashrrev_i32_e32 v2, 31, v1
	s_ashr_i32 s19, s14, 4
	v_lshrrev_b32_e32 v4, 28, v2
	s_add_i32 s19, s19, -1
	s_waitcnt lgkmcnt(0)
	s_mul_i32 s14, s2, s5
	s_mov_b32 s15, 0
	v_add_u32_e32 v2, v1, v4
	s_lshl_b64 s[14:15], s[14:15], 2
	v_ashrrev_i32_e32 v2, 4, v2
	v_mov_b32_e32 v5, s19
	v_cmp_gt_i32_e32 vcc, s29, v1
	s_add_u32 s6, s6, s14
	s_addc_u32 s7, s7, s15
	v_cndmask_b32_e32 v2, v5, v2, vcc
	v_ashrrev_i32_e32 v3, 31, v2
	v_lshl_add_u64 v[6:7], v[2:3], 2, s[6:7]
	v_or_b32_e32 v2, 16, v1
	v_add_u32_e32 v3, v2, v4
	v_ashrrev_i32_e32 v3, 4, v3
	v_cmp_gt_i32_e32 vcc, s29, v2
	s_load_dwordx2 s[14:15], s[0:1], 0x8
	s_nop 0
	v_cndmask_b32_e32 v2, v5, v3, vcc
	v_ashrrev_i32_e32 v3, 31, v2
	v_lshl_add_u64 v[8:9], v[2:3], 2, s[6:7]
	v_or_b32_e32 v2, 32, v1
	v_add_u32_e32 v3, v2, v4
	v_ashrrev_i32_e32 v3, 4, v3
	v_cmp_gt_i32_e32 vcc, s29, v2
	v_or_b32_e32 v1, 48, v1
	s_nop 0
	v_cndmask_b32_e32 v2, v5, v3, vcc
	v_ashrrev_i32_e32 v3, 31, v2
	v_lshl_add_u64 v[10:11], v[2:3], 2, s[6:7]
	v_add_u32_e32 v2, v1, v4
	v_ashrrev_i32_e32 v2, 4, v2
	v_cmp_gt_i32_e32 vcc, s29, v1
	s_nop 1
	v_cndmask_b32_e32 v2, v5, v2, vcc
	v_ashrrev_i32_e32 v3, 31, v2
	v_lshl_add_u64 v[12:13], v[2:3], 2, s[6:7]
	global_load_dword v5, v[6:7], off
	global_load_dword v4, v[8:9], off
	;; [unrolled: 1-line block ×4, first 2 shown]
	s_andn2_b64 vcc, exec, s[10:11]
	s_cbranch_vccnz .LBB600_8
; %bb.6:
	s_add_u32 s8, s8, s12
	s_addc_u32 s9, s9, s13
	s_load_dword s5, s[8:9], 0x0
	s_branch .LBB600_9
.LBB600_7:
	s_mov_b64 s[12:13], 0
	s_branch .LBB600_2
.LBB600_8:
	s_mov_b32 s5, s2
.LBB600_9:
	s_load_dwordx2 s[12:13], s[0:1], 0x10
	s_load_dwordx4 s[8:11], s[0:1], 0x48
	v_lshrrev_b32_e32 v87, 6, v0
	v_bfe_u32 v84, v0, 4, 2
	v_and_b32_e32 v85, 15, v0
	v_lshl_or_b32 v1, v87, 2, v84
	v_lshlrev_b32_e32 v6, 3, v85
	v_cmp_eq_u32_e32 vcc, 0, v1
	v_lshlrev_b32_e32 v1, 1, v6
	scratch_store_dword off, v1, off        ; 4-byte Folded Spill
	s_and_saveexec_b64 s[16:17], vcc
	s_cbranch_execz .LBB600_11
; %bb.10:
	scratch_load_dword v1, off, off         ; 4-byte Folded Reload
	s_load_dwordx2 s[20:21], s[0:1], 0x0
	s_waitcnt lgkmcnt(0)
	s_ashr_i32 s11, s8, 31
	s_mul_hi_u32 s22, s5, s8
	s_mul_i32 s11, s5, s11
	s_add_i32 s23, s22, s11
	s_mul_i32 s22, s5, s8
	s_lshl_b64 s[22:23], s[22:23], 1
	s_add_u32 s5, s20, s22
	s_addc_u32 s8, s21, s23
	s_lshl_b32 s20, s4, 7
	s_ashr_i32 s21, s20, 31
	s_lshl_b64 s[20:21], s[20:21], 1
	s_add_u32 s20, s5, s20
	s_addc_u32 s21, s8, s21
	v_and_b32_e32 v10, 3, v0
	v_lshlrev_b32_e32 v11, 9, v85
	v_lshlrev_b32_e32 v10, 9, v10
	s_movk_i32 s5, 0x1800
	v_and_or_b32 v10, v11, s5, v10
	s_waitcnt vmcnt(0)
	global_load_dwordx4 v[6:9], v1, s[20:21]
	s_waitcnt vmcnt(0)
	ds_write_b128 v10, v[6:9]
.LBB600_11:
	s_or_b64 exec, exec, s[16:17]
	s_waitcnt lgkmcnt(0)
	s_mul_i32 s10, s4, s10
	s_mov_b32 s11, 0
	s_lshl_b64 s[10:11], s[10:11], 1
	s_add_u32 s14, s14, s10
	v_lshlrev_b32_e32 v1, 4, v0
	s_addc_u32 s15, s15, s11
	v_and_b32_e32 v82, 0xf0, v1
	v_mov_b32_e32 v83, 0
	v_lshl_add_u64 v[6:7], s[14:15], 0, v[82:83]
	s_waitcnt vmcnt(4)
	v_mad_i64_i32 v[8:9], s[14:15], v5, s9, 0
	s_waitcnt vmcnt(3)
	v_mad_i64_i32 v[4:5], s[14:15], v4, s9, 0
	v_lshl_add_u64 v[8:9], v[8:9], 1, v[6:7]
	v_and_b32_e32 v82, 0x300, v1
	v_lshl_add_u64 v[4:5], v[4:5], 1, v[6:7]
	v_lshl_add_u64 v[8:9], v[8:9], 0, v[82:83]
	v_lshl_add_u64 v[4:5], v[4:5], 0, v[82:83]
	s_barrier
	global_load_dwordx4 v[78:81], v[8:9], off
	global_load_dwordx4 v[74:77], v[8:9], off offset:1024
	global_load_dwordx4 v[70:73], v[8:9], off offset:2048
	;; [unrolled: 1-line block ×3, first 2 shown]
	global_load_dwordx4 v[66:69], v[4:5], off
	global_load_dwordx4 v[62:65], v[4:5], off offset:1024
	global_load_dwordx4 v[58:61], v[4:5], off offset:2048
	;; [unrolled: 1-line block ×3, first 2 shown]
	s_waitcnt vmcnt(10)
	v_mad_i64_i32 v[4:5], s[14:15], v3, s9, 0
	s_waitcnt vmcnt(9)
	v_mad_i64_i32 v[2:3], s[14:15], v2, s9, 0
	v_lshl_add_u64 v[4:5], v[4:5], 1, v[6:7]
	v_lshl_add_u64 v[2:3], v[2:3], 1, v[6:7]
	;; [unrolled: 1-line block ×4, first 2 shown]
	global_load_dwordx4 v[54:57], v[4:5], off
	global_load_dwordx4 v[30:33], v[4:5], off offset:1024
	global_load_dwordx4 v[26:29], v[4:5], off offset:2048
	;; [unrolled: 1-line block ×3, first 2 shown]
	global_load_dwordx4 v[10:13], v[6:7], off
	s_nop 0
	global_load_dwordx4 v[2:5], v[6:7], off offset:1024
	global_load_dwordx4 v[42:45], v[6:7], off offset:2048
	;; [unrolled: 1-line block ×3, first 2 shown]
	v_lshlrev_b32_e32 v38, 9, v84
	ds_read_b128 v[50:53], v38
	ds_read_b128 v[6:9], v38 offset:2048
	ds_read_b128 v[46:49], v38 offset:4096
	;; [unrolled: 1-line block ×3, first 2 shown]
	v_and_b32_e32 v88, 63, v0
	v_cmp_eq_u32_e32 vcc, 0, v85
	v_mov_b32_e32 v89, 0
	s_and_saveexec_b64 s[14:15], vcc
	s_cbranch_execz .LBB600_13
; %bb.12:
	s_load_dwordx2 s[16:17], s[0:1], 0x40
	s_ashr_i32 s5, s4, 31
	s_lshl_b64 s[20:21], s[4:5], 2
	s_waitcnt lgkmcnt(0)
	s_add_u32 s16, s16, s20
	s_addc_u32 s17, s17, s21
	s_load_dword s5, s[16:17], 0x0
	s_waitcnt lgkmcnt(0)
	v_mov_b32_e32 v89, s5
.LBB600_13:
	s_or_b64 exec, exec, s[14:15]
	s_waitcnt vmcnt(15) lgkmcnt(3)
	v_mfma_f32_16x16x16_bf16 v[90:93], v[78:79], v[50:51], 0
	s_add_u32 s10, s12, s10
	s_addc_u32 s11, s13, s11
	s_mov_b32 s5, 0xff7fffff
	v_mfma_f32_16x16x16_bf16 v[78:81], v[80:81], v[52:53], v[90:93]
	s_waitcnt vmcnt(14) lgkmcnt(2)
	v_mfma_f32_16x16x16_bf16 v[78:81], v[74:75], v[6:7], v[78:81]
	s_nop 0
	v_lshl_or_b32 v90, v87, 4, v85
	v_lshlrev_b32_e32 v82, 5, v90
	v_mfma_f32_16x16x16_bf16 v[74:77], v[76:77], v[8:9], v[78:81]
	s_waitcnt vmcnt(13) lgkmcnt(1)
	v_mfma_f32_16x16x16_bf16 v[74:77], v[70:71], v[46:47], v[74:77]
	v_mfma_f32_16x16x16_bf16 v[70:73], v[72:73], v[48:49], v[74:77]
	s_waitcnt vmcnt(11)
	v_mfma_f32_16x16x16_bf16 v[74:77], v[66:67], v[50:51], 0
	v_mfma_f32_16x16x16_bf16 v[66:69], v[68:69], v[52:53], v[74:77]
	s_nop 5
	v_and_or_b32 v74, v0, 48, s18
	s_waitcnt lgkmcnt(0)
	v_mfma_f32_16x16x16_bf16 v[70:73], v[14:15], v[38:39], v[70:73]
	v_ashrrev_i32_e32 v14, 4, v74
	v_mov_b32_e32 v75, s19
	v_cmp_gt_i32_e32 vcc, s29, v74
	s_waitcnt vmcnt(10)
	v_mfma_f32_16x16x16_bf16 v[66:69], v[62:63], v[6:7], v[66:69]
	v_cndmask_b32_e32 v14, v75, v14, vcc
	v_ashrrev_i32_e32 v15, 31, v14
	v_lshl_add_u64 v[14:15], v[14:15], 2, s[6:7]
	global_load_dword v76, v[14:15], off
	v_mfma_f32_16x16x16_bf16 v[62:65], v[64:65], v[8:9], v[66:69]
	v_or_b32_e32 v14, 64, v74
	v_ashrrev_i32_e32 v15, 4, v14
	v_cmp_gt_i32_e32 vcc, s29, v14
	s_waitcnt vmcnt(10)
	v_mfma_f32_16x16x16_bf16 v[62:65], v[58:59], v[46:47], v[62:65]
	v_cndmask_b32_e32 v14, v75, v15, vcc
	v_ashrrev_i32_e32 v15, 31, v14
	v_lshl_add_u64 v[14:15], v[14:15], 2, s[6:7]
	global_load_dword v77, v[14:15], off
	v_or_b32_e32 v14, 0x80, v74
	v_mfma_f32_16x16x16_bf16 v[58:61], v[60:61], v[48:49], v[62:65]
	v_ashrrev_i32_e32 v15, 4, v14
	v_cmp_gt_i32_e32 vcc, s29, v14
	s_waitcnt vmcnt(9)
	v_mfma_f32_16x16x16_bf16 v[62:65], v[54:55], v[50:51], 0
	v_cndmask_b32_e32 v14, v75, v15, vcc
	v_ashrrev_i32_e32 v15, 31, v14
	v_lshl_add_u64 v[14:15], v[14:15], 2, s[6:7]
	v_mfma_f32_16x16x16_bf16 v[54:57], v[56:57], v[52:53], v[62:65]
	s_nop 2
	global_load_dword v62, v[14:15], off
	v_or_b32_e32 v14, 0xc0, v74
	v_ashrrev_i32_e32 v15, 4, v14
	v_cmp_gt_i32_e32 vcc, s29, v14
	s_waitcnt vmcnt(9)
	v_mfma_f32_16x16x16_bf16 v[54:57], v[30:31], v[6:7], v[54:57]
	v_cndmask_b32_e32 v14, v75, v15, vcc
	v_ashrrev_i32_e32 v15, 31, v14
	v_lshl_add_u64 v[14:15], v[14:15], 2, s[6:7]
	global_load_dword v74, v[14:15], off
	v_mfma_f32_16x16x16_bf16 v[30:33], v[32:33], v[8:9], v[54:57]
	s_load_dword s6, s[0:1], 0x1c
	s_waitcnt vmcnt(3)
	v_mad_i64_i32 v[14:15], s[12:13], v76, s9, 0
	v_mfma_f32_16x16x16_bf16 v[30:33], v[26:27], v[46:47], v[30:33]
	v_mfma_f32_16x16x16_bf16 v[54:57], v[18:19], v[38:39], v[58:61]
	;; [unrolled: 1-line block ×4, first 2 shown]
	s_nop 1
	v_lshl_add_u64 v[70:71], s[10:11], 0, v[82:83]
	s_waitcnt lgkmcnt(0)
	s_nop 1
	v_pk_mul_f32 v[78:79], s[6:7], v[60:61] op_sel_hi:[0,1]
	v_or_b32_e32 v82, 0x800, v82
	v_lshlrev_b64 v[56:57], 1, v[14:15]
	v_mfma_f32_16x16x16_bf16 v[14:17], v[28:29], v[48:49], v[30:33]
	v_lshl_add_u64 v[18:19], v[70:71], 0, v[56:57]
	s_nop 1
	global_load_dwordx4 v[30:33], v[18:19], off
	global_load_dwordx4 v[26:29], v[18:19], off offset:16
	s_waitcnt vmcnt(4)
	v_mad_i64_i32 v[18:19], s[12:13], v77, s9, 0
	v_mfma_f32_16x16x16_bf16 v[14:17], v[22:23], v[38:39], v[14:17]
	v_lshlrev_b64 v[54:55], 1, v[18:19]
	v_pk_mul_f32 v[76:77], s[6:7], v[66:67] op_sel_hi:[0,1]
	v_mfma_f32_16x16x16_bf16 v[92:95], v[24:25], v[40:41], v[14:17]
	s_nop 3
	v_lshl_add_u64 v[14:15], v[70:71], 0, v[54:55]
	global_load_dwordx4 v[22:25], v[14:15], off
	global_load_dwordx4 v[18:21], v[14:15], off offset:16
	v_mfma_f32_16x16x16_bf16 v[14:17], v[10:11], v[50:51], 0
	s_waitcnt vmcnt(5)
	v_mad_i64_i32 v[10:11], s[12:13], v62, s9, 0
	v_lshlrev_b64 v[50:51], 1, v[10:11]
	v_mfma_f32_16x16x16_bf16 v[62:65], v[12:13], v[52:53], v[14:17]
	v_lshl_add_u64 v[10:11], v[70:71], 0, v[50:51]
	s_nop 1
	global_load_dwordx4 v[14:17], v[10:11], off
	s_nop 0
	global_load_dwordx4 v[10:13], v[10:11], off offset:16
	v_mfma_f32_16x16x16_bf16 v[62:65], v[2:3], v[6:7], v[62:65]
	s_waitcnt vmcnt(6)
	v_mad_i64_i32 v[2:3], s[8:9], v74, s9, 0
	v_lshlrev_b64 v[52:53], 1, v[2:3]
	v_mfma_f32_16x16x16_bf16 v[62:65], v[4:5], v[8:9], v[62:65]
	v_lshl_add_u64 v[2:3], v[70:71], 0, v[52:53]
	v_pk_mul_f32 v[74:75], s[6:7], v[68:69] op_sel_hi:[0,1]
	global_load_dwordx4 v[6:9], v[2:3], off
	s_nop 0
	global_load_dwordx4 v[2:5], v[2:3], off offset:16
	v_mfma_f32_16x16x16_bf16 v[70:73], v[42:43], v[46:47], v[62:65]
	v_mfma_f32_16x16x16_bf16 v[44:47], v[44:45], v[48:49], v[70:73]
	s_nop 1
	v_pk_mul_f32 v[62:63], s[6:7], v[58:59] op_sel_hi:[0,1]
	v_lshl_add_u64 v[64:65], s[10:11], 0, v[82:83]
	v_lshl_add_u64 v[42:43], v[64:65], 0, v[56:57]
	v_mfma_f32_16x16x16_bf16 v[44:47], v[34:35], v[38:39], v[44:47]
	v_pk_mul_f32 v[70:71], s[6:7], v[94:95] op_sel_hi:[0,1]
	v_pk_mul_f32 v[72:73], s[6:7], v[92:93] op_sel_hi:[0,1]
	v_lshl_add_u64 v[50:51], v[64:65], 0, v[50:51]
	v_mfma_f32_16x16x16_bf16 v[34:37], v[36:37], v[40:41], v[44:47]
	s_nop 6
	v_pk_mul_f32 v[68:69], s[6:7], v[34:35] op_sel_hi:[0,1]
	v_and_b32_e32 v34, 0xc0, v0
	v_add_u32_e32 v34, s18, v34
	v_lshl_or_b32 v34, v84, 2, v34
	v_or_b32_e32 v35, 1, v34
	v_pk_mul_f32 v[66:67], s[6:7], v[36:37] op_sel_hi:[0,1]
	v_subrev_u32_e32 v36, s29, v35
	v_add_u32_e32 v38, 1, v36
	v_add_u32_e32 v39, 2, v36
	v_cvt_f32_i32_e32 v37, v36
	v_cvt_f32_i32_e32 v38, v38
	;; [unrolled: 1-line block ×3, first 2 shown]
	v_add_u32_e32 v40, 3, v36
	v_fma_f32 v62, v89, v37, v62
	v_fmac_f32_e32 v63, v89, v38
	v_fma_f32 v78, v89, v39, v78
	v_add_u32_e32 v37, 16, v36
	v_add_u32_e32 v38, 17, v36
	;; [unrolled: 1-line block ×3, first 2 shown]
	v_cvt_f32_i32_e32 v40, v40
	v_cvt_f32_i32_e32 v37, v37
	;; [unrolled: 1-line block ×4, first 2 shown]
	v_fmac_f32_e32 v79, v89, v40
	v_add_u32_e32 v40, 19, v36
	v_fma_f32 v76, v89, v37, v76
	v_fmac_f32_e32 v77, v89, v38
	v_fma_f32 v74, v89, v39, v74
	v_add_u32_e32 v37, 32, v36
	v_add_u32_e32 v38, 33, v36
	;; [unrolled: 1-line block ×3, first 2 shown]
	v_cvt_f32_i32_e32 v40, v40
	v_cvt_f32_i32_e32 v37, v37
	;; [unrolled: 1-line block ×4, first 2 shown]
	v_fmac_f32_e32 v75, v89, v40
	v_add_u32_e32 v40, 35, v36
	v_fma_f32 v72, v89, v37, v72
	v_fmac_f32_e32 v73, v89, v38
	v_fma_f32 v70, v89, v39, v70
	v_add_u32_e32 v37, 48, v36
	v_add_u32_e32 v38, 49, v36
	;; [unrolled: 1-line block ×4, first 2 shown]
	v_cvt_f32_i32_e32 v36, v36
	v_cvt_f32_i32_e32 v37, v37
	;; [unrolled: 1-line block ×3, first 2 shown]
	v_cmp_gt_i32_e64 s[30:31], s29, v34
	v_fmac_f32_e32 v67, v89, v36
	v_mov_b32_e32 v36, 0xff7fffff
	v_cmp_gt_i32_e64 s[34:35], s29, v35
	v_fma_f32 v68, v89, v37, v68
	v_cndmask_b32_e64 v37, v36, v62, s[30:31]
	v_cndmask_b32_e64 v35, v36, v63, s[34:35]
	v_fmac_f32_e32 v69, v89, v38
	v_max3_f32 v35, v37, s5, v35
	v_or_b32_e32 v37, 2, v34
	v_or_b32_e32 v38, 3, v34
	v_cmp_gt_i32_e64 s[36:37], s29, v37
	v_cmp_gt_i32_e64 s[38:39], s29, v38
	v_cvt_f32_i32_e32 v40, v40
	v_cndmask_b32_e64 v37, v36, v78, s[36:37]
	v_cndmask_b32_e64 v38, v36, v79, s[38:39]
	v_max3_f32 v35, v35, v37, v38
	v_or_b32_e32 v37, 16, v34
	v_or_b32_e32 v38, 17, v34
	v_cmp_gt_i32_e64 s[24:25], s29, v37
	v_cmp_gt_i32_e64 s[26:27], s29, v38
	v_fmac_f32_e32 v71, v89, v40
	v_cndmask_b32_e64 v37, v36, v76, s[24:25]
	v_cndmask_b32_e64 v38, v36, v77, s[26:27]
	v_max3_f32 v35, v35, v37, v38
	v_or_b32_e32 v37, 18, v34
	v_or_b32_e32 v38, 19, v34
	v_cmp_gt_i32_e64 s[20:21], s29, v37
	v_cmp_gt_i32_e64 s[22:23], s29, v38
	v_cvt_f32_i32_e32 v39, v39
	v_cndmask_b32_e64 v37, v36, v74, s[20:21]
	v_cndmask_b32_e64 v38, v36, v75, s[22:23]
	v_max3_f32 v35, v35, v37, v38
	v_or_b32_e32 v37, 32, v34
	v_or_b32_e32 v38, 33, v34
	v_cmp_gt_i32_e64 s[16:17], s29, v37
	v_cmp_gt_i32_e64 s[18:19], s29, v38
	v_fma_f32 v66, v89, v39, v66
	v_cndmask_b32_e64 v37, v36, v72, s[16:17]
	v_cndmask_b32_e64 v38, v36, v73, s[18:19]
	v_max3_f32 v35, v35, v37, v38
	v_or_b32_e32 v37, 34, v34
	v_or_b32_e32 v38, 35, v34
	v_cmp_gt_i32_e64 s[12:13], s29, v37
	v_cmp_gt_i32_e64 s[14:15], s29, v38
	s_nop 0
	v_cndmask_b32_e64 v37, v36, v70, s[12:13]
	v_cndmask_b32_e64 v38, v36, v71, s[14:15]
	v_max3_f32 v35, v35, v37, v38
	v_or_b32_e32 v37, 48, v34
	v_or_b32_e32 v38, 49, v34
	v_cmp_gt_i32_e64 s[8:9], s29, v37
	v_cmp_gt_i32_e64 s[10:11], s29, v38
	s_nop 0
	v_cndmask_b32_e64 v37, v36, v68, s[8:9]
	v_cndmask_b32_e64 v38, v36, v69, s[10:11]
	v_max3_f32 v35, v35, v37, v38
	v_or_b32_e32 v37, 50, v34
	v_or_b32_e32 v34, 51, v34
	v_cmp_gt_i32_e32 vcc, s29, v37
	v_cmp_gt_i32_e64 s[6:7], s29, v34
	global_load_dwordx4 v[46:49], v[42:43], off
	global_load_dwordx4 v[38:41], v[42:43], off offset:16
	v_cndmask_b32_e32 v37, v36, v66, vcc
	v_cndmask_b32_e64 v34, v36, v67, s[6:7]
	v_max3_f32 v56, v35, v37, v34
	v_mbcnt_lo_u32_b32 v34, -1, 0
	v_mbcnt_hi_u32_b32 v57, -1, v34
	v_and_b32_e32 v34, 64, v57
	v_add_u32_e32 v58, 64, v34
	v_xor_b32_e32 v34, 32, v57
	v_cmp_lt_i32_e64 s[40:41], v34, v58
	s_nop 1
	v_cndmask_b32_e64 v34, v57, v34, s[40:41]
	v_lshlrev_b32_e32 v83, 2, v34
	ds_bpermute_b32 v59, v83, v56
	v_lshl_add_u64 v[34:35], v[64:65], 0, v[54:55]
	global_load_dwordx4 v[42:45], v[34:35], off
	s_nop 0
	global_load_dwordx4 v[34:37], v[34:35], off offset:16
	s_waitcnt lgkmcnt(0)
	v_max_f32_e32 v54, v59, v59
	v_max_f32_e32 v80, v56, v54
	v_xor_b32_e32 v54, 16, v57
	v_cmp_lt_i32_e64 s[40:41], v54, v58
	s_nop 1
	v_cndmask_b32_e64 v54, v57, v54, s[40:41]
	v_lshlrev_b32_e32 v89, 2, v54
	ds_bpermute_b32 v81, v89, v80
	global_load_dwordx4 v[58:61], v[50:51], off
	global_load_dwordx4 v[54:57], v[50:51], off offset:16
	v_lshl_add_u64 v[50:51], v[64:65], 0, v[52:53]
	s_waitcnt lgkmcnt(0)
	v_max_f32_e32 v52, v81, v81
	v_max_f32_e32 v82, v80, v52
	v_sub_f32_e32 v52, v62, v82
	v_mul_f32_e32 v52, 0x3fb8aa3b, v52
	v_exp_f32_e32 v80, v52
	v_sub_f32_e32 v52, v63, v82
	v_mul_f32_e32 v52, 0x3fb8aa3b, v52
	v_exp_f32_e32 v81, v52
	global_load_dwordx4 v[62:65], v[50:51], off
	s_nop 0
	global_load_dwordx4 v[50:53], v[50:51], off offset:16
	v_sub_f32_e32 v78, v78, v82
	v_mul_f32_e32 v78, 0x3fb8aa3b, v78
	v_sub_f32_e32 v79, v79, v82
	v_exp_f32_e32 v78, v78
	v_mul_f32_e32 v79, 0x3fb8aa3b, v79
	v_sub_f32_e32 v76, v76, v82
	v_exp_f32_e32 v79, v79
	v_mul_f32_e32 v76, 0x3fb8aa3b, v76
	v_sub_f32_e32 v77, v77, v82
	v_cndmask_b32_e64 v80, 0, v80, s[30:31]
	v_exp_f32_e32 v76, v76
	v_mul_f32_e32 v77, 0x3fb8aa3b, v77
	v_sub_f32_e32 v74, v74, v82
	v_add_f32_e32 v91, 0, v80
	v_cndmask_b32_e64 v81, 0, v81, s[34:35]
	v_exp_f32_e32 v77, v77
	v_mul_f32_e32 v74, 0x3fb8aa3b, v74
	v_sub_f32_e32 v75, v75, v82
	v_add_f32_e32 v91, v91, v81
	;; [unrolled: 5-line block ×10, first 2 shown]
	v_cndmask_b32_e64 v70, 0, v70, s[12:13]
	v_exp_f32_e32 v66, v66
	v_mul_f32_e32 v67, 0x3fb8aa3b, v67
	v_add_f32_e32 v91, v91, v70
	v_cndmask_b32_e64 v71, 0, v71, s[14:15]
	v_exp_f32_e32 v67, v67
	v_add_f32_e32 v91, v91, v71
	v_cndmask_b32_e64 v68, 0, v68, s[8:9]
	v_add_f32_e32 v91, v91, v68
	v_cndmask_b32_e64 v69, 0, v69, s[10:11]
	v_add_f32_e32 v91, v91, v69
	v_cndmask_b32_e32 v66, 0, v66, vcc
	v_add_f32_e32 v91, v91, v66
	v_cndmask_b32_e64 v67, 0, v67, s[6:7]
	v_add_f32_e32 v91, v91, v67
	ds_bpermute_b32 v83, v83, v91
	v_cmp_lt_u32_e64 s[6:7], 15, v88
	v_cmp_gt_u32_e32 vcc, 16, v88
	s_waitcnt lgkmcnt(0)
	s_barrier
	v_add_f32_e32 v83, v91, v83
	ds_bpermute_b32 v89, v89, v83
	s_waitcnt lgkmcnt(0)
	s_and_saveexec_b64 s[8:9], vcc
	s_cbranch_execz .LBB600_15
; %bb.14:
	v_add_f32_e32 v83, v83, v89
	v_lshlrev_b32_e32 v88, 2, v90
	ds_write2st64_b32 v88, v82, v83 offset1:1
.LBB600_15:
	s_or_b64 exec, exec, s[8:9]
	v_lshlrev_b32_e32 v83, 2, v85
	s_load_dwordx2 s[8:9], s[0:1], 0x94
	s_waitcnt lgkmcnt(0)
	s_barrier
	ds_read2_b32 v[88:89], v83 offset1:16
	ds_read2_b32 v[90:91], v83 offset0:32 offset1:48
	ds_read2_b32 v[92:93], v83 offset0:64 offset1:80
	s_mov_b32 s12, 0x7060302
	s_waitcnt lgkmcnt(2)
	v_max3_f32 v82, v88, s5, v89
	s_waitcnt lgkmcnt(1)
	v_max3_f32 v82, v82, v90, v91
	v_sub_f32_e32 v88, v88, v82
	v_mul_f32_e32 v88, 0x3fb8aa3b, v88
	v_exp_f32_e32 v94, v88
	v_sub_f32_e32 v88, v89, v82
	v_mul_f32_e32 v88, 0x3fb8aa3b, v88
	v_exp_f32_e32 v95, v88
	v_sub_f32_e32 v88, v90, v82
	v_mul_f32_e32 v88, 0x3fb8aa3b, v88
	v_exp_f32_e32 v90, v88
	ds_read2_b32 v[88:89], v83 offset0:96 offset1:112
	v_sub_f32_e32 v83, v91, v82
	v_mul_f32_e32 v83, 0x3fb8aa3b, v83
	v_exp_f32_e32 v91, v83
	s_waitcnt lgkmcnt(1)
	v_fma_f32 v83, v94, v92, 0
	v_fmac_f32_e32 v83, v95, v93
	s_waitcnt lgkmcnt(0)
	v_fmac_f32_e32 v83, v90, v88
	v_fmac_f32_e32 v83, v91, v89
	v_add_f32_e32 v89, 0x358637bd, v83
	v_div_scale_f32 v92, s[10:11], v89, v89, 1.0
	v_rcp_f32_e32 v93, v92
	s_movk_i32 s5, 0x7fff
	v_mov_b32_e32 v88, 0
	v_fma_f32 v1, -v92, v93, 1.0
	v_fmac_f32_e32 v93, v1, v93
	v_div_scale_f32 v1, vcc, 1.0, v89, 1.0
	v_mul_f32_e32 v86, v1, v93
	v_fma_f32 v84, -v92, v86, v1
	v_fmac_f32_e32 v86, v84, v93
	v_fma_f32 v1, -v92, v86, v1
	v_div_fmas_f32 v1, v1, v93, v86
	v_cmp_eq_u32_e32 vcc, 1, v87
	v_div_fixup_f32 v1, v1, v89, 1.0
	v_bfe_u32 v86, v0, 4, 2
	v_cndmask_b32_e32 v84, v94, v95, vcc
	v_cmp_eq_u32_e32 vcc, 2, v87
	s_barrier
	s_nop 0
	v_cndmask_b32_e32 v84, v84, v90, vcc
	v_cmp_eq_u32_e32 vcc, 3, v87
	s_nop 1
	v_cndmask_b32_e32 v84, v84, v91, vcc
	v_mul_f32_e32 v90, v84, v1
	v_pk_mul_f32 v[80:81], v[90:91], v[80:81] op_sel_hi:[0,1]
	v_bfe_u32 v1, v81, 16, 1
	v_bfe_u32 v84, v80, 16, 1
	v_pk_mul_f32 v[78:79], v[90:91], v[78:79] op_sel_hi:[0,1]
	v_add3_u32 v80, v80, v84, s5
	v_add3_u32 v1, v81, v1, s5
	v_perm_b32 v80, v1, v80, s12
	v_bfe_u32 v1, v79, 16, 1
	v_bfe_u32 v81, v78, 16, 1
	v_add3_u32 v78, v78, v81, s5
	v_add3_u32 v1, v79, v1, s5
	v_perm_b32 v81, v1, v78, s12
	v_lshlrev_b32_e32 v1, 3, v86
	v_lshlrev_b32_e32 v79, 5, v85
	;; [unrolled: 1-line block ×3, first 2 shown]
	v_pk_mul_f32 v[76:77], v[90:91], v[76:77] op_sel_hi:[0,1]
	v_or3_b32 v78, v78, v79, v1
	v_bfe_u32 v1, v77, 16, 1
	v_bfe_u32 v84, v76, 16, 1
	v_pk_mul_f32 v[74:75], v[90:91], v[74:75] op_sel_hi:[0,1]
	v_add3_u32 v76, v76, v84, s5
	v_add3_u32 v1, v77, v1, s5
	v_perm_b32 v76, v1, v76, s12
	v_bfe_u32 v1, v75, 16, 1
	v_bfe_u32 v77, v74, 16, 1
	v_add3_u32 v74, v74, v77, s5
	v_add3_u32 v1, v75, v1, s5
	v_pk_mul_f32 v[72:73], v[90:91], v[72:73] op_sel_hi:[0,1]
	v_perm_b32 v77, v1, v74, s12
	v_bfe_u32 v1, v73, 16, 1
	v_bfe_u32 v74, v72, 16, 1
	v_pk_mul_f32 v[70:71], v[90:91], v[70:71] op_sel_hi:[0,1]
	v_add3_u32 v72, v72, v74, s5
	v_add3_u32 v1, v73, v1, s5
	v_perm_b32 v72, v1, v72, s12
	v_bfe_u32 v1, v71, 16, 1
	v_bfe_u32 v73, v70, 16, 1
	v_add3_u32 v70, v70, v73, s5
	v_add3_u32 v1, v71, v1, s5
	v_pk_mul_f32 v[68:69], v[90:91], v[68:69] op_sel_hi:[0,1]
	v_perm_b32 v73, v1, v70, s12
	v_bfe_u32 v1, v69, 16, 1
	v_bfe_u32 v70, v68, 16, 1
	v_pk_mul_f32 v[66:67], v[90:91], v[66:67] op_sel_hi:[0,1]
	v_add3_u32 v68, v68, v70, s5
	v_add3_u32 v1, v69, v1, s5
	v_perm_b32 v68, v1, v68, s12
	v_bfe_u32 v1, v67, 16, 1
	v_bfe_u32 v69, v66, 16, 1
	v_add3_u32 v66, v66, v69, s5
	v_add3_u32 v1, v67, v1, s5
	v_perm_b32 v69, v1, v66, s12
	v_cmp_eq_u32_e32 vcc, 0, v0
	ds_write2st64_b64 v78, v[80:81], v[76:77] offset1:1
	ds_write2st64_b64 v78, v[72:73], v[68:69] offset0:2 offset1:3
	s_and_saveexec_b64 s[10:11], vcc
	s_cbranch_execz .LBB600_17
; %bb.16:
	s_mul_i32 s3, s3, s9
	s_mul_hi_u32 s13, s2, s9
	s_add_i32 s13, s13, s3
	s_mul_i32 s3, s2, s9
	s_add_u32 s3, s3, s4
	s_addc_u32 s13, s13, 0
	s_load_dwordx4 s[16:19], s[0:1], 0x58
	s_mul_i32 s13, s13, s8
	s_mul_hi_u32 s14, s3, s8
	s_add_i32 s13, s14, s13
	s_mul_i32 s3, s3, s8
	s_add_u32 s14, s3, s28
	s_addc_u32 s15, s13, 0
	s_lshl_b64 s[14:15], s[14:15], 2
	s_waitcnt lgkmcnt(0)
	s_add_u32 s18, s18, s14
	s_addc_u32 s19, s19, s15
	s_add_u32 s14, s16, s14
	s_addc_u32 s15, s17, s15
	global_store_dword v88, v82, s[18:19]
	global_store_dword v88, v83, s[14:15]
.LBB600_17:
	s_or_b64 exec, exec, s[10:11]
	v_lshl_or_b32 v1, v86, 9, v79
	s_waitcnt lgkmcnt(0)
	s_barrier
	ds_read_b128 v[70:73], v1
	ds_read_b128 v[66:69], v1 offset:16
	s_waitcnt vmcnt(15) lgkmcnt(1)
	v_mfma_f32_16x16x16_bf16 v[74:77], v[30:31], v[70:71], 0
	v_cmp_gt_u32_e32 vcc, 64, v0
	s_xor_b64 s[6:7], s[6:7], -1
	s_mov_b32 s3, 0
	v_mfma_f32_16x16x16_bf16 v[30:33], v[32:33], v[72:73], v[74:77]
	s_and_b64 s[6:7], vcc, s[6:7]
	s_waitcnt vmcnt(14) lgkmcnt(0)
	v_mfma_f32_16x16x16_bf16 v[30:33], v[26:27], v[66:67], v[30:33]
	v_mfma_f32_16x16x16_bf16 v[26:29], v[28:29], v[68:69], v[30:33]
	s_nop 5
	ds_read_b128 v[30:33], v1 offset:2048
	ds_read_b128 v[74:77], v1 offset:2064
	s_waitcnt vmcnt(13) lgkmcnt(1)
	v_mfma_f32_16x16x16_bf16 v[26:29], v[22:23], v[30:31], v[26:29]
	v_mfma_f32_16x16x16_bf16 v[22:25], v[24:25], v[32:33], v[26:29]
	s_waitcnt vmcnt(12) lgkmcnt(0)
	v_mfma_f32_16x16x16_bf16 v[22:25], v[18:19], v[74:75], v[22:25]
	v_mfma_f32_16x16x16_bf16 v[18:21], v[20:21], v[76:77], v[22:25]
	s_nop 5
	ds_read_b128 v[22:25], v1 offset:4096
	ds_read_b128 v[26:29], v1 offset:4112
	s_waitcnt vmcnt(11) lgkmcnt(1)
	v_mfma_f32_16x16x16_bf16 v[18:21], v[14:15], v[22:23], v[18:21]
	v_mfma_f32_16x16x16_bf16 v[14:17], v[16:17], v[24:25], v[18:21]
	s_waitcnt vmcnt(10) lgkmcnt(0)
	v_mfma_f32_16x16x16_bf16 v[14:17], v[10:11], v[26:27], v[14:17]
	v_mfma_f32_16x16x16_bf16 v[10:13], v[12:13], v[28:29], v[14:17]
	s_nop 5
	ds_read_b128 v[14:17], v1 offset:6144
	ds_read_b128 v[18:21], v1 offset:6160
	s_waitcnt lgkmcnt(0)
	s_barrier
	s_waitcnt vmcnt(9)
	v_mfma_f32_16x16x16_bf16 v[10:13], v[6:7], v[14:15], v[10:13]
	v_mfma_f32_16x16x16_bf16 v[6:9], v[8:9], v[16:17], v[10:13]
	s_waitcnt vmcnt(8)
	v_mfma_f32_16x16x16_bf16 v[6:9], v[2:3], v[18:19], v[6:9]
	v_mfma_f32_16x16x16_bf16 v[2:5], v[4:5], v[20:21], v[6:9]
	;; [unrolled: 3-line block ×3, first 2 shown]
	s_nop 3
	v_bfe_u32 v1, v3, 16, 1
	v_bfe_u32 v10, v2, 16, 1
	v_add3_u32 v2, v2, v10, s5
	s_waitcnt vmcnt(6)
	v_mfma_f32_16x16x16_bf16 v[6:9], v[38:39], v[66:67], v[6:9]
	v_add3_u32 v1, v3, v1, s5
	v_perm_b32 v10, v1, v2, s12
	v_bfe_u32 v1, v5, 16, 1
	v_mfma_f32_16x16x16_bf16 v[6:9], v[40:41], v[68:69], v[6:9]
	v_bfe_u32 v2, v4, 16, 1
	v_add3_u32 v2, v4, v2, s5
	v_add3_u32 v1, v5, v1, s5
	s_waitcnt vmcnt(5)
	v_mfma_f32_16x16x16_bf16 v[6:9], v[42:43], v[30:31], v[6:9]
	v_perm_b32 v11, v1, v2, s12
	v_mfma_f32_16x16x16_bf16 v[6:9], v[44:45], v[32:33], v[6:9]
	s_waitcnt vmcnt(4)
	v_mfma_f32_16x16x16_bf16 v[6:9], v[34:35], v[74:75], v[6:9]
	v_mfma_f32_16x16x16_bf16 v[6:9], v[36:37], v[76:77], v[6:9]
	s_waitcnt vmcnt(3)
	v_mfma_f32_16x16x16_bf16 v[6:9], v[58:59], v[22:23], v[6:9]
	;; [unrolled: 3-line block ×5, first 2 shown]
	v_mfma_f32_16x16x16_bf16 v[2:5], v[52:53], v[20:21], v[6:9]
	s_nop 6
	v_bfe_u32 v1, v3, 16, 1
	v_bfe_u32 v6, v2, 16, 1
	v_add3_u32 v2, v2, v6, s5
	v_add3_u32 v1, v3, v1, s5
	v_perm_b32 v2, v1, v2, s12
	v_bfe_u32 v1, v5, 16, 1
	v_bfe_u32 v3, v4, 16, 1
	v_add3_u32 v3, v4, v3, s5
	v_add3_u32 v1, v5, v1, s5
	v_perm_b32 v3, v1, v3, s12
	ds_write2st64_b64 v78, v[10:11], v[2:3] offset1:1
	s_waitcnt lgkmcnt(0)
	s_barrier
	s_and_saveexec_b64 s[10:11], s[6:7]
	s_cbranch_execz .LBB600_19
; %bb.18:
	v_lshlrev_b32_e32 v3, 6, v85
	v_lshlrev_b32_e32 v2, 4, v0
	v_lshl_or_b32 v0, v0, 10, v3
	v_lshlrev_b32_e32 v1, 5, v86
	v_and_b32_e32 v2, 16, v2
	v_and_b32_e32 v0, 0x1a00, v0
	v_or3_b32 v0, v0, v1, v2
	ds_read_b128 v[2:5], v0
	scratch_load_dword v0, off, off         ; 4-byte Folded Reload
	s_load_dwordx2 s[0:1], s[0:1], 0x68
	s_mul_i32 s2, s9, s2
	s_lshl_b32 s5, s8, 7
	s_mul_hi_u32 s7, s2, s5
	s_mul_i32 s6, s2, s5
	s_lshl_b64 s[6:7], s[6:7], 1
	s_waitcnt lgkmcnt(0)
	s_add_u32 s6, s0, s6
	s_addc_u32 s7, s1, s7
	s_lshl_b32 s2, s28, 7
	s_lshl_b64 s[0:1], s[2:3], 1
	s_add_u32 s2, s6, s0
	s_addc_u32 s3, s7, s1
	s_mul_hi_u32 s1, s5, s4
	s_mul_i32 s0, s5, s4
	s_lshl_b64 s[0:1], s[0:1], 1
	s_add_u32 s0, s2, s0
	s_addc_u32 s1, s3, s1
	s_waitcnt vmcnt(0)
	global_store_dwordx4 v0, v[2:5], s[0:1]
.LBB600_19:
	s_endpgm
	.section	.rodata,"a",@progbits
	.p2align	6, 0x0
	.amdhsa_kernel _Z39paged_attention_ll4mi_QKV_mfma16_kernelI14__hip_bfloat16S0_LN4vllm18Fp8KVCacheDataTypeE0EhLi16ELi128ELi256ELb1ELi1EEvPKT_PKT0_S8_ifPKiSA_SA_iPKfiiiPfSD_PS3_PT2_iSC_SC_
		.amdhsa_group_segment_fixed_size 8192
		.amdhsa_private_segment_fixed_size 8
		.amdhsa_kernarg_size 400
		.amdhsa_user_sgpr_count 2
		.amdhsa_user_sgpr_dispatch_ptr 0
		.amdhsa_user_sgpr_queue_ptr 0
		.amdhsa_user_sgpr_kernarg_segment_ptr 1
		.amdhsa_user_sgpr_dispatch_id 0
		.amdhsa_user_sgpr_kernarg_preload_length 0
		.amdhsa_user_sgpr_kernarg_preload_offset 0
		.amdhsa_user_sgpr_private_segment_size 0
		.amdhsa_uses_dynamic_stack 0
		.amdhsa_enable_private_segment 1
		.amdhsa_system_sgpr_workgroup_id_x 1
		.amdhsa_system_sgpr_workgroup_id_y 1
		.amdhsa_system_sgpr_workgroup_id_z 1
		.amdhsa_system_sgpr_workgroup_info 0
		.amdhsa_system_vgpr_workitem_id 0
		.amdhsa_next_free_vgpr 96
		.amdhsa_next_free_sgpr 42
		.amdhsa_accum_offset 96
		.amdhsa_reserve_vcc 1
		.amdhsa_float_round_mode_32 0
		.amdhsa_float_round_mode_16_64 0
		.amdhsa_float_denorm_mode_32 3
		.amdhsa_float_denorm_mode_16_64 3
		.amdhsa_dx10_clamp 1
		.amdhsa_ieee_mode 1
		.amdhsa_fp16_overflow 0
		.amdhsa_tg_split 0
		.amdhsa_exception_fp_ieee_invalid_op 0
		.amdhsa_exception_fp_denorm_src 0
		.amdhsa_exception_fp_ieee_div_zero 0
		.amdhsa_exception_fp_ieee_overflow 0
		.amdhsa_exception_fp_ieee_underflow 0
		.amdhsa_exception_fp_ieee_inexact 0
		.amdhsa_exception_int_div_zero 0
	.end_amdhsa_kernel
	.section	.text._Z39paged_attention_ll4mi_QKV_mfma16_kernelI14__hip_bfloat16S0_LN4vllm18Fp8KVCacheDataTypeE0EhLi16ELi128ELi256ELb1ELi1EEvPKT_PKT0_S8_ifPKiSA_SA_iPKfiiiPfSD_PS3_PT2_iSC_SC_,"axG",@progbits,_Z39paged_attention_ll4mi_QKV_mfma16_kernelI14__hip_bfloat16S0_LN4vllm18Fp8KVCacheDataTypeE0EhLi16ELi128ELi256ELb1ELi1EEvPKT_PKT0_S8_ifPKiSA_SA_iPKfiiiPfSD_PS3_PT2_iSC_SC_,comdat
.Lfunc_end600:
	.size	_Z39paged_attention_ll4mi_QKV_mfma16_kernelI14__hip_bfloat16S0_LN4vllm18Fp8KVCacheDataTypeE0EhLi16ELi128ELi256ELb1ELi1EEvPKT_PKT0_S8_ifPKiSA_SA_iPKfiiiPfSD_PS3_PT2_iSC_SC_, .Lfunc_end600-_Z39paged_attention_ll4mi_QKV_mfma16_kernelI14__hip_bfloat16S0_LN4vllm18Fp8KVCacheDataTypeE0EhLi16ELi128ELi256ELb1ELi1EEvPKT_PKT0_S8_ifPKiSA_SA_iPKfiiiPfSD_PS3_PT2_iSC_SC_
                                        ; -- End function
	.section	.AMDGPU.csdata,"",@progbits
; Kernel info:
; codeLenInByte = 4876
; NumSgprs: 48
; NumVgprs: 96
; NumAgprs: 0
; TotalNumVgprs: 96
; ScratchSize: 8
; MemoryBound: 0
; FloatMode: 240
; IeeeMode: 1
; LDSByteSize: 8192 bytes/workgroup (compile time only)
; SGPRBlocks: 5
; VGPRBlocks: 11
; NumSGPRsForWavesPerEU: 48
; NumVGPRsForWavesPerEU: 96
; AccumOffset: 96
; Occupancy: 5
; WaveLimiterHint : 1
; COMPUTE_PGM_RSRC2:SCRATCH_EN: 1
; COMPUTE_PGM_RSRC2:USER_SGPR: 2
; COMPUTE_PGM_RSRC2:TRAP_HANDLER: 0
; COMPUTE_PGM_RSRC2:TGID_X_EN: 1
; COMPUTE_PGM_RSRC2:TGID_Y_EN: 1
; COMPUTE_PGM_RSRC2:TGID_Z_EN: 1
; COMPUTE_PGM_RSRC2:TIDIG_COMP_CNT: 0
; COMPUTE_PGM_RSRC3_GFX90A:ACCUM_OFFSET: 23
; COMPUTE_PGM_RSRC3_GFX90A:TG_SPLIT: 0
	.section	.text._Z39paged_attention_ll4mi_QKV_mfma16_kernelI14__hip_bfloat16S0_LN4vllm18Fp8KVCacheDataTypeE0EhLi16ELi128ELi256ELb1ELi2EEvPKT_PKT0_S8_ifPKiSA_SA_iPKfiiiPfSD_PS3_PT2_iSC_SC_,"axG",@progbits,_Z39paged_attention_ll4mi_QKV_mfma16_kernelI14__hip_bfloat16S0_LN4vllm18Fp8KVCacheDataTypeE0EhLi16ELi128ELi256ELb1ELi2EEvPKT_PKT0_S8_ifPKiSA_SA_iPKfiiiPfSD_PS3_PT2_iSC_SC_,comdat
	.protected	_Z39paged_attention_ll4mi_QKV_mfma16_kernelI14__hip_bfloat16S0_LN4vllm18Fp8KVCacheDataTypeE0EhLi16ELi128ELi256ELb1ELi2EEvPKT_PKT0_S8_ifPKiSA_SA_iPKfiiiPfSD_PS3_PT2_iSC_SC_ ; -- Begin function _Z39paged_attention_ll4mi_QKV_mfma16_kernelI14__hip_bfloat16S0_LN4vllm18Fp8KVCacheDataTypeE0EhLi16ELi128ELi256ELb1ELi2EEvPKT_PKT0_S8_ifPKiSA_SA_iPKfiiiPfSD_PS3_PT2_iSC_SC_
	.globl	_Z39paged_attention_ll4mi_QKV_mfma16_kernelI14__hip_bfloat16S0_LN4vllm18Fp8KVCacheDataTypeE0EhLi16ELi128ELi256ELb1ELi2EEvPKT_PKT0_S8_ifPKiSA_SA_iPKfiiiPfSD_PS3_PT2_iSC_SC_
	.p2align	8
	.type	_Z39paged_attention_ll4mi_QKV_mfma16_kernelI14__hip_bfloat16S0_LN4vllm18Fp8KVCacheDataTypeE0EhLi16ELi128ELi256ELb1ELi2EEvPKT_PKT0_S8_ifPKiSA_SA_iPKfiiiPfSD_PS3_PT2_iSC_SC_,@function
_Z39paged_attention_ll4mi_QKV_mfma16_kernelI14__hip_bfloat16S0_LN4vllm18Fp8KVCacheDataTypeE0EhLi16ELi128ELi256ELb1ELi2EEvPKT_PKT0_S8_ifPKiSA_SA_iPKfiiiPfSD_PS3_PT2_iSC_SC_: ; @_Z39paged_attention_ll4mi_QKV_mfma16_kernelI14__hip_bfloat16S0_LN4vllm18Fp8KVCacheDataTypeE0EhLi16ELi128ELi256ELb1ELi2EEvPKT_PKT0_S8_ifPKiSA_SA_iPKfiiiPfSD_PS3_PT2_iSC_SC_
; %bb.0:
	s_load_dwordx2 s[8:9], s[0:1], 0x30
	s_mov_b32 s26, s3
	s_mov_b64 s[6:7], 0
	s_waitcnt lgkmcnt(0)
	s_cmp_lg_u64 s[8:9], 0
	s_cselect_b64 s[10:11], -1, 0
	s_and_b64 vcc, exec, s[10:11]
	s_cbranch_vccz .LBB601_7
; %bb.1:
	s_add_i32 s12, s2, 1
	s_mov_b32 s13, 0
	s_lshl_b64 s[14:15], s[12:13], 2
	s_add_u32 s14, s8, s14
	s_mov_b32 s3, s13
	s_addc_u32 s15, s9, s15
	s_lshl_b64 s[12:13], s[2:3], 2
	s_add_u32 s12, s8, s12
	s_addc_u32 s13, s9, s13
	s_load_dword s5, s[14:15], 0x0
	s_load_dword s16, s[12:13], 0x0
	s_waitcnt lgkmcnt(0)
	s_sub_i32 s5, s5, s16
	s_cmp_eq_u32 s5, 1
	s_cselect_b64 s[12:13], -1, 0
	s_andn2_b64 vcc, exec, s[6:7]
	s_cbranch_vccnz .LBB601_3
.LBB601_2:
	s_mov_b32 s3, 0
	s_mov_b64 s[12:13], -1
.LBB601_3:
	s_andn2_b64 vcc, exec, s[12:13]
	s_cbranch_vccnz .LBB601_19
; %bb.4:
	s_load_dwordx2 s[6:7], s[0:1], 0x28
	s_lshl_b64 s[12:13], s[2:3], 2
	s_waitcnt lgkmcnt(0)
	s_add_u32 s6, s6, s12
	s_addc_u32 s7, s7, s13
	s_load_dword s33, s[6:7], 0x0
	s_lshl_b32 s18, s26, 8
	s_waitcnt lgkmcnt(0)
	s_cmp_ge_i32 s18, s33
	s_cbranch_scc1 .LBB601_19
; %bb.5:
	s_load_dwordx2 s[6:7], s[0:1], 0x20
	s_load_dword s5, s[0:1], 0x38
	s_add_i32 s14, s33, 15
	s_ashr_i32 s15, s14, 31
	v_and_b32_e32 v1, 0xcf, v0
	s_lshr_b32 s15, s15, 28
	v_add_u32_e32 v1, s18, v1
	s_add_i32 s14, s14, s15
	v_ashrrev_i32_e32 v2, 31, v1
	s_ashr_i32 s19, s14, 4
	v_lshrrev_b32_e32 v4, 28, v2
	s_add_i32 s19, s19, -1
	s_waitcnt lgkmcnt(0)
	s_mul_i32 s14, s2, s5
	s_mov_b32 s15, 0
	v_add_u32_e32 v2, v1, v4
	s_lshl_b64 s[14:15], s[14:15], 2
	v_ashrrev_i32_e32 v2, 4, v2
	v_mov_b32_e32 v5, s19
	v_cmp_gt_i32_e32 vcc, s33, v1
	s_add_u32 s6, s6, s14
	s_addc_u32 s7, s7, s15
	v_cndmask_b32_e32 v2, v5, v2, vcc
	v_ashrrev_i32_e32 v3, 31, v2
	v_lshl_add_u64 v[6:7], v[2:3], 2, s[6:7]
	v_or_b32_e32 v2, 16, v1
	v_add_u32_e32 v3, v2, v4
	v_ashrrev_i32_e32 v3, 4, v3
	v_cmp_gt_i32_e32 vcc, s33, v2
	s_load_dwordx2 s[14:15], s[0:1], 0x8
	s_nop 0
	v_cndmask_b32_e32 v2, v5, v3, vcc
	v_ashrrev_i32_e32 v3, 31, v2
	v_lshl_add_u64 v[8:9], v[2:3], 2, s[6:7]
	v_or_b32_e32 v2, 32, v1
	v_add_u32_e32 v3, v2, v4
	v_ashrrev_i32_e32 v3, 4, v3
	v_cmp_gt_i32_e32 vcc, s33, v2
	v_or_b32_e32 v1, 48, v1
	s_nop 0
	v_cndmask_b32_e32 v2, v5, v3, vcc
	v_ashrrev_i32_e32 v3, 31, v2
	v_lshl_add_u64 v[10:11], v[2:3], 2, s[6:7]
	v_add_u32_e32 v2, v1, v4
	v_ashrrev_i32_e32 v2, 4, v2
	v_cmp_gt_i32_e32 vcc, s33, v1
	s_nop 1
	v_cndmask_b32_e32 v2, v5, v2, vcc
	v_ashrrev_i32_e32 v3, 31, v2
	v_lshl_add_u64 v[12:13], v[2:3], 2, s[6:7]
	global_load_dword v5, v[6:7], off
	global_load_dword v4, v[8:9], off
	;; [unrolled: 1-line block ×4, first 2 shown]
	s_andn2_b64 vcc, exec, s[10:11]
	s_cbranch_vccnz .LBB601_8
; %bb.6:
	s_add_u32 s8, s8, s12
	s_addc_u32 s9, s9, s13
	s_load_dword s5, s[8:9], 0x0
	s_branch .LBB601_9
.LBB601_7:
	s_mov_b64 s[12:13], 0
	s_branch .LBB601_2
.LBB601_8:
	s_mov_b32 s5, s2
.LBB601_9:
	s_load_dwordx2 s[12:13], s[0:1], 0x10
	s_load_dwordx4 s[8:11], s[0:1], 0x48
	v_lshrrev_b32_e32 v88, 6, v0
	v_bfe_u32 v1, v0, 4, 2
	v_and_b32_e32 v86, 15, v0
	v_lshl_or_b32 v6, v88, 2, v1
	v_lshlrev_b32_e32 v7, 3, v86
	s_lshl_b32 s27, s4, 1
	v_cmp_gt_u32_e32 vcc, 2, v6
	v_lshlrev_b32_e32 v82, 1, v7
	s_and_saveexec_b64 s[16:17], vcc
	s_cbranch_execz .LBB601_11
; %bb.10:
	s_load_dwordx2 s[20:21], s[0:1], 0x0
	s_waitcnt lgkmcnt(0)
	s_ashr_i32 s11, s8, 31
	s_mul_hi_u32 s22, s5, s8
	s_mul_i32 s11, s5, s11
	s_add_i32 s23, s22, s11
	s_mul_i32 s22, s5, s8
	s_lshl_b64 s[22:23], s[22:23], 1
	s_add_u32 s20, s20, s22
	v_add_lshl_u32 v8, v1, s27, 7
	s_addc_u32 s21, s21, s23
	v_ashrrev_i32_e32 v9, 31, v8
	v_lshl_add_u64 v[8:9], v[8:9], 1, s[20:21]
	v_mov_b32_e32 v83, 0
	v_lshl_add_u64 v[8:9], v[8:9], 0, v[82:83]
	global_load_dwordx4 v[8:11], v[8:9], off
	v_and_b32_e32 v7, 3, v0
	v_lshlrev_b32_e32 v12, 9, v86
	v_lshlrev_b32_e32 v6, 5, v6
	;; [unrolled: 1-line block ×3, first 2 shown]
	v_and_b32_e32 v12, 0x1800, v12
	v_or3_b32 v6, v12, v7, v6
	s_waitcnt vmcnt(0)
	ds_write_b128 v6, v[8:11]
.LBB601_11:
	s_or_b64 exec, exec, s[16:17]
	s_waitcnt lgkmcnt(0)
	s_mul_i32 s4, s4, s10
	s_mov_b32 s5, 0
	s_lshl_b64 s[4:5], s[4:5], 1
	s_add_u32 s10, s14, s4
	v_lshlrev_b32_e32 v10, 4, v0
	s_addc_u32 s11, s15, s5
	v_and_b32_e32 v84, 0xf0, v10
	v_mov_b32_e32 v85, 0
	v_lshl_add_u64 v[6:7], s[10:11], 0, v[84:85]
	s_waitcnt vmcnt(3)
	v_mad_i64_i32 v[8:9], s[10:11], v5, s9, 0
	s_waitcnt vmcnt(2)
	v_mad_i64_i32 v[4:5], s[10:11], v4, s9, 0
	v_lshl_add_u64 v[8:9], v[8:9], 1, v[6:7]
	v_and_b32_e32 v84, 0x300, v10
	v_lshl_add_u64 v[4:5], v[4:5], 1, v[6:7]
	v_lshl_add_u64 v[8:9], v[8:9], 0, v[84:85]
	;; [unrolled: 1-line block ×3, first 2 shown]
	s_barrier
	global_load_dwordx4 v[78:81], v[8:9], off
	global_load_dwordx4 v[74:77], v[8:9], off offset:1024
	global_load_dwordx4 v[70:73], v[8:9], off offset:2048
	;; [unrolled: 1-line block ×3, first 2 shown]
	global_load_dwordx4 v[66:69], v[4:5], off
	global_load_dwordx4 v[62:65], v[4:5], off offset:1024
	global_load_dwordx4 v[58:61], v[4:5], off offset:2048
	;; [unrolled: 1-line block ×3, first 2 shown]
	s_waitcnt vmcnt(9)
	v_mad_i64_i32 v[4:5], s[10:11], v3, s9, 0
	s_waitcnt vmcnt(8)
	v_mad_i64_i32 v[2:3], s[10:11], v2, s9, 0
	v_lshl_add_u64 v[4:5], v[4:5], 1, v[6:7]
	v_lshl_add_u64 v[2:3], v[2:3], 1, v[6:7]
	;; [unrolled: 1-line block ×4, first 2 shown]
	global_load_dwordx4 v[54:57], v[4:5], off
	global_load_dwordx4 v[30:33], v[4:5], off offset:1024
	global_load_dwordx4 v[26:29], v[4:5], off offset:2048
	;; [unrolled: 1-line block ×3, first 2 shown]
	global_load_dwordx4 v[6:9], v[14:15], off
	s_nop 0
	global_load_dwordx4 v[2:5], v[14:15], off offset:1024
	global_load_dwordx4 v[42:45], v[14:15], off offset:2048
	;; [unrolled: 1-line block ×3, first 2 shown]
	v_and_b32_e32 v14, 1, v0
	v_lshlrev_b32_e32 v14, 5, v14
	v_lshl_or_b32 v38, v1, 9, v14
	ds_read_b128 v[14:17], v38
	ds_read_b128 v[50:53], v38 offset:2048
	ds_read_b128 v[46:49], v38 offset:4096
	;; [unrolled: 1-line block ×3, first 2 shown]
	v_cmp_gt_u32_e32 vcc, 2, v86
	v_mov_b32_e32 v89, 0
	s_and_saveexec_b64 s[10:11], vcc
	s_cbranch_execz .LBB601_13
; %bb.12:
	s_load_dwordx2 s[14:15], s[0:1], 0x40
	v_or_b32_e32 v90, s27, v86
	v_ashrrev_i32_e32 v91, 31, v90
	s_waitcnt lgkmcnt(0)
	v_lshl_add_u64 v[90:91], v[90:91], 2, s[14:15]
	global_load_dword v89, v[90:91], off
.LBB601_13:
	s_or_b64 exec, exec, s[10:11]
	s_waitcnt vmcnt(15) lgkmcnt(3)
	v_mfma_f32_16x16x16_bf16 v[90:93], v[78:79], v[14:15], 0
	s_add_u32 s4, s12, s4
	s_addc_u32 s5, s13, s5
	s_mov_b32 s40, 0xff7fffff
	v_mfma_f32_16x16x16_bf16 v[78:81], v[80:81], v[16:17], v[90:93]
	s_waitcnt vmcnt(14) lgkmcnt(2)
	v_mfma_f32_16x16x16_bf16 v[78:81], v[74:75], v[50:51], v[78:81]
	s_nop 0
	v_lshl_or_b32 v90, v88, 4, v86
	v_lshlrev_b32_e32 v84, 5, v90
	v_mfma_f32_16x16x16_bf16 v[74:77], v[76:77], v[52:53], v[78:81]
	s_waitcnt vmcnt(13) lgkmcnt(1)
	v_mfma_f32_16x16x16_bf16 v[74:77], v[70:71], v[46:47], v[74:77]
	v_mfma_f32_16x16x16_bf16 v[70:73], v[72:73], v[48:49], v[74:77]
	s_waitcnt vmcnt(11)
	v_mfma_f32_16x16x16_bf16 v[74:77], v[66:67], v[14:15], 0
	v_mfma_f32_16x16x16_bf16 v[66:69], v[68:69], v[16:17], v[74:77]
	s_nop 5
	v_and_or_b32 v74, v0, 48, s18
	s_waitcnt lgkmcnt(0)
	v_mfma_f32_16x16x16_bf16 v[70:73], v[10:11], v[38:39], v[70:73]
	v_ashrrev_i32_e32 v10, 4, v74
	v_mov_b32_e32 v75, s19
	v_cmp_gt_i32_e32 vcc, s33, v74
	s_waitcnt vmcnt(10)
	v_mfma_f32_16x16x16_bf16 v[66:69], v[62:63], v[50:51], v[66:69]
	v_cndmask_b32_e32 v10, v75, v10, vcc
	v_ashrrev_i32_e32 v11, 31, v10
	v_lshl_add_u64 v[10:11], v[10:11], 2, s[6:7]
	v_mfma_f32_16x16x16_bf16 v[62:65], v[64:65], v[52:53], v[66:69]
	s_nop 2
	global_load_dword v68, v[10:11], off
	v_or_b32_e32 v10, 64, v74
	v_ashrrev_i32_e32 v11, 4, v10
	v_cmp_gt_i32_e32 vcc, s33, v10
	s_waitcnt vmcnt(10)
	v_mfma_f32_16x16x16_bf16 v[62:65], v[58:59], v[46:47], v[62:65]
	v_cndmask_b32_e32 v10, v75, v11, vcc
	v_ashrrev_i32_e32 v11, 31, v10
	v_lshl_add_u64 v[10:11], v[10:11], 2, s[6:7]
	global_load_dword v69, v[10:11], off
	v_or_b32_e32 v10, 0x80, v74
	v_ashrrev_i32_e32 v11, 4, v10
	v_cmp_gt_i32_e32 vcc, s33, v10
	v_mfma_f32_16x16x16_bf16 v[58:61], v[60:61], v[48:49], v[62:65]
	s_nop 0
	v_cndmask_b32_e32 v10, v75, v11, vcc
	v_ashrrev_i32_e32 v11, 31, v10
	v_lshl_add_u64 v[10:11], v[10:11], 2, s[6:7]
	global_load_dword v78, v[10:11], off
	v_or_b32_e32 v10, 0xc0, v74
	v_ashrrev_i32_e32 v11, 4, v10
	v_cmp_gt_i32_e32 vcc, s33, v10
	s_waitcnt vmcnt(10)
	v_mfma_f32_16x16x16_bf16 v[62:65], v[54:55], v[14:15], 0
	v_cndmask_b32_e32 v10, v75, v11, vcc
	v_ashrrev_i32_e32 v11, 31, v10
	v_lshl_add_u64 v[10:11], v[10:11], 2, s[6:7]
	global_load_dword v74, v[10:11], off
	v_mfma_f32_16x16x16_bf16 v[54:57], v[56:57], v[16:17], v[62:65]
	s_load_dword s6, s[0:1], 0x1c
	s_waitcnt vmcnt(3)
	v_mad_i64_i32 v[10:11], s[10:11], v68, s9, 0
	v_mfma_f32_16x16x16_bf16 v[54:57], v[30:31], v[50:51], v[54:57]
	v_lshlrev_b64 v[76:77], 1, v[10:11]
	v_lshl_add_u64 v[62:63], s[4:5], 0, v[84:85]
	v_or_b32_e32 v84, 0x800, v84
	v_mfma_f32_16x16x16_bf16 v[30:33], v[32:33], v[52:53], v[54:57]
	v_mfma_f32_16x16x16_bf16 v[30:33], v[26:27], v[46:47], v[30:33]
	;; [unrolled: 1-line block ×3, first 2 shown]
	v_lshl_add_u64 v[18:19], v[62:63], 0, v[76:77]
	v_mfma_f32_16x16x16_bf16 v[58:61], v[12:13], v[40:41], v[70:73]
	v_mfma_f32_16x16x16_bf16 v[10:13], v[28:29], v[48:49], v[30:33]
	s_nop 2
	global_load_dwordx4 v[30:33], v[18:19], off
	global_load_dwordx4 v[26:29], v[18:19], off offset:16
	s_waitcnt vmcnt(4)
	v_mad_i64_i32 v[18:19], s[10:11], v69, s9, 0
	v_mfma_f32_16x16x16_bf16 v[10:13], v[22:23], v[38:39], v[10:13]
	v_mfma_f32_16x16x16_bf16 v[64:67], v[20:21], v[40:41], v[54:57]
	s_nop 2
	v_lshlrev_b64 v[54:55], 1, v[18:19]
	v_mfma_f32_16x16x16_bf16 v[68:71], v[24:25], v[40:41], v[10:13]
	s_nop 2
	v_lshl_add_u64 v[10:11], v[62:63], 0, v[54:55]
	global_load_dwordx4 v[22:25], v[10:11], off
	global_load_dwordx4 v[18:21], v[10:11], off offset:16
	v_mfma_f32_16x16x16_bf16 v[10:13], v[6:7], v[14:15], 0
	s_waitcnt vmcnt(5)
	v_mad_i64_i32 v[6:7], s[10:11], v78, s9, 0
	v_lshlrev_b64 v[56:57], 1, v[6:7]
	v_mfma_f32_16x16x16_bf16 v[6:9], v[8:9], v[16:17], v[10:13]
	s_waitcnt lgkmcnt(0)
	v_pk_mul_f32 v[78:79], s[6:7], v[60:61] op_sel_hi:[0,1]
	v_pk_mul_f32 v[70:71], s[6:7], v[70:71] op_sel_hi:[0,1]
	v_mfma_f32_16x16x16_bf16 v[6:9], v[2:3], v[50:51], v[6:9]
	s_waitcnt vmcnt(4)
	v_mad_i64_i32 v[2:3], s[8:9], v74, s9, 0
	v_lshlrev_b64 v[50:51], 1, v[2:3]
	v_mfma_f32_16x16x16_bf16 v[72:75], v[4:5], v[52:53], v[6:9]
	v_pk_mul_f32 v[52:53], s[6:7], v[58:59] op_sel_hi:[0,1]
	v_lshl_add_u64 v[10:11], v[62:63], 0, v[56:57]
	v_lshl_add_u64 v[2:3], v[62:63], 0, v[50:51]
	v_mfma_f32_16x16x16_bf16 v[72:75], v[42:43], v[46:47], v[72:75]
	v_lshl_add_u64 v[62:63], s[4:5], 0, v[84:85]
	v_lshl_add_u64 v[42:43], v[62:63], 0, v[76:77]
	v_pk_mul_f32 v[76:77], s[6:7], v[64:65] op_sel_hi:[0,1]
	v_mfma_f32_16x16x16_bf16 v[44:47], v[44:45], v[48:49], v[72:75]
	v_lshl_add_u64 v[50:51], v[62:63], 0, v[50:51]
	global_load_dwordx4 v[14:17], v[10:11], off
	s_nop 0
	global_load_dwordx4 v[10:13], v[10:11], off offset:16
	v_pk_mul_f32 v[72:73], s[6:7], v[68:69] op_sel_hi:[0,1]
	v_mfma_f32_16x16x16_bf16 v[44:47], v[34:35], v[38:39], v[44:47]
	v_pk_mul_f32 v[74:75], s[6:7], v[66:67] op_sel_hi:[0,1]
	global_load_dwordx4 v[6:9], v[2:3], off
	s_nop 0
	global_load_dwordx4 v[2:5], v[2:3], off offset:16
	v_mfma_f32_16x16x16_bf16 v[34:37], v[36:37], v[40:41], v[44:47]
	s_nop 6
	v_pk_mul_f32 v[68:69], s[6:7], v[34:35] op_sel_hi:[0,1]
	v_and_b32_e32 v34, 0xc0, v0
	v_add_u32_e32 v34, s18, v34
	v_lshl_or_b32 v34, v1, 2, v34
	v_or_b32_e32 v35, 1, v34
	v_pk_mul_f32 v[66:67], s[6:7], v[36:37] op_sel_hi:[0,1]
	v_subrev_u32_e32 v36, s33, v35
	v_add_u32_e32 v38, 1, v36
	v_add_u32_e32 v39, 2, v36
	v_cvt_f32_i32_e32 v37, v36
	v_cvt_f32_i32_e32 v38, v38
	;; [unrolled: 1-line block ×3, first 2 shown]
	v_add_u32_e32 v40, 3, v36
	v_fma_f32 v52, v89, v37, v52
	v_fmac_f32_e32 v53, v89, v38
	v_fma_f32 v78, v89, v39, v78
	v_add_u32_e32 v37, 16, v36
	v_add_u32_e32 v38, 17, v36
	;; [unrolled: 1-line block ×3, first 2 shown]
	v_cvt_f32_i32_e32 v40, v40
	v_cvt_f32_i32_e32 v37, v37
	;; [unrolled: 1-line block ×4, first 2 shown]
	v_fmac_f32_e32 v79, v89, v40
	v_add_u32_e32 v40, 19, v36
	v_fma_f32 v76, v89, v37, v76
	v_fmac_f32_e32 v77, v89, v38
	v_fma_f32 v74, v89, v39, v74
	v_add_u32_e32 v37, 32, v36
	v_add_u32_e32 v38, 33, v36
	;; [unrolled: 1-line block ×3, first 2 shown]
	v_cvt_f32_i32_e32 v40, v40
	v_cvt_f32_i32_e32 v37, v37
	;; [unrolled: 1-line block ×4, first 2 shown]
	v_fmac_f32_e32 v75, v89, v40
	v_add_u32_e32 v40, 35, v36
	v_fma_f32 v72, v89, v37, v72
	v_fmac_f32_e32 v73, v89, v38
	v_fma_f32 v70, v89, v39, v70
	v_add_u32_e32 v37, 48, v36
	v_add_u32_e32 v38, 49, v36
	;; [unrolled: 1-line block ×4, first 2 shown]
	v_cvt_f32_i32_e32 v36, v36
	v_cvt_f32_i32_e32 v37, v37
	;; [unrolled: 1-line block ×3, first 2 shown]
	v_cmp_gt_i32_e64 s[28:29], s33, v34
	v_fmac_f32_e32 v67, v89, v36
	v_mov_b32_e32 v36, 0xff7fffff
	v_cmp_gt_i32_e64 s[30:31], s33, v35
	v_fma_f32 v68, v89, v37, v68
	v_cndmask_b32_e64 v37, v36, v52, s[28:29]
	v_cndmask_b32_e64 v35, v36, v53, s[30:31]
	v_fmac_f32_e32 v69, v89, v38
	v_max3_f32 v35, v37, s40, v35
	v_or_b32_e32 v37, 2, v34
	v_or_b32_e32 v38, 3, v34
	v_cmp_gt_i32_e64 s[34:35], s33, v37
	v_cmp_gt_i32_e64 s[36:37], s33, v38
	v_cvt_f32_i32_e32 v40, v40
	v_cndmask_b32_e64 v37, v36, v78, s[34:35]
	v_cndmask_b32_e64 v38, v36, v79, s[36:37]
	v_max3_f32 v35, v35, v37, v38
	v_or_b32_e32 v37, 16, v34
	v_or_b32_e32 v38, 17, v34
	v_cmp_gt_i32_e64 s[22:23], s33, v37
	v_cmp_gt_i32_e64 s[24:25], s33, v38
	v_fmac_f32_e32 v71, v89, v40
	v_cndmask_b32_e64 v37, v36, v76, s[22:23]
	v_cndmask_b32_e64 v38, v36, v77, s[24:25]
	v_max3_f32 v35, v35, v37, v38
	v_or_b32_e32 v37, 18, v34
	v_or_b32_e32 v38, 19, v34
	v_cmp_gt_i32_e64 s[18:19], s33, v37
	v_cmp_gt_i32_e64 s[20:21], s33, v38
	v_cvt_f32_i32_e32 v39, v39
	v_cndmask_b32_e64 v37, v36, v74, s[18:19]
	v_cndmask_b32_e64 v38, v36, v75, s[20:21]
	v_max3_f32 v35, v35, v37, v38
	v_or_b32_e32 v37, 32, v34
	v_or_b32_e32 v38, 33, v34
	v_cmp_gt_i32_e64 s[14:15], s33, v37
	v_cmp_gt_i32_e64 s[16:17], s33, v38
	v_fma_f32 v66, v89, v39, v66
	v_cndmask_b32_e64 v37, v36, v72, s[14:15]
	v_cndmask_b32_e64 v38, v36, v73, s[16:17]
	v_max3_f32 v35, v35, v37, v38
	v_or_b32_e32 v37, 34, v34
	v_or_b32_e32 v38, 35, v34
	v_cmp_gt_i32_e64 s[10:11], s33, v37
	v_cmp_gt_i32_e64 s[12:13], s33, v38
	v_and_b32_e32 v1, 63, v0
	v_cndmask_b32_e64 v37, v36, v70, s[10:11]
	v_cndmask_b32_e64 v38, v36, v71, s[12:13]
	v_max3_f32 v35, v35, v37, v38
	v_or_b32_e32 v37, 48, v34
	v_or_b32_e32 v38, 49, v34
	v_cmp_gt_i32_e64 s[6:7], s33, v37
	v_cmp_gt_i32_e64 s[8:9], s33, v38
	s_nop 0
	v_cndmask_b32_e64 v37, v36, v68, s[6:7]
	v_cndmask_b32_e64 v38, v36, v69, s[8:9]
	v_max3_f32 v35, v35, v37, v38
	v_or_b32_e32 v37, 50, v34
	v_or_b32_e32 v34, 51, v34
	v_cmp_gt_i32_e32 vcc, s33, v37
	v_cmp_gt_i32_e64 s[4:5], s33, v34
	global_load_dwordx4 v[46:49], v[42:43], off
	global_load_dwordx4 v[38:41], v[42:43], off offset:16
	v_cndmask_b32_e32 v37, v36, v66, vcc
	v_cndmask_b32_e64 v34, v36, v67, s[4:5]
	v_max3_f32 v58, v35, v37, v34
	v_mbcnt_lo_u32_b32 v34, -1, 0
	v_mbcnt_hi_u32_b32 v59, -1, v34
	v_and_b32_e32 v34, 64, v59
	v_add_u32_e32 v60, 64, v34
	v_xor_b32_e32 v34, 32, v59
	v_cmp_lt_i32_e64 s[38:39], v34, v60
	s_nop 1
	v_cndmask_b32_e64 v34, v59, v34, s[38:39]
	v_lshlrev_b32_e32 v85, 2, v34
	ds_bpermute_b32 v61, v85, v58
	v_lshl_add_u64 v[34:35], v[62:63], 0, v[54:55]
	global_load_dwordx4 v[42:45], v[34:35], off
	s_nop 0
	global_load_dwordx4 v[34:37], v[34:35], off offset:16
	s_waitcnt lgkmcnt(0)
	v_max_f32_e32 v54, v61, v61
	v_max_f32_e32 v64, v58, v54
	v_xor_b32_e32 v54, 16, v59
	v_cmp_lt_i32_e64 s[38:39], v54, v60
	s_nop 1
	v_cndmask_b32_e64 v54, v59, v54, s[38:39]
	v_lshlrev_b32_e32 v89, 2, v54
	ds_bpermute_b32 v65, v89, v64
	v_lshl_add_u64 v[54:55], v[62:63], 0, v[56:57]
	global_load_dwordx4 v[58:61], v[54:55], off
	s_nop 0
	global_load_dwordx4 v[54:57], v[54:55], off offset:16
	s_waitcnt lgkmcnt(0)
	v_max_f32_e32 v62, v65, v65
	v_max_f32_e32 v84, v64, v62
	v_sub_f32_e32 v52, v52, v84
	v_mul_f32_e32 v52, 0x3fb8aa3b, v52
	v_exp_f32_e32 v80, v52
	v_sub_f32_e32 v52, v53, v84
	v_mul_f32_e32 v52, 0x3fb8aa3b, v52
	v_exp_f32_e32 v81, v52
	global_load_dwordx4 v[62:65], v[50:51], off
	s_nop 0
	global_load_dwordx4 v[50:53], v[50:51], off offset:16
	v_sub_f32_e32 v78, v78, v84
	v_mul_f32_e32 v78, 0x3fb8aa3b, v78
	v_sub_f32_e32 v79, v79, v84
	v_exp_f32_e32 v78, v78
	v_mul_f32_e32 v79, 0x3fb8aa3b, v79
	v_sub_f32_e32 v76, v76, v84
	v_exp_f32_e32 v79, v79
	v_mul_f32_e32 v76, 0x3fb8aa3b, v76
	v_sub_f32_e32 v77, v77, v84
	v_cndmask_b32_e64 v80, 0, v80, s[28:29]
	v_exp_f32_e32 v76, v76
	v_mul_f32_e32 v77, 0x3fb8aa3b, v77
	v_sub_f32_e32 v74, v74, v84
	v_add_f32_e32 v91, 0, v80
	v_cndmask_b32_e64 v81, 0, v81, s[30:31]
	v_exp_f32_e32 v77, v77
	v_mul_f32_e32 v74, 0x3fb8aa3b, v74
	v_sub_f32_e32 v75, v75, v84
	v_add_f32_e32 v91, v91, v81
	;; [unrolled: 5-line block ×10, first 2 shown]
	v_cndmask_b32_e64 v70, 0, v70, s[10:11]
	v_exp_f32_e32 v66, v66
	v_mul_f32_e32 v67, 0x3fb8aa3b, v67
	v_add_f32_e32 v91, v91, v70
	v_cndmask_b32_e64 v71, 0, v71, s[12:13]
	v_exp_f32_e32 v67, v67
	v_add_f32_e32 v91, v91, v71
	v_cndmask_b32_e64 v68, 0, v68, s[6:7]
	v_add_f32_e32 v91, v91, v68
	v_cndmask_b32_e64 v69, 0, v69, s[8:9]
	v_add_f32_e32 v91, v91, v69
	v_cndmask_b32_e32 v66, 0, v66, vcc
	v_add_f32_e32 v91, v91, v66
	v_cndmask_b32_e64 v67, 0, v67, s[4:5]
	v_add_f32_e32 v91, v91, v67
	ds_bpermute_b32 v85, v85, v91
	s_load_dword s7, s[0:1], 0x98
	v_cmp_gt_u32_e32 vcc, 16, v1
	s_waitcnt lgkmcnt(0)
	s_barrier
	v_add_f32_e32 v85, v91, v85
	ds_bpermute_b32 v89, v89, v85
	s_waitcnt lgkmcnt(0)
	s_and_saveexec_b64 s[4:5], vcc
	s_cbranch_execz .LBB601_15
; %bb.14:
	v_add_f32_e32 v85, v85, v89
	v_lshlrev_b32_e32 v89, 2, v90
	ds_write2st64_b32 v89, v84, v85 offset1:1
.LBB601_15:
	s_or_b64 exec, exec, s[4:5]
	v_lshlrev_b32_e32 v85, 2, v86
	s_load_dword s6, s[0:1], 0x94
	s_waitcnt lgkmcnt(0)
	s_barrier
	ds_read2_b32 v[90:91], v85 offset1:16
	ds_read2_b32 v[92:93], v85 offset0:32 offset1:48
	ds_read2_b32 v[94:95], v85 offset0:64 offset1:80
	s_movk_i32 s8, 0x7fff
	s_mov_b32 s9, 0x7060302
	s_waitcnt lgkmcnt(2)
	v_max3_f32 v84, v90, s40, v91
	s_waitcnt lgkmcnt(1)
	v_max3_f32 v84, v84, v92, v93
	v_sub_f32_e32 v89, v90, v84
	v_sub_f32_e32 v90, v91, v84
	v_mul_f32_e32 v90, 0x3fb8aa3b, v90
	v_mul_f32_e32 v89, 0x3fb8aa3b, v89
	v_exp_f32_e32 v87, v90
	v_sub_f32_e32 v90, v92, v84
	v_exp_f32_e32 v89, v89
	v_mul_f32_e32 v90, 0x3fb8aa3b, v90
	v_exp_f32_e32 v92, v90
	ds_read2_b32 v[90:91], v85 offset0:96 offset1:112
	v_sub_f32_e32 v85, v93, v84
	v_mul_f32_e32 v85, 0x3fb8aa3b, v85
	v_exp_f32_e32 v93, v85
	s_waitcnt lgkmcnt(1)
	v_fma_f32 v85, v89, v94, 0
	v_fmac_f32_e32 v85, v87, v95
	s_waitcnt lgkmcnt(0)
	v_fmac_f32_e32 v85, v92, v90
	v_fmac_f32_e32 v85, v93, v91
	v_add_f32_e32 v90, 0x358637bd, v85
	v_div_scale_f32 v91, s[4:5], v90, v90, 1.0
	v_rcp_f32_e32 v94, v91
	s_lshl_b32 s7, s7, 1
	s_barrier
	v_fma_f32 v95, -v91, v94, 1.0
	v_fmac_f32_e32 v94, v95, v94
	v_div_scale_f32 v95, vcc, 1.0, v90, 1.0
	v_mul_f32_e32 v83, v95, v94
	v_fma_f32 v1, -v91, v83, v95
	v_fmac_f32_e32 v83, v1, v94
	v_fma_f32 v1, -v91, v83, v95
	v_div_fmas_f32 v1, v1, v94, v83
	v_cmp_eq_u32_e32 vcc, 1, v88
	v_div_fixup_f32 v1, v1, v90, 1.0
	s_nop 0
	v_cndmask_b32_e32 v83, v89, v87, vcc
	v_cmp_eq_u32_e32 vcc, 2, v88
	v_bfe_u32 v87, v0, 4, 2
	s_nop 0
	v_cndmask_b32_e32 v83, v83, v92, vcc
	v_cmp_eq_u32_e32 vcc, 3, v88
	s_nop 1
	v_cndmask_b32_e32 v83, v83, v93, vcc
	v_mul_f32_e32 v90, v83, v1
	v_pk_mul_f32 v[80:81], v[90:91], v[80:81] op_sel_hi:[0,1]
	v_bfe_u32 v1, v81, 16, 1
	v_bfe_u32 v83, v80, 16, 1
	v_pk_mul_f32 v[78:79], v[90:91], v[78:79] op_sel_hi:[0,1]
	v_add3_u32 v80, v80, v83, s8
	v_add3_u32 v1, v81, v1, s8
	v_perm_b32 v80, v1, v80, s9
	v_bfe_u32 v1, v79, 16, 1
	v_bfe_u32 v81, v78, 16, 1
	v_add3_u32 v78, v78, v81, s8
	v_add3_u32 v1, v79, v1, s8
	v_perm_b32 v81, v1, v78, s9
	v_lshlrev_b32_e32 v1, 3, v87
	v_lshlrev_b32_e32 v79, 5, v86
	;; [unrolled: 1-line block ×3, first 2 shown]
	v_pk_mul_f32 v[76:77], v[90:91], v[76:77] op_sel_hi:[0,1]
	v_or3_b32 v78, v78, v79, v1
	v_bfe_u32 v1, v77, 16, 1
	v_bfe_u32 v83, v76, 16, 1
	v_pk_mul_f32 v[74:75], v[90:91], v[74:75] op_sel_hi:[0,1]
	v_add3_u32 v76, v76, v83, s8
	v_add3_u32 v1, v77, v1, s8
	v_perm_b32 v76, v1, v76, s9
	v_bfe_u32 v1, v75, 16, 1
	v_bfe_u32 v77, v74, 16, 1
	v_add3_u32 v74, v74, v77, s8
	v_add3_u32 v1, v75, v1, s8
	v_pk_mul_f32 v[72:73], v[90:91], v[72:73] op_sel_hi:[0,1]
	v_perm_b32 v77, v1, v74, s9
	v_bfe_u32 v1, v73, 16, 1
	v_bfe_u32 v74, v72, 16, 1
	v_pk_mul_f32 v[70:71], v[90:91], v[70:71] op_sel_hi:[0,1]
	v_add3_u32 v72, v72, v74, s8
	v_add3_u32 v1, v73, v1, s8
	v_perm_b32 v72, v1, v72, s9
	v_bfe_u32 v1, v71, 16, 1
	v_bfe_u32 v73, v70, 16, 1
	v_add3_u32 v70, v70, v73, s8
	v_add3_u32 v1, v71, v1, s8
	v_pk_mul_f32 v[68:69], v[90:91], v[68:69] op_sel_hi:[0,1]
	v_perm_b32 v73, v1, v70, s9
	v_bfe_u32 v1, v69, 16, 1
	v_bfe_u32 v70, v68, 16, 1
	v_pk_mul_f32 v[66:67], v[90:91], v[66:67] op_sel_hi:[0,1]
	v_add3_u32 v68, v68, v70, s8
	v_add3_u32 v1, v69, v1, s8
	v_perm_b32 v68, v1, v68, s9
	v_bfe_u32 v1, v67, 16, 1
	v_bfe_u32 v69, v66, 16, 1
	v_add3_u32 v66, v66, v69, s8
	v_add3_u32 v1, v67, v1, s8
	v_perm_b32 v69, v1, v66, s9
	v_cmp_gt_u32_e32 vcc, 2, v0
	ds_write2st64_b64 v78, v[80:81], v[76:77] offset1:1
	ds_write2st64_b64 v78, v[72:73], v[68:69] offset0:2 offset1:3
	s_and_saveexec_b64 s[4:5], vcc
	s_cbranch_execz .LBB601_17
; %bb.16:
	v_or_b32_e32 v66, s27, v0
	v_mov_b32_e32 v67, 0
	v_mov_b32_e32 v1, s7
	v_mad_u64_u32 v[68:69], s[10:11], s2, v1, v[66:67]
	v_mov_b32_e32 v66, s26
	s_load_dwordx4 s[12:15], s[0:1], 0x58
	s_mul_i32 s3, s3, s7
	v_mad_u64_u32 v[66:67], s[10:11], v68, s6, v[66:67]
	v_add_u32_e32 v1, s3, v69
	v_mov_b32_e32 v68, v67
	v_mad_u64_u32 v[68:69], s[10:11], v1, s6, v[68:69]
	v_mov_b32_e32 v67, v68
	v_lshlrev_b64 v[66:67], 2, v[66:67]
	s_waitcnt lgkmcnt(0)
	v_lshl_add_u64 v[68:69], s[14:15], 0, v[66:67]
	v_lshl_add_u64 v[66:67], s[12:13], 0, v[66:67]
	global_store_dword v[68:69], v84, off
	global_store_dword v[66:67], v85, off
.LBB601_17:
	s_or_b64 exec, exec, s[4:5]
	v_lshl_or_b32 v1, v87, 9, v79
	s_waitcnt lgkmcnt(0)
	s_barrier
	ds_read_b128 v[70:73], v1
	ds_read_b128 v[66:69], v1 offset:16
	s_waitcnt vmcnt(15) lgkmcnt(1)
	v_mfma_f32_16x16x16_bf16 v[74:77], v[30:31], v[70:71], 0
	v_cmp_gt_u32_e32 vcc, 64, v0
	s_mov_b32 s3, 0
	v_mfma_f32_16x16x16_bf16 v[30:33], v[32:33], v[72:73], v[74:77]
	s_waitcnt vmcnt(14) lgkmcnt(0)
	v_mfma_f32_16x16x16_bf16 v[30:33], v[26:27], v[66:67], v[30:33]
	v_mfma_f32_16x16x16_bf16 v[26:29], v[28:29], v[68:69], v[30:33]
	s_nop 5
	ds_read_b128 v[30:33], v1 offset:2048
	ds_read_b128 v[74:77], v1 offset:2064
	s_waitcnt vmcnt(13) lgkmcnt(1)
	v_mfma_f32_16x16x16_bf16 v[26:29], v[22:23], v[30:31], v[26:29]
	v_mfma_f32_16x16x16_bf16 v[22:25], v[24:25], v[32:33], v[26:29]
	s_waitcnt vmcnt(12) lgkmcnt(0)
	v_mfma_f32_16x16x16_bf16 v[22:25], v[18:19], v[74:75], v[22:25]
	v_mfma_f32_16x16x16_bf16 v[18:21], v[20:21], v[76:77], v[22:25]
	s_nop 5
	ds_read_b128 v[22:25], v1 offset:4096
	ds_read_b128 v[26:29], v1 offset:4112
	s_waitcnt vmcnt(11) lgkmcnt(1)
	v_mfma_f32_16x16x16_bf16 v[18:21], v[14:15], v[22:23], v[18:21]
	v_mfma_f32_16x16x16_bf16 v[14:17], v[16:17], v[24:25], v[18:21]
	s_waitcnt vmcnt(10) lgkmcnt(0)
	v_mfma_f32_16x16x16_bf16 v[14:17], v[10:11], v[26:27], v[14:17]
	v_mfma_f32_16x16x16_bf16 v[10:13], v[12:13], v[28:29], v[14:17]
	s_nop 5
	ds_read_b128 v[14:17], v1 offset:6144
	ds_read_b128 v[18:21], v1 offset:6160
	s_waitcnt lgkmcnt(0)
	s_barrier
	s_waitcnt vmcnt(9)
	v_mfma_f32_16x16x16_bf16 v[10:13], v[6:7], v[14:15], v[10:13]
	v_mfma_f32_16x16x16_bf16 v[6:9], v[8:9], v[16:17], v[10:13]
	s_waitcnt vmcnt(8)
	v_mfma_f32_16x16x16_bf16 v[6:9], v[2:3], v[18:19], v[6:9]
	v_mfma_f32_16x16x16_bf16 v[2:5], v[4:5], v[20:21], v[6:9]
	;; [unrolled: 3-line block ×3, first 2 shown]
	s_nop 3
	v_bfe_u32 v1, v3, 16, 1
	v_bfe_u32 v10, v2, 16, 1
	v_add3_u32 v2, v2, v10, s8
	s_waitcnt vmcnt(6)
	v_mfma_f32_16x16x16_bf16 v[6:9], v[38:39], v[66:67], v[6:9]
	v_add3_u32 v1, v3, v1, s8
	v_perm_b32 v10, v1, v2, s9
	v_bfe_u32 v1, v5, 16, 1
	v_mfma_f32_16x16x16_bf16 v[6:9], v[40:41], v[68:69], v[6:9]
	v_bfe_u32 v2, v4, 16, 1
	v_add3_u32 v2, v4, v2, s8
	v_add3_u32 v1, v5, v1, s8
	s_waitcnt vmcnt(5)
	v_mfma_f32_16x16x16_bf16 v[6:9], v[42:43], v[30:31], v[6:9]
	v_perm_b32 v11, v1, v2, s9
	v_mfma_f32_16x16x16_bf16 v[6:9], v[44:45], v[32:33], v[6:9]
	s_waitcnt vmcnt(4)
	v_mfma_f32_16x16x16_bf16 v[6:9], v[34:35], v[74:75], v[6:9]
	v_mfma_f32_16x16x16_bf16 v[6:9], v[36:37], v[76:77], v[6:9]
	s_waitcnt vmcnt(3)
	v_mfma_f32_16x16x16_bf16 v[6:9], v[58:59], v[22:23], v[6:9]
	;; [unrolled: 3-line block ×5, first 2 shown]
	v_mfma_f32_16x16x16_bf16 v[2:5], v[52:53], v[20:21], v[6:9]
	s_nop 6
	v_bfe_u32 v1, v3, 16, 1
	v_bfe_u32 v6, v2, 16, 1
	v_add3_u32 v2, v2, v6, s8
	v_add3_u32 v1, v3, v1, s8
	v_perm_b32 v2, v1, v2, s9
	v_bfe_u32 v1, v5, 16, 1
	v_bfe_u32 v3, v4, 16, 1
	v_add3_u32 v3, v4, v3, s8
	v_add3_u32 v1, v5, v1, s8
	v_perm_b32 v3, v1, v3, s9
	v_and_b32_e32 v1, 63, v0
	v_cmp_gt_u32_e64 s[4:5], 32, v1
	s_and_b64 s[4:5], vcc, s[4:5]
	ds_write2st64_b64 v78, v[10:11], v[2:3] offset1:1
	s_waitcnt lgkmcnt(0)
	s_barrier
	s_and_saveexec_b64 s[8:9], s[4:5]
	s_cbranch_execz .LBB601_19
; %bb.18:
	s_load_dwordx2 s[0:1], s[0:1], 0x68
	s_mul_i32 s2, s7, s2
	s_lshl_b32 s6, s6, 7
	v_lshlrev_b32_e32 v3, 6, v86
	s_mul_hi_u32 s5, s2, s6
	s_mul_i32 s4, s2, s6
	v_lshlrev_b32_e32 v2, 4, v0
	v_lshl_or_b32 v0, v0, 10, v3
	s_lshl_b64 s[4:5], s[4:5], 1
	v_lshlrev_b32_e32 v1, 5, v87
	v_and_b32_e32 v2, 16, v2
	v_and_b32_e32 v0, 0x1a00, v0
	s_waitcnt lgkmcnt(0)
	s_add_u32 s4, s0, s4
	v_or3_b32 v0, v0, v1, v2
	s_addc_u32 s5, s1, s5
	s_lshl_b32 s2, s26, 7
	ds_read_b128 v[2:5], v0
	s_lshl_b64 s[0:1], s[2:3], 1
	s_add_u32 s0, s4, s0
	v_or_b32_e32 v0, s27, v87
	s_addc_u32 s1, s5, s1
	v_mad_u64_u32 v[0:1], s[2:3], s6, v0, 0
	v_lshl_add_u64 v[0:1], v[0:1], 1, s[0:1]
	v_mov_b32_e32 v83, 0
	v_lshl_add_u64 v[0:1], v[0:1], 0, v[82:83]
	s_waitcnt lgkmcnt(0)
	global_store_dwordx4 v[0:1], v[2:5], off
.LBB601_19:
	s_endpgm
	.section	.rodata,"a",@progbits
	.p2align	6, 0x0
	.amdhsa_kernel _Z39paged_attention_ll4mi_QKV_mfma16_kernelI14__hip_bfloat16S0_LN4vllm18Fp8KVCacheDataTypeE0EhLi16ELi128ELi256ELb1ELi2EEvPKT_PKT0_S8_ifPKiSA_SA_iPKfiiiPfSD_PS3_PT2_iSC_SC_
		.amdhsa_group_segment_fixed_size 8192
		.amdhsa_private_segment_fixed_size 0
		.amdhsa_kernarg_size 400
		.amdhsa_user_sgpr_count 2
		.amdhsa_user_sgpr_dispatch_ptr 0
		.amdhsa_user_sgpr_queue_ptr 0
		.amdhsa_user_sgpr_kernarg_segment_ptr 1
		.amdhsa_user_sgpr_dispatch_id 0
		.amdhsa_user_sgpr_kernarg_preload_length 0
		.amdhsa_user_sgpr_kernarg_preload_offset 0
		.amdhsa_user_sgpr_private_segment_size 0
		.amdhsa_uses_dynamic_stack 0
		.amdhsa_enable_private_segment 0
		.amdhsa_system_sgpr_workgroup_id_x 1
		.amdhsa_system_sgpr_workgroup_id_y 1
		.amdhsa_system_sgpr_workgroup_id_z 1
		.amdhsa_system_sgpr_workgroup_info 0
		.amdhsa_system_vgpr_workitem_id 0
		.amdhsa_next_free_vgpr 96
		.amdhsa_next_free_sgpr 41
		.amdhsa_accum_offset 96
		.amdhsa_reserve_vcc 1
		.amdhsa_float_round_mode_32 0
		.amdhsa_float_round_mode_16_64 0
		.amdhsa_float_denorm_mode_32 3
		.amdhsa_float_denorm_mode_16_64 3
		.amdhsa_dx10_clamp 1
		.amdhsa_ieee_mode 1
		.amdhsa_fp16_overflow 0
		.amdhsa_tg_split 0
		.amdhsa_exception_fp_ieee_invalid_op 0
		.amdhsa_exception_fp_denorm_src 0
		.amdhsa_exception_fp_ieee_div_zero 0
		.amdhsa_exception_fp_ieee_overflow 0
		.amdhsa_exception_fp_ieee_underflow 0
		.amdhsa_exception_fp_ieee_inexact 0
		.amdhsa_exception_int_div_zero 0
	.end_amdhsa_kernel
	.section	.text._Z39paged_attention_ll4mi_QKV_mfma16_kernelI14__hip_bfloat16S0_LN4vllm18Fp8KVCacheDataTypeE0EhLi16ELi128ELi256ELb1ELi2EEvPKT_PKT0_S8_ifPKiSA_SA_iPKfiiiPfSD_PS3_PT2_iSC_SC_,"axG",@progbits,_Z39paged_attention_ll4mi_QKV_mfma16_kernelI14__hip_bfloat16S0_LN4vllm18Fp8KVCacheDataTypeE0EhLi16ELi128ELi256ELb1ELi2EEvPKT_PKT0_S8_ifPKiSA_SA_iPKfiiiPfSD_PS3_PT2_iSC_SC_,comdat
.Lfunc_end601:
	.size	_Z39paged_attention_ll4mi_QKV_mfma16_kernelI14__hip_bfloat16S0_LN4vllm18Fp8KVCacheDataTypeE0EhLi16ELi128ELi256ELb1ELi2EEvPKT_PKT0_S8_ifPKiSA_SA_iPKfiiiPfSD_PS3_PT2_iSC_SC_, .Lfunc_end601-_Z39paged_attention_ll4mi_QKV_mfma16_kernelI14__hip_bfloat16S0_LN4vllm18Fp8KVCacheDataTypeE0EhLi16ELi128ELi256ELb1ELi2EEvPKT_PKT0_S8_ifPKiSA_SA_iPKfiiiPfSD_PS3_PT2_iSC_SC_
                                        ; -- End function
	.section	.AMDGPU.csdata,"",@progbits
; Kernel info:
; codeLenInByte = 4900
; NumSgprs: 47
; NumVgprs: 96
; NumAgprs: 0
; TotalNumVgprs: 96
; ScratchSize: 0
; MemoryBound: 0
; FloatMode: 240
; IeeeMode: 1
; LDSByteSize: 8192 bytes/workgroup (compile time only)
; SGPRBlocks: 5
; VGPRBlocks: 11
; NumSGPRsForWavesPerEU: 47
; NumVGPRsForWavesPerEU: 96
; AccumOffset: 96
; Occupancy: 5
; WaveLimiterHint : 1
; COMPUTE_PGM_RSRC2:SCRATCH_EN: 0
; COMPUTE_PGM_RSRC2:USER_SGPR: 2
; COMPUTE_PGM_RSRC2:TRAP_HANDLER: 0
; COMPUTE_PGM_RSRC2:TGID_X_EN: 1
; COMPUTE_PGM_RSRC2:TGID_Y_EN: 1
; COMPUTE_PGM_RSRC2:TGID_Z_EN: 1
; COMPUTE_PGM_RSRC2:TIDIG_COMP_CNT: 0
; COMPUTE_PGM_RSRC3_GFX90A:ACCUM_OFFSET: 23
; COMPUTE_PGM_RSRC3_GFX90A:TG_SPLIT: 0
	.section	.text._Z39paged_attention_ll4mi_QKV_mfma16_kernelI14__hip_bfloat16S0_LN4vllm18Fp8KVCacheDataTypeE0EhLi16ELi128ELi256ELb1ELi3EEvPKT_PKT0_S8_ifPKiSA_SA_iPKfiiiPfSD_PS3_PT2_iSC_SC_,"axG",@progbits,_Z39paged_attention_ll4mi_QKV_mfma16_kernelI14__hip_bfloat16S0_LN4vllm18Fp8KVCacheDataTypeE0EhLi16ELi128ELi256ELb1ELi3EEvPKT_PKT0_S8_ifPKiSA_SA_iPKfiiiPfSD_PS3_PT2_iSC_SC_,comdat
	.protected	_Z39paged_attention_ll4mi_QKV_mfma16_kernelI14__hip_bfloat16S0_LN4vllm18Fp8KVCacheDataTypeE0EhLi16ELi128ELi256ELb1ELi3EEvPKT_PKT0_S8_ifPKiSA_SA_iPKfiiiPfSD_PS3_PT2_iSC_SC_ ; -- Begin function _Z39paged_attention_ll4mi_QKV_mfma16_kernelI14__hip_bfloat16S0_LN4vllm18Fp8KVCacheDataTypeE0EhLi16ELi128ELi256ELb1ELi3EEvPKT_PKT0_S8_ifPKiSA_SA_iPKfiiiPfSD_PS3_PT2_iSC_SC_
	.globl	_Z39paged_attention_ll4mi_QKV_mfma16_kernelI14__hip_bfloat16S0_LN4vllm18Fp8KVCacheDataTypeE0EhLi16ELi128ELi256ELb1ELi3EEvPKT_PKT0_S8_ifPKiSA_SA_iPKfiiiPfSD_PS3_PT2_iSC_SC_
	.p2align	8
	.type	_Z39paged_attention_ll4mi_QKV_mfma16_kernelI14__hip_bfloat16S0_LN4vllm18Fp8KVCacheDataTypeE0EhLi16ELi128ELi256ELb1ELi3EEvPKT_PKT0_S8_ifPKiSA_SA_iPKfiiiPfSD_PS3_PT2_iSC_SC_,@function
_Z39paged_attention_ll4mi_QKV_mfma16_kernelI14__hip_bfloat16S0_LN4vllm18Fp8KVCacheDataTypeE0EhLi16ELi128ELi256ELb1ELi3EEvPKT_PKT0_S8_ifPKiSA_SA_iPKfiiiPfSD_PS3_PT2_iSC_SC_: ; @_Z39paged_attention_ll4mi_QKV_mfma16_kernelI14__hip_bfloat16S0_LN4vllm18Fp8KVCacheDataTypeE0EhLi16ELi128ELi256ELb1ELi3EEvPKT_PKT0_S8_ifPKiSA_SA_iPKfiiiPfSD_PS3_PT2_iSC_SC_
; %bb.0:
	s_load_dwordx2 s[8:9], s[0:1], 0x30
	s_mov_b32 s26, s3
	s_mov_b64 s[6:7], 0
	s_waitcnt lgkmcnt(0)
	s_cmp_lg_u64 s[8:9], 0
	s_cselect_b64 s[10:11], -1, 0
	s_and_b64 vcc, exec, s[10:11]
	s_cbranch_vccz .LBB602_7
; %bb.1:
	s_add_i32 s12, s2, 1
	s_mov_b32 s13, 0
	s_lshl_b64 s[14:15], s[12:13], 2
	s_add_u32 s14, s8, s14
	s_mov_b32 s3, s13
	s_addc_u32 s15, s9, s15
	s_lshl_b64 s[12:13], s[2:3], 2
	s_add_u32 s12, s8, s12
	s_addc_u32 s13, s9, s13
	s_load_dword s5, s[14:15], 0x0
	s_load_dword s16, s[12:13], 0x0
	s_waitcnt lgkmcnt(0)
	s_sub_i32 s5, s5, s16
	s_cmp_eq_u32 s5, 1
	s_cselect_b64 s[12:13], -1, 0
	s_andn2_b64 vcc, exec, s[6:7]
	s_cbranch_vccnz .LBB602_3
.LBB602_2:
	s_mov_b32 s3, 0
	s_mov_b64 s[12:13], -1
.LBB602_3:
	s_andn2_b64 vcc, exec, s[12:13]
	s_cbranch_vccnz .LBB602_19
; %bb.4:
	s_load_dwordx2 s[6:7], s[0:1], 0x28
	s_lshl_b64 s[12:13], s[2:3], 2
	s_waitcnt lgkmcnt(0)
	s_add_u32 s6, s6, s12
	s_addc_u32 s7, s7, s13
	s_load_dword s27, s[6:7], 0x0
	s_lshl_b32 s18, s26, 8
	s_waitcnt lgkmcnt(0)
	s_cmp_ge_i32 s18, s27
	s_cbranch_scc1 .LBB602_19
; %bb.5:
	s_load_dwordx2 s[6:7], s[0:1], 0x20
	s_load_dword s5, s[0:1], 0x38
	s_add_i32 s14, s27, 15
	s_ashr_i32 s15, s14, 31
	v_and_b32_e32 v1, 0xcf, v0
	s_lshr_b32 s15, s15, 28
	v_add_u32_e32 v1, s18, v1
	s_add_i32 s14, s14, s15
	v_ashrrev_i32_e32 v2, 31, v1
	s_ashr_i32 s19, s14, 4
	v_lshrrev_b32_e32 v4, 28, v2
	s_add_i32 s19, s19, -1
	s_waitcnt lgkmcnt(0)
	s_mul_i32 s14, s2, s5
	s_mov_b32 s15, 0
	v_add_u32_e32 v2, v1, v4
	s_lshl_b64 s[14:15], s[14:15], 2
	v_ashrrev_i32_e32 v2, 4, v2
	v_mov_b32_e32 v5, s19
	v_cmp_gt_i32_e32 vcc, s27, v1
	s_add_u32 s6, s6, s14
	s_addc_u32 s7, s7, s15
	v_cndmask_b32_e32 v2, v5, v2, vcc
	v_ashrrev_i32_e32 v3, 31, v2
	v_lshl_add_u64 v[6:7], v[2:3], 2, s[6:7]
	v_or_b32_e32 v2, 16, v1
	v_add_u32_e32 v3, v2, v4
	v_ashrrev_i32_e32 v3, 4, v3
	v_cmp_gt_i32_e32 vcc, s27, v2
	s_load_dwordx2 s[14:15], s[0:1], 0x8
	s_nop 0
	v_cndmask_b32_e32 v2, v5, v3, vcc
	v_ashrrev_i32_e32 v3, 31, v2
	v_lshl_add_u64 v[8:9], v[2:3], 2, s[6:7]
	v_or_b32_e32 v2, 32, v1
	v_add_u32_e32 v3, v2, v4
	v_ashrrev_i32_e32 v3, 4, v3
	v_cmp_gt_i32_e32 vcc, s27, v2
	v_or_b32_e32 v1, 48, v1
	s_nop 0
	v_cndmask_b32_e32 v2, v5, v3, vcc
	v_ashrrev_i32_e32 v3, 31, v2
	v_lshl_add_u64 v[10:11], v[2:3], 2, s[6:7]
	v_add_u32_e32 v2, v1, v4
	v_ashrrev_i32_e32 v2, 4, v2
	v_cmp_gt_i32_e32 vcc, s27, v1
	s_nop 1
	v_cndmask_b32_e32 v2, v5, v2, vcc
	v_ashrrev_i32_e32 v3, 31, v2
	v_lshl_add_u64 v[12:13], v[2:3], 2, s[6:7]
	global_load_dword v5, v[6:7], off
	global_load_dword v4, v[8:9], off
	;; [unrolled: 1-line block ×4, first 2 shown]
	s_andn2_b64 vcc, exec, s[10:11]
	s_cbranch_vccnz .LBB602_8
; %bb.6:
	s_add_u32 s8, s8, s12
	s_addc_u32 s9, s9, s13
	s_load_dword s5, s[8:9], 0x0
	s_branch .LBB602_9
.LBB602_7:
	s_mov_b64 s[12:13], 0
	s_branch .LBB602_2
.LBB602_8:
	s_mov_b32 s5, s2
.LBB602_9:
	v_bfe_u32 v88, v0, 4, 2
	s_mul_i32 s40, s4, 3
	v_add_u32_e32 v1, s40, v88
	scratch_store_dword off, v1, off offset:8 ; 4-byte Folded Spill
	s_load_dwordx2 s[12:13], s[0:1], 0x10
	s_load_dwordx4 s[8:11], s[0:1], 0x48
	v_lshrrev_b32_e32 v85, 6, v0
	v_and_b32_e32 v84, 15, v0
	v_lshl_or_b32 v6, v85, 2, v88
	v_lshlrev_b32_e32 v7, 3, v84
	v_cmp_gt_u32_e32 vcc, 3, v6
	v_lshlrev_b32_e32 v8, 1, v7
	scratch_store_dwordx2 off, v[8:9], off  ; 8-byte Folded Spill
	s_and_saveexec_b64 s[16:17], vcc
	s_cbranch_execz .LBB602_11
; %bb.10:
	scratch_load_dword v1, off, off offset:8 ; 4-byte Folded Reload
	scratch_load_dwordx2 v[10:11], off, off ; 8-byte Folded Reload
	s_load_dwordx2 s[20:21], s[0:1], 0x0
	s_waitcnt lgkmcnt(0)
	s_ashr_i32 s11, s8, 31
	s_mul_hi_u32 s22, s5, s8
	s_mul_i32 s11, s5, s11
	s_add_i32 s23, s22, s11
	s_mul_i32 s22, s5, s8
	s_lshl_b64 s[22:23], s[22:23], 1
	s_add_u32 s20, s20, s22
	s_addc_u32 s21, s21, s23
	v_mov_b32_e32 v13, 0
	v_and_b32_e32 v7, 3, v0
	v_lshlrev_b32_e32 v6, 5, v6
	v_lshlrev_b32_e32 v7, 9, v7
	s_waitcnt vmcnt(1)
	v_lshlrev_b32_e32 v8, 7, v1
	v_ashrrev_i32_e32 v9, 31, v8
	v_lshl_add_u64 v[8:9], v[8:9], 1, s[20:21]
	s_waitcnt vmcnt(0)
	v_mov_b32_e32 v12, v10
	v_lshl_add_u64 v[8:9], v[8:9], 0, v[12:13]
	scratch_store_dwordx2 off, v[10:11], off ; 8-byte Folded Spill
	global_load_dwordx4 v[8:11], v[8:9], off
	v_lshlrev_b32_e32 v12, 9, v84
	v_and_b32_e32 v12, 0x1800, v12
	v_or3_b32 v6, v12, v7, v6
	s_waitcnt vmcnt(0)
	ds_write_b128 v6, v[8:11]
.LBB602_11:
	s_or_b64 exec, exec, s[16:17]
	s_waitcnt lgkmcnt(0)
	s_mul_i32 s4, s4, s10
	s_mov_b32 s5, 0
	s_lshl_b64 s[4:5], s[4:5], 1
	s_add_u32 s10, s14, s4
	v_lshlrev_b32_e32 v1, 4, v0
	s_addc_u32 s11, s15, s5
	v_and_b32_e32 v86, 0xf0, v1
	v_mov_b32_e32 v87, 0
	v_lshl_add_u64 v[6:7], s[10:11], 0, v[86:87]
	s_waitcnt vmcnt(5)
	v_mad_i64_i32 v[8:9], s[10:11], v5, s9, 0
	s_waitcnt vmcnt(4)
	v_mad_i64_i32 v[4:5], s[10:11], v4, s9, 0
	v_lshl_add_u64 v[8:9], v[8:9], 1, v[6:7]
	v_and_b32_e32 v86, 0x300, v1
	v_lshl_add_u64 v[4:5], v[4:5], 1, v[6:7]
	v_lshl_add_u64 v[8:9], v[8:9], 0, v[86:87]
	;; [unrolled: 1-line block ×3, first 2 shown]
	s_barrier
	global_load_dwordx4 v[78:81], v[8:9], off
	global_load_dwordx4 v[74:77], v[8:9], off offset:1024
	global_load_dwordx4 v[70:73], v[8:9], off offset:2048
	;; [unrolled: 1-line block ×3, first 2 shown]
	global_load_dwordx4 v[66:69], v[4:5], off
	global_load_dwordx4 v[62:65], v[4:5], off offset:1024
	global_load_dwordx4 v[58:61], v[4:5], off offset:2048
	;; [unrolled: 1-line block ×3, first 2 shown]
	s_waitcnt vmcnt(11)
	v_mad_i64_i32 v[4:5], s[10:11], v3, s9, 0
	s_waitcnt vmcnt(10)
	v_mad_i64_i32 v[2:3], s[10:11], v2, s9, 0
	v_lshl_add_u64 v[4:5], v[4:5], 1, v[6:7]
	v_lshl_add_u64 v[2:3], v[2:3], 1, v[6:7]
	;; [unrolled: 1-line block ×4, first 2 shown]
	global_load_dwordx4 v[30:33], v[4:5], off
	global_load_dwordx4 v[26:29], v[4:5], off offset:1024
	global_load_dwordx4 v[22:25], v[4:5], off offset:2048
	;; [unrolled: 1-line block ×3, first 2 shown]
	global_load_dwordx4 v[6:9], v[34:35], off
	s_nop 0
	global_load_dwordx4 v[2:5], v[34:35], off offset:1024
	global_load_dwordx4 v[38:41], v[34:35], off offset:2048
	s_nop 0
	global_load_dwordx4 v[34:37], v[34:35], off offset:3072
	v_mul_lo_u16_e32 v42, 0x56, v84
	v_mov_b32_e32 v43, 3
	v_mul_lo_u16_sdwa v42, v42, v43 dst_sel:DWORD dst_unused:UNUSED_PAD src0_sel:BYTE_1 src1_sel:DWORD
	v_sub_u16_e32 v42, v84, v42
	v_mov_b32_e32 v43, 5
	v_lshlrev_b32_sdwa v42, v43, v42 dst_sel:DWORD dst_unused:UNUSED_PAD src0_sel:DWORD src1_sel:BYTE_0
	v_lshl_add_u32 v42, v88, 9, v42
	ds_read_b128 v[54:57], v42
	ds_read_b128 v[50:53], v42 offset:2048
	ds_read_b128 v[46:49], v42 offset:4096
	;; [unrolled: 1-line block ×3, first 2 shown]
	v_and_b32_e32 v89, 63, v0
	v_cmp_gt_u32_e32 vcc, 3, v84
	v_mov_b32_e32 v90, 0
	s_and_saveexec_b64 s[10:11], vcc
	s_cbranch_execz .LBB602_13
; %bb.12:
	s_load_dwordx2 s[14:15], s[0:1], 0x40
	v_add_u32_e32 v90, s40, v84
	v_ashrrev_i32_e32 v91, 31, v90
	s_waitcnt lgkmcnt(0)
	v_lshl_add_u64 v[90:91], v[90:91], 2, s[14:15]
	global_load_dword v90, v[90:91], off
.LBB602_13:
	s_or_b64 exec, exec, s[10:11]
	s_waitcnt vmcnt(15) lgkmcnt(3)
	v_mfma_f32_16x16x16_bf16 v[92:95], v[78:79], v[54:55], 0
	s_add_u32 s4, s12, s4
	v_lshl_or_b32 v91, v85, 4, v84
	s_addc_u32 s5, s13, s5
	v_mfma_f32_16x16x16_bf16 v[78:81], v[80:81], v[56:57], v[92:95]
	v_lshlrev_b32_e32 v86, 5, v91
	s_mov_b32 s33, 0xff7fffff
	s_waitcnt vmcnt(14) lgkmcnt(2)
	v_mfma_f32_16x16x16_bf16 v[78:81], v[74:75], v[50:51], v[78:81]
	v_mfma_f32_16x16x16_bf16 v[74:77], v[76:77], v[52:53], v[78:81]
	s_waitcnt vmcnt(13) lgkmcnt(1)
	v_mfma_f32_16x16x16_bf16 v[74:77], v[70:71], v[46:47], v[74:77]
	v_mfma_f32_16x16x16_bf16 v[70:73], v[72:73], v[48:49], v[74:77]
	s_waitcnt vmcnt(11)
	v_mfma_f32_16x16x16_bf16 v[74:77], v[66:67], v[54:55], 0
	v_mfma_f32_16x16x16_bf16 v[66:69], v[68:69], v[56:57], v[74:77]
	s_nop 5
	v_and_or_b32 v74, v0, 48, s18
	s_waitcnt lgkmcnt(0)
	v_mfma_f32_16x16x16_bf16 v[70:73], v[10:11], v[42:43], v[70:73]
	v_ashrrev_i32_e32 v10, 4, v74
	v_mov_b32_e32 v75, s19
	v_cmp_gt_i32_e32 vcc, s27, v74
	s_waitcnt vmcnt(10)
	v_mfma_f32_16x16x16_bf16 v[66:69], v[62:63], v[50:51], v[66:69]
	v_cndmask_b32_e32 v10, v75, v10, vcc
	v_ashrrev_i32_e32 v11, 31, v10
	v_lshl_add_u64 v[10:11], v[10:11], 2, s[6:7]
	global_load_dword v76, v[10:11], off
	v_mfma_f32_16x16x16_bf16 v[62:65], v[64:65], v[52:53], v[66:69]
	v_or_b32_e32 v10, 64, v74
	v_ashrrev_i32_e32 v11, 4, v10
	v_cmp_gt_i32_e32 vcc, s27, v10
	s_waitcnt vmcnt(10)
	v_mfma_f32_16x16x16_bf16 v[62:65], v[58:59], v[46:47], v[62:65]
	v_cndmask_b32_e32 v10, v75, v11, vcc
	v_ashrrev_i32_e32 v11, 31, v10
	v_lshl_add_u64 v[10:11], v[10:11], 2, s[6:7]
	global_load_dword v78, v[10:11], off
	v_or_b32_e32 v10, 0x80, v74
	v_mfma_f32_16x16x16_bf16 v[58:61], v[60:61], v[48:49], v[62:65]
	v_ashrrev_i32_e32 v11, 4, v10
	v_cmp_gt_i32_e32 vcc, s27, v10
	s_waitcnt vmcnt(9)
	v_mfma_f32_16x16x16_bf16 v[62:65], v[30:31], v[54:55], 0
	v_cndmask_b32_e32 v10, v75, v11, vcc
	v_ashrrev_i32_e32 v11, 31, v10
	v_lshl_add_u64 v[10:11], v[10:11], 2, s[6:7]
	v_mfma_f32_16x16x16_bf16 v[30:33], v[32:33], v[56:57], v[62:65]
	s_nop 2
	global_load_dword v62, v[10:11], off
	v_or_b32_e32 v10, 0xc0, v74
	v_ashrrev_i32_e32 v11, 4, v10
	v_cmp_gt_i32_e32 vcc, s27, v10
	s_waitcnt vmcnt(9)
	v_mfma_f32_16x16x16_bf16 v[30:33], v[26:27], v[50:51], v[30:33]
	v_cndmask_b32_e32 v10, v75, v11, vcc
	v_ashrrev_i32_e32 v11, 31, v10
	v_lshl_add_u64 v[10:11], v[10:11], 2, s[6:7]
	global_load_dword v63, v[10:11], off
	v_mfma_f32_16x16x16_bf16 v[26:29], v[28:29], v[52:53], v[30:33]
	s_load_dword s6, s[0:1], 0x1c
	s_waitcnt vmcnt(3)
	v_mad_i64_i32 v[10:11], s[10:11], v76, s9, 0
	v_mfma_f32_16x16x16_bf16 v[26:29], v[22:23], v[46:47], v[26:29]
	v_lshlrev_b64 v[76:77], 1, v[10:11]
	v_mfma_f32_16x16x16_bf16 v[64:67], v[12:13], v[44:45], v[70:73]
	v_mfma_f32_16x16x16_bf16 v[10:13], v[24:25], v[48:49], v[26:29]
	s_nop 1
	v_lshl_add_u64 v[72:73], s[4:5], 0, v[86:87]
	v_or_b32_e32 v86, 0x800, v86
	v_mfma_f32_16x16x16_bf16 v[30:33], v[14:15], v[42:43], v[58:61]
	v_lshl_add_u64 v[14:15], v[72:73], 0, v[76:77]
	v_mfma_f32_16x16x16_bf16 v[10:13], v[18:19], v[42:43], v[10:13]
	v_mfma_f32_16x16x16_bf16 v[68:71], v[16:17], v[44:45], v[30:33]
	s_nop 3
	global_load_dwordx4 v[30:33], v[14:15], off
	global_load_dwordx4 v[26:29], v[14:15], off offset:16
	s_waitcnt vmcnt(4)
	v_mad_i64_i32 v[14:15], s[10:11], v78, s9, 0
	v_lshlrev_b64 v[58:59], 1, v[14:15]
	v_mfma_f32_16x16x16_bf16 v[92:95], v[20:21], v[44:45], v[10:13]
	s_waitcnt lgkmcnt(0)
	v_pk_mul_f32 v[78:79], s[6:7], v[66:67] op_sel_hi:[0,1]
	s_nop 0
	v_lshl_add_u64 v[10:11], v[72:73], 0, v[58:59]
	global_load_dwordx4 v[22:25], v[10:11], off
	global_load_dwordx4 v[18:21], v[10:11], off offset:16
	v_mfma_f32_16x16x16_bf16 v[10:13], v[6:7], v[54:55], 0
	s_waitcnt vmcnt(5)
	v_mad_i64_i32 v[6:7], s[10:11], v62, s9, 0
	v_lshlrev_b64 v[54:55], 1, v[6:7]
	v_mfma_f32_16x16x16_bf16 v[6:9], v[8:9], v[56:57], v[10:13]
	v_mfma_f32_16x16x16_bf16 v[6:9], v[2:3], v[50:51], v[6:9]
	s_waitcnt vmcnt(4)
	v_mad_i64_i32 v[2:3], s[8:9], v63, s9, 0
	v_lshlrev_b64 v[50:51], 1, v[2:3]
	v_mfma_f32_16x16x16_bf16 v[60:63], v[4:5], v[52:53], v[6:9]
	v_lshl_add_u64 v[10:11], v[72:73], 0, v[54:55]
	v_lshl_add_u64 v[2:3], v[72:73], 0, v[50:51]
	v_pk_mul_f32 v[52:53], s[6:7], v[64:65] op_sel_hi:[0,1]
	v_mfma_f32_16x16x16_bf16 v[72:75], v[38:39], v[46:47], v[60:63]
	global_load_dwordx4 v[14:17], v[10:11], off
	s_nop 0
	global_load_dwordx4 v[10:13], v[10:11], off offset:16
	v_lshl_add_u64 v[62:63], s[4:5], 0, v[86:87]
	v_lshl_add_u64 v[38:39], v[62:63], 0, v[76:77]
	v_mfma_f32_16x16x16_bf16 v[46:49], v[40:41], v[48:49], v[72:75]
	v_pk_mul_f32 v[76:77], s[6:7], v[68:69] op_sel_hi:[0,1]
	v_lshl_add_u64 v[54:55], v[62:63], 0, v[54:55]
	v_lshl_add_u64 v[50:51], v[62:63], 0, v[50:51]
	v_mfma_f32_16x16x16_bf16 v[40:43], v[34:35], v[42:43], v[46:49]
	v_pk_mul_f32 v[74:75], s[6:7], v[70:71] op_sel_hi:[0,1]
	v_pk_mul_f32 v[70:71], s[6:7], v[94:95] op_sel_hi:[0,1]
	;; [unrolled: 1-line block ×3, first 2 shown]
	v_mfma_f32_16x16x16_bf16 v[34:37], v[36:37], v[44:45], v[40:43]
	global_load_dwordx4 v[6:9], v[2:3], off
	s_nop 0
	global_load_dwordx4 v[2:5], v[2:3], off offset:16
	s_nop 3
	v_pk_mul_f32 v[68:69], s[6:7], v[34:35] op_sel_hi:[0,1]
	v_and_b32_e32 v34, 0xc0, v0
	v_add_u32_e32 v34, s18, v34
	v_lshl_or_b32 v34, v88, 2, v34
	v_or_b32_e32 v35, 1, v34
	v_pk_mul_f32 v[66:67], s[6:7], v[36:37] op_sel_hi:[0,1]
	v_subrev_u32_e32 v36, s27, v35
	v_add_u32_e32 v40, 1, v36
	v_add_u32_e32 v41, 2, v36
	v_cvt_f32_i32_e32 v37, v36
	v_cvt_f32_i32_e32 v40, v40
	;; [unrolled: 1-line block ×3, first 2 shown]
	v_add_u32_e32 v42, 3, v36
	v_fma_f32 v52, v90, v37, v52
	v_fmac_f32_e32 v53, v90, v40
	v_fma_f32 v78, v90, v41, v78
	v_add_u32_e32 v37, 16, v36
	v_add_u32_e32 v40, 17, v36
	;; [unrolled: 1-line block ×3, first 2 shown]
	v_cvt_f32_i32_e32 v42, v42
	v_cvt_f32_i32_e32 v37, v37
	;; [unrolled: 1-line block ×4, first 2 shown]
	v_fmac_f32_e32 v79, v90, v42
	v_add_u32_e32 v42, 19, v36
	v_fma_f32 v76, v90, v37, v76
	v_fmac_f32_e32 v77, v90, v40
	v_fma_f32 v74, v90, v41, v74
	v_add_u32_e32 v37, 32, v36
	v_add_u32_e32 v40, 33, v36
	;; [unrolled: 1-line block ×3, first 2 shown]
	v_cvt_f32_i32_e32 v42, v42
	v_cvt_f32_i32_e32 v37, v37
	;; [unrolled: 1-line block ×4, first 2 shown]
	v_fmac_f32_e32 v75, v90, v42
	v_add_u32_e32 v42, 35, v36
	v_fma_f32 v72, v90, v37, v72
	v_fmac_f32_e32 v73, v90, v40
	v_fma_f32 v70, v90, v41, v70
	v_add_u32_e32 v37, 48, v36
	v_add_u32_e32 v40, 49, v36
	;; [unrolled: 1-line block ×4, first 2 shown]
	v_cvt_f32_i32_e32 v36, v36
	v_cvt_f32_i32_e32 v37, v37
	;; [unrolled: 1-line block ×3, first 2 shown]
	v_cmp_gt_i32_e64 s[28:29], s27, v34
	v_fmac_f32_e32 v67, v90, v36
	v_mov_b32_e32 v36, 0xff7fffff
	v_cmp_gt_i32_e64 s[30:31], s27, v35
	v_fma_f32 v68, v90, v37, v68
	v_cndmask_b32_e64 v37, v36, v52, s[28:29]
	v_cndmask_b32_e64 v35, v36, v53, s[30:31]
	v_fmac_f32_e32 v69, v90, v40
	v_max3_f32 v35, v37, s33, v35
	v_or_b32_e32 v37, 2, v34
	v_or_b32_e32 v40, 3, v34
	v_cmp_gt_i32_e64 s[34:35], s27, v37
	v_cmp_gt_i32_e64 s[36:37], s27, v40
	v_cvt_f32_i32_e32 v42, v42
	v_cndmask_b32_e64 v37, v36, v78, s[34:35]
	v_cndmask_b32_e64 v40, v36, v79, s[36:37]
	v_max3_f32 v35, v35, v37, v40
	v_or_b32_e32 v37, 16, v34
	v_or_b32_e32 v40, 17, v34
	v_cmp_gt_i32_e64 s[22:23], s27, v37
	v_cmp_gt_i32_e64 s[24:25], s27, v40
	v_fmac_f32_e32 v71, v90, v42
	v_cndmask_b32_e64 v37, v36, v76, s[22:23]
	v_cndmask_b32_e64 v40, v36, v77, s[24:25]
	v_max3_f32 v35, v35, v37, v40
	v_or_b32_e32 v37, 18, v34
	v_or_b32_e32 v40, 19, v34
	v_cmp_gt_i32_e64 s[18:19], s27, v37
	v_cmp_gt_i32_e64 s[20:21], s27, v40
	v_cvt_f32_i32_e32 v41, v41
	v_cndmask_b32_e64 v37, v36, v74, s[18:19]
	v_cndmask_b32_e64 v40, v36, v75, s[20:21]
	v_max3_f32 v35, v35, v37, v40
	v_or_b32_e32 v37, 32, v34
	v_or_b32_e32 v40, 33, v34
	v_cmp_gt_i32_e64 s[14:15], s27, v37
	v_cmp_gt_i32_e64 s[16:17], s27, v40
	v_fma_f32 v66, v90, v41, v66
	v_cndmask_b32_e64 v37, v36, v72, s[14:15]
	v_cndmask_b32_e64 v40, v36, v73, s[16:17]
	v_max3_f32 v35, v35, v37, v40
	v_or_b32_e32 v37, 34, v34
	v_or_b32_e32 v40, 35, v34
	v_cmp_gt_i32_e64 s[10:11], s27, v37
	v_cmp_gt_i32_e64 s[12:13], s27, v40
	s_nop 0
	v_cndmask_b32_e64 v37, v36, v70, s[10:11]
	v_cndmask_b32_e64 v40, v36, v71, s[12:13]
	v_max3_f32 v35, v35, v37, v40
	v_or_b32_e32 v37, 48, v34
	v_or_b32_e32 v40, 49, v34
	v_cmp_gt_i32_e64 s[6:7], s27, v37
	v_cmp_gt_i32_e64 s[8:9], s27, v40
	s_nop 0
	v_cndmask_b32_e64 v37, v36, v68, s[6:7]
	v_cndmask_b32_e64 v40, v36, v69, s[8:9]
	v_max3_f32 v35, v35, v37, v40
	v_or_b32_e32 v37, 50, v34
	v_or_b32_e32 v34, 51, v34
	v_cmp_gt_i32_e32 vcc, s27, v37
	v_cmp_gt_i32_e64 s[4:5], s27, v34
	global_load_dwordx4 v[46:49], v[38:39], off
	s_nop 0
	global_load_dwordx4 v[38:41], v[38:39], off offset:16
	v_cndmask_b32_e32 v37, v36, v66, vcc
	v_cndmask_b32_e64 v34, v36, v67, s[4:5]
	v_max3_f32 v56, v35, v37, v34
	v_mbcnt_lo_u32_b32 v34, -1, 0
	v_mbcnt_hi_u32_b32 v57, -1, v34
	v_and_b32_e32 v34, 64, v57
	v_add_u32_e32 v60, 64, v34
	v_xor_b32_e32 v34, 32, v57
	v_cmp_lt_i32_e64 s[38:39], v34, v60
	s_nop 1
	v_cndmask_b32_e64 v34, v57, v34, s[38:39]
	v_lshlrev_b32_e32 v87, 2, v34
	ds_bpermute_b32 v61, v87, v56
	v_lshl_add_u64 v[34:35], v[62:63], 0, v[58:59]
	global_load_dwordx4 v[42:45], v[34:35], off
	s_nop 0
	global_load_dwordx4 v[34:37], v[34:35], off offset:16
	s_waitcnt lgkmcnt(0)
	v_max_f32_e32 v58, v61, v61
	v_max_f32_e32 v64, v56, v58
	v_xor_b32_e32 v56, 16, v57
	v_cmp_lt_i32_e64 s[38:39], v56, v60
	s_nop 1
	v_cndmask_b32_e64 v56, v57, v56, s[38:39]
	v_lshlrev_b32_e32 v90, 2, v56
	ds_bpermute_b32 v65, v90, v64
	global_load_dwordx4 v[58:61], v[54:55], off
	s_nop 0
	global_load_dwordx4 v[54:57], v[54:55], off offset:16
	s_waitcnt lgkmcnt(0)
	v_max_f32_e32 v62, v65, v65
	v_max_f32_e32 v86, v64, v62
	v_sub_f32_e32 v52, v52, v86
	v_mul_f32_e32 v52, 0x3fb8aa3b, v52
	v_exp_f32_e32 v80, v52
	v_sub_f32_e32 v52, v53, v86
	v_mul_f32_e32 v52, 0x3fb8aa3b, v52
	v_exp_f32_e32 v81, v52
	global_load_dwordx4 v[62:65], v[50:51], off
	s_nop 0
	global_load_dwordx4 v[50:53], v[50:51], off offset:16
	v_sub_f32_e32 v78, v78, v86
	v_mul_f32_e32 v78, 0x3fb8aa3b, v78
	v_sub_f32_e32 v79, v79, v86
	v_exp_f32_e32 v78, v78
	v_mul_f32_e32 v79, 0x3fb8aa3b, v79
	v_sub_f32_e32 v76, v76, v86
	v_exp_f32_e32 v79, v79
	v_mul_f32_e32 v76, 0x3fb8aa3b, v76
	v_sub_f32_e32 v77, v77, v86
	v_cndmask_b32_e64 v80, 0, v80, s[28:29]
	v_exp_f32_e32 v76, v76
	v_mul_f32_e32 v77, 0x3fb8aa3b, v77
	v_sub_f32_e32 v74, v74, v86
	v_add_f32_e32 v92, 0, v80
	v_cndmask_b32_e64 v81, 0, v81, s[30:31]
	v_exp_f32_e32 v77, v77
	v_mul_f32_e32 v74, 0x3fb8aa3b, v74
	v_sub_f32_e32 v75, v75, v86
	v_add_f32_e32 v92, v92, v81
	;; [unrolled: 5-line block ×10, first 2 shown]
	v_cndmask_b32_e64 v70, 0, v70, s[10:11]
	v_exp_f32_e32 v66, v66
	v_mul_f32_e32 v67, 0x3fb8aa3b, v67
	v_add_f32_e32 v92, v92, v70
	v_cndmask_b32_e64 v71, 0, v71, s[12:13]
	v_exp_f32_e32 v67, v67
	v_add_f32_e32 v92, v92, v71
	v_cndmask_b32_e64 v68, 0, v68, s[6:7]
	v_add_f32_e32 v92, v92, v68
	v_cndmask_b32_e64 v69, 0, v69, s[8:9]
	v_add_f32_e32 v92, v92, v69
	v_cndmask_b32_e32 v66, 0, v66, vcc
	v_add_f32_e32 v92, v92, v66
	v_cndmask_b32_e64 v67, 0, v67, s[4:5]
	v_add_f32_e32 v92, v92, v67
	ds_bpermute_b32 v87, v87, v92
	s_load_dword s7, s[0:1], 0x98
	v_cmp_gt_u32_e32 vcc, 16, v89
	s_waitcnt lgkmcnt(0)
	s_barrier
	v_add_f32_e32 v87, v92, v87
	ds_bpermute_b32 v90, v90, v87
	s_waitcnt lgkmcnt(0)
	s_and_saveexec_b64 s[4:5], vcc
	s_cbranch_execz .LBB602_15
; %bb.14:
	v_add_f32_e32 v87, v87, v90
	v_lshlrev_b32_e32 v89, 2, v91
	ds_write2st64_b32 v89, v86, v87 offset1:1
.LBB602_15:
	s_or_b64 exec, exec, s[4:5]
	v_lshlrev_b32_e32 v87, 2, v84
	s_load_dword s6, s[0:1], 0x94
	s_waitcnt lgkmcnt(0)
	s_barrier
	ds_read2_b32 v[90:91], v87 offset1:16
	ds_read2_b32 v[92:93], v87 offset0:32 offset1:48
	ds_read2_b32 v[94:95], v87 offset0:64 offset1:80
	s_movk_i32 s8, 0x7fff
	s_mov_b32 s9, 0x7060302
	s_waitcnt lgkmcnt(2)
	v_max3_f32 v86, v90, s33, v91
	s_waitcnt lgkmcnt(1)
	v_max3_f32 v86, v86, v92, v93
	v_sub_f32_e32 v89, v90, v86
	v_sub_f32_e32 v90, v91, v86
	v_mul_f32_e32 v90, 0x3fb8aa3b, v90
	v_mul_f32_e32 v89, 0x3fb8aa3b, v89
	v_exp_f32_e32 v1, v90
	v_sub_f32_e32 v90, v92, v86
	v_exp_f32_e32 v89, v89
	v_mul_f32_e32 v90, 0x3fb8aa3b, v90
	v_exp_f32_e32 v92, v90
	ds_read2_b32 v[90:91], v87 offset0:96 offset1:112
	v_sub_f32_e32 v87, v93, v86
	v_mul_f32_e32 v87, 0x3fb8aa3b, v87
	v_exp_f32_e32 v93, v87
	s_waitcnt lgkmcnt(1)
	v_fma_f32 v87, v89, v94, 0
	v_fmac_f32_e32 v87, v1, v95
	s_waitcnt lgkmcnt(0)
	v_fmac_f32_e32 v87, v92, v90
	v_fmac_f32_e32 v87, v93, v91
	v_add_f32_e32 v90, 0x358637bd, v87
	v_div_scale_f32 v91, s[4:5], v90, v90, 1.0
	v_rcp_f32_e32 v94, v91
	s_mul_i32 s7, s7, 3
	s_barrier
	v_fma_f32 v95, -v91, v94, 1.0
	v_fmac_f32_e32 v94, v95, v94
	v_div_scale_f32 v95, vcc, 1.0, v90, 1.0
	v_mul_f32_e32 v83, v95, v94
	v_fma_f32 v82, -v91, v83, v95
	v_fmac_f32_e32 v83, v82, v94
	v_fma_f32 v82, -v91, v83, v95
	v_div_fmas_f32 v82, v82, v94, v83
	v_cmp_eq_u32_e32 vcc, 1, v85
	v_div_fixup_f32 v82, v82, v90, 1.0
	s_nop 0
	v_cndmask_b32_e32 v1, v89, v1, vcc
	v_cmp_eq_u32_e32 vcc, 2, v85
	s_nop 1
	v_cndmask_b32_e32 v1, v1, v92, vcc
	v_cmp_eq_u32_e32 vcc, 3, v85
	s_nop 1
	v_cndmask_b32_e32 v1, v1, v93, vcc
	v_mul_f32_e32 v90, v1, v82
	v_pk_mul_f32 v[80:81], v[90:91], v[80:81] op_sel_hi:[0,1]
	v_bfe_u32 v1, v81, 16, 1
	v_bfe_u32 v82, v80, 16, 1
	v_pk_mul_f32 v[78:79], v[90:91], v[78:79] op_sel_hi:[0,1]
	v_add3_u32 v80, v80, v82, s8
	v_add3_u32 v1, v81, v1, s8
	v_perm_b32 v80, v1, v80, s9
	v_bfe_u32 v1, v79, 16, 1
	v_bfe_u32 v81, v78, 16, 1
	v_add3_u32 v78, v78, v81, s8
	v_add3_u32 v1, v79, v1, s8
	v_perm_b32 v81, v1, v78, s9
	v_lshlrev_b32_e32 v1, 3, v88
	v_lshlrev_b32_e32 v79, 5, v84
	v_lshlrev_b32_e32 v78, 11, v85
	v_pk_mul_f32 v[76:77], v[90:91], v[76:77] op_sel_hi:[0,1]
	v_or3_b32 v78, v78, v79, v1
	v_bfe_u32 v1, v77, 16, 1
	v_bfe_u32 v82, v76, 16, 1
	v_pk_mul_f32 v[74:75], v[90:91], v[74:75] op_sel_hi:[0,1]
	v_add3_u32 v76, v76, v82, s8
	v_add3_u32 v1, v77, v1, s8
	v_perm_b32 v76, v1, v76, s9
	v_bfe_u32 v1, v75, 16, 1
	v_bfe_u32 v77, v74, 16, 1
	v_add3_u32 v74, v74, v77, s8
	v_add3_u32 v1, v75, v1, s8
	v_pk_mul_f32 v[72:73], v[90:91], v[72:73] op_sel_hi:[0,1]
	v_perm_b32 v77, v1, v74, s9
	v_bfe_u32 v1, v73, 16, 1
	v_bfe_u32 v74, v72, 16, 1
	v_pk_mul_f32 v[70:71], v[90:91], v[70:71] op_sel_hi:[0,1]
	v_add3_u32 v72, v72, v74, s8
	v_add3_u32 v1, v73, v1, s8
	v_perm_b32 v72, v1, v72, s9
	v_bfe_u32 v1, v71, 16, 1
	v_bfe_u32 v73, v70, 16, 1
	v_add3_u32 v70, v70, v73, s8
	v_add3_u32 v1, v71, v1, s8
	v_pk_mul_f32 v[68:69], v[90:91], v[68:69] op_sel_hi:[0,1]
	v_perm_b32 v73, v1, v70, s9
	v_bfe_u32 v1, v69, 16, 1
	v_bfe_u32 v70, v68, 16, 1
	v_pk_mul_f32 v[66:67], v[90:91], v[66:67] op_sel_hi:[0,1]
	v_add3_u32 v68, v68, v70, s8
	v_add3_u32 v1, v69, v1, s8
	v_perm_b32 v68, v1, v68, s9
	v_bfe_u32 v1, v67, 16, 1
	v_bfe_u32 v69, v66, 16, 1
	v_add3_u32 v66, v66, v69, s8
	v_add3_u32 v1, v67, v1, s8
	v_perm_b32 v69, v1, v66, s9
	v_cmp_gt_u32_e32 vcc, 3, v0
	ds_write2st64_b64 v78, v[80:81], v[76:77] offset1:1
	ds_write2st64_b64 v78, v[72:73], v[68:69] offset0:2 offset1:3
	s_and_saveexec_b64 s[4:5], vcc
	s_cbranch_execz .LBB602_17
; %bb.16:
	s_mov_b32 s41, 0
	v_mov_b32_e32 v85, 0
	v_lshl_add_u64 v[66:67], s[40:41], 0, v[84:85]
	v_mov_b32_e32 v1, s7
	v_mad_u64_u32 v[66:67], s[10:11], s2, v1, v[66:67]
	s_mul_i32 s3, s3, s7
	v_mov_b32_e32 v68, s26
	v_mov_b32_e32 v69, v85
	s_load_dwordx4 s[12:15], s[0:1], 0x58
	v_add_u32_e32 v1, s3, v67
	v_mad_u64_u32 v[66:67], s[10:11], v66, s6, v[68:69]
	v_mov_b32_e32 v68, v67
	v_mad_u64_u32 v[68:69], s[10:11], v1, s6, v[68:69]
	v_mov_b32_e32 v67, v68
	v_lshlrev_b64 v[66:67], 2, v[66:67]
	s_waitcnt lgkmcnt(0)
	v_lshl_add_u64 v[68:69], s[14:15], 0, v[66:67]
	v_lshl_add_u64 v[66:67], s[12:13], 0, v[66:67]
	global_store_dword v[68:69], v86, off
	global_store_dword v[66:67], v87, off
.LBB602_17:
	s_or_b64 exec, exec, s[4:5]
	v_lshl_or_b32 v1, v88, 9, v79
	s_waitcnt lgkmcnt(0)
	s_barrier
	ds_read_b128 v[70:73], v1
	ds_read_b128 v[66:69], v1 offset:16
	s_waitcnt vmcnt(15) lgkmcnt(1)
	v_mfma_f32_16x16x16_bf16 v[74:77], v[30:31], v[70:71], 0
	v_cmp_gt_u32_e32 vcc, 64, v0
	v_cmp_ne_u32_e64 s[4:5], 3, v88
	s_mov_b32 s3, 0
	v_mfma_f32_16x16x16_bf16 v[30:33], v[32:33], v[72:73], v[74:77]
	s_and_b64 s[4:5], vcc, s[4:5]
	s_waitcnt vmcnt(14) lgkmcnt(0)
	v_mfma_f32_16x16x16_bf16 v[30:33], v[26:27], v[66:67], v[30:33]
	v_mfma_f32_16x16x16_bf16 v[26:29], v[28:29], v[68:69], v[30:33]
	s_nop 5
	ds_read_b128 v[30:33], v1 offset:2048
	ds_read_b128 v[74:77], v1 offset:2064
	s_waitcnt vmcnt(13) lgkmcnt(1)
	v_mfma_f32_16x16x16_bf16 v[26:29], v[22:23], v[30:31], v[26:29]
	v_mfma_f32_16x16x16_bf16 v[22:25], v[24:25], v[32:33], v[26:29]
	s_waitcnt vmcnt(12) lgkmcnt(0)
	v_mfma_f32_16x16x16_bf16 v[22:25], v[18:19], v[74:75], v[22:25]
	v_mfma_f32_16x16x16_bf16 v[18:21], v[20:21], v[76:77], v[22:25]
	s_nop 5
	ds_read_b128 v[22:25], v1 offset:4096
	ds_read_b128 v[26:29], v1 offset:4112
	s_waitcnt vmcnt(11) lgkmcnt(1)
	v_mfma_f32_16x16x16_bf16 v[18:21], v[14:15], v[22:23], v[18:21]
	v_mfma_f32_16x16x16_bf16 v[14:17], v[16:17], v[24:25], v[18:21]
	s_waitcnt vmcnt(10) lgkmcnt(0)
	v_mfma_f32_16x16x16_bf16 v[14:17], v[10:11], v[26:27], v[14:17]
	v_mfma_f32_16x16x16_bf16 v[10:13], v[12:13], v[28:29], v[14:17]
	s_nop 5
	ds_read_b128 v[14:17], v1 offset:6144
	ds_read_b128 v[18:21], v1 offset:6160
	s_waitcnt lgkmcnt(0)
	s_barrier
	s_waitcnt vmcnt(9)
	v_mfma_f32_16x16x16_bf16 v[10:13], v[6:7], v[14:15], v[10:13]
	v_mfma_f32_16x16x16_bf16 v[6:9], v[8:9], v[16:17], v[10:13]
	s_waitcnt vmcnt(8)
	v_mfma_f32_16x16x16_bf16 v[6:9], v[2:3], v[18:19], v[6:9]
	v_mfma_f32_16x16x16_bf16 v[2:5], v[4:5], v[20:21], v[6:9]
	;; [unrolled: 3-line block ×3, first 2 shown]
	s_nop 3
	v_bfe_u32 v1, v3, 16, 1
	v_bfe_u32 v10, v2, 16, 1
	v_add3_u32 v2, v2, v10, s8
	s_waitcnt vmcnt(6)
	v_mfma_f32_16x16x16_bf16 v[6:9], v[38:39], v[66:67], v[6:9]
	v_add3_u32 v1, v3, v1, s8
	v_perm_b32 v10, v1, v2, s9
	v_bfe_u32 v1, v5, 16, 1
	v_mfma_f32_16x16x16_bf16 v[6:9], v[40:41], v[68:69], v[6:9]
	v_bfe_u32 v2, v4, 16, 1
	v_add3_u32 v2, v4, v2, s8
	v_add3_u32 v1, v5, v1, s8
	s_waitcnt vmcnt(5)
	v_mfma_f32_16x16x16_bf16 v[6:9], v[42:43], v[30:31], v[6:9]
	v_perm_b32 v11, v1, v2, s9
	v_mfma_f32_16x16x16_bf16 v[6:9], v[44:45], v[32:33], v[6:9]
	s_waitcnt vmcnt(4)
	v_mfma_f32_16x16x16_bf16 v[6:9], v[34:35], v[74:75], v[6:9]
	v_mfma_f32_16x16x16_bf16 v[6:9], v[36:37], v[76:77], v[6:9]
	s_waitcnt vmcnt(3)
	v_mfma_f32_16x16x16_bf16 v[6:9], v[58:59], v[22:23], v[6:9]
	;; [unrolled: 3-line block ×5, first 2 shown]
	v_mfma_f32_16x16x16_bf16 v[2:5], v[52:53], v[20:21], v[6:9]
	s_nop 6
	v_bfe_u32 v1, v3, 16, 1
	v_bfe_u32 v6, v2, 16, 1
	v_add3_u32 v2, v2, v6, s8
	v_add3_u32 v1, v3, v1, s8
	v_perm_b32 v2, v1, v2, s9
	v_bfe_u32 v1, v5, 16, 1
	v_bfe_u32 v3, v4, 16, 1
	v_add3_u32 v3, v4, v3, s8
	v_add3_u32 v1, v5, v1, s8
	v_perm_b32 v3, v1, v3, s9
	ds_write2st64_b64 v78, v[10:11], v[2:3] offset1:1
	s_waitcnt lgkmcnt(0)
	s_barrier
	s_and_saveexec_b64 s[8:9], s[4:5]
	s_cbranch_execz .LBB602_19
; %bb.18:
	v_lshlrev_b32_e32 v3, 6, v84
	v_lshlrev_b32_e32 v2, 4, v0
	v_lshl_or_b32 v0, v0, 10, v3
	v_lshlrev_b32_e32 v1, 5, v88
	v_and_b32_e32 v2, 16, v2
	v_and_b32_e32 v0, 0x1a00, v0
	v_or3_b32 v0, v0, v1, v2
	ds_read_b128 v[2:5], v0
	scratch_load_dword v0, off, off offset:8 ; 4-byte Folded Reload
	scratch_load_dwordx2 v[6:7], off, off   ; 8-byte Folded Reload
	s_load_dwordx2 s[0:1], s[0:1], 0x68
	s_mul_i32 s2, s7, s2
	s_lshl_b32 s6, s6, 7
	s_mul_hi_u32 s5, s2, s6
	s_mul_i32 s4, s2, s6
	s_lshl_b64 s[4:5], s[4:5], 1
	s_waitcnt lgkmcnt(0)
	s_add_u32 s4, s0, s4
	s_addc_u32 s5, s1, s5
	s_lshl_b32 s2, s26, 7
	s_lshl_b64 s[0:1], s[2:3], 1
	s_add_u32 s0, s4, s0
	s_addc_u32 s1, s5, s1
	s_waitcnt vmcnt(0)
	v_mov_b32_e32 v7, 0
	v_mad_u64_u32 v[0:1], s[2:3], s6, v0, 0
	v_lshl_add_u64 v[0:1], v[0:1], 1, s[0:1]
	v_lshl_add_u64 v[0:1], v[0:1], 0, v[6:7]
	global_store_dwordx4 v[0:1], v[2:5], off
.LBB602_19:
	s_endpgm
	.section	.rodata,"a",@progbits
	.p2align	6, 0x0
	.amdhsa_kernel _Z39paged_attention_ll4mi_QKV_mfma16_kernelI14__hip_bfloat16S0_LN4vllm18Fp8KVCacheDataTypeE0EhLi16ELi128ELi256ELb1ELi3EEvPKT_PKT0_S8_ifPKiSA_SA_iPKfiiiPfSD_PS3_PT2_iSC_SC_
		.amdhsa_group_segment_fixed_size 8192
		.amdhsa_private_segment_fixed_size 16
		.amdhsa_kernarg_size 400
		.amdhsa_user_sgpr_count 2
		.amdhsa_user_sgpr_dispatch_ptr 0
		.amdhsa_user_sgpr_queue_ptr 0
		.amdhsa_user_sgpr_kernarg_segment_ptr 1
		.amdhsa_user_sgpr_dispatch_id 0
		.amdhsa_user_sgpr_kernarg_preload_length 0
		.amdhsa_user_sgpr_kernarg_preload_offset 0
		.amdhsa_user_sgpr_private_segment_size 0
		.amdhsa_uses_dynamic_stack 0
		.amdhsa_enable_private_segment 1
		.amdhsa_system_sgpr_workgroup_id_x 1
		.amdhsa_system_sgpr_workgroup_id_y 1
		.amdhsa_system_sgpr_workgroup_id_z 1
		.amdhsa_system_sgpr_workgroup_info 0
		.amdhsa_system_vgpr_workitem_id 0
		.amdhsa_next_free_vgpr 96
		.amdhsa_next_free_sgpr 42
		.amdhsa_accum_offset 96
		.amdhsa_reserve_vcc 1
		.amdhsa_float_round_mode_32 0
		.amdhsa_float_round_mode_16_64 0
		.amdhsa_float_denorm_mode_32 3
		.amdhsa_float_denorm_mode_16_64 3
		.amdhsa_dx10_clamp 1
		.amdhsa_ieee_mode 1
		.amdhsa_fp16_overflow 0
		.amdhsa_tg_split 0
		.amdhsa_exception_fp_ieee_invalid_op 0
		.amdhsa_exception_fp_denorm_src 0
		.amdhsa_exception_fp_ieee_div_zero 0
		.amdhsa_exception_fp_ieee_overflow 0
		.amdhsa_exception_fp_ieee_underflow 0
		.amdhsa_exception_fp_ieee_inexact 0
		.amdhsa_exception_int_div_zero 0
	.end_amdhsa_kernel
	.section	.text._Z39paged_attention_ll4mi_QKV_mfma16_kernelI14__hip_bfloat16S0_LN4vllm18Fp8KVCacheDataTypeE0EhLi16ELi128ELi256ELb1ELi3EEvPKT_PKT0_S8_ifPKiSA_SA_iPKfiiiPfSD_PS3_PT2_iSC_SC_,"axG",@progbits,_Z39paged_attention_ll4mi_QKV_mfma16_kernelI14__hip_bfloat16S0_LN4vllm18Fp8KVCacheDataTypeE0EhLi16ELi128ELi256ELb1ELi3EEvPKT_PKT0_S8_ifPKiSA_SA_iPKfiiiPfSD_PS3_PT2_iSC_SC_,comdat
.Lfunc_end602:
	.size	_Z39paged_attention_ll4mi_QKV_mfma16_kernelI14__hip_bfloat16S0_LN4vllm18Fp8KVCacheDataTypeE0EhLi16ELi128ELi256ELb1ELi3EEvPKT_PKT0_S8_ifPKiSA_SA_iPKfiiiPfSD_PS3_PT2_iSC_SC_, .Lfunc_end602-_Z39paged_attention_ll4mi_QKV_mfma16_kernelI14__hip_bfloat16S0_LN4vllm18Fp8KVCacheDataTypeE0EhLi16ELi128ELi256ELb1ELi3EEvPKT_PKT0_S8_ifPKiSA_SA_iPKfiiiPfSD_PS3_PT2_iSC_SC_
                                        ; -- End function
	.section	.AMDGPU.csdata,"",@progbits
; Kernel info:
; codeLenInByte = 5000
; NumSgprs: 48
; NumVgprs: 96
; NumAgprs: 0
; TotalNumVgprs: 96
; ScratchSize: 16
; MemoryBound: 0
; FloatMode: 240
; IeeeMode: 1
; LDSByteSize: 8192 bytes/workgroup (compile time only)
; SGPRBlocks: 5
; VGPRBlocks: 11
; NumSGPRsForWavesPerEU: 48
; NumVGPRsForWavesPerEU: 96
; AccumOffset: 96
; Occupancy: 5
; WaveLimiterHint : 1
; COMPUTE_PGM_RSRC2:SCRATCH_EN: 1
; COMPUTE_PGM_RSRC2:USER_SGPR: 2
; COMPUTE_PGM_RSRC2:TRAP_HANDLER: 0
; COMPUTE_PGM_RSRC2:TGID_X_EN: 1
; COMPUTE_PGM_RSRC2:TGID_Y_EN: 1
; COMPUTE_PGM_RSRC2:TGID_Z_EN: 1
; COMPUTE_PGM_RSRC2:TIDIG_COMP_CNT: 0
; COMPUTE_PGM_RSRC3_GFX90A:ACCUM_OFFSET: 23
; COMPUTE_PGM_RSRC3_GFX90A:TG_SPLIT: 0
	.section	.text._Z39paged_attention_ll4mi_QKV_mfma16_kernelI14__hip_bfloat16S0_LN4vllm18Fp8KVCacheDataTypeE0EhLi16ELi128ELi256ELb1ELi4EEvPKT_PKT0_S8_ifPKiSA_SA_iPKfiiiPfSD_PS3_PT2_iSC_SC_,"axG",@progbits,_Z39paged_attention_ll4mi_QKV_mfma16_kernelI14__hip_bfloat16S0_LN4vllm18Fp8KVCacheDataTypeE0EhLi16ELi128ELi256ELb1ELi4EEvPKT_PKT0_S8_ifPKiSA_SA_iPKfiiiPfSD_PS3_PT2_iSC_SC_,comdat
	.protected	_Z39paged_attention_ll4mi_QKV_mfma16_kernelI14__hip_bfloat16S0_LN4vllm18Fp8KVCacheDataTypeE0EhLi16ELi128ELi256ELb1ELi4EEvPKT_PKT0_S8_ifPKiSA_SA_iPKfiiiPfSD_PS3_PT2_iSC_SC_ ; -- Begin function _Z39paged_attention_ll4mi_QKV_mfma16_kernelI14__hip_bfloat16S0_LN4vllm18Fp8KVCacheDataTypeE0EhLi16ELi128ELi256ELb1ELi4EEvPKT_PKT0_S8_ifPKiSA_SA_iPKfiiiPfSD_PS3_PT2_iSC_SC_
	.globl	_Z39paged_attention_ll4mi_QKV_mfma16_kernelI14__hip_bfloat16S0_LN4vllm18Fp8KVCacheDataTypeE0EhLi16ELi128ELi256ELb1ELi4EEvPKT_PKT0_S8_ifPKiSA_SA_iPKfiiiPfSD_PS3_PT2_iSC_SC_
	.p2align	8
	.type	_Z39paged_attention_ll4mi_QKV_mfma16_kernelI14__hip_bfloat16S0_LN4vllm18Fp8KVCacheDataTypeE0EhLi16ELi128ELi256ELb1ELi4EEvPKT_PKT0_S8_ifPKiSA_SA_iPKfiiiPfSD_PS3_PT2_iSC_SC_,@function
_Z39paged_attention_ll4mi_QKV_mfma16_kernelI14__hip_bfloat16S0_LN4vllm18Fp8KVCacheDataTypeE0EhLi16ELi128ELi256ELb1ELi4EEvPKT_PKT0_S8_ifPKiSA_SA_iPKfiiiPfSD_PS3_PT2_iSC_SC_: ; @_Z39paged_attention_ll4mi_QKV_mfma16_kernelI14__hip_bfloat16S0_LN4vllm18Fp8KVCacheDataTypeE0EhLi16ELi128ELi256ELb1ELi4EEvPKT_PKT0_S8_ifPKiSA_SA_iPKfiiiPfSD_PS3_PT2_iSC_SC_
; %bb.0:
	s_load_dwordx2 s[8:9], s[0:1], 0x30
	s_mov_b32 s20, s3
	s_mov_b64 s[6:7], 0
	s_waitcnt lgkmcnt(0)
	s_cmp_lg_u64 s[8:9], 0
	s_cselect_b64 s[10:11], -1, 0
	s_and_b64 vcc, exec, s[10:11]
	s_cbranch_vccz .LBB603_7
; %bb.1:
	s_add_i32 s12, s2, 1
	s_mov_b32 s13, 0
	s_lshl_b64 s[14:15], s[12:13], 2
	s_add_u32 s14, s8, s14
	s_mov_b32 s3, s13
	s_addc_u32 s15, s9, s15
	s_lshl_b64 s[12:13], s[2:3], 2
	s_add_u32 s12, s8, s12
	s_addc_u32 s13, s9, s13
	s_load_dword s5, s[14:15], 0x0
	s_load_dword s16, s[12:13], 0x0
	s_waitcnt lgkmcnt(0)
	s_sub_i32 s5, s5, s16
	s_cmp_eq_u32 s5, 1
	s_cselect_b64 s[12:13], -1, 0
	s_andn2_b64 vcc, exec, s[6:7]
	s_cbranch_vccnz .LBB603_3
.LBB603_2:
	s_mov_b32 s3, 0
	s_mov_b64 s[12:13], -1
.LBB603_3:
	s_andn2_b64 vcc, exec, s[12:13]
	s_cbranch_vccnz .LBB603_19
; %bb.4:
	s_load_dwordx2 s[6:7], s[0:1], 0x28
	s_lshl_b64 s[12:13], s[2:3], 2
	s_waitcnt lgkmcnt(0)
	s_add_u32 s6, s6, s12
	s_addc_u32 s7, s7, s13
	s_load_dword s33, s[6:7], 0x0
	s_lshl_b32 s18, s20, 8
	s_waitcnt lgkmcnt(0)
	s_cmp_ge_i32 s18, s33
	s_cbranch_scc1 .LBB603_19
; %bb.5:
	s_load_dwordx2 s[6:7], s[0:1], 0x20
	s_load_dword s5, s[0:1], 0x38
	s_add_i32 s14, s33, 15
	s_ashr_i32 s15, s14, 31
	v_and_b32_e32 v1, 0xcf, v0
	s_lshr_b32 s15, s15, 28
	v_add_u32_e32 v1, s18, v1
	s_add_i32 s14, s14, s15
	v_ashrrev_i32_e32 v2, 31, v1
	s_ashr_i32 s19, s14, 4
	v_lshrrev_b32_e32 v4, 28, v2
	s_add_i32 s19, s19, -1
	s_waitcnt lgkmcnt(0)
	s_mul_i32 s14, s2, s5
	s_mov_b32 s15, 0
	v_add_u32_e32 v2, v1, v4
	s_lshl_b64 s[14:15], s[14:15], 2
	v_ashrrev_i32_e32 v2, 4, v2
	v_mov_b32_e32 v5, s19
	v_cmp_gt_i32_e32 vcc, s33, v1
	s_add_u32 s6, s6, s14
	s_addc_u32 s7, s7, s15
	v_cndmask_b32_e32 v2, v5, v2, vcc
	v_ashrrev_i32_e32 v3, 31, v2
	v_lshl_add_u64 v[6:7], v[2:3], 2, s[6:7]
	v_or_b32_e32 v2, 16, v1
	v_add_u32_e32 v3, v2, v4
	v_ashrrev_i32_e32 v3, 4, v3
	v_cmp_gt_i32_e32 vcc, s33, v2
	s_load_dwordx2 s[14:15], s[0:1], 0x8
	s_nop 0
	v_cndmask_b32_e32 v2, v5, v3, vcc
	v_ashrrev_i32_e32 v3, 31, v2
	v_lshl_add_u64 v[8:9], v[2:3], 2, s[6:7]
	v_or_b32_e32 v2, 32, v1
	v_add_u32_e32 v3, v2, v4
	v_ashrrev_i32_e32 v3, 4, v3
	v_cmp_gt_i32_e32 vcc, s33, v2
	v_or_b32_e32 v1, 48, v1
	s_nop 0
	v_cndmask_b32_e32 v2, v5, v3, vcc
	v_ashrrev_i32_e32 v3, 31, v2
	v_lshl_add_u64 v[10:11], v[2:3], 2, s[6:7]
	v_add_u32_e32 v2, v1, v4
	v_ashrrev_i32_e32 v2, 4, v2
	v_cmp_gt_i32_e32 vcc, s33, v1
	s_nop 1
	v_cndmask_b32_e32 v2, v5, v2, vcc
	v_ashrrev_i32_e32 v3, 31, v2
	v_lshl_add_u64 v[12:13], v[2:3], 2, s[6:7]
	global_load_dword v5, v[6:7], off
	global_load_dword v4, v[8:9], off
	;; [unrolled: 1-line block ×4, first 2 shown]
	s_andn2_b64 vcc, exec, s[10:11]
	s_cbranch_vccnz .LBB603_8
; %bb.6:
	s_add_u32 s8, s8, s12
	s_addc_u32 s9, s9, s13
	s_load_dword s5, s[8:9], 0x0
	s_branch .LBB603_9
.LBB603_7:
	s_mov_b64 s[12:13], 0
	s_branch .LBB603_2
.LBB603_8:
	s_mov_b32 s5, s2
.LBB603_9:
	v_bfe_u32 v93, v0, 4, 2
	s_lshl_b32 s21, s4, 2
	v_or_b32_e32 v6, s21, v93
	scratch_store_dword off, v6, off        ; 4-byte Folded Spill
	s_load_dwordx2 s[12:13], s[0:1], 0x10
	s_load_dwordx4 s[8:11], s[0:1], 0x48
	v_and_b32_e32 v94, 15, v0
	v_lshlrev_b32_e32 v7, 3, v94
	v_lshrrev_b32_e32 v90, 6, v0
	v_and_b32_e32 v6, 3, v0
	v_cmp_gt_u32_e64 s[22:23], 64, v0
	v_lshlrev_b32_e32 v82, 1, v7
	v_lshlrev_b32_e32 v1, 5, v93
	scratch_store_dword off, v1, off offset:4 ; 4-byte Folded Spill
	s_and_saveexec_b64 s[16:17], s[22:23]
	s_cbranch_execz .LBB603_11
; %bb.10:
	scratch_load_dword v7, off, off         ; 4-byte Folded Reload
	s_load_dwordx2 s[24:25], s[0:1], 0x0
	s_waitcnt lgkmcnt(0)
	s_ashr_i32 s11, s8, 31
	s_mul_hi_u32 s26, s5, s8
	s_mul_i32 s11, s5, s11
	s_add_i32 s27, s26, s11
	s_mul_i32 s26, s5, s8
	s_lshl_b64 s[26:27], s[26:27], 1
	s_add_u32 s24, s24, s26
	s_addc_u32 s25, s25, s27
	v_mov_b32_e32 v83, 0
	v_lshlrev_b32_e32 v1, 5, v93
	v_lshlrev_b32_e32 v13, 9, v94
	;; [unrolled: 1-line block ×3, first 2 shown]
	v_and_b32_e32 v13, 0x1800, v13
	s_waitcnt vmcnt(0)
	v_lshlrev_b32_e32 v8, 7, v7
	v_ashrrev_i32_e32 v9, 31, v8
	v_lshl_add_u64 v[8:9], v[8:9], 1, s[24:25]
	v_lshl_add_u64 v[8:9], v[8:9], 0, v[82:83]
	global_load_dwordx4 v[8:11], v[8:9], off
	v_lshl_or_b32 v7, v90, 7, v1
	v_or3_b32 v7, v13, v12, v7
	s_waitcnt vmcnt(0)
	ds_write_b128 v7, v[8:11]
.LBB603_11:
	s_or_b64 exec, exec, s[16:17]
	s_waitcnt lgkmcnt(0)
	s_mul_i32 s4, s4, s10
	s_mov_b32 s5, 0
	s_lshl_b64 s[4:5], s[4:5], 1
	s_add_u32 s10, s14, s4
	v_lshlrev_b32_e32 v1, 4, v0
	s_addc_u32 s11, s15, s5
	v_and_b32_e32 v84, 0xf0, v1
	v_mov_b32_e32 v85, 0
	v_lshl_add_u64 v[8:9], s[10:11], 0, v[84:85]
	s_waitcnt vmcnt(5)
	v_mad_i64_i32 v[10:11], s[10:11], v5, s9, 0
	s_waitcnt vmcnt(4)
	v_mad_i64_i32 v[4:5], s[10:11], v4, s9, 0
	v_lshl_add_u64 v[10:11], v[10:11], 1, v[8:9]
	v_and_b32_e32 v84, 0x300, v1
	v_lshl_add_u64 v[4:5], v[4:5], 1, v[8:9]
	v_lshl_add_u64 v[10:11], v[10:11], 0, v[84:85]
	;; [unrolled: 1-line block ×3, first 2 shown]
	s_barrier
	global_load_dwordx4 v[78:81], v[10:11], off
	global_load_dwordx4 v[74:77], v[10:11], off offset:1024
	global_load_dwordx4 v[70:73], v[10:11], off offset:2048
	;; [unrolled: 1-line block ×3, first 2 shown]
	global_load_dwordx4 v[66:69], v[4:5], off
	global_load_dwordx4 v[62:65], v[4:5], off offset:1024
	global_load_dwordx4 v[58:61], v[4:5], off offset:2048
	;; [unrolled: 1-line block ×3, first 2 shown]
	s_waitcnt vmcnt(11)
	v_mad_i64_i32 v[4:5], s[10:11], v3, s9, 0
	s_waitcnt vmcnt(10)
	v_mad_i64_i32 v[2:3], s[10:11], v2, s9, 0
	v_lshl_add_u64 v[4:5], v[4:5], 1, v[8:9]
	v_lshl_add_u64 v[2:3], v[2:3], 1, v[8:9]
	;; [unrolled: 1-line block ×4, first 2 shown]
	global_load_dwordx4 v[54:57], v[4:5], off
	global_load_dwordx4 v[30:33], v[4:5], off offset:1024
	global_load_dwordx4 v[26:29], v[4:5], off offset:2048
	global_load_dwordx4 v[18:21], v[4:5], off offset:3072
	global_load_dwordx4 v[10:13], v[8:9], off
	s_nop 0
	global_load_dwordx4 v[2:5], v[8:9], off offset:1024
	global_load_dwordx4 v[42:45], v[8:9], off offset:2048
	;; [unrolled: 1-line block ×3, first 2 shown]
	v_lshlrev_b32_e32 v6, 5, v6
	v_lshl_or_b32 v38, v93, 9, v6
	ds_read_b128 v[50:53], v38
	ds_read_b128 v[6:9], v38 offset:2048
	ds_read_b128 v[46:49], v38 offset:4096
	;; [unrolled: 1-line block ×3, first 2 shown]
	v_and_b32_e32 v1, 63, v0
	v_cmp_gt_u32_e32 vcc, 4, v94
	v_mov_b32_e32 v92, 0
	s_and_saveexec_b64 s[10:11], vcc
	s_cbranch_execz .LBB603_13
; %bb.12:
	s_load_dwordx2 s[14:15], s[0:1], 0x40
	v_or_b32_e32 v86, s21, v94
	v_ashrrev_i32_e32 v87, 31, v86
	s_waitcnt lgkmcnt(0)
	v_lshl_add_u64 v[86:87], v[86:87], 2, s[14:15]
	global_load_dword v92, v[86:87], off
.LBB603_13:
	s_or_b64 exec, exec, s[10:11]
	s_waitcnt vmcnt(15) lgkmcnt(3)
	v_mfma_f32_16x16x16_bf16 v[86:89], v[78:79], v[50:51], 0
	s_add_u32 s4, s12, s4
	v_lshl_or_b32 v91, v90, 4, v94
	s_addc_u32 s5, s13, s5
	v_mfma_f32_16x16x16_bf16 v[78:81], v[80:81], v[52:53], v[86:89]
	v_lshlrev_b32_e32 v84, 5, v91
	s_mov_b32 s42, 0xff7fffff
	s_waitcnt vmcnt(14) lgkmcnt(2)
	v_mfma_f32_16x16x16_bf16 v[78:81], v[74:75], v[6:7], v[78:81]
	v_mfma_f32_16x16x16_bf16 v[74:77], v[76:77], v[8:9], v[78:81]
	s_waitcnt vmcnt(13) lgkmcnt(1)
	v_mfma_f32_16x16x16_bf16 v[74:77], v[70:71], v[46:47], v[74:77]
	v_mfma_f32_16x16x16_bf16 v[70:73], v[72:73], v[48:49], v[74:77]
	s_waitcnt vmcnt(11)
	v_mfma_f32_16x16x16_bf16 v[74:77], v[66:67], v[50:51], 0
	v_mfma_f32_16x16x16_bf16 v[66:69], v[68:69], v[52:53], v[74:77]
	s_nop 5
	v_and_or_b32 v74, v0, 48, s18
	s_waitcnt lgkmcnt(0)
	v_mfma_f32_16x16x16_bf16 v[70:73], v[14:15], v[38:39], v[70:73]
	v_ashrrev_i32_e32 v14, 4, v74
	v_mov_b32_e32 v75, s19
	v_cmp_gt_i32_e32 vcc, s33, v74
	s_waitcnt vmcnt(10)
	v_mfma_f32_16x16x16_bf16 v[66:69], v[62:63], v[6:7], v[66:69]
	v_cndmask_b32_e32 v14, v75, v14, vcc
	v_ashrrev_i32_e32 v15, 31, v14
	v_lshl_add_u64 v[14:15], v[14:15], 2, s[6:7]
	global_load_dword v76, v[14:15], off
	v_mfma_f32_16x16x16_bf16 v[62:65], v[64:65], v[8:9], v[66:69]
	v_or_b32_e32 v14, 64, v74
	v_ashrrev_i32_e32 v15, 4, v14
	v_cmp_gt_i32_e32 vcc, s33, v14
	s_waitcnt vmcnt(10)
	v_mfma_f32_16x16x16_bf16 v[62:65], v[58:59], v[46:47], v[62:65]
	v_cndmask_b32_e32 v14, v75, v15, vcc
	v_ashrrev_i32_e32 v15, 31, v14
	v_lshl_add_u64 v[14:15], v[14:15], 2, s[6:7]
	global_load_dword v77, v[14:15], off
	v_or_b32_e32 v14, 0x80, v74
	v_mfma_f32_16x16x16_bf16 v[58:61], v[60:61], v[48:49], v[62:65]
	v_ashrrev_i32_e32 v15, 4, v14
	v_cmp_gt_i32_e32 vcc, s33, v14
	s_waitcnt vmcnt(9)
	v_mfma_f32_16x16x16_bf16 v[62:65], v[54:55], v[50:51], 0
	v_cndmask_b32_e32 v14, v75, v15, vcc
	v_ashrrev_i32_e32 v15, 31, v14
	v_lshl_add_u64 v[14:15], v[14:15], 2, s[6:7]
	v_mfma_f32_16x16x16_bf16 v[54:57], v[56:57], v[52:53], v[62:65]
	s_nop 2
	global_load_dword v62, v[14:15], off
	v_or_b32_e32 v14, 0xc0, v74
	v_ashrrev_i32_e32 v15, 4, v14
	v_cmp_gt_i32_e32 vcc, s33, v14
	s_waitcnt vmcnt(9)
	v_mfma_f32_16x16x16_bf16 v[54:57], v[30:31], v[6:7], v[54:57]
	v_cndmask_b32_e32 v14, v75, v15, vcc
	v_ashrrev_i32_e32 v15, 31, v14
	v_lshl_add_u64 v[14:15], v[14:15], 2, s[6:7]
	global_load_dword v78, v[14:15], off
	v_mfma_f32_16x16x16_bf16 v[30:33], v[32:33], v[8:9], v[54:57]
	v_lshl_add_u64 v[74:75], s[4:5], 0, v[84:85]
	s_load_dword s6, s[0:1], 0x1c
	v_or_b32_e32 v84, 0x800, v84
	s_waitcnt vmcnt(9)
	v_mfma_f32_16x16x16_bf16 v[30:33], v[26:27], v[46:47], v[30:33]
	s_waitcnt vmcnt(3)
	v_mad_i64_i32 v[14:15], s[10:11], v76, s9, 0
	v_mfma_f32_16x16x16_bf16 v[54:57], v[22:23], v[38:39], v[58:61]
	v_mfma_f32_16x16x16_bf16 v[58:61], v[16:17], v[40:41], v[70:73]
	;; [unrolled: 1-line block ×3, first 2 shown]
	s_nop 4
	v_lshlrev_b64 v[56:57], 1, v[14:15]
	v_mfma_f32_16x16x16_bf16 v[14:17], v[28:29], v[48:49], v[30:33]
	v_lshl_add_u64 v[22:23], v[74:75], 0, v[56:57]
	s_nop 1
	global_load_dwordx4 v[30:33], v[22:23], off
	global_load_dwordx4 v[26:29], v[22:23], off offset:16
	s_waitcnt lgkmcnt(0)
	v_pk_mul_f32 v[80:81], s[6:7], v[60:61] op_sel_hi:[0,1]
	v_mfma_f32_16x16x16_bf16 v[14:17], v[18:19], v[38:39], v[14:17]
	s_waitcnt vmcnt(4)
	v_mad_i64_i32 v[18:19], s[10:11], v77, s9, 0
	v_lshlrev_b64 v[54:55], 1, v[18:19]
	v_mfma_f32_16x16x16_bf16 v[70:73], v[20:21], v[40:41], v[14:17]
	v_pk_mul_f32 v[66:67], s[6:7], v[66:67] op_sel_hi:[0,1]
	s_nop 1
	v_lshl_add_u64 v[14:15], v[74:75], 0, v[54:55]
	global_load_dwordx4 v[22:25], v[14:15], off
	global_load_dwordx4 v[18:21], v[14:15], off offset:16
	v_mfma_f32_16x16x16_bf16 v[14:17], v[10:11], v[50:51], 0
	s_waitcnt vmcnt(5)
	v_mad_i64_i32 v[10:11], s[10:11], v62, s9, 0
	v_lshlrev_b64 v[50:51], 1, v[10:11]
	v_mfma_f32_16x16x16_bf16 v[62:65], v[12:13], v[52:53], v[14:17]
	v_lshl_add_u64 v[10:11], v[74:75], 0, v[50:51]
	s_nop 1
	global_load_dwordx4 v[14:17], v[10:11], off
	s_nop 0
	global_load_dwordx4 v[10:13], v[10:11], off offset:16
	v_mfma_f32_16x16x16_bf16 v[62:65], v[2:3], v[6:7], v[62:65]
	s_waitcnt vmcnt(6)
	v_mad_i64_i32 v[2:3], s[8:9], v78, s9, 0
	v_lshlrev_b64 v[52:53], 1, v[2:3]
	v_mfma_f32_16x16x16_bf16 v[62:65], v[4:5], v[8:9], v[62:65]
	v_lshl_add_u64 v[2:3], v[74:75], 0, v[52:53]
	global_load_dwordx4 v[6:9], v[2:3], off
	s_nop 0
	global_load_dwordx4 v[2:5], v[2:3], off offset:16
	v_mfma_f32_16x16x16_bf16 v[74:77], v[42:43], v[46:47], v[62:65]
	v_mfma_f32_16x16x16_bf16 v[44:47], v[44:45], v[48:49], v[74:77]
	s_nop 1
	v_pk_mul_f32 v[62:63], s[6:7], v[58:59] op_sel_hi:[0,1]
	v_lshl_add_u64 v[64:65], s[4:5], 0, v[84:85]
	v_lshl_add_u64 v[42:43], v[64:65], 0, v[56:57]
	v_mfma_f32_16x16x16_bf16 v[44:47], v[34:35], v[38:39], v[44:47]
	v_pk_mul_f32 v[74:75], s[6:7], v[68:69] op_sel_hi:[0,1]
	v_pk_mul_f32 v[68:69], s[6:7], v[70:71] op_sel_hi:[0,1]
	;; [unrolled: 1-line block ×3, first 2 shown]
	v_mfma_f32_16x16x16_bf16 v[34:37], v[36:37], v[40:41], v[44:47]
	v_lshl_add_u64 v[50:51], v[64:65], 0, v[50:51]
	s_nop 5
	v_pk_mul_f32 v[70:71], s[6:7], v[34:35] op_sel_hi:[0,1]
	v_and_b32_e32 v34, 0xc0, v0
	v_add_u32_e32 v34, s18, v34
	v_lshl_or_b32 v34, v93, 2, v34
	v_or_b32_e32 v35, 1, v34
	v_pk_mul_f32 v[78:79], s[6:7], v[36:37] op_sel_hi:[0,1]
	v_subrev_u32_e32 v36, s33, v35
	v_add_u32_e32 v38, 1, v36
	v_add_u32_e32 v39, 2, v36
	v_cvt_f32_i32_e32 v37, v36
	v_cvt_f32_i32_e32 v38, v38
	;; [unrolled: 1-line block ×3, first 2 shown]
	v_add_u32_e32 v40, 3, v36
	v_fma_f32 v62, v92, v37, v62
	v_fmac_f32_e32 v63, v92, v38
	v_fma_f32 v80, v92, v39, v80
	v_add_u32_e32 v37, 16, v36
	v_add_u32_e32 v38, 17, v36
	;; [unrolled: 1-line block ×3, first 2 shown]
	v_cvt_f32_i32_e32 v40, v40
	v_cvt_f32_i32_e32 v37, v37
	;; [unrolled: 1-line block ×4, first 2 shown]
	v_fmac_f32_e32 v81, v92, v40
	v_add_u32_e32 v40, 19, v36
	v_fma_f32 v66, v92, v37, v66
	v_fmac_f32_e32 v67, v92, v38
	v_fma_f32 v74, v92, v39, v74
	v_add_u32_e32 v37, 32, v36
	v_add_u32_e32 v38, 33, v36
	v_add_u32_e32 v39, 34, v36
	v_cvt_f32_i32_e32 v40, v40
	v_cvt_f32_i32_e32 v37, v37
	;; [unrolled: 1-line block ×4, first 2 shown]
	v_fmac_f32_e32 v75, v92, v40
	v_add_u32_e32 v40, 35, v36
	v_fma_f32 v68, v92, v37, v68
	v_fmac_f32_e32 v69, v92, v38
	v_fma_f32 v76, v92, v39, v76
	v_add_u32_e32 v37, 48, v36
	v_add_u32_e32 v38, 49, v36
	;; [unrolled: 1-line block ×4, first 2 shown]
	v_cvt_f32_i32_e32 v36, v36
	v_cvt_f32_i32_e32 v37, v37
	;; [unrolled: 1-line block ×3, first 2 shown]
	v_cmp_gt_i32_e64 s[4:5], s33, v34
	v_fmac_f32_e32 v79, v92, v36
	v_mov_b32_e32 v36, 0xff7fffff
	v_cmp_gt_i32_e64 s[24:25], s33, v35
	v_fma_f32 v70, v92, v37, v70
	v_cndmask_b32_e64 v37, v36, v62, s[4:5]
	v_cndmask_b32_e64 v35, v36, v63, s[24:25]
	v_fmac_f32_e32 v71, v92, v38
	v_max3_f32 v35, v37, s42, v35
	v_or_b32_e32 v37, 2, v34
	v_or_b32_e32 v38, 3, v34
	v_cmp_gt_i32_e64 s[26:27], s33, v37
	v_cmp_gt_i32_e64 s[28:29], s33, v38
	v_cvt_f32_i32_e32 v40, v40
	v_cndmask_b32_e64 v37, v36, v80, s[26:27]
	v_cndmask_b32_e64 v38, v36, v81, s[28:29]
	v_max3_f32 v35, v35, v37, v38
	v_or_b32_e32 v37, 16, v34
	v_or_b32_e32 v38, 17, v34
	v_cmp_gt_i32_e64 s[30:31], s33, v37
	v_cmp_gt_i32_e64 s[34:35], s33, v38
	v_fmac_f32_e32 v77, v92, v40
	v_cndmask_b32_e64 v37, v36, v66, s[30:31]
	v_cndmask_b32_e64 v38, v36, v67, s[34:35]
	v_max3_f32 v35, v35, v37, v38
	v_or_b32_e32 v37, 18, v34
	v_or_b32_e32 v38, 19, v34
	v_cmp_gt_i32_e64 s[36:37], s33, v37
	v_cmp_gt_i32_e64 s[38:39], s33, v38
	v_cvt_f32_i32_e32 v39, v39
	v_cndmask_b32_e64 v37, v36, v74, s[36:37]
	v_cndmask_b32_e64 v38, v36, v75, s[38:39]
	v_max3_f32 v35, v35, v37, v38
	v_or_b32_e32 v37, 32, v34
	v_or_b32_e32 v38, 33, v34
	v_cmp_gt_i32_e64 s[16:17], s33, v37
	v_cmp_gt_i32_e64 s[18:19], s33, v38
	v_fma_f32 v78, v92, v39, v78
	v_cndmask_b32_e64 v37, v36, v68, s[16:17]
	v_cndmask_b32_e64 v38, v36, v69, s[18:19]
	v_max3_f32 v35, v35, v37, v38
	v_or_b32_e32 v37, 34, v34
	v_or_b32_e32 v38, 35, v34
	v_cmp_gt_i32_e64 s[12:13], s33, v37
	v_cmp_gt_i32_e64 s[14:15], s33, v38
	s_nop 0
	v_cndmask_b32_e64 v37, v36, v76, s[12:13]
	v_cndmask_b32_e64 v38, v36, v77, s[14:15]
	v_max3_f32 v35, v35, v37, v38
	v_or_b32_e32 v37, 48, v34
	v_or_b32_e32 v38, 49, v34
	v_cmp_gt_i32_e64 s[8:9], s33, v37
	v_cmp_gt_i32_e64 s[10:11], s33, v38
	s_nop 0
	v_cndmask_b32_e64 v37, v36, v70, s[8:9]
	v_cndmask_b32_e64 v38, v36, v71, s[10:11]
	v_max3_f32 v35, v35, v37, v38
	v_or_b32_e32 v37, 50, v34
	v_or_b32_e32 v34, 51, v34
	v_cmp_gt_i32_e32 vcc, s33, v37
	v_cmp_gt_i32_e64 s[6:7], s33, v34
	global_load_dwordx4 v[46:49], v[42:43], off
	global_load_dwordx4 v[38:41], v[42:43], off offset:16
	v_cndmask_b32_e32 v37, v36, v78, vcc
	v_cndmask_b32_e64 v34, v36, v79, s[6:7]
	v_max3_f32 v56, v35, v37, v34
	v_mbcnt_lo_u32_b32 v34, -1, 0
	v_mbcnt_hi_u32_b32 v57, -1, v34
	v_and_b32_e32 v34, 64, v57
	v_add_u32_e32 v58, 64, v34
	v_xor_b32_e32 v34, 32, v57
	v_cmp_lt_i32_e64 s[40:41], v34, v58
	s_nop 1
	v_cndmask_b32_e64 v34, v57, v34, s[40:41]
	v_lshlrev_b32_e32 v86, 2, v34
	ds_bpermute_b32 v59, v86, v56
	v_lshl_add_u64 v[34:35], v[64:65], 0, v[54:55]
	global_load_dwordx4 v[42:45], v[34:35], off
	s_nop 0
	global_load_dwordx4 v[34:37], v[34:35], off offset:16
	s_waitcnt lgkmcnt(0)
	v_max_f32_e32 v54, v59, v59
	v_max_f32_e32 v72, v56, v54
	v_xor_b32_e32 v54, 16, v57
	v_cmp_lt_i32_e64 s[40:41], v54, v58
	s_nop 1
	v_cndmask_b32_e64 v54, v57, v54, s[40:41]
	v_lshlrev_b32_e32 v85, 2, v54
	ds_bpermute_b32 v73, v85, v72
	global_load_dwordx4 v[58:61], v[50:51], off
	global_load_dwordx4 v[54:57], v[50:51], off offset:16
	v_lshl_add_u64 v[50:51], v[64:65], 0, v[52:53]
	s_waitcnt lgkmcnt(0)
	v_max_f32_e32 v52, v73, v73
	v_max_f32_e32 v84, v72, v52
	v_sub_f32_e32 v52, v62, v84
	v_mul_f32_e32 v52, 0x3fb8aa3b, v52
	v_exp_f32_e32 v72, v52
	v_sub_f32_e32 v52, v63, v84
	v_mul_f32_e32 v52, 0x3fb8aa3b, v52
	v_exp_f32_e32 v73, v52
	global_load_dwordx4 v[62:65], v[50:51], off
	s_nop 0
	global_load_dwordx4 v[50:53], v[50:51], off offset:16
	v_sub_f32_e32 v80, v80, v84
	v_mul_f32_e32 v80, 0x3fb8aa3b, v80
	v_sub_f32_e32 v81, v81, v84
	v_exp_f32_e32 v80, v80
	v_mul_f32_e32 v81, 0x3fb8aa3b, v81
	v_sub_f32_e32 v66, v66, v84
	v_exp_f32_e32 v81, v81
	v_mul_f32_e32 v66, 0x3fb8aa3b, v66
	v_sub_f32_e32 v67, v67, v84
	v_cndmask_b32_e64 v72, 0, v72, s[4:5]
	v_exp_f32_e32 v66, v66
	v_mul_f32_e32 v67, 0x3fb8aa3b, v67
	v_sub_f32_e32 v74, v74, v84
	v_add_f32_e32 v87, 0, v72
	v_cndmask_b32_e64 v73, 0, v73, s[24:25]
	v_exp_f32_e32 v67, v67
	v_mul_f32_e32 v74, 0x3fb8aa3b, v74
	v_sub_f32_e32 v75, v75, v84
	v_add_f32_e32 v87, v87, v73
	;; [unrolled: 5-line block ×10, first 2 shown]
	v_cndmask_b32_e64 v76, 0, v76, s[12:13]
	v_exp_f32_e32 v78, v78
	v_mul_f32_e32 v79, 0x3fb8aa3b, v79
	v_add_f32_e32 v87, v87, v76
	v_cndmask_b32_e64 v77, 0, v77, s[14:15]
	v_exp_f32_e32 v79, v79
	v_add_f32_e32 v87, v87, v77
	v_cndmask_b32_e64 v70, 0, v70, s[8:9]
	v_add_f32_e32 v87, v87, v70
	v_cndmask_b32_e64 v71, 0, v71, s[10:11]
	v_add_f32_e32 v87, v87, v71
	v_cndmask_b32_e32 v78, 0, v78, vcc
	v_add_f32_e32 v87, v87, v78
	v_cndmask_b32_e64 v79, 0, v79, s[6:7]
	v_add_f32_e32 v92, v87, v79
	ds_bpermute_b32 v93, v86, v92
	s_load_dword s7, s[0:1], 0x98
	v_cmp_gt_u32_e32 vcc, 16, v1
	s_waitcnt lgkmcnt(0)
	s_barrier
	v_add_f32_e32 v92, v92, v93
	ds_bpermute_b32 v85, v85, v92
	s_waitcnt lgkmcnt(0)
	s_and_saveexec_b64 s[4:5], vcc
	s_cbranch_execz .LBB603_15
; %bb.14:
	v_add_f32_e32 v85, v92, v85
	v_lshlrev_b32_e32 v86, 2, v91
	ds_write2st64_b32 v86, v84, v85 offset1:1
.LBB603_15:
	s_or_b64 exec, exec, s[4:5]
	v_lshlrev_b32_e32 v85, 2, v94
	s_load_dword s6, s[0:1], 0x94
	s_waitcnt lgkmcnt(0)
	s_barrier
	ds_read2_b32 v[86:87], v85 offset1:16
	ds_read2_b32 v[88:89], v85 offset0:32 offset1:48
	ds_read2_b32 v[92:93], v85 offset0:64 offset1:80
	v_mov_b32_e32 v1, v94
	s_movk_i32 s8, 0x7fff
	s_waitcnt lgkmcnt(2)
	v_max3_f32 v84, v86, s42, v87
	s_waitcnt lgkmcnt(1)
	v_max3_f32 v84, v84, v88, v89
	v_sub_f32_e32 v86, v86, v84
	v_mul_f32_e32 v86, 0x3fb8aa3b, v86
	v_exp_f32_e32 v91, v86
	v_sub_f32_e32 v86, v87, v84
	v_mul_f32_e32 v86, 0x3fb8aa3b, v86
	v_exp_f32_e32 v95, v86
	;; [unrolled: 3-line block ×3, first 2 shown]
	ds_read2_b32 v[86:87], v85 offset0:96 offset1:112
	v_sub_f32_e32 v85, v89, v84
	v_mul_f32_e32 v85, 0x3fb8aa3b, v85
	v_exp_f32_e32 v89, v85
	s_waitcnt lgkmcnt(1)
	v_fma_f32 v85, v91, v92, 0
	v_fmac_f32_e32 v85, v95, v93
	s_waitcnt lgkmcnt(0)
	v_fmac_f32_e32 v85, v88, v86
	v_fmac_f32_e32 v85, v89, v87
	v_add_f32_e32 v86, 0x358637bd, v85
	v_div_scale_f32 v87, s[4:5], v86, v86, 1.0
	v_rcp_f32_e32 v92, v87
	s_mov_b32 s9, 0x7060302
	s_barrier
	v_fma_f32 v93, -v87, v92, 1.0
	v_fmac_f32_e32 v92, v93, v92
	v_div_scale_f32 v93, vcc, 1.0, v86, 1.0
	v_mul_f32_e32 v83, v93, v92
	v_fma_f32 v94, -v87, v83, v93
	v_fmac_f32_e32 v83, v94, v92
	v_fma_f32 v87, -v87, v83, v93
	v_div_fmas_f32 v83, v87, v92, v83
	v_cmp_eq_u32_e32 vcc, 1, v90
	v_div_fixup_f32 v83, v83, v86, 1.0
	v_mov_b32_e32 v94, v1
	v_cndmask_b32_e32 v86, v91, v95, vcc
	v_cmp_eq_u32_e32 vcc, 2, v90
	v_bfe_u32 v1, v0, 4, 2
	s_nop 0
	v_cndmask_b32_e32 v86, v86, v88, vcc
	v_cmp_eq_u32_e32 vcc, 3, v90
	s_lshl_b32 s7, s7, 2
	s_nop 0
	v_cndmask_b32_e32 v86, v86, v89, vcc
	v_mul_f32_e32 v86, v86, v83
	v_pk_mul_f32 v[72:73], v[86:87], v[72:73] op_sel_hi:[0,1]
	v_pk_mul_f32 v[80:81], v[86:87], v[80:81] op_sel_hi:[0,1]
	v_bfe_u32 v83, v73, 16, 1
	v_bfe_u32 v87, v72, 16, 1
	v_add3_u32 v72, v72, v87, s8
	v_add3_u32 v73, v73, v83, s8
	v_perm_b32 v88, v73, v72, s9
	v_bfe_u32 v72, v81, 16, 1
	v_bfe_u32 v73, v80, 16, 1
	v_add3_u32 v73, v80, v73, s8
	v_add3_u32 v72, v81, v72, s8
	v_perm_b32 v89, v72, v73, s9
	v_lshlrev_b32_e32 v73, 3, v1
	v_lshlrev_b32_e32 v72, 5, v94
	;; [unrolled: 1-line block ×3, first 2 shown]
	v_pk_mul_f32 v[66:67], v[86:87], v[66:67] op_sel_hi:[0,1]
	v_or3_b32 v80, v80, v72, v73
	v_bfe_u32 v73, v67, 16, 1
	v_bfe_u32 v81, v66, 16, 1
	v_pk_mul_f32 v[74:75], v[86:87], v[74:75] op_sel_hi:[0,1]
	v_add3_u32 v66, v66, v81, s8
	v_add3_u32 v67, v67, v73, s8
	v_perm_b32 v66, v67, v66, s9
	v_bfe_u32 v67, v75, 16, 1
	v_bfe_u32 v73, v74, 16, 1
	v_add3_u32 v73, v74, v73, s8
	v_add3_u32 v67, v75, v67, s8
	v_pk_mul_f32 v[68:69], v[86:87], v[68:69] op_sel_hi:[0,1]
	v_perm_b32 v67, v67, v73, s9
	v_bfe_u32 v73, v69, 16, 1
	v_bfe_u32 v74, v68, 16, 1
	ds_write2st64_b64 v80, v[88:89], v[66:67] offset1:1
	v_pk_mul_f32 v[66:67], v[86:87], v[76:77] op_sel_hi:[0,1]
	v_add3_u32 v68, v68, v74, s8
	v_add3_u32 v69, v69, v73, s8
	v_perm_b32 v68, v69, v68, s9
	v_bfe_u32 v69, v67, 16, 1
	v_bfe_u32 v73, v66, 16, 1
	v_pk_mul_f32 v[70:71], v[86:87], v[70:71] op_sel_hi:[0,1]
	v_add3_u32 v66, v66, v73, s8
	v_add3_u32 v67, v67, v69, s8
	v_bfe_u32 v73, v71, 16, 1
	v_bfe_u32 v74, v70, 16, 1
	v_perm_b32 v69, v67, v66, s9
	v_pk_mul_f32 v[66:67], v[86:87], v[78:79] op_sel_hi:[0,1]
	v_add3_u32 v70, v70, v74, s8
	v_add3_u32 v71, v71, v73, s8
	v_perm_b32 v70, v71, v70, s9
	v_bfe_u32 v71, v67, 16, 1
	v_bfe_u32 v73, v66, 16, 1
	v_add3_u32 v66, v66, v73, s8
	v_add3_u32 v67, v67, v71, s8
	v_perm_b32 v71, v67, v66, s9
	v_cmp_gt_u32_e32 vcc, 4, v0
	ds_write2st64_b64 v80, v[68:69], v[70:71] offset0:2 offset1:3
	s_and_saveexec_b64 s[4:5], vcc
	s_cbranch_execz .LBB603_17
; %bb.16:
	v_or_b32_e32 v66, s21, v0
	v_mov_b32_e32 v67, 0
	v_mov_b32_e32 v68, s7
	v_mad_u64_u32 v[68:69], s[10:11], s2, v68, v[66:67]
	v_mov_b32_e32 v66, s20
	s_load_dwordx4 s[12:15], s[0:1], 0x58
	s_mul_i32 s3, s3, s7
	v_mad_u64_u32 v[66:67], s[10:11], v68, s6, v[66:67]
	v_add_u32_e32 v69, s3, v69
	v_mov_b32_e32 v68, v67
	v_mad_u64_u32 v[68:69], s[10:11], v69, s6, v[68:69]
	v_mov_b32_e32 v67, v68
	v_lshlrev_b64 v[66:67], 2, v[66:67]
	s_waitcnt lgkmcnt(0)
	v_lshl_add_u64 v[68:69], s[14:15], 0, v[66:67]
	v_lshl_add_u64 v[66:67], s[12:13], 0, v[66:67]
	global_store_dword v[68:69], v84, off
	global_store_dword v[66:67], v85, off
.LBB603_17:
	s_or_b64 exec, exec, s[4:5]
	v_lshl_or_b32 v1, v1, 9, v72
	s_waitcnt lgkmcnt(0)
	s_barrier
	ds_read_b128 v[70:73], v1
	ds_read_b128 v[66:69], v1 offset:16
	s_waitcnt vmcnt(15) lgkmcnt(1)
	v_mfma_f32_16x16x16_bf16 v[74:77], v[30:31], v[70:71], 0
	s_mov_b32 s3, 0
	v_mfma_f32_16x16x16_bf16 v[30:33], v[32:33], v[72:73], v[74:77]
	s_waitcnt vmcnt(14) lgkmcnt(0)
	v_mfma_f32_16x16x16_bf16 v[30:33], v[26:27], v[66:67], v[30:33]
	v_mfma_f32_16x16x16_bf16 v[26:29], v[28:29], v[68:69], v[30:33]
	s_nop 5
	ds_read_b128 v[30:33], v1 offset:2048
	ds_read_b128 v[74:77], v1 offset:2064
	s_waitcnt vmcnt(13) lgkmcnt(1)
	v_mfma_f32_16x16x16_bf16 v[26:29], v[22:23], v[30:31], v[26:29]
	v_mfma_f32_16x16x16_bf16 v[22:25], v[24:25], v[32:33], v[26:29]
	s_waitcnt vmcnt(12) lgkmcnt(0)
	v_mfma_f32_16x16x16_bf16 v[22:25], v[18:19], v[74:75], v[22:25]
	v_mfma_f32_16x16x16_bf16 v[18:21], v[20:21], v[76:77], v[22:25]
	s_nop 5
	ds_read_b128 v[22:25], v1 offset:4096
	ds_read_b128 v[26:29], v1 offset:4112
	s_waitcnt vmcnt(11) lgkmcnt(1)
	v_mfma_f32_16x16x16_bf16 v[18:21], v[14:15], v[22:23], v[18:21]
	v_mfma_f32_16x16x16_bf16 v[14:17], v[16:17], v[24:25], v[18:21]
	s_waitcnt vmcnt(10) lgkmcnt(0)
	v_mfma_f32_16x16x16_bf16 v[14:17], v[10:11], v[26:27], v[14:17]
	v_mfma_f32_16x16x16_bf16 v[10:13], v[12:13], v[28:29], v[14:17]
	s_nop 5
	ds_read_b128 v[14:17], v1 offset:6144
	ds_read_b128 v[18:21], v1 offset:6160
	s_waitcnt lgkmcnt(0)
	s_barrier
	s_waitcnt vmcnt(9)
	v_mfma_f32_16x16x16_bf16 v[10:13], v[6:7], v[14:15], v[10:13]
	v_mfma_f32_16x16x16_bf16 v[6:9], v[8:9], v[16:17], v[10:13]
	s_waitcnt vmcnt(8)
	v_mfma_f32_16x16x16_bf16 v[6:9], v[2:3], v[18:19], v[6:9]
	v_mfma_f32_16x16x16_bf16 v[2:5], v[4:5], v[20:21], v[6:9]
	;; [unrolled: 3-line block ×3, first 2 shown]
	s_nop 3
	v_bfe_u32 v1, v3, 16, 1
	v_bfe_u32 v10, v2, 16, 1
	v_add3_u32 v2, v2, v10, s8
	s_waitcnt vmcnt(6)
	v_mfma_f32_16x16x16_bf16 v[6:9], v[38:39], v[66:67], v[6:9]
	v_add3_u32 v1, v3, v1, s8
	v_perm_b32 v10, v1, v2, s9
	v_bfe_u32 v1, v5, 16, 1
	v_mfma_f32_16x16x16_bf16 v[6:9], v[40:41], v[68:69], v[6:9]
	v_bfe_u32 v2, v4, 16, 1
	v_add3_u32 v2, v4, v2, s8
	v_add3_u32 v1, v5, v1, s8
	s_waitcnt vmcnt(5)
	v_mfma_f32_16x16x16_bf16 v[6:9], v[42:43], v[30:31], v[6:9]
	v_perm_b32 v11, v1, v2, s9
	v_mfma_f32_16x16x16_bf16 v[6:9], v[44:45], v[32:33], v[6:9]
	s_waitcnt vmcnt(4)
	v_mfma_f32_16x16x16_bf16 v[6:9], v[34:35], v[74:75], v[6:9]
	v_mfma_f32_16x16x16_bf16 v[6:9], v[36:37], v[76:77], v[6:9]
	s_waitcnt vmcnt(3)
	v_mfma_f32_16x16x16_bf16 v[6:9], v[58:59], v[22:23], v[6:9]
	;; [unrolled: 3-line block ×5, first 2 shown]
	v_mfma_f32_16x16x16_bf16 v[2:5], v[52:53], v[20:21], v[6:9]
	s_nop 6
	v_bfe_u32 v1, v3, 16, 1
	v_bfe_u32 v6, v2, 16, 1
	v_add3_u32 v2, v2, v6, s8
	v_add3_u32 v1, v3, v1, s8
	v_perm_b32 v2, v1, v2, s9
	v_bfe_u32 v1, v5, 16, 1
	v_bfe_u32 v3, v4, 16, 1
	v_add3_u32 v3, v4, v3, s8
	v_add3_u32 v1, v5, v1, s8
	v_perm_b32 v3, v1, v3, s9
	ds_write2st64_b64 v80, v[10:11], v[2:3] offset1:1
	s_waitcnt lgkmcnt(0)
	s_barrier
	s_and_saveexec_b64 s[4:5], s[22:23]
	s_cbranch_execz .LBB603_19
; %bb.18:
	v_lshlrev_b32_e32 v2, 6, v94
	v_lshlrev_b32_e32 v1, 4, v0
	v_lshl_or_b32 v0, v0, 10, v2
	scratch_load_dword v2, off, off offset:4 ; 4-byte Folded Reload
	scratch_load_dword v4, off, off         ; 4-byte Folded Reload
	s_load_dwordx2 s[0:1], s[0:1], 0x68
	s_lshl_b32 s6, s6, 7
	s_mul_i32 s2, s7, s2
	s_mul_hi_u32 s5, s2, s6
	s_mul_i32 s4, s2, s6
	s_lshl_b64 s[4:5], s[4:5], 1
	v_and_b32_e32 v1, 16, v1
	v_and_b32_e32 v0, 0x1a00, v0
	s_waitcnt lgkmcnt(0)
	s_add_u32 s4, s0, s4
	s_addc_u32 s5, s1, s5
	s_lshl_b32 s2, s20, 7
	s_lshl_b64 s[0:1], s[2:3], 1
	s_add_u32 s0, s4, s0
	s_addc_u32 s1, s5, s1
	v_mov_b32_e32 v83, 0
	s_waitcnt vmcnt(1)
	v_or3_b32 v0, v0, v2, v1
	ds_read_b128 v[0:3], v0
	s_waitcnt vmcnt(0)
	v_mad_u64_u32 v[4:5], s[2:3], s6, v4, 0
	v_lshl_add_u64 v[4:5], v[4:5], 1, s[0:1]
	v_lshl_add_u64 v[4:5], v[4:5], 0, v[82:83]
	s_waitcnt lgkmcnt(0)
	global_store_dwordx4 v[4:5], v[0:3], off
.LBB603_19:
	s_endpgm
	.section	.rodata,"a",@progbits
	.p2align	6, 0x0
	.amdhsa_kernel _Z39paged_attention_ll4mi_QKV_mfma16_kernelI14__hip_bfloat16S0_LN4vllm18Fp8KVCacheDataTypeE0EhLi16ELi128ELi256ELb1ELi4EEvPKT_PKT0_S8_ifPKiSA_SA_iPKfiiiPfSD_PS3_PT2_iSC_SC_
		.amdhsa_group_segment_fixed_size 8192
		.amdhsa_private_segment_fixed_size 12
		.amdhsa_kernarg_size 400
		.amdhsa_user_sgpr_count 2
		.amdhsa_user_sgpr_dispatch_ptr 0
		.amdhsa_user_sgpr_queue_ptr 0
		.amdhsa_user_sgpr_kernarg_segment_ptr 1
		.amdhsa_user_sgpr_dispatch_id 0
		.amdhsa_user_sgpr_kernarg_preload_length 0
		.amdhsa_user_sgpr_kernarg_preload_offset 0
		.amdhsa_user_sgpr_private_segment_size 0
		.amdhsa_uses_dynamic_stack 0
		.amdhsa_enable_private_segment 1
		.amdhsa_system_sgpr_workgroup_id_x 1
		.amdhsa_system_sgpr_workgroup_id_y 1
		.amdhsa_system_sgpr_workgroup_id_z 1
		.amdhsa_system_sgpr_workgroup_info 0
		.amdhsa_system_vgpr_workitem_id 0
		.amdhsa_next_free_vgpr 96
		.amdhsa_next_free_sgpr 43
		.amdhsa_accum_offset 96
		.amdhsa_reserve_vcc 1
		.amdhsa_float_round_mode_32 0
		.amdhsa_float_round_mode_16_64 0
		.amdhsa_float_denorm_mode_32 3
		.amdhsa_float_denorm_mode_16_64 3
		.amdhsa_dx10_clamp 1
		.amdhsa_ieee_mode 1
		.amdhsa_fp16_overflow 0
		.amdhsa_tg_split 0
		.amdhsa_exception_fp_ieee_invalid_op 0
		.amdhsa_exception_fp_denorm_src 0
		.amdhsa_exception_fp_ieee_div_zero 0
		.amdhsa_exception_fp_ieee_overflow 0
		.amdhsa_exception_fp_ieee_underflow 0
		.amdhsa_exception_fp_ieee_inexact 0
		.amdhsa_exception_int_div_zero 0
	.end_amdhsa_kernel
	.section	.text._Z39paged_attention_ll4mi_QKV_mfma16_kernelI14__hip_bfloat16S0_LN4vllm18Fp8KVCacheDataTypeE0EhLi16ELi128ELi256ELb1ELi4EEvPKT_PKT0_S8_ifPKiSA_SA_iPKfiiiPfSD_PS3_PT2_iSC_SC_,"axG",@progbits,_Z39paged_attention_ll4mi_QKV_mfma16_kernelI14__hip_bfloat16S0_LN4vllm18Fp8KVCacheDataTypeE0EhLi16ELi128ELi256ELb1ELi4EEvPKT_PKT0_S8_ifPKiSA_SA_iPKfiiiPfSD_PS3_PT2_iSC_SC_,comdat
.Lfunc_end603:
	.size	_Z39paged_attention_ll4mi_QKV_mfma16_kernelI14__hip_bfloat16S0_LN4vllm18Fp8KVCacheDataTypeE0EhLi16ELi128ELi256ELb1ELi4EEvPKT_PKT0_S8_ifPKiSA_SA_iPKfiiiPfSD_PS3_PT2_iSC_SC_, .Lfunc_end603-_Z39paged_attention_ll4mi_QKV_mfma16_kernelI14__hip_bfloat16S0_LN4vllm18Fp8KVCacheDataTypeE0EhLi16ELi128ELi256ELb1ELi4EEvPKT_PKT0_S8_ifPKiSA_SA_iPKfiiiPfSD_PS3_PT2_iSC_SC_
                                        ; -- End function
	.section	.AMDGPU.csdata,"",@progbits
; Kernel info:
; codeLenInByte = 4940
; NumSgprs: 49
; NumVgprs: 96
; NumAgprs: 0
; TotalNumVgprs: 96
; ScratchSize: 12
; MemoryBound: 0
; FloatMode: 240
; IeeeMode: 1
; LDSByteSize: 8192 bytes/workgroup (compile time only)
; SGPRBlocks: 6
; VGPRBlocks: 11
; NumSGPRsForWavesPerEU: 49
; NumVGPRsForWavesPerEU: 96
; AccumOffset: 96
; Occupancy: 5
; WaveLimiterHint : 1
; COMPUTE_PGM_RSRC2:SCRATCH_EN: 1
; COMPUTE_PGM_RSRC2:USER_SGPR: 2
; COMPUTE_PGM_RSRC2:TRAP_HANDLER: 0
; COMPUTE_PGM_RSRC2:TGID_X_EN: 1
; COMPUTE_PGM_RSRC2:TGID_Y_EN: 1
; COMPUTE_PGM_RSRC2:TGID_Z_EN: 1
; COMPUTE_PGM_RSRC2:TIDIG_COMP_CNT: 0
; COMPUTE_PGM_RSRC3_GFX90A:ACCUM_OFFSET: 23
; COMPUTE_PGM_RSRC3_GFX90A:TG_SPLIT: 0
	.section	.text._Z35paged_attention_ll4mi_reduce_kernelI14__hip_bfloat16hLi128ELi128ELi256ELi9EEvPT0_PKfS4_PKT_PKiS9_iS4_,"axG",@progbits,_Z35paged_attention_ll4mi_reduce_kernelI14__hip_bfloat16hLi128ELi128ELi256ELi9EEvPT0_PKfS4_PKT_PKiS9_iS4_,comdat
	.protected	_Z35paged_attention_ll4mi_reduce_kernelI14__hip_bfloat16hLi128ELi128ELi256ELi9EEvPT0_PKfS4_PKT_PKiS9_iS4_ ; -- Begin function _Z35paged_attention_ll4mi_reduce_kernelI14__hip_bfloat16hLi128ELi128ELi256ELi9EEvPT0_PKfS4_PKT_PKiS9_iS4_
	.globl	_Z35paged_attention_ll4mi_reduce_kernelI14__hip_bfloat16hLi128ELi128ELi256ELi9EEvPT0_PKfS4_PKT_PKiS9_iS4_
	.p2align	8
	.type	_Z35paged_attention_ll4mi_reduce_kernelI14__hip_bfloat16hLi128ELi128ELi256ELi9EEvPT0_PKfS4_PKT_PKiS9_iS4_,@function
_Z35paged_attention_ll4mi_reduce_kernelI14__hip_bfloat16hLi128ELi128ELi256ELi9EEvPT0_PKfS4_PKT_PKiS9_iS4_: ; @_Z35paged_attention_ll4mi_reduce_kernelI14__hip_bfloat16hLi128ELi128ELi256ELi9EEvPT0_PKfS4_PKT_PKiS9_iS4_
; %bb.0:
	s_load_dwordx2 s[34:35], s[0:1], 0x28
	s_mov_b32 s22, s3
	s_mov_b64 s[4:5], 0
	s_waitcnt lgkmcnt(0)
	s_cmp_lg_u64 s[34:35], 0
	s_cselect_b64 s[36:37], -1, 0
	s_and_b64 vcc, exec, s[36:37]
	s_cbranch_vccz .LBB604_23
; %bb.1:
	s_add_i32 s6, s22, 1
	s_mov_b32 s7, 0
	s_lshl_b64 s[8:9], s[6:7], 2
	s_add_u32 s8, s34, s8
	s_mov_b32 s23, s7
	s_addc_u32 s9, s35, s9
	s_lshl_b64 s[6:7], s[22:23], 2
	s_add_u32 s6, s34, s6
	s_addc_u32 s7, s35, s7
	s_load_dword s3, s[8:9], 0x0
	s_load_dword s10, s[6:7], 0x0
	s_waitcnt lgkmcnt(0)
	s_sub_i32 s3, s3, s10
	s_cmp_eq_u32 s3, 1
	s_cselect_b64 s[6:7], -1, 0
	s_andn2_b64 vcc, exec, s[4:5]
	s_cbranch_vccnz .LBB604_3
.LBB604_2:
	s_mov_b32 s23, 0
	s_mov_b64 s[6:7], -1
.LBB604_3:
	s_andn2_b64 vcc, exec, s[6:7]
	s_cbranch_vccz .LBB604_5
; %bb.4:
	s_endpgm
.LBB604_5:
	s_load_dwordx4 s[24:27], s[0:1], 0x18
	s_load_dword s8, s[0:1], 0x30
	s_lshl_b64 s[38:39], s[22:23], 2
	v_cmp_lt_u32_e32 vcc, 63, v0
	s_waitcnt lgkmcnt(0)
	s_add_u32 s4, s26, s38
	s_addc_u32 s5, s27, s39
	s_load_dword s46, s[4:5], 0x0
	s_load_dword s3, s[0:1], 0x40
	s_mul_i32 s26, s2, s8
	s_mul_i32 s6, s22, s8
	s_waitcnt lgkmcnt(0)
	s_add_i32 s7, s46, 0xff
	s_ashr_i32 s4, s7, 31
	s_lshr_b32 s4, s4, 24
	s_add_i32 s7, s7, s4
	s_and_saveexec_b64 s[4:5], vcc
	s_xor_b64 s[4:5], exec, s[4:5]
	s_or_saveexec_b64 s[40:41], s[4:5]
	s_ashr_i32 s33, s7, 8
	v_mov_b32_e32 v1, s26
	s_mul_i32 s42, s6, s3
	s_xor_b64 exec, exec, s[40:41]
	s_cbranch_execz .LBB604_9
; %bb.6:
	s_add_i32 s4, s33, -1
	v_or_b32_e32 v3, 64, v0
	v_mov_b32_e32 v1, s4
	v_cmp_gt_u32_e64 s[16:17], s33, v3
	s_load_dwordx4 s[28:31], s[0:1], 0x8
	s_mov_b32 s43, 0
	v_cndmask_b32_e64 v4, v1, v3, s[16:17]
	v_or_b32_e32 v3, 0x80, v0
	v_cmp_gt_u32_e64 s[14:15], s33, v3
	s_lshl_b64 s[44:45], s[42:43], 2
	s_mov_b32 s27, s43
	v_cndmask_b32_e64 v6, v1, v3, s[14:15]
	v_or_b32_e32 v3, 0xc0, v0
	v_cmp_gt_u32_e64 s[12:13], s33, v3
	v_cmp_gt_u32_e64 s[18:19], s33, v0
	s_waitcnt lgkmcnt(0)
	s_add_u32 s20, s30, s44
	v_cndmask_b32_e64 v8, v1, v3, s[12:13]
	v_or_b32_e32 v3, 0x100, v0
	v_cmp_gt_u32_e64 s[10:11], s33, v3
	v_cndmask_b32_e64 v2, v1, v0, s[18:19]
	s_addc_u32 s21, s31, s45
	v_cndmask_b32_e64 v10, v1, v3, s[10:11]
	v_or_b32_e32 v3, 0x140, v0
	v_cmp_gt_u32_e64 s[8:9], s33, v3
	s_lshl_b64 s[30:31], s[26:27], 2
	s_add_u32 s20, s20, s30
	v_cndmask_b32_e64 v12, v1, v3, s[8:9]
	v_or_b32_e32 v3, 0x180, v0
	v_cmp_gt_u32_e64 s[6:7], s33, v3
	s_addc_u32 s21, s21, s31
	v_ashrrev_i32_e32 v5, 31, v4
	v_cndmask_b32_e64 v14, v1, v3, s[6:7]
	v_or_b32_e32 v3, 0x1c0, v0
	v_cmp_gt_u32_e64 s[4:5], s33, v3
	v_ashrrev_i32_e32 v7, 31, v6
	v_ashrrev_i32_e32 v9, 31, v8
	v_cndmask_b32_e64 v16, v1, v3, s[4:5]
	v_or_b32_e32 v3, 0x200, v0
	v_cmp_gt_u32_e32 vcc, s33, v3
	v_ashrrev_i32_e32 v11, 31, v10
	v_ashrrev_i32_e32 v13, 31, v12
	v_cndmask_b32_e32 v18, v1, v3, vcc
	v_ashrrev_i32_e32 v3, 31, v2
	v_lshlrev_b64 v[2:3], 2, v[2:3]
	v_ashrrev_i32_e32 v15, 31, v14
	v_ashrrev_i32_e32 v17, 31, v16
	;; [unrolled: 1-line block ×3, first 2 shown]
	v_lshl_add_u64 v[20:21], s[20:21], 0, v[2:3]
	v_lshlrev_b64 v[4:5], 2, v[4:5]
	v_lshlrev_b64 v[6:7], 2, v[6:7]
	;; [unrolled: 1-line block ×8, first 2 shown]
	v_lshl_add_u64 v[22:23], s[20:21], 0, v[4:5]
	v_lshl_add_u64 v[24:25], s[20:21], 0, v[6:7]
	;; [unrolled: 1-line block ×7, first 2 shown]
	global_load_dword v1, v[20:21], off
	global_load_dword v36, v[22:23], off
	global_load_dword v37, v[24:25], off
	global_load_dword v38, v[26:27], off
	global_load_dword v39, v[28:29], off
	global_load_dword v40, v[30:31], off
	global_load_dword v41, v[32:33], off
	global_load_dword v42, v[34:35], off
	v_lshl_add_u64 v[20:21], s[20:21], 0, v[18:19]
	global_load_dword v20, v[20:21], off
	v_mbcnt_lo_u32_b32 v21, -1, 0
	v_mbcnt_hi_u32_b32 v21, -1, v21
	v_and_b32_e32 v22, 64, v21
	v_xor_b32_e32 v23, 32, v21
	v_add_u32_e32 v22, 64, v22
	v_cmp_lt_i32_e64 s[20:21], v23, v22
	v_xor_b32_e32 v24, 16, v21
	v_xor_b32_e32 v25, 8, v21
	v_cndmask_b32_e64 v23, v21, v23, s[20:21]
	s_add_u32 s20, s28, s44
	s_addc_u32 s21, s29, s45
	s_add_u32 s28, s20, s30
	s_addc_u32 s29, s21, s31
	v_lshl_add_u64 v[2:3], s[28:29], 0, v[2:3]
	global_load_dword v27, v[2:3], off
	v_lshlrev_b32_e32 v23, 2, v23
	v_cmp_lt_i32_e64 s[20:21], v24, v22
	v_xor_b32_e32 v26, 4, v21
	v_xor_b32_e32 v28, 2, v21
	v_cndmask_b32_e64 v24, v21, v24, s[20:21]
	v_lshlrev_b32_e32 v24, 2, v24
	v_cmp_lt_i32_e64 s[20:21], v25, v22
	s_mov_b32 s27, 0x3fb8aa3b
	s_waitcnt vmcnt(7)
	v_max3_f32 v2, v1, v36, v37
	s_waitcnt vmcnt(5)
	v_max3_f32 v2, v2, v38, v39
	;; [unrolled: 2-line block ×4, first 2 shown]
	ds_bpermute_b32 v3, v23, v2
	s_waitcnt lgkmcnt(0)
	v_max_f32_e32 v3, v3, v3
	v_max_f32_e32 v29, v2, v3
	ds_bpermute_b32 v30, v24, v29
	v_cndmask_b32_e64 v2, v21, v25, s[20:21]
	v_lshlrev_b32_e32 v25, 2, v2
	v_lshl_add_u64 v[2:3], s[28:29], 0, v[4:5]
	v_cmp_lt_i32_e64 s[20:21], v26, v22
	s_waitcnt lgkmcnt(0)
	v_max_f32_e32 v4, v30, v30
	v_max_f32_e32 v4, v29, v4
	ds_bpermute_b32 v5, v25, v4
	global_load_dword v29, v[2:3], off
	v_cndmask_b32_e64 v2, v21, v26, s[20:21]
	v_lshlrev_b32_e32 v26, 2, v2
	v_cmp_lt_i32_e64 s[20:21], v28, v22
	s_waitcnt lgkmcnt(0)
	v_max_f32_e32 v2, v5, v5
	v_max_f32_e32 v2, v4, v2
	ds_bpermute_b32 v3, v26, v2
	v_cndmask_b32_e64 v5, v21, v28, s[20:21]
	v_lshlrev_b32_e32 v28, 2, v5
	v_xor_b32_e32 v4, 1, v21
	v_cmp_lt_i32_e64 s[20:21], v4, v22
	s_waitcnt lgkmcnt(0)
	v_max_f32_e32 v3, v3, v3
	v_max_f32_e32 v5, v2, v3
	ds_bpermute_b32 v30, v28, v5
	v_lshl_add_u64 v[2:3], s[28:29], 0, v[6:7]
	global_load_dword v31, v[2:3], off
	v_cndmask_b32_e64 v2, v21, v4, s[20:21]
	v_lshlrev_b32_e32 v22, 2, v2
	s_waitcnt lgkmcnt(0)
	v_max_f32_e32 v3, v30, v30
	v_max_f32_e32 v21, v5, v3
	v_lshl_add_u64 v[2:3], s[28:29], 0, v[8:9]
	v_lshl_add_u64 v[8:9], s[28:29], 0, v[14:15]
	global_load_dword v14, v[2:3], off
	ds_bpermute_b32 v30, v22, v21
	v_lshl_add_u64 v[6:7], s[28:29], 0, v[12:13]
	v_lshl_add_u64 v[4:5], s[28:29], 0, v[10:11]
	;; [unrolled: 1-line block ×3, first 2 shown]
	s_waitcnt lgkmcnt(0)
	v_max_f32_e32 v12, v30, v30
	v_max_f32_e32 v12, v21, v12
	v_sub_f32_e32 v1, v1, v12
	v_mul_f32_e32 v13, 0x3fb8aa3b, v1
	v_fma_f32 v2, v1, s27, -v13
	v_rndne_f32_e32 v3, v13
	v_fmac_f32_e32 v2, 0x32a5705f, v1
	v_sub_f32_e32 v13, v13, v3
	v_add_f32_e32 v2, v13, v2
	global_load_dword v16, v[4:5], off
	global_load_dword v17, v[6:7], off
	;; [unrolled: 1-line block ×4, first 2 shown]
	v_exp_f32_e32 v13, v2
	v_cvt_i32_f32_e32 v15, v3
	v_lshl_add_u64 v[2:3], s[28:29], 0, v[18:19]
	global_load_dword v2, v[2:3], off
	v_sub_f32_e32 v5, v36, v12
	v_mul_f32_e32 v6, 0x3fb8aa3b, v5
	v_fma_f32 v7, v5, s27, -v6
	v_rndne_f32_e32 v8, v6
	v_fmac_f32_e32 v7, 0x32a5705f, v5
	v_sub_f32_e32 v6, v6, v8
	v_add_f32_e32 v6, v6, v7
	v_exp_f32_e32 v6, v6
	v_cvt_i32_f32_e32 v7, v8
	s_mov_b32 s28, 0xc2ce8ed0
	v_ldexp_f32 v3, v13, v15
	v_cmp_ngt_f32_e64 s[20:21], s28, v1
	s_mov_b32 s29, 0x42b17218
	v_mov_b32_e32 v4, 0x7f800000
	v_cndmask_b32_e64 v3, 0, v3, s[20:21]
	v_cmp_nlt_f32_e64 s[20:21], s29, v1
	s_nop 1
	v_cndmask_b32_e64 v1, v4, v3, s[20:21]
	v_ldexp_f32 v3, v6, v7
	v_sub_f32_e32 v6, v37, v12
	v_mul_f32_e32 v7, 0x3fb8aa3b, v6
	v_fma_f32 v8, v6, s27, -v7
	v_rndne_f32_e32 v9, v7
	v_fmac_f32_e32 v8, 0x32a5705f, v6
	v_sub_f32_e32 v7, v7, v9
	v_add_f32_e32 v7, v7, v8
	v_exp_f32_e32 v7, v7
	v_cvt_i32_f32_e32 v8, v9
	v_cndmask_b32_e64 v1, 0, v1, s[18:19]
	v_cmp_ngt_f32_e64 s[18:19], s28, v5
	s_waitcnt vmcnt(8)
	v_mul_f32_e32 v1, v27, v1
	v_cndmask_b32_e64 v3, 0, v3, s[18:19]
	v_cmp_nlt_f32_e64 s[18:19], s29, v5
	v_ldexp_f32 v5, v7, v8
	v_sub_f32_e32 v7, v38, v12
	v_mul_f32_e32 v8, 0x3fb8aa3b, v7
	v_fma_f32 v9, v7, s27, -v8
	v_rndne_f32_e32 v10, v8
	v_fmac_f32_e32 v9, 0x32a5705f, v7
	v_sub_f32_e32 v8, v8, v10
	v_add_f32_e32 v8, v8, v9
	v_exp_f32_e32 v8, v8
	v_cvt_i32_f32_e32 v9, v10
	v_cndmask_b32_e64 v3, v4, v3, s[18:19]
	v_cndmask_b32_e64 v3, 0, v3, s[16:17]
	v_cmp_ngt_f32_e64 s[16:17], s28, v6
	s_waitcnt vmcnt(7)
	v_mul_f32_e32 v3, v29, v3
	v_cndmask_b32_e64 v5, 0, v5, s[16:17]
	v_cmp_nlt_f32_e64 s[16:17], s29, v6
	v_ldexp_f32 v6, v8, v9
	v_sub_f32_e32 v8, v39, v12
	v_mul_f32_e32 v9, 0x3fb8aa3b, v8
	v_fma_f32 v10, v8, s27, -v9
	v_rndne_f32_e32 v11, v9
	v_fmac_f32_e32 v10, 0x32a5705f, v8
	v_sub_f32_e32 v9, v9, v11
	v_add_f32_e32 v9, v9, v10
	v_exp_f32_e32 v9, v9
	v_cvt_i32_f32_e32 v10, v11
	v_cndmask_b32_e64 v5, v4, v5, s[16:17]
	;; [unrolled: 17-line block ×5, first 2 shown]
	v_cndmask_b32_e64 v8, 0, v8, s[8:9]
	v_cmp_ngt_f32_e64 s[8:9], s28, v10
	v_sub_f32_e32 v12, v20, v12
	s_waitcnt vmcnt(3)
	v_mul_f32_e32 v8, v17, v8
	v_cndmask_b32_e64 v9, 0, v9, s[8:9]
	v_cmp_nlt_f32_e64 s[8:9], s29, v10
	v_ldexp_f32 v10, v13, v14
	v_mul_f32_e32 v13, 0x3fb8aa3b, v12
	v_fma_f32 v14, v12, s27, -v13
	v_rndne_f32_e32 v15, v13
	v_fmac_f32_e32 v14, 0x32a5705f, v12
	v_sub_f32_e32 v13, v13, v15
	v_add_f32_e32 v13, v13, v14
	v_cndmask_b32_e64 v9, v4, v9, s[8:9]
	v_exp_f32_e32 v13, v13
	v_cvt_i32_f32_e32 v14, v15
	v_cndmask_b32_e64 v9, 0, v9, s[6:7]
	v_cmp_ngt_f32_e64 s[6:7], s28, v11
	s_nop 1
	v_cndmask_b32_e64 v10, 0, v10, s[6:7]
	v_cmp_nlt_f32_e64 s[6:7], s29, v11
	v_ldexp_f32 v11, v13, v14
	v_lshlrev_b32_e32 v13, 2, v0
	v_cndmask_b32_e64 v10, v4, v10, s[6:7]
	v_cndmask_b32_e64 v10, 0, v10, s[4:5]
	v_cmp_ngt_f32_e64 s[4:5], s28, v12
	ds_write2st64_b32 v13, v1, v3 offset1:1
	ds_write2st64_b32 v13, v5, v6 offset0:2 offset1:3
	v_cndmask_b32_e64 v11, 0, v11, s[4:5]
	v_cmp_nlt_f32_e64 s[4:5], s29, v12
	s_nop 1
	v_cndmask_b32_e64 v4, v4, v11, s[4:5]
	v_add_f32_e32 v11, v1, v3
	v_add_f32_e32 v11, v11, v5
	;; [unrolled: 1-line block ×5, first 2 shown]
	s_waitcnt vmcnt(2)
	v_fmac_f32_e32 v11, v21, v9
	v_cndmask_b32_e32 v4, 0, v4, vcc
	s_waitcnt vmcnt(1)
	v_fmac_f32_e32 v11, v30, v10
	s_waitcnt vmcnt(0)
	v_fmac_f32_e32 v11, v2, v4
	ds_bpermute_b32 v12, v23, v11
	v_mul_f32_e32 v4, v2, v4
	v_cmp_eq_u32_e32 vcc, 0, v0
	v_mul_f32_e32 v9, v21, v9
	v_mul_f32_e32 v10, v30, v10
	s_waitcnt lgkmcnt(0)
	v_add_f32_e32 v11, v11, v12
	ds_bpermute_b32 v12, v24, v11
	ds_write2st64_b32 v13, v7, v8 offset0:4 offset1:5
	ds_write2st64_b32 v13, v9, v10 offset0:6 offset1:7
	ds_write_b32 v13, v4 offset:2048
	s_waitcnt lgkmcnt(3)
	v_add_f32_e32 v11, v11, v12
	ds_bpermute_b32 v12, v25, v11
	s_waitcnt lgkmcnt(0)
	v_add_f32_e32 v11, v11, v12
	ds_bpermute_b32 v12, v26, v11
	;; [unrolled: 3-line block ×4, first 2 shown]
	s_and_saveexec_b64 s[4:5], vcc
	s_cbranch_execz .LBB604_8
; %bb.7:
	s_waitcnt lgkmcnt(0)
	v_add_f32_e32 v1, v1, v2
	v_mov_b32_e32 v2, 0
	ds_write_b32 v2, v1 offset:2304
.LBB604_8:
	s_or_b64 exec, exec, s[4:5]
	v_mov_b32_e32 v1, s26
.LBB604_9:
	s_or_b64 exec, exec, s[40:41]
	s_lshl_b32 s4, s42, 7
	s_mov_b32 s5, 0
	s_lshl_b64 s[4:5], s[4:5], 1
	s_add_u32 s4, s24, s4
	s_addc_u32 s5, s25, s5
	s_lshl_b32 s10, s33, 7
	s_waitcnt lgkmcnt(0)
	v_lshlrev_b32_e32 v2, 7, v1
	v_mov_b32_e32 v1, 0
	s_add_i32 s11, s10, 0xffffff80
	v_mov_b32_e32 v3, v1
	s_cmp_lt_i32 s46, 1
	v_lshl_add_u64 v[2:3], v[2:3], 1, s[4:5]
	s_cselect_b32 s4, s11, 0
	v_lshlrev_b32_e32 v4, 1, v0
	v_mov_b32_e32 v5, v1
	s_ashr_i32 s5, s4, 31
	v_lshl_add_u64 v[2:3], v[2:3], 0, v[4:5]
	s_cmpk_lt_i32 s46, 0x101
	v_lshl_add_u64 v[4:5], s[4:5], 1, v[2:3]
	s_cselect_b32 s4, s11, 0x80
	s_ashr_i32 s5, s4, 31
	s_cmpk_lt_i32 s46, 0x201
	v_lshl_add_u64 v[6:7], s[4:5], 1, v[2:3]
	s_cselect_b32 s4, s11, 0x100
	s_ashr_i32 s5, s4, 31
	;; [unrolled: 4-line block ×8, first 2 shown]
	s_cmpk_lt_i32 s46, 0x901
	global_load_ushort v23, v[4:5], off
	global_load_ushort v22, v[6:7], off
	global_load_ushort v21, v[8:9], off
	global_load_ushort v20, v[10:11], off
	global_load_ushort v18, v[12:13], off
	global_load_ushort v19, v[14:15], off
	global_load_ushort v16, v[24:25], off
	global_load_ushort v17, v[26:27], off
	v_lshl_add_u64 v[4:5], s[4:5], 1, v[2:3]
	s_cselect_b32 s4, s11, 0x480
	s_ashr_i32 s5, s4, 31
	s_cmpk_lt_i32 s46, 0xa01
	v_lshl_add_u64 v[6:7], s[4:5], 1, v[2:3]
	s_cselect_b32 s4, s11, 0x500
	s_ashr_i32 s5, s4, 31
	s_cmpk_lt_i32 s46, 0xb01
	;; [unrolled: 4-line block ×6, first 2 shown]
	v_lshl_add_u64 v[32:33], s[4:5], 1, v[2:3]
	s_cselect_b32 s4, s11, 0x780
	s_ashr_i32 s5, s4, 31
	v_lshl_add_u64 v[34:35], s[4:5], 1, v[2:3]
	global_load_ushort v30, v[4:5], off
	global_load_ushort v31, v[6:7], off
	;; [unrolled: 1-line block ×8, first 2 shown]
	s_cmpk_gt_i32 s46, 0x1000
	s_cselect_b64 s[8:9], -1, 0
	s_cmpk_lt_i32 s46, 0x1001
	v_mov_b32_e32 v40, 0
	v_mov_b32_e32 v41, 0
	;; [unrolled: 1-line block ×48, first 2 shown]
	s_barrier
	s_cbranch_scc1 .LBB604_12
; %bb.10:
	s_cmpk_lt_u32 s46, 0x1101
	s_cselect_b32 s4, s11, 0x880
	s_ashr_i32 s5, s4, 31
	s_cmpk_lt_u32 s46, 0x1201
	v_lshl_add_u64 v[6:7], s[4:5], 1, v[2:3]
	s_cselect_b32 s4, s11, 0x900
	s_ashr_i32 s5, s4, 31
	s_cmpk_lt_u32 s46, 0x1301
	v_lshl_add_u64 v[8:9], s[4:5], 1, v[2:3]
	;; [unrolled: 4-line block ×7, first 2 shown]
	s_cselect_b32 s4, s11, 0xc00
	v_add_co_u32_e32 v4, vcc, 0x1000, v2
	s_ashr_i32 s5, s4, 31
	s_nop 0
	v_addc_co_u32_e32 v5, vcc, 0, v3, vcc
	s_cmpk_lt_u32 s46, 0x1901
	global_load_ushort v39, v[4:5], off
	global_load_ushort v38, v[6:7], off
	;; [unrolled: 1-line block ×8, first 2 shown]
	v_lshl_add_u64 v[4:5], s[4:5], 1, v[2:3]
	s_cselect_b32 s4, s11, 0xc80
	s_ashr_i32 s5, s4, 31
	s_cmpk_lt_u32 s46, 0x1a01
	v_lshl_add_u64 v[6:7], s[4:5], 1, v[2:3]
	s_cselect_b32 s4, s11, 0xd00
	s_ashr_i32 s5, s4, 31
	s_cmpk_lt_u32 s46, 0x1b01
	;; [unrolled: 4-line block ×6, first 2 shown]
	v_lshl_add_u64 v[48:49], s[4:5], 1, v[2:3]
	s_cselect_b32 s4, s11, 0xf80
	s_ashr_i32 s5, s4, 31
	v_lshl_add_u64 v[50:51], s[4:5], 1, v[2:3]
	global_load_ushort v47, v[4:5], off
	global_load_ushort v46, v[6:7], off
	;; [unrolled: 1-line block ×8, first 2 shown]
	s_cmpk_lt_u32 s46, 0x2001
	v_mov_b32_e32 v67, 0
	v_mov_b32_e32 v65, 0
	;; [unrolled: 1-line block ×32, first 2 shown]
	s_cbranch_scc1 .LBB604_12
; %bb.11:
	s_cmpk_lt_u32 s46, 0x2101
	s_cselect_b32 s4, s11, 0x1080
	s_ashr_i32 s5, s4, 31
	s_cmpk_lt_u32 s46, 0x2201
	v_lshl_add_u64 v[4:5], s[4:5], 1, v[2:3]
	s_cselect_b32 s4, s11, 0x1100
	s_ashr_i32 s5, s4, 31
	s_cmpk_lt_u32 s46, 0x2301
	v_lshl_add_u64 v[6:7], s[4:5], 1, v[2:3]
	;; [unrolled: 4-line block ×29, first 2 shown]
	s_cselect_b32 s4, s11, 0x1f00
	s_ashr_i32 s5, s4, 31
	v_lshl_add_u64 v[94:95], s[4:5], 1, v[2:3]
	s_movk_i32 s4, 0x2000
	s_cmpk_lt_u32 s46, 0x3f01
	v_add_co_u32_e32 v96, vcc, s4, v2
	s_cselect_b32 s4, s11, 0x1f80
	s_nop 0
	v_addc_co_u32_e32 v97, vcc, 0, v3, vcc
	s_ashr_i32 s5, s4, 31
	global_load_ushort v98, v[96:97], off
	global_load_ushort v99, v[4:5], off
	;; [unrolled: 1-line block ×15, first 2 shown]
                                        ; kill: killed $vgpr54_vgpr55
                                        ; kill: killed $vgpr6_vgpr7
                                        ; kill: killed $vgpr60_vgpr61
                                        ; kill: killed $vgpr12_vgpr13
                                        ; kill: killed $vgpr50_vgpr51
                                        ; kill: killed $vgpr56_vgpr57
                                        ; kill: killed $vgpr8_vgpr9
                                        ; kill: killed $vgpr62_vgpr63
                                        ; kill: killed $vgpr14_vgpr15
                                        ; kill: killed $vgpr96 killed $vgpr97
                                        ; kill: killed $vgpr52_vgpr53
                                        ; kill: killed $vgpr4_vgpr5
                                        ; kill: killed $vgpr58_vgpr59
                                        ; kill: killed $vgpr10_vgpr11
                                        ; kill: killed $vgpr48_vgpr49
	global_load_ushort v6, v[64:65], off
	global_load_ushort v7, v[66:67], off
	;; [unrolled: 1-line block ×15, first 2 shown]
                                        ; kill: killed $vgpr70_vgpr71
                                        ; kill: killed $vgpr92_vgpr93
                                        ; kill: killed $vgpr76_vgpr77
                                        ; kill: killed $vgpr82_vgpr83
                                        ; kill: killed $vgpr66_vgpr67
                                        ; kill: killed $vgpr88_vgpr89
                                        ; kill: killed $vgpr72_vgpr73
                                        ; kill: killed $vgpr94_vgpr95
                                        ; kill: killed $vgpr78_vgpr79
                                        ; kill: killed $vgpr84_vgpr85
                                        ; kill: killed $vgpr68_vgpr69
                                        ; kill: killed $vgpr90_vgpr91
                                        ; kill: killed $vgpr74_vgpr75
                                        ; kill: killed $vgpr80_vgpr81
                                        ; kill: killed $vgpr64_vgpr65
	global_load_ushort v68, v[86:87], off
	v_lshl_add_u64 v[4:5], s[4:5], 1, v[2:3]
	global_load_ushort v5, v[4:5], off
	s_waitcnt vmcnt(31)
	v_lshlrev_b32_e32 v67, 16, v98
	s_waitcnt vmcnt(30)
	v_lshlrev_b32_e32 v65, 16, v99
	;; [unrolled: 2-line block ×32, first 2 shown]
.LBB604_12:
	s_load_dwordx2 s[4:5], s[0:1], 0x0
	s_load_dwordx2 s[6:7], s[0:1], 0x38
	ds_read_b128 v[68:71], v1
	s_waitcnt vmcnt(15)
	v_lshlrev_b32_e32 v23, 16, v23
	ds_read_b128 v[72:75], v1 offset:16
	ds_read_b128 v[76:79], v1 offset:32
	;; [unrolled: 1-line block ×3, first 2 shown]
	s_waitcnt vmcnt(14)
	v_lshlrev_b32_e32 v22, 16, v22
	s_waitcnt vmcnt(13)
	v_lshlrev_b32_e32 v21, 16, v21
	s_waitcnt lgkmcnt(0)
	v_fma_f32 v23, v68, v23, 0
	v_fmac_f32_e32 v23, v69, v22
	v_fmac_f32_e32 v23, v70, v21
	s_waitcnt vmcnt(12)
	v_lshlrev_b32_e32 v20, 16, v20
	s_waitcnt vmcnt(10)
	v_lshlrev_b32_e32 v19, 16, v19
	v_lshlrev_b32_e32 v18, 16, v18
	v_fmac_f32_e32 v23, v71, v20
	v_pk_mul_f32 v[18:19], v[72:73], v[18:19]
	s_waitcnt vmcnt(8)
	v_lshlrev_b32_e32 v17, 16, v17
	v_add_f32_e32 v18, v23, v18
	v_lshlrev_b32_e32 v16, 16, v16
	v_add_f32_e32 v18, v18, v19
	v_pk_mul_f32 v[16:17], v[74:75], v[16:17]
	s_and_b64 vcc, exec, s[8:9]
	v_add_f32_e32 v16, v18, v16
	v_add_f32_e32 v18, v16, v17
	s_waitcnt vmcnt(6)
	v_lshlrev_b32_e32 v17, 16, v31
	v_lshlrev_b32_e32 v16, 16, v30
	v_pk_mul_f32 v[16:17], v[76:77], v[16:17]
	s_nop 0
	v_add_f32_e32 v16, v18, v16
	v_add_f32_e32 v18, v16, v17
	s_waitcnt vmcnt(4)
	v_lshlrev_b32_e32 v17, 16, v29
	v_lshlrev_b32_e32 v16, 16, v28
	v_pk_mul_f32 v[16:17], v[78:79], v[16:17]
	s_nop 0
	;; [unrolled: 7-line block ×4, first 2 shown]
	v_add_f32_e32 v16, v18, v16
	v_add_f32_e32 v110, v16, v17
	s_cbranch_vccz .LBB604_15
; %bb.13:
	ds_read_b128 v[16:19], v1 offset:64
	v_lshlrev_b32_e32 v39, 16, v39
	ds_read_b128 v[20:23], v1 offset:80
	ds_read_b128 v[24:27], v1 offset:96
	;; [unrolled: 1-line block ×3, first 2 shown]
	s_cmpk_lt_u32 s46, 0x2001
	s_waitcnt lgkmcnt(3)
	v_fmac_f32_e32 v110, v16, v39
	v_lshlrev_b32_e32 v16, 16, v38
	v_fmac_f32_e32 v110, v17, v16
	v_lshlrev_b32_e32 v16, 16, v37
	v_fmac_f32_e32 v110, v18, v16
	v_lshlrev_b32_e32 v16, 16, v36
	v_fmac_f32_e32 v110, v19, v16
	v_lshlrev_b32_e32 v16, 16, v35
	s_waitcnt lgkmcnt(2)
	v_fmac_f32_e32 v110, v20, v16
	v_lshlrev_b32_e32 v16, 16, v34
	v_fmac_f32_e32 v110, v21, v16
	v_lshlrev_b32_e32 v16, 16, v33
	v_fmac_f32_e32 v110, v22, v16
	v_lshlrev_b32_e32 v16, 16, v32
	v_fmac_f32_e32 v110, v23, v16
	v_lshlrev_b32_e32 v16, 16, v47
	;; [unrolled: 9-line block ×3, first 2 shown]
	s_waitcnt lgkmcnt(0)
	v_fmac_f32_e32 v110, v28, v16
	v_lshlrev_b32_e32 v16, 16, v42
	v_fmac_f32_e32 v110, v29, v16
	v_lshlrev_b32_e32 v16, 16, v41
	;; [unrolled: 2-line block ×3, first 2 shown]
	v_fmac_f32_e32 v110, v31, v16
	s_cbranch_scc1 .LBB604_15
; %bb.14:
	v_mov_b32_e32 v32, 0
	ds_read_b128 v[16:19], v32 offset:128
	ds_read_b128 v[20:23], v32 offset:144
	;; [unrolled: 1-line block ×4, first 2 shown]
	s_waitcnt lgkmcnt(3)
	v_fmac_f32_e32 v110, v16, v67
	v_fmac_f32_e32 v110, v17, v65
	v_fmac_f32_e32 v110, v18, v66
	v_fmac_f32_e32 v110, v19, v63
	s_waitcnt lgkmcnt(2)
	v_fmac_f32_e32 v110, v20, v64
	v_fmac_f32_e32 v110, v21, v61
	v_fmac_f32_e32 v110, v22, v62
	v_fmac_f32_e32 v110, v23, v59
	;; [unrolled: 5-line block ×3, first 2 shown]
	ds_read_b128 v[16:19], v32 offset:192
	ds_read_b128 v[20:23], v32 offset:208
	s_waitcnt lgkmcnt(2)
	v_fmac_f32_e32 v110, v28, v56
	v_fmac_f32_e32 v110, v29, v53
	;; [unrolled: 1-line block ×4, first 2 shown]
	s_waitcnt lgkmcnt(1)
	v_fmac_f32_e32 v110, v16, v51
	v_fmac_f32_e32 v110, v17, v49
	;; [unrolled: 1-line block ×4, first 2 shown]
	s_waitcnt lgkmcnt(0)
	v_pk_mul_f32 v[14:15], v[20:21], v[14:15]
	v_pk_mul_f32 v[12:13], v[22:23], v[12:13]
	v_add_f32_e32 v14, v110, v14
	v_add_f32_e32 v18, v14, v15
	ds_read_b128 v[14:17], v32 offset:224
	v_add_f32_e32 v12, v18, v12
	ds_read_b128 v[18:21], v32 offset:240
	v_add_f32_e32 v12, v12, v13
	s_waitcnt lgkmcnt(1)
	v_pk_mul_f32 v[10:11], v[14:15], v[10:11]
	s_nop 0
	v_add_f32_e32 v10, v12, v10
	v_add_f32_e32 v10, v10, v11
	v_pk_mul_f32 v[8:9], v[16:17], v[8:9]
	s_waitcnt lgkmcnt(0)
	v_pk_mul_f32 v[6:7], v[18:19], v[6:7]
	v_add_f32_e32 v8, v10, v8
	v_add_f32_e32 v8, v8, v9
	;; [unrolled: 1-line block ×4, first 2 shown]
	v_pk_mul_f32 v[4:5], v[20:21], v[4:5]
	s_nop 0
	v_add_f32_e32 v4, v6, v4
	v_add_f32_e32 v110, v4, v5
.LBB604_15:
	s_movk_i32 s0, 0x3f80
	s_movk_i32 s1, 0x100
	s_mov_b32 s8, 64
	s_branch .LBB604_17
.LBB604_16:                             ;   in Loop: Header=BB604_17 Depth=1
	s_addk_i32 s0, 0x2000
	s_addk_i32 s1, 0x100
	s_add_i32 s8, s8, 64
	s_cmp_eq_u32 s0, 0x13f80
	s_cbranch_scc1 .LBB604_19
.LBB604_17:                             ; =>This Inner Loop Header: Depth=1
	s_cmp_le_i32 s33, s8
	s_cbranch_scc1 .LBB604_16
; %bb.18:                               ;   in Loop: Header=BB604_17 Depth=1
	s_add_i32 s9, s0, 0xffffe080
	s_cmp_lt_i32 s9, s10
	s_cselect_b32 s12, s9, s11
	s_ashr_i32 s13, s12, 31
	s_add_i32 s9, s0, 0xffffe100
	s_cmp_lt_i32 s9, s10
	v_lshl_add_u64 v[42:43], s[12:13], 1, v[2:3]
	s_cselect_b32 s12, s9, s11
	s_ashr_i32 s13, s12, 31
	s_add_i32 s9, s0, 0xffffe180
	s_cmp_lt_i32 s9, s10
	v_lshl_add_u64 v[4:5], s[12:13], 1, v[2:3]
	;; [unrolled: 5-line block ×21, first 2 shown]
	s_cselect_b32 s12, s9, s11
	s_ashr_i32 s13, s12, 31
	s_add_i32 s9, s0, 0xffffeb80
	s_cmp_lt_i32 s9, s10
	global_load_ushort v111, v[42:43], off
	global_load_ushort v121, v[44:45], off
	v_lshl_add_u64 v[32:33], s[12:13], 1, v[2:3]
	s_cselect_b32 s12, s9, s11
	global_load_ushort v112, v[4:5], off
	global_load_ushort v113, v[6:7], off
	;; [unrolled: 1-line block ×8, first 2 shown]
	s_ashr_i32 s13, s12, 31
	s_add_i32 s9, s0, 0xffffec00
	s_cmp_lt_i32 s9, s10
	v_lshl_add_u64 v[34:35], s[12:13], 1, v[2:3]
	s_cselect_b32 s12, s9, s11
	s_ashr_i32 s13, s12, 31
	s_add_i32 s9, s0, 0xffffec80
	s_cmp_lt_i32 s9, s10
	v_lshl_add_u64 v[48:49], s[12:13], 1, v[2:3]
	s_cselect_b32 s12, s9, s11
	;; [unrolled: 5-line block ×3, first 2 shown]
	global_load_ushort v120, v[28:29], off
	s_ashr_i32 s13, s12, 31
	s_add_i32 s9, s0, 0xffffed80
	s_cmp_lt_i32 s9, s10
	global_load_ushort v122, v[54:55], off
	global_load_ushort v123, v[56:57], off
	v_lshl_add_u64 v[18:19], s[12:13], 1, v[2:3]
	global_load_ushort v58, v[58:59], off
	s_cselect_b32 s12, s9, s11
	s_ashr_i32 s13, s12, 31
	s_add_i32 s9, s0, 0xffffee00
	s_cmp_lt_i32 s9, s10
	v_lshl_add_u64 v[20:21], s[12:13], 1, v[2:3]
	s_cselect_b32 s12, s9, s11
	s_ashr_i32 s13, s12, 31
	s_add_i32 s9, s0, 0xffffee80
	s_cmp_lt_i32 s9, s10
	v_lshl_add_u64 v[38:39], s[12:13], 1, v[2:3]
	;; [unrolled: 5-line block ×3, first 2 shown]
	s_cselect_b32 s12, s9, s11
	global_load_ushort v59, v[60:61], off
	s_ashr_i32 s13, s12, 31
	s_add_i32 s9, s0, 0xffffef80
	global_load_ushort v60, v[66:67], off
	global_load_ushort v61, v[62:63], off
	s_cmp_lt_i32 s9, s10
	v_lshl_add_u64 v[50:51], s[12:13], 1, v[2:3]
	s_cselect_b32 s12, s9, s11
	s_ashr_i32 s13, s12, 31
	s_add_i32 s9, s0, 0xfffff000
	s_cmp_lt_i32 s9, s10
	v_lshl_add_u64 v[52:53], s[12:13], 1, v[2:3]
	s_cselect_b32 s12, s9, s11
	s_ashr_i32 s13, s12, 31
	s_add_i32 s9, s0, 0xfffff080
	;; [unrolled: 5-line block ×3, first 2 shown]
	s_cmp_lt_i32 s9, s10
	v_lshl_add_u64 v[68:69], s[12:13], 1, v[2:3]
	s_cselect_b32 s12, s9, s11
	global_load_ushort v62, v[24:25], off
	s_ashr_i32 s13, s12, 31
	s_add_i32 s9, s0, 0xfffff180
	global_load_ushort v66, v[30:31], off
	global_load_ushort v124, v[32:33], off
	;; [unrolled: 1-line block ×4, first 2 shown]
	s_cmp_lt_i32 s9, s10
	v_lshl_add_u64 v[70:71], s[12:13], 1, v[2:3]
	s_cselect_b32 s12, s9, s11
	global_load_ushort v67, v[46:47], off
	s_ashr_i32 s13, s12, 31
	s_add_i32 s9, s0, 0xfffff200
	s_cmp_lt_i32 s9, s10
	v_lshl_add_u64 v[72:73], s[12:13], 1, v[2:3]
	s_cselect_b32 s12, s9, s11
	s_ashr_i32 s13, s12, 31
	s_add_i32 s9, s0, 0xfffff280
	s_cmp_lt_i32 s9, s10
	v_lshl_add_u64 v[74:75], s[12:13], 1, v[2:3]
	s_cselect_b32 s12, s9, s11
	s_ashr_i32 s13, s12, 31
	s_add_i32 s9, s0, 0xfffff300
	s_cmp_lt_i32 s9, s10
	v_mov_b32_e32 v125, s1
	v_lshl_add_u64 v[76:77], s[12:13], 1, v[2:3]
	s_cselect_b32 s12, s9, s11
	ds_read_b128 v[28:31], v125
	ds_read_b128 v[32:35], v125 offset:16
	global_load_ushort v48, v[48:49], off
	s_ashr_i32 s13, s12, 31
	s_add_i32 s9, s0, 0xfffff380
	s_cmp_lt_i32 s9, s10
	v_lshl_add_u64 v[78:79], s[12:13], 1, v[2:3]
	s_cselect_b32 s12, s9, s11
	ds_read_b128 v[44:47], v125 offset:32
	ds_read_b128 v[54:57], v125 offset:48
	global_load_ushort v36, v[36:37], off
	s_ashr_i32 s13, s12, 31
	v_lshl_add_u64 v[80:81], s[12:13], 1, v[2:3]
	global_load_ushort v49, v[80:81], off
	global_load_ushort v37, v[18:19], off
	s_add_i32 s9, s0, 0xfffff400
	global_load_ushort v38, v[38:39], off
	s_cmp_lt_i32 s9, s10
	s_cselect_b32 s12, s9, s11
	s_ashr_i32 s13, s12, 31
	s_add_i32 s9, s0, 0xfffff480
	s_cmp_lt_i32 s9, s10
	v_lshl_add_u64 v[82:83], s[12:13], 1, v[2:3]
	s_cselect_b32 s12, s9, s11
	s_ashr_i32 s13, s12, 31
	s_add_i32 s9, s0, 0xfffff500
	s_cmp_lt_i32 s9, s10
	v_lshl_add_u64 v[84:85], s[12:13], 1, v[2:3]
	;; [unrolled: 5-line block ×5, first 2 shown]
	s_cselect_b32 s12, s9, s11
	s_ashr_i32 s13, s12, 31
	s_add_i32 s9, s0, 0xfffff700
	s_waitcnt vmcnt(27)
	v_lshlrev_b32_e32 v111, 16, v111
	s_cmp_lt_i32 s9, s10
	s_waitcnt lgkmcnt(3)
	v_fmac_f32_e32 v110, v28, v111
	s_waitcnt vmcnt(25)
	v_lshlrev_b32_e32 v28, 16, v112
	v_lshl_add_u64 v[92:93], s[12:13], 1, v[2:3]
	s_cselect_b32 s12, s9, s11
	v_fmac_f32_e32 v110, v29, v28
	s_waitcnt vmcnt(24)
	v_lshlrev_b32_e32 v28, 16, v113
	s_ashr_i32 s13, s12, 31
	s_add_i32 s9, s0, 0xfffff780
	v_fmac_f32_e32 v110, v30, v28
	s_waitcnt vmcnt(23)
	v_lshlrev_b32_e32 v28, 16, v114
	s_cmp_lt_i32 s9, s10
	v_fmac_f32_e32 v110, v31, v28
	s_waitcnt vmcnt(22)
	v_lshlrev_b32_e32 v18, 16, v115
	v_lshl_add_u64 v[94:95], s[12:13], 1, v[2:3]
	s_cselect_b32 s12, s9, s11
	s_waitcnt lgkmcnt(2)
	v_fmac_f32_e32 v110, v32, v18
	global_load_ushort v32, v[20:21], off
	s_ashr_i32 s13, s12, 31
	s_add_i32 s9, s0, 0xfffff800
	s_waitcnt vmcnt(22)
	v_lshlrev_b32_e32 v18, 16, v116
	s_cmp_lt_i32 s9, s10
	v_fmac_f32_e32 v110, v33, v18
	global_load_ushort v33, v[40:41], off
	s_waitcnt vmcnt(22)
	v_lshlrev_b32_e32 v18, 16, v117
	v_lshl_add_u64 v[96:97], s[12:13], 1, v[2:3]
	s_cselect_b32 s12, s9, s11
	v_fmac_f32_e32 v110, v34, v18
	global_load_ushort v34, v[50:51], off
	s_waitcnt vmcnt(22)
	v_lshlrev_b32_e32 v18, 16, v118
	s_ashr_i32 s13, s12, 31
	s_add_i32 s9, s0, 0xfffff880
	v_fmac_f32_e32 v110, v35, v18
	global_load_ushort v35, v[52:53], off
	global_load_ushort v39, v[64:65], off
	s_waitcnt vmcnt(23)
	v_lshlrev_b32_e32 v18, 16, v119
	s_cmp_lt_i32 s9, s10
	s_waitcnt lgkmcnt(1)
	v_fmac_f32_e32 v110, v44, v18
	global_load_ushort v44, v[72:73], off
	s_waitcnt vmcnt(23)
	v_lshlrev_b32_e32 v18, 16, v120
	v_lshl_add_u64 v[98:99], s[12:13], 1, v[2:3]
	s_cselect_b32 s12, s9, s11
	v_fmac_f32_e32 v110, v45, v18
	v_lshlrev_b32_e32 v18, 16, v121
	s_ashr_i32 s13, s12, 31
	s_add_i32 s9, s0, 0xfffff900
	v_fmac_f32_e32 v110, v46, v18
	global_load_ushort v46, v[76:77], off
	s_waitcnt vmcnt(23)
	v_lshlrev_b32_e32 v18, 16, v122
	s_cmp_lt_i32 s9, s10
	v_fmac_f32_e32 v110, v47, v18
	s_waitcnt vmcnt(22)
	v_lshlrev_b32_e32 v18, 16, v123
	v_lshl_add_u64 v[102:103], s[12:13], 1, v[2:3]
	s_cselect_b32 s12, s9, s11
	s_waitcnt lgkmcnt(0)
	v_fmac_f32_e32 v110, v54, v18
	global_load_ushort v54, v[88:89], off
	global_load_ushort v40, v[68:69], off
	global_load_ushort v41, v[70:71], off
	global_load_ushort v45, v[74:75], off
	global_load_ushort v47, v[78:79], off
	global_load_ushort v50, v[82:83], off
	global_load_ushort v51, v[84:85], off
	global_load_ushort v52, v[86:87], off
	s_ashr_i32 s13, s12, 31
	s_add_i32 s9, s0, 0xfffff980
	s_cmp_lt_i32 s9, s10
	v_lshl_add_u64 v[104:105], s[12:13], 1, v[2:3]
	s_cselect_b32 s12, s9, s11
	s_ashr_i32 s13, s12, 31
	s_add_i32 s9, s0, 0xfffffa00
	s_cmp_lt_i32 s9, s10
	v_lshl_add_u64 v[106:107], s[12:13], 1, v[2:3]
	s_cselect_b32 s12, s9, s11
	s_ashr_i32 s13, s12, 31
	s_add_i32 s9, s0, 0xfffffa80
	s_waitcnt vmcnt(29)
	v_lshlrev_b32_e32 v18, 16, v58
	s_cmp_lt_i32 s9, s10
	v_fmac_f32_e32 v110, v55, v18
	global_load_ushort v55, v[90:91], off
	s_waitcnt vmcnt(29)
	v_lshlrev_b32_e32 v18, 16, v59
	v_lshl_add_u64 v[100:101], s[12:13], 1, v[2:3]
	s_cselect_b32 s12, s9, s11
	v_fmac_f32_e32 v110, v56, v18
	s_waitcnt vmcnt(28)
	v_lshlrev_b32_e32 v18, 16, v60
	s_ashr_i32 s13, s12, 31
	s_add_i32 s9, s0, 0xfffffb00
	v_fmac_f32_e32 v110, v57, v18
	ds_read_b128 v[18:21], v125 offset:64
	ds_read_b128 v[28:31], v125 offset:80
	s_cmp_lt_i32 s9, s10
	v_lshl_add_u64 v[42:43], s[12:13], 1, v[2:3]
	s_cselect_b32 s12, s9, s11
	s_ashr_i32 s13, s12, 31
	s_add_i32 s9, s0, 0xfffffb80
	s_cmp_lt_i32 s9, s10
	s_waitcnt vmcnt(27)
	v_lshlrev_b32_e32 v53, 16, v61
	v_lshl_add_u64 v[108:109], s[12:13], 1, v[2:3]
	s_cselect_b32 s12, s9, s11
	s_waitcnt lgkmcnt(1)
	v_fmac_f32_e32 v110, v18, v53
	global_load_ushort v53, v[92:93], off
	global_load_ushort v56, v[94:95], off
	;; [unrolled: 1-line block ×6, first 2 shown]
	s_ashr_i32 s13, s12, 31
	s_add_i32 s9, s0, 0xfffffc00
	s_cmp_lt_i32 s9, s10
	v_lshl_add_u64 v[4:5], s[12:13], 1, v[2:3]
	s_cselect_b32 s12, s9, s11
	s_ashr_i32 s13, s12, 31
	s_add_i32 s9, s0, 0xfffffc80
	s_cmp_lt_i32 s9, s10
	s_waitcnt vmcnt(32)
	v_lshlrev_b32_e32 v18, 16, v62
	v_lshl_add_u64 v[6:7], s[12:13], 1, v[2:3]
	s_cselect_b32 s12, s9, s11
	v_fmac_f32_e32 v110, v19, v18
	s_waitcnt vmcnt(28)
	v_lshlrev_b32_e32 v18, 16, v63
	s_ashr_i32 s13, s12, 31
	s_add_i32 s9, s0, 0xfffffd00
	v_fmac_f32_e32 v110, v20, v18
	v_lshlrev_b32_e32 v18, 16, v66
	s_cmp_lt_i32 s9, s10
	v_fmac_f32_e32 v110, v21, v18
	s_waitcnt vmcnt(27)
	v_lshlrev_b32_e32 v18, 16, v67
	v_lshl_add_u64 v[8:9], s[12:13], 1, v[2:3]
	s_cselect_b32 s12, s9, s11
	s_waitcnt lgkmcnt(0)
	v_fmac_f32_e32 v110, v28, v18
	global_load_ushort v28, v[106:107], off
	s_ashr_i32 s13, s12, 31
	s_add_i32 s9, s0, 0xfffffd80
	s_cmp_lt_i32 s9, s10
	global_load_ushort v61, v[100:101], off
	global_load_ushort v62, v[42:43], off
	global_load_ushort v63, v[108:109], off
	v_lshl_add_u64 v[12:13], s[12:13], 1, v[2:3]
	s_cselect_b32 s12, s9, s11
	v_lshlrev_b32_e32 v18, 16, v124
	s_ashr_i32 s13, s12, 31
	s_add_i32 s9, s0, 0xfffffe00
	v_fmac_f32_e32 v110, v29, v18
	v_lshlrev_b32_e32 v18, 16, v126
	s_cmp_lt_i32 s9, s10
	v_fmac_f32_e32 v110, v30, v18
	global_load_ushort v29, v[4:5], off
	global_load_ushort v30, v[6:7], off
	v_lshl_add_u64 v[10:11], s[12:13], 1, v[2:3]
	s_cselect_b32 s12, s9, s11
	s_ashr_i32 s13, s12, 31
	s_add_i32 s9, s0, 0xfffffe80
	s_cmp_lt_i32 s9, s10
	s_waitcnt vmcnt(32)
	v_lshlrev_b32_e32 v4, 16, v48
	v_lshl_add_u64 v[22:23], s[12:13], 1, v[2:3]
	s_cselect_b32 s12, s9, s11
	v_fmac_f32_e32 v110, v31, v4
	ds_read_b128 v[4:7], v125 offset:96
	s_ashr_i32 s13, s12, 31
	s_add_i32 s9, s0, 0xffffff00
	s_cmp_lt_i32 s9, s10
	s_waitcnt vmcnt(31)
	v_lshlrev_b32_e32 v31, 16, v36
	global_load_ushort v36, v[8:9], off
	global_load_ushort v42, v[12:13], off
	v_lshl_add_u64 v[14:15], s[12:13], 1, v[2:3]
	s_cselect_b32 s12, s9, s11
	s_ashr_i32 s13, s12, 31
	s_add_i32 s9, s0, 0xffffff80
	s_cmp_lt_i32 s9, s10
	ds_read_b128 v[18:21], v125 offset:112
	s_waitcnt lgkmcnt(1)
	v_fmac_f32_e32 v110, v4, v31
	s_waitcnt vmcnt(31)
	v_lshlrev_b32_e32 v4, 16, v37
	global_load_ushort v31, v[10:11], off
	global_load_ushort v37, v[22:23], off
	v_lshl_add_u64 v[24:25], s[12:13], 1, v[2:3]
	s_cselect_b32 s12, s9, s11
	s_ashr_i32 s13, s12, 31
	s_cmp_lt_i32 s0, s10
	global_load_ushort v22, v[14:15], off
	global_load_ushort v23, v[24:25], off
	v_lshl_add_u64 v[16:17], s[12:13], 1, v[2:3]
	s_cselect_b32 s12, s0, s11
	s_ashr_i32 s13, s12, 31
	v_lshl_add_u64 v[26:27], s[12:13], 1, v[2:3]
	global_load_ushort v14, v[16:17], off
	global_load_ushort v15, v[26:27], off
	v_fmac_f32_e32 v110, v5, v4
	s_waitcnt vmcnt(35)
	v_lshlrev_b32_e32 v4, 16, v32
	v_fmac_f32_e32 v110, v6, v4
	v_lshlrev_b32_e32 v4, 16, v38
	v_fmac_f32_e32 v110, v7, v4
	s_waitcnt vmcnt(34)
	v_lshlrev_b32_e32 v4, 16, v33
	s_waitcnt lgkmcnt(0)
	v_fmac_f32_e32 v110, v18, v4
	s_waitcnt vmcnt(33)
	v_lshlrev_b32_e32 v4, 16, v34
	v_fmac_f32_e32 v110, v19, v4
	s_waitcnt vmcnt(32)
	v_lshlrev_b32_e32 v4, 16, v35
	v_fmac_f32_e32 v110, v20, v4
	ds_read_b128 v[4:7], v125 offset:128
	s_waitcnt vmcnt(31)
	v_lshlrev_b32_e32 v8, 16, v39
	v_fmac_f32_e32 v110, v21, v8
	ds_read_b128 v[8:11], v125 offset:144
	s_waitcnt vmcnt(27)
	v_lshlrev_b32_e32 v12, 16, v40
	s_waitcnt lgkmcnt(1)
	v_fmac_f32_e32 v110, v4, v12
	s_waitcnt vmcnt(26)
	v_lshlrev_b32_e32 v4, 16, v41
	v_fmac_f32_e32 v110, v5, v4
	v_lshlrev_b32_e32 v4, 16, v44
	v_fmac_f32_e32 v110, v6, v4
	s_waitcnt vmcnt(25)
	v_lshlrev_b32_e32 v4, 16, v45
	v_fmac_f32_e32 v110, v7, v4
	v_lshlrev_b32_e32 v4, 16, v46
	s_waitcnt lgkmcnt(0)
	v_fmac_f32_e32 v110, v8, v4
	s_waitcnt vmcnt(24)
	v_lshlrev_b32_e32 v4, 16, v47
	v_fmac_f32_e32 v110, v9, v4
	v_lshlrev_b32_e32 v4, 16, v49
	v_fmac_f32_e32 v110, v10, v4
	ds_read_b128 v[4:7], v125 offset:160
	s_waitcnt vmcnt(23)
	v_lshlrev_b32_e32 v8, 16, v50
	v_fmac_f32_e32 v110, v11, v8
	ds_read_b128 v[8:11], v125 offset:176
	s_waitcnt vmcnt(22)
	v_lshlrev_b32_e32 v12, 16, v51
	s_waitcnt lgkmcnt(1)
	v_fmac_f32_e32 v110, v4, v12
	s_waitcnt vmcnt(21)
	v_lshlrev_b32_e32 v4, 16, v52
	v_fmac_f32_e32 v110, v5, v4
	v_lshlrev_b32_e32 v4, 16, v54
	v_fmac_f32_e32 v110, v6, v4
	s_waitcnt vmcnt(20)
	v_lshlrev_b32_e32 v4, 16, v55
	v_fmac_f32_e32 v110, v7, v4
	s_waitcnt vmcnt(19)
	v_lshlrev_b32_e32 v4, 16, v53
	s_waitcnt lgkmcnt(0)
	v_fmac_f32_e32 v110, v8, v4
	s_waitcnt vmcnt(18)
	v_lshlrev_b32_e32 v4, 16, v56
	v_fmac_f32_e32 v110, v9, v4
	s_waitcnt vmcnt(17)
	v_lshlrev_b32_e32 v4, 16, v57
	v_fmac_f32_e32 v110, v10, v4
	ds_read_b128 v[4:7], v125 offset:192
	s_waitcnt vmcnt(16)
	v_lshlrev_b32_e32 v8, 16, v58
	v_fmac_f32_e32 v110, v11, v8
	ds_read_b128 v[8:11], v125 offset:208
	s_waitcnt vmcnt(15)
	v_lshlrev_b32_e32 v12, 16, v59
	s_waitcnt lgkmcnt(1)
	v_fmac_f32_e32 v110, v4, v12
	s_waitcnt vmcnt(14)
	v_lshlrev_b32_e32 v4, 16, v60
	v_fmac_f32_e32 v110, v5, v4
	s_waitcnt vmcnt(13)
	v_lshlrev_b32_e32 v4, 16, v28
	;; [unrolled: 3-line block ×4, first 2 shown]
	v_lshlrev_b32_e32 v4, 16, v62
	s_waitcnt lgkmcnt(0)
	v_pk_mul_f32 v[4:5], v[8:9], v[4:5]
	s_waitcnt vmcnt(6)
	v_lshlrev_b32_e32 v13, 16, v42
	v_add_f32_e32 v4, v110, v4
	v_add_f32_e32 v6, v4, v5
	v_lshlrev_b32_e32 v5, 16, v30
	v_lshlrev_b32_e32 v4, 16, v29
	v_pk_mul_f32 v[8:9], v[10:11], v[4:5]
	v_lshlrev_b32_e32 v12, 16, v36
	v_add_f32_e32 v8, v6, v8
	ds_read_b128 v[4:7], v125 offset:224
	v_add_f32_e32 v16, v8, v9
	ds_read_b128 v[8:11], v125 offset:240
	s_waitcnt lgkmcnt(1)
	v_pk_mul_f32 v[4:5], v[4:5], v[12:13]
	s_nop 0
	v_add_f32_e32 v4, v16, v4
	v_add_f32_e32 v12, v4, v5
	s_waitcnt vmcnt(4)
	v_lshlrev_b32_e32 v5, 16, v37
	v_lshlrev_b32_e32 v4, 16, v31
	v_pk_mul_f32 v[4:5], v[6:7], v[4:5]
	s_nop 0
	v_add_f32_e32 v4, v12, v4
	v_add_f32_e32 v6, v4, v5
	s_waitcnt vmcnt(2)
	v_lshlrev_b32_e32 v5, 16, v23
	v_lshlrev_b32_e32 v4, 16, v22
	s_waitcnt lgkmcnt(0)
	v_pk_mul_f32 v[4:5], v[8:9], v[4:5]
	s_nop 0
	v_add_f32_e32 v4, v6, v4
	v_add_f32_e32 v6, v4, v5
	s_waitcnt vmcnt(1)
	v_lshlrev_b32_e32 v4, 16, v14
	s_waitcnt vmcnt(0)
	v_lshlrev_b32_e32 v5, 16, v15
	v_pk_mul_f32 v[4:5], v[10:11], v[4:5]
	s_nop 0
	v_add_f32_e32 v4, v6, v4
	v_add_f32_e32 v110, v4, v5
	s_branch .LBB604_16
.LBB604_19:
	v_mov_b32_e32 v2, 0
	ds_read_b32 v2, v2 offset:2304
	s_cmp_lg_u64 s[6:7], 0
	s_cbranch_scc0 .LBB604_24
; %bb.20:
	s_load_dword s6, s[6:7], 0x0
	s_waitcnt lgkmcnt(0)
	v_div_scale_f32 v3, s[0:1], s6, s6, 1.0
	v_rcp_f32_e32 v4, v3
	v_div_scale_f32 v5, vcc, 1.0, s6, 1.0
	v_fma_f32 v6, -v3, v4, 1.0
	v_fmac_f32_e32 v4, v6, v4
	v_mul_f32_e32 v6, v5, v4
	v_fma_f32 v7, -v3, v6, v5
	v_fmac_f32_e32 v6, v7, v4
	v_fma_f32 v3, -v3, v6, v5
	v_div_fmas_f32 v3, v3, v4, v6
	v_div_fixup_f32 v3, v3, s6, 1.0
	s_andn2_b64 vcc, exec, s[36:37]
	s_cbranch_vccnz .LBB604_22
.LBB604_21:
	s_add_u32 s0, s34, s38
	s_addc_u32 s1, s35, s39
	s_load_dword s22, s[0:1], 0x0
	s_mov_b32 s23, 0
.LBB604_22:
	s_waitcnt lgkmcnt(0)
	v_add_f32_e32 v2, 0x358637bd, v2
	v_div_scale_f32 v4, s[0:1], v2, v2, 1.0
	v_rcp_f32_e32 v5, v4
	v_div_scale_f32 v6, vcc, 1.0, v2, 1.0
	s_mul_i32 s0, s3, s23
	v_fma_f32 v7, -v4, v5, 1.0
	v_fmac_f32_e32 v5, v7, v5
	v_mul_f32_e32 v7, v6, v5
	v_fma_f32 v8, -v4, v7, v6
	v_fmac_f32_e32 v7, v8, v5
	v_fma_f32 v4, -v4, v7, v6
	s_mul_hi_u32 s1, s3, s22
	v_div_fmas_f32 v4, v4, v5, v7
	s_add_i32 s1, s1, s0
	s_mul_i32 s0, s3, s22
	v_div_fixup_f32 v2, v4, v2, 1.0
	s_lshl_b64 s[0:1], s[0:1], 7
	v_mul_f32_e32 v2, v110, v2
	s_add_u32 s4, s4, s0
	s_mov_b32 s3, 0
	v_mul_f32_e32 v2, v2, v3
	s_addc_u32 s5, s5, s1
	s_lshl_b64 s[0:1], s[2:3], 7
	s_mov_b32 s2, 0x7f800000
	s_mov_b32 s3, 0x43700000
	v_mov_b32_e32 v3, 0xc3700000
	v_med3_f32 v3, v2, s3, v3
	v_cmp_nlg_f32_e64 vcc, |v2|, s2
	s_add_u32 s0, s4, s0
	s_addc_u32 s1, s5, s1
	v_cndmask_b32_e32 v2, v3, v2, vcc
	v_mov_b32_e32 v3, 0
	v_cvt_pk_fp8_f32 v3, v2, v2
	v_lshl_add_u64 v[0:1], s[0:1], 0, v[0:1]
	global_store_byte v[0:1], v3, off
	s_endpgm
.LBB604_23:
	s_mov_b64 s[6:7], 0
	s_branch .LBB604_2
.LBB604_24:
	v_mov_b32_e32 v3, 1.0
	s_andn2_b64 vcc, exec, s[36:37]
	s_cbranch_vccz .LBB604_21
	s_branch .LBB604_22
	.section	.rodata,"a",@progbits
	.p2align	6, 0x0
	.amdhsa_kernel _Z35paged_attention_ll4mi_reduce_kernelI14__hip_bfloat16hLi128ELi128ELi256ELi9EEvPT0_PKfS4_PKT_PKiS9_iS4_
		.amdhsa_group_segment_fixed_size 2308
		.amdhsa_private_segment_fixed_size 0
		.amdhsa_kernarg_size 320
		.amdhsa_user_sgpr_count 2
		.amdhsa_user_sgpr_dispatch_ptr 0
		.amdhsa_user_sgpr_queue_ptr 0
		.amdhsa_user_sgpr_kernarg_segment_ptr 1
		.amdhsa_user_sgpr_dispatch_id 0
		.amdhsa_user_sgpr_kernarg_preload_length 0
		.amdhsa_user_sgpr_kernarg_preload_offset 0
		.amdhsa_user_sgpr_private_segment_size 0
		.amdhsa_uses_dynamic_stack 0
		.amdhsa_enable_private_segment 0
		.amdhsa_system_sgpr_workgroup_id_x 1
		.amdhsa_system_sgpr_workgroup_id_y 1
		.amdhsa_system_sgpr_workgroup_id_z 0
		.amdhsa_system_sgpr_workgroup_info 0
		.amdhsa_system_vgpr_workitem_id 0
		.amdhsa_next_free_vgpr 127
		.amdhsa_next_free_sgpr 47
		.amdhsa_accum_offset 128
		.amdhsa_reserve_vcc 1
		.amdhsa_float_round_mode_32 0
		.amdhsa_float_round_mode_16_64 0
		.amdhsa_float_denorm_mode_32 3
		.amdhsa_float_denorm_mode_16_64 3
		.amdhsa_dx10_clamp 1
		.amdhsa_ieee_mode 1
		.amdhsa_fp16_overflow 0
		.amdhsa_tg_split 0
		.amdhsa_exception_fp_ieee_invalid_op 0
		.amdhsa_exception_fp_denorm_src 0
		.amdhsa_exception_fp_ieee_div_zero 0
		.amdhsa_exception_fp_ieee_overflow 0
		.amdhsa_exception_fp_ieee_underflow 0
		.amdhsa_exception_fp_ieee_inexact 0
		.amdhsa_exception_int_div_zero 0
	.end_amdhsa_kernel
	.section	.text._Z35paged_attention_ll4mi_reduce_kernelI14__hip_bfloat16hLi128ELi128ELi256ELi9EEvPT0_PKfS4_PKT_PKiS9_iS4_,"axG",@progbits,_Z35paged_attention_ll4mi_reduce_kernelI14__hip_bfloat16hLi128ELi128ELi256ELi9EEvPT0_PKfS4_PKT_PKiS9_iS4_,comdat
.Lfunc_end604:
	.size	_Z35paged_attention_ll4mi_reduce_kernelI14__hip_bfloat16hLi128ELi128ELi256ELi9EEvPT0_PKfS4_PKT_PKiS9_iS4_, .Lfunc_end604-_Z35paged_attention_ll4mi_reduce_kernelI14__hip_bfloat16hLi128ELi128ELi256ELi9EEvPT0_PKfS4_PKT_PKiS9_iS4_
                                        ; -- End function
	.section	.AMDGPU.csdata,"",@progbits
; Kernel info:
; codeLenInByte = 9580
; NumSgprs: 53
; NumVgprs: 127
; NumAgprs: 0
; TotalNumVgprs: 127
; ScratchSize: 0
; MemoryBound: 0
; FloatMode: 240
; IeeeMode: 1
; LDSByteSize: 2308 bytes/workgroup (compile time only)
; SGPRBlocks: 6
; VGPRBlocks: 15
; NumSGPRsForWavesPerEU: 53
; NumVGPRsForWavesPerEU: 127
; AccumOffset: 128
; Occupancy: 4
; WaveLimiterHint : 1
; COMPUTE_PGM_RSRC2:SCRATCH_EN: 0
; COMPUTE_PGM_RSRC2:USER_SGPR: 2
; COMPUTE_PGM_RSRC2:TRAP_HANDLER: 0
; COMPUTE_PGM_RSRC2:TGID_X_EN: 1
; COMPUTE_PGM_RSRC2:TGID_Y_EN: 1
; COMPUTE_PGM_RSRC2:TGID_Z_EN: 0
; COMPUTE_PGM_RSRC2:TIDIG_COMP_CNT: 0
; COMPUTE_PGM_RSRC3_GFX90A:ACCUM_OFFSET: 31
; COMPUTE_PGM_RSRC3_GFX90A:TG_SPLIT: 0
	.section	.text._Z35paged_attention_ll4mi_reduce_kernelI14__hip_bfloat16hLi128ELi128ELi256ELi10EEvPT0_PKfS4_PKT_PKiS9_iS4_,"axG",@progbits,_Z35paged_attention_ll4mi_reduce_kernelI14__hip_bfloat16hLi128ELi128ELi256ELi10EEvPT0_PKfS4_PKT_PKiS9_iS4_,comdat
	.protected	_Z35paged_attention_ll4mi_reduce_kernelI14__hip_bfloat16hLi128ELi128ELi256ELi10EEvPT0_PKfS4_PKT_PKiS9_iS4_ ; -- Begin function _Z35paged_attention_ll4mi_reduce_kernelI14__hip_bfloat16hLi128ELi128ELi256ELi10EEvPT0_PKfS4_PKT_PKiS9_iS4_
	.globl	_Z35paged_attention_ll4mi_reduce_kernelI14__hip_bfloat16hLi128ELi128ELi256ELi10EEvPT0_PKfS4_PKT_PKiS9_iS4_
	.p2align	8
	.type	_Z35paged_attention_ll4mi_reduce_kernelI14__hip_bfloat16hLi128ELi128ELi256ELi10EEvPT0_PKfS4_PKT_PKiS9_iS4_,@function
_Z35paged_attention_ll4mi_reduce_kernelI14__hip_bfloat16hLi128ELi128ELi256ELi10EEvPT0_PKfS4_PKT_PKiS9_iS4_: ; @_Z35paged_attention_ll4mi_reduce_kernelI14__hip_bfloat16hLi128ELi128ELi256ELi10EEvPT0_PKfS4_PKT_PKiS9_iS4_
; %bb.0:
	s_load_dwordx2 s[36:37], s[0:1], 0x28
	s_mov_b32 s34, s3
	s_mov_b64 s[4:5], 0
	s_waitcnt lgkmcnt(0)
	s_cmp_lg_u64 s[36:37], 0
	s_cselect_b64 s[38:39], -1, 0
	s_and_b64 vcc, exec, s[38:39]
	s_cbranch_vccz .LBB605_23
; %bb.1:
	s_add_i32 s6, s34, 1
	s_mov_b32 s7, 0
	s_lshl_b64 s[8:9], s[6:7], 2
	s_add_u32 s8, s36, s8
	s_mov_b32 s35, s7
	s_addc_u32 s9, s37, s9
	s_lshl_b64 s[6:7], s[34:35], 2
	s_add_u32 s6, s36, s6
	s_addc_u32 s7, s37, s7
	s_load_dword s3, s[8:9], 0x0
	s_load_dword s10, s[6:7], 0x0
	s_waitcnt lgkmcnt(0)
	s_sub_i32 s3, s3, s10
	s_cmp_eq_u32 s3, 1
	s_cselect_b64 s[6:7], -1, 0
	s_andn2_b64 vcc, exec, s[4:5]
	s_cbranch_vccnz .LBB605_3
.LBB605_2:
	s_mov_b32 s35, 0
	s_mov_b64 s[6:7], -1
.LBB605_3:
	s_andn2_b64 vcc, exec, s[6:7]
	s_cbranch_vccz .LBB605_5
; %bb.4:
	s_endpgm
.LBB605_5:
	s_load_dwordx4 s[24:27], s[0:1], 0x18
	s_load_dword s8, s[0:1], 0x30
	s_lshl_b64 s[40:41], s[34:35], 2
	v_cmp_lt_u32_e32 vcc, 63, v0
	s_waitcnt lgkmcnt(0)
	s_add_u32 s4, s26, s40
	s_addc_u32 s5, s27, s41
	s_load_dword s48, s[4:5], 0x0
	s_load_dword s3, s[0:1], 0x40
	s_mul_i32 s26, s2, s8
	s_mul_i32 s6, s34, s8
	s_waitcnt lgkmcnt(0)
	s_add_i32 s7, s48, 0xff
	s_ashr_i32 s4, s7, 31
	s_lshr_b32 s4, s4, 24
	s_add_i32 s7, s7, s4
	s_and_saveexec_b64 s[4:5], vcc
	s_xor_b64 s[4:5], exec, s[4:5]
	s_or_saveexec_b64 s[42:43], s[4:5]
	s_ashr_i32 s33, s7, 8
	v_mov_b32_e32 v1, s26
	s_mul_i32 s44, s6, s3
	s_xor_b64 exec, exec, s[42:43]
	s_cbranch_execz .LBB605_9
; %bb.6:
	s_add_i32 s4, s33, -1
	v_or_b32_e32 v3, 64, v0
	v_mov_b32_e32 v1, s4
	v_cmp_gt_u32_e64 s[18:19], s33, v3
	s_load_dwordx4 s[28:31], s[0:1], 0x8
	s_mov_b32 s45, 0
	v_cndmask_b32_e64 v4, v1, v3, s[18:19]
	v_or_b32_e32 v3, 0x80, v0
	v_cmp_gt_u32_e64 s[16:17], s33, v3
	s_lshl_b64 s[46:47], s[44:45], 2
	s_mov_b32 s27, s45
	v_cndmask_b32_e64 v6, v1, v3, s[16:17]
	v_or_b32_e32 v3, 0xc0, v0
	v_cmp_gt_u32_e64 s[14:15], s33, v3
	v_cmp_gt_u32_e64 s[20:21], s33, v0
	s_waitcnt lgkmcnt(0)
	s_add_u32 s22, s30, s46
	v_cndmask_b32_e64 v8, v1, v3, s[14:15]
	v_or_b32_e32 v3, 0x100, v0
	v_cmp_gt_u32_e64 s[12:13], s33, v3
	v_cndmask_b32_e64 v2, v1, v0, s[20:21]
	s_addc_u32 s23, s31, s47
	v_cndmask_b32_e64 v10, v1, v3, s[12:13]
	v_or_b32_e32 v3, 0x140, v0
	v_cmp_gt_u32_e64 s[10:11], s33, v3
	s_lshl_b64 s[30:31], s[26:27], 2
	s_add_u32 s22, s22, s30
	v_cndmask_b32_e64 v12, v1, v3, s[10:11]
	v_or_b32_e32 v3, 0x180, v0
	v_cmp_gt_u32_e64 s[8:9], s33, v3
	s_addc_u32 s23, s23, s31
	v_ashrrev_i32_e32 v5, 31, v4
	v_cndmask_b32_e64 v14, v1, v3, s[8:9]
	v_or_b32_e32 v3, 0x1c0, v0
	v_cmp_gt_u32_e64 s[6:7], s33, v3
	v_ashrrev_i32_e32 v7, 31, v6
	v_ashrrev_i32_e32 v9, 31, v8
	v_cndmask_b32_e64 v16, v1, v3, s[6:7]
	v_or_b32_e32 v3, 0x200, v0
	v_cmp_gt_u32_e64 s[4:5], s33, v3
	v_ashrrev_i32_e32 v11, 31, v10
	v_ashrrev_i32_e32 v13, 31, v12
	v_cndmask_b32_e64 v18, v1, v3, s[4:5]
	v_or_b32_e32 v3, 0x240, v0
	v_cmp_gt_u32_e32 vcc, s33, v3
	v_ashrrev_i32_e32 v15, 31, v14
	v_ashrrev_i32_e32 v17, 31, v16
	v_cndmask_b32_e32 v20, v1, v3, vcc
	v_ashrrev_i32_e32 v3, 31, v2
	v_lshlrev_b64 v[2:3], 2, v[2:3]
	v_ashrrev_i32_e32 v19, 31, v18
	v_lshl_add_u64 v[22:23], s[22:23], 0, v[2:3]
	v_lshlrev_b64 v[4:5], 2, v[4:5]
	v_lshlrev_b64 v[6:7], 2, v[6:7]
	;; [unrolled: 1-line block ×8, first 2 shown]
	v_ashrrev_i32_e32 v21, 31, v20
	v_lshl_add_u64 v[24:25], s[22:23], 0, v[4:5]
	v_lshl_add_u64 v[26:27], s[22:23], 0, v[6:7]
	;; [unrolled: 1-line block ×7, first 2 shown]
	global_load_dword v1, v[22:23], off
	global_load_dword v38, v[24:25], off
	;; [unrolled: 1-line block ×8, first 2 shown]
	v_lshl_add_u64 v[22:23], s[22:23], 0, v[18:19]
	v_lshlrev_b64 v[20:21], 2, v[20:21]
	v_lshl_add_u64 v[24:25], s[22:23], 0, v[20:21]
	global_load_dword v26, v[22:23], off
	global_load_dword v27, v[24:25], off
	v_mbcnt_lo_u32_b32 v22, -1, 0
	v_mbcnt_hi_u32_b32 v22, -1, v22
	v_and_b32_e32 v23, 64, v22
	v_xor_b32_e32 v24, 32, v22
	v_add_u32_e32 v23, 64, v23
	v_cmp_lt_i32_e64 s[22:23], v24, v23
	v_xor_b32_e32 v25, 16, v22
	v_xor_b32_e32 v30, 8, v22
	v_cndmask_b32_e64 v24, v22, v24, s[22:23]
	v_lshlrev_b32_e32 v24, 2, v24
	v_cmp_lt_i32_e64 s[22:23], v25, v23
	s_mov_b32 s27, 0x3fb8aa3b
	s_waitcnt vmcnt(9)
	v_max_f32_e32 v29, v1, v1
	s_waitcnt vmcnt(8)
	v_max_f32_e32 v28, v38, v38
	v_max_f32_e32 v28, v29, v28
	s_waitcnt vmcnt(6)
	v_max3_f32 v28, v28, v39, v40
	v_cndmask_b32_e64 v25, v22, v25, s[22:23]
	s_waitcnt vmcnt(4)
	v_max3_f32 v28, v28, v41, v42
	v_lshlrev_b32_e32 v25, 2, v25
	s_waitcnt vmcnt(2)
	v_max3_f32 v28, v28, v43, v44
	v_cmp_lt_i32_e64 s[22:23], v30, v23
	s_waitcnt vmcnt(0)
	v_max3_f32 v28, v28, v26, v27
	ds_bpermute_b32 v29, v24, v28
	v_cndmask_b32_e64 v30, v22, v30, s[22:23]
	v_lshlrev_b32_e32 v30, 2, v30
	s_add_u32 s22, s28, s46
	s_addc_u32 s23, s29, s47
	s_waitcnt lgkmcnt(0)
	v_max_f32_e32 v29, v29, v29
	v_max_f32_e32 v28, v28, v29
	ds_bpermute_b32 v29, v25, v28
	s_add_u32 s28, s22, s30
	s_addc_u32 s29, s23, s31
	v_lshl_add_u64 v[2:3], s[28:29], 0, v[2:3]
	global_load_dword v31, v[2:3], off
	s_waitcnt lgkmcnt(0)
	v_max_f32_e32 v29, v29, v29
	v_max_f32_e32 v28, v28, v29
	ds_bpermute_b32 v29, v30, v28
	s_waitcnt lgkmcnt(0)
	v_max_f32_e32 v2, v29, v29
	v_max_f32_e32 v28, v28, v2
	v_xor_b32_e32 v2, 4, v22
	v_cmp_lt_i32_e64 s[22:23], v2, v23
	s_nop 1
	v_cndmask_b32_e64 v2, v22, v2, s[22:23]
	v_lshlrev_b32_e32 v29, 2, v2
	ds_bpermute_b32 v2, v29, v28
	s_waitcnt lgkmcnt(0)
	v_max_f32_e32 v32, v2, v2
	v_lshl_add_u64 v[2:3], s[28:29], 0, v[4:5]
	global_load_dword v33, v[2:3], off
	v_xor_b32_e32 v3, 2, v22
	v_cmp_lt_i32_e64 s[22:23], v3, v23
	v_max_f32_e32 v2, v28, v32
	v_xor_b32_e32 v4, 1, v22
	v_cndmask_b32_e64 v3, v22, v3, s[22:23]
	v_lshlrev_b32_e32 v28, 2, v3
	ds_bpermute_b32 v3, v28, v2
	v_cmp_lt_i32_e64 s[22:23], v4, v23
	s_waitcnt lgkmcnt(0)
	v_max_f32_e32 v3, v3, v3
	v_max_f32_e32 v32, v2, v3
	v_lshl_add_u64 v[2:3], s[28:29], 0, v[6:7]
	global_load_dword v34, v[2:3], off
	v_cndmask_b32_e64 v2, v22, v4, s[22:23]
	v_lshlrev_b32_e32 v22, 2, v2
	v_lshl_add_u64 v[2:3], s[28:29], 0, v[8:9]
	v_lshl_add_u64 v[4:5], s[28:29], 0, v[10:11]
	;; [unrolled: 1-line block ×5, first 2 shown]
	global_load_dword v12, v[2:3], off
	global_load_dword v13, v[4:5], off
	;; [unrolled: 1-line block ×5, first 2 shown]
	ds_bpermute_b32 v23, v22, v32
	v_lshl_add_u64 v[2:3], s[28:29], 0, v[18:19]
	s_waitcnt lgkmcnt(0)
	v_max_f32_e32 v4, v23, v23
	v_max_f32_e32 v6, v32, v4
	v_sub_f32_e32 v1, v1, v6
	v_mul_f32_e32 v4, 0x3fb8aa3b, v1
	v_fma_f32 v5, v1, s27, -v4
	v_rndne_f32_e32 v7, v4
	v_fmac_f32_e32 v5, 0x32a5705f, v1
	v_sub_f32_e32 v4, v4, v7
	v_add_f32_e32 v4, v4, v5
	v_exp_f32_e32 v8, v4
	v_cvt_i32_f32_e32 v7, v7
	v_lshl_add_u64 v[4:5], s[28:29], 0, v[20:21]
	global_load_dword v9, v[2:3], off
	global_load_dword v10, v[4:5], off
	v_sub_f32_e32 v4, v38, v6
	v_mul_f32_e32 v5, 0x3fb8aa3b, v4
	v_ldexp_f32 v2, v8, v7
	v_fma_f32 v7, v4, s27, -v5
	v_rndne_f32_e32 v8, v5
	v_fmac_f32_e32 v7, 0x32a5705f, v4
	v_sub_f32_e32 v5, v5, v8
	v_add_f32_e32 v5, v5, v7
	v_exp_f32_e32 v5, v5
	v_cvt_i32_f32_e32 v7, v8
	s_mov_b32 s28, 0xc2ce8ed0
	v_cmp_ngt_f32_e64 s[22:23], s28, v1
	s_mov_b32 s29, 0x42b17218
	v_mov_b32_e32 v3, 0x7f800000
	v_cndmask_b32_e64 v2, 0, v2, s[22:23]
	v_cmp_nlt_f32_e64 s[22:23], s29, v1
	s_nop 1
	v_cndmask_b32_e64 v1, v3, v2, s[22:23]
	v_ldexp_f32 v2, v5, v7
	v_sub_f32_e32 v5, v39, v6
	v_mul_f32_e32 v7, 0x3fb8aa3b, v5
	v_fma_f32 v8, v5, s27, -v7
	v_rndne_f32_e32 v11, v7
	v_fmac_f32_e32 v8, 0x32a5705f, v5
	v_sub_f32_e32 v7, v7, v11
	v_add_f32_e32 v7, v7, v8
	v_exp_f32_e32 v7, v7
	v_cvt_i32_f32_e32 v8, v11
	v_cndmask_b32_e64 v1, 0, v1, s[20:21]
	v_cmp_ngt_f32_e64 s[20:21], s28, v4
	s_waitcnt vmcnt(9)
	v_mul_f32_e32 v1, v31, v1
	v_cndmask_b32_e64 v2, 0, v2, s[20:21]
	v_cmp_nlt_f32_e64 s[20:21], s29, v4
	v_ldexp_f32 v4, v7, v8
	v_sub_f32_e32 v7, v40, v6
	v_mul_f32_e32 v8, 0x3fb8aa3b, v7
	v_fma_f32 v11, v7, s27, -v8
	v_rndne_f32_e32 v17, v8
	v_fmac_f32_e32 v11, 0x32a5705f, v7
	v_sub_f32_e32 v8, v8, v17
	v_add_f32_e32 v8, v8, v11
	v_exp_f32_e32 v8, v8
	v_cvt_i32_f32_e32 v11, v17
	v_cndmask_b32_e64 v2, v3, v2, s[20:21]
	v_cndmask_b32_e64 v2, 0, v2, s[18:19]
	v_cmp_ngt_f32_e64 s[18:19], s28, v5
	s_waitcnt vmcnt(8)
	v_mul_f32_e32 v2, v33, v2
	v_cndmask_b32_e64 v4, 0, v4, s[18:19]
	v_cmp_nlt_f32_e64 s[18:19], s29, v5
	v_ldexp_f32 v5, v8, v11
	v_sub_f32_e32 v8, v41, v6
	v_mul_f32_e32 v11, 0x3fb8aa3b, v8
	v_fma_f32 v17, v8, s27, -v11
	v_rndne_f32_e32 v18, v11
	v_fmac_f32_e32 v17, 0x32a5705f, v8
	v_sub_f32_e32 v11, v11, v18
	v_add_f32_e32 v11, v11, v17
	v_cndmask_b32_e64 v4, v3, v4, s[18:19]
	v_exp_f32_e32 v11, v11
	v_cvt_i32_f32_e32 v17, v18
	v_cndmask_b32_e64 v4, 0, v4, s[16:17]
	v_cmp_ngt_f32_e64 s[16:17], s28, v7
	s_waitcnt vmcnt(7)
	v_mul_f32_e32 v4, v34, v4
	v_cndmask_b32_e64 v5, 0, v5, s[16:17]
	v_cmp_nlt_f32_e64 s[16:17], s29, v7
	v_ldexp_f32 v7, v11, v17
	v_sub_f32_e32 v11, v42, v6
	v_cndmask_b32_e64 v5, v3, v5, s[16:17]
	v_cndmask_b32_e64 v5, 0, v5, s[14:15]
	s_waitcnt vmcnt(6)
	v_mul_f32_e32 v5, v12, v5
	v_mul_f32_e32 v12, 0x3fb8aa3b, v11
	v_fma_f32 v17, v11, s27, -v12
	v_rndne_f32_e32 v18, v12
	v_fmac_f32_e32 v17, 0x32a5705f, v11
	v_sub_f32_e32 v12, v12, v18
	v_add_f32_e32 v12, v12, v17
	v_exp_f32_e32 v12, v12
	v_cvt_i32_f32_e32 v17, v18
	v_cmp_ngt_f32_e64 s[14:15], s28, v8
	s_nop 1
	v_cndmask_b32_e64 v7, 0, v7, s[14:15]
	v_cmp_nlt_f32_e64 s[14:15], s29, v8
	v_ldexp_f32 v8, v12, v17
	v_sub_f32_e32 v12, v43, v6
	v_cndmask_b32_e64 v7, v3, v7, s[14:15]
	v_cndmask_b32_e64 v7, 0, v7, s[12:13]
	s_waitcnt vmcnt(5)
	v_mul_f32_e32 v7, v13, v7
	v_mul_f32_e32 v13, 0x3fb8aa3b, v12
	v_fma_f32 v17, v12, s27, -v13
	v_rndne_f32_e32 v18, v13
	v_fmac_f32_e32 v17, 0x32a5705f, v12
	v_sub_f32_e32 v13, v13, v18
	v_add_f32_e32 v13, v13, v17
	v_exp_f32_e32 v13, v13
	v_cvt_i32_f32_e32 v17, v18
	v_cmp_ngt_f32_e64 s[12:13], s28, v11
	s_nop 1
	;; [unrolled: 18-line block ×3, first 2 shown]
	v_cndmask_b32_e64 v11, 0, v11, s[10:11]
	v_cmp_nlt_f32_e64 s[10:11], s29, v12
	v_ldexp_f32 v12, v14, v17
	v_sub_f32_e32 v14, v26, v6
	v_mul_f32_e32 v17, 0x3fb8aa3b, v14
	v_fma_f32 v18, v14, s27, -v17
	v_rndne_f32_e32 v19, v17
	v_fmac_f32_e32 v18, 0x32a5705f, v14
	v_sub_f32_e32 v17, v17, v19
	v_add_f32_e32 v17, v17, v18
	v_exp_f32_e32 v17, v17
	v_cvt_i32_f32_e32 v18, v19
	v_cndmask_b32_e64 v11, v3, v11, s[10:11]
	v_cndmask_b32_e64 v11, 0, v11, s[8:9]
	v_cmp_ngt_f32_e64 s[8:9], s28, v13
	v_sub_f32_e32 v6, v27, v6
	s_nop 0
	v_cndmask_b32_e64 v12, 0, v12, s[8:9]
	v_cmp_nlt_f32_e64 s[8:9], s29, v13
	v_ldexp_f32 v13, v17, v18
	v_mul_f32_e32 v17, 0x3fb8aa3b, v6
	v_fma_f32 v18, v6, s27, -v17
	v_rndne_f32_e32 v19, v17
	v_fmac_f32_e32 v18, 0x32a5705f, v6
	v_sub_f32_e32 v17, v17, v19
	v_add_f32_e32 v17, v17, v18
	v_cndmask_b32_e64 v12, v3, v12, s[8:9]
	v_exp_f32_e32 v17, v17
	v_cvt_i32_f32_e32 v18, v19
	v_cndmask_b32_e64 v12, 0, v12, s[6:7]
	v_cmp_ngt_f32_e64 s[6:7], s28, v14
	s_nop 1
	v_cndmask_b32_e64 v13, 0, v13, s[6:7]
	v_cmp_nlt_f32_e64 s[6:7], s29, v14
	v_ldexp_f32 v14, v17, v18
	s_nop 0
	v_cndmask_b32_e64 v13, v3, v13, s[6:7]
	v_cndmask_b32_e64 v13, 0, v13, s[4:5]
	v_cmp_ngt_f32_e64 s[4:5], s28, v6
	s_nop 1
	v_cndmask_b32_e64 v14, 0, v14, s[4:5]
	v_cmp_nlt_f32_e64 s[4:5], s29, v6
	v_add_f32_e32 v6, v1, v2
	v_add_f32_e32 v6, v6, v4
	;; [unrolled: 1-line block ×5, first 2 shown]
	s_waitcnt vmcnt(3)
	v_fmac_f32_e32 v6, v15, v11
	v_cndmask_b32_e64 v3, v3, v14, s[4:5]
	s_waitcnt vmcnt(2)
	v_fmac_f32_e32 v6, v16, v12
	v_cndmask_b32_e32 v3, 0, v3, vcc
	s_waitcnt vmcnt(1)
	v_fmac_f32_e32 v6, v9, v13
	s_waitcnt vmcnt(0)
	v_fmac_f32_e32 v6, v10, v3
	ds_bpermute_b32 v14, v24, v6
	v_mul_f32_e32 v9, v9, v13
	v_mul_f32_e32 v3, v10, v3
	v_lshlrev_b32_e32 v10, 2, v0
	ds_write2st64_b32 v10, v1, v2 offset1:1
	ds_write2st64_b32 v10, v4, v5 offset0:2 offset1:3
	s_waitcnt lgkmcnt(2)
	v_add_f32_e32 v6, v6, v14
	ds_bpermute_b32 v14, v25, v6
	v_cmp_eq_u32_e32 vcc, 0, v0
	v_mul_f32_e32 v11, v15, v11
	v_mul_f32_e32 v12, v16, v12
	ds_write2st64_b32 v10, v7, v8 offset0:4 offset1:5
	ds_write2st64_b32 v10, v11, v12 offset0:6 offset1:7
	;; [unrolled: 1-line block ×3, first 2 shown]
	s_waitcnt lgkmcnt(3)
	v_add_f32_e32 v6, v6, v14
	ds_bpermute_b32 v14, v30, v6
	s_waitcnt lgkmcnt(0)
	v_add_f32_e32 v6, v6, v14
	ds_bpermute_b32 v14, v29, v6
	;; [unrolled: 3-line block ×4, first 2 shown]
	s_and_saveexec_b64 s[4:5], vcc
	s_cbranch_execz .LBB605_8
; %bb.7:
	s_waitcnt lgkmcnt(0)
	v_add_f32_e32 v1, v1, v2
	v_mov_b32_e32 v2, 0
	ds_write_b32 v2, v1 offset:2560
.LBB605_8:
	s_or_b64 exec, exec, s[4:5]
	v_mov_b32_e32 v1, s26
.LBB605_9:
	s_or_b64 exec, exec, s[42:43]
	s_lshl_b32 s4, s44, 7
	s_mov_b32 s5, 0
	s_lshl_b64 s[4:5], s[4:5], 1
	s_add_u32 s4, s24, s4
	s_addc_u32 s5, s25, s5
	s_lshl_b32 s10, s33, 7
	s_waitcnt lgkmcnt(0)
	v_lshlrev_b32_e32 v2, 7, v1
	v_mov_b32_e32 v1, 0
	s_add_i32 s11, s10, 0xffffff80
	v_mov_b32_e32 v3, v1
	s_cmp_lt_i32 s48, 1
	v_lshl_add_u64 v[2:3], v[2:3], 1, s[4:5]
	s_cselect_b32 s4, s11, 0
	v_lshlrev_b32_e32 v4, 1, v0
	v_mov_b32_e32 v5, v1
	s_ashr_i32 s5, s4, 31
	v_lshl_add_u64 v[2:3], v[2:3], 0, v[4:5]
	s_cmpk_lt_i32 s48, 0x101
	v_lshl_add_u64 v[4:5], s[4:5], 1, v[2:3]
	s_cselect_b32 s4, s11, 0x80
	s_ashr_i32 s5, s4, 31
	s_cmpk_lt_i32 s48, 0x201
	v_lshl_add_u64 v[6:7], s[4:5], 1, v[2:3]
	s_cselect_b32 s4, s11, 0x100
	s_ashr_i32 s5, s4, 31
	;; [unrolled: 4-line block ×8, first 2 shown]
	s_cmpk_lt_i32 s48, 0x901
	global_load_ushort v23, v[4:5], off
	global_load_ushort v22, v[6:7], off
	;; [unrolled: 1-line block ×8, first 2 shown]
	v_lshl_add_u64 v[4:5], s[4:5], 1, v[2:3]
	s_cselect_b32 s4, s11, 0x480
	s_ashr_i32 s5, s4, 31
	s_cmpk_lt_i32 s48, 0xa01
	v_lshl_add_u64 v[6:7], s[4:5], 1, v[2:3]
	s_cselect_b32 s4, s11, 0x500
	s_ashr_i32 s5, s4, 31
	s_cmpk_lt_i32 s48, 0xb01
	;; [unrolled: 4-line block ×6, first 2 shown]
	v_lshl_add_u64 v[32:33], s[4:5], 1, v[2:3]
	s_cselect_b32 s4, s11, 0x780
	s_ashr_i32 s5, s4, 31
	v_lshl_add_u64 v[34:35], s[4:5], 1, v[2:3]
	global_load_ushort v30, v[4:5], off
	global_load_ushort v31, v[6:7], off
	;; [unrolled: 1-line block ×8, first 2 shown]
	s_cmpk_gt_i32 s48, 0x1000
	s_cselect_b64 s[8:9], -1, 0
	s_cmpk_lt_i32 s48, 0x1001
	v_mov_b32_e32 v40, 0
	v_mov_b32_e32 v41, 0
	;; [unrolled: 1-line block ×48, first 2 shown]
	s_barrier
	s_cbranch_scc1 .LBB605_12
; %bb.10:
	s_cmpk_lt_u32 s48, 0x1101
	s_cselect_b32 s4, s11, 0x880
	s_ashr_i32 s5, s4, 31
	s_cmpk_lt_u32 s48, 0x1201
	v_lshl_add_u64 v[6:7], s[4:5], 1, v[2:3]
	s_cselect_b32 s4, s11, 0x900
	s_ashr_i32 s5, s4, 31
	s_cmpk_lt_u32 s48, 0x1301
	v_lshl_add_u64 v[8:9], s[4:5], 1, v[2:3]
	s_cselect_b32 s4, s11, 0x980
	s_ashr_i32 s5, s4, 31
	s_cmpk_lt_u32 s48, 0x1401
	v_lshl_add_u64 v[10:11], s[4:5], 1, v[2:3]
	s_cselect_b32 s4, s11, 0xa00
	s_ashr_i32 s5, s4, 31
	s_cmpk_lt_u32 s48, 0x1501
	v_lshl_add_u64 v[12:13], s[4:5], 1, v[2:3]
	s_cselect_b32 s4, s11, 0xa80
	s_ashr_i32 s5, s4, 31
	s_cmpk_lt_u32 s48, 0x1601
	v_lshl_add_u64 v[14:15], s[4:5], 1, v[2:3]
	s_cselect_b32 s4, s11, 0xb00
	s_ashr_i32 s5, s4, 31
	s_cmpk_lt_u32 s48, 0x1701
	v_lshl_add_u64 v[40:41], s[4:5], 1, v[2:3]
	s_cselect_b32 s4, s11, 0xb80
	s_ashr_i32 s5, s4, 31
	s_cmpk_lt_u32 s48, 0x1801
	v_lshl_add_u64 v[42:43], s[4:5], 1, v[2:3]
	s_cselect_b32 s4, s11, 0xc00
	v_add_co_u32_e32 v4, vcc, 0x1000, v2
	s_ashr_i32 s5, s4, 31
	s_nop 0
	v_addc_co_u32_e32 v5, vcc, 0, v3, vcc
	s_cmpk_lt_u32 s48, 0x1901
	global_load_ushort v39, v[4:5], off
	global_load_ushort v38, v[6:7], off
	global_load_ushort v37, v[8:9], off
	global_load_ushort v36, v[10:11], off
	global_load_ushort v35, v[12:13], off
	global_load_ushort v34, v[14:15], off
	global_load_ushort v33, v[40:41], off
	global_load_ushort v32, v[42:43], off
	v_lshl_add_u64 v[4:5], s[4:5], 1, v[2:3]
	s_cselect_b32 s4, s11, 0xc80
	s_ashr_i32 s5, s4, 31
	s_cmpk_lt_u32 s48, 0x1a01
	v_lshl_add_u64 v[6:7], s[4:5], 1, v[2:3]
	s_cselect_b32 s4, s11, 0xd00
	s_ashr_i32 s5, s4, 31
	s_cmpk_lt_u32 s48, 0x1b01
	;; [unrolled: 4-line block ×6, first 2 shown]
	v_lshl_add_u64 v[48:49], s[4:5], 1, v[2:3]
	s_cselect_b32 s4, s11, 0xf80
	s_ashr_i32 s5, s4, 31
	v_lshl_add_u64 v[50:51], s[4:5], 1, v[2:3]
	global_load_ushort v47, v[4:5], off
	global_load_ushort v46, v[6:7], off
	;; [unrolled: 1-line block ×8, first 2 shown]
	s_cmpk_lt_u32 s48, 0x2001
	v_mov_b32_e32 v67, 0
	v_mov_b32_e32 v65, 0
	;; [unrolled: 1-line block ×32, first 2 shown]
	s_cbranch_scc1 .LBB605_12
; %bb.11:
	s_cmpk_lt_u32 s48, 0x2101
	s_cselect_b32 s4, s11, 0x1080
	s_ashr_i32 s5, s4, 31
	s_cmpk_lt_u32 s48, 0x2201
	v_lshl_add_u64 v[4:5], s[4:5], 1, v[2:3]
	s_cselect_b32 s4, s11, 0x1100
	s_ashr_i32 s5, s4, 31
	s_cmpk_lt_u32 s48, 0x2301
	v_lshl_add_u64 v[6:7], s[4:5], 1, v[2:3]
	;; [unrolled: 4-line block ×29, first 2 shown]
	s_cselect_b32 s4, s11, 0x1f00
	s_ashr_i32 s5, s4, 31
	v_lshl_add_u64 v[94:95], s[4:5], 1, v[2:3]
	s_movk_i32 s4, 0x2000
	s_cmpk_lt_u32 s48, 0x3f01
	v_add_co_u32_e32 v96, vcc, s4, v2
	s_cselect_b32 s4, s11, 0x1f80
	s_nop 0
	v_addc_co_u32_e32 v97, vcc, 0, v3, vcc
	s_ashr_i32 s5, s4, 31
	global_load_ushort v98, v[96:97], off
	global_load_ushort v99, v[4:5], off
	global_load_ushort v100, v[6:7], off
	global_load_ushort v101, v[8:9], off
	global_load_ushort v102, v[10:11], off
	global_load_ushort v103, v[12:13], off
	global_load_ushort v104, v[14:15], off
	global_load_ushort v105, v[48:49], off
	global_load_ushort v106, v[50:51], off
	global_load_ushort v107, v[52:53], off
	global_load_ushort v108, v[54:55], off
	global_load_ushort v109, v[56:57], off
	global_load_ushort v110, v[58:59], off
	global_load_ushort v111, v[60:61], off
	global_load_ushort v112, v[62:63], off
                                        ; kill: killed $vgpr48_vgpr49
                                        ; kill: killed $vgpr54_vgpr55
                                        ; kill: killed $vgpr6_vgpr7
                                        ; kill: killed $vgpr60_vgpr61
                                        ; kill: killed $vgpr12_vgpr13
                                        ; kill: killed $vgpr50_vgpr51
                                        ; kill: killed $vgpr56_vgpr57
                                        ; kill: killed $vgpr8_vgpr9
                                        ; kill: killed $vgpr62_vgpr63
                                        ; kill: killed $vgpr14_vgpr15
                                        ; kill: killed $vgpr96 killed $vgpr97
                                        ; kill: killed $vgpr52_vgpr53
                                        ; kill: killed $vgpr4_vgpr5
                                        ; kill: killed $vgpr58_vgpr59
                                        ; kill: killed $vgpr10_vgpr11
	global_load_ushort v6, v[64:65], off
	global_load_ushort v7, v[66:67], off
	;; [unrolled: 1-line block ×15, first 2 shown]
                                        ; kill: killed $vgpr64_vgpr65
                                        ; kill: killed $vgpr70_vgpr71
                                        ; kill: killed $vgpr92_vgpr93
                                        ; kill: killed $vgpr76_vgpr77
                                        ; kill: killed $vgpr82_vgpr83
                                        ; kill: killed $vgpr66_vgpr67
                                        ; kill: killed $vgpr88_vgpr89
                                        ; kill: killed $vgpr72_vgpr73
                                        ; kill: killed $vgpr94_vgpr95
                                        ; kill: killed $vgpr78_vgpr79
                                        ; kill: killed $vgpr84_vgpr85
                                        ; kill: killed $vgpr68_vgpr69
                                        ; kill: killed $vgpr90_vgpr91
                                        ; kill: killed $vgpr74_vgpr75
                                        ; kill: killed $vgpr80_vgpr81
	global_load_ushort v68, v[86:87], off
	v_lshl_add_u64 v[4:5], s[4:5], 1, v[2:3]
	global_load_ushort v5, v[4:5], off
	s_waitcnt vmcnt(31)
	v_lshlrev_b32_e32 v67, 16, v98
	s_waitcnt vmcnt(30)
	v_lshlrev_b32_e32 v65, 16, v99
	;; [unrolled: 2-line block ×32, first 2 shown]
.LBB605_12:
	s_load_dwordx2 s[4:5], s[0:1], 0x0
	s_load_dwordx2 s[6:7], s[0:1], 0x38
	ds_read_b128 v[68:71], v1
	s_waitcnt vmcnt(15)
	v_lshlrev_b32_e32 v23, 16, v23
	ds_read_b128 v[72:75], v1 offset:16
	ds_read_b128 v[76:79], v1 offset:32
	;; [unrolled: 1-line block ×3, first 2 shown]
	s_waitcnt vmcnt(14)
	v_lshlrev_b32_e32 v22, 16, v22
	s_waitcnt vmcnt(13)
	v_lshlrev_b32_e32 v21, 16, v21
	s_waitcnt lgkmcnt(0)
	v_fma_f32 v23, v68, v23, 0
	v_fmac_f32_e32 v23, v69, v22
	v_fmac_f32_e32 v23, v70, v21
	s_waitcnt vmcnt(12)
	v_lshlrev_b32_e32 v20, 16, v20
	s_waitcnt vmcnt(10)
	v_lshlrev_b32_e32 v19, 16, v19
	v_lshlrev_b32_e32 v18, 16, v18
	v_fmac_f32_e32 v23, v71, v20
	v_pk_mul_f32 v[18:19], v[72:73], v[18:19]
	s_waitcnt vmcnt(8)
	v_lshlrev_b32_e32 v17, 16, v17
	v_add_f32_e32 v18, v23, v18
	v_lshlrev_b32_e32 v16, 16, v16
	v_add_f32_e32 v18, v18, v19
	v_pk_mul_f32 v[16:17], v[74:75], v[16:17]
	s_and_b64 vcc, exec, s[8:9]
	v_add_f32_e32 v16, v18, v16
	v_add_f32_e32 v18, v16, v17
	s_waitcnt vmcnt(6)
	v_lshlrev_b32_e32 v17, 16, v31
	v_lshlrev_b32_e32 v16, 16, v30
	v_pk_mul_f32 v[16:17], v[76:77], v[16:17]
	s_nop 0
	v_add_f32_e32 v16, v18, v16
	v_add_f32_e32 v18, v16, v17
	s_waitcnt vmcnt(4)
	v_lshlrev_b32_e32 v17, 16, v29
	v_lshlrev_b32_e32 v16, 16, v28
	v_pk_mul_f32 v[16:17], v[78:79], v[16:17]
	s_nop 0
	;; [unrolled: 7-line block ×4, first 2 shown]
	v_add_f32_e32 v16, v18, v16
	v_add_f32_e32 v110, v16, v17
	s_cbranch_vccz .LBB605_15
; %bb.13:
	ds_read_b128 v[16:19], v1 offset:64
	v_lshlrev_b32_e32 v39, 16, v39
	ds_read_b128 v[20:23], v1 offset:80
	ds_read_b128 v[24:27], v1 offset:96
	;; [unrolled: 1-line block ×3, first 2 shown]
	s_cmpk_lt_u32 s48, 0x2001
	s_waitcnt lgkmcnt(3)
	v_fmac_f32_e32 v110, v16, v39
	v_lshlrev_b32_e32 v16, 16, v38
	v_fmac_f32_e32 v110, v17, v16
	v_lshlrev_b32_e32 v16, 16, v37
	v_fmac_f32_e32 v110, v18, v16
	v_lshlrev_b32_e32 v16, 16, v36
	v_fmac_f32_e32 v110, v19, v16
	v_lshlrev_b32_e32 v16, 16, v35
	s_waitcnt lgkmcnt(2)
	v_fmac_f32_e32 v110, v20, v16
	v_lshlrev_b32_e32 v16, 16, v34
	v_fmac_f32_e32 v110, v21, v16
	v_lshlrev_b32_e32 v16, 16, v33
	v_fmac_f32_e32 v110, v22, v16
	v_lshlrev_b32_e32 v16, 16, v32
	v_fmac_f32_e32 v110, v23, v16
	v_lshlrev_b32_e32 v16, 16, v47
	;; [unrolled: 9-line block ×3, first 2 shown]
	s_waitcnt lgkmcnt(0)
	v_fmac_f32_e32 v110, v28, v16
	v_lshlrev_b32_e32 v16, 16, v42
	v_fmac_f32_e32 v110, v29, v16
	v_lshlrev_b32_e32 v16, 16, v41
	;; [unrolled: 2-line block ×3, first 2 shown]
	v_fmac_f32_e32 v110, v31, v16
	s_cbranch_scc1 .LBB605_15
; %bb.14:
	v_mov_b32_e32 v32, 0
	ds_read_b128 v[16:19], v32 offset:128
	ds_read_b128 v[20:23], v32 offset:144
	;; [unrolled: 1-line block ×4, first 2 shown]
	s_waitcnt lgkmcnt(3)
	v_fmac_f32_e32 v110, v16, v67
	v_fmac_f32_e32 v110, v17, v65
	v_fmac_f32_e32 v110, v18, v66
	v_fmac_f32_e32 v110, v19, v63
	s_waitcnt lgkmcnt(2)
	v_fmac_f32_e32 v110, v20, v64
	v_fmac_f32_e32 v110, v21, v61
	v_fmac_f32_e32 v110, v22, v62
	v_fmac_f32_e32 v110, v23, v59
	;; [unrolled: 5-line block ×3, first 2 shown]
	ds_read_b128 v[16:19], v32 offset:192
	ds_read_b128 v[20:23], v32 offset:208
	s_waitcnt lgkmcnt(2)
	v_fmac_f32_e32 v110, v28, v56
	v_fmac_f32_e32 v110, v29, v53
	;; [unrolled: 1-line block ×4, first 2 shown]
	s_waitcnt lgkmcnt(1)
	v_fmac_f32_e32 v110, v16, v51
	v_fmac_f32_e32 v110, v17, v49
	;; [unrolled: 1-line block ×4, first 2 shown]
	s_waitcnt lgkmcnt(0)
	v_pk_mul_f32 v[14:15], v[20:21], v[14:15]
	v_pk_mul_f32 v[12:13], v[22:23], v[12:13]
	v_add_f32_e32 v14, v110, v14
	v_add_f32_e32 v18, v14, v15
	ds_read_b128 v[14:17], v32 offset:224
	v_add_f32_e32 v12, v18, v12
	ds_read_b128 v[18:21], v32 offset:240
	v_add_f32_e32 v12, v12, v13
	s_waitcnt lgkmcnt(1)
	v_pk_mul_f32 v[10:11], v[14:15], v[10:11]
	s_nop 0
	v_add_f32_e32 v10, v12, v10
	v_add_f32_e32 v10, v10, v11
	v_pk_mul_f32 v[8:9], v[16:17], v[8:9]
	s_waitcnt lgkmcnt(0)
	v_pk_mul_f32 v[6:7], v[18:19], v[6:7]
	v_add_f32_e32 v8, v10, v8
	v_add_f32_e32 v8, v8, v9
	;; [unrolled: 1-line block ×4, first 2 shown]
	v_pk_mul_f32 v[4:5], v[20:21], v[4:5]
	s_nop 0
	v_add_f32_e32 v4, v6, v4
	v_add_f32_e32 v110, v4, v5
.LBB605_15:
	s_movk_i32 s0, 0x3f80
	s_movk_i32 s1, 0x100
	s_mov_b32 s8, 64
	s_branch .LBB605_17
.LBB605_16:                             ;   in Loop: Header=BB605_17 Depth=1
	s_addk_i32 s0, 0x2000
	s_addk_i32 s1, 0x100
	s_add_i32 s8, s8, 64
	s_cmp_eq_u32 s0, 0x15f80
	s_cbranch_scc1 .LBB605_19
.LBB605_17:                             ; =>This Inner Loop Header: Depth=1
	s_cmp_le_i32 s33, s8
	s_cbranch_scc1 .LBB605_16
; %bb.18:                               ;   in Loop: Header=BB605_17 Depth=1
	s_add_i32 s9, s0, 0xffffe080
	s_cmp_lt_i32 s9, s10
	s_cselect_b32 s12, s9, s11
	s_ashr_i32 s13, s12, 31
	s_add_i32 s9, s0, 0xffffe100
	s_cmp_lt_i32 s9, s10
	v_lshl_add_u64 v[42:43], s[12:13], 1, v[2:3]
	s_cselect_b32 s12, s9, s11
	s_ashr_i32 s13, s12, 31
	s_add_i32 s9, s0, 0xffffe180
	s_cmp_lt_i32 s9, s10
	v_lshl_add_u64 v[4:5], s[12:13], 1, v[2:3]
	;; [unrolled: 5-line block ×21, first 2 shown]
	s_cselect_b32 s12, s9, s11
	s_ashr_i32 s13, s12, 31
	s_add_i32 s9, s0, 0xffffeb80
	s_cmp_lt_i32 s9, s10
	global_load_ushort v111, v[42:43], off
	global_load_ushort v121, v[44:45], off
	v_lshl_add_u64 v[32:33], s[12:13], 1, v[2:3]
	s_cselect_b32 s12, s9, s11
	global_load_ushort v112, v[4:5], off
	global_load_ushort v113, v[6:7], off
	;; [unrolled: 1-line block ×8, first 2 shown]
	s_ashr_i32 s13, s12, 31
	s_add_i32 s9, s0, 0xffffec00
	s_cmp_lt_i32 s9, s10
	v_lshl_add_u64 v[34:35], s[12:13], 1, v[2:3]
	s_cselect_b32 s12, s9, s11
	s_ashr_i32 s13, s12, 31
	s_add_i32 s9, s0, 0xffffec80
	s_cmp_lt_i32 s9, s10
	v_lshl_add_u64 v[48:49], s[12:13], 1, v[2:3]
	s_cselect_b32 s12, s9, s11
	;; [unrolled: 5-line block ×3, first 2 shown]
	global_load_ushort v120, v[28:29], off
	s_ashr_i32 s13, s12, 31
	s_add_i32 s9, s0, 0xffffed80
	s_cmp_lt_i32 s9, s10
	global_load_ushort v122, v[54:55], off
	global_load_ushort v123, v[56:57], off
	v_lshl_add_u64 v[18:19], s[12:13], 1, v[2:3]
	global_load_ushort v58, v[58:59], off
	s_cselect_b32 s12, s9, s11
	s_ashr_i32 s13, s12, 31
	s_add_i32 s9, s0, 0xffffee00
	s_cmp_lt_i32 s9, s10
	v_lshl_add_u64 v[20:21], s[12:13], 1, v[2:3]
	s_cselect_b32 s12, s9, s11
	s_ashr_i32 s13, s12, 31
	s_add_i32 s9, s0, 0xffffee80
	s_cmp_lt_i32 s9, s10
	v_lshl_add_u64 v[38:39], s[12:13], 1, v[2:3]
	;; [unrolled: 5-line block ×3, first 2 shown]
	s_cselect_b32 s12, s9, s11
	global_load_ushort v59, v[60:61], off
	s_ashr_i32 s13, s12, 31
	s_add_i32 s9, s0, 0xffffef80
	global_load_ushort v60, v[66:67], off
	global_load_ushort v61, v[62:63], off
	s_cmp_lt_i32 s9, s10
	v_lshl_add_u64 v[50:51], s[12:13], 1, v[2:3]
	s_cselect_b32 s12, s9, s11
	s_ashr_i32 s13, s12, 31
	s_add_i32 s9, s0, 0xfffff000
	s_cmp_lt_i32 s9, s10
	v_lshl_add_u64 v[52:53], s[12:13], 1, v[2:3]
	s_cselect_b32 s12, s9, s11
	s_ashr_i32 s13, s12, 31
	s_add_i32 s9, s0, 0xfffff080
	;; [unrolled: 5-line block ×3, first 2 shown]
	s_cmp_lt_i32 s9, s10
	v_lshl_add_u64 v[68:69], s[12:13], 1, v[2:3]
	s_cselect_b32 s12, s9, s11
	global_load_ushort v62, v[24:25], off
	s_ashr_i32 s13, s12, 31
	s_add_i32 s9, s0, 0xfffff180
	global_load_ushort v66, v[30:31], off
	global_load_ushort v124, v[32:33], off
	;; [unrolled: 1-line block ×4, first 2 shown]
	s_cmp_lt_i32 s9, s10
	v_lshl_add_u64 v[70:71], s[12:13], 1, v[2:3]
	s_cselect_b32 s12, s9, s11
	global_load_ushort v67, v[46:47], off
	s_ashr_i32 s13, s12, 31
	s_add_i32 s9, s0, 0xfffff200
	s_cmp_lt_i32 s9, s10
	v_lshl_add_u64 v[72:73], s[12:13], 1, v[2:3]
	s_cselect_b32 s12, s9, s11
	s_ashr_i32 s13, s12, 31
	s_add_i32 s9, s0, 0xfffff280
	s_cmp_lt_i32 s9, s10
	v_lshl_add_u64 v[74:75], s[12:13], 1, v[2:3]
	s_cselect_b32 s12, s9, s11
	s_ashr_i32 s13, s12, 31
	s_add_i32 s9, s0, 0xfffff300
	s_cmp_lt_i32 s9, s10
	v_mov_b32_e32 v125, s1
	v_lshl_add_u64 v[76:77], s[12:13], 1, v[2:3]
	s_cselect_b32 s12, s9, s11
	ds_read_b128 v[28:31], v125
	ds_read_b128 v[32:35], v125 offset:16
	global_load_ushort v48, v[48:49], off
	s_ashr_i32 s13, s12, 31
	s_add_i32 s9, s0, 0xfffff380
	s_cmp_lt_i32 s9, s10
	v_lshl_add_u64 v[78:79], s[12:13], 1, v[2:3]
	s_cselect_b32 s12, s9, s11
	ds_read_b128 v[44:47], v125 offset:32
	ds_read_b128 v[54:57], v125 offset:48
	global_load_ushort v36, v[36:37], off
	s_ashr_i32 s13, s12, 31
	v_lshl_add_u64 v[80:81], s[12:13], 1, v[2:3]
	global_load_ushort v49, v[80:81], off
	global_load_ushort v37, v[18:19], off
	s_add_i32 s9, s0, 0xfffff400
	global_load_ushort v38, v[38:39], off
	s_cmp_lt_i32 s9, s10
	s_cselect_b32 s12, s9, s11
	s_ashr_i32 s13, s12, 31
	s_add_i32 s9, s0, 0xfffff480
	s_cmp_lt_i32 s9, s10
	v_lshl_add_u64 v[82:83], s[12:13], 1, v[2:3]
	s_cselect_b32 s12, s9, s11
	s_ashr_i32 s13, s12, 31
	s_add_i32 s9, s0, 0xfffff500
	s_cmp_lt_i32 s9, s10
	v_lshl_add_u64 v[84:85], s[12:13], 1, v[2:3]
	s_cselect_b32 s12, s9, s11
	s_ashr_i32 s13, s12, 31
	s_add_i32 s9, s0, 0xfffff580
	s_cmp_lt_i32 s9, s10
	v_lshl_add_u64 v[86:87], s[12:13], 1, v[2:3]
	s_cselect_b32 s12, s9, s11
	s_ashr_i32 s13, s12, 31
	s_add_i32 s9, s0, 0xfffff600
	s_cmp_lt_i32 s9, s10
	v_lshl_add_u64 v[88:89], s[12:13], 1, v[2:3]
	s_cselect_b32 s12, s9, s11
	s_ashr_i32 s13, s12, 31
	s_add_i32 s9, s0, 0xfffff680
	s_cmp_lt_i32 s9, s10
	v_lshl_add_u64 v[90:91], s[12:13], 1, v[2:3]
	s_cselect_b32 s12, s9, s11
	s_ashr_i32 s13, s12, 31
	s_add_i32 s9, s0, 0xfffff700
	s_waitcnt vmcnt(27)
	v_lshlrev_b32_e32 v111, 16, v111
	s_cmp_lt_i32 s9, s10
	s_waitcnt lgkmcnt(3)
	v_fmac_f32_e32 v110, v28, v111
	s_waitcnt vmcnt(25)
	v_lshlrev_b32_e32 v28, 16, v112
	v_lshl_add_u64 v[92:93], s[12:13], 1, v[2:3]
	s_cselect_b32 s12, s9, s11
	v_fmac_f32_e32 v110, v29, v28
	s_waitcnt vmcnt(24)
	v_lshlrev_b32_e32 v28, 16, v113
	s_ashr_i32 s13, s12, 31
	s_add_i32 s9, s0, 0xfffff780
	v_fmac_f32_e32 v110, v30, v28
	s_waitcnt vmcnt(23)
	v_lshlrev_b32_e32 v28, 16, v114
	s_cmp_lt_i32 s9, s10
	v_fmac_f32_e32 v110, v31, v28
	s_waitcnt vmcnt(22)
	v_lshlrev_b32_e32 v18, 16, v115
	v_lshl_add_u64 v[94:95], s[12:13], 1, v[2:3]
	s_cselect_b32 s12, s9, s11
	s_waitcnt lgkmcnt(2)
	v_fmac_f32_e32 v110, v32, v18
	global_load_ushort v32, v[20:21], off
	s_ashr_i32 s13, s12, 31
	s_add_i32 s9, s0, 0xfffff800
	s_waitcnt vmcnt(22)
	v_lshlrev_b32_e32 v18, 16, v116
	s_cmp_lt_i32 s9, s10
	v_fmac_f32_e32 v110, v33, v18
	global_load_ushort v33, v[40:41], off
	s_waitcnt vmcnt(22)
	v_lshlrev_b32_e32 v18, 16, v117
	v_lshl_add_u64 v[96:97], s[12:13], 1, v[2:3]
	s_cselect_b32 s12, s9, s11
	v_fmac_f32_e32 v110, v34, v18
	global_load_ushort v34, v[50:51], off
	s_waitcnt vmcnt(22)
	v_lshlrev_b32_e32 v18, 16, v118
	s_ashr_i32 s13, s12, 31
	s_add_i32 s9, s0, 0xfffff880
	v_fmac_f32_e32 v110, v35, v18
	global_load_ushort v35, v[52:53], off
	global_load_ushort v39, v[64:65], off
	s_waitcnt vmcnt(23)
	v_lshlrev_b32_e32 v18, 16, v119
	s_cmp_lt_i32 s9, s10
	s_waitcnt lgkmcnt(1)
	v_fmac_f32_e32 v110, v44, v18
	global_load_ushort v44, v[72:73], off
	s_waitcnt vmcnt(23)
	v_lshlrev_b32_e32 v18, 16, v120
	v_lshl_add_u64 v[98:99], s[12:13], 1, v[2:3]
	s_cselect_b32 s12, s9, s11
	v_fmac_f32_e32 v110, v45, v18
	v_lshlrev_b32_e32 v18, 16, v121
	s_ashr_i32 s13, s12, 31
	s_add_i32 s9, s0, 0xfffff900
	v_fmac_f32_e32 v110, v46, v18
	global_load_ushort v46, v[76:77], off
	s_waitcnt vmcnt(23)
	v_lshlrev_b32_e32 v18, 16, v122
	s_cmp_lt_i32 s9, s10
	v_fmac_f32_e32 v110, v47, v18
	s_waitcnt vmcnt(22)
	v_lshlrev_b32_e32 v18, 16, v123
	v_lshl_add_u64 v[102:103], s[12:13], 1, v[2:3]
	s_cselect_b32 s12, s9, s11
	s_waitcnt lgkmcnt(0)
	v_fmac_f32_e32 v110, v54, v18
	global_load_ushort v54, v[88:89], off
	global_load_ushort v40, v[68:69], off
	;; [unrolled: 1-line block ×8, first 2 shown]
	s_ashr_i32 s13, s12, 31
	s_add_i32 s9, s0, 0xfffff980
	s_cmp_lt_i32 s9, s10
	v_lshl_add_u64 v[104:105], s[12:13], 1, v[2:3]
	s_cselect_b32 s12, s9, s11
	s_ashr_i32 s13, s12, 31
	s_add_i32 s9, s0, 0xfffffa00
	s_cmp_lt_i32 s9, s10
	v_lshl_add_u64 v[106:107], s[12:13], 1, v[2:3]
	s_cselect_b32 s12, s9, s11
	s_ashr_i32 s13, s12, 31
	s_add_i32 s9, s0, 0xfffffa80
	s_waitcnt vmcnt(29)
	v_lshlrev_b32_e32 v18, 16, v58
	s_cmp_lt_i32 s9, s10
	v_fmac_f32_e32 v110, v55, v18
	global_load_ushort v55, v[90:91], off
	s_waitcnt vmcnt(29)
	v_lshlrev_b32_e32 v18, 16, v59
	v_lshl_add_u64 v[100:101], s[12:13], 1, v[2:3]
	s_cselect_b32 s12, s9, s11
	v_fmac_f32_e32 v110, v56, v18
	s_waitcnt vmcnt(28)
	v_lshlrev_b32_e32 v18, 16, v60
	s_ashr_i32 s13, s12, 31
	s_add_i32 s9, s0, 0xfffffb00
	v_fmac_f32_e32 v110, v57, v18
	ds_read_b128 v[18:21], v125 offset:64
	ds_read_b128 v[28:31], v125 offset:80
	s_cmp_lt_i32 s9, s10
	v_lshl_add_u64 v[42:43], s[12:13], 1, v[2:3]
	s_cselect_b32 s12, s9, s11
	s_ashr_i32 s13, s12, 31
	s_add_i32 s9, s0, 0xfffffb80
	s_cmp_lt_i32 s9, s10
	s_waitcnt vmcnt(27)
	v_lshlrev_b32_e32 v53, 16, v61
	v_lshl_add_u64 v[108:109], s[12:13], 1, v[2:3]
	s_cselect_b32 s12, s9, s11
	s_waitcnt lgkmcnt(1)
	v_fmac_f32_e32 v110, v18, v53
	global_load_ushort v53, v[92:93], off
	global_load_ushort v56, v[94:95], off
	;; [unrolled: 1-line block ×6, first 2 shown]
	s_ashr_i32 s13, s12, 31
	s_add_i32 s9, s0, 0xfffffc00
	s_cmp_lt_i32 s9, s10
	v_lshl_add_u64 v[4:5], s[12:13], 1, v[2:3]
	s_cselect_b32 s12, s9, s11
	s_ashr_i32 s13, s12, 31
	s_add_i32 s9, s0, 0xfffffc80
	s_cmp_lt_i32 s9, s10
	s_waitcnt vmcnt(32)
	v_lshlrev_b32_e32 v18, 16, v62
	v_lshl_add_u64 v[6:7], s[12:13], 1, v[2:3]
	s_cselect_b32 s12, s9, s11
	v_fmac_f32_e32 v110, v19, v18
	s_waitcnt vmcnt(28)
	v_lshlrev_b32_e32 v18, 16, v63
	s_ashr_i32 s13, s12, 31
	s_add_i32 s9, s0, 0xfffffd00
	v_fmac_f32_e32 v110, v20, v18
	v_lshlrev_b32_e32 v18, 16, v66
	s_cmp_lt_i32 s9, s10
	v_fmac_f32_e32 v110, v21, v18
	s_waitcnt vmcnt(27)
	v_lshlrev_b32_e32 v18, 16, v67
	v_lshl_add_u64 v[8:9], s[12:13], 1, v[2:3]
	s_cselect_b32 s12, s9, s11
	s_waitcnt lgkmcnt(0)
	v_fmac_f32_e32 v110, v28, v18
	global_load_ushort v28, v[106:107], off
	s_ashr_i32 s13, s12, 31
	s_add_i32 s9, s0, 0xfffffd80
	s_cmp_lt_i32 s9, s10
	global_load_ushort v61, v[100:101], off
	global_load_ushort v62, v[42:43], off
	;; [unrolled: 1-line block ×3, first 2 shown]
	v_lshl_add_u64 v[12:13], s[12:13], 1, v[2:3]
	s_cselect_b32 s12, s9, s11
	v_lshlrev_b32_e32 v18, 16, v124
	s_ashr_i32 s13, s12, 31
	s_add_i32 s9, s0, 0xfffffe00
	v_fmac_f32_e32 v110, v29, v18
	v_lshlrev_b32_e32 v18, 16, v126
	s_cmp_lt_i32 s9, s10
	v_fmac_f32_e32 v110, v30, v18
	global_load_ushort v29, v[4:5], off
	global_load_ushort v30, v[6:7], off
	v_lshl_add_u64 v[10:11], s[12:13], 1, v[2:3]
	s_cselect_b32 s12, s9, s11
	s_ashr_i32 s13, s12, 31
	s_add_i32 s9, s0, 0xfffffe80
	s_cmp_lt_i32 s9, s10
	s_waitcnt vmcnt(32)
	v_lshlrev_b32_e32 v4, 16, v48
	v_lshl_add_u64 v[22:23], s[12:13], 1, v[2:3]
	s_cselect_b32 s12, s9, s11
	v_fmac_f32_e32 v110, v31, v4
	ds_read_b128 v[4:7], v125 offset:96
	s_ashr_i32 s13, s12, 31
	s_add_i32 s9, s0, 0xffffff00
	s_cmp_lt_i32 s9, s10
	s_waitcnt vmcnt(31)
	v_lshlrev_b32_e32 v31, 16, v36
	global_load_ushort v36, v[8:9], off
	global_load_ushort v42, v[12:13], off
	v_lshl_add_u64 v[14:15], s[12:13], 1, v[2:3]
	s_cselect_b32 s12, s9, s11
	s_ashr_i32 s13, s12, 31
	s_add_i32 s9, s0, 0xffffff80
	s_cmp_lt_i32 s9, s10
	ds_read_b128 v[18:21], v125 offset:112
	s_waitcnt lgkmcnt(1)
	v_fmac_f32_e32 v110, v4, v31
	s_waitcnt vmcnt(31)
	v_lshlrev_b32_e32 v4, 16, v37
	global_load_ushort v31, v[10:11], off
	global_load_ushort v37, v[22:23], off
	v_lshl_add_u64 v[24:25], s[12:13], 1, v[2:3]
	s_cselect_b32 s12, s9, s11
	s_ashr_i32 s13, s12, 31
	s_cmp_lt_i32 s0, s10
	global_load_ushort v22, v[14:15], off
	global_load_ushort v23, v[24:25], off
	v_lshl_add_u64 v[16:17], s[12:13], 1, v[2:3]
	s_cselect_b32 s12, s0, s11
	s_ashr_i32 s13, s12, 31
	v_lshl_add_u64 v[26:27], s[12:13], 1, v[2:3]
	global_load_ushort v14, v[16:17], off
	global_load_ushort v15, v[26:27], off
	v_fmac_f32_e32 v110, v5, v4
	s_waitcnt vmcnt(35)
	v_lshlrev_b32_e32 v4, 16, v32
	v_fmac_f32_e32 v110, v6, v4
	v_lshlrev_b32_e32 v4, 16, v38
	v_fmac_f32_e32 v110, v7, v4
	s_waitcnt vmcnt(34)
	v_lshlrev_b32_e32 v4, 16, v33
	s_waitcnt lgkmcnt(0)
	v_fmac_f32_e32 v110, v18, v4
	s_waitcnt vmcnt(33)
	v_lshlrev_b32_e32 v4, 16, v34
	v_fmac_f32_e32 v110, v19, v4
	s_waitcnt vmcnt(32)
	v_lshlrev_b32_e32 v4, 16, v35
	v_fmac_f32_e32 v110, v20, v4
	ds_read_b128 v[4:7], v125 offset:128
	s_waitcnt vmcnt(31)
	v_lshlrev_b32_e32 v8, 16, v39
	v_fmac_f32_e32 v110, v21, v8
	ds_read_b128 v[8:11], v125 offset:144
	s_waitcnt vmcnt(27)
	v_lshlrev_b32_e32 v12, 16, v40
	s_waitcnt lgkmcnt(1)
	v_fmac_f32_e32 v110, v4, v12
	s_waitcnt vmcnt(26)
	v_lshlrev_b32_e32 v4, 16, v41
	v_fmac_f32_e32 v110, v5, v4
	v_lshlrev_b32_e32 v4, 16, v44
	v_fmac_f32_e32 v110, v6, v4
	s_waitcnt vmcnt(25)
	v_lshlrev_b32_e32 v4, 16, v45
	v_fmac_f32_e32 v110, v7, v4
	v_lshlrev_b32_e32 v4, 16, v46
	s_waitcnt lgkmcnt(0)
	v_fmac_f32_e32 v110, v8, v4
	s_waitcnt vmcnt(24)
	v_lshlrev_b32_e32 v4, 16, v47
	v_fmac_f32_e32 v110, v9, v4
	v_lshlrev_b32_e32 v4, 16, v49
	v_fmac_f32_e32 v110, v10, v4
	ds_read_b128 v[4:7], v125 offset:160
	s_waitcnt vmcnt(23)
	v_lshlrev_b32_e32 v8, 16, v50
	v_fmac_f32_e32 v110, v11, v8
	ds_read_b128 v[8:11], v125 offset:176
	s_waitcnt vmcnt(22)
	v_lshlrev_b32_e32 v12, 16, v51
	s_waitcnt lgkmcnt(1)
	v_fmac_f32_e32 v110, v4, v12
	s_waitcnt vmcnt(21)
	v_lshlrev_b32_e32 v4, 16, v52
	v_fmac_f32_e32 v110, v5, v4
	v_lshlrev_b32_e32 v4, 16, v54
	v_fmac_f32_e32 v110, v6, v4
	s_waitcnt vmcnt(20)
	v_lshlrev_b32_e32 v4, 16, v55
	v_fmac_f32_e32 v110, v7, v4
	s_waitcnt vmcnt(19)
	v_lshlrev_b32_e32 v4, 16, v53
	s_waitcnt lgkmcnt(0)
	v_fmac_f32_e32 v110, v8, v4
	s_waitcnt vmcnt(18)
	v_lshlrev_b32_e32 v4, 16, v56
	v_fmac_f32_e32 v110, v9, v4
	s_waitcnt vmcnt(17)
	v_lshlrev_b32_e32 v4, 16, v57
	v_fmac_f32_e32 v110, v10, v4
	ds_read_b128 v[4:7], v125 offset:192
	s_waitcnt vmcnt(16)
	v_lshlrev_b32_e32 v8, 16, v58
	v_fmac_f32_e32 v110, v11, v8
	ds_read_b128 v[8:11], v125 offset:208
	s_waitcnt vmcnt(15)
	v_lshlrev_b32_e32 v12, 16, v59
	s_waitcnt lgkmcnt(1)
	v_fmac_f32_e32 v110, v4, v12
	s_waitcnt vmcnt(14)
	v_lshlrev_b32_e32 v4, 16, v60
	v_fmac_f32_e32 v110, v5, v4
	s_waitcnt vmcnt(13)
	v_lshlrev_b32_e32 v4, 16, v28
	;; [unrolled: 3-line block ×4, first 2 shown]
	v_lshlrev_b32_e32 v4, 16, v62
	s_waitcnt lgkmcnt(0)
	v_pk_mul_f32 v[4:5], v[8:9], v[4:5]
	s_waitcnt vmcnt(6)
	v_lshlrev_b32_e32 v13, 16, v42
	v_add_f32_e32 v4, v110, v4
	v_add_f32_e32 v6, v4, v5
	v_lshlrev_b32_e32 v5, 16, v30
	v_lshlrev_b32_e32 v4, 16, v29
	v_pk_mul_f32 v[8:9], v[10:11], v[4:5]
	v_lshlrev_b32_e32 v12, 16, v36
	v_add_f32_e32 v8, v6, v8
	ds_read_b128 v[4:7], v125 offset:224
	v_add_f32_e32 v16, v8, v9
	ds_read_b128 v[8:11], v125 offset:240
	s_waitcnt lgkmcnt(1)
	v_pk_mul_f32 v[4:5], v[4:5], v[12:13]
	s_nop 0
	v_add_f32_e32 v4, v16, v4
	v_add_f32_e32 v12, v4, v5
	s_waitcnt vmcnt(4)
	v_lshlrev_b32_e32 v5, 16, v37
	v_lshlrev_b32_e32 v4, 16, v31
	v_pk_mul_f32 v[4:5], v[6:7], v[4:5]
	s_nop 0
	v_add_f32_e32 v4, v12, v4
	v_add_f32_e32 v6, v4, v5
	s_waitcnt vmcnt(2)
	v_lshlrev_b32_e32 v5, 16, v23
	v_lshlrev_b32_e32 v4, 16, v22
	s_waitcnt lgkmcnt(0)
	v_pk_mul_f32 v[4:5], v[8:9], v[4:5]
	s_nop 0
	v_add_f32_e32 v4, v6, v4
	v_add_f32_e32 v6, v4, v5
	s_waitcnt vmcnt(1)
	v_lshlrev_b32_e32 v4, 16, v14
	s_waitcnt vmcnt(0)
	v_lshlrev_b32_e32 v5, 16, v15
	v_pk_mul_f32 v[4:5], v[10:11], v[4:5]
	s_nop 0
	v_add_f32_e32 v4, v6, v4
	v_add_f32_e32 v110, v4, v5
	s_branch .LBB605_16
.LBB605_19:
	v_mov_b32_e32 v2, 0
	ds_read_b32 v2, v2 offset:2560
	s_cmp_lg_u64 s[6:7], 0
	s_cbranch_scc0 .LBB605_24
; %bb.20:
	s_load_dword s6, s[6:7], 0x0
	s_waitcnt lgkmcnt(0)
	v_div_scale_f32 v3, s[0:1], s6, s6, 1.0
	v_rcp_f32_e32 v4, v3
	v_div_scale_f32 v5, vcc, 1.0, s6, 1.0
	v_fma_f32 v6, -v3, v4, 1.0
	v_fmac_f32_e32 v4, v6, v4
	v_mul_f32_e32 v6, v5, v4
	v_fma_f32 v7, -v3, v6, v5
	v_fmac_f32_e32 v6, v7, v4
	v_fma_f32 v3, -v3, v6, v5
	v_div_fmas_f32 v3, v3, v4, v6
	v_div_fixup_f32 v3, v3, s6, 1.0
	s_andn2_b64 vcc, exec, s[38:39]
	s_cbranch_vccnz .LBB605_22
.LBB605_21:
	s_add_u32 s0, s36, s40
	s_addc_u32 s1, s37, s41
	s_load_dword s34, s[0:1], 0x0
	s_mov_b32 s35, 0
.LBB605_22:
	s_waitcnt lgkmcnt(0)
	v_add_f32_e32 v2, 0x358637bd, v2
	v_div_scale_f32 v4, s[0:1], v2, v2, 1.0
	v_rcp_f32_e32 v5, v4
	v_div_scale_f32 v6, vcc, 1.0, v2, 1.0
	s_mul_i32 s0, s3, s35
	v_fma_f32 v7, -v4, v5, 1.0
	v_fmac_f32_e32 v5, v7, v5
	v_mul_f32_e32 v7, v6, v5
	v_fma_f32 v8, -v4, v7, v6
	v_fmac_f32_e32 v7, v8, v5
	v_fma_f32 v4, -v4, v7, v6
	s_mul_hi_u32 s1, s3, s34
	v_div_fmas_f32 v4, v4, v5, v7
	s_add_i32 s1, s1, s0
	s_mul_i32 s0, s3, s34
	v_div_fixup_f32 v2, v4, v2, 1.0
	s_lshl_b64 s[0:1], s[0:1], 7
	v_mul_f32_e32 v2, v110, v2
	s_add_u32 s4, s4, s0
	s_mov_b32 s3, 0
	v_mul_f32_e32 v2, v2, v3
	s_addc_u32 s5, s5, s1
	s_lshl_b64 s[0:1], s[2:3], 7
	s_mov_b32 s2, 0x7f800000
	s_mov_b32 s3, 0x43700000
	v_mov_b32_e32 v3, 0xc3700000
	v_med3_f32 v3, v2, s3, v3
	v_cmp_nlg_f32_e64 vcc, |v2|, s2
	s_add_u32 s0, s4, s0
	s_addc_u32 s1, s5, s1
	v_cndmask_b32_e32 v2, v3, v2, vcc
	v_mov_b32_e32 v3, 0
	v_cvt_pk_fp8_f32 v3, v2, v2
	v_lshl_add_u64 v[0:1], s[0:1], 0, v[0:1]
	global_store_byte v[0:1], v3, off
	s_endpgm
.LBB605_23:
	s_mov_b64 s[6:7], 0
	s_branch .LBB605_2
.LBB605_24:
	v_mov_b32_e32 v3, 1.0
	s_andn2_b64 vcc, exec, s[38:39]
	s_cbranch_vccz .LBB605_21
	s_branch .LBB605_22
	.section	.rodata,"a",@progbits
	.p2align	6, 0x0
	.amdhsa_kernel _Z35paged_attention_ll4mi_reduce_kernelI14__hip_bfloat16hLi128ELi128ELi256ELi10EEvPT0_PKfS4_PKT_PKiS9_iS4_
		.amdhsa_group_segment_fixed_size 2564
		.amdhsa_private_segment_fixed_size 0
		.amdhsa_kernarg_size 320
		.amdhsa_user_sgpr_count 2
		.amdhsa_user_sgpr_dispatch_ptr 0
		.amdhsa_user_sgpr_queue_ptr 0
		.amdhsa_user_sgpr_kernarg_segment_ptr 1
		.amdhsa_user_sgpr_dispatch_id 0
		.amdhsa_user_sgpr_kernarg_preload_length 0
		.amdhsa_user_sgpr_kernarg_preload_offset 0
		.amdhsa_user_sgpr_private_segment_size 0
		.amdhsa_uses_dynamic_stack 0
		.amdhsa_enable_private_segment 0
		.amdhsa_system_sgpr_workgroup_id_x 1
		.amdhsa_system_sgpr_workgroup_id_y 1
		.amdhsa_system_sgpr_workgroup_id_z 0
		.amdhsa_system_sgpr_workgroup_info 0
		.amdhsa_system_vgpr_workitem_id 0
		.amdhsa_next_free_vgpr 127
		.amdhsa_next_free_sgpr 49
		.amdhsa_accum_offset 128
		.amdhsa_reserve_vcc 1
		.amdhsa_float_round_mode_32 0
		.amdhsa_float_round_mode_16_64 0
		.amdhsa_float_denorm_mode_32 3
		.amdhsa_float_denorm_mode_16_64 3
		.amdhsa_dx10_clamp 1
		.amdhsa_ieee_mode 1
		.amdhsa_fp16_overflow 0
		.amdhsa_tg_split 0
		.amdhsa_exception_fp_ieee_invalid_op 0
		.amdhsa_exception_fp_denorm_src 0
		.amdhsa_exception_fp_ieee_div_zero 0
		.amdhsa_exception_fp_ieee_overflow 0
		.amdhsa_exception_fp_ieee_underflow 0
		.amdhsa_exception_fp_ieee_inexact 0
		.amdhsa_exception_int_div_zero 0
	.end_amdhsa_kernel
	.section	.text._Z35paged_attention_ll4mi_reduce_kernelI14__hip_bfloat16hLi128ELi128ELi256ELi10EEvPT0_PKfS4_PKT_PKiS9_iS4_,"axG",@progbits,_Z35paged_attention_ll4mi_reduce_kernelI14__hip_bfloat16hLi128ELi128ELi256ELi10EEvPT0_PKfS4_PKT_PKiS9_iS4_,comdat
.Lfunc_end605:
	.size	_Z35paged_attention_ll4mi_reduce_kernelI14__hip_bfloat16hLi128ELi128ELi256ELi10EEvPT0_PKfS4_PKT_PKiS9_iS4_, .Lfunc_end605-_Z35paged_attention_ll4mi_reduce_kernelI14__hip_bfloat16hLi128ELi128ELi256ELi10EEvPT0_PKfS4_PKT_PKiS9_iS4_
                                        ; -- End function
	.section	.AMDGPU.csdata,"",@progbits
; Kernel info:
; codeLenInByte = 9800
; NumSgprs: 55
; NumVgprs: 127
; NumAgprs: 0
; TotalNumVgprs: 127
; ScratchSize: 0
; MemoryBound: 0
; FloatMode: 240
; IeeeMode: 1
; LDSByteSize: 2564 bytes/workgroup (compile time only)
; SGPRBlocks: 6
; VGPRBlocks: 15
; NumSGPRsForWavesPerEU: 55
; NumVGPRsForWavesPerEU: 127
; AccumOffset: 128
; Occupancy: 4
; WaveLimiterHint : 1
; COMPUTE_PGM_RSRC2:SCRATCH_EN: 0
; COMPUTE_PGM_RSRC2:USER_SGPR: 2
; COMPUTE_PGM_RSRC2:TRAP_HANDLER: 0
; COMPUTE_PGM_RSRC2:TGID_X_EN: 1
; COMPUTE_PGM_RSRC2:TGID_Y_EN: 1
; COMPUTE_PGM_RSRC2:TGID_Z_EN: 0
; COMPUTE_PGM_RSRC2:TIDIG_COMP_CNT: 0
; COMPUTE_PGM_RSRC3_GFX90A:ACCUM_OFFSET: 31
; COMPUTE_PGM_RSRC3_GFX90A:TG_SPLIT: 0
	.section	.text._Z35paged_attention_ll4mi_reduce_kernelI14__hip_bfloat16hLi128ELi128ELi256ELi11EEvPT0_PKfS4_PKT_PKiS9_iS4_,"axG",@progbits,_Z35paged_attention_ll4mi_reduce_kernelI14__hip_bfloat16hLi128ELi128ELi256ELi11EEvPT0_PKfS4_PKT_PKiS9_iS4_,comdat
	.protected	_Z35paged_attention_ll4mi_reduce_kernelI14__hip_bfloat16hLi128ELi128ELi256ELi11EEvPT0_PKfS4_PKT_PKiS9_iS4_ ; -- Begin function _Z35paged_attention_ll4mi_reduce_kernelI14__hip_bfloat16hLi128ELi128ELi256ELi11EEvPT0_PKfS4_PKT_PKiS9_iS4_
	.globl	_Z35paged_attention_ll4mi_reduce_kernelI14__hip_bfloat16hLi128ELi128ELi256ELi11EEvPT0_PKfS4_PKT_PKiS9_iS4_
	.p2align	8
	.type	_Z35paged_attention_ll4mi_reduce_kernelI14__hip_bfloat16hLi128ELi128ELi256ELi11EEvPT0_PKfS4_PKT_PKiS9_iS4_,@function
_Z35paged_attention_ll4mi_reduce_kernelI14__hip_bfloat16hLi128ELi128ELi256ELi11EEvPT0_PKfS4_PKT_PKiS9_iS4_: ; @_Z35paged_attention_ll4mi_reduce_kernelI14__hip_bfloat16hLi128ELi128ELi256ELi11EEvPT0_PKfS4_PKT_PKiS9_iS4_
; %bb.0:
	s_load_dwordx2 s[34:35], s[0:1], 0x28
	s_mov_b32 s26, s3
	s_mov_b64 s[4:5], 0
	s_waitcnt lgkmcnt(0)
	s_cmp_lg_u64 s[34:35], 0
	s_cselect_b64 s[40:41], -1, 0
	s_and_b64 vcc, exec, s[40:41]
	s_cbranch_vccz .LBB606_23
; %bb.1:
	s_add_i32 s6, s26, 1
	s_mov_b32 s7, 0
	s_lshl_b64 s[8:9], s[6:7], 2
	s_add_u32 s8, s34, s8
	s_mov_b32 s27, s7
	s_addc_u32 s9, s35, s9
	s_lshl_b64 s[6:7], s[26:27], 2
	s_add_u32 s6, s34, s6
	s_addc_u32 s7, s35, s7
	s_load_dword s3, s[8:9], 0x0
	s_load_dword s10, s[6:7], 0x0
	s_waitcnt lgkmcnt(0)
	s_sub_i32 s3, s3, s10
	s_cmp_eq_u32 s3, 1
	s_cselect_b64 s[6:7], -1, 0
	s_andn2_b64 vcc, exec, s[4:5]
	s_cbranch_vccnz .LBB606_3
.LBB606_2:
	s_mov_b32 s27, 0
	s_mov_b64 s[6:7], -1
.LBB606_3:
	s_andn2_b64 vcc, exec, s[6:7]
	s_cbranch_vccz .LBB606_5
; %bb.4:
	s_endpgm
.LBB606_5:
	s_load_dwordx4 s[28:31], s[0:1], 0x18
	s_load_dword s8, s[0:1], 0x30
	s_lshl_b64 s[42:43], s[26:27], 2
	v_cmp_lt_u32_e32 vcc, 63, v0
	s_waitcnt lgkmcnt(0)
	s_add_u32 s4, s30, s42
	s_addc_u32 s5, s31, s43
	s_load_dword s50, s[4:5], 0x0
	s_load_dword s3, s[0:1], 0x40
	s_mul_i32 s30, s2, s8
	s_mul_i32 s6, s26, s8
	s_waitcnt lgkmcnt(0)
	s_add_i32 s7, s50, 0xff
	s_ashr_i32 s4, s7, 31
	s_lshr_b32 s4, s4, 24
	s_add_i32 s7, s7, s4
	s_and_saveexec_b64 s[4:5], vcc
	s_xor_b64 s[4:5], exec, s[4:5]
	s_or_saveexec_b64 s[44:45], s[4:5]
	s_ashr_i32 s33, s7, 8
	v_mov_b32_e32 v1, s30
	s_mul_i32 s46, s6, s3
	s_xor_b64 exec, exec, s[44:45]
	s_cbranch_execz .LBB606_9
; %bb.6:
	s_add_i32 s4, s33, -1
	v_or_b32_e32 v3, 64, v0
	v_mov_b32_e32 v1, s4
	v_cmp_gt_u32_e64 s[20:21], s33, v3
	s_load_dwordx4 s[36:39], s[0:1], 0x8
	s_mov_b32 s47, 0
	v_cndmask_b32_e64 v4, v1, v3, s[20:21]
	v_or_b32_e32 v3, 0x80, v0
	v_cmp_gt_u32_e64 s[18:19], s33, v3
	s_lshl_b64 s[48:49], s[46:47], 2
	s_mov_b32 s31, s47
	v_cndmask_b32_e64 v6, v1, v3, s[18:19]
	v_or_b32_e32 v3, 0xc0, v0
	v_cmp_gt_u32_e64 s[16:17], s33, v3
	v_cmp_gt_u32_e64 s[22:23], s33, v0
	s_waitcnt lgkmcnt(0)
	s_add_u32 s24, s38, s48
	v_cndmask_b32_e64 v8, v1, v3, s[16:17]
	v_or_b32_e32 v3, 0x100, v0
	v_cmp_gt_u32_e64 s[14:15], s33, v3
	v_cndmask_b32_e64 v2, v1, v0, s[22:23]
	s_addc_u32 s25, s39, s49
	v_cndmask_b32_e64 v10, v1, v3, s[14:15]
	v_or_b32_e32 v3, 0x140, v0
	v_cmp_gt_u32_e64 s[12:13], s33, v3
	s_lshl_b64 s[38:39], s[30:31], 2
	s_add_u32 s24, s24, s38
	v_cndmask_b32_e64 v12, v1, v3, s[12:13]
	v_or_b32_e32 v3, 0x180, v0
	v_cmp_gt_u32_e64 s[10:11], s33, v3
	v_ashrrev_i32_e32 v9, 31, v8
	v_ashrrev_i32_e32 v11, 31, v10
	v_cndmask_b32_e64 v14, v1, v3, s[10:11]
	v_or_b32_e32 v3, 0x1c0, v0
	v_cmp_gt_u32_e64 s[8:9], s33, v3
	v_ashrrev_i32_e32 v13, 31, v12
	s_addc_u32 s25, s25, s39
	v_cndmask_b32_e64 v16, v1, v3, s[8:9]
	v_or_b32_e32 v3, 0x200, v0
	v_cmp_gt_u32_e64 s[6:7], s33, v3
	v_ashrrev_i32_e32 v5, 31, v4
	v_ashrrev_i32_e32 v7, 31, v6
	v_cndmask_b32_e64 v18, v1, v3, s[6:7]
	v_or_b32_e32 v3, 0x240, v0
	v_cmp_gt_u32_e64 s[4:5], s33, v3
	v_lshlrev_b64 v[8:9], 2, v[8:9]
	v_lshlrev_b64 v[10:11], 2, v[10:11]
	v_cndmask_b32_e64 v20, v1, v3, s[4:5]
	v_or_b32_e32 v3, 0x280, v0
	v_cmp_gt_u32_e32 vcc, s33, v3
	v_lshlrev_b64 v[12:13], 2, v[12:13]
	v_ashrrev_i32_e32 v15, 31, v14
	v_cndmask_b32_e32 v22, v1, v3, vcc
	v_ashrrev_i32_e32 v3, 31, v2
	v_lshlrev_b64 v[2:3], 2, v[2:3]
	v_ashrrev_i32_e32 v17, 31, v16
	v_ashrrev_i32_e32 v19, 31, v18
	v_lshl_add_u64 v[24:25], s[24:25], 0, v[2:3]
	v_lshlrev_b64 v[4:5], 2, v[4:5]
	v_lshlrev_b64 v[6:7], 2, v[6:7]
	v_lshl_add_u64 v[30:31], s[24:25], 0, v[8:9]
	v_lshl_add_u64 v[32:33], s[24:25], 0, v[10:11]
	v_lshl_add_u64 v[34:35], s[24:25], 0, v[12:13]
	v_lshlrev_b64 v[14:15], 2, v[14:15]
	v_lshlrev_b64 v[16:17], 2, v[16:17]
	;; [unrolled: 1-line block ×3, first 2 shown]
	v_ashrrev_i32_e32 v21, 31, v20
	v_ashrrev_i32_e32 v23, 31, v22
	v_lshl_add_u64 v[26:27], s[24:25], 0, v[4:5]
	v_lshl_add_u64 v[28:29], s[24:25], 0, v[6:7]
	;; [unrolled: 1-line block ×4, first 2 shown]
	global_load_dword v1, v[24:25], off
	global_load_dword v40, v[26:27], off
	;; [unrolled: 1-line block ×3, first 2 shown]
	s_nop 0
	global_load_dword v30, v[30:31], off
	s_nop 0
	global_load_dword v31, v[32:33], off
	s_nop 0
	global_load_dword v32, v[34:35], off
	global_load_dword v33, v[36:37], off
	s_nop 0
	global_load_dword v34, v[38:39], off
	v_lshl_add_u64 v[24:25], s[24:25], 0, v[18:19]
	v_lshlrev_b64 v[20:21], 2, v[20:21]
	v_lshlrev_b64 v[22:23], 2, v[22:23]
	v_lshl_add_u64 v[26:27], s[24:25], 0, v[20:21]
	v_lshl_add_u64 v[28:29], s[24:25], 0, v[22:23]
	global_load_dword v24, v[24:25], off
	s_nop 0
	global_load_dword v25, v[26:27], off
	global_load_dword v35, v[28:29], off
	v_mbcnt_lo_u32_b32 v26, -1, 0
	v_mbcnt_hi_u32_b32 v26, -1, v26
	v_and_b32_e32 v27, 64, v26
	v_add_u32_e32 v27, 64, v27
	v_xor_b32_e32 v29, 32, v26
	v_cmp_lt_i32_e64 s[24:25], v29, v27
	v_xor_b32_e32 v42, 2, v26
	s_mov_b32 s31, 0x3fb8aa3b
	v_cndmask_b32_e64 v29, v26, v29, s[24:25]
	v_lshlrev_b32_e32 v29, 2, v29
	s_waitcnt vmcnt(8)
	v_max3_f32 v28, v1, v40, v41
	s_waitcnt vmcnt(6)
	v_max3_f32 v28, v28, v30, v31
	;; [unrolled: 2-line block ×5, first 2 shown]
	ds_bpermute_b32 v36, v29, v28
	s_waitcnt lgkmcnt(0)
	v_max_f32_e32 v36, v36, v36
	v_max_f32_e32 v28, v28, v36
	v_xor_b32_e32 v36, 16, v26
	v_cmp_lt_i32_e64 s[24:25], v36, v27
	s_nop 1
	v_cndmask_b32_e64 v36, v26, v36, s[24:25]
	v_lshlrev_b32_e32 v36, 2, v36
	ds_bpermute_b32 v37, v36, v28
	s_waitcnt lgkmcnt(0)
	v_max_f32_e32 v37, v37, v37
	v_max_f32_e32 v28, v28, v37
	v_xor_b32_e32 v37, 8, v26
	v_cmp_lt_i32_e64 s[24:25], v37, v27
	s_nop 1
	v_cndmask_b32_e64 v37, v26, v37, s[24:25]
	s_add_u32 s24, s36, s48
	v_lshlrev_b32_e32 v37, 2, v37
	s_addc_u32 s25, s37, s49
	ds_bpermute_b32 v38, v37, v28
	s_add_u32 s36, s24, s38
	s_addc_u32 s37, s25, s39
	v_lshl_add_u64 v[2:3], s[36:37], 0, v[2:3]
	global_load_dword v39, v[2:3], off
	v_xor_b32_e32 v3, 4, v26
	v_cmp_lt_i32_e64 s[24:25], v3, v27
	s_waitcnt lgkmcnt(0)
	v_max_f32_e32 v2, v38, v38
	v_max_f32_e32 v2, v28, v2
	v_cndmask_b32_e64 v3, v26, v3, s[24:25]
	v_lshlrev_b32_e32 v28, 2, v3
	ds_bpermute_b32 v3, v28, v2
	v_cmp_lt_i32_e64 s[24:25], v42, v27
	s_waitcnt lgkmcnt(0)
	v_max_f32_e32 v3, v3, v3
	v_max_f32_e32 v38, v2, v3
	v_lshl_add_u64 v[2:3], s[36:37], 0, v[4:5]
	global_load_dword v43, v[2:3], off
	v_cndmask_b32_e64 v2, v26, v42, s[24:25]
	v_lshlrev_b32_e32 v42, 2, v2
	ds_bpermute_b32 v2, v42, v38
	v_lshl_add_u64 v[4:5], s[36:37], 0, v[10:11]
	v_lshl_add_u64 v[10:11], s[36:37], 0, v[16:17]
	s_waitcnt lgkmcnt(0)
	v_max_f32_e32 v2, v2, v2
	v_max_f32_e32 v38, v38, v2
	v_xor_b32_e32 v2, 1, v26
	v_cmp_lt_i32_e64 s[24:25], v2, v27
	s_nop 1
	v_cndmask_b32_e64 v2, v26, v2, s[24:25]
	v_lshlrev_b32_e32 v26, 2, v2
	v_lshl_add_u64 v[2:3], s[36:37], 0, v[6:7]
	global_load_dword v27, v[2:3], off
	v_lshl_add_u64 v[2:3], s[36:37], 0, v[8:9]
	v_lshl_add_u64 v[6:7], s[36:37], 0, v[12:13]
	;; [unrolled: 1-line block ×3, first 2 shown]
	global_load_dword v12, v[2:3], off
	global_load_dword v13, v[4:5], off
	;; [unrolled: 1-line block ×5, first 2 shown]
	ds_bpermute_b32 v44, v26, v38
	v_lshl_add_u64 v[2:3], s[36:37], 0, v[18:19]
	v_lshl_add_u64 v[4:5], s[36:37], 0, v[20:21]
	;; [unrolled: 1-line block ×3, first 2 shown]
	s_mov_b32 s36, 0xc2ce8ed0
	s_waitcnt lgkmcnt(0)
	v_max_f32_e32 v8, v44, v44
	v_max_f32_e32 v8, v38, v8
	v_sub_f32_e32 v1, v1, v8
	v_mul_f32_e32 v9, 0x3fb8aa3b, v1
	v_fma_f32 v10, v1, s31, -v9
	v_rndne_f32_e32 v11, v9
	v_fmac_f32_e32 v10, 0x32a5705f, v1
	v_sub_f32_e32 v9, v9, v11
	v_add_f32_e32 v9, v9, v10
	v_cvt_i32_f32_e32 v10, v11
	global_load_dword v11, v[2:3], off
	global_load_dword v17, v[4:5], off
	;; [unrolled: 1-line block ×3, first 2 shown]
	v_sub_f32_e32 v4, v40, v8
	v_mul_f32_e32 v5, 0x3fb8aa3b, v4
	v_fma_f32 v6, v4, s31, -v5
	v_rndne_f32_e32 v7, v5
	v_exp_f32_e32 v9, v9
	v_fmac_f32_e32 v6, 0x32a5705f, v4
	v_sub_f32_e32 v5, v5, v7
	v_add_f32_e32 v5, v5, v6
	v_exp_f32_e32 v5, v5
	v_cvt_i32_f32_e32 v6, v7
	v_ldexp_f32 v2, v9, v10
	v_cmp_ngt_f32_e64 s[24:25], s36, v1
	s_mov_b32 s37, 0x42b17218
	v_mov_b32_e32 v3, 0x7f800000
	v_cndmask_b32_e64 v2, 0, v2, s[24:25]
	v_cmp_nlt_f32_e64 s[24:25], s37, v1
	s_nop 1
	v_cndmask_b32_e64 v1, v3, v2, s[24:25]
	v_ldexp_f32 v2, v5, v6
	v_sub_f32_e32 v5, v41, v8
	v_mul_f32_e32 v6, 0x3fb8aa3b, v5
	v_fma_f32 v7, v5, s31, -v6
	v_rndne_f32_e32 v9, v6
	v_fmac_f32_e32 v7, 0x32a5705f, v5
	v_sub_f32_e32 v6, v6, v9
	v_add_f32_e32 v6, v6, v7
	v_exp_f32_e32 v6, v6
	v_cvt_i32_f32_e32 v7, v9
	v_cndmask_b32_e64 v1, 0, v1, s[22:23]
	v_cmp_ngt_f32_e64 s[22:23], s36, v4
	s_waitcnt vmcnt(10)
	v_mul_f32_e32 v1, v39, v1
	v_cndmask_b32_e64 v2, 0, v2, s[22:23]
	v_cmp_nlt_f32_e64 s[22:23], s37, v4
	v_ldexp_f32 v4, v6, v7
	v_sub_f32_e32 v6, v30, v8
	v_mul_f32_e32 v7, 0x3fb8aa3b, v6
	v_fma_f32 v9, v6, s31, -v7
	v_rndne_f32_e32 v10, v7
	v_fmac_f32_e32 v9, 0x32a5705f, v6
	v_sub_f32_e32 v7, v7, v10
	v_add_f32_e32 v7, v7, v9
	v_exp_f32_e32 v7, v7
	v_cvt_i32_f32_e32 v9, v10
	v_cndmask_b32_e64 v2, v3, v2, s[22:23]
	v_cndmask_b32_e64 v2, 0, v2, s[20:21]
	v_cmp_ngt_f32_e64 s[20:21], s36, v5
	s_waitcnt vmcnt(9)
	v_mul_f32_e32 v2, v43, v2
	v_cndmask_b32_e64 v4, 0, v4, s[20:21]
	v_cmp_nlt_f32_e64 s[20:21], s37, v5
	v_ldexp_f32 v5, v7, v9
	v_sub_f32_e32 v7, v31, v8
	v_mul_f32_e32 v9, 0x3fb8aa3b, v7
	v_fma_f32 v10, v7, s31, -v9
	v_rndne_f32_e32 v19, v9
	v_fmac_f32_e32 v10, 0x32a5705f, v7
	v_sub_f32_e32 v9, v9, v19
	v_add_f32_e32 v9, v9, v10
	v_exp_f32_e32 v9, v9
	v_cvt_i32_f32_e32 v10, v19
	v_cndmask_b32_e64 v4, v3, v4, s[20:21]
	v_cndmask_b32_e64 v4, 0, v4, s[18:19]
	v_cmp_ngt_f32_e64 s[18:19], s36, v6
	s_waitcnt vmcnt(8)
	v_mul_f32_e32 v4, v27, v4
	v_cndmask_b32_e64 v5, 0, v5, s[18:19]
	v_cmp_nlt_f32_e64 s[18:19], s37, v6
	v_ldexp_f32 v6, v9, v10
	v_sub_f32_e32 v9, v32, v8
	v_cndmask_b32_e64 v5, v3, v5, s[18:19]
	v_cndmask_b32_e64 v5, 0, v5, s[16:17]
	v_mul_f32_e32 v10, 0x3fb8aa3b, v9
	s_waitcnt vmcnt(7)
	v_mul_f32_e32 v5, v12, v5
	v_fma_f32 v12, v9, s31, -v10
	v_rndne_f32_e32 v19, v10
	v_fmac_f32_e32 v12, 0x32a5705f, v9
	v_sub_f32_e32 v10, v10, v19
	v_add_f32_e32 v10, v10, v12
	v_exp_f32_e32 v10, v10
	v_cvt_i32_f32_e32 v12, v19
	v_cmp_ngt_f32_e64 s[16:17], s36, v7
	s_nop 1
	v_cndmask_b32_e64 v6, 0, v6, s[16:17]
	v_cmp_nlt_f32_e64 s[16:17], s37, v7
	v_ldexp_f32 v7, v10, v12
	v_sub_f32_e32 v10, v33, v8
	v_cndmask_b32_e64 v6, v3, v6, s[16:17]
	v_cndmask_b32_e64 v6, 0, v6, s[14:15]
	v_mul_f32_e32 v12, 0x3fb8aa3b, v10
	s_waitcnt vmcnt(6)
	v_mul_f32_e32 v6, v13, v6
	v_fma_f32 v13, v10, s31, -v12
	v_rndne_f32_e32 v19, v12
	v_fmac_f32_e32 v13, 0x32a5705f, v10
	v_sub_f32_e32 v12, v12, v19
	v_add_f32_e32 v12, v12, v13
	v_exp_f32_e32 v12, v12
	v_cvt_i32_f32_e32 v13, v19
	v_cmp_ngt_f32_e64 s[14:15], s36, v9
	s_nop 1
	;; [unrolled: 18-line block ×4, first 2 shown]
	v_cndmask_b32_e64 v10, 0, v10, s[10:11]
	v_cmp_nlt_f32_e64 s[10:11], s37, v12
	v_ldexp_f32 v12, v14, v15
	v_sub_f32_e32 v14, v25, v8
	v_cndmask_b32_e64 v10, v3, v10, s[10:11]
	v_cndmask_b32_e64 v10, 0, v10, s[8:9]
	v_mul_f32_e32 v15, 0x3fb8aa3b, v14
	s_waitcnt vmcnt(3)
	v_mul_f32_e32 v10, v16, v10
	v_fma_f32 v16, v14, s31, -v15
	v_rndne_f32_e32 v19, v15
	v_fmac_f32_e32 v16, 0x32a5705f, v14
	v_sub_f32_e32 v15, v15, v19
	v_add_f32_e32 v15, v15, v16
	v_cmp_ngt_f32_e64 s[8:9], s36, v13
	v_exp_f32_e32 v15, v15
	v_cvt_i32_f32_e32 v16, v19
	v_cndmask_b32_e64 v12, 0, v12, s[8:9]
	v_cmp_nlt_f32_e64 s[8:9], s37, v13
	v_sub_f32_e32 v8, v35, v8
	v_mul_f32_e32 v13, 0x3fb8aa3b, v8
	v_cndmask_b32_e64 v12, v3, v12, s[8:9]
	v_cndmask_b32_e64 v12, 0, v12, s[6:7]
	s_waitcnt vmcnt(2)
	v_mul_f32_e32 v11, v11, v12
	v_ldexp_f32 v12, v15, v16
	v_fma_f32 v15, v8, s31, -v13
	v_rndne_f32_e32 v16, v13
	v_fmac_f32_e32 v15, 0x32a5705f, v8
	v_sub_f32_e32 v13, v13, v16
	v_add_f32_e32 v13, v13, v15
	v_exp_f32_e32 v13, v13
	v_cvt_i32_f32_e32 v15, v16
	v_cmp_ngt_f32_e64 s[6:7], s36, v14
	v_ldexp_f32 v13, v13, v15
	s_nop 0
	v_cndmask_b32_e64 v12, 0, v12, s[6:7]
	v_cmp_nlt_f32_e64 s[6:7], s37, v14
	v_lshlrev_b32_e32 v14, 2, v0
	ds_write2st64_b32 v14, v1, v2 offset1:1
	ds_write2st64_b32 v14, v4, v5 offset0:2 offset1:3
	ds_write2st64_b32 v14, v6, v7 offset0:4 offset1:5
	v_cndmask_b32_e64 v12, v3, v12, s[6:7]
	v_cndmask_b32_e64 v12, 0, v12, s[4:5]
	v_cmp_ngt_f32_e64 s[4:5], s36, v8
	s_waitcnt vmcnt(1)
	v_mul_f32_e32 v12, v17, v12
	v_cndmask_b32_e64 v13, 0, v13, s[4:5]
	v_cmp_nlt_f32_e64 s[4:5], s37, v8
	v_add_f32_e32 v8, v1, v2
	v_add_f32_e32 v8, v8, v4
	;; [unrolled: 1-line block ×6, first 2 shown]
	v_cndmask_b32_e64 v3, v3, v13, s[4:5]
	v_add_f32_e32 v8, v8, v10
	v_cndmask_b32_e32 v3, 0, v3, vcc
	v_add_f32_e32 v8, v8, v11
	s_waitcnt vmcnt(0)
	v_mul_f32_e32 v3, v18, v3
	v_add_f32_e32 v8, v8, v12
	v_add_f32_e32 v8, v8, v3
	ds_bpermute_b32 v13, v29, v8
	v_cmp_eq_u32_e32 vcc, 0, v0
	ds_write2st64_b32 v14, v9, v10 offset0:6 offset1:7
	ds_write2st64_b32 v14, v11, v12 offset0:8 offset1:9
	ds_write_b32 v14, v3 offset:2560
	s_waitcnt lgkmcnt(3)
	v_add_f32_e32 v8, v8, v13
	ds_bpermute_b32 v13, v36, v8
	s_waitcnt lgkmcnt(0)
	v_add_f32_e32 v8, v8, v13
	ds_bpermute_b32 v13, v37, v8
	;; [unrolled: 3-line block ×5, first 2 shown]
	s_and_saveexec_b64 s[4:5], vcc
	s_cbranch_execz .LBB606_8
; %bb.7:
	s_waitcnt lgkmcnt(0)
	v_add_f32_e32 v1, v1, v2
	v_mov_b32_e32 v2, 0
	ds_write_b32 v2, v1 offset:2816
.LBB606_8:
	s_or_b64 exec, exec, s[4:5]
	v_mov_b32_e32 v1, s30
.LBB606_9:
	s_or_b64 exec, exec, s[44:45]
	s_lshl_b32 s4, s46, 7
	s_mov_b32 s5, 0
	s_lshl_b64 s[4:5], s[4:5], 1
	s_add_u32 s4, s28, s4
	s_addc_u32 s5, s29, s5
	s_lshl_b32 s10, s33, 7
	s_waitcnt lgkmcnt(0)
	v_lshlrev_b32_e32 v2, 7, v1
	v_mov_b32_e32 v1, 0
	s_add_i32 s11, s10, 0xffffff80
	v_mov_b32_e32 v3, v1
	s_cmp_lt_i32 s50, 1
	v_lshl_add_u64 v[2:3], v[2:3], 1, s[4:5]
	s_cselect_b32 s4, s11, 0
	v_lshlrev_b32_e32 v4, 1, v0
	v_mov_b32_e32 v5, v1
	s_ashr_i32 s5, s4, 31
	v_lshl_add_u64 v[2:3], v[2:3], 0, v[4:5]
	s_cmpk_lt_i32 s50, 0x101
	v_lshl_add_u64 v[4:5], s[4:5], 1, v[2:3]
	s_cselect_b32 s4, s11, 0x80
	s_ashr_i32 s5, s4, 31
	s_cmpk_lt_i32 s50, 0x201
	v_lshl_add_u64 v[6:7], s[4:5], 1, v[2:3]
	s_cselect_b32 s4, s11, 0x100
	s_ashr_i32 s5, s4, 31
	;; [unrolled: 4-line block ×8, first 2 shown]
	s_cmpk_lt_i32 s50, 0x901
	global_load_ushort v23, v[4:5], off
	global_load_ushort v22, v[6:7], off
	;; [unrolled: 1-line block ×8, first 2 shown]
	v_lshl_add_u64 v[4:5], s[4:5], 1, v[2:3]
	s_cselect_b32 s4, s11, 0x480
	s_ashr_i32 s5, s4, 31
	s_cmpk_lt_i32 s50, 0xa01
	v_lshl_add_u64 v[6:7], s[4:5], 1, v[2:3]
	s_cselect_b32 s4, s11, 0x500
	s_ashr_i32 s5, s4, 31
	s_cmpk_lt_i32 s50, 0xb01
	;; [unrolled: 4-line block ×6, first 2 shown]
	v_lshl_add_u64 v[32:33], s[4:5], 1, v[2:3]
	s_cselect_b32 s4, s11, 0x780
	s_ashr_i32 s5, s4, 31
	v_lshl_add_u64 v[34:35], s[4:5], 1, v[2:3]
	global_load_ushort v30, v[4:5], off
	global_load_ushort v31, v[6:7], off
	;; [unrolled: 1-line block ×8, first 2 shown]
	s_cmpk_gt_i32 s50, 0x1000
	s_cselect_b64 s[8:9], -1, 0
	s_cmpk_lt_i32 s50, 0x1001
	v_mov_b32_e32 v40, 0
	v_mov_b32_e32 v41, 0
	;; [unrolled: 1-line block ×48, first 2 shown]
	s_barrier
	s_cbranch_scc1 .LBB606_12
; %bb.10:
	s_cmpk_lt_u32 s50, 0x1101
	s_cselect_b32 s4, s11, 0x880
	s_ashr_i32 s5, s4, 31
	s_cmpk_lt_u32 s50, 0x1201
	v_lshl_add_u64 v[6:7], s[4:5], 1, v[2:3]
	s_cselect_b32 s4, s11, 0x900
	s_ashr_i32 s5, s4, 31
	s_cmpk_lt_u32 s50, 0x1301
	v_lshl_add_u64 v[8:9], s[4:5], 1, v[2:3]
	;; [unrolled: 4-line block ×7, first 2 shown]
	s_cselect_b32 s4, s11, 0xc00
	v_add_co_u32_e32 v4, vcc, 0x1000, v2
	s_ashr_i32 s5, s4, 31
	s_nop 0
	v_addc_co_u32_e32 v5, vcc, 0, v3, vcc
	s_cmpk_lt_u32 s50, 0x1901
	global_load_ushort v39, v[4:5], off
	global_load_ushort v38, v[6:7], off
	;; [unrolled: 1-line block ×8, first 2 shown]
	v_lshl_add_u64 v[4:5], s[4:5], 1, v[2:3]
	s_cselect_b32 s4, s11, 0xc80
	s_ashr_i32 s5, s4, 31
	s_cmpk_lt_u32 s50, 0x1a01
	v_lshl_add_u64 v[6:7], s[4:5], 1, v[2:3]
	s_cselect_b32 s4, s11, 0xd00
	s_ashr_i32 s5, s4, 31
	s_cmpk_lt_u32 s50, 0x1b01
	;; [unrolled: 4-line block ×6, first 2 shown]
	v_lshl_add_u64 v[48:49], s[4:5], 1, v[2:3]
	s_cselect_b32 s4, s11, 0xf80
	s_ashr_i32 s5, s4, 31
	v_lshl_add_u64 v[50:51], s[4:5], 1, v[2:3]
	global_load_ushort v47, v[4:5], off
	global_load_ushort v46, v[6:7], off
	;; [unrolled: 1-line block ×8, first 2 shown]
	s_cmpk_lt_u32 s50, 0x2001
	v_mov_b32_e32 v67, 0
	v_mov_b32_e32 v65, 0
	;; [unrolled: 1-line block ×32, first 2 shown]
	s_cbranch_scc1 .LBB606_12
; %bb.11:
	s_cmpk_lt_u32 s50, 0x2101
	s_cselect_b32 s4, s11, 0x1080
	s_ashr_i32 s5, s4, 31
	s_cmpk_lt_u32 s50, 0x2201
	v_lshl_add_u64 v[4:5], s[4:5], 1, v[2:3]
	s_cselect_b32 s4, s11, 0x1100
	s_ashr_i32 s5, s4, 31
	s_cmpk_lt_u32 s50, 0x2301
	v_lshl_add_u64 v[6:7], s[4:5], 1, v[2:3]
	;; [unrolled: 4-line block ×29, first 2 shown]
	s_cselect_b32 s4, s11, 0x1f00
	s_ashr_i32 s5, s4, 31
	v_lshl_add_u64 v[94:95], s[4:5], 1, v[2:3]
	s_movk_i32 s4, 0x2000
	s_cmpk_lt_u32 s50, 0x3f01
	v_add_co_u32_e32 v96, vcc, s4, v2
	s_cselect_b32 s4, s11, 0x1f80
	s_nop 0
	v_addc_co_u32_e32 v97, vcc, 0, v3, vcc
	s_ashr_i32 s5, s4, 31
	global_load_ushort v98, v[96:97], off
	global_load_ushort v99, v[4:5], off
	;; [unrolled: 1-line block ×15, first 2 shown]
                                        ; kill: killed $vgpr56_vgpr57
                                        ; kill: killed $vgpr8_vgpr9
                                        ; kill: killed $vgpr62_vgpr63
                                        ; kill: killed $vgpr14_vgpr15
                                        ; kill: killed $vgpr96 killed $vgpr97
                                        ; kill: killed $vgpr52_vgpr53
                                        ; kill: killed $vgpr4_vgpr5
                                        ; kill: killed $vgpr58_vgpr59
                                        ; kill: killed $vgpr10_vgpr11
                                        ; kill: killed $vgpr48_vgpr49
                                        ; kill: killed $vgpr54_vgpr55
                                        ; kill: killed $vgpr6_vgpr7
                                        ; kill: killed $vgpr60_vgpr61
                                        ; kill: killed $vgpr12_vgpr13
                                        ; kill: killed $vgpr50_vgpr51
	global_load_ushort v6, v[64:65], off
	global_load_ushort v7, v[66:67], off
	;; [unrolled: 1-line block ×15, first 2 shown]
                                        ; kill: killed $vgpr88_vgpr89
                                        ; kill: killed $vgpr72_vgpr73
                                        ; kill: killed $vgpr94_vgpr95
                                        ; kill: killed $vgpr78_vgpr79
                                        ; kill: killed $vgpr84_vgpr85
                                        ; kill: killed $vgpr68_vgpr69
                                        ; kill: killed $vgpr90_vgpr91
                                        ; kill: killed $vgpr74_vgpr75
                                        ; kill: killed $vgpr80_vgpr81
                                        ; kill: killed $vgpr64_vgpr65
                                        ; kill: killed $vgpr70_vgpr71
                                        ; kill: killed $vgpr92_vgpr93
                                        ; kill: killed $vgpr76_vgpr77
                                        ; kill: killed $vgpr82_vgpr83
                                        ; kill: killed $vgpr66_vgpr67
	global_load_ushort v68, v[86:87], off
	v_lshl_add_u64 v[4:5], s[4:5], 1, v[2:3]
	global_load_ushort v5, v[4:5], off
	s_waitcnt vmcnt(31)
	v_lshlrev_b32_e32 v67, 16, v98
	s_waitcnt vmcnt(30)
	v_lshlrev_b32_e32 v65, 16, v99
	;; [unrolled: 2-line block ×32, first 2 shown]
.LBB606_12:
	s_load_dwordx2 s[4:5], s[0:1], 0x0
	s_load_dwordx2 s[6:7], s[0:1], 0x38
	ds_read_b128 v[68:71], v1
	s_waitcnt vmcnt(15)
	v_lshlrev_b32_e32 v23, 16, v23
	ds_read_b128 v[72:75], v1 offset:16
	ds_read_b128 v[76:79], v1 offset:32
	;; [unrolled: 1-line block ×3, first 2 shown]
	s_waitcnt vmcnt(14)
	v_lshlrev_b32_e32 v22, 16, v22
	s_waitcnt vmcnt(13)
	v_lshlrev_b32_e32 v21, 16, v21
	s_waitcnt lgkmcnt(0)
	v_fma_f32 v23, v68, v23, 0
	v_fmac_f32_e32 v23, v69, v22
	v_fmac_f32_e32 v23, v70, v21
	s_waitcnt vmcnt(12)
	v_lshlrev_b32_e32 v20, 16, v20
	s_waitcnt vmcnt(10)
	v_lshlrev_b32_e32 v19, 16, v19
	v_lshlrev_b32_e32 v18, 16, v18
	v_fmac_f32_e32 v23, v71, v20
	v_pk_mul_f32 v[18:19], v[72:73], v[18:19]
	s_waitcnt vmcnt(8)
	v_lshlrev_b32_e32 v17, 16, v17
	v_add_f32_e32 v18, v23, v18
	v_lshlrev_b32_e32 v16, 16, v16
	v_add_f32_e32 v18, v18, v19
	v_pk_mul_f32 v[16:17], v[74:75], v[16:17]
	s_and_b64 vcc, exec, s[8:9]
	v_add_f32_e32 v16, v18, v16
	v_add_f32_e32 v18, v16, v17
	s_waitcnt vmcnt(6)
	v_lshlrev_b32_e32 v17, 16, v31
	v_lshlrev_b32_e32 v16, 16, v30
	v_pk_mul_f32 v[16:17], v[76:77], v[16:17]
	s_nop 0
	v_add_f32_e32 v16, v18, v16
	v_add_f32_e32 v18, v16, v17
	s_waitcnt vmcnt(4)
	v_lshlrev_b32_e32 v17, 16, v29
	v_lshlrev_b32_e32 v16, 16, v28
	v_pk_mul_f32 v[16:17], v[78:79], v[16:17]
	s_nop 0
	;; [unrolled: 7-line block ×4, first 2 shown]
	v_add_f32_e32 v16, v18, v16
	v_add_f32_e32 v110, v16, v17
	s_cbranch_vccz .LBB606_15
; %bb.13:
	ds_read_b128 v[16:19], v1 offset:64
	v_lshlrev_b32_e32 v39, 16, v39
	ds_read_b128 v[20:23], v1 offset:80
	ds_read_b128 v[24:27], v1 offset:96
	;; [unrolled: 1-line block ×3, first 2 shown]
	s_cmpk_lt_u32 s50, 0x2001
	s_waitcnt lgkmcnt(3)
	v_fmac_f32_e32 v110, v16, v39
	v_lshlrev_b32_e32 v16, 16, v38
	v_fmac_f32_e32 v110, v17, v16
	v_lshlrev_b32_e32 v16, 16, v37
	v_fmac_f32_e32 v110, v18, v16
	v_lshlrev_b32_e32 v16, 16, v36
	v_fmac_f32_e32 v110, v19, v16
	v_lshlrev_b32_e32 v16, 16, v35
	s_waitcnt lgkmcnt(2)
	v_fmac_f32_e32 v110, v20, v16
	v_lshlrev_b32_e32 v16, 16, v34
	v_fmac_f32_e32 v110, v21, v16
	v_lshlrev_b32_e32 v16, 16, v33
	v_fmac_f32_e32 v110, v22, v16
	v_lshlrev_b32_e32 v16, 16, v32
	v_fmac_f32_e32 v110, v23, v16
	v_lshlrev_b32_e32 v16, 16, v47
	;; [unrolled: 9-line block ×3, first 2 shown]
	s_waitcnt lgkmcnt(0)
	v_fmac_f32_e32 v110, v28, v16
	v_lshlrev_b32_e32 v16, 16, v42
	v_fmac_f32_e32 v110, v29, v16
	v_lshlrev_b32_e32 v16, 16, v41
	;; [unrolled: 2-line block ×3, first 2 shown]
	v_fmac_f32_e32 v110, v31, v16
	s_cbranch_scc1 .LBB606_15
; %bb.14:
	v_mov_b32_e32 v32, 0
	ds_read_b128 v[16:19], v32 offset:128
	ds_read_b128 v[20:23], v32 offset:144
	;; [unrolled: 1-line block ×4, first 2 shown]
	s_waitcnt lgkmcnt(3)
	v_fmac_f32_e32 v110, v16, v67
	v_fmac_f32_e32 v110, v17, v65
	v_fmac_f32_e32 v110, v18, v66
	v_fmac_f32_e32 v110, v19, v63
	s_waitcnt lgkmcnt(2)
	v_fmac_f32_e32 v110, v20, v64
	v_fmac_f32_e32 v110, v21, v61
	v_fmac_f32_e32 v110, v22, v62
	v_fmac_f32_e32 v110, v23, v59
	;; [unrolled: 5-line block ×3, first 2 shown]
	ds_read_b128 v[16:19], v32 offset:192
	ds_read_b128 v[20:23], v32 offset:208
	s_waitcnt lgkmcnt(2)
	v_fmac_f32_e32 v110, v28, v56
	v_fmac_f32_e32 v110, v29, v53
	;; [unrolled: 1-line block ×4, first 2 shown]
	s_waitcnt lgkmcnt(1)
	v_fmac_f32_e32 v110, v16, v51
	v_fmac_f32_e32 v110, v17, v49
	;; [unrolled: 1-line block ×4, first 2 shown]
	s_waitcnt lgkmcnt(0)
	v_pk_mul_f32 v[14:15], v[20:21], v[14:15]
	v_pk_mul_f32 v[12:13], v[22:23], v[12:13]
	v_add_f32_e32 v14, v110, v14
	v_add_f32_e32 v18, v14, v15
	ds_read_b128 v[14:17], v32 offset:224
	v_add_f32_e32 v12, v18, v12
	ds_read_b128 v[18:21], v32 offset:240
	v_add_f32_e32 v12, v12, v13
	s_waitcnt lgkmcnt(1)
	v_pk_mul_f32 v[10:11], v[14:15], v[10:11]
	s_nop 0
	v_add_f32_e32 v10, v12, v10
	v_add_f32_e32 v10, v10, v11
	v_pk_mul_f32 v[8:9], v[16:17], v[8:9]
	s_waitcnt lgkmcnt(0)
	v_pk_mul_f32 v[6:7], v[18:19], v[6:7]
	v_add_f32_e32 v8, v10, v8
	v_add_f32_e32 v8, v8, v9
	;; [unrolled: 1-line block ×4, first 2 shown]
	v_pk_mul_f32 v[4:5], v[20:21], v[4:5]
	s_nop 0
	v_add_f32_e32 v4, v6, v4
	v_add_f32_e32 v110, v4, v5
.LBB606_15:
	s_movk_i32 s0, 0x3f80
	s_movk_i32 s1, 0x100
	s_mov_b32 s8, 64
	s_branch .LBB606_17
.LBB606_16:                             ;   in Loop: Header=BB606_17 Depth=1
	s_addk_i32 s0, 0x2000
	s_addk_i32 s1, 0x100
	s_add_i32 s8, s8, 64
	s_cmp_eq_u32 s0, 0x17f80
	s_cbranch_scc1 .LBB606_19
.LBB606_17:                             ; =>This Inner Loop Header: Depth=1
	s_cmp_le_i32 s33, s8
	s_cbranch_scc1 .LBB606_16
; %bb.18:                               ;   in Loop: Header=BB606_17 Depth=1
	s_add_i32 s9, s0, 0xffffe080
	s_cmp_lt_i32 s9, s10
	s_cselect_b32 s12, s9, s11
	s_ashr_i32 s13, s12, 31
	s_add_i32 s9, s0, 0xffffe100
	s_cmp_lt_i32 s9, s10
	v_lshl_add_u64 v[42:43], s[12:13], 1, v[2:3]
	s_cselect_b32 s12, s9, s11
	s_ashr_i32 s13, s12, 31
	s_add_i32 s9, s0, 0xffffe180
	s_cmp_lt_i32 s9, s10
	v_lshl_add_u64 v[4:5], s[12:13], 1, v[2:3]
	;; [unrolled: 5-line block ×21, first 2 shown]
	s_cselect_b32 s12, s9, s11
	s_ashr_i32 s13, s12, 31
	s_add_i32 s9, s0, 0xffffeb80
	s_cmp_lt_i32 s9, s10
	global_load_ushort v111, v[42:43], off
	global_load_ushort v121, v[44:45], off
	v_lshl_add_u64 v[32:33], s[12:13], 1, v[2:3]
	s_cselect_b32 s12, s9, s11
	global_load_ushort v112, v[4:5], off
	global_load_ushort v113, v[6:7], off
	;; [unrolled: 1-line block ×8, first 2 shown]
	s_ashr_i32 s13, s12, 31
	s_add_i32 s9, s0, 0xffffec00
	s_cmp_lt_i32 s9, s10
	v_lshl_add_u64 v[34:35], s[12:13], 1, v[2:3]
	s_cselect_b32 s12, s9, s11
	s_ashr_i32 s13, s12, 31
	s_add_i32 s9, s0, 0xffffec80
	s_cmp_lt_i32 s9, s10
	v_lshl_add_u64 v[48:49], s[12:13], 1, v[2:3]
	s_cselect_b32 s12, s9, s11
	;; [unrolled: 5-line block ×3, first 2 shown]
	global_load_ushort v120, v[28:29], off
	s_ashr_i32 s13, s12, 31
	s_add_i32 s9, s0, 0xffffed80
	s_cmp_lt_i32 s9, s10
	global_load_ushort v122, v[54:55], off
	global_load_ushort v123, v[56:57], off
	v_lshl_add_u64 v[18:19], s[12:13], 1, v[2:3]
	global_load_ushort v58, v[58:59], off
	s_cselect_b32 s12, s9, s11
	s_ashr_i32 s13, s12, 31
	s_add_i32 s9, s0, 0xffffee00
	s_cmp_lt_i32 s9, s10
	v_lshl_add_u64 v[20:21], s[12:13], 1, v[2:3]
	s_cselect_b32 s12, s9, s11
	s_ashr_i32 s13, s12, 31
	s_add_i32 s9, s0, 0xffffee80
	s_cmp_lt_i32 s9, s10
	v_lshl_add_u64 v[38:39], s[12:13], 1, v[2:3]
	;; [unrolled: 5-line block ×3, first 2 shown]
	s_cselect_b32 s12, s9, s11
	global_load_ushort v59, v[60:61], off
	s_ashr_i32 s13, s12, 31
	s_add_i32 s9, s0, 0xffffef80
	global_load_ushort v60, v[66:67], off
	global_load_ushort v61, v[62:63], off
	s_cmp_lt_i32 s9, s10
	v_lshl_add_u64 v[50:51], s[12:13], 1, v[2:3]
	s_cselect_b32 s12, s9, s11
	s_ashr_i32 s13, s12, 31
	s_add_i32 s9, s0, 0xfffff000
	s_cmp_lt_i32 s9, s10
	v_lshl_add_u64 v[52:53], s[12:13], 1, v[2:3]
	s_cselect_b32 s12, s9, s11
	s_ashr_i32 s13, s12, 31
	s_add_i32 s9, s0, 0xfffff080
	;; [unrolled: 5-line block ×3, first 2 shown]
	s_cmp_lt_i32 s9, s10
	v_lshl_add_u64 v[68:69], s[12:13], 1, v[2:3]
	s_cselect_b32 s12, s9, s11
	global_load_ushort v62, v[24:25], off
	s_ashr_i32 s13, s12, 31
	s_add_i32 s9, s0, 0xfffff180
	global_load_ushort v66, v[30:31], off
	global_load_ushort v124, v[32:33], off
	;; [unrolled: 1-line block ×4, first 2 shown]
	s_cmp_lt_i32 s9, s10
	v_lshl_add_u64 v[70:71], s[12:13], 1, v[2:3]
	s_cselect_b32 s12, s9, s11
	global_load_ushort v67, v[46:47], off
	s_ashr_i32 s13, s12, 31
	s_add_i32 s9, s0, 0xfffff200
	s_cmp_lt_i32 s9, s10
	v_lshl_add_u64 v[72:73], s[12:13], 1, v[2:3]
	s_cselect_b32 s12, s9, s11
	s_ashr_i32 s13, s12, 31
	s_add_i32 s9, s0, 0xfffff280
	s_cmp_lt_i32 s9, s10
	v_lshl_add_u64 v[74:75], s[12:13], 1, v[2:3]
	s_cselect_b32 s12, s9, s11
	s_ashr_i32 s13, s12, 31
	s_add_i32 s9, s0, 0xfffff300
	s_cmp_lt_i32 s9, s10
	v_mov_b32_e32 v125, s1
	v_lshl_add_u64 v[76:77], s[12:13], 1, v[2:3]
	s_cselect_b32 s12, s9, s11
	ds_read_b128 v[28:31], v125
	ds_read_b128 v[32:35], v125 offset:16
	global_load_ushort v48, v[48:49], off
	s_ashr_i32 s13, s12, 31
	s_add_i32 s9, s0, 0xfffff380
	s_cmp_lt_i32 s9, s10
	v_lshl_add_u64 v[78:79], s[12:13], 1, v[2:3]
	s_cselect_b32 s12, s9, s11
	ds_read_b128 v[44:47], v125 offset:32
	ds_read_b128 v[54:57], v125 offset:48
	global_load_ushort v36, v[36:37], off
	s_ashr_i32 s13, s12, 31
	v_lshl_add_u64 v[80:81], s[12:13], 1, v[2:3]
	global_load_ushort v49, v[80:81], off
	global_load_ushort v37, v[18:19], off
	s_add_i32 s9, s0, 0xfffff400
	global_load_ushort v38, v[38:39], off
	s_cmp_lt_i32 s9, s10
	s_cselect_b32 s12, s9, s11
	s_ashr_i32 s13, s12, 31
	s_add_i32 s9, s0, 0xfffff480
	s_cmp_lt_i32 s9, s10
	v_lshl_add_u64 v[82:83], s[12:13], 1, v[2:3]
	s_cselect_b32 s12, s9, s11
	s_ashr_i32 s13, s12, 31
	s_add_i32 s9, s0, 0xfffff500
	s_cmp_lt_i32 s9, s10
	v_lshl_add_u64 v[84:85], s[12:13], 1, v[2:3]
	;; [unrolled: 5-line block ×5, first 2 shown]
	s_cselect_b32 s12, s9, s11
	s_ashr_i32 s13, s12, 31
	s_add_i32 s9, s0, 0xfffff700
	s_waitcnt vmcnt(27)
	v_lshlrev_b32_e32 v111, 16, v111
	s_cmp_lt_i32 s9, s10
	s_waitcnt lgkmcnt(3)
	v_fmac_f32_e32 v110, v28, v111
	s_waitcnt vmcnt(25)
	v_lshlrev_b32_e32 v28, 16, v112
	v_lshl_add_u64 v[92:93], s[12:13], 1, v[2:3]
	s_cselect_b32 s12, s9, s11
	v_fmac_f32_e32 v110, v29, v28
	s_waitcnt vmcnt(24)
	v_lshlrev_b32_e32 v28, 16, v113
	s_ashr_i32 s13, s12, 31
	s_add_i32 s9, s0, 0xfffff780
	v_fmac_f32_e32 v110, v30, v28
	s_waitcnt vmcnt(23)
	v_lshlrev_b32_e32 v28, 16, v114
	s_cmp_lt_i32 s9, s10
	v_fmac_f32_e32 v110, v31, v28
	s_waitcnt vmcnt(22)
	v_lshlrev_b32_e32 v18, 16, v115
	v_lshl_add_u64 v[94:95], s[12:13], 1, v[2:3]
	s_cselect_b32 s12, s9, s11
	s_waitcnt lgkmcnt(2)
	v_fmac_f32_e32 v110, v32, v18
	global_load_ushort v32, v[20:21], off
	s_ashr_i32 s13, s12, 31
	s_add_i32 s9, s0, 0xfffff800
	s_waitcnt vmcnt(22)
	v_lshlrev_b32_e32 v18, 16, v116
	s_cmp_lt_i32 s9, s10
	v_fmac_f32_e32 v110, v33, v18
	global_load_ushort v33, v[40:41], off
	s_waitcnt vmcnt(22)
	v_lshlrev_b32_e32 v18, 16, v117
	v_lshl_add_u64 v[98:99], s[12:13], 1, v[2:3]
	s_cselect_b32 s12, s9, s11
	v_fmac_f32_e32 v110, v34, v18
	global_load_ushort v34, v[50:51], off
	s_waitcnt vmcnt(22)
	v_lshlrev_b32_e32 v18, 16, v118
	s_ashr_i32 s13, s12, 31
	s_add_i32 s9, s0, 0xfffff880
	v_fmac_f32_e32 v110, v35, v18
	global_load_ushort v35, v[52:53], off
	global_load_ushort v39, v[64:65], off
	s_waitcnt vmcnt(23)
	v_lshlrev_b32_e32 v18, 16, v119
	s_cmp_lt_i32 s9, s10
	s_waitcnt lgkmcnt(1)
	v_fmac_f32_e32 v110, v44, v18
	global_load_ushort v44, v[72:73], off
	s_waitcnt vmcnt(23)
	v_lshlrev_b32_e32 v18, 16, v120
	v_lshl_add_u64 v[100:101], s[12:13], 1, v[2:3]
	s_cselect_b32 s12, s9, s11
	v_fmac_f32_e32 v110, v45, v18
	v_lshlrev_b32_e32 v18, 16, v121
	s_ashr_i32 s13, s12, 31
	s_add_i32 s9, s0, 0xfffff900
	v_fmac_f32_e32 v110, v46, v18
	global_load_ushort v46, v[76:77], off
	s_waitcnt vmcnt(23)
	v_lshlrev_b32_e32 v18, 16, v122
	s_cmp_lt_i32 s9, s10
	v_fmac_f32_e32 v110, v47, v18
	s_waitcnt vmcnt(22)
	v_lshlrev_b32_e32 v18, 16, v123
	v_lshl_add_u64 v[102:103], s[12:13], 1, v[2:3]
	s_cselect_b32 s12, s9, s11
	s_waitcnt lgkmcnt(0)
	v_fmac_f32_e32 v110, v54, v18
	global_load_ushort v54, v[88:89], off
	global_load_ushort v40, v[68:69], off
	global_load_ushort v41, v[70:71], off
	global_load_ushort v45, v[74:75], off
	global_load_ushort v47, v[78:79], off
	global_load_ushort v50, v[82:83], off
	global_load_ushort v51, v[84:85], off
	global_load_ushort v52, v[86:87], off
	s_ashr_i32 s13, s12, 31
	s_add_i32 s9, s0, 0xfffff980
	s_cmp_lt_i32 s9, s10
	v_lshl_add_u64 v[104:105], s[12:13], 1, v[2:3]
	s_cselect_b32 s12, s9, s11
	s_ashr_i32 s13, s12, 31
	s_add_i32 s9, s0, 0xfffffa00
	s_cmp_lt_i32 s9, s10
	v_lshl_add_u64 v[106:107], s[12:13], 1, v[2:3]
	s_cselect_b32 s12, s9, s11
	s_ashr_i32 s13, s12, 31
	s_add_i32 s9, s0, 0xfffffa80
	s_waitcnt vmcnt(29)
	v_lshlrev_b32_e32 v18, 16, v58
	s_cmp_lt_i32 s9, s10
	v_fmac_f32_e32 v110, v55, v18
	global_load_ushort v55, v[90:91], off
	s_waitcnt vmcnt(29)
	v_lshlrev_b32_e32 v18, 16, v59
	v_lshl_add_u64 v[96:97], s[12:13], 1, v[2:3]
	s_cselect_b32 s12, s9, s11
	v_fmac_f32_e32 v110, v56, v18
	s_waitcnt vmcnt(28)
	v_lshlrev_b32_e32 v18, 16, v60
	s_ashr_i32 s13, s12, 31
	s_add_i32 s9, s0, 0xfffffb00
	v_fmac_f32_e32 v110, v57, v18
	ds_read_b128 v[18:21], v125 offset:64
	ds_read_b128 v[28:31], v125 offset:80
	s_cmp_lt_i32 s9, s10
	v_lshl_add_u64 v[42:43], s[12:13], 1, v[2:3]
	s_cselect_b32 s12, s9, s11
	s_ashr_i32 s13, s12, 31
	s_add_i32 s9, s0, 0xfffffb80
	s_cmp_lt_i32 s9, s10
	s_waitcnt vmcnt(27)
	v_lshlrev_b32_e32 v53, 16, v61
	v_lshl_add_u64 v[108:109], s[12:13], 1, v[2:3]
	s_cselect_b32 s12, s9, s11
	s_waitcnt lgkmcnt(1)
	v_fmac_f32_e32 v110, v18, v53
	global_load_ushort v53, v[92:93], off
	global_load_ushort v56, v[94:95], off
	;; [unrolled: 1-line block ×6, first 2 shown]
	s_ashr_i32 s13, s12, 31
	s_add_i32 s9, s0, 0xfffffc00
	s_cmp_lt_i32 s9, s10
	v_lshl_add_u64 v[4:5], s[12:13], 1, v[2:3]
	s_cselect_b32 s12, s9, s11
	s_ashr_i32 s13, s12, 31
	s_add_i32 s9, s0, 0xfffffc80
	s_cmp_lt_i32 s9, s10
	s_waitcnt vmcnt(32)
	v_lshlrev_b32_e32 v18, 16, v62
	v_lshl_add_u64 v[6:7], s[12:13], 1, v[2:3]
	s_cselect_b32 s12, s9, s11
	v_fmac_f32_e32 v110, v19, v18
	s_waitcnt vmcnt(28)
	v_lshlrev_b32_e32 v18, 16, v63
	s_ashr_i32 s13, s12, 31
	s_add_i32 s9, s0, 0xfffffd00
	v_fmac_f32_e32 v110, v20, v18
	v_lshlrev_b32_e32 v18, 16, v66
	s_cmp_lt_i32 s9, s10
	v_fmac_f32_e32 v110, v21, v18
	s_waitcnt vmcnt(27)
	v_lshlrev_b32_e32 v18, 16, v67
	v_lshl_add_u64 v[8:9], s[12:13], 1, v[2:3]
	s_cselect_b32 s12, s9, s11
	s_waitcnt lgkmcnt(0)
	v_fmac_f32_e32 v110, v28, v18
	global_load_ushort v28, v[106:107], off
	s_ashr_i32 s13, s12, 31
	s_add_i32 s9, s0, 0xfffffd80
	s_cmp_lt_i32 s9, s10
	global_load_ushort v61, v[96:97], off
	global_load_ushort v62, v[42:43], off
	global_load_ushort v63, v[108:109], off
	v_lshl_add_u64 v[12:13], s[12:13], 1, v[2:3]
	s_cselect_b32 s12, s9, s11
	v_lshlrev_b32_e32 v18, 16, v124
	s_ashr_i32 s13, s12, 31
	s_add_i32 s9, s0, 0xfffffe00
	v_fmac_f32_e32 v110, v29, v18
	v_lshlrev_b32_e32 v18, 16, v126
	s_cmp_lt_i32 s9, s10
	v_fmac_f32_e32 v110, v30, v18
	global_load_ushort v29, v[4:5], off
	global_load_ushort v30, v[6:7], off
	v_lshl_add_u64 v[10:11], s[12:13], 1, v[2:3]
	s_cselect_b32 s12, s9, s11
	s_ashr_i32 s13, s12, 31
	s_add_i32 s9, s0, 0xfffffe80
	s_cmp_lt_i32 s9, s10
	s_waitcnt vmcnt(32)
	v_lshlrev_b32_e32 v4, 16, v48
	v_lshl_add_u64 v[22:23], s[12:13], 1, v[2:3]
	s_cselect_b32 s12, s9, s11
	v_fmac_f32_e32 v110, v31, v4
	ds_read_b128 v[4:7], v125 offset:96
	s_ashr_i32 s13, s12, 31
	s_add_i32 s9, s0, 0xffffff00
	s_cmp_lt_i32 s9, s10
	s_waitcnt vmcnt(31)
	v_lshlrev_b32_e32 v31, 16, v36
	global_load_ushort v36, v[8:9], off
	global_load_ushort v42, v[12:13], off
	v_lshl_add_u64 v[14:15], s[12:13], 1, v[2:3]
	s_cselect_b32 s12, s9, s11
	s_ashr_i32 s13, s12, 31
	s_add_i32 s9, s0, 0xffffff80
	s_cmp_lt_i32 s9, s10
	ds_read_b128 v[18:21], v125 offset:112
	s_waitcnt lgkmcnt(1)
	v_fmac_f32_e32 v110, v4, v31
	s_waitcnt vmcnt(31)
	v_lshlrev_b32_e32 v4, 16, v37
	global_load_ushort v31, v[10:11], off
	global_load_ushort v37, v[22:23], off
	v_lshl_add_u64 v[24:25], s[12:13], 1, v[2:3]
	s_cselect_b32 s12, s9, s11
	s_ashr_i32 s13, s12, 31
	s_cmp_lt_i32 s0, s10
	global_load_ushort v22, v[14:15], off
	global_load_ushort v23, v[24:25], off
	v_lshl_add_u64 v[16:17], s[12:13], 1, v[2:3]
	s_cselect_b32 s12, s0, s11
	s_ashr_i32 s13, s12, 31
	v_lshl_add_u64 v[26:27], s[12:13], 1, v[2:3]
	global_load_ushort v14, v[16:17], off
	global_load_ushort v15, v[26:27], off
	v_fmac_f32_e32 v110, v5, v4
	s_waitcnt vmcnt(35)
	v_lshlrev_b32_e32 v4, 16, v32
	v_fmac_f32_e32 v110, v6, v4
	v_lshlrev_b32_e32 v4, 16, v38
	v_fmac_f32_e32 v110, v7, v4
	s_waitcnt vmcnt(34)
	v_lshlrev_b32_e32 v4, 16, v33
	s_waitcnt lgkmcnt(0)
	v_fmac_f32_e32 v110, v18, v4
	s_waitcnt vmcnt(33)
	v_lshlrev_b32_e32 v4, 16, v34
	v_fmac_f32_e32 v110, v19, v4
	s_waitcnt vmcnt(32)
	v_lshlrev_b32_e32 v4, 16, v35
	v_fmac_f32_e32 v110, v20, v4
	ds_read_b128 v[4:7], v125 offset:128
	s_waitcnt vmcnt(31)
	v_lshlrev_b32_e32 v8, 16, v39
	v_fmac_f32_e32 v110, v21, v8
	ds_read_b128 v[8:11], v125 offset:144
	s_waitcnt vmcnt(27)
	v_lshlrev_b32_e32 v12, 16, v40
	s_waitcnt lgkmcnt(1)
	v_fmac_f32_e32 v110, v4, v12
	s_waitcnt vmcnt(26)
	v_lshlrev_b32_e32 v4, 16, v41
	v_fmac_f32_e32 v110, v5, v4
	v_lshlrev_b32_e32 v4, 16, v44
	v_fmac_f32_e32 v110, v6, v4
	s_waitcnt vmcnt(25)
	v_lshlrev_b32_e32 v4, 16, v45
	v_fmac_f32_e32 v110, v7, v4
	v_lshlrev_b32_e32 v4, 16, v46
	s_waitcnt lgkmcnt(0)
	v_fmac_f32_e32 v110, v8, v4
	s_waitcnt vmcnt(24)
	v_lshlrev_b32_e32 v4, 16, v47
	v_fmac_f32_e32 v110, v9, v4
	v_lshlrev_b32_e32 v4, 16, v49
	v_fmac_f32_e32 v110, v10, v4
	ds_read_b128 v[4:7], v125 offset:160
	s_waitcnt vmcnt(23)
	v_lshlrev_b32_e32 v8, 16, v50
	v_fmac_f32_e32 v110, v11, v8
	ds_read_b128 v[8:11], v125 offset:176
	s_waitcnt vmcnt(22)
	v_lshlrev_b32_e32 v12, 16, v51
	s_waitcnt lgkmcnt(1)
	v_fmac_f32_e32 v110, v4, v12
	s_waitcnt vmcnt(21)
	v_lshlrev_b32_e32 v4, 16, v52
	v_fmac_f32_e32 v110, v5, v4
	v_lshlrev_b32_e32 v4, 16, v54
	v_fmac_f32_e32 v110, v6, v4
	s_waitcnt vmcnt(20)
	v_lshlrev_b32_e32 v4, 16, v55
	v_fmac_f32_e32 v110, v7, v4
	s_waitcnt vmcnt(19)
	v_lshlrev_b32_e32 v4, 16, v53
	s_waitcnt lgkmcnt(0)
	v_fmac_f32_e32 v110, v8, v4
	s_waitcnt vmcnt(18)
	v_lshlrev_b32_e32 v4, 16, v56
	v_fmac_f32_e32 v110, v9, v4
	s_waitcnt vmcnt(17)
	v_lshlrev_b32_e32 v4, 16, v57
	v_fmac_f32_e32 v110, v10, v4
	ds_read_b128 v[4:7], v125 offset:192
	s_waitcnt vmcnt(16)
	v_lshlrev_b32_e32 v8, 16, v58
	v_fmac_f32_e32 v110, v11, v8
	ds_read_b128 v[8:11], v125 offset:208
	s_waitcnt vmcnt(15)
	v_lshlrev_b32_e32 v12, 16, v59
	s_waitcnt lgkmcnt(1)
	v_fmac_f32_e32 v110, v4, v12
	s_waitcnt vmcnt(14)
	v_lshlrev_b32_e32 v4, 16, v60
	v_fmac_f32_e32 v110, v5, v4
	s_waitcnt vmcnt(13)
	v_lshlrev_b32_e32 v4, 16, v28
	;; [unrolled: 3-line block ×4, first 2 shown]
	v_lshlrev_b32_e32 v4, 16, v62
	s_waitcnt lgkmcnt(0)
	v_pk_mul_f32 v[4:5], v[8:9], v[4:5]
	s_waitcnt vmcnt(6)
	v_lshlrev_b32_e32 v13, 16, v42
	v_add_f32_e32 v4, v110, v4
	v_add_f32_e32 v6, v4, v5
	v_lshlrev_b32_e32 v5, 16, v30
	v_lshlrev_b32_e32 v4, 16, v29
	v_pk_mul_f32 v[8:9], v[10:11], v[4:5]
	v_lshlrev_b32_e32 v12, 16, v36
	v_add_f32_e32 v8, v6, v8
	ds_read_b128 v[4:7], v125 offset:224
	v_add_f32_e32 v16, v8, v9
	ds_read_b128 v[8:11], v125 offset:240
	s_waitcnt lgkmcnt(1)
	v_pk_mul_f32 v[4:5], v[4:5], v[12:13]
	s_nop 0
	v_add_f32_e32 v4, v16, v4
	v_add_f32_e32 v12, v4, v5
	s_waitcnt vmcnt(4)
	v_lshlrev_b32_e32 v5, 16, v37
	v_lshlrev_b32_e32 v4, 16, v31
	v_pk_mul_f32 v[4:5], v[6:7], v[4:5]
	s_nop 0
	v_add_f32_e32 v4, v12, v4
	v_add_f32_e32 v6, v4, v5
	s_waitcnt vmcnt(2)
	v_lshlrev_b32_e32 v5, 16, v23
	v_lshlrev_b32_e32 v4, 16, v22
	s_waitcnt lgkmcnt(0)
	v_pk_mul_f32 v[4:5], v[8:9], v[4:5]
	s_nop 0
	v_add_f32_e32 v4, v6, v4
	v_add_f32_e32 v6, v4, v5
	s_waitcnt vmcnt(1)
	v_lshlrev_b32_e32 v4, 16, v14
	s_waitcnt vmcnt(0)
	v_lshlrev_b32_e32 v5, 16, v15
	v_pk_mul_f32 v[4:5], v[10:11], v[4:5]
	s_nop 0
	v_add_f32_e32 v4, v6, v4
	v_add_f32_e32 v110, v4, v5
	s_branch .LBB606_16
.LBB606_19:
	v_mov_b32_e32 v2, 0
	ds_read_b32 v2, v2 offset:2816
	s_cmp_lg_u64 s[6:7], 0
	s_cbranch_scc0 .LBB606_24
; %bb.20:
	s_load_dword s6, s[6:7], 0x0
	s_waitcnt lgkmcnt(0)
	v_div_scale_f32 v3, s[0:1], s6, s6, 1.0
	v_rcp_f32_e32 v4, v3
	v_div_scale_f32 v5, vcc, 1.0, s6, 1.0
	v_fma_f32 v6, -v3, v4, 1.0
	v_fmac_f32_e32 v4, v6, v4
	v_mul_f32_e32 v6, v5, v4
	v_fma_f32 v7, -v3, v6, v5
	v_fmac_f32_e32 v6, v7, v4
	v_fma_f32 v3, -v3, v6, v5
	v_div_fmas_f32 v3, v3, v4, v6
	v_div_fixup_f32 v3, v3, s6, 1.0
	s_andn2_b64 vcc, exec, s[40:41]
	s_cbranch_vccnz .LBB606_22
.LBB606_21:
	s_add_u32 s0, s34, s42
	s_addc_u32 s1, s35, s43
	s_load_dword s26, s[0:1], 0x0
	s_mov_b32 s27, 0
.LBB606_22:
	s_waitcnt lgkmcnt(0)
	v_add_f32_e32 v2, 0x358637bd, v2
	v_div_scale_f32 v4, s[0:1], v2, v2, 1.0
	v_rcp_f32_e32 v5, v4
	v_div_scale_f32 v6, vcc, 1.0, v2, 1.0
	s_mul_i32 s0, s3, s27
	v_fma_f32 v7, -v4, v5, 1.0
	v_fmac_f32_e32 v5, v7, v5
	v_mul_f32_e32 v7, v6, v5
	v_fma_f32 v8, -v4, v7, v6
	v_fmac_f32_e32 v7, v8, v5
	v_fma_f32 v4, -v4, v7, v6
	s_mul_hi_u32 s1, s3, s26
	v_div_fmas_f32 v4, v4, v5, v7
	s_add_i32 s1, s1, s0
	s_mul_i32 s0, s3, s26
	v_div_fixup_f32 v2, v4, v2, 1.0
	s_lshl_b64 s[0:1], s[0:1], 7
	v_mul_f32_e32 v2, v110, v2
	s_add_u32 s4, s4, s0
	s_mov_b32 s3, 0
	v_mul_f32_e32 v2, v2, v3
	s_addc_u32 s5, s5, s1
	s_lshl_b64 s[0:1], s[2:3], 7
	s_mov_b32 s2, 0x7f800000
	s_mov_b32 s3, 0x43700000
	v_mov_b32_e32 v3, 0xc3700000
	v_med3_f32 v3, v2, s3, v3
	v_cmp_nlg_f32_e64 vcc, |v2|, s2
	s_add_u32 s0, s4, s0
	s_addc_u32 s1, s5, s1
	v_cndmask_b32_e32 v2, v3, v2, vcc
	v_mov_b32_e32 v3, 0
	v_cvt_pk_fp8_f32 v3, v2, v2
	v_lshl_add_u64 v[0:1], s[0:1], 0, v[0:1]
	global_store_byte v[0:1], v3, off
	s_endpgm
.LBB606_23:
	s_mov_b64 s[6:7], 0
	s_branch .LBB606_2
.LBB606_24:
	v_mov_b32_e32 v3, 1.0
	s_andn2_b64 vcc, exec, s[40:41]
	s_cbranch_vccz .LBB606_21
	s_branch .LBB606_22
	.section	.rodata,"a",@progbits
	.p2align	6, 0x0
	.amdhsa_kernel _Z35paged_attention_ll4mi_reduce_kernelI14__hip_bfloat16hLi128ELi128ELi256ELi11EEvPT0_PKfS4_PKT_PKiS9_iS4_
		.amdhsa_group_segment_fixed_size 2820
		.amdhsa_private_segment_fixed_size 0
		.amdhsa_kernarg_size 320
		.amdhsa_user_sgpr_count 2
		.amdhsa_user_sgpr_dispatch_ptr 0
		.amdhsa_user_sgpr_queue_ptr 0
		.amdhsa_user_sgpr_kernarg_segment_ptr 1
		.amdhsa_user_sgpr_dispatch_id 0
		.amdhsa_user_sgpr_kernarg_preload_length 0
		.amdhsa_user_sgpr_kernarg_preload_offset 0
		.amdhsa_user_sgpr_private_segment_size 0
		.amdhsa_uses_dynamic_stack 0
		.amdhsa_enable_private_segment 0
		.amdhsa_system_sgpr_workgroup_id_x 1
		.amdhsa_system_sgpr_workgroup_id_y 1
		.amdhsa_system_sgpr_workgroup_id_z 0
		.amdhsa_system_sgpr_workgroup_info 0
		.amdhsa_system_vgpr_workitem_id 0
		.amdhsa_next_free_vgpr 127
		.amdhsa_next_free_sgpr 51
		.amdhsa_accum_offset 128
		.amdhsa_reserve_vcc 1
		.amdhsa_float_round_mode_32 0
		.amdhsa_float_round_mode_16_64 0
		.amdhsa_float_denorm_mode_32 3
		.amdhsa_float_denorm_mode_16_64 3
		.amdhsa_dx10_clamp 1
		.amdhsa_ieee_mode 1
		.amdhsa_fp16_overflow 0
		.amdhsa_tg_split 0
		.amdhsa_exception_fp_ieee_invalid_op 0
		.amdhsa_exception_fp_denorm_src 0
		.amdhsa_exception_fp_ieee_div_zero 0
		.amdhsa_exception_fp_ieee_overflow 0
		.amdhsa_exception_fp_ieee_underflow 0
		.amdhsa_exception_fp_ieee_inexact 0
		.amdhsa_exception_int_div_zero 0
	.end_amdhsa_kernel
	.section	.text._Z35paged_attention_ll4mi_reduce_kernelI14__hip_bfloat16hLi128ELi128ELi256ELi11EEvPT0_PKfS4_PKT_PKiS9_iS4_,"axG",@progbits,_Z35paged_attention_ll4mi_reduce_kernelI14__hip_bfloat16hLi128ELi128ELi256ELi11EEvPT0_PKfS4_PKT_PKiS9_iS4_,comdat
.Lfunc_end606:
	.size	_Z35paged_attention_ll4mi_reduce_kernelI14__hip_bfloat16hLi128ELi128ELi256ELi11EEvPT0_PKfS4_PKT_PKiS9_iS4_, .Lfunc_end606-_Z35paged_attention_ll4mi_reduce_kernelI14__hip_bfloat16hLi128ELi128ELi256ELi11EEvPT0_PKfS4_PKT_PKiS9_iS4_
                                        ; -- End function
	.section	.AMDGPU.csdata,"",@progbits
; Kernel info:
; codeLenInByte = 9996
; NumSgprs: 57
; NumVgprs: 127
; NumAgprs: 0
; TotalNumVgprs: 127
; ScratchSize: 0
; MemoryBound: 0
; FloatMode: 240
; IeeeMode: 1
; LDSByteSize: 2820 bytes/workgroup (compile time only)
; SGPRBlocks: 7
; VGPRBlocks: 15
; NumSGPRsForWavesPerEU: 57
; NumVGPRsForWavesPerEU: 127
; AccumOffset: 128
; Occupancy: 4
; WaveLimiterHint : 1
; COMPUTE_PGM_RSRC2:SCRATCH_EN: 0
; COMPUTE_PGM_RSRC2:USER_SGPR: 2
; COMPUTE_PGM_RSRC2:TRAP_HANDLER: 0
; COMPUTE_PGM_RSRC2:TGID_X_EN: 1
; COMPUTE_PGM_RSRC2:TGID_Y_EN: 1
; COMPUTE_PGM_RSRC2:TGID_Z_EN: 0
; COMPUTE_PGM_RSRC2:TIDIG_COMP_CNT: 0
; COMPUTE_PGM_RSRC3_GFX90A:ACCUM_OFFSET: 31
; COMPUTE_PGM_RSRC3_GFX90A:TG_SPLIT: 0
	.section	.text._Z35paged_attention_ll4mi_reduce_kernelI14__hip_bfloat16hLi128ELi128ELi256ELi12EEvPT0_PKfS4_PKT_PKiS9_iS4_,"axG",@progbits,_Z35paged_attention_ll4mi_reduce_kernelI14__hip_bfloat16hLi128ELi128ELi256ELi12EEvPT0_PKfS4_PKT_PKiS9_iS4_,comdat
	.protected	_Z35paged_attention_ll4mi_reduce_kernelI14__hip_bfloat16hLi128ELi128ELi256ELi12EEvPT0_PKfS4_PKT_PKiS9_iS4_ ; -- Begin function _Z35paged_attention_ll4mi_reduce_kernelI14__hip_bfloat16hLi128ELi128ELi256ELi12EEvPT0_PKfS4_PKT_PKiS9_iS4_
	.globl	_Z35paged_attention_ll4mi_reduce_kernelI14__hip_bfloat16hLi128ELi128ELi256ELi12EEvPT0_PKfS4_PKT_PKiS9_iS4_
	.p2align	8
	.type	_Z35paged_attention_ll4mi_reduce_kernelI14__hip_bfloat16hLi128ELi128ELi256ELi12EEvPT0_PKfS4_PKT_PKiS9_iS4_,@function
_Z35paged_attention_ll4mi_reduce_kernelI14__hip_bfloat16hLi128ELi128ELi256ELi12EEvPT0_PKfS4_PKT_PKiS9_iS4_: ; @_Z35paged_attention_ll4mi_reduce_kernelI14__hip_bfloat16hLi128ELi128ELi256ELi12EEvPT0_PKfS4_PKT_PKiS9_iS4_
; %bb.0:
	s_load_dwordx2 s[40:41], s[0:1], 0x28
	s_mov_b32 s34, s3
	s_mov_b64 s[4:5], 0
	s_waitcnt lgkmcnt(0)
	s_cmp_lg_u64 s[40:41], 0
	s_cselect_b64 s[42:43], -1, 0
	s_and_b64 vcc, exec, s[42:43]
	s_cbranch_vccz .LBB607_23
; %bb.1:
	s_add_i32 s6, s34, 1
	s_mov_b32 s7, 0
	s_lshl_b64 s[8:9], s[6:7], 2
	s_add_u32 s8, s40, s8
	s_mov_b32 s35, s7
	s_addc_u32 s9, s41, s9
	s_lshl_b64 s[6:7], s[34:35], 2
	s_add_u32 s6, s40, s6
	s_addc_u32 s7, s41, s7
	s_load_dword s3, s[8:9], 0x0
	s_load_dword s10, s[6:7], 0x0
	s_waitcnt lgkmcnt(0)
	s_sub_i32 s3, s3, s10
	s_cmp_eq_u32 s3, 1
	s_cselect_b64 s[6:7], -1, 0
	s_andn2_b64 vcc, exec, s[4:5]
	s_cbranch_vccnz .LBB607_3
.LBB607_2:
	s_mov_b32 s35, 0
	s_mov_b64 s[6:7], -1
.LBB607_3:
	s_andn2_b64 vcc, exec, s[6:7]
	s_cbranch_vccz .LBB607_5
; %bb.4:
	s_endpgm
.LBB607_5:
	s_load_dwordx4 s[28:31], s[0:1], 0x18
	s_load_dword s8, s[0:1], 0x30
	s_lshl_b64 s[44:45], s[34:35], 2
	v_cmp_lt_u32_e32 vcc, 63, v0
	s_waitcnt lgkmcnt(0)
	s_add_u32 s4, s30, s44
	s_addc_u32 s5, s31, s45
	s_load_dword s52, s[4:5], 0x0
	s_load_dword s3, s[0:1], 0x40
	s_mul_i32 s30, s2, s8
	s_mul_i32 s6, s34, s8
	s_waitcnt lgkmcnt(0)
	s_add_i32 s7, s52, 0xff
	s_ashr_i32 s4, s7, 31
	s_lshr_b32 s4, s4, 24
	s_add_i32 s7, s7, s4
	s_and_saveexec_b64 s[4:5], vcc
	s_xor_b64 s[4:5], exec, s[4:5]
	s_or_saveexec_b64 s[46:47], s[4:5]
	s_ashr_i32 s33, s7, 8
	v_mov_b32_e32 v1, s30
	s_mul_i32 s48, s6, s3
	s_xor_b64 exec, exec, s[46:47]
	s_cbranch_execz .LBB607_9
; %bb.6:
	s_add_i32 s4, s33, -1
	v_or_b32_e32 v3, 64, v0
	v_mov_b32_e32 v1, s4
	v_cmp_gt_u32_e64 s[22:23], s33, v3
	s_load_dwordx4 s[36:39], s[0:1], 0x8
	s_mov_b32 s49, 0
	v_cndmask_b32_e64 v4, v1, v3, s[22:23]
	v_or_b32_e32 v3, 0x80, v0
	v_cmp_gt_u32_e64 s[20:21], s33, v3
	s_lshl_b64 s[50:51], s[48:49], 2
	s_mov_b32 s31, s49
	v_cndmask_b32_e64 v6, v1, v3, s[20:21]
	v_or_b32_e32 v3, 0xc0, v0
	v_cmp_gt_u32_e64 s[18:19], s33, v3
	v_cmp_gt_u32_e64 s[24:25], s33, v0
	s_waitcnt lgkmcnt(0)
	s_add_u32 s26, s38, s50
	v_cndmask_b32_e64 v8, v1, v3, s[18:19]
	v_or_b32_e32 v3, 0x100, v0
	v_cmp_gt_u32_e64 s[16:17], s33, v3
	v_cndmask_b32_e64 v2, v1, v0, s[24:25]
	s_addc_u32 s27, s39, s51
	v_cndmask_b32_e64 v10, v1, v3, s[16:17]
	v_or_b32_e32 v3, 0x140, v0
	v_cmp_gt_u32_e64 s[14:15], s33, v3
	s_lshl_b64 s[38:39], s[30:31], 2
	s_add_u32 s26, s26, s38
	v_cndmask_b32_e64 v12, v1, v3, s[14:15]
	v_or_b32_e32 v3, 0x180, v0
	v_cmp_gt_u32_e64 s[12:13], s33, v3
	v_ashrrev_i32_e32 v11, 31, v10
	v_ashrrev_i32_e32 v13, 31, v12
	v_cndmask_b32_e64 v14, v1, v3, s[12:13]
	v_or_b32_e32 v3, 0x1c0, v0
	v_cmp_gt_u32_e64 s[10:11], s33, v3
	s_addc_u32 s27, s27, s39
	v_ashrrev_i32_e32 v5, 31, v4
	v_cndmask_b32_e64 v16, v1, v3, s[10:11]
	v_or_b32_e32 v3, 0x200, v0
	v_cmp_gt_u32_e64 s[8:9], s33, v3
	v_ashrrev_i32_e32 v7, 31, v6
	v_ashrrev_i32_e32 v9, 31, v8
	v_cndmask_b32_e64 v18, v1, v3, s[8:9]
	v_or_b32_e32 v3, 0x240, v0
	v_cmp_gt_u32_e64 s[6:7], s33, v3
	v_lshlrev_b64 v[10:11], 2, v[10:11]
	v_lshlrev_b64 v[12:13], 2, v[12:13]
	v_cndmask_b32_e64 v20, v1, v3, s[6:7]
	v_or_b32_e32 v3, 0x280, v0
	v_cmp_gt_u32_e64 s[4:5], s33, v3
	v_ashrrev_i32_e32 v15, 31, v14
	v_ashrrev_i32_e32 v17, 31, v16
	v_cndmask_b32_e64 v22, v1, v3, s[4:5]
	v_or_b32_e32 v3, 0x2c0, v0
	v_cmp_gt_u32_e32 vcc, s33, v3
	v_lshlrev_b64 v[4:5], 2, v[4:5]
	v_lshlrev_b64 v[6:7], 2, v[6:7]
	v_cndmask_b32_e32 v24, v1, v3, vcc
	v_ashrrev_i32_e32 v3, 31, v2
	v_lshlrev_b64 v[2:3], 2, v[2:3]
	v_lshl_add_u64 v[26:27], s[26:27], 0, v[2:3]
	v_lshlrev_b64 v[8:9], 2, v[8:9]
	v_lshl_add_u64 v[34:35], s[26:27], 0, v[10:11]
	v_lshl_add_u64 v[36:37], s[26:27], 0, v[12:13]
	v_lshlrev_b64 v[14:15], 2, v[14:15]
	v_lshlrev_b64 v[16:17], 2, v[16:17]
	v_ashrrev_i32_e32 v19, 31, v18
	v_ashrrev_i32_e32 v21, 31, v20
	v_lshl_add_u64 v[28:29], s[26:27], 0, v[4:5]
	v_lshl_add_u64 v[30:31], s[26:27], 0, v[6:7]
	;; [unrolled: 1-line block ×5, first 2 shown]
	global_load_dword v1, v[26:27], off
	global_load_dword v42, v[28:29], off
	;; [unrolled: 1-line block ×4, first 2 shown]
	s_nop 0
	global_load_dword v34, v[34:35], off
	s_nop 0
	global_load_dword v35, v[36:37], off
	;; [unrolled: 2-line block ×3, first 2 shown]
	global_load_dword v37, v[40:41], off
	v_lshlrev_b64 v[18:19], 2, v[18:19]
	v_lshlrev_b64 v[20:21], 2, v[20:21]
	v_ashrrev_i32_e32 v23, 31, v22
	v_ashrrev_i32_e32 v25, 31, v24
	v_lshl_add_u64 v[26:27], s[26:27], 0, v[18:19]
	v_lshl_add_u64 v[28:29], s[26:27], 0, v[20:21]
	v_lshlrev_b64 v[22:23], 2, v[22:23]
	v_lshlrev_b64 v[24:25], 2, v[24:25]
	v_lshl_add_u64 v[30:31], s[26:27], 0, v[22:23]
	v_lshl_add_u64 v[32:33], s[26:27], 0, v[24:25]
	global_load_dword v26, v[26:27], off
	s_nop 0
	global_load_dword v27, v[28:29], off
	s_nop 0
	global_load_dword v28, v[30:31], off
	global_load_dword v29, v[32:33], off
	s_mov_b32 s31, 0x3fb8aa3b
	s_waitcnt vmcnt(11)
	v_max_f32_e32 v31, v1, v1
	s_waitcnt vmcnt(10)
	v_max_f32_e32 v30, v42, v42
	v_max_f32_e32 v30, v31, v30
	v_mbcnt_lo_u32_b32 v31, -1, 0
	v_mbcnt_hi_u32_b32 v31, -1, v31
	s_waitcnt vmcnt(8)
	v_max3_f32 v30, v30, v43, v44
	v_and_b32_e32 v32, 64, v31
	s_waitcnt vmcnt(6)
	v_max3_f32 v30, v30, v34, v35
	v_add_u32_e32 v32, 64, v32
	v_xor_b32_e32 v33, 32, v31
	s_waitcnt vmcnt(4)
	v_max3_f32 v30, v30, v36, v37
	v_cmp_lt_i32_e64 s[26:27], v33, v32
	s_waitcnt vmcnt(2)
	v_max3_f32 v30, v30, v26, v27
	v_cndmask_b32_e64 v33, v31, v33, s[26:27]
	s_waitcnt vmcnt(0)
	v_max3_f32 v30, v30, v28, v29
	v_lshlrev_b32_e32 v33, 2, v33
	ds_bpermute_b32 v38, v33, v30
	s_waitcnt lgkmcnt(0)
	v_max_f32_e32 v38, v38, v38
	v_max_f32_e32 v30, v30, v38
	v_xor_b32_e32 v38, 16, v31
	v_cmp_lt_i32_e64 s[26:27], v38, v32
	s_nop 1
	v_cndmask_b32_e64 v38, v31, v38, s[26:27]
	v_lshlrev_b32_e32 v38, 2, v38
	ds_bpermute_b32 v39, v38, v30
	s_waitcnt lgkmcnt(0)
	v_max_f32_e32 v39, v39, v39
	v_max_f32_e32 v30, v30, v39
	v_xor_b32_e32 v39, 8, v31
	v_cmp_lt_i32_e64 s[26:27], v39, v32
	s_nop 1
	v_cndmask_b32_e64 v39, v31, v39, s[26:27]
	v_lshlrev_b32_e32 v39, 2, v39
	ds_bpermute_b32 v40, v39, v30
	s_add_u32 s26, s36, s50
	s_addc_u32 s27, s37, s51
	s_add_u32 s36, s26, s38
	s_addc_u32 s37, s27, s39
	s_waitcnt lgkmcnt(0)
	v_max_f32_e32 v40, v40, v40
	v_lshl_add_u64 v[2:3], s[36:37], 0, v[2:3]
	v_max_f32_e32 v30, v30, v40
	global_load_dword v40, v[2:3], off
	v_xor_b32_e32 v2, 4, v31
	v_cmp_lt_i32_e64 s[26:27], v2, v32
	s_nop 1
	v_cndmask_b32_e64 v2, v31, v2, s[26:27]
	v_lshlrev_b32_e32 v41, 2, v2
	ds_bpermute_b32 v2, v41, v30
	s_waitcnt lgkmcnt(0)
	v_max_f32_e32 v2, v2, v2
	v_max_f32_e32 v30, v30, v2
	v_xor_b32_e32 v2, 2, v31
	v_cmp_lt_i32_e64 s[26:27], v2, v32
	s_nop 1
	v_cndmask_b32_e64 v45, v31, v2, s[26:27]
	v_lshl_add_u64 v[2:3], s[36:37], 0, v[4:5]
	v_lshlrev_b32_e32 v45, 2, v45
	global_load_dword v46, v[2:3], off
	ds_bpermute_b32 v2, v45, v30
	v_lshl_add_u64 v[4:5], s[36:37], 0, v[8:9]
	v_lshl_add_u64 v[8:9], s[36:37], 0, v[14:15]
	s_waitcnt lgkmcnt(0)
	v_max_f32_e32 v2, v2, v2
	v_max_f32_e32 v30, v30, v2
	v_xor_b32_e32 v2, 1, v31
	v_cmp_lt_i32_e64 s[26:27], v2, v32
	s_nop 1
	v_cndmask_b32_e64 v2, v31, v2, s[26:27]
	v_lshlrev_b32_e32 v31, 2, v2
	v_lshl_add_u64 v[2:3], s[36:37], 0, v[6:7]
	global_load_dword v47, v[2:3], off
	v_lshl_add_u64 v[2:3], s[36:37], 0, v[10:11]
	v_lshl_add_u64 v[6:7], s[36:37], 0, v[12:13]
	;; [unrolled: 1-line block ×3, first 2 shown]
	global_load_dword v12, v[4:5], off
	global_load_dword v13, v[2:3], off
	;; [unrolled: 1-line block ×5, first 2 shown]
	ds_bpermute_b32 v32, v31, v30
	v_lshl_add_u64 v[2:3], s[36:37], 0, v[18:19]
	v_lshl_add_u64 v[4:5], s[36:37], 0, v[20:21]
	;; [unrolled: 1-line block ×4, first 2 shown]
	s_waitcnt lgkmcnt(0)
	v_max_f32_e32 v10, v32, v32
	v_max_f32_e32 v10, v30, v10
	v_sub_f32_e32 v1, v1, v10
	v_mul_f32_e32 v11, 0x3fb8aa3b, v1
	v_fma_f32 v17, v1, s31, -v11
	v_rndne_f32_e32 v18, v11
	v_fmac_f32_e32 v17, 0x32a5705f, v1
	v_sub_f32_e32 v11, v11, v18
	v_add_f32_e32 v11, v11, v17
	v_cvt_i32_f32_e32 v17, v18
	global_load_dword v18, v[2:3], off
	global_load_dword v19, v[4:5], off
	;; [unrolled: 1-line block ×4, first 2 shown]
	v_sub_f32_e32 v4, v42, v10
	v_mul_f32_e32 v5, 0x3fb8aa3b, v4
	v_fma_f32 v6, v4, s31, -v5
	v_rndne_f32_e32 v7, v5
	v_exp_f32_e32 v11, v11
	v_fmac_f32_e32 v6, 0x32a5705f, v4
	v_sub_f32_e32 v5, v5, v7
	v_add_f32_e32 v5, v5, v6
	v_exp_f32_e32 v5, v5
	v_cvt_i32_f32_e32 v6, v7
	s_mov_b32 s36, 0xc2ce8ed0
	v_ldexp_f32 v2, v11, v17
	v_cmp_ngt_f32_e64 s[26:27], s36, v1
	s_mov_b32 s37, 0x42b17218
	v_mov_b32_e32 v3, 0x7f800000
	v_cndmask_b32_e64 v2, 0, v2, s[26:27]
	v_cmp_nlt_f32_e64 s[26:27], s37, v1
	s_nop 1
	v_cndmask_b32_e64 v1, v3, v2, s[26:27]
	v_ldexp_f32 v2, v5, v6
	v_sub_f32_e32 v5, v43, v10
	v_mul_f32_e32 v6, 0x3fb8aa3b, v5
	v_fma_f32 v7, v5, s31, -v6
	v_rndne_f32_e32 v8, v6
	v_fmac_f32_e32 v7, 0x32a5705f, v5
	v_sub_f32_e32 v6, v6, v8
	v_add_f32_e32 v6, v6, v7
	v_exp_f32_e32 v6, v6
	v_cvt_i32_f32_e32 v7, v8
	v_cndmask_b32_e64 v1, 0, v1, s[24:25]
	v_cmp_ngt_f32_e64 s[24:25], s36, v4
	s_waitcnt vmcnt(11)
	v_mul_f32_e32 v1, v40, v1
	v_cndmask_b32_e64 v2, 0, v2, s[24:25]
	v_cmp_nlt_f32_e64 s[24:25], s37, v4
	v_ldexp_f32 v4, v6, v7
	v_sub_f32_e32 v6, v44, v10
	v_mul_f32_e32 v7, 0x3fb8aa3b, v6
	v_fma_f32 v8, v6, s31, -v7
	v_rndne_f32_e32 v9, v7
	v_fmac_f32_e32 v8, 0x32a5705f, v6
	v_sub_f32_e32 v7, v7, v9
	v_add_f32_e32 v7, v7, v8
	v_exp_f32_e32 v7, v7
	v_cvt_i32_f32_e32 v8, v9
	v_cndmask_b32_e64 v2, v3, v2, s[24:25]
	v_cndmask_b32_e64 v2, 0, v2, s[22:23]
	v_cmp_ngt_f32_e64 s[22:23], s36, v5
	s_waitcnt vmcnt(10)
	v_mul_f32_e32 v2, v46, v2
	v_cndmask_b32_e64 v4, 0, v4, s[22:23]
	v_cmp_nlt_f32_e64 s[22:23], s37, v5
	v_ldexp_f32 v5, v7, v8
	v_sub_f32_e32 v7, v34, v10
	v_mul_f32_e32 v8, 0x3fb8aa3b, v7
	v_fma_f32 v9, v7, s31, -v8
	v_rndne_f32_e32 v11, v8
	v_fmac_f32_e32 v9, 0x32a5705f, v7
	v_sub_f32_e32 v8, v8, v11
	v_add_f32_e32 v8, v8, v9
	v_exp_f32_e32 v8, v8
	v_cvt_i32_f32_e32 v9, v11
	v_cndmask_b32_e64 v4, v3, v4, s[22:23]
	v_cndmask_b32_e64 v4, 0, v4, s[20:21]
	v_cmp_ngt_f32_e64 s[20:21], s36, v6
	s_waitcnt vmcnt(9)
	v_mul_f32_e32 v4, v47, v4
	v_cndmask_b32_e64 v5, 0, v5, s[20:21]
	v_cmp_nlt_f32_e64 s[20:21], s37, v6
	v_ldexp_f32 v6, v8, v9
	v_sub_f32_e32 v8, v35, v10
	v_cndmask_b32_e64 v5, v3, v5, s[20:21]
	v_cndmask_b32_e64 v5, 0, v5, s[18:19]
	v_mul_f32_e32 v9, 0x3fb8aa3b, v8
	s_waitcnt vmcnt(8)
	v_mul_f32_e32 v5, v12, v5
	v_fma_f32 v11, v8, s31, -v9
	v_rndne_f32_e32 v12, v9
	v_fmac_f32_e32 v11, 0x32a5705f, v8
	v_sub_f32_e32 v9, v9, v12
	v_add_f32_e32 v9, v9, v11
	v_exp_f32_e32 v9, v9
	v_cvt_i32_f32_e32 v11, v12
	v_cmp_ngt_f32_e64 s[18:19], s36, v7
	s_nop 1
	v_cndmask_b32_e64 v6, 0, v6, s[18:19]
	v_cmp_nlt_f32_e64 s[18:19], s37, v7
	v_ldexp_f32 v7, v9, v11
	v_sub_f32_e32 v9, v36, v10
	v_cndmask_b32_e64 v6, v3, v6, s[18:19]
	v_cndmask_b32_e64 v6, 0, v6, s[16:17]
	v_mul_f32_e32 v11, 0x3fb8aa3b, v9
	s_waitcnt vmcnt(7)
	v_mul_f32_e32 v6, v13, v6
	v_fma_f32 v12, v9, s31, -v11
	v_rndne_f32_e32 v13, v11
	v_fmac_f32_e32 v12, 0x32a5705f, v9
	v_sub_f32_e32 v11, v11, v13
	v_add_f32_e32 v11, v11, v12
	v_exp_f32_e32 v11, v11
	v_cvt_i32_f32_e32 v12, v13
	v_cmp_ngt_f32_e64 s[16:17], s36, v8
	s_nop 1
	;; [unrolled: 18-line block ×5, first 2 shown]
	v_cndmask_b32_e64 v11, 0, v11, s[10:11]
	v_cmp_nlt_f32_e64 s[10:11], s37, v12
	v_ldexp_f32 v12, v14, v15
	v_sub_f32_e32 v14, v28, v10
	v_mul_f32_e32 v15, 0x3fb8aa3b, v14
	v_fma_f32 v16, v14, s31, -v15
	v_rndne_f32_e32 v17, v15
	v_fmac_f32_e32 v16, 0x32a5705f, v14
	v_sub_f32_e32 v15, v15, v17
	v_add_f32_e32 v15, v15, v16
	v_exp_f32_e32 v15, v15
	v_cvt_i32_f32_e32 v16, v17
	v_cndmask_b32_e64 v11, v3, v11, s[10:11]
	v_cndmask_b32_e64 v11, 0, v11, s[8:9]
	v_cmp_ngt_f32_e64 s[8:9], s36, v13
	v_sub_f32_e32 v10, v29, v10
	s_waitcnt vmcnt(3)
	v_mul_f32_e32 v11, v18, v11
	v_cndmask_b32_e64 v12, 0, v12, s[8:9]
	v_cmp_nlt_f32_e64 s[8:9], s37, v13
	v_ldexp_f32 v13, v15, v16
	v_mul_f32_e32 v15, 0x3fb8aa3b, v10
	v_fma_f32 v16, v10, s31, -v15
	v_rndne_f32_e32 v17, v15
	v_fmac_f32_e32 v16, 0x32a5705f, v10
	v_sub_f32_e32 v15, v15, v17
	v_add_f32_e32 v15, v15, v16
	v_cndmask_b32_e64 v12, v3, v12, s[8:9]
	v_exp_f32_e32 v15, v15
	v_cvt_i32_f32_e32 v16, v17
	v_cndmask_b32_e64 v12, 0, v12, s[6:7]
	v_cmp_ngt_f32_e64 s[6:7], s36, v14
	s_waitcnt vmcnt(2)
	v_mul_f32_e32 v12, v19, v12
	v_cndmask_b32_e64 v13, 0, v13, s[6:7]
	v_cmp_nlt_f32_e64 s[6:7], s37, v14
	v_ldexp_f32 v14, v15, v16
	v_lshlrev_b32_e32 v15, 2, v0
	v_cndmask_b32_e64 v13, v3, v13, s[6:7]
	v_cndmask_b32_e64 v13, 0, v13, s[4:5]
	v_cmp_ngt_f32_e64 s[4:5], s36, v10
	s_waitcnt vmcnt(1)
	v_mul_f32_e32 v13, v20, v13
	ds_write2st64_b32 v15, v1, v2 offset1:1
	ds_write2st64_b32 v15, v4, v5 offset0:2 offset1:3
	ds_write2st64_b32 v15, v6, v7 offset0:4 offset1:5
	v_cndmask_b32_e64 v14, 0, v14, s[4:5]
	v_cmp_nlt_f32_e64 s[4:5], s37, v10
	v_add_f32_e32 v10, v1, v2
	v_add_f32_e32 v10, v10, v4
	;; [unrolled: 1-line block ×8, first 2 shown]
	v_cndmask_b32_e64 v3, v3, v14, s[4:5]
	v_add_f32_e32 v10, v10, v12
	v_cndmask_b32_e32 v3, 0, v3, vcc
	v_add_f32_e32 v10, v10, v13
	s_waitcnt vmcnt(0)
	v_fmac_f32_e32 v10, v21, v3
	ds_bpermute_b32 v14, v33, v10
	v_cmp_eq_u32_e32 vcc, 0, v0
	v_mul_f32_e32 v3, v21, v3
	ds_write2st64_b32 v15, v8, v9 offset0:6 offset1:7
	ds_write2st64_b32 v15, v11, v12 offset0:8 offset1:9
	;; [unrolled: 1-line block ×3, first 2 shown]
	s_waitcnt lgkmcnt(3)
	v_add_f32_e32 v10, v10, v14
	ds_bpermute_b32 v14, v38, v10
	s_waitcnt lgkmcnt(0)
	v_add_f32_e32 v10, v10, v14
	ds_bpermute_b32 v14, v39, v10
	;; [unrolled: 3-line block ×5, first 2 shown]
	s_and_saveexec_b64 s[4:5], vcc
	s_cbranch_execz .LBB607_8
; %bb.7:
	s_waitcnt lgkmcnt(0)
	v_add_f32_e32 v1, v1, v2
	v_mov_b32_e32 v2, 0
	ds_write_b32 v2, v1 offset:3072
.LBB607_8:
	s_or_b64 exec, exec, s[4:5]
	v_mov_b32_e32 v1, s30
.LBB607_9:
	s_or_b64 exec, exec, s[46:47]
	s_lshl_b32 s4, s48, 7
	s_mov_b32 s5, 0
	s_lshl_b64 s[4:5], s[4:5], 1
	s_add_u32 s4, s28, s4
	s_addc_u32 s5, s29, s5
	s_lshl_b32 s10, s33, 7
	s_waitcnt lgkmcnt(0)
	v_lshlrev_b32_e32 v2, 7, v1
	v_mov_b32_e32 v1, 0
	s_add_i32 s11, s10, 0xffffff80
	v_mov_b32_e32 v3, v1
	s_cmp_lt_i32 s52, 1
	v_lshl_add_u64 v[2:3], v[2:3], 1, s[4:5]
	s_cselect_b32 s4, s11, 0
	v_lshlrev_b32_e32 v4, 1, v0
	v_mov_b32_e32 v5, v1
	s_ashr_i32 s5, s4, 31
	v_lshl_add_u64 v[2:3], v[2:3], 0, v[4:5]
	s_cmpk_lt_i32 s52, 0x101
	v_lshl_add_u64 v[4:5], s[4:5], 1, v[2:3]
	s_cselect_b32 s4, s11, 0x80
	s_ashr_i32 s5, s4, 31
	s_cmpk_lt_i32 s52, 0x201
	v_lshl_add_u64 v[6:7], s[4:5], 1, v[2:3]
	s_cselect_b32 s4, s11, 0x100
	s_ashr_i32 s5, s4, 31
	;; [unrolled: 4-line block ×8, first 2 shown]
	s_cmpk_lt_i32 s52, 0x901
	global_load_ushort v23, v[4:5], off
	global_load_ushort v22, v[6:7], off
	;; [unrolled: 1-line block ×8, first 2 shown]
	v_lshl_add_u64 v[4:5], s[4:5], 1, v[2:3]
	s_cselect_b32 s4, s11, 0x480
	s_ashr_i32 s5, s4, 31
	s_cmpk_lt_i32 s52, 0xa01
	v_lshl_add_u64 v[6:7], s[4:5], 1, v[2:3]
	s_cselect_b32 s4, s11, 0x500
	s_ashr_i32 s5, s4, 31
	s_cmpk_lt_i32 s52, 0xb01
	v_lshl_add_u64 v[8:9], s[4:5], 1, v[2:3]
	s_cselect_b32 s4, s11, 0x580
	s_ashr_i32 s5, s4, 31
	s_cmpk_lt_i32 s52, 0xc01
	v_lshl_add_u64 v[10:11], s[4:5], 1, v[2:3]
	s_cselect_b32 s4, s11, 0x600
	s_ashr_i32 s5, s4, 31
	s_cmpk_lt_i32 s52, 0xd01
	v_lshl_add_u64 v[12:13], s[4:5], 1, v[2:3]
	s_cselect_b32 s4, s11, 0x680
	s_ashr_i32 s5, s4, 31
	s_cmpk_lt_i32 s52, 0xe01
	v_lshl_add_u64 v[14:15], s[4:5], 1, v[2:3]
	s_cselect_b32 s4, s11, 0x700
	s_ashr_i32 s5, s4, 31
	s_cmpk_lt_i32 s52, 0xf01
	v_lshl_add_u64 v[32:33], s[4:5], 1, v[2:3]
	s_cselect_b32 s4, s11, 0x780
	s_ashr_i32 s5, s4, 31
	v_lshl_add_u64 v[34:35], s[4:5], 1, v[2:3]
	global_load_ushort v30, v[4:5], off
	global_load_ushort v31, v[6:7], off
	;; [unrolled: 1-line block ×8, first 2 shown]
	s_cmpk_gt_i32 s52, 0x1000
	s_cselect_b64 s[8:9], -1, 0
	s_cmpk_lt_i32 s52, 0x1001
	v_mov_b32_e32 v40, 0
	v_mov_b32_e32 v41, 0
	;; [unrolled: 1-line block ×48, first 2 shown]
	s_barrier
	s_cbranch_scc1 .LBB607_12
; %bb.10:
	s_cmpk_lt_u32 s52, 0x1101
	s_cselect_b32 s4, s11, 0x880
	s_ashr_i32 s5, s4, 31
	s_cmpk_lt_u32 s52, 0x1201
	v_lshl_add_u64 v[6:7], s[4:5], 1, v[2:3]
	s_cselect_b32 s4, s11, 0x900
	s_ashr_i32 s5, s4, 31
	s_cmpk_lt_u32 s52, 0x1301
	v_lshl_add_u64 v[8:9], s[4:5], 1, v[2:3]
	;; [unrolled: 4-line block ×7, first 2 shown]
	s_cselect_b32 s4, s11, 0xc00
	v_add_co_u32_e32 v4, vcc, 0x1000, v2
	s_ashr_i32 s5, s4, 31
	s_nop 0
	v_addc_co_u32_e32 v5, vcc, 0, v3, vcc
	s_cmpk_lt_u32 s52, 0x1901
	global_load_ushort v39, v[4:5], off
	global_load_ushort v38, v[6:7], off
	;; [unrolled: 1-line block ×8, first 2 shown]
	v_lshl_add_u64 v[4:5], s[4:5], 1, v[2:3]
	s_cselect_b32 s4, s11, 0xc80
	s_ashr_i32 s5, s4, 31
	s_cmpk_lt_u32 s52, 0x1a01
	v_lshl_add_u64 v[6:7], s[4:5], 1, v[2:3]
	s_cselect_b32 s4, s11, 0xd00
	s_ashr_i32 s5, s4, 31
	s_cmpk_lt_u32 s52, 0x1b01
	;; [unrolled: 4-line block ×6, first 2 shown]
	v_lshl_add_u64 v[48:49], s[4:5], 1, v[2:3]
	s_cselect_b32 s4, s11, 0xf80
	s_ashr_i32 s5, s4, 31
	v_lshl_add_u64 v[50:51], s[4:5], 1, v[2:3]
	global_load_ushort v47, v[4:5], off
	global_load_ushort v46, v[6:7], off
	;; [unrolled: 1-line block ×8, first 2 shown]
	s_cmpk_lt_u32 s52, 0x2001
	v_mov_b32_e32 v67, 0
	v_mov_b32_e32 v65, 0
	v_mov_b32_e32 v66, 0
	v_mov_b32_e32 v63, 0
	v_mov_b32_e32 v64, 0
	v_mov_b32_e32 v61, 0
	v_mov_b32_e32 v62, 0
	v_mov_b32_e32 v59, 0
	v_mov_b32_e32 v60, 0
	v_mov_b32_e32 v57, 0
	v_mov_b32_e32 v58, 0
	v_mov_b32_e32 v55, 0
	v_mov_b32_e32 v56, 0
	v_mov_b32_e32 v53, 0
	v_mov_b32_e32 v54, 0
	v_mov_b32_e32 v52, 0
	v_mov_b32_e32 v51, 0
	v_mov_b32_e32 v49, 0
	v_mov_b32_e32 v50, 0
	v_mov_b32_e32 v48, 0
	v_mov_b32_e32 v15, 0
	v_mov_b32_e32 v14, 0
	v_mov_b32_e32 v13, 0
	v_mov_b32_e32 v12, 0
	v_mov_b32_e32 v11, 0
	v_mov_b32_e32 v10, 0
	v_mov_b32_e32 v9, 0
	v_mov_b32_e32 v8, 0
	v_mov_b32_e32 v7, 0
	v_mov_b32_e32 v6, 0
	v_mov_b32_e32 v5, 0
	v_mov_b32_e32 v4, 0
	s_cbranch_scc1 .LBB607_12
; %bb.11:
	s_cmpk_lt_u32 s52, 0x2101
	s_cselect_b32 s4, s11, 0x1080
	s_ashr_i32 s5, s4, 31
	s_cmpk_lt_u32 s52, 0x2201
	v_lshl_add_u64 v[4:5], s[4:5], 1, v[2:3]
	s_cselect_b32 s4, s11, 0x1100
	s_ashr_i32 s5, s4, 31
	s_cmpk_lt_u32 s52, 0x2301
	v_lshl_add_u64 v[6:7], s[4:5], 1, v[2:3]
	;; [unrolled: 4-line block ×29, first 2 shown]
	s_cselect_b32 s4, s11, 0x1f00
	s_ashr_i32 s5, s4, 31
	v_lshl_add_u64 v[94:95], s[4:5], 1, v[2:3]
	s_movk_i32 s4, 0x2000
	s_cmpk_lt_u32 s52, 0x3f01
	v_add_co_u32_e32 v96, vcc, s4, v2
	s_cselect_b32 s4, s11, 0x1f80
	s_nop 0
	v_addc_co_u32_e32 v97, vcc, 0, v3, vcc
	s_ashr_i32 s5, s4, 31
	global_load_ushort v98, v[96:97], off
	global_load_ushort v99, v[4:5], off
	global_load_ushort v100, v[6:7], off
	global_load_ushort v101, v[8:9], off
	global_load_ushort v102, v[10:11], off
	global_load_ushort v103, v[12:13], off
	global_load_ushort v104, v[14:15], off
	global_load_ushort v105, v[48:49], off
	global_load_ushort v106, v[50:51], off
	global_load_ushort v107, v[52:53], off
	global_load_ushort v108, v[54:55], off
	global_load_ushort v109, v[56:57], off
	global_load_ushort v110, v[58:59], off
	global_load_ushort v111, v[60:61], off
	global_load_ushort v112, v[62:63], off
                                        ; kill: killed $vgpr54_vgpr55
                                        ; kill: killed $vgpr6_vgpr7
                                        ; kill: killed $vgpr60_vgpr61
                                        ; kill: killed $vgpr12_vgpr13
                                        ; kill: killed $vgpr50_vgpr51
                                        ; kill: killed $vgpr56_vgpr57
                                        ; kill: killed $vgpr8_vgpr9
                                        ; kill: killed $vgpr62_vgpr63
                                        ; kill: killed $vgpr14_vgpr15
                                        ; kill: killed $vgpr96 killed $vgpr97
                                        ; kill: killed $vgpr52_vgpr53
                                        ; kill: killed $vgpr4_vgpr5
                                        ; kill: killed $vgpr58_vgpr59
                                        ; kill: killed $vgpr10_vgpr11
                                        ; kill: killed $vgpr48_vgpr49
	global_load_ushort v6, v[64:65], off
	global_load_ushort v7, v[66:67], off
	global_load_ushort v8, v[68:69], off
	global_load_ushort v9, v[70:71], off
	global_load_ushort v10, v[72:73], off
	global_load_ushort v11, v[82:83], off
	global_load_ushort v13, v[80:81], off
	global_load_ushort v12, v[78:79], off
	global_load_ushort v15, v[76:77], off
	global_load_ushort v14, v[74:75], off
	global_load_ushort v96, v[84:85], off
	global_load_ushort v97, v[94:95], off
	global_load_ushort v113, v[92:93], off
	global_load_ushort v114, v[90:91], off
	global_load_ushort v115, v[88:89], off
                                        ; kill: killed $vgpr70_vgpr71
                                        ; kill: killed $vgpr92_vgpr93
                                        ; kill: killed $vgpr76_vgpr77
                                        ; kill: killed $vgpr82_vgpr83
                                        ; kill: killed $vgpr66_vgpr67
                                        ; kill: killed $vgpr88_vgpr89
                                        ; kill: killed $vgpr72_vgpr73
                                        ; kill: killed $vgpr94_vgpr95
                                        ; kill: killed $vgpr78_vgpr79
                                        ; kill: killed $vgpr84_vgpr85
                                        ; kill: killed $vgpr68_vgpr69
                                        ; kill: killed $vgpr90_vgpr91
                                        ; kill: killed $vgpr74_vgpr75
                                        ; kill: killed $vgpr80_vgpr81
                                        ; kill: killed $vgpr64_vgpr65
	global_load_ushort v68, v[86:87], off
	v_lshl_add_u64 v[4:5], s[4:5], 1, v[2:3]
	global_load_ushort v5, v[4:5], off
	s_waitcnt vmcnt(31)
	v_lshlrev_b32_e32 v67, 16, v98
	s_waitcnt vmcnt(30)
	v_lshlrev_b32_e32 v65, 16, v99
	;; [unrolled: 2-line block ×32, first 2 shown]
.LBB607_12:
	s_load_dwordx2 s[4:5], s[0:1], 0x0
	s_load_dwordx2 s[6:7], s[0:1], 0x38
	ds_read_b128 v[68:71], v1
	s_waitcnt vmcnt(15)
	v_lshlrev_b32_e32 v23, 16, v23
	ds_read_b128 v[72:75], v1 offset:16
	ds_read_b128 v[76:79], v1 offset:32
	;; [unrolled: 1-line block ×3, first 2 shown]
	s_waitcnt vmcnt(14)
	v_lshlrev_b32_e32 v22, 16, v22
	s_waitcnt vmcnt(13)
	v_lshlrev_b32_e32 v21, 16, v21
	s_waitcnt lgkmcnt(0)
	v_fma_f32 v23, v68, v23, 0
	v_fmac_f32_e32 v23, v69, v22
	v_fmac_f32_e32 v23, v70, v21
	s_waitcnt vmcnt(12)
	v_lshlrev_b32_e32 v20, 16, v20
	s_waitcnt vmcnt(10)
	v_lshlrev_b32_e32 v19, 16, v19
	v_lshlrev_b32_e32 v18, 16, v18
	v_fmac_f32_e32 v23, v71, v20
	v_pk_mul_f32 v[18:19], v[72:73], v[18:19]
	s_waitcnt vmcnt(8)
	v_lshlrev_b32_e32 v17, 16, v17
	v_add_f32_e32 v18, v23, v18
	v_lshlrev_b32_e32 v16, 16, v16
	v_add_f32_e32 v18, v18, v19
	v_pk_mul_f32 v[16:17], v[74:75], v[16:17]
	s_and_b64 vcc, exec, s[8:9]
	v_add_f32_e32 v16, v18, v16
	v_add_f32_e32 v18, v16, v17
	s_waitcnt vmcnt(6)
	v_lshlrev_b32_e32 v17, 16, v31
	v_lshlrev_b32_e32 v16, 16, v30
	v_pk_mul_f32 v[16:17], v[76:77], v[16:17]
	s_nop 0
	v_add_f32_e32 v16, v18, v16
	v_add_f32_e32 v18, v16, v17
	s_waitcnt vmcnt(4)
	v_lshlrev_b32_e32 v17, 16, v29
	v_lshlrev_b32_e32 v16, 16, v28
	v_pk_mul_f32 v[16:17], v[78:79], v[16:17]
	s_nop 0
	;; [unrolled: 7-line block ×4, first 2 shown]
	v_add_f32_e32 v16, v18, v16
	v_add_f32_e32 v110, v16, v17
	s_cbranch_vccz .LBB607_15
; %bb.13:
	ds_read_b128 v[16:19], v1 offset:64
	v_lshlrev_b32_e32 v39, 16, v39
	ds_read_b128 v[20:23], v1 offset:80
	ds_read_b128 v[24:27], v1 offset:96
	;; [unrolled: 1-line block ×3, first 2 shown]
	s_cmpk_lt_u32 s52, 0x2001
	s_waitcnt lgkmcnt(3)
	v_fmac_f32_e32 v110, v16, v39
	v_lshlrev_b32_e32 v16, 16, v38
	v_fmac_f32_e32 v110, v17, v16
	v_lshlrev_b32_e32 v16, 16, v37
	v_fmac_f32_e32 v110, v18, v16
	v_lshlrev_b32_e32 v16, 16, v36
	v_fmac_f32_e32 v110, v19, v16
	v_lshlrev_b32_e32 v16, 16, v35
	s_waitcnt lgkmcnt(2)
	v_fmac_f32_e32 v110, v20, v16
	v_lshlrev_b32_e32 v16, 16, v34
	v_fmac_f32_e32 v110, v21, v16
	v_lshlrev_b32_e32 v16, 16, v33
	v_fmac_f32_e32 v110, v22, v16
	v_lshlrev_b32_e32 v16, 16, v32
	v_fmac_f32_e32 v110, v23, v16
	v_lshlrev_b32_e32 v16, 16, v47
	;; [unrolled: 9-line block ×3, first 2 shown]
	s_waitcnt lgkmcnt(0)
	v_fmac_f32_e32 v110, v28, v16
	v_lshlrev_b32_e32 v16, 16, v42
	v_fmac_f32_e32 v110, v29, v16
	v_lshlrev_b32_e32 v16, 16, v41
	;; [unrolled: 2-line block ×3, first 2 shown]
	v_fmac_f32_e32 v110, v31, v16
	s_cbranch_scc1 .LBB607_15
; %bb.14:
	v_mov_b32_e32 v32, 0
	ds_read_b128 v[16:19], v32 offset:128
	ds_read_b128 v[20:23], v32 offset:144
	;; [unrolled: 1-line block ×4, first 2 shown]
	s_waitcnt lgkmcnt(3)
	v_fmac_f32_e32 v110, v16, v67
	v_fmac_f32_e32 v110, v17, v65
	v_fmac_f32_e32 v110, v18, v66
	v_fmac_f32_e32 v110, v19, v63
	s_waitcnt lgkmcnt(2)
	v_fmac_f32_e32 v110, v20, v64
	v_fmac_f32_e32 v110, v21, v61
	v_fmac_f32_e32 v110, v22, v62
	v_fmac_f32_e32 v110, v23, v59
	;; [unrolled: 5-line block ×3, first 2 shown]
	ds_read_b128 v[16:19], v32 offset:192
	ds_read_b128 v[20:23], v32 offset:208
	s_waitcnt lgkmcnt(2)
	v_fmac_f32_e32 v110, v28, v56
	v_fmac_f32_e32 v110, v29, v53
	;; [unrolled: 1-line block ×4, first 2 shown]
	s_waitcnt lgkmcnt(1)
	v_fmac_f32_e32 v110, v16, v51
	v_fmac_f32_e32 v110, v17, v49
	;; [unrolled: 1-line block ×4, first 2 shown]
	s_waitcnt lgkmcnt(0)
	v_pk_mul_f32 v[14:15], v[20:21], v[14:15]
	v_pk_mul_f32 v[12:13], v[22:23], v[12:13]
	v_add_f32_e32 v14, v110, v14
	v_add_f32_e32 v18, v14, v15
	ds_read_b128 v[14:17], v32 offset:224
	v_add_f32_e32 v12, v18, v12
	ds_read_b128 v[18:21], v32 offset:240
	v_add_f32_e32 v12, v12, v13
	s_waitcnt lgkmcnt(1)
	v_pk_mul_f32 v[10:11], v[14:15], v[10:11]
	s_nop 0
	v_add_f32_e32 v10, v12, v10
	v_add_f32_e32 v10, v10, v11
	v_pk_mul_f32 v[8:9], v[16:17], v[8:9]
	s_waitcnt lgkmcnt(0)
	v_pk_mul_f32 v[6:7], v[18:19], v[6:7]
	v_add_f32_e32 v8, v10, v8
	v_add_f32_e32 v8, v8, v9
	;; [unrolled: 1-line block ×4, first 2 shown]
	v_pk_mul_f32 v[4:5], v[20:21], v[4:5]
	s_nop 0
	v_add_f32_e32 v4, v6, v4
	v_add_f32_e32 v110, v4, v5
.LBB607_15:
	s_movk_i32 s0, 0x3f80
	s_movk_i32 s1, 0x100
	s_mov_b32 s8, 64
	s_branch .LBB607_17
.LBB607_16:                             ;   in Loop: Header=BB607_17 Depth=1
	s_addk_i32 s0, 0x2000
	s_addk_i32 s1, 0x100
	s_add_i32 s8, s8, 64
	s_cmp_eq_u32 s0, 0x19f80
	s_cbranch_scc1 .LBB607_19
.LBB607_17:                             ; =>This Inner Loop Header: Depth=1
	s_cmp_le_i32 s33, s8
	s_cbranch_scc1 .LBB607_16
; %bb.18:                               ;   in Loop: Header=BB607_17 Depth=1
	s_add_i32 s9, s0, 0xffffe080
	s_cmp_lt_i32 s9, s10
	s_cselect_b32 s12, s9, s11
	s_ashr_i32 s13, s12, 31
	s_add_i32 s9, s0, 0xffffe100
	s_cmp_lt_i32 s9, s10
	v_lshl_add_u64 v[42:43], s[12:13], 1, v[2:3]
	s_cselect_b32 s12, s9, s11
	s_ashr_i32 s13, s12, 31
	s_add_i32 s9, s0, 0xffffe180
	s_cmp_lt_i32 s9, s10
	v_lshl_add_u64 v[4:5], s[12:13], 1, v[2:3]
	;; [unrolled: 5-line block ×21, first 2 shown]
	s_cselect_b32 s12, s9, s11
	s_ashr_i32 s13, s12, 31
	s_add_i32 s9, s0, 0xffffeb80
	s_cmp_lt_i32 s9, s10
	global_load_ushort v111, v[42:43], off
	global_load_ushort v121, v[44:45], off
	v_lshl_add_u64 v[32:33], s[12:13], 1, v[2:3]
	s_cselect_b32 s12, s9, s11
	global_load_ushort v112, v[4:5], off
	global_load_ushort v113, v[6:7], off
	;; [unrolled: 1-line block ×8, first 2 shown]
	s_ashr_i32 s13, s12, 31
	s_add_i32 s9, s0, 0xffffec00
	s_cmp_lt_i32 s9, s10
	v_lshl_add_u64 v[34:35], s[12:13], 1, v[2:3]
	s_cselect_b32 s12, s9, s11
	s_ashr_i32 s13, s12, 31
	s_add_i32 s9, s0, 0xffffec80
	s_cmp_lt_i32 s9, s10
	v_lshl_add_u64 v[48:49], s[12:13], 1, v[2:3]
	s_cselect_b32 s12, s9, s11
	;; [unrolled: 5-line block ×3, first 2 shown]
	global_load_ushort v120, v[28:29], off
	s_ashr_i32 s13, s12, 31
	s_add_i32 s9, s0, 0xffffed80
	s_cmp_lt_i32 s9, s10
	global_load_ushort v122, v[54:55], off
	global_load_ushort v123, v[56:57], off
	v_lshl_add_u64 v[18:19], s[12:13], 1, v[2:3]
	global_load_ushort v58, v[58:59], off
	s_cselect_b32 s12, s9, s11
	s_ashr_i32 s13, s12, 31
	s_add_i32 s9, s0, 0xffffee00
	s_cmp_lt_i32 s9, s10
	v_lshl_add_u64 v[20:21], s[12:13], 1, v[2:3]
	s_cselect_b32 s12, s9, s11
	s_ashr_i32 s13, s12, 31
	s_add_i32 s9, s0, 0xffffee80
	s_cmp_lt_i32 s9, s10
	v_lshl_add_u64 v[38:39], s[12:13], 1, v[2:3]
	;; [unrolled: 5-line block ×3, first 2 shown]
	s_cselect_b32 s12, s9, s11
	global_load_ushort v59, v[60:61], off
	s_ashr_i32 s13, s12, 31
	s_add_i32 s9, s0, 0xffffef80
	global_load_ushort v60, v[66:67], off
	global_load_ushort v61, v[62:63], off
	s_cmp_lt_i32 s9, s10
	v_lshl_add_u64 v[50:51], s[12:13], 1, v[2:3]
	s_cselect_b32 s12, s9, s11
	s_ashr_i32 s13, s12, 31
	s_add_i32 s9, s0, 0xfffff000
	s_cmp_lt_i32 s9, s10
	v_lshl_add_u64 v[52:53], s[12:13], 1, v[2:3]
	s_cselect_b32 s12, s9, s11
	s_ashr_i32 s13, s12, 31
	s_add_i32 s9, s0, 0xfffff080
	;; [unrolled: 5-line block ×3, first 2 shown]
	s_cmp_lt_i32 s9, s10
	v_lshl_add_u64 v[68:69], s[12:13], 1, v[2:3]
	s_cselect_b32 s12, s9, s11
	global_load_ushort v62, v[24:25], off
	s_ashr_i32 s13, s12, 31
	s_add_i32 s9, s0, 0xfffff180
	global_load_ushort v66, v[30:31], off
	global_load_ushort v124, v[32:33], off
	;; [unrolled: 1-line block ×4, first 2 shown]
	s_cmp_lt_i32 s9, s10
	v_lshl_add_u64 v[70:71], s[12:13], 1, v[2:3]
	s_cselect_b32 s12, s9, s11
	global_load_ushort v67, v[46:47], off
	s_ashr_i32 s13, s12, 31
	s_add_i32 s9, s0, 0xfffff200
	s_cmp_lt_i32 s9, s10
	v_lshl_add_u64 v[72:73], s[12:13], 1, v[2:3]
	s_cselect_b32 s12, s9, s11
	s_ashr_i32 s13, s12, 31
	s_add_i32 s9, s0, 0xfffff280
	s_cmp_lt_i32 s9, s10
	v_lshl_add_u64 v[74:75], s[12:13], 1, v[2:3]
	s_cselect_b32 s12, s9, s11
	s_ashr_i32 s13, s12, 31
	s_add_i32 s9, s0, 0xfffff300
	s_cmp_lt_i32 s9, s10
	v_mov_b32_e32 v125, s1
	v_lshl_add_u64 v[76:77], s[12:13], 1, v[2:3]
	s_cselect_b32 s12, s9, s11
	ds_read_b128 v[28:31], v125
	ds_read_b128 v[32:35], v125 offset:16
	global_load_ushort v48, v[48:49], off
	s_ashr_i32 s13, s12, 31
	s_add_i32 s9, s0, 0xfffff380
	s_cmp_lt_i32 s9, s10
	v_lshl_add_u64 v[78:79], s[12:13], 1, v[2:3]
	s_cselect_b32 s12, s9, s11
	ds_read_b128 v[44:47], v125 offset:32
	ds_read_b128 v[54:57], v125 offset:48
	global_load_ushort v36, v[36:37], off
	s_ashr_i32 s13, s12, 31
	v_lshl_add_u64 v[80:81], s[12:13], 1, v[2:3]
	global_load_ushort v49, v[80:81], off
	global_load_ushort v37, v[18:19], off
	s_add_i32 s9, s0, 0xfffff400
	global_load_ushort v38, v[38:39], off
	s_cmp_lt_i32 s9, s10
	s_cselect_b32 s12, s9, s11
	s_ashr_i32 s13, s12, 31
	s_add_i32 s9, s0, 0xfffff480
	s_cmp_lt_i32 s9, s10
	v_lshl_add_u64 v[82:83], s[12:13], 1, v[2:3]
	s_cselect_b32 s12, s9, s11
	s_ashr_i32 s13, s12, 31
	s_add_i32 s9, s0, 0xfffff500
	s_cmp_lt_i32 s9, s10
	v_lshl_add_u64 v[84:85], s[12:13], 1, v[2:3]
	;; [unrolled: 5-line block ×5, first 2 shown]
	s_cselect_b32 s12, s9, s11
	s_ashr_i32 s13, s12, 31
	s_add_i32 s9, s0, 0xfffff700
	s_waitcnt vmcnt(27)
	v_lshlrev_b32_e32 v111, 16, v111
	s_cmp_lt_i32 s9, s10
	s_waitcnt lgkmcnt(3)
	v_fmac_f32_e32 v110, v28, v111
	s_waitcnt vmcnt(25)
	v_lshlrev_b32_e32 v28, 16, v112
	v_lshl_add_u64 v[92:93], s[12:13], 1, v[2:3]
	s_cselect_b32 s12, s9, s11
	v_fmac_f32_e32 v110, v29, v28
	s_waitcnt vmcnt(24)
	v_lshlrev_b32_e32 v28, 16, v113
	s_ashr_i32 s13, s12, 31
	s_add_i32 s9, s0, 0xfffff780
	v_fmac_f32_e32 v110, v30, v28
	s_waitcnt vmcnt(23)
	v_lshlrev_b32_e32 v28, 16, v114
	s_cmp_lt_i32 s9, s10
	v_fmac_f32_e32 v110, v31, v28
	s_waitcnt vmcnt(22)
	v_lshlrev_b32_e32 v18, 16, v115
	v_lshl_add_u64 v[94:95], s[12:13], 1, v[2:3]
	s_cselect_b32 s12, s9, s11
	s_waitcnt lgkmcnt(2)
	v_fmac_f32_e32 v110, v32, v18
	global_load_ushort v32, v[20:21], off
	s_ashr_i32 s13, s12, 31
	s_add_i32 s9, s0, 0xfffff800
	s_waitcnt vmcnt(22)
	v_lshlrev_b32_e32 v18, 16, v116
	s_cmp_lt_i32 s9, s10
	v_fmac_f32_e32 v110, v33, v18
	global_load_ushort v33, v[40:41], off
	s_waitcnt vmcnt(22)
	v_lshlrev_b32_e32 v18, 16, v117
	v_lshl_add_u64 v[96:97], s[12:13], 1, v[2:3]
	s_cselect_b32 s12, s9, s11
	v_fmac_f32_e32 v110, v34, v18
	global_load_ushort v34, v[50:51], off
	s_waitcnt vmcnt(22)
	v_lshlrev_b32_e32 v18, 16, v118
	s_ashr_i32 s13, s12, 31
	s_add_i32 s9, s0, 0xfffff880
	v_fmac_f32_e32 v110, v35, v18
	global_load_ushort v35, v[52:53], off
	global_load_ushort v39, v[64:65], off
	s_waitcnt vmcnt(23)
	v_lshlrev_b32_e32 v18, 16, v119
	s_cmp_lt_i32 s9, s10
	s_waitcnt lgkmcnt(1)
	v_fmac_f32_e32 v110, v44, v18
	global_load_ushort v44, v[72:73], off
	s_waitcnt vmcnt(23)
	v_lshlrev_b32_e32 v18, 16, v120
	v_lshl_add_u64 v[98:99], s[12:13], 1, v[2:3]
	s_cselect_b32 s12, s9, s11
	v_fmac_f32_e32 v110, v45, v18
	v_lshlrev_b32_e32 v18, 16, v121
	s_ashr_i32 s13, s12, 31
	s_add_i32 s9, s0, 0xfffff900
	v_fmac_f32_e32 v110, v46, v18
	global_load_ushort v46, v[76:77], off
	s_waitcnt vmcnt(23)
	v_lshlrev_b32_e32 v18, 16, v122
	s_cmp_lt_i32 s9, s10
	v_fmac_f32_e32 v110, v47, v18
	s_waitcnt vmcnt(22)
	v_lshlrev_b32_e32 v18, 16, v123
	v_lshl_add_u64 v[102:103], s[12:13], 1, v[2:3]
	s_cselect_b32 s12, s9, s11
	s_waitcnt lgkmcnt(0)
	v_fmac_f32_e32 v110, v54, v18
	global_load_ushort v54, v[88:89], off
	global_load_ushort v40, v[68:69], off
	;; [unrolled: 1-line block ×8, first 2 shown]
	s_ashr_i32 s13, s12, 31
	s_add_i32 s9, s0, 0xfffff980
	s_cmp_lt_i32 s9, s10
	v_lshl_add_u64 v[104:105], s[12:13], 1, v[2:3]
	s_cselect_b32 s12, s9, s11
	s_ashr_i32 s13, s12, 31
	s_add_i32 s9, s0, 0xfffffa00
	s_cmp_lt_i32 s9, s10
	v_lshl_add_u64 v[106:107], s[12:13], 1, v[2:3]
	s_cselect_b32 s12, s9, s11
	s_ashr_i32 s13, s12, 31
	s_add_i32 s9, s0, 0xfffffa80
	s_waitcnt vmcnt(29)
	v_lshlrev_b32_e32 v18, 16, v58
	s_cmp_lt_i32 s9, s10
	v_fmac_f32_e32 v110, v55, v18
	global_load_ushort v55, v[90:91], off
	s_waitcnt vmcnt(29)
	v_lshlrev_b32_e32 v18, 16, v59
	v_lshl_add_u64 v[100:101], s[12:13], 1, v[2:3]
	s_cselect_b32 s12, s9, s11
	v_fmac_f32_e32 v110, v56, v18
	s_waitcnt vmcnt(28)
	v_lshlrev_b32_e32 v18, 16, v60
	s_ashr_i32 s13, s12, 31
	s_add_i32 s9, s0, 0xfffffb00
	v_fmac_f32_e32 v110, v57, v18
	ds_read_b128 v[18:21], v125 offset:64
	ds_read_b128 v[28:31], v125 offset:80
	s_cmp_lt_i32 s9, s10
	v_lshl_add_u64 v[42:43], s[12:13], 1, v[2:3]
	s_cselect_b32 s12, s9, s11
	s_ashr_i32 s13, s12, 31
	s_add_i32 s9, s0, 0xfffffb80
	s_cmp_lt_i32 s9, s10
	s_waitcnt vmcnt(27)
	v_lshlrev_b32_e32 v53, 16, v61
	v_lshl_add_u64 v[108:109], s[12:13], 1, v[2:3]
	s_cselect_b32 s12, s9, s11
	s_waitcnt lgkmcnt(1)
	v_fmac_f32_e32 v110, v18, v53
	global_load_ushort v53, v[92:93], off
	global_load_ushort v56, v[94:95], off
	global_load_ushort v57, v[96:97], off
	global_load_ushort v58, v[98:99], off
	global_load_ushort v59, v[102:103], off
	global_load_ushort v60, v[104:105], off
	s_ashr_i32 s13, s12, 31
	s_add_i32 s9, s0, 0xfffffc00
	s_cmp_lt_i32 s9, s10
	v_lshl_add_u64 v[4:5], s[12:13], 1, v[2:3]
	s_cselect_b32 s12, s9, s11
	s_ashr_i32 s13, s12, 31
	s_add_i32 s9, s0, 0xfffffc80
	s_cmp_lt_i32 s9, s10
	s_waitcnt vmcnt(32)
	v_lshlrev_b32_e32 v18, 16, v62
	v_lshl_add_u64 v[6:7], s[12:13], 1, v[2:3]
	s_cselect_b32 s12, s9, s11
	v_fmac_f32_e32 v110, v19, v18
	s_waitcnt vmcnt(28)
	v_lshlrev_b32_e32 v18, 16, v63
	s_ashr_i32 s13, s12, 31
	s_add_i32 s9, s0, 0xfffffd00
	v_fmac_f32_e32 v110, v20, v18
	v_lshlrev_b32_e32 v18, 16, v66
	s_cmp_lt_i32 s9, s10
	v_fmac_f32_e32 v110, v21, v18
	s_waitcnt vmcnt(27)
	v_lshlrev_b32_e32 v18, 16, v67
	v_lshl_add_u64 v[8:9], s[12:13], 1, v[2:3]
	s_cselect_b32 s12, s9, s11
	s_waitcnt lgkmcnt(0)
	v_fmac_f32_e32 v110, v28, v18
	global_load_ushort v28, v[106:107], off
	s_ashr_i32 s13, s12, 31
	s_add_i32 s9, s0, 0xfffffd80
	s_cmp_lt_i32 s9, s10
	global_load_ushort v61, v[100:101], off
	global_load_ushort v62, v[42:43], off
	;; [unrolled: 1-line block ×3, first 2 shown]
	v_lshl_add_u64 v[12:13], s[12:13], 1, v[2:3]
	s_cselect_b32 s12, s9, s11
	v_lshlrev_b32_e32 v18, 16, v124
	s_ashr_i32 s13, s12, 31
	s_add_i32 s9, s0, 0xfffffe00
	v_fmac_f32_e32 v110, v29, v18
	v_lshlrev_b32_e32 v18, 16, v126
	s_cmp_lt_i32 s9, s10
	v_fmac_f32_e32 v110, v30, v18
	global_load_ushort v29, v[4:5], off
	global_load_ushort v30, v[6:7], off
	v_lshl_add_u64 v[10:11], s[12:13], 1, v[2:3]
	s_cselect_b32 s12, s9, s11
	s_ashr_i32 s13, s12, 31
	s_add_i32 s9, s0, 0xfffffe80
	s_cmp_lt_i32 s9, s10
	s_waitcnt vmcnt(32)
	v_lshlrev_b32_e32 v4, 16, v48
	v_lshl_add_u64 v[22:23], s[12:13], 1, v[2:3]
	s_cselect_b32 s12, s9, s11
	v_fmac_f32_e32 v110, v31, v4
	ds_read_b128 v[4:7], v125 offset:96
	s_ashr_i32 s13, s12, 31
	s_add_i32 s9, s0, 0xffffff00
	s_cmp_lt_i32 s9, s10
	s_waitcnt vmcnt(31)
	v_lshlrev_b32_e32 v31, 16, v36
	global_load_ushort v36, v[8:9], off
	global_load_ushort v42, v[12:13], off
	v_lshl_add_u64 v[14:15], s[12:13], 1, v[2:3]
	s_cselect_b32 s12, s9, s11
	s_ashr_i32 s13, s12, 31
	s_add_i32 s9, s0, 0xffffff80
	s_cmp_lt_i32 s9, s10
	ds_read_b128 v[18:21], v125 offset:112
	s_waitcnt lgkmcnt(1)
	v_fmac_f32_e32 v110, v4, v31
	s_waitcnt vmcnt(31)
	v_lshlrev_b32_e32 v4, 16, v37
	global_load_ushort v31, v[10:11], off
	global_load_ushort v37, v[22:23], off
	v_lshl_add_u64 v[24:25], s[12:13], 1, v[2:3]
	s_cselect_b32 s12, s9, s11
	s_ashr_i32 s13, s12, 31
	s_cmp_lt_i32 s0, s10
	global_load_ushort v22, v[14:15], off
	global_load_ushort v23, v[24:25], off
	v_lshl_add_u64 v[16:17], s[12:13], 1, v[2:3]
	s_cselect_b32 s12, s0, s11
	s_ashr_i32 s13, s12, 31
	v_lshl_add_u64 v[26:27], s[12:13], 1, v[2:3]
	global_load_ushort v14, v[16:17], off
	global_load_ushort v15, v[26:27], off
	v_fmac_f32_e32 v110, v5, v4
	s_waitcnt vmcnt(35)
	v_lshlrev_b32_e32 v4, 16, v32
	v_fmac_f32_e32 v110, v6, v4
	v_lshlrev_b32_e32 v4, 16, v38
	v_fmac_f32_e32 v110, v7, v4
	s_waitcnt vmcnt(34)
	v_lshlrev_b32_e32 v4, 16, v33
	s_waitcnt lgkmcnt(0)
	v_fmac_f32_e32 v110, v18, v4
	s_waitcnt vmcnt(33)
	v_lshlrev_b32_e32 v4, 16, v34
	v_fmac_f32_e32 v110, v19, v4
	s_waitcnt vmcnt(32)
	v_lshlrev_b32_e32 v4, 16, v35
	v_fmac_f32_e32 v110, v20, v4
	ds_read_b128 v[4:7], v125 offset:128
	s_waitcnt vmcnt(31)
	v_lshlrev_b32_e32 v8, 16, v39
	v_fmac_f32_e32 v110, v21, v8
	ds_read_b128 v[8:11], v125 offset:144
	s_waitcnt vmcnt(27)
	v_lshlrev_b32_e32 v12, 16, v40
	s_waitcnt lgkmcnt(1)
	v_fmac_f32_e32 v110, v4, v12
	s_waitcnt vmcnt(26)
	v_lshlrev_b32_e32 v4, 16, v41
	v_fmac_f32_e32 v110, v5, v4
	v_lshlrev_b32_e32 v4, 16, v44
	v_fmac_f32_e32 v110, v6, v4
	s_waitcnt vmcnt(25)
	v_lshlrev_b32_e32 v4, 16, v45
	v_fmac_f32_e32 v110, v7, v4
	v_lshlrev_b32_e32 v4, 16, v46
	s_waitcnt lgkmcnt(0)
	v_fmac_f32_e32 v110, v8, v4
	s_waitcnt vmcnt(24)
	v_lshlrev_b32_e32 v4, 16, v47
	v_fmac_f32_e32 v110, v9, v4
	v_lshlrev_b32_e32 v4, 16, v49
	v_fmac_f32_e32 v110, v10, v4
	ds_read_b128 v[4:7], v125 offset:160
	s_waitcnt vmcnt(23)
	v_lshlrev_b32_e32 v8, 16, v50
	v_fmac_f32_e32 v110, v11, v8
	ds_read_b128 v[8:11], v125 offset:176
	s_waitcnt vmcnt(22)
	v_lshlrev_b32_e32 v12, 16, v51
	s_waitcnt lgkmcnt(1)
	v_fmac_f32_e32 v110, v4, v12
	s_waitcnt vmcnt(21)
	v_lshlrev_b32_e32 v4, 16, v52
	v_fmac_f32_e32 v110, v5, v4
	v_lshlrev_b32_e32 v4, 16, v54
	v_fmac_f32_e32 v110, v6, v4
	s_waitcnt vmcnt(20)
	v_lshlrev_b32_e32 v4, 16, v55
	v_fmac_f32_e32 v110, v7, v4
	s_waitcnt vmcnt(19)
	v_lshlrev_b32_e32 v4, 16, v53
	s_waitcnt lgkmcnt(0)
	v_fmac_f32_e32 v110, v8, v4
	s_waitcnt vmcnt(18)
	v_lshlrev_b32_e32 v4, 16, v56
	v_fmac_f32_e32 v110, v9, v4
	s_waitcnt vmcnt(17)
	v_lshlrev_b32_e32 v4, 16, v57
	v_fmac_f32_e32 v110, v10, v4
	ds_read_b128 v[4:7], v125 offset:192
	s_waitcnt vmcnt(16)
	v_lshlrev_b32_e32 v8, 16, v58
	v_fmac_f32_e32 v110, v11, v8
	ds_read_b128 v[8:11], v125 offset:208
	s_waitcnt vmcnt(15)
	v_lshlrev_b32_e32 v12, 16, v59
	s_waitcnt lgkmcnt(1)
	v_fmac_f32_e32 v110, v4, v12
	s_waitcnt vmcnt(14)
	v_lshlrev_b32_e32 v4, 16, v60
	v_fmac_f32_e32 v110, v5, v4
	s_waitcnt vmcnt(13)
	v_lshlrev_b32_e32 v4, 16, v28
	;; [unrolled: 3-line block ×4, first 2 shown]
	v_lshlrev_b32_e32 v4, 16, v62
	s_waitcnt lgkmcnt(0)
	v_pk_mul_f32 v[4:5], v[8:9], v[4:5]
	s_waitcnt vmcnt(6)
	v_lshlrev_b32_e32 v13, 16, v42
	v_add_f32_e32 v4, v110, v4
	v_add_f32_e32 v6, v4, v5
	v_lshlrev_b32_e32 v5, 16, v30
	v_lshlrev_b32_e32 v4, 16, v29
	v_pk_mul_f32 v[8:9], v[10:11], v[4:5]
	v_lshlrev_b32_e32 v12, 16, v36
	v_add_f32_e32 v8, v6, v8
	ds_read_b128 v[4:7], v125 offset:224
	v_add_f32_e32 v16, v8, v9
	ds_read_b128 v[8:11], v125 offset:240
	s_waitcnt lgkmcnt(1)
	v_pk_mul_f32 v[4:5], v[4:5], v[12:13]
	s_nop 0
	v_add_f32_e32 v4, v16, v4
	v_add_f32_e32 v12, v4, v5
	s_waitcnt vmcnt(4)
	v_lshlrev_b32_e32 v5, 16, v37
	v_lshlrev_b32_e32 v4, 16, v31
	v_pk_mul_f32 v[4:5], v[6:7], v[4:5]
	s_nop 0
	v_add_f32_e32 v4, v12, v4
	v_add_f32_e32 v6, v4, v5
	s_waitcnt vmcnt(2)
	v_lshlrev_b32_e32 v5, 16, v23
	v_lshlrev_b32_e32 v4, 16, v22
	s_waitcnt lgkmcnt(0)
	v_pk_mul_f32 v[4:5], v[8:9], v[4:5]
	s_nop 0
	v_add_f32_e32 v4, v6, v4
	v_add_f32_e32 v6, v4, v5
	s_waitcnt vmcnt(1)
	v_lshlrev_b32_e32 v4, 16, v14
	s_waitcnt vmcnt(0)
	v_lshlrev_b32_e32 v5, 16, v15
	v_pk_mul_f32 v[4:5], v[10:11], v[4:5]
	s_nop 0
	v_add_f32_e32 v4, v6, v4
	v_add_f32_e32 v110, v4, v5
	s_branch .LBB607_16
.LBB607_19:
	v_mov_b32_e32 v2, 0
	ds_read_b32 v2, v2 offset:3072
	s_cmp_lg_u64 s[6:7], 0
	s_cbranch_scc0 .LBB607_24
; %bb.20:
	s_load_dword s6, s[6:7], 0x0
	s_waitcnt lgkmcnt(0)
	v_div_scale_f32 v3, s[0:1], s6, s6, 1.0
	v_rcp_f32_e32 v4, v3
	v_div_scale_f32 v5, vcc, 1.0, s6, 1.0
	v_fma_f32 v6, -v3, v4, 1.0
	v_fmac_f32_e32 v4, v6, v4
	v_mul_f32_e32 v6, v5, v4
	v_fma_f32 v7, -v3, v6, v5
	v_fmac_f32_e32 v6, v7, v4
	v_fma_f32 v3, -v3, v6, v5
	v_div_fmas_f32 v3, v3, v4, v6
	v_div_fixup_f32 v3, v3, s6, 1.0
	s_andn2_b64 vcc, exec, s[42:43]
	s_cbranch_vccnz .LBB607_22
.LBB607_21:
	s_add_u32 s0, s40, s44
	s_addc_u32 s1, s41, s45
	s_load_dword s34, s[0:1], 0x0
	s_mov_b32 s35, 0
.LBB607_22:
	s_waitcnt lgkmcnt(0)
	v_add_f32_e32 v2, 0x358637bd, v2
	v_div_scale_f32 v4, s[0:1], v2, v2, 1.0
	v_rcp_f32_e32 v5, v4
	v_div_scale_f32 v6, vcc, 1.0, v2, 1.0
	s_mul_i32 s0, s3, s35
	v_fma_f32 v7, -v4, v5, 1.0
	v_fmac_f32_e32 v5, v7, v5
	v_mul_f32_e32 v7, v6, v5
	v_fma_f32 v8, -v4, v7, v6
	v_fmac_f32_e32 v7, v8, v5
	v_fma_f32 v4, -v4, v7, v6
	s_mul_hi_u32 s1, s3, s34
	v_div_fmas_f32 v4, v4, v5, v7
	s_add_i32 s1, s1, s0
	s_mul_i32 s0, s3, s34
	v_div_fixup_f32 v2, v4, v2, 1.0
	s_lshl_b64 s[0:1], s[0:1], 7
	v_mul_f32_e32 v2, v110, v2
	s_add_u32 s4, s4, s0
	s_mov_b32 s3, 0
	v_mul_f32_e32 v2, v2, v3
	s_addc_u32 s5, s5, s1
	s_lshl_b64 s[0:1], s[2:3], 7
	s_mov_b32 s2, 0x7f800000
	s_mov_b32 s3, 0x43700000
	v_mov_b32_e32 v3, 0xc3700000
	v_med3_f32 v3, v2, s3, v3
	v_cmp_nlg_f32_e64 vcc, |v2|, s2
	s_add_u32 s0, s4, s0
	s_addc_u32 s1, s5, s1
	v_cndmask_b32_e32 v2, v3, v2, vcc
	v_mov_b32_e32 v3, 0
	v_cvt_pk_fp8_f32 v3, v2, v2
	v_lshl_add_u64 v[0:1], s[0:1], 0, v[0:1]
	global_store_byte v[0:1], v3, off
	s_endpgm
.LBB607_23:
	s_mov_b64 s[6:7], 0
	s_branch .LBB607_2
.LBB607_24:
	v_mov_b32_e32 v3, 1.0
	s_andn2_b64 vcc, exec, s[42:43]
	s_cbranch_vccz .LBB607_21
	s_branch .LBB607_22
	.section	.rodata,"a",@progbits
	.p2align	6, 0x0
	.amdhsa_kernel _Z35paged_attention_ll4mi_reduce_kernelI14__hip_bfloat16hLi128ELi128ELi256ELi12EEvPT0_PKfS4_PKT_PKiS9_iS4_
		.amdhsa_group_segment_fixed_size 3076
		.amdhsa_private_segment_fixed_size 0
		.amdhsa_kernarg_size 320
		.amdhsa_user_sgpr_count 2
		.amdhsa_user_sgpr_dispatch_ptr 0
		.amdhsa_user_sgpr_queue_ptr 0
		.amdhsa_user_sgpr_kernarg_segment_ptr 1
		.amdhsa_user_sgpr_dispatch_id 0
		.amdhsa_user_sgpr_kernarg_preload_length 0
		.amdhsa_user_sgpr_kernarg_preload_offset 0
		.amdhsa_user_sgpr_private_segment_size 0
		.amdhsa_uses_dynamic_stack 0
		.amdhsa_enable_private_segment 0
		.amdhsa_system_sgpr_workgroup_id_x 1
		.amdhsa_system_sgpr_workgroup_id_y 1
		.amdhsa_system_sgpr_workgroup_id_z 0
		.amdhsa_system_sgpr_workgroup_info 0
		.amdhsa_system_vgpr_workitem_id 0
		.amdhsa_next_free_vgpr 127
		.amdhsa_next_free_sgpr 53
		.amdhsa_accum_offset 128
		.amdhsa_reserve_vcc 1
		.amdhsa_float_round_mode_32 0
		.amdhsa_float_round_mode_16_64 0
		.amdhsa_float_denorm_mode_32 3
		.amdhsa_float_denorm_mode_16_64 3
		.amdhsa_dx10_clamp 1
		.amdhsa_ieee_mode 1
		.amdhsa_fp16_overflow 0
		.amdhsa_tg_split 0
		.amdhsa_exception_fp_ieee_invalid_op 0
		.amdhsa_exception_fp_denorm_src 0
		.amdhsa_exception_fp_ieee_div_zero 0
		.amdhsa_exception_fp_ieee_overflow 0
		.amdhsa_exception_fp_ieee_underflow 0
		.amdhsa_exception_fp_ieee_inexact 0
		.amdhsa_exception_int_div_zero 0
	.end_amdhsa_kernel
	.section	.text._Z35paged_attention_ll4mi_reduce_kernelI14__hip_bfloat16hLi128ELi128ELi256ELi12EEvPT0_PKfS4_PKT_PKiS9_iS4_,"axG",@progbits,_Z35paged_attention_ll4mi_reduce_kernelI14__hip_bfloat16hLi128ELi128ELi256ELi12EEvPT0_PKfS4_PKT_PKiS9_iS4_,comdat
.Lfunc_end607:
	.size	_Z35paged_attention_ll4mi_reduce_kernelI14__hip_bfloat16hLi128ELi128ELi256ELi12EEvPT0_PKfS4_PKT_PKiS9_iS4_, .Lfunc_end607-_Z35paged_attention_ll4mi_reduce_kernelI14__hip_bfloat16hLi128ELi128ELi256ELi12EEvPT0_PKfS4_PKT_PKiS9_iS4_
                                        ; -- End function
	.section	.AMDGPU.csdata,"",@progbits
; Kernel info:
; codeLenInByte = 10200
; NumSgprs: 59
; NumVgprs: 127
; NumAgprs: 0
; TotalNumVgprs: 127
; ScratchSize: 0
; MemoryBound: 0
; FloatMode: 240
; IeeeMode: 1
; LDSByteSize: 3076 bytes/workgroup (compile time only)
; SGPRBlocks: 7
; VGPRBlocks: 15
; NumSGPRsForWavesPerEU: 59
; NumVGPRsForWavesPerEU: 127
; AccumOffset: 128
; Occupancy: 4
; WaveLimiterHint : 1
; COMPUTE_PGM_RSRC2:SCRATCH_EN: 0
; COMPUTE_PGM_RSRC2:USER_SGPR: 2
; COMPUTE_PGM_RSRC2:TRAP_HANDLER: 0
; COMPUTE_PGM_RSRC2:TGID_X_EN: 1
; COMPUTE_PGM_RSRC2:TGID_Y_EN: 1
; COMPUTE_PGM_RSRC2:TGID_Z_EN: 0
; COMPUTE_PGM_RSRC2:TIDIG_COMP_CNT: 0
; COMPUTE_PGM_RSRC3_GFX90A:ACCUM_OFFSET: 31
; COMPUTE_PGM_RSRC3_GFX90A:TG_SPLIT: 0
	.section	.text._Z35paged_attention_ll4mi_reduce_kernelI14__hip_bfloat16hLi128ELi128ELi256ELi13EEvPT0_PKfS4_PKT_PKiS9_iS4_,"axG",@progbits,_Z35paged_attention_ll4mi_reduce_kernelI14__hip_bfloat16hLi128ELi128ELi256ELi13EEvPT0_PKfS4_PKT_PKiS9_iS4_,comdat
	.protected	_Z35paged_attention_ll4mi_reduce_kernelI14__hip_bfloat16hLi128ELi128ELi256ELi13EEvPT0_PKfS4_PKT_PKiS9_iS4_ ; -- Begin function _Z35paged_attention_ll4mi_reduce_kernelI14__hip_bfloat16hLi128ELi128ELi256ELi13EEvPT0_PKfS4_PKT_PKiS9_iS4_
	.globl	_Z35paged_attention_ll4mi_reduce_kernelI14__hip_bfloat16hLi128ELi128ELi256ELi13EEvPT0_PKfS4_PKT_PKiS9_iS4_
	.p2align	8
	.type	_Z35paged_attention_ll4mi_reduce_kernelI14__hip_bfloat16hLi128ELi128ELi256ELi13EEvPT0_PKfS4_PKT_PKiS9_iS4_,@function
_Z35paged_attention_ll4mi_reduce_kernelI14__hip_bfloat16hLi128ELi128ELi256ELi13EEvPT0_PKfS4_PKT_PKiS9_iS4_: ; @_Z35paged_attention_ll4mi_reduce_kernelI14__hip_bfloat16hLi128ELi128ELi256ELi13EEvPT0_PKfS4_PKT_PKiS9_iS4_
; %bb.0:
	s_load_dwordx2 s[34:35], s[0:1], 0x28
	s_mov_b32 s30, s3
	s_mov_b64 s[4:5], 0
	s_waitcnt lgkmcnt(0)
	s_cmp_lg_u64 s[34:35], 0
	s_cselect_b64 s[44:45], -1, 0
	s_and_b64 vcc, exec, s[44:45]
	s_cbranch_vccz .LBB608_23
; %bb.1:
	s_add_i32 s6, s30, 1
	s_mov_b32 s7, 0
	s_lshl_b64 s[8:9], s[6:7], 2
	s_add_u32 s8, s34, s8
	s_mov_b32 s31, s7
	s_addc_u32 s9, s35, s9
	s_lshl_b64 s[6:7], s[30:31], 2
	s_add_u32 s6, s34, s6
	s_addc_u32 s7, s35, s7
	s_load_dword s3, s[8:9], 0x0
	s_load_dword s10, s[6:7], 0x0
	s_waitcnt lgkmcnt(0)
	s_sub_i32 s3, s3, s10
	s_cmp_eq_u32 s3, 1
	s_cselect_b64 s[6:7], -1, 0
	s_andn2_b64 vcc, exec, s[4:5]
	s_cbranch_vccnz .LBB608_3
.LBB608_2:
	s_mov_b32 s31, 0
	s_mov_b64 s[6:7], -1
.LBB608_3:
	s_andn2_b64 vcc, exec, s[6:7]
	s_cbranch_vccz .LBB608_5
; %bb.4:
	s_endpgm
.LBB608_5:
	s_load_dwordx4 s[36:39], s[0:1], 0x18
	s_load_dword s8, s[0:1], 0x30
	s_lshl_b64 s[46:47], s[30:31], 2
	v_cmp_lt_u32_e32 vcc, 63, v0
	s_waitcnt lgkmcnt(0)
	s_add_u32 s4, s38, s46
	s_addc_u32 s5, s39, s47
	s_load_dword s54, s[4:5], 0x0
	s_load_dword s3, s[0:1], 0x40
	s_mul_i32 s38, s2, s8
	s_mul_i32 s6, s30, s8
	s_waitcnt lgkmcnt(0)
	s_add_i32 s7, s54, 0xff
	s_ashr_i32 s4, s7, 31
	s_lshr_b32 s4, s4, 24
	s_add_i32 s7, s7, s4
	s_and_saveexec_b64 s[4:5], vcc
	s_xor_b64 s[4:5], exec, s[4:5]
	s_or_saveexec_b64 s[48:49], s[4:5]
	s_ashr_i32 s33, s7, 8
	v_mov_b32_e32 v1, s38
	s_mul_i32 s50, s6, s3
	s_xor_b64 exec, exec, s[48:49]
	s_cbranch_execz .LBB608_9
; %bb.6:
	s_add_i32 s4, s33, -1
	v_or_b32_e32 v3, 64, v0
	v_mov_b32_e32 v1, s4
	v_cmp_gt_u32_e64 s[24:25], s33, v3
	s_load_dwordx4 s[40:43], s[0:1], 0x8
	s_mov_b32 s51, 0
	v_cndmask_b32_e64 v4, v1, v3, s[24:25]
	v_or_b32_e32 v3, 0x80, v0
	v_cmp_gt_u32_e64 s[22:23], s33, v3
	s_lshl_b64 s[52:53], s[50:51], 2
	s_mov_b32 s39, s51
	v_cndmask_b32_e64 v6, v1, v3, s[22:23]
	v_or_b32_e32 v3, 0xc0, v0
	v_cmp_gt_u32_e64 s[20:21], s33, v3
	v_cmp_gt_u32_e64 s[26:27], s33, v0
	s_waitcnt lgkmcnt(0)
	s_add_u32 s28, s42, s52
	v_cndmask_b32_e64 v8, v1, v3, s[20:21]
	v_or_b32_e32 v3, 0x100, v0
	v_cmp_gt_u32_e64 s[18:19], s33, v3
	v_cndmask_b32_e64 v2, v1, v0, s[26:27]
	s_addc_u32 s29, s43, s53
	v_cndmask_b32_e64 v10, v1, v3, s[18:19]
	v_or_b32_e32 v3, 0x140, v0
	v_cmp_gt_u32_e64 s[16:17], s33, v3
	s_lshl_b64 s[42:43], s[38:39], 2
	s_add_u32 s28, s28, s42
	v_cndmask_b32_e64 v12, v1, v3, s[16:17]
	v_or_b32_e32 v3, 0x180, v0
	v_cmp_gt_u32_e64 s[14:15], s33, v3
	v_ashrrev_i32_e32 v13, 31, v12
	s_addc_u32 s29, s29, s43
	v_cndmask_b32_e64 v14, v1, v3, s[14:15]
	v_or_b32_e32 v3, 0x1c0, v0
	v_cmp_gt_u32_e64 s[12:13], s33, v3
	v_ashrrev_i32_e32 v15, 31, v14
	v_ashrrev_i32_e32 v5, 31, v4
	v_cndmask_b32_e64 v16, v1, v3, s[12:13]
	v_or_b32_e32 v3, 0x200, v0
	v_cmp_gt_u32_e64 s[10:11], s33, v3
	v_ashrrev_i32_e32 v7, 31, v6
	v_ashrrev_i32_e32 v9, 31, v8
	v_cndmask_b32_e64 v18, v1, v3, s[10:11]
	v_or_b32_e32 v3, 0x240, v0
	v_cmp_gt_u32_e64 s[8:9], s33, v3
	v_ashrrev_i32_e32 v11, 31, v10
	v_lshlrev_b64 v[12:13], 2, v[12:13]
	v_cndmask_b32_e64 v20, v1, v3, s[8:9]
	v_or_b32_e32 v3, 0x280, v0
	v_cmp_gt_u32_e64 s[6:7], s33, v3
	v_lshlrev_b64 v[14:15], 2, v[14:15]
	v_ashrrev_i32_e32 v17, 31, v16
	v_cndmask_b32_e64 v22, v1, v3, s[6:7]
	v_or_b32_e32 v3, 0x2c0, v0
	v_cmp_gt_u32_e64 s[4:5], s33, v3
	v_lshlrev_b64 v[4:5], 2, v[4:5]
	v_lshlrev_b64 v[6:7], 2, v[6:7]
	v_cndmask_b32_e64 v24, v1, v3, s[4:5]
	v_or_b32_e32 v3, 0x300, v0
	v_cmp_gt_u32_e32 vcc, s33, v3
	v_lshlrev_b64 v[8:9], 2, v[8:9]
	v_lshlrev_b64 v[10:11], 2, v[10:11]
	v_cndmask_b32_e32 v26, v1, v3, vcc
	v_ashrrev_i32_e32 v3, 31, v2
	v_lshlrev_b64 v[2:3], 2, v[2:3]
	v_lshl_add_u64 v[28:29], s[28:29], 0, v[2:3]
	v_lshl_add_u64 v[38:39], s[28:29], 0, v[12:13]
	;; [unrolled: 1-line block ×3, first 2 shown]
	v_lshlrev_b64 v[16:17], 2, v[16:17]
	v_ashrrev_i32_e32 v19, 31, v18
	v_ashrrev_i32_e32 v21, 31, v20
	;; [unrolled: 1-line block ×3, first 2 shown]
	v_lshl_add_u64 v[30:31], s[28:29], 0, v[4:5]
	v_lshl_add_u64 v[32:33], s[28:29], 0, v[6:7]
	;; [unrolled: 1-line block ×5, first 2 shown]
	global_load_dword v1, v[28:29], off
	global_load_dword v44, v[30:31], off
	;; [unrolled: 1-line block ×5, first 2 shown]
	s_nop 0
	global_load_dword v38, v[38:39], off
	s_nop 0
	global_load_dword v39, v[40:41], off
	;; [unrolled: 2-line block ×3, first 2 shown]
	v_lshlrev_b64 v[18:19], 2, v[18:19]
	v_lshlrev_b64 v[20:21], 2, v[20:21]
	;; [unrolled: 1-line block ×3, first 2 shown]
	v_ashrrev_i32_e32 v25, 31, v24
	v_ashrrev_i32_e32 v27, 31, v26
	v_lshl_add_u64 v[28:29], s[28:29], 0, v[18:19]
	v_lshl_add_u64 v[30:31], s[28:29], 0, v[20:21]
	v_lshl_add_u64 v[32:33], s[28:29], 0, v[22:23]
	v_lshlrev_b64 v[24:25], 2, v[24:25]
	v_lshlrev_b64 v[26:27], 2, v[26:27]
	v_lshl_add_u64 v[34:35], s[28:29], 0, v[24:25]
	v_lshl_add_u64 v[36:37], s[28:29], 0, v[26:27]
	global_load_dword v28, v[28:29], off
	s_nop 0
	global_load_dword v29, v[30:31], off
	s_nop 0
	global_load_dword v30, v[32:33], off
	global_load_dword v31, v[34:35], off
	s_nop 0
	global_load_dword v32, v[36:37], off
	v_mbcnt_lo_u32_b32 v34, -1, 0
	v_mbcnt_hi_u32_b32 v34, -1, v34
	v_and_b32_e32 v35, 64, v34
	v_add_u32_e32 v35, 64, v35
	v_xor_b32_e32 v36, 32, v34
	v_cmp_lt_i32_e64 s[28:29], v36, v35
	s_mov_b32 s39, 0x3fb8aa3b
	s_waitcnt vmcnt(10)
	v_max3_f32 v33, v1, v44, v45
	v_cndmask_b32_e64 v36, v34, v36, s[28:29]
	s_waitcnt vmcnt(8)
	v_max3_f32 v33, v33, v46, v47
	v_lshlrev_b32_e32 v36, 2, v36
	s_waitcnt vmcnt(6)
	v_max3_f32 v33, v33, v38, v39
	s_waitcnt vmcnt(4)
	v_max3_f32 v33, v33, v40, v28
	;; [unrolled: 2-line block ×4, first 2 shown]
	ds_bpermute_b32 v37, v36, v33
	s_waitcnt lgkmcnt(0)
	v_max_f32_e32 v37, v37, v37
	v_max_f32_e32 v33, v33, v37
	v_xor_b32_e32 v37, 16, v34
	v_cmp_lt_i32_e64 s[28:29], v37, v35
	s_nop 1
	v_cndmask_b32_e64 v37, v34, v37, s[28:29]
	v_lshlrev_b32_e32 v37, 2, v37
	ds_bpermute_b32 v41, v37, v33
	s_waitcnt lgkmcnt(0)
	v_max_f32_e32 v41, v41, v41
	v_max_f32_e32 v33, v33, v41
	v_xor_b32_e32 v41, 8, v34
	v_cmp_lt_i32_e64 s[28:29], v41, v35
	s_nop 1
	v_cndmask_b32_e64 v41, v34, v41, s[28:29]
	v_lshlrev_b32_e32 v41, 2, v41
	ds_bpermute_b32 v42, v41, v33
	s_add_u32 s28, s40, s52
	s_addc_u32 s29, s41, s53
	s_add_u32 s40, s28, s42
	s_addc_u32 s41, s29, s43
	s_waitcnt lgkmcnt(0)
	v_max_f32_e32 v42, v42, v42
	v_max_f32_e32 v33, v33, v42
	v_xor_b32_e32 v42, 4, v34
	v_lshl_add_u64 v[2:3], s[40:41], 0, v[2:3]
	v_cmp_lt_i32_e64 s[28:29], v42, v35
	global_load_dword v43, v[2:3], off
	s_nop 0
	v_cndmask_b32_e64 v2, v34, v42, s[28:29]
	v_lshlrev_b32_e32 v42, 2, v2
	ds_bpermute_b32 v2, v42, v33
	s_waitcnt lgkmcnt(0)
	v_max_f32_e32 v2, v2, v2
	v_max_f32_e32 v33, v33, v2
	v_xor_b32_e32 v2, 2, v34
	v_cmp_lt_i32_e64 s[28:29], v2, v35
	s_nop 1
	v_cndmask_b32_e64 v2, v34, v2, s[28:29]
	v_lshlrev_b32_e32 v48, 2, v2
	ds_bpermute_b32 v49, v48, v33
	v_lshl_add_u64 v[2:3], s[40:41], 0, v[4:5]
	global_load_dword v50, v[2:3], off
	v_lshl_add_u64 v[4:5], s[40:41], 0, v[8:9]
	v_lshl_add_u64 v[8:9], s[40:41], 0, v[12:13]
	s_waitcnt lgkmcnt(0)
	v_max_f32_e32 v2, v49, v49
	v_max_f32_e32 v33, v33, v2
	v_xor_b32_e32 v2, 1, v34
	v_cmp_lt_i32_e64 s[28:29], v2, v35
	s_nop 1
	v_cndmask_b32_e64 v2, v34, v2, s[28:29]
	v_lshlrev_b32_e32 v34, 2, v2
	v_lshl_add_u64 v[2:3], s[40:41], 0, v[6:7]
	global_load_dword v12, v[2:3], off
	v_lshl_add_u64 v[6:7], s[40:41], 0, v[10:11]
	v_lshl_add_u64 v[2:3], s[40:41], 0, v[14:15]
	;; [unrolled: 1-line block ×3, first 2 shown]
	global_load_dword v13, v[4:5], off
	global_load_dword v14, v[6:7], off
	;; [unrolled: 1-line block ×5, first 2 shown]
	ds_bpermute_b32 v35, v34, v33
	v_lshl_add_u64 v[2:3], s[40:41], 0, v[18:19]
	v_lshl_add_u64 v[4:5], s[40:41], 0, v[20:21]
	;; [unrolled: 1-line block ×4, first 2 shown]
	s_waitcnt lgkmcnt(0)
	v_max_f32_e32 v18, v35, v35
	v_max_f32_e32 v18, v33, v18
	v_sub_f32_e32 v1, v1, v18
	v_mul_f32_e32 v19, 0x3fb8aa3b, v1
	v_fma_f32 v20, v1, s39, -v19
	v_rndne_f32_e32 v21, v19
	v_fmac_f32_e32 v20, 0x32a5705f, v1
	v_sub_f32_e32 v19, v19, v21
	v_lshl_add_u64 v[10:11], s[40:41], 0, v[26:27]
	v_add_f32_e32 v19, v19, v20
	v_cvt_i32_f32_e32 v20, v21
	global_load_dword v21, v[2:3], off
	global_load_dword v22, v[4:5], off
	;; [unrolled: 1-line block ×5, first 2 shown]
	v_sub_f32_e32 v4, v44, v18
	v_mul_f32_e32 v5, 0x3fb8aa3b, v4
	v_fma_f32 v6, v4, s39, -v5
	v_rndne_f32_e32 v7, v5
	v_exp_f32_e32 v19, v19
	v_fmac_f32_e32 v6, 0x32a5705f, v4
	v_sub_f32_e32 v5, v5, v7
	v_add_f32_e32 v5, v5, v6
	v_exp_f32_e32 v5, v5
	v_cvt_i32_f32_e32 v6, v7
	s_mov_b32 s40, 0xc2ce8ed0
	v_ldexp_f32 v2, v19, v20
	v_cmp_ngt_f32_e64 s[28:29], s40, v1
	s_mov_b32 s41, 0x42b17218
	v_mov_b32_e32 v3, 0x7f800000
	v_cndmask_b32_e64 v2, 0, v2, s[28:29]
	v_cmp_nlt_f32_e64 s[28:29], s41, v1
	s_nop 1
	v_cndmask_b32_e64 v1, v3, v2, s[28:29]
	v_ldexp_f32 v2, v5, v6
	v_sub_f32_e32 v5, v45, v18
	v_mul_f32_e32 v6, 0x3fb8aa3b, v5
	v_fma_f32 v7, v5, s39, -v6
	v_rndne_f32_e32 v8, v6
	v_fmac_f32_e32 v7, 0x32a5705f, v5
	v_sub_f32_e32 v6, v6, v8
	v_add_f32_e32 v6, v6, v7
	v_exp_f32_e32 v6, v6
	v_cvt_i32_f32_e32 v7, v8
	v_cndmask_b32_e64 v1, 0, v1, s[26:27]
	v_cmp_ngt_f32_e64 s[26:27], s40, v4
	s_waitcnt vmcnt(12)
	v_mul_f32_e32 v1, v43, v1
	v_cndmask_b32_e64 v2, 0, v2, s[26:27]
	v_cmp_nlt_f32_e64 s[26:27], s41, v4
	v_ldexp_f32 v4, v6, v7
	v_sub_f32_e32 v6, v46, v18
	v_mul_f32_e32 v7, 0x3fb8aa3b, v6
	v_fma_f32 v8, v6, s39, -v7
	v_rndne_f32_e32 v9, v7
	v_fmac_f32_e32 v8, 0x32a5705f, v6
	v_sub_f32_e32 v7, v7, v9
	v_add_f32_e32 v7, v7, v8
	v_exp_f32_e32 v7, v7
	v_cvt_i32_f32_e32 v8, v9
	v_cndmask_b32_e64 v2, v3, v2, s[26:27]
	v_cndmask_b32_e64 v2, 0, v2, s[24:25]
	v_cmp_ngt_f32_e64 s[24:25], s40, v5
	s_waitcnt vmcnt(11)
	v_mul_f32_e32 v2, v50, v2
	v_cndmask_b32_e64 v4, 0, v4, s[24:25]
	v_cmp_nlt_f32_e64 s[24:25], s41, v5
	v_ldexp_f32 v5, v7, v8
	v_sub_f32_e32 v7, v47, v18
	v_mul_f32_e32 v8, 0x3fb8aa3b, v7
	v_fma_f32 v9, v7, s39, -v8
	v_rndne_f32_e32 v10, v8
	v_fmac_f32_e32 v9, 0x32a5705f, v7
	v_sub_f32_e32 v8, v8, v10
	v_add_f32_e32 v8, v8, v9
	v_exp_f32_e32 v8, v8
	v_cvt_i32_f32_e32 v9, v10
	v_cndmask_b32_e64 v4, v3, v4, s[24:25]
	;; [unrolled: 17-line block ×9, first 2 shown]
	v_cndmask_b32_e64 v11, 0, v11, s[8:9]
	v_cmp_ngt_f32_e64 s[8:9], s40, v13
	s_waitcnt vmcnt(3)
	v_mul_f32_e32 v11, v22, v11
	v_cndmask_b32_e64 v12, 0, v12, s[8:9]
	v_cmp_nlt_f32_e64 s[8:9], s41, v13
	v_ldexp_f32 v13, v15, v16
	v_sub_f32_e32 v15, v32, v18
	v_mul_f32_e32 v16, 0x3fb8aa3b, v15
	v_fma_f32 v17, v15, s39, -v16
	v_rndne_f32_e32 v18, v16
	v_fmac_f32_e32 v17, 0x32a5705f, v15
	v_sub_f32_e32 v16, v16, v18
	v_add_f32_e32 v16, v16, v17
	v_cndmask_b32_e64 v12, v3, v12, s[8:9]
	v_exp_f32_e32 v16, v16
	v_cvt_i32_f32_e32 v17, v18
	v_cndmask_b32_e64 v12, 0, v12, s[6:7]
	v_cmp_ngt_f32_e64 s[6:7], s40, v14
	s_waitcnt vmcnt(2)
	v_mul_f32_e32 v12, v23, v12
	v_cndmask_b32_e64 v13, 0, v13, s[6:7]
	v_cmp_nlt_f32_e64 s[6:7], s41, v14
	v_ldexp_f32 v14, v16, v17
	v_lshlrev_b32_e32 v16, 2, v0
	v_cndmask_b32_e64 v13, v3, v13, s[6:7]
	v_cndmask_b32_e64 v13, 0, v13, s[4:5]
	v_cmp_ngt_f32_e64 s[4:5], s40, v15
	ds_write2st64_b32 v16, v1, v2 offset1:1
	ds_write2st64_b32 v16, v4, v5 offset0:2 offset1:3
	ds_write2st64_b32 v16, v6, v7 offset0:4 offset1:5
	ds_write2st64_b32 v16, v8, v9 offset0:6 offset1:7
	v_cndmask_b32_e64 v14, 0, v14, s[4:5]
	v_cmp_nlt_f32_e64 s[4:5], s41, v15
	s_nop 1
	v_cndmask_b32_e64 v3, v3, v14, s[4:5]
	v_add_f32_e32 v14, v1, v2
	v_add_f32_e32 v14, v14, v4
	v_add_f32_e32 v14, v14, v5
	v_add_f32_e32 v14, v14, v6
	v_add_f32_e32 v14, v14, v7
	v_add_f32_e32 v14, v14, v8
	v_add_f32_e32 v14, v14, v9
	v_add_f32_e32 v14, v14, v10
	v_add_f32_e32 v14, v14, v11
	v_add_f32_e32 v14, v14, v12
	v_cndmask_b32_e32 v3, 0, v3, vcc
	s_waitcnt vmcnt(1)
	v_fmac_f32_e32 v14, v24, v13
	s_waitcnt vmcnt(0)
	v_fmac_f32_e32 v14, v25, v3
	ds_bpermute_b32 v15, v36, v14
	v_cmp_eq_u32_e32 vcc, 0, v0
	v_mul_f32_e32 v13, v24, v13
	v_mul_f32_e32 v3, v25, v3
	ds_write2st64_b32 v16, v10, v11 offset0:8 offset1:9
	ds_write2st64_b32 v16, v12, v13 offset0:10 offset1:11
	ds_write_b32 v16, v3 offset:3072
	s_waitcnt lgkmcnt(3)
	v_add_f32_e32 v14, v14, v15
	ds_bpermute_b32 v15, v37, v14
	s_waitcnt lgkmcnt(0)
	v_add_f32_e32 v14, v14, v15
	ds_bpermute_b32 v15, v41, v14
	s_waitcnt lgkmcnt(0)
	v_add_f32_e32 v14, v14, v15
	ds_bpermute_b32 v15, v42, v14
	s_waitcnt lgkmcnt(0)
	v_add_f32_e32 v14, v14, v15
	ds_bpermute_b32 v15, v48, v14
	s_waitcnt lgkmcnt(0)
	v_add_f32_e32 v1, v14, v15
	ds_bpermute_b32 v2, v34, v1
	s_and_saveexec_b64 s[4:5], vcc
	s_cbranch_execz .LBB608_8
; %bb.7:
	s_waitcnt lgkmcnt(0)
	v_add_f32_e32 v1, v1, v2
	v_mov_b32_e32 v2, 0
	ds_write_b32 v2, v1 offset:3328
.LBB608_8:
	s_or_b64 exec, exec, s[4:5]
	v_mov_b32_e32 v1, s38
.LBB608_9:
	s_or_b64 exec, exec, s[48:49]
	s_lshl_b32 s4, s50, 7
	s_mov_b32 s5, 0
	s_lshl_b64 s[4:5], s[4:5], 1
	s_add_u32 s4, s36, s4
	s_addc_u32 s5, s37, s5
	s_lshl_b32 s10, s33, 7
	s_waitcnt lgkmcnt(0)
	v_lshlrev_b32_e32 v2, 7, v1
	v_mov_b32_e32 v1, 0
	s_add_i32 s11, s10, 0xffffff80
	v_mov_b32_e32 v3, v1
	s_cmp_lt_i32 s54, 1
	v_lshl_add_u64 v[2:3], v[2:3], 1, s[4:5]
	s_cselect_b32 s4, s11, 0
	v_lshlrev_b32_e32 v4, 1, v0
	v_mov_b32_e32 v5, v1
	s_ashr_i32 s5, s4, 31
	v_lshl_add_u64 v[2:3], v[2:3], 0, v[4:5]
	s_cmpk_lt_i32 s54, 0x101
	v_lshl_add_u64 v[4:5], s[4:5], 1, v[2:3]
	s_cselect_b32 s4, s11, 0x80
	s_ashr_i32 s5, s4, 31
	s_cmpk_lt_i32 s54, 0x201
	v_lshl_add_u64 v[6:7], s[4:5], 1, v[2:3]
	s_cselect_b32 s4, s11, 0x100
	s_ashr_i32 s5, s4, 31
	;; [unrolled: 4-line block ×8, first 2 shown]
	s_cmpk_lt_i32 s54, 0x901
	global_load_ushort v23, v[4:5], off
	global_load_ushort v22, v[6:7], off
	;; [unrolled: 1-line block ×8, first 2 shown]
	v_lshl_add_u64 v[4:5], s[4:5], 1, v[2:3]
	s_cselect_b32 s4, s11, 0x480
	s_ashr_i32 s5, s4, 31
	s_cmpk_lt_i32 s54, 0xa01
	v_lshl_add_u64 v[6:7], s[4:5], 1, v[2:3]
	s_cselect_b32 s4, s11, 0x500
	s_ashr_i32 s5, s4, 31
	s_cmpk_lt_i32 s54, 0xb01
	;; [unrolled: 4-line block ×6, first 2 shown]
	v_lshl_add_u64 v[32:33], s[4:5], 1, v[2:3]
	s_cselect_b32 s4, s11, 0x780
	s_ashr_i32 s5, s4, 31
	v_lshl_add_u64 v[34:35], s[4:5], 1, v[2:3]
	global_load_ushort v30, v[4:5], off
	global_load_ushort v31, v[6:7], off
	;; [unrolled: 1-line block ×8, first 2 shown]
	s_cmpk_gt_i32 s54, 0x1000
	s_cselect_b64 s[8:9], -1, 0
	s_cmpk_lt_i32 s54, 0x1001
	v_mov_b32_e32 v40, 0
	v_mov_b32_e32 v41, 0
	;; [unrolled: 1-line block ×48, first 2 shown]
	s_barrier
	s_cbranch_scc1 .LBB608_12
; %bb.10:
	s_cmpk_lt_u32 s54, 0x1101
	s_cselect_b32 s4, s11, 0x880
	s_ashr_i32 s5, s4, 31
	s_cmpk_lt_u32 s54, 0x1201
	v_lshl_add_u64 v[6:7], s[4:5], 1, v[2:3]
	s_cselect_b32 s4, s11, 0x900
	s_ashr_i32 s5, s4, 31
	s_cmpk_lt_u32 s54, 0x1301
	v_lshl_add_u64 v[8:9], s[4:5], 1, v[2:3]
	;; [unrolled: 4-line block ×7, first 2 shown]
	s_cselect_b32 s4, s11, 0xc00
	v_add_co_u32_e32 v4, vcc, 0x1000, v2
	s_ashr_i32 s5, s4, 31
	s_nop 0
	v_addc_co_u32_e32 v5, vcc, 0, v3, vcc
	s_cmpk_lt_u32 s54, 0x1901
	global_load_ushort v39, v[4:5], off
	global_load_ushort v38, v[6:7], off
	;; [unrolled: 1-line block ×8, first 2 shown]
	v_lshl_add_u64 v[4:5], s[4:5], 1, v[2:3]
	s_cselect_b32 s4, s11, 0xc80
	s_ashr_i32 s5, s4, 31
	s_cmpk_lt_u32 s54, 0x1a01
	v_lshl_add_u64 v[6:7], s[4:5], 1, v[2:3]
	s_cselect_b32 s4, s11, 0xd00
	s_ashr_i32 s5, s4, 31
	s_cmpk_lt_u32 s54, 0x1b01
	;; [unrolled: 4-line block ×6, first 2 shown]
	v_lshl_add_u64 v[48:49], s[4:5], 1, v[2:3]
	s_cselect_b32 s4, s11, 0xf80
	s_ashr_i32 s5, s4, 31
	v_lshl_add_u64 v[50:51], s[4:5], 1, v[2:3]
	global_load_ushort v47, v[4:5], off
	global_load_ushort v46, v[6:7], off
	;; [unrolled: 1-line block ×8, first 2 shown]
	s_cmpk_lt_u32 s54, 0x2001
	v_mov_b32_e32 v67, 0
	v_mov_b32_e32 v65, 0
	;; [unrolled: 1-line block ×32, first 2 shown]
	s_cbranch_scc1 .LBB608_12
; %bb.11:
	s_cmpk_lt_u32 s54, 0x2101
	s_cselect_b32 s4, s11, 0x1080
	s_ashr_i32 s5, s4, 31
	s_cmpk_lt_u32 s54, 0x2201
	v_lshl_add_u64 v[4:5], s[4:5], 1, v[2:3]
	s_cselect_b32 s4, s11, 0x1100
	s_ashr_i32 s5, s4, 31
	s_cmpk_lt_u32 s54, 0x2301
	v_lshl_add_u64 v[6:7], s[4:5], 1, v[2:3]
	;; [unrolled: 4-line block ×29, first 2 shown]
	s_cselect_b32 s4, s11, 0x1f00
	s_ashr_i32 s5, s4, 31
	v_lshl_add_u64 v[94:95], s[4:5], 1, v[2:3]
	s_movk_i32 s4, 0x2000
	s_cmpk_lt_u32 s54, 0x3f01
	v_add_co_u32_e32 v96, vcc, s4, v2
	s_cselect_b32 s4, s11, 0x1f80
	s_nop 0
	v_addc_co_u32_e32 v97, vcc, 0, v3, vcc
	s_ashr_i32 s5, s4, 31
	global_load_ushort v98, v[96:97], off
	global_load_ushort v99, v[4:5], off
	;; [unrolled: 1-line block ×15, first 2 shown]
                                        ; kill: killed $vgpr54_vgpr55
                                        ; kill: killed $vgpr6_vgpr7
                                        ; kill: killed $vgpr60_vgpr61
                                        ; kill: killed $vgpr12_vgpr13
                                        ; kill: killed $vgpr50_vgpr51
                                        ; kill: killed $vgpr56_vgpr57
                                        ; kill: killed $vgpr8_vgpr9
                                        ; kill: killed $vgpr62_vgpr63
                                        ; kill: killed $vgpr14_vgpr15
                                        ; kill: killed $vgpr96 killed $vgpr97
                                        ; kill: killed $vgpr52_vgpr53
                                        ; kill: killed $vgpr4_vgpr5
                                        ; kill: killed $vgpr58_vgpr59
                                        ; kill: killed $vgpr10_vgpr11
                                        ; kill: killed $vgpr48_vgpr49
	global_load_ushort v6, v[64:65], off
	global_load_ushort v7, v[66:67], off
	;; [unrolled: 1-line block ×15, first 2 shown]
                                        ; kill: killed $vgpr70_vgpr71
                                        ; kill: killed $vgpr92_vgpr93
                                        ; kill: killed $vgpr76_vgpr77
                                        ; kill: killed $vgpr82_vgpr83
                                        ; kill: killed $vgpr66_vgpr67
                                        ; kill: killed $vgpr88_vgpr89
                                        ; kill: killed $vgpr72_vgpr73
                                        ; kill: killed $vgpr94_vgpr95
                                        ; kill: killed $vgpr78_vgpr79
                                        ; kill: killed $vgpr84_vgpr85
                                        ; kill: killed $vgpr68_vgpr69
                                        ; kill: killed $vgpr90_vgpr91
                                        ; kill: killed $vgpr74_vgpr75
                                        ; kill: killed $vgpr80_vgpr81
                                        ; kill: killed $vgpr64_vgpr65
	global_load_ushort v68, v[86:87], off
	v_lshl_add_u64 v[4:5], s[4:5], 1, v[2:3]
	global_load_ushort v5, v[4:5], off
	s_waitcnt vmcnt(31)
	v_lshlrev_b32_e32 v67, 16, v98
	s_waitcnt vmcnt(30)
	v_lshlrev_b32_e32 v65, 16, v99
	s_waitcnt vmcnt(29)
	v_lshlrev_b32_e32 v66, 16, v100
	s_waitcnt vmcnt(28)
	v_lshlrev_b32_e32 v63, 16, v101
	s_waitcnt vmcnt(27)
	v_lshlrev_b32_e32 v64, 16, v102
	s_waitcnt vmcnt(26)
	v_lshlrev_b32_e32 v61, 16, v103
	s_waitcnt vmcnt(25)
	v_lshlrev_b32_e32 v62, 16, v104
	s_waitcnt vmcnt(24)
	v_lshlrev_b32_e32 v59, 16, v105
	s_waitcnt vmcnt(23)
	v_lshlrev_b32_e32 v60, 16, v106
	s_waitcnt vmcnt(22)
	v_lshlrev_b32_e32 v57, 16, v107
	s_waitcnt vmcnt(21)
	v_lshlrev_b32_e32 v58, 16, v108
	s_waitcnt vmcnt(20)
	v_lshlrev_b32_e32 v55, 16, v109
	s_waitcnt vmcnt(19)
	v_lshlrev_b32_e32 v56, 16, v110
	s_waitcnt vmcnt(18)
	v_lshlrev_b32_e32 v53, 16, v111
	s_waitcnt vmcnt(17)
	v_lshlrev_b32_e32 v54, 16, v112
	s_waitcnt vmcnt(16)
	v_lshlrev_b32_e32 v52, 16, v6
	s_waitcnt vmcnt(15)
	v_lshlrev_b32_e32 v51, 16, v7
	s_waitcnt vmcnt(14)
	v_lshlrev_b32_e32 v49, 16, v8
	s_waitcnt vmcnt(13)
	v_lshlrev_b32_e32 v50, 16, v9
	s_waitcnt vmcnt(12)
	v_lshlrev_b32_e32 v48, 16, v10
	s_waitcnt vmcnt(11)
	v_lshlrev_b32_e32 v10, 16, v11
	s_waitcnt vmcnt(10)
	v_lshlrev_b32_e32 v13, 16, v13
	s_waitcnt vmcnt(9)
	v_lshlrev_b32_e32 v12, 16, v12
	s_waitcnt vmcnt(8)
	v_lshlrev_b32_e32 v15, 16, v15
	s_waitcnt vmcnt(7)
	v_lshlrev_b32_e32 v14, 16, v14
	s_waitcnt vmcnt(6)
	v_lshlrev_b32_e32 v11, 16, v96
	s_waitcnt vmcnt(5)
	v_lshlrev_b32_e32 v4, 16, v97
	s_waitcnt vmcnt(4)
	v_lshlrev_b32_e32 v7, 16, v113
	s_waitcnt vmcnt(3)
	v_lshlrev_b32_e32 v6, 16, v114
	s_waitcnt vmcnt(2)
	v_lshlrev_b32_e32 v9, 16, v115
	s_waitcnt vmcnt(1)
	v_lshlrev_b32_e32 v8, 16, v68
	s_waitcnt vmcnt(0)
	v_lshlrev_b32_e32 v5, 16, v5
.LBB608_12:
	s_load_dwordx2 s[4:5], s[0:1], 0x0
	s_load_dwordx2 s[6:7], s[0:1], 0x38
	ds_read_b128 v[68:71], v1
	s_waitcnt vmcnt(15)
	v_lshlrev_b32_e32 v23, 16, v23
	ds_read_b128 v[72:75], v1 offset:16
	ds_read_b128 v[76:79], v1 offset:32
	;; [unrolled: 1-line block ×3, first 2 shown]
	s_waitcnt vmcnt(14)
	v_lshlrev_b32_e32 v22, 16, v22
	s_waitcnt vmcnt(13)
	v_lshlrev_b32_e32 v21, 16, v21
	s_waitcnt lgkmcnt(0)
	v_fma_f32 v23, v68, v23, 0
	v_fmac_f32_e32 v23, v69, v22
	v_fmac_f32_e32 v23, v70, v21
	s_waitcnt vmcnt(12)
	v_lshlrev_b32_e32 v20, 16, v20
	s_waitcnt vmcnt(10)
	v_lshlrev_b32_e32 v19, 16, v19
	v_lshlrev_b32_e32 v18, 16, v18
	v_fmac_f32_e32 v23, v71, v20
	v_pk_mul_f32 v[18:19], v[72:73], v[18:19]
	s_waitcnt vmcnt(8)
	v_lshlrev_b32_e32 v17, 16, v17
	v_add_f32_e32 v18, v23, v18
	v_lshlrev_b32_e32 v16, 16, v16
	v_add_f32_e32 v18, v18, v19
	v_pk_mul_f32 v[16:17], v[74:75], v[16:17]
	s_and_b64 vcc, exec, s[8:9]
	v_add_f32_e32 v16, v18, v16
	v_add_f32_e32 v18, v16, v17
	s_waitcnt vmcnt(6)
	v_lshlrev_b32_e32 v17, 16, v31
	v_lshlrev_b32_e32 v16, 16, v30
	v_pk_mul_f32 v[16:17], v[76:77], v[16:17]
	s_nop 0
	v_add_f32_e32 v16, v18, v16
	v_add_f32_e32 v18, v16, v17
	s_waitcnt vmcnt(4)
	v_lshlrev_b32_e32 v17, 16, v29
	v_lshlrev_b32_e32 v16, 16, v28
	v_pk_mul_f32 v[16:17], v[78:79], v[16:17]
	s_nop 0
	;; [unrolled: 7-line block ×4, first 2 shown]
	v_add_f32_e32 v16, v18, v16
	v_add_f32_e32 v110, v16, v17
	s_cbranch_vccz .LBB608_15
; %bb.13:
	ds_read_b128 v[16:19], v1 offset:64
	v_lshlrev_b32_e32 v39, 16, v39
	ds_read_b128 v[20:23], v1 offset:80
	ds_read_b128 v[24:27], v1 offset:96
	;; [unrolled: 1-line block ×3, first 2 shown]
	s_cmpk_lt_u32 s54, 0x2001
	s_waitcnt lgkmcnt(3)
	v_fmac_f32_e32 v110, v16, v39
	v_lshlrev_b32_e32 v16, 16, v38
	v_fmac_f32_e32 v110, v17, v16
	v_lshlrev_b32_e32 v16, 16, v37
	v_fmac_f32_e32 v110, v18, v16
	v_lshlrev_b32_e32 v16, 16, v36
	v_fmac_f32_e32 v110, v19, v16
	v_lshlrev_b32_e32 v16, 16, v35
	s_waitcnt lgkmcnt(2)
	v_fmac_f32_e32 v110, v20, v16
	v_lshlrev_b32_e32 v16, 16, v34
	v_fmac_f32_e32 v110, v21, v16
	v_lshlrev_b32_e32 v16, 16, v33
	v_fmac_f32_e32 v110, v22, v16
	v_lshlrev_b32_e32 v16, 16, v32
	v_fmac_f32_e32 v110, v23, v16
	v_lshlrev_b32_e32 v16, 16, v47
	;; [unrolled: 9-line block ×3, first 2 shown]
	s_waitcnt lgkmcnt(0)
	v_fmac_f32_e32 v110, v28, v16
	v_lshlrev_b32_e32 v16, 16, v42
	v_fmac_f32_e32 v110, v29, v16
	v_lshlrev_b32_e32 v16, 16, v41
	;; [unrolled: 2-line block ×3, first 2 shown]
	v_fmac_f32_e32 v110, v31, v16
	s_cbranch_scc1 .LBB608_15
; %bb.14:
	v_mov_b32_e32 v32, 0
	ds_read_b128 v[16:19], v32 offset:128
	ds_read_b128 v[20:23], v32 offset:144
	;; [unrolled: 1-line block ×4, first 2 shown]
	s_waitcnt lgkmcnt(3)
	v_fmac_f32_e32 v110, v16, v67
	v_fmac_f32_e32 v110, v17, v65
	v_fmac_f32_e32 v110, v18, v66
	v_fmac_f32_e32 v110, v19, v63
	s_waitcnt lgkmcnt(2)
	v_fmac_f32_e32 v110, v20, v64
	v_fmac_f32_e32 v110, v21, v61
	v_fmac_f32_e32 v110, v22, v62
	v_fmac_f32_e32 v110, v23, v59
	;; [unrolled: 5-line block ×3, first 2 shown]
	ds_read_b128 v[16:19], v32 offset:192
	ds_read_b128 v[20:23], v32 offset:208
	s_waitcnt lgkmcnt(2)
	v_fmac_f32_e32 v110, v28, v56
	v_fmac_f32_e32 v110, v29, v53
	;; [unrolled: 1-line block ×4, first 2 shown]
	s_waitcnt lgkmcnt(1)
	v_fmac_f32_e32 v110, v16, v51
	v_fmac_f32_e32 v110, v17, v49
	;; [unrolled: 1-line block ×4, first 2 shown]
	s_waitcnt lgkmcnt(0)
	v_pk_mul_f32 v[14:15], v[20:21], v[14:15]
	v_pk_mul_f32 v[12:13], v[22:23], v[12:13]
	v_add_f32_e32 v14, v110, v14
	v_add_f32_e32 v18, v14, v15
	ds_read_b128 v[14:17], v32 offset:224
	v_add_f32_e32 v12, v18, v12
	ds_read_b128 v[18:21], v32 offset:240
	v_add_f32_e32 v12, v12, v13
	s_waitcnt lgkmcnt(1)
	v_pk_mul_f32 v[10:11], v[14:15], v[10:11]
	s_nop 0
	v_add_f32_e32 v10, v12, v10
	v_add_f32_e32 v10, v10, v11
	v_pk_mul_f32 v[8:9], v[16:17], v[8:9]
	s_waitcnt lgkmcnt(0)
	v_pk_mul_f32 v[6:7], v[18:19], v[6:7]
	v_add_f32_e32 v8, v10, v8
	v_add_f32_e32 v8, v8, v9
	;; [unrolled: 1-line block ×4, first 2 shown]
	v_pk_mul_f32 v[4:5], v[20:21], v[4:5]
	s_nop 0
	v_add_f32_e32 v4, v6, v4
	v_add_f32_e32 v110, v4, v5
.LBB608_15:
	s_movk_i32 s0, 0x3f80
	s_movk_i32 s1, 0x100
	s_mov_b32 s8, 64
	s_branch .LBB608_17
.LBB608_16:                             ;   in Loop: Header=BB608_17 Depth=1
	s_addk_i32 s0, 0x2000
	s_addk_i32 s1, 0x100
	s_add_i32 s8, s8, 64
	s_cmp_eq_u32 s0, 0x1bf80
	s_cbranch_scc1 .LBB608_19
.LBB608_17:                             ; =>This Inner Loop Header: Depth=1
	s_cmp_le_i32 s33, s8
	s_cbranch_scc1 .LBB608_16
; %bb.18:                               ;   in Loop: Header=BB608_17 Depth=1
	s_add_i32 s9, s0, 0xffffe080
	s_cmp_lt_i32 s9, s10
	s_cselect_b32 s12, s9, s11
	s_ashr_i32 s13, s12, 31
	s_add_i32 s9, s0, 0xffffe100
	s_cmp_lt_i32 s9, s10
	v_lshl_add_u64 v[42:43], s[12:13], 1, v[2:3]
	s_cselect_b32 s12, s9, s11
	s_ashr_i32 s13, s12, 31
	s_add_i32 s9, s0, 0xffffe180
	s_cmp_lt_i32 s9, s10
	v_lshl_add_u64 v[4:5], s[12:13], 1, v[2:3]
	;; [unrolled: 5-line block ×21, first 2 shown]
	s_cselect_b32 s12, s9, s11
	s_ashr_i32 s13, s12, 31
	s_add_i32 s9, s0, 0xffffeb80
	s_cmp_lt_i32 s9, s10
	global_load_ushort v111, v[42:43], off
	global_load_ushort v121, v[44:45], off
	v_lshl_add_u64 v[32:33], s[12:13], 1, v[2:3]
	s_cselect_b32 s12, s9, s11
	global_load_ushort v112, v[4:5], off
	global_load_ushort v113, v[6:7], off
	;; [unrolled: 1-line block ×8, first 2 shown]
	s_ashr_i32 s13, s12, 31
	s_add_i32 s9, s0, 0xffffec00
	s_cmp_lt_i32 s9, s10
	v_lshl_add_u64 v[34:35], s[12:13], 1, v[2:3]
	s_cselect_b32 s12, s9, s11
	s_ashr_i32 s13, s12, 31
	s_add_i32 s9, s0, 0xffffec80
	s_cmp_lt_i32 s9, s10
	v_lshl_add_u64 v[48:49], s[12:13], 1, v[2:3]
	s_cselect_b32 s12, s9, s11
	;; [unrolled: 5-line block ×3, first 2 shown]
	global_load_ushort v120, v[28:29], off
	s_ashr_i32 s13, s12, 31
	s_add_i32 s9, s0, 0xffffed80
	s_cmp_lt_i32 s9, s10
	global_load_ushort v122, v[54:55], off
	global_load_ushort v123, v[56:57], off
	v_lshl_add_u64 v[18:19], s[12:13], 1, v[2:3]
	global_load_ushort v58, v[58:59], off
	s_cselect_b32 s12, s9, s11
	s_ashr_i32 s13, s12, 31
	s_add_i32 s9, s0, 0xffffee00
	s_cmp_lt_i32 s9, s10
	v_lshl_add_u64 v[20:21], s[12:13], 1, v[2:3]
	s_cselect_b32 s12, s9, s11
	s_ashr_i32 s13, s12, 31
	s_add_i32 s9, s0, 0xffffee80
	s_cmp_lt_i32 s9, s10
	v_lshl_add_u64 v[38:39], s[12:13], 1, v[2:3]
	;; [unrolled: 5-line block ×3, first 2 shown]
	s_cselect_b32 s12, s9, s11
	global_load_ushort v59, v[60:61], off
	s_ashr_i32 s13, s12, 31
	s_add_i32 s9, s0, 0xffffef80
	global_load_ushort v60, v[66:67], off
	global_load_ushort v61, v[62:63], off
	s_cmp_lt_i32 s9, s10
	v_lshl_add_u64 v[50:51], s[12:13], 1, v[2:3]
	s_cselect_b32 s12, s9, s11
	s_ashr_i32 s13, s12, 31
	s_add_i32 s9, s0, 0xfffff000
	s_cmp_lt_i32 s9, s10
	v_lshl_add_u64 v[52:53], s[12:13], 1, v[2:3]
	s_cselect_b32 s12, s9, s11
	s_ashr_i32 s13, s12, 31
	s_add_i32 s9, s0, 0xfffff080
	s_cmp_lt_i32 s9, s10
	v_lshl_add_u64 v[64:65], s[12:13], 1, v[2:3]
	s_cselect_b32 s12, s9, s11
	s_ashr_i32 s13, s12, 31
	s_add_i32 s9, s0, 0xfffff100
	s_cmp_lt_i32 s9, s10
	v_lshl_add_u64 v[68:69], s[12:13], 1, v[2:3]
	s_cselect_b32 s12, s9, s11
	global_load_ushort v62, v[24:25], off
	s_ashr_i32 s13, s12, 31
	s_add_i32 s9, s0, 0xfffff180
	global_load_ushort v66, v[30:31], off
	global_load_ushort v124, v[32:33], off
	;; [unrolled: 1-line block ×4, first 2 shown]
	s_cmp_lt_i32 s9, s10
	v_lshl_add_u64 v[70:71], s[12:13], 1, v[2:3]
	s_cselect_b32 s12, s9, s11
	global_load_ushort v67, v[46:47], off
	s_ashr_i32 s13, s12, 31
	s_add_i32 s9, s0, 0xfffff200
	s_cmp_lt_i32 s9, s10
	v_lshl_add_u64 v[72:73], s[12:13], 1, v[2:3]
	s_cselect_b32 s12, s9, s11
	s_ashr_i32 s13, s12, 31
	s_add_i32 s9, s0, 0xfffff280
	s_cmp_lt_i32 s9, s10
	v_lshl_add_u64 v[74:75], s[12:13], 1, v[2:3]
	s_cselect_b32 s12, s9, s11
	s_ashr_i32 s13, s12, 31
	s_add_i32 s9, s0, 0xfffff300
	s_cmp_lt_i32 s9, s10
	v_mov_b32_e32 v125, s1
	v_lshl_add_u64 v[76:77], s[12:13], 1, v[2:3]
	s_cselect_b32 s12, s9, s11
	ds_read_b128 v[28:31], v125
	ds_read_b128 v[32:35], v125 offset:16
	global_load_ushort v48, v[48:49], off
	s_ashr_i32 s13, s12, 31
	s_add_i32 s9, s0, 0xfffff380
	s_cmp_lt_i32 s9, s10
	v_lshl_add_u64 v[78:79], s[12:13], 1, v[2:3]
	s_cselect_b32 s12, s9, s11
	ds_read_b128 v[44:47], v125 offset:32
	ds_read_b128 v[54:57], v125 offset:48
	global_load_ushort v36, v[36:37], off
	s_ashr_i32 s13, s12, 31
	v_lshl_add_u64 v[80:81], s[12:13], 1, v[2:3]
	global_load_ushort v49, v[80:81], off
	global_load_ushort v37, v[18:19], off
	s_add_i32 s9, s0, 0xfffff400
	global_load_ushort v38, v[38:39], off
	s_cmp_lt_i32 s9, s10
	s_cselect_b32 s12, s9, s11
	s_ashr_i32 s13, s12, 31
	s_add_i32 s9, s0, 0xfffff480
	s_cmp_lt_i32 s9, s10
	v_lshl_add_u64 v[82:83], s[12:13], 1, v[2:3]
	s_cselect_b32 s12, s9, s11
	s_ashr_i32 s13, s12, 31
	s_add_i32 s9, s0, 0xfffff500
	s_cmp_lt_i32 s9, s10
	v_lshl_add_u64 v[84:85], s[12:13], 1, v[2:3]
	;; [unrolled: 5-line block ×5, first 2 shown]
	s_cselect_b32 s12, s9, s11
	s_ashr_i32 s13, s12, 31
	s_add_i32 s9, s0, 0xfffff700
	s_waitcnt vmcnt(27)
	v_lshlrev_b32_e32 v111, 16, v111
	s_cmp_lt_i32 s9, s10
	s_waitcnt lgkmcnt(3)
	v_fmac_f32_e32 v110, v28, v111
	s_waitcnt vmcnt(25)
	v_lshlrev_b32_e32 v28, 16, v112
	v_lshl_add_u64 v[92:93], s[12:13], 1, v[2:3]
	s_cselect_b32 s12, s9, s11
	v_fmac_f32_e32 v110, v29, v28
	s_waitcnt vmcnt(24)
	v_lshlrev_b32_e32 v28, 16, v113
	s_ashr_i32 s13, s12, 31
	s_add_i32 s9, s0, 0xfffff780
	v_fmac_f32_e32 v110, v30, v28
	s_waitcnt vmcnt(23)
	v_lshlrev_b32_e32 v28, 16, v114
	s_cmp_lt_i32 s9, s10
	v_fmac_f32_e32 v110, v31, v28
	s_waitcnt vmcnt(22)
	v_lshlrev_b32_e32 v18, 16, v115
	v_lshl_add_u64 v[94:95], s[12:13], 1, v[2:3]
	s_cselect_b32 s12, s9, s11
	s_waitcnt lgkmcnt(2)
	v_fmac_f32_e32 v110, v32, v18
	global_load_ushort v32, v[20:21], off
	s_ashr_i32 s13, s12, 31
	s_add_i32 s9, s0, 0xfffff800
	s_waitcnt vmcnt(22)
	v_lshlrev_b32_e32 v18, 16, v116
	s_cmp_lt_i32 s9, s10
	v_fmac_f32_e32 v110, v33, v18
	global_load_ushort v33, v[40:41], off
	s_waitcnt vmcnt(22)
	v_lshlrev_b32_e32 v18, 16, v117
	v_lshl_add_u64 v[96:97], s[12:13], 1, v[2:3]
	s_cselect_b32 s12, s9, s11
	v_fmac_f32_e32 v110, v34, v18
	global_load_ushort v34, v[50:51], off
	s_waitcnt vmcnt(22)
	v_lshlrev_b32_e32 v18, 16, v118
	s_ashr_i32 s13, s12, 31
	s_add_i32 s9, s0, 0xfffff880
	v_fmac_f32_e32 v110, v35, v18
	global_load_ushort v35, v[52:53], off
	global_load_ushort v39, v[64:65], off
	s_waitcnt vmcnt(23)
	v_lshlrev_b32_e32 v18, 16, v119
	s_cmp_lt_i32 s9, s10
	s_waitcnt lgkmcnt(1)
	v_fmac_f32_e32 v110, v44, v18
	global_load_ushort v44, v[72:73], off
	s_waitcnt vmcnt(23)
	v_lshlrev_b32_e32 v18, 16, v120
	v_lshl_add_u64 v[98:99], s[12:13], 1, v[2:3]
	s_cselect_b32 s12, s9, s11
	v_fmac_f32_e32 v110, v45, v18
	v_lshlrev_b32_e32 v18, 16, v121
	s_ashr_i32 s13, s12, 31
	s_add_i32 s9, s0, 0xfffff900
	v_fmac_f32_e32 v110, v46, v18
	global_load_ushort v46, v[76:77], off
	s_waitcnt vmcnt(23)
	v_lshlrev_b32_e32 v18, 16, v122
	s_cmp_lt_i32 s9, s10
	v_fmac_f32_e32 v110, v47, v18
	s_waitcnt vmcnt(22)
	v_lshlrev_b32_e32 v18, 16, v123
	v_lshl_add_u64 v[102:103], s[12:13], 1, v[2:3]
	s_cselect_b32 s12, s9, s11
	s_waitcnt lgkmcnt(0)
	v_fmac_f32_e32 v110, v54, v18
	global_load_ushort v54, v[88:89], off
	global_load_ushort v40, v[68:69], off
	;; [unrolled: 1-line block ×8, first 2 shown]
	s_ashr_i32 s13, s12, 31
	s_add_i32 s9, s0, 0xfffff980
	s_cmp_lt_i32 s9, s10
	v_lshl_add_u64 v[104:105], s[12:13], 1, v[2:3]
	s_cselect_b32 s12, s9, s11
	s_ashr_i32 s13, s12, 31
	s_add_i32 s9, s0, 0xfffffa00
	s_cmp_lt_i32 s9, s10
	v_lshl_add_u64 v[106:107], s[12:13], 1, v[2:3]
	s_cselect_b32 s12, s9, s11
	s_ashr_i32 s13, s12, 31
	s_add_i32 s9, s0, 0xfffffa80
	s_waitcnt vmcnt(29)
	v_lshlrev_b32_e32 v18, 16, v58
	s_cmp_lt_i32 s9, s10
	v_fmac_f32_e32 v110, v55, v18
	global_load_ushort v55, v[90:91], off
	s_waitcnt vmcnt(29)
	v_lshlrev_b32_e32 v18, 16, v59
	v_lshl_add_u64 v[100:101], s[12:13], 1, v[2:3]
	s_cselect_b32 s12, s9, s11
	v_fmac_f32_e32 v110, v56, v18
	s_waitcnt vmcnt(28)
	v_lshlrev_b32_e32 v18, 16, v60
	s_ashr_i32 s13, s12, 31
	s_add_i32 s9, s0, 0xfffffb00
	v_fmac_f32_e32 v110, v57, v18
	ds_read_b128 v[18:21], v125 offset:64
	ds_read_b128 v[28:31], v125 offset:80
	s_cmp_lt_i32 s9, s10
	v_lshl_add_u64 v[42:43], s[12:13], 1, v[2:3]
	s_cselect_b32 s12, s9, s11
	s_ashr_i32 s13, s12, 31
	s_add_i32 s9, s0, 0xfffffb80
	s_cmp_lt_i32 s9, s10
	s_waitcnt vmcnt(27)
	v_lshlrev_b32_e32 v53, 16, v61
	v_lshl_add_u64 v[108:109], s[12:13], 1, v[2:3]
	s_cselect_b32 s12, s9, s11
	s_waitcnt lgkmcnt(1)
	v_fmac_f32_e32 v110, v18, v53
	global_load_ushort v53, v[92:93], off
	global_load_ushort v56, v[94:95], off
	;; [unrolled: 1-line block ×6, first 2 shown]
	s_ashr_i32 s13, s12, 31
	s_add_i32 s9, s0, 0xfffffc00
	s_cmp_lt_i32 s9, s10
	v_lshl_add_u64 v[4:5], s[12:13], 1, v[2:3]
	s_cselect_b32 s12, s9, s11
	s_ashr_i32 s13, s12, 31
	s_add_i32 s9, s0, 0xfffffc80
	s_cmp_lt_i32 s9, s10
	s_waitcnt vmcnt(32)
	v_lshlrev_b32_e32 v18, 16, v62
	v_lshl_add_u64 v[6:7], s[12:13], 1, v[2:3]
	s_cselect_b32 s12, s9, s11
	v_fmac_f32_e32 v110, v19, v18
	s_waitcnt vmcnt(28)
	v_lshlrev_b32_e32 v18, 16, v63
	s_ashr_i32 s13, s12, 31
	s_add_i32 s9, s0, 0xfffffd00
	v_fmac_f32_e32 v110, v20, v18
	v_lshlrev_b32_e32 v18, 16, v66
	s_cmp_lt_i32 s9, s10
	v_fmac_f32_e32 v110, v21, v18
	s_waitcnt vmcnt(27)
	v_lshlrev_b32_e32 v18, 16, v67
	v_lshl_add_u64 v[8:9], s[12:13], 1, v[2:3]
	s_cselect_b32 s12, s9, s11
	s_waitcnt lgkmcnt(0)
	v_fmac_f32_e32 v110, v28, v18
	global_load_ushort v28, v[106:107], off
	s_ashr_i32 s13, s12, 31
	s_add_i32 s9, s0, 0xfffffd80
	s_cmp_lt_i32 s9, s10
	global_load_ushort v61, v[100:101], off
	global_load_ushort v62, v[42:43], off
	;; [unrolled: 1-line block ×3, first 2 shown]
	v_lshl_add_u64 v[12:13], s[12:13], 1, v[2:3]
	s_cselect_b32 s12, s9, s11
	v_lshlrev_b32_e32 v18, 16, v124
	s_ashr_i32 s13, s12, 31
	s_add_i32 s9, s0, 0xfffffe00
	v_fmac_f32_e32 v110, v29, v18
	v_lshlrev_b32_e32 v18, 16, v126
	s_cmp_lt_i32 s9, s10
	v_fmac_f32_e32 v110, v30, v18
	global_load_ushort v29, v[4:5], off
	global_load_ushort v30, v[6:7], off
	v_lshl_add_u64 v[10:11], s[12:13], 1, v[2:3]
	s_cselect_b32 s12, s9, s11
	s_ashr_i32 s13, s12, 31
	s_add_i32 s9, s0, 0xfffffe80
	s_cmp_lt_i32 s9, s10
	s_waitcnt vmcnt(32)
	v_lshlrev_b32_e32 v4, 16, v48
	v_lshl_add_u64 v[22:23], s[12:13], 1, v[2:3]
	s_cselect_b32 s12, s9, s11
	v_fmac_f32_e32 v110, v31, v4
	ds_read_b128 v[4:7], v125 offset:96
	s_ashr_i32 s13, s12, 31
	s_add_i32 s9, s0, 0xffffff00
	s_cmp_lt_i32 s9, s10
	s_waitcnt vmcnt(31)
	v_lshlrev_b32_e32 v31, 16, v36
	global_load_ushort v36, v[8:9], off
	global_load_ushort v42, v[12:13], off
	v_lshl_add_u64 v[14:15], s[12:13], 1, v[2:3]
	s_cselect_b32 s12, s9, s11
	s_ashr_i32 s13, s12, 31
	s_add_i32 s9, s0, 0xffffff80
	s_cmp_lt_i32 s9, s10
	ds_read_b128 v[18:21], v125 offset:112
	s_waitcnt lgkmcnt(1)
	v_fmac_f32_e32 v110, v4, v31
	s_waitcnt vmcnt(31)
	v_lshlrev_b32_e32 v4, 16, v37
	global_load_ushort v31, v[10:11], off
	global_load_ushort v37, v[22:23], off
	v_lshl_add_u64 v[24:25], s[12:13], 1, v[2:3]
	s_cselect_b32 s12, s9, s11
	s_ashr_i32 s13, s12, 31
	s_cmp_lt_i32 s0, s10
	global_load_ushort v22, v[14:15], off
	global_load_ushort v23, v[24:25], off
	v_lshl_add_u64 v[16:17], s[12:13], 1, v[2:3]
	s_cselect_b32 s12, s0, s11
	s_ashr_i32 s13, s12, 31
	v_lshl_add_u64 v[26:27], s[12:13], 1, v[2:3]
	global_load_ushort v14, v[16:17], off
	global_load_ushort v15, v[26:27], off
	v_fmac_f32_e32 v110, v5, v4
	s_waitcnt vmcnt(35)
	v_lshlrev_b32_e32 v4, 16, v32
	v_fmac_f32_e32 v110, v6, v4
	v_lshlrev_b32_e32 v4, 16, v38
	v_fmac_f32_e32 v110, v7, v4
	s_waitcnt vmcnt(34)
	v_lshlrev_b32_e32 v4, 16, v33
	s_waitcnt lgkmcnt(0)
	v_fmac_f32_e32 v110, v18, v4
	s_waitcnt vmcnt(33)
	v_lshlrev_b32_e32 v4, 16, v34
	v_fmac_f32_e32 v110, v19, v4
	s_waitcnt vmcnt(32)
	v_lshlrev_b32_e32 v4, 16, v35
	v_fmac_f32_e32 v110, v20, v4
	ds_read_b128 v[4:7], v125 offset:128
	s_waitcnt vmcnt(31)
	v_lshlrev_b32_e32 v8, 16, v39
	v_fmac_f32_e32 v110, v21, v8
	ds_read_b128 v[8:11], v125 offset:144
	s_waitcnt vmcnt(27)
	v_lshlrev_b32_e32 v12, 16, v40
	s_waitcnt lgkmcnt(1)
	v_fmac_f32_e32 v110, v4, v12
	s_waitcnt vmcnt(26)
	v_lshlrev_b32_e32 v4, 16, v41
	v_fmac_f32_e32 v110, v5, v4
	v_lshlrev_b32_e32 v4, 16, v44
	v_fmac_f32_e32 v110, v6, v4
	s_waitcnt vmcnt(25)
	v_lshlrev_b32_e32 v4, 16, v45
	v_fmac_f32_e32 v110, v7, v4
	v_lshlrev_b32_e32 v4, 16, v46
	s_waitcnt lgkmcnt(0)
	v_fmac_f32_e32 v110, v8, v4
	s_waitcnt vmcnt(24)
	v_lshlrev_b32_e32 v4, 16, v47
	v_fmac_f32_e32 v110, v9, v4
	v_lshlrev_b32_e32 v4, 16, v49
	v_fmac_f32_e32 v110, v10, v4
	ds_read_b128 v[4:7], v125 offset:160
	s_waitcnt vmcnt(23)
	v_lshlrev_b32_e32 v8, 16, v50
	v_fmac_f32_e32 v110, v11, v8
	ds_read_b128 v[8:11], v125 offset:176
	s_waitcnt vmcnt(22)
	v_lshlrev_b32_e32 v12, 16, v51
	s_waitcnt lgkmcnt(1)
	v_fmac_f32_e32 v110, v4, v12
	s_waitcnt vmcnt(21)
	v_lshlrev_b32_e32 v4, 16, v52
	v_fmac_f32_e32 v110, v5, v4
	v_lshlrev_b32_e32 v4, 16, v54
	v_fmac_f32_e32 v110, v6, v4
	s_waitcnt vmcnt(20)
	v_lshlrev_b32_e32 v4, 16, v55
	v_fmac_f32_e32 v110, v7, v4
	s_waitcnt vmcnt(19)
	v_lshlrev_b32_e32 v4, 16, v53
	s_waitcnt lgkmcnt(0)
	v_fmac_f32_e32 v110, v8, v4
	s_waitcnt vmcnt(18)
	v_lshlrev_b32_e32 v4, 16, v56
	v_fmac_f32_e32 v110, v9, v4
	s_waitcnt vmcnt(17)
	v_lshlrev_b32_e32 v4, 16, v57
	v_fmac_f32_e32 v110, v10, v4
	ds_read_b128 v[4:7], v125 offset:192
	s_waitcnt vmcnt(16)
	v_lshlrev_b32_e32 v8, 16, v58
	v_fmac_f32_e32 v110, v11, v8
	ds_read_b128 v[8:11], v125 offset:208
	s_waitcnt vmcnt(15)
	v_lshlrev_b32_e32 v12, 16, v59
	s_waitcnt lgkmcnt(1)
	v_fmac_f32_e32 v110, v4, v12
	s_waitcnt vmcnt(14)
	v_lshlrev_b32_e32 v4, 16, v60
	v_fmac_f32_e32 v110, v5, v4
	s_waitcnt vmcnt(13)
	v_lshlrev_b32_e32 v4, 16, v28
	;; [unrolled: 3-line block ×4, first 2 shown]
	v_lshlrev_b32_e32 v4, 16, v62
	s_waitcnt lgkmcnt(0)
	v_pk_mul_f32 v[4:5], v[8:9], v[4:5]
	s_waitcnt vmcnt(6)
	v_lshlrev_b32_e32 v13, 16, v42
	v_add_f32_e32 v4, v110, v4
	v_add_f32_e32 v6, v4, v5
	v_lshlrev_b32_e32 v5, 16, v30
	v_lshlrev_b32_e32 v4, 16, v29
	v_pk_mul_f32 v[8:9], v[10:11], v[4:5]
	v_lshlrev_b32_e32 v12, 16, v36
	v_add_f32_e32 v8, v6, v8
	ds_read_b128 v[4:7], v125 offset:224
	v_add_f32_e32 v16, v8, v9
	ds_read_b128 v[8:11], v125 offset:240
	s_waitcnt lgkmcnt(1)
	v_pk_mul_f32 v[4:5], v[4:5], v[12:13]
	s_nop 0
	v_add_f32_e32 v4, v16, v4
	v_add_f32_e32 v12, v4, v5
	s_waitcnt vmcnt(4)
	v_lshlrev_b32_e32 v5, 16, v37
	v_lshlrev_b32_e32 v4, 16, v31
	v_pk_mul_f32 v[4:5], v[6:7], v[4:5]
	s_nop 0
	v_add_f32_e32 v4, v12, v4
	v_add_f32_e32 v6, v4, v5
	s_waitcnt vmcnt(2)
	v_lshlrev_b32_e32 v5, 16, v23
	v_lshlrev_b32_e32 v4, 16, v22
	s_waitcnt lgkmcnt(0)
	v_pk_mul_f32 v[4:5], v[8:9], v[4:5]
	s_nop 0
	v_add_f32_e32 v4, v6, v4
	v_add_f32_e32 v6, v4, v5
	s_waitcnt vmcnt(1)
	v_lshlrev_b32_e32 v4, 16, v14
	s_waitcnt vmcnt(0)
	v_lshlrev_b32_e32 v5, 16, v15
	v_pk_mul_f32 v[4:5], v[10:11], v[4:5]
	s_nop 0
	v_add_f32_e32 v4, v6, v4
	v_add_f32_e32 v110, v4, v5
	s_branch .LBB608_16
.LBB608_19:
	v_mov_b32_e32 v2, 0
	ds_read_b32 v2, v2 offset:3328
	s_cmp_lg_u64 s[6:7], 0
	s_cbranch_scc0 .LBB608_24
; %bb.20:
	s_load_dword s6, s[6:7], 0x0
	s_waitcnt lgkmcnt(0)
	v_div_scale_f32 v3, s[0:1], s6, s6, 1.0
	v_rcp_f32_e32 v4, v3
	v_div_scale_f32 v5, vcc, 1.0, s6, 1.0
	v_fma_f32 v6, -v3, v4, 1.0
	v_fmac_f32_e32 v4, v6, v4
	v_mul_f32_e32 v6, v5, v4
	v_fma_f32 v7, -v3, v6, v5
	v_fmac_f32_e32 v6, v7, v4
	v_fma_f32 v3, -v3, v6, v5
	v_div_fmas_f32 v3, v3, v4, v6
	v_div_fixup_f32 v3, v3, s6, 1.0
	s_andn2_b64 vcc, exec, s[44:45]
	s_cbranch_vccnz .LBB608_22
.LBB608_21:
	s_add_u32 s0, s34, s46
	s_addc_u32 s1, s35, s47
	s_load_dword s30, s[0:1], 0x0
	s_mov_b32 s31, 0
.LBB608_22:
	s_waitcnt lgkmcnt(0)
	v_add_f32_e32 v2, 0x358637bd, v2
	v_div_scale_f32 v4, s[0:1], v2, v2, 1.0
	v_rcp_f32_e32 v5, v4
	v_div_scale_f32 v6, vcc, 1.0, v2, 1.0
	s_mul_i32 s0, s3, s31
	v_fma_f32 v7, -v4, v5, 1.0
	v_fmac_f32_e32 v5, v7, v5
	v_mul_f32_e32 v7, v6, v5
	v_fma_f32 v8, -v4, v7, v6
	v_fmac_f32_e32 v7, v8, v5
	v_fma_f32 v4, -v4, v7, v6
	s_mul_hi_u32 s1, s3, s30
	v_div_fmas_f32 v4, v4, v5, v7
	s_add_i32 s1, s1, s0
	s_mul_i32 s0, s3, s30
	v_div_fixup_f32 v2, v4, v2, 1.0
	s_lshl_b64 s[0:1], s[0:1], 7
	v_mul_f32_e32 v2, v110, v2
	s_add_u32 s4, s4, s0
	s_mov_b32 s3, 0
	v_mul_f32_e32 v2, v2, v3
	s_addc_u32 s5, s5, s1
	s_lshl_b64 s[0:1], s[2:3], 7
	s_mov_b32 s2, 0x7f800000
	s_mov_b32 s3, 0x43700000
	v_mov_b32_e32 v3, 0xc3700000
	v_med3_f32 v3, v2, s3, v3
	v_cmp_nlg_f32_e64 vcc, |v2|, s2
	s_add_u32 s0, s4, s0
	s_addc_u32 s1, s5, s1
	v_cndmask_b32_e32 v2, v3, v2, vcc
	v_mov_b32_e32 v3, 0
	v_cvt_pk_fp8_f32 v3, v2, v2
	v_lshl_add_u64 v[0:1], s[0:1], 0, v[0:1]
	global_store_byte v[0:1], v3, off
	s_endpgm
.LBB608_23:
	s_mov_b64 s[6:7], 0
	s_branch .LBB608_2
.LBB608_24:
	v_mov_b32_e32 v3, 1.0
	s_andn2_b64 vcc, exec, s[44:45]
	s_cbranch_vccz .LBB608_21
	s_branch .LBB608_22
	.section	.rodata,"a",@progbits
	.p2align	6, 0x0
	.amdhsa_kernel _Z35paged_attention_ll4mi_reduce_kernelI14__hip_bfloat16hLi128ELi128ELi256ELi13EEvPT0_PKfS4_PKT_PKiS9_iS4_
		.amdhsa_group_segment_fixed_size 3332
		.amdhsa_private_segment_fixed_size 0
		.amdhsa_kernarg_size 320
		.amdhsa_user_sgpr_count 2
		.amdhsa_user_sgpr_dispatch_ptr 0
		.amdhsa_user_sgpr_queue_ptr 0
		.amdhsa_user_sgpr_kernarg_segment_ptr 1
		.amdhsa_user_sgpr_dispatch_id 0
		.amdhsa_user_sgpr_kernarg_preload_length 0
		.amdhsa_user_sgpr_kernarg_preload_offset 0
		.amdhsa_user_sgpr_private_segment_size 0
		.amdhsa_uses_dynamic_stack 0
		.amdhsa_enable_private_segment 0
		.amdhsa_system_sgpr_workgroup_id_x 1
		.amdhsa_system_sgpr_workgroup_id_y 1
		.amdhsa_system_sgpr_workgroup_id_z 0
		.amdhsa_system_sgpr_workgroup_info 0
		.amdhsa_system_vgpr_workitem_id 0
		.amdhsa_next_free_vgpr 127
		.amdhsa_next_free_sgpr 55
		.amdhsa_accum_offset 128
		.amdhsa_reserve_vcc 1
		.amdhsa_float_round_mode_32 0
		.amdhsa_float_round_mode_16_64 0
		.amdhsa_float_denorm_mode_32 3
		.amdhsa_float_denorm_mode_16_64 3
		.amdhsa_dx10_clamp 1
		.amdhsa_ieee_mode 1
		.amdhsa_fp16_overflow 0
		.amdhsa_tg_split 0
		.amdhsa_exception_fp_ieee_invalid_op 0
		.amdhsa_exception_fp_denorm_src 0
		.amdhsa_exception_fp_ieee_div_zero 0
		.amdhsa_exception_fp_ieee_overflow 0
		.amdhsa_exception_fp_ieee_underflow 0
		.amdhsa_exception_fp_ieee_inexact 0
		.amdhsa_exception_int_div_zero 0
	.end_amdhsa_kernel
	.section	.text._Z35paged_attention_ll4mi_reduce_kernelI14__hip_bfloat16hLi128ELi128ELi256ELi13EEvPT0_PKfS4_PKT_PKiS9_iS4_,"axG",@progbits,_Z35paged_attention_ll4mi_reduce_kernelI14__hip_bfloat16hLi128ELi128ELi256ELi13EEvPT0_PKfS4_PKT_PKiS9_iS4_,comdat
.Lfunc_end608:
	.size	_Z35paged_attention_ll4mi_reduce_kernelI14__hip_bfloat16hLi128ELi128ELi256ELi13EEvPT0_PKfS4_PKT_PKiS9_iS4_, .Lfunc_end608-_Z35paged_attention_ll4mi_reduce_kernelI14__hip_bfloat16hLi128ELi128ELi256ELi13EEvPT0_PKfS4_PKT_PKiS9_iS4_
                                        ; -- End function
	.section	.AMDGPU.csdata,"",@progbits
; Kernel info:
; codeLenInByte = 10364
; NumSgprs: 61
; NumVgprs: 127
; NumAgprs: 0
; TotalNumVgprs: 127
; ScratchSize: 0
; MemoryBound: 0
; FloatMode: 240
; IeeeMode: 1
; LDSByteSize: 3332 bytes/workgroup (compile time only)
; SGPRBlocks: 7
; VGPRBlocks: 15
; NumSGPRsForWavesPerEU: 61
; NumVGPRsForWavesPerEU: 127
; AccumOffset: 128
; Occupancy: 4
; WaveLimiterHint : 1
; COMPUTE_PGM_RSRC2:SCRATCH_EN: 0
; COMPUTE_PGM_RSRC2:USER_SGPR: 2
; COMPUTE_PGM_RSRC2:TRAP_HANDLER: 0
; COMPUTE_PGM_RSRC2:TGID_X_EN: 1
; COMPUTE_PGM_RSRC2:TGID_Y_EN: 1
; COMPUTE_PGM_RSRC2:TGID_Z_EN: 0
; COMPUTE_PGM_RSRC2:TIDIG_COMP_CNT: 0
; COMPUTE_PGM_RSRC3_GFX90A:ACCUM_OFFSET: 31
; COMPUTE_PGM_RSRC3_GFX90A:TG_SPLIT: 0
	.section	.text._Z35paged_attention_ll4mi_reduce_kernelI14__hip_bfloat16hLi128ELi128ELi256ELi14EEvPT0_PKfS4_PKT_PKiS9_iS4_,"axG",@progbits,_Z35paged_attention_ll4mi_reduce_kernelI14__hip_bfloat16hLi128ELi128ELi256ELi14EEvPT0_PKfS4_PKT_PKiS9_iS4_,comdat
	.protected	_Z35paged_attention_ll4mi_reduce_kernelI14__hip_bfloat16hLi128ELi128ELi256ELi14EEvPT0_PKfS4_PKT_PKiS9_iS4_ ; -- Begin function _Z35paged_attention_ll4mi_reduce_kernelI14__hip_bfloat16hLi128ELi128ELi256ELi14EEvPT0_PKfS4_PKT_PKiS9_iS4_
	.globl	_Z35paged_attention_ll4mi_reduce_kernelI14__hip_bfloat16hLi128ELi128ELi256ELi14EEvPT0_PKfS4_PKT_PKiS9_iS4_
	.p2align	8
	.type	_Z35paged_attention_ll4mi_reduce_kernelI14__hip_bfloat16hLi128ELi128ELi256ELi14EEvPT0_PKfS4_PKT_PKiS9_iS4_,@function
_Z35paged_attention_ll4mi_reduce_kernelI14__hip_bfloat16hLi128ELi128ELi256ELi14EEvPT0_PKfS4_PKT_PKiS9_iS4_: ; @_Z35paged_attention_ll4mi_reduce_kernelI14__hip_bfloat16hLi128ELi128ELi256ELi14EEvPT0_PKfS4_PKT_PKiS9_iS4_
; %bb.0:
	s_load_dwordx2 s[44:45], s[0:1], 0x28
	s_mov_b32 s34, s3
	s_mov_b64 s[4:5], 0
	s_waitcnt lgkmcnt(0)
	s_cmp_lg_u64 s[44:45], 0
	s_cselect_b64 s[46:47], -1, 0
	s_and_b64 vcc, exec, s[46:47]
	s_cbranch_vccz .LBB609_23
; %bb.1:
	s_add_i32 s6, s34, 1
	s_mov_b32 s7, 0
	s_lshl_b64 s[8:9], s[6:7], 2
	s_add_u32 s8, s44, s8
	s_mov_b32 s35, s7
	s_addc_u32 s9, s45, s9
	s_lshl_b64 s[6:7], s[34:35], 2
	s_add_u32 s6, s44, s6
	s_addc_u32 s7, s45, s7
	s_load_dword s3, s[8:9], 0x0
	s_load_dword s10, s[6:7], 0x0
	s_waitcnt lgkmcnt(0)
	s_sub_i32 s3, s3, s10
	s_cmp_eq_u32 s3, 1
	s_cselect_b64 s[6:7], -1, 0
	s_andn2_b64 vcc, exec, s[4:5]
	s_cbranch_vccnz .LBB609_3
.LBB609_2:
	s_mov_b32 s35, 0
	s_mov_b64 s[6:7], -1
.LBB609_3:
	s_andn2_b64 vcc, exec, s[6:7]
	s_cbranch_vccz .LBB609_5
; %bb.4:
	s_endpgm
.LBB609_5:
	s_load_dwordx4 s[36:39], s[0:1], 0x18
	s_load_dword s8, s[0:1], 0x30
	s_lshl_b64 s[48:49], s[34:35], 2
	v_cmp_lt_u32_e32 vcc, 63, v0
	s_waitcnt lgkmcnt(0)
	s_add_u32 s4, s38, s48
	s_addc_u32 s5, s39, s49
	s_load_dword s56, s[4:5], 0x0
	s_load_dword s3, s[0:1], 0x40
	s_mul_i32 s38, s2, s8
	s_mul_i32 s6, s34, s8
	s_waitcnt lgkmcnt(0)
	s_add_i32 s7, s56, 0xff
	s_ashr_i32 s4, s7, 31
	s_lshr_b32 s4, s4, 24
	s_add_i32 s7, s7, s4
	s_and_saveexec_b64 s[4:5], vcc
	s_xor_b64 s[4:5], exec, s[4:5]
	s_or_saveexec_b64 s[50:51], s[4:5]
	s_ashr_i32 s33, s7, 8
	v_mov_b32_e32 v1, s38
	s_mul_i32 s52, s6, s3
	s_xor_b64 exec, exec, s[50:51]
	s_cbranch_execz .LBB609_9
; %bb.6:
	s_add_i32 s4, s33, -1
	v_or_b32_e32 v3, 64, v0
	v_mov_b32_e32 v1, s4
	v_cmp_gt_u32_e64 s[26:27], s33, v3
	s_load_dwordx4 s[40:43], s[0:1], 0x8
	s_mov_b32 s53, 0
	v_cndmask_b32_e64 v4, v1, v3, s[26:27]
	v_or_b32_e32 v3, 0x80, v0
	v_cmp_gt_u32_e64 s[24:25], s33, v3
	s_lshl_b64 s[54:55], s[52:53], 2
	s_mov_b32 s39, s53
	v_cndmask_b32_e64 v6, v1, v3, s[24:25]
	v_or_b32_e32 v3, 0xc0, v0
	v_cmp_gt_u32_e64 s[22:23], s33, v3
	v_cmp_gt_u32_e64 s[28:29], s33, v0
	s_waitcnt lgkmcnt(0)
	s_add_u32 s30, s42, s54
	v_cndmask_b32_e64 v8, v1, v3, s[22:23]
	v_or_b32_e32 v3, 0x100, v0
	v_cmp_gt_u32_e64 s[20:21], s33, v3
	v_cndmask_b32_e64 v2, v1, v0, s[28:29]
	s_addc_u32 s31, s43, s55
	v_cndmask_b32_e64 v10, v1, v3, s[20:21]
	v_or_b32_e32 v3, 0x140, v0
	v_cmp_gt_u32_e64 s[18:19], s33, v3
	s_lshl_b64 s[42:43], s[38:39], 2
	s_add_u32 s30, s30, s42
	v_cndmask_b32_e64 v12, v1, v3, s[18:19]
	v_or_b32_e32 v3, 0x180, v0
	v_cmp_gt_u32_e64 s[16:17], s33, v3
	s_addc_u32 s31, s31, s43
	v_ashrrev_i32_e32 v5, 31, v4
	v_cndmask_b32_e64 v14, v1, v3, s[16:17]
	v_or_b32_e32 v3, 0x1c0, v0
	v_cmp_gt_u32_e64 s[14:15], s33, v3
	v_ashrrev_i32_e32 v15, 31, v14
	v_ashrrev_i32_e32 v7, 31, v6
	v_cndmask_b32_e64 v16, v1, v3, s[14:15]
	v_or_b32_e32 v3, 0x200, v0
	v_cmp_gt_u32_e64 s[12:13], s33, v3
	v_ashrrev_i32_e32 v9, 31, v8
	;; [unrolled: 5-line block ×3, first 2 shown]
	v_lshlrev_b64 v[14:15], 2, v[14:15]
	v_cndmask_b32_e64 v20, v1, v3, s[10:11]
	v_or_b32_e32 v3, 0x280, v0
	v_cmp_gt_u32_e64 s[8:9], s33, v3
	v_ashrrev_i32_e32 v17, 31, v16
	v_lshlrev_b64 v[4:5], 2, v[4:5]
	v_cndmask_b32_e64 v22, v1, v3, s[8:9]
	v_or_b32_e32 v3, 0x2c0, v0
	v_cmp_gt_u32_e64 s[6:7], s33, v3
	v_lshlrev_b64 v[6:7], 2, v[6:7]
	v_lshlrev_b64 v[8:9], 2, v[8:9]
	v_cndmask_b32_e64 v24, v1, v3, s[6:7]
	v_or_b32_e32 v3, 0x300, v0
	v_cmp_gt_u32_e64 s[4:5], s33, v3
	v_lshlrev_b64 v[10:11], 2, v[10:11]
	v_lshlrev_b64 v[12:13], 2, v[12:13]
	v_cndmask_b32_e64 v26, v1, v3, s[4:5]
	v_or_b32_e32 v3, 0x340, v0
	v_cmp_gt_u32_e32 vcc, s33, v3
	v_lshl_add_u64 v[42:43], s[30:31], 0, v[14:15]
	v_lshlrev_b64 v[16:17], 2, v[16:17]
	v_cndmask_b32_e32 v28, v1, v3, vcc
	v_ashrrev_i32_e32 v3, 31, v2
	v_lshlrev_b64 v[2:3], 2, v[2:3]
	v_lshl_add_u64 v[30:31], s[30:31], 0, v[2:3]
	v_lshl_add_u64 v[32:33], s[30:31], 0, v[4:5]
	;; [unrolled: 1-line block ×7, first 2 shown]
	global_load_dword v1, v[30:31], off
	global_load_dword v46, v[32:33], off
	;; [unrolled: 1-line block ×6, first 2 shown]
	s_nop 0
	global_load_dword v42, v[42:43], off
	s_nop 0
	global_load_dword v43, v[44:45], off
	v_ashrrev_i32_e32 v19, 31, v18
	v_ashrrev_i32_e32 v21, 31, v20
	;; [unrolled: 1-line block ×3, first 2 shown]
	v_lshlrev_b64 v[18:19], 2, v[18:19]
	v_lshlrev_b64 v[20:21], 2, v[20:21]
	;; [unrolled: 1-line block ×3, first 2 shown]
	v_ashrrev_i32_e32 v25, 31, v24
	v_ashrrev_i32_e32 v27, 31, v26
	;; [unrolled: 1-line block ×3, first 2 shown]
	v_lshl_add_u64 v[30:31], s[30:31], 0, v[18:19]
	v_lshl_add_u64 v[32:33], s[30:31], 0, v[20:21]
	;; [unrolled: 1-line block ×3, first 2 shown]
	v_lshlrev_b64 v[24:25], 2, v[24:25]
	v_lshlrev_b64 v[26:27], 2, v[26:27]
	;; [unrolled: 1-line block ×3, first 2 shown]
	v_lshl_add_u64 v[36:37], s[30:31], 0, v[24:25]
	v_lshl_add_u64 v[38:39], s[30:31], 0, v[26:27]
	;; [unrolled: 1-line block ×3, first 2 shown]
	global_load_dword v30, v[30:31], off
	s_nop 0
	global_load_dword v31, v[32:33], off
	s_nop 0
	global_load_dword v32, v[34:35], off
	global_load_dword v33, v[36:37], off
	s_nop 0
	global_load_dword v34, v[38:39], off
	global_load_dword v35, v[40:41], off
	s_mov_b32 s39, 0x3fb8aa3b
	s_waitcnt vmcnt(13)
	v_max_f32_e32 v37, v1, v1
	s_waitcnt vmcnt(12)
	v_max_f32_e32 v36, v46, v46
	v_max_f32_e32 v36, v37, v36
	v_mbcnt_lo_u32_b32 v37, -1, 0
	s_waitcnt vmcnt(10)
	v_max3_f32 v36, v36, v47, v48
	v_mbcnt_hi_u32_b32 v37, -1, v37
	s_waitcnt vmcnt(8)
	v_max3_f32 v36, v36, v49, v50
	v_and_b32_e32 v38, 64, v37
	s_waitcnt vmcnt(6)
	v_max3_f32 v36, v36, v42, v43
	v_add_u32_e32 v38, 64, v38
	v_xor_b32_e32 v39, 32, v37
	v_cmp_lt_i32_e64 s[30:31], v39, v38
	s_waitcnt vmcnt(4)
	v_max3_f32 v36, v36, v30, v31
	v_cndmask_b32_e64 v39, v37, v39, s[30:31]
	s_waitcnt vmcnt(2)
	v_max3_f32 v36, v36, v32, v33
	v_lshlrev_b32_e32 v39, 2, v39
	s_waitcnt vmcnt(0)
	v_max3_f32 v36, v36, v34, v35
	ds_bpermute_b32 v40, v39, v36
	s_waitcnt lgkmcnt(0)
	v_max_f32_e32 v40, v40, v40
	v_max_f32_e32 v36, v36, v40
	v_xor_b32_e32 v40, 16, v37
	v_cmp_lt_i32_e64 s[30:31], v40, v38
	s_nop 1
	v_cndmask_b32_e64 v40, v37, v40, s[30:31]
	v_lshlrev_b32_e32 v40, 2, v40
	ds_bpermute_b32 v41, v40, v36
	s_waitcnt lgkmcnt(0)
	v_max_f32_e32 v41, v41, v41
	v_max_f32_e32 v36, v36, v41
	v_xor_b32_e32 v41, 8, v37
	v_cmp_lt_i32_e64 s[30:31], v41, v38
	s_nop 1
	v_cndmask_b32_e64 v41, v37, v41, s[30:31]
	v_lshlrev_b32_e32 v41, 2, v41
	ds_bpermute_b32 v44, v41, v36
	s_add_u32 s30, s40, s54
	s_addc_u32 s31, s41, s55
	s_add_u32 s40, s30, s42
	s_addc_u32 s41, s31, s43
	s_waitcnt lgkmcnt(0)
	v_max_f32_e32 v44, v44, v44
	v_max_f32_e32 v36, v36, v44
	v_xor_b32_e32 v44, 4, v37
	v_lshl_add_u64 v[2:3], s[40:41], 0, v[2:3]
	v_cmp_lt_i32_e64 s[30:31], v44, v38
	global_load_dword v45, v[2:3], off
	s_nop 0
	v_cndmask_b32_e64 v2, v37, v44, s[30:31]
	v_lshlrev_b32_e32 v44, 2, v2
	ds_bpermute_b32 v2, v44, v36
	s_waitcnt lgkmcnt(0)
	v_max_f32_e32 v2, v2, v2
	v_max_f32_e32 v36, v36, v2
	v_xor_b32_e32 v2, 2, v37
	v_cmp_lt_i32_e64 s[30:31], v2, v38
	s_nop 1
	v_cndmask_b32_e64 v2, v37, v2, s[30:31]
	v_lshlrev_b32_e32 v51, 2, v2
	ds_bpermute_b32 v52, v51, v36
	v_lshl_add_u64 v[2:3], s[40:41], 0, v[4:5]
	global_load_dword v53, v[2:3], off
	v_lshl_add_u64 v[4:5], s[40:41], 0, v[8:9]
	v_lshl_add_u64 v[8:9], s[40:41], 0, v[12:13]
	s_waitcnt lgkmcnt(0)
	v_max_f32_e32 v2, v52, v52
	v_max_f32_e32 v36, v36, v2
	v_xor_b32_e32 v2, 1, v37
	v_cmp_lt_i32_e64 s[30:31], v2, v38
	v_lshl_add_u64 v[12:13], s[40:41], 0, v[16:17]
	s_nop 0
	v_cndmask_b32_e64 v2, v37, v2, s[30:31]
	v_lshlrev_b32_e32 v37, 2, v2
	v_lshl_add_u64 v[2:3], s[40:41], 0, v[6:7]
	v_lshl_add_u64 v[6:7], s[40:41], 0, v[10:11]
	;; [unrolled: 1-line block ×3, first 2 shown]
	global_load_dword v14, v[2:3], off
	global_load_dword v15, v[4:5], off
	;; [unrolled: 1-line block ×6, first 2 shown]
	ds_bpermute_b32 v38, v37, v36
	v_lshl_add_u64 v[2:3], s[40:41], 0, v[18:19]
	v_lshl_add_u64 v[4:5], s[40:41], 0, v[20:21]
	v_lshl_add_u64 v[6:7], s[40:41], 0, v[22:23]
	v_lshl_add_u64 v[8:9], s[40:41], 0, v[24:25]
	s_waitcnt lgkmcnt(0)
	v_max_f32_e32 v18, v38, v38
	v_max_f32_e32 v18, v36, v18
	v_sub_f32_e32 v1, v1, v18
	v_mul_f32_e32 v19, 0x3fb8aa3b, v1
	v_fma_f32 v20, v1, s39, -v19
	v_rndne_f32_e32 v21, v19
	v_fmac_f32_e32 v20, 0x32a5705f, v1
	v_sub_f32_e32 v19, v19, v21
	v_lshl_add_u64 v[10:11], s[40:41], 0, v[26:27]
	v_lshl_add_u64 v[12:13], s[40:41], 0, v[28:29]
	v_add_f32_e32 v19, v19, v20
	v_cvt_i32_f32_e32 v20, v21
	global_load_dword v2, v[2:3], off
	s_nop 0
	global_load_dword v3, v[4:5], off
	global_load_dword v21, v[6:7], off
	;; [unrolled: 1-line block ×5, first 2 shown]
	v_sub_f32_e32 v6, v46, v18
	v_mul_f32_e32 v7, 0x3fb8aa3b, v6
	v_fma_f32 v8, v6, s39, -v7
	v_rndne_f32_e32 v9, v7
	v_exp_f32_e32 v19, v19
	v_fmac_f32_e32 v8, 0x32a5705f, v6
	v_sub_f32_e32 v7, v7, v9
	v_add_f32_e32 v7, v7, v8
	v_exp_f32_e32 v7, v7
	v_cvt_i32_f32_e32 v8, v9
	s_mov_b32 s40, 0xc2ce8ed0
	v_ldexp_f32 v4, v19, v20
	v_cmp_ngt_f32_e64 s[30:31], s40, v1
	s_mov_b32 s41, 0x42b17218
	v_mov_b32_e32 v5, 0x7f800000
	v_cndmask_b32_e64 v4, 0, v4, s[30:31]
	v_cmp_nlt_f32_e64 s[30:31], s41, v1
	s_nop 1
	v_cndmask_b32_e64 v1, v5, v4, s[30:31]
	v_ldexp_f32 v4, v7, v8
	v_sub_f32_e32 v7, v47, v18
	v_mul_f32_e32 v8, 0x3fb8aa3b, v7
	v_fma_f32 v9, v7, s39, -v8
	v_rndne_f32_e32 v10, v8
	v_fmac_f32_e32 v9, 0x32a5705f, v7
	v_sub_f32_e32 v8, v8, v10
	v_add_f32_e32 v8, v8, v9
	v_exp_f32_e32 v8, v8
	v_cvt_i32_f32_e32 v9, v10
	v_cndmask_b32_e64 v1, 0, v1, s[28:29]
	v_cmp_ngt_f32_e64 s[28:29], s40, v6
	s_waitcnt vmcnt(13)
	v_mul_f32_e32 v1, v45, v1
	v_cndmask_b32_e64 v4, 0, v4, s[28:29]
	v_cmp_nlt_f32_e64 s[28:29], s41, v6
	v_ldexp_f32 v6, v8, v9
	v_sub_f32_e32 v8, v48, v18
	v_mul_f32_e32 v9, 0x3fb8aa3b, v8
	v_fma_f32 v10, v8, s39, -v9
	v_rndne_f32_e32 v11, v9
	v_fmac_f32_e32 v10, 0x32a5705f, v8
	v_sub_f32_e32 v9, v9, v11
	v_add_f32_e32 v9, v9, v10
	v_exp_f32_e32 v9, v9
	v_cvt_i32_f32_e32 v10, v11
	v_cndmask_b32_e64 v4, v5, v4, s[28:29]
	v_cndmask_b32_e64 v4, 0, v4, s[26:27]
	v_cmp_ngt_f32_e64 s[26:27], s40, v7
	s_waitcnt vmcnt(12)
	v_mul_f32_e32 v4, v53, v4
	v_cndmask_b32_e64 v6, 0, v6, s[26:27]
	v_cmp_nlt_f32_e64 s[26:27], s41, v7
	v_ldexp_f32 v7, v9, v10
	v_sub_f32_e32 v9, v49, v18
	v_mul_f32_e32 v10, 0x3fb8aa3b, v9
	v_fma_f32 v11, v9, s39, -v10
	v_rndne_f32_e32 v12, v10
	v_fmac_f32_e32 v11, 0x32a5705f, v9
	v_sub_f32_e32 v10, v10, v12
	v_add_f32_e32 v10, v10, v11
	v_exp_f32_e32 v10, v10
	v_cvt_i32_f32_e32 v11, v12
	v_cndmask_b32_e64 v6, v5, v6, s[26:27]
	;; [unrolled: 17-line block ×6, first 2 shown]
	v_cndmask_b32_e64 v10, 0, v10, s[16:17]
	v_cmp_ngt_f32_e64 s[16:17], s40, v12
	s_waitcnt vmcnt(7)
	v_mul_f32_e32 v10, v52, v10
	v_cndmask_b32_e64 v11, 0, v11, s[16:17]
	v_cmp_nlt_f32_e64 s[16:17], s41, v12
	v_ldexp_f32 v12, v14, v15
	v_sub_f32_e32 v14, v31, v18
	v_mul_f32_e32 v15, 0x3fb8aa3b, v14
	v_fma_f32 v16, v14, s39, -v15
	v_rndne_f32_e32 v17, v15
	v_fmac_f32_e32 v16, 0x32a5705f, v14
	v_sub_f32_e32 v15, v15, v17
	v_cndmask_b32_e64 v11, v5, v11, s[16:17]
	v_add_f32_e32 v15, v15, v16
	v_cndmask_b32_e64 v11, 0, v11, s[14:15]
	v_cmp_ngt_f32_e64 s[14:15], s40, v13
	v_exp_f32_e32 v15, v15
	v_cvt_i32_f32_e32 v16, v17
	v_cndmask_b32_e64 v12, 0, v12, s[14:15]
	v_cmp_nlt_f32_e64 s[14:15], s41, v13
	v_sub_f32_e32 v13, v32, v18
	s_waitcnt vmcnt(6)
	v_mul_f32_e32 v11, v54, v11
	v_cndmask_b32_e64 v12, v5, v12, s[14:15]
	v_cndmask_b32_e64 v12, 0, v12, s[12:13]
	s_waitcnt vmcnt(5)
	v_mul_f32_e32 v12, v2, v12
	v_ldexp_f32 v2, v15, v16
	v_mul_f32_e32 v15, 0x3fb8aa3b, v13
	v_fma_f32 v16, v13, s39, -v15
	v_rndne_f32_e32 v17, v15
	v_fmac_f32_e32 v16, 0x32a5705f, v13
	v_sub_f32_e32 v15, v15, v17
	v_add_f32_e32 v15, v15, v16
	v_cmp_ngt_f32_e64 s[12:13], s40, v14
	v_exp_f32_e32 v15, v15
	v_cvt_i32_f32_e32 v16, v17
	v_cndmask_b32_e64 v2, 0, v2, s[12:13]
	v_cmp_nlt_f32_e64 s[12:13], s41, v14
	v_sub_f32_e32 v14, v33, v18
	s_nop 0
	v_cndmask_b32_e64 v2, v5, v2, s[12:13]
	v_cndmask_b32_e64 v2, 0, v2, s[10:11]
	s_waitcnt vmcnt(4)
	v_mul_f32_e32 v3, v3, v2
	v_ldexp_f32 v2, v15, v16
	v_mul_f32_e32 v15, 0x3fb8aa3b, v14
	v_fma_f32 v16, v14, s39, -v15
	v_rndne_f32_e32 v17, v15
	v_fmac_f32_e32 v16, 0x32a5705f, v14
	v_sub_f32_e32 v15, v15, v17
	v_add_f32_e32 v15, v15, v16
	v_cmp_ngt_f32_e64 s[10:11], s40, v13
	v_exp_f32_e32 v15, v15
	v_cvt_i32_f32_e32 v16, v17
	v_cndmask_b32_e64 v2, 0, v2, s[10:11]
	v_cmp_nlt_f32_e64 s[10:11], s41, v13
	s_nop 1
	v_cndmask_b32_e64 v2, v5, v2, s[10:11]
	v_cndmask_b32_e64 v2, 0, v2, s[8:9]
	s_waitcnt vmcnt(3)
	v_mul_f32_e32 v13, v21, v2
	v_ldexp_f32 v2, v15, v16
	v_sub_f32_e32 v15, v34, v18
	v_mul_f32_e32 v16, 0x3fb8aa3b, v15
	v_fma_f32 v17, v15, s39, -v16
	v_rndne_f32_e32 v19, v16
	v_fmac_f32_e32 v17, 0x32a5705f, v15
	v_sub_f32_e32 v16, v16, v19
	v_add_f32_e32 v16, v16, v17
	v_exp_f32_e32 v16, v16
	v_cvt_i32_f32_e32 v17, v19
	v_cmp_ngt_f32_e64 s[8:9], s40, v14
	s_nop 1
	v_cndmask_b32_e64 v2, 0, v2, s[8:9]
	v_cmp_nlt_f32_e64 s[8:9], s41, v14
	v_ldexp_f32 v14, v16, v17
	v_sub_f32_e32 v16, v35, v18
	v_mul_f32_e32 v17, 0x3fb8aa3b, v16
	v_fma_f32 v18, v16, s39, -v17
	v_rndne_f32_e32 v19, v17
	v_fmac_f32_e32 v18, 0x32a5705f, v16
	v_sub_f32_e32 v17, v17, v19
	v_add_f32_e32 v17, v17, v18
	v_cndmask_b32_e64 v2, v5, v2, s[8:9]
	v_exp_f32_e32 v17, v17
	v_cvt_i32_f32_e32 v18, v19
	v_cndmask_b32_e64 v2, 0, v2, s[6:7]
	v_cmp_ngt_f32_e64 s[6:7], s40, v15
	s_nop 1
	v_cndmask_b32_e64 v14, 0, v14, s[6:7]
	v_cmp_nlt_f32_e64 s[6:7], s41, v15
	v_ldexp_f32 v15, v17, v18
	s_waitcnt vmcnt(2)
	v_mul_f32_e32 v17, v22, v2
	v_cndmask_b32_e64 v14, v5, v14, s[6:7]
	v_cndmask_b32_e64 v14, 0, v14, s[4:5]
	v_cmp_ngt_f32_e64 s[4:5], s40, v16
	v_lshlrev_b32_e32 v18, 2, v0
	ds_write2st64_b32 v18, v1, v4 offset1:1
	ds_write2st64_b32 v18, v6, v7 offset0:2 offset1:3
	ds_write2st64_b32 v18, v8, v9 offset0:4 offset1:5
	;; [unrolled: 1-line block ×3, first 2 shown]
	v_cndmask_b32_e64 v15, 0, v15, s[4:5]
	v_cmp_nlt_f32_e64 s[4:5], s41, v16
	s_nop 1
	v_cndmask_b32_e64 v5, v5, v15, s[4:5]
	v_add_f32_e32 v15, v1, v4
	v_add_f32_e32 v15, v15, v6
	;; [unrolled: 1-line block ×10, first 2 shown]
	v_fmac_f32_e32 v15, v22, v2
	v_cndmask_b32_e32 v5, 0, v5, vcc
	s_waitcnt vmcnt(1)
	v_fmac_f32_e32 v15, v23, v14
	s_waitcnt vmcnt(0)
	v_fmac_f32_e32 v15, v24, v5
	ds_bpermute_b32 v16, v39, v15
	v_cmp_eq_u32_e32 vcc, 0, v0
	v_mul_f32_e32 v14, v23, v14
	v_mul_f32_e32 v5, v24, v5
	ds_write2st64_b32 v18, v12, v3 offset0:8 offset1:9
	ds_write2st64_b32 v18, v13, v17 offset0:10 offset1:11
	;; [unrolled: 1-line block ×3, first 2 shown]
	s_waitcnt lgkmcnt(3)
	v_add_f32_e32 v15, v15, v16
	ds_bpermute_b32 v16, v40, v15
	s_waitcnt lgkmcnt(0)
	v_add_f32_e32 v15, v15, v16
	ds_bpermute_b32 v16, v41, v15
	;; [unrolled: 3-line block ×5, first 2 shown]
	s_and_saveexec_b64 s[4:5], vcc
	s_cbranch_execz .LBB609_8
; %bb.7:
	s_waitcnt lgkmcnt(0)
	v_add_f32_e32 v1, v1, v2
	v_mov_b32_e32 v2, 0
	ds_write_b32 v2, v1 offset:3584
.LBB609_8:
	s_or_b64 exec, exec, s[4:5]
	v_mov_b32_e32 v1, s38
.LBB609_9:
	s_or_b64 exec, exec, s[50:51]
	s_lshl_b32 s4, s52, 7
	s_mov_b32 s5, 0
	s_lshl_b64 s[4:5], s[4:5], 1
	s_add_u32 s4, s36, s4
	s_addc_u32 s5, s37, s5
	s_lshl_b32 s10, s33, 7
	s_waitcnt lgkmcnt(0)
	v_lshlrev_b32_e32 v2, 7, v1
	v_mov_b32_e32 v1, 0
	s_add_i32 s11, s10, 0xffffff80
	v_mov_b32_e32 v3, v1
	s_cmp_lt_i32 s56, 1
	v_lshl_add_u64 v[2:3], v[2:3], 1, s[4:5]
	s_cselect_b32 s4, s11, 0
	v_lshlrev_b32_e32 v4, 1, v0
	v_mov_b32_e32 v5, v1
	s_ashr_i32 s5, s4, 31
	v_lshl_add_u64 v[2:3], v[2:3], 0, v[4:5]
	s_cmpk_lt_i32 s56, 0x101
	v_lshl_add_u64 v[4:5], s[4:5], 1, v[2:3]
	s_cselect_b32 s4, s11, 0x80
	s_ashr_i32 s5, s4, 31
	s_cmpk_lt_i32 s56, 0x201
	v_lshl_add_u64 v[6:7], s[4:5], 1, v[2:3]
	s_cselect_b32 s4, s11, 0x100
	s_ashr_i32 s5, s4, 31
	s_cmpk_lt_i32 s56, 0x301
	v_lshl_add_u64 v[8:9], s[4:5], 1, v[2:3]
	s_cselect_b32 s4, s11, 0x180
	s_ashr_i32 s5, s4, 31
	s_cmpk_lt_i32 s56, 0x401
	v_lshl_add_u64 v[10:11], s[4:5], 1, v[2:3]
	s_cselect_b32 s4, s11, 0x200
	s_ashr_i32 s5, s4, 31
	s_cmpk_lt_i32 s56, 0x501
	v_lshl_add_u64 v[12:13], s[4:5], 1, v[2:3]
	s_cselect_b32 s4, s11, 0x280
	s_ashr_i32 s5, s4, 31
	s_cmpk_lt_i32 s56, 0x601
	v_lshl_add_u64 v[14:15], s[4:5], 1, v[2:3]
	s_cselect_b32 s4, s11, 0x300
	s_ashr_i32 s5, s4, 31
	s_cmpk_lt_i32 s56, 0x701
	v_lshl_add_u64 v[24:25], s[4:5], 1, v[2:3]
	s_cselect_b32 s4, s11, 0x380
	s_ashr_i32 s5, s4, 31
	s_cmpk_lt_i32 s56, 0x801
	v_lshl_add_u64 v[26:27], s[4:5], 1, v[2:3]
	s_cselect_b32 s4, s11, 0x400
	s_ashr_i32 s5, s4, 31
	s_cmpk_lt_i32 s56, 0x901
	global_load_ushort v23, v[4:5], off
	global_load_ushort v22, v[6:7], off
	;; [unrolled: 1-line block ×8, first 2 shown]
	v_lshl_add_u64 v[4:5], s[4:5], 1, v[2:3]
	s_cselect_b32 s4, s11, 0x480
	s_ashr_i32 s5, s4, 31
	s_cmpk_lt_i32 s56, 0xa01
	v_lshl_add_u64 v[6:7], s[4:5], 1, v[2:3]
	s_cselect_b32 s4, s11, 0x500
	s_ashr_i32 s5, s4, 31
	s_cmpk_lt_i32 s56, 0xb01
	;; [unrolled: 4-line block ×6, first 2 shown]
	v_lshl_add_u64 v[32:33], s[4:5], 1, v[2:3]
	s_cselect_b32 s4, s11, 0x780
	s_ashr_i32 s5, s4, 31
	v_lshl_add_u64 v[34:35], s[4:5], 1, v[2:3]
	global_load_ushort v30, v[4:5], off
	global_load_ushort v31, v[6:7], off
	;; [unrolled: 1-line block ×8, first 2 shown]
	s_cmpk_gt_i32 s56, 0x1000
	s_cselect_b64 s[8:9], -1, 0
	s_cmpk_lt_i32 s56, 0x1001
	v_mov_b32_e32 v40, 0
	v_mov_b32_e32 v41, 0
	;; [unrolled: 1-line block ×48, first 2 shown]
	s_barrier
	s_cbranch_scc1 .LBB609_12
; %bb.10:
	s_cmpk_lt_u32 s56, 0x1101
	s_cselect_b32 s4, s11, 0x880
	s_ashr_i32 s5, s4, 31
	s_cmpk_lt_u32 s56, 0x1201
	v_lshl_add_u64 v[6:7], s[4:5], 1, v[2:3]
	s_cselect_b32 s4, s11, 0x900
	s_ashr_i32 s5, s4, 31
	s_cmpk_lt_u32 s56, 0x1301
	v_lshl_add_u64 v[8:9], s[4:5], 1, v[2:3]
	;; [unrolled: 4-line block ×7, first 2 shown]
	s_cselect_b32 s4, s11, 0xc00
	v_add_co_u32_e32 v4, vcc, 0x1000, v2
	s_ashr_i32 s5, s4, 31
	s_nop 0
	v_addc_co_u32_e32 v5, vcc, 0, v3, vcc
	s_cmpk_lt_u32 s56, 0x1901
	global_load_ushort v39, v[4:5], off
	global_load_ushort v38, v[6:7], off
	;; [unrolled: 1-line block ×8, first 2 shown]
	v_lshl_add_u64 v[4:5], s[4:5], 1, v[2:3]
	s_cselect_b32 s4, s11, 0xc80
	s_ashr_i32 s5, s4, 31
	s_cmpk_lt_u32 s56, 0x1a01
	v_lshl_add_u64 v[6:7], s[4:5], 1, v[2:3]
	s_cselect_b32 s4, s11, 0xd00
	s_ashr_i32 s5, s4, 31
	s_cmpk_lt_u32 s56, 0x1b01
	;; [unrolled: 4-line block ×6, first 2 shown]
	v_lshl_add_u64 v[48:49], s[4:5], 1, v[2:3]
	s_cselect_b32 s4, s11, 0xf80
	s_ashr_i32 s5, s4, 31
	v_lshl_add_u64 v[50:51], s[4:5], 1, v[2:3]
	global_load_ushort v47, v[4:5], off
	global_load_ushort v46, v[6:7], off
	;; [unrolled: 1-line block ×8, first 2 shown]
	s_cmpk_lt_u32 s56, 0x2001
	v_mov_b32_e32 v67, 0
	v_mov_b32_e32 v65, 0
	;; [unrolled: 1-line block ×32, first 2 shown]
	s_cbranch_scc1 .LBB609_12
; %bb.11:
	s_cmpk_lt_u32 s56, 0x2101
	s_cselect_b32 s4, s11, 0x1080
	s_ashr_i32 s5, s4, 31
	s_cmpk_lt_u32 s56, 0x2201
	v_lshl_add_u64 v[4:5], s[4:5], 1, v[2:3]
	s_cselect_b32 s4, s11, 0x1100
	s_ashr_i32 s5, s4, 31
	s_cmpk_lt_u32 s56, 0x2301
	v_lshl_add_u64 v[6:7], s[4:5], 1, v[2:3]
	s_cselect_b32 s4, s11, 0x1180
	s_ashr_i32 s5, s4, 31
	s_cmpk_lt_u32 s56, 0x2401
	v_lshl_add_u64 v[8:9], s[4:5], 1, v[2:3]
	s_cselect_b32 s4, s11, 0x1200
	s_ashr_i32 s5, s4, 31
	s_cmpk_lt_u32 s56, 0x2501
	v_lshl_add_u64 v[10:11], s[4:5], 1, v[2:3]
	s_cselect_b32 s4, s11, 0x1280
	s_ashr_i32 s5, s4, 31
	s_cmpk_lt_u32 s56, 0x2601
	v_lshl_add_u64 v[12:13], s[4:5], 1, v[2:3]
	s_cselect_b32 s4, s11, 0x1300
	s_ashr_i32 s5, s4, 31
	s_cmpk_lt_u32 s56, 0x2701
	v_lshl_add_u64 v[14:15], s[4:5], 1, v[2:3]
	s_cselect_b32 s4, s11, 0x1380
	s_ashr_i32 s5, s4, 31
	s_cmpk_lt_u32 s56, 0x2801
	v_lshl_add_u64 v[48:49], s[4:5], 1, v[2:3]
	s_cselect_b32 s4, s11, 0x1400
	s_ashr_i32 s5, s4, 31
	s_cmpk_lt_u32 s56, 0x2901
	v_lshl_add_u64 v[50:51], s[4:5], 1, v[2:3]
	s_cselect_b32 s4, s11, 0x1480
	s_ashr_i32 s5, s4, 31
	s_cmpk_lt_u32 s56, 0x2a01
	v_lshl_add_u64 v[52:53], s[4:5], 1, v[2:3]
	s_cselect_b32 s4, s11, 0x1500
	s_ashr_i32 s5, s4, 31
	s_cmpk_lt_u32 s56, 0x2b01
	v_lshl_add_u64 v[54:55], s[4:5], 1, v[2:3]
	s_cselect_b32 s4, s11, 0x1580
	s_ashr_i32 s5, s4, 31
	s_cmpk_lt_u32 s56, 0x2c01
	v_lshl_add_u64 v[56:57], s[4:5], 1, v[2:3]
	s_cselect_b32 s4, s11, 0x1600
	s_ashr_i32 s5, s4, 31
	s_cmpk_lt_u32 s56, 0x2d01
	v_lshl_add_u64 v[58:59], s[4:5], 1, v[2:3]
	s_cselect_b32 s4, s11, 0x1680
	s_ashr_i32 s5, s4, 31
	s_cmpk_lt_u32 s56, 0x2e01
	v_lshl_add_u64 v[60:61], s[4:5], 1, v[2:3]
	s_cselect_b32 s4, s11, 0x1700
	s_ashr_i32 s5, s4, 31
	s_cmpk_lt_u32 s56, 0x2f01
	v_lshl_add_u64 v[62:63], s[4:5], 1, v[2:3]
	s_cselect_b32 s4, s11, 0x1780
	s_ashr_i32 s5, s4, 31
	s_cmpk_lt_u32 s56, 0x3001
	v_lshl_add_u64 v[64:65], s[4:5], 1, v[2:3]
	s_cselect_b32 s4, s11, 0x1800
	s_ashr_i32 s5, s4, 31
	s_cmpk_lt_u32 s56, 0x3101
	v_lshl_add_u64 v[66:67], s[4:5], 1, v[2:3]
	s_cselect_b32 s4, s11, 0x1880
	s_ashr_i32 s5, s4, 31
	s_cmpk_lt_u32 s56, 0x3201
	v_lshl_add_u64 v[68:69], s[4:5], 1, v[2:3]
	s_cselect_b32 s4, s11, 0x1900
	s_ashr_i32 s5, s4, 31
	s_cmpk_lt_u32 s56, 0x3301
	v_lshl_add_u64 v[70:71], s[4:5], 1, v[2:3]
	s_cselect_b32 s4, s11, 0x1980
	s_ashr_i32 s5, s4, 31
	s_cmpk_lt_u32 s56, 0x3401
	v_lshl_add_u64 v[72:73], s[4:5], 1, v[2:3]
	s_cselect_b32 s4, s11, 0x1a00
	s_ashr_i32 s5, s4, 31
	s_cmpk_lt_u32 s56, 0x3501
	v_lshl_add_u64 v[74:75], s[4:5], 1, v[2:3]
	s_cselect_b32 s4, s11, 0x1a80
	s_ashr_i32 s5, s4, 31
	s_cmpk_lt_u32 s56, 0x3601
	v_lshl_add_u64 v[76:77], s[4:5], 1, v[2:3]
	s_cselect_b32 s4, s11, 0x1b00
	s_ashr_i32 s5, s4, 31
	s_cmpk_lt_u32 s56, 0x3701
	v_lshl_add_u64 v[78:79], s[4:5], 1, v[2:3]
	s_cselect_b32 s4, s11, 0x1b80
	s_ashr_i32 s5, s4, 31
	s_cmpk_lt_u32 s56, 0x3801
	v_lshl_add_u64 v[80:81], s[4:5], 1, v[2:3]
	s_cselect_b32 s4, s11, 0x1c00
	s_ashr_i32 s5, s4, 31
	s_cmpk_lt_u32 s56, 0x3901
	v_lshl_add_u64 v[82:83], s[4:5], 1, v[2:3]
	s_cselect_b32 s4, s11, 0x1c80
	s_ashr_i32 s5, s4, 31
	s_cmpk_lt_u32 s56, 0x3a01
	v_lshl_add_u64 v[84:85], s[4:5], 1, v[2:3]
	s_cselect_b32 s4, s11, 0x1d00
	s_ashr_i32 s5, s4, 31
	s_cmpk_lt_u32 s56, 0x3b01
	v_lshl_add_u64 v[86:87], s[4:5], 1, v[2:3]
	s_cselect_b32 s4, s11, 0x1d80
	s_ashr_i32 s5, s4, 31
	s_cmpk_lt_u32 s56, 0x3c01
	v_lshl_add_u64 v[88:89], s[4:5], 1, v[2:3]
	s_cselect_b32 s4, s11, 0x1e00
	s_ashr_i32 s5, s4, 31
	s_cmpk_lt_u32 s56, 0x3d01
	v_lshl_add_u64 v[90:91], s[4:5], 1, v[2:3]
	s_cselect_b32 s4, s11, 0x1e80
	s_ashr_i32 s5, s4, 31
	s_cmpk_lt_u32 s56, 0x3e01
	v_lshl_add_u64 v[92:93], s[4:5], 1, v[2:3]
	s_cselect_b32 s4, s11, 0x1f00
	s_ashr_i32 s5, s4, 31
	v_lshl_add_u64 v[94:95], s[4:5], 1, v[2:3]
	s_movk_i32 s4, 0x2000
	s_cmpk_lt_u32 s56, 0x3f01
	v_add_co_u32_e32 v96, vcc, s4, v2
	s_cselect_b32 s4, s11, 0x1f80
	s_nop 0
	v_addc_co_u32_e32 v97, vcc, 0, v3, vcc
	s_ashr_i32 s5, s4, 31
	global_load_ushort v98, v[96:97], off
	global_load_ushort v99, v[4:5], off
	;; [unrolled: 1-line block ×15, first 2 shown]
                                        ; kill: killed $vgpr48_vgpr49
                                        ; kill: killed $vgpr54_vgpr55
                                        ; kill: killed $vgpr6_vgpr7
                                        ; kill: killed $vgpr60_vgpr61
                                        ; kill: killed $vgpr12_vgpr13
                                        ; kill: killed $vgpr50_vgpr51
                                        ; kill: killed $vgpr56_vgpr57
                                        ; kill: killed $vgpr8_vgpr9
                                        ; kill: killed $vgpr62_vgpr63
                                        ; kill: killed $vgpr14_vgpr15
                                        ; kill: killed $vgpr96 killed $vgpr97
                                        ; kill: killed $vgpr52_vgpr53
                                        ; kill: killed $vgpr4_vgpr5
                                        ; kill: killed $vgpr58_vgpr59
                                        ; kill: killed $vgpr10_vgpr11
	global_load_ushort v6, v[64:65], off
	global_load_ushort v7, v[66:67], off
	;; [unrolled: 1-line block ×15, first 2 shown]
                                        ; kill: killed $vgpr80_vgpr81
                                        ; kill: killed $vgpr64_vgpr65
                                        ; kill: killed $vgpr70_vgpr71
                                        ; kill: killed $vgpr92_vgpr93
                                        ; kill: killed $vgpr76_vgpr77
                                        ; kill: killed $vgpr82_vgpr83
                                        ; kill: killed $vgpr66_vgpr67
                                        ; kill: killed $vgpr88_vgpr89
                                        ; kill: killed $vgpr72_vgpr73
                                        ; kill: killed $vgpr94_vgpr95
                                        ; kill: killed $vgpr78_vgpr79
                                        ; kill: killed $vgpr84_vgpr85
                                        ; kill: killed $vgpr68_vgpr69
                                        ; kill: killed $vgpr90_vgpr91
                                        ; kill: killed $vgpr74_vgpr75
	global_load_ushort v68, v[86:87], off
	v_lshl_add_u64 v[4:5], s[4:5], 1, v[2:3]
	global_load_ushort v5, v[4:5], off
	s_waitcnt vmcnt(31)
	v_lshlrev_b32_e32 v67, 16, v98
	s_waitcnt vmcnt(30)
	v_lshlrev_b32_e32 v65, 16, v99
	;; [unrolled: 2-line block ×32, first 2 shown]
.LBB609_12:
	s_load_dwordx2 s[4:5], s[0:1], 0x0
	s_load_dwordx2 s[6:7], s[0:1], 0x38
	ds_read_b128 v[68:71], v1
	s_waitcnt vmcnt(15)
	v_lshlrev_b32_e32 v23, 16, v23
	ds_read_b128 v[72:75], v1 offset:16
	ds_read_b128 v[76:79], v1 offset:32
	;; [unrolled: 1-line block ×3, first 2 shown]
	s_waitcnt vmcnt(14)
	v_lshlrev_b32_e32 v22, 16, v22
	s_waitcnt vmcnt(13)
	v_lshlrev_b32_e32 v21, 16, v21
	s_waitcnt lgkmcnt(0)
	v_fma_f32 v23, v68, v23, 0
	v_fmac_f32_e32 v23, v69, v22
	v_fmac_f32_e32 v23, v70, v21
	s_waitcnt vmcnt(12)
	v_lshlrev_b32_e32 v20, 16, v20
	s_waitcnt vmcnt(10)
	v_lshlrev_b32_e32 v19, 16, v19
	v_lshlrev_b32_e32 v18, 16, v18
	v_fmac_f32_e32 v23, v71, v20
	v_pk_mul_f32 v[18:19], v[72:73], v[18:19]
	s_waitcnt vmcnt(8)
	v_lshlrev_b32_e32 v17, 16, v17
	v_add_f32_e32 v18, v23, v18
	v_lshlrev_b32_e32 v16, 16, v16
	v_add_f32_e32 v18, v18, v19
	v_pk_mul_f32 v[16:17], v[74:75], v[16:17]
	s_and_b64 vcc, exec, s[8:9]
	v_add_f32_e32 v16, v18, v16
	v_add_f32_e32 v18, v16, v17
	s_waitcnt vmcnt(6)
	v_lshlrev_b32_e32 v17, 16, v31
	v_lshlrev_b32_e32 v16, 16, v30
	v_pk_mul_f32 v[16:17], v[76:77], v[16:17]
	s_nop 0
	v_add_f32_e32 v16, v18, v16
	v_add_f32_e32 v18, v16, v17
	s_waitcnt vmcnt(4)
	v_lshlrev_b32_e32 v17, 16, v29
	v_lshlrev_b32_e32 v16, 16, v28
	v_pk_mul_f32 v[16:17], v[78:79], v[16:17]
	s_nop 0
	;; [unrolled: 7-line block ×4, first 2 shown]
	v_add_f32_e32 v16, v18, v16
	v_add_f32_e32 v110, v16, v17
	s_cbranch_vccz .LBB609_15
; %bb.13:
	ds_read_b128 v[16:19], v1 offset:64
	v_lshlrev_b32_e32 v39, 16, v39
	ds_read_b128 v[20:23], v1 offset:80
	ds_read_b128 v[24:27], v1 offset:96
	ds_read_b128 v[28:31], v1 offset:112
	s_cmpk_lt_u32 s56, 0x2001
	s_waitcnt lgkmcnt(3)
	v_fmac_f32_e32 v110, v16, v39
	v_lshlrev_b32_e32 v16, 16, v38
	v_fmac_f32_e32 v110, v17, v16
	v_lshlrev_b32_e32 v16, 16, v37
	v_fmac_f32_e32 v110, v18, v16
	v_lshlrev_b32_e32 v16, 16, v36
	v_fmac_f32_e32 v110, v19, v16
	v_lshlrev_b32_e32 v16, 16, v35
	s_waitcnt lgkmcnt(2)
	v_fmac_f32_e32 v110, v20, v16
	v_lshlrev_b32_e32 v16, 16, v34
	v_fmac_f32_e32 v110, v21, v16
	v_lshlrev_b32_e32 v16, 16, v33
	v_fmac_f32_e32 v110, v22, v16
	v_lshlrev_b32_e32 v16, 16, v32
	v_fmac_f32_e32 v110, v23, v16
	v_lshlrev_b32_e32 v16, 16, v47
	;; [unrolled: 9-line block ×3, first 2 shown]
	s_waitcnt lgkmcnt(0)
	v_fmac_f32_e32 v110, v28, v16
	v_lshlrev_b32_e32 v16, 16, v42
	v_fmac_f32_e32 v110, v29, v16
	v_lshlrev_b32_e32 v16, 16, v41
	;; [unrolled: 2-line block ×3, first 2 shown]
	v_fmac_f32_e32 v110, v31, v16
	s_cbranch_scc1 .LBB609_15
; %bb.14:
	v_mov_b32_e32 v32, 0
	ds_read_b128 v[16:19], v32 offset:128
	ds_read_b128 v[20:23], v32 offset:144
	;; [unrolled: 1-line block ×4, first 2 shown]
	s_waitcnt lgkmcnt(3)
	v_fmac_f32_e32 v110, v16, v67
	v_fmac_f32_e32 v110, v17, v65
	v_fmac_f32_e32 v110, v18, v66
	v_fmac_f32_e32 v110, v19, v63
	s_waitcnt lgkmcnt(2)
	v_fmac_f32_e32 v110, v20, v64
	v_fmac_f32_e32 v110, v21, v61
	v_fmac_f32_e32 v110, v22, v62
	v_fmac_f32_e32 v110, v23, v59
	;; [unrolled: 5-line block ×3, first 2 shown]
	ds_read_b128 v[16:19], v32 offset:192
	ds_read_b128 v[20:23], v32 offset:208
	s_waitcnt lgkmcnt(2)
	v_fmac_f32_e32 v110, v28, v56
	v_fmac_f32_e32 v110, v29, v53
	;; [unrolled: 1-line block ×4, first 2 shown]
	s_waitcnt lgkmcnt(1)
	v_fmac_f32_e32 v110, v16, v51
	v_fmac_f32_e32 v110, v17, v49
	;; [unrolled: 1-line block ×4, first 2 shown]
	s_waitcnt lgkmcnt(0)
	v_pk_mul_f32 v[14:15], v[20:21], v[14:15]
	v_pk_mul_f32 v[12:13], v[22:23], v[12:13]
	v_add_f32_e32 v14, v110, v14
	v_add_f32_e32 v18, v14, v15
	ds_read_b128 v[14:17], v32 offset:224
	v_add_f32_e32 v12, v18, v12
	ds_read_b128 v[18:21], v32 offset:240
	v_add_f32_e32 v12, v12, v13
	s_waitcnt lgkmcnt(1)
	v_pk_mul_f32 v[10:11], v[14:15], v[10:11]
	s_nop 0
	v_add_f32_e32 v10, v12, v10
	v_add_f32_e32 v10, v10, v11
	v_pk_mul_f32 v[8:9], v[16:17], v[8:9]
	s_waitcnt lgkmcnt(0)
	v_pk_mul_f32 v[6:7], v[18:19], v[6:7]
	v_add_f32_e32 v8, v10, v8
	v_add_f32_e32 v8, v8, v9
	;; [unrolled: 1-line block ×4, first 2 shown]
	v_pk_mul_f32 v[4:5], v[20:21], v[4:5]
	s_nop 0
	v_add_f32_e32 v4, v6, v4
	v_add_f32_e32 v110, v4, v5
.LBB609_15:
	s_movk_i32 s0, 0x3f80
	s_movk_i32 s1, 0x100
	s_mov_b32 s8, 64
	s_branch .LBB609_17
.LBB609_16:                             ;   in Loop: Header=BB609_17 Depth=1
	s_addk_i32 s0, 0x2000
	s_addk_i32 s1, 0x100
	s_add_i32 s8, s8, 64
	s_cmp_eq_u32 s0, 0x1df80
	s_cbranch_scc1 .LBB609_19
.LBB609_17:                             ; =>This Inner Loop Header: Depth=1
	s_cmp_le_i32 s33, s8
	s_cbranch_scc1 .LBB609_16
; %bb.18:                               ;   in Loop: Header=BB609_17 Depth=1
	s_add_i32 s9, s0, 0xffffe080
	s_cmp_lt_i32 s9, s10
	s_cselect_b32 s12, s9, s11
	s_ashr_i32 s13, s12, 31
	s_add_i32 s9, s0, 0xffffe100
	s_cmp_lt_i32 s9, s10
	v_lshl_add_u64 v[42:43], s[12:13], 1, v[2:3]
	s_cselect_b32 s12, s9, s11
	s_ashr_i32 s13, s12, 31
	s_add_i32 s9, s0, 0xffffe180
	s_cmp_lt_i32 s9, s10
	v_lshl_add_u64 v[4:5], s[12:13], 1, v[2:3]
	;; [unrolled: 5-line block ×21, first 2 shown]
	s_cselect_b32 s12, s9, s11
	s_ashr_i32 s13, s12, 31
	s_add_i32 s9, s0, 0xffffeb80
	s_cmp_lt_i32 s9, s10
	global_load_ushort v111, v[42:43], off
	global_load_ushort v121, v[44:45], off
	v_lshl_add_u64 v[32:33], s[12:13], 1, v[2:3]
	s_cselect_b32 s12, s9, s11
	global_load_ushort v112, v[4:5], off
	global_load_ushort v113, v[6:7], off
	;; [unrolled: 1-line block ×8, first 2 shown]
	s_ashr_i32 s13, s12, 31
	s_add_i32 s9, s0, 0xffffec00
	s_cmp_lt_i32 s9, s10
	v_lshl_add_u64 v[34:35], s[12:13], 1, v[2:3]
	s_cselect_b32 s12, s9, s11
	s_ashr_i32 s13, s12, 31
	s_add_i32 s9, s0, 0xffffec80
	s_cmp_lt_i32 s9, s10
	v_lshl_add_u64 v[48:49], s[12:13], 1, v[2:3]
	s_cselect_b32 s12, s9, s11
	;; [unrolled: 5-line block ×3, first 2 shown]
	global_load_ushort v120, v[28:29], off
	s_ashr_i32 s13, s12, 31
	s_add_i32 s9, s0, 0xffffed80
	s_cmp_lt_i32 s9, s10
	global_load_ushort v122, v[54:55], off
	global_load_ushort v123, v[56:57], off
	v_lshl_add_u64 v[18:19], s[12:13], 1, v[2:3]
	global_load_ushort v58, v[58:59], off
	s_cselect_b32 s12, s9, s11
	s_ashr_i32 s13, s12, 31
	s_add_i32 s9, s0, 0xffffee00
	s_cmp_lt_i32 s9, s10
	v_lshl_add_u64 v[20:21], s[12:13], 1, v[2:3]
	s_cselect_b32 s12, s9, s11
	s_ashr_i32 s13, s12, 31
	s_add_i32 s9, s0, 0xffffee80
	s_cmp_lt_i32 s9, s10
	v_lshl_add_u64 v[38:39], s[12:13], 1, v[2:3]
	;; [unrolled: 5-line block ×3, first 2 shown]
	s_cselect_b32 s12, s9, s11
	global_load_ushort v59, v[60:61], off
	s_ashr_i32 s13, s12, 31
	s_add_i32 s9, s0, 0xffffef80
	global_load_ushort v60, v[66:67], off
	global_load_ushort v61, v[62:63], off
	s_cmp_lt_i32 s9, s10
	v_lshl_add_u64 v[50:51], s[12:13], 1, v[2:3]
	s_cselect_b32 s12, s9, s11
	s_ashr_i32 s13, s12, 31
	s_add_i32 s9, s0, 0xfffff000
	s_cmp_lt_i32 s9, s10
	v_lshl_add_u64 v[52:53], s[12:13], 1, v[2:3]
	s_cselect_b32 s12, s9, s11
	s_ashr_i32 s13, s12, 31
	s_add_i32 s9, s0, 0xfffff080
	s_cmp_lt_i32 s9, s10
	v_lshl_add_u64 v[64:65], s[12:13], 1, v[2:3]
	s_cselect_b32 s12, s9, s11
	s_ashr_i32 s13, s12, 31
	s_add_i32 s9, s0, 0xfffff100
	s_cmp_lt_i32 s9, s10
	v_lshl_add_u64 v[68:69], s[12:13], 1, v[2:3]
	s_cselect_b32 s12, s9, s11
	global_load_ushort v62, v[24:25], off
	s_ashr_i32 s13, s12, 31
	s_add_i32 s9, s0, 0xfffff180
	global_load_ushort v66, v[30:31], off
	global_load_ushort v124, v[32:33], off
	;; [unrolled: 1-line block ×4, first 2 shown]
	s_cmp_lt_i32 s9, s10
	v_lshl_add_u64 v[70:71], s[12:13], 1, v[2:3]
	s_cselect_b32 s12, s9, s11
	global_load_ushort v67, v[46:47], off
	s_ashr_i32 s13, s12, 31
	s_add_i32 s9, s0, 0xfffff200
	s_cmp_lt_i32 s9, s10
	v_lshl_add_u64 v[72:73], s[12:13], 1, v[2:3]
	s_cselect_b32 s12, s9, s11
	s_ashr_i32 s13, s12, 31
	s_add_i32 s9, s0, 0xfffff280
	s_cmp_lt_i32 s9, s10
	v_lshl_add_u64 v[74:75], s[12:13], 1, v[2:3]
	s_cselect_b32 s12, s9, s11
	s_ashr_i32 s13, s12, 31
	s_add_i32 s9, s0, 0xfffff300
	s_cmp_lt_i32 s9, s10
	v_mov_b32_e32 v125, s1
	v_lshl_add_u64 v[76:77], s[12:13], 1, v[2:3]
	s_cselect_b32 s12, s9, s11
	ds_read_b128 v[28:31], v125
	ds_read_b128 v[32:35], v125 offset:16
	global_load_ushort v48, v[48:49], off
	s_ashr_i32 s13, s12, 31
	s_add_i32 s9, s0, 0xfffff380
	s_cmp_lt_i32 s9, s10
	v_lshl_add_u64 v[78:79], s[12:13], 1, v[2:3]
	s_cselect_b32 s12, s9, s11
	ds_read_b128 v[44:47], v125 offset:32
	ds_read_b128 v[54:57], v125 offset:48
	global_load_ushort v36, v[36:37], off
	s_ashr_i32 s13, s12, 31
	v_lshl_add_u64 v[80:81], s[12:13], 1, v[2:3]
	global_load_ushort v49, v[80:81], off
	global_load_ushort v37, v[18:19], off
	s_add_i32 s9, s0, 0xfffff400
	global_load_ushort v38, v[38:39], off
	s_cmp_lt_i32 s9, s10
	s_cselect_b32 s12, s9, s11
	s_ashr_i32 s13, s12, 31
	s_add_i32 s9, s0, 0xfffff480
	s_cmp_lt_i32 s9, s10
	v_lshl_add_u64 v[82:83], s[12:13], 1, v[2:3]
	s_cselect_b32 s12, s9, s11
	s_ashr_i32 s13, s12, 31
	s_add_i32 s9, s0, 0xfffff500
	s_cmp_lt_i32 s9, s10
	v_lshl_add_u64 v[84:85], s[12:13], 1, v[2:3]
	;; [unrolled: 5-line block ×5, first 2 shown]
	s_cselect_b32 s12, s9, s11
	s_ashr_i32 s13, s12, 31
	s_add_i32 s9, s0, 0xfffff700
	s_waitcnt vmcnt(27)
	v_lshlrev_b32_e32 v111, 16, v111
	s_cmp_lt_i32 s9, s10
	s_waitcnt lgkmcnt(3)
	v_fmac_f32_e32 v110, v28, v111
	s_waitcnt vmcnt(25)
	v_lshlrev_b32_e32 v28, 16, v112
	v_lshl_add_u64 v[92:93], s[12:13], 1, v[2:3]
	s_cselect_b32 s12, s9, s11
	v_fmac_f32_e32 v110, v29, v28
	s_waitcnt vmcnt(24)
	v_lshlrev_b32_e32 v28, 16, v113
	s_ashr_i32 s13, s12, 31
	s_add_i32 s9, s0, 0xfffff780
	v_fmac_f32_e32 v110, v30, v28
	s_waitcnt vmcnt(23)
	v_lshlrev_b32_e32 v28, 16, v114
	s_cmp_lt_i32 s9, s10
	v_fmac_f32_e32 v110, v31, v28
	s_waitcnt vmcnt(22)
	v_lshlrev_b32_e32 v18, 16, v115
	v_lshl_add_u64 v[94:95], s[12:13], 1, v[2:3]
	s_cselect_b32 s12, s9, s11
	s_waitcnt lgkmcnt(2)
	v_fmac_f32_e32 v110, v32, v18
	global_load_ushort v32, v[20:21], off
	s_ashr_i32 s13, s12, 31
	s_add_i32 s9, s0, 0xfffff800
	s_waitcnt vmcnt(22)
	v_lshlrev_b32_e32 v18, 16, v116
	s_cmp_lt_i32 s9, s10
	v_fmac_f32_e32 v110, v33, v18
	global_load_ushort v33, v[40:41], off
	s_waitcnt vmcnt(22)
	v_lshlrev_b32_e32 v18, 16, v117
	v_lshl_add_u64 v[96:97], s[12:13], 1, v[2:3]
	s_cselect_b32 s12, s9, s11
	v_fmac_f32_e32 v110, v34, v18
	global_load_ushort v34, v[50:51], off
	s_waitcnt vmcnt(22)
	v_lshlrev_b32_e32 v18, 16, v118
	s_ashr_i32 s13, s12, 31
	s_add_i32 s9, s0, 0xfffff880
	v_fmac_f32_e32 v110, v35, v18
	global_load_ushort v35, v[52:53], off
	global_load_ushort v39, v[64:65], off
	s_waitcnt vmcnt(23)
	v_lshlrev_b32_e32 v18, 16, v119
	s_cmp_lt_i32 s9, s10
	s_waitcnt lgkmcnt(1)
	v_fmac_f32_e32 v110, v44, v18
	global_load_ushort v44, v[72:73], off
	s_waitcnt vmcnt(23)
	v_lshlrev_b32_e32 v18, 16, v120
	v_lshl_add_u64 v[98:99], s[12:13], 1, v[2:3]
	s_cselect_b32 s12, s9, s11
	v_fmac_f32_e32 v110, v45, v18
	v_lshlrev_b32_e32 v18, 16, v121
	s_ashr_i32 s13, s12, 31
	s_add_i32 s9, s0, 0xfffff900
	v_fmac_f32_e32 v110, v46, v18
	global_load_ushort v46, v[76:77], off
	s_waitcnt vmcnt(23)
	v_lshlrev_b32_e32 v18, 16, v122
	s_cmp_lt_i32 s9, s10
	v_fmac_f32_e32 v110, v47, v18
	s_waitcnt vmcnt(22)
	v_lshlrev_b32_e32 v18, 16, v123
	v_lshl_add_u64 v[102:103], s[12:13], 1, v[2:3]
	s_cselect_b32 s12, s9, s11
	s_waitcnt lgkmcnt(0)
	v_fmac_f32_e32 v110, v54, v18
	global_load_ushort v54, v[88:89], off
	global_load_ushort v40, v[68:69], off
	;; [unrolled: 1-line block ×8, first 2 shown]
	s_ashr_i32 s13, s12, 31
	s_add_i32 s9, s0, 0xfffff980
	s_cmp_lt_i32 s9, s10
	v_lshl_add_u64 v[104:105], s[12:13], 1, v[2:3]
	s_cselect_b32 s12, s9, s11
	s_ashr_i32 s13, s12, 31
	s_add_i32 s9, s0, 0xfffffa00
	s_cmp_lt_i32 s9, s10
	v_lshl_add_u64 v[106:107], s[12:13], 1, v[2:3]
	s_cselect_b32 s12, s9, s11
	s_ashr_i32 s13, s12, 31
	s_add_i32 s9, s0, 0xfffffa80
	s_waitcnt vmcnt(29)
	v_lshlrev_b32_e32 v18, 16, v58
	s_cmp_lt_i32 s9, s10
	v_fmac_f32_e32 v110, v55, v18
	global_load_ushort v55, v[90:91], off
	s_waitcnt vmcnt(29)
	v_lshlrev_b32_e32 v18, 16, v59
	v_lshl_add_u64 v[100:101], s[12:13], 1, v[2:3]
	s_cselect_b32 s12, s9, s11
	v_fmac_f32_e32 v110, v56, v18
	s_waitcnt vmcnt(28)
	v_lshlrev_b32_e32 v18, 16, v60
	s_ashr_i32 s13, s12, 31
	s_add_i32 s9, s0, 0xfffffb00
	v_fmac_f32_e32 v110, v57, v18
	ds_read_b128 v[18:21], v125 offset:64
	ds_read_b128 v[28:31], v125 offset:80
	s_cmp_lt_i32 s9, s10
	v_lshl_add_u64 v[42:43], s[12:13], 1, v[2:3]
	s_cselect_b32 s12, s9, s11
	s_ashr_i32 s13, s12, 31
	s_add_i32 s9, s0, 0xfffffb80
	s_cmp_lt_i32 s9, s10
	s_waitcnt vmcnt(27)
	v_lshlrev_b32_e32 v53, 16, v61
	v_lshl_add_u64 v[108:109], s[12:13], 1, v[2:3]
	s_cselect_b32 s12, s9, s11
	s_waitcnt lgkmcnt(1)
	v_fmac_f32_e32 v110, v18, v53
	global_load_ushort v53, v[92:93], off
	global_load_ushort v56, v[94:95], off
	;; [unrolled: 1-line block ×6, first 2 shown]
	s_ashr_i32 s13, s12, 31
	s_add_i32 s9, s0, 0xfffffc00
	s_cmp_lt_i32 s9, s10
	v_lshl_add_u64 v[4:5], s[12:13], 1, v[2:3]
	s_cselect_b32 s12, s9, s11
	s_ashr_i32 s13, s12, 31
	s_add_i32 s9, s0, 0xfffffc80
	s_cmp_lt_i32 s9, s10
	s_waitcnt vmcnt(32)
	v_lshlrev_b32_e32 v18, 16, v62
	v_lshl_add_u64 v[6:7], s[12:13], 1, v[2:3]
	s_cselect_b32 s12, s9, s11
	v_fmac_f32_e32 v110, v19, v18
	s_waitcnt vmcnt(28)
	v_lshlrev_b32_e32 v18, 16, v63
	s_ashr_i32 s13, s12, 31
	s_add_i32 s9, s0, 0xfffffd00
	v_fmac_f32_e32 v110, v20, v18
	v_lshlrev_b32_e32 v18, 16, v66
	s_cmp_lt_i32 s9, s10
	v_fmac_f32_e32 v110, v21, v18
	s_waitcnt vmcnt(27)
	v_lshlrev_b32_e32 v18, 16, v67
	v_lshl_add_u64 v[8:9], s[12:13], 1, v[2:3]
	s_cselect_b32 s12, s9, s11
	s_waitcnt lgkmcnt(0)
	v_fmac_f32_e32 v110, v28, v18
	global_load_ushort v28, v[106:107], off
	s_ashr_i32 s13, s12, 31
	s_add_i32 s9, s0, 0xfffffd80
	s_cmp_lt_i32 s9, s10
	global_load_ushort v61, v[100:101], off
	global_load_ushort v62, v[42:43], off
	;; [unrolled: 1-line block ×3, first 2 shown]
	v_lshl_add_u64 v[12:13], s[12:13], 1, v[2:3]
	s_cselect_b32 s12, s9, s11
	v_lshlrev_b32_e32 v18, 16, v124
	s_ashr_i32 s13, s12, 31
	s_add_i32 s9, s0, 0xfffffe00
	v_fmac_f32_e32 v110, v29, v18
	v_lshlrev_b32_e32 v18, 16, v126
	s_cmp_lt_i32 s9, s10
	v_fmac_f32_e32 v110, v30, v18
	global_load_ushort v29, v[4:5], off
	global_load_ushort v30, v[6:7], off
	v_lshl_add_u64 v[10:11], s[12:13], 1, v[2:3]
	s_cselect_b32 s12, s9, s11
	s_ashr_i32 s13, s12, 31
	s_add_i32 s9, s0, 0xfffffe80
	s_cmp_lt_i32 s9, s10
	s_waitcnt vmcnt(32)
	v_lshlrev_b32_e32 v4, 16, v48
	v_lshl_add_u64 v[22:23], s[12:13], 1, v[2:3]
	s_cselect_b32 s12, s9, s11
	v_fmac_f32_e32 v110, v31, v4
	ds_read_b128 v[4:7], v125 offset:96
	s_ashr_i32 s13, s12, 31
	s_add_i32 s9, s0, 0xffffff00
	s_cmp_lt_i32 s9, s10
	s_waitcnt vmcnt(31)
	v_lshlrev_b32_e32 v31, 16, v36
	global_load_ushort v36, v[8:9], off
	global_load_ushort v42, v[12:13], off
	v_lshl_add_u64 v[14:15], s[12:13], 1, v[2:3]
	s_cselect_b32 s12, s9, s11
	s_ashr_i32 s13, s12, 31
	s_add_i32 s9, s0, 0xffffff80
	s_cmp_lt_i32 s9, s10
	ds_read_b128 v[18:21], v125 offset:112
	s_waitcnt lgkmcnt(1)
	v_fmac_f32_e32 v110, v4, v31
	s_waitcnt vmcnt(31)
	v_lshlrev_b32_e32 v4, 16, v37
	global_load_ushort v31, v[10:11], off
	global_load_ushort v37, v[22:23], off
	v_lshl_add_u64 v[24:25], s[12:13], 1, v[2:3]
	s_cselect_b32 s12, s9, s11
	s_ashr_i32 s13, s12, 31
	s_cmp_lt_i32 s0, s10
	global_load_ushort v22, v[14:15], off
	global_load_ushort v23, v[24:25], off
	v_lshl_add_u64 v[16:17], s[12:13], 1, v[2:3]
	s_cselect_b32 s12, s0, s11
	s_ashr_i32 s13, s12, 31
	v_lshl_add_u64 v[26:27], s[12:13], 1, v[2:3]
	global_load_ushort v14, v[16:17], off
	global_load_ushort v15, v[26:27], off
	v_fmac_f32_e32 v110, v5, v4
	s_waitcnt vmcnt(35)
	v_lshlrev_b32_e32 v4, 16, v32
	v_fmac_f32_e32 v110, v6, v4
	v_lshlrev_b32_e32 v4, 16, v38
	v_fmac_f32_e32 v110, v7, v4
	s_waitcnt vmcnt(34)
	v_lshlrev_b32_e32 v4, 16, v33
	s_waitcnt lgkmcnt(0)
	v_fmac_f32_e32 v110, v18, v4
	s_waitcnt vmcnt(33)
	v_lshlrev_b32_e32 v4, 16, v34
	v_fmac_f32_e32 v110, v19, v4
	s_waitcnt vmcnt(32)
	v_lshlrev_b32_e32 v4, 16, v35
	v_fmac_f32_e32 v110, v20, v4
	ds_read_b128 v[4:7], v125 offset:128
	s_waitcnt vmcnt(31)
	v_lshlrev_b32_e32 v8, 16, v39
	v_fmac_f32_e32 v110, v21, v8
	ds_read_b128 v[8:11], v125 offset:144
	s_waitcnt vmcnt(27)
	v_lshlrev_b32_e32 v12, 16, v40
	s_waitcnt lgkmcnt(1)
	v_fmac_f32_e32 v110, v4, v12
	s_waitcnt vmcnt(26)
	v_lshlrev_b32_e32 v4, 16, v41
	v_fmac_f32_e32 v110, v5, v4
	v_lshlrev_b32_e32 v4, 16, v44
	v_fmac_f32_e32 v110, v6, v4
	s_waitcnt vmcnt(25)
	v_lshlrev_b32_e32 v4, 16, v45
	v_fmac_f32_e32 v110, v7, v4
	v_lshlrev_b32_e32 v4, 16, v46
	s_waitcnt lgkmcnt(0)
	v_fmac_f32_e32 v110, v8, v4
	s_waitcnt vmcnt(24)
	v_lshlrev_b32_e32 v4, 16, v47
	v_fmac_f32_e32 v110, v9, v4
	v_lshlrev_b32_e32 v4, 16, v49
	v_fmac_f32_e32 v110, v10, v4
	ds_read_b128 v[4:7], v125 offset:160
	s_waitcnt vmcnt(23)
	v_lshlrev_b32_e32 v8, 16, v50
	v_fmac_f32_e32 v110, v11, v8
	ds_read_b128 v[8:11], v125 offset:176
	s_waitcnt vmcnt(22)
	v_lshlrev_b32_e32 v12, 16, v51
	s_waitcnt lgkmcnt(1)
	v_fmac_f32_e32 v110, v4, v12
	s_waitcnt vmcnt(21)
	v_lshlrev_b32_e32 v4, 16, v52
	v_fmac_f32_e32 v110, v5, v4
	v_lshlrev_b32_e32 v4, 16, v54
	v_fmac_f32_e32 v110, v6, v4
	s_waitcnt vmcnt(20)
	v_lshlrev_b32_e32 v4, 16, v55
	v_fmac_f32_e32 v110, v7, v4
	s_waitcnt vmcnt(19)
	v_lshlrev_b32_e32 v4, 16, v53
	s_waitcnt lgkmcnt(0)
	v_fmac_f32_e32 v110, v8, v4
	s_waitcnt vmcnt(18)
	v_lshlrev_b32_e32 v4, 16, v56
	v_fmac_f32_e32 v110, v9, v4
	s_waitcnt vmcnt(17)
	v_lshlrev_b32_e32 v4, 16, v57
	v_fmac_f32_e32 v110, v10, v4
	ds_read_b128 v[4:7], v125 offset:192
	s_waitcnt vmcnt(16)
	v_lshlrev_b32_e32 v8, 16, v58
	v_fmac_f32_e32 v110, v11, v8
	ds_read_b128 v[8:11], v125 offset:208
	s_waitcnt vmcnt(15)
	v_lshlrev_b32_e32 v12, 16, v59
	s_waitcnt lgkmcnt(1)
	v_fmac_f32_e32 v110, v4, v12
	s_waitcnt vmcnt(14)
	v_lshlrev_b32_e32 v4, 16, v60
	v_fmac_f32_e32 v110, v5, v4
	s_waitcnt vmcnt(13)
	v_lshlrev_b32_e32 v4, 16, v28
	;; [unrolled: 3-line block ×4, first 2 shown]
	v_lshlrev_b32_e32 v4, 16, v62
	s_waitcnt lgkmcnt(0)
	v_pk_mul_f32 v[4:5], v[8:9], v[4:5]
	s_waitcnt vmcnt(6)
	v_lshlrev_b32_e32 v13, 16, v42
	v_add_f32_e32 v4, v110, v4
	v_add_f32_e32 v6, v4, v5
	v_lshlrev_b32_e32 v5, 16, v30
	v_lshlrev_b32_e32 v4, 16, v29
	v_pk_mul_f32 v[8:9], v[10:11], v[4:5]
	v_lshlrev_b32_e32 v12, 16, v36
	v_add_f32_e32 v8, v6, v8
	ds_read_b128 v[4:7], v125 offset:224
	v_add_f32_e32 v16, v8, v9
	ds_read_b128 v[8:11], v125 offset:240
	s_waitcnt lgkmcnt(1)
	v_pk_mul_f32 v[4:5], v[4:5], v[12:13]
	s_nop 0
	v_add_f32_e32 v4, v16, v4
	v_add_f32_e32 v12, v4, v5
	s_waitcnt vmcnt(4)
	v_lshlrev_b32_e32 v5, 16, v37
	v_lshlrev_b32_e32 v4, 16, v31
	v_pk_mul_f32 v[4:5], v[6:7], v[4:5]
	s_nop 0
	v_add_f32_e32 v4, v12, v4
	v_add_f32_e32 v6, v4, v5
	s_waitcnt vmcnt(2)
	v_lshlrev_b32_e32 v5, 16, v23
	v_lshlrev_b32_e32 v4, 16, v22
	s_waitcnt lgkmcnt(0)
	v_pk_mul_f32 v[4:5], v[8:9], v[4:5]
	s_nop 0
	v_add_f32_e32 v4, v6, v4
	v_add_f32_e32 v6, v4, v5
	s_waitcnt vmcnt(1)
	v_lshlrev_b32_e32 v4, 16, v14
	s_waitcnt vmcnt(0)
	v_lshlrev_b32_e32 v5, 16, v15
	v_pk_mul_f32 v[4:5], v[10:11], v[4:5]
	s_nop 0
	v_add_f32_e32 v4, v6, v4
	v_add_f32_e32 v110, v4, v5
	s_branch .LBB609_16
.LBB609_19:
	v_mov_b32_e32 v2, 0
	ds_read_b32 v2, v2 offset:3584
	s_cmp_lg_u64 s[6:7], 0
	s_cbranch_scc0 .LBB609_24
; %bb.20:
	s_load_dword s6, s[6:7], 0x0
	s_waitcnt lgkmcnt(0)
	v_div_scale_f32 v3, s[0:1], s6, s6, 1.0
	v_rcp_f32_e32 v4, v3
	v_div_scale_f32 v5, vcc, 1.0, s6, 1.0
	v_fma_f32 v6, -v3, v4, 1.0
	v_fmac_f32_e32 v4, v6, v4
	v_mul_f32_e32 v6, v5, v4
	v_fma_f32 v7, -v3, v6, v5
	v_fmac_f32_e32 v6, v7, v4
	v_fma_f32 v3, -v3, v6, v5
	v_div_fmas_f32 v3, v3, v4, v6
	v_div_fixup_f32 v3, v3, s6, 1.0
	s_andn2_b64 vcc, exec, s[46:47]
	s_cbranch_vccnz .LBB609_22
.LBB609_21:
	s_add_u32 s0, s44, s48
	s_addc_u32 s1, s45, s49
	s_load_dword s34, s[0:1], 0x0
	s_mov_b32 s35, 0
.LBB609_22:
	s_waitcnt lgkmcnt(0)
	v_add_f32_e32 v2, 0x358637bd, v2
	v_div_scale_f32 v4, s[0:1], v2, v2, 1.0
	v_rcp_f32_e32 v5, v4
	v_div_scale_f32 v6, vcc, 1.0, v2, 1.0
	s_mul_i32 s0, s3, s35
	v_fma_f32 v7, -v4, v5, 1.0
	v_fmac_f32_e32 v5, v7, v5
	v_mul_f32_e32 v7, v6, v5
	v_fma_f32 v8, -v4, v7, v6
	v_fmac_f32_e32 v7, v8, v5
	v_fma_f32 v4, -v4, v7, v6
	s_mul_hi_u32 s1, s3, s34
	v_div_fmas_f32 v4, v4, v5, v7
	s_add_i32 s1, s1, s0
	s_mul_i32 s0, s3, s34
	v_div_fixup_f32 v2, v4, v2, 1.0
	s_lshl_b64 s[0:1], s[0:1], 7
	v_mul_f32_e32 v2, v110, v2
	s_add_u32 s4, s4, s0
	s_mov_b32 s3, 0
	v_mul_f32_e32 v2, v2, v3
	s_addc_u32 s5, s5, s1
	s_lshl_b64 s[0:1], s[2:3], 7
	s_mov_b32 s2, 0x7f800000
	s_mov_b32 s3, 0x43700000
	v_mov_b32_e32 v3, 0xc3700000
	v_med3_f32 v3, v2, s3, v3
	v_cmp_nlg_f32_e64 vcc, |v2|, s2
	s_add_u32 s0, s4, s0
	s_addc_u32 s1, s5, s1
	v_cndmask_b32_e32 v2, v3, v2, vcc
	v_mov_b32_e32 v3, 0
	v_cvt_pk_fp8_f32 v3, v2, v2
	v_lshl_add_u64 v[0:1], s[0:1], 0, v[0:1]
	global_store_byte v[0:1], v3, off
	s_endpgm
.LBB609_23:
	s_mov_b64 s[6:7], 0
	s_branch .LBB609_2
.LBB609_24:
	v_mov_b32_e32 v3, 1.0
	s_andn2_b64 vcc, exec, s[46:47]
	s_cbranch_vccz .LBB609_21
	s_branch .LBB609_22
	.section	.rodata,"a",@progbits
	.p2align	6, 0x0
	.amdhsa_kernel _Z35paged_attention_ll4mi_reduce_kernelI14__hip_bfloat16hLi128ELi128ELi256ELi14EEvPT0_PKfS4_PKT_PKiS9_iS4_
		.amdhsa_group_segment_fixed_size 3588
		.amdhsa_private_segment_fixed_size 0
		.amdhsa_kernarg_size 320
		.amdhsa_user_sgpr_count 2
		.amdhsa_user_sgpr_dispatch_ptr 0
		.amdhsa_user_sgpr_queue_ptr 0
		.amdhsa_user_sgpr_kernarg_segment_ptr 1
		.amdhsa_user_sgpr_dispatch_id 0
		.amdhsa_user_sgpr_kernarg_preload_length 0
		.amdhsa_user_sgpr_kernarg_preload_offset 0
		.amdhsa_user_sgpr_private_segment_size 0
		.amdhsa_uses_dynamic_stack 0
		.amdhsa_enable_private_segment 0
		.amdhsa_system_sgpr_workgroup_id_x 1
		.amdhsa_system_sgpr_workgroup_id_y 1
		.amdhsa_system_sgpr_workgroup_id_z 0
		.amdhsa_system_sgpr_workgroup_info 0
		.amdhsa_system_vgpr_workitem_id 0
		.amdhsa_next_free_vgpr 127
		.amdhsa_next_free_sgpr 57
		.amdhsa_accum_offset 128
		.amdhsa_reserve_vcc 1
		.amdhsa_float_round_mode_32 0
		.amdhsa_float_round_mode_16_64 0
		.amdhsa_float_denorm_mode_32 3
		.amdhsa_float_denorm_mode_16_64 3
		.amdhsa_dx10_clamp 1
		.amdhsa_ieee_mode 1
		.amdhsa_fp16_overflow 0
		.amdhsa_tg_split 0
		.amdhsa_exception_fp_ieee_invalid_op 0
		.amdhsa_exception_fp_denorm_src 0
		.amdhsa_exception_fp_ieee_div_zero 0
		.amdhsa_exception_fp_ieee_overflow 0
		.amdhsa_exception_fp_ieee_underflow 0
		.amdhsa_exception_fp_ieee_inexact 0
		.amdhsa_exception_int_div_zero 0
	.end_amdhsa_kernel
	.section	.text._Z35paged_attention_ll4mi_reduce_kernelI14__hip_bfloat16hLi128ELi128ELi256ELi14EEvPT0_PKfS4_PKT_PKiS9_iS4_,"axG",@progbits,_Z35paged_attention_ll4mi_reduce_kernelI14__hip_bfloat16hLi128ELi128ELi256ELi14EEvPT0_PKfS4_PKT_PKiS9_iS4_,comdat
.Lfunc_end609:
	.size	_Z35paged_attention_ll4mi_reduce_kernelI14__hip_bfloat16hLi128ELi128ELi256ELi14EEvPT0_PKfS4_PKT_PKiS9_iS4_, .Lfunc_end609-_Z35paged_attention_ll4mi_reduce_kernelI14__hip_bfloat16hLi128ELi128ELi256ELi14EEvPT0_PKfS4_PKT_PKiS9_iS4_
                                        ; -- End function
	.section	.AMDGPU.csdata,"",@progbits
; Kernel info:
; codeLenInByte = 10576
; NumSgprs: 63
; NumVgprs: 127
; NumAgprs: 0
; TotalNumVgprs: 127
; ScratchSize: 0
; MemoryBound: 0
; FloatMode: 240
; IeeeMode: 1
; LDSByteSize: 3588 bytes/workgroup (compile time only)
; SGPRBlocks: 7
; VGPRBlocks: 15
; NumSGPRsForWavesPerEU: 63
; NumVGPRsForWavesPerEU: 127
; AccumOffset: 128
; Occupancy: 4
; WaveLimiterHint : 1
; COMPUTE_PGM_RSRC2:SCRATCH_EN: 0
; COMPUTE_PGM_RSRC2:USER_SGPR: 2
; COMPUTE_PGM_RSRC2:TRAP_HANDLER: 0
; COMPUTE_PGM_RSRC2:TGID_X_EN: 1
; COMPUTE_PGM_RSRC2:TGID_Y_EN: 1
; COMPUTE_PGM_RSRC2:TGID_Z_EN: 0
; COMPUTE_PGM_RSRC2:TIDIG_COMP_CNT: 0
; COMPUTE_PGM_RSRC3_GFX90A:ACCUM_OFFSET: 31
; COMPUTE_PGM_RSRC3_GFX90A:TG_SPLIT: 0
	.section	.text._Z35paged_attention_ll4mi_reduce_kernelI14__hip_bfloat16hLi128ELi128ELi256ELi15EEvPT0_PKfS4_PKT_PKiS9_iS4_,"axG",@progbits,_Z35paged_attention_ll4mi_reduce_kernelI14__hip_bfloat16hLi128ELi128ELi256ELi15EEvPT0_PKfS4_PKT_PKiS9_iS4_,comdat
	.protected	_Z35paged_attention_ll4mi_reduce_kernelI14__hip_bfloat16hLi128ELi128ELi256ELi15EEvPT0_PKfS4_PKT_PKiS9_iS4_ ; -- Begin function _Z35paged_attention_ll4mi_reduce_kernelI14__hip_bfloat16hLi128ELi128ELi256ELi15EEvPT0_PKfS4_PKT_PKiS9_iS4_
	.globl	_Z35paged_attention_ll4mi_reduce_kernelI14__hip_bfloat16hLi128ELi128ELi256ELi15EEvPT0_PKfS4_PKT_PKiS9_iS4_
	.p2align	8
	.type	_Z35paged_attention_ll4mi_reduce_kernelI14__hip_bfloat16hLi128ELi128ELi256ELi15EEvPT0_PKfS4_PKT_PKiS9_iS4_,@function
_Z35paged_attention_ll4mi_reduce_kernelI14__hip_bfloat16hLi128ELi128ELi256ELi15EEvPT0_PKfS4_PKT_PKiS9_iS4_: ; @_Z35paged_attention_ll4mi_reduce_kernelI14__hip_bfloat16hLi128ELi128ELi256ELi15EEvPT0_PKfS4_PKT_PKiS9_iS4_
; %bb.0:
	s_load_dwordx2 s[46:47], s[0:1], 0x28
	s_mov_b32 s44, s3
	s_mov_b64 s[4:5], 0
	s_waitcnt lgkmcnt(0)
	s_cmp_lg_u64 s[46:47], 0
	s_cselect_b64 s[48:49], -1, 0
	s_and_b64 vcc, exec, s[48:49]
	s_cbranch_vccz .LBB610_23
; %bb.1:
	s_add_i32 s6, s44, 1
	s_mov_b32 s7, 0
	s_lshl_b64 s[8:9], s[6:7], 2
	s_add_u32 s8, s46, s8
	s_mov_b32 s45, s7
	s_addc_u32 s9, s47, s9
	s_lshl_b64 s[6:7], s[44:45], 2
	s_add_u32 s6, s46, s6
	s_addc_u32 s7, s47, s7
	s_load_dword s3, s[8:9], 0x0
	s_load_dword s10, s[6:7], 0x0
	s_waitcnt lgkmcnt(0)
	s_sub_i32 s3, s3, s10
	s_cmp_eq_u32 s3, 1
	s_cselect_b64 s[6:7], -1, 0
	s_andn2_b64 vcc, exec, s[4:5]
	s_cbranch_vccnz .LBB610_3
.LBB610_2:
	s_mov_b32 s45, 0
	s_mov_b64 s[6:7], -1
.LBB610_3:
	s_andn2_b64 vcc, exec, s[6:7]
	s_cbranch_vccz .LBB610_5
; %bb.4:
	s_endpgm
.LBB610_5:
	s_load_dwordx4 s[36:39], s[0:1], 0x18
	s_load_dword s8, s[0:1], 0x30
	s_lshl_b64 s[50:51], s[44:45], 2
	v_cmp_lt_u32_e32 vcc, 63, v0
	s_waitcnt lgkmcnt(0)
	s_add_u32 s4, s38, s50
	s_addc_u32 s5, s39, s51
	s_load_dword s58, s[4:5], 0x0
	s_load_dword s3, s[0:1], 0x40
	s_mul_i32 s38, s2, s8
	s_mul_i32 s6, s44, s8
	s_waitcnt lgkmcnt(0)
	s_add_i32 s7, s58, 0xff
	s_ashr_i32 s4, s7, 31
	s_lshr_b32 s4, s4, 24
	s_add_i32 s7, s7, s4
	s_and_saveexec_b64 s[4:5], vcc
	s_xor_b64 s[4:5], exec, s[4:5]
	s_or_saveexec_b64 s[52:53], s[4:5]
	s_ashr_i32 s33, s7, 8
	v_mov_b32_e32 v1, s38
	s_mul_i32 s54, s6, s3
	s_xor_b64 exec, exec, s[52:53]
	s_cbranch_execz .LBB610_9
; %bb.6:
	s_add_i32 s4, s33, -1
	v_or_b32_e32 v3, 64, v0
	v_mov_b32_e32 v1, s4
	v_cmp_gt_u32_e64 s[28:29], s33, v3
	s_load_dwordx4 s[40:43], s[0:1], 0x8
	s_mov_b32 s55, 0
	v_cndmask_b32_e64 v4, v1, v3, s[28:29]
	v_or_b32_e32 v3, 0x80, v0
	v_cmp_gt_u32_e64 s[26:27], s33, v3
	s_lshl_b64 s[56:57], s[54:55], 2
	s_mov_b32 s39, s55
	v_cndmask_b32_e64 v6, v1, v3, s[26:27]
	v_or_b32_e32 v3, 0xc0, v0
	v_cmp_gt_u32_e64 s[24:25], s33, v3
	v_cmp_gt_u32_e64 s[30:31], s33, v0
	s_waitcnt lgkmcnt(0)
	s_add_u32 s34, s42, s56
	v_cndmask_b32_e64 v8, v1, v3, s[24:25]
	v_or_b32_e32 v3, 0x100, v0
	v_cmp_gt_u32_e64 s[22:23], s33, v3
	v_cndmask_b32_e64 v2, v1, v0, s[30:31]
	s_addc_u32 s35, s43, s57
	v_cndmask_b32_e64 v10, v1, v3, s[22:23]
	v_or_b32_e32 v3, 0x140, v0
	v_cmp_gt_u32_e64 s[20:21], s33, v3
	s_lshl_b64 s[42:43], s[38:39], 2
	s_add_u32 s34, s34, s42
	v_cndmask_b32_e64 v12, v1, v3, s[20:21]
	v_or_b32_e32 v3, 0x180, v0
	v_cmp_gt_u32_e64 s[18:19], s33, v3
	s_addc_u32 s35, s35, s43
	v_ashrrev_i32_e32 v5, 31, v4
	v_cndmask_b32_e64 v14, v1, v3, s[18:19]
	v_or_b32_e32 v3, 0x1c0, v0
	v_cmp_gt_u32_e64 s[16:17], s33, v3
	v_ashrrev_i32_e32 v7, 31, v6
	v_ashrrev_i32_e32 v9, 31, v8
	v_cndmask_b32_e64 v16, v1, v3, s[16:17]
	v_or_b32_e32 v3, 0x200, v0
	v_cmp_gt_u32_e64 s[14:15], s33, v3
	v_ashrrev_i32_e32 v17, 31, v16
	v_ashrrev_i32_e32 v11, 31, v10
	v_cndmask_b32_e64 v18, v1, v3, s[14:15]
	v_or_b32_e32 v3, 0x240, v0
	v_cmp_gt_u32_e64 s[12:13], s33, v3
	v_ashrrev_i32_e32 v13, 31, v12
	v_ashrrev_i32_e32 v15, 31, v14
	v_cndmask_b32_e64 v20, v1, v3, s[12:13]
	v_or_b32_e32 v3, 0x280, v0
	v_cmp_gt_u32_e64 s[10:11], s33, v3
	v_lshlrev_b64 v[16:17], 2, v[16:17]
	v_lshlrev_b64 v[4:5], 2, v[4:5]
	v_cndmask_b32_e64 v22, v1, v3, s[10:11]
	v_or_b32_e32 v3, 0x2c0, v0
	v_cmp_gt_u32_e64 s[8:9], s33, v3
	v_lshlrev_b64 v[6:7], 2, v[6:7]
	v_lshlrev_b64 v[8:9], 2, v[8:9]
	;; [unrolled: 5-line block ×3, first 2 shown]
	v_cndmask_b32_e64 v26, v1, v3, s[6:7]
	v_or_b32_e32 v3, 0x340, v0
	v_cmp_gt_u32_e64 s[4:5], s33, v3
	v_lshlrev_b64 v[14:15], 2, v[14:15]
	v_lshl_add_u64 v[46:47], s[34:35], 0, v[16:17]
	v_cndmask_b32_e64 v28, v1, v3, s[4:5]
	v_or_b32_e32 v3, 0x380, v0
	v_cmp_gt_u32_e32 vcc, s33, v3
	v_lshl_add_u64 v[34:35], s[34:35], 0, v[4:5]
	v_lshl_add_u64 v[36:37], s[34:35], 0, v[6:7]
	v_cndmask_b32_e32 v30, v1, v3, vcc
	v_ashrrev_i32_e32 v3, 31, v2
	v_lshlrev_b64 v[2:3], 2, v[2:3]
	v_lshl_add_u64 v[32:33], s[34:35], 0, v[2:3]
	v_lshl_add_u64 v[38:39], s[34:35], 0, v[8:9]
	v_lshl_add_u64 v[40:41], s[34:35], 0, v[10:11]
	v_lshl_add_u64 v[42:43], s[34:35], 0, v[12:13]
	v_lshl_add_u64 v[44:45], s[34:35], 0, v[14:15]
	global_load_dword v1, v[32:33], off
	global_load_dword v48, v[34:35], off
	global_load_dword v49, v[36:37], off
	global_load_dword v50, v[38:39], off
	global_load_dword v51, v[40:41], off
	global_load_dword v52, v[42:43], off
	global_load_dword v53, v[44:45], off
	s_nop 0
	global_load_dword v46, v[46:47], off
	v_ashrrev_i32_e32 v19, 31, v18
	v_ashrrev_i32_e32 v21, 31, v20
	;; [unrolled: 1-line block ×4, first 2 shown]
	v_lshlrev_b64 v[18:19], 2, v[18:19]
	v_lshlrev_b64 v[20:21], 2, v[20:21]
	v_lshlrev_b64 v[22:23], 2, v[22:23]
	v_lshlrev_b64 v[24:25], 2, v[24:25]
	v_ashrrev_i32_e32 v27, 31, v26
	v_ashrrev_i32_e32 v29, 31, v28
	;; [unrolled: 1-line block ×3, first 2 shown]
	v_lshl_add_u64 v[32:33], s[34:35], 0, v[18:19]
	v_lshl_add_u64 v[34:35], s[34:35], 0, v[20:21]
	;; [unrolled: 1-line block ×4, first 2 shown]
	v_lshlrev_b64 v[26:27], 2, v[26:27]
	v_lshlrev_b64 v[28:29], 2, v[28:29]
	;; [unrolled: 1-line block ×3, first 2 shown]
	v_lshl_add_u64 v[40:41], s[34:35], 0, v[26:27]
	v_lshl_add_u64 v[42:43], s[34:35], 0, v[28:29]
	v_lshl_add_u64 v[44:45], s[34:35], 0, v[30:31]
	global_load_dword v32, v[32:33], off
	s_nop 0
	global_load_dword v33, v[34:35], off
	s_nop 0
	global_load_dword v34, v[36:37], off
	global_load_dword v35, v[38:39], off
	s_nop 0
	global_load_dword v36, v[40:41], off
	global_load_dword v37, v[42:43], off
	;; [unrolled: 1-line block ×3, first 2 shown]
	v_mbcnt_lo_u32_b32 v40, -1, 0
	v_mbcnt_hi_u32_b32 v40, -1, v40
	v_and_b32_e32 v41, 64, v40
	v_add_u32_e32 v41, 64, v41
	v_xor_b32_e32 v42, 32, v40
	v_cmp_lt_i32_e64 s[34:35], v42, v41
	s_mov_b32 s39, 0x3fb8aa3b
	s_waitcnt vmcnt(12)
	v_max3_f32 v39, v1, v48, v49
	v_cndmask_b32_e64 v42, v40, v42, s[34:35]
	s_waitcnt vmcnt(10)
	v_max3_f32 v39, v39, v50, v51
	v_lshlrev_b32_e32 v42, 2, v42
	s_waitcnt vmcnt(8)
	v_max3_f32 v39, v39, v52, v53
	s_waitcnt vmcnt(6)
	v_max3_f32 v39, v39, v46, v32
	;; [unrolled: 2-line block ×5, first 2 shown]
	ds_bpermute_b32 v43, v42, v39
	s_waitcnt lgkmcnt(0)
	v_max_f32_e32 v43, v43, v43
	v_max_f32_e32 v39, v39, v43
	v_xor_b32_e32 v43, 16, v40
	v_cmp_lt_i32_e64 s[34:35], v43, v41
	s_nop 1
	v_cndmask_b32_e64 v43, v40, v43, s[34:35]
	v_lshlrev_b32_e32 v43, 2, v43
	ds_bpermute_b32 v44, v43, v39
	s_waitcnt lgkmcnt(0)
	v_max_f32_e32 v44, v44, v44
	v_max_f32_e32 v39, v39, v44
	v_xor_b32_e32 v44, 8, v40
	v_cmp_lt_i32_e64 s[34:35], v44, v41
	s_nop 1
	v_cndmask_b32_e64 v44, v40, v44, s[34:35]
	v_lshlrev_b32_e32 v44, 2, v44
	ds_bpermute_b32 v45, v44, v39
	s_waitcnt lgkmcnt(0)
	v_max_f32_e32 v45, v45, v45
	v_max_f32_e32 v39, v39, v45
	v_xor_b32_e32 v45, 4, v40
	v_cmp_lt_i32_e64 s[34:35], v45, v41
	s_nop 1
	v_cndmask_b32_e64 v45, v40, v45, s[34:35]
	s_add_u32 s34, s40, s56
	s_addc_u32 s35, s41, s57
	s_add_u32 s40, s34, s42
	s_addc_u32 s41, s35, s43
	v_lshlrev_b32_e32 v45, 2, v45
	v_lshl_add_u64 v[2:3], s[40:41], 0, v[2:3]
	global_load_dword v47, v[2:3], off
	ds_bpermute_b32 v2, v45, v39
	s_waitcnt lgkmcnt(0)
	v_max_f32_e32 v2, v2, v2
	v_max_f32_e32 v39, v39, v2
	v_xor_b32_e32 v2, 2, v40
	v_cmp_lt_i32_e64 s[34:35], v2, v41
	s_nop 1
	v_cndmask_b32_e64 v2, v40, v2, s[34:35]
	v_lshlrev_b32_e32 v54, 2, v2
	ds_bpermute_b32 v55, v54, v39
	v_lshl_add_u64 v[2:3], s[40:41], 0, v[4:5]
	global_load_dword v56, v[2:3], off
	v_lshl_add_u64 v[4:5], s[40:41], 0, v[8:9]
	v_lshl_add_u64 v[8:9], s[40:41], 0, v[12:13]
	s_waitcnt lgkmcnt(0)
	v_max_f32_e32 v2, v55, v55
	v_max_f32_e32 v39, v39, v2
	v_xor_b32_e32 v2, 1, v40
	v_cmp_lt_i32_e64 s[34:35], v2, v41
	v_lshl_add_u64 v[12:13], s[40:41], 0, v[16:17]
	s_nop 0
	v_cndmask_b32_e64 v2, v40, v2, s[34:35]
	v_lshlrev_b32_e32 v40, 2, v2
	v_lshl_add_u64 v[2:3], s[40:41], 0, v[6:7]
	v_lshl_add_u64 v[6:7], s[40:41], 0, v[10:11]
	;; [unrolled: 1-line block ×3, first 2 shown]
	global_load_dword v16, v[2:3], off
	global_load_dword v17, v[4:5], off
	global_load_dword v55, v[6:7], off
	global_load_dword v57, v[8:9], off
	global_load_dword v58, v[10:11], off
	global_load_dword v59, v[12:13], off
	ds_bpermute_b32 v41, v40, v39
	v_lshl_add_u64 v[2:3], s[40:41], 0, v[18:19]
	v_lshl_add_u64 v[4:5], s[40:41], 0, v[20:21]
	v_lshl_add_u64 v[6:7], s[40:41], 0, v[22:23]
	v_lshl_add_u64 v[8:9], s[40:41], 0, v[24:25]
	s_waitcnt lgkmcnt(0)
	v_max_f32_e32 v18, v41, v41
	v_max_f32_e32 v18, v39, v18
	v_sub_f32_e32 v1, v1, v18
	v_lshl_add_u64 v[10:11], s[40:41], 0, v[26:27]
	v_mul_f32_e32 v19, 0x3fb8aa3b, v1
	v_lshl_add_u64 v[12:13], s[40:41], 0, v[28:29]
	v_lshl_add_u64 v[14:15], s[40:41], 0, v[30:31]
	v_fma_f32 v20, v1, s39, -v19
	v_rndne_f32_e32 v21, v19
	global_load_dword v2, v[2:3], off
	s_nop 0
	global_load_dword v3, v[4:5], off
	s_nop 0
	global_load_dword v4, v[6:7], off
	global_load_dword v5, v[8:9], off
	s_nop 0
	global_load_dword v6, v[10:11], off
	global_load_dword v7, v[12:13], off
	;; [unrolled: 1-line block ×3, first 2 shown]
	v_sub_f32_e32 v11, v48, v18
	v_fmac_f32_e32 v20, 0x32a5705f, v1
	v_sub_f32_e32 v19, v19, v21
	v_mul_f32_e32 v12, 0x3fb8aa3b, v11
	v_add_f32_e32 v19, v19, v20
	v_fma_f32 v13, v11, s39, -v12
	v_rndne_f32_e32 v14, v12
	v_exp_f32_e32 v19, v19
	v_cvt_i32_f32_e32 v20, v21
	v_fmac_f32_e32 v13, 0x32a5705f, v11
	v_sub_f32_e32 v12, v12, v14
	v_add_f32_e32 v12, v12, v13
	v_exp_f32_e32 v12, v12
	v_cvt_i32_f32_e32 v13, v14
	s_mov_b32 s40, 0xc2ce8ed0
	v_ldexp_f32 v9, v19, v20
	v_cmp_ngt_f32_e64 s[34:35], s40, v1
	s_mov_b32 s41, 0x42b17218
	v_mov_b32_e32 v10, 0x7f800000
	v_cndmask_b32_e64 v9, 0, v9, s[34:35]
	v_cmp_nlt_f32_e64 s[34:35], s41, v1
	s_nop 1
	v_cndmask_b32_e64 v1, v10, v9, s[34:35]
	v_ldexp_f32 v9, v12, v13
	v_sub_f32_e32 v12, v49, v18
	v_mul_f32_e32 v13, 0x3fb8aa3b, v12
	v_fma_f32 v14, v12, s39, -v13
	v_rndne_f32_e32 v15, v13
	v_fmac_f32_e32 v14, 0x32a5705f, v12
	v_sub_f32_e32 v13, v13, v15
	v_add_f32_e32 v13, v13, v14
	v_exp_f32_e32 v13, v13
	v_cvt_i32_f32_e32 v14, v15
	v_cndmask_b32_e64 v1, 0, v1, s[30:31]
	v_cmp_ngt_f32_e64 s[30:31], s40, v11
	s_waitcnt vmcnt(14)
	v_mul_f32_e32 v1, v47, v1
	v_cndmask_b32_e64 v9, 0, v9, s[30:31]
	v_cmp_nlt_f32_e64 s[30:31], s41, v11
	v_ldexp_f32 v11, v13, v14
	v_sub_f32_e32 v13, v50, v18
	v_mul_f32_e32 v14, 0x3fb8aa3b, v13
	v_fma_f32 v15, v13, s39, -v14
	v_rndne_f32_e32 v19, v14
	v_fmac_f32_e32 v15, 0x32a5705f, v13
	v_sub_f32_e32 v14, v14, v19
	v_add_f32_e32 v14, v14, v15
	v_exp_f32_e32 v14, v14
	v_cvt_i32_f32_e32 v15, v19
	v_cndmask_b32_e64 v9, v10, v9, s[30:31]
	v_cndmask_b32_e64 v9, 0, v9, s[28:29]
	v_cmp_ngt_f32_e64 s[28:29], s40, v12
	s_waitcnt vmcnt(13)
	v_mul_f32_e32 v9, v56, v9
	v_cndmask_b32_e64 v11, 0, v11, s[28:29]
	v_cmp_nlt_f32_e64 s[28:29], s41, v12
	v_ldexp_f32 v12, v14, v15
	v_sub_f32_e32 v14, v51, v18
	v_cndmask_b32_e64 v11, v10, v11, s[28:29]
	v_cndmask_b32_e64 v11, 0, v11, s[26:27]
	v_mul_f32_e32 v15, 0x3fb8aa3b, v14
	s_waitcnt vmcnt(12)
	v_mul_f32_e32 v11, v16, v11
	v_fma_f32 v16, v14, s39, -v15
	v_rndne_f32_e32 v19, v15
	v_fmac_f32_e32 v16, 0x32a5705f, v14
	v_sub_f32_e32 v15, v15, v19
	v_add_f32_e32 v15, v15, v16
	v_exp_f32_e32 v15, v15
	v_cvt_i32_f32_e32 v16, v19
	v_cmp_ngt_f32_e64 s[26:27], s40, v13
	s_nop 1
	v_cndmask_b32_e64 v12, 0, v12, s[26:27]
	v_cmp_nlt_f32_e64 s[26:27], s41, v13
	v_ldexp_f32 v13, v15, v16
	v_sub_f32_e32 v15, v52, v18
	v_cndmask_b32_e64 v12, v10, v12, s[26:27]
	v_cndmask_b32_e64 v12, 0, v12, s[24:25]
	v_mul_f32_e32 v16, 0x3fb8aa3b, v15
	s_waitcnt vmcnt(11)
	v_mul_f32_e32 v12, v17, v12
	v_fma_f32 v17, v15, s39, -v16
	v_rndne_f32_e32 v19, v16
	v_fmac_f32_e32 v17, 0x32a5705f, v15
	v_sub_f32_e32 v16, v16, v19
	v_add_f32_e32 v16, v16, v17
	v_exp_f32_e32 v16, v16
	v_cvt_i32_f32_e32 v17, v19
	v_cmp_ngt_f32_e64 s[24:25], s40, v14
	s_nop 1
	v_cndmask_b32_e64 v13, 0, v13, s[24:25]
	v_cmp_nlt_f32_e64 s[24:25], s41, v14
	v_ldexp_f32 v14, v16, v17
	v_sub_f32_e32 v16, v53, v18
	v_mul_f32_e32 v17, 0x3fb8aa3b, v16
	v_fma_f32 v19, v16, s39, -v17
	v_rndne_f32_e32 v20, v17
	v_fmac_f32_e32 v19, 0x32a5705f, v16
	v_sub_f32_e32 v17, v17, v20
	v_add_f32_e32 v17, v17, v19
	v_exp_f32_e32 v17, v17
	v_cvt_i32_f32_e32 v19, v20
	v_cndmask_b32_e64 v13, v10, v13, s[24:25]
	v_cndmask_b32_e64 v13, 0, v13, s[22:23]
	v_cmp_ngt_f32_e64 s[22:23], s40, v15
	s_waitcnt vmcnt(10)
	v_mul_f32_e32 v13, v55, v13
	v_cndmask_b32_e64 v14, 0, v14, s[22:23]
	v_cmp_nlt_f32_e64 s[22:23], s41, v15
	v_ldexp_f32 v15, v17, v19
	v_sub_f32_e32 v17, v46, v18
	v_mul_f32_e32 v19, 0x3fb8aa3b, v17
	v_fma_f32 v20, v17, s39, -v19
	v_rndne_f32_e32 v21, v19
	v_fmac_f32_e32 v20, 0x32a5705f, v17
	v_sub_f32_e32 v19, v19, v21
	v_add_f32_e32 v19, v19, v20
	v_exp_f32_e32 v19, v19
	v_cvt_i32_f32_e32 v20, v21
	v_cndmask_b32_e64 v14, v10, v14, s[22:23]
	v_cndmask_b32_e64 v14, 0, v14, s[20:21]
	v_cmp_ngt_f32_e64 s[20:21], s40, v16
	s_waitcnt vmcnt(9)
	v_mul_f32_e32 v14, v57, v14
	;; [unrolled: 17-line block ×3, first 2 shown]
	v_cndmask_b32_e64 v16, 0, v16, s[18:19]
	v_cmp_nlt_f32_e64 s[18:19], s41, v17
	v_ldexp_f32 v17, v20, v21
	v_sub_f32_e32 v20, v33, v18
	v_mul_f32_e32 v21, 0x3fb8aa3b, v20
	v_fma_f32 v22, v20, s39, -v21
	v_rndne_f32_e32 v23, v21
	v_fmac_f32_e32 v22, 0x32a5705f, v20
	v_sub_f32_e32 v21, v21, v23
	v_cndmask_b32_e64 v16, v10, v16, s[18:19]
	v_add_f32_e32 v21, v21, v22
	v_cndmask_b32_e64 v16, 0, v16, s[16:17]
	v_cmp_ngt_f32_e64 s[16:17], s40, v19
	v_exp_f32_e32 v21, v21
	v_cvt_i32_f32_e32 v22, v23
	v_cndmask_b32_e64 v17, 0, v17, s[16:17]
	v_cmp_nlt_f32_e64 s[16:17], s41, v19
	v_sub_f32_e32 v19, v34, v18
	s_waitcnt vmcnt(7)
	v_mul_f32_e32 v16, v59, v16
	v_cndmask_b32_e64 v17, v10, v17, s[16:17]
	v_cndmask_b32_e64 v17, 0, v17, s[14:15]
	s_waitcnt vmcnt(6)
	v_mul_f32_e32 v2, v2, v17
	v_ldexp_f32 v17, v21, v22
	v_mul_f32_e32 v21, 0x3fb8aa3b, v19
	v_fma_f32 v22, v19, s39, -v21
	v_rndne_f32_e32 v23, v21
	v_fmac_f32_e32 v22, 0x32a5705f, v19
	v_sub_f32_e32 v21, v21, v23
	v_add_f32_e32 v21, v21, v22
	v_cmp_ngt_f32_e64 s[14:15], s40, v20
	v_exp_f32_e32 v21, v21
	v_cvt_i32_f32_e32 v22, v23
	v_cndmask_b32_e64 v17, 0, v17, s[14:15]
	v_cmp_nlt_f32_e64 s[14:15], s41, v20
	v_sub_f32_e32 v20, v35, v18
	s_nop 0
	v_cndmask_b32_e64 v17, v10, v17, s[14:15]
	v_cndmask_b32_e64 v17, 0, v17, s[12:13]
	s_waitcnt vmcnt(5)
	v_mul_f32_e32 v3, v3, v17
	v_ldexp_f32 v17, v21, v22
	v_mul_f32_e32 v21, 0x3fb8aa3b, v20
	v_fma_f32 v22, v20, s39, -v21
	v_rndne_f32_e32 v23, v21
	v_fmac_f32_e32 v22, 0x32a5705f, v20
	v_sub_f32_e32 v21, v21, v23
	v_add_f32_e32 v21, v21, v22
	v_cmp_ngt_f32_e64 s[12:13], s40, v19
	v_exp_f32_e32 v21, v21
	v_cvt_i32_f32_e32 v22, v23
	v_cndmask_b32_e64 v17, 0, v17, s[12:13]
	v_cmp_nlt_f32_e64 s[12:13], s41, v19
	v_sub_f32_e32 v19, v36, v18
	s_nop 0
	v_cndmask_b32_e64 v17, v10, v17, s[12:13]
	v_cndmask_b32_e64 v17, 0, v17, s[10:11]
	s_waitcnt vmcnt(4)
	v_mul_f32_e32 v4, v4, v17
	v_ldexp_f32 v17, v21, v22
	v_mul_f32_e32 v21, 0x3fb8aa3b, v19
	v_fma_f32 v22, v19, s39, -v21
	v_rndne_f32_e32 v23, v21
	v_fmac_f32_e32 v22, 0x32a5705f, v19
	v_sub_f32_e32 v21, v21, v23
	v_add_f32_e32 v21, v21, v22
	v_exp_f32_e32 v21, v21
	v_cvt_i32_f32_e32 v22, v23
	v_cmp_ngt_f32_e64 s[10:11], s40, v20
	s_nop 1
	v_cndmask_b32_e64 v17, 0, v17, s[10:11]
	v_cmp_nlt_f32_e64 s[10:11], s41, v20
	v_ldexp_f32 v20, v21, v22
	v_sub_f32_e32 v21, v37, v18
	v_mul_f32_e32 v22, 0x3fb8aa3b, v21
	v_fma_f32 v23, v21, s39, -v22
	v_rndne_f32_e32 v24, v22
	v_fmac_f32_e32 v23, 0x32a5705f, v21
	v_sub_f32_e32 v22, v22, v24
	v_add_f32_e32 v22, v22, v23
	v_exp_f32_e32 v22, v22
	v_cvt_i32_f32_e32 v23, v24
	v_cndmask_b32_e64 v17, v10, v17, s[10:11]
	v_cndmask_b32_e64 v17, 0, v17, s[8:9]
	v_cmp_ngt_f32_e64 s[8:9], s40, v19
	v_sub_f32_e32 v18, v38, v18
	s_nop 0
	v_cndmask_b32_e64 v20, 0, v20, s[8:9]
	v_cmp_nlt_f32_e64 s[8:9], s41, v19
	s_nop 1
	v_cndmask_b32_e64 v19, v10, v20, s[8:9]
	v_ldexp_f32 v20, v22, v23
	v_mul_f32_e32 v22, 0x3fb8aa3b, v18
	v_fma_f32 v23, v18, s39, -v22
	v_rndne_f32_e32 v24, v22
	v_fmac_f32_e32 v23, 0x32a5705f, v18
	v_sub_f32_e32 v22, v22, v24
	v_add_f32_e32 v22, v22, v23
	v_exp_f32_e32 v22, v22
	v_cvt_i32_f32_e32 v23, v24
	v_cndmask_b32_e64 v19, 0, v19, s[6:7]
	v_cmp_ngt_f32_e64 s[6:7], s40, v21
	s_nop 1
	v_cndmask_b32_e64 v20, 0, v20, s[6:7]
	v_cmp_nlt_f32_e64 s[6:7], s41, v21
	v_ldexp_f32 v21, v22, v23
	s_nop 0
	v_cndmask_b32_e64 v20, v10, v20, s[6:7]
	v_cndmask_b32_e64 v20, 0, v20, s[4:5]
	v_cmp_ngt_f32_e64 s[4:5], s40, v18
	s_nop 1
	v_cndmask_b32_e64 v21, 0, v21, s[4:5]
	v_cmp_nlt_f32_e64 s[4:5], s41, v18
	v_add_f32_e32 v18, v1, v9
	v_add_f32_e32 v18, v18, v11
	v_add_f32_e32 v18, v18, v12
	v_add_f32_e32 v18, v18, v13
	v_add_f32_e32 v18, v18, v14
	v_add_f32_e32 v18, v18, v15
	v_add_f32_e32 v18, v18, v16
	v_add_f32_e32 v18, v18, v2
	v_add_f32_e32 v18, v18, v3
	v_add_f32_e32 v18, v18, v4
	s_waitcnt vmcnt(3)
	v_fmac_f32_e32 v18, v5, v17
	v_cndmask_b32_e64 v10, v10, v21, s[4:5]
	s_waitcnt vmcnt(2)
	v_fmac_f32_e32 v18, v6, v19
	v_cndmask_b32_e32 v10, 0, v10, vcc
	s_waitcnt vmcnt(1)
	v_fmac_f32_e32 v18, v7, v20
	s_waitcnt vmcnt(0)
	v_fmac_f32_e32 v18, v8, v10
	ds_bpermute_b32 v21, v42, v18
	v_mul_f32_e32 v5, v5, v17
	v_mul_f32_e32 v8, v8, v10
	v_lshlrev_b32_e32 v10, 2, v0
	ds_write2st64_b32 v10, v1, v9 offset1:1
	s_waitcnt lgkmcnt(1)
	v_add_f32_e32 v18, v18, v21
	ds_bpermute_b32 v21, v43, v18
	ds_write2st64_b32 v10, v11, v12 offset0:2 offset1:3
	ds_write2st64_b32 v10, v13, v14 offset0:4 offset1:5
	;; [unrolled: 1-line block ×4, first 2 shown]
	v_cmp_eq_u32_e32 vcc, 0, v0
	v_mul_f32_e32 v6, v6, v19
	v_mul_f32_e32 v7, v7, v20
	s_waitcnt lgkmcnt(4)
	v_add_f32_e32 v18, v18, v21
	ds_bpermute_b32 v21, v44, v18
	ds_write2st64_b32 v10, v4, v5 offset0:10 offset1:11
	ds_write2st64_b32 v10, v6, v7 offset0:12 offset1:13
	ds_write_b32 v10, v8 offset:3584
	s_waitcnt lgkmcnt(3)
	v_add_f32_e32 v17, v18, v21
	ds_bpermute_b32 v18, v45, v17
	s_waitcnt lgkmcnt(0)
	v_add_f32_e32 v1, v17, v18
	ds_bpermute_b32 v9, v54, v1
	s_waitcnt lgkmcnt(0)
	v_add_f32_e32 v1, v1, v9
	ds_bpermute_b32 v2, v40, v1
	s_and_saveexec_b64 s[4:5], vcc
	s_cbranch_execz .LBB610_8
; %bb.7:
	s_waitcnt lgkmcnt(0)
	v_add_f32_e32 v1, v1, v2
	v_mov_b32_e32 v2, 0
	ds_write_b32 v2, v1 offset:3840
.LBB610_8:
	s_or_b64 exec, exec, s[4:5]
	v_mov_b32_e32 v1, s38
.LBB610_9:
	s_or_b64 exec, exec, s[52:53]
	s_lshl_b32 s4, s54, 7
	s_mov_b32 s5, 0
	s_lshl_b64 s[4:5], s[4:5], 1
	s_add_u32 s4, s36, s4
	s_addc_u32 s5, s37, s5
	s_lshl_b32 s10, s33, 7
	s_waitcnt lgkmcnt(0)
	v_lshlrev_b32_e32 v2, 7, v1
	v_mov_b32_e32 v1, 0
	s_add_i32 s11, s10, 0xffffff80
	v_mov_b32_e32 v3, v1
	s_cmp_lt_i32 s58, 1
	v_lshl_add_u64 v[2:3], v[2:3], 1, s[4:5]
	s_cselect_b32 s4, s11, 0
	v_lshlrev_b32_e32 v4, 1, v0
	v_mov_b32_e32 v5, v1
	s_ashr_i32 s5, s4, 31
	v_lshl_add_u64 v[2:3], v[2:3], 0, v[4:5]
	s_cmpk_lt_i32 s58, 0x101
	v_lshl_add_u64 v[4:5], s[4:5], 1, v[2:3]
	s_cselect_b32 s4, s11, 0x80
	s_ashr_i32 s5, s4, 31
	s_cmpk_lt_i32 s58, 0x201
	v_lshl_add_u64 v[6:7], s[4:5], 1, v[2:3]
	s_cselect_b32 s4, s11, 0x100
	s_ashr_i32 s5, s4, 31
	;; [unrolled: 4-line block ×8, first 2 shown]
	s_cmpk_lt_i32 s58, 0x901
	global_load_ushort v23, v[4:5], off
	global_load_ushort v22, v[6:7], off
	;; [unrolled: 1-line block ×8, first 2 shown]
	v_lshl_add_u64 v[4:5], s[4:5], 1, v[2:3]
	s_cselect_b32 s4, s11, 0x480
	s_ashr_i32 s5, s4, 31
	s_cmpk_lt_i32 s58, 0xa01
	v_lshl_add_u64 v[6:7], s[4:5], 1, v[2:3]
	s_cselect_b32 s4, s11, 0x500
	s_ashr_i32 s5, s4, 31
	s_cmpk_lt_i32 s58, 0xb01
	;; [unrolled: 4-line block ×6, first 2 shown]
	v_lshl_add_u64 v[32:33], s[4:5], 1, v[2:3]
	s_cselect_b32 s4, s11, 0x780
	s_ashr_i32 s5, s4, 31
	v_lshl_add_u64 v[34:35], s[4:5], 1, v[2:3]
	global_load_ushort v30, v[4:5], off
	global_load_ushort v31, v[6:7], off
	;; [unrolled: 1-line block ×8, first 2 shown]
	s_cmpk_gt_i32 s58, 0x1000
	s_cselect_b64 s[8:9], -1, 0
	s_cmpk_lt_i32 s58, 0x1001
	v_mov_b32_e32 v40, 0
	v_mov_b32_e32 v41, 0
	;; [unrolled: 1-line block ×48, first 2 shown]
	s_barrier
	s_cbranch_scc1 .LBB610_12
; %bb.10:
	s_cmpk_lt_u32 s58, 0x1101
	s_cselect_b32 s4, s11, 0x880
	s_ashr_i32 s5, s4, 31
	s_cmpk_lt_u32 s58, 0x1201
	v_lshl_add_u64 v[6:7], s[4:5], 1, v[2:3]
	s_cselect_b32 s4, s11, 0x900
	s_ashr_i32 s5, s4, 31
	s_cmpk_lt_u32 s58, 0x1301
	v_lshl_add_u64 v[8:9], s[4:5], 1, v[2:3]
	;; [unrolled: 4-line block ×7, first 2 shown]
	s_cselect_b32 s4, s11, 0xc00
	v_add_co_u32_e32 v4, vcc, 0x1000, v2
	s_ashr_i32 s5, s4, 31
	s_nop 0
	v_addc_co_u32_e32 v5, vcc, 0, v3, vcc
	s_cmpk_lt_u32 s58, 0x1901
	global_load_ushort v39, v[4:5], off
	global_load_ushort v38, v[6:7], off
	;; [unrolled: 1-line block ×8, first 2 shown]
	v_lshl_add_u64 v[4:5], s[4:5], 1, v[2:3]
	s_cselect_b32 s4, s11, 0xc80
	s_ashr_i32 s5, s4, 31
	s_cmpk_lt_u32 s58, 0x1a01
	v_lshl_add_u64 v[6:7], s[4:5], 1, v[2:3]
	s_cselect_b32 s4, s11, 0xd00
	s_ashr_i32 s5, s4, 31
	s_cmpk_lt_u32 s58, 0x1b01
	;; [unrolled: 4-line block ×6, first 2 shown]
	v_lshl_add_u64 v[48:49], s[4:5], 1, v[2:3]
	s_cselect_b32 s4, s11, 0xf80
	s_ashr_i32 s5, s4, 31
	v_lshl_add_u64 v[50:51], s[4:5], 1, v[2:3]
	global_load_ushort v47, v[4:5], off
	global_load_ushort v46, v[6:7], off
	;; [unrolled: 1-line block ×8, first 2 shown]
	s_cmpk_lt_u32 s58, 0x2001
	v_mov_b32_e32 v67, 0
	v_mov_b32_e32 v65, 0
	;; [unrolled: 1-line block ×32, first 2 shown]
	s_cbranch_scc1 .LBB610_12
; %bb.11:
	s_cmpk_lt_u32 s58, 0x2101
	s_cselect_b32 s4, s11, 0x1080
	s_ashr_i32 s5, s4, 31
	s_cmpk_lt_u32 s58, 0x2201
	v_lshl_add_u64 v[4:5], s[4:5], 1, v[2:3]
	s_cselect_b32 s4, s11, 0x1100
	s_ashr_i32 s5, s4, 31
	s_cmpk_lt_u32 s58, 0x2301
	v_lshl_add_u64 v[6:7], s[4:5], 1, v[2:3]
	;; [unrolled: 4-line block ×29, first 2 shown]
	s_cselect_b32 s4, s11, 0x1f00
	s_ashr_i32 s5, s4, 31
	v_lshl_add_u64 v[94:95], s[4:5], 1, v[2:3]
	s_movk_i32 s4, 0x2000
	s_cmpk_lt_u32 s58, 0x3f01
	v_add_co_u32_e32 v96, vcc, s4, v2
	s_cselect_b32 s4, s11, 0x1f80
	s_nop 0
	v_addc_co_u32_e32 v97, vcc, 0, v3, vcc
	s_ashr_i32 s5, s4, 31
	global_load_ushort v98, v[96:97], off
	global_load_ushort v99, v[4:5], off
	;; [unrolled: 1-line block ×15, first 2 shown]
                                        ; kill: killed $vgpr54_vgpr55
                                        ; kill: killed $vgpr6_vgpr7
                                        ; kill: killed $vgpr60_vgpr61
                                        ; kill: killed $vgpr12_vgpr13
                                        ; kill: killed $vgpr50_vgpr51
                                        ; kill: killed $vgpr56_vgpr57
                                        ; kill: killed $vgpr8_vgpr9
                                        ; kill: killed $vgpr62_vgpr63
                                        ; kill: killed $vgpr14_vgpr15
                                        ; kill: killed $vgpr96 killed $vgpr97
                                        ; kill: killed $vgpr52_vgpr53
                                        ; kill: killed $vgpr4_vgpr5
                                        ; kill: killed $vgpr58_vgpr59
                                        ; kill: killed $vgpr10_vgpr11
                                        ; kill: killed $vgpr48_vgpr49
	global_load_ushort v6, v[64:65], off
	global_load_ushort v7, v[66:67], off
	;; [unrolled: 1-line block ×15, first 2 shown]
                                        ; kill: killed $vgpr70_vgpr71
                                        ; kill: killed $vgpr92_vgpr93
                                        ; kill: killed $vgpr76_vgpr77
                                        ; kill: killed $vgpr82_vgpr83
                                        ; kill: killed $vgpr66_vgpr67
                                        ; kill: killed $vgpr88_vgpr89
                                        ; kill: killed $vgpr72_vgpr73
                                        ; kill: killed $vgpr94_vgpr95
                                        ; kill: killed $vgpr78_vgpr79
                                        ; kill: killed $vgpr84_vgpr85
                                        ; kill: killed $vgpr68_vgpr69
                                        ; kill: killed $vgpr90_vgpr91
                                        ; kill: killed $vgpr74_vgpr75
                                        ; kill: killed $vgpr80_vgpr81
                                        ; kill: killed $vgpr64_vgpr65
	global_load_ushort v68, v[86:87], off
	v_lshl_add_u64 v[4:5], s[4:5], 1, v[2:3]
	global_load_ushort v5, v[4:5], off
	s_waitcnt vmcnt(31)
	v_lshlrev_b32_e32 v67, 16, v98
	s_waitcnt vmcnt(30)
	v_lshlrev_b32_e32 v65, 16, v99
	;; [unrolled: 2-line block ×32, first 2 shown]
.LBB610_12:
	s_load_dwordx2 s[4:5], s[0:1], 0x0
	s_load_dwordx2 s[6:7], s[0:1], 0x38
	ds_read_b128 v[68:71], v1
	s_waitcnt vmcnt(15)
	v_lshlrev_b32_e32 v23, 16, v23
	ds_read_b128 v[72:75], v1 offset:16
	ds_read_b128 v[76:79], v1 offset:32
	ds_read_b128 v[80:83], v1 offset:48
	s_waitcnt vmcnt(14)
	v_lshlrev_b32_e32 v22, 16, v22
	s_waitcnt vmcnt(13)
	v_lshlrev_b32_e32 v21, 16, v21
	s_waitcnt lgkmcnt(0)
	v_fma_f32 v23, v68, v23, 0
	v_fmac_f32_e32 v23, v69, v22
	v_fmac_f32_e32 v23, v70, v21
	s_waitcnt vmcnt(12)
	v_lshlrev_b32_e32 v20, 16, v20
	s_waitcnt vmcnt(10)
	v_lshlrev_b32_e32 v19, 16, v19
	v_lshlrev_b32_e32 v18, 16, v18
	v_fmac_f32_e32 v23, v71, v20
	v_pk_mul_f32 v[18:19], v[72:73], v[18:19]
	s_waitcnt vmcnt(8)
	v_lshlrev_b32_e32 v17, 16, v17
	v_add_f32_e32 v18, v23, v18
	v_lshlrev_b32_e32 v16, 16, v16
	v_add_f32_e32 v18, v18, v19
	v_pk_mul_f32 v[16:17], v[74:75], v[16:17]
	s_and_b64 vcc, exec, s[8:9]
	v_add_f32_e32 v16, v18, v16
	v_add_f32_e32 v18, v16, v17
	s_waitcnt vmcnt(6)
	v_lshlrev_b32_e32 v17, 16, v31
	v_lshlrev_b32_e32 v16, 16, v30
	v_pk_mul_f32 v[16:17], v[76:77], v[16:17]
	s_nop 0
	v_add_f32_e32 v16, v18, v16
	v_add_f32_e32 v18, v16, v17
	s_waitcnt vmcnt(4)
	v_lshlrev_b32_e32 v17, 16, v29
	v_lshlrev_b32_e32 v16, 16, v28
	v_pk_mul_f32 v[16:17], v[78:79], v[16:17]
	s_nop 0
	;; [unrolled: 7-line block ×4, first 2 shown]
	v_add_f32_e32 v16, v18, v16
	v_add_f32_e32 v110, v16, v17
	s_cbranch_vccz .LBB610_15
; %bb.13:
	ds_read_b128 v[16:19], v1 offset:64
	v_lshlrev_b32_e32 v39, 16, v39
	ds_read_b128 v[20:23], v1 offset:80
	ds_read_b128 v[24:27], v1 offset:96
	;; [unrolled: 1-line block ×3, first 2 shown]
	s_cmpk_lt_u32 s58, 0x2001
	s_waitcnt lgkmcnt(3)
	v_fmac_f32_e32 v110, v16, v39
	v_lshlrev_b32_e32 v16, 16, v38
	v_fmac_f32_e32 v110, v17, v16
	v_lshlrev_b32_e32 v16, 16, v37
	v_fmac_f32_e32 v110, v18, v16
	v_lshlrev_b32_e32 v16, 16, v36
	v_fmac_f32_e32 v110, v19, v16
	v_lshlrev_b32_e32 v16, 16, v35
	s_waitcnt lgkmcnt(2)
	v_fmac_f32_e32 v110, v20, v16
	v_lshlrev_b32_e32 v16, 16, v34
	v_fmac_f32_e32 v110, v21, v16
	v_lshlrev_b32_e32 v16, 16, v33
	v_fmac_f32_e32 v110, v22, v16
	v_lshlrev_b32_e32 v16, 16, v32
	v_fmac_f32_e32 v110, v23, v16
	v_lshlrev_b32_e32 v16, 16, v47
	;; [unrolled: 9-line block ×3, first 2 shown]
	s_waitcnt lgkmcnt(0)
	v_fmac_f32_e32 v110, v28, v16
	v_lshlrev_b32_e32 v16, 16, v42
	v_fmac_f32_e32 v110, v29, v16
	v_lshlrev_b32_e32 v16, 16, v41
	;; [unrolled: 2-line block ×3, first 2 shown]
	v_fmac_f32_e32 v110, v31, v16
	s_cbranch_scc1 .LBB610_15
; %bb.14:
	v_mov_b32_e32 v32, 0
	ds_read_b128 v[16:19], v32 offset:128
	ds_read_b128 v[20:23], v32 offset:144
	;; [unrolled: 1-line block ×4, first 2 shown]
	s_waitcnt lgkmcnt(3)
	v_fmac_f32_e32 v110, v16, v67
	v_fmac_f32_e32 v110, v17, v65
	v_fmac_f32_e32 v110, v18, v66
	v_fmac_f32_e32 v110, v19, v63
	s_waitcnt lgkmcnt(2)
	v_fmac_f32_e32 v110, v20, v64
	v_fmac_f32_e32 v110, v21, v61
	v_fmac_f32_e32 v110, v22, v62
	v_fmac_f32_e32 v110, v23, v59
	;; [unrolled: 5-line block ×3, first 2 shown]
	ds_read_b128 v[16:19], v32 offset:192
	ds_read_b128 v[20:23], v32 offset:208
	s_waitcnt lgkmcnt(2)
	v_fmac_f32_e32 v110, v28, v56
	v_fmac_f32_e32 v110, v29, v53
	;; [unrolled: 1-line block ×4, first 2 shown]
	s_waitcnt lgkmcnt(1)
	v_fmac_f32_e32 v110, v16, v51
	v_fmac_f32_e32 v110, v17, v49
	;; [unrolled: 1-line block ×4, first 2 shown]
	s_waitcnt lgkmcnt(0)
	v_pk_mul_f32 v[14:15], v[20:21], v[14:15]
	v_pk_mul_f32 v[12:13], v[22:23], v[12:13]
	v_add_f32_e32 v14, v110, v14
	v_add_f32_e32 v18, v14, v15
	ds_read_b128 v[14:17], v32 offset:224
	v_add_f32_e32 v12, v18, v12
	ds_read_b128 v[18:21], v32 offset:240
	v_add_f32_e32 v12, v12, v13
	s_waitcnt lgkmcnt(1)
	v_pk_mul_f32 v[10:11], v[14:15], v[10:11]
	s_nop 0
	v_add_f32_e32 v10, v12, v10
	v_add_f32_e32 v10, v10, v11
	v_pk_mul_f32 v[8:9], v[16:17], v[8:9]
	s_waitcnt lgkmcnt(0)
	v_pk_mul_f32 v[6:7], v[18:19], v[6:7]
	v_add_f32_e32 v8, v10, v8
	v_add_f32_e32 v8, v8, v9
	;; [unrolled: 1-line block ×4, first 2 shown]
	v_pk_mul_f32 v[4:5], v[20:21], v[4:5]
	s_nop 0
	v_add_f32_e32 v4, v6, v4
	v_add_f32_e32 v110, v4, v5
.LBB610_15:
	s_movk_i32 s0, 0x3f80
	s_movk_i32 s1, 0x100
	s_mov_b32 s8, 64
	s_branch .LBB610_17
.LBB610_16:                             ;   in Loop: Header=BB610_17 Depth=1
	s_addk_i32 s0, 0x2000
	s_addk_i32 s1, 0x100
	s_add_i32 s8, s8, 64
	s_cmp_eq_u32 s0, 0x1ff80
	s_cbranch_scc1 .LBB610_19
.LBB610_17:                             ; =>This Inner Loop Header: Depth=1
	s_cmp_le_i32 s33, s8
	s_cbranch_scc1 .LBB610_16
; %bb.18:                               ;   in Loop: Header=BB610_17 Depth=1
	s_add_i32 s9, s0, 0xffffe080
	s_cmp_lt_i32 s9, s10
	s_cselect_b32 s12, s9, s11
	s_ashr_i32 s13, s12, 31
	s_add_i32 s9, s0, 0xffffe100
	s_cmp_lt_i32 s9, s10
	v_lshl_add_u64 v[42:43], s[12:13], 1, v[2:3]
	s_cselect_b32 s12, s9, s11
	s_ashr_i32 s13, s12, 31
	s_add_i32 s9, s0, 0xffffe180
	s_cmp_lt_i32 s9, s10
	v_lshl_add_u64 v[4:5], s[12:13], 1, v[2:3]
	;; [unrolled: 5-line block ×21, first 2 shown]
	s_cselect_b32 s12, s9, s11
	s_ashr_i32 s13, s12, 31
	s_add_i32 s9, s0, 0xffffeb80
	s_cmp_lt_i32 s9, s10
	global_load_ushort v111, v[42:43], off
	global_load_ushort v121, v[44:45], off
	v_lshl_add_u64 v[32:33], s[12:13], 1, v[2:3]
	s_cselect_b32 s12, s9, s11
	global_load_ushort v112, v[4:5], off
	global_load_ushort v113, v[6:7], off
	;; [unrolled: 1-line block ×8, first 2 shown]
	s_ashr_i32 s13, s12, 31
	s_add_i32 s9, s0, 0xffffec00
	s_cmp_lt_i32 s9, s10
	v_lshl_add_u64 v[34:35], s[12:13], 1, v[2:3]
	s_cselect_b32 s12, s9, s11
	s_ashr_i32 s13, s12, 31
	s_add_i32 s9, s0, 0xffffec80
	s_cmp_lt_i32 s9, s10
	v_lshl_add_u64 v[48:49], s[12:13], 1, v[2:3]
	s_cselect_b32 s12, s9, s11
	;; [unrolled: 5-line block ×3, first 2 shown]
	global_load_ushort v120, v[28:29], off
	s_ashr_i32 s13, s12, 31
	s_add_i32 s9, s0, 0xffffed80
	s_cmp_lt_i32 s9, s10
	global_load_ushort v122, v[54:55], off
	global_load_ushort v123, v[56:57], off
	v_lshl_add_u64 v[18:19], s[12:13], 1, v[2:3]
	global_load_ushort v58, v[58:59], off
	s_cselect_b32 s12, s9, s11
	s_ashr_i32 s13, s12, 31
	s_add_i32 s9, s0, 0xffffee00
	s_cmp_lt_i32 s9, s10
	v_lshl_add_u64 v[20:21], s[12:13], 1, v[2:3]
	s_cselect_b32 s12, s9, s11
	s_ashr_i32 s13, s12, 31
	s_add_i32 s9, s0, 0xffffee80
	s_cmp_lt_i32 s9, s10
	v_lshl_add_u64 v[38:39], s[12:13], 1, v[2:3]
	;; [unrolled: 5-line block ×3, first 2 shown]
	s_cselect_b32 s12, s9, s11
	global_load_ushort v59, v[60:61], off
	s_ashr_i32 s13, s12, 31
	s_add_i32 s9, s0, 0xffffef80
	global_load_ushort v60, v[66:67], off
	global_load_ushort v61, v[62:63], off
	s_cmp_lt_i32 s9, s10
	v_lshl_add_u64 v[50:51], s[12:13], 1, v[2:3]
	s_cselect_b32 s12, s9, s11
	s_ashr_i32 s13, s12, 31
	s_add_i32 s9, s0, 0xfffff000
	s_cmp_lt_i32 s9, s10
	v_lshl_add_u64 v[52:53], s[12:13], 1, v[2:3]
	s_cselect_b32 s12, s9, s11
	s_ashr_i32 s13, s12, 31
	s_add_i32 s9, s0, 0xfffff080
	;; [unrolled: 5-line block ×3, first 2 shown]
	s_cmp_lt_i32 s9, s10
	v_lshl_add_u64 v[68:69], s[12:13], 1, v[2:3]
	s_cselect_b32 s12, s9, s11
	global_load_ushort v62, v[24:25], off
	s_ashr_i32 s13, s12, 31
	s_add_i32 s9, s0, 0xfffff180
	global_load_ushort v66, v[30:31], off
	global_load_ushort v124, v[32:33], off
	;; [unrolled: 1-line block ×4, first 2 shown]
	s_cmp_lt_i32 s9, s10
	v_lshl_add_u64 v[70:71], s[12:13], 1, v[2:3]
	s_cselect_b32 s12, s9, s11
	global_load_ushort v67, v[46:47], off
	s_ashr_i32 s13, s12, 31
	s_add_i32 s9, s0, 0xfffff200
	s_cmp_lt_i32 s9, s10
	v_lshl_add_u64 v[72:73], s[12:13], 1, v[2:3]
	s_cselect_b32 s12, s9, s11
	s_ashr_i32 s13, s12, 31
	s_add_i32 s9, s0, 0xfffff280
	s_cmp_lt_i32 s9, s10
	v_lshl_add_u64 v[74:75], s[12:13], 1, v[2:3]
	s_cselect_b32 s12, s9, s11
	s_ashr_i32 s13, s12, 31
	s_add_i32 s9, s0, 0xfffff300
	s_cmp_lt_i32 s9, s10
	v_mov_b32_e32 v125, s1
	v_lshl_add_u64 v[76:77], s[12:13], 1, v[2:3]
	s_cselect_b32 s12, s9, s11
	ds_read_b128 v[28:31], v125
	ds_read_b128 v[32:35], v125 offset:16
	global_load_ushort v48, v[48:49], off
	s_ashr_i32 s13, s12, 31
	s_add_i32 s9, s0, 0xfffff380
	s_cmp_lt_i32 s9, s10
	v_lshl_add_u64 v[78:79], s[12:13], 1, v[2:3]
	s_cselect_b32 s12, s9, s11
	ds_read_b128 v[44:47], v125 offset:32
	ds_read_b128 v[54:57], v125 offset:48
	global_load_ushort v36, v[36:37], off
	s_ashr_i32 s13, s12, 31
	v_lshl_add_u64 v[80:81], s[12:13], 1, v[2:3]
	global_load_ushort v49, v[80:81], off
	global_load_ushort v37, v[18:19], off
	s_add_i32 s9, s0, 0xfffff400
	global_load_ushort v38, v[38:39], off
	s_cmp_lt_i32 s9, s10
	s_cselect_b32 s12, s9, s11
	s_ashr_i32 s13, s12, 31
	s_add_i32 s9, s0, 0xfffff480
	s_cmp_lt_i32 s9, s10
	v_lshl_add_u64 v[82:83], s[12:13], 1, v[2:3]
	s_cselect_b32 s12, s9, s11
	s_ashr_i32 s13, s12, 31
	s_add_i32 s9, s0, 0xfffff500
	s_cmp_lt_i32 s9, s10
	v_lshl_add_u64 v[84:85], s[12:13], 1, v[2:3]
	;; [unrolled: 5-line block ×5, first 2 shown]
	s_cselect_b32 s12, s9, s11
	s_ashr_i32 s13, s12, 31
	s_add_i32 s9, s0, 0xfffff700
	s_waitcnt vmcnt(27)
	v_lshlrev_b32_e32 v111, 16, v111
	s_cmp_lt_i32 s9, s10
	s_waitcnt lgkmcnt(3)
	v_fmac_f32_e32 v110, v28, v111
	s_waitcnt vmcnt(25)
	v_lshlrev_b32_e32 v28, 16, v112
	v_lshl_add_u64 v[92:93], s[12:13], 1, v[2:3]
	s_cselect_b32 s12, s9, s11
	v_fmac_f32_e32 v110, v29, v28
	s_waitcnt vmcnt(24)
	v_lshlrev_b32_e32 v28, 16, v113
	s_ashr_i32 s13, s12, 31
	s_add_i32 s9, s0, 0xfffff780
	v_fmac_f32_e32 v110, v30, v28
	s_waitcnt vmcnt(23)
	v_lshlrev_b32_e32 v28, 16, v114
	s_cmp_lt_i32 s9, s10
	v_fmac_f32_e32 v110, v31, v28
	s_waitcnt vmcnt(22)
	v_lshlrev_b32_e32 v18, 16, v115
	v_lshl_add_u64 v[94:95], s[12:13], 1, v[2:3]
	s_cselect_b32 s12, s9, s11
	s_waitcnt lgkmcnt(2)
	v_fmac_f32_e32 v110, v32, v18
	global_load_ushort v32, v[20:21], off
	s_ashr_i32 s13, s12, 31
	s_add_i32 s9, s0, 0xfffff800
	s_waitcnt vmcnt(22)
	v_lshlrev_b32_e32 v18, 16, v116
	s_cmp_lt_i32 s9, s10
	v_fmac_f32_e32 v110, v33, v18
	global_load_ushort v33, v[40:41], off
	s_waitcnt vmcnt(22)
	v_lshlrev_b32_e32 v18, 16, v117
	v_lshl_add_u64 v[96:97], s[12:13], 1, v[2:3]
	s_cselect_b32 s12, s9, s11
	v_fmac_f32_e32 v110, v34, v18
	global_load_ushort v34, v[50:51], off
	s_waitcnt vmcnt(22)
	v_lshlrev_b32_e32 v18, 16, v118
	s_ashr_i32 s13, s12, 31
	s_add_i32 s9, s0, 0xfffff880
	v_fmac_f32_e32 v110, v35, v18
	global_load_ushort v35, v[52:53], off
	global_load_ushort v39, v[64:65], off
	s_waitcnt vmcnt(23)
	v_lshlrev_b32_e32 v18, 16, v119
	s_cmp_lt_i32 s9, s10
	s_waitcnt lgkmcnt(1)
	v_fmac_f32_e32 v110, v44, v18
	global_load_ushort v44, v[72:73], off
	s_waitcnt vmcnt(23)
	v_lshlrev_b32_e32 v18, 16, v120
	v_lshl_add_u64 v[98:99], s[12:13], 1, v[2:3]
	s_cselect_b32 s12, s9, s11
	v_fmac_f32_e32 v110, v45, v18
	v_lshlrev_b32_e32 v18, 16, v121
	s_ashr_i32 s13, s12, 31
	s_add_i32 s9, s0, 0xfffff900
	v_fmac_f32_e32 v110, v46, v18
	global_load_ushort v46, v[76:77], off
	s_waitcnt vmcnt(23)
	v_lshlrev_b32_e32 v18, 16, v122
	s_cmp_lt_i32 s9, s10
	v_fmac_f32_e32 v110, v47, v18
	s_waitcnt vmcnt(22)
	v_lshlrev_b32_e32 v18, 16, v123
	v_lshl_add_u64 v[102:103], s[12:13], 1, v[2:3]
	s_cselect_b32 s12, s9, s11
	s_waitcnt lgkmcnt(0)
	v_fmac_f32_e32 v110, v54, v18
	global_load_ushort v54, v[88:89], off
	global_load_ushort v40, v[68:69], off
	global_load_ushort v41, v[70:71], off
	global_load_ushort v45, v[74:75], off
	global_load_ushort v47, v[78:79], off
	global_load_ushort v50, v[82:83], off
	global_load_ushort v51, v[84:85], off
	global_load_ushort v52, v[86:87], off
	s_ashr_i32 s13, s12, 31
	s_add_i32 s9, s0, 0xfffff980
	s_cmp_lt_i32 s9, s10
	v_lshl_add_u64 v[104:105], s[12:13], 1, v[2:3]
	s_cselect_b32 s12, s9, s11
	s_ashr_i32 s13, s12, 31
	s_add_i32 s9, s0, 0xfffffa00
	s_cmp_lt_i32 s9, s10
	v_lshl_add_u64 v[106:107], s[12:13], 1, v[2:3]
	s_cselect_b32 s12, s9, s11
	s_ashr_i32 s13, s12, 31
	s_add_i32 s9, s0, 0xfffffa80
	s_waitcnt vmcnt(29)
	v_lshlrev_b32_e32 v18, 16, v58
	s_cmp_lt_i32 s9, s10
	v_fmac_f32_e32 v110, v55, v18
	global_load_ushort v55, v[90:91], off
	s_waitcnt vmcnt(29)
	v_lshlrev_b32_e32 v18, 16, v59
	v_lshl_add_u64 v[100:101], s[12:13], 1, v[2:3]
	s_cselect_b32 s12, s9, s11
	v_fmac_f32_e32 v110, v56, v18
	s_waitcnt vmcnt(28)
	v_lshlrev_b32_e32 v18, 16, v60
	s_ashr_i32 s13, s12, 31
	s_add_i32 s9, s0, 0xfffffb00
	v_fmac_f32_e32 v110, v57, v18
	ds_read_b128 v[18:21], v125 offset:64
	ds_read_b128 v[28:31], v125 offset:80
	s_cmp_lt_i32 s9, s10
	v_lshl_add_u64 v[42:43], s[12:13], 1, v[2:3]
	s_cselect_b32 s12, s9, s11
	s_ashr_i32 s13, s12, 31
	s_add_i32 s9, s0, 0xfffffb80
	s_cmp_lt_i32 s9, s10
	s_waitcnt vmcnt(27)
	v_lshlrev_b32_e32 v53, 16, v61
	v_lshl_add_u64 v[108:109], s[12:13], 1, v[2:3]
	s_cselect_b32 s12, s9, s11
	s_waitcnt lgkmcnt(1)
	v_fmac_f32_e32 v110, v18, v53
	global_load_ushort v53, v[92:93], off
	global_load_ushort v56, v[94:95], off
	;; [unrolled: 1-line block ×6, first 2 shown]
	s_ashr_i32 s13, s12, 31
	s_add_i32 s9, s0, 0xfffffc00
	s_cmp_lt_i32 s9, s10
	v_lshl_add_u64 v[4:5], s[12:13], 1, v[2:3]
	s_cselect_b32 s12, s9, s11
	s_ashr_i32 s13, s12, 31
	s_add_i32 s9, s0, 0xfffffc80
	s_cmp_lt_i32 s9, s10
	s_waitcnt vmcnt(32)
	v_lshlrev_b32_e32 v18, 16, v62
	v_lshl_add_u64 v[6:7], s[12:13], 1, v[2:3]
	s_cselect_b32 s12, s9, s11
	v_fmac_f32_e32 v110, v19, v18
	s_waitcnt vmcnt(28)
	v_lshlrev_b32_e32 v18, 16, v63
	s_ashr_i32 s13, s12, 31
	s_add_i32 s9, s0, 0xfffffd00
	v_fmac_f32_e32 v110, v20, v18
	v_lshlrev_b32_e32 v18, 16, v66
	s_cmp_lt_i32 s9, s10
	v_fmac_f32_e32 v110, v21, v18
	s_waitcnt vmcnt(27)
	v_lshlrev_b32_e32 v18, 16, v67
	v_lshl_add_u64 v[8:9], s[12:13], 1, v[2:3]
	s_cselect_b32 s12, s9, s11
	s_waitcnt lgkmcnt(0)
	v_fmac_f32_e32 v110, v28, v18
	global_load_ushort v28, v[106:107], off
	s_ashr_i32 s13, s12, 31
	s_add_i32 s9, s0, 0xfffffd80
	s_cmp_lt_i32 s9, s10
	global_load_ushort v61, v[100:101], off
	global_load_ushort v62, v[42:43], off
	;; [unrolled: 1-line block ×3, first 2 shown]
	v_lshl_add_u64 v[12:13], s[12:13], 1, v[2:3]
	s_cselect_b32 s12, s9, s11
	v_lshlrev_b32_e32 v18, 16, v124
	s_ashr_i32 s13, s12, 31
	s_add_i32 s9, s0, 0xfffffe00
	v_fmac_f32_e32 v110, v29, v18
	v_lshlrev_b32_e32 v18, 16, v126
	s_cmp_lt_i32 s9, s10
	v_fmac_f32_e32 v110, v30, v18
	global_load_ushort v29, v[4:5], off
	global_load_ushort v30, v[6:7], off
	v_lshl_add_u64 v[10:11], s[12:13], 1, v[2:3]
	s_cselect_b32 s12, s9, s11
	s_ashr_i32 s13, s12, 31
	s_add_i32 s9, s0, 0xfffffe80
	s_cmp_lt_i32 s9, s10
	s_waitcnt vmcnt(32)
	v_lshlrev_b32_e32 v4, 16, v48
	v_lshl_add_u64 v[22:23], s[12:13], 1, v[2:3]
	s_cselect_b32 s12, s9, s11
	v_fmac_f32_e32 v110, v31, v4
	ds_read_b128 v[4:7], v125 offset:96
	s_ashr_i32 s13, s12, 31
	s_add_i32 s9, s0, 0xffffff00
	s_cmp_lt_i32 s9, s10
	s_waitcnt vmcnt(31)
	v_lshlrev_b32_e32 v31, 16, v36
	global_load_ushort v36, v[8:9], off
	global_load_ushort v42, v[12:13], off
	v_lshl_add_u64 v[14:15], s[12:13], 1, v[2:3]
	s_cselect_b32 s12, s9, s11
	s_ashr_i32 s13, s12, 31
	s_add_i32 s9, s0, 0xffffff80
	s_cmp_lt_i32 s9, s10
	ds_read_b128 v[18:21], v125 offset:112
	s_waitcnt lgkmcnt(1)
	v_fmac_f32_e32 v110, v4, v31
	s_waitcnt vmcnt(31)
	v_lshlrev_b32_e32 v4, 16, v37
	global_load_ushort v31, v[10:11], off
	global_load_ushort v37, v[22:23], off
	v_lshl_add_u64 v[24:25], s[12:13], 1, v[2:3]
	s_cselect_b32 s12, s9, s11
	s_ashr_i32 s13, s12, 31
	s_cmp_lt_i32 s0, s10
	global_load_ushort v22, v[14:15], off
	global_load_ushort v23, v[24:25], off
	v_lshl_add_u64 v[16:17], s[12:13], 1, v[2:3]
	s_cselect_b32 s12, s0, s11
	s_ashr_i32 s13, s12, 31
	v_lshl_add_u64 v[26:27], s[12:13], 1, v[2:3]
	global_load_ushort v14, v[16:17], off
	global_load_ushort v15, v[26:27], off
	v_fmac_f32_e32 v110, v5, v4
	s_waitcnt vmcnt(35)
	v_lshlrev_b32_e32 v4, 16, v32
	v_fmac_f32_e32 v110, v6, v4
	v_lshlrev_b32_e32 v4, 16, v38
	v_fmac_f32_e32 v110, v7, v4
	s_waitcnt vmcnt(34)
	v_lshlrev_b32_e32 v4, 16, v33
	s_waitcnt lgkmcnt(0)
	v_fmac_f32_e32 v110, v18, v4
	s_waitcnt vmcnt(33)
	v_lshlrev_b32_e32 v4, 16, v34
	v_fmac_f32_e32 v110, v19, v4
	s_waitcnt vmcnt(32)
	v_lshlrev_b32_e32 v4, 16, v35
	v_fmac_f32_e32 v110, v20, v4
	ds_read_b128 v[4:7], v125 offset:128
	s_waitcnt vmcnt(31)
	v_lshlrev_b32_e32 v8, 16, v39
	v_fmac_f32_e32 v110, v21, v8
	ds_read_b128 v[8:11], v125 offset:144
	s_waitcnt vmcnt(27)
	v_lshlrev_b32_e32 v12, 16, v40
	s_waitcnt lgkmcnt(1)
	v_fmac_f32_e32 v110, v4, v12
	s_waitcnt vmcnt(26)
	v_lshlrev_b32_e32 v4, 16, v41
	v_fmac_f32_e32 v110, v5, v4
	v_lshlrev_b32_e32 v4, 16, v44
	v_fmac_f32_e32 v110, v6, v4
	s_waitcnt vmcnt(25)
	v_lshlrev_b32_e32 v4, 16, v45
	v_fmac_f32_e32 v110, v7, v4
	v_lshlrev_b32_e32 v4, 16, v46
	s_waitcnt lgkmcnt(0)
	v_fmac_f32_e32 v110, v8, v4
	s_waitcnt vmcnt(24)
	v_lshlrev_b32_e32 v4, 16, v47
	v_fmac_f32_e32 v110, v9, v4
	v_lshlrev_b32_e32 v4, 16, v49
	v_fmac_f32_e32 v110, v10, v4
	ds_read_b128 v[4:7], v125 offset:160
	s_waitcnt vmcnt(23)
	v_lshlrev_b32_e32 v8, 16, v50
	v_fmac_f32_e32 v110, v11, v8
	ds_read_b128 v[8:11], v125 offset:176
	s_waitcnt vmcnt(22)
	v_lshlrev_b32_e32 v12, 16, v51
	s_waitcnt lgkmcnt(1)
	v_fmac_f32_e32 v110, v4, v12
	s_waitcnt vmcnt(21)
	v_lshlrev_b32_e32 v4, 16, v52
	v_fmac_f32_e32 v110, v5, v4
	v_lshlrev_b32_e32 v4, 16, v54
	v_fmac_f32_e32 v110, v6, v4
	s_waitcnt vmcnt(20)
	v_lshlrev_b32_e32 v4, 16, v55
	v_fmac_f32_e32 v110, v7, v4
	s_waitcnt vmcnt(19)
	v_lshlrev_b32_e32 v4, 16, v53
	s_waitcnt lgkmcnt(0)
	v_fmac_f32_e32 v110, v8, v4
	s_waitcnt vmcnt(18)
	v_lshlrev_b32_e32 v4, 16, v56
	v_fmac_f32_e32 v110, v9, v4
	s_waitcnt vmcnt(17)
	v_lshlrev_b32_e32 v4, 16, v57
	v_fmac_f32_e32 v110, v10, v4
	ds_read_b128 v[4:7], v125 offset:192
	s_waitcnt vmcnt(16)
	v_lshlrev_b32_e32 v8, 16, v58
	v_fmac_f32_e32 v110, v11, v8
	ds_read_b128 v[8:11], v125 offset:208
	s_waitcnt vmcnt(15)
	v_lshlrev_b32_e32 v12, 16, v59
	s_waitcnt lgkmcnt(1)
	v_fmac_f32_e32 v110, v4, v12
	s_waitcnt vmcnt(14)
	v_lshlrev_b32_e32 v4, 16, v60
	v_fmac_f32_e32 v110, v5, v4
	s_waitcnt vmcnt(13)
	v_lshlrev_b32_e32 v4, 16, v28
	;; [unrolled: 3-line block ×4, first 2 shown]
	v_lshlrev_b32_e32 v4, 16, v62
	s_waitcnt lgkmcnt(0)
	v_pk_mul_f32 v[4:5], v[8:9], v[4:5]
	s_waitcnt vmcnt(6)
	v_lshlrev_b32_e32 v13, 16, v42
	v_add_f32_e32 v4, v110, v4
	v_add_f32_e32 v6, v4, v5
	v_lshlrev_b32_e32 v5, 16, v30
	v_lshlrev_b32_e32 v4, 16, v29
	v_pk_mul_f32 v[8:9], v[10:11], v[4:5]
	v_lshlrev_b32_e32 v12, 16, v36
	v_add_f32_e32 v8, v6, v8
	ds_read_b128 v[4:7], v125 offset:224
	v_add_f32_e32 v16, v8, v9
	ds_read_b128 v[8:11], v125 offset:240
	s_waitcnt lgkmcnt(1)
	v_pk_mul_f32 v[4:5], v[4:5], v[12:13]
	s_nop 0
	v_add_f32_e32 v4, v16, v4
	v_add_f32_e32 v12, v4, v5
	s_waitcnt vmcnt(4)
	v_lshlrev_b32_e32 v5, 16, v37
	v_lshlrev_b32_e32 v4, 16, v31
	v_pk_mul_f32 v[4:5], v[6:7], v[4:5]
	s_nop 0
	v_add_f32_e32 v4, v12, v4
	v_add_f32_e32 v6, v4, v5
	s_waitcnt vmcnt(2)
	v_lshlrev_b32_e32 v5, 16, v23
	v_lshlrev_b32_e32 v4, 16, v22
	s_waitcnt lgkmcnt(0)
	v_pk_mul_f32 v[4:5], v[8:9], v[4:5]
	s_nop 0
	v_add_f32_e32 v4, v6, v4
	v_add_f32_e32 v6, v4, v5
	s_waitcnt vmcnt(1)
	v_lshlrev_b32_e32 v4, 16, v14
	s_waitcnt vmcnt(0)
	v_lshlrev_b32_e32 v5, 16, v15
	v_pk_mul_f32 v[4:5], v[10:11], v[4:5]
	s_nop 0
	v_add_f32_e32 v4, v6, v4
	v_add_f32_e32 v110, v4, v5
	s_branch .LBB610_16
.LBB610_19:
	v_mov_b32_e32 v2, 0
	ds_read_b32 v2, v2 offset:3840
	s_cmp_lg_u64 s[6:7], 0
	s_cbranch_scc0 .LBB610_24
; %bb.20:
	s_load_dword s6, s[6:7], 0x0
	s_waitcnt lgkmcnt(0)
	v_div_scale_f32 v3, s[0:1], s6, s6, 1.0
	v_rcp_f32_e32 v4, v3
	v_div_scale_f32 v5, vcc, 1.0, s6, 1.0
	v_fma_f32 v6, -v3, v4, 1.0
	v_fmac_f32_e32 v4, v6, v4
	v_mul_f32_e32 v6, v5, v4
	v_fma_f32 v7, -v3, v6, v5
	v_fmac_f32_e32 v6, v7, v4
	v_fma_f32 v3, -v3, v6, v5
	v_div_fmas_f32 v3, v3, v4, v6
	v_div_fixup_f32 v3, v3, s6, 1.0
	s_andn2_b64 vcc, exec, s[48:49]
	s_cbranch_vccnz .LBB610_22
.LBB610_21:
	s_add_u32 s0, s46, s50
	s_addc_u32 s1, s47, s51
	s_load_dword s44, s[0:1], 0x0
	s_mov_b32 s45, 0
.LBB610_22:
	s_waitcnt lgkmcnt(0)
	v_add_f32_e32 v2, 0x358637bd, v2
	v_div_scale_f32 v4, s[0:1], v2, v2, 1.0
	v_rcp_f32_e32 v5, v4
	v_div_scale_f32 v6, vcc, 1.0, v2, 1.0
	s_mul_i32 s0, s3, s45
	v_fma_f32 v7, -v4, v5, 1.0
	v_fmac_f32_e32 v5, v7, v5
	v_mul_f32_e32 v7, v6, v5
	v_fma_f32 v8, -v4, v7, v6
	v_fmac_f32_e32 v7, v8, v5
	v_fma_f32 v4, -v4, v7, v6
	s_mul_hi_u32 s1, s3, s44
	v_div_fmas_f32 v4, v4, v5, v7
	s_add_i32 s1, s1, s0
	s_mul_i32 s0, s3, s44
	v_div_fixup_f32 v2, v4, v2, 1.0
	s_lshl_b64 s[0:1], s[0:1], 7
	v_mul_f32_e32 v2, v110, v2
	s_add_u32 s4, s4, s0
	s_mov_b32 s3, 0
	v_mul_f32_e32 v2, v2, v3
	s_addc_u32 s5, s5, s1
	s_lshl_b64 s[0:1], s[2:3], 7
	s_mov_b32 s2, 0x7f800000
	s_mov_b32 s3, 0x43700000
	v_mov_b32_e32 v3, 0xc3700000
	v_med3_f32 v3, v2, s3, v3
	v_cmp_nlg_f32_e64 vcc, |v2|, s2
	s_add_u32 s0, s4, s0
	s_addc_u32 s1, s5, s1
	v_cndmask_b32_e32 v2, v3, v2, vcc
	v_mov_b32_e32 v3, 0
	v_cvt_pk_fp8_f32 v3, v2, v2
	v_lshl_add_u64 v[0:1], s[0:1], 0, v[0:1]
	global_store_byte v[0:1], v3, off
	s_endpgm
.LBB610_23:
	s_mov_b64 s[6:7], 0
	s_branch .LBB610_2
.LBB610_24:
	v_mov_b32_e32 v3, 1.0
	s_andn2_b64 vcc, exec, s[48:49]
	s_cbranch_vccz .LBB610_21
	s_branch .LBB610_22
	.section	.rodata,"a",@progbits
	.p2align	6, 0x0
	.amdhsa_kernel _Z35paged_attention_ll4mi_reduce_kernelI14__hip_bfloat16hLi128ELi128ELi256ELi15EEvPT0_PKfS4_PKT_PKiS9_iS4_
		.amdhsa_group_segment_fixed_size 3844
		.amdhsa_private_segment_fixed_size 0
		.amdhsa_kernarg_size 320
		.amdhsa_user_sgpr_count 2
		.amdhsa_user_sgpr_dispatch_ptr 0
		.amdhsa_user_sgpr_queue_ptr 0
		.amdhsa_user_sgpr_kernarg_segment_ptr 1
		.amdhsa_user_sgpr_dispatch_id 0
		.amdhsa_user_sgpr_kernarg_preload_length 0
		.amdhsa_user_sgpr_kernarg_preload_offset 0
		.amdhsa_user_sgpr_private_segment_size 0
		.amdhsa_uses_dynamic_stack 0
		.amdhsa_enable_private_segment 0
		.amdhsa_system_sgpr_workgroup_id_x 1
		.amdhsa_system_sgpr_workgroup_id_y 1
		.amdhsa_system_sgpr_workgroup_id_z 0
		.amdhsa_system_sgpr_workgroup_info 0
		.amdhsa_system_vgpr_workitem_id 0
		.amdhsa_next_free_vgpr 127
		.amdhsa_next_free_sgpr 59
		.amdhsa_accum_offset 128
		.amdhsa_reserve_vcc 1
		.amdhsa_float_round_mode_32 0
		.amdhsa_float_round_mode_16_64 0
		.amdhsa_float_denorm_mode_32 3
		.amdhsa_float_denorm_mode_16_64 3
		.amdhsa_dx10_clamp 1
		.amdhsa_ieee_mode 1
		.amdhsa_fp16_overflow 0
		.amdhsa_tg_split 0
		.amdhsa_exception_fp_ieee_invalid_op 0
		.amdhsa_exception_fp_denorm_src 0
		.amdhsa_exception_fp_ieee_div_zero 0
		.amdhsa_exception_fp_ieee_overflow 0
		.amdhsa_exception_fp_ieee_underflow 0
		.amdhsa_exception_fp_ieee_inexact 0
		.amdhsa_exception_int_div_zero 0
	.end_amdhsa_kernel
	.section	.text._Z35paged_attention_ll4mi_reduce_kernelI14__hip_bfloat16hLi128ELi128ELi256ELi15EEvPT0_PKfS4_PKT_PKiS9_iS4_,"axG",@progbits,_Z35paged_attention_ll4mi_reduce_kernelI14__hip_bfloat16hLi128ELi128ELi256ELi15EEvPT0_PKfS4_PKT_PKiS9_iS4_,comdat
.Lfunc_end610:
	.size	_Z35paged_attention_ll4mi_reduce_kernelI14__hip_bfloat16hLi128ELi128ELi256ELi15EEvPT0_PKfS4_PKT_PKiS9_iS4_, .Lfunc_end610-_Z35paged_attention_ll4mi_reduce_kernelI14__hip_bfloat16hLi128ELi128ELi256ELi15EEvPT0_PKfS4_PKT_PKiS9_iS4_
                                        ; -- End function
	.section	.AMDGPU.csdata,"",@progbits
; Kernel info:
; codeLenInByte = 10776
; NumSgprs: 65
; NumVgprs: 127
; NumAgprs: 0
; TotalNumVgprs: 127
; ScratchSize: 0
; MemoryBound: 0
; FloatMode: 240
; IeeeMode: 1
; LDSByteSize: 3844 bytes/workgroup (compile time only)
; SGPRBlocks: 8
; VGPRBlocks: 15
; NumSGPRsForWavesPerEU: 65
; NumVGPRsForWavesPerEU: 127
; AccumOffset: 128
; Occupancy: 4
; WaveLimiterHint : 1
; COMPUTE_PGM_RSRC2:SCRATCH_EN: 0
; COMPUTE_PGM_RSRC2:USER_SGPR: 2
; COMPUTE_PGM_RSRC2:TRAP_HANDLER: 0
; COMPUTE_PGM_RSRC2:TGID_X_EN: 1
; COMPUTE_PGM_RSRC2:TGID_Y_EN: 1
; COMPUTE_PGM_RSRC2:TGID_Z_EN: 0
; COMPUTE_PGM_RSRC2:TIDIG_COMP_CNT: 0
; COMPUTE_PGM_RSRC3_GFX90A:ACCUM_OFFSET: 31
; COMPUTE_PGM_RSRC3_GFX90A:TG_SPLIT: 0
	.section	.text._Z35paged_attention_ll4mi_reduce_kernelI14__hip_bfloat16hLi128ELi128ELi256ELi16EEvPT0_PKfS4_PKT_PKiS9_iS4_,"axG",@progbits,_Z35paged_attention_ll4mi_reduce_kernelI14__hip_bfloat16hLi128ELi128ELi256ELi16EEvPT0_PKfS4_PKT_PKiS9_iS4_,comdat
	.protected	_Z35paged_attention_ll4mi_reduce_kernelI14__hip_bfloat16hLi128ELi128ELi256ELi16EEvPT0_PKfS4_PKT_PKiS9_iS4_ ; -- Begin function _Z35paged_attention_ll4mi_reduce_kernelI14__hip_bfloat16hLi128ELi128ELi256ELi16EEvPT0_PKfS4_PKT_PKiS9_iS4_
	.globl	_Z35paged_attention_ll4mi_reduce_kernelI14__hip_bfloat16hLi128ELi128ELi256ELi16EEvPT0_PKfS4_PKT_PKiS9_iS4_
	.p2align	8
	.type	_Z35paged_attention_ll4mi_reduce_kernelI14__hip_bfloat16hLi128ELi128ELi256ELi16EEvPT0_PKfS4_PKT_PKiS9_iS4_,@function
_Z35paged_attention_ll4mi_reduce_kernelI14__hip_bfloat16hLi128ELi128ELi256ELi16EEvPT0_PKfS4_PKT_PKiS9_iS4_: ; @_Z35paged_attention_ll4mi_reduce_kernelI14__hip_bfloat16hLi128ELi128ELi256ELi16EEvPT0_PKfS4_PKT_PKiS9_iS4_
; %bb.0:
	s_load_dwordx2 s[48:49], s[0:1], 0x28
	s_mov_b32 s38, s3
	s_mov_b64 s[4:5], 0
	s_waitcnt lgkmcnt(0)
	s_cmp_lg_u64 s[48:49], 0
	s_cselect_b64 s[50:51], -1, 0
	s_and_b64 vcc, exec, s[50:51]
	s_cbranch_vccz .LBB611_23
; %bb.1:
	s_add_i32 s6, s38, 1
	s_mov_b32 s7, 0
	s_lshl_b64 s[8:9], s[6:7], 2
	s_add_u32 s8, s48, s8
	s_mov_b32 s39, s7
	s_addc_u32 s9, s49, s9
	s_lshl_b64 s[6:7], s[38:39], 2
	s_add_u32 s6, s48, s6
	s_addc_u32 s7, s49, s7
	s_load_dword s3, s[8:9], 0x0
	s_load_dword s10, s[6:7], 0x0
	s_waitcnt lgkmcnt(0)
	s_sub_i32 s3, s3, s10
	s_cmp_eq_u32 s3, 1
	s_cselect_b64 s[6:7], -1, 0
	s_andn2_b64 vcc, exec, s[4:5]
	s_cbranch_vccnz .LBB611_3
.LBB611_2:
	s_mov_b32 s39, 0
	s_mov_b64 s[6:7], -1
.LBB611_3:
	s_andn2_b64 vcc, exec, s[6:7]
	s_cbranch_vccz .LBB611_5
; %bb.4:
	s_endpgm
.LBB611_5:
	s_load_dwordx4 s[40:43], s[0:1], 0x18
	s_load_dword s8, s[0:1], 0x30
	s_lshl_b64 s[52:53], s[38:39], 2
	v_cmp_lt_u32_e32 vcc, 63, v0
	s_waitcnt lgkmcnt(0)
	s_add_u32 s4, s42, s52
	s_addc_u32 s5, s43, s53
	s_load_dword s60, s[4:5], 0x0
	s_load_dword s3, s[0:1], 0x40
	s_mul_i32 s42, s2, s8
	s_mul_i32 s6, s38, s8
	s_waitcnt lgkmcnt(0)
	s_add_i32 s7, s60, 0xff
	s_ashr_i32 s4, s7, 31
	s_lshr_b32 s4, s4, 24
	s_add_i32 s7, s7, s4
	s_and_saveexec_b64 s[4:5], vcc
	s_xor_b64 s[4:5], exec, s[4:5]
	s_or_saveexec_b64 s[54:55], s[4:5]
	s_ashr_i32 s33, s7, 8
	v_mov_b32_e32 v1, s42
	s_mul_i32 s56, s6, s3
	s_xor_b64 exec, exec, s[54:55]
	s_cbranch_execz .LBB611_9
; %bb.6:
	s_add_i32 s4, s33, -1
	v_or_b32_e32 v3, 64, v0
	v_mov_b32_e32 v1, s4
	v_cmp_gt_u32_e64 s[22:23], s33, v3
	s_load_dwordx4 s[44:47], s[0:1], 0x8
	s_mov_b32 s57, 0
	v_cndmask_b32_e64 v4, v1, v3, s[22:23]
	v_or_b32_e32 v3, 0x80, v0
	v_cmp_gt_u32_e64 s[20:21], s33, v3
	s_lshl_b64 s[58:59], s[56:57], 2
	s_mov_b32 s43, s57
	v_cndmask_b32_e64 v6, v1, v3, s[20:21]
	v_or_b32_e32 v3, 0xc0, v0
	v_cmp_gt_u32_e64 s[18:19], s33, v3
	v_cmp_gt_u32_e64 s[24:25], s33, v0
	s_waitcnt lgkmcnt(0)
	s_add_u32 s36, s46, s58
	v_cndmask_b32_e64 v8, v1, v3, s[18:19]
	v_or_b32_e32 v3, 0x100, v0
	v_cmp_gt_u32_e64 s[16:17], s33, v3
	v_cndmask_b32_e64 v2, v1, v0, s[24:25]
	s_addc_u32 s37, s47, s59
	v_cndmask_b32_e64 v10, v1, v3, s[16:17]
	v_or_b32_e32 v3, 0x140, v0
	v_cmp_gt_u32_e64 s[14:15], s33, v3
	s_lshl_b64 s[46:47], s[42:43], 2
	s_add_u32 s36, s36, s46
	v_cndmask_b32_e64 v12, v1, v3, s[14:15]
	v_or_b32_e32 v3, 0x180, v0
	v_cmp_gt_u32_e64 s[10:11], s33, v3
	v_ashrrev_i32_e32 v5, 31, v4
	v_ashrrev_i32_e32 v7, 31, v6
	v_cndmask_b32_e64 v14, v1, v3, s[10:11]
	v_or_b32_e32 v3, 0x1c0, v0
	v_cmp_gt_u32_e64 s[8:9], s33, v3
	v_ashrrev_i32_e32 v9, 31, v8
	s_addc_u32 s37, s37, s47
	v_cndmask_b32_e64 v18, v1, v3, s[8:9]
	v_or_b32_e32 v3, 0x200, v0
	v_cmp_gt_u32_e64 s[6:7], s33, v3
	v_lshlrev_b64 v[20:21], 2, v[4:5]
	v_lshlrev_b64 v[16:17], 2, v[6:7]
	v_cndmask_b32_e64 v24, v1, v3, s[6:7]
	v_or_b32_e32 v3, 0x240, v0
	v_cmp_gt_u32_e64 s[4:5], s33, v3
	v_lshlrev_b64 v[4:5], 2, v[8:9]
	v_ashrrev_i32_e32 v11, 31, v10
	v_cndmask_b32_e64 v26, v1, v3, s[4:5]
	v_or_b32_e32 v3, 0x280, v0
	v_cmp_gt_u32_e32 vcc, s33, v3
	v_ashrrev_i32_e32 v13, 31, v12
	v_ashrrev_i32_e32 v15, 31, v14
	v_cndmask_b32_e32 v28, v1, v3, vcc
	v_or_b32_e32 v3, 0x2c0, v0
	v_cmp_gt_u32_e64 s[34:35], s33, v3
	v_ashrrev_i32_e32 v19, 31, v18
	v_lshl_add_u64 v[38:39], s[36:37], 0, v[20:21]
	v_cndmask_b32_e64 v30, v1, v3, s[34:35]
	v_or_b32_e32 v3, 0x300, v0
	v_cmp_gt_u32_e64 s[30:31], s33, v3
	v_lshl_add_u64 v[40:41], s[36:37], 0, v[16:17]
	v_lshl_add_u64 v[42:43], s[36:37], 0, v[4:5]
	v_cndmask_b32_e64 v32, v1, v3, s[30:31]
	v_or_b32_e32 v3, 0x340, v0
	v_cmp_gt_u32_e64 s[28:29], s33, v3
	v_lshlrev_b64 v[6:7], 2, v[12:13]
	v_lshlrev_b64 v[8:9], 2, v[14:15]
	v_cndmask_b32_e64 v34, v1, v3, s[28:29]
	v_or_b32_e32 v3, 0x380, v0
	v_cmp_gt_u32_e64 s[26:27], s33, v3
	v_lshlrev_b64 v[18:19], 2, v[18:19]
	v_lshl_add_u64 v[12:13], s[36:37], 0, v[6:7]
	v_cndmask_b32_e64 v48, v1, v3, s[26:27]
	v_or_b32_e32 v3, 0x3c0, v0
	v_cmp_gt_u32_e64 s[12:13], s33, v3
	v_lshl_add_u64 v[14:15], s[36:37], 0, v[8:9]
	v_lshl_add_u64 v[52:53], s[36:37], 0, v[18:19]
	v_cndmask_b32_e64 v50, v1, v3, s[12:13]
	v_ashrrev_i32_e32 v3, 31, v2
	v_lshlrev_b64 v[22:23], 2, v[2:3]
	v_lshl_add_u64 v[36:37], s[36:37], 0, v[22:23]
	v_lshlrev_b64 v[2:3], 2, v[10:11]
	v_lshl_add_u64 v[10:11], s[36:37], 0, v[2:3]
	global_load_dword v47, v[36:37], off
	global_load_dword v46, v[38:39], off
	global_load_dword v44, v[40:41], off
	s_nop 0
	global_load_dword v43, v[42:43], off
	s_nop 0
	global_load_dword v41, v[10:11], off
	global_load_dword v40, v[12:13], off
	;; [unrolled: 1-line block ×4, first 2 shown]
	v_ashrrev_i32_e32 v25, 31, v24
	v_lshlrev_b64 v[24:25], 2, v[24:25]
	v_ashrrev_i32_e32 v27, 31, v26
	v_ashrrev_i32_e32 v29, 31, v28
	;; [unrolled: 1-line block ×7, first 2 shown]
	v_lshl_add_u64 v[12:13], s[36:37], 0, v[24:25]
	v_lshlrev_b64 v[26:27], 2, v[26:27]
	v_lshlrev_b64 v[10:11], 2, v[28:29]
	;; [unrolled: 1-line block ×7, first 2 shown]
	v_lshl_add_u64 v[14:15], s[36:37], 0, v[26:27]
	v_lshl_add_u64 v[28:29], s[36:37], 0, v[10:11]
	v_lshl_add_u64 v[30:31], s[36:37], 0, v[52:53]
	v_lshl_add_u64 v[56:57], s[36:37], 0, v[54:55]
	v_lshl_add_u64 v[34:35], s[36:37], 0, v[58:59]
	v_lshl_add_u64 v[62:63], s[36:37], 0, v[60:61]
	v_lshl_add_u64 v[66:67], s[36:37], 0, v[64:65]
	global_load_dword v38, v[12:13], off
	global_load_dword v36, v[14:15], off
	;; [unrolled: 1-line block ×8, first 2 shown]
	s_mov_b32 s43, 0x3fb8aa3b
	s_waitcnt vmcnt(15)
	v_max_f32_e32 v12, v47, v47
	s_waitcnt vmcnt(14)
	v_max_f32_e32 v1, v46, v46
	v_max_f32_e32 v1, v12, v1
	s_waitcnt vmcnt(12)
	v_max3_f32 v1, v1, v44, v43
	s_waitcnt vmcnt(10)
	v_max3_f32 v1, v1, v41, v40
	;; [unrolled: 2-line block ×7, first 2 shown]
	v_mbcnt_lo_u32_b32 v1, -1, 0
	v_mbcnt_hi_u32_b32 v13, -1, v1
	v_and_b32_e32 v1, 64, v13
	v_add_u32_e32 v14, 64, v1
	v_xor_b32_e32 v1, 32, v13
	v_cmp_lt_i32_e64 s[36:37], v1, v14
	s_nop 1
	v_cndmask_b32_e64 v1, v13, v1, s[36:37]
	v_lshlrev_b32_e32 v1, 2, v1
	ds_bpermute_b32 v15, v1, v12
	s_waitcnt lgkmcnt(0)
	v_max_f32_e32 v15, v15, v15
	v_max_f32_e32 v12, v12, v15
	v_xor_b32_e32 v15, 16, v13
	v_cmp_lt_i32_e64 s[36:37], v15, v14
	s_nop 1
	v_cndmask_b32_e64 v15, v13, v15, s[36:37]
	v_lshlrev_b32_e32 v30, 2, v15
	ds_bpermute_b32 v15, v30, v12
	s_waitcnt lgkmcnt(0)
	v_max_f32_e32 v15, v15, v15
	v_max_f32_e32 v12, v12, v15
	v_xor_b32_e32 v15, 8, v13
	v_cmp_lt_i32_e64 s[36:37], v15, v14
	s_nop 1
	v_cndmask_b32_e64 v15, v13, v15, s[36:37]
	v_lshlrev_b32_e32 v31, 2, v15
	ds_bpermute_b32 v15, v31, v12
	s_waitcnt lgkmcnt(0)
	v_max_f32_e32 v15, v15, v15
	v_max_f32_e32 v12, v12, v15
	v_xor_b32_e32 v15, 4, v13
	v_cmp_lt_i32_e64 s[36:37], v15, v14
	s_nop 1
	v_cndmask_b32_e64 v15, v13, v15, s[36:37]
	v_lshlrev_b32_e32 v33, 2, v15
	ds_bpermute_b32 v15, v33, v12
	s_waitcnt lgkmcnt(0)
	v_max_f32_e32 v15, v15, v15
	v_max_f32_e32 v12, v12, v15
	v_xor_b32_e32 v15, 2, v13
	v_cmp_lt_i32_e64 s[36:37], v15, v14
	s_nop 1
	v_cndmask_b32_e64 v15, v13, v15, s[36:37]
	v_lshlrev_b32_e32 v34, 2, v15
	ds_bpermute_b32 v15, v34, v12
	s_waitcnt lgkmcnt(0)
	v_max_f32_e32 v15, v15, v15
	v_max_f32_e32 v45, v12, v15
	v_xor_b32_e32 v12, 1, v13
	v_cmp_lt_i32_e64 s[36:37], v12, v14
	s_nop 1
	v_cndmask_b32_e64 v12, v13, v12, s[36:37]
	s_add_u32 s36, s44, s58
	s_addc_u32 s37, s45, s59
	s_add_u32 s44, s36, s46
	s_addc_u32 s45, s37, s47
	v_lshlrev_b32_e32 v35, 2, v12
	v_lshl_add_u64 v[28:29], s[44:45], 0, v[52:53]
	v_lshl_add_u64 v[12:13], s[44:45], 0, v[54:55]
	;; [unrolled: 1-line block ×6, first 2 shown]
	global_load_dword v12, v[12:13], off
	s_nop 0
	global_load_dword v13, v[14:15], off
	s_nop 0
	global_load_dword v14, v[52:53], off
	global_load_dword v15, v[54:55], off
	s_nop 0
	global_load_dword v52, v[10:11], off
	s_nop 0
	global_load_dword v11, v[28:29], off
	ds_bpermute_b32 v56, v35, v45
	s_mov_b32 s47, 0xc2ce8ed0
	s_mov_b32 s46, 0x42b17218
	v_lshl_add_u64 v[4:5], s[44:45], 0, v[4:5]
	v_lshl_add_u64 v[2:3], s[44:45], 0, v[2:3]
	s_waitcnt lgkmcnt(0)
	v_max_f32_e32 v56, v56, v56
	v_max_f32_e32 v45, v45, v56
	v_sub_f32_e32 v56, v51, v45
	v_mul_f32_e32 v51, 0x3fb8aa3b, v56
	v_fma_f32 v57, v56, s43, -v51
	v_rndne_f32_e32 v58, v51
	v_fmac_f32_e32 v57, 0x32a5705f, v56
	v_sub_f32_e32 v51, v51, v58
	v_add_f32_e32 v51, v51, v57
	v_exp_f32_e32 v57, v51
	v_cvt_i32_f32_e32 v58, v58
	v_cmp_ngt_f32_e64 s[36:37], s47, v56
	v_mov_b32_e32 v51, 0x7f800000
	v_sub_f32_e32 v29, v50, v45
	v_ldexp_f32 v57, v57, v58
	v_cndmask_b32_e64 v57, 0, v57, s[36:37]
	v_cmp_nlt_f32_e64 s[36:37], s46, v56
	v_mul_f32_e32 v10, 0x3fb8aa3b, v29
	v_rndne_f32_e32 v50, v10
	v_cndmask_b32_e64 v56, v51, v57, s[36:37]
	v_cndmask_b32_e64 v56, 0, v56, s[34:35]
	v_cmp_ngt_f32_e64 s[34:35], s47, v29
	s_waitcnt vmcnt(0)
	v_mul_f32_e32 v28, v11, v56
	v_fma_f32 v11, v29, s43, -v10
	v_fmac_f32_e32 v11, 0x32a5705f, v29
	v_sub_f32_e32 v10, v10, v50
	v_add_f32_e32 v10, v10, v11
	v_exp_f32_e32 v53, v10
	v_cvt_i32_f32_e32 v50, v50
	v_lshl_add_u64 v[10:11], s[44:45], 0, v[22:23]
	global_load_dword v54, v[10:11], off
	v_lshl_add_u64 v[10:11], s[44:45], 0, v[24:25]
	v_lshl_add_u64 v[22:23], s[44:45], 0, v[26:27]
	global_load_dword v24, v[10:11], off
	s_nop 0
	global_load_dword v22, v[22:23], off
	v_ldexp_f32 v10, v53, v50
	v_sub_f32_e32 v25, v49, v45
	v_cndmask_b32_e64 v23, 0, v10, s[34:35]
	v_mul_f32_e32 v10, 0x3fb8aa3b, v25
	v_fma_f32 v11, v25, s43, -v10
	v_rndne_f32_e32 v26, v10
	v_fmac_f32_e32 v11, 0x32a5705f, v25
	v_sub_f32_e32 v10, v10, v26
	v_add_f32_e32 v10, v10, v11
	v_exp_f32_e32 v27, v10
	v_cvt_i32_f32_e32 v26, v26
	v_lshl_add_u64 v[10:11], s[44:45], 0, v[20:21]
	v_cmp_nlt_f32_e64 s[34:35], s46, v29
	global_load_dword v20, v[10:11], off
	s_nop 0
	v_cndmask_b32_e64 v10, v51, v23, s[34:35]
	v_cndmask_b32_e64 v10, 0, v10, s[30:31]
	v_mul_f32_e32 v12, v12, v10
	v_ldexp_f32 v10, v27, v26
	v_cmp_ngt_f32_e64 s[30:31], s47, v25
	v_sub_f32_e32 v23, v48, v45
	s_nop 0
	v_cndmask_b32_e64 v21, 0, v10, s[30:31]
	v_mul_f32_e32 v10, 0x3fb8aa3b, v23
	v_fma_f32 v11, v23, s43, -v10
	v_rndne_f32_e32 v26, v10
	v_fmac_f32_e32 v11, 0x32a5705f, v23
	v_sub_f32_e32 v10, v10, v26
	v_add_f32_e32 v27, v10, v11
	v_lshl_add_u64 v[10:11], s[44:45], 0, v[16:17]
	global_load_dword v10, v[10:11], off
	v_exp_f32_e32 v11, v27
	v_cvt_i32_f32_e32 v16, v26
	v_cmp_nlt_f32_e64 s[30:31], s46, v25
	v_ldexp_f32 v11, v11, v16
	s_nop 0
	v_cndmask_b32_e64 v17, v51, v21, s[30:31]
	v_cndmask_b32_e64 v17, 0, v17, s[28:29]
	v_cmp_ngt_f32_e64 s[28:29], s47, v23
	global_load_dword v16, v[4:5], off
	v_mul_f32_e32 v13, v13, v17
	v_cndmask_b32_e64 v11, 0, v11, s[28:29]
	v_cmp_nlt_f32_e64 s[28:29], s46, v23
	s_nop 1
	v_cndmask_b32_e64 v11, v51, v11, s[28:29]
	v_cndmask_b32_e64 v11, 0, v11, s[26:27]
	v_mul_f32_e32 v11, v14, v11
	v_sub_f32_e32 v14, v47, v45
	v_mul_f32_e32 v4, 0x3fb8aa3b, v14
	v_fma_f32 v5, v14, s43, -v4
	v_rndne_f32_e32 v17, v4
	v_fmac_f32_e32 v5, 0x32a5705f, v14
	v_sub_f32_e32 v4, v4, v17
	v_add_f32_e32 v21, v4, v5
	v_lshl_add_u64 v[4:5], s[44:45], 0, v[6:7]
	v_lshl_add_u64 v[6:7], s[44:45], 0, v[8:9]
	v_lshl_add_u64 v[8:9], s[44:45], 0, v[18:19]
	global_load_dword v18, v[2:3], off
	global_load_dword v19, v[4:5], off
	;; [unrolled: 1-line block ×4, first 2 shown]
	v_sub_f32_e32 v3, v46, v45
	v_mul_f32_e32 v4, 0x3fb8aa3b, v3
	v_fma_f32 v5, v3, s43, -v4
	v_rndne_f32_e32 v6, v4
	v_fmac_f32_e32 v5, 0x32a5705f, v3
	v_sub_f32_e32 v4, v4, v6
	v_add_f32_e32 v4, v4, v5
	v_exp_f32_e32 v4, v4
	v_cvt_i32_f32_e32 v5, v6
	v_exp_f32_e32 v21, v21
	v_cvt_i32_f32_e32 v17, v17
	v_cmp_ngt_f32_e64 s[26:27], s47, v14
	v_ldexp_f32 v4, v4, v5
	v_sub_f32_e32 v5, v44, v45
	v_mul_f32_e32 v6, 0x3fb8aa3b, v5
	v_fma_f32 v7, v5, s43, -v6
	v_rndne_f32_e32 v8, v6
	v_fmac_f32_e32 v7, 0x32a5705f, v5
	v_sub_f32_e32 v6, v6, v8
	v_ldexp_f32 v2, v21, v17
	v_add_f32_e32 v6, v6, v7
	v_cndmask_b32_e64 v2, 0, v2, s[26:27]
	v_cmp_nlt_f32_e64 s[26:27], s46, v14
	v_exp_f32_e32 v6, v6
	v_cvt_i32_f32_e32 v7, v8
	v_cndmask_b32_e64 v2, v51, v2, s[26:27]
	v_cndmask_b32_e64 v2, 0, v2, s[24:25]
	v_cmp_ngt_f32_e64 s[24:25], s47, v3
	v_sub_f32_e32 v17, v42, v45
	s_waitcnt vmcnt(9)
	v_mul_f32_e32 v2, v54, v2
	v_cndmask_b32_e64 v4, 0, v4, s[24:25]
	v_cmp_nlt_f32_e64 s[24:25], s46, v3
	s_nop 1
	v_cndmask_b32_e64 v3, v51, v4, s[24:25]
	v_ldexp_f32 v4, v6, v7
	v_sub_f32_e32 v6, v43, v45
	v_mul_f32_e32 v7, 0x3fb8aa3b, v6
	v_fma_f32 v8, v6, s43, -v7
	v_rndne_f32_e32 v9, v7
	v_fmac_f32_e32 v8, 0x32a5705f, v6
	v_sub_f32_e32 v7, v7, v9
	v_add_f32_e32 v7, v7, v8
	v_exp_f32_e32 v7, v7
	v_cvt_i32_f32_e32 v8, v9
	v_cndmask_b32_e64 v3, 0, v3, s[22:23]
	v_cmp_ngt_f32_e64 s[22:23], s47, v5
	s_waitcnt vmcnt(6)
	v_mul_f32_e32 v3, v20, v3
	v_cndmask_b32_e64 v4, 0, v4, s[22:23]
	v_cmp_nlt_f32_e64 s[22:23], s46, v5
	v_ldexp_f32 v5, v7, v8
	v_sub_f32_e32 v7, v41, v45
	v_cndmask_b32_e64 v4, v51, v4, s[22:23]
	v_cndmask_b32_e64 v4, 0, v4, s[20:21]
	v_mul_f32_e32 v8, 0x3fb8aa3b, v7
	s_waitcnt vmcnt(5)
	v_mul_f32_e32 v4, v10, v4
	v_fma_f32 v9, v7, s43, -v8
	v_rndne_f32_e32 v10, v8
	v_fmac_f32_e32 v9, 0x32a5705f, v7
	v_sub_f32_e32 v8, v8, v10
	v_add_f32_e32 v8, v8, v9
	v_exp_f32_e32 v8, v8
	v_cvt_i32_f32_e32 v9, v10
	v_cmp_ngt_f32_e64 s[20:21], s47, v6
	s_nop 1
	v_cndmask_b32_e64 v5, 0, v5, s[20:21]
	v_cmp_nlt_f32_e64 s[20:21], s46, v6
	v_ldexp_f32 v6, v8, v9
	v_sub_f32_e32 v8, v40, v45
	v_mul_f32_e32 v9, 0x3fb8aa3b, v8
	v_fma_f32 v10, v8, s43, -v9
	v_rndne_f32_e32 v14, v9
	v_fmac_f32_e32 v10, 0x32a5705f, v8
	v_sub_f32_e32 v9, v9, v14
	v_cndmask_b32_e64 v5, v51, v5, s[20:21]
	v_add_f32_e32 v9, v9, v10
	v_cndmask_b32_e64 v5, 0, v5, s[18:19]
	v_cmp_ngt_f32_e64 s[18:19], s47, v7
	v_exp_f32_e32 v9, v9
	v_cvt_i32_f32_e32 v10, v14
	v_cndmask_b32_e64 v6, 0, v6, s[18:19]
	v_cmp_nlt_f32_e64 s[18:19], s46, v7
	v_sub_f32_e32 v7, v39, v45
	s_waitcnt vmcnt(4)
	v_mul_f32_e32 v5, v16, v5
	v_cndmask_b32_e64 v6, v51, v6, s[18:19]
	v_cndmask_b32_e64 v6, 0, v6, s[16:17]
	s_waitcnt vmcnt(3)
	v_mul_f32_e32 v14, v18, v6
	v_ldexp_f32 v6, v9, v10
	v_mul_f32_e32 v9, 0x3fb8aa3b, v7
	v_fma_f32 v10, v7, s43, -v9
	v_rndne_f32_e32 v16, v9
	v_fmac_f32_e32 v10, 0x32a5705f, v7
	v_sub_f32_e32 v9, v9, v16
	v_add_f32_e32 v9, v9, v10
	v_cmp_ngt_f32_e64 s[16:17], s47, v8
	v_exp_f32_e32 v9, v9
	v_cvt_i32_f32_e32 v10, v16
	v_cndmask_b32_e64 v6, 0, v6, s[16:17]
	v_cmp_nlt_f32_e64 s[16:17], s46, v8
	v_mul_f32_e32 v18, 0x3fb8aa3b, v17
	v_rndne_f32_e32 v20, v18
	v_cndmask_b32_e64 v6, v51, v6, s[16:17]
	v_cndmask_b32_e64 v6, 0, v6, s[14:15]
	s_waitcnt vmcnt(2)
	v_mul_f32_e32 v16, v19, v6
	v_ldexp_f32 v6, v9, v10
	v_cmp_ngt_f32_e64 s[14:15], s47, v7
	v_fma_f32 v19, v17, s43, -v18
	v_fmac_f32_e32 v19, 0x32a5705f, v17
	v_cndmask_b32_e64 v6, 0, v6, s[14:15]
	v_cmp_nlt_f32_e64 s[14:15], s46, v7
	v_sub_f32_e32 v7, v37, v45
	v_sub_f32_e32 v18, v18, v20
	v_mul_f32_e32 v8, 0x3fb8aa3b, v7
	v_add_f32_e32 v18, v18, v19
	v_fma_f32 v9, v7, s43, -v8
	v_rndne_f32_e32 v10, v8
	v_exp_f32_e32 v18, v18
	v_cvt_i32_f32_e32 v19, v20
	v_fmac_f32_e32 v9, 0x32a5705f, v7
	v_sub_f32_e32 v8, v8, v10
	v_add_f32_e32 v8, v8, v9
	v_cndmask_b32_e64 v6, v51, v6, s[14:15]
	v_exp_f32_e32 v8, v8
	v_cvt_i32_f32_e32 v9, v10
	v_cndmask_b32_e64 v6, 0, v6, s[10:11]
	v_ldexp_f32 v10, v18, v19
	v_cmp_ngt_f32_e64 s[10:11], s47, v17
	v_ldexp_f32 v8, v8, v9
	v_sub_f32_e32 v9, v38, v45
	v_cndmask_b32_e64 v10, 0, v10, s[10:11]
	v_cmp_nlt_f32_e64 s[10:11], s46, v17
	s_waitcnt vmcnt(1)
	v_mul_f32_e32 v6, v23, v6
	v_cndmask_b32_e64 v10, v51, v10, s[10:11]
	v_cndmask_b32_e64 v10, 0, v10, s[12:13]
	v_mul_f32_e32 v15, v15, v10
	v_mul_f32_e32 v10, 0x3fb8aa3b, v9
	v_cmp_ngt_f32_e64 s[10:11], s47, v7
	v_fma_f32 v17, v9, s43, -v10
	v_rndne_f32_e32 v18, v10
	v_cndmask_b32_e64 v8, 0, v8, s[10:11]
	v_cmp_nlt_f32_e64 s[10:11], s46, v7
	v_fmac_f32_e32 v17, 0x32a5705f, v9
	v_sub_f32_e32 v10, v10, v18
	v_cndmask_b32_e64 v7, v51, v8, s[10:11]
	v_add_f32_e32 v8, v2, v3
	v_add_f32_e32 v10, v10, v17
	;; [unrolled: 1-line block ×3, first 2 shown]
	v_exp_f32_e32 v10, v10
	v_cvt_i32_f32_e32 v17, v18
	v_add_f32_e32 v8, v8, v5
	v_add_f32_e32 v8, v8, v14
	;; [unrolled: 1-line block ×4, first 2 shown]
	v_ldexp_f32 v8, v10, v17
	v_sub_f32_e32 v10, v36, v45
	v_mul_f32_e32 v17, 0x3fb8aa3b, v10
	v_fma_f32 v19, v10, s43, -v17
	v_rndne_f32_e32 v20, v17
	v_fmac_f32_e32 v19, 0x32a5705f, v10
	v_sub_f32_e32 v17, v17, v20
	v_add_f32_e32 v17, v17, v19
	v_exp_f32_e32 v17, v17
	v_cvt_i32_f32_e32 v19, v20
	v_cndmask_b32_e64 v7, 0, v7, s[8:9]
	v_cmp_ngt_f32_e64 s[8:9], s47, v9
	s_waitcnt vmcnt(0)
	v_mul_f32_e32 v7, v25, v7
	v_add_f32_e32 v18, v18, v7
	v_cndmask_b32_e64 v8, 0, v8, s[8:9]
	v_cmp_nlt_f32_e64 s[8:9], s46, v9
	v_ldexp_f32 v9, v17, v19
	v_sub_f32_e32 v17, v32, v45
	v_mul_f32_e32 v19, 0x3fb8aa3b, v17
	v_fma_f32 v20, v17, s43, -v19
	v_rndne_f32_e32 v21, v19
	v_cndmask_b32_e64 v8, v51, v8, s[8:9]
	v_fmac_f32_e32 v20, 0x32a5705f, v17
	v_sub_f32_e32 v19, v19, v21
	v_cndmask_b32_e64 v8, 0, v8, s[6:7]
	v_cmp_ngt_f32_e64 s[6:7], s47, v10
	v_add_f32_e32 v19, v19, v20
	v_mul_f32_e32 v8, v24, v8
	v_cndmask_b32_e64 v9, 0, v9, s[6:7]
	v_cmp_nlt_f32_e64 s[6:7], s46, v10
	v_exp_f32_e32 v10, v19
	v_cvt_i32_f32_e32 v19, v21
	v_cndmask_b32_e64 v9, v51, v9, s[6:7]
	v_cndmask_b32_e64 v9, 0, v9, s[4:5]
	v_cmp_ngt_f32_e64 s[4:5], s47, v17
	v_ldexp_f32 v10, v10, v19
	v_mul_f32_e32 v9, v22, v9
	v_cndmask_b32_e64 v10, 0, v10, s[4:5]
	v_cmp_nlt_f32_e64 s[4:5], s46, v17
	v_add_f32_e32 v17, v18, v8
	v_add_f32_e32 v17, v17, v9
	v_cndmask_b32_e64 v10, v51, v10, s[4:5]
	v_cndmask_b32_e32 v10, 0, v10, vcc
	v_mul_f32_e32 v10, v52, v10
	v_add_f32_e32 v17, v17, v10
	v_add_f32_e32 v17, v17, v28
	;; [unrolled: 1-line block ×6, first 2 shown]
	ds_bpermute_b32 v1, v1, v17
	v_lshlrev_b32_e32 v18, 2, v0
	ds_write2st64_b32 v18, v6, v7 offset0:6 offset1:7
	ds_write2st64_b32 v18, v2, v3 offset1:1
	ds_write2st64_b32 v18, v4, v5 offset0:2 offset1:3
	ds_write2st64_b32 v18, v14, v16 offset0:4 offset1:5
	;; [unrolled: 1-line block ×3, first 2 shown]
	v_cmp_eq_u32_e32 vcc, 0, v0
	s_waitcnt lgkmcnt(5)
	v_add_f32_e32 v1, v17, v1
	ds_bpermute_b32 v17, v30, v1
	ds_write2st64_b32 v18, v10, v28 offset0:10 offset1:11
	ds_write2st64_b32 v18, v12, v13 offset0:12 offset1:13
	;; [unrolled: 1-line block ×3, first 2 shown]
	s_waitcnt lgkmcnt(3)
	v_add_f32_e32 v1, v1, v17
	ds_bpermute_b32 v17, v31, v1
	s_waitcnt lgkmcnt(0)
	v_add_f32_e32 v1, v1, v17
	ds_bpermute_b32 v17, v33, v1
	;; [unrolled: 3-line block ×4, first 2 shown]
	s_and_saveexec_b64 s[4:5], vcc
	s_cbranch_execz .LBB611_8
; %bb.7:
	s_waitcnt lgkmcnt(0)
	v_add_f32_e32 v1, v1, v2
	v_mov_b32_e32 v2, 0
	ds_write_b32 v2, v1 offset:4096
.LBB611_8:
	s_or_b64 exec, exec, s[4:5]
	v_mov_b32_e32 v1, s42
.LBB611_9:
	s_or_b64 exec, exec, s[54:55]
	s_lshl_b32 s4, s56, 7
	s_mov_b32 s5, 0
	s_lshl_b64 s[4:5], s[4:5], 1
	s_add_u32 s4, s40, s4
	s_addc_u32 s5, s41, s5
	s_lshl_b32 s10, s33, 7
	s_waitcnt lgkmcnt(0)
	v_lshlrev_b32_e32 v2, 7, v1
	v_mov_b32_e32 v1, 0
	s_add_i32 s11, s10, 0xffffff80
	v_mov_b32_e32 v3, v1
	s_cmp_lt_i32 s60, 1
	v_lshl_add_u64 v[2:3], v[2:3], 1, s[4:5]
	s_cselect_b32 s4, s11, 0
	v_lshlrev_b32_e32 v4, 1, v0
	v_mov_b32_e32 v5, v1
	s_ashr_i32 s5, s4, 31
	v_lshl_add_u64 v[2:3], v[2:3], 0, v[4:5]
	s_cmpk_lt_i32 s60, 0x101
	v_lshl_add_u64 v[4:5], s[4:5], 1, v[2:3]
	s_cselect_b32 s4, s11, 0x80
	s_ashr_i32 s5, s4, 31
	s_cmpk_lt_i32 s60, 0x201
	v_lshl_add_u64 v[6:7], s[4:5], 1, v[2:3]
	s_cselect_b32 s4, s11, 0x100
	s_ashr_i32 s5, s4, 31
	;; [unrolled: 4-line block ×8, first 2 shown]
	s_cmpk_lt_i32 s60, 0x901
	global_load_ushort v23, v[4:5], off
	global_load_ushort v22, v[6:7], off
	;; [unrolled: 1-line block ×8, first 2 shown]
	v_lshl_add_u64 v[4:5], s[4:5], 1, v[2:3]
	s_cselect_b32 s4, s11, 0x480
	s_ashr_i32 s5, s4, 31
	s_cmpk_lt_i32 s60, 0xa01
	v_lshl_add_u64 v[6:7], s[4:5], 1, v[2:3]
	s_cselect_b32 s4, s11, 0x500
	s_ashr_i32 s5, s4, 31
	s_cmpk_lt_i32 s60, 0xb01
	;; [unrolled: 4-line block ×6, first 2 shown]
	v_lshl_add_u64 v[32:33], s[4:5], 1, v[2:3]
	s_cselect_b32 s4, s11, 0x780
	s_ashr_i32 s5, s4, 31
	v_lshl_add_u64 v[34:35], s[4:5], 1, v[2:3]
	global_load_ushort v30, v[4:5], off
	global_load_ushort v31, v[6:7], off
	;; [unrolled: 1-line block ×8, first 2 shown]
	s_cmpk_gt_i32 s60, 0x1000
	s_cselect_b64 s[8:9], -1, 0
	s_cmpk_lt_i32 s60, 0x1001
	v_mov_b32_e32 v40, 0
	v_mov_b32_e32 v41, 0
	;; [unrolled: 1-line block ×48, first 2 shown]
	s_barrier
	s_cbranch_scc1 .LBB611_12
; %bb.10:
	s_cmpk_lt_u32 s60, 0x1101
	s_cselect_b32 s4, s11, 0x880
	s_ashr_i32 s5, s4, 31
	s_cmpk_lt_u32 s60, 0x1201
	v_lshl_add_u64 v[6:7], s[4:5], 1, v[2:3]
	s_cselect_b32 s4, s11, 0x900
	s_ashr_i32 s5, s4, 31
	s_cmpk_lt_u32 s60, 0x1301
	v_lshl_add_u64 v[8:9], s[4:5], 1, v[2:3]
	;; [unrolled: 4-line block ×7, first 2 shown]
	s_cselect_b32 s4, s11, 0xc00
	v_add_co_u32_e32 v4, vcc, 0x1000, v2
	s_ashr_i32 s5, s4, 31
	s_nop 0
	v_addc_co_u32_e32 v5, vcc, 0, v3, vcc
	s_cmpk_lt_u32 s60, 0x1901
	global_load_ushort v39, v[4:5], off
	global_load_ushort v38, v[6:7], off
	global_load_ushort v37, v[8:9], off
	global_load_ushort v36, v[10:11], off
	global_load_ushort v35, v[12:13], off
	global_load_ushort v34, v[14:15], off
	global_load_ushort v33, v[40:41], off
	global_load_ushort v32, v[42:43], off
	v_lshl_add_u64 v[4:5], s[4:5], 1, v[2:3]
	s_cselect_b32 s4, s11, 0xc80
	s_ashr_i32 s5, s4, 31
	s_cmpk_lt_u32 s60, 0x1a01
	v_lshl_add_u64 v[6:7], s[4:5], 1, v[2:3]
	s_cselect_b32 s4, s11, 0xd00
	s_ashr_i32 s5, s4, 31
	s_cmpk_lt_u32 s60, 0x1b01
	;; [unrolled: 4-line block ×6, first 2 shown]
	v_lshl_add_u64 v[48:49], s[4:5], 1, v[2:3]
	s_cselect_b32 s4, s11, 0xf80
	s_ashr_i32 s5, s4, 31
	v_lshl_add_u64 v[50:51], s[4:5], 1, v[2:3]
	global_load_ushort v47, v[4:5], off
	global_load_ushort v46, v[6:7], off
	;; [unrolled: 1-line block ×8, first 2 shown]
	s_cmpk_lt_u32 s60, 0x2001
	v_mov_b32_e32 v67, 0
	v_mov_b32_e32 v65, 0
	;; [unrolled: 1-line block ×32, first 2 shown]
	s_cbranch_scc1 .LBB611_12
; %bb.11:
	s_cmpk_lt_u32 s60, 0x2101
	s_cselect_b32 s4, s11, 0x1080
	s_ashr_i32 s5, s4, 31
	s_cmpk_lt_u32 s60, 0x2201
	v_lshl_add_u64 v[4:5], s[4:5], 1, v[2:3]
	s_cselect_b32 s4, s11, 0x1100
	s_ashr_i32 s5, s4, 31
	s_cmpk_lt_u32 s60, 0x2301
	v_lshl_add_u64 v[6:7], s[4:5], 1, v[2:3]
	;; [unrolled: 4-line block ×29, first 2 shown]
	s_cselect_b32 s4, s11, 0x1f00
	s_ashr_i32 s5, s4, 31
	v_lshl_add_u64 v[94:95], s[4:5], 1, v[2:3]
	s_movk_i32 s4, 0x2000
	s_cmpk_lt_u32 s60, 0x3f01
	v_add_co_u32_e32 v96, vcc, s4, v2
	s_cselect_b32 s4, s11, 0x1f80
	s_nop 0
	v_addc_co_u32_e32 v97, vcc, 0, v3, vcc
	s_ashr_i32 s5, s4, 31
	global_load_ushort v98, v[96:97], off
	global_load_ushort v99, v[4:5], off
	;; [unrolled: 1-line block ×15, first 2 shown]
                                        ; kill: killed $vgpr58_vgpr59
                                        ; kill: killed $vgpr10_vgpr11
                                        ; kill: killed $vgpr48_vgpr49
                                        ; kill: killed $vgpr54_vgpr55
                                        ; kill: killed $vgpr6_vgpr7
                                        ; kill: killed $vgpr60_vgpr61
                                        ; kill: killed $vgpr12_vgpr13
                                        ; kill: killed $vgpr50_vgpr51
                                        ; kill: killed $vgpr56_vgpr57
                                        ; kill: killed $vgpr8_vgpr9
                                        ; kill: killed $vgpr62_vgpr63
                                        ; kill: killed $vgpr14_vgpr15
                                        ; kill: killed $vgpr96 killed $vgpr97
                                        ; kill: killed $vgpr52_vgpr53
                                        ; kill: killed $vgpr4_vgpr5
	global_load_ushort v6, v[64:65], off
	global_load_ushort v7, v[66:67], off
	;; [unrolled: 1-line block ×15, first 2 shown]
                                        ; kill: killed $vgpr90_vgpr91
                                        ; kill: killed $vgpr74_vgpr75
                                        ; kill: killed $vgpr80_vgpr81
                                        ; kill: killed $vgpr64_vgpr65
                                        ; kill: killed $vgpr70_vgpr71
                                        ; kill: killed $vgpr92_vgpr93
                                        ; kill: killed $vgpr76_vgpr77
                                        ; kill: killed $vgpr82_vgpr83
                                        ; kill: killed $vgpr66_vgpr67
                                        ; kill: killed $vgpr88_vgpr89
                                        ; kill: killed $vgpr72_vgpr73
                                        ; kill: killed $vgpr94_vgpr95
                                        ; kill: killed $vgpr78_vgpr79
                                        ; kill: killed $vgpr84_vgpr85
                                        ; kill: killed $vgpr68_vgpr69
	global_load_ushort v68, v[86:87], off
	v_lshl_add_u64 v[4:5], s[4:5], 1, v[2:3]
	global_load_ushort v5, v[4:5], off
	s_waitcnt vmcnt(31)
	v_lshlrev_b32_e32 v67, 16, v98
	s_waitcnt vmcnt(30)
	v_lshlrev_b32_e32 v65, 16, v99
	;; [unrolled: 2-line block ×32, first 2 shown]
.LBB611_12:
	s_load_dwordx2 s[4:5], s[0:1], 0x0
	s_load_dwordx2 s[6:7], s[0:1], 0x38
	ds_read_b128 v[68:71], v1
	s_waitcnt vmcnt(15)
	v_lshlrev_b32_e32 v23, 16, v23
	ds_read_b128 v[72:75], v1 offset:16
	ds_read_b128 v[76:79], v1 offset:32
	;; [unrolled: 1-line block ×3, first 2 shown]
	s_waitcnt vmcnt(14)
	v_lshlrev_b32_e32 v22, 16, v22
	s_waitcnt vmcnt(13)
	v_lshlrev_b32_e32 v21, 16, v21
	s_waitcnt lgkmcnt(0)
	v_fma_f32 v23, v68, v23, 0
	v_fmac_f32_e32 v23, v69, v22
	v_fmac_f32_e32 v23, v70, v21
	s_waitcnt vmcnt(12)
	v_lshlrev_b32_e32 v20, 16, v20
	s_waitcnt vmcnt(10)
	v_lshlrev_b32_e32 v19, 16, v19
	v_lshlrev_b32_e32 v18, 16, v18
	v_fmac_f32_e32 v23, v71, v20
	v_pk_mul_f32 v[18:19], v[72:73], v[18:19]
	s_waitcnt vmcnt(8)
	v_lshlrev_b32_e32 v17, 16, v17
	v_add_f32_e32 v18, v23, v18
	v_lshlrev_b32_e32 v16, 16, v16
	v_add_f32_e32 v18, v18, v19
	v_pk_mul_f32 v[16:17], v[74:75], v[16:17]
	s_and_b64 vcc, exec, s[8:9]
	v_add_f32_e32 v16, v18, v16
	v_add_f32_e32 v18, v16, v17
	s_waitcnt vmcnt(6)
	v_lshlrev_b32_e32 v17, 16, v31
	v_lshlrev_b32_e32 v16, 16, v30
	v_pk_mul_f32 v[16:17], v[76:77], v[16:17]
	s_nop 0
	v_add_f32_e32 v16, v18, v16
	v_add_f32_e32 v18, v16, v17
	s_waitcnt vmcnt(4)
	v_lshlrev_b32_e32 v17, 16, v29
	v_lshlrev_b32_e32 v16, 16, v28
	v_pk_mul_f32 v[16:17], v[78:79], v[16:17]
	s_nop 0
	;; [unrolled: 7-line block ×4, first 2 shown]
	v_add_f32_e32 v16, v18, v16
	v_add_f32_e32 v110, v16, v17
	s_cbranch_vccz .LBB611_15
; %bb.13:
	ds_read_b128 v[16:19], v1 offset:64
	v_lshlrev_b32_e32 v39, 16, v39
	ds_read_b128 v[20:23], v1 offset:80
	ds_read_b128 v[24:27], v1 offset:96
	;; [unrolled: 1-line block ×3, first 2 shown]
	s_cmpk_lt_u32 s60, 0x2001
	s_waitcnt lgkmcnt(3)
	v_fmac_f32_e32 v110, v16, v39
	v_lshlrev_b32_e32 v16, 16, v38
	v_fmac_f32_e32 v110, v17, v16
	v_lshlrev_b32_e32 v16, 16, v37
	v_fmac_f32_e32 v110, v18, v16
	v_lshlrev_b32_e32 v16, 16, v36
	v_fmac_f32_e32 v110, v19, v16
	v_lshlrev_b32_e32 v16, 16, v35
	s_waitcnt lgkmcnt(2)
	v_fmac_f32_e32 v110, v20, v16
	v_lshlrev_b32_e32 v16, 16, v34
	v_fmac_f32_e32 v110, v21, v16
	v_lshlrev_b32_e32 v16, 16, v33
	v_fmac_f32_e32 v110, v22, v16
	v_lshlrev_b32_e32 v16, 16, v32
	v_fmac_f32_e32 v110, v23, v16
	v_lshlrev_b32_e32 v16, 16, v47
	;; [unrolled: 9-line block ×3, first 2 shown]
	s_waitcnt lgkmcnt(0)
	v_fmac_f32_e32 v110, v28, v16
	v_lshlrev_b32_e32 v16, 16, v42
	v_fmac_f32_e32 v110, v29, v16
	v_lshlrev_b32_e32 v16, 16, v41
	;; [unrolled: 2-line block ×3, first 2 shown]
	v_fmac_f32_e32 v110, v31, v16
	s_cbranch_scc1 .LBB611_15
; %bb.14:
	v_mov_b32_e32 v32, 0
	ds_read_b128 v[16:19], v32 offset:128
	ds_read_b128 v[20:23], v32 offset:144
	;; [unrolled: 1-line block ×4, first 2 shown]
	s_waitcnt lgkmcnt(3)
	v_fmac_f32_e32 v110, v16, v67
	v_fmac_f32_e32 v110, v17, v65
	v_fmac_f32_e32 v110, v18, v66
	v_fmac_f32_e32 v110, v19, v63
	s_waitcnt lgkmcnt(2)
	v_fmac_f32_e32 v110, v20, v64
	v_fmac_f32_e32 v110, v21, v61
	v_fmac_f32_e32 v110, v22, v62
	v_fmac_f32_e32 v110, v23, v59
	;; [unrolled: 5-line block ×3, first 2 shown]
	ds_read_b128 v[16:19], v32 offset:192
	ds_read_b128 v[20:23], v32 offset:208
	s_waitcnt lgkmcnt(2)
	v_fmac_f32_e32 v110, v28, v56
	v_fmac_f32_e32 v110, v29, v53
	;; [unrolled: 1-line block ×4, first 2 shown]
	s_waitcnt lgkmcnt(1)
	v_fmac_f32_e32 v110, v16, v51
	v_fmac_f32_e32 v110, v17, v49
	;; [unrolled: 1-line block ×4, first 2 shown]
	s_waitcnt lgkmcnt(0)
	v_pk_mul_f32 v[14:15], v[20:21], v[14:15]
	v_pk_mul_f32 v[12:13], v[22:23], v[12:13]
	v_add_f32_e32 v14, v110, v14
	v_add_f32_e32 v18, v14, v15
	ds_read_b128 v[14:17], v32 offset:224
	v_add_f32_e32 v12, v18, v12
	ds_read_b128 v[18:21], v32 offset:240
	v_add_f32_e32 v12, v12, v13
	s_waitcnt lgkmcnt(1)
	v_pk_mul_f32 v[10:11], v[14:15], v[10:11]
	s_nop 0
	v_add_f32_e32 v10, v12, v10
	v_add_f32_e32 v10, v10, v11
	v_pk_mul_f32 v[8:9], v[16:17], v[8:9]
	s_waitcnt lgkmcnt(0)
	v_pk_mul_f32 v[6:7], v[18:19], v[6:7]
	v_add_f32_e32 v8, v10, v8
	v_add_f32_e32 v8, v8, v9
	;; [unrolled: 1-line block ×4, first 2 shown]
	v_pk_mul_f32 v[4:5], v[20:21], v[4:5]
	s_nop 0
	v_add_f32_e32 v4, v6, v4
	v_add_f32_e32 v110, v4, v5
.LBB611_15:
	s_movk_i32 s0, 0x3f80
	s_movk_i32 s1, 0x100
	s_mov_b32 s8, 64
	s_branch .LBB611_17
.LBB611_16:                             ;   in Loop: Header=BB611_17 Depth=1
	s_addk_i32 s0, 0x2000
	s_addk_i32 s1, 0x100
	s_add_i32 s8, s8, 64
	s_cmp_eq_u32 s0, 0x21f80
	s_cbranch_scc1 .LBB611_19
.LBB611_17:                             ; =>This Inner Loop Header: Depth=1
	s_cmp_le_i32 s33, s8
	s_cbranch_scc1 .LBB611_16
; %bb.18:                               ;   in Loop: Header=BB611_17 Depth=1
	s_add_i32 s9, s0, 0xffffe080
	s_cmp_lt_i32 s9, s10
	s_cselect_b32 s12, s9, s11
	s_ashr_i32 s13, s12, 31
	s_add_i32 s9, s0, 0xffffe100
	s_cmp_lt_i32 s9, s10
	v_lshl_add_u64 v[42:43], s[12:13], 1, v[2:3]
	s_cselect_b32 s12, s9, s11
	s_ashr_i32 s13, s12, 31
	s_add_i32 s9, s0, 0xffffe180
	s_cmp_lt_i32 s9, s10
	v_lshl_add_u64 v[4:5], s[12:13], 1, v[2:3]
	;; [unrolled: 5-line block ×21, first 2 shown]
	s_cselect_b32 s12, s9, s11
	s_ashr_i32 s13, s12, 31
	s_add_i32 s9, s0, 0xffffeb80
	s_cmp_lt_i32 s9, s10
	global_load_ushort v111, v[42:43], off
	global_load_ushort v121, v[44:45], off
	v_lshl_add_u64 v[32:33], s[12:13], 1, v[2:3]
	s_cselect_b32 s12, s9, s11
	global_load_ushort v112, v[4:5], off
	global_load_ushort v113, v[6:7], off
	;; [unrolled: 1-line block ×8, first 2 shown]
	s_ashr_i32 s13, s12, 31
	s_add_i32 s9, s0, 0xffffec00
	s_cmp_lt_i32 s9, s10
	v_lshl_add_u64 v[34:35], s[12:13], 1, v[2:3]
	s_cselect_b32 s12, s9, s11
	s_ashr_i32 s13, s12, 31
	s_add_i32 s9, s0, 0xffffec80
	s_cmp_lt_i32 s9, s10
	v_lshl_add_u64 v[48:49], s[12:13], 1, v[2:3]
	s_cselect_b32 s12, s9, s11
	;; [unrolled: 5-line block ×3, first 2 shown]
	global_load_ushort v120, v[28:29], off
	s_ashr_i32 s13, s12, 31
	s_add_i32 s9, s0, 0xffffed80
	s_cmp_lt_i32 s9, s10
	global_load_ushort v122, v[54:55], off
	global_load_ushort v123, v[56:57], off
	v_lshl_add_u64 v[18:19], s[12:13], 1, v[2:3]
	global_load_ushort v58, v[58:59], off
	s_cselect_b32 s12, s9, s11
	s_ashr_i32 s13, s12, 31
	s_add_i32 s9, s0, 0xffffee00
	s_cmp_lt_i32 s9, s10
	v_lshl_add_u64 v[20:21], s[12:13], 1, v[2:3]
	s_cselect_b32 s12, s9, s11
	s_ashr_i32 s13, s12, 31
	s_add_i32 s9, s0, 0xffffee80
	s_cmp_lt_i32 s9, s10
	v_lshl_add_u64 v[38:39], s[12:13], 1, v[2:3]
	;; [unrolled: 5-line block ×3, first 2 shown]
	s_cselect_b32 s12, s9, s11
	global_load_ushort v59, v[60:61], off
	s_ashr_i32 s13, s12, 31
	s_add_i32 s9, s0, 0xffffef80
	global_load_ushort v60, v[66:67], off
	global_load_ushort v61, v[62:63], off
	s_cmp_lt_i32 s9, s10
	v_lshl_add_u64 v[50:51], s[12:13], 1, v[2:3]
	s_cselect_b32 s12, s9, s11
	s_ashr_i32 s13, s12, 31
	s_add_i32 s9, s0, 0xfffff000
	s_cmp_lt_i32 s9, s10
	v_lshl_add_u64 v[52:53], s[12:13], 1, v[2:3]
	s_cselect_b32 s12, s9, s11
	s_ashr_i32 s13, s12, 31
	s_add_i32 s9, s0, 0xfffff080
	s_cmp_lt_i32 s9, s10
	v_lshl_add_u64 v[64:65], s[12:13], 1, v[2:3]
	s_cselect_b32 s12, s9, s11
	s_ashr_i32 s13, s12, 31
	s_add_i32 s9, s0, 0xfffff100
	s_cmp_lt_i32 s9, s10
	v_lshl_add_u64 v[68:69], s[12:13], 1, v[2:3]
	s_cselect_b32 s12, s9, s11
	global_load_ushort v62, v[24:25], off
	s_ashr_i32 s13, s12, 31
	s_add_i32 s9, s0, 0xfffff180
	global_load_ushort v66, v[30:31], off
	global_load_ushort v124, v[32:33], off
	global_load_ushort v126, v[34:35], off
	global_load_ushort v63, v[26:27], off
	s_cmp_lt_i32 s9, s10
	v_lshl_add_u64 v[70:71], s[12:13], 1, v[2:3]
	s_cselect_b32 s12, s9, s11
	global_load_ushort v67, v[46:47], off
	s_ashr_i32 s13, s12, 31
	s_add_i32 s9, s0, 0xfffff200
	s_cmp_lt_i32 s9, s10
	v_lshl_add_u64 v[72:73], s[12:13], 1, v[2:3]
	s_cselect_b32 s12, s9, s11
	s_ashr_i32 s13, s12, 31
	s_add_i32 s9, s0, 0xfffff280
	s_cmp_lt_i32 s9, s10
	v_lshl_add_u64 v[74:75], s[12:13], 1, v[2:3]
	s_cselect_b32 s12, s9, s11
	s_ashr_i32 s13, s12, 31
	s_add_i32 s9, s0, 0xfffff300
	s_cmp_lt_i32 s9, s10
	v_mov_b32_e32 v125, s1
	v_lshl_add_u64 v[76:77], s[12:13], 1, v[2:3]
	s_cselect_b32 s12, s9, s11
	ds_read_b128 v[28:31], v125
	ds_read_b128 v[32:35], v125 offset:16
	global_load_ushort v48, v[48:49], off
	s_ashr_i32 s13, s12, 31
	s_add_i32 s9, s0, 0xfffff380
	s_cmp_lt_i32 s9, s10
	v_lshl_add_u64 v[78:79], s[12:13], 1, v[2:3]
	s_cselect_b32 s12, s9, s11
	ds_read_b128 v[44:47], v125 offset:32
	ds_read_b128 v[54:57], v125 offset:48
	global_load_ushort v36, v[36:37], off
	s_ashr_i32 s13, s12, 31
	v_lshl_add_u64 v[80:81], s[12:13], 1, v[2:3]
	global_load_ushort v49, v[80:81], off
	global_load_ushort v37, v[18:19], off
	s_add_i32 s9, s0, 0xfffff400
	global_load_ushort v38, v[38:39], off
	s_cmp_lt_i32 s9, s10
	s_cselect_b32 s12, s9, s11
	s_ashr_i32 s13, s12, 31
	s_add_i32 s9, s0, 0xfffff480
	s_cmp_lt_i32 s9, s10
	v_lshl_add_u64 v[82:83], s[12:13], 1, v[2:3]
	s_cselect_b32 s12, s9, s11
	s_ashr_i32 s13, s12, 31
	s_add_i32 s9, s0, 0xfffff500
	s_cmp_lt_i32 s9, s10
	v_lshl_add_u64 v[84:85], s[12:13], 1, v[2:3]
	;; [unrolled: 5-line block ×5, first 2 shown]
	s_cselect_b32 s12, s9, s11
	s_ashr_i32 s13, s12, 31
	s_add_i32 s9, s0, 0xfffff700
	s_waitcnt vmcnt(27)
	v_lshlrev_b32_e32 v111, 16, v111
	s_cmp_lt_i32 s9, s10
	s_waitcnt lgkmcnt(3)
	v_fmac_f32_e32 v110, v28, v111
	s_waitcnt vmcnt(25)
	v_lshlrev_b32_e32 v28, 16, v112
	v_lshl_add_u64 v[92:93], s[12:13], 1, v[2:3]
	s_cselect_b32 s12, s9, s11
	v_fmac_f32_e32 v110, v29, v28
	s_waitcnt vmcnt(24)
	v_lshlrev_b32_e32 v28, 16, v113
	s_ashr_i32 s13, s12, 31
	s_add_i32 s9, s0, 0xfffff780
	v_fmac_f32_e32 v110, v30, v28
	s_waitcnt vmcnt(23)
	v_lshlrev_b32_e32 v28, 16, v114
	s_cmp_lt_i32 s9, s10
	v_fmac_f32_e32 v110, v31, v28
	s_waitcnt vmcnt(22)
	v_lshlrev_b32_e32 v18, 16, v115
	v_lshl_add_u64 v[94:95], s[12:13], 1, v[2:3]
	s_cselect_b32 s12, s9, s11
	s_waitcnt lgkmcnt(2)
	v_fmac_f32_e32 v110, v32, v18
	global_load_ushort v32, v[20:21], off
	s_ashr_i32 s13, s12, 31
	s_add_i32 s9, s0, 0xfffff800
	s_waitcnt vmcnt(22)
	v_lshlrev_b32_e32 v18, 16, v116
	s_cmp_lt_i32 s9, s10
	v_fmac_f32_e32 v110, v33, v18
	global_load_ushort v33, v[40:41], off
	s_waitcnt vmcnt(22)
	v_lshlrev_b32_e32 v18, 16, v117
	v_lshl_add_u64 v[96:97], s[12:13], 1, v[2:3]
	s_cselect_b32 s12, s9, s11
	v_fmac_f32_e32 v110, v34, v18
	global_load_ushort v34, v[50:51], off
	s_waitcnt vmcnt(22)
	v_lshlrev_b32_e32 v18, 16, v118
	s_ashr_i32 s13, s12, 31
	s_add_i32 s9, s0, 0xfffff880
	v_fmac_f32_e32 v110, v35, v18
	global_load_ushort v35, v[52:53], off
	global_load_ushort v39, v[64:65], off
	s_waitcnt vmcnt(23)
	v_lshlrev_b32_e32 v18, 16, v119
	s_cmp_lt_i32 s9, s10
	s_waitcnt lgkmcnt(1)
	v_fmac_f32_e32 v110, v44, v18
	global_load_ushort v44, v[72:73], off
	s_waitcnt vmcnt(23)
	v_lshlrev_b32_e32 v18, 16, v120
	v_lshl_add_u64 v[100:101], s[12:13], 1, v[2:3]
	s_cselect_b32 s12, s9, s11
	v_fmac_f32_e32 v110, v45, v18
	v_lshlrev_b32_e32 v18, 16, v121
	s_ashr_i32 s13, s12, 31
	s_add_i32 s9, s0, 0xfffff900
	v_fmac_f32_e32 v110, v46, v18
	global_load_ushort v46, v[76:77], off
	s_waitcnt vmcnt(23)
	v_lshlrev_b32_e32 v18, 16, v122
	s_cmp_lt_i32 s9, s10
	v_fmac_f32_e32 v110, v47, v18
	s_waitcnt vmcnt(22)
	v_lshlrev_b32_e32 v18, 16, v123
	v_lshl_add_u64 v[102:103], s[12:13], 1, v[2:3]
	s_cselect_b32 s12, s9, s11
	s_waitcnt lgkmcnt(0)
	v_fmac_f32_e32 v110, v54, v18
	global_load_ushort v54, v[88:89], off
	global_load_ushort v40, v[68:69], off
	;; [unrolled: 1-line block ×8, first 2 shown]
	s_ashr_i32 s13, s12, 31
	s_add_i32 s9, s0, 0xfffff980
	s_cmp_lt_i32 s9, s10
	v_lshl_add_u64 v[104:105], s[12:13], 1, v[2:3]
	s_cselect_b32 s12, s9, s11
	s_ashr_i32 s13, s12, 31
	s_add_i32 s9, s0, 0xfffffa00
	s_cmp_lt_i32 s9, s10
	v_lshl_add_u64 v[106:107], s[12:13], 1, v[2:3]
	s_cselect_b32 s12, s9, s11
	s_ashr_i32 s13, s12, 31
	s_add_i32 s9, s0, 0xfffffa80
	s_waitcnt vmcnt(29)
	v_lshlrev_b32_e32 v18, 16, v58
	s_cmp_lt_i32 s9, s10
	v_fmac_f32_e32 v110, v55, v18
	global_load_ushort v55, v[90:91], off
	s_waitcnt vmcnt(29)
	v_lshlrev_b32_e32 v18, 16, v59
	v_lshl_add_u64 v[98:99], s[12:13], 1, v[2:3]
	s_cselect_b32 s12, s9, s11
	v_fmac_f32_e32 v110, v56, v18
	s_waitcnt vmcnt(28)
	v_lshlrev_b32_e32 v18, 16, v60
	s_ashr_i32 s13, s12, 31
	s_add_i32 s9, s0, 0xfffffb00
	v_fmac_f32_e32 v110, v57, v18
	ds_read_b128 v[18:21], v125 offset:64
	ds_read_b128 v[28:31], v125 offset:80
	s_cmp_lt_i32 s9, s10
	v_lshl_add_u64 v[42:43], s[12:13], 1, v[2:3]
	s_cselect_b32 s12, s9, s11
	s_ashr_i32 s13, s12, 31
	s_add_i32 s9, s0, 0xfffffb80
	s_cmp_lt_i32 s9, s10
	s_waitcnt vmcnt(27)
	v_lshlrev_b32_e32 v53, 16, v61
	v_lshl_add_u64 v[108:109], s[12:13], 1, v[2:3]
	s_cselect_b32 s12, s9, s11
	s_waitcnt lgkmcnt(1)
	v_fmac_f32_e32 v110, v18, v53
	global_load_ushort v53, v[92:93], off
	global_load_ushort v56, v[94:95], off
	;; [unrolled: 1-line block ×6, first 2 shown]
	s_ashr_i32 s13, s12, 31
	s_add_i32 s9, s0, 0xfffffc00
	s_cmp_lt_i32 s9, s10
	v_lshl_add_u64 v[4:5], s[12:13], 1, v[2:3]
	s_cselect_b32 s12, s9, s11
	s_ashr_i32 s13, s12, 31
	s_add_i32 s9, s0, 0xfffffc80
	s_cmp_lt_i32 s9, s10
	s_waitcnt vmcnt(32)
	v_lshlrev_b32_e32 v18, 16, v62
	v_lshl_add_u64 v[6:7], s[12:13], 1, v[2:3]
	s_cselect_b32 s12, s9, s11
	v_fmac_f32_e32 v110, v19, v18
	s_waitcnt vmcnt(28)
	v_lshlrev_b32_e32 v18, 16, v63
	s_ashr_i32 s13, s12, 31
	s_add_i32 s9, s0, 0xfffffd00
	v_fmac_f32_e32 v110, v20, v18
	v_lshlrev_b32_e32 v18, 16, v66
	s_cmp_lt_i32 s9, s10
	v_fmac_f32_e32 v110, v21, v18
	s_waitcnt vmcnt(27)
	v_lshlrev_b32_e32 v18, 16, v67
	v_lshl_add_u64 v[8:9], s[12:13], 1, v[2:3]
	s_cselect_b32 s12, s9, s11
	s_waitcnt lgkmcnt(0)
	v_fmac_f32_e32 v110, v28, v18
	global_load_ushort v28, v[106:107], off
	s_ashr_i32 s13, s12, 31
	s_add_i32 s9, s0, 0xfffffd80
	s_cmp_lt_i32 s9, s10
	global_load_ushort v61, v[98:99], off
	global_load_ushort v62, v[42:43], off
	;; [unrolled: 1-line block ×3, first 2 shown]
	v_lshl_add_u64 v[12:13], s[12:13], 1, v[2:3]
	s_cselect_b32 s12, s9, s11
	v_lshlrev_b32_e32 v18, 16, v124
	s_ashr_i32 s13, s12, 31
	s_add_i32 s9, s0, 0xfffffe00
	v_fmac_f32_e32 v110, v29, v18
	v_lshlrev_b32_e32 v18, 16, v126
	s_cmp_lt_i32 s9, s10
	v_fmac_f32_e32 v110, v30, v18
	global_load_ushort v29, v[4:5], off
	global_load_ushort v30, v[6:7], off
	v_lshl_add_u64 v[10:11], s[12:13], 1, v[2:3]
	s_cselect_b32 s12, s9, s11
	s_ashr_i32 s13, s12, 31
	s_add_i32 s9, s0, 0xfffffe80
	s_cmp_lt_i32 s9, s10
	s_waitcnt vmcnt(32)
	v_lshlrev_b32_e32 v4, 16, v48
	v_lshl_add_u64 v[22:23], s[12:13], 1, v[2:3]
	s_cselect_b32 s12, s9, s11
	v_fmac_f32_e32 v110, v31, v4
	ds_read_b128 v[4:7], v125 offset:96
	s_ashr_i32 s13, s12, 31
	s_add_i32 s9, s0, 0xffffff00
	s_cmp_lt_i32 s9, s10
	s_waitcnt vmcnt(31)
	v_lshlrev_b32_e32 v31, 16, v36
	global_load_ushort v36, v[8:9], off
	global_load_ushort v42, v[12:13], off
	v_lshl_add_u64 v[14:15], s[12:13], 1, v[2:3]
	s_cselect_b32 s12, s9, s11
	s_ashr_i32 s13, s12, 31
	s_add_i32 s9, s0, 0xffffff80
	s_cmp_lt_i32 s9, s10
	ds_read_b128 v[18:21], v125 offset:112
	s_waitcnt lgkmcnt(1)
	v_fmac_f32_e32 v110, v4, v31
	s_waitcnt vmcnt(31)
	v_lshlrev_b32_e32 v4, 16, v37
	global_load_ushort v31, v[10:11], off
	global_load_ushort v37, v[22:23], off
	v_lshl_add_u64 v[24:25], s[12:13], 1, v[2:3]
	s_cselect_b32 s12, s9, s11
	s_ashr_i32 s13, s12, 31
	s_cmp_lt_i32 s0, s10
	global_load_ushort v22, v[14:15], off
	global_load_ushort v23, v[24:25], off
	v_lshl_add_u64 v[16:17], s[12:13], 1, v[2:3]
	s_cselect_b32 s12, s0, s11
	s_ashr_i32 s13, s12, 31
	v_lshl_add_u64 v[26:27], s[12:13], 1, v[2:3]
	global_load_ushort v14, v[16:17], off
	global_load_ushort v15, v[26:27], off
	v_fmac_f32_e32 v110, v5, v4
	s_waitcnt vmcnt(35)
	v_lshlrev_b32_e32 v4, 16, v32
	v_fmac_f32_e32 v110, v6, v4
	v_lshlrev_b32_e32 v4, 16, v38
	v_fmac_f32_e32 v110, v7, v4
	s_waitcnt vmcnt(34)
	v_lshlrev_b32_e32 v4, 16, v33
	s_waitcnt lgkmcnt(0)
	v_fmac_f32_e32 v110, v18, v4
	s_waitcnt vmcnt(33)
	v_lshlrev_b32_e32 v4, 16, v34
	v_fmac_f32_e32 v110, v19, v4
	s_waitcnt vmcnt(32)
	v_lshlrev_b32_e32 v4, 16, v35
	v_fmac_f32_e32 v110, v20, v4
	ds_read_b128 v[4:7], v125 offset:128
	s_waitcnt vmcnt(31)
	v_lshlrev_b32_e32 v8, 16, v39
	v_fmac_f32_e32 v110, v21, v8
	ds_read_b128 v[8:11], v125 offset:144
	s_waitcnt vmcnt(27)
	v_lshlrev_b32_e32 v12, 16, v40
	s_waitcnt lgkmcnt(1)
	v_fmac_f32_e32 v110, v4, v12
	s_waitcnt vmcnt(26)
	v_lshlrev_b32_e32 v4, 16, v41
	v_fmac_f32_e32 v110, v5, v4
	v_lshlrev_b32_e32 v4, 16, v44
	v_fmac_f32_e32 v110, v6, v4
	s_waitcnt vmcnt(25)
	v_lshlrev_b32_e32 v4, 16, v45
	v_fmac_f32_e32 v110, v7, v4
	v_lshlrev_b32_e32 v4, 16, v46
	s_waitcnt lgkmcnt(0)
	v_fmac_f32_e32 v110, v8, v4
	s_waitcnt vmcnt(24)
	v_lshlrev_b32_e32 v4, 16, v47
	v_fmac_f32_e32 v110, v9, v4
	v_lshlrev_b32_e32 v4, 16, v49
	v_fmac_f32_e32 v110, v10, v4
	ds_read_b128 v[4:7], v125 offset:160
	s_waitcnt vmcnt(23)
	v_lshlrev_b32_e32 v8, 16, v50
	v_fmac_f32_e32 v110, v11, v8
	ds_read_b128 v[8:11], v125 offset:176
	s_waitcnt vmcnt(22)
	v_lshlrev_b32_e32 v12, 16, v51
	s_waitcnt lgkmcnt(1)
	v_fmac_f32_e32 v110, v4, v12
	s_waitcnt vmcnt(21)
	v_lshlrev_b32_e32 v4, 16, v52
	v_fmac_f32_e32 v110, v5, v4
	v_lshlrev_b32_e32 v4, 16, v54
	v_fmac_f32_e32 v110, v6, v4
	s_waitcnt vmcnt(20)
	v_lshlrev_b32_e32 v4, 16, v55
	v_fmac_f32_e32 v110, v7, v4
	s_waitcnt vmcnt(19)
	v_lshlrev_b32_e32 v4, 16, v53
	s_waitcnt lgkmcnt(0)
	v_fmac_f32_e32 v110, v8, v4
	s_waitcnt vmcnt(18)
	v_lshlrev_b32_e32 v4, 16, v56
	v_fmac_f32_e32 v110, v9, v4
	s_waitcnt vmcnt(17)
	v_lshlrev_b32_e32 v4, 16, v57
	v_fmac_f32_e32 v110, v10, v4
	ds_read_b128 v[4:7], v125 offset:192
	s_waitcnt vmcnt(16)
	v_lshlrev_b32_e32 v8, 16, v58
	v_fmac_f32_e32 v110, v11, v8
	ds_read_b128 v[8:11], v125 offset:208
	s_waitcnt vmcnt(15)
	v_lshlrev_b32_e32 v12, 16, v59
	s_waitcnt lgkmcnt(1)
	v_fmac_f32_e32 v110, v4, v12
	s_waitcnt vmcnt(14)
	v_lshlrev_b32_e32 v4, 16, v60
	v_fmac_f32_e32 v110, v5, v4
	s_waitcnt vmcnt(13)
	v_lshlrev_b32_e32 v4, 16, v28
	;; [unrolled: 3-line block ×4, first 2 shown]
	v_lshlrev_b32_e32 v4, 16, v62
	s_waitcnt lgkmcnt(0)
	v_pk_mul_f32 v[4:5], v[8:9], v[4:5]
	s_waitcnt vmcnt(6)
	v_lshlrev_b32_e32 v13, 16, v42
	v_add_f32_e32 v4, v110, v4
	v_add_f32_e32 v6, v4, v5
	v_lshlrev_b32_e32 v5, 16, v30
	v_lshlrev_b32_e32 v4, 16, v29
	v_pk_mul_f32 v[8:9], v[10:11], v[4:5]
	v_lshlrev_b32_e32 v12, 16, v36
	v_add_f32_e32 v8, v6, v8
	ds_read_b128 v[4:7], v125 offset:224
	v_add_f32_e32 v16, v8, v9
	ds_read_b128 v[8:11], v125 offset:240
	s_waitcnt lgkmcnt(1)
	v_pk_mul_f32 v[4:5], v[4:5], v[12:13]
	s_nop 0
	v_add_f32_e32 v4, v16, v4
	v_add_f32_e32 v12, v4, v5
	s_waitcnt vmcnt(4)
	v_lshlrev_b32_e32 v5, 16, v37
	v_lshlrev_b32_e32 v4, 16, v31
	v_pk_mul_f32 v[4:5], v[6:7], v[4:5]
	s_nop 0
	v_add_f32_e32 v4, v12, v4
	v_add_f32_e32 v6, v4, v5
	s_waitcnt vmcnt(2)
	v_lshlrev_b32_e32 v5, 16, v23
	v_lshlrev_b32_e32 v4, 16, v22
	s_waitcnt lgkmcnt(0)
	v_pk_mul_f32 v[4:5], v[8:9], v[4:5]
	s_nop 0
	v_add_f32_e32 v4, v6, v4
	v_add_f32_e32 v6, v4, v5
	s_waitcnt vmcnt(1)
	v_lshlrev_b32_e32 v4, 16, v14
	s_waitcnt vmcnt(0)
	v_lshlrev_b32_e32 v5, 16, v15
	v_pk_mul_f32 v[4:5], v[10:11], v[4:5]
	s_nop 0
	v_add_f32_e32 v4, v6, v4
	v_add_f32_e32 v110, v4, v5
	s_branch .LBB611_16
.LBB611_19:
	v_mov_b32_e32 v2, 0
	ds_read_b32 v2, v2 offset:4096
	s_cmp_lg_u64 s[6:7], 0
	s_cbranch_scc0 .LBB611_24
; %bb.20:
	s_load_dword s6, s[6:7], 0x0
	s_waitcnt lgkmcnt(0)
	v_div_scale_f32 v3, s[0:1], s6, s6, 1.0
	v_rcp_f32_e32 v4, v3
	v_div_scale_f32 v5, vcc, 1.0, s6, 1.0
	v_fma_f32 v6, -v3, v4, 1.0
	v_fmac_f32_e32 v4, v6, v4
	v_mul_f32_e32 v6, v5, v4
	v_fma_f32 v7, -v3, v6, v5
	v_fmac_f32_e32 v6, v7, v4
	v_fma_f32 v3, -v3, v6, v5
	v_div_fmas_f32 v3, v3, v4, v6
	v_div_fixup_f32 v3, v3, s6, 1.0
	s_andn2_b64 vcc, exec, s[50:51]
	s_cbranch_vccnz .LBB611_22
.LBB611_21:
	s_add_u32 s0, s48, s52
	s_addc_u32 s1, s49, s53
	s_load_dword s38, s[0:1], 0x0
	s_mov_b32 s39, 0
.LBB611_22:
	s_waitcnt lgkmcnt(0)
	v_add_f32_e32 v2, 0x358637bd, v2
	v_div_scale_f32 v4, s[0:1], v2, v2, 1.0
	v_rcp_f32_e32 v5, v4
	v_div_scale_f32 v6, vcc, 1.0, v2, 1.0
	s_mul_i32 s0, s3, s39
	v_fma_f32 v7, -v4, v5, 1.0
	v_fmac_f32_e32 v5, v7, v5
	v_mul_f32_e32 v7, v6, v5
	v_fma_f32 v8, -v4, v7, v6
	v_fmac_f32_e32 v7, v8, v5
	v_fma_f32 v4, -v4, v7, v6
	s_mul_hi_u32 s1, s3, s38
	v_div_fmas_f32 v4, v4, v5, v7
	s_add_i32 s1, s1, s0
	s_mul_i32 s0, s3, s38
	v_div_fixup_f32 v2, v4, v2, 1.0
	s_lshl_b64 s[0:1], s[0:1], 7
	v_mul_f32_e32 v2, v110, v2
	s_add_u32 s4, s4, s0
	s_mov_b32 s3, 0
	v_mul_f32_e32 v2, v2, v3
	s_addc_u32 s5, s5, s1
	s_lshl_b64 s[0:1], s[2:3], 7
	s_mov_b32 s2, 0x7f800000
	s_mov_b32 s3, 0x43700000
	v_mov_b32_e32 v3, 0xc3700000
	v_med3_f32 v3, v2, s3, v3
	v_cmp_nlg_f32_e64 vcc, |v2|, s2
	s_add_u32 s0, s4, s0
	s_addc_u32 s1, s5, s1
	v_cndmask_b32_e32 v2, v3, v2, vcc
	v_mov_b32_e32 v3, 0
	v_cvt_pk_fp8_f32 v3, v2, v2
	v_lshl_add_u64 v[0:1], s[0:1], 0, v[0:1]
	global_store_byte v[0:1], v3, off
	s_endpgm
.LBB611_23:
	s_mov_b64 s[6:7], 0
	s_branch .LBB611_2
.LBB611_24:
	v_mov_b32_e32 v3, 1.0
	s_andn2_b64 vcc, exec, s[50:51]
	s_cbranch_vccz .LBB611_21
	s_branch .LBB611_22
	.section	.rodata,"a",@progbits
	.p2align	6, 0x0
	.amdhsa_kernel _Z35paged_attention_ll4mi_reduce_kernelI14__hip_bfloat16hLi128ELi128ELi256ELi16EEvPT0_PKfS4_PKT_PKiS9_iS4_
		.amdhsa_group_segment_fixed_size 4100
		.amdhsa_private_segment_fixed_size 0
		.amdhsa_kernarg_size 320
		.amdhsa_user_sgpr_count 2
		.amdhsa_user_sgpr_dispatch_ptr 0
		.amdhsa_user_sgpr_queue_ptr 0
		.amdhsa_user_sgpr_kernarg_segment_ptr 1
		.amdhsa_user_sgpr_dispatch_id 0
		.amdhsa_user_sgpr_kernarg_preload_length 0
		.amdhsa_user_sgpr_kernarg_preload_offset 0
		.amdhsa_user_sgpr_private_segment_size 0
		.amdhsa_uses_dynamic_stack 0
		.amdhsa_enable_private_segment 0
		.amdhsa_system_sgpr_workgroup_id_x 1
		.amdhsa_system_sgpr_workgroup_id_y 1
		.amdhsa_system_sgpr_workgroup_id_z 0
		.amdhsa_system_sgpr_workgroup_info 0
		.amdhsa_system_vgpr_workitem_id 0
		.amdhsa_next_free_vgpr 127
		.amdhsa_next_free_sgpr 61
		.amdhsa_accum_offset 128
		.amdhsa_reserve_vcc 1
		.amdhsa_float_round_mode_32 0
		.amdhsa_float_round_mode_16_64 0
		.amdhsa_float_denorm_mode_32 3
		.amdhsa_float_denorm_mode_16_64 3
		.amdhsa_dx10_clamp 1
		.amdhsa_ieee_mode 1
		.amdhsa_fp16_overflow 0
		.amdhsa_tg_split 0
		.amdhsa_exception_fp_ieee_invalid_op 0
		.amdhsa_exception_fp_denorm_src 0
		.amdhsa_exception_fp_ieee_div_zero 0
		.amdhsa_exception_fp_ieee_overflow 0
		.amdhsa_exception_fp_ieee_underflow 0
		.amdhsa_exception_fp_ieee_inexact 0
		.amdhsa_exception_int_div_zero 0
	.end_amdhsa_kernel
	.section	.text._Z35paged_attention_ll4mi_reduce_kernelI14__hip_bfloat16hLi128ELi128ELi256ELi16EEvPT0_PKfS4_PKT_PKiS9_iS4_,"axG",@progbits,_Z35paged_attention_ll4mi_reduce_kernelI14__hip_bfloat16hLi128ELi128ELi256ELi16EEvPT0_PKfS4_PKT_PKiS9_iS4_,comdat
.Lfunc_end611:
	.size	_Z35paged_attention_ll4mi_reduce_kernelI14__hip_bfloat16hLi128ELi128ELi256ELi16EEvPT0_PKfS4_PKT_PKiS9_iS4_, .Lfunc_end611-_Z35paged_attention_ll4mi_reduce_kernelI14__hip_bfloat16hLi128ELi128ELi256ELi16EEvPT0_PKfS4_PKT_PKiS9_iS4_
                                        ; -- End function
	.section	.AMDGPU.csdata,"",@progbits
; Kernel info:
; codeLenInByte = 10928
; NumSgprs: 67
; NumVgprs: 127
; NumAgprs: 0
; TotalNumVgprs: 127
; ScratchSize: 0
; MemoryBound: 0
; FloatMode: 240
; IeeeMode: 1
; LDSByteSize: 4100 bytes/workgroup (compile time only)
; SGPRBlocks: 8
; VGPRBlocks: 15
; NumSGPRsForWavesPerEU: 67
; NumVGPRsForWavesPerEU: 127
; AccumOffset: 128
; Occupancy: 4
; WaveLimiterHint : 1
; COMPUTE_PGM_RSRC2:SCRATCH_EN: 0
; COMPUTE_PGM_RSRC2:USER_SGPR: 2
; COMPUTE_PGM_RSRC2:TRAP_HANDLER: 0
; COMPUTE_PGM_RSRC2:TGID_X_EN: 1
; COMPUTE_PGM_RSRC2:TGID_Y_EN: 1
; COMPUTE_PGM_RSRC2:TGID_Z_EN: 0
; COMPUTE_PGM_RSRC2:TIDIG_COMP_CNT: 0
; COMPUTE_PGM_RSRC3_GFX90A:ACCUM_OFFSET: 31
; COMPUTE_PGM_RSRC3_GFX90A:TG_SPLIT: 0
	.section	.text._Z38paged_attention_ll4mi_QKV_mfma4_kernelI14__hip_bfloat16S0_LN4vllm18Fp8KVCacheDataTypeE0EhLi16ELi128ELi256ELb0ELi1EEvPKT_PKT0_S8_ifPKiSA_SA_iPKfiiiPfSD_PS3_PT2_iSC_SC_,"axG",@progbits,_Z38paged_attention_ll4mi_QKV_mfma4_kernelI14__hip_bfloat16S0_LN4vllm18Fp8KVCacheDataTypeE0EhLi16ELi128ELi256ELb0ELi1EEvPKT_PKT0_S8_ifPKiSA_SA_iPKfiiiPfSD_PS3_PT2_iSC_SC_,comdat
	.protected	_Z38paged_attention_ll4mi_QKV_mfma4_kernelI14__hip_bfloat16S0_LN4vllm18Fp8KVCacheDataTypeE0EhLi16ELi128ELi256ELb0ELi1EEvPKT_PKT0_S8_ifPKiSA_SA_iPKfiiiPfSD_PS3_PT2_iSC_SC_ ; -- Begin function _Z38paged_attention_ll4mi_QKV_mfma4_kernelI14__hip_bfloat16S0_LN4vllm18Fp8KVCacheDataTypeE0EhLi16ELi128ELi256ELb0ELi1EEvPKT_PKT0_S8_ifPKiSA_SA_iPKfiiiPfSD_PS3_PT2_iSC_SC_
	.globl	_Z38paged_attention_ll4mi_QKV_mfma4_kernelI14__hip_bfloat16S0_LN4vllm18Fp8KVCacheDataTypeE0EhLi16ELi128ELi256ELb0ELi1EEvPKT_PKT0_S8_ifPKiSA_SA_iPKfiiiPfSD_PS3_PT2_iSC_SC_
	.p2align	8
	.type	_Z38paged_attention_ll4mi_QKV_mfma4_kernelI14__hip_bfloat16S0_LN4vllm18Fp8KVCacheDataTypeE0EhLi16ELi128ELi256ELb0ELi1EEvPKT_PKT0_S8_ifPKiSA_SA_iPKfiiiPfSD_PS3_PT2_iSC_SC_,@function
_Z38paged_attention_ll4mi_QKV_mfma4_kernelI14__hip_bfloat16S0_LN4vllm18Fp8KVCacheDataTypeE0EhLi16ELi128ELi256ELb0ELi1EEvPKT_PKT0_S8_ifPKiSA_SA_iPKfiiiPfSD_PS3_PT2_iSC_SC_: ; @_Z38paged_attention_ll4mi_QKV_mfma4_kernelI14__hip_bfloat16S0_LN4vllm18Fp8KVCacheDataTypeE0EhLi16ELi128ELi256ELb0ELi1EEvPKT_PKT0_S8_ifPKiSA_SA_iPKfiiiPfSD_PS3_PT2_iSC_SC_
; %bb.0:
	s_load_dwordx2 s[16:17], s[0:1], 0x30
	s_mov_b32 s20, s3
	s_mov_b64 s[6:7], 0
	s_waitcnt lgkmcnt(0)
	s_cmp_lg_u64 s[16:17], 0
	s_cselect_b64 s[18:19], -1, 0
	s_and_b64 vcc, exec, s[18:19]
	s_cbranch_vccz .LBB612_10
; %bb.1:
	s_add_i32 s8, s2, 1
	s_mov_b32 s9, 0
	s_lshl_b64 s[10:11], s[8:9], 2
	s_add_u32 s10, s16, s10
	s_mov_b32 s3, s9
	s_addc_u32 s11, s17, s11
	s_lshl_b64 s[8:9], s[2:3], 2
	s_add_u32 s8, s16, s8
	s_addc_u32 s9, s17, s9
	s_load_dword s5, s[10:11], 0x0
	s_load_dword s12, s[8:9], 0x0
	s_waitcnt lgkmcnt(0)
	s_sub_i32 s5, s5, s12
	s_cmp_eq_u32 s5, 1
	s_cselect_b64 s[8:9], -1, 0
	s_andn2_b64 vcc, exec, s[6:7]
	s_cbranch_vccnz .LBB612_3
.LBB612_2:
	s_mov_b32 s3, 0
	s_mov_b64 s[8:9], -1
.LBB612_3:
	s_andn2_b64 vcc, exec, s[8:9]
	s_cbranch_vccnz .LBB612_25
; %bb.4:
	s_load_dword s5, s[0:1], 0x9c
	s_load_dwordx2 s[6:7], s[0:1], 0x28
	s_add_u32 s24, s0, 0x90
	s_addc_u32 s25, s1, 0
	s_lshl_b64 s[28:29], s[2:3], 2
	s_waitcnt lgkmcnt(0)
	s_and_b32 s5, s5, 0xffff
	s_add_u32 s6, s6, s28
	s_addc_u32 s7, s7, s29
	s_load_dword s3, s[6:7], 0x0
	s_mul_i32 s10, s20, s5
	s_waitcnt lgkmcnt(0)
	s_cmp_ge_i32 s10, s3
	s_cbranch_scc1 .LBB612_25
; %bb.5:
	v_and_b32_e32 v1, 0xc0, v0
	v_add_u32_e32 v2, s10, v1
	v_lshrrev_b32_e32 v70, 6, v0
	v_cmp_le_i32_e64 s[6:7], s3, v2
                                        ; implicit-def: $sgpr21
                                        ; implicit-def: $sgpr11
	s_and_saveexec_b64 s[8:9], s[6:7]
	s_xor_b64 s[8:9], exec, s[8:9]
	s_cbranch_execz .LBB612_7
; %bb.6:
	v_mul_u32_u24_e32 v1, 20, v70
	v_or_b32_e32 v1, 0x1400, v1
	v_mov_b32_e32 v2, 0x1450
	v_mov_b32_e32 v3, 0xff7fffff
	v_mad_u32_u24 v2, v70, 20, v2
	ds_write2_b32 v1, v3, v3 offset1:1
	v_mov_b32_e32 v1, 0
	ds_write2_b32 v2, v1, v1 offset1:1
	v_mov_b32_e32 v2, 0x1408
	s_mov_b32 s11, 0xff7fffff
	s_mov_b32 s21, 0
	v_mad_u32_u24 v2, v70, 20, v2
	v_mov_b32_e32 v4, 0x1458
	v_mad_u32_u24 v4, v70, 20, v4
	ds_write2_b32 v2, v3, v3 offset1:1
	ds_write2_b32 v4, v1, v1 offset1:1
                                        ; implicit-def: $vgpr2
.LBB612_7:
	s_or_saveexec_b64 s[26:27], s[8:9]
	s_load_dwordx2 s[22:23], s[0:1], 0x68
	s_load_dwordx4 s[12:15], s[0:1], 0x58
	s_load_dword s5, s[24:25], 0x4
	v_and_b32_e32 v1, 63, v0
	v_and_b32_e32 v71, 3, v0
	v_mov_b32_e32 v67, s21
	v_mov_b32_e32 v72, s11
	;; [unrolled: 1-line block ×5, first 2 shown]
                                        ; implicit-def: $vgpr51
                                        ; implicit-def: $vgpr55
                                        ; implicit-def: $vgpr11
                                        ; implicit-def: $vgpr23
                                        ; implicit-def: $vgpr39
                                        ; implicit-def: $vgpr3
                                        ; implicit-def: $vgpr19
                                        ; implicit-def: $vgpr27
                                        ; implicit-def: $vgpr63
                                        ; implicit-def: $vgpr59
                                        ; implicit-def: $vgpr7
                                        ; implicit-def: $vgpr15
                                        ; implicit-def: $vgpr31
                                        ; implicit-def: $vgpr35
                                        ; implicit-def: $vgpr43
                                        ; implicit-def: $vgpr47
	s_xor_b64 exec, exec, s[26:27]
	s_cbranch_execz .LBB612_17
; %bb.8:
	s_add_i32 s21, s3, 15
	s_load_dwordx2 s[8:9], s[0:1], 0x20
	s_load_dword s11, s[0:1], 0x38
	s_ashr_i32 s30, s21, 31
	s_lshr_b32 s30, s30, 28
	v_add_u32_e32 v72, s10, v0
	s_add_i32 s21, s21, s30
	v_ashrrev_i32_e32 v3, 31, v72
	s_ashr_i32 s21, s21, 4
	v_lshrrev_b32_e32 v3, 28, v3
	s_add_i32 s21, s21, -1
	v_add_u32_e32 v3, v72, v3
	s_waitcnt lgkmcnt(0)
	s_mul_i32 s30, s2, s11
	s_mov_b32 s31, 0
	v_ashrrev_i32_e32 v3, 4, v3
	v_mov_b32_e32 v4, s21
	v_cmp_gt_i32_e32 vcc, s3, v72
	s_lshl_b64 s[30:31], s[30:31], 2
	s_add_u32 s8, s8, s30
	v_cndmask_b32_e32 v4, v4, v3, vcc
	v_ashrrev_i32_e32 v3, 31, v2
	v_lshrrev_b32_e32 v3, 28, v3
	s_addc_u32 s9, s9, s31
	v_ashrrev_i32_e32 v5, 31, v4
	v_add_u32_e32 v2, v2, v3
	v_lshl_add_u64 v[8:9], v[4:5], 2, s[8:9]
	v_ashrrev_i32_e32 v4, 4, v2
	v_min_i32_e32 v2, s21, v4
	v_ashrrev_i32_e32 v3, 31, v2
	v_lshl_add_u64 v[10:11], v[2:3], 2, s[8:9]
	v_add_u32_e32 v2, 1, v4
	v_min_i32_e32 v2, s21, v2
	v_ashrrev_i32_e32 v3, 31, v2
	v_lshl_add_u64 v[12:13], v[2:3], 2, s[8:9]
	v_add_u32_e32 v2, 2, v4
	;; [unrolled: 4-line block ×3, first 2 shown]
	v_min_i32_e32 v2, s21, v2
	v_ashrrev_i32_e32 v3, 31, v2
	v_lshl_add_u64 v[16:17], v[2:3], 2, s[8:9]
	global_load_dword v2, v[8:9], off
	global_load_dword v4, v[10:11], off
	;; [unrolled: 1-line block ×5, first 2 shown]
	s_load_dwordx4 s[8:11], s[0:1], 0x8
	s_andn2_b64 vcc, exec, s[18:19]
	s_cbranch_vccnz .LBB612_11
; %bb.9:
	s_add_u32 s16, s16, s28
	s_addc_u32 s17, s17, s29
	s_load_dword s21, s[16:17], 0x0
	s_branch .LBB612_12
.LBB612_10:
	s_mov_b64 s[8:9], 0
	s_branch .LBB612_2
.LBB612_11:
	s_mov_b32 s21, s2
.LBB612_12:
	s_load_dwordx4 s[16:19], s[0:1], 0x48
	v_cmp_eq_u32_e32 vcc, 0, v71
	s_mov_b32 s29, 0
	v_mov_b32_e32 v73, 0
	v_mov_b32_e32 v51, 0
	;; [unrolled: 1-line block ×6, first 2 shown]
	s_and_saveexec_b64 s[30:31], vcc
	s_cbranch_execz .LBB612_14
; %bb.13:
	s_load_dwordx2 s[34:35], s[0:1], 0x0
	s_waitcnt lgkmcnt(0)
	s_ashr_i32 s19, s16, 31
	s_mul_hi_u32 s28, s21, s16
	s_mul_i32 s19, s21, s19
	s_add_i32 s37, s28, s19
	s_mul_i32 s36, s21, s16
	s_lshl_b64 s[36:37], s[36:37], 1
	s_add_u32 s16, s34, s36
	s_addc_u32 s19, s35, s37
	s_lshl_b32 s28, s4, 7
	s_lshl_b64 s[34:35], s[28:29], 1
	s_add_u32 s34, s16, s34
	s_addc_u32 s35, s19, s35
	v_lshlrev_b32_e32 v3, 2, v1
	global_load_dwordx4 v[66:69], v3, s[34:35]
	v_mov_b32_e32 v73, 1.0
.LBB612_14:
	s_or_b64 exec, exec, s[30:31]
	s_waitcnt lgkmcnt(0)
	s_mul_i32 s28, s4, s18
	s_lshl_b64 s[18:19], s[28:29], 1
	s_add_u32 s8, s18, s8
	s_waitcnt vmcnt(4)
	v_mad_i64_i32 v[2:3], s[30:31], v2, s17, 0
	s_addc_u32 s9, s19, s9
	v_and_b32_e32 v8, 15, v0
	v_lshl_add_u64 v[2:3], v[2:3], 1, s[8:9]
	v_lshlrev_b32_e32 v50, 4, v8
	v_lshl_add_u64 v[2:3], v[2:3], 0, v[50:51]
	global_load_dwordx4 v[8:11], v[2:3], off
	global_load_dwordx4 v[12:15], v[2:3], off offset:256
	global_load_dwordx4 v[16:19], v[2:3], off offset:512
	;; [unrolled: 1-line block ×15, first 2 shown]
	s_waitcnt vmcnt(19)
	v_mul_hi_i32 v48, v4, s17
	s_waitcnt vmcnt(18)
	v_mul_hi_i32 v50, v5, s17
	;; [unrolled: 2-line block ×4, first 2 shown]
	v_ashrrev_i32_e32 v93, 31, v48
	v_ashrrev_i32_e32 v48, 31, v50
	v_ashrrev_i32_e32 v50, 31, v64
	v_ashrrev_i32_e32 v2, 31, v86
	v_mov_b32_e32 v49, v51
	v_mov_b32_e32 v65, v51
	;; [unrolled: 1-line block ×3, first 2 shown]
	v_lshrrev_b32_e32 v48, 29, v48
	v_lshrrev_b32_e32 v64, 29, v50
	;; [unrolled: 1-line block ×3, first 2 shown]
	v_mad_i64_i32 v[2:3], s[8:9], v5, s17, v[48:49]
	v_mad_i64_i32 v[48:49], s[8:9], v6, s17, v[64:65]
	v_mad_i64_i32 v[6:7], s[8:9], v7, s17, v[86:87]
	s_add_u32 s8, s10, s18
	v_lshrrev_b32_e32 v50, 29, v93
	s_addc_u32 s9, s11, s19
	v_mad_i64_i32 v[4:5], s[10:11], v4, s17, v[50:51]
	v_lshlrev_b64 v[2:3], 1, v[2:3]
	v_lshlrev_b64 v[6:7], 1, v[6:7]
	;; [unrolled: 1-line block ×3, first 2 shown]
	v_and_b32_e32 v2, -16, v2
	v_and_b32_e32 v6, -16, v6
	;; [unrolled: 1-line block ×3, first 2 shown]
	v_lshlrev_b32_e32 v50, 5, v1
	v_lshl_add_u64 v[2:3], s[8:9], 0, v[2:3]
	v_lshl_add_u64 v[6:7], s[8:9], 0, v[6:7]
	;; [unrolled: 1-line block ×4, first 2 shown]
	s_load_dword s0, s[0:1], 0x1c
	v_cmp_eq_u32_e32 vcc, 1, v71
	v_and_b32_e32 v91, -4, v72
	v_lshlrev_b32_e32 v92, 2, v0
	v_cndmask_b32_e64 v88, 0, 1.0, vcc
	v_cmp_eq_u32_e32 vcc, 2, v71
	v_or_b32_e32 v72, 3, v72
	v_cmp_gt_i32_e64 s[10:11], s3, v72
	v_cndmask_b32_e64 v89, 0, 1.0, vcc
	v_cmp_eq_u32_e32 vcc, 3, v71
	s_waitcnt vmcnt(15)
	v_mfma_f32_4x4x4_16b_bf16 a[0:3], v[66:67], v[8:9], 0 cbsz:4
	v_lshlrev_b64 v[8:9], 1, v[48:49]
	s_nop 0
	v_mfma_f32_4x4x4_16b_bf16 a[0:3], v[68:69], v[10:11], a[0:3] cbsz:4
	v_and_b32_e32 v8, -16, v8
	v_lshl_add_u64 v[8:9], s[8:9], 0, v[8:9]
	s_waitcnt vmcnt(14)
	v_mfma_f32_4x4x4_16b_bf16 a[0:3], v[66:67], v[12:13], a[0:3] cbsz:4 abid:1
	v_cndmask_b32_e64 v90, 0, 1.0, vcc
	v_cmp_gt_i32_e32 vcc, s3, v91
	v_mfma_f32_4x4x4_16b_bf16 a[0:3], v[68:69], v[14:15], a[0:3] cbsz:4 abid:1
	s_waitcnt vmcnt(13)
	s_nop 0
	v_mfma_f32_4x4x4_16b_bf16 a[0:3], v[66:67], v[16:17], a[0:3] cbsz:4 abid:2
	s_nop 1
	v_mfma_f32_4x4x4_16b_bf16 a[0:3], v[68:69], v[18:19], a[0:3] cbsz:4 abid:2
	v_lshl_add_u64 v[18:19], v[8:9], 0, v[50:51]
	s_waitcnt vmcnt(12)
	v_mfma_f32_4x4x4_16b_bf16 a[0:3], v[66:67], v[20:21], a[0:3] cbsz:4 abid:3
	s_nop 1
	v_mfma_f32_4x4x4_16b_bf16 a[0:3], v[68:69], v[22:23], a[0:3] cbsz:4 abid:3
	s_waitcnt vmcnt(11)
	s_nop 0
	v_mfma_f32_4x4x4_16b_bf16 a[0:3], v[66:67], v[24:25], a[0:3] cbsz:4 abid:4
	global_load_dwordx4 v[10:13], v[2:3], off
	global_load_dwordx4 v[22:25], v[2:3], off offset:16
	v_mfma_f32_4x4x4_16b_bf16 a[0:3], v[68:69], v[26:27], a[0:3] cbsz:4 abid:4
	global_load_dwordx4 v[6:9], v[2:3], off offset:2048
	global_load_dwordx4 v[14:17], v[2:3], off offset:2064
	s_waitcnt vmcnt(14)
	v_mfma_f32_4x4x4_16b_bf16 a[0:3], v[66:67], v[28:29], a[0:3] cbsz:4 abid:5
	s_nop 1
	v_mfma_f32_4x4x4_16b_bf16 a[0:3], v[68:69], v[30:31], a[0:3] cbsz:4 abid:5
	s_waitcnt vmcnt(13)
	s_nop 0
	v_mfma_f32_4x4x4_16b_bf16 a[0:3], v[66:67], v[32:33], a[0:3] cbsz:4 abid:6
	s_nop 1
	v_mfma_f32_4x4x4_16b_bf16 a[0:3], v[68:69], v[34:35], a[0:3] cbsz:4 abid:6
	s_waitcnt vmcnt(12)
	s_nop 0
	;; [unrolled: 5-line block ×3, first 2 shown]
	v_mfma_f32_4x4x4_16b_bf16 a[0:3], v[66:67], v[40:41], a[0:3] cbsz:4 abid:8
	global_load_dwordx4 v[38:41], v[18:19], off
	global_load_dwordx4 v[2:5], v[18:19], off offset:16
	v_mfma_f32_4x4x4_16b_bf16 a[0:3], v[68:69], v[42:43], a[0:3] cbsz:4 abid:8
	global_load_dwordx4 v[30:33], v[18:19], off offset:2048
	global_load_dwordx4 v[34:37], v[18:19], off offset:2064
	s_waitcnt vmcnt(14)
	v_mfma_f32_4x4x4_16b_bf16 a[0:3], v[66:67], v[44:45], a[0:3] cbsz:4 abid:9
	global_load_dwordx4 v[18:21], v[86:87], off
	global_load_dwordx4 v[26:29], v[86:87], off offset:16
	v_mfma_f32_4x4x4_16b_bf16 a[0:3], v[68:69], v[46:47], a[0:3] cbsz:4 abid:9
	global_load_dwordx4 v[42:45], v[86:87], off offset:2048
	global_load_dwordx4 v[46:49], v[86:87], off offset:2064
	s_waitcnt vmcnt(17)
	v_mfma_f32_4x4x4_16b_bf16 a[0:3], v[66:67], v[52:53], a[0:3] cbsz:4 abid:10
	v_lshl_add_u64 v[52:53], s[8:9], 0, v[64:65]
	s_nop 0
	v_mfma_f32_4x4x4_16b_bf16 a[0:3], v[68:69], v[54:55], a[0:3] cbsz:4 abid:10
	s_waitcnt vmcnt(16)
	s_nop 0
	v_mfma_f32_4x4x4_16b_bf16 a[0:3], v[66:67], v[56:57], a[0:3] cbsz:4 abid:11
	s_nop 1
	v_mfma_f32_4x4x4_16b_bf16 a[0:3], v[68:69], v[58:59], a[0:3] cbsz:4 abid:11
	s_waitcnt vmcnt(15)
	s_nop 0
	v_mfma_f32_4x4x4_16b_bf16 a[0:3], v[66:67], v[60:61], a[0:3] cbsz:4 abid:12
	s_nop 1
	v_mfma_f32_4x4x4_16b_bf16 a[0:3], v[68:69], v[62:63], a[0:3] cbsz:4 abid:12
	s_waitcnt vmcnt(14)
	s_nop 0
	v_mfma_f32_4x4x4_16b_bf16 a[0:3], v[66:67], v[74:75], a[0:3] cbsz:4 abid:13
	v_lshl_add_u64 v[74:75], v[52:53], 0, v[50:51]
	global_load_dwordx4 v[50:53], v[74:75], off
	global_load_dwordx4 v[54:57], v[74:75], off offset:16
	global_load_dwordx4 v[62:65], v[74:75], off offset:2048
	;; [unrolled: 1-line block ×3, first 2 shown]
	v_mfma_f32_4x4x4_16b_bf16 a[0:3], v[68:69], v[76:77], a[0:3] cbsz:4 abid:13
	v_mov_b32_e32 v74, 0xff7fffff
	v_and_or_b32 v75, v92, 48, v71
	s_waitcnt vmcnt(17)
	v_mfma_f32_4x4x4_16b_bf16 a[0:3], v[66:67], v[78:79], a[0:3] cbsz:4 abid:14
	s_nop 1
	v_mfma_f32_4x4x4_16b_bf16 a[0:3], v[68:69], v[80:81], a[0:3] cbsz:4 abid:14
	s_waitcnt vmcnt(16)
	s_nop 0
	v_mfma_f32_4x4x4_16b_bf16 a[0:3], v[66:67], v[82:83], a[0:3] cbsz:4 abid:15
	s_nop 1
	v_mfma_f32_4x4x4_16b_bf16 a[0:3], v[68:69], v[84:85], a[0:3] cbsz:4 abid:15
	s_nop 4
	v_accvgpr_read_b32 v67, a1
	v_accvgpr_read_b32 v66, a0
	s_waitcnt lgkmcnt(0)
	v_pk_mul_f32 v[66:67], s[0:1], v[66:67] op_sel_hi:[0,1]
	v_accvgpr_read_b32 v69, a3
	v_accvgpr_read_b32 v68, a2
	v_pk_mul_f32 v[68:69], s[0:1], v[68:69] op_sel_hi:[0,1]
	v_mfma_f32_4x4x1_16b_f32 a[0:3], v66, v73, 0
	v_or_b32_e32 v66, 1, v91
	s_nop 0
	v_mfma_f32_4x4x1_16b_f32 a[0:3], v67, v88, a[0:3]
	v_lshlrev_b32_e32 v73, 2, v75
	v_cmp_gt_i32_e64 s[0:1], s3, v66
	v_mfma_f32_4x4x1_16b_f32 a[0:3], v68, v89, a[0:3]
	v_or_b32_e32 v67, 2, v91
	v_cmp_gt_i32_e64 s[8:9], s3, v67
	v_mfma_f32_4x4x1_16b_f32 a[0:3], v69, v90, a[0:3]
	s_nop 3
	v_accvgpr_read_b32 v68, a0
	v_max_f32_e32 v77, v68, v68
	v_accvgpr_read_b32 v69, a1
	v_max_f32_e32 v77, 0xff7fffff, v77
	v_max_f32_e32 v78, v69, v69
	v_cndmask_b32_e32 v74, v74, v77, vcc
	v_accvgpr_read_b32 v75, a2
	v_max_f32_e32 v77, v74, v78
	v_max_f32_e32 v79, v75, v75
	v_cndmask_b32_e64 v66, v74, v77, s[0:1]
	v_accvgpr_read_b32 v76, a3
	v_max_f32_e32 v74, v66, v79
	v_max_f32_e32 v80, v76, v76
	v_cndmask_b32_e64 v66, v66, v74, s[8:9]
	v_max_f32_e32 v67, v66, v80
	v_cndmask_b32_e64 v66, v66, v67, s[10:11]
	;;#ASMSTART
	v_nop
 v_nop
 v_max_f32_dpp v66, v66, v66 row_ror:4
	;;#ASMEND
	s_nop 0
	;;#ASMSTART
	v_nop
 v_nop
 v_max_f32_dpp v66, v66, v66 row_ror:8
	;;#ASMEND
	ds_bpermute_b32 v66, v73, v66
	s_waitcnt lgkmcnt(0)
	;;#ASMSTART
	v_nop
 v_nop
 v_max_f32_dpp v66, v66, v66 row_ror:4
	;;#ASMEND
	s_nop 0
	;;#ASMSTART
	v_nop
 v_nop
 v_max_f32_dpp v72, v66, v66 row_ror:8
	;;#ASMEND
	s_nop 0
	v_sub_f32_e32 v66, v68, v72
	v_sub_f32_e32 v67, v69, v72
	;; [unrolled: 1-line block ×3, first 2 shown]
	v_mul_f32_e32 v66, 0x3fb8aa3b, v66
	v_mul_f32_e32 v67, 0x3fb8aa3b, v67
	;; [unrolled: 1-line block ×3, first 2 shown]
	v_exp_f32_e32 v66, v66
	v_sub_f32_e32 v69, v76, v72
	v_exp_f32_e32 v67, v67
	v_exp_f32_e32 v74, v68
	v_mul_f32_e32 v69, 0x3fb8aa3b, v69
	v_exp_f32_e32 v75, v69
	v_cndmask_b32_e32 v68, 0, v66, vcc
	v_cndmask_b32_e64 v69, 0, v67, s[0:1]
	v_cndmask_b32_e64 v66, 0, v74, s[8:9]
	v_add_f32_e32 v74, 0, v68
	v_add_f32_e32 v74, v74, v69
	v_cndmask_b32_e64 v67, 0, v75, s[10:11]
	v_add_f32_e32 v74, v74, v66
	v_add_f32_e32 v74, v74, v67
	;;#ASMSTART
	v_nop
 v_nop
 v_add_f32_dpp v74, v74, v74 row_ror:4
	;;#ASMEND
	v_cmp_gt_u32_e32 vcc, 4, v1
	;;#ASMSTART
	v_nop
 v_nop
 v_add_f32_dpp v74, v74, v74 row_ror:8
	;;#ASMEND
	ds_bpermute_b32 v73, v73, v74
	s_waitcnt lgkmcnt(0)
	;;#ASMSTART
	v_nop
 v_nop
 v_add_f32_dpp v73, v73, v73 row_ror:4
	;;#ASMEND
	s_nop 0
	;;#ASMSTART
	v_nop
 v_nop
 v_add_f32_dpp v73, v73, v73 row_ror:8
	;;#ASMEND
	s_and_saveexec_b64 s[0:1], vcc
	s_cbranch_execz .LBB612_16
; %bb.15:
	v_mul_u32_u24_e32 v74, 20, v70
	v_lshl_add_u32 v74, v71, 2, v74
	v_add_u32_e32 v74, 0x1400, v74
	ds_write2_b32 v74, v72, v73 offset1:20
.LBB612_16:
	s_or_b64 exec, exec, s[0:1]
.LBB612_17:
	s_or_b64 exec, exec, s[26:27]
	s_waitcnt lgkmcnt(0)
	s_barrier
	s_load_dword s0, s[24:25], 0x8
	v_lshlrev_b32_e32 v73, 2, v71
	v_add_u32_e32 v75, 0x1400, v73
	ds_read2_b32 v[76:77], v75 offset1:5
	ds_read2_b32 v[78:79], v75 offset0:10 offset1:15
	s_mul_i32 s1, s5, s2
	s_waitcnt lgkmcnt(0)
	s_mul_i32 s0, s1, s0
	s_mov_b32 s1, 0xff7fffff
	v_max3_f32 v73, v76, s1, v77
	v_max3_f32 v74, v73, v78, v79
	v_sub_f32_e32 v73, v76, v74
	v_sub_f32_e32 v76, v77, v74
	v_mul_f32_e32 v76, 0x3fb8aa3b, v76
	ds_read2_b32 v[80:81], v75 offset0:20 offset1:25
	v_mul_f32_e32 v73, 0x3fb8aa3b, v73
	v_exp_f32_e32 v83, v76
	ds_read2_b32 v[76:77], v75 offset0:30 offset1:35
	v_sub_f32_e32 v75, v78, v74
	v_exp_f32_e32 v82, v73
	v_mul_f32_e32 v75, 0x3fb8aa3b, v75
	v_exp_f32_e32 v78, v75
	v_sub_f32_e32 v75, v79, v74
	v_mul_f32_e32 v75, 0x3fb8aa3b, v75
	v_exp_f32_e32 v79, v75
	s_waitcnt lgkmcnt(1)
	v_fma_f32 v75, v82, v80, 0
	v_fmac_f32_e32 v75, v83, v81
	s_waitcnt lgkmcnt(0)
	v_fmac_f32_e32 v75, v78, v76
	v_mov_b32_e32 v73, 0
	v_fmac_f32_e32 v75, v79, v77
	s_mov_b32 s1, 0
	v_cmp_eq_u32_e32 vcc, 0, v71
	s_and_saveexec_b64 s[2:3], vcc
	s_cbranch_execz .LBB612_19
; %bb.18:
	s_lshl_b64 s[8:9], s[0:1], 2
	s_add_u32 s12, s12, s8
	s_mov_b32 s21, s1
	s_addc_u32 s13, s13, s9
	s_lshl_b64 s[10:11], s[20:21], 2
	s_add_u32 s12, s12, s10
	s_addc_u32 s13, s13, s11
	s_add_u32 s8, s14, s8
	s_addc_u32 s9, s15, s9
	s_add_u32 s14, s8, s10
	s_addc_u32 s15, s9, s11
	s_mul_i32 s8, s5, s4
	s_mov_b32 s9, s1
	s_lshl_b64 s[8:9], s[8:9], 2
	s_add_u32 s10, s12, s8
	s_addc_u32 s11, s13, s9
	s_add_u32 s8, s14, s8
	s_addc_u32 s9, s15, s9
	global_store_dword v73, v74, s[8:9]
	global_store_dword v73, v75, s[10:11]
.LBB612_19:
	s_or_b64 exec, exec, s[2:3]
	v_lshlrev_b32_e32 v73, 3, v70
                                        ; implicit-def: $sgpr1
	s_and_saveexec_b64 s[2:3], s[6:7]
	s_xor_b64 s[2:3], exec, s[2:3]
	s_cbranch_execz .LBB612_21
; %bb.20:
	s_waitcnt vmcnt(10)
	v_mov_b32_e32 v2, 0
	v_mad_u32_u24 v4, v1, 40, v73
	s_mov_b32 s1, 0
	v_mov_b32_e32 v3, v2
	ds_write_b64 v4, v[2:3]
                                        ; implicit-def: $vgpr67
                                        ; implicit-def: $vgpr69
                                        ; implicit-def: $vgpr51
                                        ; implicit-def: $vgpr55
                                        ; implicit-def: $vgpr11
                                        ; implicit-def: $vgpr23
                                        ; implicit-def: $vgpr39
                                        ; implicit-def: $vgpr3
                                        ; implicit-def: $vgpr19
                                        ; implicit-def: $vgpr27
                                        ; implicit-def: $vgpr63
                                        ; implicit-def: $vgpr59
                                        ; implicit-def: $vgpr7
                                        ; implicit-def: $vgpr15
                                        ; implicit-def: $vgpr31
                                        ; implicit-def: $vgpr35
                                        ; implicit-def: $vgpr43
                                        ; implicit-def: $vgpr47
                                        ; implicit-def: $vgpr72
                                        ; implicit-def: $vgpr74
                                        ; implicit-def: $vgpr75
.LBB612_21:
	s_or_saveexec_b64 s[2:3], s[2:3]
	v_mov_b32_e32 v70, s1
	v_mov_b32_e32 v71, s1
	s_xor_b64 exec, exec, s[2:3]
	s_cbranch_execz .LBB612_23
; %bb.22:
	v_add_f32_e32 v70, 0x358637bd, v75
	v_div_scale_f32 v71, s[6:7], v70, v70, 1.0
	v_rcp_f32_e32 v75, v71
	v_sub_f32_e32 v72, v72, v74
	v_mul_f32_e32 v72, 0x3fb8aa3b, v72
	v_exp_f32_e32 v72, v72
	v_fma_f32 v74, -v71, v75, 1.0
	v_fmac_f32_e32 v75, v74, v75
	v_div_scale_f32 v74, vcc, 1.0, v70, 1.0
	v_mul_f32_e32 v76, v74, v75
	v_fma_f32 v77, -v71, v76, v74
	v_fmac_f32_e32 v76, v77, v75
	v_fma_f32 v71, -v71, v76, v74
	v_div_fmas_f32 v71, v71, v75, v76
	v_div_fixup_f32 v70, v71, v70, 1.0
	v_mul_f32_e32 v70, v72, v70
	v_pk_mul_f32 v[68:69], v[68:69], v[70:71] op_sel_hi:[1,0]
	v_pk_mul_f32 v[66:67], v[66:67], v[70:71] op_sel_hi:[1,0]
	v_bfe_u32 v70, v69, 16, 1
	v_bfe_u32 v71, v68, 16, 1
	s_movk_i32 s1, 0x7fff
	v_add3_u32 v68, v68, v71, s1
	v_add3_u32 v69, v69, v70, s1
	s_mov_b32 s6, 0x7060302
	v_perm_b32 v68, v69, v68, s6
	v_bfe_u32 v69, v67, 16, 1
	v_bfe_u32 v70, v66, 16, 1
	v_add3_u32 v66, v66, v70, s1
	v_add3_u32 v67, v67, v69, s1
	v_perm_b32 v69, v67, v66, s6
	s_waitcnt vmcnt(3)
	s_nop 0
	v_mfma_f32_4x4x4_16b_bf16 a[0:3], v[68:69], v[50:51], 0 cbsz:4
	s_nop 1
	v_mfma_f32_4x4x4_16b_bf16 a[0:3], v[68:69], v[52:53], a[0:3] cbsz:4 abid:1
	s_waitcnt vmcnt(1)
	v_mfma_f32_4x4x4_16b_bf16 a[4:7], v[68:69], v[62:63], 0 cbsz:4
	v_mfma_f32_4x4x4_16b_bf16 a[0:3], v[68:69], v[54:55], a[0:3] cbsz:4 abid:2
	s_nop 0
	v_mfma_f32_4x4x4_16b_bf16 a[4:7], v[68:69], v[64:65], a[4:7] cbsz:4 abid:1
	v_mfma_f32_4x4x4_16b_bf16 a[0:3], v[68:69], v[56:57], a[0:3] cbsz:4 abid:3
	s_waitcnt vmcnt(0)
	v_mfma_f32_4x4x4_16b_bf16 a[4:7], v[68:69], v[58:59], a[4:7] cbsz:4 abid:2
	v_mfma_f32_4x4x4_16b_bf16 a[0:3], v[68:69], v[10:11], a[0:3] cbsz:4 abid:4
	s_nop 1
	v_mfma_f32_4x4x4_16b_bf16 a[0:3], v[68:69], v[12:13], a[0:3] cbsz:4 abid:5
	s_nop 1
	;; [unrolled: 2-line block ×12, first 2 shown]
	v_accvgpr_read_b32 v3, a2
	v_accvgpr_read_b32 v4, a3
	;; [unrolled: 1-line block ×4, first 2 shown]
	v_mfma_f32_4x4x4_16b_bf16 a[0:3], v[68:69], v[60:61], a[4:7] cbsz:4 abid:3
	v_bfe_u32 v10, v5, 16, 1
	v_add3_u32 v5, v5, v10, s1
	v_mfma_f32_4x4x4_16b_bf16 a[0:3], v[68:69], v[6:7], a[0:3] cbsz:4 abid:4
	v_bfe_u32 v6, v2, 16, 1
	v_add3_u32 v2, v2, v6, s1
	v_mfma_f32_4x4x4_16b_bf16 a[0:3], v[68:69], v[8:9], a[0:3] cbsz:4 abid:5
	v_perm_b32 v2, v5, v2, s6
	v_bfe_u32 v5, v4, 16, 1
	v_mfma_f32_4x4x4_16b_bf16 a[0:3], v[68:69], v[14:15], a[0:3] cbsz:4 abid:6
	v_bfe_u32 v6, v3, 16, 1
	v_add3_u32 v3, v3, v6, s1
	v_mfma_f32_4x4x4_16b_bf16 a[0:3], v[68:69], v[16:17], a[0:3] cbsz:4 abid:7
	v_add3_u32 v4, v4, v5, s1
	v_perm_b32 v3, v4, v3, s6
	v_mfma_f32_4x4x4_16b_bf16 a[0:3], v[68:69], v[30:31], a[0:3] cbsz:4 abid:8
	v_mad_u32_u24 v4, v1, 40, v73
	ds_write_b64 v4, v[2:3]
	v_mfma_f32_4x4x4_16b_bf16 a[0:3], v[68:69], v[32:33], a[0:3] cbsz:4 abid:9
	s_nop 1
	v_mfma_f32_4x4x4_16b_bf16 a[0:3], v[68:69], v[34:35], a[0:3] cbsz:4 abid:10
	s_nop 1
	;; [unrolled: 2-line block ×7, first 2 shown]
	v_accvgpr_read_b32 v4, a0
	v_accvgpr_read_b32 v5, a1
	;; [unrolled: 1-line block ×4, first 2 shown]
	v_bfe_u32 v6, v5, 16, 1
	v_bfe_u32 v7, v4, 16, 1
	v_add3_u32 v4, v4, v7, s1
	v_add3_u32 v5, v5, v6, s1
	v_bfe_u32 v6, v3, 16, 1
	v_bfe_u32 v7, v2, 16, 1
	v_add3_u32 v2, v2, v7, s1
	v_add3_u32 v3, v3, v6, s1
	v_perm_b32 v71, v3, v2, s6
	v_perm_b32 v70, v5, v4, s6
.LBB612_23:
	s_or_b64 exec, exec, s[2:3]
	s_waitcnt vmcnt(10)
	v_mad_u32_u24 v2, v1, 40, v73
	v_cmp_gt_u32_e32 vcc, 64, v0
	ds_write_b64 v2, v[70:71] offset:2560
	s_waitcnt lgkmcnt(0)
	s_barrier
	s_and_saveexec_b64 s[2:3], vcc
	s_cbranch_execz .LBB612_25
; %bb.24:
	v_mov_b32_e32 v2, 0xa00
	v_mad_u32_u24 v2, v1, 40, v2
	ds_read2_b64 v[2:5], v2 offset1:1
	s_waitcnt lgkmcnt(0)
	v_mov_b32_e32 v3, 0xa10
	v_mul_u32_u24_e32 v10, 40, v1
	v_mad_u32_u24 v1, v1, 40, v3
	ds_read2_b64 v[6:9], v1 offset1:1
	v_lshlrev_b32_e32 v1, 16, v2
	v_add_f32_e32 v1, 0, v1
	v_and_b32_e32 v1, 0xffff0000, v1
	v_lshlrev_b32_e32 v2, 16, v4
	v_add_f32_e32 v1, v1, v2
	v_and_b32_e32 v1, 0xffff0000, v1
	s_waitcnt lgkmcnt(0)
	v_lshlrev_b32_e32 v2, 16, v6
	v_add_f32_e32 v1, v1, v2
	v_and_b32_e32 v1, 0xffff0000, v1
	v_lshlrev_b32_e32 v2, 16, v8
	v_add_f32_e32 v11, v1, v2
	ds_read2_b64 v[2:5], v10 offset1:1
	ds_read2_b64 v[6:9], v10 offset0:2 offset1:3
	s_mov_b32 s1, 0
	s_lshl_b32 s0, s0, 7
	s_lshl_b64 s[2:3], s[0:1], 1
	s_waitcnt lgkmcnt(1)
	v_lshlrev_b32_e32 v2, 16, v2
	v_add_f32_e32 v2, 0, v2
	s_add_u32 s2, s22, s2
	v_and_b32_e32 v2, 0xffff0000, v2
	v_lshlrev_b32_e32 v3, 16, v4
	s_addc_u32 s3, s23, s3
	s_lshl_b32 s0, s20, 7
	v_add_f32_e32 v2, v2, v3
	s_lshl_b64 s[0:1], s[0:1], 1
	v_and_b32_e32 v2, 0xffff0000, v2
	s_waitcnt lgkmcnt(0)
	v_lshlrev_b32_e32 v3, 16, v6
	s_add_u32 s0, s2, s0
	s_mul_i32 s4, s4, s5
	v_add_f32_e32 v2, v2, v3
	s_addc_u32 s1, s3, s1
	v_lshl_or_b32 v0, s4, 7, v0
	v_mov_b32_e32 v1, 0
	v_and_b32_e32 v2, 0xffff0000, v2
	v_lshlrev_b32_e32 v3, 16, v8
	v_lshl_add_u64 v[0:1], v[0:1], 1, s[0:1]
	v_add_f32_e32 v2, v2, v3
	global_store_short_d16_hi v[0:1], v2, off
	global_store_short_d16_hi v[0:1], v11, off offset:128
.LBB612_25:
	s_endpgm
	.section	.rodata,"a",@progbits
	.p2align	6, 0x0
	.amdhsa_kernel _Z38paged_attention_ll4mi_QKV_mfma4_kernelI14__hip_bfloat16S0_LN4vllm18Fp8KVCacheDataTypeE0EhLi16ELi128ELi256ELb0ELi1EEvPKT_PKT0_S8_ifPKiSA_SA_iPKfiiiPfSD_PS3_PT2_iSC_SC_
		.amdhsa_group_segment_fixed_size 5280
		.amdhsa_private_segment_fixed_size 0
		.amdhsa_kernarg_size 400
		.amdhsa_user_sgpr_count 2
		.amdhsa_user_sgpr_dispatch_ptr 0
		.amdhsa_user_sgpr_queue_ptr 0
		.amdhsa_user_sgpr_kernarg_segment_ptr 1
		.amdhsa_user_sgpr_dispatch_id 0
		.amdhsa_user_sgpr_kernarg_preload_length 0
		.amdhsa_user_sgpr_kernarg_preload_offset 0
		.amdhsa_user_sgpr_private_segment_size 0
		.amdhsa_uses_dynamic_stack 0
		.amdhsa_enable_private_segment 0
		.amdhsa_system_sgpr_workgroup_id_x 1
		.amdhsa_system_sgpr_workgroup_id_y 1
		.amdhsa_system_sgpr_workgroup_id_z 1
		.amdhsa_system_sgpr_workgroup_info 0
		.amdhsa_system_vgpr_workitem_id 0
		.amdhsa_next_free_vgpr 104
		.amdhsa_next_free_sgpr 38
		.amdhsa_accum_offset 96
		.amdhsa_reserve_vcc 1
		.amdhsa_float_round_mode_32 0
		.amdhsa_float_round_mode_16_64 0
		.amdhsa_float_denorm_mode_32 3
		.amdhsa_float_denorm_mode_16_64 3
		.amdhsa_dx10_clamp 1
		.amdhsa_ieee_mode 1
		.amdhsa_fp16_overflow 0
		.amdhsa_tg_split 0
		.amdhsa_exception_fp_ieee_invalid_op 0
		.amdhsa_exception_fp_denorm_src 0
		.amdhsa_exception_fp_ieee_div_zero 0
		.amdhsa_exception_fp_ieee_overflow 0
		.amdhsa_exception_fp_ieee_underflow 0
		.amdhsa_exception_fp_ieee_inexact 0
		.amdhsa_exception_int_div_zero 0
	.end_amdhsa_kernel
	.section	.text._Z38paged_attention_ll4mi_QKV_mfma4_kernelI14__hip_bfloat16S0_LN4vllm18Fp8KVCacheDataTypeE0EhLi16ELi128ELi256ELb0ELi1EEvPKT_PKT0_S8_ifPKiSA_SA_iPKfiiiPfSD_PS3_PT2_iSC_SC_,"axG",@progbits,_Z38paged_attention_ll4mi_QKV_mfma4_kernelI14__hip_bfloat16S0_LN4vllm18Fp8KVCacheDataTypeE0EhLi16ELi128ELi256ELb0ELi1EEvPKT_PKT0_S8_ifPKiSA_SA_iPKfiiiPfSD_PS3_PT2_iSC_SC_,comdat
.Lfunc_end612:
	.size	_Z38paged_attention_ll4mi_QKV_mfma4_kernelI14__hip_bfloat16S0_LN4vllm18Fp8KVCacheDataTypeE0EhLi16ELi128ELi256ELb0ELi1EEvPKT_PKT0_S8_ifPKiSA_SA_iPKfiiiPfSD_PS3_PT2_iSC_SC_, .Lfunc_end612-_Z38paged_attention_ll4mi_QKV_mfma4_kernelI14__hip_bfloat16S0_LN4vllm18Fp8KVCacheDataTypeE0EhLi16ELi128ELi256ELb0ELi1EEvPKT_PKT0_S8_ifPKiSA_SA_iPKfiiiPfSD_PS3_PT2_iSC_SC_
                                        ; -- End function
	.section	.AMDGPU.csdata,"",@progbits
; Kernel info:
; codeLenInByte = 3980
; NumSgprs: 44
; NumVgprs: 94
; NumAgprs: 8
; TotalNumVgprs: 104
; ScratchSize: 0
; MemoryBound: 0
; FloatMode: 240
; IeeeMode: 1
; LDSByteSize: 5280 bytes/workgroup (compile time only)
; SGPRBlocks: 5
; VGPRBlocks: 12
; NumSGPRsForWavesPerEU: 44
; NumVGPRsForWavesPerEU: 104
; AccumOffset: 96
; Occupancy: 4
; WaveLimiterHint : 1
; COMPUTE_PGM_RSRC2:SCRATCH_EN: 0
; COMPUTE_PGM_RSRC2:USER_SGPR: 2
; COMPUTE_PGM_RSRC2:TRAP_HANDLER: 0
; COMPUTE_PGM_RSRC2:TGID_X_EN: 1
; COMPUTE_PGM_RSRC2:TGID_Y_EN: 1
; COMPUTE_PGM_RSRC2:TGID_Z_EN: 1
; COMPUTE_PGM_RSRC2:TIDIG_COMP_CNT: 0
; COMPUTE_PGM_RSRC3_GFX90A:ACCUM_OFFSET: 23
; COMPUTE_PGM_RSRC3_GFX90A:TG_SPLIT: 0
	.section	.text._Z38paged_attention_ll4mi_QKV_mfma4_kernelI14__hip_bfloat16S0_LN4vllm18Fp8KVCacheDataTypeE0EhLi16ELi128ELi256ELb0ELi2EEvPKT_PKT0_S8_ifPKiSA_SA_iPKfiiiPfSD_PS3_PT2_iSC_SC_,"axG",@progbits,_Z38paged_attention_ll4mi_QKV_mfma4_kernelI14__hip_bfloat16S0_LN4vllm18Fp8KVCacheDataTypeE0EhLi16ELi128ELi256ELb0ELi2EEvPKT_PKT0_S8_ifPKiSA_SA_iPKfiiiPfSD_PS3_PT2_iSC_SC_,comdat
	.protected	_Z38paged_attention_ll4mi_QKV_mfma4_kernelI14__hip_bfloat16S0_LN4vllm18Fp8KVCacheDataTypeE0EhLi16ELi128ELi256ELb0ELi2EEvPKT_PKT0_S8_ifPKiSA_SA_iPKfiiiPfSD_PS3_PT2_iSC_SC_ ; -- Begin function _Z38paged_attention_ll4mi_QKV_mfma4_kernelI14__hip_bfloat16S0_LN4vllm18Fp8KVCacheDataTypeE0EhLi16ELi128ELi256ELb0ELi2EEvPKT_PKT0_S8_ifPKiSA_SA_iPKfiiiPfSD_PS3_PT2_iSC_SC_
	.globl	_Z38paged_attention_ll4mi_QKV_mfma4_kernelI14__hip_bfloat16S0_LN4vllm18Fp8KVCacheDataTypeE0EhLi16ELi128ELi256ELb0ELi2EEvPKT_PKT0_S8_ifPKiSA_SA_iPKfiiiPfSD_PS3_PT2_iSC_SC_
	.p2align	8
	.type	_Z38paged_attention_ll4mi_QKV_mfma4_kernelI14__hip_bfloat16S0_LN4vllm18Fp8KVCacheDataTypeE0EhLi16ELi128ELi256ELb0ELi2EEvPKT_PKT0_S8_ifPKiSA_SA_iPKfiiiPfSD_PS3_PT2_iSC_SC_,@function
_Z38paged_attention_ll4mi_QKV_mfma4_kernelI14__hip_bfloat16S0_LN4vllm18Fp8KVCacheDataTypeE0EhLi16ELi128ELi256ELb0ELi2EEvPKT_PKT0_S8_ifPKiSA_SA_iPKfiiiPfSD_PS3_PT2_iSC_SC_: ; @_Z38paged_attention_ll4mi_QKV_mfma4_kernelI14__hip_bfloat16S0_LN4vllm18Fp8KVCacheDataTypeE0EhLi16ELi128ELi256ELb0ELi2EEvPKT_PKT0_S8_ifPKiSA_SA_iPKfiiiPfSD_PS3_PT2_iSC_SC_
; %bb.0:
	s_load_dwordx2 s[16:17], s[0:1], 0x30
	s_mov_b32 s20, s3
	s_mov_b64 s[6:7], 0
	s_waitcnt lgkmcnt(0)
	s_cmp_lg_u64 s[16:17], 0
	s_cselect_b64 s[18:19], -1, 0
	s_and_b64 vcc, exec, s[18:19]
	s_cbranch_vccz .LBB613_10
; %bb.1:
	s_add_i32 s8, s2, 1
	s_mov_b32 s9, 0
	s_lshl_b64 s[10:11], s[8:9], 2
	s_add_u32 s10, s16, s10
	s_mov_b32 s3, s9
	s_addc_u32 s11, s17, s11
	s_lshl_b64 s[8:9], s[2:3], 2
	s_add_u32 s8, s16, s8
	s_addc_u32 s9, s17, s9
	s_load_dword s5, s[10:11], 0x0
	s_load_dword s12, s[8:9], 0x0
	s_waitcnt lgkmcnt(0)
	s_sub_i32 s5, s5, s12
	s_cmp_eq_u32 s5, 1
	s_cselect_b64 s[8:9], -1, 0
	s_andn2_b64 vcc, exec, s[6:7]
	s_cbranch_vccnz .LBB613_3
.LBB613_2:
	s_mov_b32 s3, 0
	s_mov_b64 s[8:9], -1
.LBB613_3:
	s_andn2_b64 vcc, exec, s[8:9]
	s_cbranch_vccnz .LBB613_25
; %bb.4:
	s_load_dword s5, s[0:1], 0x9c
	s_load_dwordx2 s[6:7], s[0:1], 0x28
	s_add_u32 s24, s0, 0x90
	s_addc_u32 s25, s1, 0
	s_lshl_b64 s[28:29], s[2:3], 2
	s_waitcnt lgkmcnt(0)
	s_and_b32 s5, s5, 0xffff
	s_add_u32 s6, s6, s28
	s_addc_u32 s7, s7, s29
	s_load_dword s3, s[6:7], 0x0
	s_mul_i32 s10, s20, s5
	s_waitcnt lgkmcnt(0)
	s_cmp_ge_i32 s10, s3
	s_cbranch_scc1 .LBB613_25
; %bb.5:
	v_and_b32_e32 v1, 0xc0, v0
	v_add_u32_e32 v2, s10, v1
	v_lshrrev_b32_e32 v70, 6, v0
	v_cmp_le_i32_e64 s[6:7], s3, v2
                                        ; implicit-def: $sgpr21
                                        ; implicit-def: $sgpr11
	s_and_saveexec_b64 s[8:9], s[6:7]
	s_xor_b64 s[8:9], exec, s[8:9]
	s_cbranch_execz .LBB613_7
; %bb.6:
	v_mul_u32_u24_e32 v1, 20, v70
	v_or_b32_e32 v1, 0x1400, v1
	v_mov_b32_e32 v2, 0x1450
	v_mov_b32_e32 v3, 0xff7fffff
	v_mad_u32_u24 v2, v70, 20, v2
	ds_write2_b32 v1, v3, v3 offset1:1
	v_mov_b32_e32 v1, 0
	ds_write2_b32 v2, v1, v1 offset1:1
	v_mov_b32_e32 v2, 0x1408
	s_mov_b32 s11, 0xff7fffff
	s_mov_b32 s21, 0
	v_mad_u32_u24 v2, v70, 20, v2
	v_mov_b32_e32 v4, 0x1458
	v_mad_u32_u24 v4, v70, 20, v4
	ds_write2_b32 v2, v3, v3 offset1:1
	ds_write2_b32 v4, v1, v1 offset1:1
                                        ; implicit-def: $vgpr2
.LBB613_7:
	s_or_saveexec_b64 s[26:27], s[8:9]
	s_load_dwordx2 s[22:23], s[0:1], 0x68
	s_load_dwordx4 s[12:15], s[0:1], 0x58
	s_load_dword s5, s[24:25], 0x4
	v_and_b32_e32 v1, 63, v0
	v_and_b32_e32 v71, 3, v0
	v_mov_b32_e32 v67, s21
	v_mov_b32_e32 v72, s11
	;; [unrolled: 1-line block ×5, first 2 shown]
                                        ; implicit-def: $vgpr51
                                        ; implicit-def: $vgpr55
                                        ; implicit-def: $vgpr11
                                        ; implicit-def: $vgpr23
                                        ; implicit-def: $vgpr39
                                        ; implicit-def: $vgpr3
                                        ; implicit-def: $vgpr19
                                        ; implicit-def: $vgpr27
                                        ; implicit-def: $vgpr63
                                        ; implicit-def: $vgpr59
                                        ; implicit-def: $vgpr7
                                        ; implicit-def: $vgpr15
                                        ; implicit-def: $vgpr31
                                        ; implicit-def: $vgpr35
                                        ; implicit-def: $vgpr43
                                        ; implicit-def: $vgpr47
	s_xor_b64 exec, exec, s[26:27]
	s_cbranch_execz .LBB613_17
; %bb.8:
	s_add_i32 s21, s3, 15
	s_load_dwordx2 s[8:9], s[0:1], 0x20
	s_load_dword s11, s[0:1], 0x38
	s_ashr_i32 s30, s21, 31
	s_lshr_b32 s30, s30, 28
	v_add_u32_e32 v72, s10, v0
	s_add_i32 s21, s21, s30
	v_ashrrev_i32_e32 v3, 31, v72
	s_ashr_i32 s21, s21, 4
	v_lshrrev_b32_e32 v3, 28, v3
	s_add_i32 s21, s21, -1
	v_add_u32_e32 v3, v72, v3
	s_waitcnt lgkmcnt(0)
	s_mul_i32 s30, s2, s11
	s_mov_b32 s31, 0
	v_ashrrev_i32_e32 v3, 4, v3
	v_mov_b32_e32 v4, s21
	v_cmp_gt_i32_e32 vcc, s3, v72
	s_lshl_b64 s[30:31], s[30:31], 2
	s_add_u32 s8, s8, s30
	v_cndmask_b32_e32 v4, v4, v3, vcc
	v_ashrrev_i32_e32 v3, 31, v2
	v_lshrrev_b32_e32 v3, 28, v3
	s_addc_u32 s9, s9, s31
	v_ashrrev_i32_e32 v5, 31, v4
	v_add_u32_e32 v2, v2, v3
	v_lshl_add_u64 v[8:9], v[4:5], 2, s[8:9]
	v_ashrrev_i32_e32 v4, 4, v2
	v_min_i32_e32 v2, s21, v4
	v_ashrrev_i32_e32 v3, 31, v2
	v_lshl_add_u64 v[10:11], v[2:3], 2, s[8:9]
	v_add_u32_e32 v2, 1, v4
	v_min_i32_e32 v2, s21, v2
	v_ashrrev_i32_e32 v3, 31, v2
	v_lshl_add_u64 v[12:13], v[2:3], 2, s[8:9]
	v_add_u32_e32 v2, 2, v4
	;; [unrolled: 4-line block ×3, first 2 shown]
	v_min_i32_e32 v2, s21, v2
	v_ashrrev_i32_e32 v3, 31, v2
	v_lshl_add_u64 v[16:17], v[2:3], 2, s[8:9]
	global_load_dword v2, v[8:9], off
	global_load_dword v4, v[10:11], off
	;; [unrolled: 1-line block ×5, first 2 shown]
	s_load_dwordx4 s[8:11], s[0:1], 0x8
	s_andn2_b64 vcc, exec, s[18:19]
	s_cbranch_vccnz .LBB613_11
; %bb.9:
	s_add_u32 s16, s16, s28
	s_addc_u32 s17, s17, s29
	s_load_dword s21, s[16:17], 0x0
	s_branch .LBB613_12
.LBB613_10:
	s_mov_b64 s[8:9], 0
	s_branch .LBB613_2
.LBB613_11:
	s_mov_b32 s21, s2
.LBB613_12:
	s_load_dwordx4 s[16:19], s[0:1], 0x48
	v_cmp_gt_u32_e32 vcc, 2, v71
	s_mov_b32 s29, 0
	v_mov_b32_e32 v51, 0
	v_mov_b32_e32 v66, 0
	;; [unrolled: 1-line block ×5, first 2 shown]
	s_and_saveexec_b64 s[30:31], vcc
	s_cbranch_execz .LBB613_14
; %bb.13:
	s_load_dwordx2 s[34:35], s[0:1], 0x0
	s_waitcnt lgkmcnt(0)
	s_ashr_i32 s19, s16, 31
	s_mul_hi_u32 s28, s21, s16
	s_mul_i32 s19, s21, s19
	s_add_i32 s37, s28, s19
	s_mul_i32 s36, s21, s16
	s_lshl_b64 s[36:37], s[36:37], 1
	s_add_u32 s16, s34, s36
	s_addc_u32 s19, s35, s37
	s_lshl_b32 s28, s4, 8
	s_lshl_b64 s[34:35], s[28:29], 1
	v_lshlrev_b32_e32 v3, 2, v1
	s_add_u32 s34, s16, s34
	v_and_b32_e32 v3, 0xf0, v3
	s_addc_u32 s35, s19, s35
	v_lshl_or_b32 v3, v71, 8, v3
	global_load_dwordx4 v[66:69], v3, s[34:35]
.LBB613_14:
	s_or_b64 exec, exec, s[30:31]
	s_waitcnt lgkmcnt(0)
	s_mul_i32 s28, s4, s18
	s_lshl_b64 s[18:19], s[28:29], 1
	s_add_u32 s8, s18, s8
	s_waitcnt vmcnt(4)
	v_mad_i64_i32 v[2:3], s[30:31], v2, s17, 0
	s_addc_u32 s9, s19, s9
	v_and_b32_e32 v8, 15, v0
	v_lshl_add_u64 v[2:3], v[2:3], 1, s[8:9]
	v_lshlrev_b32_e32 v50, 4, v8
	v_lshl_add_u64 v[2:3], v[2:3], 0, v[50:51]
	global_load_dwordx4 v[8:11], v[2:3], off
	global_load_dwordx4 v[12:15], v[2:3], off offset:256
	global_load_dwordx4 v[16:19], v[2:3], off offset:512
	;; [unrolled: 1-line block ×15, first 2 shown]
	s_waitcnt vmcnt(19)
	v_mul_hi_i32 v48, v4, s17
	s_waitcnt vmcnt(18)
	v_mul_hi_i32 v50, v5, s17
	;; [unrolled: 2-line block ×4, first 2 shown]
	v_ashrrev_i32_e32 v94, 31, v48
	v_ashrrev_i32_e32 v48, 31, v50
	;; [unrolled: 1-line block ×4, first 2 shown]
	v_mov_b32_e32 v49, v51
	v_mov_b32_e32 v65, v51
	;; [unrolled: 1-line block ×3, first 2 shown]
	v_lshrrev_b32_e32 v48, 29, v48
	v_lshrrev_b32_e32 v64, 29, v50
	;; [unrolled: 1-line block ×3, first 2 shown]
	v_mad_i64_i32 v[2:3], s[8:9], v5, s17, v[48:49]
	v_mad_i64_i32 v[48:49], s[8:9], v6, s17, v[64:65]
	;; [unrolled: 1-line block ×3, first 2 shown]
	s_add_u32 s8, s10, s18
	v_lshrrev_b32_e32 v50, 29, v94
	s_addc_u32 s9, s11, s19
	v_mad_i64_i32 v[4:5], s[10:11], v4, s17, v[50:51]
	v_lshlrev_b64 v[2:3], 1, v[2:3]
	v_lshlrev_b64 v[6:7], 1, v[6:7]
	v_lshlrev_b64 v[64:65], 1, v[4:5]
	v_and_b32_e32 v2, -16, v2
	v_and_b32_e32 v6, -16, v6
	;; [unrolled: 1-line block ×3, first 2 shown]
	v_lshlrev_b32_e32 v50, 5, v1
	v_lshl_add_u64 v[2:3], s[8:9], 0, v[2:3]
	v_lshl_add_u64 v[6:7], s[8:9], 0, v[6:7]
	;; [unrolled: 1-line block ×4, first 2 shown]
	s_load_dword s0, s[0:1], 0x1c
	v_cmp_eq_u32_e32 vcc, 0, v71
	v_and_b32_e32 v92, -4, v72
	v_mov_b32_e32 v73, 0xff7fffff
	v_cndmask_b32_e64 v88, 0, 1.0, vcc
	v_cmp_eq_u32_e32 vcc, 1, v71
	v_or_b32_e32 v72, 3, v72
	v_cmp_gt_i32_e64 s[10:11], s3, v72
	v_cndmask_b32_e64 v89, 0, 1.0, vcc
	v_cmp_eq_u32_e32 vcc, 2, v71
	v_lshlrev_b32_e32 v93, 2, v0
	s_waitcnt vmcnt(15)
	v_mfma_f32_4x4x4_16b_bf16 a[0:3], v[66:67], v[8:9], 0 cbsz:4
	v_lshlrev_b64 v[8:9], 1, v[48:49]
	s_nop 0
	v_mfma_f32_4x4x4_16b_bf16 a[0:3], v[68:69], v[10:11], a[0:3] cbsz:4
	v_and_b32_e32 v8, -16, v8
	v_lshl_add_u64 v[8:9], s[8:9], 0, v[8:9]
	s_waitcnt vmcnt(14)
	v_mfma_f32_4x4x4_16b_bf16 a[0:3], v[66:67], v[12:13], a[0:3] cbsz:4 abid:1
	v_cndmask_b32_e64 v90, 0, 1.0, vcc
	v_cmp_eq_u32_e32 vcc, 3, v71
	v_mfma_f32_4x4x4_16b_bf16 a[0:3], v[68:69], v[14:15], a[0:3] cbsz:4 abid:1
	s_nop 0
	v_cndmask_b32_e64 v91, 0, 1.0, vcc
	s_waitcnt vmcnt(13)
	v_mfma_f32_4x4x4_16b_bf16 a[0:3], v[66:67], v[16:17], a[0:3] cbsz:4 abid:2
	v_cmp_gt_i32_e32 vcc, s3, v92
	s_nop 0
	v_mfma_f32_4x4x4_16b_bf16 a[0:3], v[68:69], v[18:19], a[0:3] cbsz:4 abid:2
	v_lshl_add_u64 v[18:19], v[8:9], 0, v[50:51]
	s_waitcnt vmcnt(12)
	v_mfma_f32_4x4x4_16b_bf16 a[0:3], v[66:67], v[20:21], a[0:3] cbsz:4 abid:3
	s_nop 1
	v_mfma_f32_4x4x4_16b_bf16 a[0:3], v[68:69], v[22:23], a[0:3] cbsz:4 abid:3
	s_waitcnt vmcnt(11)
	s_nop 0
	v_mfma_f32_4x4x4_16b_bf16 a[0:3], v[66:67], v[24:25], a[0:3] cbsz:4 abid:4
	global_load_dwordx4 v[10:13], v[2:3], off
	global_load_dwordx4 v[22:25], v[2:3], off offset:16
	v_mfma_f32_4x4x4_16b_bf16 a[0:3], v[68:69], v[26:27], a[0:3] cbsz:4 abid:4
	global_load_dwordx4 v[6:9], v[2:3], off offset:2048
	global_load_dwordx4 v[14:17], v[2:3], off offset:2064
	s_waitcnt vmcnt(14)
	v_mfma_f32_4x4x4_16b_bf16 a[0:3], v[66:67], v[28:29], a[0:3] cbsz:4 abid:5
	s_nop 1
	v_mfma_f32_4x4x4_16b_bf16 a[0:3], v[68:69], v[30:31], a[0:3] cbsz:4 abid:5
	s_waitcnt vmcnt(13)
	s_nop 0
	v_mfma_f32_4x4x4_16b_bf16 a[0:3], v[66:67], v[32:33], a[0:3] cbsz:4 abid:6
	s_nop 1
	v_mfma_f32_4x4x4_16b_bf16 a[0:3], v[68:69], v[34:35], a[0:3] cbsz:4 abid:6
	s_waitcnt vmcnt(12)
	s_nop 0
	;; [unrolled: 5-line block ×3, first 2 shown]
	v_mfma_f32_4x4x4_16b_bf16 a[0:3], v[66:67], v[40:41], a[0:3] cbsz:4 abid:8
	global_load_dwordx4 v[38:41], v[18:19], off
	global_load_dwordx4 v[2:5], v[18:19], off offset:16
	v_mfma_f32_4x4x4_16b_bf16 a[0:3], v[68:69], v[42:43], a[0:3] cbsz:4 abid:8
	global_load_dwordx4 v[30:33], v[18:19], off offset:2048
	global_load_dwordx4 v[34:37], v[18:19], off offset:2064
	s_waitcnt vmcnt(14)
	v_mfma_f32_4x4x4_16b_bf16 a[0:3], v[66:67], v[44:45], a[0:3] cbsz:4 abid:9
	global_load_dwordx4 v[18:21], v[86:87], off
	global_load_dwordx4 v[26:29], v[86:87], off offset:16
	v_mfma_f32_4x4x4_16b_bf16 a[0:3], v[68:69], v[46:47], a[0:3] cbsz:4 abid:9
	global_load_dwordx4 v[42:45], v[86:87], off offset:2048
	global_load_dwordx4 v[46:49], v[86:87], off offset:2064
	s_waitcnt vmcnt(17)
	v_mfma_f32_4x4x4_16b_bf16 a[0:3], v[66:67], v[52:53], a[0:3] cbsz:4 abid:10
	v_lshl_add_u64 v[52:53], s[8:9], 0, v[64:65]
	s_nop 0
	v_mfma_f32_4x4x4_16b_bf16 a[0:3], v[68:69], v[54:55], a[0:3] cbsz:4 abid:10
	s_waitcnt vmcnt(16)
	s_nop 0
	v_mfma_f32_4x4x4_16b_bf16 a[0:3], v[66:67], v[56:57], a[0:3] cbsz:4 abid:11
	s_nop 1
	v_mfma_f32_4x4x4_16b_bf16 a[0:3], v[68:69], v[58:59], a[0:3] cbsz:4 abid:11
	s_waitcnt vmcnt(15)
	s_nop 0
	v_mfma_f32_4x4x4_16b_bf16 a[0:3], v[66:67], v[60:61], a[0:3] cbsz:4 abid:12
	;; [unrolled: 5-line block ×3, first 2 shown]
	v_lshl_add_u64 v[74:75], v[52:53], 0, v[50:51]
	global_load_dwordx4 v[50:53], v[74:75], off
	global_load_dwordx4 v[54:57], v[74:75], off offset:16
	global_load_dwordx4 v[62:65], v[74:75], off offset:2048
	;; [unrolled: 1-line block ×3, first 2 shown]
	v_mfma_f32_4x4x4_16b_bf16 a[0:3], v[68:69], v[76:77], a[0:3] cbsz:4 abid:13
	v_and_or_b32 v74, v93, 48, v71
	v_lshlrev_b32_e32 v74, 2, v74
	s_waitcnt vmcnt(17)
	v_mfma_f32_4x4x4_16b_bf16 a[0:3], v[66:67], v[78:79], a[0:3] cbsz:4 abid:14
	s_nop 1
	v_mfma_f32_4x4x4_16b_bf16 a[0:3], v[68:69], v[80:81], a[0:3] cbsz:4 abid:14
	s_waitcnt vmcnt(16)
	s_nop 0
	v_mfma_f32_4x4x4_16b_bf16 a[0:3], v[66:67], v[82:83], a[0:3] cbsz:4 abid:15
	s_nop 1
	v_mfma_f32_4x4x4_16b_bf16 a[0:3], v[68:69], v[84:85], a[0:3] cbsz:4 abid:15
	s_nop 4
	v_accvgpr_read_b32 v67, a1
	v_accvgpr_read_b32 v66, a0
	s_waitcnt lgkmcnt(0)
	v_pk_mul_f32 v[66:67], s[0:1], v[66:67] op_sel_hi:[0,1]
	v_accvgpr_read_b32 v69, a3
	v_accvgpr_read_b32 v68, a2
	v_pk_mul_f32 v[68:69], s[0:1], v[68:69] op_sel_hi:[0,1]
	v_mfma_f32_4x4x1_16b_f32 a[0:3], v66, v88, 0
	v_or_b32_e32 v66, 1, v92
	s_nop 0
	v_mfma_f32_4x4x1_16b_f32 a[0:3], v67, v89, a[0:3]
	v_cmp_gt_i32_e64 s[0:1], s3, v66
	v_or_b32_e32 v67, 2, v92
	v_mfma_f32_4x4x1_16b_f32 a[0:3], v68, v90, a[0:3]
	v_cmp_gt_i32_e64 s[8:9], s3, v67
	s_nop 0
	v_mfma_f32_4x4x1_16b_f32 a[0:3], v69, v91, a[0:3]
	s_nop 3
	v_accvgpr_read_b32 v68, a0
	v_max_f32_e32 v77, v68, v68
	v_accvgpr_read_b32 v69, a1
	v_max_f32_e32 v77, 0xff7fffff, v77
	v_max_f32_e32 v78, v69, v69
	v_cndmask_b32_e32 v73, v73, v77, vcc
	v_accvgpr_read_b32 v75, a2
	v_max_f32_e32 v77, v73, v78
	v_max_f32_e32 v79, v75, v75
	v_cndmask_b32_e64 v66, v73, v77, s[0:1]
	v_accvgpr_read_b32 v76, a3
	v_max_f32_e32 v73, v66, v79
	v_max_f32_e32 v80, v76, v76
	v_cndmask_b32_e64 v66, v66, v73, s[8:9]
	v_max_f32_e32 v67, v66, v80
	v_cndmask_b32_e64 v66, v66, v67, s[10:11]
	;;#ASMSTART
	v_nop
 v_nop
 v_max_f32_dpp v66, v66, v66 row_ror:4
	;;#ASMEND
	s_nop 0
	;;#ASMSTART
	v_nop
 v_nop
 v_max_f32_dpp v66, v66, v66 row_ror:8
	;;#ASMEND
	ds_bpermute_b32 v66, v74, v66
	s_waitcnt lgkmcnt(0)
	;;#ASMSTART
	v_nop
 v_nop
 v_max_f32_dpp v66, v66, v66 row_ror:4
	;;#ASMEND
	s_nop 0
	;;#ASMSTART
	v_nop
 v_nop
 v_max_f32_dpp v72, v66, v66 row_ror:8
	;;#ASMEND
	s_nop 0
	v_sub_f32_e32 v66, v68, v72
	v_sub_f32_e32 v67, v69, v72
	v_sub_f32_e32 v68, v75, v72
	v_mul_f32_e32 v66, 0x3fb8aa3b, v66
	v_mul_f32_e32 v67, 0x3fb8aa3b, v67
	;; [unrolled: 1-line block ×3, first 2 shown]
	v_exp_f32_e32 v66, v66
	v_sub_f32_e32 v69, v76, v72
	v_exp_f32_e32 v67, v67
	v_exp_f32_e32 v73, v68
	v_mul_f32_e32 v69, 0x3fb8aa3b, v69
	v_exp_f32_e32 v75, v69
	v_cndmask_b32_e32 v68, 0, v66, vcc
	v_cndmask_b32_e64 v69, 0, v67, s[0:1]
	v_cndmask_b32_e64 v66, 0, v73, s[8:9]
	v_add_f32_e32 v73, 0, v68
	v_add_f32_e32 v73, v73, v69
	v_cndmask_b32_e64 v67, 0, v75, s[10:11]
	v_add_f32_e32 v73, v73, v66
	v_add_f32_e32 v73, v73, v67
	;;#ASMSTART
	v_nop
 v_nop
 v_add_f32_dpp v73, v73, v73 row_ror:4
	;;#ASMEND
	v_cmp_gt_u32_e32 vcc, 4, v1
	;;#ASMSTART
	v_nop
 v_nop
 v_add_f32_dpp v73, v73, v73 row_ror:8
	;;#ASMEND
	ds_bpermute_b32 v73, v74, v73
	s_waitcnt lgkmcnt(0)
	;;#ASMSTART
	v_nop
 v_nop
 v_add_f32_dpp v73, v73, v73 row_ror:4
	;;#ASMEND
	s_nop 0
	;;#ASMSTART
	v_nop
 v_nop
 v_add_f32_dpp v73, v73, v73 row_ror:8
	;;#ASMEND
	s_and_saveexec_b64 s[0:1], vcc
	s_cbranch_execz .LBB613_16
; %bb.15:
	v_mul_u32_u24_e32 v74, 20, v70
	v_lshl_add_u32 v74, v71, 2, v74
	v_add_u32_e32 v74, 0x1400, v74
	ds_write2_b32 v74, v72, v73 offset1:20
.LBB613_16:
	s_or_b64 exec, exec, s[0:1]
.LBB613_17:
	s_or_b64 exec, exec, s[26:27]
	s_waitcnt lgkmcnt(0)
	s_barrier
	s_load_dword s0, s[24:25], 0x8
	v_lshlrev_b32_e32 v73, 2, v71
	v_add_u32_e32 v73, 0x1400, v73
	ds_read2_b32 v[76:77], v73 offset1:5
	ds_read2_b32 v[78:79], v73 offset0:10 offset1:15
	s_mul_i32 s1, s2, s5
	s_waitcnt lgkmcnt(0)
	s_mul_i32 s1, s1, s0
	s_lshl_b32 s0, s1, 1
	s_mov_b32 s1, 0xff7fffff
	v_max3_f32 v74, v76, s1, v77
	v_max3_f32 v74, v74, v78, v79
	v_sub_f32_e32 v75, v76, v74
	v_sub_f32_e32 v76, v77, v74
	ds_read2_b32 v[80:81], v73 offset0:20 offset1:25
	v_mul_f32_e32 v75, 0x3fb8aa3b, v75
	v_mul_f32_e32 v76, 0x3fb8aa3b, v76
	v_exp_f32_e32 v75, v75
	v_exp_f32_e32 v82, v76
	ds_read2_b32 v[76:77], v73 offset0:30 offset1:35
	v_sub_f32_e32 v73, v78, v74
	v_mul_f32_e32 v73, 0x3fb8aa3b, v73
	v_sub_f32_e32 v78, v79, v74
	v_exp_f32_e32 v73, v73
	v_mul_f32_e32 v78, 0x3fb8aa3b, v78
	v_exp_f32_e32 v78, v78
	s_waitcnt lgkmcnt(1)
	v_fma_f32 v75, v75, v80, 0
	v_fmac_f32_e32 v75, v82, v81
	s_waitcnt lgkmcnt(0)
	v_fmac_f32_e32 v75, v73, v76
	s_lshl_b32 s4, s4, 1
	v_fmac_f32_e32 v75, v78, v77
	v_cmp_gt_u32_e32 vcc, 2, v71
	s_and_saveexec_b64 s[2:3], vcc
	s_cbranch_execz .LBB613_19
; %bb.18:
	s_mov_b32 s1, 0
	s_lshl_b64 s[8:9], s[0:1], 2
	s_add_u32 s12, s12, s8
	s_mov_b32 s21, s1
	s_addc_u32 s13, s13, s9
	s_lshl_b64 s[10:11], s[20:21], 2
	s_add_u32 s12, s12, s10
	s_addc_u32 s13, s13, s11
	s_add_u32 s1, s14, s8
	s_addc_u32 s9, s15, s9
	v_or_b32_e32 v71, s4, v71
	s_add_u32 s8, s1, s10
	v_mul_lo_u32 v76, s5, v71
	v_mov_b32_e32 v77, 0
	s_addc_u32 s9, s9, s11
	v_lshlrev_b64 v[76:77], 2, v[76:77]
	v_lshl_add_u64 v[78:79], s[12:13], 0, v[76:77]
	v_lshl_add_u64 v[76:77], s[8:9], 0, v[76:77]
	global_store_dword v[76:77], v74, off
	global_store_dword v[78:79], v75, off
.LBB613_19:
	s_or_b64 exec, exec, s[2:3]
	v_lshlrev_b32_e32 v73, 3, v70
                                        ; implicit-def: $sgpr1
	s_and_saveexec_b64 s[2:3], s[6:7]
	s_xor_b64 s[2:3], exec, s[2:3]
	s_cbranch_execz .LBB613_21
; %bb.20:
	s_waitcnt vmcnt(10)
	v_mov_b32_e32 v2, 0
	v_mad_u32_u24 v4, v1, 40, v73
	s_mov_b32 s1, 0
	v_mov_b32_e32 v3, v2
	ds_write_b64 v4, v[2:3]
                                        ; implicit-def: $vgpr67
                                        ; implicit-def: $vgpr69
                                        ; implicit-def: $vgpr51
                                        ; implicit-def: $vgpr55
                                        ; implicit-def: $vgpr11
                                        ; implicit-def: $vgpr23
                                        ; implicit-def: $vgpr39
                                        ; implicit-def: $vgpr3
                                        ; implicit-def: $vgpr19
                                        ; implicit-def: $vgpr27
                                        ; implicit-def: $vgpr63
                                        ; implicit-def: $vgpr59
                                        ; implicit-def: $vgpr7
                                        ; implicit-def: $vgpr15
                                        ; implicit-def: $vgpr31
                                        ; implicit-def: $vgpr35
                                        ; implicit-def: $vgpr43
                                        ; implicit-def: $vgpr47
                                        ; implicit-def: $vgpr72
                                        ; implicit-def: $vgpr74
                                        ; implicit-def: $vgpr75
.LBB613_21:
	s_or_saveexec_b64 s[2:3], s[2:3]
	v_mov_b32_e32 v70, s1
	v_mov_b32_e32 v71, s1
	s_xor_b64 exec, exec, s[2:3]
	s_cbranch_execz .LBB613_23
; %bb.22:
	v_add_f32_e32 v70, 0x358637bd, v75
	v_div_scale_f32 v71, s[6:7], v70, v70, 1.0
	v_rcp_f32_e32 v75, v71
	v_sub_f32_e32 v72, v72, v74
	v_mul_f32_e32 v72, 0x3fb8aa3b, v72
	v_exp_f32_e32 v72, v72
	v_fma_f32 v74, -v71, v75, 1.0
	v_fmac_f32_e32 v75, v74, v75
	v_div_scale_f32 v74, vcc, 1.0, v70, 1.0
	v_mul_f32_e32 v76, v74, v75
	v_fma_f32 v77, -v71, v76, v74
	v_fmac_f32_e32 v76, v77, v75
	v_fma_f32 v71, -v71, v76, v74
	v_div_fmas_f32 v71, v71, v75, v76
	v_div_fixup_f32 v70, v71, v70, 1.0
	v_mul_f32_e32 v70, v72, v70
	v_pk_mul_f32 v[68:69], v[68:69], v[70:71] op_sel_hi:[1,0]
	v_pk_mul_f32 v[66:67], v[66:67], v[70:71] op_sel_hi:[1,0]
	v_bfe_u32 v70, v69, 16, 1
	v_bfe_u32 v71, v68, 16, 1
	s_movk_i32 s1, 0x7fff
	v_add3_u32 v68, v68, v71, s1
	v_add3_u32 v69, v69, v70, s1
	s_mov_b32 s6, 0x7060302
	v_perm_b32 v68, v69, v68, s6
	v_bfe_u32 v69, v67, 16, 1
	v_bfe_u32 v70, v66, 16, 1
	v_add3_u32 v66, v66, v70, s1
	v_add3_u32 v67, v67, v69, s1
	v_perm_b32 v69, v67, v66, s6
	s_waitcnt vmcnt(3)
	s_nop 0
	v_mfma_f32_4x4x4_16b_bf16 a[0:3], v[68:69], v[50:51], 0 cbsz:4
	s_nop 1
	v_mfma_f32_4x4x4_16b_bf16 a[0:3], v[68:69], v[52:53], a[0:3] cbsz:4 abid:1
	s_waitcnt vmcnt(1)
	v_mfma_f32_4x4x4_16b_bf16 a[4:7], v[68:69], v[62:63], 0 cbsz:4
	v_mfma_f32_4x4x4_16b_bf16 a[0:3], v[68:69], v[54:55], a[0:3] cbsz:4 abid:2
	s_nop 0
	v_mfma_f32_4x4x4_16b_bf16 a[4:7], v[68:69], v[64:65], a[4:7] cbsz:4 abid:1
	v_mfma_f32_4x4x4_16b_bf16 a[0:3], v[68:69], v[56:57], a[0:3] cbsz:4 abid:3
	s_waitcnt vmcnt(0)
	v_mfma_f32_4x4x4_16b_bf16 a[4:7], v[68:69], v[58:59], a[4:7] cbsz:4 abid:2
	v_mfma_f32_4x4x4_16b_bf16 a[0:3], v[68:69], v[10:11], a[0:3] cbsz:4 abid:4
	s_nop 1
	v_mfma_f32_4x4x4_16b_bf16 a[0:3], v[68:69], v[12:13], a[0:3] cbsz:4 abid:5
	s_nop 1
	;; [unrolled: 2-line block ×12, first 2 shown]
	v_accvgpr_read_b32 v3, a2
	v_accvgpr_read_b32 v4, a3
	;; [unrolled: 1-line block ×4, first 2 shown]
	v_mfma_f32_4x4x4_16b_bf16 a[0:3], v[68:69], v[60:61], a[4:7] cbsz:4 abid:3
	v_bfe_u32 v10, v5, 16, 1
	v_add3_u32 v5, v5, v10, s1
	v_mfma_f32_4x4x4_16b_bf16 a[0:3], v[68:69], v[6:7], a[0:3] cbsz:4 abid:4
	v_bfe_u32 v6, v2, 16, 1
	v_add3_u32 v2, v2, v6, s1
	v_mfma_f32_4x4x4_16b_bf16 a[0:3], v[68:69], v[8:9], a[0:3] cbsz:4 abid:5
	v_perm_b32 v2, v5, v2, s6
	v_bfe_u32 v5, v4, 16, 1
	v_mfma_f32_4x4x4_16b_bf16 a[0:3], v[68:69], v[14:15], a[0:3] cbsz:4 abid:6
	v_bfe_u32 v6, v3, 16, 1
	v_add3_u32 v3, v3, v6, s1
	v_mfma_f32_4x4x4_16b_bf16 a[0:3], v[68:69], v[16:17], a[0:3] cbsz:4 abid:7
	v_add3_u32 v4, v4, v5, s1
	v_perm_b32 v3, v4, v3, s6
	v_mfma_f32_4x4x4_16b_bf16 a[0:3], v[68:69], v[30:31], a[0:3] cbsz:4 abid:8
	v_mad_u32_u24 v4, v1, 40, v73
	ds_write_b64 v4, v[2:3]
	v_mfma_f32_4x4x4_16b_bf16 a[0:3], v[68:69], v[32:33], a[0:3] cbsz:4 abid:9
	s_nop 1
	v_mfma_f32_4x4x4_16b_bf16 a[0:3], v[68:69], v[34:35], a[0:3] cbsz:4 abid:10
	s_nop 1
	v_mfma_f32_4x4x4_16b_bf16 a[0:3], v[68:69], v[36:37], a[0:3] cbsz:4 abid:11
	s_nop 1
	v_mfma_f32_4x4x4_16b_bf16 a[0:3], v[68:69], v[42:43], a[0:3] cbsz:4 abid:12
	s_nop 1
	v_mfma_f32_4x4x4_16b_bf16 a[0:3], v[68:69], v[44:45], a[0:3] cbsz:4 abid:13
	s_nop 1
	v_mfma_f32_4x4x4_16b_bf16 a[0:3], v[68:69], v[46:47], a[0:3] cbsz:4 abid:14
	s_nop 1
	v_mfma_f32_4x4x4_16b_bf16 a[0:3], v[68:69], v[48:49], a[0:3] cbsz:4 abid:15
	s_nop 4
	v_accvgpr_read_b32 v4, a0
	v_accvgpr_read_b32 v5, a1
	;; [unrolled: 1-line block ×4, first 2 shown]
	v_bfe_u32 v6, v5, 16, 1
	v_bfe_u32 v7, v4, 16, 1
	v_add3_u32 v4, v4, v7, s1
	v_add3_u32 v5, v5, v6, s1
	v_bfe_u32 v6, v3, 16, 1
	v_bfe_u32 v7, v2, 16, 1
	v_add3_u32 v2, v2, v7, s1
	v_add3_u32 v3, v3, v6, s1
	v_perm_b32 v71, v3, v2, s6
	v_perm_b32 v70, v5, v4, s6
.LBB613_23:
	s_or_b64 exec, exec, s[2:3]
	s_waitcnt vmcnt(10)
	v_mad_u32_u24 v2, v1, 40, v73
	v_cmp_gt_u32_e32 vcc, 64, v0
	ds_write_b64 v2, v[70:71] offset:2560
	s_waitcnt lgkmcnt(0)
	s_barrier
	s_and_saveexec_b64 s[2:3], vcc
	s_cbranch_execz .LBB613_25
; %bb.24:
	v_mul_u32_u24_e32 v6, 40, v1
	ds_read2_b64 v[2:5], v6 offset1:1
	ds_read2_b64 v[6:9], v6 offset0:2 offset1:3
	s_mov_b32 s1, 0
	s_lshl_b32 s0, s0, 7
	s_lshl_b64 s[2:3], s[0:1], 1
	s_waitcnt lgkmcnt(1)
	v_and_b32_e32 v3, 0xffff0000, v2
	v_add_f32_e32 v3, 0, v3
	v_and_b32_e32 v5, 0xffff0000, v4
	v_and_b32_e32 v3, 0xffff0000, v3
	v_add_f32_e32 v3, v3, v5
	s_waitcnt lgkmcnt(0)
	v_and_b32_e32 v7, 0xffff0000, v6
	v_and_b32_e32 v3, 0xffff0000, v3
	v_add_f32_e32 v3, v3, v7
	v_mov_b32_e32 v7, 0xa00
	v_mad_u32_u24 v7, v1, 40, v7
	ds_read2_b64 v[10:13], v7 offset1:1
	v_and_b32_e32 v3, 0xffff0000, v3
	v_and_b32_e32 v5, 0xffff0000, v8
	v_add_f32_e32 v7, v3, v5
	v_mov_b32_e32 v3, 0xa10
	v_mad_u32_u24 v1, v1, 40, v3
	ds_read2_b64 v[14:17], v1 offset1:1
	s_waitcnt lgkmcnt(1)
	v_lshlrev_b32_e32 v1, 16, v10
	v_add_f32_e32 v1, 0, v1
	v_and_b32_e32 v3, 0xffff0000, v10
	v_and_b32_e32 v1, 0xffff0000, v1
	v_add_f32_e32 v3, 0, v3
	v_lshlrev_b32_e32 v5, 16, v12
	v_and_b32_e32 v3, 0xffff0000, v3
	v_add_f32_e32 v1, v1, v5
	v_and_b32_e32 v5, 0xffff0000, v12
	v_and_b32_e32 v1, 0xffff0000, v1
	v_add_f32_e32 v3, v3, v5
	s_waitcnt lgkmcnt(0)
	v_lshlrev_b32_e32 v5, 16, v14
	v_and_b32_e32 v3, 0xffff0000, v3
	v_add_f32_e32 v1, v1, v5
	v_and_b32_e32 v5, 0xffff0000, v14
	v_and_b32_e32 v1, 0xffff0000, v1
	v_add_f32_e32 v3, v3, v5
	v_lshlrev_b32_e32 v5, 16, v16
	v_and_b32_e32 v3, 0xffff0000, v3
	v_add_f32_e32 v9, v1, v5
	v_and_b32_e32 v1, 0xffff0000, v16
	v_add_f32_e32 v10, v3, v1
	v_lshlrev_b32_e32 v1, 16, v2
	s_add_u32 s2, s22, s2
	v_add_f32_e32 v1, 0, v1
	s_addc_u32 s3, s23, s3
	s_lshl_b32 s0, s20, 7
	v_and_b32_e32 v1, 0xffff0000, v1
	v_lshlrev_b32_e32 v2, 16, v4
	s_lshl_b64 s[0:1], s[0:1], 1
	v_add_f32_e32 v1, v1, v2
	s_add_u32 s0, s2, s0
	v_and_b32_e32 v1, 0xffff0000, v1
	v_lshlrev_b32_e32 v2, 16, v6
	s_addc_u32 s1, s3, s1
	s_lshl_b32 s2, s5, 7
	v_add_f32_e32 v1, v1, v2
	v_and_b32_e32 v1, 0xffff0000, v1
	v_lshlrev_b32_e32 v2, 16, v8
	s_mul_i32 s3, s2, s4
	v_add_f32_e32 v1, v1, v2
	v_or_b32_e32 v2, s3, v0
	v_mov_b32_e32 v3, 0
	s_add_i32 s3, s3, s2
	v_lshl_add_u64 v[4:5], v[2:3], 1, s[0:1]
	v_or_b32_e32 v2, s3, v0
	global_store_short_d16_hi v[4:5], v1, off
	v_lshl_add_u64 v[0:1], v[2:3], 1, s[0:1]
	global_store_short_d16_hi v[0:1], v7, off
	global_store_short_d16_hi v[4:5], v9, off offset:128
	global_store_short_d16_hi v[0:1], v10, off offset:128
.LBB613_25:
	s_endpgm
	.section	.rodata,"a",@progbits
	.p2align	6, 0x0
	.amdhsa_kernel _Z38paged_attention_ll4mi_QKV_mfma4_kernelI14__hip_bfloat16S0_LN4vllm18Fp8KVCacheDataTypeE0EhLi16ELi128ELi256ELb0ELi2EEvPKT_PKT0_S8_ifPKiSA_SA_iPKfiiiPfSD_PS3_PT2_iSC_SC_
		.amdhsa_group_segment_fixed_size 5280
		.amdhsa_private_segment_fixed_size 0
		.amdhsa_kernarg_size 400
		.amdhsa_user_sgpr_count 2
		.amdhsa_user_sgpr_dispatch_ptr 0
		.amdhsa_user_sgpr_queue_ptr 0
		.amdhsa_user_sgpr_kernarg_segment_ptr 1
		.amdhsa_user_sgpr_dispatch_id 0
		.amdhsa_user_sgpr_kernarg_preload_length 0
		.amdhsa_user_sgpr_kernarg_preload_offset 0
		.amdhsa_user_sgpr_private_segment_size 0
		.amdhsa_uses_dynamic_stack 0
		.amdhsa_enable_private_segment 0
		.amdhsa_system_sgpr_workgroup_id_x 1
		.amdhsa_system_sgpr_workgroup_id_y 1
		.amdhsa_system_sgpr_workgroup_id_z 1
		.amdhsa_system_sgpr_workgroup_info 0
		.amdhsa_system_vgpr_workitem_id 0
		.amdhsa_next_free_vgpr 104
		.amdhsa_next_free_sgpr 38
		.amdhsa_accum_offset 96
		.amdhsa_reserve_vcc 1
		.amdhsa_float_round_mode_32 0
		.amdhsa_float_round_mode_16_64 0
		.amdhsa_float_denorm_mode_32 3
		.amdhsa_float_denorm_mode_16_64 3
		.amdhsa_dx10_clamp 1
		.amdhsa_ieee_mode 1
		.amdhsa_fp16_overflow 0
		.amdhsa_tg_split 0
		.amdhsa_exception_fp_ieee_invalid_op 0
		.amdhsa_exception_fp_denorm_src 0
		.amdhsa_exception_fp_ieee_div_zero 0
		.amdhsa_exception_fp_ieee_overflow 0
		.amdhsa_exception_fp_ieee_underflow 0
		.amdhsa_exception_fp_ieee_inexact 0
		.amdhsa_exception_int_div_zero 0
	.end_amdhsa_kernel
	.section	.text._Z38paged_attention_ll4mi_QKV_mfma4_kernelI14__hip_bfloat16S0_LN4vllm18Fp8KVCacheDataTypeE0EhLi16ELi128ELi256ELb0ELi2EEvPKT_PKT0_S8_ifPKiSA_SA_iPKfiiiPfSD_PS3_PT2_iSC_SC_,"axG",@progbits,_Z38paged_attention_ll4mi_QKV_mfma4_kernelI14__hip_bfloat16S0_LN4vllm18Fp8KVCacheDataTypeE0EhLi16ELi128ELi256ELb0ELi2EEvPKT_PKT0_S8_ifPKiSA_SA_iPKfiiiPfSD_PS3_PT2_iSC_SC_,comdat
.Lfunc_end613:
	.size	_Z38paged_attention_ll4mi_QKV_mfma4_kernelI14__hip_bfloat16S0_LN4vllm18Fp8KVCacheDataTypeE0EhLi16ELi128ELi256ELb0ELi2EEvPKT_PKT0_S8_ifPKiSA_SA_iPKfiiiPfSD_PS3_PT2_iSC_SC_, .Lfunc_end613-_Z38paged_attention_ll4mi_QKV_mfma4_kernelI14__hip_bfloat16S0_LN4vllm18Fp8KVCacheDataTypeE0EhLi16ELi128ELi256ELb0ELi2EEvPKT_PKT0_S8_ifPKiSA_SA_iPKfiiiPfSD_PS3_PT2_iSC_SC_
                                        ; -- End function
	.section	.AMDGPU.csdata,"",@progbits
; Kernel info:
; codeLenInByte = 4196
; NumSgprs: 44
; NumVgprs: 95
; NumAgprs: 8
; TotalNumVgprs: 104
; ScratchSize: 0
; MemoryBound: 0
; FloatMode: 240
; IeeeMode: 1
; LDSByteSize: 5280 bytes/workgroup (compile time only)
; SGPRBlocks: 5
; VGPRBlocks: 12
; NumSGPRsForWavesPerEU: 44
; NumVGPRsForWavesPerEU: 104
; AccumOffset: 96
; Occupancy: 4
; WaveLimiterHint : 1
; COMPUTE_PGM_RSRC2:SCRATCH_EN: 0
; COMPUTE_PGM_RSRC2:USER_SGPR: 2
; COMPUTE_PGM_RSRC2:TRAP_HANDLER: 0
; COMPUTE_PGM_RSRC2:TGID_X_EN: 1
; COMPUTE_PGM_RSRC2:TGID_Y_EN: 1
; COMPUTE_PGM_RSRC2:TGID_Z_EN: 1
; COMPUTE_PGM_RSRC2:TIDIG_COMP_CNT: 0
; COMPUTE_PGM_RSRC3_GFX90A:ACCUM_OFFSET: 23
; COMPUTE_PGM_RSRC3_GFX90A:TG_SPLIT: 0
	.section	.text._Z38paged_attention_ll4mi_QKV_mfma4_kernelI14__hip_bfloat16S0_LN4vllm18Fp8KVCacheDataTypeE0EhLi16ELi128ELi256ELb0ELi3EEvPKT_PKT0_S8_ifPKiSA_SA_iPKfiiiPfSD_PS3_PT2_iSC_SC_,"axG",@progbits,_Z38paged_attention_ll4mi_QKV_mfma4_kernelI14__hip_bfloat16S0_LN4vllm18Fp8KVCacheDataTypeE0EhLi16ELi128ELi256ELb0ELi3EEvPKT_PKT0_S8_ifPKiSA_SA_iPKfiiiPfSD_PS3_PT2_iSC_SC_,comdat
	.protected	_Z38paged_attention_ll4mi_QKV_mfma4_kernelI14__hip_bfloat16S0_LN4vllm18Fp8KVCacheDataTypeE0EhLi16ELi128ELi256ELb0ELi3EEvPKT_PKT0_S8_ifPKiSA_SA_iPKfiiiPfSD_PS3_PT2_iSC_SC_ ; -- Begin function _Z38paged_attention_ll4mi_QKV_mfma4_kernelI14__hip_bfloat16S0_LN4vllm18Fp8KVCacheDataTypeE0EhLi16ELi128ELi256ELb0ELi3EEvPKT_PKT0_S8_ifPKiSA_SA_iPKfiiiPfSD_PS3_PT2_iSC_SC_
	.globl	_Z38paged_attention_ll4mi_QKV_mfma4_kernelI14__hip_bfloat16S0_LN4vllm18Fp8KVCacheDataTypeE0EhLi16ELi128ELi256ELb0ELi3EEvPKT_PKT0_S8_ifPKiSA_SA_iPKfiiiPfSD_PS3_PT2_iSC_SC_
	.p2align	8
	.type	_Z38paged_attention_ll4mi_QKV_mfma4_kernelI14__hip_bfloat16S0_LN4vllm18Fp8KVCacheDataTypeE0EhLi16ELi128ELi256ELb0ELi3EEvPKT_PKT0_S8_ifPKiSA_SA_iPKfiiiPfSD_PS3_PT2_iSC_SC_,@function
_Z38paged_attention_ll4mi_QKV_mfma4_kernelI14__hip_bfloat16S0_LN4vllm18Fp8KVCacheDataTypeE0EhLi16ELi128ELi256ELb0ELi3EEvPKT_PKT0_S8_ifPKiSA_SA_iPKfiiiPfSD_PS3_PT2_iSC_SC_: ; @_Z38paged_attention_ll4mi_QKV_mfma4_kernelI14__hip_bfloat16S0_LN4vllm18Fp8KVCacheDataTypeE0EhLi16ELi128ELi256ELb0ELi3EEvPKT_PKT0_S8_ifPKiSA_SA_iPKfiiiPfSD_PS3_PT2_iSC_SC_
; %bb.0:
	s_load_dwordx2 s[16:17], s[0:1], 0x30
	s_mov_b32 s20, s3
	s_mov_b64 s[6:7], 0
	s_waitcnt lgkmcnt(0)
	s_cmp_lg_u64 s[16:17], 0
	s_cselect_b64 s[18:19], -1, 0
	s_and_b64 vcc, exec, s[18:19]
	s_cbranch_vccz .LBB614_10
; %bb.1:
	s_add_i32 s8, s2, 1
	s_mov_b32 s9, 0
	s_lshl_b64 s[10:11], s[8:9], 2
	s_add_u32 s10, s16, s10
	s_mov_b32 s3, s9
	s_addc_u32 s11, s17, s11
	s_lshl_b64 s[8:9], s[2:3], 2
	s_add_u32 s8, s16, s8
	s_addc_u32 s9, s17, s9
	s_load_dword s5, s[10:11], 0x0
	s_load_dword s12, s[8:9], 0x0
	s_waitcnt lgkmcnt(0)
	s_sub_i32 s5, s5, s12
	s_cmp_eq_u32 s5, 1
	s_cselect_b64 s[8:9], -1, 0
	s_andn2_b64 vcc, exec, s[6:7]
	s_cbranch_vccnz .LBB614_3
.LBB614_2:
	s_mov_b32 s3, 0
	s_mov_b64 s[8:9], -1
.LBB614_3:
	s_andn2_b64 vcc, exec, s[8:9]
	s_cbranch_vccnz .LBB614_25
; %bb.4:
	s_load_dword s5, s[0:1], 0x9c
	s_load_dwordx2 s[6:7], s[0:1], 0x28
	s_add_u32 s24, s0, 0x90
	s_addc_u32 s25, s1, 0
	s_lshl_b64 s[28:29], s[2:3], 2
	s_waitcnt lgkmcnt(0)
	s_and_b32 s5, s5, 0xffff
	s_add_u32 s6, s6, s28
	s_addc_u32 s7, s7, s29
	s_load_dword s3, s[6:7], 0x0
	s_mul_i32 s10, s20, s5
	s_waitcnt lgkmcnt(0)
	s_cmp_ge_i32 s10, s3
	s_cbranch_scc1 .LBB614_25
; %bb.5:
	v_and_b32_e32 v1, 0xc0, v0
	v_add_u32_e32 v2, s10, v1
	v_lshrrev_b32_e32 v70, 6, v0
	v_cmp_le_i32_e64 s[6:7], s3, v2
                                        ; implicit-def: $sgpr21
                                        ; implicit-def: $sgpr11
	s_and_saveexec_b64 s[8:9], s[6:7]
	s_xor_b64 s[8:9], exec, s[8:9]
	s_cbranch_execz .LBB614_7
; %bb.6:
	v_mul_u32_u24_e32 v1, 20, v70
	v_or_b32_e32 v1, 0x1400, v1
	v_mov_b32_e32 v2, 0x1450
	v_mov_b32_e32 v3, 0xff7fffff
	v_mad_u32_u24 v2, v70, 20, v2
	ds_write2_b32 v1, v3, v3 offset1:1
	v_mov_b32_e32 v1, 0
	ds_write2_b32 v2, v1, v1 offset1:1
	v_mov_b32_e32 v2, 0x1408
	s_mov_b32 s11, 0xff7fffff
	s_mov_b32 s21, 0
	v_mad_u32_u24 v2, v70, 20, v2
	v_mov_b32_e32 v4, 0x1458
	v_mad_u32_u24 v4, v70, 20, v4
	ds_write2_b32 v2, v3, v3 offset1:1
	ds_write2_b32 v4, v1, v1 offset1:1
                                        ; implicit-def: $vgpr2
.LBB614_7:
	s_or_saveexec_b64 s[26:27], s[8:9]
	s_load_dwordx2 s[22:23], s[0:1], 0x68
	s_load_dwordx4 s[12:15], s[0:1], 0x58
	s_load_dword s5, s[24:25], 0x4
	v_and_b32_e32 v1, 63, v0
	v_and_b32_e32 v71, 3, v0
	v_mov_b32_e32 v67, s21
	v_mov_b32_e32 v72, s11
	;; [unrolled: 1-line block ×5, first 2 shown]
                                        ; implicit-def: $vgpr51
                                        ; implicit-def: $vgpr55
                                        ; implicit-def: $vgpr11
                                        ; implicit-def: $vgpr23
                                        ; implicit-def: $vgpr39
                                        ; implicit-def: $vgpr3
                                        ; implicit-def: $vgpr19
                                        ; implicit-def: $vgpr27
                                        ; implicit-def: $vgpr63
                                        ; implicit-def: $vgpr59
                                        ; implicit-def: $vgpr7
                                        ; implicit-def: $vgpr15
                                        ; implicit-def: $vgpr31
                                        ; implicit-def: $vgpr35
                                        ; implicit-def: $vgpr43
                                        ; implicit-def: $vgpr47
	s_xor_b64 exec, exec, s[26:27]
	s_cbranch_execz .LBB614_17
; %bb.8:
	s_add_i32 s21, s3, 15
	s_load_dwordx2 s[8:9], s[0:1], 0x20
	s_load_dword s11, s[0:1], 0x38
	s_ashr_i32 s30, s21, 31
	s_lshr_b32 s30, s30, 28
	v_add_u32_e32 v72, s10, v0
	s_add_i32 s21, s21, s30
	v_ashrrev_i32_e32 v3, 31, v72
	s_ashr_i32 s21, s21, 4
	v_lshrrev_b32_e32 v3, 28, v3
	s_add_i32 s21, s21, -1
	v_add_u32_e32 v3, v72, v3
	s_waitcnt lgkmcnt(0)
	s_mul_i32 s30, s2, s11
	s_mov_b32 s31, 0
	v_ashrrev_i32_e32 v3, 4, v3
	v_mov_b32_e32 v4, s21
	v_cmp_gt_i32_e32 vcc, s3, v72
	s_lshl_b64 s[30:31], s[30:31], 2
	s_add_u32 s8, s8, s30
	v_cndmask_b32_e32 v4, v4, v3, vcc
	v_ashrrev_i32_e32 v3, 31, v2
	v_lshrrev_b32_e32 v3, 28, v3
	s_addc_u32 s9, s9, s31
	v_ashrrev_i32_e32 v5, 31, v4
	v_add_u32_e32 v2, v2, v3
	v_lshl_add_u64 v[8:9], v[4:5], 2, s[8:9]
	v_ashrrev_i32_e32 v4, 4, v2
	v_min_i32_e32 v2, s21, v4
	v_ashrrev_i32_e32 v3, 31, v2
	v_lshl_add_u64 v[10:11], v[2:3], 2, s[8:9]
	v_add_u32_e32 v2, 1, v4
	v_min_i32_e32 v2, s21, v2
	v_ashrrev_i32_e32 v3, 31, v2
	v_lshl_add_u64 v[12:13], v[2:3], 2, s[8:9]
	v_add_u32_e32 v2, 2, v4
	;; [unrolled: 4-line block ×3, first 2 shown]
	v_min_i32_e32 v2, s21, v2
	v_ashrrev_i32_e32 v3, 31, v2
	v_lshl_add_u64 v[16:17], v[2:3], 2, s[8:9]
	global_load_dword v2, v[8:9], off
	global_load_dword v4, v[10:11], off
	global_load_dword v5, v[12:13], off
	global_load_dword v6, v[14:15], off
	global_load_dword v7, v[16:17], off
	s_load_dwordx4 s[8:11], s[0:1], 0x8
	s_andn2_b64 vcc, exec, s[18:19]
	s_cbranch_vccnz .LBB614_11
; %bb.9:
	s_add_u32 s16, s16, s28
	s_addc_u32 s17, s17, s29
	s_load_dword s21, s[16:17], 0x0
	s_branch .LBB614_12
.LBB614_10:
	s_mov_b64 s[8:9], 0
	s_branch .LBB614_2
.LBB614_11:
	s_mov_b32 s21, s2
.LBB614_12:
	s_load_dwordx4 s[16:19], s[0:1], 0x48
	v_cmp_ne_u32_e32 vcc, 3, v71
	s_mov_b32 s29, 0
	v_mov_b32_e32 v73, 1.0
	v_mov_b32_e32 v51, 0
	v_mov_b32_e32 v66, 0
	;; [unrolled: 1-line block ×5, first 2 shown]
	s_and_saveexec_b64 s[30:31], vcc
	s_cbranch_execz .LBB614_14
; %bb.13:
	s_load_dwordx2 s[34:35], s[0:1], 0x0
	s_waitcnt lgkmcnt(0)
	s_ashr_i32 s19, s16, 31
	s_mul_hi_u32 s28, s21, s16
	s_mul_i32 s19, s21, s19
	s_add_i32 s37, s28, s19
	s_mul_i32 s36, s21, s16
	s_lshl_b64 s[36:37], s[36:37], 1
	s_add_u32 s16, s34, s36
	s_mul_i32 s28, s4, 0x180
	s_addc_u32 s19, s35, s37
	s_lshl_b64 s[34:35], s[28:29], 1
	v_lshlrev_b32_e32 v3, 2, v1
	s_add_u32 s34, s16, s34
	v_and_b32_e32 v3, 0xf0, v3
	s_addc_u32 s35, s19, s35
	v_lshl_or_b32 v3, v71, 8, v3
	global_load_dwordx4 v[66:69], v3, s[34:35]
	v_mov_b32_e32 v73, 0
.LBB614_14:
	s_or_b64 exec, exec, s[30:31]
	s_waitcnt lgkmcnt(0)
	s_mul_i32 s28, s4, s18
	s_lshl_b64 s[18:19], s[28:29], 1
	s_add_u32 s8, s18, s8
	s_waitcnt vmcnt(4)
	v_mad_i64_i32 v[2:3], s[30:31], v2, s17, 0
	s_addc_u32 s9, s19, s9
	v_and_b32_e32 v8, 15, v0
	v_lshl_add_u64 v[2:3], v[2:3], 1, s[8:9]
	v_lshlrev_b32_e32 v50, 4, v8
	v_lshl_add_u64 v[2:3], v[2:3], 0, v[50:51]
	global_load_dwordx4 v[8:11], v[2:3], off
	global_load_dwordx4 v[12:15], v[2:3], off offset:256
	global_load_dwordx4 v[16:19], v[2:3], off offset:512
	;; [unrolled: 1-line block ×15, first 2 shown]
	s_waitcnt vmcnt(19)
	v_mul_hi_i32 v48, v4, s17
	s_waitcnt vmcnt(18)
	v_mul_hi_i32 v50, v5, s17
	;; [unrolled: 2-line block ×4, first 2 shown]
	v_ashrrev_i32_e32 v93, 31, v48
	v_ashrrev_i32_e32 v48, 31, v50
	;; [unrolled: 1-line block ×4, first 2 shown]
	v_mov_b32_e32 v49, v51
	v_mov_b32_e32 v65, v51
	;; [unrolled: 1-line block ×3, first 2 shown]
	v_lshrrev_b32_e32 v48, 29, v48
	v_lshrrev_b32_e32 v64, 29, v50
	;; [unrolled: 1-line block ×3, first 2 shown]
	v_mad_i64_i32 v[2:3], s[8:9], v5, s17, v[48:49]
	v_mad_i64_i32 v[48:49], s[8:9], v6, s17, v[64:65]
	;; [unrolled: 1-line block ×3, first 2 shown]
	s_add_u32 s8, s10, s18
	v_lshrrev_b32_e32 v50, 29, v93
	s_addc_u32 s9, s11, s19
	v_mad_i64_i32 v[4:5], s[10:11], v4, s17, v[50:51]
	v_lshlrev_b64 v[2:3], 1, v[2:3]
	v_lshlrev_b64 v[6:7], 1, v[6:7]
	v_lshlrev_b64 v[64:65], 1, v[4:5]
	v_and_b32_e32 v2, -16, v2
	v_and_b32_e32 v6, -16, v6
	;; [unrolled: 1-line block ×3, first 2 shown]
	v_lshlrev_b32_e32 v50, 5, v1
	v_lshl_add_u64 v[2:3], s[8:9], 0, v[2:3]
	v_lshl_add_u64 v[6:7], s[8:9], 0, v[6:7]
	;; [unrolled: 1-line block ×4, first 2 shown]
	s_load_dword s0, s[0:1], 0x1c
	v_cmp_eq_u32_e32 vcc, 0, v71
	v_and_b32_e32 v91, -4, v72
	v_or_b32_e32 v72, 3, v72
	v_cndmask_b32_e64 v88, 0, 1.0, vcc
	v_cmp_eq_u32_e32 vcc, 1, v71
	v_cmp_gt_i32_e64 s[10:11], s3, v72
	v_lshlrev_b32_e32 v92, 2, v0
	v_cndmask_b32_e64 v89, 0, 1.0, vcc
	v_cmp_eq_u32_e32 vcc, 2, v71
	s_waitcnt vmcnt(15)
	v_mfma_f32_4x4x4_16b_bf16 a[0:3], v[66:67], v[8:9], 0 cbsz:4
	v_lshlrev_b64 v[8:9], 1, v[48:49]
	s_nop 0
	v_mfma_f32_4x4x4_16b_bf16 a[0:3], v[68:69], v[10:11], a[0:3] cbsz:4
	v_and_b32_e32 v8, -16, v8
	v_lshl_add_u64 v[8:9], s[8:9], 0, v[8:9]
	s_waitcnt vmcnt(14)
	v_mfma_f32_4x4x4_16b_bf16 a[0:3], v[66:67], v[12:13], a[0:3] cbsz:4 abid:1
	v_cndmask_b32_e64 v90, 0, 1.0, vcc
	v_cmp_gt_i32_e32 vcc, s3, v91
	v_mfma_f32_4x4x4_16b_bf16 a[0:3], v[68:69], v[14:15], a[0:3] cbsz:4 abid:1
	s_waitcnt vmcnt(13)
	s_nop 0
	v_mfma_f32_4x4x4_16b_bf16 a[0:3], v[66:67], v[16:17], a[0:3] cbsz:4 abid:2
	s_nop 1
	v_mfma_f32_4x4x4_16b_bf16 a[0:3], v[68:69], v[18:19], a[0:3] cbsz:4 abid:2
	v_lshl_add_u64 v[18:19], v[8:9], 0, v[50:51]
	s_waitcnt vmcnt(12)
	v_mfma_f32_4x4x4_16b_bf16 a[0:3], v[66:67], v[20:21], a[0:3] cbsz:4 abid:3
	s_nop 1
	v_mfma_f32_4x4x4_16b_bf16 a[0:3], v[68:69], v[22:23], a[0:3] cbsz:4 abid:3
	s_waitcnt vmcnt(11)
	s_nop 0
	v_mfma_f32_4x4x4_16b_bf16 a[0:3], v[66:67], v[24:25], a[0:3] cbsz:4 abid:4
	global_load_dwordx4 v[10:13], v[2:3], off
	global_load_dwordx4 v[22:25], v[2:3], off offset:16
	v_mfma_f32_4x4x4_16b_bf16 a[0:3], v[68:69], v[26:27], a[0:3] cbsz:4 abid:4
	global_load_dwordx4 v[6:9], v[2:3], off offset:2048
	global_load_dwordx4 v[14:17], v[2:3], off offset:2064
	s_waitcnt vmcnt(14)
	v_mfma_f32_4x4x4_16b_bf16 a[0:3], v[66:67], v[28:29], a[0:3] cbsz:4 abid:5
	s_nop 1
	v_mfma_f32_4x4x4_16b_bf16 a[0:3], v[68:69], v[30:31], a[0:3] cbsz:4 abid:5
	s_waitcnt vmcnt(13)
	s_nop 0
	v_mfma_f32_4x4x4_16b_bf16 a[0:3], v[66:67], v[32:33], a[0:3] cbsz:4 abid:6
	s_nop 1
	v_mfma_f32_4x4x4_16b_bf16 a[0:3], v[68:69], v[34:35], a[0:3] cbsz:4 abid:6
	s_waitcnt vmcnt(12)
	s_nop 0
	;; [unrolled: 5-line block ×3, first 2 shown]
	v_mfma_f32_4x4x4_16b_bf16 a[0:3], v[66:67], v[40:41], a[0:3] cbsz:4 abid:8
	global_load_dwordx4 v[38:41], v[18:19], off
	global_load_dwordx4 v[2:5], v[18:19], off offset:16
	v_mfma_f32_4x4x4_16b_bf16 a[0:3], v[68:69], v[42:43], a[0:3] cbsz:4 abid:8
	global_load_dwordx4 v[30:33], v[18:19], off offset:2048
	global_load_dwordx4 v[34:37], v[18:19], off offset:2064
	s_waitcnt vmcnt(14)
	v_mfma_f32_4x4x4_16b_bf16 a[0:3], v[66:67], v[44:45], a[0:3] cbsz:4 abid:9
	global_load_dwordx4 v[18:21], v[86:87], off
	global_load_dwordx4 v[26:29], v[86:87], off offset:16
	v_mfma_f32_4x4x4_16b_bf16 a[0:3], v[68:69], v[46:47], a[0:3] cbsz:4 abid:9
	global_load_dwordx4 v[42:45], v[86:87], off offset:2048
	global_load_dwordx4 v[46:49], v[86:87], off offset:2064
	s_waitcnt vmcnt(17)
	v_mfma_f32_4x4x4_16b_bf16 a[0:3], v[66:67], v[52:53], a[0:3] cbsz:4 abid:10
	v_lshl_add_u64 v[52:53], s[8:9], 0, v[64:65]
	s_nop 0
	v_mfma_f32_4x4x4_16b_bf16 a[0:3], v[68:69], v[54:55], a[0:3] cbsz:4 abid:10
	s_waitcnt vmcnt(16)
	s_nop 0
	v_mfma_f32_4x4x4_16b_bf16 a[0:3], v[66:67], v[56:57], a[0:3] cbsz:4 abid:11
	s_nop 1
	v_mfma_f32_4x4x4_16b_bf16 a[0:3], v[68:69], v[58:59], a[0:3] cbsz:4 abid:11
	s_waitcnt vmcnt(15)
	s_nop 0
	v_mfma_f32_4x4x4_16b_bf16 a[0:3], v[66:67], v[60:61], a[0:3] cbsz:4 abid:12
	;; [unrolled: 5-line block ×3, first 2 shown]
	v_lshl_add_u64 v[74:75], v[52:53], 0, v[50:51]
	global_load_dwordx4 v[50:53], v[74:75], off
	global_load_dwordx4 v[54:57], v[74:75], off offset:16
	global_load_dwordx4 v[62:65], v[74:75], off offset:2048
	;; [unrolled: 1-line block ×3, first 2 shown]
	v_mfma_f32_4x4x4_16b_bf16 a[0:3], v[68:69], v[76:77], a[0:3] cbsz:4 abid:13
	v_mov_b32_e32 v74, 0xff7fffff
	v_and_or_b32 v75, v92, 48, v71
	s_waitcnt vmcnt(17)
	v_mfma_f32_4x4x4_16b_bf16 a[0:3], v[66:67], v[78:79], a[0:3] cbsz:4 abid:14
	v_lshlrev_b32_e32 v75, 2, v75
	s_nop 0
	v_mfma_f32_4x4x4_16b_bf16 a[0:3], v[68:69], v[80:81], a[0:3] cbsz:4 abid:14
	s_waitcnt vmcnt(16)
	s_nop 0
	v_mfma_f32_4x4x4_16b_bf16 a[0:3], v[66:67], v[82:83], a[0:3] cbsz:4 abid:15
	s_nop 1
	v_mfma_f32_4x4x4_16b_bf16 a[0:3], v[68:69], v[84:85], a[0:3] cbsz:4 abid:15
	s_nop 4
	v_accvgpr_read_b32 v67, a1
	v_accvgpr_read_b32 v66, a0
	s_waitcnt lgkmcnt(0)
	v_pk_mul_f32 v[66:67], s[0:1], v[66:67] op_sel_hi:[0,1]
	v_accvgpr_read_b32 v69, a3
	v_accvgpr_read_b32 v68, a2
	v_pk_mul_f32 v[68:69], s[0:1], v[68:69] op_sel_hi:[0,1]
	v_mfma_f32_4x4x1_16b_f32 a[0:3], v66, v88, 0
	v_or_b32_e32 v66, 1, v91
	s_nop 0
	v_mfma_f32_4x4x1_16b_f32 a[0:3], v67, v89, a[0:3]
	v_cmp_gt_i32_e64 s[0:1], s3, v66
	v_or_b32_e32 v67, 2, v91
	v_mfma_f32_4x4x1_16b_f32 a[0:3], v68, v90, a[0:3]
	v_cmp_gt_i32_e64 s[8:9], s3, v67
	s_nop 0
	v_mfma_f32_4x4x1_16b_f32 a[0:3], v69, v73, a[0:3]
	s_nop 3
	v_accvgpr_read_b32 v68, a0
	v_max_f32_e32 v77, v68, v68
	v_accvgpr_read_b32 v69, a1
	v_max_f32_e32 v77, 0xff7fffff, v77
	v_max_f32_e32 v78, v69, v69
	v_cndmask_b32_e32 v74, v74, v77, vcc
	v_accvgpr_read_b32 v73, a2
	v_max_f32_e32 v77, v74, v78
	v_max_f32_e32 v79, v73, v73
	v_cndmask_b32_e64 v66, v74, v77, s[0:1]
	v_accvgpr_read_b32 v76, a3
	v_max_f32_e32 v74, v66, v79
	v_max_f32_e32 v80, v76, v76
	v_cndmask_b32_e64 v66, v66, v74, s[8:9]
	v_max_f32_e32 v67, v66, v80
	v_cndmask_b32_e64 v66, v66, v67, s[10:11]
	;;#ASMSTART
	v_nop
 v_nop
 v_max_f32_dpp v66, v66, v66 row_ror:4
	;;#ASMEND
	s_nop 0
	;;#ASMSTART
	v_nop
 v_nop
 v_max_f32_dpp v66, v66, v66 row_ror:8
	;;#ASMEND
	ds_bpermute_b32 v66, v75, v66
	s_waitcnt lgkmcnt(0)
	;;#ASMSTART
	v_nop
 v_nop
 v_max_f32_dpp v66, v66, v66 row_ror:4
	;;#ASMEND
	s_nop 0
	;;#ASMSTART
	v_nop
 v_nop
 v_max_f32_dpp v72, v66, v66 row_ror:8
	;;#ASMEND
	s_nop 0
	v_sub_f32_e32 v66, v68, v72
	v_sub_f32_e32 v67, v69, v72
	;; [unrolled: 1-line block ×3, first 2 shown]
	v_mul_f32_e32 v66, 0x3fb8aa3b, v66
	v_mul_f32_e32 v67, 0x3fb8aa3b, v67
	;; [unrolled: 1-line block ×3, first 2 shown]
	v_exp_f32_e32 v66, v66
	v_sub_f32_e32 v69, v76, v72
	v_exp_f32_e32 v67, v67
	v_exp_f32_e32 v73, v68
	v_mul_f32_e32 v69, 0x3fb8aa3b, v69
	v_exp_f32_e32 v74, v69
	v_cndmask_b32_e32 v68, 0, v66, vcc
	v_cndmask_b32_e64 v69, 0, v67, s[0:1]
	v_cndmask_b32_e64 v66, 0, v73, s[8:9]
	v_add_f32_e32 v73, 0, v68
	v_add_f32_e32 v73, v73, v69
	v_cndmask_b32_e64 v67, 0, v74, s[10:11]
	v_add_f32_e32 v73, v73, v66
	v_add_f32_e32 v73, v73, v67
	;;#ASMSTART
	v_nop
 v_nop
 v_add_f32_dpp v73, v73, v73 row_ror:4
	;;#ASMEND
	v_cmp_gt_u32_e32 vcc, 4, v1
	;;#ASMSTART
	v_nop
 v_nop
 v_add_f32_dpp v73, v73, v73 row_ror:8
	;;#ASMEND
	ds_bpermute_b32 v73, v75, v73
	s_waitcnt lgkmcnt(0)
	;;#ASMSTART
	v_nop
 v_nop
 v_add_f32_dpp v73, v73, v73 row_ror:4
	;;#ASMEND
	s_nop 0
	;;#ASMSTART
	v_nop
 v_nop
 v_add_f32_dpp v73, v73, v73 row_ror:8
	;;#ASMEND
	s_and_saveexec_b64 s[0:1], vcc
	s_cbranch_execz .LBB614_16
; %bb.15:
	v_mul_u32_u24_e32 v74, 20, v70
	v_lshl_add_u32 v74, v71, 2, v74
	v_add_u32_e32 v74, 0x1400, v74
	ds_write2_b32 v74, v72, v73 offset1:20
.LBB614_16:
	s_or_b64 exec, exec, s[0:1]
.LBB614_17:
	s_or_b64 exec, exec, s[26:27]
	s_waitcnt lgkmcnt(0)
	s_barrier
	s_load_dword s0, s[24:25], 0x8
	v_lshlrev_b32_e32 v73, 2, v71
	v_add_u32_e32 v73, 0x1400, v73
	ds_read2_b32 v[76:77], v73 offset1:5
	ds_read2_b32 v[78:79], v73 offset0:10 offset1:15
	s_mul_i32 s1, s2, s5
	s_waitcnt lgkmcnt(0)
	s_mul_i32 s0, s1, s0
	s_mov_b32 s1, 0xff7fffff
	v_max3_f32 v74, v76, s1, v77
	v_max3_f32 v74, v74, v78, v79
	v_sub_f32_e32 v75, v76, v74
	v_sub_f32_e32 v76, v77, v74
	ds_read2_b32 v[80:81], v73 offset0:20 offset1:25
	v_mul_f32_e32 v75, 0x3fb8aa3b, v75
	v_mul_f32_e32 v76, 0x3fb8aa3b, v76
	v_exp_f32_e32 v75, v75
	v_exp_f32_e32 v82, v76
	ds_read2_b32 v[76:77], v73 offset0:30 offset1:35
	v_sub_f32_e32 v73, v78, v74
	v_mul_f32_e32 v73, 0x3fb8aa3b, v73
	v_sub_f32_e32 v78, v79, v74
	v_exp_f32_e32 v73, v73
	v_mul_f32_e32 v78, 0x3fb8aa3b, v78
	v_exp_f32_e32 v78, v78
	s_waitcnt lgkmcnt(1)
	v_fma_f32 v75, v75, v80, 0
	v_fmac_f32_e32 v75, v82, v81
	s_waitcnt lgkmcnt(0)
	v_fmac_f32_e32 v75, v73, v76
	s_mul_i32 s4, s4, 3
	s_mul_i32 s0, s0, 3
	v_fmac_f32_e32 v75, v78, v77
	v_cmp_ne_u32_e32 vcc, 3, v71
	s_and_saveexec_b64 s[2:3], vcc
	s_cbranch_execz .LBB614_19
; %bb.18:
	s_mov_b32 s1, 0
	s_lshl_b64 s[8:9], s[0:1], 2
	s_add_u32 s12, s12, s8
	s_mov_b32 s21, s1
	s_addc_u32 s13, s13, s9
	s_lshl_b64 s[10:11], s[20:21], 2
	s_add_u32 s12, s12, s10
	s_addc_u32 s13, s13, s11
	s_add_u32 s1, s14, s8
	s_addc_u32 s9, s15, s9
	v_add_u32_e32 v71, s4, v71
	s_add_u32 s8, s1, s10
	v_mul_lo_u32 v76, s5, v71
	v_mov_b32_e32 v77, 0
	s_addc_u32 s9, s9, s11
	v_lshlrev_b64 v[76:77], 2, v[76:77]
	v_lshl_add_u64 v[78:79], s[12:13], 0, v[76:77]
	v_lshl_add_u64 v[76:77], s[8:9], 0, v[76:77]
	global_store_dword v[76:77], v74, off
	global_store_dword v[78:79], v75, off
.LBB614_19:
	s_or_b64 exec, exec, s[2:3]
	v_lshlrev_b32_e32 v73, 3, v70
                                        ; implicit-def: $sgpr1
	s_and_saveexec_b64 s[2:3], s[6:7]
	s_xor_b64 s[2:3], exec, s[2:3]
	s_cbranch_execz .LBB614_21
; %bb.20:
	s_waitcnt vmcnt(10)
	v_mov_b32_e32 v2, 0
	v_mad_u32_u24 v4, v1, 40, v73
	s_mov_b32 s1, 0
	v_mov_b32_e32 v3, v2
	ds_write_b64 v4, v[2:3]
                                        ; implicit-def: $vgpr67
                                        ; implicit-def: $vgpr69
                                        ; implicit-def: $vgpr51
                                        ; implicit-def: $vgpr55
                                        ; implicit-def: $vgpr11
                                        ; implicit-def: $vgpr23
                                        ; implicit-def: $vgpr39
                                        ; implicit-def: $vgpr3
                                        ; implicit-def: $vgpr19
                                        ; implicit-def: $vgpr27
                                        ; implicit-def: $vgpr63
                                        ; implicit-def: $vgpr59
                                        ; implicit-def: $vgpr7
                                        ; implicit-def: $vgpr15
                                        ; implicit-def: $vgpr31
                                        ; implicit-def: $vgpr35
                                        ; implicit-def: $vgpr43
                                        ; implicit-def: $vgpr47
                                        ; implicit-def: $vgpr72
                                        ; implicit-def: $vgpr74
                                        ; implicit-def: $vgpr75
.LBB614_21:
	s_or_saveexec_b64 s[2:3], s[2:3]
	v_mov_b32_e32 v70, s1
	v_mov_b32_e32 v71, s1
	s_xor_b64 exec, exec, s[2:3]
	s_cbranch_execz .LBB614_23
; %bb.22:
	v_add_f32_e32 v70, 0x358637bd, v75
	v_div_scale_f32 v71, s[6:7], v70, v70, 1.0
	v_rcp_f32_e32 v75, v71
	v_sub_f32_e32 v72, v72, v74
	v_mul_f32_e32 v72, 0x3fb8aa3b, v72
	v_exp_f32_e32 v72, v72
	v_fma_f32 v74, -v71, v75, 1.0
	v_fmac_f32_e32 v75, v74, v75
	v_div_scale_f32 v74, vcc, 1.0, v70, 1.0
	v_mul_f32_e32 v76, v74, v75
	v_fma_f32 v77, -v71, v76, v74
	v_fmac_f32_e32 v76, v77, v75
	v_fma_f32 v71, -v71, v76, v74
	v_div_fmas_f32 v71, v71, v75, v76
	v_div_fixup_f32 v70, v71, v70, 1.0
	v_mul_f32_e32 v70, v72, v70
	v_pk_mul_f32 v[68:69], v[68:69], v[70:71] op_sel_hi:[1,0]
	v_pk_mul_f32 v[66:67], v[66:67], v[70:71] op_sel_hi:[1,0]
	v_bfe_u32 v70, v69, 16, 1
	v_bfe_u32 v71, v68, 16, 1
	s_movk_i32 s1, 0x7fff
	v_add3_u32 v68, v68, v71, s1
	v_add3_u32 v69, v69, v70, s1
	s_mov_b32 s6, 0x7060302
	v_perm_b32 v68, v69, v68, s6
	v_bfe_u32 v69, v67, 16, 1
	v_bfe_u32 v70, v66, 16, 1
	v_add3_u32 v66, v66, v70, s1
	v_add3_u32 v67, v67, v69, s1
	v_perm_b32 v69, v67, v66, s6
	s_waitcnt vmcnt(3)
	s_nop 0
	v_mfma_f32_4x4x4_16b_bf16 a[0:3], v[68:69], v[50:51], 0 cbsz:4
	s_nop 1
	v_mfma_f32_4x4x4_16b_bf16 a[0:3], v[68:69], v[52:53], a[0:3] cbsz:4 abid:1
	s_waitcnt vmcnt(1)
	v_mfma_f32_4x4x4_16b_bf16 a[4:7], v[68:69], v[62:63], 0 cbsz:4
	v_mfma_f32_4x4x4_16b_bf16 a[0:3], v[68:69], v[54:55], a[0:3] cbsz:4 abid:2
	s_nop 0
	v_mfma_f32_4x4x4_16b_bf16 a[4:7], v[68:69], v[64:65], a[4:7] cbsz:4 abid:1
	v_mfma_f32_4x4x4_16b_bf16 a[0:3], v[68:69], v[56:57], a[0:3] cbsz:4 abid:3
	s_waitcnt vmcnt(0)
	v_mfma_f32_4x4x4_16b_bf16 a[4:7], v[68:69], v[58:59], a[4:7] cbsz:4 abid:2
	v_mfma_f32_4x4x4_16b_bf16 a[0:3], v[68:69], v[10:11], a[0:3] cbsz:4 abid:4
	s_nop 1
	v_mfma_f32_4x4x4_16b_bf16 a[0:3], v[68:69], v[12:13], a[0:3] cbsz:4 abid:5
	s_nop 1
	;; [unrolled: 2-line block ×12, first 2 shown]
	v_accvgpr_read_b32 v3, a2
	v_accvgpr_read_b32 v4, a3
	;; [unrolled: 1-line block ×4, first 2 shown]
	v_mfma_f32_4x4x4_16b_bf16 a[0:3], v[68:69], v[60:61], a[4:7] cbsz:4 abid:3
	v_bfe_u32 v10, v5, 16, 1
	v_add3_u32 v5, v5, v10, s1
	v_mfma_f32_4x4x4_16b_bf16 a[0:3], v[68:69], v[6:7], a[0:3] cbsz:4 abid:4
	v_bfe_u32 v6, v2, 16, 1
	v_add3_u32 v2, v2, v6, s1
	v_mfma_f32_4x4x4_16b_bf16 a[0:3], v[68:69], v[8:9], a[0:3] cbsz:4 abid:5
	v_perm_b32 v2, v5, v2, s6
	v_bfe_u32 v5, v4, 16, 1
	v_mfma_f32_4x4x4_16b_bf16 a[0:3], v[68:69], v[14:15], a[0:3] cbsz:4 abid:6
	v_bfe_u32 v6, v3, 16, 1
	v_add3_u32 v3, v3, v6, s1
	v_mfma_f32_4x4x4_16b_bf16 a[0:3], v[68:69], v[16:17], a[0:3] cbsz:4 abid:7
	v_add3_u32 v4, v4, v5, s1
	v_perm_b32 v3, v4, v3, s6
	v_mfma_f32_4x4x4_16b_bf16 a[0:3], v[68:69], v[30:31], a[0:3] cbsz:4 abid:8
	v_mad_u32_u24 v4, v1, 40, v73
	ds_write_b64 v4, v[2:3]
	v_mfma_f32_4x4x4_16b_bf16 a[0:3], v[68:69], v[32:33], a[0:3] cbsz:4 abid:9
	s_nop 1
	v_mfma_f32_4x4x4_16b_bf16 a[0:3], v[68:69], v[34:35], a[0:3] cbsz:4 abid:10
	s_nop 1
	;; [unrolled: 2-line block ×7, first 2 shown]
	v_accvgpr_read_b32 v4, a0
	v_accvgpr_read_b32 v5, a1
	;; [unrolled: 1-line block ×4, first 2 shown]
	v_bfe_u32 v6, v5, 16, 1
	v_bfe_u32 v7, v4, 16, 1
	v_add3_u32 v4, v4, v7, s1
	v_add3_u32 v5, v5, v6, s1
	v_bfe_u32 v6, v3, 16, 1
	v_bfe_u32 v7, v2, 16, 1
	v_add3_u32 v2, v2, v7, s1
	v_add3_u32 v3, v3, v6, s1
	v_perm_b32 v71, v3, v2, s6
	v_perm_b32 v70, v5, v4, s6
.LBB614_23:
	s_or_b64 exec, exec, s[2:3]
	s_waitcnt vmcnt(10)
	v_mad_u32_u24 v2, v1, 40, v73
	v_cmp_gt_u32_e32 vcc, 64, v0
	ds_write_b64 v2, v[70:71] offset:2560
	s_waitcnt lgkmcnt(0)
	s_barrier
	s_and_saveexec_b64 s[2:3], vcc
	s_cbranch_execz .LBB614_25
; %bb.24:
	v_mul_u32_u24_e32 v6, 40, v1
	ds_read2_b64 v[2:5], v6 offset1:1
	ds_read2_b64 v[6:9], v6 offset0:2 offset1:3
	s_mov_b32 s1, 0
	s_lshl_b32 s0, s0, 7
	s_lshl_b64 s[2:3], s[0:1], 1
	s_waitcnt lgkmcnt(1)
	v_and_b32_e32 v10, 0xffff0000, v2
	v_lshlrev_b32_e32 v3, 16, v3
	v_add_f32_e32 v10, 0, v10
	v_add_f32_e32 v3, 0, v3
	v_and_b32_e32 v10, 0xffff0000, v10
	v_and_b32_e32 v11, 0xffff0000, v4
	;; [unrolled: 1-line block ×3, first 2 shown]
	v_add_f32_e32 v10, v10, v11
	v_lshlrev_b32_e32 v5, 16, v5
	v_and_b32_e32 v10, 0xffff0000, v10
	v_add_f32_e32 v3, v3, v5
	s_waitcnt lgkmcnt(0)
	v_and_b32_e32 v5, 0xffff0000, v6
	v_and_b32_e32 v3, 0xffff0000, v3
	v_add_f32_e32 v5, v10, v5
	v_lshlrev_b32_e32 v7, 16, v7
	v_and_b32_e32 v5, 0xffff0000, v5
	v_add_f32_e32 v3, v3, v7
	v_and_b32_e32 v7, 0xffff0000, v8
	s_waitcnt vmcnt(7)
	v_add_f32_e32 v18, v5, v7
	v_mov_b32_e32 v7, 0xa00
	v_mad_u32_u24 v7, v1, 40, v7
	ds_read2_b64 v[10:13], v7 offset1:1
	v_and_b32_e32 v3, 0xffff0000, v3
	v_lshlrev_b32_e32 v5, 16, v9
	v_add_f32_e32 v9, v3, v5
	v_mov_b32_e32 v3, 0xa10
	v_mad_u32_u24 v1, v1, 40, v3
	ds_read2_b64 v[14:17], v1 offset1:1
	s_waitcnt lgkmcnt(1)
	v_lshlrev_b32_e32 v1, 16, v10
	v_add_f32_e32 v1, 0, v1
	v_and_b32_e32 v3, 0xffff0000, v10
	v_and_b32_e32 v1, 0xffff0000, v1
	v_add_f32_e32 v3, 0, v3
	v_lshlrev_b32_e32 v5, 16, v11
	v_lshlrev_b32_e32 v7, 16, v12
	v_and_b32_e32 v3, 0xffff0000, v3
	v_add_f32_e32 v5, 0, v5
	v_add_f32_e32 v1, v1, v7
	v_and_b32_e32 v7, 0xffff0000, v12
	v_and_b32_e32 v5, 0xffff0000, v5
	v_add_f32_e32 v3, v3, v7
	v_lshlrev_b32_e32 v7, 16, v13
	v_and_b32_e32 v1, 0xffff0000, v1
	v_add_f32_e32 v5, v5, v7
	s_waitcnt lgkmcnt(0)
	v_lshlrev_b32_e32 v7, 16, v14
	v_and_b32_e32 v3, 0xffff0000, v3
	v_add_f32_e32 v1, v1, v7
	v_and_b32_e32 v7, 0xffff0000, v14
	v_and_b32_e32 v5, 0xffff0000, v5
	v_add_f32_e32 v3, v3, v7
	v_lshlrev_b32_e32 v7, 16, v15
	v_and_b32_e32 v1, 0xffff0000, v1
	v_add_f32_e32 v5, v5, v7
	v_lshlrev_b32_e32 v7, 16, v16
	v_and_b32_e32 v3, 0xffff0000, v3
	v_add_f32_e32 v10, v1, v7
	v_and_b32_e32 v1, 0xffff0000, v16
	v_and_b32_e32 v5, 0xffff0000, v5
	v_add_f32_e32 v11, v3, v1
	v_lshlrev_b32_e32 v1, 16, v17
	v_add_f32_e32 v12, v5, v1
	v_lshlrev_b32_e32 v1, 16, v2
	s_add_u32 s2, s22, s2
	v_add_f32_e32 v1, 0, v1
	s_addc_u32 s3, s23, s3
	s_lshl_b32 s0, s20, 7
	v_and_b32_e32 v1, 0xffff0000, v1
	v_lshlrev_b32_e32 v2, 16, v4
	s_lshl_b64 s[0:1], s[0:1], 1
	v_add_f32_e32 v1, v1, v2
	s_add_u32 s0, s2, s0
	v_and_b32_e32 v1, 0xffff0000, v1
	v_lshlrev_b32_e32 v2, 16, v6
	s_addc_u32 s1, s3, s1
	s_lshl_b32 s2, s5, 7
	v_add_f32_e32 v1, v1, v2
	v_and_b32_e32 v1, 0xffff0000, v1
	v_lshlrev_b32_e32 v2, 16, v8
	s_mul_i32 s3, s2, s4
	v_add_f32_e32 v1, v1, v2
	v_or_b32_e32 v2, s3, v0
	v_mov_b32_e32 v3, 0
	s_add_i32 s3, s3, s2
	v_lshl_add_u64 v[4:5], v[2:3], 1, s[0:1]
	v_or_b32_e32 v2, s3, v0
	s_add_i32 s3, s3, s2
	v_lshl_add_u64 v[6:7], v[2:3], 1, s[0:1]
	v_or_b32_e32 v2, s3, v0
	global_store_short_d16_hi v[4:5], v1, off
	v_lshl_add_u64 v[0:1], v[2:3], 1, s[0:1]
	global_store_short_d16_hi v[6:7], v18, off
	global_store_short_d16_hi v[0:1], v9, off
	global_store_short_d16_hi v[4:5], v10, off offset:128
	global_store_short_d16_hi v[6:7], v11, off offset:128
	;; [unrolled: 1-line block ×3, first 2 shown]
.LBB614_25:
	s_endpgm
	.section	.rodata,"a",@progbits
	.p2align	6, 0x0
	.amdhsa_kernel _Z38paged_attention_ll4mi_QKV_mfma4_kernelI14__hip_bfloat16S0_LN4vllm18Fp8KVCacheDataTypeE0EhLi16ELi128ELi256ELb0ELi3EEvPKT_PKT0_S8_ifPKiSA_SA_iPKfiiiPfSD_PS3_PT2_iSC_SC_
		.amdhsa_group_segment_fixed_size 5280
		.amdhsa_private_segment_fixed_size 0
		.amdhsa_kernarg_size 400
		.amdhsa_user_sgpr_count 2
		.amdhsa_user_sgpr_dispatch_ptr 0
		.amdhsa_user_sgpr_queue_ptr 0
		.amdhsa_user_sgpr_kernarg_segment_ptr 1
		.amdhsa_user_sgpr_dispatch_id 0
		.amdhsa_user_sgpr_kernarg_preload_length 0
		.amdhsa_user_sgpr_kernarg_preload_offset 0
		.amdhsa_user_sgpr_private_segment_size 0
		.amdhsa_uses_dynamic_stack 0
		.amdhsa_enable_private_segment 0
		.amdhsa_system_sgpr_workgroup_id_x 1
		.amdhsa_system_sgpr_workgroup_id_y 1
		.amdhsa_system_sgpr_workgroup_id_z 1
		.amdhsa_system_sgpr_workgroup_info 0
		.amdhsa_system_vgpr_workitem_id 0
		.amdhsa_next_free_vgpr 104
		.amdhsa_next_free_sgpr 38
		.amdhsa_accum_offset 96
		.amdhsa_reserve_vcc 1
		.amdhsa_float_round_mode_32 0
		.amdhsa_float_round_mode_16_64 0
		.amdhsa_float_denorm_mode_32 3
		.amdhsa_float_denorm_mode_16_64 3
		.amdhsa_dx10_clamp 1
		.amdhsa_ieee_mode 1
		.amdhsa_fp16_overflow 0
		.amdhsa_tg_split 0
		.amdhsa_exception_fp_ieee_invalid_op 0
		.amdhsa_exception_fp_denorm_src 0
		.amdhsa_exception_fp_ieee_div_zero 0
		.amdhsa_exception_fp_ieee_overflow 0
		.amdhsa_exception_fp_ieee_underflow 0
		.amdhsa_exception_fp_ieee_inexact 0
		.amdhsa_exception_int_div_zero 0
	.end_amdhsa_kernel
	.section	.text._Z38paged_attention_ll4mi_QKV_mfma4_kernelI14__hip_bfloat16S0_LN4vllm18Fp8KVCacheDataTypeE0EhLi16ELi128ELi256ELb0ELi3EEvPKT_PKT0_S8_ifPKiSA_SA_iPKfiiiPfSD_PS3_PT2_iSC_SC_,"axG",@progbits,_Z38paged_attention_ll4mi_QKV_mfma4_kernelI14__hip_bfloat16S0_LN4vllm18Fp8KVCacheDataTypeE0EhLi16ELi128ELi256ELb0ELi3EEvPKT_PKT0_S8_ifPKiSA_SA_iPKfiiiPfSD_PS3_PT2_iSC_SC_,comdat
.Lfunc_end614:
	.size	_Z38paged_attention_ll4mi_QKV_mfma4_kernelI14__hip_bfloat16S0_LN4vllm18Fp8KVCacheDataTypeE0EhLi16ELi128ELi256ELb0ELi3EEvPKT_PKT0_S8_ifPKiSA_SA_iPKfiiiPfSD_PS3_PT2_iSC_SC_, .Lfunc_end614-_Z38paged_attention_ll4mi_QKV_mfma4_kernelI14__hip_bfloat16S0_LN4vllm18Fp8KVCacheDataTypeE0EhLi16ELi128ELi256ELb0ELi3EEvPKT_PKT0_S8_ifPKiSA_SA_iPKfiiiPfSD_PS3_PT2_iSC_SC_
                                        ; -- End function
	.section	.AMDGPU.csdata,"",@progbits
; Kernel info:
; codeLenInByte = 4344
; NumSgprs: 44
; NumVgprs: 94
; NumAgprs: 8
; TotalNumVgprs: 104
; ScratchSize: 0
; MemoryBound: 0
; FloatMode: 240
; IeeeMode: 1
; LDSByteSize: 5280 bytes/workgroup (compile time only)
; SGPRBlocks: 5
; VGPRBlocks: 12
; NumSGPRsForWavesPerEU: 44
; NumVGPRsForWavesPerEU: 104
; AccumOffset: 96
; Occupancy: 4
; WaveLimiterHint : 1
; COMPUTE_PGM_RSRC2:SCRATCH_EN: 0
; COMPUTE_PGM_RSRC2:USER_SGPR: 2
; COMPUTE_PGM_RSRC2:TRAP_HANDLER: 0
; COMPUTE_PGM_RSRC2:TGID_X_EN: 1
; COMPUTE_PGM_RSRC2:TGID_Y_EN: 1
; COMPUTE_PGM_RSRC2:TGID_Z_EN: 1
; COMPUTE_PGM_RSRC2:TIDIG_COMP_CNT: 0
; COMPUTE_PGM_RSRC3_GFX90A:ACCUM_OFFSET: 23
; COMPUTE_PGM_RSRC3_GFX90A:TG_SPLIT: 0
	.section	.text._Z38paged_attention_ll4mi_QKV_mfma4_kernelI14__hip_bfloat16S0_LN4vllm18Fp8KVCacheDataTypeE0EhLi16ELi128ELi256ELb0ELi4EEvPKT_PKT0_S8_ifPKiSA_SA_iPKfiiiPfSD_PS3_PT2_iSC_SC_,"axG",@progbits,_Z38paged_attention_ll4mi_QKV_mfma4_kernelI14__hip_bfloat16S0_LN4vllm18Fp8KVCacheDataTypeE0EhLi16ELi128ELi256ELb0ELi4EEvPKT_PKT0_S8_ifPKiSA_SA_iPKfiiiPfSD_PS3_PT2_iSC_SC_,comdat
	.protected	_Z38paged_attention_ll4mi_QKV_mfma4_kernelI14__hip_bfloat16S0_LN4vllm18Fp8KVCacheDataTypeE0EhLi16ELi128ELi256ELb0ELi4EEvPKT_PKT0_S8_ifPKiSA_SA_iPKfiiiPfSD_PS3_PT2_iSC_SC_ ; -- Begin function _Z38paged_attention_ll4mi_QKV_mfma4_kernelI14__hip_bfloat16S0_LN4vllm18Fp8KVCacheDataTypeE0EhLi16ELi128ELi256ELb0ELi4EEvPKT_PKT0_S8_ifPKiSA_SA_iPKfiiiPfSD_PS3_PT2_iSC_SC_
	.globl	_Z38paged_attention_ll4mi_QKV_mfma4_kernelI14__hip_bfloat16S0_LN4vllm18Fp8KVCacheDataTypeE0EhLi16ELi128ELi256ELb0ELi4EEvPKT_PKT0_S8_ifPKiSA_SA_iPKfiiiPfSD_PS3_PT2_iSC_SC_
	.p2align	8
	.type	_Z38paged_attention_ll4mi_QKV_mfma4_kernelI14__hip_bfloat16S0_LN4vllm18Fp8KVCacheDataTypeE0EhLi16ELi128ELi256ELb0ELi4EEvPKT_PKT0_S8_ifPKiSA_SA_iPKfiiiPfSD_PS3_PT2_iSC_SC_,@function
_Z38paged_attention_ll4mi_QKV_mfma4_kernelI14__hip_bfloat16S0_LN4vllm18Fp8KVCacheDataTypeE0EhLi16ELi128ELi256ELb0ELi4EEvPKT_PKT0_S8_ifPKiSA_SA_iPKfiiiPfSD_PS3_PT2_iSC_SC_: ; @_Z38paged_attention_ll4mi_QKV_mfma4_kernelI14__hip_bfloat16S0_LN4vllm18Fp8KVCacheDataTypeE0EhLi16ELi128ELi256ELb0ELi4EEvPKT_PKT0_S8_ifPKiSA_SA_iPKfiiiPfSD_PS3_PT2_iSC_SC_
; %bb.0:
	s_load_dwordx2 s[8:9], s[0:1], 0x30
	s_mov_b32 s20, s3
	s_mov_b64 s[6:7], 0
	s_waitcnt lgkmcnt(0)
	s_cmp_lg_u64 s[8:9], 0
	s_cselect_b64 s[10:11], -1, 0
	s_and_b64 vcc, exec, s[10:11]
	s_cbranch_vccz .LBB615_20
; %bb.1:
	s_add_i32 s12, s2, 1
	s_mov_b32 s13, 0
	s_lshl_b64 s[14:15], s[12:13], 2
	s_add_u32 s14, s8, s14
	s_mov_b32 s3, s13
	s_addc_u32 s15, s9, s15
	s_lshl_b64 s[12:13], s[2:3], 2
	s_add_u32 s12, s8, s12
	s_addc_u32 s13, s9, s13
	s_load_dword s5, s[14:15], 0x0
	s_load_dword s16, s[12:13], 0x0
	s_mov_b64 s[30:31], s[2:3]
	s_waitcnt lgkmcnt(0)
	s_sub_i32 s5, s5, s16
	s_cmp_eq_u32 s5, 1
	s_cselect_b64 s[12:13], -1, 0
	s_andn2_b64 vcc, exec, s[6:7]
	s_cbranch_vccnz .LBB615_3
.LBB615_2:
	s_mov_b32 s3, 0
	s_mov_b64 s[12:13], -1
	s_mov_b64 s[30:31], s[2:3]
.LBB615_3:
	s_andn2_b64 vcc, exec, s[12:13]
	s_cbranch_vccnz .LBB615_19
; %bb.4:
	s_load_dword s3, s[0:1], 0x9c
	s_load_dwordx2 s[6:7], s[0:1], 0x28
	s_add_u32 s24, s0, 0x90
	s_addc_u32 s25, s1, 0
	s_lshl_b64 s[34:35], s[30:31], 2
	s_waitcnt lgkmcnt(0)
	s_and_b32 s5, s3, 0xffff
	s_add_u32 s6, s6, s34
	s_addc_u32 s7, s7, s35
	s_load_dword s3, s[6:7], 0x0
	s_mul_i32 s16, s20, s5
	s_waitcnt lgkmcnt(0)
	s_cmp_ge_i32 s16, s3
	s_cbranch_scc1 .LBB615_19
; %bb.5:
	v_and_b32_e32 v1, 0xc0, v0
	v_add_u32_e32 v2, s16, v1
	v_lshrrev_b32_e32 v72, 6, v0
	v_cmp_le_i32_e64 s[6:7], s3, v2
                                        ; implicit-def: $sgpr18
                                        ; implicit-def: $sgpr17
	s_and_saveexec_b64 s[12:13], s[6:7]
	s_xor_b64 s[12:13], exec, s[12:13]
	s_cbranch_execz .LBB615_7
; %bb.6:
	v_mul_u32_u24_e32 v1, 20, v72
	v_or_b32_e32 v1, 0x1400, v1
	v_mov_b32_e32 v2, 0x1450
	v_mov_b32_e32 v3, 0xff7fffff
	v_mad_u32_u24 v2, v72, 20, v2
	ds_write2_b32 v1, v3, v3 offset1:1
	v_mov_b32_e32 v1, 0
	ds_write2_b32 v2, v1, v1 offset1:1
	v_mov_b32_e32 v2, 0x1408
	s_mov_b32 s17, 0xff7fffff
	s_mov_b32 s18, 0
	v_mad_u32_u24 v2, v72, 20, v2
	v_mov_b32_e32 v4, 0x1458
	v_mad_u32_u24 v4, v72, 20, v4
	ds_write2_b32 v2, v3, v3 offset1:1
	ds_write2_b32 v4, v1, v1 offset1:1
                                        ; implicit-def: $vgpr2
.LBB615_7:
	s_or_saveexec_b64 s[26:27], s[12:13]
	s_load_dwordx2 s[22:23], s[0:1], 0x68
	s_load_dwordx4 s[12:15], s[0:1], 0x58
	s_load_dword s5, s[24:25], 0x4
	v_and_b32_e32 v1, 63, v0
	v_and_b32_e32 v70, 3, v0
	v_mov_b32_e32 v67, s18
	v_mov_b32_e32 v73, s17
	;; [unrolled: 1-line block ×5, first 2 shown]
                                        ; implicit-def: $vgpr51
                                        ; implicit-def: $vgpr55
                                        ; implicit-def: $vgpr11
                                        ; implicit-def: $vgpr23
                                        ; implicit-def: $vgpr39
                                        ; implicit-def: $vgpr3
                                        ; implicit-def: $vgpr19
                                        ; implicit-def: $vgpr27
                                        ; implicit-def: $vgpr63
                                        ; implicit-def: $vgpr59
                                        ; implicit-def: $vgpr7
                                        ; implicit-def: $vgpr15
                                        ; implicit-def: $vgpr31
                                        ; implicit-def: $vgpr35
                                        ; implicit-def: $vgpr43
                                        ; implicit-def: $vgpr47
	s_xor_b64 exec, exec, s[26:27]
	s_cbranch_execz .LBB615_13
; %bb.8:
	s_add_i32 s21, s3, 15
	s_load_dwordx2 s[18:19], s[0:1], 0x20
	s_load_dword s17, s[0:1], 0x38
	s_ashr_i32 s28, s21, 31
	s_lshr_b32 s28, s28, 28
	v_add_u32_e32 v66, s16, v0
	s_add_i32 s21, s21, s28
	v_ashrrev_i32_e32 v3, 31, v66
	s_ashr_i32 s21, s21, 4
	v_lshrrev_b32_e32 v3, 28, v3
	s_add_i32 s21, s21, -1
	v_add_u32_e32 v3, v66, v3
	s_waitcnt lgkmcnt(0)
	s_mul_i32 s36, s2, s17
	s_mov_b32 s37, 0
	v_ashrrev_i32_e32 v3, 4, v3
	v_mov_b32_e32 v4, s21
	v_cmp_gt_i32_e32 vcc, s3, v66
	s_lshl_b64 s[28:29], s[36:37], 2
	s_add_u32 s18, s18, s28
	v_cndmask_b32_e32 v4, v4, v3, vcc
	v_ashrrev_i32_e32 v3, 31, v2
	v_lshrrev_b32_e32 v3, 28, v3
	s_addc_u32 s19, s19, s29
	v_ashrrev_i32_e32 v5, 31, v4
	v_add_u32_e32 v2, v2, v3
	v_lshl_add_u64 v[8:9], v[4:5], 2, s[18:19]
	v_ashrrev_i32_e32 v4, 4, v2
	v_min_i32_e32 v2, s21, v4
	v_ashrrev_i32_e32 v3, 31, v2
	v_lshl_add_u64 v[10:11], v[2:3], 2, s[18:19]
	v_add_u32_e32 v2, 1, v4
	v_min_i32_e32 v2, s21, v2
	v_ashrrev_i32_e32 v3, 31, v2
	v_lshl_add_u64 v[12:13], v[2:3], 2, s[18:19]
	v_add_u32_e32 v2, 2, v4
	;; [unrolled: 4-line block ×3, first 2 shown]
	v_min_i32_e32 v2, s21, v2
	v_ashrrev_i32_e32 v3, 31, v2
	v_lshl_add_u64 v[16:17], v[2:3], 2, s[18:19]
	global_load_dword v2, v[8:9], off
	global_load_dword v4, v[10:11], off
	;; [unrolled: 1-line block ×5, first 2 shown]
	s_load_dwordx4 s[16:19], s[0:1], 0x0
	s_load_dwordx2 s[28:29], s[0:1], 0x10
	s_andn2_b64 vcc, exec, s[10:11]
	s_cbranch_vccnz .LBB615_10
; %bb.9:
	s_add_u32 s8, s8, s34
	s_addc_u32 s9, s9, s35
	s_load_dword s36, s[8:9], 0x0
	s_waitcnt lgkmcnt(0)
	s_mov_b64 s[30:31], s[36:37]
.LBB615_10:
	s_load_dwordx4 s[8:11], s[0:1], 0x48
	v_lshlrev_b32_e32 v3, 2, v1
	v_and_b32_e32 v3, 0xf0, v3
	v_lshl_or_b32 v3, v70, 8, v3
	v_and_b32_e32 v8, 15, v0
	s_waitcnt lgkmcnt(0)
	s_ashr_i32 s11, s8, 31
	s_mul_hi_u32 s21, s30, s8
	s_mul_i32 s31, s31, s8
	s_mul_i32 s34, s30, s8
	;; [unrolled: 1-line block ×3, first 2 shown]
	s_add_i32 s8, s21, s8
	s_add_i32 s35, s8, s31
	s_lshl_b64 s[30:31], s[34:35], 1
	s_add_u32 s8, s16, s30
	s_addc_u32 s11, s17, s31
	s_lshl_b32 s36, s4, 9
	s_lshl_b64 s[16:17], s[36:37], 1
	s_add_u32 s16, s8, s16
	s_addc_u32 s17, s11, s17
	global_load_dwordx4 v[74:77], v3, s[16:17]
	s_mul_i32 s36, s4, s10
	s_waitcnt vmcnt(5)
	v_mad_i64_i32 v[2:3], s[16:17], v2, s9, 0
	s_lshl_b64 s[10:11], s[36:37], 1
	s_add_u32 s16, s10, s18
	s_addc_u32 s17, s11, s19
	v_lshl_add_u64 v[2:3], v[2:3], 1, s[16:17]
	v_lshlrev_b32_e32 v50, 4, v8
	v_mov_b32_e32 v51, 0
	v_lshl_add_u64 v[2:3], v[2:3], 0, v[50:51]
	global_load_dwordx4 v[8:11], v[2:3], off
	global_load_dwordx4 v[12:15], v[2:3], off offset:256
	global_load_dwordx4 v[16:19], v[2:3], off offset:512
	;; [unrolled: 1-line block ×15, first 2 shown]
	s_waitcnt vmcnt(20)
	v_mul_hi_i32 v48, v4, s9
	s_waitcnt vmcnt(19)
	v_mul_hi_i32 v50, v5, s9
	;; [unrolled: 2-line block ×4, first 2 shown]
	v_ashrrev_i32_e32 v94, 31, v48
	v_ashrrev_i32_e32 v48, 31, v50
	;; [unrolled: 1-line block ×4, first 2 shown]
	v_mov_b32_e32 v49, v51
	v_mov_b32_e32 v65, v51
	;; [unrolled: 1-line block ×3, first 2 shown]
	v_lshrrev_b32_e32 v48, 29, v48
	v_lshrrev_b32_e32 v64, 29, v50
	;; [unrolled: 1-line block ×3, first 2 shown]
	v_mad_i64_i32 v[2:3], s[16:17], v5, s9, v[48:49]
	v_mad_i64_i32 v[48:49], s[16:17], v6, s9, v[64:65]
	;; [unrolled: 1-line block ×3, first 2 shown]
	v_lshrrev_b32_e32 v50, 29, v94
	v_lshlrev_b64 v[2:3], 1, v[2:3]
	v_lshlrev_b64 v[6:7], 1, v[6:7]
	s_add_u32 s10, s28, s10
	v_mad_i64_i32 v[4:5], s[8:9], v4, s9, v[50:51]
	v_and_b32_e32 v2, -16, v2
	v_and_b32_e32 v6, -16, v6
	s_addc_u32 s11, s29, s11
	v_lshlrev_b64 v[64:65], 1, v[4:5]
	v_lshlrev_b32_e32 v50, 5, v1
	v_lshl_add_u64 v[2:3], s[10:11], 0, v[2:3]
	v_lshl_add_u64 v[6:7], s[10:11], 0, v[6:7]
	v_and_b32_e32 v64, -16, v64
	v_lshl_add_u64 v[2:3], v[2:3], 0, v[50:51]
	v_lshl_add_u64 v[68:69], v[6:7], 0, v[50:51]
	s_load_dword s0, s[0:1], 0x1c
	v_and_b32_e32 v92, -4, v66
	v_cmp_eq_u32_e32 vcc, 0, v70
	v_lshlrev_b32_e32 v93, 2, v0
	s_waitcnt vmcnt(15)
	v_mfma_f32_4x4x4_16b_bf16 a[0:3], v[74:75], v[8:9], 0 cbsz:4
	v_lshlrev_b64 v[8:9], 1, v[48:49]
	s_nop 0
	v_mfma_f32_4x4x4_16b_bf16 a[0:3], v[76:77], v[10:11], a[0:3] cbsz:4
	v_and_b32_e32 v8, -16, v8
	v_lshl_add_u64 v[8:9], s[10:11], 0, v[8:9]
	s_waitcnt vmcnt(14)
	v_mfma_f32_4x4x4_16b_bf16 a[0:3], v[74:75], v[12:13], a[0:3] cbsz:4 abid:1
	v_cndmask_b32_e64 v71, 0, 1.0, vcc
	v_cmp_eq_u32_e32 vcc, 1, v70
	v_mfma_f32_4x4x4_16b_bf16 a[0:3], v[76:77], v[14:15], a[0:3] cbsz:4 abid:1
	s_nop 0
	v_cndmask_b32_e64 v73, 0, 1.0, vcc
	s_waitcnt vmcnt(13)
	v_mfma_f32_4x4x4_16b_bf16 a[0:3], v[74:75], v[16:17], a[0:3] cbsz:4 abid:2
	v_cmp_eq_u32_e32 vcc, 2, v70
	s_nop 0
	v_mfma_f32_4x4x4_16b_bf16 a[0:3], v[76:77], v[18:19], a[0:3] cbsz:4 abid:2
	v_lshl_add_u64 v[18:19], v[8:9], 0, v[50:51]
	v_cndmask_b32_e64 v90, 0, 1.0, vcc
	s_waitcnt vmcnt(12)
	v_mfma_f32_4x4x4_16b_bf16 a[0:3], v[74:75], v[20:21], a[0:3] cbsz:4 abid:3
	v_cmp_eq_u32_e32 vcc, 3, v70
	s_nop 0
	v_mfma_f32_4x4x4_16b_bf16 a[0:3], v[76:77], v[22:23], a[0:3] cbsz:4 abid:3
	v_cndmask_b32_e64 v91, 0, 1.0, vcc
	v_cmp_gt_i32_e32 vcc, s3, v92
	s_waitcnt vmcnt(11)
	v_mfma_f32_4x4x4_16b_bf16 a[0:3], v[74:75], v[24:25], a[0:3] cbsz:4 abid:4
	global_load_dwordx4 v[10:13], v[2:3], off
	global_load_dwordx4 v[22:25], v[2:3], off offset:16
	v_mfma_f32_4x4x4_16b_bf16 a[0:3], v[76:77], v[26:27], a[0:3] cbsz:4 abid:4
	global_load_dwordx4 v[6:9], v[2:3], off offset:2048
	global_load_dwordx4 v[14:17], v[2:3], off offset:2064
	s_waitcnt vmcnt(14)
	v_mfma_f32_4x4x4_16b_bf16 a[0:3], v[74:75], v[28:29], a[0:3] cbsz:4 abid:5
	s_nop 1
	v_mfma_f32_4x4x4_16b_bf16 a[0:3], v[76:77], v[30:31], a[0:3] cbsz:4 abid:5
	s_waitcnt vmcnt(13)
	s_nop 0
	v_mfma_f32_4x4x4_16b_bf16 a[0:3], v[74:75], v[32:33], a[0:3] cbsz:4 abid:6
	s_nop 1
	v_mfma_f32_4x4x4_16b_bf16 a[0:3], v[76:77], v[34:35], a[0:3] cbsz:4 abid:6
	s_waitcnt vmcnt(12)
	s_nop 0
	v_mfma_f32_4x4x4_16b_bf16 a[0:3], v[74:75], v[36:37], a[0:3] cbsz:4 abid:7
	s_nop 1
	v_mfma_f32_4x4x4_16b_bf16 a[0:3], v[76:77], v[38:39], a[0:3] cbsz:4 abid:7
	s_waitcnt vmcnt(11)
	s_nop 0
	v_mfma_f32_4x4x4_16b_bf16 a[0:3], v[74:75], v[40:41], a[0:3] cbsz:4 abid:8
	global_load_dwordx4 v[38:41], v[18:19], off
	global_load_dwordx4 v[2:5], v[18:19], off offset:16
	v_mfma_f32_4x4x4_16b_bf16 a[0:3], v[76:77], v[42:43], a[0:3] cbsz:4 abid:8
	global_load_dwordx4 v[30:33], v[18:19], off offset:2048
	global_load_dwordx4 v[34:37], v[18:19], off offset:2064
	s_waitcnt vmcnt(14)
	v_mfma_f32_4x4x4_16b_bf16 a[0:3], v[74:75], v[44:45], a[0:3] cbsz:4 abid:9
	global_load_dwordx4 v[18:21], v[68:69], off
	global_load_dwordx4 v[26:29], v[68:69], off offset:16
	v_mfma_f32_4x4x4_16b_bf16 a[0:3], v[76:77], v[46:47], a[0:3] cbsz:4 abid:9
	global_load_dwordx4 v[42:45], v[68:69], off offset:2048
	global_load_dwordx4 v[46:49], v[68:69], off offset:2064
	s_waitcnt vmcnt(17)
	v_mfma_f32_4x4x4_16b_bf16 a[0:3], v[74:75], v[52:53], a[0:3] cbsz:4 abid:10
	v_lshl_add_u64 v[52:53], s[10:11], 0, v[64:65]
	v_lshl_add_u64 v[68:69], v[52:53], 0, v[50:51]
	v_mfma_f32_4x4x4_16b_bf16 a[0:3], v[76:77], v[54:55], a[0:3] cbsz:4 abid:10
	s_waitcnt vmcnt(16)
	s_nop 0
	v_mfma_f32_4x4x4_16b_bf16 a[0:3], v[74:75], v[56:57], a[0:3] cbsz:4 abid:11
	global_load_dwordx4 v[50:53], v[68:69], off
	global_load_dwordx4 v[54:57], v[68:69], off offset:16
	v_mfma_f32_4x4x4_16b_bf16 a[0:3], v[76:77], v[58:59], a[0:3] cbsz:4 abid:11
	s_waitcnt vmcnt(17)
	s_nop 0
	v_mfma_f32_4x4x4_16b_bf16 a[0:3], v[74:75], v[60:61], a[0:3] cbsz:4 abid:12
	s_nop 1
	v_mfma_f32_4x4x4_16b_bf16 a[0:3], v[76:77], v[62:63], a[0:3] cbsz:4 abid:12
	global_load_dwordx4 v[62:65], v[68:69], off offset:2048
	global_load_dwordx4 v[58:61], v[68:69], off offset:2064
	s_waitcnt vmcnt(18)
	v_mfma_f32_4x4x4_16b_bf16 a[0:3], v[74:75], v[78:79], a[0:3] cbsz:4 abid:13
	v_mov_b32_e32 v78, 0xff7fffff
	s_nop 0
	v_mfma_f32_4x4x4_16b_bf16 a[0:3], v[76:77], v[80:81], a[0:3] cbsz:4 abid:13
	s_waitcnt vmcnt(17)
	s_nop 0
	v_mfma_f32_4x4x4_16b_bf16 a[0:3], v[74:75], v[82:83], a[0:3] cbsz:4 abid:14
	s_nop 1
	v_mfma_f32_4x4x4_16b_bf16 a[0:3], v[76:77], v[84:85], a[0:3] cbsz:4 abid:14
	s_waitcnt vmcnt(16)
	s_nop 0
	v_mfma_f32_4x4x4_16b_bf16 a[0:3], v[74:75], v[86:87], a[0:3] cbsz:4 abid:15
	v_or_b32_e32 v74, 3, v66
	v_and_or_b32 v75, v93, 48, v70
	v_mfma_f32_4x4x4_16b_bf16 a[0:3], v[76:77], v[88:89], a[0:3] cbsz:4 abid:15
	v_cmp_gt_i32_e64 s[10:11], s3, v74
	s_nop 3
	v_accvgpr_read_b32 v67, a1
	v_accvgpr_read_b32 v66, a0
	s_waitcnt lgkmcnt(0)
	v_pk_mul_f32 v[66:67], s[0:1], v[66:67] op_sel_hi:[0,1]
	v_accvgpr_read_b32 v69, a3
	v_accvgpr_read_b32 v68, a2
	v_pk_mul_f32 v[68:69], s[0:1], v[68:69] op_sel_hi:[0,1]
	v_mfma_f32_4x4x1_16b_f32 a[0:3], v66, v71, 0
	v_or_b32_e32 v66, 1, v92
	s_nop 0
	v_mfma_f32_4x4x1_16b_f32 a[0:3], v67, v73, a[0:3]
	v_lshlrev_b32_e32 v71, 2, v75
	v_cmp_gt_i32_e64 s[0:1], s3, v66
	v_mfma_f32_4x4x1_16b_f32 a[0:3], v68, v90, a[0:3]
	v_or_b32_e32 v67, 2, v92
	v_cmp_gt_i32_e64 s[8:9], s3, v67
	v_mfma_f32_4x4x1_16b_f32 a[0:3], v69, v91, a[0:3]
	s_nop 3
	v_accvgpr_read_b32 v68, a0
	v_max_f32_e32 v73, v68, v68
	v_accvgpr_read_b32 v69, a1
	v_max_f32_e32 v73, 0xff7fffff, v73
	v_max_f32_e32 v77, v69, v69
	v_cndmask_b32_e32 v73, v78, v73, vcc
	v_accvgpr_read_b32 v75, a2
	v_max_f32_e32 v77, v73, v77
	v_max_f32_e32 v79, v75, v75
	v_cndmask_b32_e64 v66, v73, v77, s[0:1]
	v_accvgpr_read_b32 v76, a3
	v_max_f32_e32 v73, v66, v79
	v_max_f32_e32 v80, v76, v76
	v_cndmask_b32_e64 v66, v66, v73, s[8:9]
	v_max_f32_e32 v67, v66, v80
	v_cndmask_b32_e64 v66, v66, v67, s[10:11]
	;;#ASMSTART
	v_nop
 v_nop
 v_max_f32_dpp v66, v66, v66 row_ror:4
	;;#ASMEND
	s_nop 0
	;;#ASMSTART
	v_nop
 v_nop
 v_max_f32_dpp v66, v66, v66 row_ror:8
	;;#ASMEND
	ds_bpermute_b32 v66, v71, v66
	s_waitcnt lgkmcnt(0)
	;;#ASMSTART
	v_nop
 v_nop
 v_max_f32_dpp v66, v66, v66 row_ror:4
	;;#ASMEND
	s_nop 0
	;;#ASMSTART
	v_nop
 v_nop
 v_max_f32_dpp v73, v66, v66 row_ror:8
	;;#ASMEND
	s_nop 0
	v_sub_f32_e32 v66, v68, v73
	v_sub_f32_e32 v67, v69, v73
	;; [unrolled: 1-line block ×3, first 2 shown]
	v_mul_f32_e32 v66, 0x3fb8aa3b, v66
	v_mul_f32_e32 v67, 0x3fb8aa3b, v67
	;; [unrolled: 1-line block ×3, first 2 shown]
	v_exp_f32_e32 v66, v66
	v_sub_f32_e32 v69, v76, v73
	v_exp_f32_e32 v67, v67
	v_exp_f32_e32 v74, v68
	v_mul_f32_e32 v69, 0x3fb8aa3b, v69
	v_exp_f32_e32 v75, v69
	v_cndmask_b32_e32 v68, 0, v66, vcc
	v_cndmask_b32_e64 v69, 0, v67, s[0:1]
	v_cndmask_b32_e64 v66, 0, v74, s[8:9]
	v_add_f32_e32 v74, 0, v68
	v_add_f32_e32 v74, v74, v69
	v_cndmask_b32_e64 v67, 0, v75, s[10:11]
	v_add_f32_e32 v74, v74, v66
	v_add_f32_e32 v74, v74, v67
	;;#ASMSTART
	v_nop
 v_nop
 v_add_f32_dpp v74, v74, v74 row_ror:4
	;;#ASMEND
	v_cmp_gt_u32_e32 vcc, 4, v1
	;;#ASMSTART
	v_nop
 v_nop
 v_add_f32_dpp v74, v74, v74 row_ror:8
	;;#ASMEND
	ds_bpermute_b32 v71, v71, v74
	s_waitcnt lgkmcnt(0)
	;;#ASMSTART
	v_nop
 v_nop
 v_add_f32_dpp v71, v71, v71 row_ror:4
	;;#ASMEND
	s_nop 0
	;;#ASMSTART
	v_nop
 v_nop
 v_add_f32_dpp v71, v71, v71 row_ror:8
	;;#ASMEND
	s_and_saveexec_b64 s[0:1], vcc
	s_cbranch_execz .LBB615_12
; %bb.11:
	v_mul_u32_u24_e32 v74, 20, v72
	v_lshl_add_u32 v74, v70, 2, v74
	v_add_u32_e32 v74, 0x1400, v74
	ds_write2_b32 v74, v73, v71 offset1:20
.LBB615_12:
	s_or_b64 exec, exec, s[0:1]
.LBB615_13:
	s_or_b64 exec, exec, s[26:27]
	v_lshlrev_b32_e32 v71, 2, v70
	v_add_u32_e32 v71, 0x1400, v71
	s_waitcnt lgkmcnt(0)
	s_barrier
	s_load_dword s0, s[24:25], 0x8
	ds_read2_b32 v[76:77], v71 offset1:5
	ds_read2_b32 v[78:79], v71 offset0:10 offset1:15
	s_mov_b32 s8, 0xff7fffff
	s_mul_i32 s1, s2, s5
	s_lshl_b32 s4, s4, 2
	s_waitcnt lgkmcnt(0)
	v_max3_f32 v74, v76, s8, v77
	s_mul_i32 s1, s1, s0
	v_max3_f32 v74, v74, v78, v79
	s_lshl_b32 s0, s1, 2
	s_mov_b32 s1, 0
	v_sub_f32_e32 v75, v76, v74
	v_sub_f32_e32 v76, v77, v74
	s_lshl_b64 s[2:3], s[0:1], 2
	ds_read2_b32 v[80:81], v71 offset0:20 offset1:25
	v_mul_f32_e32 v75, 0x3fb8aa3b, v75
	v_mul_f32_e32 v76, 0x3fb8aa3b, v76
	s_add_u32 s10, s12, s2
	v_exp_f32_e32 v75, v75
	v_exp_f32_e32 v82, v76
	ds_read2_b32 v[76:77], v71 offset0:30 offset1:35
	v_sub_f32_e32 v71, v78, v74
	s_addc_u32 s11, s13, s3
	v_mul_f32_e32 v71, 0x3fb8aa3b, v71
	v_sub_f32_e32 v78, v79, v74
	s_mov_b32 s21, s1
	s_add_u32 s8, s14, s2
	v_exp_f32_e32 v71, v71
	v_mul_f32_e32 v78, 0x3fb8aa3b, v78
	s_addc_u32 s9, s15, s3
	s_lshl_b64 s[2:3], s[20:21], 2
	v_exp_f32_e32 v78, v78
	s_add_u32 s8, s8, s2
	s_waitcnt lgkmcnt(1)
	v_fma_f32 v75, v75, v80, 0
	s_addc_u32 s9, s9, s3
	v_fmac_f32_e32 v75, v82, v81
	v_or_b32_e32 v70, s4, v70
	s_waitcnt lgkmcnt(0)
	v_fmac_f32_e32 v75, v71, v76
	s_add_u32 s2, s10, s2
	v_mul_lo_u32 v70, s5, v70
	v_mov_b32_e32 v71, 0
	v_fmac_f32_e32 v75, v78, v77
	s_addc_u32 s3, s11, s3
	v_lshlrev_b64 v[76:77], 2, v[70:71]
	v_lshl_add_u64 v[78:79], s[8:9], 0, v[76:77]
	v_lshl_add_u64 v[76:77], s[2:3], 0, v[76:77]
	v_lshlrev_b32_e32 v72, 3, v72
	global_store_dword v[78:79], v74, off
	global_store_dword v[76:77], v75, off
	s_and_saveexec_b64 s[2:3], s[6:7]
	s_xor_b64 s[2:3], exec, s[2:3]
	s_cbranch_execz .LBB615_15
; %bb.14:
	s_waitcnt vmcnt(12)
	v_mad_u32_u24 v2, v1, 40, v72
	v_mov_b32_e32 v70, v71
	ds_write_b64 v2, v[70:71]
                                        ; implicit-def: $vgpr67
                                        ; implicit-def: $vgpr69
                                        ; implicit-def: $vgpr51
                                        ; implicit-def: $vgpr55
                                        ; implicit-def: $vgpr11
                                        ; implicit-def: $vgpr23
                                        ; implicit-def: $vgpr39
                                        ; implicit-def: $vgpr3
                                        ; implicit-def: $vgpr19
                                        ; implicit-def: $vgpr27
                                        ; implicit-def: $vgpr63
                                        ; implicit-def: $vgpr59
                                        ; implicit-def: $vgpr7
                                        ; implicit-def: $vgpr15
                                        ; implicit-def: $vgpr31
                                        ; implicit-def: $vgpr35
                                        ; implicit-def: $vgpr43
                                        ; implicit-def: $vgpr47
                                        ; implicit-def: $vgpr73
                                        ; implicit-def: $vgpr74
                                        ; implicit-def: $vgpr75
.LBB615_15:
	s_or_saveexec_b64 s[2:3], s[2:3]
	v_mov_b32_e32 v70, s1
	v_mov_b32_e32 v71, s1
	s_xor_b64 exec, exec, s[2:3]
	s_cbranch_execz .LBB615_17
; %bb.16:
	v_add_f32_e32 v70, 0x358637bd, v75
	v_div_scale_f32 v71, s[6:7], v70, v70, 1.0
	v_rcp_f32_e32 v75, v71
	v_sub_f32_e32 v73, v73, v74
	v_mul_f32_e32 v73, 0x3fb8aa3b, v73
	v_exp_f32_e32 v73, v73
	v_fma_f32 v74, -v71, v75, 1.0
	v_fmac_f32_e32 v75, v74, v75
	v_div_scale_f32 v74, vcc, 1.0, v70, 1.0
	v_mul_f32_e32 v76, v74, v75
	v_fma_f32 v77, -v71, v76, v74
	v_fmac_f32_e32 v76, v77, v75
	v_fma_f32 v71, -v71, v76, v74
	v_div_fmas_f32 v71, v71, v75, v76
	v_div_fixup_f32 v70, v71, v70, 1.0
	v_mul_f32_e32 v70, v73, v70
	v_pk_mul_f32 v[68:69], v[68:69], v[70:71] op_sel_hi:[1,0]
	v_pk_mul_f32 v[66:67], v[66:67], v[70:71] op_sel_hi:[1,0]
	v_bfe_u32 v70, v69, 16, 1
	v_bfe_u32 v71, v68, 16, 1
	s_movk_i32 s1, 0x7fff
	v_add3_u32 v68, v68, v71, s1
	v_add3_u32 v69, v69, v70, s1
	s_mov_b32 s6, 0x7060302
	v_perm_b32 v68, v69, v68, s6
	v_bfe_u32 v69, v67, 16, 1
	v_bfe_u32 v70, v66, 16, 1
	v_add3_u32 v66, v66, v70, s1
	v_add3_u32 v67, v67, v69, s1
	v_perm_b32 v69, v67, v66, s6
	s_waitcnt vmcnt(5)
	s_nop 0
	v_mfma_f32_4x4x4_16b_bf16 a[0:3], v[68:69], v[50:51], 0 cbsz:4
	s_nop 1
	v_mfma_f32_4x4x4_16b_bf16 a[0:3], v[68:69], v[52:53], a[0:3] cbsz:4 abid:1
	s_waitcnt vmcnt(3)
	v_mfma_f32_4x4x4_16b_bf16 a[4:7], v[68:69], v[62:63], 0 cbsz:4
	v_mfma_f32_4x4x4_16b_bf16 a[0:3], v[68:69], v[54:55], a[0:3] cbsz:4 abid:2
	s_nop 0
	v_mfma_f32_4x4x4_16b_bf16 a[4:7], v[68:69], v[64:65], a[4:7] cbsz:4 abid:1
	v_mfma_f32_4x4x4_16b_bf16 a[0:3], v[68:69], v[56:57], a[0:3] cbsz:4 abid:3
	s_waitcnt vmcnt(2)
	v_mfma_f32_4x4x4_16b_bf16 a[4:7], v[68:69], v[58:59], a[4:7] cbsz:4 abid:2
	v_mfma_f32_4x4x4_16b_bf16 a[0:3], v[68:69], v[10:11], a[0:3] cbsz:4 abid:4
	s_nop 1
	v_mfma_f32_4x4x4_16b_bf16 a[0:3], v[68:69], v[12:13], a[0:3] cbsz:4 abid:5
	s_nop 1
	;; [unrolled: 2-line block ×12, first 2 shown]
	v_accvgpr_read_b32 v3, a2
	v_accvgpr_read_b32 v4, a3
	;; [unrolled: 1-line block ×4, first 2 shown]
	v_mfma_f32_4x4x4_16b_bf16 a[0:3], v[68:69], v[60:61], a[4:7] cbsz:4 abid:3
	v_bfe_u32 v10, v5, 16, 1
	v_add3_u32 v5, v5, v10, s1
	v_mfma_f32_4x4x4_16b_bf16 a[0:3], v[68:69], v[6:7], a[0:3] cbsz:4 abid:4
	v_bfe_u32 v6, v2, 16, 1
	v_add3_u32 v2, v2, v6, s1
	v_mfma_f32_4x4x4_16b_bf16 a[0:3], v[68:69], v[8:9], a[0:3] cbsz:4 abid:5
	v_perm_b32 v2, v5, v2, s6
	v_bfe_u32 v5, v4, 16, 1
	v_mfma_f32_4x4x4_16b_bf16 a[0:3], v[68:69], v[14:15], a[0:3] cbsz:4 abid:6
	v_bfe_u32 v6, v3, 16, 1
	v_add3_u32 v3, v3, v6, s1
	v_mfma_f32_4x4x4_16b_bf16 a[0:3], v[68:69], v[16:17], a[0:3] cbsz:4 abid:7
	v_add3_u32 v4, v4, v5, s1
	v_perm_b32 v3, v4, v3, s6
	v_mfma_f32_4x4x4_16b_bf16 a[0:3], v[68:69], v[30:31], a[0:3] cbsz:4 abid:8
	v_mad_u32_u24 v4, v1, 40, v72
	ds_write_b64 v4, v[2:3]
	v_mfma_f32_4x4x4_16b_bf16 a[0:3], v[68:69], v[32:33], a[0:3] cbsz:4 abid:9
	s_nop 1
	v_mfma_f32_4x4x4_16b_bf16 a[0:3], v[68:69], v[34:35], a[0:3] cbsz:4 abid:10
	s_nop 1
	;; [unrolled: 2-line block ×7, first 2 shown]
	v_accvgpr_read_b32 v4, a0
	v_accvgpr_read_b32 v5, a1
	;; [unrolled: 1-line block ×4, first 2 shown]
	v_bfe_u32 v6, v5, 16, 1
	v_bfe_u32 v7, v4, 16, 1
	v_add3_u32 v4, v4, v7, s1
	v_add3_u32 v5, v5, v6, s1
	v_bfe_u32 v6, v3, 16, 1
	v_bfe_u32 v7, v2, 16, 1
	v_add3_u32 v2, v2, v7, s1
	v_add3_u32 v3, v3, v6, s1
	v_perm_b32 v71, v3, v2, s6
	v_perm_b32 v70, v5, v4, s6
.LBB615_17:
	s_or_b64 exec, exec, s[2:3]
	s_waitcnt vmcnt(12)
	v_mad_u32_u24 v2, v1, 40, v72
	v_cmp_gt_u32_e32 vcc, 64, v0
	ds_write_b64 v2, v[70:71] offset:2560
	s_waitcnt lgkmcnt(0)
	s_barrier
	s_and_saveexec_b64 s[2:3], vcc
	s_cbranch_execz .LBB615_19
; %bb.18:
	v_mul_u32_u24_e32 v6, 40, v1
	ds_read2_b64 v[2:5], v6 offset1:1
	ds_read2_b64 v[6:9], v6 offset0:2 offset1:3
	s_mov_b32 s1, 0
	s_lshl_b32 s0, s0, 7
	s_lshl_b64 s[2:3], s[0:1], 1
	s_waitcnt lgkmcnt(1)
	v_lshlrev_b32_e32 v10, 16, v2
	v_and_b32_e32 v2, 0xffff0000, v2
	v_add_f32_e32 v2, 0, v2
	v_lshlrev_b32_e32 v11, 16, v3
	v_and_b32_e32 v3, 0xffff0000, v3
	v_and_b32_e32 v2, 0xffff0000, v2
	v_add_f32_e32 v11, 0, v11
	v_add_f32_e32 v3, 0, v3
	v_lshlrev_b32_e32 v12, 16, v4
	v_and_b32_e32 v4, 0xffff0000, v4
	v_add_f32_e32 v10, 0, v10
	v_and_b32_e32 v11, 0xffff0000, v11
	v_and_b32_e32 v3, 0xffff0000, v3
	v_add_f32_e32 v2, v2, v4
	v_lshlrev_b32_e32 v4, 16, v5
	v_and_b32_e32 v5, 0xffff0000, v5
	v_and_b32_e32 v10, 0xffff0000, v10
	;; [unrolled: 1-line block ×3, first 2 shown]
	v_add_f32_e32 v4, v11, v4
	v_add_f32_e32 v3, v3, v5
	s_waitcnt lgkmcnt(0)
	v_lshlrev_b32_e32 v5, 16, v6
	v_and_b32_e32 v6, 0xffff0000, v6
	v_add_f32_e32 v10, v10, v12
	v_and_b32_e32 v4, 0xffff0000, v4
	v_add_f32_e32 v2, v2, v6
	v_lshlrev_b32_e32 v6, 16, v7
	v_and_b32_e32 v10, 0xffff0000, v10
	v_and_b32_e32 v3, 0xffff0000, v3
	v_add_f32_e32 v4, v4, v6
	v_and_b32_e32 v6, 0xffff0000, v7
	v_add_f32_e32 v5, v10, v5
	v_add_f32_e32 v3, v3, v6
	v_and_b32_e32 v5, 0xffff0000, v5
	v_and_b32_e32 v6, 0xffff0000, v3
	v_lshlrev_b32_e32 v3, 16, v8
	v_and_b32_e32 v2, 0xffff0000, v2
	v_add_f32_e32 v10, v5, v3
	v_and_b32_e32 v3, 0xffff0000, v8
	v_and_b32_e32 v4, 0xffff0000, v4
	v_add_f32_e32 v11, v2, v3
	v_lshlrev_b32_e32 v2, 16, v9
	v_add_f32_e32 v12, v4, v2
	v_mov_b32_e32 v2, 0xa00
	v_mad_u32_u24 v2, v1, 40, v2
	ds_read2_b64 v[2:5], v2 offset1:1
	v_and_b32_e32 v7, 0xffff0000, v9
	v_add_f32_e32 v13, v6, v7
	v_mov_b32_e32 v6, 0xa10
	v_mad_u32_u24 v1, v1, 40, v6
	ds_read2_b64 v[6:9], v1 offset1:1
	s_waitcnt lgkmcnt(1)
	v_lshlrev_b32_e32 v1, 16, v2
	v_and_b32_e32 v2, 0xffff0000, v2
	v_add_f32_e32 v1, 0, v1
	v_add_f32_e32 v2, 0, v2
	v_lshlrev_b32_e32 v14, 16, v3
	v_and_b32_e32 v3, 0xffff0000, v3
	v_and_b32_e32 v1, 0xffff0000, v1
	;; [unrolled: 1-line block ×3, first 2 shown]
	v_add_f32_e32 v3, 0, v3
	v_lshlrev_b32_e32 v15, 16, v4
	v_and_b32_e32 v4, 0xffff0000, v4
	v_add_f32_e32 v14, 0, v14
	v_and_b32_e32 v3, 0xffff0000, v3
	v_add_f32_e32 v1, v1, v15
	v_add_f32_e32 v2, v2, v4
	v_lshlrev_b32_e32 v4, 16, v5
	v_and_b32_e32 v5, 0xffff0000, v5
	v_and_b32_e32 v14, 0xffff0000, v14
	v_and_b32_e32 v1, 0xffff0000, v1
	v_add_f32_e32 v3, v3, v5
	s_waitcnt lgkmcnt(0)
	v_lshlrev_b32_e32 v5, 16, v6
	v_and_b32_e32 v2, 0xffff0000, v2
	v_add_f32_e32 v4, v14, v4
	v_add_f32_e32 v1, v1, v5
	v_and_b32_e32 v5, 0xffff0000, v6
	v_and_b32_e32 v4, 0xffff0000, v4
	v_add_f32_e32 v2, v2, v5
	v_lshlrev_b32_e32 v5, 16, v7
	s_add_u32 s2, s22, s2
	v_and_b32_e32 v3, 0xffff0000, v3
	v_add_f32_e32 v4, v4, v5
	v_and_b32_e32 v5, 0xffff0000, v7
	s_addc_u32 s3, s23, s3
	s_lshl_b32 s0, s20, 7
	v_and_b32_e32 v1, 0xffff0000, v1
	v_add_f32_e32 v3, v3, v5
	v_lshlrev_b32_e32 v5, 16, v8
	s_lshl_b64 s[0:1], s[0:1], 1
	v_and_b32_e32 v2, 0xffff0000, v2
	v_add_f32_e32 v14, v1, v5
	v_and_b32_e32 v1, 0xffff0000, v8
	s_add_u32 s0, s2, s0
	v_and_b32_e32 v4, 0xffff0000, v4
	v_add_f32_e32 v15, v2, v1
	v_lshlrev_b32_e32 v1, 16, v9
	s_addc_u32 s1, s3, s1
	s_lshl_b32 s2, s5, 7
	v_and_b32_e32 v3, 0xffff0000, v3
	v_add_f32_e32 v16, v4, v1
	v_and_b32_e32 v1, 0xffff0000, v9
	s_mul_i32 s3, s2, s4
	v_add_f32_e32 v17, v3, v1
	v_or_b32_e32 v2, s3, v0
	v_mov_b32_e32 v3, 0
	s_add_i32 s3, s3, s2
	v_lshl_add_u64 v[4:5], v[2:3], 1, s[0:1]
	v_or_b32_e32 v2, s3, v0
	s_add_i32 s3, s3, s2
	v_lshl_add_u64 v[6:7], v[2:3], 1, s[0:1]
	v_or_b32_e32 v2, s3, v0
	;; [unrolled: 3-line block ×3, first 2 shown]
	v_lshl_add_u64 v[0:1], v[2:3], 1, s[0:1]
	global_store_short_d16_hi v[4:5], v10, off
	global_store_short_d16_hi v[6:7], v11, off
	;; [unrolled: 1-line block ×4, first 2 shown]
	global_store_short_d16_hi v[4:5], v14, off offset:128
	global_store_short_d16_hi v[6:7], v15, off offset:128
	;; [unrolled: 1-line block ×4, first 2 shown]
.LBB615_19:
	s_endpgm
.LBB615_20:
	s_mov_b64 s[12:13], 0
                                        ; implicit-def: $sgpr30_sgpr31
	s_branch .LBB615_2
	.section	.rodata,"a",@progbits
	.p2align	6, 0x0
	.amdhsa_kernel _Z38paged_attention_ll4mi_QKV_mfma4_kernelI14__hip_bfloat16S0_LN4vllm18Fp8KVCacheDataTypeE0EhLi16ELi128ELi256ELb0ELi4EEvPKT_PKT0_S8_ifPKiSA_SA_iPKfiiiPfSD_PS3_PT2_iSC_SC_
		.amdhsa_group_segment_fixed_size 5280
		.amdhsa_private_segment_fixed_size 0
		.amdhsa_kernarg_size 400
		.amdhsa_user_sgpr_count 2
		.amdhsa_user_sgpr_dispatch_ptr 0
		.amdhsa_user_sgpr_queue_ptr 0
		.amdhsa_user_sgpr_kernarg_segment_ptr 1
		.amdhsa_user_sgpr_dispatch_id 0
		.amdhsa_user_sgpr_kernarg_preload_length 0
		.amdhsa_user_sgpr_kernarg_preload_offset 0
		.amdhsa_user_sgpr_private_segment_size 0
		.amdhsa_uses_dynamic_stack 0
		.amdhsa_enable_private_segment 0
		.amdhsa_system_sgpr_workgroup_id_x 1
		.amdhsa_system_sgpr_workgroup_id_y 1
		.amdhsa_system_sgpr_workgroup_id_z 1
		.amdhsa_system_sgpr_workgroup_info 0
		.amdhsa_system_vgpr_workitem_id 0
		.amdhsa_next_free_vgpr 104
		.amdhsa_next_free_sgpr 38
		.amdhsa_accum_offset 96
		.amdhsa_reserve_vcc 1
		.amdhsa_float_round_mode_32 0
		.amdhsa_float_round_mode_16_64 0
		.amdhsa_float_denorm_mode_32 3
		.amdhsa_float_denorm_mode_16_64 3
		.amdhsa_dx10_clamp 1
		.amdhsa_ieee_mode 1
		.amdhsa_fp16_overflow 0
		.amdhsa_tg_split 0
		.amdhsa_exception_fp_ieee_invalid_op 0
		.amdhsa_exception_fp_denorm_src 0
		.amdhsa_exception_fp_ieee_div_zero 0
		.amdhsa_exception_fp_ieee_overflow 0
		.amdhsa_exception_fp_ieee_underflow 0
		.amdhsa_exception_fp_ieee_inexact 0
		.amdhsa_exception_int_div_zero 0
	.end_amdhsa_kernel
	.section	.text._Z38paged_attention_ll4mi_QKV_mfma4_kernelI14__hip_bfloat16S0_LN4vllm18Fp8KVCacheDataTypeE0EhLi16ELi128ELi256ELb0ELi4EEvPKT_PKT0_S8_ifPKiSA_SA_iPKfiiiPfSD_PS3_PT2_iSC_SC_,"axG",@progbits,_Z38paged_attention_ll4mi_QKV_mfma4_kernelI14__hip_bfloat16S0_LN4vllm18Fp8KVCacheDataTypeE0EhLi16ELi128ELi256ELb0ELi4EEvPKT_PKT0_S8_ifPKiSA_SA_iPKfiiiPfSD_PS3_PT2_iSC_SC_,comdat
.Lfunc_end615:
	.size	_Z38paged_attention_ll4mi_QKV_mfma4_kernelI14__hip_bfloat16S0_LN4vllm18Fp8KVCacheDataTypeE0EhLi16ELi128ELi256ELb0ELi4EEvPKT_PKT0_S8_ifPKiSA_SA_iPKfiiiPfSD_PS3_PT2_iSC_SC_, .Lfunc_end615-_Z38paged_attention_ll4mi_QKV_mfma4_kernelI14__hip_bfloat16S0_LN4vllm18Fp8KVCacheDataTypeE0EhLi16ELi128ELi256ELb0ELi4EEvPKT_PKT0_S8_ifPKiSA_SA_iPKfiiiPfSD_PS3_PT2_iSC_SC_
                                        ; -- End function
	.section	.AMDGPU.csdata,"",@progbits
; Kernel info:
; codeLenInByte = 4452
; NumSgprs: 44
; NumVgprs: 95
; NumAgprs: 8
; TotalNumVgprs: 104
; ScratchSize: 0
; MemoryBound: 0
; FloatMode: 240
; IeeeMode: 1
; LDSByteSize: 5280 bytes/workgroup (compile time only)
; SGPRBlocks: 5
; VGPRBlocks: 12
; NumSGPRsForWavesPerEU: 44
; NumVGPRsForWavesPerEU: 104
; AccumOffset: 96
; Occupancy: 4
; WaveLimiterHint : 1
; COMPUTE_PGM_RSRC2:SCRATCH_EN: 0
; COMPUTE_PGM_RSRC2:USER_SGPR: 2
; COMPUTE_PGM_RSRC2:TRAP_HANDLER: 0
; COMPUTE_PGM_RSRC2:TGID_X_EN: 1
; COMPUTE_PGM_RSRC2:TGID_Y_EN: 1
; COMPUTE_PGM_RSRC2:TGID_Z_EN: 1
; COMPUTE_PGM_RSRC2:TIDIG_COMP_CNT: 0
; COMPUTE_PGM_RSRC3_GFX90A:ACCUM_OFFSET: 23
; COMPUTE_PGM_RSRC3_GFX90A:TG_SPLIT: 0
	.section	.text._Z39paged_attention_ll4mi_QKV_mfma16_kernelI14__hip_bfloat16S0_LN4vllm18Fp8KVCacheDataTypeE0EhLi16ELi128ELi256ELb0ELi5EEvPKT_PKT0_S8_ifPKiSA_SA_iPKfiiiPfSD_PS3_PT2_iSC_SC_,"axG",@progbits,_Z39paged_attention_ll4mi_QKV_mfma16_kernelI14__hip_bfloat16S0_LN4vllm18Fp8KVCacheDataTypeE0EhLi16ELi128ELi256ELb0ELi5EEvPKT_PKT0_S8_ifPKiSA_SA_iPKfiiiPfSD_PS3_PT2_iSC_SC_,comdat
	.protected	_Z39paged_attention_ll4mi_QKV_mfma16_kernelI14__hip_bfloat16S0_LN4vllm18Fp8KVCacheDataTypeE0EhLi16ELi128ELi256ELb0ELi5EEvPKT_PKT0_S8_ifPKiSA_SA_iPKfiiiPfSD_PS3_PT2_iSC_SC_ ; -- Begin function _Z39paged_attention_ll4mi_QKV_mfma16_kernelI14__hip_bfloat16S0_LN4vllm18Fp8KVCacheDataTypeE0EhLi16ELi128ELi256ELb0ELi5EEvPKT_PKT0_S8_ifPKiSA_SA_iPKfiiiPfSD_PS3_PT2_iSC_SC_
	.globl	_Z39paged_attention_ll4mi_QKV_mfma16_kernelI14__hip_bfloat16S0_LN4vllm18Fp8KVCacheDataTypeE0EhLi16ELi128ELi256ELb0ELi5EEvPKT_PKT0_S8_ifPKiSA_SA_iPKfiiiPfSD_PS3_PT2_iSC_SC_
	.p2align	8
	.type	_Z39paged_attention_ll4mi_QKV_mfma16_kernelI14__hip_bfloat16S0_LN4vllm18Fp8KVCacheDataTypeE0EhLi16ELi128ELi256ELb0ELi5EEvPKT_PKT0_S8_ifPKiSA_SA_iPKfiiiPfSD_PS3_PT2_iSC_SC_,@function
_Z39paged_attention_ll4mi_QKV_mfma16_kernelI14__hip_bfloat16S0_LN4vllm18Fp8KVCacheDataTypeE0EhLi16ELi128ELi256ELb0ELi5EEvPKT_PKT0_S8_ifPKiSA_SA_iPKfiiiPfSD_PS3_PT2_iSC_SC_: ; @_Z39paged_attention_ll4mi_QKV_mfma16_kernelI14__hip_bfloat16S0_LN4vllm18Fp8KVCacheDataTypeE0EhLi16ELi128ELi256ELb0ELi5EEvPKT_PKT0_S8_ifPKiSA_SA_iPKfiiiPfSD_PS3_PT2_iSC_SC_
; %bb.0:
	s_load_dwordx2 s[8:9], s[0:1], 0x30
	s_mov_b32 s26, s3
	s_mov_b64 s[6:7], 0
	s_waitcnt lgkmcnt(0)
	s_cmp_lg_u64 s[8:9], 0
	s_cselect_b64 s[10:11], -1, 0
	s_and_b64 vcc, exec, s[10:11]
	s_cbranch_vccz .LBB616_7
; %bb.1:
	s_add_i32 s12, s2, 1
	s_mov_b32 s13, 0
	s_lshl_b64 s[14:15], s[12:13], 2
	s_add_u32 s14, s8, s14
	s_mov_b32 s3, s13
	s_addc_u32 s15, s9, s15
	s_lshl_b64 s[12:13], s[2:3], 2
	s_add_u32 s12, s8, s12
	s_addc_u32 s13, s9, s13
	s_load_dword s5, s[14:15], 0x0
	s_load_dword s16, s[12:13], 0x0
	s_waitcnt lgkmcnt(0)
	s_sub_i32 s5, s5, s16
	s_cmp_eq_u32 s5, 1
	s_cselect_b64 s[12:13], -1, 0
	s_andn2_b64 vcc, exec, s[6:7]
	s_cbranch_vccnz .LBB616_3
.LBB616_2:
	s_mov_b32 s3, 0
	s_mov_b64 s[12:13], -1
.LBB616_3:
	s_andn2_b64 vcc, exec, s[12:13]
	s_cbranch_vccnz .LBB616_18
; %bb.4:
	s_load_dwordx2 s[6:7], s[0:1], 0x28
	s_lshl_b64 s[16:17], s[2:3], 2
	s_waitcnt lgkmcnt(0)
	s_add_u32 s6, s6, s16
	s_addc_u32 s7, s7, s17
	s_load_dword s33, s[6:7], 0x0
	s_lshl_b32 s18, s26, 8
	s_waitcnt lgkmcnt(0)
	s_cmp_ge_i32 s18, s33
	s_cbranch_scc1 .LBB616_18
; %bb.5:
	s_load_dwordx2 s[6:7], s[0:1], 0x20
	s_load_dword s5, s[0:1], 0x38
	s_add_i32 s12, s33, 15
	s_ashr_i32 s13, s12, 31
	v_and_b32_e32 v1, 0xcf, v0
	s_lshr_b32 s13, s13, 28
	v_add_u32_e32 v1, s18, v1
	s_add_i32 s12, s12, s13
	v_ashrrev_i32_e32 v2, 31, v1
	s_ashr_i32 s19, s12, 4
	v_lshrrev_b32_e32 v4, 28, v2
	s_add_i32 s19, s19, -1
	s_waitcnt lgkmcnt(0)
	s_mul_i32 s12, s2, s5
	s_mov_b32 s13, 0
	v_add_u32_e32 v2, v1, v4
	s_lshl_b64 s[12:13], s[12:13], 2
	v_ashrrev_i32_e32 v2, 4, v2
	v_mov_b32_e32 v5, s19
	v_cmp_gt_i32_e32 vcc, s33, v1
	s_add_u32 s6, s6, s12
	s_addc_u32 s7, s7, s13
	v_cndmask_b32_e32 v2, v5, v2, vcc
	v_ashrrev_i32_e32 v3, 31, v2
	v_lshl_add_u64 v[6:7], v[2:3], 2, s[6:7]
	v_or_b32_e32 v2, 16, v1
	v_add_u32_e32 v3, v2, v4
	v_ashrrev_i32_e32 v3, 4, v3
	v_cmp_gt_i32_e32 vcc, s33, v2
	s_load_dwordx4 s[12:15], s[0:1], 0x8
	s_nop 0
	v_cndmask_b32_e32 v2, v5, v3, vcc
	v_ashrrev_i32_e32 v3, 31, v2
	v_lshl_add_u64 v[8:9], v[2:3], 2, s[6:7]
	v_or_b32_e32 v2, 32, v1
	v_add_u32_e32 v3, v2, v4
	v_ashrrev_i32_e32 v3, 4, v3
	v_cmp_gt_i32_e32 vcc, s33, v2
	v_or_b32_e32 v1, 48, v1
	s_nop 0
	v_cndmask_b32_e32 v2, v5, v3, vcc
	v_ashrrev_i32_e32 v3, 31, v2
	v_lshl_add_u64 v[10:11], v[2:3], 2, s[6:7]
	v_add_u32_e32 v2, v1, v4
	v_ashrrev_i32_e32 v2, 4, v2
	v_cmp_gt_i32_e32 vcc, s33, v1
	s_nop 1
	v_cndmask_b32_e32 v2, v5, v2, vcc
	v_ashrrev_i32_e32 v3, 31, v2
	v_lshl_add_u64 v[12:13], v[2:3], 2, s[6:7]
	global_load_dword v4, v[6:7], off
	global_load_dword v3, v[8:9], off
	;; [unrolled: 1-line block ×4, first 2 shown]
	s_andn2_b64 vcc, exec, s[10:11]
	s_cbranch_vccnz .LBB616_8
; %bb.6:
	s_add_u32 s8, s8, s16
	s_addc_u32 s9, s9, s17
	s_load_dword s5, s[8:9], 0x0
	s_branch .LBB616_9
.LBB616_7:
	s_mov_b64 s[12:13], 0
	s_branch .LBB616_2
.LBB616_8:
	s_mov_b32 s5, s2
.LBB616_9:
	s_load_dwordx4 s[8:11], s[0:1], 0x48
	v_lshrrev_b32_e32 v77, 6, v0
	v_bfe_u32 v86, v0, 4, 2
	v_and_b32_e32 v76, 15, v0
	v_lshl_or_b32 v1, v77, 2, v86
	v_lshlrev_b32_e32 v5, 3, v76
	v_and_b32_e32 v87, 63, v0
	s_mul_i32 s40, s4, 5
	v_cmp_gt_u32_e32 vcc, 5, v1
	v_lshlrev_b32_e32 v74, 1, v5
	s_and_saveexec_b64 s[16:17], vcc
	s_cbranch_execz .LBB616_11
; %bb.10:
	s_load_dwordx2 s[20:21], s[0:1], 0x0
	s_waitcnt lgkmcnt(0)
	s_ashr_i32 s11, s8, 31
	s_mul_hi_u32 s22, s5, s8
	s_mul_i32 s11, s5, s11
	s_add_i32 s23, s22, s11
	s_mul_i32 s22, s5, s8
	s_lshl_b64 s[22:23], s[22:23], 1
	s_add_u32 s20, s20, s22
	v_add_lshl_u32 v6, v1, s40, 7
	s_addc_u32 s21, s21, s23
	v_ashrrev_i32_e32 v7, 31, v6
	v_lshl_add_u64 v[6:7], v[6:7], 1, s[20:21]
	v_mov_b32_e32 v75, 0
	v_lshl_add_u64 v[6:7], v[6:7], 0, v[74:75]
	global_load_dwordx4 v[6:9], v[6:7], off
	v_and_b32_e32 v5, 3, v0
	v_lshlrev_b32_e32 v10, 9, v76
	v_lshlrev_b32_e32 v1, 5, v1
	;; [unrolled: 1-line block ×3, first 2 shown]
	v_and_b32_e32 v10, 0x1800, v10
	v_or3_b32 v1, v10, v5, v1
	s_waitcnt vmcnt(0)
	ds_write_b128 v1, v[6:9]
.LBB616_11:
	s_or_b64 exec, exec, s[16:17]
	s_waitcnt lgkmcnt(0)
	s_mul_i32 s4, s4, s10
	s_mov_b32 s5, 0
	s_lshl_b64 s[4:5], s[4:5], 1
	s_add_u32 s10, s12, s4
	v_lshlrev_b32_e32 v1, 4, v0
	s_addc_u32 s11, s13, s5
	v_and_b32_e32 v34, 0xf0, v1
	v_mov_b32_e32 v35, 0
	v_lshl_add_u64 v[30:31], s[10:11], 0, v[34:35]
	s_waitcnt vmcnt(3)
	v_mad_i64_i32 v[4:5], s[10:11], v4, s9, 0
	v_lshl_add_u64 v[4:5], v[4:5], 1, v[30:31]
	v_and_b32_e32 v34, 0x300, v1
	v_lshl_add_u64 v[32:33], v[4:5], 0, v[34:35]
	s_load_dword s27, s[0:1], 0x98
	s_load_dword s8, s[0:1], 0x1c
	s_waitcnt lgkmcnt(0)
	s_barrier
	global_load_dwordx4 v[6:9], v[32:33], off
	global_load_dwordx4 v[18:21], v[32:33], off offset:1024
	s_waitcnt vmcnt(4)
	v_mad_i64_i32 v[4:5], s[10:11], v3, s9, 0
	s_waitcnt vmcnt(3)
	v_mad_i64_i32 v[2:3], s[10:11], v2, s9, 0
	v_lshl_add_u64 v[4:5], v[4:5], 1, v[30:31]
	v_lshl_add_u64 v[2:3], v[2:3], 1, v[30:31]
	;; [unrolled: 1-line block ×4, first 2 shown]
	global_load_dwordx4 v[14:17], v[36:37], off
	global_load_dwordx4 v[22:25], v[36:37], off offset:1024
	global_load_dwordx4 v[26:29], v[38:39], off
	global_load_dwordx4 v[46:49], v[38:39], off offset:1024
	v_mul_lo_u16_e32 v2, 52, v76
	v_mov_b32_e32 v3, 5
	v_mul_lo_u16_sdwa v2, v2, v3 dst_sel:DWORD dst_unused:UNUSED_PAD src0_sel:BYTE_1 src1_sel:DWORD
	v_sub_u16_e32 v2, v76, v2
	v_lshlrev_b32_sdwa v2, v3, v2 dst_sel:DWORD dst_unused:UNUSED_PAD src0_sel:DWORD src1_sel:BYTE_0
	v_lshl_add_u32 v41, v86, 9, v2
	ds_read_b128 v[10:13], v41
	ds_read_b128 v[2:5], v41 offset:2048
	global_load_dwordx4 v[54:57], v[32:33], off offset:2048
	global_load_dwordx4 v[62:65], v[36:37], off offset:2048
	v_mov_b32_e32 v70, s19
	s_add_u32 s4, s14, s4
	s_addc_u32 s5, s15, s5
	s_mov_b32 s41, 0xff7fffff
	s_waitcnt vmcnt(7) lgkmcnt(1)
	v_mfma_f32_16x16x16_bf16 v[42:45], v[6:7], v[10:11], 0
	v_mfma_f32_16x16x16_bf16 v[6:9], v[8:9], v[12:13], v[42:45]
	s_nop 5
	global_load_dwordx4 v[42:45], v[38:39], off offset:2048
	s_waitcnt vmcnt(6)
	v_mfma_f32_16x16x16_bf16 v[50:53], v[14:15], v[10:11], 0
	s_waitcnt vmcnt(4)
	v_mfma_f32_16x16x16_bf16 v[58:61], v[26:27], v[10:11], 0
	v_mfma_f32_16x16x16_bf16 v[14:17], v[16:17], v[12:13], v[50:53]
	;; [unrolled: 1-line block ×3, first 2 shown]
	s_nop 2
	global_load_dwordx4 v[50:53], v[32:33], off offset:3072
	v_mad_i64_i32 v[32:33], s[10:11], v40, s9, 0
	s_waitcnt lgkmcnt(0)
	v_mfma_f32_16x16x16_bf16 v[6:9], v[18:19], v[2:3], v[6:9]
	v_and_or_b32 v40, v0, 48, s18
	v_ashrrev_i32_e32 v58, 4, v40
	v_cmp_gt_i32_e32 vcc, s33, v40
	v_mfma_f32_16x16x16_bf16 v[14:17], v[22:23], v[2:3], v[14:17]
	v_or_b32_e32 v66, 64, v40
	v_cndmask_b32_e32 v22, v70, v58, vcc
	v_ashrrev_i32_e32 v23, 31, v22
	s_waitcnt vmcnt(4)
	v_mfma_f32_16x16x16_bf16 v[26:29], v[46:47], v[2:3], v[26:29]
	v_or_b32_e32 v71, 0x80, v40
	v_or_b32_e32 v72, 0xc0, v40
	v_ashrrev_i32_e32 v40, 4, v66
	v_mfma_f32_16x16x16_bf16 v[6:9], v[20:21], v[4:5], v[6:9]
	global_load_dwordx4 v[18:21], v[38:39], off offset:3072
	v_cmp_gt_i32_e32 vcc, s33, v66
	v_lshl_add_u64 v[22:23], v[22:23], 2, s[6:7]
	global_load_dwordx4 v[58:61], v[36:37], off offset:3072
	v_cndmask_b32_e32 v36, v70, v40, vcc
	v_mfma_f32_16x16x16_bf16 v[14:17], v[24:25], v[4:5], v[14:17]
	global_load_dword v78, v[22:23], off
	ds_read_b128 v[66:69], v41 offset:4096
	v_ashrrev_i32_e32 v37, 31, v36
	v_mfma_f32_16x16x16_bf16 v[22:25], v[48:49], v[4:5], v[26:29]
	v_ashrrev_i32_e32 v73, 4, v71
	v_cmp_gt_i32_e32 vcc, s33, v71
	v_ashrrev_i32_e32 v75, 4, v72
	v_lshl_add_u64 v[26:27], v[32:33], 1, v[30:31]
	v_lshl_add_u64 v[26:27], v[26:27], 0, v[34:35]
	v_lshl_add_u64 v[28:29], v[36:37], 2, s[6:7]
	global_load_dwordx4 v[46:49], v[26:27], off
	global_load_dword v36, v[28:29], off
	s_waitcnt vmcnt(8) lgkmcnt(0)
	v_mfma_f32_16x16x16_bf16 v[6:9], v[54:55], v[66:67], v[6:9]
	v_cndmask_b32_e32 v28, v70, v73, vcc
	v_ashrrev_i32_e32 v29, 31, v28
	v_lshl_add_u64 v[28:29], v[28:29], 2, s[6:7]
	v_mfma_f32_16x16x16_bf16 v[6:9], v[56:57], v[68:69], v[6:9]
	global_load_dwordx4 v[54:57], v[26:27], off offset:1024
	v_cmp_gt_i32_e32 vcc, s33, v72
	global_load_dword v84, v[28:29], off
	s_waitcnt vmcnt(9)
	v_mfma_f32_16x16x16_bf16 v[14:17], v[62:63], v[66:67], v[14:17]
	v_cndmask_b32_e32 v28, v70, v75, vcc
	v_ashrrev_i32_e32 v29, 31, v28
	v_lshl_add_u64 v[28:29], v[28:29], 2, s[6:7]
	v_mfma_f32_16x16x16_bf16 v[14:17], v[64:65], v[68:69], v[14:17]
	global_load_dword v64, v[28:29], off
	ds_read_b128 v[38:41], v41 offset:6144
	v_lshl_or_b32 v75, v77, 4, v76
	v_lshlrev_b32_e32 v34, 5, v75
	v_lshl_add_u64 v[62:63], s[4:5], 0, v[34:35]
	v_or_b32_e32 v34, 0x800, v34
	s_waitcnt vmcnt(9)
	v_mfma_f32_16x16x16_bf16 v[22:25], v[42:43], v[66:67], v[22:25]
	global_load_dwordx4 v[70:73], v[26:27], off offset:3072
	v_mfma_f32_16x16x16_bf16 v[22:25], v[44:45], v[68:69], v[22:25]
	global_load_dwordx4 v[42:45], v[26:27], off offset:2048
	s_waitcnt vmcnt(10) lgkmcnt(0)
	v_mfma_f32_16x16x16_bf16 v[6:9], v[50:51], v[38:39], v[6:9]
	s_waitcnt vmcnt(9)
	v_mfma_f32_16x16x16_bf16 v[22:25], v[18:19], v[38:39], v[22:25]
	s_waitcnt vmcnt(7)
	v_mad_i64_i32 v[18:19], s[6:7], v78, s9, 0
	v_lshlrev_b64 v[82:83], 1, v[18:19]
	v_mfma_f32_16x16x16_bf16 v[78:81], v[52:53], v[40:41], v[6:9]
	s_nop 2
	v_lshl_add_u64 v[6:7], v[62:63], 0, v[82:83]
	global_load_dwordx4 v[30:33], v[6:7], off
	global_load_dwordx4 v[26:29], v[6:7], off offset:16
	v_mfma_f32_16x16x16_bf16 v[88:91], v[20:21], v[40:41], v[22:25]
	s_waitcnt vmcnt(7)
	v_mad_i64_i32 v[6:7], s[6:7], v36, s9, 0
	v_lshlrev_b64 v[36:37], 1, v[6:7]
	v_lshl_add_u64 v[6:7], v[62:63], 0, v[36:37]
	global_load_dwordx4 v[22:25], v[6:7], off
	global_load_dwordx4 v[18:21], v[6:7], off offset:16
	v_mfma_f32_16x16x16_bf16 v[6:9], v[46:47], v[10:11], 0
	s_waitcnt vmcnt(7)
	v_mad_i64_i32 v[10:11], s[6:7], v84, s9, 0
	v_mfma_f32_16x16x16_bf16 v[6:9], v[48:49], v[12:13], v[6:9]
	v_lshlrev_b64 v[50:51], 1, v[10:11]
	v_lshl_add_u64 v[10:11], v[62:63], 0, v[50:51]
	v_mfma_f32_16x16x16_bf16 v[6:9], v[54:55], v[2:3], v[6:9]
	s_waitcnt vmcnt(6)
	v_mad_i64_i32 v[2:3], s[6:7], v64, s9, 0
	v_lshlrev_b64 v[52:53], 1, v[2:3]
	v_mfma_f32_16x16x16_bf16 v[46:49], v[56:57], v[4:5], v[6:9]
	v_lshl_add_u64 v[2:3], v[62:63], 0, v[52:53]
	v_pk_mul_f32 v[62:63], s[8:9], v[78:79] op_sel_hi:[0,1]
	v_lshl_add_u64 v[64:65], s[4:5], 0, v[34:35]
	v_mfma_f32_16x16x16_bf16 v[14:17], v[58:59], v[38:39], v[14:17]
	v_lshl_add_u64 v[34:35], v[64:65], 0, v[82:83]
	v_pk_mul_f32 v[82:83], s[8:9], v[80:81] op_sel_hi:[0,1]
	v_pk_mul_f32 v[78:79], s[8:9], v[88:89] op_sel_hi:[0,1]
	v_mfma_f32_16x16x16_bf16 v[58:61], v[60:61], v[40:41], v[14:17]
	v_pk_mul_f32 v[80:81], s[8:9], v[90:91] op_sel_hi:[0,1]
	s_nop 1
	global_load_dwordx4 v[14:17], v[10:11], off
	s_nop 0
	global_load_dwordx4 v[10:13], v[10:11], off offset:16
	s_nop 0
	global_load_dwordx4 v[6:9], v[2:3], off
	s_nop 0
	global_load_dwordx4 v[2:5], v[2:3], off offset:16
	s_waitcnt vmcnt(8)
	v_mfma_f32_16x16x16_bf16 v[46:49], v[42:43], v[66:67], v[46:49]
	v_pk_mul_f32 v[84:85], s[8:9], v[60:61] op_sel_hi:[0,1]
	v_lshl_add_u64 v[50:51], v[64:65], 0, v[50:51]
	v_mfma_f32_16x16x16_bf16 v[42:45], v[44:45], v[68:69], v[46:49]
	v_mfma_f32_16x16x16_bf16 v[42:45], v[70:71], v[38:39], v[42:45]
	v_pk_mul_f32 v[70:71], s[8:9], v[58:59] op_sel_hi:[0,1]
	v_mfma_f32_16x16x16_bf16 v[38:41], v[72:73], v[40:41], v[42:45]
	s_nop 6
	v_pk_mul_f32 v[72:73], s[8:9], v[38:39] op_sel_hi:[0,1]
	v_and_b32_e32 v38, 0xc0, v0
	v_add_u32_e32 v38, s18, v38
	v_lshl_or_b32 v38, v86, 2, v38
	v_pk_mul_f32 v[66:67], s[8:9], v[40:41] op_sel_hi:[0,1]
	v_or_b32_e32 v41, 1, v38
	v_mov_b32_e32 v39, 0xff7fffff
	v_cmp_gt_i32_e64 s[28:29], s33, v38
	v_cmp_gt_i32_e64 s[30:31], s33, v41
	v_or_b32_e32 v42, 3, v38
	v_cndmask_b32_e64 v40, v39, v62, s[28:29]
	v_cndmask_b32_e64 v41, v39, v63, s[30:31]
	v_max3_f32 v40, v40, s41, v41
	v_or_b32_e32 v41, 2, v38
	v_cmp_gt_i32_e64 s[34:35], s33, v41
	v_cmp_gt_i32_e64 s[36:37], s33, v42
	s_nop 0
	v_cndmask_b32_e64 v41, v39, v82, s[34:35]
	v_cndmask_b32_e64 v42, v39, v83, s[36:37]
	v_max3_f32 v40, v40, v41, v42
	v_or_b32_e32 v41, 16, v38
	v_or_b32_e32 v42, 17, v38
	v_cmp_gt_i32_e64 s[22:23], s33, v41
	v_cmp_gt_i32_e64 s[24:25], s33, v42
	s_nop 0
	v_cndmask_b32_e64 v41, v39, v70, s[22:23]
	v_cndmask_b32_e64 v42, v39, v71, s[24:25]
	v_max3_f32 v40, v40, v41, v42
	v_or_b32_e32 v41, 18, v38
	;; [unrolled: 8-line block ×6, first 2 shown]
	v_or_b32_e32 v38, 51, v38
	v_cmp_gt_i32_e32 vcc, s33, v41
	v_cmp_gt_i32_e64 s[4:5], s33, v38
	s_nop 0
	v_cndmask_b32_e32 v41, v39, v66, vcc
	v_cndmask_b32_e64 v38, v39, v67, s[4:5]
	v_max3_f32 v54, v40, v41, v38
	v_mbcnt_lo_u32_b32 v38, -1, 0
	v_mbcnt_hi_u32_b32 v55, -1, v38
	v_and_b32_e32 v38, 64, v55
	v_add_u32_e32 v56, 64, v38
	v_xor_b32_e32 v38, 32, v55
	v_cmp_lt_i32_e64 s[38:39], v38, v56
	s_nop 1
	v_cndmask_b32_e64 v38, v55, v38, s[38:39]
	v_lshlrev_b32_e32 v89, 2, v38
	ds_bpermute_b32 v57, v89, v54
	global_load_dwordx4 v[46:49], v[34:35], off
	global_load_dwordx4 v[38:41], v[34:35], off offset:16
	v_lshl_add_u64 v[34:35], v[64:65], 0, v[36:37]
	global_load_dwordx4 v[42:45], v[34:35], off
	s_nop 0
	global_load_dwordx4 v[34:37], v[34:35], off offset:16
	s_waitcnt lgkmcnt(0)
	v_max_f32_e32 v57, v57, v57
	v_max_f32_e32 v68, v54, v57
	v_xor_b32_e32 v54, 16, v55
	v_cmp_lt_i32_e64 s[38:39], v54, v56
	s_nop 1
	v_cndmask_b32_e64 v54, v55, v54, s[38:39]
	v_lshlrev_b32_e32 v90, 2, v54
	ds_bpermute_b32 v69, v90, v68
	global_load_dwordx4 v[58:61], v[50:51], off
	global_load_dwordx4 v[54:57], v[50:51], off offset:16
	v_lshl_add_u64 v[50:51], v[64:65], 0, v[52:53]
	s_waitcnt lgkmcnt(0)
	v_max_f32_e32 v52, v69, v69
	v_max_f32_e32 v88, v68, v52
	v_sub_f32_e32 v52, v62, v88
	v_mul_f32_e32 v52, 0x3fb8aa3b, v52
	v_exp_f32_e32 v68, v52
	v_sub_f32_e32 v52, v63, v88
	v_mul_f32_e32 v52, 0x3fb8aa3b, v52
	v_exp_f32_e32 v69, v52
	global_load_dwordx4 v[62:65], v[50:51], off
	s_nop 0
	global_load_dwordx4 v[50:53], v[50:51], off offset:16
	v_sub_f32_e32 v82, v82, v88
	v_mul_f32_e32 v82, 0x3fb8aa3b, v82
	v_sub_f32_e32 v83, v83, v88
	v_exp_f32_e32 v82, v82
	v_mul_f32_e32 v83, 0x3fb8aa3b, v83
	v_sub_f32_e32 v70, v70, v88
	v_exp_f32_e32 v83, v83
	v_mul_f32_e32 v70, 0x3fb8aa3b, v70
	v_sub_f32_e32 v71, v71, v88
	v_cndmask_b32_e64 v68, 0, v68, s[28:29]
	v_exp_f32_e32 v70, v70
	v_mul_f32_e32 v71, 0x3fb8aa3b, v71
	v_sub_f32_e32 v84, v84, v88
	v_add_f32_e32 v91, 0, v68
	v_cndmask_b32_e64 v69, 0, v69, s[30:31]
	v_exp_f32_e32 v71, v71
	v_mul_f32_e32 v84, 0x3fb8aa3b, v84
	v_sub_f32_e32 v85, v85, v88
	v_add_f32_e32 v91, v91, v69
	;; [unrolled: 5-line block ×10, first 2 shown]
	v_cndmask_b32_e64 v80, 0, v80, s[10:11]
	v_exp_f32_e32 v66, v66
	v_mul_f32_e32 v67, 0x3fb8aa3b, v67
	v_add_f32_e32 v91, v91, v80
	v_cndmask_b32_e64 v81, 0, v81, s[12:13]
	v_exp_f32_e32 v67, v67
	v_add_f32_e32 v91, v91, v81
	v_cndmask_b32_e64 v72, 0, v72, s[6:7]
	v_add_f32_e32 v91, v91, v72
	v_cndmask_b32_e64 v73, 0, v73, s[8:9]
	v_add_f32_e32 v91, v91, v73
	v_cndmask_b32_e32 v66, 0, v66, vcc
	v_add_f32_e32 v91, v91, v66
	v_cndmask_b32_e64 v67, 0, v67, s[4:5]
	v_add_f32_e32 v91, v91, v67
	ds_bpermute_b32 v89, v89, v91
	v_cmp_gt_u32_e64 s[4:5], 16, v87
	s_waitcnt lgkmcnt(0)
	s_barrier
	v_add_f32_e32 v89, v91, v89
	ds_bpermute_b32 v90, v90, v89
	s_and_saveexec_b64 s[6:7], s[4:5]
	s_cbranch_execz .LBB616_13
; %bb.12:
	s_waitcnt lgkmcnt(0)
	v_add_f32_e32 v87, v89, v90
	v_lshlrev_b32_e32 v75, 2, v75
	ds_write2st64_b32 v75, v88, v87 offset1:1
.LBB616_13:
	s_or_b64 exec, exec, s[6:7]
	v_lshlrev_b32_e32 v75, 2, v76
	s_load_dword s8, s[0:1], 0x94
	s_waitcnt lgkmcnt(0)
	s_barrier
	ds_read2_b32 v[88:89], v75 offset1:16
	ds_read2_b32 v[90:91], v75 offset0:32 offset1:48
	ds_read2_b32 v[92:93], v75 offset0:64 offset1:80
	;; [unrolled: 1-line block ×3, first 2 shown]
	s_movk_i32 s10, 0x7fff
	s_waitcnt lgkmcnt(3)
	v_max3_f32 v87, v88, s41, v89
	s_waitcnt lgkmcnt(2)
	v_max3_f32 v87, v87, v90, v91
	v_sub_f32_e32 v88, v88, v87
	v_mul_f32_e32 v88, 0x3fb8aa3b, v88
	v_exp_f32_e32 v1, v88
	v_sub_f32_e32 v88, v89, v87
	v_mul_f32_e32 v88, 0x3fb8aa3b, v88
	v_exp_f32_e32 v89, v88
	v_sub_f32_e32 v88, v90, v87
	v_mul_f32_e32 v88, 0x3fb8aa3b, v88
	v_sub_f32_e32 v75, v91, v87
	v_exp_f32_e32 v90, v88
	v_mul_f32_e32 v75, 0x3fb8aa3b, v75
	v_exp_f32_e32 v75, v75
	s_waitcnt lgkmcnt(1)
	v_fma_f32 v88, v1, v92, 0
	v_fmac_f32_e32 v88, v89, v93
	s_waitcnt lgkmcnt(0)
	v_fmac_f32_e32 v88, v90, v94
	v_fmac_f32_e32 v88, v75, v95
	v_add_f32_e32 v91, 0x358637bd, v88
	v_div_scale_f32 v92, s[6:7], v91, v91, 1.0
	v_rcp_f32_e32 v93, v92
	s_mov_b32 s11, 0x7060302
	s_barrier
	v_fma_f32 v94, -v92, v93, 1.0
	v_fmac_f32_e32 v93, v94, v93
	v_div_scale_f32 v94, vcc, 1.0, v91, 1.0
	v_mul_f32_e32 v95, v94, v93
	v_fma_f32 v86, -v92, v95, v94
	v_fmac_f32_e32 v95, v86, v93
	v_fma_f32 v86, -v92, v95, v94
	v_div_fmas_f32 v86, v86, v93, v95
	v_cmp_eq_u32_e32 vcc, 1, v77
	v_div_fixup_f32 v86, v86, v91, 1.0
	s_nop 0
	v_cndmask_b32_e32 v1, v1, v89, vcc
	v_cmp_eq_u32_e32 vcc, 2, v77
	s_mul_i32 s9, s27, 5
	s_nop 0
	v_cndmask_b32_e32 v1, v1, v90, vcc
	v_cmp_eq_u32_e32 vcc, 3, v77
	s_nop 1
	v_cndmask_b32_e32 v1, v1, v75, vcc
	v_mul_f32_e32 v90, v1, v86
	v_pk_mul_f32 v[68:69], v[90:91], v[68:69] op_sel_hi:[0,1]
	v_bfe_u32 v1, v69, 16, 1
	v_bfe_u32 v75, v68, 16, 1
	v_pk_mul_f32 v[82:83], v[90:91], v[82:83] op_sel_hi:[0,1]
	v_add3_u32 v68, v68, v75, s10
	v_add3_u32 v1, v69, v1, s10
	v_perm_b32 v92, v1, v68, s11
	v_bfe_u32 v1, v83, 16, 1
	v_bfe_u32 v68, v82, 16, 1
	v_add3_u32 v68, v82, v68, s10
	v_add3_u32 v1, v83, v1, s10
	v_bfe_u32 v86, v0, 4, 2
	v_perm_b32 v93, v1, v68, s11
	v_lshlrev_b32_e32 v1, 3, v86
	v_lshlrev_b32_e32 v68, 5, v76
	v_lshlrev_b32_e32 v69, 11, v77
	v_pk_mul_f32 v[70:71], v[90:91], v[70:71] op_sel_hi:[0,1]
	v_or3_b32 v75, v69, v68, v1
	v_bfe_u32 v1, v71, 16, 1
	v_bfe_u32 v69, v70, 16, 1
	v_pk_mul_f32 v[82:83], v[90:91], v[84:85] op_sel_hi:[0,1]
	v_add3_u32 v69, v70, v69, s10
	v_add3_u32 v1, v71, v1, s10
	v_perm_b32 v70, v1, v69, s11
	v_bfe_u32 v1, v83, 16, 1
	v_bfe_u32 v69, v82, 16, 1
	v_add3_u32 v69, v82, v69, s10
	v_add3_u32 v1, v83, v1, s10
	v_pk_mul_f32 v[78:79], v[90:91], v[78:79] op_sel_hi:[0,1]
	v_perm_b32 v71, v1, v69, s11
	v_bfe_u32 v1, v79, 16, 1
	v_bfe_u32 v69, v78, 16, 1
	ds_write2st64_b64 v75, v[92:93], v[70:71] offset1:1
	v_pk_mul_f32 v[70:71], v[90:91], v[80:81] op_sel_hi:[0,1]
	v_add3_u32 v69, v78, v69, s10
	v_add3_u32 v1, v79, v1, s10
	v_perm_b32 v78, v1, v69, s11
	v_bfe_u32 v1, v71, 16, 1
	v_bfe_u32 v69, v70, 16, 1
	v_add3_u32 v69, v70, v69, s10
	v_add3_u32 v1, v71, v1, s10
	v_pk_mul_f32 v[70:71], v[90:91], v[72:73] op_sel_hi:[0,1]
	v_perm_b32 v79, v1, v69, s11
	v_bfe_u32 v1, v71, 16, 1
	v_bfe_u32 v69, v70, 16, 1
	v_pk_mul_f32 v[66:67], v[90:91], v[66:67] op_sel_hi:[0,1]
	v_add3_u32 v69, v70, v69, s10
	v_add3_u32 v1, v71, v1, s10
	v_perm_b32 v70, v1, v69, s11
	v_bfe_u32 v1, v67, 16, 1
	v_bfe_u32 v69, v66, 16, 1
	v_add3_u32 v66, v66, v69, s10
	v_add3_u32 v1, v67, v1, s10
	v_perm_b32 v71, v1, v66, s11
	v_cmp_gt_u32_e32 vcc, 5, v0
	ds_write2st64_b64 v75, v[78:79], v[70:71] offset0:2 offset1:3
	s_and_saveexec_b64 s[6:7], vcc
	s_cbranch_execz .LBB616_15
; %bb.14:
	s_mov_b32 s41, 0
	v_mov_b32_e32 v77, 0
	v_lshl_add_u64 v[66:67], s[40:41], 0, v[76:77]
	v_mov_b32_e32 v1, s9
	v_mad_u64_u32 v[66:67], s[16:17], s2, v1, v[66:67]
	s_mul_i32 s3, s3, s9
	v_mov_b32_e32 v70, s26
	v_mov_b32_e32 v71, v77
	s_load_dwordx4 s[12:15], s[0:1], 0x58
	v_add_u32_e32 v1, s3, v67
	v_mad_u64_u32 v[66:67], s[16:17], v66, s8, v[70:71]
	v_mov_b32_e32 v70, v67
	v_mad_u64_u32 v[70:71], s[16:17], v1, s8, v[70:71]
	v_mov_b32_e32 v67, v70
	v_lshlrev_b64 v[66:67], 2, v[66:67]
	s_waitcnt lgkmcnt(0)
	v_lshl_add_u64 v[70:71], s[14:15], 0, v[66:67]
	v_lshl_add_u64 v[66:67], s[12:13], 0, v[66:67]
	global_store_dword v[70:71], v87, off
	global_store_dword v[66:67], v88, off
.LBB616_15:
	s_or_b64 exec, exec, s[6:7]
	v_lshl_or_b32 v1, v86, 9, v68
	s_waitcnt lgkmcnt(0)
	s_barrier
	ds_read_b128 v[70:73], v1
	ds_read_b128 v[66:69], v1 offset:16
	s_waitcnt vmcnt(15) lgkmcnt(1)
	v_mfma_f32_16x16x16_bf16 v[78:81], v[30:31], v[70:71], 0
	s_mov_b32 s3, 0
	v_cmp_gt_u32_e32 vcc, 64, v0
	v_mfma_f32_16x16x16_bf16 v[30:33], v[32:33], v[72:73], v[78:81]
	s_waitcnt vmcnt(14) lgkmcnt(0)
	v_mfma_f32_16x16x16_bf16 v[30:33], v[26:27], v[66:67], v[30:33]
	v_mfma_f32_16x16x16_bf16 v[26:29], v[28:29], v[68:69], v[30:33]
	s_nop 5
	ds_read_b128 v[30:33], v1 offset:2048
	ds_read_b128 v[78:81], v1 offset:2064
	s_waitcnt vmcnt(13) lgkmcnt(1)
	v_mfma_f32_16x16x16_bf16 v[26:29], v[22:23], v[30:31], v[26:29]
	v_mfma_f32_16x16x16_bf16 v[22:25], v[24:25], v[32:33], v[26:29]
	s_waitcnt vmcnt(12) lgkmcnt(0)
	v_mfma_f32_16x16x16_bf16 v[22:25], v[18:19], v[78:79], v[22:25]
	v_mfma_f32_16x16x16_bf16 v[18:21], v[20:21], v[80:81], v[22:25]
	s_nop 5
	ds_read_b128 v[22:25], v1 offset:4096
	ds_read_b128 v[26:29], v1 offset:4112
	s_waitcnt vmcnt(11) lgkmcnt(1)
	v_mfma_f32_16x16x16_bf16 v[18:21], v[14:15], v[22:23], v[18:21]
	v_mfma_f32_16x16x16_bf16 v[14:17], v[16:17], v[24:25], v[18:21]
	s_waitcnt vmcnt(10) lgkmcnt(0)
	v_mfma_f32_16x16x16_bf16 v[14:17], v[10:11], v[26:27], v[14:17]
	v_mfma_f32_16x16x16_bf16 v[10:13], v[12:13], v[28:29], v[14:17]
	s_nop 5
	ds_read_b128 v[14:17], v1 offset:6144
	ds_read_b128 v[18:21], v1 offset:6160
	s_waitcnt lgkmcnt(0)
	s_barrier
	s_waitcnt vmcnt(9)
	v_mfma_f32_16x16x16_bf16 v[10:13], v[6:7], v[14:15], v[10:13]
	v_mfma_f32_16x16x16_bf16 v[6:9], v[8:9], v[16:17], v[10:13]
	s_waitcnt vmcnt(8)
	v_mfma_f32_16x16x16_bf16 v[6:9], v[2:3], v[18:19], v[6:9]
	v_mfma_f32_16x16x16_bf16 v[2:5], v[4:5], v[20:21], v[6:9]
	;; [unrolled: 3-line block ×3, first 2 shown]
	s_nop 3
	v_bfe_u32 v1, v3, 16, 1
	v_bfe_u32 v10, v2, 16, 1
	v_add3_u32 v2, v2, v10, s10
	s_waitcnt vmcnt(6)
	v_mfma_f32_16x16x16_bf16 v[6:9], v[38:39], v[66:67], v[6:9]
	v_add3_u32 v1, v3, v1, s10
	v_perm_b32 v10, v1, v2, s11
	v_bfe_u32 v1, v5, 16, 1
	v_mfma_f32_16x16x16_bf16 v[6:9], v[40:41], v[68:69], v[6:9]
	v_bfe_u32 v2, v4, 16, 1
	v_add3_u32 v2, v4, v2, s10
	v_add3_u32 v1, v5, v1, s10
	s_waitcnt vmcnt(5)
	v_mfma_f32_16x16x16_bf16 v[6:9], v[42:43], v[30:31], v[6:9]
	v_perm_b32 v11, v1, v2, s11
	v_mfma_f32_16x16x16_bf16 v[6:9], v[44:45], v[32:33], v[6:9]
	s_waitcnt vmcnt(4)
	v_mfma_f32_16x16x16_bf16 v[6:9], v[34:35], v[78:79], v[6:9]
	v_mfma_f32_16x16x16_bf16 v[6:9], v[36:37], v[80:81], v[6:9]
	s_waitcnt vmcnt(3)
	v_mfma_f32_16x16x16_bf16 v[6:9], v[58:59], v[22:23], v[6:9]
	;; [unrolled: 3-line block ×5, first 2 shown]
	v_mfma_f32_16x16x16_bf16 v[2:5], v[52:53], v[20:21], v[6:9]
	s_nop 6
	v_bfe_u32 v1, v3, 16, 1
	v_bfe_u32 v6, v2, 16, 1
	v_add3_u32 v2, v2, v6, s10
	v_add3_u32 v1, v3, v1, s10
	v_perm_b32 v2, v1, v2, s11
	v_bfe_u32 v1, v5, 16, 1
	v_bfe_u32 v3, v4, 16, 1
	v_add3_u32 v3, v4, v3, s10
	v_add3_u32 v1, v5, v1, s10
	v_perm_b32 v3, v1, v3, s11
	ds_write2st64_b64 v75, v[10:11], v[2:3] offset1:1
	s_waitcnt lgkmcnt(0)
	s_barrier
	s_and_saveexec_b64 s[6:7], vcc
	s_cbranch_execz .LBB616_18
; %bb.16:
	s_load_dwordx2 s[6:7], s[0:1], 0x68
	s_lshl_b32 s0, s8, 7
	s_mul_i32 s1, s9, s2
	v_lshlrev_b32_e32 v3, 6, v76
	s_mul_hi_u32 s9, s1, s0
	s_mul_i32 s8, s1, s0
	v_lshlrev_b32_e32 v2, 4, v0
	v_lshl_or_b32 v0, v0, 10, v3
	s_lshl_b64 s[8:9], s[8:9], 1
	v_lshlrev_b32_e32 v1, 5, v86
	v_and_b32_e32 v2, 16, v2
	v_and_b32_e32 v0, 0x1a00, v0
	s_waitcnt lgkmcnt(0)
	s_add_u32 s1, s6, s8
	v_or3_b32 v2, v0, v1, v2
	s_addc_u32 s6, s7, s9
	s_lshl_b32 s2, s26, 7
	s_lshl_b64 s[2:3], s[2:3], 1
	ds_read_b128 v[4:7], v2
	s_add_u32 s2, s1, s2
	s_addc_u32 s3, s6, s3
	v_mov_b32_e32 v75, 0
	v_add_u32_e32 v3, s40, v86
	v_lshl_add_u64 v[0:1], s[2:3], 0, v[74:75]
	v_mad_u64_u32 v[8:9], s[2:3], v3, s0, 0
	v_lshl_add_u64 v[8:9], v[8:9], 1, v[0:1]
	s_waitcnt lgkmcnt(0)
	global_store_dwordx4 v[8:9], v[4:7], off
	s_and_b64 exec, exec, s[4:5]
	s_cbranch_execz .LBB616_18
; %bb.17:
	ds_read_b128 v[2:5], v2 offset:128
	v_add3_u32 v6, s40, v86, 4
	v_mad_u64_u32 v[6:7], s[0:1], v6, s0, 0
	v_lshl_add_u64 v[0:1], v[6:7], 1, v[0:1]
	s_waitcnt lgkmcnt(0)
	global_store_dwordx4 v[0:1], v[2:5], off
.LBB616_18:
	s_endpgm
	.section	.rodata,"a",@progbits
	.p2align	6, 0x0
	.amdhsa_kernel _Z39paged_attention_ll4mi_QKV_mfma16_kernelI14__hip_bfloat16S0_LN4vllm18Fp8KVCacheDataTypeE0EhLi16ELi128ELi256ELb0ELi5EEvPKT_PKT0_S8_ifPKiSA_SA_iPKfiiiPfSD_PS3_PT2_iSC_SC_
		.amdhsa_group_segment_fixed_size 8192
		.amdhsa_private_segment_fixed_size 0
		.amdhsa_kernarg_size 400
		.amdhsa_user_sgpr_count 2
		.amdhsa_user_sgpr_dispatch_ptr 0
		.amdhsa_user_sgpr_queue_ptr 0
		.amdhsa_user_sgpr_kernarg_segment_ptr 1
		.amdhsa_user_sgpr_dispatch_id 0
		.amdhsa_user_sgpr_kernarg_preload_length 0
		.amdhsa_user_sgpr_kernarg_preload_offset 0
		.amdhsa_user_sgpr_private_segment_size 0
		.amdhsa_uses_dynamic_stack 0
		.amdhsa_enable_private_segment 0
		.amdhsa_system_sgpr_workgroup_id_x 1
		.amdhsa_system_sgpr_workgroup_id_y 1
		.amdhsa_system_sgpr_workgroup_id_z 1
		.amdhsa_system_sgpr_workgroup_info 0
		.amdhsa_system_vgpr_workitem_id 0
		.amdhsa_next_free_vgpr 96
		.amdhsa_next_free_sgpr 42
		.amdhsa_accum_offset 96
		.amdhsa_reserve_vcc 1
		.amdhsa_float_round_mode_32 0
		.amdhsa_float_round_mode_16_64 0
		.amdhsa_float_denorm_mode_32 3
		.amdhsa_float_denorm_mode_16_64 3
		.amdhsa_dx10_clamp 1
		.amdhsa_ieee_mode 1
		.amdhsa_fp16_overflow 0
		.amdhsa_tg_split 0
		.amdhsa_exception_fp_ieee_invalid_op 0
		.amdhsa_exception_fp_denorm_src 0
		.amdhsa_exception_fp_ieee_div_zero 0
		.amdhsa_exception_fp_ieee_overflow 0
		.amdhsa_exception_fp_ieee_underflow 0
		.amdhsa_exception_fp_ieee_inexact 0
		.amdhsa_exception_int_div_zero 0
	.end_amdhsa_kernel
	.section	.text._Z39paged_attention_ll4mi_QKV_mfma16_kernelI14__hip_bfloat16S0_LN4vllm18Fp8KVCacheDataTypeE0EhLi16ELi128ELi256ELb0ELi5EEvPKT_PKT0_S8_ifPKiSA_SA_iPKfiiiPfSD_PS3_PT2_iSC_SC_,"axG",@progbits,_Z39paged_attention_ll4mi_QKV_mfma16_kernelI14__hip_bfloat16S0_LN4vllm18Fp8KVCacheDataTypeE0EhLi16ELi128ELi256ELb0ELi5EEvPKT_PKT0_S8_ifPKiSA_SA_iPKfiiiPfSD_PS3_PT2_iSC_SC_,comdat
.Lfunc_end616:
	.size	_Z39paged_attention_ll4mi_QKV_mfma16_kernelI14__hip_bfloat16S0_LN4vllm18Fp8KVCacheDataTypeE0EhLi16ELi128ELi256ELb0ELi5EEvPKT_PKT0_S8_ifPKiSA_SA_iPKfiiiPfSD_PS3_PT2_iSC_SC_, .Lfunc_end616-_Z39paged_attention_ll4mi_QKV_mfma16_kernelI14__hip_bfloat16S0_LN4vllm18Fp8KVCacheDataTypeE0EhLi16ELi128ELi256ELb0ELi5EEvPKT_PKT0_S8_ifPKiSA_SA_iPKfiiiPfSD_PS3_PT2_iSC_SC_
                                        ; -- End function
	.section	.AMDGPU.csdata,"",@progbits
; Kernel info:
; codeLenInByte = 4700
; NumSgprs: 48
; NumVgprs: 96
; NumAgprs: 0
; TotalNumVgprs: 96
; ScratchSize: 0
; MemoryBound: 0
; FloatMode: 240
; IeeeMode: 1
; LDSByteSize: 8192 bytes/workgroup (compile time only)
; SGPRBlocks: 5
; VGPRBlocks: 11
; NumSGPRsForWavesPerEU: 48
; NumVGPRsForWavesPerEU: 96
; AccumOffset: 96
; Occupancy: 5
; WaveLimiterHint : 1
; COMPUTE_PGM_RSRC2:SCRATCH_EN: 0
; COMPUTE_PGM_RSRC2:USER_SGPR: 2
; COMPUTE_PGM_RSRC2:TRAP_HANDLER: 0
; COMPUTE_PGM_RSRC2:TGID_X_EN: 1
; COMPUTE_PGM_RSRC2:TGID_Y_EN: 1
; COMPUTE_PGM_RSRC2:TGID_Z_EN: 1
; COMPUTE_PGM_RSRC2:TIDIG_COMP_CNT: 0
; COMPUTE_PGM_RSRC3_GFX90A:ACCUM_OFFSET: 23
; COMPUTE_PGM_RSRC3_GFX90A:TG_SPLIT: 0
	.section	.text._Z39paged_attention_ll4mi_QKV_mfma16_kernelI14__hip_bfloat16S0_LN4vllm18Fp8KVCacheDataTypeE0EhLi16ELi128ELi256ELb0ELi6EEvPKT_PKT0_S8_ifPKiSA_SA_iPKfiiiPfSD_PS3_PT2_iSC_SC_,"axG",@progbits,_Z39paged_attention_ll4mi_QKV_mfma16_kernelI14__hip_bfloat16S0_LN4vllm18Fp8KVCacheDataTypeE0EhLi16ELi128ELi256ELb0ELi6EEvPKT_PKT0_S8_ifPKiSA_SA_iPKfiiiPfSD_PS3_PT2_iSC_SC_,comdat
	.protected	_Z39paged_attention_ll4mi_QKV_mfma16_kernelI14__hip_bfloat16S0_LN4vllm18Fp8KVCacheDataTypeE0EhLi16ELi128ELi256ELb0ELi6EEvPKT_PKT0_S8_ifPKiSA_SA_iPKfiiiPfSD_PS3_PT2_iSC_SC_ ; -- Begin function _Z39paged_attention_ll4mi_QKV_mfma16_kernelI14__hip_bfloat16S0_LN4vllm18Fp8KVCacheDataTypeE0EhLi16ELi128ELi256ELb0ELi6EEvPKT_PKT0_S8_ifPKiSA_SA_iPKfiiiPfSD_PS3_PT2_iSC_SC_
	.globl	_Z39paged_attention_ll4mi_QKV_mfma16_kernelI14__hip_bfloat16S0_LN4vllm18Fp8KVCacheDataTypeE0EhLi16ELi128ELi256ELb0ELi6EEvPKT_PKT0_S8_ifPKiSA_SA_iPKfiiiPfSD_PS3_PT2_iSC_SC_
	.p2align	8
	.type	_Z39paged_attention_ll4mi_QKV_mfma16_kernelI14__hip_bfloat16S0_LN4vllm18Fp8KVCacheDataTypeE0EhLi16ELi128ELi256ELb0ELi6EEvPKT_PKT0_S8_ifPKiSA_SA_iPKfiiiPfSD_PS3_PT2_iSC_SC_,@function
_Z39paged_attention_ll4mi_QKV_mfma16_kernelI14__hip_bfloat16S0_LN4vllm18Fp8KVCacheDataTypeE0EhLi16ELi128ELi256ELb0ELi6EEvPKT_PKT0_S8_ifPKiSA_SA_iPKfiiiPfSD_PS3_PT2_iSC_SC_: ; @_Z39paged_attention_ll4mi_QKV_mfma16_kernelI14__hip_bfloat16S0_LN4vllm18Fp8KVCacheDataTypeE0EhLi16ELi128ELi256ELb0ELi6EEvPKT_PKT0_S8_ifPKiSA_SA_iPKfiiiPfSD_PS3_PT2_iSC_SC_
; %bb.0:
	s_load_dwordx2 s[8:9], s[0:1], 0x30
	s_mov_b32 s26, s3
	s_mov_b64 s[6:7], 0
	s_waitcnt lgkmcnt(0)
	s_cmp_lg_u64 s[8:9], 0
	s_cselect_b64 s[10:11], -1, 0
	s_and_b64 vcc, exec, s[10:11]
	s_cbranch_vccz .LBB617_7
; %bb.1:
	s_add_i32 s12, s2, 1
	s_mov_b32 s13, 0
	s_lshl_b64 s[14:15], s[12:13], 2
	s_add_u32 s14, s8, s14
	s_mov_b32 s3, s13
	s_addc_u32 s15, s9, s15
	s_lshl_b64 s[12:13], s[2:3], 2
	s_add_u32 s12, s8, s12
	s_addc_u32 s13, s9, s13
	s_load_dword s5, s[14:15], 0x0
	s_load_dword s16, s[12:13], 0x0
	s_waitcnt lgkmcnt(0)
	s_sub_i32 s5, s5, s16
	s_cmp_eq_u32 s5, 1
	s_cselect_b64 s[12:13], -1, 0
	s_andn2_b64 vcc, exec, s[6:7]
	s_cbranch_vccnz .LBB617_3
.LBB617_2:
	s_mov_b32 s3, 0
	s_mov_b64 s[12:13], -1
.LBB617_3:
	s_andn2_b64 vcc, exec, s[12:13]
	s_cbranch_vccnz .LBB617_18
; %bb.4:
	s_load_dwordx2 s[6:7], s[0:1], 0x28
	s_lshl_b64 s[16:17], s[2:3], 2
	s_waitcnt lgkmcnt(0)
	s_add_u32 s6, s6, s16
	s_addc_u32 s7, s7, s17
	s_load_dword s33, s[6:7], 0x0
	s_lshl_b32 s18, s26, 8
	s_waitcnt lgkmcnt(0)
	s_cmp_ge_i32 s18, s33
	s_cbranch_scc1 .LBB617_18
; %bb.5:
	s_load_dwordx2 s[6:7], s[0:1], 0x20
	s_load_dword s5, s[0:1], 0x38
	s_add_i32 s12, s33, 15
	s_ashr_i32 s13, s12, 31
	v_and_b32_e32 v1, 0xcf, v0
	s_lshr_b32 s13, s13, 28
	v_add_u32_e32 v1, s18, v1
	s_add_i32 s12, s12, s13
	v_ashrrev_i32_e32 v2, 31, v1
	s_ashr_i32 s19, s12, 4
	v_lshrrev_b32_e32 v4, 28, v2
	s_add_i32 s19, s19, -1
	s_waitcnt lgkmcnt(0)
	s_mul_i32 s12, s2, s5
	s_mov_b32 s13, 0
	v_add_u32_e32 v2, v1, v4
	s_lshl_b64 s[12:13], s[12:13], 2
	v_ashrrev_i32_e32 v2, 4, v2
	v_mov_b32_e32 v5, s19
	v_cmp_gt_i32_e32 vcc, s33, v1
	s_add_u32 s6, s6, s12
	s_addc_u32 s7, s7, s13
	v_cndmask_b32_e32 v2, v5, v2, vcc
	v_ashrrev_i32_e32 v3, 31, v2
	v_lshl_add_u64 v[6:7], v[2:3], 2, s[6:7]
	v_or_b32_e32 v2, 16, v1
	v_add_u32_e32 v3, v2, v4
	v_ashrrev_i32_e32 v3, 4, v3
	v_cmp_gt_i32_e32 vcc, s33, v2
	s_load_dwordx4 s[12:15], s[0:1], 0x8
	s_nop 0
	v_cndmask_b32_e32 v2, v5, v3, vcc
	v_ashrrev_i32_e32 v3, 31, v2
	v_lshl_add_u64 v[8:9], v[2:3], 2, s[6:7]
	v_or_b32_e32 v2, 32, v1
	v_add_u32_e32 v3, v2, v4
	v_ashrrev_i32_e32 v3, 4, v3
	v_cmp_gt_i32_e32 vcc, s33, v2
	v_or_b32_e32 v1, 48, v1
	s_nop 0
	v_cndmask_b32_e32 v2, v5, v3, vcc
	v_ashrrev_i32_e32 v3, 31, v2
	v_lshl_add_u64 v[10:11], v[2:3], 2, s[6:7]
	v_add_u32_e32 v2, v1, v4
	v_ashrrev_i32_e32 v2, 4, v2
	v_cmp_gt_i32_e32 vcc, s33, v1
	s_nop 1
	v_cndmask_b32_e32 v2, v5, v2, vcc
	v_ashrrev_i32_e32 v3, 31, v2
	v_lshl_add_u64 v[12:13], v[2:3], 2, s[6:7]
	global_load_dword v4, v[6:7], off
	global_load_dword v3, v[8:9], off
	global_load_dword v2, v[10:11], off
	global_load_dword v40, v[12:13], off
	s_andn2_b64 vcc, exec, s[10:11]
	s_cbranch_vccnz .LBB617_8
; %bb.6:
	s_add_u32 s8, s8, s16
	s_addc_u32 s9, s9, s17
	s_load_dword s5, s[8:9], 0x0
	s_branch .LBB617_9
.LBB617_7:
	s_mov_b64 s[12:13], 0
	s_branch .LBB617_2
.LBB617_8:
	s_mov_b32 s5, s2
.LBB617_9:
	s_load_dwordx4 s[8:11], s[0:1], 0x48
	v_lshrrev_b32_e32 v77, 6, v0
	v_bfe_u32 v86, v0, 4, 2
	v_and_b32_e32 v76, 15, v0
	v_lshl_or_b32 v1, v77, 2, v86
	v_lshlrev_b32_e32 v5, 3, v76
	v_and_b32_e32 v87, 63, v0
	s_mul_i32 s40, s4, 6
	v_cmp_gt_u32_e32 vcc, 6, v1
	v_lshlrev_b32_e32 v6, 1, v5
	scratch_store_dwordx2 off, v[6:7], off  ; 8-byte Folded Spill
	s_and_saveexec_b64 s[16:17], vcc
	s_cbranch_execz .LBB617_11
; %bb.10:
	scratch_load_dwordx2 v[8:9], off, off   ; 8-byte Folded Reload
	s_load_dwordx2 s[20:21], s[0:1], 0x0
	s_waitcnt lgkmcnt(0)
	s_ashr_i32 s11, s8, 31
	s_mul_hi_u32 s22, s5, s8
	s_mul_i32 s11, s5, s11
	s_add_i32 s23, s22, s11
	s_mul_i32 s22, s5, s8
	s_lshl_b64 s[22:23], s[22:23], 1
	s_add_u32 s20, s20, s22
	v_add_lshl_u32 v6, v1, s40, 7
	s_addc_u32 s21, s21, s23
	v_ashrrev_i32_e32 v7, 31, v6
	v_lshl_add_u64 v[6:7], v[6:7], 1, s[20:21]
	v_mov_b32_e32 v11, 0
	v_and_b32_e32 v5, 3, v0
	v_lshlrev_b32_e32 v1, 5, v1
	v_lshlrev_b32_e32 v5, 9, v5
	s_waitcnt vmcnt(0)
	v_mov_b32_e32 v10, v8
	v_lshl_add_u64 v[6:7], v[6:7], 0, v[10:11]
	scratch_store_dwordx2 off, v[8:9], off  ; 8-byte Folded Spill
	global_load_dwordx4 v[6:9], v[6:7], off
	v_lshlrev_b32_e32 v10, 9, v76
	v_and_b32_e32 v10, 0x1800, v10
	v_or3_b32 v1, v10, v5, v1
	s_waitcnt vmcnt(0)
	ds_write_b128 v1, v[6:9]
.LBB617_11:
	s_or_b64 exec, exec, s[16:17]
	s_waitcnt lgkmcnt(0)
	s_mul_i32 s4, s4, s10
	s_mov_b32 s5, 0
	s_lshl_b64 s[4:5], s[4:5], 1
	s_add_u32 s10, s12, s4
	v_lshlrev_b32_e32 v1, 4, v0
	s_addc_u32 s11, s13, s5
	v_and_b32_e32 v34, 0xf0, v1
	v_mov_b32_e32 v35, 0
	v_lshl_add_u64 v[30:31], s[10:11], 0, v[34:35]
	s_waitcnt vmcnt(4)
	v_mad_i64_i32 v[4:5], s[10:11], v4, s9, 0
	v_lshl_add_u64 v[4:5], v[4:5], 1, v[30:31]
	v_and_b32_e32 v34, 0x300, v1
	v_lshl_add_u64 v[32:33], v[4:5], 0, v[34:35]
	s_load_dword s27, s[0:1], 0x98
	s_load_dword s8, s[0:1], 0x1c
	s_waitcnt lgkmcnt(0)
	s_barrier
	global_load_dwordx4 v[6:9], v[32:33], off
	global_load_dwordx4 v[18:21], v[32:33], off offset:1024
	s_waitcnt vmcnt(5)
	v_mad_i64_i32 v[4:5], s[10:11], v3, s9, 0
	v_lshl_add_u64 v[4:5], v[4:5], 1, v[30:31]
	v_lshl_add_u64 v[36:37], v[4:5], 0, v[34:35]
	global_load_dwordx4 v[14:17], v[36:37], off
	global_load_dwordx4 v[22:25], v[36:37], off offset:1024
	s_waitcnt vmcnt(6)
	v_mad_i64_i32 v[2:3], s[10:11], v2, s9, 0
	v_lshl_add_u64 v[2:3], v[2:3], 1, v[30:31]
	v_lshl_add_u64 v[38:39], v[2:3], 0, v[34:35]
	global_load_dwordx4 v[26:29], v[38:39], off
	global_load_dwordx4 v[46:49], v[38:39], off offset:1024
	v_mul_lo_u16_e32 v2, 43, v76
	v_mov_b32_e32 v3, 6
	v_mul_lo_u16_sdwa v2, v2, v3 dst_sel:DWORD dst_unused:UNUSED_PAD src0_sel:BYTE_1 src1_sel:DWORD
	v_mov_b32_e32 v4, 5
	v_sub_u16_e32 v2, v76, v2
	v_lshlrev_b32_sdwa v2, v4, v2 dst_sel:DWORD dst_unused:UNUSED_PAD src0_sel:DWORD src1_sel:BYTE_0
	v_lshl_add_u32 v41, v86, 9, v2
	ds_read_b128 v[10:13], v41
	ds_read_b128 v[2:5], v41 offset:2048
	global_load_dwordx4 v[54:57], v[32:33], off offset:2048
	global_load_dwordx4 v[62:65], v[36:37], off offset:2048
	v_mov_b32_e32 v70, s19
	s_add_u32 s4, s14, s4
	s_addc_u32 s5, s15, s5
	s_mov_b32 s41, 0xff7fffff
	v_mov_b32_e32 v74, v86
	s_waitcnt vmcnt(7) lgkmcnt(1)
	v_mfma_f32_16x16x16_bf16 v[42:45], v[6:7], v[10:11], 0
	v_mfma_f32_16x16x16_bf16 v[6:9], v[8:9], v[12:13], v[42:45]
	s_nop 5
	global_load_dwordx4 v[42:45], v[38:39], off offset:2048
	s_waitcnt vmcnt(6)
	v_mfma_f32_16x16x16_bf16 v[50:53], v[14:15], v[10:11], 0
	s_waitcnt vmcnt(4)
	v_mfma_f32_16x16x16_bf16 v[58:61], v[26:27], v[10:11], 0
	v_mfma_f32_16x16x16_bf16 v[14:17], v[16:17], v[12:13], v[50:53]
	s_nop 3
	global_load_dwordx4 v[50:53], v[32:33], off offset:3072
	v_mfma_f32_16x16x16_bf16 v[26:29], v[28:29], v[12:13], v[58:61]
	v_mad_i64_i32 v[32:33], s[10:11], v40, s9, 0
	v_and_or_b32 v40, v0, 48, s18
	s_waitcnt lgkmcnt(0)
	v_mfma_f32_16x16x16_bf16 v[14:17], v[22:23], v[2:3], v[14:17]
	v_ashrrev_i32_e32 v58, 4, v40
	v_cmp_gt_i32_e32 vcc, s33, v40
	v_or_b32_e32 v66, 64, v40
	v_mfma_f32_16x16x16_bf16 v[6:9], v[18:19], v[2:3], v[6:9]
	v_cndmask_b32_e32 v18, v70, v58, vcc
	global_load_dwordx4 v[58:61], v[36:37], off offset:3072
	v_ashrrev_i32_e32 v22, 4, v66
	s_waitcnt vmcnt(5)
	v_mfma_f32_16x16x16_bf16 v[26:29], v[46:47], v[2:3], v[26:29]
	v_ashrrev_i32_e32 v19, 31, v18
	v_cmp_gt_i32_e32 vcc, s33, v66
	v_lshl_add_u64 v[18:19], v[18:19], 2, s[6:7]
	v_mfma_f32_16x16x16_bf16 v[14:17], v[24:25], v[4:5], v[14:17]
	v_cndmask_b32_e32 v36, v70, v22, vcc
	global_load_dwordx4 v[22:25], v[38:39], off offset:3072
	global_load_dword v82, v[18:19], off
	v_mfma_f32_16x16x16_bf16 v[6:9], v[20:21], v[4:5], v[6:9]
	v_ashrrev_i32_e32 v37, 31, v36
	ds_read_b128 v[66:69], v41 offset:4096
	v_or_b32_e32 v71, 0x80, v40
	v_mfma_f32_16x16x16_bf16 v[18:21], v[48:49], v[4:5], v[26:29]
	v_ashrrev_i32_e32 v73, 4, v71
	v_cmp_gt_i32_e32 vcc, s33, v71
	v_or_b32_e32 v72, 0xc0, v40
	v_lshl_add_u64 v[26:27], v[32:33], 1, v[30:31]
	v_lshl_add_u64 v[26:27], v[26:27], 0, v[34:35]
	;; [unrolled: 1-line block ×3, first 2 shown]
	global_load_dwordx4 v[46:49], v[26:27], off
	global_load_dword v36, v[28:29], off
	s_waitcnt vmcnt(8) lgkmcnt(0)
	v_mfma_f32_16x16x16_bf16 v[6:9], v[54:55], v[66:67], v[6:9]
	v_cndmask_b32_e32 v28, v70, v73, vcc
	v_ashrrev_i32_e32 v29, 31, v28
	v_ashrrev_i32_e32 v75, 4, v72
	v_mfma_f32_16x16x16_bf16 v[6:9], v[56:57], v[68:69], v[6:9]
	global_load_dwordx4 v[54:57], v[26:27], off offset:1024
	v_lshl_add_u64 v[28:29], v[28:29], 2, s[6:7]
	v_cmp_gt_i32_e32 vcc, s33, v72
	global_load_dword v84, v[28:29], off
	s_waitcnt vmcnt(9)
	v_mfma_f32_16x16x16_bf16 v[14:17], v[62:63], v[66:67], v[14:17]
	v_cndmask_b32_e32 v28, v70, v75, vcc
	v_ashrrev_i32_e32 v29, 31, v28
	v_lshl_add_u64 v[28:29], v[28:29], 2, s[6:7]
	v_mfma_f32_16x16x16_bf16 v[14:17], v[64:65], v[68:69], v[14:17]
	global_load_dword v64, v[28:29], off
	ds_read_b128 v[38:41], v41 offset:6144
	v_lshl_or_b32 v75, v77, 4, v76
	v_lshlrev_b32_e32 v34, 5, v75
	v_lshl_add_u64 v[62:63], s[4:5], 0, v[34:35]
	v_or_b32_e32 v34, 0x800, v34
	s_waitcnt vmcnt(9)
	v_mfma_f32_16x16x16_bf16 v[18:21], v[42:43], v[66:67], v[18:21]
	global_load_dwordx4 v[70:73], v[26:27], off offset:3072
	v_mfma_f32_16x16x16_bf16 v[18:21], v[44:45], v[68:69], v[18:21]
	global_load_dwordx4 v[42:45], v[26:27], off offset:2048
	s_waitcnt vmcnt(10) lgkmcnt(0)
	v_mfma_f32_16x16x16_bf16 v[6:9], v[50:51], v[38:39], v[6:9]
	v_mfma_f32_16x16x16_bf16 v[78:81], v[52:53], v[40:41], v[6:9]
	s_waitcnt vmcnt(9)
	v_mfma_f32_16x16x16_bf16 v[14:17], v[58:59], v[38:39], v[14:17]
	s_waitcnt vmcnt(7)
	s_nop 2
	v_mad_i64_i32 v[6:7], s[6:7], v82, s9, 0
	v_lshlrev_b64 v[82:83], 1, v[6:7]
	v_lshl_add_u64 v[6:7], v[62:63], 0, v[82:83]
	global_load_dwordx4 v[30:33], v[6:7], off
	global_load_dwordx4 v[26:29], v[6:7], off offset:16
	v_mfma_f32_16x16x16_bf16 v[6:9], v[22:23], v[38:39], v[18:21]
	v_mfma_f32_16x16x16_bf16 v[58:61], v[60:61], v[40:41], v[14:17]
	s_waitcnt vmcnt(7)
	s_nop 1
	v_mad_i64_i32 v[14:15], s[6:7], v36, s9, 0
	v_lshlrev_b64 v[36:37], 1, v[14:15]
	v_mfma_f32_16x16x16_bf16 v[88:91], v[24:25], v[40:41], v[6:9]
	s_nop 2
	v_lshl_add_u64 v[6:7], v[62:63], 0, v[36:37]
	global_load_dwordx4 v[22:25], v[6:7], off
	global_load_dwordx4 v[18:21], v[6:7], off offset:16
	v_mfma_f32_16x16x16_bf16 v[6:9], v[46:47], v[10:11], 0
	s_waitcnt vmcnt(7)
	v_mad_i64_i32 v[10:11], s[6:7], v84, s9, 0
	v_lshlrev_b64 v[50:51], 1, v[10:11]
	v_mfma_f32_16x16x16_bf16 v[6:9], v[48:49], v[12:13], v[6:9]
	v_lshl_add_u64 v[10:11], v[62:63], 0, v[50:51]
	v_pk_mul_f32 v[84:85], s[8:9], v[60:61] op_sel_hi:[0,1]
	global_load_dwordx4 v[14:17], v[10:11], off
	s_nop 0
	global_load_dwordx4 v[10:13], v[10:11], off offset:16
	v_mfma_f32_16x16x16_bf16 v[6:9], v[54:55], v[2:3], v[6:9]
	s_waitcnt vmcnt(8)
	v_mad_i64_i32 v[2:3], s[6:7], v64, s9, 0
	v_lshlrev_b64 v[52:53], 1, v[2:3]
	v_mfma_f32_16x16x16_bf16 v[46:49], v[56:57], v[4:5], v[6:9]
	v_lshl_add_u64 v[2:3], v[62:63], 0, v[52:53]
	v_pk_mul_f32 v[62:63], s[8:9], v[78:79] op_sel_hi:[0,1]
	v_lshl_add_u64 v[64:65], s[4:5], 0, v[34:35]
	v_lshl_add_u64 v[34:35], v[64:65], 0, v[82:83]
	v_pk_mul_f32 v[82:83], s[8:9], v[80:81] op_sel_hi:[0,1]
	v_pk_mul_f32 v[78:79], s[8:9], v[88:89] op_sel_hi:[0,1]
	;; [unrolled: 1-line block ×3, first 2 shown]
	global_load_dwordx4 v[6:9], v[2:3], off
	s_nop 0
	global_load_dwordx4 v[2:5], v[2:3], off offset:16
	v_lshl_add_u64 v[50:51], v[64:65], 0, v[50:51]
	s_waitcnt vmcnt(8)
	v_mfma_f32_16x16x16_bf16 v[46:49], v[42:43], v[66:67], v[46:49]
	v_mfma_f32_16x16x16_bf16 v[42:45], v[44:45], v[68:69], v[46:49]
	;; [unrolled: 1-line block ×3, first 2 shown]
	v_pk_mul_f32 v[70:71], s[8:9], v[58:59] op_sel_hi:[0,1]
	v_mfma_f32_16x16x16_bf16 v[38:41], v[72:73], v[40:41], v[42:45]
	s_nop 6
	v_pk_mul_f32 v[72:73], s[8:9], v[38:39] op_sel_hi:[0,1]
	v_and_b32_e32 v38, 0xc0, v0
	v_add_u32_e32 v38, s18, v38
	v_lshl_or_b32 v38, v86, 2, v38
	v_pk_mul_f32 v[66:67], s[8:9], v[40:41] op_sel_hi:[0,1]
	v_or_b32_e32 v41, 1, v38
	v_mov_b32_e32 v39, 0xff7fffff
	v_cmp_gt_i32_e64 s[28:29], s33, v38
	v_cmp_gt_i32_e64 s[30:31], s33, v41
	v_or_b32_e32 v42, 3, v38
	v_cndmask_b32_e64 v40, v39, v62, s[28:29]
	v_cndmask_b32_e64 v41, v39, v63, s[30:31]
	v_max3_f32 v40, v40, s41, v41
	v_or_b32_e32 v41, 2, v38
	v_cmp_gt_i32_e64 s[34:35], s33, v41
	v_cmp_gt_i32_e64 s[36:37], s33, v42
	s_nop 0
	v_cndmask_b32_e64 v41, v39, v82, s[34:35]
	v_cndmask_b32_e64 v42, v39, v83, s[36:37]
	v_max3_f32 v40, v40, v41, v42
	v_or_b32_e32 v41, 16, v38
	v_or_b32_e32 v42, 17, v38
	v_cmp_gt_i32_e64 s[22:23], s33, v41
	v_cmp_gt_i32_e64 s[24:25], s33, v42
	s_nop 0
	v_cndmask_b32_e64 v41, v39, v70, s[22:23]
	v_cndmask_b32_e64 v42, v39, v71, s[24:25]
	v_max3_f32 v40, v40, v41, v42
	v_or_b32_e32 v41, 18, v38
	;; [unrolled: 8-line block ×6, first 2 shown]
	v_or_b32_e32 v38, 51, v38
	v_cmp_gt_i32_e32 vcc, s33, v41
	v_cmp_gt_i32_e64 s[4:5], s33, v38
	s_nop 0
	v_cndmask_b32_e32 v41, v39, v66, vcc
	v_cndmask_b32_e64 v38, v39, v67, s[4:5]
	v_max3_f32 v54, v40, v41, v38
	v_mbcnt_lo_u32_b32 v38, -1, 0
	v_mbcnt_hi_u32_b32 v55, -1, v38
	v_and_b32_e32 v38, 64, v55
	v_add_u32_e32 v56, 64, v38
	v_xor_b32_e32 v38, 32, v55
	v_cmp_lt_i32_e64 s[38:39], v38, v56
	s_nop 1
	v_cndmask_b32_e64 v38, v55, v38, s[38:39]
	v_lshlrev_b32_e32 v89, 2, v38
	ds_bpermute_b32 v57, v89, v54
	global_load_dwordx4 v[46:49], v[34:35], off
	global_load_dwordx4 v[38:41], v[34:35], off offset:16
	v_lshl_add_u64 v[34:35], v[64:65], 0, v[36:37]
	global_load_dwordx4 v[42:45], v[34:35], off
	s_nop 0
	global_load_dwordx4 v[34:37], v[34:35], off offset:16
	s_waitcnt lgkmcnt(0)
	v_max_f32_e32 v57, v57, v57
	v_max_f32_e32 v68, v54, v57
	v_xor_b32_e32 v54, 16, v55
	v_cmp_lt_i32_e64 s[38:39], v54, v56
	s_nop 1
	v_cndmask_b32_e64 v54, v55, v54, s[38:39]
	v_lshlrev_b32_e32 v90, 2, v54
	ds_bpermute_b32 v69, v90, v68
	global_load_dwordx4 v[58:61], v[50:51], off
	global_load_dwordx4 v[54:57], v[50:51], off offset:16
	v_lshl_add_u64 v[50:51], v[64:65], 0, v[52:53]
	s_waitcnt lgkmcnt(0)
	v_max_f32_e32 v52, v69, v69
	v_max_f32_e32 v88, v68, v52
	v_sub_f32_e32 v52, v62, v88
	v_mul_f32_e32 v52, 0x3fb8aa3b, v52
	v_exp_f32_e32 v68, v52
	v_sub_f32_e32 v52, v63, v88
	v_mul_f32_e32 v52, 0x3fb8aa3b, v52
	v_exp_f32_e32 v69, v52
	global_load_dwordx4 v[62:65], v[50:51], off
	s_nop 0
	global_load_dwordx4 v[50:53], v[50:51], off offset:16
	v_sub_f32_e32 v82, v82, v88
	v_mul_f32_e32 v82, 0x3fb8aa3b, v82
	v_sub_f32_e32 v83, v83, v88
	v_exp_f32_e32 v82, v82
	v_mul_f32_e32 v83, 0x3fb8aa3b, v83
	v_sub_f32_e32 v70, v70, v88
	v_exp_f32_e32 v83, v83
	v_mul_f32_e32 v70, 0x3fb8aa3b, v70
	v_sub_f32_e32 v71, v71, v88
	v_cndmask_b32_e64 v68, 0, v68, s[28:29]
	v_exp_f32_e32 v70, v70
	v_mul_f32_e32 v71, 0x3fb8aa3b, v71
	v_sub_f32_e32 v84, v84, v88
	v_add_f32_e32 v91, 0, v68
	v_cndmask_b32_e64 v69, 0, v69, s[30:31]
	v_exp_f32_e32 v71, v71
	v_mul_f32_e32 v84, 0x3fb8aa3b, v84
	v_sub_f32_e32 v85, v85, v88
	v_add_f32_e32 v91, v91, v69
	;; [unrolled: 5-line block ×10, first 2 shown]
	v_cndmask_b32_e64 v80, 0, v80, s[10:11]
	v_exp_f32_e32 v66, v66
	v_mul_f32_e32 v67, 0x3fb8aa3b, v67
	v_add_f32_e32 v91, v91, v80
	v_cndmask_b32_e64 v81, 0, v81, s[12:13]
	v_exp_f32_e32 v67, v67
	v_add_f32_e32 v91, v91, v81
	v_cndmask_b32_e64 v72, 0, v72, s[6:7]
	v_add_f32_e32 v91, v91, v72
	v_cndmask_b32_e64 v73, 0, v73, s[8:9]
	v_add_f32_e32 v91, v91, v73
	v_cndmask_b32_e32 v66, 0, v66, vcc
	v_add_f32_e32 v91, v91, v66
	v_cndmask_b32_e64 v67, 0, v67, s[4:5]
	v_add_f32_e32 v91, v91, v67
	ds_bpermute_b32 v89, v89, v91
	v_cmp_gt_u32_e32 vcc, 16, v87
	s_waitcnt lgkmcnt(0)
	s_barrier
	v_add_f32_e32 v89, v91, v89
	ds_bpermute_b32 v90, v90, v89
	s_and_saveexec_b64 s[4:5], vcc
	s_cbranch_execz .LBB617_13
; %bb.12:
	s_waitcnt lgkmcnt(0)
	v_add_f32_e32 v87, v89, v90
	v_lshlrev_b32_e32 v75, 2, v75
	ds_write2st64_b32 v75, v88, v87 offset1:1
.LBB617_13:
	s_or_b64 exec, exec, s[4:5]
	v_lshlrev_b32_e32 v75, 2, v76
	s_load_dword s6, s[0:1], 0x94
	s_waitcnt lgkmcnt(0)
	s_barrier
	ds_read2_b32 v[88:89], v75 offset1:16
	ds_read2_b32 v[90:91], v75 offset0:32 offset1:48
	ds_read2_b32 v[92:93], v75 offset0:64 offset1:80
	;; [unrolled: 1-line block ×3, first 2 shown]
	s_movk_i32 s8, 0x7fff
	s_waitcnt lgkmcnt(3)
	v_max3_f32 v87, v88, s41, v89
	s_waitcnt lgkmcnt(2)
	v_max3_f32 v87, v87, v90, v91
	v_sub_f32_e32 v88, v88, v87
	v_mul_f32_e32 v88, 0x3fb8aa3b, v88
	v_exp_f32_e32 v1, v88
	v_sub_f32_e32 v88, v89, v87
	v_mul_f32_e32 v88, 0x3fb8aa3b, v88
	v_exp_f32_e32 v89, v88
	v_sub_f32_e32 v88, v90, v87
	v_mul_f32_e32 v88, 0x3fb8aa3b, v88
	v_sub_f32_e32 v75, v91, v87
	v_exp_f32_e32 v90, v88
	v_mul_f32_e32 v75, 0x3fb8aa3b, v75
	v_exp_f32_e32 v75, v75
	s_waitcnt lgkmcnt(1)
	v_fma_f32 v88, v1, v92, 0
	v_fmac_f32_e32 v88, v89, v93
	s_waitcnt lgkmcnt(0)
	v_fmac_f32_e32 v88, v90, v94
	v_fmac_f32_e32 v88, v75, v95
	v_add_f32_e32 v91, 0x358637bd, v88
	v_div_scale_f32 v92, s[4:5], v91, v91, 1.0
	v_rcp_f32_e32 v93, v92
	s_mov_b32 s9, 0x7060302
	s_barrier
	v_fma_f32 v94, -v92, v93, 1.0
	v_fmac_f32_e32 v93, v94, v93
	v_div_scale_f32 v94, vcc, 1.0, v91, 1.0
	v_mul_f32_e32 v95, v94, v93
	v_fma_f32 v86, -v92, v95, v94
	v_fmac_f32_e32 v95, v86, v93
	v_fma_f32 v86, -v92, v95, v94
	v_div_fmas_f32 v86, v86, v93, v95
	v_cmp_eq_u32_e32 vcc, 1, v77
	v_div_fixup_f32 v86, v86, v91, 1.0
	s_nop 0
	v_cndmask_b32_e32 v1, v1, v89, vcc
	v_cmp_eq_u32_e32 vcc, 2, v77
	s_mul_i32 s7, s27, 6
	s_nop 0
	v_cndmask_b32_e32 v1, v1, v90, vcc
	v_cmp_eq_u32_e32 vcc, 3, v77
	s_nop 1
	v_cndmask_b32_e32 v1, v1, v75, vcc
	v_mul_f32_e32 v90, v1, v86
	v_pk_mul_f32 v[68:69], v[90:91], v[68:69] op_sel_hi:[0,1]
	v_bfe_u32 v1, v69, 16, 1
	v_bfe_u32 v75, v68, 16, 1
	v_pk_mul_f32 v[82:83], v[90:91], v[82:83] op_sel_hi:[0,1]
	v_add3_u32 v68, v68, v75, s8
	v_add3_u32 v1, v69, v1, s8
	v_perm_b32 v92, v1, v68, s9
	v_bfe_u32 v1, v83, 16, 1
	v_bfe_u32 v68, v82, 16, 1
	v_add3_u32 v68, v82, v68, s8
	v_add3_u32 v1, v83, v1, s8
	v_perm_b32 v93, v1, v68, s9
	v_lshlrev_b32_e32 v1, 3, v74
	v_lshlrev_b32_e32 v68, 5, v76
	;; [unrolled: 1-line block ×3, first 2 shown]
	v_pk_mul_f32 v[70:71], v[90:91], v[70:71] op_sel_hi:[0,1]
	v_or3_b32 v75, v69, v68, v1
	v_bfe_u32 v1, v71, 16, 1
	v_bfe_u32 v69, v70, 16, 1
	v_pk_mul_f32 v[82:83], v[90:91], v[84:85] op_sel_hi:[0,1]
	v_add3_u32 v69, v70, v69, s8
	v_add3_u32 v1, v71, v1, s8
	v_perm_b32 v70, v1, v69, s9
	v_bfe_u32 v1, v83, 16, 1
	v_bfe_u32 v69, v82, 16, 1
	v_add3_u32 v69, v82, v69, s8
	v_add3_u32 v1, v83, v1, s8
	v_pk_mul_f32 v[78:79], v[90:91], v[78:79] op_sel_hi:[0,1]
	v_perm_b32 v71, v1, v69, s9
	v_bfe_u32 v1, v79, 16, 1
	v_bfe_u32 v69, v78, 16, 1
	ds_write2st64_b64 v75, v[92:93], v[70:71] offset1:1
	v_pk_mul_f32 v[70:71], v[90:91], v[80:81] op_sel_hi:[0,1]
	v_add3_u32 v69, v78, v69, s8
	v_add3_u32 v1, v79, v1, s8
	v_perm_b32 v78, v1, v69, s9
	v_bfe_u32 v1, v71, 16, 1
	v_bfe_u32 v69, v70, 16, 1
	v_add3_u32 v69, v70, v69, s8
	v_add3_u32 v1, v71, v1, s8
	v_pk_mul_f32 v[70:71], v[90:91], v[72:73] op_sel_hi:[0,1]
	v_perm_b32 v79, v1, v69, s9
	v_bfe_u32 v1, v71, 16, 1
	v_bfe_u32 v69, v70, 16, 1
	v_pk_mul_f32 v[66:67], v[90:91], v[66:67] op_sel_hi:[0,1]
	v_add3_u32 v69, v70, v69, s8
	v_add3_u32 v1, v71, v1, s8
	v_perm_b32 v70, v1, v69, s9
	v_bfe_u32 v1, v67, 16, 1
	v_bfe_u32 v69, v66, 16, 1
	v_add3_u32 v66, v66, v69, s8
	v_add3_u32 v1, v67, v1, s8
	v_perm_b32 v71, v1, v66, s9
	v_cmp_gt_u32_e32 vcc, 6, v0
	ds_write2st64_b64 v75, v[78:79], v[70:71] offset0:2 offset1:3
	s_and_saveexec_b64 s[4:5], vcc
	s_cbranch_execz .LBB617_15
; %bb.14:
	s_mov_b32 s41, 0
	v_mov_b32_e32 v77, 0
	v_lshl_add_u64 v[66:67], s[40:41], 0, v[76:77]
	v_mov_b32_e32 v1, s7
	v_mad_u64_u32 v[66:67], s[10:11], s2, v1, v[66:67]
	s_mul_i32 s3, s3, s7
	v_mov_b32_e32 v70, s26
	v_mov_b32_e32 v71, v77
	s_load_dwordx4 s[12:15], s[0:1], 0x58
	v_add_u32_e32 v1, s3, v67
	v_mad_u64_u32 v[66:67], s[10:11], v66, s6, v[70:71]
	v_mov_b32_e32 v70, v67
	v_mad_u64_u32 v[70:71], s[10:11], v1, s6, v[70:71]
	v_mov_b32_e32 v67, v70
	v_lshlrev_b64 v[66:67], 2, v[66:67]
	s_waitcnt lgkmcnt(0)
	v_lshl_add_u64 v[70:71], s[14:15], 0, v[66:67]
	v_lshl_add_u64 v[66:67], s[12:13], 0, v[66:67]
	global_store_dword v[70:71], v87, off
	global_store_dword v[66:67], v88, off
.LBB617_15:
	s_or_b64 exec, exec, s[4:5]
	v_lshl_or_b32 v1, v74, 9, v68
	s_waitcnt lgkmcnt(0)
	s_barrier
	ds_read_b128 v[70:73], v1
	ds_read_b128 v[66:69], v1 offset:16
	s_waitcnt vmcnt(15) lgkmcnt(1)
	v_mfma_f32_16x16x16_bf16 v[78:81], v[30:31], v[70:71], 0
	s_mov_b32 s3, 0
	v_cmp_gt_u32_e32 vcc, 64, v0
	v_mfma_f32_16x16x16_bf16 v[30:33], v[32:33], v[72:73], v[78:81]
	s_waitcnt vmcnt(14) lgkmcnt(0)
	v_mfma_f32_16x16x16_bf16 v[30:33], v[26:27], v[66:67], v[30:33]
	v_mfma_f32_16x16x16_bf16 v[26:29], v[28:29], v[68:69], v[30:33]
	s_nop 5
	ds_read_b128 v[30:33], v1 offset:2048
	ds_read_b128 v[78:81], v1 offset:2064
	s_waitcnt vmcnt(13) lgkmcnt(1)
	v_mfma_f32_16x16x16_bf16 v[26:29], v[22:23], v[30:31], v[26:29]
	v_mfma_f32_16x16x16_bf16 v[22:25], v[24:25], v[32:33], v[26:29]
	s_waitcnt vmcnt(12) lgkmcnt(0)
	v_mfma_f32_16x16x16_bf16 v[22:25], v[18:19], v[78:79], v[22:25]
	v_mfma_f32_16x16x16_bf16 v[18:21], v[20:21], v[80:81], v[22:25]
	s_nop 5
	ds_read_b128 v[22:25], v1 offset:4096
	ds_read_b128 v[26:29], v1 offset:4112
	s_waitcnt vmcnt(11) lgkmcnt(1)
	v_mfma_f32_16x16x16_bf16 v[18:21], v[14:15], v[22:23], v[18:21]
	v_mfma_f32_16x16x16_bf16 v[14:17], v[16:17], v[24:25], v[18:21]
	s_waitcnt vmcnt(10) lgkmcnt(0)
	v_mfma_f32_16x16x16_bf16 v[14:17], v[10:11], v[26:27], v[14:17]
	v_mfma_f32_16x16x16_bf16 v[10:13], v[12:13], v[28:29], v[14:17]
	s_nop 5
	ds_read_b128 v[14:17], v1 offset:6144
	ds_read_b128 v[18:21], v1 offset:6160
	s_waitcnt lgkmcnt(0)
	s_barrier
	s_waitcnt vmcnt(9)
	v_mfma_f32_16x16x16_bf16 v[10:13], v[6:7], v[14:15], v[10:13]
	v_mfma_f32_16x16x16_bf16 v[6:9], v[8:9], v[16:17], v[10:13]
	s_waitcnt vmcnt(8)
	v_mfma_f32_16x16x16_bf16 v[6:9], v[2:3], v[18:19], v[6:9]
	v_mfma_f32_16x16x16_bf16 v[2:5], v[4:5], v[20:21], v[6:9]
	;; [unrolled: 3-line block ×3, first 2 shown]
	s_nop 3
	v_bfe_u32 v1, v3, 16, 1
	v_bfe_u32 v10, v2, 16, 1
	v_add3_u32 v2, v2, v10, s8
	s_waitcnt vmcnt(6)
	v_mfma_f32_16x16x16_bf16 v[6:9], v[38:39], v[66:67], v[6:9]
	v_add3_u32 v1, v3, v1, s8
	v_perm_b32 v10, v1, v2, s9
	v_bfe_u32 v1, v5, 16, 1
	v_mfma_f32_16x16x16_bf16 v[6:9], v[40:41], v[68:69], v[6:9]
	v_bfe_u32 v2, v4, 16, 1
	v_add3_u32 v2, v4, v2, s8
	v_add3_u32 v1, v5, v1, s8
	s_waitcnt vmcnt(5)
	v_mfma_f32_16x16x16_bf16 v[6:9], v[42:43], v[30:31], v[6:9]
	v_perm_b32 v11, v1, v2, s9
	v_mfma_f32_16x16x16_bf16 v[6:9], v[44:45], v[32:33], v[6:9]
	s_waitcnt vmcnt(4)
	v_mfma_f32_16x16x16_bf16 v[6:9], v[34:35], v[78:79], v[6:9]
	v_mfma_f32_16x16x16_bf16 v[6:9], v[36:37], v[80:81], v[6:9]
	s_waitcnt vmcnt(3)
	v_mfma_f32_16x16x16_bf16 v[6:9], v[58:59], v[22:23], v[6:9]
	;; [unrolled: 3-line block ×5, first 2 shown]
	v_mfma_f32_16x16x16_bf16 v[2:5], v[52:53], v[20:21], v[6:9]
	s_nop 6
	v_bfe_u32 v1, v3, 16, 1
	v_bfe_u32 v6, v2, 16, 1
	v_add3_u32 v2, v2, v6, s8
	v_add3_u32 v1, v3, v1, s8
	v_perm_b32 v2, v1, v2, s9
	v_bfe_u32 v1, v5, 16, 1
	v_bfe_u32 v3, v4, 16, 1
	v_add3_u32 v3, v4, v3, s8
	v_add3_u32 v1, v5, v1, s8
	v_perm_b32 v3, v1, v3, s9
	ds_write2st64_b64 v75, v[10:11], v[2:3] offset1:1
	s_waitcnt lgkmcnt(0)
	s_barrier
	s_and_saveexec_b64 s[4:5], vcc
	s_cbranch_execz .LBB617_18
; %bb.16:
	v_lshlrev_b32_e32 v4, 6, v76
	v_lshlrev_b32_e32 v3, 4, v0
	v_lshl_or_b32 v0, v0, 10, v4
	v_lshlrev_b32_e32 v1, 5, v74
	v_and_b32_e32 v3, 16, v3
	v_and_b32_e32 v0, 0x1a00, v0
	v_or3_b32 v3, v0, v1, v3
	scratch_load_dwordx2 v[0:1], off, off   ; 8-byte Folded Reload
	s_load_dwordx2 s[4:5], s[0:1], 0x68
	s_lshl_b32 s0, s6, 7
	s_mul_i32 s1, s7, s2
	s_mul_hi_u32 s7, s1, s0
	s_mul_i32 s6, s1, s0
	s_lshl_b64 s[6:7], s[6:7], 1
	s_waitcnt lgkmcnt(0)
	s_add_u32 s1, s4, s6
	s_addc_u32 s4, s5, s7
	s_lshl_b32 s2, s26, 7
	s_lshl_b64 s[2:3], s[2:3], 1
	ds_read_b128 v[4:7], v3
	s_add_u32 s2, s1, s2
	s_addc_u32 s3, s4, s3
	s_waitcnt vmcnt(0)
	v_mov_b32_e32 v1, 0
	v_add_u32_e32 v8, s40, v74
	v_or_b32_e32 v2, 4, v74
	v_cmp_gt_u32_e32 vcc, 6, v2
	v_lshl_add_u64 v[0:1], s[2:3], 0, v[0:1]
	v_mad_u64_u32 v[8:9], s[2:3], v8, s0, 0
	v_lshl_add_u64 v[8:9], v[8:9], 1, v[0:1]
	s_waitcnt lgkmcnt(0)
	global_store_dwordx4 v[8:9], v[4:7], off
	s_and_b64 exec, exec, vcc
	s_cbranch_execz .LBB617_18
; %bb.17:
	ds_read_b128 v[4:7], v3 offset:128
	v_add_u32_e32 v2, s40, v2
	v_mad_u64_u32 v[2:3], s[0:1], v2, s0, 0
	v_lshl_add_u64 v[0:1], v[2:3], 1, v[0:1]
	s_waitcnt lgkmcnt(0)
	global_store_dwordx4 v[0:1], v[4:7], off
.LBB617_18:
	s_endpgm
	.section	.rodata,"a",@progbits
	.p2align	6, 0x0
	.amdhsa_kernel _Z39paged_attention_ll4mi_QKV_mfma16_kernelI14__hip_bfloat16S0_LN4vllm18Fp8KVCacheDataTypeE0EhLi16ELi128ELi256ELb0ELi6EEvPKT_PKT0_S8_ifPKiSA_SA_iPKfiiiPfSD_PS3_PT2_iSC_SC_
		.amdhsa_group_segment_fixed_size 8192
		.amdhsa_private_segment_fixed_size 12
		.amdhsa_kernarg_size 400
		.amdhsa_user_sgpr_count 2
		.amdhsa_user_sgpr_dispatch_ptr 0
		.amdhsa_user_sgpr_queue_ptr 0
		.amdhsa_user_sgpr_kernarg_segment_ptr 1
		.amdhsa_user_sgpr_dispatch_id 0
		.amdhsa_user_sgpr_kernarg_preload_length 0
		.amdhsa_user_sgpr_kernarg_preload_offset 0
		.amdhsa_user_sgpr_private_segment_size 0
		.amdhsa_uses_dynamic_stack 0
		.amdhsa_enable_private_segment 1
		.amdhsa_system_sgpr_workgroup_id_x 1
		.amdhsa_system_sgpr_workgroup_id_y 1
		.amdhsa_system_sgpr_workgroup_id_z 1
		.amdhsa_system_sgpr_workgroup_info 0
		.amdhsa_system_vgpr_workitem_id 0
		.amdhsa_next_free_vgpr 96
		.amdhsa_next_free_sgpr 42
		.amdhsa_accum_offset 96
		.amdhsa_reserve_vcc 1
		.amdhsa_float_round_mode_32 0
		.amdhsa_float_round_mode_16_64 0
		.amdhsa_float_denorm_mode_32 3
		.amdhsa_float_denorm_mode_16_64 3
		.amdhsa_dx10_clamp 1
		.amdhsa_ieee_mode 1
		.amdhsa_fp16_overflow 0
		.amdhsa_tg_split 0
		.amdhsa_exception_fp_ieee_invalid_op 0
		.amdhsa_exception_fp_denorm_src 0
		.amdhsa_exception_fp_ieee_div_zero 0
		.amdhsa_exception_fp_ieee_overflow 0
		.amdhsa_exception_fp_ieee_underflow 0
		.amdhsa_exception_fp_ieee_inexact 0
		.amdhsa_exception_int_div_zero 0
	.end_amdhsa_kernel
	.section	.text._Z39paged_attention_ll4mi_QKV_mfma16_kernelI14__hip_bfloat16S0_LN4vllm18Fp8KVCacheDataTypeE0EhLi16ELi128ELi256ELb0ELi6EEvPKT_PKT0_S8_ifPKiSA_SA_iPKfiiiPfSD_PS3_PT2_iSC_SC_,"axG",@progbits,_Z39paged_attention_ll4mi_QKV_mfma16_kernelI14__hip_bfloat16S0_LN4vllm18Fp8KVCacheDataTypeE0EhLi16ELi128ELi256ELb0ELi6EEvPKT_PKT0_S8_ifPKiSA_SA_iPKfiiiPfSD_PS3_PT2_iSC_SC_,comdat
.Lfunc_end617:
	.size	_Z39paged_attention_ll4mi_QKV_mfma16_kernelI14__hip_bfloat16S0_LN4vllm18Fp8KVCacheDataTypeE0EhLi16ELi128ELi256ELb0ELi6EEvPKT_PKT0_S8_ifPKiSA_SA_iPKfiiiPfSD_PS3_PT2_iSC_SC_, .Lfunc_end617-_Z39paged_attention_ll4mi_QKV_mfma16_kernelI14__hip_bfloat16S0_LN4vllm18Fp8KVCacheDataTypeE0EhLi16ELi128ELi256ELb0ELi6EEvPKT_PKT0_S8_ifPKiSA_SA_iPKfiiiPfSD_PS3_PT2_iSC_SC_
                                        ; -- End function
	.section	.AMDGPU.csdata,"",@progbits
; Kernel info:
; codeLenInByte = 4744
; NumSgprs: 48
; NumVgprs: 96
; NumAgprs: 0
; TotalNumVgprs: 96
; ScratchSize: 12
; MemoryBound: 0
; FloatMode: 240
; IeeeMode: 1
; LDSByteSize: 8192 bytes/workgroup (compile time only)
; SGPRBlocks: 5
; VGPRBlocks: 11
; NumSGPRsForWavesPerEU: 48
; NumVGPRsForWavesPerEU: 96
; AccumOffset: 96
; Occupancy: 5
; WaveLimiterHint : 1
; COMPUTE_PGM_RSRC2:SCRATCH_EN: 1
; COMPUTE_PGM_RSRC2:USER_SGPR: 2
; COMPUTE_PGM_RSRC2:TRAP_HANDLER: 0
; COMPUTE_PGM_RSRC2:TGID_X_EN: 1
; COMPUTE_PGM_RSRC2:TGID_Y_EN: 1
; COMPUTE_PGM_RSRC2:TGID_Z_EN: 1
; COMPUTE_PGM_RSRC2:TIDIG_COMP_CNT: 0
; COMPUTE_PGM_RSRC3_GFX90A:ACCUM_OFFSET: 23
; COMPUTE_PGM_RSRC3_GFX90A:TG_SPLIT: 0
	.section	.text._Z39paged_attention_ll4mi_QKV_mfma16_kernelI14__hip_bfloat16S0_LN4vllm18Fp8KVCacheDataTypeE0EhLi16ELi128ELi256ELb0ELi7EEvPKT_PKT0_S8_ifPKiSA_SA_iPKfiiiPfSD_PS3_PT2_iSC_SC_,"axG",@progbits,_Z39paged_attention_ll4mi_QKV_mfma16_kernelI14__hip_bfloat16S0_LN4vllm18Fp8KVCacheDataTypeE0EhLi16ELi128ELi256ELb0ELi7EEvPKT_PKT0_S8_ifPKiSA_SA_iPKfiiiPfSD_PS3_PT2_iSC_SC_,comdat
	.protected	_Z39paged_attention_ll4mi_QKV_mfma16_kernelI14__hip_bfloat16S0_LN4vllm18Fp8KVCacheDataTypeE0EhLi16ELi128ELi256ELb0ELi7EEvPKT_PKT0_S8_ifPKiSA_SA_iPKfiiiPfSD_PS3_PT2_iSC_SC_ ; -- Begin function _Z39paged_attention_ll4mi_QKV_mfma16_kernelI14__hip_bfloat16S0_LN4vllm18Fp8KVCacheDataTypeE0EhLi16ELi128ELi256ELb0ELi7EEvPKT_PKT0_S8_ifPKiSA_SA_iPKfiiiPfSD_PS3_PT2_iSC_SC_
	.globl	_Z39paged_attention_ll4mi_QKV_mfma16_kernelI14__hip_bfloat16S0_LN4vllm18Fp8KVCacheDataTypeE0EhLi16ELi128ELi256ELb0ELi7EEvPKT_PKT0_S8_ifPKiSA_SA_iPKfiiiPfSD_PS3_PT2_iSC_SC_
	.p2align	8
	.type	_Z39paged_attention_ll4mi_QKV_mfma16_kernelI14__hip_bfloat16S0_LN4vllm18Fp8KVCacheDataTypeE0EhLi16ELi128ELi256ELb0ELi7EEvPKT_PKT0_S8_ifPKiSA_SA_iPKfiiiPfSD_PS3_PT2_iSC_SC_,@function
_Z39paged_attention_ll4mi_QKV_mfma16_kernelI14__hip_bfloat16S0_LN4vllm18Fp8KVCacheDataTypeE0EhLi16ELi128ELi256ELb0ELi7EEvPKT_PKT0_S8_ifPKiSA_SA_iPKfiiiPfSD_PS3_PT2_iSC_SC_: ; @_Z39paged_attention_ll4mi_QKV_mfma16_kernelI14__hip_bfloat16S0_LN4vllm18Fp8KVCacheDataTypeE0EhLi16ELi128ELi256ELb0ELi7EEvPKT_PKT0_S8_ifPKiSA_SA_iPKfiiiPfSD_PS3_PT2_iSC_SC_
; %bb.0:
	s_load_dwordx2 s[8:9], s[0:1], 0x30
	s_mov_b32 s26, s3
	s_mov_b64 s[6:7], 0
	s_waitcnt lgkmcnt(0)
	s_cmp_lg_u64 s[8:9], 0
	s_cselect_b64 s[10:11], -1, 0
	s_and_b64 vcc, exec, s[10:11]
	s_cbranch_vccz .LBB618_7
; %bb.1:
	s_add_i32 s12, s2, 1
	s_mov_b32 s13, 0
	s_lshl_b64 s[14:15], s[12:13], 2
	s_add_u32 s14, s8, s14
	s_mov_b32 s3, s13
	s_addc_u32 s15, s9, s15
	s_lshl_b64 s[12:13], s[2:3], 2
	s_add_u32 s12, s8, s12
	s_addc_u32 s13, s9, s13
	s_load_dword s5, s[14:15], 0x0
	s_load_dword s16, s[12:13], 0x0
	s_waitcnt lgkmcnt(0)
	s_sub_i32 s5, s5, s16
	s_cmp_eq_u32 s5, 1
	s_cselect_b64 s[12:13], -1, 0
	s_andn2_b64 vcc, exec, s[6:7]
	s_cbranch_vccnz .LBB618_3
.LBB618_2:
	s_mov_b32 s3, 0
	s_mov_b64 s[12:13], -1
.LBB618_3:
	s_andn2_b64 vcc, exec, s[12:13]
	s_cbranch_vccnz .LBB618_18
; %bb.4:
	s_load_dwordx2 s[6:7], s[0:1], 0x28
	s_lshl_b64 s[16:17], s[2:3], 2
	s_waitcnt lgkmcnt(0)
	s_add_u32 s6, s6, s16
	s_addc_u32 s7, s7, s17
	s_load_dword s33, s[6:7], 0x0
	s_lshl_b32 s18, s26, 8
	s_waitcnt lgkmcnt(0)
	s_cmp_ge_i32 s18, s33
	s_cbranch_scc1 .LBB618_18
; %bb.5:
	s_load_dwordx2 s[6:7], s[0:1], 0x20
	s_load_dword s5, s[0:1], 0x38
	s_add_i32 s12, s33, 15
	s_ashr_i32 s13, s12, 31
	v_and_b32_e32 v1, 0xcf, v0
	s_lshr_b32 s13, s13, 28
	v_add_u32_e32 v1, s18, v1
	s_add_i32 s12, s12, s13
	v_ashrrev_i32_e32 v2, 31, v1
	s_ashr_i32 s19, s12, 4
	v_lshrrev_b32_e32 v4, 28, v2
	s_add_i32 s19, s19, -1
	s_waitcnt lgkmcnt(0)
	s_mul_i32 s12, s2, s5
	s_mov_b32 s13, 0
	v_add_u32_e32 v2, v1, v4
	s_lshl_b64 s[12:13], s[12:13], 2
	v_ashrrev_i32_e32 v2, 4, v2
	v_mov_b32_e32 v5, s19
	v_cmp_gt_i32_e32 vcc, s33, v1
	s_add_u32 s6, s6, s12
	s_addc_u32 s7, s7, s13
	v_cndmask_b32_e32 v2, v5, v2, vcc
	v_ashrrev_i32_e32 v3, 31, v2
	v_lshl_add_u64 v[6:7], v[2:3], 2, s[6:7]
	v_or_b32_e32 v2, 16, v1
	v_add_u32_e32 v3, v2, v4
	v_ashrrev_i32_e32 v3, 4, v3
	v_cmp_gt_i32_e32 vcc, s33, v2
	s_load_dwordx4 s[12:15], s[0:1], 0x8
	s_nop 0
	v_cndmask_b32_e32 v2, v5, v3, vcc
	v_ashrrev_i32_e32 v3, 31, v2
	v_lshl_add_u64 v[8:9], v[2:3], 2, s[6:7]
	v_or_b32_e32 v2, 32, v1
	v_add_u32_e32 v3, v2, v4
	v_ashrrev_i32_e32 v3, 4, v3
	v_cmp_gt_i32_e32 vcc, s33, v2
	v_or_b32_e32 v1, 48, v1
	s_nop 0
	v_cndmask_b32_e32 v2, v5, v3, vcc
	v_ashrrev_i32_e32 v3, 31, v2
	v_lshl_add_u64 v[10:11], v[2:3], 2, s[6:7]
	v_add_u32_e32 v2, v1, v4
	v_ashrrev_i32_e32 v2, 4, v2
	v_cmp_gt_i32_e32 vcc, s33, v1
	s_nop 1
	v_cndmask_b32_e32 v2, v5, v2, vcc
	v_ashrrev_i32_e32 v3, 31, v2
	v_lshl_add_u64 v[12:13], v[2:3], 2, s[6:7]
	global_load_dword v4, v[6:7], off
	global_load_dword v3, v[8:9], off
	;; [unrolled: 1-line block ×4, first 2 shown]
	s_andn2_b64 vcc, exec, s[10:11]
	s_cbranch_vccnz .LBB618_8
; %bb.6:
	s_add_u32 s8, s8, s16
	s_addc_u32 s9, s9, s17
	s_load_dword s5, s[8:9], 0x0
	s_branch .LBB618_9
.LBB618_7:
	s_mov_b64 s[12:13], 0
	s_branch .LBB618_2
.LBB618_8:
	s_mov_b32 s5, s2
.LBB618_9:
	s_load_dwordx4 s[8:11], s[0:1], 0x48
	v_lshrrev_b32_e32 v77, 6, v0
	v_bfe_u32 v86, v0, 4, 2
	v_and_b32_e32 v76, 15, v0
	v_lshl_or_b32 v1, v77, 2, v86
	v_lshlrev_b32_e32 v5, 3, v76
	v_and_b32_e32 v87, 63, v0
	s_mul_i32 s40, s4, 7
	v_cmp_gt_u32_e32 vcc, 7, v1
	v_lshlrev_b32_e32 v6, 1, v5
	scratch_store_dwordx2 off, v[6:7], off  ; 8-byte Folded Spill
	s_and_saveexec_b64 s[16:17], vcc
	s_cbranch_execz .LBB618_11
; %bb.10:
	scratch_load_dwordx2 v[8:9], off, off   ; 8-byte Folded Reload
	s_load_dwordx2 s[20:21], s[0:1], 0x0
	s_waitcnt lgkmcnt(0)
	s_ashr_i32 s11, s8, 31
	s_mul_hi_u32 s22, s5, s8
	s_mul_i32 s11, s5, s11
	s_add_i32 s23, s22, s11
	s_mul_i32 s22, s5, s8
	s_lshl_b64 s[22:23], s[22:23], 1
	s_add_u32 s20, s20, s22
	v_add_lshl_u32 v6, v1, s40, 7
	s_addc_u32 s21, s21, s23
	v_ashrrev_i32_e32 v7, 31, v6
	v_lshl_add_u64 v[6:7], v[6:7], 1, s[20:21]
	v_mov_b32_e32 v11, 0
	v_and_b32_e32 v5, 3, v0
	v_lshlrev_b32_e32 v1, 5, v1
	v_lshlrev_b32_e32 v5, 9, v5
	s_waitcnt vmcnt(0)
	v_mov_b32_e32 v10, v8
	v_lshl_add_u64 v[6:7], v[6:7], 0, v[10:11]
	scratch_store_dwordx2 off, v[8:9], off  ; 8-byte Folded Spill
	global_load_dwordx4 v[6:9], v[6:7], off
	v_lshlrev_b32_e32 v10, 9, v76
	v_and_b32_e32 v10, 0x1800, v10
	v_or3_b32 v1, v10, v5, v1
	s_waitcnt vmcnt(0)
	ds_write_b128 v1, v[6:9]
.LBB618_11:
	s_or_b64 exec, exec, s[16:17]
	s_waitcnt lgkmcnt(0)
	s_mul_i32 s4, s4, s10
	s_mov_b32 s5, 0
	s_lshl_b64 s[4:5], s[4:5], 1
	s_add_u32 s10, s12, s4
	v_lshlrev_b32_e32 v1, 4, v0
	s_addc_u32 s11, s13, s5
	v_and_b32_e32 v34, 0xf0, v1
	v_mov_b32_e32 v35, 0
	v_lshl_add_u64 v[30:31], s[10:11], 0, v[34:35]
	s_waitcnt vmcnt(4)
	v_mad_i64_i32 v[4:5], s[10:11], v4, s9, 0
	v_lshl_add_u64 v[4:5], v[4:5], 1, v[30:31]
	v_and_b32_e32 v34, 0x300, v1
	v_lshl_add_u64 v[32:33], v[4:5], 0, v[34:35]
	s_load_dword s27, s[0:1], 0x98
	s_load_dword s8, s[0:1], 0x1c
	s_waitcnt lgkmcnt(0)
	s_barrier
	global_load_dwordx4 v[6:9], v[32:33], off
	global_load_dwordx4 v[18:21], v[32:33], off offset:1024
	s_waitcnt vmcnt(5)
	v_mad_i64_i32 v[4:5], s[10:11], v3, s9, 0
	v_lshl_add_u64 v[4:5], v[4:5], 1, v[30:31]
	v_lshl_add_u64 v[36:37], v[4:5], 0, v[34:35]
	global_load_dwordx4 v[14:17], v[36:37], off
	global_load_dwordx4 v[22:25], v[36:37], off offset:1024
	s_waitcnt vmcnt(6)
	v_mad_i64_i32 v[2:3], s[10:11], v2, s9, 0
	v_lshl_add_u64 v[2:3], v[2:3], 1, v[30:31]
	v_lshl_add_u64 v[38:39], v[2:3], 0, v[34:35]
	global_load_dwordx4 v[26:29], v[38:39], off
	global_load_dwordx4 v[46:49], v[38:39], off offset:1024
	v_mul_lo_u16_e32 v2, 37, v76
	v_mov_b32_e32 v3, 7
	v_mul_lo_u16_sdwa v2, v2, v3 dst_sel:DWORD dst_unused:UNUSED_PAD src0_sel:BYTE_1 src1_sel:DWORD
	v_mov_b32_e32 v4, 5
	v_sub_u16_e32 v2, v76, v2
	v_lshlrev_b32_sdwa v2, v4, v2 dst_sel:DWORD dst_unused:UNUSED_PAD src0_sel:DWORD src1_sel:BYTE_0
	v_lshl_add_u32 v41, v86, 9, v2
	ds_read_b128 v[10:13], v41
	ds_read_b128 v[2:5], v41 offset:2048
	global_load_dwordx4 v[54:57], v[32:33], off offset:2048
	global_load_dwordx4 v[62:65], v[36:37], off offset:2048
	v_mov_b32_e32 v70, s19
	s_add_u32 s4, s14, s4
	s_addc_u32 s5, s15, s5
	s_mov_b32 s41, 0xff7fffff
	v_mov_b32_e32 v74, v86
	s_waitcnt vmcnt(7) lgkmcnt(1)
	v_mfma_f32_16x16x16_bf16 v[42:45], v[6:7], v[10:11], 0
	v_mfma_f32_16x16x16_bf16 v[6:9], v[8:9], v[12:13], v[42:45]
	s_nop 5
	global_load_dwordx4 v[42:45], v[38:39], off offset:2048
	s_waitcnt vmcnt(6)
	v_mfma_f32_16x16x16_bf16 v[50:53], v[14:15], v[10:11], 0
	s_waitcnt vmcnt(4)
	v_mfma_f32_16x16x16_bf16 v[58:61], v[26:27], v[10:11], 0
	v_mfma_f32_16x16x16_bf16 v[14:17], v[16:17], v[12:13], v[50:53]
	s_nop 3
	global_load_dwordx4 v[50:53], v[32:33], off offset:3072
	v_mfma_f32_16x16x16_bf16 v[26:29], v[28:29], v[12:13], v[58:61]
	v_mad_i64_i32 v[32:33], s[10:11], v40, s9, 0
	v_and_or_b32 v40, v0, 48, s18
	s_waitcnt lgkmcnt(0)
	v_mfma_f32_16x16x16_bf16 v[14:17], v[22:23], v[2:3], v[14:17]
	v_ashrrev_i32_e32 v58, 4, v40
	v_cmp_gt_i32_e32 vcc, s33, v40
	v_or_b32_e32 v66, 64, v40
	v_mfma_f32_16x16x16_bf16 v[6:9], v[18:19], v[2:3], v[6:9]
	v_cndmask_b32_e32 v18, v70, v58, vcc
	global_load_dwordx4 v[58:61], v[36:37], off offset:3072
	v_ashrrev_i32_e32 v22, 4, v66
	s_waitcnt vmcnt(5)
	v_mfma_f32_16x16x16_bf16 v[26:29], v[46:47], v[2:3], v[26:29]
	v_ashrrev_i32_e32 v19, 31, v18
	v_cmp_gt_i32_e32 vcc, s33, v66
	v_lshl_add_u64 v[18:19], v[18:19], 2, s[6:7]
	v_mfma_f32_16x16x16_bf16 v[14:17], v[24:25], v[4:5], v[14:17]
	v_cndmask_b32_e32 v36, v70, v22, vcc
	global_load_dwordx4 v[22:25], v[38:39], off offset:3072
	global_load_dword v82, v[18:19], off
	v_mfma_f32_16x16x16_bf16 v[6:9], v[20:21], v[4:5], v[6:9]
	v_ashrrev_i32_e32 v37, 31, v36
	ds_read_b128 v[66:69], v41 offset:4096
	v_or_b32_e32 v71, 0x80, v40
	v_mfma_f32_16x16x16_bf16 v[18:21], v[48:49], v[4:5], v[26:29]
	v_ashrrev_i32_e32 v73, 4, v71
	v_cmp_gt_i32_e32 vcc, s33, v71
	v_or_b32_e32 v72, 0xc0, v40
	v_lshl_add_u64 v[26:27], v[32:33], 1, v[30:31]
	v_lshl_add_u64 v[26:27], v[26:27], 0, v[34:35]
	v_lshl_add_u64 v[28:29], v[36:37], 2, s[6:7]
	global_load_dwordx4 v[46:49], v[26:27], off
	global_load_dword v36, v[28:29], off
	s_waitcnt vmcnt(8) lgkmcnt(0)
	v_mfma_f32_16x16x16_bf16 v[6:9], v[54:55], v[66:67], v[6:9]
	v_cndmask_b32_e32 v28, v70, v73, vcc
	v_ashrrev_i32_e32 v29, 31, v28
	v_ashrrev_i32_e32 v75, 4, v72
	v_mfma_f32_16x16x16_bf16 v[6:9], v[56:57], v[68:69], v[6:9]
	global_load_dwordx4 v[54:57], v[26:27], off offset:1024
	v_lshl_add_u64 v[28:29], v[28:29], 2, s[6:7]
	v_cmp_gt_i32_e32 vcc, s33, v72
	global_load_dword v84, v[28:29], off
	s_waitcnt vmcnt(9)
	v_mfma_f32_16x16x16_bf16 v[14:17], v[62:63], v[66:67], v[14:17]
	v_cndmask_b32_e32 v28, v70, v75, vcc
	v_ashrrev_i32_e32 v29, 31, v28
	v_lshl_add_u64 v[28:29], v[28:29], 2, s[6:7]
	v_mfma_f32_16x16x16_bf16 v[14:17], v[64:65], v[68:69], v[14:17]
	global_load_dword v64, v[28:29], off
	ds_read_b128 v[38:41], v41 offset:6144
	v_lshl_or_b32 v75, v77, 4, v76
	v_lshlrev_b32_e32 v34, 5, v75
	v_lshl_add_u64 v[62:63], s[4:5], 0, v[34:35]
	v_or_b32_e32 v34, 0x800, v34
	s_waitcnt vmcnt(9)
	v_mfma_f32_16x16x16_bf16 v[18:21], v[42:43], v[66:67], v[18:21]
	global_load_dwordx4 v[70:73], v[26:27], off offset:3072
	v_mfma_f32_16x16x16_bf16 v[18:21], v[44:45], v[68:69], v[18:21]
	global_load_dwordx4 v[42:45], v[26:27], off offset:2048
	s_waitcnt vmcnt(10) lgkmcnt(0)
	v_mfma_f32_16x16x16_bf16 v[6:9], v[50:51], v[38:39], v[6:9]
	v_mfma_f32_16x16x16_bf16 v[78:81], v[52:53], v[40:41], v[6:9]
	s_waitcnt vmcnt(9)
	v_mfma_f32_16x16x16_bf16 v[14:17], v[58:59], v[38:39], v[14:17]
	s_waitcnt vmcnt(7)
	s_nop 2
	v_mad_i64_i32 v[6:7], s[6:7], v82, s9, 0
	v_lshlrev_b64 v[82:83], 1, v[6:7]
	v_lshl_add_u64 v[6:7], v[62:63], 0, v[82:83]
	global_load_dwordx4 v[30:33], v[6:7], off
	global_load_dwordx4 v[26:29], v[6:7], off offset:16
	v_mfma_f32_16x16x16_bf16 v[6:9], v[22:23], v[38:39], v[18:21]
	v_mfma_f32_16x16x16_bf16 v[58:61], v[60:61], v[40:41], v[14:17]
	s_waitcnt vmcnt(7)
	s_nop 1
	v_mad_i64_i32 v[14:15], s[6:7], v36, s9, 0
	v_lshlrev_b64 v[36:37], 1, v[14:15]
	v_mfma_f32_16x16x16_bf16 v[88:91], v[24:25], v[40:41], v[6:9]
	s_nop 2
	v_lshl_add_u64 v[6:7], v[62:63], 0, v[36:37]
	global_load_dwordx4 v[22:25], v[6:7], off
	global_load_dwordx4 v[18:21], v[6:7], off offset:16
	v_mfma_f32_16x16x16_bf16 v[6:9], v[46:47], v[10:11], 0
	s_waitcnt vmcnt(7)
	v_mad_i64_i32 v[10:11], s[6:7], v84, s9, 0
	v_lshlrev_b64 v[50:51], 1, v[10:11]
	v_mfma_f32_16x16x16_bf16 v[6:9], v[48:49], v[12:13], v[6:9]
	v_lshl_add_u64 v[10:11], v[62:63], 0, v[50:51]
	v_pk_mul_f32 v[84:85], s[8:9], v[60:61] op_sel_hi:[0,1]
	global_load_dwordx4 v[14:17], v[10:11], off
	s_nop 0
	global_load_dwordx4 v[10:13], v[10:11], off offset:16
	v_mfma_f32_16x16x16_bf16 v[6:9], v[54:55], v[2:3], v[6:9]
	s_waitcnt vmcnt(8)
	v_mad_i64_i32 v[2:3], s[6:7], v64, s9, 0
	v_lshlrev_b64 v[52:53], 1, v[2:3]
	v_mfma_f32_16x16x16_bf16 v[46:49], v[56:57], v[4:5], v[6:9]
	v_lshl_add_u64 v[2:3], v[62:63], 0, v[52:53]
	v_pk_mul_f32 v[62:63], s[8:9], v[78:79] op_sel_hi:[0,1]
	v_lshl_add_u64 v[64:65], s[4:5], 0, v[34:35]
	v_lshl_add_u64 v[34:35], v[64:65], 0, v[82:83]
	v_pk_mul_f32 v[82:83], s[8:9], v[80:81] op_sel_hi:[0,1]
	v_pk_mul_f32 v[78:79], s[8:9], v[88:89] op_sel_hi:[0,1]
	;; [unrolled: 1-line block ×3, first 2 shown]
	global_load_dwordx4 v[6:9], v[2:3], off
	s_nop 0
	global_load_dwordx4 v[2:5], v[2:3], off offset:16
	v_lshl_add_u64 v[50:51], v[64:65], 0, v[50:51]
	s_waitcnt vmcnt(8)
	v_mfma_f32_16x16x16_bf16 v[46:49], v[42:43], v[66:67], v[46:49]
	v_mfma_f32_16x16x16_bf16 v[42:45], v[44:45], v[68:69], v[46:49]
	;; [unrolled: 1-line block ×3, first 2 shown]
	v_pk_mul_f32 v[70:71], s[8:9], v[58:59] op_sel_hi:[0,1]
	v_mfma_f32_16x16x16_bf16 v[38:41], v[72:73], v[40:41], v[42:45]
	s_nop 6
	v_pk_mul_f32 v[72:73], s[8:9], v[38:39] op_sel_hi:[0,1]
	v_and_b32_e32 v38, 0xc0, v0
	v_add_u32_e32 v38, s18, v38
	v_lshl_or_b32 v38, v86, 2, v38
	v_pk_mul_f32 v[66:67], s[8:9], v[40:41] op_sel_hi:[0,1]
	v_or_b32_e32 v41, 1, v38
	v_mov_b32_e32 v39, 0xff7fffff
	v_cmp_gt_i32_e64 s[28:29], s33, v38
	v_cmp_gt_i32_e64 s[30:31], s33, v41
	v_or_b32_e32 v42, 3, v38
	v_cndmask_b32_e64 v40, v39, v62, s[28:29]
	v_cndmask_b32_e64 v41, v39, v63, s[30:31]
	v_max3_f32 v40, v40, s41, v41
	v_or_b32_e32 v41, 2, v38
	v_cmp_gt_i32_e64 s[34:35], s33, v41
	v_cmp_gt_i32_e64 s[36:37], s33, v42
	s_nop 0
	v_cndmask_b32_e64 v41, v39, v82, s[34:35]
	v_cndmask_b32_e64 v42, v39, v83, s[36:37]
	v_max3_f32 v40, v40, v41, v42
	v_or_b32_e32 v41, 16, v38
	v_or_b32_e32 v42, 17, v38
	v_cmp_gt_i32_e64 s[22:23], s33, v41
	v_cmp_gt_i32_e64 s[24:25], s33, v42
	s_nop 0
	v_cndmask_b32_e64 v41, v39, v70, s[22:23]
	v_cndmask_b32_e64 v42, v39, v71, s[24:25]
	v_max3_f32 v40, v40, v41, v42
	v_or_b32_e32 v41, 18, v38
	;; [unrolled: 8-line block ×6, first 2 shown]
	v_or_b32_e32 v38, 51, v38
	v_cmp_gt_i32_e32 vcc, s33, v41
	v_cmp_gt_i32_e64 s[4:5], s33, v38
	s_nop 0
	v_cndmask_b32_e32 v41, v39, v66, vcc
	v_cndmask_b32_e64 v38, v39, v67, s[4:5]
	v_max3_f32 v54, v40, v41, v38
	v_mbcnt_lo_u32_b32 v38, -1, 0
	v_mbcnt_hi_u32_b32 v55, -1, v38
	v_and_b32_e32 v38, 64, v55
	v_add_u32_e32 v56, 64, v38
	v_xor_b32_e32 v38, 32, v55
	v_cmp_lt_i32_e64 s[38:39], v38, v56
	s_nop 1
	v_cndmask_b32_e64 v38, v55, v38, s[38:39]
	v_lshlrev_b32_e32 v89, 2, v38
	ds_bpermute_b32 v57, v89, v54
	global_load_dwordx4 v[46:49], v[34:35], off
	global_load_dwordx4 v[38:41], v[34:35], off offset:16
	v_lshl_add_u64 v[34:35], v[64:65], 0, v[36:37]
	global_load_dwordx4 v[42:45], v[34:35], off
	s_nop 0
	global_load_dwordx4 v[34:37], v[34:35], off offset:16
	s_waitcnt lgkmcnt(0)
	v_max_f32_e32 v57, v57, v57
	v_max_f32_e32 v68, v54, v57
	v_xor_b32_e32 v54, 16, v55
	v_cmp_lt_i32_e64 s[38:39], v54, v56
	s_nop 1
	v_cndmask_b32_e64 v54, v55, v54, s[38:39]
	v_lshlrev_b32_e32 v90, 2, v54
	ds_bpermute_b32 v69, v90, v68
	global_load_dwordx4 v[58:61], v[50:51], off
	global_load_dwordx4 v[54:57], v[50:51], off offset:16
	v_lshl_add_u64 v[50:51], v[64:65], 0, v[52:53]
	s_waitcnt lgkmcnt(0)
	v_max_f32_e32 v52, v69, v69
	v_max_f32_e32 v88, v68, v52
	v_sub_f32_e32 v52, v62, v88
	v_mul_f32_e32 v52, 0x3fb8aa3b, v52
	v_exp_f32_e32 v68, v52
	v_sub_f32_e32 v52, v63, v88
	v_mul_f32_e32 v52, 0x3fb8aa3b, v52
	v_exp_f32_e32 v69, v52
	global_load_dwordx4 v[62:65], v[50:51], off
	s_nop 0
	global_load_dwordx4 v[50:53], v[50:51], off offset:16
	v_sub_f32_e32 v82, v82, v88
	v_mul_f32_e32 v82, 0x3fb8aa3b, v82
	v_sub_f32_e32 v83, v83, v88
	v_exp_f32_e32 v82, v82
	v_mul_f32_e32 v83, 0x3fb8aa3b, v83
	v_sub_f32_e32 v70, v70, v88
	v_exp_f32_e32 v83, v83
	v_mul_f32_e32 v70, 0x3fb8aa3b, v70
	v_sub_f32_e32 v71, v71, v88
	v_cndmask_b32_e64 v68, 0, v68, s[28:29]
	v_exp_f32_e32 v70, v70
	v_mul_f32_e32 v71, 0x3fb8aa3b, v71
	v_sub_f32_e32 v84, v84, v88
	v_add_f32_e32 v91, 0, v68
	v_cndmask_b32_e64 v69, 0, v69, s[30:31]
	v_exp_f32_e32 v71, v71
	v_mul_f32_e32 v84, 0x3fb8aa3b, v84
	v_sub_f32_e32 v85, v85, v88
	v_add_f32_e32 v91, v91, v69
	;; [unrolled: 5-line block ×10, first 2 shown]
	v_cndmask_b32_e64 v80, 0, v80, s[10:11]
	v_exp_f32_e32 v66, v66
	v_mul_f32_e32 v67, 0x3fb8aa3b, v67
	v_add_f32_e32 v91, v91, v80
	v_cndmask_b32_e64 v81, 0, v81, s[12:13]
	v_exp_f32_e32 v67, v67
	v_add_f32_e32 v91, v91, v81
	v_cndmask_b32_e64 v72, 0, v72, s[6:7]
	v_add_f32_e32 v91, v91, v72
	v_cndmask_b32_e64 v73, 0, v73, s[8:9]
	v_add_f32_e32 v91, v91, v73
	v_cndmask_b32_e32 v66, 0, v66, vcc
	v_add_f32_e32 v91, v91, v66
	v_cndmask_b32_e64 v67, 0, v67, s[4:5]
	v_add_f32_e32 v91, v91, v67
	ds_bpermute_b32 v89, v89, v91
	v_cmp_gt_u32_e32 vcc, 16, v87
	s_waitcnt lgkmcnt(0)
	s_barrier
	v_add_f32_e32 v89, v91, v89
	ds_bpermute_b32 v90, v90, v89
	s_and_saveexec_b64 s[4:5], vcc
	s_cbranch_execz .LBB618_13
; %bb.12:
	s_waitcnt lgkmcnt(0)
	v_add_f32_e32 v87, v89, v90
	v_lshlrev_b32_e32 v75, 2, v75
	ds_write2st64_b32 v75, v88, v87 offset1:1
.LBB618_13:
	s_or_b64 exec, exec, s[4:5]
	v_lshlrev_b32_e32 v75, 2, v76
	s_load_dword s6, s[0:1], 0x94
	s_waitcnt lgkmcnt(0)
	s_barrier
	ds_read2_b32 v[88:89], v75 offset1:16
	ds_read2_b32 v[90:91], v75 offset0:32 offset1:48
	ds_read2_b32 v[92:93], v75 offset0:64 offset1:80
	;; [unrolled: 1-line block ×3, first 2 shown]
	s_movk_i32 s8, 0x7fff
	s_waitcnt lgkmcnt(3)
	v_max3_f32 v87, v88, s41, v89
	s_waitcnt lgkmcnt(2)
	v_max3_f32 v87, v87, v90, v91
	v_sub_f32_e32 v88, v88, v87
	v_mul_f32_e32 v88, 0x3fb8aa3b, v88
	v_exp_f32_e32 v1, v88
	v_sub_f32_e32 v88, v89, v87
	v_mul_f32_e32 v88, 0x3fb8aa3b, v88
	v_exp_f32_e32 v89, v88
	v_sub_f32_e32 v88, v90, v87
	v_mul_f32_e32 v88, 0x3fb8aa3b, v88
	v_sub_f32_e32 v75, v91, v87
	v_exp_f32_e32 v90, v88
	v_mul_f32_e32 v75, 0x3fb8aa3b, v75
	v_exp_f32_e32 v75, v75
	s_waitcnt lgkmcnt(1)
	v_fma_f32 v88, v1, v92, 0
	v_fmac_f32_e32 v88, v89, v93
	s_waitcnt lgkmcnt(0)
	v_fmac_f32_e32 v88, v90, v94
	v_fmac_f32_e32 v88, v75, v95
	v_add_f32_e32 v91, 0x358637bd, v88
	v_div_scale_f32 v92, s[4:5], v91, v91, 1.0
	v_rcp_f32_e32 v93, v92
	s_mov_b32 s9, 0x7060302
	s_barrier
	v_fma_f32 v94, -v92, v93, 1.0
	v_fmac_f32_e32 v93, v94, v93
	v_div_scale_f32 v94, vcc, 1.0, v91, 1.0
	v_mul_f32_e32 v95, v94, v93
	v_fma_f32 v86, -v92, v95, v94
	v_fmac_f32_e32 v95, v86, v93
	v_fma_f32 v86, -v92, v95, v94
	v_div_fmas_f32 v86, v86, v93, v95
	v_cmp_eq_u32_e32 vcc, 1, v77
	v_div_fixup_f32 v86, v86, v91, 1.0
	s_nop 0
	v_cndmask_b32_e32 v1, v1, v89, vcc
	v_cmp_eq_u32_e32 vcc, 2, v77
	s_mul_i32 s7, s27, 7
	s_nop 0
	v_cndmask_b32_e32 v1, v1, v90, vcc
	v_cmp_eq_u32_e32 vcc, 3, v77
	s_nop 1
	v_cndmask_b32_e32 v1, v1, v75, vcc
	v_mul_f32_e32 v90, v1, v86
	v_pk_mul_f32 v[68:69], v[90:91], v[68:69] op_sel_hi:[0,1]
	v_bfe_u32 v1, v69, 16, 1
	v_bfe_u32 v75, v68, 16, 1
	v_pk_mul_f32 v[82:83], v[90:91], v[82:83] op_sel_hi:[0,1]
	v_add3_u32 v68, v68, v75, s8
	v_add3_u32 v1, v69, v1, s8
	v_perm_b32 v92, v1, v68, s9
	v_bfe_u32 v1, v83, 16, 1
	v_bfe_u32 v68, v82, 16, 1
	v_add3_u32 v68, v82, v68, s8
	v_add3_u32 v1, v83, v1, s8
	v_perm_b32 v93, v1, v68, s9
	v_lshlrev_b32_e32 v1, 3, v74
	v_lshlrev_b32_e32 v68, 5, v76
	;; [unrolled: 1-line block ×3, first 2 shown]
	v_pk_mul_f32 v[70:71], v[90:91], v[70:71] op_sel_hi:[0,1]
	v_or3_b32 v75, v69, v68, v1
	v_bfe_u32 v1, v71, 16, 1
	v_bfe_u32 v69, v70, 16, 1
	v_pk_mul_f32 v[82:83], v[90:91], v[84:85] op_sel_hi:[0,1]
	v_add3_u32 v69, v70, v69, s8
	v_add3_u32 v1, v71, v1, s8
	v_perm_b32 v70, v1, v69, s9
	v_bfe_u32 v1, v83, 16, 1
	v_bfe_u32 v69, v82, 16, 1
	v_add3_u32 v69, v82, v69, s8
	v_add3_u32 v1, v83, v1, s8
	v_pk_mul_f32 v[78:79], v[90:91], v[78:79] op_sel_hi:[0,1]
	v_perm_b32 v71, v1, v69, s9
	v_bfe_u32 v1, v79, 16, 1
	v_bfe_u32 v69, v78, 16, 1
	ds_write2st64_b64 v75, v[92:93], v[70:71] offset1:1
	v_pk_mul_f32 v[70:71], v[90:91], v[80:81] op_sel_hi:[0,1]
	v_add3_u32 v69, v78, v69, s8
	v_add3_u32 v1, v79, v1, s8
	v_perm_b32 v78, v1, v69, s9
	v_bfe_u32 v1, v71, 16, 1
	v_bfe_u32 v69, v70, 16, 1
	v_add3_u32 v69, v70, v69, s8
	v_add3_u32 v1, v71, v1, s8
	v_pk_mul_f32 v[70:71], v[90:91], v[72:73] op_sel_hi:[0,1]
	v_perm_b32 v79, v1, v69, s9
	v_bfe_u32 v1, v71, 16, 1
	v_bfe_u32 v69, v70, 16, 1
	v_pk_mul_f32 v[66:67], v[90:91], v[66:67] op_sel_hi:[0,1]
	v_add3_u32 v69, v70, v69, s8
	v_add3_u32 v1, v71, v1, s8
	v_perm_b32 v70, v1, v69, s9
	v_bfe_u32 v1, v67, 16, 1
	v_bfe_u32 v69, v66, 16, 1
	v_add3_u32 v66, v66, v69, s8
	v_add3_u32 v1, v67, v1, s8
	v_perm_b32 v71, v1, v66, s9
	v_cmp_gt_u32_e32 vcc, 7, v0
	ds_write2st64_b64 v75, v[78:79], v[70:71] offset0:2 offset1:3
	s_and_saveexec_b64 s[4:5], vcc
	s_cbranch_execz .LBB618_15
; %bb.14:
	s_mov_b32 s41, 0
	v_mov_b32_e32 v77, 0
	v_lshl_add_u64 v[66:67], s[40:41], 0, v[76:77]
	v_mov_b32_e32 v1, s7
	v_mad_u64_u32 v[66:67], s[10:11], s2, v1, v[66:67]
	s_mul_i32 s3, s3, s7
	v_mov_b32_e32 v70, s26
	v_mov_b32_e32 v71, v77
	s_load_dwordx4 s[12:15], s[0:1], 0x58
	v_add_u32_e32 v1, s3, v67
	v_mad_u64_u32 v[66:67], s[10:11], v66, s6, v[70:71]
	v_mov_b32_e32 v70, v67
	v_mad_u64_u32 v[70:71], s[10:11], v1, s6, v[70:71]
	v_mov_b32_e32 v67, v70
	v_lshlrev_b64 v[66:67], 2, v[66:67]
	s_waitcnt lgkmcnt(0)
	v_lshl_add_u64 v[70:71], s[14:15], 0, v[66:67]
	v_lshl_add_u64 v[66:67], s[12:13], 0, v[66:67]
	global_store_dword v[70:71], v87, off
	global_store_dword v[66:67], v88, off
.LBB618_15:
	s_or_b64 exec, exec, s[4:5]
	v_lshl_or_b32 v1, v74, 9, v68
	s_waitcnt lgkmcnt(0)
	s_barrier
	ds_read_b128 v[70:73], v1
	ds_read_b128 v[66:69], v1 offset:16
	s_waitcnt vmcnt(15) lgkmcnt(1)
	v_mfma_f32_16x16x16_bf16 v[78:81], v[30:31], v[70:71], 0
	s_mov_b32 s3, 0
	v_cmp_gt_u32_e32 vcc, 64, v0
	v_mfma_f32_16x16x16_bf16 v[30:33], v[32:33], v[72:73], v[78:81]
	s_waitcnt vmcnt(14) lgkmcnt(0)
	v_mfma_f32_16x16x16_bf16 v[30:33], v[26:27], v[66:67], v[30:33]
	v_mfma_f32_16x16x16_bf16 v[26:29], v[28:29], v[68:69], v[30:33]
	s_nop 5
	ds_read_b128 v[30:33], v1 offset:2048
	ds_read_b128 v[78:81], v1 offset:2064
	s_waitcnt vmcnt(13) lgkmcnt(1)
	v_mfma_f32_16x16x16_bf16 v[26:29], v[22:23], v[30:31], v[26:29]
	v_mfma_f32_16x16x16_bf16 v[22:25], v[24:25], v[32:33], v[26:29]
	s_waitcnt vmcnt(12) lgkmcnt(0)
	v_mfma_f32_16x16x16_bf16 v[22:25], v[18:19], v[78:79], v[22:25]
	v_mfma_f32_16x16x16_bf16 v[18:21], v[20:21], v[80:81], v[22:25]
	s_nop 5
	ds_read_b128 v[22:25], v1 offset:4096
	ds_read_b128 v[26:29], v1 offset:4112
	s_waitcnt vmcnt(11) lgkmcnt(1)
	v_mfma_f32_16x16x16_bf16 v[18:21], v[14:15], v[22:23], v[18:21]
	v_mfma_f32_16x16x16_bf16 v[14:17], v[16:17], v[24:25], v[18:21]
	s_waitcnt vmcnt(10) lgkmcnt(0)
	v_mfma_f32_16x16x16_bf16 v[14:17], v[10:11], v[26:27], v[14:17]
	v_mfma_f32_16x16x16_bf16 v[10:13], v[12:13], v[28:29], v[14:17]
	s_nop 5
	ds_read_b128 v[14:17], v1 offset:6144
	ds_read_b128 v[18:21], v1 offset:6160
	s_waitcnt lgkmcnt(0)
	s_barrier
	s_waitcnt vmcnt(9)
	v_mfma_f32_16x16x16_bf16 v[10:13], v[6:7], v[14:15], v[10:13]
	v_mfma_f32_16x16x16_bf16 v[6:9], v[8:9], v[16:17], v[10:13]
	s_waitcnt vmcnt(8)
	v_mfma_f32_16x16x16_bf16 v[6:9], v[2:3], v[18:19], v[6:9]
	v_mfma_f32_16x16x16_bf16 v[2:5], v[4:5], v[20:21], v[6:9]
	;; [unrolled: 3-line block ×3, first 2 shown]
	s_nop 3
	v_bfe_u32 v1, v3, 16, 1
	v_bfe_u32 v10, v2, 16, 1
	v_add3_u32 v2, v2, v10, s8
	s_waitcnt vmcnt(6)
	v_mfma_f32_16x16x16_bf16 v[6:9], v[38:39], v[66:67], v[6:9]
	v_add3_u32 v1, v3, v1, s8
	v_perm_b32 v10, v1, v2, s9
	v_bfe_u32 v1, v5, 16, 1
	v_mfma_f32_16x16x16_bf16 v[6:9], v[40:41], v[68:69], v[6:9]
	v_bfe_u32 v2, v4, 16, 1
	v_add3_u32 v2, v4, v2, s8
	v_add3_u32 v1, v5, v1, s8
	s_waitcnt vmcnt(5)
	v_mfma_f32_16x16x16_bf16 v[6:9], v[42:43], v[30:31], v[6:9]
	v_perm_b32 v11, v1, v2, s9
	v_mfma_f32_16x16x16_bf16 v[6:9], v[44:45], v[32:33], v[6:9]
	s_waitcnt vmcnt(4)
	v_mfma_f32_16x16x16_bf16 v[6:9], v[34:35], v[78:79], v[6:9]
	v_mfma_f32_16x16x16_bf16 v[6:9], v[36:37], v[80:81], v[6:9]
	s_waitcnt vmcnt(3)
	v_mfma_f32_16x16x16_bf16 v[6:9], v[58:59], v[22:23], v[6:9]
	;; [unrolled: 3-line block ×5, first 2 shown]
	v_mfma_f32_16x16x16_bf16 v[2:5], v[52:53], v[20:21], v[6:9]
	s_nop 6
	v_bfe_u32 v1, v3, 16, 1
	v_bfe_u32 v6, v2, 16, 1
	v_add3_u32 v2, v2, v6, s8
	v_add3_u32 v1, v3, v1, s8
	v_perm_b32 v2, v1, v2, s9
	v_bfe_u32 v1, v5, 16, 1
	v_bfe_u32 v3, v4, 16, 1
	v_add3_u32 v3, v4, v3, s8
	v_add3_u32 v1, v5, v1, s8
	v_perm_b32 v3, v1, v3, s9
	ds_write2st64_b64 v75, v[10:11], v[2:3] offset1:1
	s_waitcnt lgkmcnt(0)
	s_barrier
	s_and_saveexec_b64 s[4:5], vcc
	s_cbranch_execz .LBB618_18
; %bb.16:
	v_lshlrev_b32_e32 v3, 6, v76
	v_lshlrev_b32_e32 v2, 4, v0
	v_lshl_or_b32 v0, v0, 10, v3
	v_lshlrev_b32_e32 v1, 5, v74
	v_and_b32_e32 v2, 16, v2
	v_and_b32_e32 v0, 0x1a00, v0
	v_or3_b32 v2, v0, v1, v2
	scratch_load_dwordx2 v[0:1], off, off   ; 8-byte Folded Reload
	s_load_dwordx2 s[4:5], s[0:1], 0x68
	s_lshl_b32 s0, s6, 7
	s_mul_i32 s1, s7, s2
	s_mul_hi_u32 s7, s1, s0
	s_mul_i32 s6, s1, s0
	s_lshl_b64 s[6:7], s[6:7], 1
	s_waitcnt lgkmcnt(0)
	s_add_u32 s1, s4, s6
	s_addc_u32 s4, s5, s7
	s_lshl_b32 s2, s26, 7
	s_lshl_b64 s[2:3], s[2:3], 1
	ds_read_b128 v[4:7], v2
	s_add_u32 s2, s1, s2
	s_addc_u32 s3, s4, s3
	s_waitcnt vmcnt(0)
	v_mov_b32_e32 v1, 0
	v_add_u32_e32 v3, s40, v74
	v_cmp_ne_u32_e32 vcc, 3, v74
	v_lshl_add_u64 v[0:1], s[2:3], 0, v[0:1]
	v_mad_u64_u32 v[8:9], s[2:3], v3, s0, 0
	v_lshl_add_u64 v[8:9], v[8:9], 1, v[0:1]
	s_waitcnt lgkmcnt(0)
	global_store_dwordx4 v[8:9], v[4:7], off
	s_and_b64 exec, exec, vcc
	s_cbranch_execz .LBB618_18
; %bb.17:
	ds_read_b128 v[2:5], v2 offset:128
	v_add3_u32 v6, s40, v74, 4
	v_mad_u64_u32 v[6:7], s[0:1], v6, s0, 0
	v_lshl_add_u64 v[0:1], v[6:7], 1, v[0:1]
	s_waitcnt lgkmcnt(0)
	global_store_dwordx4 v[0:1], v[2:5], off
.LBB618_18:
	s_endpgm
	.section	.rodata,"a",@progbits
	.p2align	6, 0x0
	.amdhsa_kernel _Z39paged_attention_ll4mi_QKV_mfma16_kernelI14__hip_bfloat16S0_LN4vllm18Fp8KVCacheDataTypeE0EhLi16ELi128ELi256ELb0ELi7EEvPKT_PKT0_S8_ifPKiSA_SA_iPKfiiiPfSD_PS3_PT2_iSC_SC_
		.amdhsa_group_segment_fixed_size 8192
		.amdhsa_private_segment_fixed_size 12
		.amdhsa_kernarg_size 400
		.amdhsa_user_sgpr_count 2
		.amdhsa_user_sgpr_dispatch_ptr 0
		.amdhsa_user_sgpr_queue_ptr 0
		.amdhsa_user_sgpr_kernarg_segment_ptr 1
		.amdhsa_user_sgpr_dispatch_id 0
		.amdhsa_user_sgpr_kernarg_preload_length 0
		.amdhsa_user_sgpr_kernarg_preload_offset 0
		.amdhsa_user_sgpr_private_segment_size 0
		.amdhsa_uses_dynamic_stack 0
		.amdhsa_enable_private_segment 1
		.amdhsa_system_sgpr_workgroup_id_x 1
		.amdhsa_system_sgpr_workgroup_id_y 1
		.amdhsa_system_sgpr_workgroup_id_z 1
		.amdhsa_system_sgpr_workgroup_info 0
		.amdhsa_system_vgpr_workitem_id 0
		.amdhsa_next_free_vgpr 96
		.amdhsa_next_free_sgpr 42
		.amdhsa_accum_offset 96
		.amdhsa_reserve_vcc 1
		.amdhsa_float_round_mode_32 0
		.amdhsa_float_round_mode_16_64 0
		.amdhsa_float_denorm_mode_32 3
		.amdhsa_float_denorm_mode_16_64 3
		.amdhsa_dx10_clamp 1
		.amdhsa_ieee_mode 1
		.amdhsa_fp16_overflow 0
		.amdhsa_tg_split 0
		.amdhsa_exception_fp_ieee_invalid_op 0
		.amdhsa_exception_fp_denorm_src 0
		.amdhsa_exception_fp_ieee_div_zero 0
		.amdhsa_exception_fp_ieee_overflow 0
		.amdhsa_exception_fp_ieee_underflow 0
		.amdhsa_exception_fp_ieee_inexact 0
		.amdhsa_exception_int_div_zero 0
	.end_amdhsa_kernel
	.section	.text._Z39paged_attention_ll4mi_QKV_mfma16_kernelI14__hip_bfloat16S0_LN4vllm18Fp8KVCacheDataTypeE0EhLi16ELi128ELi256ELb0ELi7EEvPKT_PKT0_S8_ifPKiSA_SA_iPKfiiiPfSD_PS3_PT2_iSC_SC_,"axG",@progbits,_Z39paged_attention_ll4mi_QKV_mfma16_kernelI14__hip_bfloat16S0_LN4vllm18Fp8KVCacheDataTypeE0EhLi16ELi128ELi256ELb0ELi7EEvPKT_PKT0_S8_ifPKiSA_SA_iPKfiiiPfSD_PS3_PT2_iSC_SC_,comdat
.Lfunc_end618:
	.size	_Z39paged_attention_ll4mi_QKV_mfma16_kernelI14__hip_bfloat16S0_LN4vllm18Fp8KVCacheDataTypeE0EhLi16ELi128ELi256ELb0ELi7EEvPKT_PKT0_S8_ifPKiSA_SA_iPKfiiiPfSD_PS3_PT2_iSC_SC_, .Lfunc_end618-_Z39paged_attention_ll4mi_QKV_mfma16_kernelI14__hip_bfloat16S0_LN4vllm18Fp8KVCacheDataTypeE0EhLi16ELi128ELi256ELb0ELi7EEvPKT_PKT0_S8_ifPKiSA_SA_iPKfiiiPfSD_PS3_PT2_iSC_SC_
                                        ; -- End function
	.section	.AMDGPU.csdata,"",@progbits
; Kernel info:
; codeLenInByte = 4744
; NumSgprs: 48
; NumVgprs: 96
; NumAgprs: 0
; TotalNumVgprs: 96
; ScratchSize: 12
; MemoryBound: 0
; FloatMode: 240
; IeeeMode: 1
; LDSByteSize: 8192 bytes/workgroup (compile time only)
; SGPRBlocks: 5
; VGPRBlocks: 11
; NumSGPRsForWavesPerEU: 48
; NumVGPRsForWavesPerEU: 96
; AccumOffset: 96
; Occupancy: 5
; WaveLimiterHint : 1
; COMPUTE_PGM_RSRC2:SCRATCH_EN: 1
; COMPUTE_PGM_RSRC2:USER_SGPR: 2
; COMPUTE_PGM_RSRC2:TRAP_HANDLER: 0
; COMPUTE_PGM_RSRC2:TGID_X_EN: 1
; COMPUTE_PGM_RSRC2:TGID_Y_EN: 1
; COMPUTE_PGM_RSRC2:TGID_Z_EN: 1
; COMPUTE_PGM_RSRC2:TIDIG_COMP_CNT: 0
; COMPUTE_PGM_RSRC3_GFX90A:ACCUM_OFFSET: 23
; COMPUTE_PGM_RSRC3_GFX90A:TG_SPLIT: 0
	.section	.text._Z39paged_attention_ll4mi_QKV_mfma16_kernelI14__hip_bfloat16S0_LN4vllm18Fp8KVCacheDataTypeE0EhLi16ELi128ELi256ELb0ELi8EEvPKT_PKT0_S8_ifPKiSA_SA_iPKfiiiPfSD_PS3_PT2_iSC_SC_,"axG",@progbits,_Z39paged_attention_ll4mi_QKV_mfma16_kernelI14__hip_bfloat16S0_LN4vllm18Fp8KVCacheDataTypeE0EhLi16ELi128ELi256ELb0ELi8EEvPKT_PKT0_S8_ifPKiSA_SA_iPKfiiiPfSD_PS3_PT2_iSC_SC_,comdat
	.protected	_Z39paged_attention_ll4mi_QKV_mfma16_kernelI14__hip_bfloat16S0_LN4vllm18Fp8KVCacheDataTypeE0EhLi16ELi128ELi256ELb0ELi8EEvPKT_PKT0_S8_ifPKiSA_SA_iPKfiiiPfSD_PS3_PT2_iSC_SC_ ; -- Begin function _Z39paged_attention_ll4mi_QKV_mfma16_kernelI14__hip_bfloat16S0_LN4vllm18Fp8KVCacheDataTypeE0EhLi16ELi128ELi256ELb0ELi8EEvPKT_PKT0_S8_ifPKiSA_SA_iPKfiiiPfSD_PS3_PT2_iSC_SC_
	.globl	_Z39paged_attention_ll4mi_QKV_mfma16_kernelI14__hip_bfloat16S0_LN4vllm18Fp8KVCacheDataTypeE0EhLi16ELi128ELi256ELb0ELi8EEvPKT_PKT0_S8_ifPKiSA_SA_iPKfiiiPfSD_PS3_PT2_iSC_SC_
	.p2align	8
	.type	_Z39paged_attention_ll4mi_QKV_mfma16_kernelI14__hip_bfloat16S0_LN4vllm18Fp8KVCacheDataTypeE0EhLi16ELi128ELi256ELb0ELi8EEvPKT_PKT0_S8_ifPKiSA_SA_iPKfiiiPfSD_PS3_PT2_iSC_SC_,@function
_Z39paged_attention_ll4mi_QKV_mfma16_kernelI14__hip_bfloat16S0_LN4vllm18Fp8KVCacheDataTypeE0EhLi16ELi128ELi256ELb0ELi8EEvPKT_PKT0_S8_ifPKiSA_SA_iPKfiiiPfSD_PS3_PT2_iSC_SC_: ; @_Z39paged_attention_ll4mi_QKV_mfma16_kernelI14__hip_bfloat16S0_LN4vllm18Fp8KVCacheDataTypeE0EhLi16ELi128ELi256ELb0ELi8EEvPKT_PKT0_S8_ifPKiSA_SA_iPKfiiiPfSD_PS3_PT2_iSC_SC_
; %bb.0:
	s_load_dwordx2 s[8:9], s[0:1], 0x30
	s_mov_b32 s26, s3
	s_mov_b64 s[6:7], 0
	s_waitcnt lgkmcnt(0)
	s_cmp_lg_u64 s[8:9], 0
	s_cselect_b64 s[10:11], -1, 0
	s_and_b64 vcc, exec, s[10:11]
	s_cbranch_vccz .LBB619_7
; %bb.1:
	s_add_i32 s12, s2, 1
	s_mov_b32 s13, 0
	s_lshl_b64 s[14:15], s[12:13], 2
	s_add_u32 s14, s8, s14
	s_mov_b32 s3, s13
	s_addc_u32 s15, s9, s15
	s_lshl_b64 s[12:13], s[2:3], 2
	s_add_u32 s12, s8, s12
	s_addc_u32 s13, s9, s13
	s_load_dword s5, s[14:15], 0x0
	s_load_dword s16, s[12:13], 0x0
	s_waitcnt lgkmcnt(0)
	s_sub_i32 s5, s5, s16
	s_cmp_eq_u32 s5, 1
	s_cselect_b64 s[12:13], -1, 0
	s_andn2_b64 vcc, exec, s[6:7]
	s_cbranch_vccnz .LBB619_3
.LBB619_2:
	s_mov_b32 s3, 0
	s_mov_b64 s[12:13], -1
.LBB619_3:
	s_andn2_b64 vcc, exec, s[12:13]
	s_cbranch_vccnz .LBB619_17
; %bb.4:
	s_load_dwordx2 s[6:7], s[0:1], 0x28
	s_lshl_b64 s[16:17], s[2:3], 2
	s_waitcnt lgkmcnt(0)
	s_add_u32 s6, s6, s16
	s_addc_u32 s7, s7, s17
	s_load_dword s38, s[6:7], 0x0
	s_lshl_b32 s18, s26, 8
	s_waitcnt lgkmcnt(0)
	s_cmp_ge_i32 s18, s38
	s_cbranch_scc1 .LBB619_17
; %bb.5:
	s_load_dwordx2 s[6:7], s[0:1], 0x20
	s_load_dword s5, s[0:1], 0x38
	s_add_i32 s12, s38, 15
	s_ashr_i32 s13, s12, 31
	v_and_b32_e32 v1, 0xcf, v0
	s_lshr_b32 s13, s13, 28
	v_add_u32_e32 v1, s18, v1
	s_add_i32 s12, s12, s13
	v_ashrrev_i32_e32 v2, 31, v1
	s_ashr_i32 s19, s12, 4
	v_lshrrev_b32_e32 v4, 28, v2
	s_add_i32 s19, s19, -1
	s_waitcnt lgkmcnt(0)
	s_mul_i32 s12, s2, s5
	s_mov_b32 s13, 0
	v_add_u32_e32 v2, v1, v4
	s_lshl_b64 s[12:13], s[12:13], 2
	v_ashrrev_i32_e32 v2, 4, v2
	v_mov_b32_e32 v5, s19
	v_cmp_gt_i32_e32 vcc, s38, v1
	s_add_u32 s6, s6, s12
	s_addc_u32 s7, s7, s13
	v_cndmask_b32_e32 v2, v5, v2, vcc
	v_ashrrev_i32_e32 v3, 31, v2
	v_lshl_add_u64 v[6:7], v[2:3], 2, s[6:7]
	v_or_b32_e32 v2, 16, v1
	v_add_u32_e32 v3, v2, v4
	v_ashrrev_i32_e32 v3, 4, v3
	v_cmp_gt_i32_e32 vcc, s38, v2
	s_load_dwordx4 s[12:15], s[0:1], 0x8
	s_nop 0
	v_cndmask_b32_e32 v2, v5, v3, vcc
	v_ashrrev_i32_e32 v3, 31, v2
	v_lshl_add_u64 v[8:9], v[2:3], 2, s[6:7]
	v_or_b32_e32 v2, 32, v1
	v_add_u32_e32 v3, v2, v4
	v_ashrrev_i32_e32 v3, 4, v3
	v_cmp_gt_i32_e32 vcc, s38, v2
	v_or_b32_e32 v1, 48, v1
	s_nop 0
	v_cndmask_b32_e32 v2, v5, v3, vcc
	v_ashrrev_i32_e32 v3, 31, v2
	v_lshl_add_u64 v[10:11], v[2:3], 2, s[6:7]
	v_add_u32_e32 v2, v1, v4
	v_ashrrev_i32_e32 v2, 4, v2
	v_cmp_gt_i32_e32 vcc, s38, v1
	s_nop 1
	v_cndmask_b32_e32 v2, v5, v2, vcc
	v_ashrrev_i32_e32 v3, 31, v2
	v_lshl_add_u64 v[12:13], v[2:3], 2, s[6:7]
	global_load_dword v4, v[6:7], off
	global_load_dword v3, v[8:9], off
	;; [unrolled: 1-line block ×4, first 2 shown]
	s_andn2_b64 vcc, exec, s[10:11]
	s_cbranch_vccnz .LBB619_8
; %bb.6:
	s_add_u32 s8, s8, s16
	s_addc_u32 s9, s9, s17
	s_load_dword s5, s[8:9], 0x0
	s_branch .LBB619_9
.LBB619_7:
	s_mov_b64 s[12:13], 0
	s_branch .LBB619_2
.LBB619_8:
	s_mov_b32 s5, s2
.LBB619_9:
	s_load_dwordx4 s[8:11], s[0:1], 0x48
	v_and_b32_e32 v84, 15, v0
	v_lshlrev_b32_e32 v5, 3, v84
	s_waitcnt lgkmcnt(0)
	s_movk_i32 s11, 0x80
	v_lshrrev_b32_e32 v85, 6, v0
	v_and_b32_e32 v86, 63, v0
	v_bfe_u32 v1, v0, 4, 2
	s_lshl_b32 s27, s4, 3
	v_cmp_gt_u32_e32 vcc, s11, v0
	v_lshlrev_b32_e32 v74, 1, v5
	s_and_saveexec_b64 s[16:17], vcc
	s_cbranch_execz .LBB619_11
; %bb.10:
	s_load_dwordx2 s[20:21], s[0:1], 0x0
	s_ashr_i32 s11, s8, 31
	s_mul_hi_u32 s22, s5, s8
	s_mul_i32 s11, s5, s11
	s_add_i32 s23, s22, s11
	s_mul_i32 s22, s5, s8
	v_lshl_or_b32 v5, v85, 2, v1
	s_lshl_b64 s[22:23], s[22:23], 1
	s_waitcnt lgkmcnt(0)
	s_add_u32 s20, s20, s22
	v_add_lshl_u32 v6, v5, s27, 7
	s_addc_u32 s21, s21, s23
	v_ashrrev_i32_e32 v7, 31, v6
	v_lshl_add_u64 v[6:7], v[6:7], 1, s[20:21]
	v_mov_b32_e32 v75, 0
	v_lshl_add_u64 v[6:7], v[6:7], 0, v[74:75]
	global_load_dwordx4 v[6:9], v[6:7], off
	v_and_b32_e32 v10, 3, v0
	v_lshlrev_b32_e32 v11, 9, v84
	v_lshlrev_b32_e32 v5, 5, v5
	;; [unrolled: 1-line block ×3, first 2 shown]
	v_and_b32_e32 v11, 0x1800, v11
	v_or3_b32 v5, v11, v10, v5
	s_waitcnt vmcnt(0)
	ds_write_b128 v5, v[6:9]
.LBB619_11:
	s_or_b64 exec, exec, s[16:17]
	s_mul_i32 s4, s4, s10
	s_mov_b32 s5, 0
	s_lshl_b64 s[4:5], s[4:5], 1
	s_add_u32 s10, s12, s4
	v_lshlrev_b32_e32 v6, 4, v0
	s_addc_u32 s11, s13, s5
	v_and_b32_e32 v34, 0xf0, v6
	v_mov_b32_e32 v35, 0
	v_lshl_add_u64 v[30:31], s[10:11], 0, v[34:35]
	s_waitcnt vmcnt(3)
	v_mad_i64_i32 v[4:5], s[10:11], v4, s9, 0
	v_lshl_add_u64 v[4:5], v[4:5], 1, v[30:31]
	v_and_b32_e32 v34, 0x300, v6
	v_lshl_add_u64 v[32:33], v[4:5], 0, v[34:35]
	s_load_dword s33, s[0:1], 0x98
	s_load_dword s8, s[0:1], 0x1c
	s_waitcnt lgkmcnt(0)
	s_barrier
	global_load_dwordx4 v[10:13], v[32:33], off
	global_load_dwordx4 v[22:25], v[32:33], off offset:1024
	s_waitcnt vmcnt(4)
	v_mad_i64_i32 v[4:5], s[10:11], v3, s9, 0
	s_waitcnt vmcnt(3)
	v_mad_i64_i32 v[2:3], s[10:11], v2, s9, 0
	v_lshl_add_u64 v[4:5], v[4:5], 1, v[30:31]
	v_lshl_add_u64 v[2:3], v[2:3], 1, v[30:31]
	;; [unrolled: 1-line block ×4, first 2 shown]
	global_load_dwordx4 v[14:17], v[36:37], off
	global_load_dwordx4 v[18:21], v[36:37], off offset:1024
	global_load_dwordx4 v[26:29], v[38:39], off
	global_load_dwordx4 v[46:49], v[38:39], off offset:1024
	v_and_b32_e32 v2, 7, v0
	v_lshlrev_b32_e32 v2, 5, v2
	v_lshl_or_b32 v41, v1, 9, v2
	ds_read_b128 v[6:9], v41
	ds_read_b128 v[2:5], v41 offset:2048
	global_load_dwordx4 v[54:57], v[32:33], off offset:2048
	global_load_dwordx4 v[62:65], v[36:37], off offset:2048
	v_mov_b32_e32 v76, s19
	v_lshl_or_b32 v87, v85, 4, v84
	s_add_u32 s4, s14, s4
	s_addc_u32 s5, s15, s5
	s_mov_b32 s40, 0xff7fffff
	s_waitcnt vmcnt(7) lgkmcnt(1)
	v_mfma_f32_16x16x16_bf16 v[42:45], v[10:11], v[6:7], 0
	v_mfma_f32_16x16x16_bf16 v[10:13], v[12:13], v[8:9], v[42:45]
	s_nop 5
	global_load_dwordx4 v[42:45], v[38:39], off offset:2048
	s_waitcnt vmcnt(6)
	v_mfma_f32_16x16x16_bf16 v[50:53], v[14:15], v[6:7], 0
	s_waitcnt vmcnt(4)
	v_mfma_f32_16x16x16_bf16 v[58:61], v[26:27], v[6:7], 0
	v_mfma_f32_16x16x16_bf16 v[14:17], v[16:17], v[8:9], v[50:53]
	;; [unrolled: 1-line block ×3, first 2 shown]
	s_nop 2
	global_load_dwordx4 v[50:53], v[32:33], off offset:3072
	v_mad_i64_i32 v[32:33], s[10:11], v40, s9, 0
	global_load_dwordx4 v[58:61], v[36:37], off offset:3072
	v_and_or_b32 v40, v0, 48, s18
	s_waitcnt lgkmcnt(0)
	v_mfma_f32_16x16x16_bf16 v[10:13], v[22:23], v[2:3], v[10:13]
	v_ashrrev_i32_e32 v22, 4, v40
	v_cmp_gt_i32_e32 vcc, s38, v40
	v_or_b32_e32 v77, 64, v40
	v_mfma_f32_16x16x16_bf16 v[14:17], v[18:19], v[2:3], v[14:17]
	v_cndmask_b32_e32 v18, v76, v22, vcc
	v_or_b32_e32 v78, 0x80, v40
	v_or_b32_e32 v79, 0xc0, v40
	s_waitcnt vmcnt(5)
	v_mfma_f32_16x16x16_bf16 v[26:29], v[46:47], v[2:3], v[26:29]
	v_ashrrev_i32_e32 v40, 4, v77
	v_ashrrev_i32_e32 v19, 31, v18
	v_cmp_gt_i32_e32 vcc, s38, v77
	v_ashrrev_i32_e32 v46, 4, v78
	v_lshl_add_u64 v[18:19], v[18:19], 2, s[6:7]
	v_cndmask_b32_e32 v36, v76, v40, vcc
	v_cmp_gt_i32_e32 vcc, s38, v78
	ds_read_b128 v[66:69], v41 offset:4096
	ds_read_b128 v[70:73], v41 offset:6144
	v_mfma_f32_16x16x16_bf16 v[14:17], v[20:21], v[4:5], v[14:17]
	global_load_dword v77, v[18:19], off
	v_ashrrev_i32_e32 v37, 31, v36
	v_mfma_f32_16x16x16_bf16 v[18:21], v[48:49], v[4:5], v[26:29]
	s_nop 2
	v_cndmask_b32_e32 v28, v76, v46, vcc
	v_mfma_f32_16x16x16_bf16 v[10:13], v[24:25], v[4:5], v[10:13]
	global_load_dwordx4 v[22:25], v[38:39], off offset:3072
	v_ashrrev_i32_e32 v29, 31, v28
	v_lshl_add_u64 v[26:27], v[36:37], 2, s[6:7]
	v_lshl_add_u64 v[28:29], v[28:29], 2, s[6:7]
	global_load_dword v36, v[26:27], off
	global_load_dword v82, v[28:29], off
	v_lshl_add_u64 v[26:27], v[32:33], 1, v[30:31]
	v_lshl_add_u64 v[26:27], v[26:27], 0, v[34:35]
	global_load_dwordx4 v[38:41], v[26:27], off
	global_load_dwordx4 v[46:49], v[26:27], off offset:1024
	s_waitcnt vmcnt(10) lgkmcnt(1)
	v_mfma_f32_16x16x16_bf16 v[10:13], v[54:55], v[66:67], v[10:13]
	v_ashrrev_i32_e32 v37, 4, v79
	v_cmp_gt_i32_e32 vcc, s38, v79
	v_lshlrev_b32_e32 v34, 5, v87
	v_mfma_f32_16x16x16_bf16 v[10:13], v[56:57], v[68:69], v[10:13]
	v_cndmask_b32_e32 v28, v76, v37, vcc
	v_ashrrev_i32_e32 v29, 31, v28
	v_lshl_add_u64 v[28:29], v[28:29], 2, s[6:7]
	s_waitcnt vmcnt(9)
	v_mfma_f32_16x16x16_bf16 v[14:17], v[62:63], v[66:67], v[14:17]
	v_lshl_add_u64 v[62:63], s[4:5], 0, v[34:35]
	v_or_b32_e32 v34, 0x800, v34
	global_load_dwordx4 v[54:57], v[26:27], off offset:3072
	s_waitcnt vmcnt(9)
	v_mfma_f32_16x16x16_bf16 v[18:21], v[42:43], v[66:67], v[18:21]
	v_mfma_f32_16x16x16_bf16 v[18:21], v[44:45], v[68:69], v[18:21]
	global_load_dwordx4 v[42:45], v[26:27], off offset:2048
	v_mfma_f32_16x16x16_bf16 v[14:17], v[64:65], v[68:69], v[14:17]
	global_load_dword v64, v[28:29], off
	s_waitcnt vmcnt(10) lgkmcnt(0)
	v_mfma_f32_16x16x16_bf16 v[10:13], v[50:51], v[70:71], v[10:13]
	s_waitcnt vmcnt(7)
	v_mfma_f32_16x16x16_bf16 v[18:21], v[22:23], v[70:71], v[18:21]
	v_mad_i64_i32 v[22:23], s[6:7], v77, s9, 0
	v_lshlrev_b64 v[80:81], 1, v[22:23]
	v_mfma_f32_16x16x16_bf16 v[76:79], v[52:53], v[72:73], v[10:13]
	s_waitcnt vmcnt(6)
	s_nop 1
	v_mad_i64_i32 v[10:11], s[6:7], v36, s9, 0
	v_lshlrev_b64 v[36:37], 1, v[10:11]
	v_lshl_add_u64 v[12:13], v[62:63], 0, v[80:81]
	v_lshl_add_u64 v[10:11], v[62:63], 0, v[36:37]
	global_load_dwordx4 v[30:33], v[12:13], off
	global_load_dwordx4 v[26:29], v[12:13], off offset:16
	v_mfma_f32_16x16x16_bf16 v[88:91], v[24:25], v[72:73], v[18:21]
	global_load_dwordx4 v[22:25], v[10:11], off
	s_nop 1
	global_load_dwordx4 v[18:21], v[10:11], off offset:16
	s_waitcnt vmcnt(8)
	v_mfma_f32_16x16x16_bf16 v[10:13], v[38:39], v[6:7], 0
	v_mad_i64_i32 v[6:7], s[6:7], v82, s9, 0
	v_lshlrev_b64 v[50:51], 1, v[6:7]
	v_mfma_f32_16x16x16_bf16 v[6:9], v[40:41], v[8:9], v[10:13]
	s_waitcnt vmcnt(7)
	v_mfma_f32_16x16x16_bf16 v[6:9], v[46:47], v[2:3], v[6:9]
	s_nop 1
	v_lshl_add_u64 v[10:11], v[62:63], 0, v[50:51]
	s_waitcnt vmcnt(4)
	v_mad_i64_i32 v[2:3], s[6:7], v64, s9, 0
	v_mfma_f32_16x16x16_bf16 v[38:41], v[48:49], v[4:5], v[6:9]
	v_lshlrev_b64 v[52:53], 1, v[2:3]
	v_lshl_add_u64 v[2:3], v[62:63], 0, v[52:53]
	v_pk_mul_f32 v[62:63], s[8:9], v[76:77] op_sel_hi:[0,1]
	v_mfma_f32_16x16x16_bf16 v[38:41], v[42:43], v[66:67], v[38:41]
	v_lshl_add_u64 v[64:65], s[4:5], 0, v[34:35]
	v_lshl_add_u64 v[34:35], v[64:65], 0, v[80:81]
	v_pk_mul_f32 v[80:81], s[8:9], v[78:79] op_sel_hi:[0,1]
	v_mfma_f32_16x16x16_bf16 v[38:41], v[44:45], v[68:69], v[38:41]
	v_pk_mul_f32 v[76:77], s[8:9], v[88:89] op_sel_hi:[0,1]
	v_pk_mul_f32 v[78:79], s[8:9], v[90:91] op_sel_hi:[0,1]
	v_lshl_add_u64 v[50:51], v[64:65], 0, v[50:51]
	v_mfma_f32_16x16x16_bf16 v[38:41], v[54:55], v[70:71], v[38:41]
	v_mfma_f32_16x16x16_bf16 v[14:17], v[58:59], v[70:71], v[14:17]
	;; [unrolled: 1-line block ×4, first 2 shown]
	s_nop 4
	global_load_dwordx4 v[14:17], v[10:11], off
	s_nop 0
	global_load_dwordx4 v[10:13], v[10:11], off offset:16
	v_pk_mul_f32 v[72:73], s[8:9], v[38:39] op_sel_hi:[0,1]
	v_and_b32_e32 v38, 0xc0, v0
	v_add_u32_e32 v38, s18, v38
	v_lshl_or_b32 v38, v1, 2, v38
	v_pk_mul_f32 v[66:67], s[8:9], v[40:41] op_sel_hi:[0,1]
	v_or_b32_e32 v41, 1, v38
	v_mov_b32_e32 v39, 0xff7fffff
	v_cmp_gt_i32_e64 s[28:29], s38, v38
	v_cmp_gt_i32_e64 s[30:31], s38, v41
	v_or_b32_e32 v42, 3, v38
	v_cndmask_b32_e64 v40, v39, v62, s[28:29]
	v_cndmask_b32_e64 v41, v39, v63, s[30:31]
	v_max3_f32 v40, v40, s40, v41
	v_or_b32_e32 v41, 2, v38
	v_cmp_gt_i32_e64 s[34:35], s38, v41
	v_cmp_gt_i32_e64 s[36:37], s38, v42
	v_pk_mul_f32 v[70:71], s[8:9], v[58:59] op_sel_hi:[0,1]
	v_cndmask_b32_e64 v41, v39, v80, s[34:35]
	v_cndmask_b32_e64 v42, v39, v81, s[36:37]
	v_max3_f32 v40, v40, v41, v42
	v_or_b32_e32 v41, 16, v38
	v_or_b32_e32 v42, 17, v38
	v_cmp_gt_i32_e64 s[22:23], s38, v41
	v_cmp_gt_i32_e64 s[24:25], s38, v42
	v_pk_mul_f32 v[82:83], s[8:9], v[60:61] op_sel_hi:[0,1]
	v_cndmask_b32_e64 v41, v39, v70, s[22:23]
	v_cndmask_b32_e64 v42, v39, v71, s[24:25]
	v_max3_f32 v40, v40, v41, v42
	v_or_b32_e32 v41, 18, v38
	v_or_b32_e32 v42, 19, v38
	v_cmp_gt_i32_e64 s[18:19], s38, v41
	v_cmp_gt_i32_e64 s[20:21], s38, v42
	global_load_dwordx4 v[6:9], v[2:3], off
	s_nop 0
	global_load_dwordx4 v[2:5], v[2:3], off offset:16
	v_cndmask_b32_e64 v41, v39, v82, s[18:19]
	v_cndmask_b32_e64 v42, v39, v83, s[20:21]
	v_max3_f32 v40, v40, v41, v42
	v_or_b32_e32 v41, 32, v38
	v_or_b32_e32 v42, 33, v38
	v_cmp_gt_i32_e64 s[14:15], s38, v41
	v_cmp_gt_i32_e64 s[16:17], s38, v42
	s_nop 0
	v_cndmask_b32_e64 v41, v39, v76, s[14:15]
	v_cndmask_b32_e64 v42, v39, v77, s[16:17]
	v_max3_f32 v40, v40, v41, v42
	v_or_b32_e32 v41, 34, v38
	v_or_b32_e32 v42, 35, v38
	v_cmp_gt_i32_e64 s[10:11], s38, v41
	v_cmp_gt_i32_e64 s[12:13], s38, v42
	s_nop 0
	;; [unrolled: 8-line block ×3, first 2 shown]
	v_cndmask_b32_e64 v41, v39, v72, s[6:7]
	v_cndmask_b32_e64 v42, v39, v73, s[8:9]
	v_max3_f32 v40, v40, v41, v42
	v_or_b32_e32 v41, 50, v38
	v_or_b32_e32 v38, 51, v38
	v_cmp_gt_i32_e32 vcc, s38, v41
	v_cmp_gt_i32_e64 s[4:5], s38, v38
	s_nop 0
	v_cndmask_b32_e32 v41, v39, v66, vcc
	v_cndmask_b32_e64 v38, v39, v67, s[4:5]
	v_max3_f32 v54, v40, v41, v38
	v_mbcnt_lo_u32_b32 v38, -1, 0
	v_mbcnt_hi_u32_b32 v55, -1, v38
	v_and_b32_e32 v38, 64, v55
	v_add_u32_e32 v56, 64, v38
	v_xor_b32_e32 v38, 32, v55
	v_cmp_lt_i32_e64 s[38:39], v38, v56
	s_nop 1
	v_cndmask_b32_e64 v38, v55, v38, s[38:39]
	v_lshlrev_b32_e32 v89, 2, v38
	ds_bpermute_b32 v57, v89, v54
	global_load_dwordx4 v[46:49], v[34:35], off
	global_load_dwordx4 v[38:41], v[34:35], off offset:16
	v_lshl_add_u64 v[34:35], v[64:65], 0, v[36:37]
	global_load_dwordx4 v[42:45], v[34:35], off
	s_nop 0
	global_load_dwordx4 v[34:37], v[34:35], off offset:16
	s_waitcnt lgkmcnt(0)
	v_max_f32_e32 v57, v57, v57
	v_max_f32_e32 v68, v54, v57
	v_xor_b32_e32 v54, 16, v55
	v_cmp_lt_i32_e64 s[38:39], v54, v56
	s_nop 1
	v_cndmask_b32_e64 v54, v55, v54, s[38:39]
	v_lshlrev_b32_e32 v90, 2, v54
	ds_bpermute_b32 v69, v90, v68
	global_load_dwordx4 v[58:61], v[50:51], off
	global_load_dwordx4 v[54:57], v[50:51], off offset:16
	v_lshl_add_u64 v[50:51], v[64:65], 0, v[52:53]
	s_waitcnt lgkmcnt(0)
	v_max_f32_e32 v52, v69, v69
	v_max_f32_e32 v88, v68, v52
	v_sub_f32_e32 v52, v62, v88
	v_mul_f32_e32 v52, 0x3fb8aa3b, v52
	v_exp_f32_e32 v68, v52
	v_sub_f32_e32 v52, v63, v88
	v_mul_f32_e32 v52, 0x3fb8aa3b, v52
	v_exp_f32_e32 v69, v52
	global_load_dwordx4 v[62:65], v[50:51], off
	s_nop 0
	global_load_dwordx4 v[50:53], v[50:51], off offset:16
	v_sub_f32_e32 v80, v80, v88
	v_mul_f32_e32 v80, 0x3fb8aa3b, v80
	v_sub_f32_e32 v81, v81, v88
	v_exp_f32_e32 v80, v80
	v_mul_f32_e32 v81, 0x3fb8aa3b, v81
	v_sub_f32_e32 v70, v70, v88
	v_exp_f32_e32 v81, v81
	v_mul_f32_e32 v70, 0x3fb8aa3b, v70
	v_sub_f32_e32 v71, v71, v88
	v_cndmask_b32_e64 v68, 0, v68, s[28:29]
	v_exp_f32_e32 v70, v70
	v_mul_f32_e32 v71, 0x3fb8aa3b, v71
	v_sub_f32_e32 v82, v82, v88
	v_add_f32_e32 v91, 0, v68
	v_cndmask_b32_e64 v69, 0, v69, s[30:31]
	v_exp_f32_e32 v71, v71
	v_mul_f32_e32 v82, 0x3fb8aa3b, v82
	v_sub_f32_e32 v83, v83, v88
	v_add_f32_e32 v91, v91, v69
	;; [unrolled: 5-line block ×10, first 2 shown]
	v_cndmask_b32_e64 v78, 0, v78, s[10:11]
	v_exp_f32_e32 v66, v66
	v_mul_f32_e32 v67, 0x3fb8aa3b, v67
	v_add_f32_e32 v91, v91, v78
	v_cndmask_b32_e64 v79, 0, v79, s[12:13]
	v_exp_f32_e32 v67, v67
	v_add_f32_e32 v91, v91, v79
	v_cndmask_b32_e64 v72, 0, v72, s[6:7]
	v_add_f32_e32 v91, v91, v72
	v_cndmask_b32_e64 v73, 0, v73, s[8:9]
	v_add_f32_e32 v91, v91, v73
	v_cndmask_b32_e32 v66, 0, v66, vcc
	v_add_f32_e32 v91, v91, v66
	v_cndmask_b32_e64 v67, 0, v67, s[4:5]
	v_add_f32_e32 v91, v91, v67
	ds_bpermute_b32 v89, v89, v91
	v_cmp_gt_u32_e32 vcc, 16, v86
	s_waitcnt lgkmcnt(0)
	s_barrier
	v_add_f32_e32 v89, v91, v89
	ds_bpermute_b32 v90, v90, v89
	s_and_saveexec_b64 s[4:5], vcc
	s_cbranch_execz .LBB619_13
; %bb.12:
	s_waitcnt lgkmcnt(0)
	v_add_f32_e32 v86, v89, v90
	v_lshlrev_b32_e32 v87, 2, v87
	ds_write2st64_b32 v87, v88, v86 offset1:1
.LBB619_13:
	s_or_b64 exec, exec, s[4:5]
	v_lshlrev_b32_e32 v87, 2, v84
	s_load_dword s6, s[0:1], 0x94
	s_waitcnt lgkmcnt(0)
	s_barrier
	ds_read2_b32 v[88:89], v87 offset1:16
	ds_read2_b32 v[90:91], v87 offset0:32 offset1:48
	ds_read2_b32 v[92:93], v87 offset0:64 offset1:80
	v_mov_b32_e32 v1, v84
	s_movk_i32 s8, 0x7fff
	s_waitcnt lgkmcnt(2)
	v_max3_f32 v86, v88, s40, v89
	s_waitcnt lgkmcnt(1)
	v_max3_f32 v86, v86, v90, v91
	v_sub_f32_e32 v88, v88, v86
	v_mul_f32_e32 v88, 0x3fb8aa3b, v88
	v_exp_f32_e32 v94, v88
	v_sub_f32_e32 v88, v89, v86
	v_mul_f32_e32 v88, 0x3fb8aa3b, v88
	v_exp_f32_e32 v95, v88
	;; [unrolled: 3-line block ×3, first 2 shown]
	ds_read2_b32 v[88:89], v87 offset0:96 offset1:112
	v_sub_f32_e32 v87, v91, v86
	v_mul_f32_e32 v87, 0x3fb8aa3b, v87
	v_exp_f32_e32 v91, v87
	s_waitcnt lgkmcnt(1)
	v_fma_f32 v87, v94, v92, 0
	v_fmac_f32_e32 v87, v95, v93
	s_waitcnt lgkmcnt(0)
	v_fmac_f32_e32 v87, v90, v88
	v_fmac_f32_e32 v87, v91, v89
	v_add_f32_e32 v88, 0x358637bd, v87
	v_div_scale_f32 v89, s[4:5], v88, v88, 1.0
	v_rcp_f32_e32 v92, v89
	s_mov_b32 s9, 0x7060302
	s_barrier
	v_fma_f32 v93, -v89, v92, 1.0
	v_fmac_f32_e32 v92, v93, v92
	v_div_scale_f32 v93, vcc, 1.0, v88, 1.0
	v_mul_f32_e32 v75, v93, v92
	v_fma_f32 v84, -v89, v75, v93
	v_fmac_f32_e32 v75, v84, v92
	v_fma_f32 v84, -v89, v75, v93
	v_div_fmas_f32 v75, v84, v92, v75
	v_cmp_eq_u32_e32 vcc, 1, v85
	v_div_fixup_f32 v75, v75, v88, 1.0
	s_nop 0
	v_cndmask_b32_e32 v84, v94, v95, vcc
	v_cmp_eq_u32_e32 vcc, 2, v85
	s_lshl_b32 s7, s33, 3
	s_nop 0
	v_cndmask_b32_e32 v84, v84, v90, vcc
	v_cmp_eq_u32_e32 vcc, 3, v85
	s_nop 1
	v_cndmask_b32_e32 v84, v84, v91, vcc
	v_mul_f32_e32 v88, v84, v75
	v_pk_mul_f32 v[68:69], v[88:89], v[68:69] op_sel_hi:[0,1]
	v_bfe_u32 v75, v69, 16, 1
	v_bfe_u32 v84, v68, 16, 1
	v_pk_mul_f32 v[80:81], v[88:89], v[80:81] op_sel_hi:[0,1]
	v_add3_u32 v68, v68, v84, s8
	v_add3_u32 v69, v69, v75, s8
	v_perm_b32 v90, v69, v68, s9
	v_bfe_u32 v68, v81, 16, 1
	v_bfe_u32 v69, v80, 16, 1
	v_mov_b32_e32 v84, v1
	v_add3_u32 v69, v80, v69, s8
	v_add3_u32 v68, v81, v68, s8
	v_bfe_u32 v1, v0, 4, 2
	v_perm_b32 v91, v68, v69, s9
	v_lshlrev_b32_e32 v69, 3, v1
	v_lshlrev_b32_e32 v68, 5, v84
	;; [unrolled: 1-line block ×3, first 2 shown]
	v_pk_mul_f32 v[70:71], v[88:89], v[70:71] op_sel_hi:[0,1]
	v_or3_b32 v80, v75, v68, v69
	v_bfe_u32 v69, v71, 16, 1
	v_bfe_u32 v75, v70, 16, 1
	v_pk_mul_f32 v[82:83], v[88:89], v[82:83] op_sel_hi:[0,1]
	v_add3_u32 v70, v70, v75, s8
	v_add3_u32 v69, v71, v69, s8
	v_perm_b32 v70, v69, v70, s9
	v_bfe_u32 v69, v83, 16, 1
	v_bfe_u32 v71, v82, 16, 1
	v_add3_u32 v71, v82, v71, s8
	v_add3_u32 v69, v83, v69, s8
	v_pk_mul_f32 v[76:77], v[88:89], v[76:77] op_sel_hi:[0,1]
	v_perm_b32 v71, v69, v71, s9
	v_bfe_u32 v69, v77, 16, 1
	v_bfe_u32 v75, v76, 16, 1
	ds_write2st64_b64 v80, v[90:91], v[70:71] offset1:1
	v_pk_mul_f32 v[70:71], v[88:89], v[78:79] op_sel_hi:[0,1]
	v_add3_u32 v75, v76, v75, s8
	v_add3_u32 v69, v77, v69, s8
	v_perm_b32 v76, v69, v75, s9
	v_bfe_u32 v69, v71, 16, 1
	v_bfe_u32 v75, v70, 16, 1
	v_add3_u32 v70, v70, v75, s8
	v_add3_u32 v69, v71, v69, s8
	v_perm_b32 v77, v69, v70, s9
	v_pk_mul_f32 v[70:71], v[88:89], v[72:73] op_sel_hi:[0,1]
	v_bfe_u32 v69, v71, 16, 1
	v_bfe_u32 v72, v70, 16, 1
	v_pk_mul_f32 v[66:67], v[88:89], v[66:67] op_sel_hi:[0,1]
	v_add3_u32 v70, v70, v72, s8
	v_add3_u32 v69, v71, v69, s8
	v_perm_b32 v70, v69, v70, s9
	v_bfe_u32 v69, v67, 16, 1
	v_bfe_u32 v71, v66, 16, 1
	v_add3_u32 v66, v66, v71, s8
	v_add3_u32 v67, v67, v69, s8
	v_perm_b32 v71, v67, v66, s9
	v_cmp_gt_u32_e32 vcc, 8, v0
	ds_write2st64_b64 v80, v[76:77], v[70:71] offset0:2 offset1:3
	s_and_saveexec_b64 s[4:5], vcc
	s_cbranch_execz .LBB619_15
; %bb.14:
	v_or_b32_e32 v66, s27, v0
	v_mov_b32_e32 v67, 0
	v_mov_b32_e32 v69, s7
	v_mad_u64_u32 v[70:71], s[10:11], s2, v69, v[66:67]
	v_mov_b32_e32 v66, s26
	s_load_dwordx4 s[12:15], s[0:1], 0x58
	s_mul_i32 s3, s3, s7
	v_mad_u64_u32 v[66:67], s[10:11], v70, s6, v[66:67]
	v_add_u32_e32 v69, s3, v71
	v_mov_b32_e32 v70, v67
	v_mad_u64_u32 v[70:71], s[10:11], v69, s6, v[70:71]
	v_mov_b32_e32 v67, v70
	v_lshlrev_b64 v[66:67], 2, v[66:67]
	s_waitcnt lgkmcnt(0)
	v_lshl_add_u64 v[70:71], s[14:15], 0, v[66:67]
	v_lshl_add_u64 v[66:67], s[12:13], 0, v[66:67]
	global_store_dword v[70:71], v86, off
	global_store_dword v[66:67], v87, off
.LBB619_15:
	s_or_b64 exec, exec, s[4:5]
	v_lshl_or_b32 v75, v1, 9, v68
	s_waitcnt lgkmcnt(0)
	s_barrier
	ds_read_b128 v[70:73], v75
	ds_read_b128 v[66:69], v75 offset:16
	s_waitcnt vmcnt(15) lgkmcnt(1)
	v_mfma_f32_16x16x16_bf16 v[76:79], v[30:31], v[70:71], 0
	s_mov_b32 s3, 0
	v_cmp_gt_u32_e32 vcc, 64, v0
	v_mfma_f32_16x16x16_bf16 v[30:33], v[32:33], v[72:73], v[76:79]
	s_waitcnt vmcnt(14) lgkmcnt(0)
	v_mfma_f32_16x16x16_bf16 v[30:33], v[26:27], v[66:67], v[30:33]
	v_mfma_f32_16x16x16_bf16 v[26:29], v[28:29], v[68:69], v[30:33]
	s_nop 5
	ds_read_b128 v[30:33], v75 offset:2048
	ds_read_b128 v[76:79], v75 offset:2064
	s_waitcnt vmcnt(13) lgkmcnt(1)
	v_mfma_f32_16x16x16_bf16 v[26:29], v[22:23], v[30:31], v[26:29]
	v_mfma_f32_16x16x16_bf16 v[22:25], v[24:25], v[32:33], v[26:29]
	s_waitcnt vmcnt(12) lgkmcnt(0)
	v_mfma_f32_16x16x16_bf16 v[22:25], v[18:19], v[76:77], v[22:25]
	v_mfma_f32_16x16x16_bf16 v[18:21], v[20:21], v[78:79], v[22:25]
	s_nop 5
	ds_read_b128 v[22:25], v75 offset:4096
	ds_read_b128 v[26:29], v75 offset:4112
	s_waitcnt vmcnt(11) lgkmcnt(1)
	v_mfma_f32_16x16x16_bf16 v[18:21], v[14:15], v[22:23], v[18:21]
	v_mfma_f32_16x16x16_bf16 v[14:17], v[16:17], v[24:25], v[18:21]
	s_waitcnt vmcnt(10) lgkmcnt(0)
	v_mfma_f32_16x16x16_bf16 v[14:17], v[10:11], v[26:27], v[14:17]
	v_mfma_f32_16x16x16_bf16 v[10:13], v[12:13], v[28:29], v[14:17]
	s_nop 5
	ds_read_b128 v[14:17], v75 offset:6144
	ds_read_b128 v[18:21], v75 offset:6160
	s_waitcnt lgkmcnt(0)
	s_barrier
	s_waitcnt vmcnt(9)
	v_mfma_f32_16x16x16_bf16 v[10:13], v[6:7], v[14:15], v[10:13]
	v_mfma_f32_16x16x16_bf16 v[6:9], v[8:9], v[16:17], v[10:13]
	s_waitcnt vmcnt(8)
	v_mfma_f32_16x16x16_bf16 v[6:9], v[2:3], v[18:19], v[6:9]
	v_mfma_f32_16x16x16_bf16 v[2:5], v[4:5], v[20:21], v[6:9]
	s_waitcnt vmcnt(7)
	v_mfma_f32_16x16x16_bf16 v[6:9], v[46:47], v[70:71], 0
	v_mfma_f32_16x16x16_bf16 v[6:9], v[48:49], v[72:73], v[6:9]
	s_nop 3
	v_bfe_u32 v10, v3, 16, 1
	v_bfe_u32 v11, v2, 16, 1
	v_add3_u32 v2, v2, v11, s8
	s_waitcnt vmcnt(6)
	v_mfma_f32_16x16x16_bf16 v[6:9], v[38:39], v[66:67], v[6:9]
	v_add3_u32 v3, v3, v10, s8
	v_perm_b32 v10, v3, v2, s9
	v_bfe_u32 v2, v5, 16, 1
	v_mfma_f32_16x16x16_bf16 v[6:9], v[40:41], v[68:69], v[6:9]
	v_bfe_u32 v3, v4, 16, 1
	v_add3_u32 v3, v4, v3, s8
	v_add3_u32 v2, v5, v2, s8
	s_waitcnt vmcnt(5)
	v_mfma_f32_16x16x16_bf16 v[6:9], v[42:43], v[30:31], v[6:9]
	v_perm_b32 v11, v2, v3, s9
	v_mfma_f32_16x16x16_bf16 v[6:9], v[44:45], v[32:33], v[6:9]
	s_waitcnt vmcnt(4)
	v_mfma_f32_16x16x16_bf16 v[6:9], v[34:35], v[76:77], v[6:9]
	v_mfma_f32_16x16x16_bf16 v[6:9], v[36:37], v[78:79], v[6:9]
	s_waitcnt vmcnt(3)
	v_mfma_f32_16x16x16_bf16 v[6:9], v[58:59], v[22:23], v[6:9]
	;; [unrolled: 3-line block ×5, first 2 shown]
	v_mfma_f32_16x16x16_bf16 v[2:5], v[52:53], v[20:21], v[6:9]
	s_nop 6
	v_bfe_u32 v6, v3, 16, 1
	v_bfe_u32 v7, v2, 16, 1
	v_add3_u32 v2, v2, v7, s8
	v_add3_u32 v3, v3, v6, s8
	v_perm_b32 v2, v3, v2, s9
	v_bfe_u32 v3, v5, 16, 1
	v_bfe_u32 v6, v4, 16, 1
	v_add3_u32 v4, v4, v6, s8
	v_add3_u32 v3, v5, v3, s8
	v_perm_b32 v3, v3, v4, s9
	ds_write2st64_b64 v80, v[10:11], v[2:3] offset1:1
	s_waitcnt lgkmcnt(0)
	s_barrier
	s_and_saveexec_b64 s[4:5], vcc
	s_cbranch_execz .LBB619_17
; %bb.16:
	s_load_dwordx2 s[0:1], s[0:1], 0x68
	s_lshl_b32 s6, s6, 7
	s_mul_i32 s2, s7, s2
	s_mul_hi_u32 s5, s2, s6
	s_mul_i32 s4, s2, s6
	v_lshlrev_b32_e32 v4, 6, v84
	s_lshl_b64 s[4:5], s[4:5], 1
	v_lshlrev_b32_e32 v3, 4, v0
	v_lshl_or_b32 v0, v0, 10, v4
	s_waitcnt lgkmcnt(0)
	s_add_u32 s4, s0, s4
	v_lshlrev_b32_e32 v2, 5, v1
	v_and_b32_e32 v3, 16, v3
	v_and_b32_e32 v0, 0x1a00, v0
	s_addc_u32 s5, s1, s5
	s_lshl_b32 s2, s26, 7
	v_or3_b32 v0, v0, v2, v3
	s_lshl_b64 s[0:1], s[2:3], 1
	ds_read_b128 v[2:5], v0
	ds_read_b128 v[6:9], v0 offset:128
	s_add_u32 s0, s4, s0
	s_addc_u32 s1, s5, s1
	v_mov_b32_e32 v75, 0
	v_or_b32_e32 v12, s27, v1
	v_lshl_add_u64 v[10:11], s[0:1], 0, v[74:75]
	v_mad_u64_u32 v[0:1], s[0:1], v12, s6, 0
	v_lshl_add_u64 v[0:1], v[0:1], 1, v[10:11]
	s_waitcnt lgkmcnt(1)
	global_store_dwordx4 v[0:1], v[2:5], off
	v_or_b32_e32 v0, 4, v12
	v_mad_u64_u32 v[0:1], s[0:1], v0, s6, 0
	v_lshl_add_u64 v[0:1], v[0:1], 1, v[10:11]
	s_waitcnt lgkmcnt(0)
	global_store_dwordx4 v[0:1], v[6:9], off
.LBB619_17:
	s_endpgm
	.section	.rodata,"a",@progbits
	.p2align	6, 0x0
	.amdhsa_kernel _Z39paged_attention_ll4mi_QKV_mfma16_kernelI14__hip_bfloat16S0_LN4vllm18Fp8KVCacheDataTypeE0EhLi16ELi128ELi256ELb0ELi8EEvPKT_PKT0_S8_ifPKiSA_SA_iPKfiiiPfSD_PS3_PT2_iSC_SC_
		.amdhsa_group_segment_fixed_size 8192
		.amdhsa_private_segment_fixed_size 0
		.amdhsa_kernarg_size 400
		.amdhsa_user_sgpr_count 2
		.amdhsa_user_sgpr_dispatch_ptr 0
		.amdhsa_user_sgpr_queue_ptr 0
		.amdhsa_user_sgpr_kernarg_segment_ptr 1
		.amdhsa_user_sgpr_dispatch_id 0
		.amdhsa_user_sgpr_kernarg_preload_length 0
		.amdhsa_user_sgpr_kernarg_preload_offset 0
		.amdhsa_user_sgpr_private_segment_size 0
		.amdhsa_uses_dynamic_stack 0
		.amdhsa_enable_private_segment 0
		.amdhsa_system_sgpr_workgroup_id_x 1
		.amdhsa_system_sgpr_workgroup_id_y 1
		.amdhsa_system_sgpr_workgroup_id_z 1
		.amdhsa_system_sgpr_workgroup_info 0
		.amdhsa_system_vgpr_workitem_id 0
		.amdhsa_next_free_vgpr 96
		.amdhsa_next_free_sgpr 41
		.amdhsa_accum_offset 96
		.amdhsa_reserve_vcc 1
		.amdhsa_float_round_mode_32 0
		.amdhsa_float_round_mode_16_64 0
		.amdhsa_float_denorm_mode_32 3
		.amdhsa_float_denorm_mode_16_64 3
		.amdhsa_dx10_clamp 1
		.amdhsa_ieee_mode 1
		.amdhsa_fp16_overflow 0
		.amdhsa_tg_split 0
		.amdhsa_exception_fp_ieee_invalid_op 0
		.amdhsa_exception_fp_denorm_src 0
		.amdhsa_exception_fp_ieee_div_zero 0
		.amdhsa_exception_fp_ieee_overflow 0
		.amdhsa_exception_fp_ieee_underflow 0
		.amdhsa_exception_fp_ieee_inexact 0
		.amdhsa_exception_int_div_zero 0
	.end_amdhsa_kernel
	.section	.text._Z39paged_attention_ll4mi_QKV_mfma16_kernelI14__hip_bfloat16S0_LN4vllm18Fp8KVCacheDataTypeE0EhLi16ELi128ELi256ELb0ELi8EEvPKT_PKT0_S8_ifPKiSA_SA_iPKfiiiPfSD_PS3_PT2_iSC_SC_,"axG",@progbits,_Z39paged_attention_ll4mi_QKV_mfma16_kernelI14__hip_bfloat16S0_LN4vllm18Fp8KVCacheDataTypeE0EhLi16ELi128ELi256ELb0ELi8EEvPKT_PKT0_S8_ifPKiSA_SA_iPKfiiiPfSD_PS3_PT2_iSC_SC_,comdat
.Lfunc_end619:
	.size	_Z39paged_attention_ll4mi_QKV_mfma16_kernelI14__hip_bfloat16S0_LN4vllm18Fp8KVCacheDataTypeE0EhLi16ELi128ELi256ELb0ELi8EEvPKT_PKT0_S8_ifPKiSA_SA_iPKfiiiPfSD_PS3_PT2_iSC_SC_, .Lfunc_end619-_Z39paged_attention_ll4mi_QKV_mfma16_kernelI14__hip_bfloat16S0_LN4vllm18Fp8KVCacheDataTypeE0EhLi16ELi128ELi256ELb0ELi8EEvPKT_PKT0_S8_ifPKiSA_SA_iPKfiiiPfSD_PS3_PT2_iSC_SC_
                                        ; -- End function
	.section	.AMDGPU.csdata,"",@progbits
; Kernel info:
; codeLenInByte = 4652
; NumSgprs: 47
; NumVgprs: 96
; NumAgprs: 0
; TotalNumVgprs: 96
; ScratchSize: 0
; MemoryBound: 0
; FloatMode: 240
; IeeeMode: 1
; LDSByteSize: 8192 bytes/workgroup (compile time only)
; SGPRBlocks: 5
; VGPRBlocks: 11
; NumSGPRsForWavesPerEU: 47
; NumVGPRsForWavesPerEU: 96
; AccumOffset: 96
; Occupancy: 5
; WaveLimiterHint : 1
; COMPUTE_PGM_RSRC2:SCRATCH_EN: 0
; COMPUTE_PGM_RSRC2:USER_SGPR: 2
; COMPUTE_PGM_RSRC2:TRAP_HANDLER: 0
; COMPUTE_PGM_RSRC2:TGID_X_EN: 1
; COMPUTE_PGM_RSRC2:TGID_Y_EN: 1
; COMPUTE_PGM_RSRC2:TGID_Z_EN: 1
; COMPUTE_PGM_RSRC2:TIDIG_COMP_CNT: 0
; COMPUTE_PGM_RSRC3_GFX90A:ACCUM_OFFSET: 23
; COMPUTE_PGM_RSRC3_GFX90A:TG_SPLIT: 0
	.section	.text._Z39paged_attention_ll4mi_QKV_mfma16_kernelI14__hip_bfloat16S0_LN4vllm18Fp8KVCacheDataTypeE0EhLi16ELi128ELi256ELb0ELi9EEvPKT_PKT0_S8_ifPKiSA_SA_iPKfiiiPfSD_PS3_PT2_iSC_SC_,"axG",@progbits,_Z39paged_attention_ll4mi_QKV_mfma16_kernelI14__hip_bfloat16S0_LN4vllm18Fp8KVCacheDataTypeE0EhLi16ELi128ELi256ELb0ELi9EEvPKT_PKT0_S8_ifPKiSA_SA_iPKfiiiPfSD_PS3_PT2_iSC_SC_,comdat
	.protected	_Z39paged_attention_ll4mi_QKV_mfma16_kernelI14__hip_bfloat16S0_LN4vllm18Fp8KVCacheDataTypeE0EhLi16ELi128ELi256ELb0ELi9EEvPKT_PKT0_S8_ifPKiSA_SA_iPKfiiiPfSD_PS3_PT2_iSC_SC_ ; -- Begin function _Z39paged_attention_ll4mi_QKV_mfma16_kernelI14__hip_bfloat16S0_LN4vllm18Fp8KVCacheDataTypeE0EhLi16ELi128ELi256ELb0ELi9EEvPKT_PKT0_S8_ifPKiSA_SA_iPKfiiiPfSD_PS3_PT2_iSC_SC_
	.globl	_Z39paged_attention_ll4mi_QKV_mfma16_kernelI14__hip_bfloat16S0_LN4vllm18Fp8KVCacheDataTypeE0EhLi16ELi128ELi256ELb0ELi9EEvPKT_PKT0_S8_ifPKiSA_SA_iPKfiiiPfSD_PS3_PT2_iSC_SC_
	.p2align	8
	.type	_Z39paged_attention_ll4mi_QKV_mfma16_kernelI14__hip_bfloat16S0_LN4vllm18Fp8KVCacheDataTypeE0EhLi16ELi128ELi256ELb0ELi9EEvPKT_PKT0_S8_ifPKiSA_SA_iPKfiiiPfSD_PS3_PT2_iSC_SC_,@function
_Z39paged_attention_ll4mi_QKV_mfma16_kernelI14__hip_bfloat16S0_LN4vllm18Fp8KVCacheDataTypeE0EhLi16ELi128ELi256ELb0ELi9EEvPKT_PKT0_S8_ifPKiSA_SA_iPKfiiiPfSD_PS3_PT2_iSC_SC_: ; @_Z39paged_attention_ll4mi_QKV_mfma16_kernelI14__hip_bfloat16S0_LN4vllm18Fp8KVCacheDataTypeE0EhLi16ELi128ELi256ELb0ELi9EEvPKT_PKT0_S8_ifPKiSA_SA_iPKfiiiPfSD_PS3_PT2_iSC_SC_
; %bb.0:
	s_load_dwordx2 s[8:9], s[0:1], 0x30
	s_mov_b32 s26, s3
	s_mov_b64 s[6:7], 0
	s_waitcnt lgkmcnt(0)
	s_cmp_lg_u64 s[8:9], 0
	s_cselect_b64 s[10:11], -1, 0
	s_and_b64 vcc, exec, s[10:11]
	s_cbranch_vccz .LBB620_7
; %bb.1:
	s_add_i32 s12, s2, 1
	s_mov_b32 s13, 0
	s_lshl_b64 s[14:15], s[12:13], 2
	s_add_u32 s14, s8, s14
	s_mov_b32 s3, s13
	s_addc_u32 s15, s9, s15
	s_lshl_b64 s[12:13], s[2:3], 2
	s_add_u32 s12, s8, s12
	s_addc_u32 s13, s9, s13
	s_load_dword s5, s[14:15], 0x0
	s_load_dword s16, s[12:13], 0x0
	s_waitcnt lgkmcnt(0)
	s_sub_i32 s5, s5, s16
	s_cmp_eq_u32 s5, 1
	s_cselect_b64 s[12:13], -1, 0
	s_andn2_b64 vcc, exec, s[6:7]
	s_cbranch_vccnz .LBB620_3
.LBB620_2:
	s_mov_b32 s3, 0
	s_mov_b64 s[12:13], -1
.LBB620_3:
	s_andn2_b64 vcc, exec, s[12:13]
	s_cbranch_vccnz .LBB620_18
; %bb.4:
	s_load_dwordx2 s[6:7], s[0:1], 0x28
	s_lshl_b64 s[16:17], s[2:3], 2
	s_waitcnt lgkmcnt(0)
	s_add_u32 s6, s6, s16
	s_addc_u32 s7, s7, s17
	s_load_dword s33, s[6:7], 0x0
	s_lshl_b32 s18, s26, 8
	s_waitcnt lgkmcnt(0)
	s_cmp_ge_i32 s18, s33
	s_cbranch_scc1 .LBB620_18
; %bb.5:
	s_load_dwordx2 s[6:7], s[0:1], 0x20
	s_load_dword s5, s[0:1], 0x38
	s_add_i32 s12, s33, 15
	s_ashr_i32 s13, s12, 31
	v_and_b32_e32 v1, 0xcf, v0
	s_lshr_b32 s13, s13, 28
	v_add_u32_e32 v1, s18, v1
	s_add_i32 s12, s12, s13
	v_ashrrev_i32_e32 v2, 31, v1
	s_ashr_i32 s19, s12, 4
	v_lshrrev_b32_e32 v4, 28, v2
	s_add_i32 s19, s19, -1
	s_waitcnt lgkmcnt(0)
	s_mul_i32 s12, s2, s5
	s_mov_b32 s13, 0
	v_add_u32_e32 v2, v1, v4
	s_lshl_b64 s[12:13], s[12:13], 2
	v_ashrrev_i32_e32 v2, 4, v2
	v_mov_b32_e32 v5, s19
	v_cmp_gt_i32_e32 vcc, s33, v1
	s_add_u32 s6, s6, s12
	s_addc_u32 s7, s7, s13
	v_cndmask_b32_e32 v2, v5, v2, vcc
	v_ashrrev_i32_e32 v3, 31, v2
	v_lshl_add_u64 v[6:7], v[2:3], 2, s[6:7]
	v_or_b32_e32 v2, 16, v1
	v_add_u32_e32 v3, v2, v4
	v_ashrrev_i32_e32 v3, 4, v3
	v_cmp_gt_i32_e32 vcc, s33, v2
	s_load_dwordx4 s[12:15], s[0:1], 0x8
	s_nop 0
	v_cndmask_b32_e32 v2, v5, v3, vcc
	v_ashrrev_i32_e32 v3, 31, v2
	v_lshl_add_u64 v[8:9], v[2:3], 2, s[6:7]
	v_or_b32_e32 v2, 32, v1
	v_add_u32_e32 v3, v2, v4
	v_ashrrev_i32_e32 v3, 4, v3
	v_cmp_gt_i32_e32 vcc, s33, v2
	v_or_b32_e32 v1, 48, v1
	s_nop 0
	v_cndmask_b32_e32 v2, v5, v3, vcc
	v_ashrrev_i32_e32 v3, 31, v2
	v_lshl_add_u64 v[10:11], v[2:3], 2, s[6:7]
	v_add_u32_e32 v2, v1, v4
	v_ashrrev_i32_e32 v2, 4, v2
	v_cmp_gt_i32_e32 vcc, s33, v1
	s_nop 1
	v_cndmask_b32_e32 v2, v5, v2, vcc
	v_ashrrev_i32_e32 v3, 31, v2
	v_lshl_add_u64 v[12:13], v[2:3], 2, s[6:7]
	global_load_dword v4, v[6:7], off
	global_load_dword v3, v[8:9], off
	;; [unrolled: 1-line block ×4, first 2 shown]
	s_andn2_b64 vcc, exec, s[10:11]
	s_cbranch_vccnz .LBB620_8
; %bb.6:
	s_add_u32 s8, s8, s16
	s_addc_u32 s9, s9, s17
	s_load_dword s5, s[8:9], 0x0
	s_branch .LBB620_9
.LBB620_7:
	s_mov_b64 s[12:13], 0
	s_branch .LBB620_2
.LBB620_8:
	s_mov_b32 s5, s2
.LBB620_9:
	s_load_dwordx4 s[8:11], s[0:1], 0x48
	v_lshrrev_b32_e32 v77, 6, v0
	v_bfe_u32 v86, v0, 4, 2
	v_and_b32_e32 v76, 15, v0
	v_lshl_or_b32 v1, v77, 2, v86
	v_lshlrev_b32_e32 v5, 3, v76
	v_and_b32_e32 v87, 63, v0
	s_mul_i32 s40, s4, 9
	v_cmp_gt_u32_e32 vcc, 9, v1
	v_lshlrev_b32_e32 v74, 1, v5
	s_and_saveexec_b64 s[16:17], vcc
	s_cbranch_execz .LBB620_11
; %bb.10:
	s_load_dwordx2 s[20:21], s[0:1], 0x0
	s_waitcnt lgkmcnt(0)
	s_ashr_i32 s11, s8, 31
	s_mul_hi_u32 s22, s5, s8
	s_mul_i32 s11, s5, s11
	s_add_i32 s23, s22, s11
	s_mul_i32 s22, s5, s8
	s_lshl_b64 s[22:23], s[22:23], 1
	s_add_u32 s20, s20, s22
	v_add_lshl_u32 v6, v1, s40, 7
	s_addc_u32 s21, s21, s23
	v_ashrrev_i32_e32 v7, 31, v6
	v_lshl_add_u64 v[6:7], v[6:7], 1, s[20:21]
	v_mov_b32_e32 v75, 0
	v_lshl_add_u64 v[6:7], v[6:7], 0, v[74:75]
	global_load_dwordx4 v[6:9], v[6:7], off
	v_and_b32_e32 v5, 3, v0
	v_lshlrev_b32_e32 v10, 9, v76
	v_lshlrev_b32_e32 v1, 5, v1
	;; [unrolled: 1-line block ×3, first 2 shown]
	v_and_b32_e32 v10, 0x1800, v10
	v_or3_b32 v1, v10, v5, v1
	s_waitcnt vmcnt(0)
	ds_write_b128 v1, v[6:9]
.LBB620_11:
	s_or_b64 exec, exec, s[16:17]
	s_waitcnt lgkmcnt(0)
	s_mul_i32 s4, s4, s10
	s_mov_b32 s5, 0
	s_lshl_b64 s[4:5], s[4:5], 1
	s_add_u32 s10, s12, s4
	v_lshlrev_b32_e32 v1, 4, v0
	s_addc_u32 s11, s13, s5
	v_and_b32_e32 v34, 0xf0, v1
	v_mov_b32_e32 v35, 0
	v_lshl_add_u64 v[30:31], s[10:11], 0, v[34:35]
	s_waitcnt vmcnt(3)
	v_mad_i64_i32 v[4:5], s[10:11], v4, s9, 0
	v_lshl_add_u64 v[4:5], v[4:5], 1, v[30:31]
	v_and_b32_e32 v34, 0x300, v1
	v_lshl_add_u64 v[32:33], v[4:5], 0, v[34:35]
	s_load_dword s27, s[0:1], 0x98
	s_load_dword s8, s[0:1], 0x1c
	s_waitcnt lgkmcnt(0)
	s_barrier
	global_load_dwordx4 v[6:9], v[32:33], off
	global_load_dwordx4 v[18:21], v[32:33], off offset:1024
	s_waitcnt vmcnt(4)
	v_mad_i64_i32 v[4:5], s[10:11], v3, s9, 0
	s_waitcnt vmcnt(3)
	v_mad_i64_i32 v[2:3], s[10:11], v2, s9, 0
	v_lshl_add_u64 v[4:5], v[4:5], 1, v[30:31]
	v_lshl_add_u64 v[2:3], v[2:3], 1, v[30:31]
	;; [unrolled: 1-line block ×4, first 2 shown]
	global_load_dwordx4 v[14:17], v[36:37], off
	global_load_dwordx4 v[22:25], v[36:37], off offset:1024
	global_load_dwordx4 v[26:29], v[38:39], off
	global_load_dwordx4 v[46:49], v[38:39], off offset:1024
	v_add_u32_e32 v2, -9, v76
	v_cmp_gt_u32_e32 vcc, 9, v76
	global_load_dwordx4 v[54:57], v[32:33], off offset:2048
	global_load_dwordx4 v[62:65], v[36:37], off offset:2048
	v_cndmask_b32_e32 v2, v2, v76, vcc
	v_lshlrev_b32_e32 v2, 5, v2
	v_lshl_add_u32 v41, v86, 9, v2
	ds_read_b128 v[10:13], v41
	ds_read_b128 v[2:5], v41 offset:2048
	v_mov_b32_e32 v70, s19
	s_add_u32 s4, s14, s4
	s_addc_u32 s5, s15, s5
	s_mov_b32 s41, 0xff7fffff
	s_waitcnt vmcnt(7) lgkmcnt(1)
	v_mfma_f32_16x16x16_bf16 v[42:45], v[6:7], v[10:11], 0
	v_mfma_f32_16x16x16_bf16 v[6:9], v[8:9], v[12:13], v[42:45]
	s_nop 5
	global_load_dwordx4 v[42:45], v[38:39], off offset:2048
	s_waitcnt vmcnt(6)
	v_mfma_f32_16x16x16_bf16 v[50:53], v[14:15], v[10:11], 0
	s_waitcnt vmcnt(4)
	v_mfma_f32_16x16x16_bf16 v[58:61], v[26:27], v[10:11], 0
	v_mfma_f32_16x16x16_bf16 v[14:17], v[16:17], v[12:13], v[50:53]
	;; [unrolled: 1-line block ×3, first 2 shown]
	s_nop 2
	global_load_dwordx4 v[50:53], v[32:33], off offset:3072
	v_mad_i64_i32 v[32:33], s[10:11], v40, s9, 0
	s_waitcnt lgkmcnt(0)
	v_mfma_f32_16x16x16_bf16 v[6:9], v[18:19], v[2:3], v[6:9]
	v_and_or_b32 v40, v0, 48, s18
	v_ashrrev_i32_e32 v58, 4, v40
	v_cmp_gt_i32_e32 vcc, s33, v40
	v_mfma_f32_16x16x16_bf16 v[14:17], v[22:23], v[2:3], v[14:17]
	v_or_b32_e32 v66, 64, v40
	v_cndmask_b32_e32 v22, v70, v58, vcc
	v_ashrrev_i32_e32 v23, 31, v22
	s_waitcnt vmcnt(4)
	v_mfma_f32_16x16x16_bf16 v[26:29], v[46:47], v[2:3], v[26:29]
	v_or_b32_e32 v71, 0x80, v40
	v_or_b32_e32 v72, 0xc0, v40
	v_ashrrev_i32_e32 v40, 4, v66
	v_mfma_f32_16x16x16_bf16 v[6:9], v[20:21], v[4:5], v[6:9]
	global_load_dwordx4 v[18:21], v[38:39], off offset:3072
	v_cmp_gt_i32_e32 vcc, s33, v66
	v_lshl_add_u64 v[22:23], v[22:23], 2, s[6:7]
	global_load_dwordx4 v[58:61], v[36:37], off offset:3072
	v_cndmask_b32_e32 v36, v70, v40, vcc
	v_mfma_f32_16x16x16_bf16 v[14:17], v[24:25], v[4:5], v[14:17]
	global_load_dword v78, v[22:23], off
	ds_read_b128 v[66:69], v41 offset:4096
	v_ashrrev_i32_e32 v37, 31, v36
	v_mfma_f32_16x16x16_bf16 v[22:25], v[48:49], v[4:5], v[26:29]
	v_ashrrev_i32_e32 v73, 4, v71
	v_cmp_gt_i32_e32 vcc, s33, v71
	v_ashrrev_i32_e32 v75, 4, v72
	v_lshl_add_u64 v[26:27], v[32:33], 1, v[30:31]
	v_lshl_add_u64 v[26:27], v[26:27], 0, v[34:35]
	;; [unrolled: 1-line block ×3, first 2 shown]
	global_load_dwordx4 v[46:49], v[26:27], off
	global_load_dword v36, v[28:29], off
	s_waitcnt vmcnt(8) lgkmcnt(0)
	v_mfma_f32_16x16x16_bf16 v[6:9], v[54:55], v[66:67], v[6:9]
	v_cndmask_b32_e32 v28, v70, v73, vcc
	v_ashrrev_i32_e32 v29, 31, v28
	v_lshl_add_u64 v[28:29], v[28:29], 2, s[6:7]
	v_mfma_f32_16x16x16_bf16 v[6:9], v[56:57], v[68:69], v[6:9]
	global_load_dwordx4 v[54:57], v[26:27], off offset:1024
	v_cmp_gt_i32_e32 vcc, s33, v72
	global_load_dword v84, v[28:29], off
	s_waitcnt vmcnt(9)
	v_mfma_f32_16x16x16_bf16 v[14:17], v[62:63], v[66:67], v[14:17]
	v_cndmask_b32_e32 v28, v70, v75, vcc
	v_ashrrev_i32_e32 v29, 31, v28
	v_lshl_add_u64 v[28:29], v[28:29], 2, s[6:7]
	v_mfma_f32_16x16x16_bf16 v[14:17], v[64:65], v[68:69], v[14:17]
	global_load_dword v64, v[28:29], off
	ds_read_b128 v[38:41], v41 offset:6144
	v_lshl_or_b32 v75, v77, 4, v76
	v_lshlrev_b32_e32 v34, 5, v75
	v_lshl_add_u64 v[62:63], s[4:5], 0, v[34:35]
	v_or_b32_e32 v34, 0x800, v34
	s_waitcnt vmcnt(9)
	v_mfma_f32_16x16x16_bf16 v[22:25], v[42:43], v[66:67], v[22:25]
	global_load_dwordx4 v[70:73], v[26:27], off offset:3072
	v_mfma_f32_16x16x16_bf16 v[22:25], v[44:45], v[68:69], v[22:25]
	global_load_dwordx4 v[42:45], v[26:27], off offset:2048
	s_waitcnt vmcnt(10) lgkmcnt(0)
	v_mfma_f32_16x16x16_bf16 v[6:9], v[50:51], v[38:39], v[6:9]
	s_waitcnt vmcnt(9)
	v_mfma_f32_16x16x16_bf16 v[22:25], v[18:19], v[38:39], v[22:25]
	s_waitcnt vmcnt(7)
	v_mad_i64_i32 v[18:19], s[6:7], v78, s9, 0
	v_lshlrev_b64 v[82:83], 1, v[18:19]
	v_mfma_f32_16x16x16_bf16 v[78:81], v[52:53], v[40:41], v[6:9]
	s_nop 2
	v_lshl_add_u64 v[6:7], v[62:63], 0, v[82:83]
	global_load_dwordx4 v[30:33], v[6:7], off
	global_load_dwordx4 v[26:29], v[6:7], off offset:16
	v_mfma_f32_16x16x16_bf16 v[88:91], v[20:21], v[40:41], v[22:25]
	s_waitcnt vmcnt(7)
	v_mad_i64_i32 v[6:7], s[6:7], v36, s9, 0
	v_lshlrev_b64 v[36:37], 1, v[6:7]
	v_lshl_add_u64 v[6:7], v[62:63], 0, v[36:37]
	global_load_dwordx4 v[22:25], v[6:7], off
	global_load_dwordx4 v[18:21], v[6:7], off offset:16
	v_mfma_f32_16x16x16_bf16 v[6:9], v[46:47], v[10:11], 0
	s_waitcnt vmcnt(7)
	v_mad_i64_i32 v[10:11], s[6:7], v84, s9, 0
	v_mfma_f32_16x16x16_bf16 v[6:9], v[48:49], v[12:13], v[6:9]
	v_lshlrev_b64 v[50:51], 1, v[10:11]
	v_lshl_add_u64 v[10:11], v[62:63], 0, v[50:51]
	v_mfma_f32_16x16x16_bf16 v[6:9], v[54:55], v[2:3], v[6:9]
	s_waitcnt vmcnt(6)
	v_mad_i64_i32 v[2:3], s[6:7], v64, s9, 0
	v_lshlrev_b64 v[52:53], 1, v[2:3]
	v_mfma_f32_16x16x16_bf16 v[46:49], v[56:57], v[4:5], v[6:9]
	v_lshl_add_u64 v[2:3], v[62:63], 0, v[52:53]
	v_pk_mul_f32 v[62:63], s[8:9], v[78:79] op_sel_hi:[0,1]
	v_lshl_add_u64 v[64:65], s[4:5], 0, v[34:35]
	v_mfma_f32_16x16x16_bf16 v[14:17], v[58:59], v[38:39], v[14:17]
	v_lshl_add_u64 v[34:35], v[64:65], 0, v[82:83]
	v_pk_mul_f32 v[82:83], s[8:9], v[80:81] op_sel_hi:[0,1]
	v_pk_mul_f32 v[78:79], s[8:9], v[88:89] op_sel_hi:[0,1]
	v_mfma_f32_16x16x16_bf16 v[58:61], v[60:61], v[40:41], v[14:17]
	v_pk_mul_f32 v[80:81], s[8:9], v[90:91] op_sel_hi:[0,1]
	s_nop 1
	global_load_dwordx4 v[14:17], v[10:11], off
	s_nop 0
	global_load_dwordx4 v[10:13], v[10:11], off offset:16
	s_nop 0
	global_load_dwordx4 v[6:9], v[2:3], off
	s_nop 0
	global_load_dwordx4 v[2:5], v[2:3], off offset:16
	s_waitcnt vmcnt(8)
	v_mfma_f32_16x16x16_bf16 v[46:49], v[42:43], v[66:67], v[46:49]
	v_pk_mul_f32 v[84:85], s[8:9], v[60:61] op_sel_hi:[0,1]
	v_lshl_add_u64 v[50:51], v[64:65], 0, v[50:51]
	v_mfma_f32_16x16x16_bf16 v[42:45], v[44:45], v[68:69], v[46:49]
	v_mfma_f32_16x16x16_bf16 v[42:45], v[70:71], v[38:39], v[42:45]
	v_pk_mul_f32 v[70:71], s[8:9], v[58:59] op_sel_hi:[0,1]
	v_mfma_f32_16x16x16_bf16 v[38:41], v[72:73], v[40:41], v[42:45]
	s_nop 6
	v_pk_mul_f32 v[72:73], s[8:9], v[38:39] op_sel_hi:[0,1]
	v_and_b32_e32 v38, 0xc0, v0
	v_add_u32_e32 v38, s18, v38
	v_lshl_or_b32 v38, v86, 2, v38
	v_pk_mul_f32 v[66:67], s[8:9], v[40:41] op_sel_hi:[0,1]
	v_or_b32_e32 v41, 1, v38
	v_mov_b32_e32 v39, 0xff7fffff
	v_cmp_gt_i32_e64 s[28:29], s33, v38
	v_cmp_gt_i32_e64 s[30:31], s33, v41
	v_or_b32_e32 v42, 3, v38
	v_cndmask_b32_e64 v40, v39, v62, s[28:29]
	v_cndmask_b32_e64 v41, v39, v63, s[30:31]
	v_max3_f32 v40, v40, s41, v41
	v_or_b32_e32 v41, 2, v38
	v_cmp_gt_i32_e64 s[34:35], s33, v41
	v_cmp_gt_i32_e64 s[36:37], s33, v42
	s_nop 0
	v_cndmask_b32_e64 v41, v39, v82, s[34:35]
	v_cndmask_b32_e64 v42, v39, v83, s[36:37]
	v_max3_f32 v40, v40, v41, v42
	v_or_b32_e32 v41, 16, v38
	v_or_b32_e32 v42, 17, v38
	v_cmp_gt_i32_e64 s[22:23], s33, v41
	v_cmp_gt_i32_e64 s[24:25], s33, v42
	s_nop 0
	v_cndmask_b32_e64 v41, v39, v70, s[22:23]
	v_cndmask_b32_e64 v42, v39, v71, s[24:25]
	v_max3_f32 v40, v40, v41, v42
	v_or_b32_e32 v41, 18, v38
	;; [unrolled: 8-line block ×6, first 2 shown]
	v_or_b32_e32 v38, 51, v38
	v_cmp_gt_i32_e32 vcc, s33, v41
	v_cmp_gt_i32_e64 s[4:5], s33, v38
	s_nop 0
	v_cndmask_b32_e32 v41, v39, v66, vcc
	v_cndmask_b32_e64 v38, v39, v67, s[4:5]
	v_max3_f32 v54, v40, v41, v38
	v_mbcnt_lo_u32_b32 v38, -1, 0
	v_mbcnt_hi_u32_b32 v55, -1, v38
	v_and_b32_e32 v38, 64, v55
	v_add_u32_e32 v56, 64, v38
	v_xor_b32_e32 v38, 32, v55
	v_cmp_lt_i32_e64 s[38:39], v38, v56
	s_nop 1
	v_cndmask_b32_e64 v38, v55, v38, s[38:39]
	v_lshlrev_b32_e32 v89, 2, v38
	ds_bpermute_b32 v57, v89, v54
	global_load_dwordx4 v[46:49], v[34:35], off
	global_load_dwordx4 v[38:41], v[34:35], off offset:16
	v_lshl_add_u64 v[34:35], v[64:65], 0, v[36:37]
	global_load_dwordx4 v[42:45], v[34:35], off
	s_nop 0
	global_load_dwordx4 v[34:37], v[34:35], off offset:16
	s_waitcnt lgkmcnt(0)
	v_max_f32_e32 v57, v57, v57
	v_max_f32_e32 v68, v54, v57
	v_xor_b32_e32 v54, 16, v55
	v_cmp_lt_i32_e64 s[38:39], v54, v56
	s_nop 1
	v_cndmask_b32_e64 v54, v55, v54, s[38:39]
	v_lshlrev_b32_e32 v90, 2, v54
	ds_bpermute_b32 v69, v90, v68
	global_load_dwordx4 v[58:61], v[50:51], off
	global_load_dwordx4 v[54:57], v[50:51], off offset:16
	v_lshl_add_u64 v[50:51], v[64:65], 0, v[52:53]
	s_waitcnt lgkmcnt(0)
	v_max_f32_e32 v52, v69, v69
	v_max_f32_e32 v88, v68, v52
	v_sub_f32_e32 v52, v62, v88
	v_mul_f32_e32 v52, 0x3fb8aa3b, v52
	v_exp_f32_e32 v68, v52
	v_sub_f32_e32 v52, v63, v88
	v_mul_f32_e32 v52, 0x3fb8aa3b, v52
	v_exp_f32_e32 v69, v52
	global_load_dwordx4 v[62:65], v[50:51], off
	s_nop 0
	global_load_dwordx4 v[50:53], v[50:51], off offset:16
	v_sub_f32_e32 v82, v82, v88
	v_mul_f32_e32 v82, 0x3fb8aa3b, v82
	v_sub_f32_e32 v83, v83, v88
	v_exp_f32_e32 v82, v82
	v_mul_f32_e32 v83, 0x3fb8aa3b, v83
	v_sub_f32_e32 v70, v70, v88
	v_exp_f32_e32 v83, v83
	v_mul_f32_e32 v70, 0x3fb8aa3b, v70
	v_sub_f32_e32 v71, v71, v88
	v_cndmask_b32_e64 v68, 0, v68, s[28:29]
	v_exp_f32_e32 v70, v70
	v_mul_f32_e32 v71, 0x3fb8aa3b, v71
	v_sub_f32_e32 v84, v84, v88
	v_add_f32_e32 v91, 0, v68
	v_cndmask_b32_e64 v69, 0, v69, s[30:31]
	v_exp_f32_e32 v71, v71
	v_mul_f32_e32 v84, 0x3fb8aa3b, v84
	v_sub_f32_e32 v85, v85, v88
	v_add_f32_e32 v91, v91, v69
	;; [unrolled: 5-line block ×10, first 2 shown]
	v_cndmask_b32_e64 v80, 0, v80, s[10:11]
	v_exp_f32_e32 v66, v66
	v_mul_f32_e32 v67, 0x3fb8aa3b, v67
	v_add_f32_e32 v91, v91, v80
	v_cndmask_b32_e64 v81, 0, v81, s[12:13]
	v_exp_f32_e32 v67, v67
	v_add_f32_e32 v91, v91, v81
	v_cndmask_b32_e64 v72, 0, v72, s[6:7]
	v_add_f32_e32 v91, v91, v72
	v_cndmask_b32_e64 v73, 0, v73, s[8:9]
	v_add_f32_e32 v91, v91, v73
	v_cndmask_b32_e32 v66, 0, v66, vcc
	v_add_f32_e32 v91, v91, v66
	v_cndmask_b32_e64 v67, 0, v67, s[4:5]
	v_add_f32_e32 v91, v91, v67
	ds_bpermute_b32 v89, v89, v91
	v_cmp_gt_u32_e64 s[4:5], 16, v87
	s_waitcnt lgkmcnt(0)
	s_barrier
	v_add_f32_e32 v89, v91, v89
	ds_bpermute_b32 v90, v90, v89
	s_and_saveexec_b64 s[6:7], s[4:5]
	s_cbranch_execz .LBB620_13
; %bb.12:
	s_waitcnt lgkmcnt(0)
	v_add_f32_e32 v87, v89, v90
	v_lshlrev_b32_e32 v75, 2, v75
	ds_write2st64_b32 v75, v88, v87 offset1:1
.LBB620_13:
	s_or_b64 exec, exec, s[6:7]
	v_lshlrev_b32_e32 v75, 2, v76
	s_load_dword s8, s[0:1], 0x94
	s_waitcnt lgkmcnt(0)
	s_barrier
	ds_read2_b32 v[88:89], v75 offset1:16
	ds_read2_b32 v[90:91], v75 offset0:32 offset1:48
	ds_read2_b32 v[92:93], v75 offset0:64 offset1:80
	;; [unrolled: 1-line block ×3, first 2 shown]
	s_movk_i32 s10, 0x7fff
	s_waitcnt lgkmcnt(3)
	v_max3_f32 v87, v88, s41, v89
	s_waitcnt lgkmcnt(2)
	v_max3_f32 v87, v87, v90, v91
	v_sub_f32_e32 v88, v88, v87
	v_mul_f32_e32 v88, 0x3fb8aa3b, v88
	v_exp_f32_e32 v1, v88
	v_sub_f32_e32 v88, v89, v87
	v_mul_f32_e32 v88, 0x3fb8aa3b, v88
	v_exp_f32_e32 v89, v88
	v_sub_f32_e32 v88, v90, v87
	v_mul_f32_e32 v88, 0x3fb8aa3b, v88
	v_sub_f32_e32 v75, v91, v87
	v_exp_f32_e32 v90, v88
	v_mul_f32_e32 v75, 0x3fb8aa3b, v75
	v_exp_f32_e32 v75, v75
	s_waitcnt lgkmcnt(1)
	v_fma_f32 v88, v1, v92, 0
	v_fmac_f32_e32 v88, v89, v93
	s_waitcnt lgkmcnt(0)
	v_fmac_f32_e32 v88, v90, v94
	v_fmac_f32_e32 v88, v75, v95
	v_add_f32_e32 v91, 0x358637bd, v88
	v_div_scale_f32 v92, s[6:7], v91, v91, 1.0
	v_rcp_f32_e32 v93, v92
	s_mov_b32 s11, 0x7060302
	s_barrier
	v_fma_f32 v94, -v92, v93, 1.0
	v_fmac_f32_e32 v93, v94, v93
	v_div_scale_f32 v94, vcc, 1.0, v91, 1.0
	v_mul_f32_e32 v95, v94, v93
	v_fma_f32 v86, -v92, v95, v94
	v_fmac_f32_e32 v95, v86, v93
	v_fma_f32 v86, -v92, v95, v94
	v_div_fmas_f32 v86, v86, v93, v95
	v_cmp_eq_u32_e32 vcc, 1, v77
	v_div_fixup_f32 v86, v86, v91, 1.0
	s_nop 0
	v_cndmask_b32_e32 v1, v1, v89, vcc
	v_cmp_eq_u32_e32 vcc, 2, v77
	s_mul_i32 s9, s27, 9
	s_nop 0
	v_cndmask_b32_e32 v1, v1, v90, vcc
	v_cmp_eq_u32_e32 vcc, 3, v77
	s_nop 1
	v_cndmask_b32_e32 v1, v1, v75, vcc
	v_mul_f32_e32 v90, v1, v86
	v_pk_mul_f32 v[68:69], v[90:91], v[68:69] op_sel_hi:[0,1]
	v_bfe_u32 v1, v69, 16, 1
	v_bfe_u32 v75, v68, 16, 1
	v_pk_mul_f32 v[82:83], v[90:91], v[82:83] op_sel_hi:[0,1]
	v_add3_u32 v68, v68, v75, s10
	v_add3_u32 v1, v69, v1, s10
	v_perm_b32 v92, v1, v68, s11
	v_bfe_u32 v1, v83, 16, 1
	v_bfe_u32 v68, v82, 16, 1
	v_add3_u32 v68, v82, v68, s10
	v_add3_u32 v1, v83, v1, s10
	v_bfe_u32 v86, v0, 4, 2
	v_perm_b32 v93, v1, v68, s11
	v_lshlrev_b32_e32 v1, 3, v86
	v_lshlrev_b32_e32 v68, 5, v76
	;; [unrolled: 1-line block ×3, first 2 shown]
	v_pk_mul_f32 v[70:71], v[90:91], v[70:71] op_sel_hi:[0,1]
	v_or3_b32 v75, v69, v68, v1
	v_bfe_u32 v1, v71, 16, 1
	v_bfe_u32 v69, v70, 16, 1
	v_pk_mul_f32 v[82:83], v[90:91], v[84:85] op_sel_hi:[0,1]
	v_add3_u32 v69, v70, v69, s10
	v_add3_u32 v1, v71, v1, s10
	v_perm_b32 v70, v1, v69, s11
	v_bfe_u32 v1, v83, 16, 1
	v_bfe_u32 v69, v82, 16, 1
	v_add3_u32 v69, v82, v69, s10
	v_add3_u32 v1, v83, v1, s10
	v_pk_mul_f32 v[78:79], v[90:91], v[78:79] op_sel_hi:[0,1]
	v_perm_b32 v71, v1, v69, s11
	v_bfe_u32 v1, v79, 16, 1
	v_bfe_u32 v69, v78, 16, 1
	ds_write2st64_b64 v75, v[92:93], v[70:71] offset1:1
	v_pk_mul_f32 v[70:71], v[90:91], v[80:81] op_sel_hi:[0,1]
	v_add3_u32 v69, v78, v69, s10
	v_add3_u32 v1, v79, v1, s10
	v_perm_b32 v78, v1, v69, s11
	v_bfe_u32 v1, v71, 16, 1
	v_bfe_u32 v69, v70, 16, 1
	v_add3_u32 v69, v70, v69, s10
	v_add3_u32 v1, v71, v1, s10
	v_pk_mul_f32 v[70:71], v[90:91], v[72:73] op_sel_hi:[0,1]
	v_perm_b32 v79, v1, v69, s11
	v_bfe_u32 v1, v71, 16, 1
	v_bfe_u32 v69, v70, 16, 1
	v_pk_mul_f32 v[66:67], v[90:91], v[66:67] op_sel_hi:[0,1]
	v_add3_u32 v69, v70, v69, s10
	v_add3_u32 v1, v71, v1, s10
	v_perm_b32 v70, v1, v69, s11
	v_bfe_u32 v1, v67, 16, 1
	v_bfe_u32 v69, v66, 16, 1
	v_add3_u32 v66, v66, v69, s10
	v_add3_u32 v1, v67, v1, s10
	v_perm_b32 v71, v1, v66, s11
	v_cmp_gt_u32_e32 vcc, 9, v0
	ds_write2st64_b64 v75, v[78:79], v[70:71] offset0:2 offset1:3
	s_and_saveexec_b64 s[6:7], vcc
	s_cbranch_execz .LBB620_15
; %bb.14:
	s_mov_b32 s41, 0
	v_mov_b32_e32 v77, 0
	v_lshl_add_u64 v[66:67], s[40:41], 0, v[76:77]
	v_mov_b32_e32 v1, s9
	v_mad_u64_u32 v[66:67], s[16:17], s2, v1, v[66:67]
	s_mul_i32 s3, s3, s9
	v_mov_b32_e32 v70, s26
	v_mov_b32_e32 v71, v77
	s_load_dwordx4 s[12:15], s[0:1], 0x58
	v_add_u32_e32 v1, s3, v67
	v_mad_u64_u32 v[66:67], s[16:17], v66, s8, v[70:71]
	v_mov_b32_e32 v70, v67
	v_mad_u64_u32 v[70:71], s[16:17], v1, s8, v[70:71]
	v_mov_b32_e32 v67, v70
	v_lshlrev_b64 v[66:67], 2, v[66:67]
	s_waitcnt lgkmcnt(0)
	v_lshl_add_u64 v[70:71], s[14:15], 0, v[66:67]
	v_lshl_add_u64 v[66:67], s[12:13], 0, v[66:67]
	global_store_dword v[70:71], v87, off
	global_store_dword v[66:67], v88, off
.LBB620_15:
	s_or_b64 exec, exec, s[6:7]
	v_lshl_or_b32 v1, v86, 9, v68
	s_waitcnt lgkmcnt(0)
	s_barrier
	ds_read_b128 v[70:73], v1
	ds_read_b128 v[66:69], v1 offset:16
	s_waitcnt vmcnt(15) lgkmcnt(1)
	v_mfma_f32_16x16x16_bf16 v[78:81], v[30:31], v[70:71], 0
	s_mov_b32 s3, 0
	v_cmp_gt_u32_e32 vcc, 64, v0
	v_mfma_f32_16x16x16_bf16 v[30:33], v[32:33], v[72:73], v[78:81]
	s_waitcnt vmcnt(14) lgkmcnt(0)
	v_mfma_f32_16x16x16_bf16 v[30:33], v[26:27], v[66:67], v[30:33]
	v_mfma_f32_16x16x16_bf16 v[26:29], v[28:29], v[68:69], v[30:33]
	s_nop 5
	ds_read_b128 v[30:33], v1 offset:2048
	ds_read_b128 v[78:81], v1 offset:2064
	s_waitcnt vmcnt(13) lgkmcnt(1)
	v_mfma_f32_16x16x16_bf16 v[26:29], v[22:23], v[30:31], v[26:29]
	v_mfma_f32_16x16x16_bf16 v[22:25], v[24:25], v[32:33], v[26:29]
	s_waitcnt vmcnt(12) lgkmcnt(0)
	v_mfma_f32_16x16x16_bf16 v[22:25], v[18:19], v[78:79], v[22:25]
	v_mfma_f32_16x16x16_bf16 v[18:21], v[20:21], v[80:81], v[22:25]
	s_nop 5
	ds_read_b128 v[22:25], v1 offset:4096
	ds_read_b128 v[26:29], v1 offset:4112
	s_waitcnt vmcnt(11) lgkmcnt(1)
	v_mfma_f32_16x16x16_bf16 v[18:21], v[14:15], v[22:23], v[18:21]
	v_mfma_f32_16x16x16_bf16 v[14:17], v[16:17], v[24:25], v[18:21]
	s_waitcnt vmcnt(10) lgkmcnt(0)
	v_mfma_f32_16x16x16_bf16 v[14:17], v[10:11], v[26:27], v[14:17]
	v_mfma_f32_16x16x16_bf16 v[10:13], v[12:13], v[28:29], v[14:17]
	s_nop 5
	ds_read_b128 v[14:17], v1 offset:6144
	ds_read_b128 v[18:21], v1 offset:6160
	s_waitcnt lgkmcnt(0)
	s_barrier
	s_waitcnt vmcnt(9)
	v_mfma_f32_16x16x16_bf16 v[10:13], v[6:7], v[14:15], v[10:13]
	v_mfma_f32_16x16x16_bf16 v[6:9], v[8:9], v[16:17], v[10:13]
	s_waitcnt vmcnt(8)
	v_mfma_f32_16x16x16_bf16 v[6:9], v[2:3], v[18:19], v[6:9]
	v_mfma_f32_16x16x16_bf16 v[2:5], v[4:5], v[20:21], v[6:9]
	;; [unrolled: 3-line block ×3, first 2 shown]
	s_nop 3
	v_bfe_u32 v1, v3, 16, 1
	v_bfe_u32 v10, v2, 16, 1
	v_add3_u32 v2, v2, v10, s10
	s_waitcnt vmcnt(6)
	v_mfma_f32_16x16x16_bf16 v[6:9], v[38:39], v[66:67], v[6:9]
	v_add3_u32 v1, v3, v1, s10
	v_perm_b32 v10, v1, v2, s11
	v_bfe_u32 v1, v5, 16, 1
	v_mfma_f32_16x16x16_bf16 v[6:9], v[40:41], v[68:69], v[6:9]
	v_bfe_u32 v2, v4, 16, 1
	v_add3_u32 v2, v4, v2, s10
	v_add3_u32 v1, v5, v1, s10
	s_waitcnt vmcnt(5)
	v_mfma_f32_16x16x16_bf16 v[6:9], v[42:43], v[30:31], v[6:9]
	v_perm_b32 v11, v1, v2, s11
	v_mfma_f32_16x16x16_bf16 v[6:9], v[44:45], v[32:33], v[6:9]
	s_waitcnt vmcnt(4)
	v_mfma_f32_16x16x16_bf16 v[6:9], v[34:35], v[78:79], v[6:9]
	v_mfma_f32_16x16x16_bf16 v[6:9], v[36:37], v[80:81], v[6:9]
	s_waitcnt vmcnt(3)
	v_mfma_f32_16x16x16_bf16 v[6:9], v[58:59], v[22:23], v[6:9]
	;; [unrolled: 3-line block ×5, first 2 shown]
	v_mfma_f32_16x16x16_bf16 v[2:5], v[52:53], v[20:21], v[6:9]
	s_nop 6
	v_bfe_u32 v1, v3, 16, 1
	v_bfe_u32 v6, v2, 16, 1
	v_add3_u32 v2, v2, v6, s10
	v_add3_u32 v1, v3, v1, s10
	v_perm_b32 v2, v1, v2, s11
	v_bfe_u32 v1, v5, 16, 1
	v_bfe_u32 v3, v4, 16, 1
	v_add3_u32 v3, v4, v3, s10
	v_add3_u32 v1, v5, v1, s10
	v_perm_b32 v3, v1, v3, s11
	ds_write2st64_b64 v75, v[10:11], v[2:3] offset1:1
	s_waitcnt lgkmcnt(0)
	s_barrier
	s_and_saveexec_b64 s[6:7], vcc
	s_cbranch_execz .LBB620_18
; %bb.16:
	s_load_dwordx2 s[6:7], s[0:1], 0x68
	s_lshl_b32 s0, s8, 7
	s_mul_i32 s1, s9, s2
	v_lshlrev_b32_e32 v3, 6, v76
	s_mul_hi_u32 s9, s1, s0
	s_mul_i32 s8, s1, s0
	v_lshlrev_b32_e32 v2, 4, v0
	v_lshl_or_b32 v0, v0, 10, v3
	s_lshl_b64 s[8:9], s[8:9], 1
	v_lshlrev_b32_e32 v1, 5, v86
	v_and_b32_e32 v2, 16, v2
	v_and_b32_e32 v0, 0x1a00, v0
	s_waitcnt lgkmcnt(0)
	s_add_u32 s1, s6, s8
	v_or3_b32 v2, v0, v1, v2
	s_addc_u32 s6, s7, s9
	s_lshl_b32 s2, s26, 7
	s_lshl_b64 s[2:3], s[2:3], 1
	ds_read_b128 v[4:7], v2 offset:128
	ds_read_b128 v[8:11], v2
	s_add_u32 s2, s1, s2
	s_addc_u32 s3, s6, s3
	v_mov_b32_e32 v75, 0
	v_add_u32_e32 v3, s40, v86
	v_lshl_add_u64 v[0:1], s[2:3], 0, v[74:75]
	v_mad_u64_u32 v[12:13], s[2:3], v3, s0, 0
	v_lshl_add_u64 v[12:13], v[12:13], 1, v[0:1]
	v_add_u32_e32 v3, 4, v3
	s_waitcnt lgkmcnt(0)
	global_store_dwordx4 v[12:13], v[8:11], off
	s_nop 1
	v_mad_u64_u32 v[8:9], s[2:3], v3, s0, 0
	v_lshl_add_u64 v[8:9], v[8:9], 1, v[0:1]
	global_store_dwordx4 v[8:9], v[4:7], off
	s_and_b64 exec, exec, s[4:5]
	s_cbranch_execz .LBB620_18
; %bb.17:
	ds_read_b128 v[2:5], v2 offset:256
	v_add3_u32 v6, s40, v86, 8
	v_mad_u64_u32 v[6:7], s[0:1], v6, s0, 0
	v_lshl_add_u64 v[0:1], v[6:7], 1, v[0:1]
	s_waitcnt lgkmcnt(0)
	global_store_dwordx4 v[0:1], v[2:5], off
.LBB620_18:
	s_endpgm
	.section	.rodata,"a",@progbits
	.p2align	6, 0x0
	.amdhsa_kernel _Z39paged_attention_ll4mi_QKV_mfma16_kernelI14__hip_bfloat16S0_LN4vllm18Fp8KVCacheDataTypeE0EhLi16ELi128ELi256ELb0ELi9EEvPKT_PKT0_S8_ifPKiSA_SA_iPKfiiiPfSD_PS3_PT2_iSC_SC_
		.amdhsa_group_segment_fixed_size 8192
		.amdhsa_private_segment_fixed_size 0
		.amdhsa_kernarg_size 400
		.amdhsa_user_sgpr_count 2
		.amdhsa_user_sgpr_dispatch_ptr 0
		.amdhsa_user_sgpr_queue_ptr 0
		.amdhsa_user_sgpr_kernarg_segment_ptr 1
		.amdhsa_user_sgpr_dispatch_id 0
		.amdhsa_user_sgpr_kernarg_preload_length 0
		.amdhsa_user_sgpr_kernarg_preload_offset 0
		.amdhsa_user_sgpr_private_segment_size 0
		.amdhsa_uses_dynamic_stack 0
		.amdhsa_enable_private_segment 0
		.amdhsa_system_sgpr_workgroup_id_x 1
		.amdhsa_system_sgpr_workgroup_id_y 1
		.amdhsa_system_sgpr_workgroup_id_z 1
		.amdhsa_system_sgpr_workgroup_info 0
		.amdhsa_system_vgpr_workitem_id 0
		.amdhsa_next_free_vgpr 96
		.amdhsa_next_free_sgpr 42
		.amdhsa_accum_offset 96
		.amdhsa_reserve_vcc 1
		.amdhsa_float_round_mode_32 0
		.amdhsa_float_round_mode_16_64 0
		.amdhsa_float_denorm_mode_32 3
		.amdhsa_float_denorm_mode_16_64 3
		.amdhsa_dx10_clamp 1
		.amdhsa_ieee_mode 1
		.amdhsa_fp16_overflow 0
		.amdhsa_tg_split 0
		.amdhsa_exception_fp_ieee_invalid_op 0
		.amdhsa_exception_fp_denorm_src 0
		.amdhsa_exception_fp_ieee_div_zero 0
		.amdhsa_exception_fp_ieee_overflow 0
		.amdhsa_exception_fp_ieee_underflow 0
		.amdhsa_exception_fp_ieee_inexact 0
		.amdhsa_exception_int_div_zero 0
	.end_amdhsa_kernel
	.section	.text._Z39paged_attention_ll4mi_QKV_mfma16_kernelI14__hip_bfloat16S0_LN4vllm18Fp8KVCacheDataTypeE0EhLi16ELi128ELi256ELb0ELi9EEvPKT_PKT0_S8_ifPKiSA_SA_iPKfiiiPfSD_PS3_PT2_iSC_SC_,"axG",@progbits,_Z39paged_attention_ll4mi_QKV_mfma16_kernelI14__hip_bfloat16S0_LN4vllm18Fp8KVCacheDataTypeE0EhLi16ELi128ELi256ELb0ELi9EEvPKT_PKT0_S8_ifPKiSA_SA_iPKfiiiPfSD_PS3_PT2_iSC_SC_,comdat
.Lfunc_end620:
	.size	_Z39paged_attention_ll4mi_QKV_mfma16_kernelI14__hip_bfloat16S0_LN4vllm18Fp8KVCacheDataTypeE0EhLi16ELi128ELi256ELb0ELi9EEvPKT_PKT0_S8_ifPKiSA_SA_iPKfiiiPfSD_PS3_PT2_iSC_SC_, .Lfunc_end620-_Z39paged_attention_ll4mi_QKV_mfma16_kernelI14__hip_bfloat16S0_LN4vllm18Fp8KVCacheDataTypeE0EhLi16ELi128ELi256ELb0ELi9EEvPKT_PKT0_S8_ifPKiSA_SA_iPKfiiiPfSD_PS3_PT2_iSC_SC_
                                        ; -- End function
	.section	.AMDGPU.csdata,"",@progbits
; Kernel info:
; codeLenInByte = 4728
; NumSgprs: 48
; NumVgprs: 96
; NumAgprs: 0
; TotalNumVgprs: 96
; ScratchSize: 0
; MemoryBound: 0
; FloatMode: 240
; IeeeMode: 1
; LDSByteSize: 8192 bytes/workgroup (compile time only)
; SGPRBlocks: 5
; VGPRBlocks: 11
; NumSGPRsForWavesPerEU: 48
; NumVGPRsForWavesPerEU: 96
; AccumOffset: 96
; Occupancy: 5
; WaveLimiterHint : 1
; COMPUTE_PGM_RSRC2:SCRATCH_EN: 0
; COMPUTE_PGM_RSRC2:USER_SGPR: 2
; COMPUTE_PGM_RSRC2:TRAP_HANDLER: 0
; COMPUTE_PGM_RSRC2:TGID_X_EN: 1
; COMPUTE_PGM_RSRC2:TGID_Y_EN: 1
; COMPUTE_PGM_RSRC2:TGID_Z_EN: 1
; COMPUTE_PGM_RSRC2:TIDIG_COMP_CNT: 0
; COMPUTE_PGM_RSRC3_GFX90A:ACCUM_OFFSET: 23
; COMPUTE_PGM_RSRC3_GFX90A:TG_SPLIT: 0
	.section	.text._Z39paged_attention_ll4mi_QKV_mfma16_kernelI14__hip_bfloat16S0_LN4vllm18Fp8KVCacheDataTypeE0EhLi16ELi128ELi256ELb0ELi10EEvPKT_PKT0_S8_ifPKiSA_SA_iPKfiiiPfSD_PS3_PT2_iSC_SC_,"axG",@progbits,_Z39paged_attention_ll4mi_QKV_mfma16_kernelI14__hip_bfloat16S0_LN4vllm18Fp8KVCacheDataTypeE0EhLi16ELi128ELi256ELb0ELi10EEvPKT_PKT0_S8_ifPKiSA_SA_iPKfiiiPfSD_PS3_PT2_iSC_SC_,comdat
	.protected	_Z39paged_attention_ll4mi_QKV_mfma16_kernelI14__hip_bfloat16S0_LN4vllm18Fp8KVCacheDataTypeE0EhLi16ELi128ELi256ELb0ELi10EEvPKT_PKT0_S8_ifPKiSA_SA_iPKfiiiPfSD_PS3_PT2_iSC_SC_ ; -- Begin function _Z39paged_attention_ll4mi_QKV_mfma16_kernelI14__hip_bfloat16S0_LN4vllm18Fp8KVCacheDataTypeE0EhLi16ELi128ELi256ELb0ELi10EEvPKT_PKT0_S8_ifPKiSA_SA_iPKfiiiPfSD_PS3_PT2_iSC_SC_
	.globl	_Z39paged_attention_ll4mi_QKV_mfma16_kernelI14__hip_bfloat16S0_LN4vllm18Fp8KVCacheDataTypeE0EhLi16ELi128ELi256ELb0ELi10EEvPKT_PKT0_S8_ifPKiSA_SA_iPKfiiiPfSD_PS3_PT2_iSC_SC_
	.p2align	8
	.type	_Z39paged_attention_ll4mi_QKV_mfma16_kernelI14__hip_bfloat16S0_LN4vllm18Fp8KVCacheDataTypeE0EhLi16ELi128ELi256ELb0ELi10EEvPKT_PKT0_S8_ifPKiSA_SA_iPKfiiiPfSD_PS3_PT2_iSC_SC_,@function
_Z39paged_attention_ll4mi_QKV_mfma16_kernelI14__hip_bfloat16S0_LN4vllm18Fp8KVCacheDataTypeE0EhLi16ELi128ELi256ELb0ELi10EEvPKT_PKT0_S8_ifPKiSA_SA_iPKfiiiPfSD_PS3_PT2_iSC_SC_: ; @_Z39paged_attention_ll4mi_QKV_mfma16_kernelI14__hip_bfloat16S0_LN4vllm18Fp8KVCacheDataTypeE0EhLi16ELi128ELi256ELb0ELi10EEvPKT_PKT0_S8_ifPKiSA_SA_iPKfiiiPfSD_PS3_PT2_iSC_SC_
; %bb.0:
	s_load_dwordx2 s[8:9], s[0:1], 0x30
	s_mov_b32 s26, s3
	s_mov_b64 s[6:7], 0
	s_waitcnt lgkmcnt(0)
	s_cmp_lg_u64 s[8:9], 0
	s_cselect_b64 s[10:11], -1, 0
	s_and_b64 vcc, exec, s[10:11]
	s_cbranch_vccz .LBB621_7
; %bb.1:
	s_add_i32 s12, s2, 1
	s_mov_b32 s13, 0
	s_lshl_b64 s[14:15], s[12:13], 2
	s_add_u32 s14, s8, s14
	s_mov_b32 s3, s13
	s_addc_u32 s15, s9, s15
	s_lshl_b64 s[12:13], s[2:3], 2
	s_add_u32 s12, s8, s12
	s_addc_u32 s13, s9, s13
	s_load_dword s5, s[14:15], 0x0
	s_load_dword s16, s[12:13], 0x0
	s_waitcnt lgkmcnt(0)
	s_sub_i32 s5, s5, s16
	s_cmp_eq_u32 s5, 1
	s_cselect_b64 s[12:13], -1, 0
	s_andn2_b64 vcc, exec, s[6:7]
	s_cbranch_vccnz .LBB621_3
.LBB621_2:
	s_mov_b32 s3, 0
	s_mov_b64 s[12:13], -1
.LBB621_3:
	s_andn2_b64 vcc, exec, s[12:13]
	s_cbranch_vccnz .LBB621_18
; %bb.4:
	s_load_dwordx2 s[6:7], s[0:1], 0x28
	s_lshl_b64 s[16:17], s[2:3], 2
	s_waitcnt lgkmcnt(0)
	s_add_u32 s6, s6, s16
	s_addc_u32 s7, s7, s17
	s_load_dword s33, s[6:7], 0x0
	s_lshl_b32 s18, s26, 8
	s_waitcnt lgkmcnt(0)
	s_cmp_ge_i32 s18, s33
	s_cbranch_scc1 .LBB621_18
; %bb.5:
	s_load_dwordx2 s[6:7], s[0:1], 0x20
	s_load_dword s5, s[0:1], 0x38
	s_add_i32 s12, s33, 15
	s_ashr_i32 s13, s12, 31
	v_and_b32_e32 v1, 0xcf, v0
	s_lshr_b32 s13, s13, 28
	v_add_u32_e32 v1, s18, v1
	s_add_i32 s12, s12, s13
	v_ashrrev_i32_e32 v2, 31, v1
	s_ashr_i32 s19, s12, 4
	v_lshrrev_b32_e32 v4, 28, v2
	s_add_i32 s19, s19, -1
	s_waitcnt lgkmcnt(0)
	s_mul_i32 s12, s2, s5
	s_mov_b32 s13, 0
	v_add_u32_e32 v2, v1, v4
	s_lshl_b64 s[12:13], s[12:13], 2
	v_ashrrev_i32_e32 v2, 4, v2
	v_mov_b32_e32 v5, s19
	v_cmp_gt_i32_e32 vcc, s33, v1
	s_add_u32 s6, s6, s12
	s_addc_u32 s7, s7, s13
	v_cndmask_b32_e32 v2, v5, v2, vcc
	v_ashrrev_i32_e32 v3, 31, v2
	v_lshl_add_u64 v[6:7], v[2:3], 2, s[6:7]
	v_or_b32_e32 v2, 16, v1
	v_add_u32_e32 v3, v2, v4
	v_ashrrev_i32_e32 v3, 4, v3
	v_cmp_gt_i32_e32 vcc, s33, v2
	s_load_dwordx4 s[12:15], s[0:1], 0x8
	s_nop 0
	v_cndmask_b32_e32 v2, v5, v3, vcc
	v_ashrrev_i32_e32 v3, 31, v2
	v_lshl_add_u64 v[8:9], v[2:3], 2, s[6:7]
	v_or_b32_e32 v2, 32, v1
	v_add_u32_e32 v3, v2, v4
	v_ashrrev_i32_e32 v3, 4, v3
	v_cmp_gt_i32_e32 vcc, s33, v2
	v_or_b32_e32 v1, 48, v1
	s_nop 0
	v_cndmask_b32_e32 v2, v5, v3, vcc
	v_ashrrev_i32_e32 v3, 31, v2
	v_lshl_add_u64 v[10:11], v[2:3], 2, s[6:7]
	v_add_u32_e32 v2, v1, v4
	v_ashrrev_i32_e32 v2, 4, v2
	v_cmp_gt_i32_e32 vcc, s33, v1
	s_nop 1
	v_cndmask_b32_e32 v2, v5, v2, vcc
	v_ashrrev_i32_e32 v3, 31, v2
	v_lshl_add_u64 v[12:13], v[2:3], 2, s[6:7]
	global_load_dword v4, v[6:7], off
	global_load_dword v3, v[8:9], off
	;; [unrolled: 1-line block ×4, first 2 shown]
	s_andn2_b64 vcc, exec, s[10:11]
	s_cbranch_vccnz .LBB621_8
; %bb.6:
	s_add_u32 s8, s8, s16
	s_addc_u32 s9, s9, s17
	s_load_dword s5, s[8:9], 0x0
	s_branch .LBB621_9
.LBB621_7:
	s_mov_b64 s[12:13], 0
	s_branch .LBB621_2
.LBB621_8:
	s_mov_b32 s5, s2
.LBB621_9:
	s_load_dwordx4 s[8:11], s[0:1], 0x48
	v_lshrrev_b32_e32 v77, 6, v0
	v_bfe_u32 v86, v0, 4, 2
	v_and_b32_e32 v76, 15, v0
	v_lshl_or_b32 v1, v77, 2, v86
	v_lshlrev_b32_e32 v5, 3, v76
	v_and_b32_e32 v87, 63, v0
	s_mul_i32 s40, s4, 10
	v_cmp_gt_u32_e32 vcc, 10, v1
	v_lshlrev_b32_e32 v74, 1, v5
	s_and_saveexec_b64 s[16:17], vcc
	s_cbranch_execz .LBB621_11
; %bb.10:
	s_load_dwordx2 s[20:21], s[0:1], 0x0
	s_waitcnt lgkmcnt(0)
	s_ashr_i32 s11, s8, 31
	s_mul_hi_u32 s22, s5, s8
	s_mul_i32 s11, s5, s11
	s_add_i32 s23, s22, s11
	s_mul_i32 s22, s5, s8
	s_lshl_b64 s[22:23], s[22:23], 1
	s_add_u32 s20, s20, s22
	v_add_lshl_u32 v6, v1, s40, 7
	s_addc_u32 s21, s21, s23
	v_ashrrev_i32_e32 v7, 31, v6
	v_lshl_add_u64 v[6:7], v[6:7], 1, s[20:21]
	v_mov_b32_e32 v75, 0
	v_lshl_add_u64 v[6:7], v[6:7], 0, v[74:75]
	global_load_dwordx4 v[6:9], v[6:7], off
	v_and_b32_e32 v5, 3, v0
	v_lshlrev_b32_e32 v10, 9, v76
	v_lshlrev_b32_e32 v1, 5, v1
	;; [unrolled: 1-line block ×3, first 2 shown]
	v_and_b32_e32 v10, 0x1800, v10
	v_or3_b32 v1, v10, v5, v1
	s_waitcnt vmcnt(0)
	ds_write_b128 v1, v[6:9]
.LBB621_11:
	s_or_b64 exec, exec, s[16:17]
	s_waitcnt lgkmcnt(0)
	s_mul_i32 s4, s4, s10
	s_mov_b32 s5, 0
	s_lshl_b64 s[4:5], s[4:5], 1
	s_add_u32 s10, s12, s4
	v_lshlrev_b32_e32 v1, 4, v0
	s_addc_u32 s11, s13, s5
	v_and_b32_e32 v34, 0xf0, v1
	v_mov_b32_e32 v35, 0
	v_lshl_add_u64 v[30:31], s[10:11], 0, v[34:35]
	s_waitcnt vmcnt(3)
	v_mad_i64_i32 v[4:5], s[10:11], v4, s9, 0
	v_lshl_add_u64 v[4:5], v[4:5], 1, v[30:31]
	v_and_b32_e32 v34, 0x300, v1
	v_lshl_add_u64 v[32:33], v[4:5], 0, v[34:35]
	s_load_dword s27, s[0:1], 0x98
	s_load_dword s8, s[0:1], 0x1c
	s_waitcnt lgkmcnt(0)
	s_barrier
	global_load_dwordx4 v[6:9], v[32:33], off
	global_load_dwordx4 v[18:21], v[32:33], off offset:1024
	s_waitcnt vmcnt(4)
	v_mad_i64_i32 v[4:5], s[10:11], v3, s9, 0
	s_waitcnt vmcnt(3)
	v_mad_i64_i32 v[2:3], s[10:11], v2, s9, 0
	v_lshl_add_u64 v[4:5], v[4:5], 1, v[30:31]
	v_lshl_add_u64 v[2:3], v[2:3], 1, v[30:31]
	;; [unrolled: 1-line block ×4, first 2 shown]
	global_load_dwordx4 v[14:17], v[36:37], off
	global_load_dwordx4 v[22:25], v[36:37], off offset:1024
	global_load_dwordx4 v[26:29], v[38:39], off
	global_load_dwordx4 v[46:49], v[38:39], off offset:1024
	v_add_u32_e32 v2, -10, v76
	v_cmp_gt_u32_e32 vcc, 10, v76
	global_load_dwordx4 v[54:57], v[32:33], off offset:2048
	global_load_dwordx4 v[62:65], v[36:37], off offset:2048
	v_cndmask_b32_e32 v2, v2, v76, vcc
	v_lshlrev_b32_e32 v2, 5, v2
	v_lshl_add_u32 v41, v86, 9, v2
	ds_read_b128 v[10:13], v41
	ds_read_b128 v[2:5], v41 offset:2048
	v_mov_b32_e32 v70, s19
	s_add_u32 s4, s14, s4
	s_addc_u32 s5, s15, s5
	s_mov_b32 s41, 0xff7fffff
	s_waitcnt vmcnt(7) lgkmcnt(1)
	v_mfma_f32_16x16x16_bf16 v[42:45], v[6:7], v[10:11], 0
	v_mfma_f32_16x16x16_bf16 v[6:9], v[8:9], v[12:13], v[42:45]
	s_nop 5
	global_load_dwordx4 v[42:45], v[38:39], off offset:2048
	s_waitcnt vmcnt(6)
	v_mfma_f32_16x16x16_bf16 v[50:53], v[14:15], v[10:11], 0
	s_waitcnt vmcnt(4)
	v_mfma_f32_16x16x16_bf16 v[58:61], v[26:27], v[10:11], 0
	v_mfma_f32_16x16x16_bf16 v[14:17], v[16:17], v[12:13], v[50:53]
	;; [unrolled: 1-line block ×3, first 2 shown]
	s_nop 2
	global_load_dwordx4 v[50:53], v[32:33], off offset:3072
	v_mad_i64_i32 v[32:33], s[10:11], v40, s9, 0
	s_waitcnt lgkmcnt(0)
	v_mfma_f32_16x16x16_bf16 v[6:9], v[18:19], v[2:3], v[6:9]
	v_and_or_b32 v40, v0, 48, s18
	v_ashrrev_i32_e32 v58, 4, v40
	v_cmp_gt_i32_e32 vcc, s33, v40
	v_mfma_f32_16x16x16_bf16 v[14:17], v[22:23], v[2:3], v[14:17]
	v_or_b32_e32 v66, 64, v40
	v_cndmask_b32_e32 v22, v70, v58, vcc
	v_ashrrev_i32_e32 v23, 31, v22
	s_waitcnt vmcnt(4)
	v_mfma_f32_16x16x16_bf16 v[26:29], v[46:47], v[2:3], v[26:29]
	v_or_b32_e32 v71, 0x80, v40
	v_or_b32_e32 v72, 0xc0, v40
	v_ashrrev_i32_e32 v40, 4, v66
	v_mfma_f32_16x16x16_bf16 v[6:9], v[20:21], v[4:5], v[6:9]
	global_load_dwordx4 v[18:21], v[38:39], off offset:3072
	v_cmp_gt_i32_e32 vcc, s33, v66
	v_lshl_add_u64 v[22:23], v[22:23], 2, s[6:7]
	global_load_dwordx4 v[58:61], v[36:37], off offset:3072
	v_cndmask_b32_e32 v36, v70, v40, vcc
	v_mfma_f32_16x16x16_bf16 v[14:17], v[24:25], v[4:5], v[14:17]
	global_load_dword v78, v[22:23], off
	ds_read_b128 v[66:69], v41 offset:4096
	v_ashrrev_i32_e32 v37, 31, v36
	v_mfma_f32_16x16x16_bf16 v[22:25], v[48:49], v[4:5], v[26:29]
	v_ashrrev_i32_e32 v73, 4, v71
	v_cmp_gt_i32_e32 vcc, s33, v71
	v_ashrrev_i32_e32 v75, 4, v72
	v_lshl_add_u64 v[26:27], v[32:33], 1, v[30:31]
	v_lshl_add_u64 v[26:27], v[26:27], 0, v[34:35]
	;; [unrolled: 1-line block ×3, first 2 shown]
	global_load_dwordx4 v[46:49], v[26:27], off
	global_load_dword v36, v[28:29], off
	s_waitcnt vmcnt(8) lgkmcnt(0)
	v_mfma_f32_16x16x16_bf16 v[6:9], v[54:55], v[66:67], v[6:9]
	v_cndmask_b32_e32 v28, v70, v73, vcc
	v_ashrrev_i32_e32 v29, 31, v28
	v_lshl_add_u64 v[28:29], v[28:29], 2, s[6:7]
	v_mfma_f32_16x16x16_bf16 v[6:9], v[56:57], v[68:69], v[6:9]
	global_load_dwordx4 v[54:57], v[26:27], off offset:1024
	v_cmp_gt_i32_e32 vcc, s33, v72
	global_load_dword v84, v[28:29], off
	s_waitcnt vmcnt(9)
	v_mfma_f32_16x16x16_bf16 v[14:17], v[62:63], v[66:67], v[14:17]
	v_cndmask_b32_e32 v28, v70, v75, vcc
	v_ashrrev_i32_e32 v29, 31, v28
	v_lshl_add_u64 v[28:29], v[28:29], 2, s[6:7]
	v_mfma_f32_16x16x16_bf16 v[14:17], v[64:65], v[68:69], v[14:17]
	global_load_dword v64, v[28:29], off
	ds_read_b128 v[38:41], v41 offset:6144
	v_lshl_or_b32 v75, v77, 4, v76
	v_lshlrev_b32_e32 v34, 5, v75
	v_lshl_add_u64 v[62:63], s[4:5], 0, v[34:35]
	v_or_b32_e32 v34, 0x800, v34
	s_waitcnt vmcnt(9)
	v_mfma_f32_16x16x16_bf16 v[22:25], v[42:43], v[66:67], v[22:25]
	global_load_dwordx4 v[70:73], v[26:27], off offset:3072
	v_mfma_f32_16x16x16_bf16 v[22:25], v[44:45], v[68:69], v[22:25]
	global_load_dwordx4 v[42:45], v[26:27], off offset:2048
	s_waitcnt vmcnt(10) lgkmcnt(0)
	v_mfma_f32_16x16x16_bf16 v[6:9], v[50:51], v[38:39], v[6:9]
	s_waitcnt vmcnt(9)
	v_mfma_f32_16x16x16_bf16 v[22:25], v[18:19], v[38:39], v[22:25]
	s_waitcnt vmcnt(7)
	v_mad_i64_i32 v[18:19], s[6:7], v78, s9, 0
	v_lshlrev_b64 v[82:83], 1, v[18:19]
	v_mfma_f32_16x16x16_bf16 v[78:81], v[52:53], v[40:41], v[6:9]
	s_nop 2
	v_lshl_add_u64 v[6:7], v[62:63], 0, v[82:83]
	global_load_dwordx4 v[30:33], v[6:7], off
	global_load_dwordx4 v[26:29], v[6:7], off offset:16
	v_mfma_f32_16x16x16_bf16 v[88:91], v[20:21], v[40:41], v[22:25]
	s_waitcnt vmcnt(7)
	v_mad_i64_i32 v[6:7], s[6:7], v36, s9, 0
	v_lshlrev_b64 v[36:37], 1, v[6:7]
	v_lshl_add_u64 v[6:7], v[62:63], 0, v[36:37]
	global_load_dwordx4 v[22:25], v[6:7], off
	global_load_dwordx4 v[18:21], v[6:7], off offset:16
	v_mfma_f32_16x16x16_bf16 v[6:9], v[46:47], v[10:11], 0
	s_waitcnt vmcnt(7)
	v_mad_i64_i32 v[10:11], s[6:7], v84, s9, 0
	v_mfma_f32_16x16x16_bf16 v[6:9], v[48:49], v[12:13], v[6:9]
	v_lshlrev_b64 v[50:51], 1, v[10:11]
	v_lshl_add_u64 v[10:11], v[62:63], 0, v[50:51]
	v_mfma_f32_16x16x16_bf16 v[6:9], v[54:55], v[2:3], v[6:9]
	s_waitcnt vmcnt(6)
	v_mad_i64_i32 v[2:3], s[6:7], v64, s9, 0
	v_lshlrev_b64 v[52:53], 1, v[2:3]
	v_mfma_f32_16x16x16_bf16 v[46:49], v[56:57], v[4:5], v[6:9]
	v_lshl_add_u64 v[2:3], v[62:63], 0, v[52:53]
	v_pk_mul_f32 v[62:63], s[8:9], v[78:79] op_sel_hi:[0,1]
	v_lshl_add_u64 v[64:65], s[4:5], 0, v[34:35]
	v_mfma_f32_16x16x16_bf16 v[14:17], v[58:59], v[38:39], v[14:17]
	v_lshl_add_u64 v[34:35], v[64:65], 0, v[82:83]
	v_pk_mul_f32 v[82:83], s[8:9], v[80:81] op_sel_hi:[0,1]
	v_pk_mul_f32 v[78:79], s[8:9], v[88:89] op_sel_hi:[0,1]
	v_mfma_f32_16x16x16_bf16 v[58:61], v[60:61], v[40:41], v[14:17]
	v_pk_mul_f32 v[80:81], s[8:9], v[90:91] op_sel_hi:[0,1]
	s_nop 1
	global_load_dwordx4 v[14:17], v[10:11], off
	s_nop 0
	global_load_dwordx4 v[10:13], v[10:11], off offset:16
	s_nop 0
	global_load_dwordx4 v[6:9], v[2:3], off
	s_nop 0
	global_load_dwordx4 v[2:5], v[2:3], off offset:16
	s_waitcnt vmcnt(8)
	v_mfma_f32_16x16x16_bf16 v[46:49], v[42:43], v[66:67], v[46:49]
	v_pk_mul_f32 v[84:85], s[8:9], v[60:61] op_sel_hi:[0,1]
	v_lshl_add_u64 v[50:51], v[64:65], 0, v[50:51]
	v_mfma_f32_16x16x16_bf16 v[42:45], v[44:45], v[68:69], v[46:49]
	v_mfma_f32_16x16x16_bf16 v[42:45], v[70:71], v[38:39], v[42:45]
	v_pk_mul_f32 v[70:71], s[8:9], v[58:59] op_sel_hi:[0,1]
	v_mfma_f32_16x16x16_bf16 v[38:41], v[72:73], v[40:41], v[42:45]
	s_nop 6
	v_pk_mul_f32 v[72:73], s[8:9], v[38:39] op_sel_hi:[0,1]
	v_and_b32_e32 v38, 0xc0, v0
	v_add_u32_e32 v38, s18, v38
	v_lshl_or_b32 v38, v86, 2, v38
	v_pk_mul_f32 v[66:67], s[8:9], v[40:41] op_sel_hi:[0,1]
	v_or_b32_e32 v41, 1, v38
	v_mov_b32_e32 v39, 0xff7fffff
	v_cmp_gt_i32_e64 s[28:29], s33, v38
	v_cmp_gt_i32_e64 s[30:31], s33, v41
	v_or_b32_e32 v42, 3, v38
	v_cndmask_b32_e64 v40, v39, v62, s[28:29]
	v_cndmask_b32_e64 v41, v39, v63, s[30:31]
	v_max3_f32 v40, v40, s41, v41
	v_or_b32_e32 v41, 2, v38
	v_cmp_gt_i32_e64 s[34:35], s33, v41
	v_cmp_gt_i32_e64 s[36:37], s33, v42
	s_nop 0
	v_cndmask_b32_e64 v41, v39, v82, s[34:35]
	v_cndmask_b32_e64 v42, v39, v83, s[36:37]
	v_max3_f32 v40, v40, v41, v42
	v_or_b32_e32 v41, 16, v38
	v_or_b32_e32 v42, 17, v38
	v_cmp_gt_i32_e64 s[22:23], s33, v41
	v_cmp_gt_i32_e64 s[24:25], s33, v42
	s_nop 0
	v_cndmask_b32_e64 v41, v39, v70, s[22:23]
	v_cndmask_b32_e64 v42, v39, v71, s[24:25]
	v_max3_f32 v40, v40, v41, v42
	v_or_b32_e32 v41, 18, v38
	;; [unrolled: 8-line block ×6, first 2 shown]
	v_or_b32_e32 v38, 51, v38
	v_cmp_gt_i32_e32 vcc, s33, v41
	v_cmp_gt_i32_e64 s[4:5], s33, v38
	s_nop 0
	v_cndmask_b32_e32 v41, v39, v66, vcc
	v_cndmask_b32_e64 v38, v39, v67, s[4:5]
	v_max3_f32 v54, v40, v41, v38
	v_mbcnt_lo_u32_b32 v38, -1, 0
	v_mbcnt_hi_u32_b32 v55, -1, v38
	v_and_b32_e32 v38, 64, v55
	v_add_u32_e32 v56, 64, v38
	v_xor_b32_e32 v38, 32, v55
	v_cmp_lt_i32_e64 s[38:39], v38, v56
	s_nop 1
	v_cndmask_b32_e64 v38, v55, v38, s[38:39]
	v_lshlrev_b32_e32 v89, 2, v38
	ds_bpermute_b32 v57, v89, v54
	global_load_dwordx4 v[46:49], v[34:35], off
	global_load_dwordx4 v[38:41], v[34:35], off offset:16
	v_lshl_add_u64 v[34:35], v[64:65], 0, v[36:37]
	global_load_dwordx4 v[42:45], v[34:35], off
	s_nop 0
	global_load_dwordx4 v[34:37], v[34:35], off offset:16
	s_waitcnt lgkmcnt(0)
	v_max_f32_e32 v57, v57, v57
	v_max_f32_e32 v68, v54, v57
	v_xor_b32_e32 v54, 16, v55
	v_cmp_lt_i32_e64 s[38:39], v54, v56
	s_nop 1
	v_cndmask_b32_e64 v54, v55, v54, s[38:39]
	v_lshlrev_b32_e32 v90, 2, v54
	ds_bpermute_b32 v69, v90, v68
	global_load_dwordx4 v[58:61], v[50:51], off
	global_load_dwordx4 v[54:57], v[50:51], off offset:16
	v_lshl_add_u64 v[50:51], v[64:65], 0, v[52:53]
	s_waitcnt lgkmcnt(0)
	v_max_f32_e32 v52, v69, v69
	v_max_f32_e32 v88, v68, v52
	v_sub_f32_e32 v52, v62, v88
	v_mul_f32_e32 v52, 0x3fb8aa3b, v52
	v_exp_f32_e32 v68, v52
	v_sub_f32_e32 v52, v63, v88
	v_mul_f32_e32 v52, 0x3fb8aa3b, v52
	v_exp_f32_e32 v69, v52
	global_load_dwordx4 v[62:65], v[50:51], off
	s_nop 0
	global_load_dwordx4 v[50:53], v[50:51], off offset:16
	v_sub_f32_e32 v82, v82, v88
	v_mul_f32_e32 v82, 0x3fb8aa3b, v82
	v_sub_f32_e32 v83, v83, v88
	v_exp_f32_e32 v82, v82
	v_mul_f32_e32 v83, 0x3fb8aa3b, v83
	v_sub_f32_e32 v70, v70, v88
	v_exp_f32_e32 v83, v83
	v_mul_f32_e32 v70, 0x3fb8aa3b, v70
	v_sub_f32_e32 v71, v71, v88
	v_cndmask_b32_e64 v68, 0, v68, s[28:29]
	v_exp_f32_e32 v70, v70
	v_mul_f32_e32 v71, 0x3fb8aa3b, v71
	v_sub_f32_e32 v84, v84, v88
	v_add_f32_e32 v91, 0, v68
	v_cndmask_b32_e64 v69, 0, v69, s[30:31]
	v_exp_f32_e32 v71, v71
	v_mul_f32_e32 v84, 0x3fb8aa3b, v84
	v_sub_f32_e32 v85, v85, v88
	v_add_f32_e32 v91, v91, v69
	;; [unrolled: 5-line block ×10, first 2 shown]
	v_cndmask_b32_e64 v80, 0, v80, s[10:11]
	v_exp_f32_e32 v66, v66
	v_mul_f32_e32 v67, 0x3fb8aa3b, v67
	v_add_f32_e32 v91, v91, v80
	v_cndmask_b32_e64 v81, 0, v81, s[12:13]
	v_exp_f32_e32 v67, v67
	v_add_f32_e32 v91, v91, v81
	v_cndmask_b32_e64 v72, 0, v72, s[6:7]
	v_add_f32_e32 v91, v91, v72
	v_cndmask_b32_e64 v73, 0, v73, s[8:9]
	v_add_f32_e32 v91, v91, v73
	v_cndmask_b32_e32 v66, 0, v66, vcc
	v_add_f32_e32 v91, v91, v66
	v_cndmask_b32_e64 v67, 0, v67, s[4:5]
	v_add_f32_e32 v91, v91, v67
	ds_bpermute_b32 v89, v89, v91
	v_cmp_gt_u32_e32 vcc, 16, v87
	s_waitcnt lgkmcnt(0)
	s_barrier
	v_add_f32_e32 v89, v91, v89
	ds_bpermute_b32 v90, v90, v89
	s_and_saveexec_b64 s[4:5], vcc
	s_cbranch_execz .LBB621_13
; %bb.12:
	s_waitcnt lgkmcnt(0)
	v_add_f32_e32 v87, v89, v90
	v_lshlrev_b32_e32 v75, 2, v75
	ds_write2st64_b32 v75, v88, v87 offset1:1
.LBB621_13:
	s_or_b64 exec, exec, s[4:5]
	v_lshlrev_b32_e32 v75, 2, v76
	s_load_dword s6, s[0:1], 0x94
	s_waitcnt lgkmcnt(0)
	s_barrier
	ds_read2_b32 v[88:89], v75 offset1:16
	ds_read2_b32 v[90:91], v75 offset0:32 offset1:48
	ds_read2_b32 v[92:93], v75 offset0:64 offset1:80
	;; [unrolled: 1-line block ×3, first 2 shown]
	s_movk_i32 s8, 0x7fff
	s_waitcnt lgkmcnt(3)
	v_max3_f32 v87, v88, s41, v89
	s_waitcnt lgkmcnt(2)
	v_max3_f32 v87, v87, v90, v91
	v_sub_f32_e32 v88, v88, v87
	v_mul_f32_e32 v88, 0x3fb8aa3b, v88
	v_exp_f32_e32 v1, v88
	v_sub_f32_e32 v88, v89, v87
	v_mul_f32_e32 v88, 0x3fb8aa3b, v88
	v_exp_f32_e32 v89, v88
	v_sub_f32_e32 v88, v90, v87
	v_mul_f32_e32 v88, 0x3fb8aa3b, v88
	v_sub_f32_e32 v75, v91, v87
	v_exp_f32_e32 v90, v88
	v_mul_f32_e32 v75, 0x3fb8aa3b, v75
	v_exp_f32_e32 v75, v75
	s_waitcnt lgkmcnt(1)
	v_fma_f32 v88, v1, v92, 0
	v_fmac_f32_e32 v88, v89, v93
	s_waitcnt lgkmcnt(0)
	v_fmac_f32_e32 v88, v90, v94
	v_fmac_f32_e32 v88, v75, v95
	v_add_f32_e32 v91, 0x358637bd, v88
	v_div_scale_f32 v92, s[4:5], v91, v91, 1.0
	v_rcp_f32_e32 v93, v92
	s_mov_b32 s9, 0x7060302
	s_barrier
	v_fma_f32 v94, -v92, v93, 1.0
	v_fmac_f32_e32 v93, v94, v93
	v_div_scale_f32 v94, vcc, 1.0, v91, 1.0
	v_mul_f32_e32 v95, v94, v93
	v_fma_f32 v86, -v92, v95, v94
	v_fmac_f32_e32 v95, v86, v93
	v_fma_f32 v86, -v92, v95, v94
	v_div_fmas_f32 v86, v86, v93, v95
	v_cmp_eq_u32_e32 vcc, 1, v77
	v_div_fixup_f32 v86, v86, v91, 1.0
	s_nop 0
	v_cndmask_b32_e32 v1, v1, v89, vcc
	v_cmp_eq_u32_e32 vcc, 2, v77
	s_mul_i32 s7, s27, 10
	s_nop 0
	v_cndmask_b32_e32 v1, v1, v90, vcc
	v_cmp_eq_u32_e32 vcc, 3, v77
	s_nop 1
	v_cndmask_b32_e32 v1, v1, v75, vcc
	v_mul_f32_e32 v90, v1, v86
	v_pk_mul_f32 v[68:69], v[90:91], v[68:69] op_sel_hi:[0,1]
	v_bfe_u32 v1, v69, 16, 1
	v_bfe_u32 v75, v68, 16, 1
	v_pk_mul_f32 v[82:83], v[90:91], v[82:83] op_sel_hi:[0,1]
	v_add3_u32 v68, v68, v75, s8
	v_add3_u32 v1, v69, v1, s8
	v_perm_b32 v92, v1, v68, s9
	v_bfe_u32 v1, v83, 16, 1
	v_bfe_u32 v68, v82, 16, 1
	v_add3_u32 v68, v82, v68, s8
	v_add3_u32 v1, v83, v1, s8
	v_bfe_u32 v86, v0, 4, 2
	v_perm_b32 v93, v1, v68, s9
	v_lshlrev_b32_e32 v1, 3, v86
	v_lshlrev_b32_e32 v68, 5, v76
	;; [unrolled: 1-line block ×3, first 2 shown]
	v_pk_mul_f32 v[70:71], v[90:91], v[70:71] op_sel_hi:[0,1]
	v_or3_b32 v75, v69, v68, v1
	v_bfe_u32 v1, v71, 16, 1
	v_bfe_u32 v69, v70, 16, 1
	v_pk_mul_f32 v[82:83], v[90:91], v[84:85] op_sel_hi:[0,1]
	v_add3_u32 v69, v70, v69, s8
	v_add3_u32 v1, v71, v1, s8
	v_perm_b32 v70, v1, v69, s9
	v_bfe_u32 v1, v83, 16, 1
	v_bfe_u32 v69, v82, 16, 1
	v_add3_u32 v69, v82, v69, s8
	v_add3_u32 v1, v83, v1, s8
	v_pk_mul_f32 v[78:79], v[90:91], v[78:79] op_sel_hi:[0,1]
	v_perm_b32 v71, v1, v69, s9
	v_bfe_u32 v1, v79, 16, 1
	v_bfe_u32 v69, v78, 16, 1
	ds_write2st64_b64 v75, v[92:93], v[70:71] offset1:1
	v_pk_mul_f32 v[70:71], v[90:91], v[80:81] op_sel_hi:[0,1]
	v_add3_u32 v69, v78, v69, s8
	v_add3_u32 v1, v79, v1, s8
	v_perm_b32 v78, v1, v69, s9
	v_bfe_u32 v1, v71, 16, 1
	v_bfe_u32 v69, v70, 16, 1
	v_add3_u32 v69, v70, v69, s8
	v_add3_u32 v1, v71, v1, s8
	v_pk_mul_f32 v[70:71], v[90:91], v[72:73] op_sel_hi:[0,1]
	v_perm_b32 v79, v1, v69, s9
	v_bfe_u32 v1, v71, 16, 1
	v_bfe_u32 v69, v70, 16, 1
	v_pk_mul_f32 v[66:67], v[90:91], v[66:67] op_sel_hi:[0,1]
	v_add3_u32 v69, v70, v69, s8
	v_add3_u32 v1, v71, v1, s8
	v_perm_b32 v70, v1, v69, s9
	v_bfe_u32 v1, v67, 16, 1
	v_bfe_u32 v69, v66, 16, 1
	v_add3_u32 v66, v66, v69, s8
	v_add3_u32 v1, v67, v1, s8
	v_perm_b32 v71, v1, v66, s9
	v_cmp_gt_u32_e32 vcc, 10, v0
	ds_write2st64_b64 v75, v[78:79], v[70:71] offset0:2 offset1:3
	s_and_saveexec_b64 s[4:5], vcc
	s_cbranch_execz .LBB621_15
; %bb.14:
	s_mov_b32 s41, 0
	v_mov_b32_e32 v77, 0
	v_lshl_add_u64 v[66:67], s[40:41], 0, v[76:77]
	v_mov_b32_e32 v1, s7
	v_mad_u64_u32 v[66:67], s[10:11], s2, v1, v[66:67]
	s_mul_i32 s3, s3, s7
	v_mov_b32_e32 v70, s26
	v_mov_b32_e32 v71, v77
	s_load_dwordx4 s[12:15], s[0:1], 0x58
	v_add_u32_e32 v1, s3, v67
	v_mad_u64_u32 v[66:67], s[10:11], v66, s6, v[70:71]
	v_mov_b32_e32 v70, v67
	v_mad_u64_u32 v[70:71], s[10:11], v1, s6, v[70:71]
	v_mov_b32_e32 v67, v70
	v_lshlrev_b64 v[66:67], 2, v[66:67]
	s_waitcnt lgkmcnt(0)
	v_lshl_add_u64 v[70:71], s[14:15], 0, v[66:67]
	v_lshl_add_u64 v[66:67], s[12:13], 0, v[66:67]
	global_store_dword v[70:71], v87, off
	global_store_dword v[66:67], v88, off
.LBB621_15:
	s_or_b64 exec, exec, s[4:5]
	v_lshl_or_b32 v1, v86, 9, v68
	s_waitcnt lgkmcnt(0)
	s_barrier
	ds_read_b128 v[70:73], v1
	ds_read_b128 v[66:69], v1 offset:16
	s_waitcnt vmcnt(15) lgkmcnt(1)
	v_mfma_f32_16x16x16_bf16 v[78:81], v[30:31], v[70:71], 0
	s_mov_b32 s3, 0
	v_cmp_gt_u32_e32 vcc, 64, v0
	v_mfma_f32_16x16x16_bf16 v[30:33], v[32:33], v[72:73], v[78:81]
	s_waitcnt vmcnt(14) lgkmcnt(0)
	v_mfma_f32_16x16x16_bf16 v[30:33], v[26:27], v[66:67], v[30:33]
	v_mfma_f32_16x16x16_bf16 v[26:29], v[28:29], v[68:69], v[30:33]
	s_nop 5
	ds_read_b128 v[30:33], v1 offset:2048
	ds_read_b128 v[78:81], v1 offset:2064
	s_waitcnt vmcnt(13) lgkmcnt(1)
	v_mfma_f32_16x16x16_bf16 v[26:29], v[22:23], v[30:31], v[26:29]
	v_mfma_f32_16x16x16_bf16 v[22:25], v[24:25], v[32:33], v[26:29]
	s_waitcnt vmcnt(12) lgkmcnt(0)
	v_mfma_f32_16x16x16_bf16 v[22:25], v[18:19], v[78:79], v[22:25]
	v_mfma_f32_16x16x16_bf16 v[18:21], v[20:21], v[80:81], v[22:25]
	s_nop 5
	ds_read_b128 v[22:25], v1 offset:4096
	ds_read_b128 v[26:29], v1 offset:4112
	s_waitcnt vmcnt(11) lgkmcnt(1)
	v_mfma_f32_16x16x16_bf16 v[18:21], v[14:15], v[22:23], v[18:21]
	v_mfma_f32_16x16x16_bf16 v[14:17], v[16:17], v[24:25], v[18:21]
	s_waitcnt vmcnt(10) lgkmcnt(0)
	v_mfma_f32_16x16x16_bf16 v[14:17], v[10:11], v[26:27], v[14:17]
	v_mfma_f32_16x16x16_bf16 v[10:13], v[12:13], v[28:29], v[14:17]
	s_nop 5
	ds_read_b128 v[14:17], v1 offset:6144
	ds_read_b128 v[18:21], v1 offset:6160
	s_waitcnt lgkmcnt(0)
	s_barrier
	s_waitcnt vmcnt(9)
	v_mfma_f32_16x16x16_bf16 v[10:13], v[6:7], v[14:15], v[10:13]
	v_mfma_f32_16x16x16_bf16 v[6:9], v[8:9], v[16:17], v[10:13]
	s_waitcnt vmcnt(8)
	v_mfma_f32_16x16x16_bf16 v[6:9], v[2:3], v[18:19], v[6:9]
	v_mfma_f32_16x16x16_bf16 v[2:5], v[4:5], v[20:21], v[6:9]
	s_waitcnt vmcnt(7)
	v_mfma_f32_16x16x16_bf16 v[6:9], v[46:47], v[70:71], 0
	v_mfma_f32_16x16x16_bf16 v[6:9], v[48:49], v[72:73], v[6:9]
	s_nop 3
	v_bfe_u32 v1, v3, 16, 1
	v_bfe_u32 v10, v2, 16, 1
	v_add3_u32 v2, v2, v10, s8
	s_waitcnt vmcnt(6)
	v_mfma_f32_16x16x16_bf16 v[6:9], v[38:39], v[66:67], v[6:9]
	v_add3_u32 v1, v3, v1, s8
	v_perm_b32 v10, v1, v2, s9
	v_bfe_u32 v1, v5, 16, 1
	v_mfma_f32_16x16x16_bf16 v[6:9], v[40:41], v[68:69], v[6:9]
	v_bfe_u32 v2, v4, 16, 1
	v_add3_u32 v2, v4, v2, s8
	v_add3_u32 v1, v5, v1, s8
	s_waitcnt vmcnt(5)
	v_mfma_f32_16x16x16_bf16 v[6:9], v[42:43], v[30:31], v[6:9]
	v_perm_b32 v11, v1, v2, s9
	v_mfma_f32_16x16x16_bf16 v[6:9], v[44:45], v[32:33], v[6:9]
	s_waitcnt vmcnt(4)
	v_mfma_f32_16x16x16_bf16 v[6:9], v[34:35], v[78:79], v[6:9]
	v_mfma_f32_16x16x16_bf16 v[6:9], v[36:37], v[80:81], v[6:9]
	s_waitcnt vmcnt(3)
	v_mfma_f32_16x16x16_bf16 v[6:9], v[58:59], v[22:23], v[6:9]
	;; [unrolled: 3-line block ×5, first 2 shown]
	v_mfma_f32_16x16x16_bf16 v[2:5], v[52:53], v[20:21], v[6:9]
	s_nop 6
	v_bfe_u32 v1, v3, 16, 1
	v_bfe_u32 v6, v2, 16, 1
	v_add3_u32 v2, v2, v6, s8
	v_add3_u32 v1, v3, v1, s8
	v_perm_b32 v2, v1, v2, s9
	v_bfe_u32 v1, v5, 16, 1
	v_bfe_u32 v3, v4, 16, 1
	v_add3_u32 v3, v4, v3, s8
	v_add3_u32 v1, v5, v1, s8
	v_perm_b32 v3, v1, v3, s9
	ds_write2st64_b64 v75, v[10:11], v[2:3] offset1:1
	s_waitcnt lgkmcnt(0)
	s_barrier
	s_and_saveexec_b64 s[4:5], vcc
	s_cbranch_execz .LBB621_18
; %bb.16:
	s_load_dwordx2 s[4:5], s[0:1], 0x68
	s_lshl_b32 s0, s6, 7
	s_mul_i32 s1, s7, s2
	v_lshlrev_b32_e32 v3, 6, v76
	s_mul_hi_u32 s7, s1, s0
	s_mul_i32 s6, s1, s0
	v_lshlrev_b32_e32 v2, 4, v0
	v_lshl_or_b32 v0, v0, 10, v3
	s_lshl_b64 s[6:7], s[6:7], 1
	v_lshlrev_b32_e32 v1, 5, v86
	v_and_b32_e32 v2, 16, v2
	v_and_b32_e32 v0, 0x1a00, v0
	s_waitcnt lgkmcnt(0)
	s_add_u32 s1, s4, s6
	v_or3_b32 v2, v0, v1, v2
	s_addc_u32 s4, s5, s7
	s_lshl_b32 s2, s26, 7
	s_lshl_b64 s[2:3], s[2:3], 1
	ds_read_b128 v[4:7], v2 offset:128
	ds_read_b128 v[8:11], v2
	s_add_u32 s2, s1, s2
	s_addc_u32 s3, s4, s3
	v_mov_b32_e32 v75, 0
	v_add_u32_e32 v14, s40, v86
	v_lshl_add_u64 v[0:1], s[2:3], 0, v[74:75]
	v_mad_u64_u32 v[12:13], s[2:3], v14, s0, 0
	v_lshl_add_u64 v[12:13], v[12:13], 1, v[0:1]
	s_waitcnt lgkmcnt(0)
	global_store_dwordx4 v[12:13], v[8:11], off
	v_or_b32_e32 v3, 8, v86
	v_cmp_gt_u32_e32 vcc, 10, v3
	v_add_u32_e32 v8, 4, v14
	v_mad_u64_u32 v[8:9], s[2:3], v8, s0, 0
	v_lshl_add_u64 v[8:9], v[8:9], 1, v[0:1]
	global_store_dwordx4 v[8:9], v[4:7], off
	s_and_b64 exec, exec, vcc
	s_cbranch_execz .LBB621_18
; %bb.17:
	ds_read_b128 v[4:7], v2 offset:256
	v_add_u32_e32 v2, s40, v3
	v_mad_u64_u32 v[2:3], s[0:1], v2, s0, 0
	v_lshl_add_u64 v[0:1], v[2:3], 1, v[0:1]
	s_waitcnt lgkmcnt(0)
	global_store_dwordx4 v[0:1], v[4:7], off
.LBB621_18:
	s_endpgm
	.section	.rodata,"a",@progbits
	.p2align	6, 0x0
	.amdhsa_kernel _Z39paged_attention_ll4mi_QKV_mfma16_kernelI14__hip_bfloat16S0_LN4vllm18Fp8KVCacheDataTypeE0EhLi16ELi128ELi256ELb0ELi10EEvPKT_PKT0_S8_ifPKiSA_SA_iPKfiiiPfSD_PS3_PT2_iSC_SC_
		.amdhsa_group_segment_fixed_size 8192
		.amdhsa_private_segment_fixed_size 0
		.amdhsa_kernarg_size 400
		.amdhsa_user_sgpr_count 2
		.amdhsa_user_sgpr_dispatch_ptr 0
		.amdhsa_user_sgpr_queue_ptr 0
		.amdhsa_user_sgpr_kernarg_segment_ptr 1
		.amdhsa_user_sgpr_dispatch_id 0
		.amdhsa_user_sgpr_kernarg_preload_length 0
		.amdhsa_user_sgpr_kernarg_preload_offset 0
		.amdhsa_user_sgpr_private_segment_size 0
		.amdhsa_uses_dynamic_stack 0
		.amdhsa_enable_private_segment 0
		.amdhsa_system_sgpr_workgroup_id_x 1
		.amdhsa_system_sgpr_workgroup_id_y 1
		.amdhsa_system_sgpr_workgroup_id_z 1
		.amdhsa_system_sgpr_workgroup_info 0
		.amdhsa_system_vgpr_workitem_id 0
		.amdhsa_next_free_vgpr 96
		.amdhsa_next_free_sgpr 42
		.amdhsa_accum_offset 96
		.amdhsa_reserve_vcc 1
		.amdhsa_float_round_mode_32 0
		.amdhsa_float_round_mode_16_64 0
		.amdhsa_float_denorm_mode_32 3
		.amdhsa_float_denorm_mode_16_64 3
		.amdhsa_dx10_clamp 1
		.amdhsa_ieee_mode 1
		.amdhsa_fp16_overflow 0
		.amdhsa_tg_split 0
		.amdhsa_exception_fp_ieee_invalid_op 0
		.amdhsa_exception_fp_denorm_src 0
		.amdhsa_exception_fp_ieee_div_zero 0
		.amdhsa_exception_fp_ieee_overflow 0
		.amdhsa_exception_fp_ieee_underflow 0
		.amdhsa_exception_fp_ieee_inexact 0
		.amdhsa_exception_int_div_zero 0
	.end_amdhsa_kernel
	.section	.text._Z39paged_attention_ll4mi_QKV_mfma16_kernelI14__hip_bfloat16S0_LN4vllm18Fp8KVCacheDataTypeE0EhLi16ELi128ELi256ELb0ELi10EEvPKT_PKT0_S8_ifPKiSA_SA_iPKfiiiPfSD_PS3_PT2_iSC_SC_,"axG",@progbits,_Z39paged_attention_ll4mi_QKV_mfma16_kernelI14__hip_bfloat16S0_LN4vllm18Fp8KVCacheDataTypeE0EhLi16ELi128ELi256ELb0ELi10EEvPKT_PKT0_S8_ifPKiSA_SA_iPKfiiiPfSD_PS3_PT2_iSC_SC_,comdat
.Lfunc_end621:
	.size	_Z39paged_attention_ll4mi_QKV_mfma16_kernelI14__hip_bfloat16S0_LN4vllm18Fp8KVCacheDataTypeE0EhLi16ELi128ELi256ELb0ELi10EEvPKT_PKT0_S8_ifPKiSA_SA_iPKfiiiPfSD_PS3_PT2_iSC_SC_, .Lfunc_end621-_Z39paged_attention_ll4mi_QKV_mfma16_kernelI14__hip_bfloat16S0_LN4vllm18Fp8KVCacheDataTypeE0EhLi16ELi128ELi256ELb0ELi10EEvPKT_PKT0_S8_ifPKiSA_SA_iPKfiiiPfSD_PS3_PT2_iSC_SC_
                                        ; -- End function
	.section	.AMDGPU.csdata,"",@progbits
; Kernel info:
; codeLenInByte = 4724
; NumSgprs: 48
; NumVgprs: 96
; NumAgprs: 0
; TotalNumVgprs: 96
; ScratchSize: 0
; MemoryBound: 0
; FloatMode: 240
; IeeeMode: 1
; LDSByteSize: 8192 bytes/workgroup (compile time only)
; SGPRBlocks: 5
; VGPRBlocks: 11
; NumSGPRsForWavesPerEU: 48
; NumVGPRsForWavesPerEU: 96
; AccumOffset: 96
; Occupancy: 5
; WaveLimiterHint : 1
; COMPUTE_PGM_RSRC2:SCRATCH_EN: 0
; COMPUTE_PGM_RSRC2:USER_SGPR: 2
; COMPUTE_PGM_RSRC2:TRAP_HANDLER: 0
; COMPUTE_PGM_RSRC2:TGID_X_EN: 1
; COMPUTE_PGM_RSRC2:TGID_Y_EN: 1
; COMPUTE_PGM_RSRC2:TGID_Z_EN: 1
; COMPUTE_PGM_RSRC2:TIDIG_COMP_CNT: 0
; COMPUTE_PGM_RSRC3_GFX90A:ACCUM_OFFSET: 23
; COMPUTE_PGM_RSRC3_GFX90A:TG_SPLIT: 0
	.section	.text._Z39paged_attention_ll4mi_QKV_mfma16_kernelI14__hip_bfloat16S0_LN4vllm18Fp8KVCacheDataTypeE0EhLi16ELi128ELi256ELb0ELi11EEvPKT_PKT0_S8_ifPKiSA_SA_iPKfiiiPfSD_PS3_PT2_iSC_SC_,"axG",@progbits,_Z39paged_attention_ll4mi_QKV_mfma16_kernelI14__hip_bfloat16S0_LN4vllm18Fp8KVCacheDataTypeE0EhLi16ELi128ELi256ELb0ELi11EEvPKT_PKT0_S8_ifPKiSA_SA_iPKfiiiPfSD_PS3_PT2_iSC_SC_,comdat
	.protected	_Z39paged_attention_ll4mi_QKV_mfma16_kernelI14__hip_bfloat16S0_LN4vllm18Fp8KVCacheDataTypeE0EhLi16ELi128ELi256ELb0ELi11EEvPKT_PKT0_S8_ifPKiSA_SA_iPKfiiiPfSD_PS3_PT2_iSC_SC_ ; -- Begin function _Z39paged_attention_ll4mi_QKV_mfma16_kernelI14__hip_bfloat16S0_LN4vllm18Fp8KVCacheDataTypeE0EhLi16ELi128ELi256ELb0ELi11EEvPKT_PKT0_S8_ifPKiSA_SA_iPKfiiiPfSD_PS3_PT2_iSC_SC_
	.globl	_Z39paged_attention_ll4mi_QKV_mfma16_kernelI14__hip_bfloat16S0_LN4vllm18Fp8KVCacheDataTypeE0EhLi16ELi128ELi256ELb0ELi11EEvPKT_PKT0_S8_ifPKiSA_SA_iPKfiiiPfSD_PS3_PT2_iSC_SC_
	.p2align	8
	.type	_Z39paged_attention_ll4mi_QKV_mfma16_kernelI14__hip_bfloat16S0_LN4vllm18Fp8KVCacheDataTypeE0EhLi16ELi128ELi256ELb0ELi11EEvPKT_PKT0_S8_ifPKiSA_SA_iPKfiiiPfSD_PS3_PT2_iSC_SC_,@function
_Z39paged_attention_ll4mi_QKV_mfma16_kernelI14__hip_bfloat16S0_LN4vllm18Fp8KVCacheDataTypeE0EhLi16ELi128ELi256ELb0ELi11EEvPKT_PKT0_S8_ifPKiSA_SA_iPKfiiiPfSD_PS3_PT2_iSC_SC_: ; @_Z39paged_attention_ll4mi_QKV_mfma16_kernelI14__hip_bfloat16S0_LN4vllm18Fp8KVCacheDataTypeE0EhLi16ELi128ELi256ELb0ELi11EEvPKT_PKT0_S8_ifPKiSA_SA_iPKfiiiPfSD_PS3_PT2_iSC_SC_
; %bb.0:
	s_load_dwordx2 s[8:9], s[0:1], 0x30
	s_mov_b32 s26, s3
	s_mov_b64 s[6:7], 0
	s_waitcnt lgkmcnt(0)
	s_cmp_lg_u64 s[8:9], 0
	s_cselect_b64 s[10:11], -1, 0
	s_and_b64 vcc, exec, s[10:11]
	s_cbranch_vccz .LBB622_7
; %bb.1:
	s_add_i32 s12, s2, 1
	s_mov_b32 s13, 0
	s_lshl_b64 s[14:15], s[12:13], 2
	s_add_u32 s14, s8, s14
	s_mov_b32 s3, s13
	s_addc_u32 s15, s9, s15
	s_lshl_b64 s[12:13], s[2:3], 2
	s_add_u32 s12, s8, s12
	s_addc_u32 s13, s9, s13
	s_load_dword s5, s[14:15], 0x0
	s_load_dword s16, s[12:13], 0x0
	s_waitcnt lgkmcnt(0)
	s_sub_i32 s5, s5, s16
	s_cmp_eq_u32 s5, 1
	s_cselect_b64 s[12:13], -1, 0
	s_andn2_b64 vcc, exec, s[6:7]
	s_cbranch_vccnz .LBB622_3
.LBB622_2:
	s_mov_b32 s3, 0
	s_mov_b64 s[12:13], -1
.LBB622_3:
	s_andn2_b64 vcc, exec, s[12:13]
	s_cbranch_vccnz .LBB622_18
; %bb.4:
	s_load_dwordx2 s[6:7], s[0:1], 0x28
	s_lshl_b64 s[16:17], s[2:3], 2
	s_waitcnt lgkmcnt(0)
	s_add_u32 s6, s6, s16
	s_addc_u32 s7, s7, s17
	s_load_dword s33, s[6:7], 0x0
	s_lshl_b32 s18, s26, 8
	s_waitcnt lgkmcnt(0)
	s_cmp_ge_i32 s18, s33
	s_cbranch_scc1 .LBB622_18
; %bb.5:
	s_load_dwordx2 s[6:7], s[0:1], 0x20
	s_load_dword s5, s[0:1], 0x38
	s_add_i32 s12, s33, 15
	s_ashr_i32 s13, s12, 31
	v_and_b32_e32 v1, 0xcf, v0
	s_lshr_b32 s13, s13, 28
	v_add_u32_e32 v1, s18, v1
	s_add_i32 s12, s12, s13
	v_ashrrev_i32_e32 v2, 31, v1
	s_ashr_i32 s19, s12, 4
	v_lshrrev_b32_e32 v4, 28, v2
	s_add_i32 s19, s19, -1
	s_waitcnt lgkmcnt(0)
	s_mul_i32 s12, s2, s5
	s_mov_b32 s13, 0
	v_add_u32_e32 v2, v1, v4
	s_lshl_b64 s[12:13], s[12:13], 2
	v_ashrrev_i32_e32 v2, 4, v2
	v_mov_b32_e32 v5, s19
	v_cmp_gt_i32_e32 vcc, s33, v1
	s_add_u32 s6, s6, s12
	s_addc_u32 s7, s7, s13
	v_cndmask_b32_e32 v2, v5, v2, vcc
	v_ashrrev_i32_e32 v3, 31, v2
	v_lshl_add_u64 v[6:7], v[2:3], 2, s[6:7]
	v_or_b32_e32 v2, 16, v1
	v_add_u32_e32 v3, v2, v4
	v_ashrrev_i32_e32 v3, 4, v3
	v_cmp_gt_i32_e32 vcc, s33, v2
	s_load_dwordx4 s[12:15], s[0:1], 0x8
	s_nop 0
	v_cndmask_b32_e32 v2, v5, v3, vcc
	v_ashrrev_i32_e32 v3, 31, v2
	v_lshl_add_u64 v[8:9], v[2:3], 2, s[6:7]
	v_or_b32_e32 v2, 32, v1
	v_add_u32_e32 v3, v2, v4
	v_ashrrev_i32_e32 v3, 4, v3
	v_cmp_gt_i32_e32 vcc, s33, v2
	v_or_b32_e32 v1, 48, v1
	s_nop 0
	v_cndmask_b32_e32 v2, v5, v3, vcc
	v_ashrrev_i32_e32 v3, 31, v2
	v_lshl_add_u64 v[10:11], v[2:3], 2, s[6:7]
	v_add_u32_e32 v2, v1, v4
	v_ashrrev_i32_e32 v2, 4, v2
	v_cmp_gt_i32_e32 vcc, s33, v1
	s_nop 1
	v_cndmask_b32_e32 v2, v5, v2, vcc
	v_ashrrev_i32_e32 v3, 31, v2
	v_lshl_add_u64 v[12:13], v[2:3], 2, s[6:7]
	global_load_dword v4, v[6:7], off
	global_load_dword v3, v[8:9], off
	;; [unrolled: 1-line block ×4, first 2 shown]
	s_andn2_b64 vcc, exec, s[10:11]
	s_cbranch_vccnz .LBB622_8
; %bb.6:
	s_add_u32 s8, s8, s16
	s_addc_u32 s9, s9, s17
	s_load_dword s5, s[8:9], 0x0
	s_branch .LBB622_9
.LBB622_7:
	s_mov_b64 s[12:13], 0
	s_branch .LBB622_2
.LBB622_8:
	s_mov_b32 s5, s2
.LBB622_9:
	s_load_dwordx4 s[8:11], s[0:1], 0x48
	v_lshrrev_b32_e32 v77, 6, v0
	v_bfe_u32 v86, v0, 4, 2
	v_and_b32_e32 v76, 15, v0
	v_lshl_or_b32 v1, v77, 2, v86
	v_lshlrev_b32_e32 v5, 3, v76
	v_and_b32_e32 v87, 63, v0
	s_mul_i32 s40, s4, 11
	v_cmp_gt_u32_e32 vcc, 11, v1
	v_lshlrev_b32_e32 v74, 1, v5
	s_and_saveexec_b64 s[16:17], vcc
	s_cbranch_execz .LBB622_11
; %bb.10:
	s_load_dwordx2 s[20:21], s[0:1], 0x0
	s_waitcnt lgkmcnt(0)
	s_ashr_i32 s11, s8, 31
	s_mul_hi_u32 s22, s5, s8
	s_mul_i32 s11, s5, s11
	s_add_i32 s23, s22, s11
	s_mul_i32 s22, s5, s8
	s_lshl_b64 s[22:23], s[22:23], 1
	s_add_u32 s20, s20, s22
	v_add_lshl_u32 v6, v1, s40, 7
	s_addc_u32 s21, s21, s23
	v_ashrrev_i32_e32 v7, 31, v6
	v_lshl_add_u64 v[6:7], v[6:7], 1, s[20:21]
	v_mov_b32_e32 v75, 0
	v_lshl_add_u64 v[6:7], v[6:7], 0, v[74:75]
	global_load_dwordx4 v[6:9], v[6:7], off
	v_and_b32_e32 v5, 3, v0
	v_lshlrev_b32_e32 v10, 9, v76
	v_lshlrev_b32_e32 v1, 5, v1
	;; [unrolled: 1-line block ×3, first 2 shown]
	v_and_b32_e32 v10, 0x1800, v10
	v_or3_b32 v1, v10, v5, v1
	s_waitcnt vmcnt(0)
	ds_write_b128 v1, v[6:9]
.LBB622_11:
	s_or_b64 exec, exec, s[16:17]
	s_waitcnt lgkmcnt(0)
	s_mul_i32 s4, s4, s10
	s_mov_b32 s5, 0
	s_lshl_b64 s[4:5], s[4:5], 1
	s_add_u32 s10, s12, s4
	v_lshlrev_b32_e32 v1, 4, v0
	s_addc_u32 s11, s13, s5
	v_and_b32_e32 v34, 0xf0, v1
	v_mov_b32_e32 v35, 0
	v_lshl_add_u64 v[30:31], s[10:11], 0, v[34:35]
	s_waitcnt vmcnt(3)
	v_mad_i64_i32 v[4:5], s[10:11], v4, s9, 0
	v_lshl_add_u64 v[4:5], v[4:5], 1, v[30:31]
	v_and_b32_e32 v34, 0x300, v1
	v_lshl_add_u64 v[32:33], v[4:5], 0, v[34:35]
	s_load_dword s27, s[0:1], 0x98
	s_load_dword s8, s[0:1], 0x1c
	s_waitcnt lgkmcnt(0)
	s_barrier
	global_load_dwordx4 v[6:9], v[32:33], off
	global_load_dwordx4 v[18:21], v[32:33], off offset:1024
	s_waitcnt vmcnt(4)
	v_mad_i64_i32 v[4:5], s[10:11], v3, s9, 0
	s_waitcnt vmcnt(3)
	v_mad_i64_i32 v[2:3], s[10:11], v2, s9, 0
	v_lshl_add_u64 v[4:5], v[4:5], 1, v[30:31]
	v_lshl_add_u64 v[2:3], v[2:3], 1, v[30:31]
	v_lshl_add_u64 v[36:37], v[4:5], 0, v[34:35]
	v_lshl_add_u64 v[38:39], v[2:3], 0, v[34:35]
	global_load_dwordx4 v[14:17], v[36:37], off
	global_load_dwordx4 v[22:25], v[36:37], off offset:1024
	global_load_dwordx4 v[26:29], v[38:39], off
	global_load_dwordx4 v[46:49], v[38:39], off offset:1024
	v_add_u32_e32 v2, -11, v76
	v_cmp_gt_u32_e32 vcc, 11, v76
	global_load_dwordx4 v[54:57], v[32:33], off offset:2048
	global_load_dwordx4 v[62:65], v[36:37], off offset:2048
	v_cndmask_b32_e32 v2, v2, v76, vcc
	v_lshlrev_b32_e32 v2, 5, v2
	v_lshl_add_u32 v41, v86, 9, v2
	ds_read_b128 v[10:13], v41
	ds_read_b128 v[2:5], v41 offset:2048
	v_mov_b32_e32 v70, s19
	s_add_u32 s4, s14, s4
	s_addc_u32 s5, s15, s5
	s_mov_b32 s41, 0xff7fffff
	s_waitcnt vmcnt(7) lgkmcnt(1)
	v_mfma_f32_16x16x16_bf16 v[42:45], v[6:7], v[10:11], 0
	v_mfma_f32_16x16x16_bf16 v[6:9], v[8:9], v[12:13], v[42:45]
	s_nop 5
	global_load_dwordx4 v[42:45], v[38:39], off offset:2048
	s_waitcnt vmcnt(6)
	v_mfma_f32_16x16x16_bf16 v[50:53], v[14:15], v[10:11], 0
	s_waitcnt vmcnt(4)
	v_mfma_f32_16x16x16_bf16 v[58:61], v[26:27], v[10:11], 0
	v_mfma_f32_16x16x16_bf16 v[14:17], v[16:17], v[12:13], v[50:53]
	;; [unrolled: 1-line block ×3, first 2 shown]
	s_nop 2
	global_load_dwordx4 v[50:53], v[32:33], off offset:3072
	v_mad_i64_i32 v[32:33], s[10:11], v40, s9, 0
	s_waitcnt lgkmcnt(0)
	v_mfma_f32_16x16x16_bf16 v[6:9], v[18:19], v[2:3], v[6:9]
	v_and_or_b32 v40, v0, 48, s18
	v_ashrrev_i32_e32 v58, 4, v40
	v_cmp_gt_i32_e32 vcc, s33, v40
	v_mfma_f32_16x16x16_bf16 v[14:17], v[22:23], v[2:3], v[14:17]
	v_or_b32_e32 v66, 64, v40
	v_cndmask_b32_e32 v22, v70, v58, vcc
	v_ashrrev_i32_e32 v23, 31, v22
	s_waitcnt vmcnt(4)
	v_mfma_f32_16x16x16_bf16 v[26:29], v[46:47], v[2:3], v[26:29]
	v_or_b32_e32 v71, 0x80, v40
	v_or_b32_e32 v72, 0xc0, v40
	v_ashrrev_i32_e32 v40, 4, v66
	v_mfma_f32_16x16x16_bf16 v[6:9], v[20:21], v[4:5], v[6:9]
	global_load_dwordx4 v[18:21], v[38:39], off offset:3072
	v_cmp_gt_i32_e32 vcc, s33, v66
	v_lshl_add_u64 v[22:23], v[22:23], 2, s[6:7]
	global_load_dwordx4 v[58:61], v[36:37], off offset:3072
	v_cndmask_b32_e32 v36, v70, v40, vcc
	v_mfma_f32_16x16x16_bf16 v[14:17], v[24:25], v[4:5], v[14:17]
	global_load_dword v78, v[22:23], off
	ds_read_b128 v[66:69], v41 offset:4096
	v_ashrrev_i32_e32 v37, 31, v36
	v_mfma_f32_16x16x16_bf16 v[22:25], v[48:49], v[4:5], v[26:29]
	v_ashrrev_i32_e32 v73, 4, v71
	v_cmp_gt_i32_e32 vcc, s33, v71
	v_ashrrev_i32_e32 v75, 4, v72
	v_lshl_add_u64 v[26:27], v[32:33], 1, v[30:31]
	v_lshl_add_u64 v[26:27], v[26:27], 0, v[34:35]
	;; [unrolled: 1-line block ×3, first 2 shown]
	global_load_dwordx4 v[46:49], v[26:27], off
	global_load_dword v36, v[28:29], off
	s_waitcnt vmcnt(8) lgkmcnt(0)
	v_mfma_f32_16x16x16_bf16 v[6:9], v[54:55], v[66:67], v[6:9]
	v_cndmask_b32_e32 v28, v70, v73, vcc
	v_ashrrev_i32_e32 v29, 31, v28
	v_lshl_add_u64 v[28:29], v[28:29], 2, s[6:7]
	v_mfma_f32_16x16x16_bf16 v[6:9], v[56:57], v[68:69], v[6:9]
	global_load_dwordx4 v[54:57], v[26:27], off offset:1024
	v_cmp_gt_i32_e32 vcc, s33, v72
	global_load_dword v84, v[28:29], off
	s_waitcnt vmcnt(9)
	v_mfma_f32_16x16x16_bf16 v[14:17], v[62:63], v[66:67], v[14:17]
	v_cndmask_b32_e32 v28, v70, v75, vcc
	v_ashrrev_i32_e32 v29, 31, v28
	v_lshl_add_u64 v[28:29], v[28:29], 2, s[6:7]
	v_mfma_f32_16x16x16_bf16 v[14:17], v[64:65], v[68:69], v[14:17]
	global_load_dword v64, v[28:29], off
	ds_read_b128 v[38:41], v41 offset:6144
	v_lshl_or_b32 v75, v77, 4, v76
	v_lshlrev_b32_e32 v34, 5, v75
	v_lshl_add_u64 v[62:63], s[4:5], 0, v[34:35]
	v_or_b32_e32 v34, 0x800, v34
	s_waitcnt vmcnt(9)
	v_mfma_f32_16x16x16_bf16 v[22:25], v[42:43], v[66:67], v[22:25]
	global_load_dwordx4 v[70:73], v[26:27], off offset:3072
	v_mfma_f32_16x16x16_bf16 v[22:25], v[44:45], v[68:69], v[22:25]
	global_load_dwordx4 v[42:45], v[26:27], off offset:2048
	s_waitcnt vmcnt(10) lgkmcnt(0)
	v_mfma_f32_16x16x16_bf16 v[6:9], v[50:51], v[38:39], v[6:9]
	s_waitcnt vmcnt(9)
	v_mfma_f32_16x16x16_bf16 v[22:25], v[18:19], v[38:39], v[22:25]
	s_waitcnt vmcnt(7)
	v_mad_i64_i32 v[18:19], s[6:7], v78, s9, 0
	v_lshlrev_b64 v[82:83], 1, v[18:19]
	v_mfma_f32_16x16x16_bf16 v[78:81], v[52:53], v[40:41], v[6:9]
	s_nop 2
	v_lshl_add_u64 v[6:7], v[62:63], 0, v[82:83]
	global_load_dwordx4 v[30:33], v[6:7], off
	global_load_dwordx4 v[26:29], v[6:7], off offset:16
	v_mfma_f32_16x16x16_bf16 v[88:91], v[20:21], v[40:41], v[22:25]
	s_waitcnt vmcnt(7)
	v_mad_i64_i32 v[6:7], s[6:7], v36, s9, 0
	v_lshlrev_b64 v[36:37], 1, v[6:7]
	v_lshl_add_u64 v[6:7], v[62:63], 0, v[36:37]
	global_load_dwordx4 v[22:25], v[6:7], off
	global_load_dwordx4 v[18:21], v[6:7], off offset:16
	v_mfma_f32_16x16x16_bf16 v[6:9], v[46:47], v[10:11], 0
	s_waitcnt vmcnt(7)
	v_mad_i64_i32 v[10:11], s[6:7], v84, s9, 0
	v_mfma_f32_16x16x16_bf16 v[6:9], v[48:49], v[12:13], v[6:9]
	v_lshlrev_b64 v[50:51], 1, v[10:11]
	v_lshl_add_u64 v[10:11], v[62:63], 0, v[50:51]
	v_mfma_f32_16x16x16_bf16 v[6:9], v[54:55], v[2:3], v[6:9]
	s_waitcnt vmcnt(6)
	v_mad_i64_i32 v[2:3], s[6:7], v64, s9, 0
	v_lshlrev_b64 v[52:53], 1, v[2:3]
	v_mfma_f32_16x16x16_bf16 v[46:49], v[56:57], v[4:5], v[6:9]
	v_lshl_add_u64 v[2:3], v[62:63], 0, v[52:53]
	v_pk_mul_f32 v[62:63], s[8:9], v[78:79] op_sel_hi:[0,1]
	v_lshl_add_u64 v[64:65], s[4:5], 0, v[34:35]
	v_mfma_f32_16x16x16_bf16 v[14:17], v[58:59], v[38:39], v[14:17]
	v_lshl_add_u64 v[34:35], v[64:65], 0, v[82:83]
	v_pk_mul_f32 v[82:83], s[8:9], v[80:81] op_sel_hi:[0,1]
	v_pk_mul_f32 v[78:79], s[8:9], v[88:89] op_sel_hi:[0,1]
	v_mfma_f32_16x16x16_bf16 v[58:61], v[60:61], v[40:41], v[14:17]
	v_pk_mul_f32 v[80:81], s[8:9], v[90:91] op_sel_hi:[0,1]
	s_nop 1
	global_load_dwordx4 v[14:17], v[10:11], off
	s_nop 0
	global_load_dwordx4 v[10:13], v[10:11], off offset:16
	s_nop 0
	global_load_dwordx4 v[6:9], v[2:3], off
	s_nop 0
	global_load_dwordx4 v[2:5], v[2:3], off offset:16
	s_waitcnt vmcnt(8)
	v_mfma_f32_16x16x16_bf16 v[46:49], v[42:43], v[66:67], v[46:49]
	v_pk_mul_f32 v[84:85], s[8:9], v[60:61] op_sel_hi:[0,1]
	v_lshl_add_u64 v[50:51], v[64:65], 0, v[50:51]
	v_mfma_f32_16x16x16_bf16 v[42:45], v[44:45], v[68:69], v[46:49]
	v_mfma_f32_16x16x16_bf16 v[42:45], v[70:71], v[38:39], v[42:45]
	v_pk_mul_f32 v[70:71], s[8:9], v[58:59] op_sel_hi:[0,1]
	v_mfma_f32_16x16x16_bf16 v[38:41], v[72:73], v[40:41], v[42:45]
	s_nop 6
	v_pk_mul_f32 v[72:73], s[8:9], v[38:39] op_sel_hi:[0,1]
	v_and_b32_e32 v38, 0xc0, v0
	v_add_u32_e32 v38, s18, v38
	v_lshl_or_b32 v38, v86, 2, v38
	v_pk_mul_f32 v[66:67], s[8:9], v[40:41] op_sel_hi:[0,1]
	v_or_b32_e32 v41, 1, v38
	v_mov_b32_e32 v39, 0xff7fffff
	v_cmp_gt_i32_e64 s[28:29], s33, v38
	v_cmp_gt_i32_e64 s[30:31], s33, v41
	v_or_b32_e32 v42, 3, v38
	v_cndmask_b32_e64 v40, v39, v62, s[28:29]
	v_cndmask_b32_e64 v41, v39, v63, s[30:31]
	v_max3_f32 v40, v40, s41, v41
	v_or_b32_e32 v41, 2, v38
	v_cmp_gt_i32_e64 s[34:35], s33, v41
	v_cmp_gt_i32_e64 s[36:37], s33, v42
	s_nop 0
	v_cndmask_b32_e64 v41, v39, v82, s[34:35]
	v_cndmask_b32_e64 v42, v39, v83, s[36:37]
	v_max3_f32 v40, v40, v41, v42
	v_or_b32_e32 v41, 16, v38
	v_or_b32_e32 v42, 17, v38
	v_cmp_gt_i32_e64 s[22:23], s33, v41
	v_cmp_gt_i32_e64 s[24:25], s33, v42
	s_nop 0
	v_cndmask_b32_e64 v41, v39, v70, s[22:23]
	v_cndmask_b32_e64 v42, v39, v71, s[24:25]
	v_max3_f32 v40, v40, v41, v42
	v_or_b32_e32 v41, 18, v38
	;; [unrolled: 8-line block ×6, first 2 shown]
	v_or_b32_e32 v38, 51, v38
	v_cmp_gt_i32_e32 vcc, s33, v41
	v_cmp_gt_i32_e64 s[4:5], s33, v38
	s_nop 0
	v_cndmask_b32_e32 v41, v39, v66, vcc
	v_cndmask_b32_e64 v38, v39, v67, s[4:5]
	v_max3_f32 v54, v40, v41, v38
	v_mbcnt_lo_u32_b32 v38, -1, 0
	v_mbcnt_hi_u32_b32 v55, -1, v38
	v_and_b32_e32 v38, 64, v55
	v_add_u32_e32 v56, 64, v38
	v_xor_b32_e32 v38, 32, v55
	v_cmp_lt_i32_e64 s[38:39], v38, v56
	s_nop 1
	v_cndmask_b32_e64 v38, v55, v38, s[38:39]
	v_lshlrev_b32_e32 v89, 2, v38
	ds_bpermute_b32 v57, v89, v54
	global_load_dwordx4 v[46:49], v[34:35], off
	global_load_dwordx4 v[38:41], v[34:35], off offset:16
	v_lshl_add_u64 v[34:35], v[64:65], 0, v[36:37]
	global_load_dwordx4 v[42:45], v[34:35], off
	s_nop 0
	global_load_dwordx4 v[34:37], v[34:35], off offset:16
	s_waitcnt lgkmcnt(0)
	v_max_f32_e32 v57, v57, v57
	v_max_f32_e32 v68, v54, v57
	v_xor_b32_e32 v54, 16, v55
	v_cmp_lt_i32_e64 s[38:39], v54, v56
	s_nop 1
	v_cndmask_b32_e64 v54, v55, v54, s[38:39]
	v_lshlrev_b32_e32 v90, 2, v54
	ds_bpermute_b32 v69, v90, v68
	global_load_dwordx4 v[58:61], v[50:51], off
	global_load_dwordx4 v[54:57], v[50:51], off offset:16
	v_lshl_add_u64 v[50:51], v[64:65], 0, v[52:53]
	s_waitcnt lgkmcnt(0)
	v_max_f32_e32 v52, v69, v69
	v_max_f32_e32 v88, v68, v52
	v_sub_f32_e32 v52, v62, v88
	v_mul_f32_e32 v52, 0x3fb8aa3b, v52
	v_exp_f32_e32 v68, v52
	v_sub_f32_e32 v52, v63, v88
	v_mul_f32_e32 v52, 0x3fb8aa3b, v52
	v_exp_f32_e32 v69, v52
	global_load_dwordx4 v[62:65], v[50:51], off
	s_nop 0
	global_load_dwordx4 v[50:53], v[50:51], off offset:16
	v_sub_f32_e32 v82, v82, v88
	v_mul_f32_e32 v82, 0x3fb8aa3b, v82
	v_sub_f32_e32 v83, v83, v88
	v_exp_f32_e32 v82, v82
	v_mul_f32_e32 v83, 0x3fb8aa3b, v83
	v_sub_f32_e32 v70, v70, v88
	v_exp_f32_e32 v83, v83
	v_mul_f32_e32 v70, 0x3fb8aa3b, v70
	v_sub_f32_e32 v71, v71, v88
	v_cndmask_b32_e64 v68, 0, v68, s[28:29]
	v_exp_f32_e32 v70, v70
	v_mul_f32_e32 v71, 0x3fb8aa3b, v71
	v_sub_f32_e32 v84, v84, v88
	v_add_f32_e32 v91, 0, v68
	v_cndmask_b32_e64 v69, 0, v69, s[30:31]
	v_exp_f32_e32 v71, v71
	v_mul_f32_e32 v84, 0x3fb8aa3b, v84
	v_sub_f32_e32 v85, v85, v88
	v_add_f32_e32 v91, v91, v69
	;; [unrolled: 5-line block ×10, first 2 shown]
	v_cndmask_b32_e64 v80, 0, v80, s[10:11]
	v_exp_f32_e32 v66, v66
	v_mul_f32_e32 v67, 0x3fb8aa3b, v67
	v_add_f32_e32 v91, v91, v80
	v_cndmask_b32_e64 v81, 0, v81, s[12:13]
	v_exp_f32_e32 v67, v67
	v_add_f32_e32 v91, v91, v81
	v_cndmask_b32_e64 v72, 0, v72, s[6:7]
	v_add_f32_e32 v91, v91, v72
	v_cndmask_b32_e64 v73, 0, v73, s[8:9]
	v_add_f32_e32 v91, v91, v73
	v_cndmask_b32_e32 v66, 0, v66, vcc
	v_add_f32_e32 v91, v91, v66
	v_cndmask_b32_e64 v67, 0, v67, s[4:5]
	v_add_f32_e32 v91, v91, v67
	ds_bpermute_b32 v89, v89, v91
	v_cmp_gt_u32_e32 vcc, 16, v87
	s_waitcnt lgkmcnt(0)
	s_barrier
	v_add_f32_e32 v89, v91, v89
	ds_bpermute_b32 v90, v90, v89
	s_and_saveexec_b64 s[4:5], vcc
	s_cbranch_execz .LBB622_13
; %bb.12:
	s_waitcnt lgkmcnt(0)
	v_add_f32_e32 v87, v89, v90
	v_lshlrev_b32_e32 v75, 2, v75
	ds_write2st64_b32 v75, v88, v87 offset1:1
.LBB622_13:
	s_or_b64 exec, exec, s[4:5]
	v_lshlrev_b32_e32 v75, 2, v76
	s_load_dword s6, s[0:1], 0x94
	s_waitcnt lgkmcnt(0)
	s_barrier
	ds_read2_b32 v[88:89], v75 offset1:16
	ds_read2_b32 v[90:91], v75 offset0:32 offset1:48
	ds_read2_b32 v[92:93], v75 offset0:64 offset1:80
	;; [unrolled: 1-line block ×3, first 2 shown]
	s_movk_i32 s8, 0x7fff
	s_waitcnt lgkmcnt(3)
	v_max3_f32 v87, v88, s41, v89
	s_waitcnt lgkmcnt(2)
	v_max3_f32 v87, v87, v90, v91
	v_sub_f32_e32 v88, v88, v87
	v_mul_f32_e32 v88, 0x3fb8aa3b, v88
	v_exp_f32_e32 v1, v88
	v_sub_f32_e32 v88, v89, v87
	v_mul_f32_e32 v88, 0x3fb8aa3b, v88
	v_exp_f32_e32 v89, v88
	v_sub_f32_e32 v88, v90, v87
	v_mul_f32_e32 v88, 0x3fb8aa3b, v88
	v_sub_f32_e32 v75, v91, v87
	v_exp_f32_e32 v90, v88
	v_mul_f32_e32 v75, 0x3fb8aa3b, v75
	v_exp_f32_e32 v75, v75
	s_waitcnt lgkmcnt(1)
	v_fma_f32 v88, v1, v92, 0
	v_fmac_f32_e32 v88, v89, v93
	s_waitcnt lgkmcnt(0)
	v_fmac_f32_e32 v88, v90, v94
	v_fmac_f32_e32 v88, v75, v95
	v_add_f32_e32 v91, 0x358637bd, v88
	v_div_scale_f32 v92, s[4:5], v91, v91, 1.0
	v_rcp_f32_e32 v93, v92
	s_mov_b32 s9, 0x7060302
	s_barrier
	v_fma_f32 v94, -v92, v93, 1.0
	v_fmac_f32_e32 v93, v94, v93
	v_div_scale_f32 v94, vcc, 1.0, v91, 1.0
	v_mul_f32_e32 v95, v94, v93
	v_fma_f32 v86, -v92, v95, v94
	v_fmac_f32_e32 v95, v86, v93
	v_fma_f32 v86, -v92, v95, v94
	v_div_fmas_f32 v86, v86, v93, v95
	v_cmp_eq_u32_e32 vcc, 1, v77
	v_div_fixup_f32 v86, v86, v91, 1.0
	s_nop 0
	v_cndmask_b32_e32 v1, v1, v89, vcc
	v_cmp_eq_u32_e32 vcc, 2, v77
	s_mul_i32 s7, s27, 11
	s_nop 0
	v_cndmask_b32_e32 v1, v1, v90, vcc
	v_cmp_eq_u32_e32 vcc, 3, v77
	s_nop 1
	v_cndmask_b32_e32 v1, v1, v75, vcc
	v_mul_f32_e32 v90, v1, v86
	v_pk_mul_f32 v[68:69], v[90:91], v[68:69] op_sel_hi:[0,1]
	v_bfe_u32 v1, v69, 16, 1
	v_bfe_u32 v75, v68, 16, 1
	v_pk_mul_f32 v[82:83], v[90:91], v[82:83] op_sel_hi:[0,1]
	v_add3_u32 v68, v68, v75, s8
	v_add3_u32 v1, v69, v1, s8
	v_perm_b32 v92, v1, v68, s9
	v_bfe_u32 v1, v83, 16, 1
	v_bfe_u32 v68, v82, 16, 1
	v_add3_u32 v68, v82, v68, s8
	v_add3_u32 v1, v83, v1, s8
	v_bfe_u32 v86, v0, 4, 2
	v_perm_b32 v93, v1, v68, s9
	v_lshlrev_b32_e32 v1, 3, v86
	v_lshlrev_b32_e32 v68, 5, v76
	;; [unrolled: 1-line block ×3, first 2 shown]
	v_pk_mul_f32 v[70:71], v[90:91], v[70:71] op_sel_hi:[0,1]
	v_or3_b32 v75, v69, v68, v1
	v_bfe_u32 v1, v71, 16, 1
	v_bfe_u32 v69, v70, 16, 1
	v_pk_mul_f32 v[82:83], v[90:91], v[84:85] op_sel_hi:[0,1]
	v_add3_u32 v69, v70, v69, s8
	v_add3_u32 v1, v71, v1, s8
	v_perm_b32 v70, v1, v69, s9
	v_bfe_u32 v1, v83, 16, 1
	v_bfe_u32 v69, v82, 16, 1
	v_add3_u32 v69, v82, v69, s8
	v_add3_u32 v1, v83, v1, s8
	v_pk_mul_f32 v[78:79], v[90:91], v[78:79] op_sel_hi:[0,1]
	v_perm_b32 v71, v1, v69, s9
	v_bfe_u32 v1, v79, 16, 1
	v_bfe_u32 v69, v78, 16, 1
	ds_write2st64_b64 v75, v[92:93], v[70:71] offset1:1
	v_pk_mul_f32 v[70:71], v[90:91], v[80:81] op_sel_hi:[0,1]
	v_add3_u32 v69, v78, v69, s8
	v_add3_u32 v1, v79, v1, s8
	v_perm_b32 v78, v1, v69, s9
	v_bfe_u32 v1, v71, 16, 1
	v_bfe_u32 v69, v70, 16, 1
	v_add3_u32 v69, v70, v69, s8
	v_add3_u32 v1, v71, v1, s8
	v_pk_mul_f32 v[70:71], v[90:91], v[72:73] op_sel_hi:[0,1]
	v_perm_b32 v79, v1, v69, s9
	v_bfe_u32 v1, v71, 16, 1
	v_bfe_u32 v69, v70, 16, 1
	v_pk_mul_f32 v[66:67], v[90:91], v[66:67] op_sel_hi:[0,1]
	v_add3_u32 v69, v70, v69, s8
	v_add3_u32 v1, v71, v1, s8
	v_perm_b32 v70, v1, v69, s9
	v_bfe_u32 v1, v67, 16, 1
	v_bfe_u32 v69, v66, 16, 1
	v_add3_u32 v66, v66, v69, s8
	v_add3_u32 v1, v67, v1, s8
	v_perm_b32 v71, v1, v66, s9
	v_cmp_gt_u32_e32 vcc, 11, v0
	ds_write2st64_b64 v75, v[78:79], v[70:71] offset0:2 offset1:3
	s_and_saveexec_b64 s[4:5], vcc
	s_cbranch_execz .LBB622_15
; %bb.14:
	s_mov_b32 s41, 0
	v_mov_b32_e32 v77, 0
	v_lshl_add_u64 v[66:67], s[40:41], 0, v[76:77]
	v_mov_b32_e32 v1, s7
	v_mad_u64_u32 v[66:67], s[10:11], s2, v1, v[66:67]
	s_mul_i32 s3, s3, s7
	v_mov_b32_e32 v70, s26
	v_mov_b32_e32 v71, v77
	s_load_dwordx4 s[12:15], s[0:1], 0x58
	v_add_u32_e32 v1, s3, v67
	v_mad_u64_u32 v[66:67], s[10:11], v66, s6, v[70:71]
	v_mov_b32_e32 v70, v67
	v_mad_u64_u32 v[70:71], s[10:11], v1, s6, v[70:71]
	v_mov_b32_e32 v67, v70
	v_lshlrev_b64 v[66:67], 2, v[66:67]
	s_waitcnt lgkmcnt(0)
	v_lshl_add_u64 v[70:71], s[14:15], 0, v[66:67]
	v_lshl_add_u64 v[66:67], s[12:13], 0, v[66:67]
	global_store_dword v[70:71], v87, off
	global_store_dword v[66:67], v88, off
.LBB622_15:
	s_or_b64 exec, exec, s[4:5]
	v_lshl_or_b32 v1, v86, 9, v68
	s_waitcnt lgkmcnt(0)
	s_barrier
	ds_read_b128 v[70:73], v1
	ds_read_b128 v[66:69], v1 offset:16
	s_waitcnt vmcnt(15) lgkmcnt(1)
	v_mfma_f32_16x16x16_bf16 v[78:81], v[30:31], v[70:71], 0
	s_mov_b32 s3, 0
	v_cmp_gt_u32_e32 vcc, 64, v0
	v_mfma_f32_16x16x16_bf16 v[30:33], v[32:33], v[72:73], v[78:81]
	s_waitcnt vmcnt(14) lgkmcnt(0)
	v_mfma_f32_16x16x16_bf16 v[30:33], v[26:27], v[66:67], v[30:33]
	v_mfma_f32_16x16x16_bf16 v[26:29], v[28:29], v[68:69], v[30:33]
	s_nop 5
	ds_read_b128 v[30:33], v1 offset:2048
	ds_read_b128 v[78:81], v1 offset:2064
	s_waitcnt vmcnt(13) lgkmcnt(1)
	v_mfma_f32_16x16x16_bf16 v[26:29], v[22:23], v[30:31], v[26:29]
	v_mfma_f32_16x16x16_bf16 v[22:25], v[24:25], v[32:33], v[26:29]
	s_waitcnt vmcnt(12) lgkmcnt(0)
	v_mfma_f32_16x16x16_bf16 v[22:25], v[18:19], v[78:79], v[22:25]
	v_mfma_f32_16x16x16_bf16 v[18:21], v[20:21], v[80:81], v[22:25]
	s_nop 5
	ds_read_b128 v[22:25], v1 offset:4096
	ds_read_b128 v[26:29], v1 offset:4112
	s_waitcnt vmcnt(11) lgkmcnt(1)
	v_mfma_f32_16x16x16_bf16 v[18:21], v[14:15], v[22:23], v[18:21]
	v_mfma_f32_16x16x16_bf16 v[14:17], v[16:17], v[24:25], v[18:21]
	s_waitcnt vmcnt(10) lgkmcnt(0)
	v_mfma_f32_16x16x16_bf16 v[14:17], v[10:11], v[26:27], v[14:17]
	v_mfma_f32_16x16x16_bf16 v[10:13], v[12:13], v[28:29], v[14:17]
	s_nop 5
	ds_read_b128 v[14:17], v1 offset:6144
	ds_read_b128 v[18:21], v1 offset:6160
	s_waitcnt lgkmcnt(0)
	s_barrier
	s_waitcnt vmcnt(9)
	v_mfma_f32_16x16x16_bf16 v[10:13], v[6:7], v[14:15], v[10:13]
	v_mfma_f32_16x16x16_bf16 v[6:9], v[8:9], v[16:17], v[10:13]
	s_waitcnt vmcnt(8)
	v_mfma_f32_16x16x16_bf16 v[6:9], v[2:3], v[18:19], v[6:9]
	v_mfma_f32_16x16x16_bf16 v[2:5], v[4:5], v[20:21], v[6:9]
	s_waitcnt vmcnt(7)
	v_mfma_f32_16x16x16_bf16 v[6:9], v[46:47], v[70:71], 0
	v_mfma_f32_16x16x16_bf16 v[6:9], v[48:49], v[72:73], v[6:9]
	s_nop 3
	v_bfe_u32 v1, v3, 16, 1
	v_bfe_u32 v10, v2, 16, 1
	v_add3_u32 v2, v2, v10, s8
	s_waitcnt vmcnt(6)
	v_mfma_f32_16x16x16_bf16 v[6:9], v[38:39], v[66:67], v[6:9]
	v_add3_u32 v1, v3, v1, s8
	v_perm_b32 v10, v1, v2, s9
	v_bfe_u32 v1, v5, 16, 1
	v_mfma_f32_16x16x16_bf16 v[6:9], v[40:41], v[68:69], v[6:9]
	v_bfe_u32 v2, v4, 16, 1
	v_add3_u32 v2, v4, v2, s8
	v_add3_u32 v1, v5, v1, s8
	s_waitcnt vmcnt(5)
	v_mfma_f32_16x16x16_bf16 v[6:9], v[42:43], v[30:31], v[6:9]
	v_perm_b32 v11, v1, v2, s9
	v_mfma_f32_16x16x16_bf16 v[6:9], v[44:45], v[32:33], v[6:9]
	s_waitcnt vmcnt(4)
	v_mfma_f32_16x16x16_bf16 v[6:9], v[34:35], v[78:79], v[6:9]
	v_mfma_f32_16x16x16_bf16 v[6:9], v[36:37], v[80:81], v[6:9]
	s_waitcnt vmcnt(3)
	v_mfma_f32_16x16x16_bf16 v[6:9], v[58:59], v[22:23], v[6:9]
	;; [unrolled: 3-line block ×5, first 2 shown]
	v_mfma_f32_16x16x16_bf16 v[2:5], v[52:53], v[20:21], v[6:9]
	s_nop 6
	v_bfe_u32 v1, v3, 16, 1
	v_bfe_u32 v6, v2, 16, 1
	v_add3_u32 v2, v2, v6, s8
	v_add3_u32 v1, v3, v1, s8
	v_perm_b32 v2, v1, v2, s9
	v_bfe_u32 v1, v5, 16, 1
	v_bfe_u32 v3, v4, 16, 1
	v_add3_u32 v3, v4, v3, s8
	v_add3_u32 v1, v5, v1, s8
	v_perm_b32 v3, v1, v3, s9
	ds_write2st64_b64 v75, v[10:11], v[2:3] offset1:1
	s_waitcnt lgkmcnt(0)
	s_barrier
	s_and_saveexec_b64 s[4:5], vcc
	s_cbranch_execz .LBB622_18
; %bb.16:
	s_load_dwordx2 s[4:5], s[0:1], 0x68
	s_lshl_b32 s0, s6, 7
	s_mul_i32 s1, s7, s2
	v_lshlrev_b32_e32 v3, 6, v76
	s_mul_hi_u32 s7, s1, s0
	s_mul_i32 s6, s1, s0
	v_lshlrev_b32_e32 v2, 4, v0
	v_lshl_or_b32 v0, v0, 10, v3
	s_lshl_b64 s[6:7], s[6:7], 1
	v_lshlrev_b32_e32 v1, 5, v86
	v_and_b32_e32 v2, 16, v2
	v_and_b32_e32 v0, 0x1a00, v0
	s_waitcnt lgkmcnt(0)
	s_add_u32 s1, s4, s6
	v_or3_b32 v2, v0, v1, v2
	s_addc_u32 s4, s5, s7
	s_lshl_b32 s2, s26, 7
	s_lshl_b64 s[2:3], s[2:3], 1
	ds_read_b128 v[4:7], v2 offset:128
	ds_read_b128 v[8:11], v2
	s_add_u32 s2, s1, s2
	s_addc_u32 s3, s4, s3
	v_mov_b32_e32 v75, 0
	v_add_u32_e32 v3, s40, v86
	v_lshl_add_u64 v[0:1], s[2:3], 0, v[74:75]
	v_mad_u64_u32 v[12:13], s[2:3], v3, s0, 0
	v_lshl_add_u64 v[12:13], v[12:13], 1, v[0:1]
	v_add_u32_e32 v3, 4, v3
	s_waitcnt lgkmcnt(0)
	global_store_dwordx4 v[12:13], v[8:11], off
	v_cmp_ne_u32_e32 vcc, 3, v86
	s_nop 0
	v_mad_u64_u32 v[8:9], s[2:3], v3, s0, 0
	v_lshl_add_u64 v[8:9], v[8:9], 1, v[0:1]
	global_store_dwordx4 v[8:9], v[4:7], off
	s_and_b64 exec, exec, vcc
	s_cbranch_execz .LBB622_18
; %bb.17:
	ds_read_b128 v[2:5], v2 offset:256
	v_add3_u32 v6, s40, v86, 8
	v_mad_u64_u32 v[6:7], s[0:1], v6, s0, 0
	v_lshl_add_u64 v[0:1], v[6:7], 1, v[0:1]
	s_waitcnt lgkmcnt(0)
	global_store_dwordx4 v[0:1], v[2:5], off
.LBB622_18:
	s_endpgm
	.section	.rodata,"a",@progbits
	.p2align	6, 0x0
	.amdhsa_kernel _Z39paged_attention_ll4mi_QKV_mfma16_kernelI14__hip_bfloat16S0_LN4vllm18Fp8KVCacheDataTypeE0EhLi16ELi128ELi256ELb0ELi11EEvPKT_PKT0_S8_ifPKiSA_SA_iPKfiiiPfSD_PS3_PT2_iSC_SC_
		.amdhsa_group_segment_fixed_size 8192
		.amdhsa_private_segment_fixed_size 0
		.amdhsa_kernarg_size 400
		.amdhsa_user_sgpr_count 2
		.amdhsa_user_sgpr_dispatch_ptr 0
		.amdhsa_user_sgpr_queue_ptr 0
		.amdhsa_user_sgpr_kernarg_segment_ptr 1
		.amdhsa_user_sgpr_dispatch_id 0
		.amdhsa_user_sgpr_kernarg_preload_length 0
		.amdhsa_user_sgpr_kernarg_preload_offset 0
		.amdhsa_user_sgpr_private_segment_size 0
		.amdhsa_uses_dynamic_stack 0
		.amdhsa_enable_private_segment 0
		.amdhsa_system_sgpr_workgroup_id_x 1
		.amdhsa_system_sgpr_workgroup_id_y 1
		.amdhsa_system_sgpr_workgroup_id_z 1
		.amdhsa_system_sgpr_workgroup_info 0
		.amdhsa_system_vgpr_workitem_id 0
		.amdhsa_next_free_vgpr 96
		.amdhsa_next_free_sgpr 42
		.amdhsa_accum_offset 96
		.amdhsa_reserve_vcc 1
		.amdhsa_float_round_mode_32 0
		.amdhsa_float_round_mode_16_64 0
		.amdhsa_float_denorm_mode_32 3
		.amdhsa_float_denorm_mode_16_64 3
		.amdhsa_dx10_clamp 1
		.amdhsa_ieee_mode 1
		.amdhsa_fp16_overflow 0
		.amdhsa_tg_split 0
		.amdhsa_exception_fp_ieee_invalid_op 0
		.amdhsa_exception_fp_denorm_src 0
		.amdhsa_exception_fp_ieee_div_zero 0
		.amdhsa_exception_fp_ieee_overflow 0
		.amdhsa_exception_fp_ieee_underflow 0
		.amdhsa_exception_fp_ieee_inexact 0
		.amdhsa_exception_int_div_zero 0
	.end_amdhsa_kernel
	.section	.text._Z39paged_attention_ll4mi_QKV_mfma16_kernelI14__hip_bfloat16S0_LN4vllm18Fp8KVCacheDataTypeE0EhLi16ELi128ELi256ELb0ELi11EEvPKT_PKT0_S8_ifPKiSA_SA_iPKfiiiPfSD_PS3_PT2_iSC_SC_,"axG",@progbits,_Z39paged_attention_ll4mi_QKV_mfma16_kernelI14__hip_bfloat16S0_LN4vllm18Fp8KVCacheDataTypeE0EhLi16ELi128ELi256ELb0ELi11EEvPKT_PKT0_S8_ifPKiSA_SA_iPKfiiiPfSD_PS3_PT2_iSC_SC_,comdat
.Lfunc_end622:
	.size	_Z39paged_attention_ll4mi_QKV_mfma16_kernelI14__hip_bfloat16S0_LN4vllm18Fp8KVCacheDataTypeE0EhLi16ELi128ELi256ELb0ELi11EEvPKT_PKT0_S8_ifPKiSA_SA_iPKfiiiPfSD_PS3_PT2_iSC_SC_, .Lfunc_end622-_Z39paged_attention_ll4mi_QKV_mfma16_kernelI14__hip_bfloat16S0_LN4vllm18Fp8KVCacheDataTypeE0EhLi16ELi128ELi256ELb0ELi11EEvPKT_PKT0_S8_ifPKiSA_SA_iPKfiiiPfSD_PS3_PT2_iSC_SC_
                                        ; -- End function
	.section	.AMDGPU.csdata,"",@progbits
; Kernel info:
; codeLenInByte = 4728
; NumSgprs: 48
; NumVgprs: 96
; NumAgprs: 0
; TotalNumVgprs: 96
; ScratchSize: 0
; MemoryBound: 0
; FloatMode: 240
; IeeeMode: 1
; LDSByteSize: 8192 bytes/workgroup (compile time only)
; SGPRBlocks: 5
; VGPRBlocks: 11
; NumSGPRsForWavesPerEU: 48
; NumVGPRsForWavesPerEU: 96
; AccumOffset: 96
; Occupancy: 5
; WaveLimiterHint : 1
; COMPUTE_PGM_RSRC2:SCRATCH_EN: 0
; COMPUTE_PGM_RSRC2:USER_SGPR: 2
; COMPUTE_PGM_RSRC2:TRAP_HANDLER: 0
; COMPUTE_PGM_RSRC2:TGID_X_EN: 1
; COMPUTE_PGM_RSRC2:TGID_Y_EN: 1
; COMPUTE_PGM_RSRC2:TGID_Z_EN: 1
; COMPUTE_PGM_RSRC2:TIDIG_COMP_CNT: 0
; COMPUTE_PGM_RSRC3_GFX90A:ACCUM_OFFSET: 23
; COMPUTE_PGM_RSRC3_GFX90A:TG_SPLIT: 0
	.section	.text._Z39paged_attention_ll4mi_QKV_mfma16_kernelI14__hip_bfloat16S0_LN4vllm18Fp8KVCacheDataTypeE0EhLi16ELi128ELi256ELb0ELi12EEvPKT_PKT0_S8_ifPKiSA_SA_iPKfiiiPfSD_PS3_PT2_iSC_SC_,"axG",@progbits,_Z39paged_attention_ll4mi_QKV_mfma16_kernelI14__hip_bfloat16S0_LN4vllm18Fp8KVCacheDataTypeE0EhLi16ELi128ELi256ELb0ELi12EEvPKT_PKT0_S8_ifPKiSA_SA_iPKfiiiPfSD_PS3_PT2_iSC_SC_,comdat
	.protected	_Z39paged_attention_ll4mi_QKV_mfma16_kernelI14__hip_bfloat16S0_LN4vllm18Fp8KVCacheDataTypeE0EhLi16ELi128ELi256ELb0ELi12EEvPKT_PKT0_S8_ifPKiSA_SA_iPKfiiiPfSD_PS3_PT2_iSC_SC_ ; -- Begin function _Z39paged_attention_ll4mi_QKV_mfma16_kernelI14__hip_bfloat16S0_LN4vllm18Fp8KVCacheDataTypeE0EhLi16ELi128ELi256ELb0ELi12EEvPKT_PKT0_S8_ifPKiSA_SA_iPKfiiiPfSD_PS3_PT2_iSC_SC_
	.globl	_Z39paged_attention_ll4mi_QKV_mfma16_kernelI14__hip_bfloat16S0_LN4vllm18Fp8KVCacheDataTypeE0EhLi16ELi128ELi256ELb0ELi12EEvPKT_PKT0_S8_ifPKiSA_SA_iPKfiiiPfSD_PS3_PT2_iSC_SC_
	.p2align	8
	.type	_Z39paged_attention_ll4mi_QKV_mfma16_kernelI14__hip_bfloat16S0_LN4vllm18Fp8KVCacheDataTypeE0EhLi16ELi128ELi256ELb0ELi12EEvPKT_PKT0_S8_ifPKiSA_SA_iPKfiiiPfSD_PS3_PT2_iSC_SC_,@function
_Z39paged_attention_ll4mi_QKV_mfma16_kernelI14__hip_bfloat16S0_LN4vllm18Fp8KVCacheDataTypeE0EhLi16ELi128ELi256ELb0ELi12EEvPKT_PKT0_S8_ifPKiSA_SA_iPKfiiiPfSD_PS3_PT2_iSC_SC_: ; @_Z39paged_attention_ll4mi_QKV_mfma16_kernelI14__hip_bfloat16S0_LN4vllm18Fp8KVCacheDataTypeE0EhLi16ELi128ELi256ELb0ELi12EEvPKT_PKT0_S8_ifPKiSA_SA_iPKfiiiPfSD_PS3_PT2_iSC_SC_
; %bb.0:
	s_load_dwordx2 s[8:9], s[0:1], 0x30
	s_mov_b32 s26, s3
	s_mov_b64 s[6:7], 0
	s_waitcnt lgkmcnt(0)
	s_cmp_lg_u64 s[8:9], 0
	s_cselect_b64 s[10:11], -1, 0
	s_and_b64 vcc, exec, s[10:11]
	s_cbranch_vccz .LBB623_7
; %bb.1:
	s_add_i32 s12, s2, 1
	s_mov_b32 s13, 0
	s_lshl_b64 s[14:15], s[12:13], 2
	s_add_u32 s14, s8, s14
	s_mov_b32 s3, s13
	s_addc_u32 s15, s9, s15
	s_lshl_b64 s[12:13], s[2:3], 2
	s_add_u32 s12, s8, s12
	s_addc_u32 s13, s9, s13
	s_load_dword s5, s[14:15], 0x0
	s_load_dword s16, s[12:13], 0x0
	s_waitcnt lgkmcnt(0)
	s_sub_i32 s5, s5, s16
	s_cmp_eq_u32 s5, 1
	s_cselect_b64 s[12:13], -1, 0
	s_andn2_b64 vcc, exec, s[6:7]
	s_cbranch_vccnz .LBB623_3
.LBB623_2:
	s_mov_b32 s3, 0
	s_mov_b64 s[12:13], -1
.LBB623_3:
	s_andn2_b64 vcc, exec, s[12:13]
	s_cbranch_vccnz .LBB623_17
; %bb.4:
	s_load_dwordx2 s[6:7], s[0:1], 0x28
	s_lshl_b64 s[16:17], s[2:3], 2
	s_waitcnt lgkmcnt(0)
	s_add_u32 s6, s6, s16
	s_addc_u32 s7, s7, s17
	s_load_dword s33, s[6:7], 0x0
	s_lshl_b32 s18, s26, 8
	s_waitcnt lgkmcnt(0)
	s_cmp_ge_i32 s18, s33
	s_cbranch_scc1 .LBB623_17
; %bb.5:
	s_load_dwordx2 s[6:7], s[0:1], 0x20
	s_load_dword s5, s[0:1], 0x38
	s_add_i32 s12, s33, 15
	s_ashr_i32 s13, s12, 31
	v_and_b32_e32 v1, 0xcf, v0
	s_lshr_b32 s13, s13, 28
	v_add_u32_e32 v1, s18, v1
	s_add_i32 s12, s12, s13
	v_ashrrev_i32_e32 v2, 31, v1
	s_ashr_i32 s19, s12, 4
	v_lshrrev_b32_e32 v4, 28, v2
	s_add_i32 s19, s19, -1
	s_waitcnt lgkmcnt(0)
	s_mul_i32 s12, s2, s5
	s_mov_b32 s13, 0
	v_add_u32_e32 v2, v1, v4
	s_lshl_b64 s[12:13], s[12:13], 2
	v_ashrrev_i32_e32 v2, 4, v2
	v_mov_b32_e32 v5, s19
	v_cmp_gt_i32_e32 vcc, s33, v1
	s_add_u32 s6, s6, s12
	s_addc_u32 s7, s7, s13
	v_cndmask_b32_e32 v2, v5, v2, vcc
	v_ashrrev_i32_e32 v3, 31, v2
	v_lshl_add_u64 v[6:7], v[2:3], 2, s[6:7]
	v_or_b32_e32 v2, 16, v1
	v_add_u32_e32 v3, v2, v4
	v_ashrrev_i32_e32 v3, 4, v3
	v_cmp_gt_i32_e32 vcc, s33, v2
	s_load_dwordx4 s[12:15], s[0:1], 0x8
	s_nop 0
	v_cndmask_b32_e32 v2, v5, v3, vcc
	v_ashrrev_i32_e32 v3, 31, v2
	v_lshl_add_u64 v[8:9], v[2:3], 2, s[6:7]
	v_or_b32_e32 v2, 32, v1
	v_add_u32_e32 v3, v2, v4
	v_ashrrev_i32_e32 v3, 4, v3
	v_cmp_gt_i32_e32 vcc, s33, v2
	v_or_b32_e32 v1, 48, v1
	s_nop 0
	v_cndmask_b32_e32 v2, v5, v3, vcc
	v_ashrrev_i32_e32 v3, 31, v2
	v_lshl_add_u64 v[10:11], v[2:3], 2, s[6:7]
	v_add_u32_e32 v2, v1, v4
	v_ashrrev_i32_e32 v2, 4, v2
	v_cmp_gt_i32_e32 vcc, s33, v1
	s_nop 1
	v_cndmask_b32_e32 v2, v5, v2, vcc
	v_ashrrev_i32_e32 v3, 31, v2
	v_lshl_add_u64 v[12:13], v[2:3], 2, s[6:7]
	global_load_dword v4, v[6:7], off
	global_load_dword v3, v[8:9], off
	;; [unrolled: 1-line block ×4, first 2 shown]
	s_andn2_b64 vcc, exec, s[10:11]
	s_cbranch_vccnz .LBB623_8
; %bb.6:
	s_add_u32 s8, s8, s16
	s_addc_u32 s9, s9, s17
	s_load_dword s5, s[8:9], 0x0
	s_branch .LBB623_9
.LBB623_7:
	s_mov_b64 s[12:13], 0
	s_branch .LBB623_2
.LBB623_8:
	s_mov_b32 s5, s2
.LBB623_9:
	s_load_dwordx4 s[8:11], s[0:1], 0x48
	v_and_b32_e32 v76, 15, v0
	v_lshlrev_b32_e32 v5, 3, v76
	s_waitcnt lgkmcnt(0)
	s_movk_i32 s11, 0xc0
	v_lshrrev_b32_e32 v77, 6, v0
	v_and_b32_e32 v86, 63, v0
	v_bfe_u32 v1, v0, 4, 2
	s_mul_i32 s40, s4, 12
	v_cmp_gt_u32_e32 vcc, s11, v0
	v_lshlrev_b32_e32 v6, 1, v5
	scratch_store_dwordx2 off, v[6:7], off  ; 8-byte Folded Spill
	s_and_saveexec_b64 s[16:17], vcc
	s_cbranch_execz .LBB623_11
; %bb.10:
	scratch_load_dwordx2 v[8:9], off, off   ; 8-byte Folded Reload
	s_load_dwordx2 s[20:21], s[0:1], 0x0
	s_ashr_i32 s11, s8, 31
	s_mul_hi_u32 s22, s5, s8
	s_mul_i32 s11, s5, s11
	s_add_i32 s23, s22, s11
	s_mul_i32 s22, s5, s8
	v_lshl_or_b32 v5, v77, 2, v1
	s_lshl_b64 s[22:23], s[22:23], 1
	s_waitcnt lgkmcnt(0)
	s_add_u32 s20, s20, s22
	v_add_lshl_u32 v6, v5, s40, 7
	s_addc_u32 s21, s21, s23
	v_ashrrev_i32_e32 v7, 31, v6
	v_lshl_add_u64 v[6:7], v[6:7], 1, s[20:21]
	v_mov_b32_e32 v11, 0
	v_lshlrev_b32_e32 v5, 5, v5
	s_waitcnt vmcnt(0)
	v_mov_b32_e32 v10, v8
	v_lshl_add_u64 v[6:7], v[6:7], 0, v[10:11]
	scratch_store_dwordx2 off, v[8:9], off  ; 8-byte Folded Spill
	global_load_dwordx4 v[6:9], v[6:7], off
	v_and_b32_e32 v10, 3, v0
	v_lshlrev_b32_e32 v11, 9, v76
	v_lshlrev_b32_e32 v10, 9, v10
	v_and_b32_e32 v11, 0x1800, v11
	v_or3_b32 v5, v11, v10, v5
	s_waitcnt vmcnt(0)
	ds_write_b128 v5, v[6:9]
.LBB623_11:
	s_or_b64 exec, exec, s[16:17]
	s_mul_i32 s4, s4, s10
	s_mov_b32 s5, 0
	s_lshl_b64 s[4:5], s[4:5], 1
	s_add_u32 s10, s12, s4
	v_lshlrev_b32_e32 v6, 4, v0
	s_addc_u32 s11, s13, s5
	v_and_b32_e32 v34, 0xf0, v6
	v_mov_b32_e32 v35, 0
	v_lshl_add_u64 v[30:31], s[10:11], 0, v[34:35]
	s_waitcnt vmcnt(4)
	v_mad_i64_i32 v[4:5], s[10:11], v4, s9, 0
	v_lshl_add_u64 v[4:5], v[4:5], 1, v[30:31]
	v_and_b32_e32 v34, 0x300, v6
	v_lshl_add_u64 v[32:33], v[4:5], 0, v[34:35]
	s_load_dword s27, s[0:1], 0x98
	s_load_dword s8, s[0:1], 0x1c
	s_waitcnt lgkmcnt(0)
	s_barrier
	global_load_dwordx4 v[6:9], v[32:33], off
	global_load_dwordx4 v[18:21], v[32:33], off offset:1024
	s_waitcnt vmcnt(5)
	v_mad_i64_i32 v[4:5], s[10:11], v3, s9, 0
	s_waitcnt vmcnt(4)
	v_mad_i64_i32 v[2:3], s[10:11], v2, s9, 0
	v_lshl_add_u64 v[4:5], v[4:5], 1, v[30:31]
	v_lshl_add_u64 v[2:3], v[2:3], 1, v[30:31]
	v_lshl_add_u64 v[36:37], v[4:5], 0, v[34:35]
	v_lshl_add_u64 v[38:39], v[2:3], 0, v[34:35]
	global_load_dwordx4 v[14:17], v[36:37], off
	global_load_dwordx4 v[22:25], v[36:37], off offset:1024
	global_load_dwordx4 v[26:29], v[38:39], off
	global_load_dwordx4 v[46:49], v[38:39], off offset:1024
	v_add_u32_e32 v2, -12, v76
	v_cmp_gt_u32_e32 vcc, 12, v76
	global_load_dwordx4 v[54:57], v[32:33], off offset:2048
	global_load_dwordx4 v[62:65], v[36:37], off offset:2048
	v_cndmask_b32_e32 v2, v2, v76, vcc
	v_lshlrev_b32_e32 v2, 5, v2
	v_lshl_add_u32 v41, v1, 9, v2
	ds_read_b128 v[10:13], v41
	ds_read_b128 v[2:5], v41 offset:2048
	v_mov_b32_e32 v70, s19
	v_lshl_or_b32 v87, v77, 4, v76
	s_add_u32 s4, s14, s4
	s_addc_u32 s5, s15, s5
	s_mov_b32 s41, 0xff7fffff
	v_mov_b32_e32 v74, v1
	s_waitcnt vmcnt(7) lgkmcnt(1)
	v_mfma_f32_16x16x16_bf16 v[42:45], v[6:7], v[10:11], 0
	v_mfma_f32_16x16x16_bf16 v[6:9], v[8:9], v[12:13], v[42:45]
	s_nop 5
	global_load_dwordx4 v[42:45], v[38:39], off offset:2048
	s_waitcnt vmcnt(6)
	v_mfma_f32_16x16x16_bf16 v[50:53], v[14:15], v[10:11], 0
	s_waitcnt vmcnt(4)
	v_mfma_f32_16x16x16_bf16 v[58:61], v[26:27], v[10:11], 0
	v_mfma_f32_16x16x16_bf16 v[14:17], v[16:17], v[12:13], v[50:53]
	;; [unrolled: 1-line block ×3, first 2 shown]
	s_nop 2
	global_load_dwordx4 v[50:53], v[32:33], off offset:3072
	v_mad_i64_i32 v[32:33], s[10:11], v40, s9, 0
	s_waitcnt lgkmcnt(0)
	v_mfma_f32_16x16x16_bf16 v[6:9], v[18:19], v[2:3], v[6:9]
	v_and_or_b32 v40, v0, 48, s18
	v_ashrrev_i32_e32 v58, 4, v40
	v_cmp_gt_i32_e32 vcc, s33, v40
	v_mfma_f32_16x16x16_bf16 v[14:17], v[22:23], v[2:3], v[14:17]
	v_or_b32_e32 v66, 64, v40
	v_cndmask_b32_e32 v22, v70, v58, vcc
	v_ashrrev_i32_e32 v23, 31, v22
	s_waitcnt vmcnt(4)
	v_mfma_f32_16x16x16_bf16 v[26:29], v[46:47], v[2:3], v[26:29]
	v_or_b32_e32 v71, 0x80, v40
	v_or_b32_e32 v72, 0xc0, v40
	v_ashrrev_i32_e32 v40, 4, v66
	v_mfma_f32_16x16x16_bf16 v[6:9], v[20:21], v[4:5], v[6:9]
	global_load_dwordx4 v[18:21], v[38:39], off offset:3072
	v_cmp_gt_i32_e32 vcc, s33, v66
	v_lshl_add_u64 v[22:23], v[22:23], 2, s[6:7]
	global_load_dwordx4 v[58:61], v[36:37], off offset:3072
	v_cndmask_b32_e32 v36, v70, v40, vcc
	v_mfma_f32_16x16x16_bf16 v[14:17], v[24:25], v[4:5], v[14:17]
	global_load_dword v79, v[22:23], off
	ds_read_b128 v[66:69], v41 offset:4096
	v_ashrrev_i32_e32 v37, 31, v36
	v_mfma_f32_16x16x16_bf16 v[22:25], v[48:49], v[4:5], v[26:29]
	v_ashrrev_i32_e32 v73, 4, v71
	v_cmp_gt_i32_e32 vcc, s33, v71
	v_ashrrev_i32_e32 v78, 4, v72
	v_lshl_add_u64 v[26:27], v[32:33], 1, v[30:31]
	v_lshl_add_u64 v[26:27], v[26:27], 0, v[34:35]
	;; [unrolled: 1-line block ×3, first 2 shown]
	global_load_dwordx4 v[46:49], v[26:27], off
	global_load_dword v36, v[28:29], off
	s_waitcnt vmcnt(8) lgkmcnt(0)
	v_mfma_f32_16x16x16_bf16 v[6:9], v[54:55], v[66:67], v[6:9]
	v_cndmask_b32_e32 v28, v70, v73, vcc
	v_ashrrev_i32_e32 v29, 31, v28
	v_lshl_add_u64 v[28:29], v[28:29], 2, s[6:7]
	v_mfma_f32_16x16x16_bf16 v[6:9], v[56:57], v[68:69], v[6:9]
	global_load_dwordx4 v[54:57], v[26:27], off offset:1024
	v_cmp_gt_i32_e32 vcc, s33, v72
	global_load_dword v84, v[28:29], off
	s_waitcnt vmcnt(9)
	v_mfma_f32_16x16x16_bf16 v[14:17], v[62:63], v[66:67], v[14:17]
	v_cndmask_b32_e32 v28, v70, v78, vcc
	v_ashrrev_i32_e32 v29, 31, v28
	v_lshl_add_u64 v[28:29], v[28:29], 2, s[6:7]
	v_mfma_f32_16x16x16_bf16 v[14:17], v[64:65], v[68:69], v[14:17]
	global_load_dword v64, v[28:29], off
	ds_read_b128 v[38:41], v41 offset:6144
	v_lshlrev_b32_e32 v34, 5, v87
	v_lshl_add_u64 v[62:63], s[4:5], 0, v[34:35]
	v_or_b32_e32 v34, 0x800, v34
	s_waitcnt vmcnt(9)
	v_mfma_f32_16x16x16_bf16 v[22:25], v[42:43], v[66:67], v[22:25]
	global_load_dwordx4 v[70:73], v[26:27], off offset:3072
	v_mfma_f32_16x16x16_bf16 v[22:25], v[44:45], v[68:69], v[22:25]
	global_load_dwordx4 v[42:45], v[26:27], off offset:2048
	s_waitcnt vmcnt(10) lgkmcnt(0)
	v_mfma_f32_16x16x16_bf16 v[6:9], v[50:51], v[38:39], v[6:9]
	s_waitcnt vmcnt(9)
	v_mfma_f32_16x16x16_bf16 v[22:25], v[18:19], v[38:39], v[22:25]
	s_waitcnt vmcnt(7)
	v_mad_i64_i32 v[18:19], s[6:7], v79, s9, 0
	v_lshlrev_b64 v[82:83], 1, v[18:19]
	v_mfma_f32_16x16x16_bf16 v[78:81], v[52:53], v[40:41], v[6:9]
	s_nop 2
	v_lshl_add_u64 v[6:7], v[62:63], 0, v[82:83]
	global_load_dwordx4 v[30:33], v[6:7], off
	global_load_dwordx4 v[26:29], v[6:7], off offset:16
	v_mfma_f32_16x16x16_bf16 v[88:91], v[20:21], v[40:41], v[22:25]
	s_waitcnt vmcnt(7)
	v_mad_i64_i32 v[6:7], s[6:7], v36, s9, 0
	v_lshlrev_b64 v[36:37], 1, v[6:7]
	v_lshl_add_u64 v[6:7], v[62:63], 0, v[36:37]
	global_load_dwordx4 v[22:25], v[6:7], off
	global_load_dwordx4 v[18:21], v[6:7], off offset:16
	v_mfma_f32_16x16x16_bf16 v[6:9], v[46:47], v[10:11], 0
	s_waitcnt vmcnt(7)
	v_mad_i64_i32 v[10:11], s[6:7], v84, s9, 0
	v_mfma_f32_16x16x16_bf16 v[6:9], v[48:49], v[12:13], v[6:9]
	v_lshlrev_b64 v[50:51], 1, v[10:11]
	v_lshl_add_u64 v[10:11], v[62:63], 0, v[50:51]
	v_mfma_f32_16x16x16_bf16 v[6:9], v[54:55], v[2:3], v[6:9]
	s_waitcnt vmcnt(6)
	v_mad_i64_i32 v[2:3], s[6:7], v64, s9, 0
	v_lshlrev_b64 v[52:53], 1, v[2:3]
	v_mfma_f32_16x16x16_bf16 v[46:49], v[56:57], v[4:5], v[6:9]
	v_lshl_add_u64 v[2:3], v[62:63], 0, v[52:53]
	v_pk_mul_f32 v[62:63], s[8:9], v[78:79] op_sel_hi:[0,1]
	v_lshl_add_u64 v[64:65], s[4:5], 0, v[34:35]
	v_mfma_f32_16x16x16_bf16 v[14:17], v[58:59], v[38:39], v[14:17]
	v_lshl_add_u64 v[34:35], v[64:65], 0, v[82:83]
	v_pk_mul_f32 v[82:83], s[8:9], v[80:81] op_sel_hi:[0,1]
	v_pk_mul_f32 v[78:79], s[8:9], v[88:89] op_sel_hi:[0,1]
	v_mfma_f32_16x16x16_bf16 v[58:61], v[60:61], v[40:41], v[14:17]
	v_pk_mul_f32 v[80:81], s[8:9], v[90:91] op_sel_hi:[0,1]
	s_nop 1
	global_load_dwordx4 v[14:17], v[10:11], off
	s_nop 0
	global_load_dwordx4 v[10:13], v[10:11], off offset:16
	s_nop 0
	global_load_dwordx4 v[6:9], v[2:3], off
	s_nop 0
	global_load_dwordx4 v[2:5], v[2:3], off offset:16
	s_waitcnt vmcnt(8)
	v_mfma_f32_16x16x16_bf16 v[46:49], v[42:43], v[66:67], v[46:49]
	v_pk_mul_f32 v[84:85], s[8:9], v[60:61] op_sel_hi:[0,1]
	v_lshl_add_u64 v[50:51], v[64:65], 0, v[50:51]
	v_mfma_f32_16x16x16_bf16 v[42:45], v[44:45], v[68:69], v[46:49]
	v_mfma_f32_16x16x16_bf16 v[42:45], v[70:71], v[38:39], v[42:45]
	v_pk_mul_f32 v[70:71], s[8:9], v[58:59] op_sel_hi:[0,1]
	v_mfma_f32_16x16x16_bf16 v[38:41], v[72:73], v[40:41], v[42:45]
	s_nop 6
	v_pk_mul_f32 v[72:73], s[8:9], v[38:39] op_sel_hi:[0,1]
	v_and_b32_e32 v38, 0xc0, v0
	v_add_u32_e32 v38, s18, v38
	v_lshl_or_b32 v38, v1, 2, v38
	v_pk_mul_f32 v[66:67], s[8:9], v[40:41] op_sel_hi:[0,1]
	v_or_b32_e32 v41, 1, v38
	v_mov_b32_e32 v39, 0xff7fffff
	v_cmp_gt_i32_e64 s[28:29], s33, v38
	v_cmp_gt_i32_e64 s[30:31], s33, v41
	v_or_b32_e32 v42, 3, v38
	v_cndmask_b32_e64 v40, v39, v62, s[28:29]
	v_cndmask_b32_e64 v41, v39, v63, s[30:31]
	v_max3_f32 v40, v40, s41, v41
	v_or_b32_e32 v41, 2, v38
	v_cmp_gt_i32_e64 s[34:35], s33, v41
	v_cmp_gt_i32_e64 s[36:37], s33, v42
	s_nop 0
	v_cndmask_b32_e64 v41, v39, v82, s[34:35]
	v_cndmask_b32_e64 v42, v39, v83, s[36:37]
	v_max3_f32 v40, v40, v41, v42
	v_or_b32_e32 v41, 16, v38
	v_or_b32_e32 v42, 17, v38
	v_cmp_gt_i32_e64 s[22:23], s33, v41
	v_cmp_gt_i32_e64 s[24:25], s33, v42
	s_nop 0
	v_cndmask_b32_e64 v41, v39, v70, s[22:23]
	v_cndmask_b32_e64 v42, v39, v71, s[24:25]
	v_max3_f32 v40, v40, v41, v42
	v_or_b32_e32 v41, 18, v38
	;; [unrolled: 8-line block ×6, first 2 shown]
	v_or_b32_e32 v38, 51, v38
	v_cmp_gt_i32_e32 vcc, s33, v41
	v_cmp_gt_i32_e64 s[4:5], s33, v38
	s_nop 0
	v_cndmask_b32_e32 v41, v39, v66, vcc
	v_cndmask_b32_e64 v38, v39, v67, s[4:5]
	v_max3_f32 v54, v40, v41, v38
	v_mbcnt_lo_u32_b32 v38, -1, 0
	v_mbcnt_hi_u32_b32 v55, -1, v38
	v_and_b32_e32 v38, 64, v55
	v_add_u32_e32 v56, 64, v38
	v_xor_b32_e32 v38, 32, v55
	v_cmp_lt_i32_e64 s[38:39], v38, v56
	s_nop 1
	v_cndmask_b32_e64 v38, v55, v38, s[38:39]
	v_lshlrev_b32_e32 v89, 2, v38
	ds_bpermute_b32 v57, v89, v54
	global_load_dwordx4 v[46:49], v[34:35], off
	global_load_dwordx4 v[38:41], v[34:35], off offset:16
	v_lshl_add_u64 v[34:35], v[64:65], 0, v[36:37]
	global_load_dwordx4 v[42:45], v[34:35], off
	s_nop 0
	global_load_dwordx4 v[34:37], v[34:35], off offset:16
	s_waitcnt lgkmcnt(0)
	v_max_f32_e32 v57, v57, v57
	v_max_f32_e32 v68, v54, v57
	v_xor_b32_e32 v54, 16, v55
	v_cmp_lt_i32_e64 s[38:39], v54, v56
	s_nop 1
	v_cndmask_b32_e64 v54, v55, v54, s[38:39]
	v_lshlrev_b32_e32 v90, 2, v54
	ds_bpermute_b32 v69, v90, v68
	global_load_dwordx4 v[58:61], v[50:51], off
	global_load_dwordx4 v[54:57], v[50:51], off offset:16
	v_lshl_add_u64 v[50:51], v[64:65], 0, v[52:53]
	s_waitcnt lgkmcnt(0)
	v_max_f32_e32 v52, v69, v69
	v_max_f32_e32 v88, v68, v52
	v_sub_f32_e32 v52, v62, v88
	v_mul_f32_e32 v52, 0x3fb8aa3b, v52
	v_exp_f32_e32 v68, v52
	v_sub_f32_e32 v52, v63, v88
	v_mul_f32_e32 v52, 0x3fb8aa3b, v52
	v_exp_f32_e32 v69, v52
	global_load_dwordx4 v[62:65], v[50:51], off
	s_nop 0
	global_load_dwordx4 v[50:53], v[50:51], off offset:16
	v_sub_f32_e32 v82, v82, v88
	v_mul_f32_e32 v82, 0x3fb8aa3b, v82
	v_sub_f32_e32 v83, v83, v88
	v_exp_f32_e32 v82, v82
	v_mul_f32_e32 v83, 0x3fb8aa3b, v83
	v_sub_f32_e32 v70, v70, v88
	v_exp_f32_e32 v83, v83
	v_mul_f32_e32 v70, 0x3fb8aa3b, v70
	v_sub_f32_e32 v71, v71, v88
	v_cndmask_b32_e64 v68, 0, v68, s[28:29]
	v_exp_f32_e32 v70, v70
	v_mul_f32_e32 v71, 0x3fb8aa3b, v71
	v_sub_f32_e32 v84, v84, v88
	v_add_f32_e32 v91, 0, v68
	v_cndmask_b32_e64 v69, 0, v69, s[30:31]
	v_exp_f32_e32 v71, v71
	v_mul_f32_e32 v84, 0x3fb8aa3b, v84
	v_sub_f32_e32 v85, v85, v88
	v_add_f32_e32 v91, v91, v69
	v_cndmask_b32_e64 v82, 0, v82, s[34:35]
	v_exp_f32_e32 v84, v84
	v_mul_f32_e32 v85, 0x3fb8aa3b, v85
	v_sub_f32_e32 v78, v78, v88
	v_add_f32_e32 v91, v91, v82
	v_cndmask_b32_e64 v83, 0, v83, s[36:37]
	v_exp_f32_e32 v85, v85
	v_mul_f32_e32 v78, 0x3fb8aa3b, v78
	v_sub_f32_e32 v79, v79, v88
	v_add_f32_e32 v91, v91, v83
	v_cndmask_b32_e64 v70, 0, v70, s[22:23]
	v_exp_f32_e32 v78, v78
	v_mul_f32_e32 v79, 0x3fb8aa3b, v79
	v_sub_f32_e32 v80, v80, v88
	v_add_f32_e32 v91, v91, v70
	v_cndmask_b32_e64 v71, 0, v71, s[24:25]
	v_exp_f32_e32 v79, v79
	v_mul_f32_e32 v80, 0x3fb8aa3b, v80
	v_sub_f32_e32 v81, v81, v88
	v_add_f32_e32 v91, v91, v71
	v_cndmask_b32_e64 v84, 0, v84, s[18:19]
	v_exp_f32_e32 v80, v80
	v_mul_f32_e32 v81, 0x3fb8aa3b, v81
	v_sub_f32_e32 v72, v72, v88
	v_add_f32_e32 v91, v91, v84
	v_cndmask_b32_e64 v85, 0, v85, s[20:21]
	v_exp_f32_e32 v81, v81
	v_mul_f32_e32 v72, 0x3fb8aa3b, v72
	v_sub_f32_e32 v73, v73, v88
	v_add_f32_e32 v91, v91, v85
	v_cndmask_b32_e64 v78, 0, v78, s[14:15]
	v_exp_f32_e32 v72, v72
	v_mul_f32_e32 v73, 0x3fb8aa3b, v73
	v_sub_f32_e32 v66, v66, v88
	v_add_f32_e32 v91, v91, v78
	v_cndmask_b32_e64 v79, 0, v79, s[16:17]
	v_exp_f32_e32 v73, v73
	v_mul_f32_e32 v66, 0x3fb8aa3b, v66
	v_sub_f32_e32 v67, v67, v88
	v_add_f32_e32 v91, v91, v79
	v_cndmask_b32_e64 v80, 0, v80, s[10:11]
	v_exp_f32_e32 v66, v66
	v_mul_f32_e32 v67, 0x3fb8aa3b, v67
	v_add_f32_e32 v91, v91, v80
	v_cndmask_b32_e64 v81, 0, v81, s[12:13]
	v_exp_f32_e32 v67, v67
	v_add_f32_e32 v91, v91, v81
	v_cndmask_b32_e64 v72, 0, v72, s[6:7]
	v_add_f32_e32 v91, v91, v72
	v_cndmask_b32_e64 v73, 0, v73, s[8:9]
	v_add_f32_e32 v91, v91, v73
	v_cndmask_b32_e32 v66, 0, v66, vcc
	v_add_f32_e32 v91, v91, v66
	v_cndmask_b32_e64 v67, 0, v67, s[4:5]
	v_add_f32_e32 v91, v91, v67
	ds_bpermute_b32 v89, v89, v91
	v_cmp_gt_u32_e32 vcc, 16, v86
	s_waitcnt lgkmcnt(0)
	s_barrier
	v_add_f32_e32 v89, v91, v89
	ds_bpermute_b32 v90, v90, v89
	s_and_saveexec_b64 s[4:5], vcc
	s_cbranch_execz .LBB623_13
; %bb.12:
	s_waitcnt lgkmcnt(0)
	v_add_f32_e32 v86, v89, v90
	v_lshlrev_b32_e32 v87, 2, v87
	ds_write2st64_b32 v87, v88, v86 offset1:1
.LBB623_13:
	s_or_b64 exec, exec, s[4:5]
	v_lshlrev_b32_e32 v87, 2, v76
	s_load_dword s6, s[0:1], 0x94
	s_waitcnt lgkmcnt(0)
	s_barrier
	ds_read2_b32 v[88:89], v87 offset1:16
	ds_read2_b32 v[90:91], v87 offset0:32 offset1:48
	ds_read2_b32 v[92:93], v87 offset0:64 offset1:80
	s_movk_i32 s8, 0x7fff
	s_mov_b32 s9, 0x7060302
	s_waitcnt lgkmcnt(2)
	v_max3_f32 v86, v88, s41, v89
	s_waitcnt lgkmcnt(1)
	v_max3_f32 v86, v86, v90, v91
	v_sub_f32_e32 v88, v88, v86
	v_mul_f32_e32 v88, 0x3fb8aa3b, v88
	v_exp_f32_e32 v94, v88
	v_sub_f32_e32 v88, v89, v86
	v_mul_f32_e32 v88, 0x3fb8aa3b, v88
	v_exp_f32_e32 v95, v88
	;; [unrolled: 3-line block ×3, first 2 shown]
	ds_read2_b32 v[88:89], v87 offset0:96 offset1:112
	v_sub_f32_e32 v87, v91, v86
	v_mul_f32_e32 v87, 0x3fb8aa3b, v87
	v_exp_f32_e32 v91, v87
	s_waitcnt lgkmcnt(1)
	v_fma_f32 v87, v94, v92, 0
	v_fmac_f32_e32 v87, v95, v93
	s_waitcnt lgkmcnt(0)
	v_fmac_f32_e32 v87, v90, v88
	v_fmac_f32_e32 v87, v91, v89
	v_add_f32_e32 v88, 0x358637bd, v87
	v_div_scale_f32 v89, s[4:5], v88, v88, 1.0
	v_rcp_f32_e32 v92, v89
	s_barrier
	v_fma_f32 v93, -v89, v92, 1.0
	v_fmac_f32_e32 v92, v93, v92
	v_div_scale_f32 v93, vcc, 1.0, v88, 1.0
	v_mul_f32_e32 v75, v93, v92
	v_fma_f32 v1, -v89, v75, v93
	v_fmac_f32_e32 v75, v1, v92
	v_fma_f32 v1, -v89, v75, v93
	v_div_fmas_f32 v1, v1, v92, v75
	v_cmp_eq_u32_e32 vcc, 1, v77
	v_div_fixup_f32 v1, v1, v88, 1.0
	s_mul_i32 s7, s27, 12
	v_cndmask_b32_e32 v75, v94, v95, vcc
	v_cmp_eq_u32_e32 vcc, 2, v77
	s_nop 1
	v_cndmask_b32_e32 v75, v75, v90, vcc
	v_cmp_eq_u32_e32 vcc, 3, v77
	s_nop 1
	v_cndmask_b32_e32 v75, v75, v91, vcc
	v_mul_f32_e32 v88, v75, v1
	v_pk_mul_f32 v[68:69], v[88:89], v[68:69] op_sel_hi:[0,1]
	v_bfe_u32 v1, v69, 16, 1
	v_bfe_u32 v75, v68, 16, 1
	v_pk_mul_f32 v[82:83], v[88:89], v[82:83] op_sel_hi:[0,1]
	v_add3_u32 v68, v68, v75, s8
	v_add3_u32 v1, v69, v1, s8
	v_perm_b32 v90, v1, v68, s9
	v_bfe_u32 v1, v83, 16, 1
	v_bfe_u32 v68, v82, 16, 1
	v_add3_u32 v68, v82, v68, s8
	v_add3_u32 v1, v83, v1, s8
	v_perm_b32 v91, v1, v68, s9
	v_lshlrev_b32_e32 v1, 3, v74
	v_lshlrev_b32_e32 v68, 5, v76
	;; [unrolled: 1-line block ×3, first 2 shown]
	v_pk_mul_f32 v[70:71], v[88:89], v[70:71] op_sel_hi:[0,1]
	v_or3_b32 v82, v69, v68, v1
	v_bfe_u32 v1, v71, 16, 1
	v_bfe_u32 v69, v70, 16, 1
	v_pk_mul_f32 v[84:85], v[88:89], v[84:85] op_sel_hi:[0,1]
	v_add3_u32 v69, v70, v69, s8
	v_add3_u32 v1, v71, v1, s8
	v_perm_b32 v70, v1, v69, s9
	v_bfe_u32 v1, v85, 16, 1
	v_bfe_u32 v69, v84, 16, 1
	v_add3_u32 v69, v84, v69, s8
	v_add3_u32 v1, v85, v1, s8
	v_pk_mul_f32 v[78:79], v[88:89], v[78:79] op_sel_hi:[0,1]
	v_perm_b32 v71, v1, v69, s9
	v_bfe_u32 v1, v79, 16, 1
	v_bfe_u32 v69, v78, 16, 1
	ds_write2st64_b64 v82, v[90:91], v[70:71] offset1:1
	v_pk_mul_f32 v[70:71], v[88:89], v[80:81] op_sel_hi:[0,1]
	v_add3_u32 v69, v78, v69, s8
	v_add3_u32 v1, v79, v1, s8
	v_perm_b32 v78, v1, v69, s9
	v_bfe_u32 v1, v71, 16, 1
	v_bfe_u32 v69, v70, 16, 1
	v_add3_u32 v69, v70, v69, s8
	v_add3_u32 v1, v71, v1, s8
	v_pk_mul_f32 v[70:71], v[88:89], v[72:73] op_sel_hi:[0,1]
	v_perm_b32 v79, v1, v69, s9
	v_bfe_u32 v1, v71, 16, 1
	v_bfe_u32 v69, v70, 16, 1
	v_pk_mul_f32 v[66:67], v[88:89], v[66:67] op_sel_hi:[0,1]
	v_add3_u32 v69, v70, v69, s8
	v_add3_u32 v1, v71, v1, s8
	v_perm_b32 v70, v1, v69, s9
	v_bfe_u32 v1, v67, 16, 1
	v_bfe_u32 v69, v66, 16, 1
	v_add3_u32 v66, v66, v69, s8
	v_add3_u32 v1, v67, v1, s8
	v_perm_b32 v71, v1, v66, s9
	v_cmp_gt_u32_e32 vcc, 12, v0
	ds_write2st64_b64 v82, v[78:79], v[70:71] offset0:2 offset1:3
	s_and_saveexec_b64 s[4:5], vcc
	s_cbranch_execz .LBB623_15
; %bb.14:
	s_mov_b32 s41, 0
	v_mov_b32_e32 v77, 0
	v_lshl_add_u64 v[66:67], s[40:41], 0, v[76:77]
	v_mov_b32_e32 v1, s7
	v_mad_u64_u32 v[66:67], s[10:11], s2, v1, v[66:67]
	s_mul_i32 s3, s3, s7
	v_mov_b32_e32 v70, s26
	v_mov_b32_e32 v71, v77
	s_load_dwordx4 s[12:15], s[0:1], 0x58
	v_add_u32_e32 v1, s3, v67
	v_mad_u64_u32 v[66:67], s[10:11], v66, s6, v[70:71]
	v_mov_b32_e32 v70, v67
	v_mad_u64_u32 v[70:71], s[10:11], v1, s6, v[70:71]
	v_mov_b32_e32 v67, v70
	v_lshlrev_b64 v[66:67], 2, v[66:67]
	s_waitcnt lgkmcnt(0)
	v_lshl_add_u64 v[70:71], s[14:15], 0, v[66:67]
	v_lshl_add_u64 v[66:67], s[12:13], 0, v[66:67]
	global_store_dword v[70:71], v86, off
	global_store_dword v[66:67], v87, off
.LBB623_15:
	s_or_b64 exec, exec, s[4:5]
	v_lshl_or_b32 v1, v74, 9, v68
	s_waitcnt lgkmcnt(0)
	s_barrier
	ds_read_b128 v[70:73], v1
	ds_read_b128 v[66:69], v1 offset:16
	s_waitcnt vmcnt(15) lgkmcnt(1)
	v_mfma_f32_16x16x16_bf16 v[78:81], v[30:31], v[70:71], 0
	s_mov_b32 s3, 0
	v_cmp_gt_u32_e32 vcc, 64, v0
	v_mfma_f32_16x16x16_bf16 v[30:33], v[32:33], v[72:73], v[78:81]
	s_waitcnt vmcnt(14) lgkmcnt(0)
	v_mfma_f32_16x16x16_bf16 v[30:33], v[26:27], v[66:67], v[30:33]
	v_mfma_f32_16x16x16_bf16 v[26:29], v[28:29], v[68:69], v[30:33]
	s_nop 5
	ds_read_b128 v[30:33], v1 offset:2048
	ds_read_b128 v[78:81], v1 offset:2064
	s_waitcnt vmcnt(13) lgkmcnt(1)
	v_mfma_f32_16x16x16_bf16 v[26:29], v[22:23], v[30:31], v[26:29]
	v_mfma_f32_16x16x16_bf16 v[22:25], v[24:25], v[32:33], v[26:29]
	s_waitcnt vmcnt(12) lgkmcnt(0)
	v_mfma_f32_16x16x16_bf16 v[22:25], v[18:19], v[78:79], v[22:25]
	v_mfma_f32_16x16x16_bf16 v[18:21], v[20:21], v[80:81], v[22:25]
	s_nop 5
	ds_read_b128 v[22:25], v1 offset:4096
	ds_read_b128 v[26:29], v1 offset:4112
	s_waitcnt vmcnt(11) lgkmcnt(1)
	v_mfma_f32_16x16x16_bf16 v[18:21], v[14:15], v[22:23], v[18:21]
	v_mfma_f32_16x16x16_bf16 v[14:17], v[16:17], v[24:25], v[18:21]
	s_waitcnt vmcnt(10) lgkmcnt(0)
	v_mfma_f32_16x16x16_bf16 v[14:17], v[10:11], v[26:27], v[14:17]
	v_mfma_f32_16x16x16_bf16 v[10:13], v[12:13], v[28:29], v[14:17]
	s_nop 5
	ds_read_b128 v[14:17], v1 offset:6144
	ds_read_b128 v[18:21], v1 offset:6160
	s_waitcnt lgkmcnt(0)
	s_barrier
	s_waitcnt vmcnt(9)
	v_mfma_f32_16x16x16_bf16 v[10:13], v[6:7], v[14:15], v[10:13]
	v_mfma_f32_16x16x16_bf16 v[6:9], v[8:9], v[16:17], v[10:13]
	s_waitcnt vmcnt(8)
	v_mfma_f32_16x16x16_bf16 v[6:9], v[2:3], v[18:19], v[6:9]
	v_mfma_f32_16x16x16_bf16 v[2:5], v[4:5], v[20:21], v[6:9]
	;; [unrolled: 3-line block ×3, first 2 shown]
	s_nop 3
	v_bfe_u32 v1, v3, 16, 1
	v_bfe_u32 v10, v2, 16, 1
	v_add3_u32 v2, v2, v10, s8
	s_waitcnt vmcnt(6)
	v_mfma_f32_16x16x16_bf16 v[6:9], v[38:39], v[66:67], v[6:9]
	v_add3_u32 v1, v3, v1, s8
	v_perm_b32 v10, v1, v2, s9
	v_bfe_u32 v1, v5, 16, 1
	v_mfma_f32_16x16x16_bf16 v[6:9], v[40:41], v[68:69], v[6:9]
	v_bfe_u32 v2, v4, 16, 1
	v_add3_u32 v2, v4, v2, s8
	v_add3_u32 v1, v5, v1, s8
	s_waitcnt vmcnt(5)
	v_mfma_f32_16x16x16_bf16 v[6:9], v[42:43], v[30:31], v[6:9]
	v_perm_b32 v11, v1, v2, s9
	v_mfma_f32_16x16x16_bf16 v[6:9], v[44:45], v[32:33], v[6:9]
	s_waitcnt vmcnt(4)
	v_mfma_f32_16x16x16_bf16 v[6:9], v[34:35], v[78:79], v[6:9]
	v_mfma_f32_16x16x16_bf16 v[6:9], v[36:37], v[80:81], v[6:9]
	s_waitcnt vmcnt(3)
	v_mfma_f32_16x16x16_bf16 v[6:9], v[58:59], v[22:23], v[6:9]
	;; [unrolled: 3-line block ×5, first 2 shown]
	v_mfma_f32_16x16x16_bf16 v[2:5], v[52:53], v[20:21], v[6:9]
	s_nop 6
	v_bfe_u32 v1, v3, 16, 1
	v_bfe_u32 v6, v2, 16, 1
	v_add3_u32 v2, v2, v6, s8
	v_add3_u32 v1, v3, v1, s8
	v_perm_b32 v2, v1, v2, s9
	v_bfe_u32 v1, v5, 16, 1
	v_bfe_u32 v3, v4, 16, 1
	v_add3_u32 v3, v4, v3, s8
	v_add3_u32 v1, v5, v1, s8
	v_perm_b32 v3, v1, v3, s9
	ds_write2st64_b64 v82, v[10:11], v[2:3] offset1:1
	s_waitcnt lgkmcnt(0)
	s_barrier
	s_and_saveexec_b64 s[4:5], vcc
	s_cbranch_execz .LBB623_17
; %bb.16:
	v_lshlrev_b32_e32 v3, 6, v76
	v_lshlrev_b32_e32 v2, 4, v0
	v_lshl_or_b32 v0, v0, 10, v3
	v_lshlrev_b32_e32 v1, 5, v74
	v_and_b32_e32 v2, 16, v2
	v_and_b32_e32 v0, 0x1a00, v0
	v_or3_b32 v0, v0, v1, v2
	ds_read_b128 v[2:5], v0
	ds_read_b128 v[6:9], v0 offset:128
	ds_read_b128 v[10:13], v0 offset:256
	scratch_load_dwordx2 v[0:1], off, off   ; 8-byte Folded Reload
	s_load_dwordx2 s[0:1], s[0:1], 0x68
	s_lshl_b32 s6, s6, 7
	s_mul_i32 s2, s7, s2
	s_mul_hi_u32 s5, s2, s6
	s_mul_i32 s4, s2, s6
	s_lshl_b64 s[4:5], s[4:5], 1
	s_waitcnt lgkmcnt(0)
	s_add_u32 s4, s0, s4
	s_addc_u32 s5, s1, s5
	s_lshl_b32 s2, s26, 7
	s_lshl_b64 s[0:1], s[2:3], 1
	s_add_u32 s0, s4, s0
	s_addc_u32 s1, s5, s1
	v_or_b32_e32 v16, s40, v74
	s_waitcnt vmcnt(0)
	v_mov_b32_e32 v1, 0
	v_lshl_add_u64 v[0:1], s[0:1], 0, v[0:1]
	v_mad_u64_u32 v[14:15], s[0:1], v16, s6, 0
	v_lshl_add_u64 v[14:15], v[14:15], 1, v[0:1]
	global_store_dwordx4 v[14:15], v[2:5], off
	s_nop 1
	v_add_u32_e32 v2, 4, v16
	v_mad_u64_u32 v[2:3], s[0:1], v2, s6, 0
	v_lshl_add_u64 v[2:3], v[2:3], 1, v[0:1]
	global_store_dwordx4 v[2:3], v[6:9], off
	v_add_u32_e32 v2, 8, v16
	v_mad_u64_u32 v[2:3], s[0:1], v2, s6, 0
	v_lshl_add_u64 v[0:1], v[2:3], 1, v[0:1]
	global_store_dwordx4 v[0:1], v[10:13], off
.LBB623_17:
	s_endpgm
	.section	.rodata,"a",@progbits
	.p2align	6, 0x0
	.amdhsa_kernel _Z39paged_attention_ll4mi_QKV_mfma16_kernelI14__hip_bfloat16S0_LN4vllm18Fp8KVCacheDataTypeE0EhLi16ELi128ELi256ELb0ELi12EEvPKT_PKT0_S8_ifPKiSA_SA_iPKfiiiPfSD_PS3_PT2_iSC_SC_
		.amdhsa_group_segment_fixed_size 8192
		.amdhsa_private_segment_fixed_size 12
		.amdhsa_kernarg_size 400
		.amdhsa_user_sgpr_count 2
		.amdhsa_user_sgpr_dispatch_ptr 0
		.amdhsa_user_sgpr_queue_ptr 0
		.amdhsa_user_sgpr_kernarg_segment_ptr 1
		.amdhsa_user_sgpr_dispatch_id 0
		.amdhsa_user_sgpr_kernarg_preload_length 0
		.amdhsa_user_sgpr_kernarg_preload_offset 0
		.amdhsa_user_sgpr_private_segment_size 0
		.amdhsa_uses_dynamic_stack 0
		.amdhsa_enable_private_segment 1
		.amdhsa_system_sgpr_workgroup_id_x 1
		.amdhsa_system_sgpr_workgroup_id_y 1
		.amdhsa_system_sgpr_workgroup_id_z 1
		.amdhsa_system_sgpr_workgroup_info 0
		.amdhsa_system_vgpr_workitem_id 0
		.amdhsa_next_free_vgpr 96
		.amdhsa_next_free_sgpr 42
		.amdhsa_accum_offset 96
		.amdhsa_reserve_vcc 1
		.amdhsa_float_round_mode_32 0
		.amdhsa_float_round_mode_16_64 0
		.amdhsa_float_denorm_mode_32 3
		.amdhsa_float_denorm_mode_16_64 3
		.amdhsa_dx10_clamp 1
		.amdhsa_ieee_mode 1
		.amdhsa_fp16_overflow 0
		.amdhsa_tg_split 0
		.amdhsa_exception_fp_ieee_invalid_op 0
		.amdhsa_exception_fp_denorm_src 0
		.amdhsa_exception_fp_ieee_div_zero 0
		.amdhsa_exception_fp_ieee_overflow 0
		.amdhsa_exception_fp_ieee_underflow 0
		.amdhsa_exception_fp_ieee_inexact 0
		.amdhsa_exception_int_div_zero 0
	.end_amdhsa_kernel
	.section	.text._Z39paged_attention_ll4mi_QKV_mfma16_kernelI14__hip_bfloat16S0_LN4vllm18Fp8KVCacheDataTypeE0EhLi16ELi128ELi256ELb0ELi12EEvPKT_PKT0_S8_ifPKiSA_SA_iPKfiiiPfSD_PS3_PT2_iSC_SC_,"axG",@progbits,_Z39paged_attention_ll4mi_QKV_mfma16_kernelI14__hip_bfloat16S0_LN4vllm18Fp8KVCacheDataTypeE0EhLi16ELi128ELi256ELb0ELi12EEvPKT_PKT0_S8_ifPKiSA_SA_iPKfiiiPfSD_PS3_PT2_iSC_SC_,comdat
.Lfunc_end623:
	.size	_Z39paged_attention_ll4mi_QKV_mfma16_kernelI14__hip_bfloat16S0_LN4vllm18Fp8KVCacheDataTypeE0EhLi16ELi128ELi256ELb0ELi12EEvPKT_PKT0_S8_ifPKiSA_SA_iPKfiiiPfSD_PS3_PT2_iSC_SC_, .Lfunc_end623-_Z39paged_attention_ll4mi_QKV_mfma16_kernelI14__hip_bfloat16S0_LN4vllm18Fp8KVCacheDataTypeE0EhLi16ELi128ELi256ELb0ELi12EEvPKT_PKT0_S8_ifPKiSA_SA_iPKfiiiPfSD_PS3_PT2_iSC_SC_
                                        ; -- End function
	.section	.AMDGPU.csdata,"",@progbits
; Kernel info:
; codeLenInByte = 4744
; NumSgprs: 48
; NumVgprs: 96
; NumAgprs: 0
; TotalNumVgprs: 96
; ScratchSize: 12
; MemoryBound: 0
; FloatMode: 240
; IeeeMode: 1
; LDSByteSize: 8192 bytes/workgroup (compile time only)
; SGPRBlocks: 5
; VGPRBlocks: 11
; NumSGPRsForWavesPerEU: 48
; NumVGPRsForWavesPerEU: 96
; AccumOffset: 96
; Occupancy: 5
; WaveLimiterHint : 1
; COMPUTE_PGM_RSRC2:SCRATCH_EN: 1
; COMPUTE_PGM_RSRC2:USER_SGPR: 2
; COMPUTE_PGM_RSRC2:TRAP_HANDLER: 0
; COMPUTE_PGM_RSRC2:TGID_X_EN: 1
; COMPUTE_PGM_RSRC2:TGID_Y_EN: 1
; COMPUTE_PGM_RSRC2:TGID_Z_EN: 1
; COMPUTE_PGM_RSRC2:TIDIG_COMP_CNT: 0
; COMPUTE_PGM_RSRC3_GFX90A:ACCUM_OFFSET: 23
; COMPUTE_PGM_RSRC3_GFX90A:TG_SPLIT: 0
	.section	.text._Z39paged_attention_ll4mi_QKV_mfma16_kernelI14__hip_bfloat16S0_LN4vllm18Fp8KVCacheDataTypeE0EhLi16ELi128ELi256ELb0ELi13EEvPKT_PKT0_S8_ifPKiSA_SA_iPKfiiiPfSD_PS3_PT2_iSC_SC_,"axG",@progbits,_Z39paged_attention_ll4mi_QKV_mfma16_kernelI14__hip_bfloat16S0_LN4vllm18Fp8KVCacheDataTypeE0EhLi16ELi128ELi256ELb0ELi13EEvPKT_PKT0_S8_ifPKiSA_SA_iPKfiiiPfSD_PS3_PT2_iSC_SC_,comdat
	.protected	_Z39paged_attention_ll4mi_QKV_mfma16_kernelI14__hip_bfloat16S0_LN4vllm18Fp8KVCacheDataTypeE0EhLi16ELi128ELi256ELb0ELi13EEvPKT_PKT0_S8_ifPKiSA_SA_iPKfiiiPfSD_PS3_PT2_iSC_SC_ ; -- Begin function _Z39paged_attention_ll4mi_QKV_mfma16_kernelI14__hip_bfloat16S0_LN4vllm18Fp8KVCacheDataTypeE0EhLi16ELi128ELi256ELb0ELi13EEvPKT_PKT0_S8_ifPKiSA_SA_iPKfiiiPfSD_PS3_PT2_iSC_SC_
	.globl	_Z39paged_attention_ll4mi_QKV_mfma16_kernelI14__hip_bfloat16S0_LN4vllm18Fp8KVCacheDataTypeE0EhLi16ELi128ELi256ELb0ELi13EEvPKT_PKT0_S8_ifPKiSA_SA_iPKfiiiPfSD_PS3_PT2_iSC_SC_
	.p2align	8
	.type	_Z39paged_attention_ll4mi_QKV_mfma16_kernelI14__hip_bfloat16S0_LN4vllm18Fp8KVCacheDataTypeE0EhLi16ELi128ELi256ELb0ELi13EEvPKT_PKT0_S8_ifPKiSA_SA_iPKfiiiPfSD_PS3_PT2_iSC_SC_,@function
_Z39paged_attention_ll4mi_QKV_mfma16_kernelI14__hip_bfloat16S0_LN4vllm18Fp8KVCacheDataTypeE0EhLi16ELi128ELi256ELb0ELi13EEvPKT_PKT0_S8_ifPKiSA_SA_iPKfiiiPfSD_PS3_PT2_iSC_SC_: ; @_Z39paged_attention_ll4mi_QKV_mfma16_kernelI14__hip_bfloat16S0_LN4vllm18Fp8KVCacheDataTypeE0EhLi16ELi128ELi256ELb0ELi13EEvPKT_PKT0_S8_ifPKiSA_SA_iPKfiiiPfSD_PS3_PT2_iSC_SC_
; %bb.0:
	s_load_dwordx2 s[8:9], s[0:1], 0x30
	s_mov_b32 s26, s3
	s_mov_b64 s[6:7], 0
	s_waitcnt lgkmcnt(0)
	s_cmp_lg_u64 s[8:9], 0
	s_cselect_b64 s[10:11], -1, 0
	s_and_b64 vcc, exec, s[10:11]
	s_cbranch_vccz .LBB624_7
; %bb.1:
	s_add_i32 s12, s2, 1
	s_mov_b32 s13, 0
	s_lshl_b64 s[14:15], s[12:13], 2
	s_add_u32 s14, s8, s14
	s_mov_b32 s3, s13
	s_addc_u32 s15, s9, s15
	s_lshl_b64 s[12:13], s[2:3], 2
	s_add_u32 s12, s8, s12
	s_addc_u32 s13, s9, s13
	s_load_dword s5, s[14:15], 0x0
	s_load_dword s16, s[12:13], 0x0
	s_waitcnt lgkmcnt(0)
	s_sub_i32 s5, s5, s16
	s_cmp_eq_u32 s5, 1
	s_cselect_b64 s[12:13], -1, 0
	s_andn2_b64 vcc, exec, s[6:7]
	s_cbranch_vccnz .LBB624_3
.LBB624_2:
	s_mov_b32 s3, 0
	s_mov_b64 s[12:13], -1
.LBB624_3:
	s_andn2_b64 vcc, exec, s[12:13]
	s_cbranch_vccnz .LBB624_18
; %bb.4:
	s_load_dwordx2 s[6:7], s[0:1], 0x28
	s_lshl_b64 s[16:17], s[2:3], 2
	s_waitcnt lgkmcnt(0)
	s_add_u32 s6, s6, s16
	s_addc_u32 s7, s7, s17
	s_load_dword s33, s[6:7], 0x0
	s_lshl_b32 s18, s26, 8
	s_waitcnt lgkmcnt(0)
	s_cmp_ge_i32 s18, s33
	s_cbranch_scc1 .LBB624_18
; %bb.5:
	s_load_dwordx2 s[6:7], s[0:1], 0x20
	s_load_dword s5, s[0:1], 0x38
	s_add_i32 s12, s33, 15
	s_ashr_i32 s13, s12, 31
	v_and_b32_e32 v1, 0xcf, v0
	s_lshr_b32 s13, s13, 28
	v_add_u32_e32 v1, s18, v1
	s_add_i32 s12, s12, s13
	v_ashrrev_i32_e32 v2, 31, v1
	s_ashr_i32 s19, s12, 4
	v_lshrrev_b32_e32 v4, 28, v2
	s_add_i32 s19, s19, -1
	s_waitcnt lgkmcnt(0)
	s_mul_i32 s12, s2, s5
	s_mov_b32 s13, 0
	v_add_u32_e32 v2, v1, v4
	s_lshl_b64 s[12:13], s[12:13], 2
	v_ashrrev_i32_e32 v2, 4, v2
	v_mov_b32_e32 v5, s19
	v_cmp_gt_i32_e32 vcc, s33, v1
	s_add_u32 s6, s6, s12
	s_addc_u32 s7, s7, s13
	v_cndmask_b32_e32 v2, v5, v2, vcc
	v_ashrrev_i32_e32 v3, 31, v2
	v_lshl_add_u64 v[6:7], v[2:3], 2, s[6:7]
	v_or_b32_e32 v2, 16, v1
	v_add_u32_e32 v3, v2, v4
	v_ashrrev_i32_e32 v3, 4, v3
	v_cmp_gt_i32_e32 vcc, s33, v2
	s_load_dwordx4 s[12:15], s[0:1], 0x8
	s_nop 0
	v_cndmask_b32_e32 v2, v5, v3, vcc
	v_ashrrev_i32_e32 v3, 31, v2
	v_lshl_add_u64 v[8:9], v[2:3], 2, s[6:7]
	v_or_b32_e32 v2, 32, v1
	v_add_u32_e32 v3, v2, v4
	v_ashrrev_i32_e32 v3, 4, v3
	v_cmp_gt_i32_e32 vcc, s33, v2
	v_or_b32_e32 v1, 48, v1
	s_nop 0
	v_cndmask_b32_e32 v2, v5, v3, vcc
	v_ashrrev_i32_e32 v3, 31, v2
	v_lshl_add_u64 v[10:11], v[2:3], 2, s[6:7]
	v_add_u32_e32 v2, v1, v4
	v_ashrrev_i32_e32 v2, 4, v2
	v_cmp_gt_i32_e32 vcc, s33, v1
	s_nop 1
	v_cndmask_b32_e32 v2, v5, v2, vcc
	v_ashrrev_i32_e32 v3, 31, v2
	v_lshl_add_u64 v[12:13], v[2:3], 2, s[6:7]
	global_load_dword v4, v[6:7], off
	global_load_dword v3, v[8:9], off
	;; [unrolled: 1-line block ×4, first 2 shown]
	s_andn2_b64 vcc, exec, s[10:11]
	s_cbranch_vccnz .LBB624_8
; %bb.6:
	s_add_u32 s8, s8, s16
	s_addc_u32 s9, s9, s17
	s_load_dword s5, s[8:9], 0x0
	s_branch .LBB624_9
.LBB624_7:
	s_mov_b64 s[12:13], 0
	s_branch .LBB624_2
.LBB624_8:
	s_mov_b32 s5, s2
.LBB624_9:
	s_load_dwordx4 s[8:11], s[0:1], 0x48
	v_lshrrev_b32_e32 v77, 6, v0
	v_bfe_u32 v86, v0, 4, 2
	v_and_b32_e32 v76, 15, v0
	v_lshl_or_b32 v1, v77, 2, v86
	v_lshlrev_b32_e32 v5, 3, v76
	v_and_b32_e32 v87, 63, v0
	s_mul_i32 s40, s4, 13
	v_cmp_gt_u32_e32 vcc, 13, v1
	v_lshlrev_b32_e32 v74, 1, v5
	s_and_saveexec_b64 s[16:17], vcc
	s_cbranch_execz .LBB624_11
; %bb.10:
	s_load_dwordx2 s[20:21], s[0:1], 0x0
	s_waitcnt lgkmcnt(0)
	s_ashr_i32 s11, s8, 31
	s_mul_hi_u32 s22, s5, s8
	s_mul_i32 s11, s5, s11
	s_add_i32 s23, s22, s11
	s_mul_i32 s22, s5, s8
	s_lshl_b64 s[22:23], s[22:23], 1
	s_add_u32 s20, s20, s22
	v_add_lshl_u32 v6, v1, s40, 7
	s_addc_u32 s21, s21, s23
	v_ashrrev_i32_e32 v7, 31, v6
	v_lshl_add_u64 v[6:7], v[6:7], 1, s[20:21]
	v_mov_b32_e32 v75, 0
	v_lshl_add_u64 v[6:7], v[6:7], 0, v[74:75]
	global_load_dwordx4 v[6:9], v[6:7], off
	v_and_b32_e32 v5, 3, v0
	v_lshlrev_b32_e32 v10, 9, v76
	v_lshlrev_b32_e32 v1, 5, v1
	;; [unrolled: 1-line block ×3, first 2 shown]
	v_and_b32_e32 v10, 0x1800, v10
	v_or3_b32 v1, v10, v5, v1
	s_waitcnt vmcnt(0)
	ds_write_b128 v1, v[6:9]
.LBB624_11:
	s_or_b64 exec, exec, s[16:17]
	s_waitcnt lgkmcnt(0)
	s_mul_i32 s4, s4, s10
	s_mov_b32 s5, 0
	s_lshl_b64 s[4:5], s[4:5], 1
	s_add_u32 s10, s12, s4
	v_lshlrev_b32_e32 v1, 4, v0
	s_addc_u32 s11, s13, s5
	v_and_b32_e32 v34, 0xf0, v1
	v_mov_b32_e32 v35, 0
	v_lshl_add_u64 v[30:31], s[10:11], 0, v[34:35]
	s_waitcnt vmcnt(3)
	v_mad_i64_i32 v[4:5], s[10:11], v4, s9, 0
	v_lshl_add_u64 v[4:5], v[4:5], 1, v[30:31]
	v_and_b32_e32 v34, 0x300, v1
	v_lshl_add_u64 v[32:33], v[4:5], 0, v[34:35]
	s_load_dword s27, s[0:1], 0x98
	s_load_dword s8, s[0:1], 0x1c
	s_waitcnt lgkmcnt(0)
	s_barrier
	global_load_dwordx4 v[6:9], v[32:33], off
	global_load_dwordx4 v[18:21], v[32:33], off offset:1024
	s_waitcnt vmcnt(4)
	v_mad_i64_i32 v[4:5], s[10:11], v3, s9, 0
	s_waitcnt vmcnt(3)
	v_mad_i64_i32 v[2:3], s[10:11], v2, s9, 0
	v_lshl_add_u64 v[4:5], v[4:5], 1, v[30:31]
	v_lshl_add_u64 v[2:3], v[2:3], 1, v[30:31]
	;; [unrolled: 1-line block ×4, first 2 shown]
	global_load_dwordx4 v[14:17], v[36:37], off
	global_load_dwordx4 v[22:25], v[36:37], off offset:1024
	global_load_dwordx4 v[26:29], v[38:39], off
	global_load_dwordx4 v[46:49], v[38:39], off offset:1024
	v_add_u32_e32 v2, -13, v76
	v_cmp_gt_u32_e32 vcc, 13, v76
	global_load_dwordx4 v[54:57], v[32:33], off offset:2048
	global_load_dwordx4 v[62:65], v[36:37], off offset:2048
	v_cndmask_b32_e32 v2, v2, v76, vcc
	v_lshlrev_b32_e32 v2, 5, v2
	v_lshl_add_u32 v41, v86, 9, v2
	ds_read_b128 v[10:13], v41
	ds_read_b128 v[2:5], v41 offset:2048
	v_mov_b32_e32 v70, s19
	s_add_u32 s4, s14, s4
	s_addc_u32 s5, s15, s5
	s_mov_b32 s41, 0xff7fffff
	s_waitcnt vmcnt(7) lgkmcnt(1)
	v_mfma_f32_16x16x16_bf16 v[42:45], v[6:7], v[10:11], 0
	v_mfma_f32_16x16x16_bf16 v[6:9], v[8:9], v[12:13], v[42:45]
	s_nop 5
	global_load_dwordx4 v[42:45], v[38:39], off offset:2048
	s_waitcnt vmcnt(6)
	v_mfma_f32_16x16x16_bf16 v[50:53], v[14:15], v[10:11], 0
	s_waitcnt vmcnt(4)
	v_mfma_f32_16x16x16_bf16 v[58:61], v[26:27], v[10:11], 0
	v_mfma_f32_16x16x16_bf16 v[14:17], v[16:17], v[12:13], v[50:53]
	;; [unrolled: 1-line block ×3, first 2 shown]
	s_nop 2
	global_load_dwordx4 v[50:53], v[32:33], off offset:3072
	v_mad_i64_i32 v[32:33], s[10:11], v40, s9, 0
	s_waitcnt lgkmcnt(0)
	v_mfma_f32_16x16x16_bf16 v[6:9], v[18:19], v[2:3], v[6:9]
	v_and_or_b32 v40, v0, 48, s18
	v_ashrrev_i32_e32 v58, 4, v40
	v_cmp_gt_i32_e32 vcc, s33, v40
	v_mfma_f32_16x16x16_bf16 v[14:17], v[22:23], v[2:3], v[14:17]
	v_or_b32_e32 v66, 64, v40
	v_cndmask_b32_e32 v22, v70, v58, vcc
	v_ashrrev_i32_e32 v23, 31, v22
	s_waitcnt vmcnt(4)
	v_mfma_f32_16x16x16_bf16 v[26:29], v[46:47], v[2:3], v[26:29]
	v_or_b32_e32 v71, 0x80, v40
	v_or_b32_e32 v72, 0xc0, v40
	v_ashrrev_i32_e32 v40, 4, v66
	v_mfma_f32_16x16x16_bf16 v[6:9], v[20:21], v[4:5], v[6:9]
	global_load_dwordx4 v[18:21], v[38:39], off offset:3072
	v_cmp_gt_i32_e32 vcc, s33, v66
	v_lshl_add_u64 v[22:23], v[22:23], 2, s[6:7]
	global_load_dwordx4 v[58:61], v[36:37], off offset:3072
	v_cndmask_b32_e32 v36, v70, v40, vcc
	v_mfma_f32_16x16x16_bf16 v[14:17], v[24:25], v[4:5], v[14:17]
	global_load_dword v78, v[22:23], off
	ds_read_b128 v[66:69], v41 offset:4096
	v_ashrrev_i32_e32 v37, 31, v36
	v_mfma_f32_16x16x16_bf16 v[22:25], v[48:49], v[4:5], v[26:29]
	v_ashrrev_i32_e32 v73, 4, v71
	v_cmp_gt_i32_e32 vcc, s33, v71
	v_ashrrev_i32_e32 v75, 4, v72
	v_lshl_add_u64 v[26:27], v[32:33], 1, v[30:31]
	v_lshl_add_u64 v[26:27], v[26:27], 0, v[34:35]
	;; [unrolled: 1-line block ×3, first 2 shown]
	global_load_dwordx4 v[46:49], v[26:27], off
	global_load_dword v36, v[28:29], off
	s_waitcnt vmcnt(8) lgkmcnt(0)
	v_mfma_f32_16x16x16_bf16 v[6:9], v[54:55], v[66:67], v[6:9]
	v_cndmask_b32_e32 v28, v70, v73, vcc
	v_ashrrev_i32_e32 v29, 31, v28
	v_lshl_add_u64 v[28:29], v[28:29], 2, s[6:7]
	v_mfma_f32_16x16x16_bf16 v[6:9], v[56:57], v[68:69], v[6:9]
	global_load_dwordx4 v[54:57], v[26:27], off offset:1024
	v_cmp_gt_i32_e32 vcc, s33, v72
	global_load_dword v84, v[28:29], off
	s_waitcnt vmcnt(9)
	v_mfma_f32_16x16x16_bf16 v[14:17], v[62:63], v[66:67], v[14:17]
	v_cndmask_b32_e32 v28, v70, v75, vcc
	v_ashrrev_i32_e32 v29, 31, v28
	v_lshl_add_u64 v[28:29], v[28:29], 2, s[6:7]
	v_mfma_f32_16x16x16_bf16 v[14:17], v[64:65], v[68:69], v[14:17]
	global_load_dword v64, v[28:29], off
	ds_read_b128 v[38:41], v41 offset:6144
	v_lshl_or_b32 v75, v77, 4, v76
	v_lshlrev_b32_e32 v34, 5, v75
	v_lshl_add_u64 v[62:63], s[4:5], 0, v[34:35]
	v_or_b32_e32 v34, 0x800, v34
	s_waitcnt vmcnt(9)
	v_mfma_f32_16x16x16_bf16 v[22:25], v[42:43], v[66:67], v[22:25]
	global_load_dwordx4 v[70:73], v[26:27], off offset:3072
	v_mfma_f32_16x16x16_bf16 v[22:25], v[44:45], v[68:69], v[22:25]
	global_load_dwordx4 v[42:45], v[26:27], off offset:2048
	s_waitcnt vmcnt(10) lgkmcnt(0)
	v_mfma_f32_16x16x16_bf16 v[6:9], v[50:51], v[38:39], v[6:9]
	s_waitcnt vmcnt(9)
	v_mfma_f32_16x16x16_bf16 v[22:25], v[18:19], v[38:39], v[22:25]
	s_waitcnt vmcnt(7)
	v_mad_i64_i32 v[18:19], s[6:7], v78, s9, 0
	v_lshlrev_b64 v[82:83], 1, v[18:19]
	v_mfma_f32_16x16x16_bf16 v[78:81], v[52:53], v[40:41], v[6:9]
	s_nop 2
	v_lshl_add_u64 v[6:7], v[62:63], 0, v[82:83]
	global_load_dwordx4 v[30:33], v[6:7], off
	global_load_dwordx4 v[26:29], v[6:7], off offset:16
	v_mfma_f32_16x16x16_bf16 v[88:91], v[20:21], v[40:41], v[22:25]
	s_waitcnt vmcnt(7)
	v_mad_i64_i32 v[6:7], s[6:7], v36, s9, 0
	v_lshlrev_b64 v[36:37], 1, v[6:7]
	v_lshl_add_u64 v[6:7], v[62:63], 0, v[36:37]
	global_load_dwordx4 v[22:25], v[6:7], off
	global_load_dwordx4 v[18:21], v[6:7], off offset:16
	v_mfma_f32_16x16x16_bf16 v[6:9], v[46:47], v[10:11], 0
	s_waitcnt vmcnt(7)
	v_mad_i64_i32 v[10:11], s[6:7], v84, s9, 0
	v_mfma_f32_16x16x16_bf16 v[6:9], v[48:49], v[12:13], v[6:9]
	v_lshlrev_b64 v[50:51], 1, v[10:11]
	v_lshl_add_u64 v[10:11], v[62:63], 0, v[50:51]
	v_mfma_f32_16x16x16_bf16 v[6:9], v[54:55], v[2:3], v[6:9]
	s_waitcnt vmcnt(6)
	v_mad_i64_i32 v[2:3], s[6:7], v64, s9, 0
	v_lshlrev_b64 v[52:53], 1, v[2:3]
	v_mfma_f32_16x16x16_bf16 v[46:49], v[56:57], v[4:5], v[6:9]
	v_lshl_add_u64 v[2:3], v[62:63], 0, v[52:53]
	v_pk_mul_f32 v[62:63], s[8:9], v[78:79] op_sel_hi:[0,1]
	v_lshl_add_u64 v[64:65], s[4:5], 0, v[34:35]
	v_mfma_f32_16x16x16_bf16 v[14:17], v[58:59], v[38:39], v[14:17]
	v_lshl_add_u64 v[34:35], v[64:65], 0, v[82:83]
	v_pk_mul_f32 v[82:83], s[8:9], v[80:81] op_sel_hi:[0,1]
	v_pk_mul_f32 v[78:79], s[8:9], v[88:89] op_sel_hi:[0,1]
	v_mfma_f32_16x16x16_bf16 v[58:61], v[60:61], v[40:41], v[14:17]
	v_pk_mul_f32 v[80:81], s[8:9], v[90:91] op_sel_hi:[0,1]
	s_nop 1
	global_load_dwordx4 v[14:17], v[10:11], off
	s_nop 0
	global_load_dwordx4 v[10:13], v[10:11], off offset:16
	s_nop 0
	global_load_dwordx4 v[6:9], v[2:3], off
	s_nop 0
	global_load_dwordx4 v[2:5], v[2:3], off offset:16
	s_waitcnt vmcnt(8)
	v_mfma_f32_16x16x16_bf16 v[46:49], v[42:43], v[66:67], v[46:49]
	v_pk_mul_f32 v[84:85], s[8:9], v[60:61] op_sel_hi:[0,1]
	v_lshl_add_u64 v[50:51], v[64:65], 0, v[50:51]
	v_mfma_f32_16x16x16_bf16 v[42:45], v[44:45], v[68:69], v[46:49]
	v_mfma_f32_16x16x16_bf16 v[42:45], v[70:71], v[38:39], v[42:45]
	v_pk_mul_f32 v[70:71], s[8:9], v[58:59] op_sel_hi:[0,1]
	v_mfma_f32_16x16x16_bf16 v[38:41], v[72:73], v[40:41], v[42:45]
	s_nop 6
	v_pk_mul_f32 v[72:73], s[8:9], v[38:39] op_sel_hi:[0,1]
	v_and_b32_e32 v38, 0xc0, v0
	v_add_u32_e32 v38, s18, v38
	v_lshl_or_b32 v38, v86, 2, v38
	v_pk_mul_f32 v[66:67], s[8:9], v[40:41] op_sel_hi:[0,1]
	v_or_b32_e32 v41, 1, v38
	v_mov_b32_e32 v39, 0xff7fffff
	v_cmp_gt_i32_e64 s[28:29], s33, v38
	v_cmp_gt_i32_e64 s[30:31], s33, v41
	v_or_b32_e32 v42, 3, v38
	v_cndmask_b32_e64 v40, v39, v62, s[28:29]
	v_cndmask_b32_e64 v41, v39, v63, s[30:31]
	v_max3_f32 v40, v40, s41, v41
	v_or_b32_e32 v41, 2, v38
	v_cmp_gt_i32_e64 s[34:35], s33, v41
	v_cmp_gt_i32_e64 s[36:37], s33, v42
	s_nop 0
	v_cndmask_b32_e64 v41, v39, v82, s[34:35]
	v_cndmask_b32_e64 v42, v39, v83, s[36:37]
	v_max3_f32 v40, v40, v41, v42
	v_or_b32_e32 v41, 16, v38
	v_or_b32_e32 v42, 17, v38
	v_cmp_gt_i32_e64 s[22:23], s33, v41
	v_cmp_gt_i32_e64 s[24:25], s33, v42
	s_nop 0
	v_cndmask_b32_e64 v41, v39, v70, s[22:23]
	v_cndmask_b32_e64 v42, v39, v71, s[24:25]
	v_max3_f32 v40, v40, v41, v42
	v_or_b32_e32 v41, 18, v38
	;; [unrolled: 8-line block ×6, first 2 shown]
	v_or_b32_e32 v38, 51, v38
	v_cmp_gt_i32_e32 vcc, s33, v41
	v_cmp_gt_i32_e64 s[4:5], s33, v38
	s_nop 0
	v_cndmask_b32_e32 v41, v39, v66, vcc
	v_cndmask_b32_e64 v38, v39, v67, s[4:5]
	v_max3_f32 v54, v40, v41, v38
	v_mbcnt_lo_u32_b32 v38, -1, 0
	v_mbcnt_hi_u32_b32 v55, -1, v38
	v_and_b32_e32 v38, 64, v55
	v_add_u32_e32 v56, 64, v38
	v_xor_b32_e32 v38, 32, v55
	v_cmp_lt_i32_e64 s[38:39], v38, v56
	s_nop 1
	v_cndmask_b32_e64 v38, v55, v38, s[38:39]
	v_lshlrev_b32_e32 v89, 2, v38
	ds_bpermute_b32 v57, v89, v54
	global_load_dwordx4 v[46:49], v[34:35], off
	global_load_dwordx4 v[38:41], v[34:35], off offset:16
	v_lshl_add_u64 v[34:35], v[64:65], 0, v[36:37]
	global_load_dwordx4 v[42:45], v[34:35], off
	s_nop 0
	global_load_dwordx4 v[34:37], v[34:35], off offset:16
	s_waitcnt lgkmcnt(0)
	v_max_f32_e32 v57, v57, v57
	v_max_f32_e32 v68, v54, v57
	v_xor_b32_e32 v54, 16, v55
	v_cmp_lt_i32_e64 s[38:39], v54, v56
	s_nop 1
	v_cndmask_b32_e64 v54, v55, v54, s[38:39]
	v_lshlrev_b32_e32 v90, 2, v54
	ds_bpermute_b32 v69, v90, v68
	global_load_dwordx4 v[58:61], v[50:51], off
	global_load_dwordx4 v[54:57], v[50:51], off offset:16
	v_lshl_add_u64 v[50:51], v[64:65], 0, v[52:53]
	s_waitcnt lgkmcnt(0)
	v_max_f32_e32 v52, v69, v69
	v_max_f32_e32 v88, v68, v52
	v_sub_f32_e32 v52, v62, v88
	v_mul_f32_e32 v52, 0x3fb8aa3b, v52
	v_exp_f32_e32 v68, v52
	v_sub_f32_e32 v52, v63, v88
	v_mul_f32_e32 v52, 0x3fb8aa3b, v52
	v_exp_f32_e32 v69, v52
	global_load_dwordx4 v[62:65], v[50:51], off
	s_nop 0
	global_load_dwordx4 v[50:53], v[50:51], off offset:16
	v_sub_f32_e32 v82, v82, v88
	v_mul_f32_e32 v82, 0x3fb8aa3b, v82
	v_sub_f32_e32 v83, v83, v88
	v_exp_f32_e32 v82, v82
	v_mul_f32_e32 v83, 0x3fb8aa3b, v83
	v_sub_f32_e32 v70, v70, v88
	v_exp_f32_e32 v83, v83
	v_mul_f32_e32 v70, 0x3fb8aa3b, v70
	v_sub_f32_e32 v71, v71, v88
	v_cndmask_b32_e64 v68, 0, v68, s[28:29]
	v_exp_f32_e32 v70, v70
	v_mul_f32_e32 v71, 0x3fb8aa3b, v71
	v_sub_f32_e32 v84, v84, v88
	v_add_f32_e32 v91, 0, v68
	v_cndmask_b32_e64 v69, 0, v69, s[30:31]
	v_exp_f32_e32 v71, v71
	v_mul_f32_e32 v84, 0x3fb8aa3b, v84
	v_sub_f32_e32 v85, v85, v88
	v_add_f32_e32 v91, v91, v69
	;; [unrolled: 5-line block ×10, first 2 shown]
	v_cndmask_b32_e64 v80, 0, v80, s[10:11]
	v_exp_f32_e32 v66, v66
	v_mul_f32_e32 v67, 0x3fb8aa3b, v67
	v_add_f32_e32 v91, v91, v80
	v_cndmask_b32_e64 v81, 0, v81, s[12:13]
	v_exp_f32_e32 v67, v67
	v_add_f32_e32 v91, v91, v81
	v_cndmask_b32_e64 v72, 0, v72, s[6:7]
	v_add_f32_e32 v91, v91, v72
	v_cndmask_b32_e64 v73, 0, v73, s[8:9]
	v_add_f32_e32 v91, v91, v73
	v_cndmask_b32_e32 v66, 0, v66, vcc
	v_add_f32_e32 v91, v91, v66
	v_cndmask_b32_e64 v67, 0, v67, s[4:5]
	v_add_f32_e32 v91, v91, v67
	ds_bpermute_b32 v89, v89, v91
	v_cmp_gt_u32_e64 s[4:5], 16, v87
	s_waitcnt lgkmcnt(0)
	s_barrier
	v_add_f32_e32 v89, v91, v89
	ds_bpermute_b32 v90, v90, v89
	s_and_saveexec_b64 s[6:7], s[4:5]
	s_cbranch_execz .LBB624_13
; %bb.12:
	s_waitcnt lgkmcnt(0)
	v_add_f32_e32 v87, v89, v90
	v_lshlrev_b32_e32 v75, 2, v75
	ds_write2st64_b32 v75, v88, v87 offset1:1
.LBB624_13:
	s_or_b64 exec, exec, s[6:7]
	v_lshlrev_b32_e32 v75, 2, v76
	s_load_dword s8, s[0:1], 0x94
	s_waitcnt lgkmcnt(0)
	s_barrier
	ds_read2_b32 v[88:89], v75 offset1:16
	ds_read2_b32 v[90:91], v75 offset0:32 offset1:48
	ds_read2_b32 v[92:93], v75 offset0:64 offset1:80
	;; [unrolled: 1-line block ×3, first 2 shown]
	s_movk_i32 s10, 0x7fff
	s_waitcnt lgkmcnt(3)
	v_max3_f32 v87, v88, s41, v89
	s_waitcnt lgkmcnt(2)
	v_max3_f32 v87, v87, v90, v91
	v_sub_f32_e32 v88, v88, v87
	v_mul_f32_e32 v88, 0x3fb8aa3b, v88
	v_exp_f32_e32 v1, v88
	v_sub_f32_e32 v88, v89, v87
	v_mul_f32_e32 v88, 0x3fb8aa3b, v88
	v_exp_f32_e32 v89, v88
	v_sub_f32_e32 v88, v90, v87
	v_mul_f32_e32 v88, 0x3fb8aa3b, v88
	v_sub_f32_e32 v75, v91, v87
	v_exp_f32_e32 v90, v88
	v_mul_f32_e32 v75, 0x3fb8aa3b, v75
	v_exp_f32_e32 v75, v75
	s_waitcnt lgkmcnt(1)
	v_fma_f32 v88, v1, v92, 0
	v_fmac_f32_e32 v88, v89, v93
	s_waitcnt lgkmcnt(0)
	v_fmac_f32_e32 v88, v90, v94
	v_fmac_f32_e32 v88, v75, v95
	v_add_f32_e32 v91, 0x358637bd, v88
	v_div_scale_f32 v92, s[6:7], v91, v91, 1.0
	v_rcp_f32_e32 v93, v92
	s_mov_b32 s11, 0x7060302
	s_barrier
	v_fma_f32 v94, -v92, v93, 1.0
	v_fmac_f32_e32 v93, v94, v93
	v_div_scale_f32 v94, vcc, 1.0, v91, 1.0
	v_mul_f32_e32 v95, v94, v93
	v_fma_f32 v86, -v92, v95, v94
	v_fmac_f32_e32 v95, v86, v93
	v_fma_f32 v86, -v92, v95, v94
	v_div_fmas_f32 v86, v86, v93, v95
	v_cmp_eq_u32_e32 vcc, 1, v77
	v_div_fixup_f32 v86, v86, v91, 1.0
	s_nop 0
	v_cndmask_b32_e32 v1, v1, v89, vcc
	v_cmp_eq_u32_e32 vcc, 2, v77
	s_mul_i32 s9, s27, 13
	s_nop 0
	v_cndmask_b32_e32 v1, v1, v90, vcc
	v_cmp_eq_u32_e32 vcc, 3, v77
	s_nop 1
	v_cndmask_b32_e32 v1, v1, v75, vcc
	v_mul_f32_e32 v90, v1, v86
	v_pk_mul_f32 v[68:69], v[90:91], v[68:69] op_sel_hi:[0,1]
	v_bfe_u32 v1, v69, 16, 1
	v_bfe_u32 v75, v68, 16, 1
	v_pk_mul_f32 v[82:83], v[90:91], v[82:83] op_sel_hi:[0,1]
	v_add3_u32 v68, v68, v75, s10
	v_add3_u32 v1, v69, v1, s10
	v_perm_b32 v92, v1, v68, s11
	v_bfe_u32 v1, v83, 16, 1
	v_bfe_u32 v68, v82, 16, 1
	v_add3_u32 v68, v82, v68, s10
	v_add3_u32 v1, v83, v1, s10
	v_bfe_u32 v86, v0, 4, 2
	v_perm_b32 v93, v1, v68, s11
	v_lshlrev_b32_e32 v1, 3, v86
	v_lshlrev_b32_e32 v68, 5, v76
	;; [unrolled: 1-line block ×3, first 2 shown]
	v_pk_mul_f32 v[70:71], v[90:91], v[70:71] op_sel_hi:[0,1]
	v_or3_b32 v75, v69, v68, v1
	v_bfe_u32 v1, v71, 16, 1
	v_bfe_u32 v69, v70, 16, 1
	v_pk_mul_f32 v[82:83], v[90:91], v[84:85] op_sel_hi:[0,1]
	v_add3_u32 v69, v70, v69, s10
	v_add3_u32 v1, v71, v1, s10
	v_perm_b32 v70, v1, v69, s11
	v_bfe_u32 v1, v83, 16, 1
	v_bfe_u32 v69, v82, 16, 1
	v_add3_u32 v69, v82, v69, s10
	v_add3_u32 v1, v83, v1, s10
	v_pk_mul_f32 v[78:79], v[90:91], v[78:79] op_sel_hi:[0,1]
	v_perm_b32 v71, v1, v69, s11
	v_bfe_u32 v1, v79, 16, 1
	v_bfe_u32 v69, v78, 16, 1
	ds_write2st64_b64 v75, v[92:93], v[70:71] offset1:1
	v_pk_mul_f32 v[70:71], v[90:91], v[80:81] op_sel_hi:[0,1]
	v_add3_u32 v69, v78, v69, s10
	v_add3_u32 v1, v79, v1, s10
	v_perm_b32 v78, v1, v69, s11
	v_bfe_u32 v1, v71, 16, 1
	v_bfe_u32 v69, v70, 16, 1
	v_add3_u32 v69, v70, v69, s10
	v_add3_u32 v1, v71, v1, s10
	v_pk_mul_f32 v[70:71], v[90:91], v[72:73] op_sel_hi:[0,1]
	v_perm_b32 v79, v1, v69, s11
	v_bfe_u32 v1, v71, 16, 1
	v_bfe_u32 v69, v70, 16, 1
	v_pk_mul_f32 v[66:67], v[90:91], v[66:67] op_sel_hi:[0,1]
	v_add3_u32 v69, v70, v69, s10
	v_add3_u32 v1, v71, v1, s10
	v_perm_b32 v70, v1, v69, s11
	v_bfe_u32 v1, v67, 16, 1
	v_bfe_u32 v69, v66, 16, 1
	v_add3_u32 v66, v66, v69, s10
	v_add3_u32 v1, v67, v1, s10
	v_perm_b32 v71, v1, v66, s11
	v_cmp_gt_u32_e32 vcc, 13, v0
	ds_write2st64_b64 v75, v[78:79], v[70:71] offset0:2 offset1:3
	s_and_saveexec_b64 s[6:7], vcc
	s_cbranch_execz .LBB624_15
; %bb.14:
	s_mov_b32 s41, 0
	v_mov_b32_e32 v77, 0
	v_lshl_add_u64 v[66:67], s[40:41], 0, v[76:77]
	v_mov_b32_e32 v1, s9
	v_mad_u64_u32 v[66:67], s[16:17], s2, v1, v[66:67]
	s_mul_i32 s3, s3, s9
	v_mov_b32_e32 v70, s26
	v_mov_b32_e32 v71, v77
	s_load_dwordx4 s[12:15], s[0:1], 0x58
	v_add_u32_e32 v1, s3, v67
	v_mad_u64_u32 v[66:67], s[16:17], v66, s8, v[70:71]
	v_mov_b32_e32 v70, v67
	v_mad_u64_u32 v[70:71], s[16:17], v1, s8, v[70:71]
	v_mov_b32_e32 v67, v70
	v_lshlrev_b64 v[66:67], 2, v[66:67]
	s_waitcnt lgkmcnt(0)
	v_lshl_add_u64 v[70:71], s[14:15], 0, v[66:67]
	v_lshl_add_u64 v[66:67], s[12:13], 0, v[66:67]
	global_store_dword v[70:71], v87, off
	global_store_dword v[66:67], v88, off
.LBB624_15:
	s_or_b64 exec, exec, s[6:7]
	v_lshl_or_b32 v1, v86, 9, v68
	s_waitcnt lgkmcnt(0)
	s_barrier
	ds_read_b128 v[70:73], v1
	ds_read_b128 v[66:69], v1 offset:16
	s_waitcnt vmcnt(15) lgkmcnt(1)
	v_mfma_f32_16x16x16_bf16 v[78:81], v[30:31], v[70:71], 0
	s_mov_b32 s3, 0
	v_cmp_gt_u32_e32 vcc, 64, v0
	v_mfma_f32_16x16x16_bf16 v[30:33], v[32:33], v[72:73], v[78:81]
	s_waitcnt vmcnt(14) lgkmcnt(0)
	v_mfma_f32_16x16x16_bf16 v[30:33], v[26:27], v[66:67], v[30:33]
	v_mfma_f32_16x16x16_bf16 v[26:29], v[28:29], v[68:69], v[30:33]
	s_nop 5
	ds_read_b128 v[30:33], v1 offset:2048
	ds_read_b128 v[78:81], v1 offset:2064
	s_waitcnt vmcnt(13) lgkmcnt(1)
	v_mfma_f32_16x16x16_bf16 v[26:29], v[22:23], v[30:31], v[26:29]
	v_mfma_f32_16x16x16_bf16 v[22:25], v[24:25], v[32:33], v[26:29]
	s_waitcnt vmcnt(12) lgkmcnt(0)
	v_mfma_f32_16x16x16_bf16 v[22:25], v[18:19], v[78:79], v[22:25]
	v_mfma_f32_16x16x16_bf16 v[18:21], v[20:21], v[80:81], v[22:25]
	s_nop 5
	ds_read_b128 v[22:25], v1 offset:4096
	ds_read_b128 v[26:29], v1 offset:4112
	s_waitcnt vmcnt(11) lgkmcnt(1)
	v_mfma_f32_16x16x16_bf16 v[18:21], v[14:15], v[22:23], v[18:21]
	v_mfma_f32_16x16x16_bf16 v[14:17], v[16:17], v[24:25], v[18:21]
	s_waitcnt vmcnt(10) lgkmcnt(0)
	v_mfma_f32_16x16x16_bf16 v[14:17], v[10:11], v[26:27], v[14:17]
	v_mfma_f32_16x16x16_bf16 v[10:13], v[12:13], v[28:29], v[14:17]
	s_nop 5
	ds_read_b128 v[14:17], v1 offset:6144
	ds_read_b128 v[18:21], v1 offset:6160
	s_waitcnt lgkmcnt(0)
	s_barrier
	s_waitcnt vmcnt(9)
	v_mfma_f32_16x16x16_bf16 v[10:13], v[6:7], v[14:15], v[10:13]
	v_mfma_f32_16x16x16_bf16 v[6:9], v[8:9], v[16:17], v[10:13]
	s_waitcnt vmcnt(8)
	v_mfma_f32_16x16x16_bf16 v[6:9], v[2:3], v[18:19], v[6:9]
	v_mfma_f32_16x16x16_bf16 v[2:5], v[4:5], v[20:21], v[6:9]
	;; [unrolled: 3-line block ×3, first 2 shown]
	s_nop 3
	v_bfe_u32 v1, v3, 16, 1
	v_bfe_u32 v10, v2, 16, 1
	v_add3_u32 v2, v2, v10, s10
	s_waitcnt vmcnt(6)
	v_mfma_f32_16x16x16_bf16 v[6:9], v[38:39], v[66:67], v[6:9]
	v_add3_u32 v1, v3, v1, s10
	v_perm_b32 v10, v1, v2, s11
	v_bfe_u32 v1, v5, 16, 1
	v_mfma_f32_16x16x16_bf16 v[6:9], v[40:41], v[68:69], v[6:9]
	v_bfe_u32 v2, v4, 16, 1
	v_add3_u32 v2, v4, v2, s10
	v_add3_u32 v1, v5, v1, s10
	s_waitcnt vmcnt(5)
	v_mfma_f32_16x16x16_bf16 v[6:9], v[42:43], v[30:31], v[6:9]
	v_perm_b32 v11, v1, v2, s11
	v_mfma_f32_16x16x16_bf16 v[6:9], v[44:45], v[32:33], v[6:9]
	s_waitcnt vmcnt(4)
	v_mfma_f32_16x16x16_bf16 v[6:9], v[34:35], v[78:79], v[6:9]
	v_mfma_f32_16x16x16_bf16 v[6:9], v[36:37], v[80:81], v[6:9]
	s_waitcnt vmcnt(3)
	v_mfma_f32_16x16x16_bf16 v[6:9], v[58:59], v[22:23], v[6:9]
	;; [unrolled: 3-line block ×5, first 2 shown]
	v_mfma_f32_16x16x16_bf16 v[2:5], v[52:53], v[20:21], v[6:9]
	s_nop 6
	v_bfe_u32 v1, v3, 16, 1
	v_bfe_u32 v6, v2, 16, 1
	v_add3_u32 v2, v2, v6, s10
	v_add3_u32 v1, v3, v1, s10
	v_perm_b32 v2, v1, v2, s11
	v_bfe_u32 v1, v5, 16, 1
	v_bfe_u32 v3, v4, 16, 1
	v_add3_u32 v3, v4, v3, s10
	v_add3_u32 v1, v5, v1, s10
	v_perm_b32 v3, v1, v3, s11
	ds_write2st64_b64 v75, v[10:11], v[2:3] offset1:1
	s_waitcnt lgkmcnt(0)
	s_barrier
	s_and_saveexec_b64 s[6:7], vcc
	s_cbranch_execz .LBB624_18
; %bb.16:
	s_load_dwordx2 s[6:7], s[0:1], 0x68
	s_lshl_b32 s0, s8, 7
	s_mul_i32 s1, s9, s2
	v_lshlrev_b32_e32 v3, 6, v76
	s_mul_hi_u32 s9, s1, s0
	s_mul_i32 s8, s1, s0
	v_lshlrev_b32_e32 v2, 4, v0
	v_lshl_or_b32 v0, v0, 10, v3
	s_lshl_b64 s[8:9], s[8:9], 1
	v_lshlrev_b32_e32 v1, 5, v86
	v_and_b32_e32 v2, 16, v2
	v_and_b32_e32 v0, 0x1a00, v0
	s_waitcnt lgkmcnt(0)
	s_add_u32 s1, s6, s8
	v_or3_b32 v2, v0, v1, v2
	s_addc_u32 s6, s7, s9
	s_lshl_b32 s2, s26, 7
	ds_read_b128 v[4:7], v2 offset:256
	s_lshl_b64 s[2:3], s[2:3], 1
	ds_read_b128 v[8:11], v2 offset:128
	ds_read_b128 v[12:15], v2
	s_add_u32 s2, s1, s2
	s_addc_u32 s3, s6, s3
	v_mov_b32_e32 v75, 0
	v_add_u32_e32 v3, s40, v86
	v_lshl_add_u64 v[0:1], s[2:3], 0, v[74:75]
	v_mad_u64_u32 v[16:17], s[2:3], v3, s0, 0
	v_lshl_add_u64 v[16:17], v[16:17], 1, v[0:1]
	s_waitcnt lgkmcnt(0)
	global_store_dwordx4 v[16:17], v[12:15], off
	s_nop 1
	v_add_u32_e32 v12, 4, v3
	v_mad_u64_u32 v[12:13], s[2:3], v12, s0, 0
	v_lshl_add_u64 v[12:13], v[12:13], 1, v[0:1]
	v_add_u32_e32 v3, 8, v3
	global_store_dwordx4 v[12:13], v[8:11], off
	s_nop 1
	v_mad_u64_u32 v[8:9], s[2:3], v3, s0, 0
	v_lshl_add_u64 v[8:9], v[8:9], 1, v[0:1]
	global_store_dwordx4 v[8:9], v[4:7], off
	s_and_b64 exec, exec, s[4:5]
	s_cbranch_execz .LBB624_18
; %bb.17:
	ds_read_b128 v[2:5], v2 offset:384
	v_add3_u32 v6, s40, v86, 12
	v_mad_u64_u32 v[6:7], s[0:1], v6, s0, 0
	v_lshl_add_u64 v[0:1], v[6:7], 1, v[0:1]
	s_waitcnt lgkmcnt(0)
	global_store_dwordx4 v[0:1], v[2:5], off
.LBB624_18:
	s_endpgm
	.section	.rodata,"a",@progbits
	.p2align	6, 0x0
	.amdhsa_kernel _Z39paged_attention_ll4mi_QKV_mfma16_kernelI14__hip_bfloat16S0_LN4vllm18Fp8KVCacheDataTypeE0EhLi16ELi128ELi256ELb0ELi13EEvPKT_PKT0_S8_ifPKiSA_SA_iPKfiiiPfSD_PS3_PT2_iSC_SC_
		.amdhsa_group_segment_fixed_size 8192
		.amdhsa_private_segment_fixed_size 0
		.amdhsa_kernarg_size 400
		.amdhsa_user_sgpr_count 2
		.amdhsa_user_sgpr_dispatch_ptr 0
		.amdhsa_user_sgpr_queue_ptr 0
		.amdhsa_user_sgpr_kernarg_segment_ptr 1
		.amdhsa_user_sgpr_dispatch_id 0
		.amdhsa_user_sgpr_kernarg_preload_length 0
		.amdhsa_user_sgpr_kernarg_preload_offset 0
		.amdhsa_user_sgpr_private_segment_size 0
		.amdhsa_uses_dynamic_stack 0
		.amdhsa_enable_private_segment 0
		.amdhsa_system_sgpr_workgroup_id_x 1
		.amdhsa_system_sgpr_workgroup_id_y 1
		.amdhsa_system_sgpr_workgroup_id_z 1
		.amdhsa_system_sgpr_workgroup_info 0
		.amdhsa_system_vgpr_workitem_id 0
		.amdhsa_next_free_vgpr 96
		.amdhsa_next_free_sgpr 42
		.amdhsa_accum_offset 96
		.amdhsa_reserve_vcc 1
		.amdhsa_float_round_mode_32 0
		.amdhsa_float_round_mode_16_64 0
		.amdhsa_float_denorm_mode_32 3
		.amdhsa_float_denorm_mode_16_64 3
		.amdhsa_dx10_clamp 1
		.amdhsa_ieee_mode 1
		.amdhsa_fp16_overflow 0
		.amdhsa_tg_split 0
		.amdhsa_exception_fp_ieee_invalid_op 0
		.amdhsa_exception_fp_denorm_src 0
		.amdhsa_exception_fp_ieee_div_zero 0
		.amdhsa_exception_fp_ieee_overflow 0
		.amdhsa_exception_fp_ieee_underflow 0
		.amdhsa_exception_fp_ieee_inexact 0
		.amdhsa_exception_int_div_zero 0
	.end_amdhsa_kernel
	.section	.text._Z39paged_attention_ll4mi_QKV_mfma16_kernelI14__hip_bfloat16S0_LN4vllm18Fp8KVCacheDataTypeE0EhLi16ELi128ELi256ELb0ELi13EEvPKT_PKT0_S8_ifPKiSA_SA_iPKfiiiPfSD_PS3_PT2_iSC_SC_,"axG",@progbits,_Z39paged_attention_ll4mi_QKV_mfma16_kernelI14__hip_bfloat16S0_LN4vllm18Fp8KVCacheDataTypeE0EhLi16ELi128ELi256ELb0ELi13EEvPKT_PKT0_S8_ifPKiSA_SA_iPKfiiiPfSD_PS3_PT2_iSC_SC_,comdat
.Lfunc_end624:
	.size	_Z39paged_attention_ll4mi_QKV_mfma16_kernelI14__hip_bfloat16S0_LN4vllm18Fp8KVCacheDataTypeE0EhLi16ELi128ELi256ELb0ELi13EEvPKT_PKT0_S8_ifPKiSA_SA_iPKfiiiPfSD_PS3_PT2_iSC_SC_, .Lfunc_end624-_Z39paged_attention_ll4mi_QKV_mfma16_kernelI14__hip_bfloat16S0_LN4vllm18Fp8KVCacheDataTypeE0EhLi16ELi128ELi256ELb0ELi13EEvPKT_PKT0_S8_ifPKiSA_SA_iPKfiiiPfSD_PS3_PT2_iSC_SC_
                                        ; -- End function
	.section	.AMDGPU.csdata,"",@progbits
; Kernel info:
; codeLenInByte = 4768
; NumSgprs: 48
; NumVgprs: 96
; NumAgprs: 0
; TotalNumVgprs: 96
; ScratchSize: 0
; MemoryBound: 0
; FloatMode: 240
; IeeeMode: 1
; LDSByteSize: 8192 bytes/workgroup (compile time only)
; SGPRBlocks: 5
; VGPRBlocks: 11
; NumSGPRsForWavesPerEU: 48
; NumVGPRsForWavesPerEU: 96
; AccumOffset: 96
; Occupancy: 5
; WaveLimiterHint : 1
; COMPUTE_PGM_RSRC2:SCRATCH_EN: 0
; COMPUTE_PGM_RSRC2:USER_SGPR: 2
; COMPUTE_PGM_RSRC2:TRAP_HANDLER: 0
; COMPUTE_PGM_RSRC2:TGID_X_EN: 1
; COMPUTE_PGM_RSRC2:TGID_Y_EN: 1
; COMPUTE_PGM_RSRC2:TGID_Z_EN: 1
; COMPUTE_PGM_RSRC2:TIDIG_COMP_CNT: 0
; COMPUTE_PGM_RSRC3_GFX90A:ACCUM_OFFSET: 23
; COMPUTE_PGM_RSRC3_GFX90A:TG_SPLIT: 0
	.section	.text._Z39paged_attention_ll4mi_QKV_mfma16_kernelI14__hip_bfloat16S0_LN4vllm18Fp8KVCacheDataTypeE0EhLi16ELi128ELi256ELb0ELi14EEvPKT_PKT0_S8_ifPKiSA_SA_iPKfiiiPfSD_PS3_PT2_iSC_SC_,"axG",@progbits,_Z39paged_attention_ll4mi_QKV_mfma16_kernelI14__hip_bfloat16S0_LN4vllm18Fp8KVCacheDataTypeE0EhLi16ELi128ELi256ELb0ELi14EEvPKT_PKT0_S8_ifPKiSA_SA_iPKfiiiPfSD_PS3_PT2_iSC_SC_,comdat
	.protected	_Z39paged_attention_ll4mi_QKV_mfma16_kernelI14__hip_bfloat16S0_LN4vllm18Fp8KVCacheDataTypeE0EhLi16ELi128ELi256ELb0ELi14EEvPKT_PKT0_S8_ifPKiSA_SA_iPKfiiiPfSD_PS3_PT2_iSC_SC_ ; -- Begin function _Z39paged_attention_ll4mi_QKV_mfma16_kernelI14__hip_bfloat16S0_LN4vllm18Fp8KVCacheDataTypeE0EhLi16ELi128ELi256ELb0ELi14EEvPKT_PKT0_S8_ifPKiSA_SA_iPKfiiiPfSD_PS3_PT2_iSC_SC_
	.globl	_Z39paged_attention_ll4mi_QKV_mfma16_kernelI14__hip_bfloat16S0_LN4vllm18Fp8KVCacheDataTypeE0EhLi16ELi128ELi256ELb0ELi14EEvPKT_PKT0_S8_ifPKiSA_SA_iPKfiiiPfSD_PS3_PT2_iSC_SC_
	.p2align	8
	.type	_Z39paged_attention_ll4mi_QKV_mfma16_kernelI14__hip_bfloat16S0_LN4vllm18Fp8KVCacheDataTypeE0EhLi16ELi128ELi256ELb0ELi14EEvPKT_PKT0_S8_ifPKiSA_SA_iPKfiiiPfSD_PS3_PT2_iSC_SC_,@function
_Z39paged_attention_ll4mi_QKV_mfma16_kernelI14__hip_bfloat16S0_LN4vllm18Fp8KVCacheDataTypeE0EhLi16ELi128ELi256ELb0ELi14EEvPKT_PKT0_S8_ifPKiSA_SA_iPKfiiiPfSD_PS3_PT2_iSC_SC_: ; @_Z39paged_attention_ll4mi_QKV_mfma16_kernelI14__hip_bfloat16S0_LN4vllm18Fp8KVCacheDataTypeE0EhLi16ELi128ELi256ELb0ELi14EEvPKT_PKT0_S8_ifPKiSA_SA_iPKfiiiPfSD_PS3_PT2_iSC_SC_
; %bb.0:
	s_load_dwordx2 s[8:9], s[0:1], 0x30
	s_mov_b32 s26, s3
	s_mov_b64 s[6:7], 0
	s_waitcnt lgkmcnt(0)
	s_cmp_lg_u64 s[8:9], 0
	s_cselect_b64 s[10:11], -1, 0
	s_and_b64 vcc, exec, s[10:11]
	s_cbranch_vccz .LBB625_7
; %bb.1:
	s_add_i32 s12, s2, 1
	s_mov_b32 s13, 0
	s_lshl_b64 s[14:15], s[12:13], 2
	s_add_u32 s14, s8, s14
	s_mov_b32 s3, s13
	s_addc_u32 s15, s9, s15
	s_lshl_b64 s[12:13], s[2:3], 2
	s_add_u32 s12, s8, s12
	s_addc_u32 s13, s9, s13
	s_load_dword s5, s[14:15], 0x0
	s_load_dword s16, s[12:13], 0x0
	s_waitcnt lgkmcnt(0)
	s_sub_i32 s5, s5, s16
	s_cmp_eq_u32 s5, 1
	s_cselect_b64 s[12:13], -1, 0
	s_andn2_b64 vcc, exec, s[6:7]
	s_cbranch_vccnz .LBB625_3
.LBB625_2:
	s_mov_b32 s3, 0
	s_mov_b64 s[12:13], -1
.LBB625_3:
	s_andn2_b64 vcc, exec, s[12:13]
	s_cbranch_vccnz .LBB625_18
; %bb.4:
	s_load_dwordx2 s[6:7], s[0:1], 0x28
	s_lshl_b64 s[16:17], s[2:3], 2
	s_waitcnt lgkmcnt(0)
	s_add_u32 s6, s6, s16
	s_addc_u32 s7, s7, s17
	s_load_dword s33, s[6:7], 0x0
	s_lshl_b32 s18, s26, 8
	s_waitcnt lgkmcnt(0)
	s_cmp_ge_i32 s18, s33
	s_cbranch_scc1 .LBB625_18
; %bb.5:
	s_load_dwordx2 s[6:7], s[0:1], 0x20
	s_load_dword s5, s[0:1], 0x38
	s_add_i32 s12, s33, 15
	s_ashr_i32 s13, s12, 31
	v_and_b32_e32 v1, 0xcf, v0
	s_lshr_b32 s13, s13, 28
	v_add_u32_e32 v1, s18, v1
	s_add_i32 s12, s12, s13
	v_ashrrev_i32_e32 v2, 31, v1
	s_ashr_i32 s19, s12, 4
	v_lshrrev_b32_e32 v4, 28, v2
	s_add_i32 s19, s19, -1
	s_waitcnt lgkmcnt(0)
	s_mul_i32 s12, s2, s5
	s_mov_b32 s13, 0
	v_add_u32_e32 v2, v1, v4
	s_lshl_b64 s[12:13], s[12:13], 2
	v_ashrrev_i32_e32 v2, 4, v2
	v_mov_b32_e32 v5, s19
	v_cmp_gt_i32_e32 vcc, s33, v1
	s_add_u32 s6, s6, s12
	s_addc_u32 s7, s7, s13
	v_cndmask_b32_e32 v2, v5, v2, vcc
	v_ashrrev_i32_e32 v3, 31, v2
	v_lshl_add_u64 v[6:7], v[2:3], 2, s[6:7]
	v_or_b32_e32 v2, 16, v1
	v_add_u32_e32 v3, v2, v4
	v_ashrrev_i32_e32 v3, 4, v3
	v_cmp_gt_i32_e32 vcc, s33, v2
	s_load_dwordx4 s[12:15], s[0:1], 0x8
	s_nop 0
	v_cndmask_b32_e32 v2, v5, v3, vcc
	v_ashrrev_i32_e32 v3, 31, v2
	v_lshl_add_u64 v[8:9], v[2:3], 2, s[6:7]
	v_or_b32_e32 v2, 32, v1
	v_add_u32_e32 v3, v2, v4
	v_ashrrev_i32_e32 v3, 4, v3
	v_cmp_gt_i32_e32 vcc, s33, v2
	v_or_b32_e32 v1, 48, v1
	s_nop 0
	v_cndmask_b32_e32 v2, v5, v3, vcc
	v_ashrrev_i32_e32 v3, 31, v2
	v_lshl_add_u64 v[10:11], v[2:3], 2, s[6:7]
	v_add_u32_e32 v2, v1, v4
	v_ashrrev_i32_e32 v2, 4, v2
	v_cmp_gt_i32_e32 vcc, s33, v1
	s_nop 1
	v_cndmask_b32_e32 v2, v5, v2, vcc
	v_ashrrev_i32_e32 v3, 31, v2
	v_lshl_add_u64 v[12:13], v[2:3], 2, s[6:7]
	global_load_dword v4, v[6:7], off
	global_load_dword v3, v[8:9], off
	;; [unrolled: 1-line block ×4, first 2 shown]
	s_andn2_b64 vcc, exec, s[10:11]
	s_cbranch_vccnz .LBB625_8
; %bb.6:
	s_add_u32 s8, s8, s16
	s_addc_u32 s9, s9, s17
	s_load_dword s5, s[8:9], 0x0
	s_branch .LBB625_9
.LBB625_7:
	s_mov_b64 s[12:13], 0
	s_branch .LBB625_2
.LBB625_8:
	s_mov_b32 s5, s2
.LBB625_9:
	s_load_dwordx4 s[8:11], s[0:1], 0x48
	v_lshrrev_b32_e32 v77, 6, v0
	v_bfe_u32 v86, v0, 4, 2
	v_and_b32_e32 v76, 15, v0
	v_lshl_or_b32 v1, v77, 2, v86
	v_lshlrev_b32_e32 v5, 3, v76
	v_and_b32_e32 v87, 63, v0
	s_mul_i32 s40, s4, 14
	v_cmp_gt_u32_e32 vcc, 14, v1
	v_lshlrev_b32_e32 v74, 1, v5
	s_and_saveexec_b64 s[16:17], vcc
	s_cbranch_execz .LBB625_11
; %bb.10:
	s_load_dwordx2 s[20:21], s[0:1], 0x0
	s_waitcnt lgkmcnt(0)
	s_ashr_i32 s11, s8, 31
	s_mul_hi_u32 s22, s5, s8
	s_mul_i32 s11, s5, s11
	s_add_i32 s23, s22, s11
	s_mul_i32 s22, s5, s8
	s_lshl_b64 s[22:23], s[22:23], 1
	s_add_u32 s20, s20, s22
	v_add_lshl_u32 v6, v1, s40, 7
	s_addc_u32 s21, s21, s23
	v_ashrrev_i32_e32 v7, 31, v6
	v_lshl_add_u64 v[6:7], v[6:7], 1, s[20:21]
	v_mov_b32_e32 v75, 0
	v_lshl_add_u64 v[6:7], v[6:7], 0, v[74:75]
	global_load_dwordx4 v[6:9], v[6:7], off
	v_and_b32_e32 v5, 3, v0
	v_lshlrev_b32_e32 v10, 9, v76
	v_lshlrev_b32_e32 v1, 5, v1
	;; [unrolled: 1-line block ×3, first 2 shown]
	v_and_b32_e32 v10, 0x1800, v10
	v_or3_b32 v1, v10, v5, v1
	s_waitcnt vmcnt(0)
	ds_write_b128 v1, v[6:9]
.LBB625_11:
	s_or_b64 exec, exec, s[16:17]
	s_waitcnt lgkmcnt(0)
	s_mul_i32 s4, s4, s10
	s_mov_b32 s5, 0
	s_lshl_b64 s[4:5], s[4:5], 1
	s_add_u32 s10, s12, s4
	v_lshlrev_b32_e32 v1, 4, v0
	s_addc_u32 s11, s13, s5
	v_and_b32_e32 v34, 0xf0, v1
	v_mov_b32_e32 v35, 0
	v_lshl_add_u64 v[30:31], s[10:11], 0, v[34:35]
	s_waitcnt vmcnt(3)
	v_mad_i64_i32 v[4:5], s[10:11], v4, s9, 0
	v_lshl_add_u64 v[4:5], v[4:5], 1, v[30:31]
	v_and_b32_e32 v34, 0x300, v1
	v_lshl_add_u64 v[32:33], v[4:5], 0, v[34:35]
	s_load_dword s27, s[0:1], 0x98
	s_load_dword s8, s[0:1], 0x1c
	s_waitcnt lgkmcnt(0)
	s_barrier
	global_load_dwordx4 v[6:9], v[32:33], off
	global_load_dwordx4 v[18:21], v[32:33], off offset:1024
	s_waitcnt vmcnt(4)
	v_mad_i64_i32 v[4:5], s[10:11], v3, s9, 0
	s_waitcnt vmcnt(3)
	v_mad_i64_i32 v[2:3], s[10:11], v2, s9, 0
	v_lshl_add_u64 v[4:5], v[4:5], 1, v[30:31]
	v_lshl_add_u64 v[2:3], v[2:3], 1, v[30:31]
	;; [unrolled: 1-line block ×4, first 2 shown]
	global_load_dwordx4 v[14:17], v[36:37], off
	global_load_dwordx4 v[22:25], v[36:37], off offset:1024
	global_load_dwordx4 v[26:29], v[38:39], off
	global_load_dwordx4 v[46:49], v[38:39], off offset:1024
	v_add_u32_e32 v2, -14, v76
	v_cmp_gt_u32_e32 vcc, 14, v76
	global_load_dwordx4 v[54:57], v[32:33], off offset:2048
	global_load_dwordx4 v[62:65], v[36:37], off offset:2048
	v_cndmask_b32_e32 v2, v2, v76, vcc
	v_lshlrev_b32_e32 v2, 5, v2
	v_lshl_add_u32 v41, v86, 9, v2
	ds_read_b128 v[10:13], v41
	ds_read_b128 v[2:5], v41 offset:2048
	v_mov_b32_e32 v70, s19
	s_add_u32 s4, s14, s4
	s_addc_u32 s5, s15, s5
	s_mov_b32 s41, 0xff7fffff
	s_waitcnt vmcnt(7) lgkmcnt(1)
	v_mfma_f32_16x16x16_bf16 v[42:45], v[6:7], v[10:11], 0
	v_mfma_f32_16x16x16_bf16 v[6:9], v[8:9], v[12:13], v[42:45]
	s_nop 5
	global_load_dwordx4 v[42:45], v[38:39], off offset:2048
	s_waitcnt vmcnt(6)
	v_mfma_f32_16x16x16_bf16 v[50:53], v[14:15], v[10:11], 0
	s_waitcnt vmcnt(4)
	v_mfma_f32_16x16x16_bf16 v[58:61], v[26:27], v[10:11], 0
	v_mfma_f32_16x16x16_bf16 v[14:17], v[16:17], v[12:13], v[50:53]
	;; [unrolled: 1-line block ×3, first 2 shown]
	s_nop 2
	global_load_dwordx4 v[50:53], v[32:33], off offset:3072
	v_mad_i64_i32 v[32:33], s[10:11], v40, s9, 0
	s_waitcnt lgkmcnt(0)
	v_mfma_f32_16x16x16_bf16 v[6:9], v[18:19], v[2:3], v[6:9]
	v_and_or_b32 v40, v0, 48, s18
	v_ashrrev_i32_e32 v58, 4, v40
	v_cmp_gt_i32_e32 vcc, s33, v40
	v_mfma_f32_16x16x16_bf16 v[14:17], v[22:23], v[2:3], v[14:17]
	v_or_b32_e32 v66, 64, v40
	v_cndmask_b32_e32 v22, v70, v58, vcc
	v_ashrrev_i32_e32 v23, 31, v22
	s_waitcnt vmcnt(4)
	v_mfma_f32_16x16x16_bf16 v[26:29], v[46:47], v[2:3], v[26:29]
	v_or_b32_e32 v71, 0x80, v40
	v_or_b32_e32 v72, 0xc0, v40
	v_ashrrev_i32_e32 v40, 4, v66
	v_mfma_f32_16x16x16_bf16 v[6:9], v[20:21], v[4:5], v[6:9]
	global_load_dwordx4 v[18:21], v[38:39], off offset:3072
	v_cmp_gt_i32_e32 vcc, s33, v66
	v_lshl_add_u64 v[22:23], v[22:23], 2, s[6:7]
	global_load_dwordx4 v[58:61], v[36:37], off offset:3072
	v_cndmask_b32_e32 v36, v70, v40, vcc
	v_mfma_f32_16x16x16_bf16 v[14:17], v[24:25], v[4:5], v[14:17]
	global_load_dword v78, v[22:23], off
	ds_read_b128 v[66:69], v41 offset:4096
	v_ashrrev_i32_e32 v37, 31, v36
	v_mfma_f32_16x16x16_bf16 v[22:25], v[48:49], v[4:5], v[26:29]
	v_ashrrev_i32_e32 v73, 4, v71
	v_cmp_gt_i32_e32 vcc, s33, v71
	v_ashrrev_i32_e32 v75, 4, v72
	v_lshl_add_u64 v[26:27], v[32:33], 1, v[30:31]
	v_lshl_add_u64 v[26:27], v[26:27], 0, v[34:35]
	;; [unrolled: 1-line block ×3, first 2 shown]
	global_load_dwordx4 v[46:49], v[26:27], off
	global_load_dword v36, v[28:29], off
	s_waitcnt vmcnt(8) lgkmcnt(0)
	v_mfma_f32_16x16x16_bf16 v[6:9], v[54:55], v[66:67], v[6:9]
	v_cndmask_b32_e32 v28, v70, v73, vcc
	v_ashrrev_i32_e32 v29, 31, v28
	v_lshl_add_u64 v[28:29], v[28:29], 2, s[6:7]
	v_mfma_f32_16x16x16_bf16 v[6:9], v[56:57], v[68:69], v[6:9]
	global_load_dwordx4 v[54:57], v[26:27], off offset:1024
	v_cmp_gt_i32_e32 vcc, s33, v72
	global_load_dword v84, v[28:29], off
	s_waitcnt vmcnt(9)
	v_mfma_f32_16x16x16_bf16 v[14:17], v[62:63], v[66:67], v[14:17]
	v_cndmask_b32_e32 v28, v70, v75, vcc
	v_ashrrev_i32_e32 v29, 31, v28
	v_lshl_add_u64 v[28:29], v[28:29], 2, s[6:7]
	v_mfma_f32_16x16x16_bf16 v[14:17], v[64:65], v[68:69], v[14:17]
	global_load_dword v64, v[28:29], off
	ds_read_b128 v[38:41], v41 offset:6144
	v_lshl_or_b32 v75, v77, 4, v76
	v_lshlrev_b32_e32 v34, 5, v75
	v_lshl_add_u64 v[62:63], s[4:5], 0, v[34:35]
	v_or_b32_e32 v34, 0x800, v34
	s_waitcnt vmcnt(9)
	v_mfma_f32_16x16x16_bf16 v[22:25], v[42:43], v[66:67], v[22:25]
	global_load_dwordx4 v[70:73], v[26:27], off offset:3072
	v_mfma_f32_16x16x16_bf16 v[22:25], v[44:45], v[68:69], v[22:25]
	global_load_dwordx4 v[42:45], v[26:27], off offset:2048
	s_waitcnt vmcnt(10) lgkmcnt(0)
	v_mfma_f32_16x16x16_bf16 v[6:9], v[50:51], v[38:39], v[6:9]
	s_waitcnt vmcnt(9)
	v_mfma_f32_16x16x16_bf16 v[22:25], v[18:19], v[38:39], v[22:25]
	s_waitcnt vmcnt(7)
	v_mad_i64_i32 v[18:19], s[6:7], v78, s9, 0
	v_lshlrev_b64 v[82:83], 1, v[18:19]
	v_mfma_f32_16x16x16_bf16 v[78:81], v[52:53], v[40:41], v[6:9]
	s_nop 2
	v_lshl_add_u64 v[6:7], v[62:63], 0, v[82:83]
	global_load_dwordx4 v[30:33], v[6:7], off
	global_load_dwordx4 v[26:29], v[6:7], off offset:16
	v_mfma_f32_16x16x16_bf16 v[88:91], v[20:21], v[40:41], v[22:25]
	s_waitcnt vmcnt(7)
	v_mad_i64_i32 v[6:7], s[6:7], v36, s9, 0
	v_lshlrev_b64 v[36:37], 1, v[6:7]
	v_lshl_add_u64 v[6:7], v[62:63], 0, v[36:37]
	global_load_dwordx4 v[22:25], v[6:7], off
	global_load_dwordx4 v[18:21], v[6:7], off offset:16
	v_mfma_f32_16x16x16_bf16 v[6:9], v[46:47], v[10:11], 0
	s_waitcnt vmcnt(7)
	v_mad_i64_i32 v[10:11], s[6:7], v84, s9, 0
	v_mfma_f32_16x16x16_bf16 v[6:9], v[48:49], v[12:13], v[6:9]
	v_lshlrev_b64 v[50:51], 1, v[10:11]
	v_lshl_add_u64 v[10:11], v[62:63], 0, v[50:51]
	v_mfma_f32_16x16x16_bf16 v[6:9], v[54:55], v[2:3], v[6:9]
	s_waitcnt vmcnt(6)
	v_mad_i64_i32 v[2:3], s[6:7], v64, s9, 0
	v_lshlrev_b64 v[52:53], 1, v[2:3]
	v_mfma_f32_16x16x16_bf16 v[46:49], v[56:57], v[4:5], v[6:9]
	v_lshl_add_u64 v[2:3], v[62:63], 0, v[52:53]
	v_pk_mul_f32 v[62:63], s[8:9], v[78:79] op_sel_hi:[0,1]
	v_lshl_add_u64 v[64:65], s[4:5], 0, v[34:35]
	v_mfma_f32_16x16x16_bf16 v[14:17], v[58:59], v[38:39], v[14:17]
	v_lshl_add_u64 v[34:35], v[64:65], 0, v[82:83]
	v_pk_mul_f32 v[82:83], s[8:9], v[80:81] op_sel_hi:[0,1]
	v_pk_mul_f32 v[78:79], s[8:9], v[88:89] op_sel_hi:[0,1]
	v_mfma_f32_16x16x16_bf16 v[58:61], v[60:61], v[40:41], v[14:17]
	v_pk_mul_f32 v[80:81], s[8:9], v[90:91] op_sel_hi:[0,1]
	s_nop 1
	global_load_dwordx4 v[14:17], v[10:11], off
	s_nop 0
	global_load_dwordx4 v[10:13], v[10:11], off offset:16
	s_nop 0
	global_load_dwordx4 v[6:9], v[2:3], off
	s_nop 0
	global_load_dwordx4 v[2:5], v[2:3], off offset:16
	s_waitcnt vmcnt(8)
	v_mfma_f32_16x16x16_bf16 v[46:49], v[42:43], v[66:67], v[46:49]
	v_pk_mul_f32 v[84:85], s[8:9], v[60:61] op_sel_hi:[0,1]
	v_lshl_add_u64 v[50:51], v[64:65], 0, v[50:51]
	v_mfma_f32_16x16x16_bf16 v[42:45], v[44:45], v[68:69], v[46:49]
	v_mfma_f32_16x16x16_bf16 v[42:45], v[70:71], v[38:39], v[42:45]
	v_pk_mul_f32 v[70:71], s[8:9], v[58:59] op_sel_hi:[0,1]
	v_mfma_f32_16x16x16_bf16 v[38:41], v[72:73], v[40:41], v[42:45]
	s_nop 6
	v_pk_mul_f32 v[72:73], s[8:9], v[38:39] op_sel_hi:[0,1]
	v_and_b32_e32 v38, 0xc0, v0
	v_add_u32_e32 v38, s18, v38
	v_lshl_or_b32 v38, v86, 2, v38
	v_pk_mul_f32 v[66:67], s[8:9], v[40:41] op_sel_hi:[0,1]
	v_or_b32_e32 v41, 1, v38
	v_mov_b32_e32 v39, 0xff7fffff
	v_cmp_gt_i32_e64 s[28:29], s33, v38
	v_cmp_gt_i32_e64 s[30:31], s33, v41
	v_or_b32_e32 v42, 3, v38
	v_cndmask_b32_e64 v40, v39, v62, s[28:29]
	v_cndmask_b32_e64 v41, v39, v63, s[30:31]
	v_max3_f32 v40, v40, s41, v41
	v_or_b32_e32 v41, 2, v38
	v_cmp_gt_i32_e64 s[34:35], s33, v41
	v_cmp_gt_i32_e64 s[36:37], s33, v42
	s_nop 0
	v_cndmask_b32_e64 v41, v39, v82, s[34:35]
	v_cndmask_b32_e64 v42, v39, v83, s[36:37]
	v_max3_f32 v40, v40, v41, v42
	v_or_b32_e32 v41, 16, v38
	v_or_b32_e32 v42, 17, v38
	v_cmp_gt_i32_e64 s[22:23], s33, v41
	v_cmp_gt_i32_e64 s[24:25], s33, v42
	s_nop 0
	v_cndmask_b32_e64 v41, v39, v70, s[22:23]
	v_cndmask_b32_e64 v42, v39, v71, s[24:25]
	v_max3_f32 v40, v40, v41, v42
	v_or_b32_e32 v41, 18, v38
	;; [unrolled: 8-line block ×6, first 2 shown]
	v_or_b32_e32 v38, 51, v38
	v_cmp_gt_i32_e32 vcc, s33, v41
	v_cmp_gt_i32_e64 s[4:5], s33, v38
	s_nop 0
	v_cndmask_b32_e32 v41, v39, v66, vcc
	v_cndmask_b32_e64 v38, v39, v67, s[4:5]
	v_max3_f32 v54, v40, v41, v38
	v_mbcnt_lo_u32_b32 v38, -1, 0
	v_mbcnt_hi_u32_b32 v55, -1, v38
	v_and_b32_e32 v38, 64, v55
	v_add_u32_e32 v56, 64, v38
	v_xor_b32_e32 v38, 32, v55
	v_cmp_lt_i32_e64 s[38:39], v38, v56
	s_nop 1
	v_cndmask_b32_e64 v38, v55, v38, s[38:39]
	v_lshlrev_b32_e32 v89, 2, v38
	ds_bpermute_b32 v57, v89, v54
	global_load_dwordx4 v[46:49], v[34:35], off
	global_load_dwordx4 v[38:41], v[34:35], off offset:16
	v_lshl_add_u64 v[34:35], v[64:65], 0, v[36:37]
	global_load_dwordx4 v[42:45], v[34:35], off
	s_nop 0
	global_load_dwordx4 v[34:37], v[34:35], off offset:16
	s_waitcnt lgkmcnt(0)
	v_max_f32_e32 v57, v57, v57
	v_max_f32_e32 v68, v54, v57
	v_xor_b32_e32 v54, 16, v55
	v_cmp_lt_i32_e64 s[38:39], v54, v56
	s_nop 1
	v_cndmask_b32_e64 v54, v55, v54, s[38:39]
	v_lshlrev_b32_e32 v90, 2, v54
	ds_bpermute_b32 v69, v90, v68
	global_load_dwordx4 v[58:61], v[50:51], off
	global_load_dwordx4 v[54:57], v[50:51], off offset:16
	v_lshl_add_u64 v[50:51], v[64:65], 0, v[52:53]
	s_waitcnt lgkmcnt(0)
	v_max_f32_e32 v52, v69, v69
	v_max_f32_e32 v88, v68, v52
	v_sub_f32_e32 v52, v62, v88
	v_mul_f32_e32 v52, 0x3fb8aa3b, v52
	v_exp_f32_e32 v68, v52
	v_sub_f32_e32 v52, v63, v88
	v_mul_f32_e32 v52, 0x3fb8aa3b, v52
	v_exp_f32_e32 v69, v52
	global_load_dwordx4 v[62:65], v[50:51], off
	s_nop 0
	global_load_dwordx4 v[50:53], v[50:51], off offset:16
	v_sub_f32_e32 v82, v82, v88
	v_mul_f32_e32 v82, 0x3fb8aa3b, v82
	v_sub_f32_e32 v83, v83, v88
	v_exp_f32_e32 v82, v82
	v_mul_f32_e32 v83, 0x3fb8aa3b, v83
	v_sub_f32_e32 v70, v70, v88
	v_exp_f32_e32 v83, v83
	v_mul_f32_e32 v70, 0x3fb8aa3b, v70
	v_sub_f32_e32 v71, v71, v88
	v_cndmask_b32_e64 v68, 0, v68, s[28:29]
	v_exp_f32_e32 v70, v70
	v_mul_f32_e32 v71, 0x3fb8aa3b, v71
	v_sub_f32_e32 v84, v84, v88
	v_add_f32_e32 v91, 0, v68
	v_cndmask_b32_e64 v69, 0, v69, s[30:31]
	v_exp_f32_e32 v71, v71
	v_mul_f32_e32 v84, 0x3fb8aa3b, v84
	v_sub_f32_e32 v85, v85, v88
	v_add_f32_e32 v91, v91, v69
	;; [unrolled: 5-line block ×10, first 2 shown]
	v_cndmask_b32_e64 v80, 0, v80, s[10:11]
	v_exp_f32_e32 v66, v66
	v_mul_f32_e32 v67, 0x3fb8aa3b, v67
	v_add_f32_e32 v91, v91, v80
	v_cndmask_b32_e64 v81, 0, v81, s[12:13]
	v_exp_f32_e32 v67, v67
	v_add_f32_e32 v91, v91, v81
	v_cndmask_b32_e64 v72, 0, v72, s[6:7]
	v_add_f32_e32 v91, v91, v72
	v_cndmask_b32_e64 v73, 0, v73, s[8:9]
	v_add_f32_e32 v91, v91, v73
	v_cndmask_b32_e32 v66, 0, v66, vcc
	v_add_f32_e32 v91, v91, v66
	v_cndmask_b32_e64 v67, 0, v67, s[4:5]
	v_add_f32_e32 v91, v91, v67
	ds_bpermute_b32 v89, v89, v91
	v_cmp_gt_u32_e32 vcc, 16, v87
	s_waitcnt lgkmcnt(0)
	s_barrier
	v_add_f32_e32 v89, v91, v89
	ds_bpermute_b32 v90, v90, v89
	s_and_saveexec_b64 s[4:5], vcc
	s_cbranch_execz .LBB625_13
; %bb.12:
	s_waitcnt lgkmcnt(0)
	v_add_f32_e32 v87, v89, v90
	v_lshlrev_b32_e32 v75, 2, v75
	ds_write2st64_b32 v75, v88, v87 offset1:1
.LBB625_13:
	s_or_b64 exec, exec, s[4:5]
	v_lshlrev_b32_e32 v75, 2, v76
	s_load_dword s6, s[0:1], 0x94
	s_waitcnt lgkmcnt(0)
	s_barrier
	ds_read2_b32 v[88:89], v75 offset1:16
	ds_read2_b32 v[90:91], v75 offset0:32 offset1:48
	ds_read2_b32 v[92:93], v75 offset0:64 offset1:80
	;; [unrolled: 1-line block ×3, first 2 shown]
	s_movk_i32 s8, 0x7fff
	s_waitcnt lgkmcnt(3)
	v_max3_f32 v87, v88, s41, v89
	s_waitcnt lgkmcnt(2)
	v_max3_f32 v87, v87, v90, v91
	v_sub_f32_e32 v88, v88, v87
	v_mul_f32_e32 v88, 0x3fb8aa3b, v88
	v_exp_f32_e32 v1, v88
	v_sub_f32_e32 v88, v89, v87
	v_mul_f32_e32 v88, 0x3fb8aa3b, v88
	v_exp_f32_e32 v89, v88
	v_sub_f32_e32 v88, v90, v87
	v_mul_f32_e32 v88, 0x3fb8aa3b, v88
	v_sub_f32_e32 v75, v91, v87
	v_exp_f32_e32 v90, v88
	v_mul_f32_e32 v75, 0x3fb8aa3b, v75
	v_exp_f32_e32 v75, v75
	s_waitcnt lgkmcnt(1)
	v_fma_f32 v88, v1, v92, 0
	v_fmac_f32_e32 v88, v89, v93
	s_waitcnt lgkmcnt(0)
	v_fmac_f32_e32 v88, v90, v94
	v_fmac_f32_e32 v88, v75, v95
	v_add_f32_e32 v91, 0x358637bd, v88
	v_div_scale_f32 v92, s[4:5], v91, v91, 1.0
	v_rcp_f32_e32 v93, v92
	s_mov_b32 s9, 0x7060302
	s_barrier
	v_fma_f32 v94, -v92, v93, 1.0
	v_fmac_f32_e32 v93, v94, v93
	v_div_scale_f32 v94, vcc, 1.0, v91, 1.0
	v_mul_f32_e32 v95, v94, v93
	v_fma_f32 v86, -v92, v95, v94
	v_fmac_f32_e32 v95, v86, v93
	v_fma_f32 v86, -v92, v95, v94
	v_div_fmas_f32 v86, v86, v93, v95
	v_cmp_eq_u32_e32 vcc, 1, v77
	v_div_fixup_f32 v86, v86, v91, 1.0
	s_nop 0
	v_cndmask_b32_e32 v1, v1, v89, vcc
	v_cmp_eq_u32_e32 vcc, 2, v77
	s_mul_i32 s7, s27, 14
	s_nop 0
	v_cndmask_b32_e32 v1, v1, v90, vcc
	v_cmp_eq_u32_e32 vcc, 3, v77
	s_nop 1
	v_cndmask_b32_e32 v1, v1, v75, vcc
	v_mul_f32_e32 v90, v1, v86
	v_pk_mul_f32 v[68:69], v[90:91], v[68:69] op_sel_hi:[0,1]
	v_bfe_u32 v1, v69, 16, 1
	v_bfe_u32 v75, v68, 16, 1
	v_pk_mul_f32 v[82:83], v[90:91], v[82:83] op_sel_hi:[0,1]
	v_add3_u32 v68, v68, v75, s8
	v_add3_u32 v1, v69, v1, s8
	v_perm_b32 v92, v1, v68, s9
	v_bfe_u32 v1, v83, 16, 1
	v_bfe_u32 v68, v82, 16, 1
	v_add3_u32 v68, v82, v68, s8
	v_add3_u32 v1, v83, v1, s8
	v_bfe_u32 v86, v0, 4, 2
	v_perm_b32 v93, v1, v68, s9
	v_lshlrev_b32_e32 v1, 3, v86
	v_lshlrev_b32_e32 v68, 5, v76
	;; [unrolled: 1-line block ×3, first 2 shown]
	v_pk_mul_f32 v[70:71], v[90:91], v[70:71] op_sel_hi:[0,1]
	v_or3_b32 v75, v69, v68, v1
	v_bfe_u32 v1, v71, 16, 1
	v_bfe_u32 v69, v70, 16, 1
	v_pk_mul_f32 v[82:83], v[90:91], v[84:85] op_sel_hi:[0,1]
	v_add3_u32 v69, v70, v69, s8
	v_add3_u32 v1, v71, v1, s8
	v_perm_b32 v70, v1, v69, s9
	v_bfe_u32 v1, v83, 16, 1
	v_bfe_u32 v69, v82, 16, 1
	v_add3_u32 v69, v82, v69, s8
	v_add3_u32 v1, v83, v1, s8
	v_pk_mul_f32 v[78:79], v[90:91], v[78:79] op_sel_hi:[0,1]
	v_perm_b32 v71, v1, v69, s9
	v_bfe_u32 v1, v79, 16, 1
	v_bfe_u32 v69, v78, 16, 1
	ds_write2st64_b64 v75, v[92:93], v[70:71] offset1:1
	v_pk_mul_f32 v[70:71], v[90:91], v[80:81] op_sel_hi:[0,1]
	v_add3_u32 v69, v78, v69, s8
	v_add3_u32 v1, v79, v1, s8
	v_perm_b32 v78, v1, v69, s9
	v_bfe_u32 v1, v71, 16, 1
	v_bfe_u32 v69, v70, 16, 1
	v_add3_u32 v69, v70, v69, s8
	v_add3_u32 v1, v71, v1, s8
	v_pk_mul_f32 v[70:71], v[90:91], v[72:73] op_sel_hi:[0,1]
	v_perm_b32 v79, v1, v69, s9
	v_bfe_u32 v1, v71, 16, 1
	v_bfe_u32 v69, v70, 16, 1
	v_pk_mul_f32 v[66:67], v[90:91], v[66:67] op_sel_hi:[0,1]
	v_add3_u32 v69, v70, v69, s8
	v_add3_u32 v1, v71, v1, s8
	v_perm_b32 v70, v1, v69, s9
	v_bfe_u32 v1, v67, 16, 1
	v_bfe_u32 v69, v66, 16, 1
	v_add3_u32 v66, v66, v69, s8
	v_add3_u32 v1, v67, v1, s8
	v_perm_b32 v71, v1, v66, s9
	v_cmp_gt_u32_e32 vcc, 14, v0
	ds_write2st64_b64 v75, v[78:79], v[70:71] offset0:2 offset1:3
	s_and_saveexec_b64 s[4:5], vcc
	s_cbranch_execz .LBB625_15
; %bb.14:
	s_mov_b32 s41, 0
	v_mov_b32_e32 v77, 0
	v_lshl_add_u64 v[66:67], s[40:41], 0, v[76:77]
	v_mov_b32_e32 v1, s7
	v_mad_u64_u32 v[66:67], s[10:11], s2, v1, v[66:67]
	s_mul_i32 s3, s3, s7
	v_mov_b32_e32 v70, s26
	v_mov_b32_e32 v71, v77
	s_load_dwordx4 s[12:15], s[0:1], 0x58
	v_add_u32_e32 v1, s3, v67
	v_mad_u64_u32 v[66:67], s[10:11], v66, s6, v[70:71]
	v_mov_b32_e32 v70, v67
	v_mad_u64_u32 v[70:71], s[10:11], v1, s6, v[70:71]
	v_mov_b32_e32 v67, v70
	v_lshlrev_b64 v[66:67], 2, v[66:67]
	s_waitcnt lgkmcnt(0)
	v_lshl_add_u64 v[70:71], s[14:15], 0, v[66:67]
	v_lshl_add_u64 v[66:67], s[12:13], 0, v[66:67]
	global_store_dword v[70:71], v87, off
	global_store_dword v[66:67], v88, off
.LBB625_15:
	s_or_b64 exec, exec, s[4:5]
	v_lshl_or_b32 v1, v86, 9, v68
	s_waitcnt lgkmcnt(0)
	s_barrier
	ds_read_b128 v[70:73], v1
	ds_read_b128 v[66:69], v1 offset:16
	s_waitcnt vmcnt(15) lgkmcnt(1)
	v_mfma_f32_16x16x16_bf16 v[78:81], v[30:31], v[70:71], 0
	s_mov_b32 s3, 0
	v_cmp_gt_u32_e32 vcc, 64, v0
	v_mfma_f32_16x16x16_bf16 v[30:33], v[32:33], v[72:73], v[78:81]
	s_waitcnt vmcnt(14) lgkmcnt(0)
	v_mfma_f32_16x16x16_bf16 v[30:33], v[26:27], v[66:67], v[30:33]
	v_mfma_f32_16x16x16_bf16 v[26:29], v[28:29], v[68:69], v[30:33]
	s_nop 5
	ds_read_b128 v[30:33], v1 offset:2048
	ds_read_b128 v[78:81], v1 offset:2064
	s_waitcnt vmcnt(13) lgkmcnt(1)
	v_mfma_f32_16x16x16_bf16 v[26:29], v[22:23], v[30:31], v[26:29]
	v_mfma_f32_16x16x16_bf16 v[22:25], v[24:25], v[32:33], v[26:29]
	s_waitcnt vmcnt(12) lgkmcnt(0)
	v_mfma_f32_16x16x16_bf16 v[22:25], v[18:19], v[78:79], v[22:25]
	v_mfma_f32_16x16x16_bf16 v[18:21], v[20:21], v[80:81], v[22:25]
	s_nop 5
	ds_read_b128 v[22:25], v1 offset:4096
	ds_read_b128 v[26:29], v1 offset:4112
	s_waitcnt vmcnt(11) lgkmcnt(1)
	v_mfma_f32_16x16x16_bf16 v[18:21], v[14:15], v[22:23], v[18:21]
	v_mfma_f32_16x16x16_bf16 v[14:17], v[16:17], v[24:25], v[18:21]
	s_waitcnt vmcnt(10) lgkmcnt(0)
	v_mfma_f32_16x16x16_bf16 v[14:17], v[10:11], v[26:27], v[14:17]
	v_mfma_f32_16x16x16_bf16 v[10:13], v[12:13], v[28:29], v[14:17]
	s_nop 5
	ds_read_b128 v[14:17], v1 offset:6144
	ds_read_b128 v[18:21], v1 offset:6160
	s_waitcnt lgkmcnt(0)
	s_barrier
	s_waitcnt vmcnt(9)
	v_mfma_f32_16x16x16_bf16 v[10:13], v[6:7], v[14:15], v[10:13]
	v_mfma_f32_16x16x16_bf16 v[6:9], v[8:9], v[16:17], v[10:13]
	s_waitcnt vmcnt(8)
	v_mfma_f32_16x16x16_bf16 v[6:9], v[2:3], v[18:19], v[6:9]
	v_mfma_f32_16x16x16_bf16 v[2:5], v[4:5], v[20:21], v[6:9]
	;; [unrolled: 3-line block ×3, first 2 shown]
	s_nop 3
	v_bfe_u32 v1, v3, 16, 1
	v_bfe_u32 v10, v2, 16, 1
	v_add3_u32 v2, v2, v10, s8
	s_waitcnt vmcnt(6)
	v_mfma_f32_16x16x16_bf16 v[6:9], v[38:39], v[66:67], v[6:9]
	v_add3_u32 v1, v3, v1, s8
	v_perm_b32 v10, v1, v2, s9
	v_bfe_u32 v1, v5, 16, 1
	v_mfma_f32_16x16x16_bf16 v[6:9], v[40:41], v[68:69], v[6:9]
	v_bfe_u32 v2, v4, 16, 1
	v_add3_u32 v2, v4, v2, s8
	v_add3_u32 v1, v5, v1, s8
	s_waitcnt vmcnt(5)
	v_mfma_f32_16x16x16_bf16 v[6:9], v[42:43], v[30:31], v[6:9]
	v_perm_b32 v11, v1, v2, s9
	v_mfma_f32_16x16x16_bf16 v[6:9], v[44:45], v[32:33], v[6:9]
	s_waitcnt vmcnt(4)
	v_mfma_f32_16x16x16_bf16 v[6:9], v[34:35], v[78:79], v[6:9]
	v_mfma_f32_16x16x16_bf16 v[6:9], v[36:37], v[80:81], v[6:9]
	s_waitcnt vmcnt(3)
	v_mfma_f32_16x16x16_bf16 v[6:9], v[58:59], v[22:23], v[6:9]
	;; [unrolled: 3-line block ×5, first 2 shown]
	v_mfma_f32_16x16x16_bf16 v[2:5], v[52:53], v[20:21], v[6:9]
	s_nop 6
	v_bfe_u32 v1, v3, 16, 1
	v_bfe_u32 v6, v2, 16, 1
	v_add3_u32 v2, v2, v6, s8
	v_add3_u32 v1, v3, v1, s8
	v_perm_b32 v2, v1, v2, s9
	v_bfe_u32 v1, v5, 16, 1
	v_bfe_u32 v3, v4, 16, 1
	v_add3_u32 v3, v4, v3, s8
	v_add3_u32 v1, v5, v1, s8
	v_perm_b32 v3, v1, v3, s9
	ds_write2st64_b64 v75, v[10:11], v[2:3] offset1:1
	s_waitcnt lgkmcnt(0)
	s_barrier
	s_and_saveexec_b64 s[4:5], vcc
	s_cbranch_execz .LBB625_18
; %bb.16:
	s_load_dwordx2 s[4:5], s[0:1], 0x68
	s_lshl_b32 s0, s6, 7
	s_mul_i32 s1, s7, s2
	v_lshlrev_b32_e32 v3, 6, v76
	s_mul_hi_u32 s7, s1, s0
	s_mul_i32 s6, s1, s0
	v_lshlrev_b32_e32 v2, 4, v0
	v_lshl_or_b32 v0, v0, 10, v3
	s_lshl_b64 s[6:7], s[6:7], 1
	v_lshlrev_b32_e32 v1, 5, v86
	v_and_b32_e32 v2, 16, v2
	v_and_b32_e32 v0, 0x1a00, v0
	s_waitcnt lgkmcnt(0)
	s_add_u32 s1, s4, s6
	v_or3_b32 v2, v0, v1, v2
	s_addc_u32 s4, s5, s7
	s_lshl_b32 s2, s26, 7
	ds_read_b128 v[4:7], v2 offset:256
	s_lshl_b64 s[2:3], s[2:3], 1
	ds_read_b128 v[8:11], v2 offset:128
	ds_read_b128 v[12:15], v2
	s_add_u32 s2, s1, s2
	s_addc_u32 s3, s4, s3
	v_mov_b32_e32 v75, 0
	v_add_u32_e32 v18, s40, v86
	v_lshl_add_u64 v[0:1], s[2:3], 0, v[74:75]
	v_mad_u64_u32 v[16:17], s[2:3], v18, s0, 0
	v_lshl_add_u64 v[16:17], v[16:17], 1, v[0:1]
	s_waitcnt lgkmcnt(0)
	global_store_dwordx4 v[16:17], v[12:15], off
	v_or_b32_e32 v3, 12, v86
	v_cmp_gt_u32_e32 vcc, 14, v3
	v_add_u32_e32 v12, 4, v18
	v_mad_u64_u32 v[12:13], s[2:3], v12, s0, 0
	v_lshl_add_u64 v[12:13], v[12:13], 1, v[0:1]
	global_store_dwordx4 v[12:13], v[8:11], off
	s_nop 1
	v_add_u32_e32 v8, 8, v18
	v_mad_u64_u32 v[8:9], s[2:3], v8, s0, 0
	v_lshl_add_u64 v[8:9], v[8:9], 1, v[0:1]
	global_store_dwordx4 v[8:9], v[4:7], off
	s_and_b64 exec, exec, vcc
	s_cbranch_execz .LBB625_18
; %bb.17:
	ds_read_b128 v[4:7], v2 offset:384
	v_add_u32_e32 v2, s40, v3
	v_mad_u64_u32 v[2:3], s[0:1], v2, s0, 0
	v_lshl_add_u64 v[0:1], v[2:3], 1, v[0:1]
	s_waitcnt lgkmcnt(0)
	global_store_dwordx4 v[0:1], v[4:7], off
.LBB625_18:
	s_endpgm
	.section	.rodata,"a",@progbits
	.p2align	6, 0x0
	.amdhsa_kernel _Z39paged_attention_ll4mi_QKV_mfma16_kernelI14__hip_bfloat16S0_LN4vllm18Fp8KVCacheDataTypeE0EhLi16ELi128ELi256ELb0ELi14EEvPKT_PKT0_S8_ifPKiSA_SA_iPKfiiiPfSD_PS3_PT2_iSC_SC_
		.amdhsa_group_segment_fixed_size 8192
		.amdhsa_private_segment_fixed_size 0
		.amdhsa_kernarg_size 400
		.amdhsa_user_sgpr_count 2
		.amdhsa_user_sgpr_dispatch_ptr 0
		.amdhsa_user_sgpr_queue_ptr 0
		.amdhsa_user_sgpr_kernarg_segment_ptr 1
		.amdhsa_user_sgpr_dispatch_id 0
		.amdhsa_user_sgpr_kernarg_preload_length 0
		.amdhsa_user_sgpr_kernarg_preload_offset 0
		.amdhsa_user_sgpr_private_segment_size 0
		.amdhsa_uses_dynamic_stack 0
		.amdhsa_enable_private_segment 0
		.amdhsa_system_sgpr_workgroup_id_x 1
		.amdhsa_system_sgpr_workgroup_id_y 1
		.amdhsa_system_sgpr_workgroup_id_z 1
		.amdhsa_system_sgpr_workgroup_info 0
		.amdhsa_system_vgpr_workitem_id 0
		.amdhsa_next_free_vgpr 96
		.amdhsa_next_free_sgpr 42
		.amdhsa_accum_offset 96
		.amdhsa_reserve_vcc 1
		.amdhsa_float_round_mode_32 0
		.amdhsa_float_round_mode_16_64 0
		.amdhsa_float_denorm_mode_32 3
		.amdhsa_float_denorm_mode_16_64 3
		.amdhsa_dx10_clamp 1
		.amdhsa_ieee_mode 1
		.amdhsa_fp16_overflow 0
		.amdhsa_tg_split 0
		.amdhsa_exception_fp_ieee_invalid_op 0
		.amdhsa_exception_fp_denorm_src 0
		.amdhsa_exception_fp_ieee_div_zero 0
		.amdhsa_exception_fp_ieee_overflow 0
		.amdhsa_exception_fp_ieee_underflow 0
		.amdhsa_exception_fp_ieee_inexact 0
		.amdhsa_exception_int_div_zero 0
	.end_amdhsa_kernel
	.section	.text._Z39paged_attention_ll4mi_QKV_mfma16_kernelI14__hip_bfloat16S0_LN4vllm18Fp8KVCacheDataTypeE0EhLi16ELi128ELi256ELb0ELi14EEvPKT_PKT0_S8_ifPKiSA_SA_iPKfiiiPfSD_PS3_PT2_iSC_SC_,"axG",@progbits,_Z39paged_attention_ll4mi_QKV_mfma16_kernelI14__hip_bfloat16S0_LN4vllm18Fp8KVCacheDataTypeE0EhLi16ELi128ELi256ELb0ELi14EEvPKT_PKT0_S8_ifPKiSA_SA_iPKfiiiPfSD_PS3_PT2_iSC_SC_,comdat
.Lfunc_end625:
	.size	_Z39paged_attention_ll4mi_QKV_mfma16_kernelI14__hip_bfloat16S0_LN4vllm18Fp8KVCacheDataTypeE0EhLi16ELi128ELi256ELb0ELi14EEvPKT_PKT0_S8_ifPKiSA_SA_iPKfiiiPfSD_PS3_PT2_iSC_SC_, .Lfunc_end625-_Z39paged_attention_ll4mi_QKV_mfma16_kernelI14__hip_bfloat16S0_LN4vllm18Fp8KVCacheDataTypeE0EhLi16ELi128ELi256ELb0ELi14EEvPKT_PKT0_S8_ifPKiSA_SA_iPKfiiiPfSD_PS3_PT2_iSC_SC_
                                        ; -- End function
	.section	.AMDGPU.csdata,"",@progbits
; Kernel info:
; codeLenInByte = 4764
; NumSgprs: 48
; NumVgprs: 96
; NumAgprs: 0
; TotalNumVgprs: 96
; ScratchSize: 0
; MemoryBound: 0
; FloatMode: 240
; IeeeMode: 1
; LDSByteSize: 8192 bytes/workgroup (compile time only)
; SGPRBlocks: 5
; VGPRBlocks: 11
; NumSGPRsForWavesPerEU: 48
; NumVGPRsForWavesPerEU: 96
; AccumOffset: 96
; Occupancy: 5
; WaveLimiterHint : 1
; COMPUTE_PGM_RSRC2:SCRATCH_EN: 0
; COMPUTE_PGM_RSRC2:USER_SGPR: 2
; COMPUTE_PGM_RSRC2:TRAP_HANDLER: 0
; COMPUTE_PGM_RSRC2:TGID_X_EN: 1
; COMPUTE_PGM_RSRC2:TGID_Y_EN: 1
; COMPUTE_PGM_RSRC2:TGID_Z_EN: 1
; COMPUTE_PGM_RSRC2:TIDIG_COMP_CNT: 0
; COMPUTE_PGM_RSRC3_GFX90A:ACCUM_OFFSET: 23
; COMPUTE_PGM_RSRC3_GFX90A:TG_SPLIT: 0
	.section	.text._Z39paged_attention_ll4mi_QKV_mfma16_kernelI14__hip_bfloat16S0_LN4vllm18Fp8KVCacheDataTypeE0EhLi16ELi128ELi256ELb0ELi15EEvPKT_PKT0_S8_ifPKiSA_SA_iPKfiiiPfSD_PS3_PT2_iSC_SC_,"axG",@progbits,_Z39paged_attention_ll4mi_QKV_mfma16_kernelI14__hip_bfloat16S0_LN4vllm18Fp8KVCacheDataTypeE0EhLi16ELi128ELi256ELb0ELi15EEvPKT_PKT0_S8_ifPKiSA_SA_iPKfiiiPfSD_PS3_PT2_iSC_SC_,comdat
	.protected	_Z39paged_attention_ll4mi_QKV_mfma16_kernelI14__hip_bfloat16S0_LN4vllm18Fp8KVCacheDataTypeE0EhLi16ELi128ELi256ELb0ELi15EEvPKT_PKT0_S8_ifPKiSA_SA_iPKfiiiPfSD_PS3_PT2_iSC_SC_ ; -- Begin function _Z39paged_attention_ll4mi_QKV_mfma16_kernelI14__hip_bfloat16S0_LN4vllm18Fp8KVCacheDataTypeE0EhLi16ELi128ELi256ELb0ELi15EEvPKT_PKT0_S8_ifPKiSA_SA_iPKfiiiPfSD_PS3_PT2_iSC_SC_
	.globl	_Z39paged_attention_ll4mi_QKV_mfma16_kernelI14__hip_bfloat16S0_LN4vllm18Fp8KVCacheDataTypeE0EhLi16ELi128ELi256ELb0ELi15EEvPKT_PKT0_S8_ifPKiSA_SA_iPKfiiiPfSD_PS3_PT2_iSC_SC_
	.p2align	8
	.type	_Z39paged_attention_ll4mi_QKV_mfma16_kernelI14__hip_bfloat16S0_LN4vllm18Fp8KVCacheDataTypeE0EhLi16ELi128ELi256ELb0ELi15EEvPKT_PKT0_S8_ifPKiSA_SA_iPKfiiiPfSD_PS3_PT2_iSC_SC_,@function
_Z39paged_attention_ll4mi_QKV_mfma16_kernelI14__hip_bfloat16S0_LN4vllm18Fp8KVCacheDataTypeE0EhLi16ELi128ELi256ELb0ELi15EEvPKT_PKT0_S8_ifPKiSA_SA_iPKfiiiPfSD_PS3_PT2_iSC_SC_: ; @_Z39paged_attention_ll4mi_QKV_mfma16_kernelI14__hip_bfloat16S0_LN4vllm18Fp8KVCacheDataTypeE0EhLi16ELi128ELi256ELb0ELi15EEvPKT_PKT0_S8_ifPKiSA_SA_iPKfiiiPfSD_PS3_PT2_iSC_SC_
; %bb.0:
	s_load_dwordx2 s[8:9], s[0:1], 0x30
	s_mov_b32 s26, s3
	s_mov_b64 s[6:7], 0
	s_waitcnt lgkmcnt(0)
	s_cmp_lg_u64 s[8:9], 0
	s_cselect_b64 s[10:11], -1, 0
	s_and_b64 vcc, exec, s[10:11]
	s_cbranch_vccz .LBB626_7
; %bb.1:
	s_add_i32 s12, s2, 1
	s_mov_b32 s13, 0
	s_lshl_b64 s[14:15], s[12:13], 2
	s_add_u32 s14, s8, s14
	s_mov_b32 s3, s13
	s_addc_u32 s15, s9, s15
	s_lshl_b64 s[12:13], s[2:3], 2
	s_add_u32 s12, s8, s12
	s_addc_u32 s13, s9, s13
	s_load_dword s5, s[14:15], 0x0
	s_load_dword s16, s[12:13], 0x0
	s_waitcnt lgkmcnt(0)
	s_sub_i32 s5, s5, s16
	s_cmp_eq_u32 s5, 1
	s_cselect_b64 s[12:13], -1, 0
	s_andn2_b64 vcc, exec, s[6:7]
	s_cbranch_vccnz .LBB626_3
.LBB626_2:
	s_mov_b32 s3, 0
	s_mov_b64 s[12:13], -1
.LBB626_3:
	s_andn2_b64 vcc, exec, s[12:13]
	s_cbranch_vccnz .LBB626_18
; %bb.4:
	s_load_dwordx2 s[6:7], s[0:1], 0x28
	s_lshl_b64 s[16:17], s[2:3], 2
	s_waitcnt lgkmcnt(0)
	s_add_u32 s6, s6, s16
	s_addc_u32 s7, s7, s17
	s_load_dword s33, s[6:7], 0x0
	s_lshl_b32 s18, s26, 8
	s_waitcnt lgkmcnt(0)
	s_cmp_ge_i32 s18, s33
	s_cbranch_scc1 .LBB626_18
; %bb.5:
	s_load_dwordx2 s[6:7], s[0:1], 0x20
	s_load_dword s5, s[0:1], 0x38
	s_add_i32 s12, s33, 15
	s_ashr_i32 s13, s12, 31
	v_and_b32_e32 v1, 0xcf, v0
	s_lshr_b32 s13, s13, 28
	v_add_u32_e32 v1, s18, v1
	s_add_i32 s12, s12, s13
	v_ashrrev_i32_e32 v2, 31, v1
	s_ashr_i32 s19, s12, 4
	v_lshrrev_b32_e32 v4, 28, v2
	s_add_i32 s19, s19, -1
	s_waitcnt lgkmcnt(0)
	s_mul_i32 s12, s2, s5
	s_mov_b32 s13, 0
	v_add_u32_e32 v2, v1, v4
	s_lshl_b64 s[12:13], s[12:13], 2
	v_ashrrev_i32_e32 v2, 4, v2
	v_mov_b32_e32 v5, s19
	v_cmp_gt_i32_e32 vcc, s33, v1
	s_add_u32 s6, s6, s12
	s_addc_u32 s7, s7, s13
	v_cndmask_b32_e32 v2, v5, v2, vcc
	v_ashrrev_i32_e32 v3, 31, v2
	v_lshl_add_u64 v[6:7], v[2:3], 2, s[6:7]
	v_or_b32_e32 v2, 16, v1
	v_add_u32_e32 v3, v2, v4
	v_ashrrev_i32_e32 v3, 4, v3
	v_cmp_gt_i32_e32 vcc, s33, v2
	s_load_dwordx4 s[12:15], s[0:1], 0x8
	s_nop 0
	v_cndmask_b32_e32 v2, v5, v3, vcc
	v_ashrrev_i32_e32 v3, 31, v2
	v_lshl_add_u64 v[8:9], v[2:3], 2, s[6:7]
	v_or_b32_e32 v2, 32, v1
	v_add_u32_e32 v3, v2, v4
	v_ashrrev_i32_e32 v3, 4, v3
	v_cmp_gt_i32_e32 vcc, s33, v2
	v_or_b32_e32 v1, 48, v1
	s_nop 0
	v_cndmask_b32_e32 v2, v5, v3, vcc
	v_ashrrev_i32_e32 v3, 31, v2
	v_lshl_add_u64 v[10:11], v[2:3], 2, s[6:7]
	v_add_u32_e32 v2, v1, v4
	v_ashrrev_i32_e32 v2, 4, v2
	v_cmp_gt_i32_e32 vcc, s33, v1
	s_nop 1
	v_cndmask_b32_e32 v2, v5, v2, vcc
	v_ashrrev_i32_e32 v3, 31, v2
	v_lshl_add_u64 v[12:13], v[2:3], 2, s[6:7]
	global_load_dword v4, v[6:7], off
	global_load_dword v3, v[8:9], off
	;; [unrolled: 1-line block ×4, first 2 shown]
	s_andn2_b64 vcc, exec, s[10:11]
	s_cbranch_vccnz .LBB626_8
; %bb.6:
	s_add_u32 s8, s8, s16
	s_addc_u32 s9, s9, s17
	s_load_dword s5, s[8:9], 0x0
	s_branch .LBB626_9
.LBB626_7:
	s_mov_b64 s[12:13], 0
	s_branch .LBB626_2
.LBB626_8:
	s_mov_b32 s5, s2
.LBB626_9:
	s_load_dwordx4 s[8:11], s[0:1], 0x48
	v_lshrrev_b32_e32 v77, 6, v0
	v_bfe_u32 v86, v0, 4, 2
	v_and_b32_e32 v76, 15, v0
	v_lshl_or_b32 v1, v77, 2, v86
	v_lshlrev_b32_e32 v5, 3, v76
	v_and_b32_e32 v87, 63, v0
	s_mul_i32 s40, s4, 15
	v_cmp_gt_u32_e32 vcc, 15, v1
	v_lshlrev_b32_e32 v74, 1, v5
	s_and_saveexec_b64 s[16:17], vcc
	s_cbranch_execz .LBB626_11
; %bb.10:
	s_load_dwordx2 s[20:21], s[0:1], 0x0
	s_waitcnt lgkmcnt(0)
	s_ashr_i32 s11, s8, 31
	s_mul_hi_u32 s22, s5, s8
	s_mul_i32 s11, s5, s11
	s_add_i32 s23, s22, s11
	s_mul_i32 s22, s5, s8
	s_lshl_b64 s[22:23], s[22:23], 1
	s_add_u32 s20, s20, s22
	v_add_lshl_u32 v6, v1, s40, 7
	s_addc_u32 s21, s21, s23
	v_ashrrev_i32_e32 v7, 31, v6
	v_lshl_add_u64 v[6:7], v[6:7], 1, s[20:21]
	v_mov_b32_e32 v75, 0
	v_lshl_add_u64 v[6:7], v[6:7], 0, v[74:75]
	global_load_dwordx4 v[6:9], v[6:7], off
	v_and_b32_e32 v5, 3, v0
	v_lshlrev_b32_e32 v10, 9, v76
	v_lshlrev_b32_e32 v1, 5, v1
	;; [unrolled: 1-line block ×3, first 2 shown]
	v_and_b32_e32 v10, 0x1800, v10
	v_or3_b32 v1, v10, v5, v1
	s_waitcnt vmcnt(0)
	ds_write_b128 v1, v[6:9]
.LBB626_11:
	s_or_b64 exec, exec, s[16:17]
	s_waitcnt lgkmcnt(0)
	s_mov_b32 s5, 0
	s_mul_i32 s4, s4, s10
	s_lshl_b64 s[4:5], s[4:5], 1
	s_add_u32 s10, s12, s4
	v_lshlrev_b32_e32 v1, 4, v0
	v_mov_b32_e32 v35, 0
	s_addc_u32 s11, s13, s5
	v_and_b32_e32 v34, 0xf0, v1
	v_lshl_add_u64 v[30:31], s[10:11], 0, v[34:35]
	s_waitcnt vmcnt(3)
	v_mad_i64_i32 v[4:5], s[10:11], v4, s9, 0
	v_lshl_add_u64 v[4:5], v[4:5], 1, v[30:31]
	v_and_b32_e32 v34, 0x300, v1
	v_lshl_add_u64 v[32:33], v[4:5], 0, v[34:35]
	s_load_dword s27, s[0:1], 0x98
	s_load_dword s8, s[0:1], 0x1c
	s_waitcnt lgkmcnt(0)
	s_barrier
	global_load_dwordx4 v[6:9], v[32:33], off
	global_load_dwordx4 v[22:25], v[32:33], off offset:1024
	s_waitcnt vmcnt(4)
	v_mad_i64_i32 v[4:5], s[10:11], v3, s9, 0
	s_waitcnt vmcnt(3)
	v_mad_i64_i32 v[2:3], s[10:11], v2, s9, 0
	v_lshl_add_u64 v[4:5], v[4:5], 1, v[30:31]
	v_lshl_add_u64 v[2:3], v[2:3], 1, v[30:31]
	;; [unrolled: 1-line block ×4, first 2 shown]
	global_load_dwordx4 v[14:17], v[36:37], off
	global_load_dwordx4 v[18:21], v[36:37], off offset:1024
	global_load_dwordx4 v[26:29], v[38:39], off
	global_load_dwordx4 v[46:49], v[38:39], off offset:1024
	v_cmp_ne_u32_e32 vcc, 15, v76
	global_load_dwordx4 v[54:57], v[32:33], off offset:2048
	global_load_dwordx4 v[62:65], v[36:37], off offset:2048
	v_cndmask_b32_e32 v2, 0, v76, vcc
	v_lshlrev_b32_e32 v2, 5, v2
	v_lshl_or_b32 v41, v86, 9, v2
	ds_read_b128 v[10:13], v41
	ds_read_b128 v[2:5], v41 offset:2048
	v_mov_b32_e32 v75, s19
	s_add_u32 s4, s14, s4
	s_addc_u32 s5, s15, s5
	s_mov_b32 s41, 0xff7fffff
	s_waitcnt vmcnt(7) lgkmcnt(1)
	v_mfma_f32_16x16x16_bf16 v[42:45], v[6:7], v[10:11], 0
	v_mfma_f32_16x16x16_bf16 v[6:9], v[8:9], v[12:13], v[42:45]
	s_nop 5
	global_load_dwordx4 v[42:45], v[38:39], off offset:2048
	s_waitcnt vmcnt(6)
	v_mfma_f32_16x16x16_bf16 v[50:53], v[14:15], v[10:11], 0
	s_waitcnt vmcnt(4)
	v_mfma_f32_16x16x16_bf16 v[58:61], v[26:27], v[10:11], 0
	v_mfma_f32_16x16x16_bf16 v[14:17], v[16:17], v[12:13], v[50:53]
	;; [unrolled: 1-line block ×3, first 2 shown]
	s_nop 2
	global_load_dwordx4 v[50:53], v[32:33], off offset:3072
	v_mad_i64_i32 v[32:33], s[10:11], v40, s9, 0
	v_and_or_b32 v40, v0, 48, s18
	s_waitcnt lgkmcnt(0)
	v_mfma_f32_16x16x16_bf16 v[6:9], v[22:23], v[2:3], v[6:9]
	v_ashrrev_i32_e32 v22, 4, v40
	v_cmp_gt_i32_e32 vcc, s33, v40
	v_or_b32_e32 v78, 64, v40
	v_mfma_f32_16x16x16_bf16 v[14:17], v[18:19], v[2:3], v[14:17]
	v_cndmask_b32_e32 v18, v75, v22, vcc
	v_or_b32_e32 v79, 0x80, v40
	v_or_b32_e32 v80, 0xc0, v40
	s_waitcnt vmcnt(4)
	v_mfma_f32_16x16x16_bf16 v[26:29], v[46:47], v[2:3], v[26:29]
	v_ashrrev_i32_e32 v40, 4, v78
	v_ashrrev_i32_e32 v19, 31, v18
	v_cmp_gt_i32_e32 vcc, s33, v78
	v_ashrrev_i32_e32 v46, 4, v79
	global_load_dwordx4 v[58:61], v[36:37], off offset:3072
	v_cndmask_b32_e32 v36, v75, v40, vcc
	v_lshl_add_u64 v[18:19], v[18:19], 2, s[6:7]
	v_cmp_gt_i32_e32 vcc, s33, v79
	ds_read_b128 v[66:69], v41 offset:4096
	ds_read_b128 v[70:73], v41 offset:6144
	v_mfma_f32_16x16x16_bf16 v[14:17], v[20:21], v[4:5], v[14:17]
	global_load_dword v78, v[18:19], off
	v_ashrrev_i32_e32 v37, 31, v36
	v_mfma_f32_16x16x16_bf16 v[18:21], v[48:49], v[4:5], v[26:29]
	s_nop 2
	v_cndmask_b32_e32 v28, v75, v46, vcc
	v_mfma_f32_16x16x16_bf16 v[6:9], v[24:25], v[4:5], v[6:9]
	global_load_dwordx4 v[22:25], v[38:39], off offset:3072
	v_ashrrev_i32_e32 v29, 31, v28
	v_lshl_add_u64 v[26:27], v[36:37], 2, s[6:7]
	v_lshl_add_u64 v[28:29], v[28:29], 2, s[6:7]
	global_load_dword v36, v[26:27], off
	global_load_dword v84, v[28:29], off
	v_lshl_add_u64 v[26:27], v[32:33], 1, v[30:31]
	v_lshl_add_u64 v[26:27], v[26:27], 0, v[34:35]
	global_load_dwordx4 v[38:41], v[26:27], off
	global_load_dwordx4 v[46:49], v[26:27], off offset:1024
	s_waitcnt vmcnt(10) lgkmcnt(1)
	v_mfma_f32_16x16x16_bf16 v[6:9], v[54:55], v[66:67], v[6:9]
	v_ashrrev_i32_e32 v37, 4, v80
	v_cmp_gt_i32_e32 vcc, s33, v80
	v_mfma_f32_16x16x16_bf16 v[6:9], v[56:57], v[68:69], v[6:9]
	s_nop 0
	v_cndmask_b32_e32 v28, v75, v37, vcc
	v_ashrrev_i32_e32 v29, 31, v28
	v_lshl_add_u64 v[28:29], v[28:29], 2, s[6:7]
	s_waitcnt vmcnt(9)
	v_mfma_f32_16x16x16_bf16 v[14:17], v[62:63], v[66:67], v[14:17]
	v_lshl_or_b32 v75, v77, 4, v76
	v_lshlrev_b32_e32 v34, 5, v75
	v_lshl_add_u64 v[62:63], s[4:5], 0, v[34:35]
	s_waitcnt vmcnt(8)
	v_mfma_f32_16x16x16_bf16 v[18:21], v[42:43], v[66:67], v[18:21]
	global_load_dwordx4 v[54:57], v[26:27], off offset:3072
	v_or_b32_e32 v34, 0x800, v34
	v_mfma_f32_16x16x16_bf16 v[18:21], v[44:45], v[68:69], v[18:21]
	global_load_dwordx4 v[42:45], v[26:27], off offset:2048
	v_mfma_f32_16x16x16_bf16 v[14:17], v[64:65], v[68:69], v[14:17]
	global_load_dword v64, v[28:29], off
	s_waitcnt vmcnt(10) lgkmcnt(0)
	v_mfma_f32_16x16x16_bf16 v[6:9], v[50:51], v[70:71], v[6:9]
	s_waitcnt vmcnt(7)
	v_mfma_f32_16x16x16_bf16 v[18:21], v[22:23], v[70:71], v[18:21]
	v_mad_i64_i32 v[22:23], s[6:7], v78, s9, 0
	v_lshlrev_b64 v[82:83], 1, v[22:23]
	v_mfma_f32_16x16x16_bf16 v[78:81], v[52:53], v[72:73], v[6:9]
	s_waitcnt vmcnt(6)
	s_nop 1
	v_mad_i64_i32 v[6:7], s[6:7], v36, s9, 0
	v_lshlrev_b64 v[36:37], 1, v[6:7]
	v_lshl_add_u64 v[8:9], v[62:63], 0, v[82:83]
	v_lshl_add_u64 v[6:7], v[62:63], 0, v[36:37]
	global_load_dwordx4 v[30:33], v[8:9], off
	global_load_dwordx4 v[26:29], v[8:9], off offset:16
	v_mfma_f32_16x16x16_bf16 v[88:91], v[24:25], v[72:73], v[18:21]
	global_load_dwordx4 v[22:25], v[6:7], off
	s_nop 1
	global_load_dwordx4 v[18:21], v[6:7], off offset:16
	s_waitcnt vmcnt(8)
	v_mfma_f32_16x16x16_bf16 v[6:9], v[38:39], v[10:11], 0
	v_mad_i64_i32 v[10:11], s[6:7], v84, s9, 0
	v_lshlrev_b64 v[50:51], 1, v[10:11]
	v_mfma_f32_16x16x16_bf16 v[6:9], v[40:41], v[12:13], v[6:9]
	v_lshl_add_u64 v[10:11], v[62:63], 0, v[50:51]
	s_waitcnt vmcnt(7)
	v_mfma_f32_16x16x16_bf16 v[6:9], v[46:47], v[2:3], v[6:9]
	s_waitcnt vmcnt(4)
	v_mad_i64_i32 v[2:3], s[6:7], v64, s9, 0
	v_mfma_f32_16x16x16_bf16 v[38:41], v[48:49], v[4:5], v[6:9]
	v_lshlrev_b64 v[52:53], 1, v[2:3]
	v_lshl_add_u64 v[2:3], v[62:63], 0, v[52:53]
	v_pk_mul_f32 v[62:63], s[8:9], v[78:79] op_sel_hi:[0,1]
	v_mfma_f32_16x16x16_bf16 v[38:41], v[42:43], v[66:67], v[38:41]
	v_lshl_add_u64 v[64:65], s[4:5], 0, v[34:35]
	v_lshl_add_u64 v[34:35], v[64:65], 0, v[82:83]
	v_pk_mul_f32 v[82:83], s[8:9], v[80:81] op_sel_hi:[0,1]
	v_mfma_f32_16x16x16_bf16 v[38:41], v[44:45], v[68:69], v[38:41]
	v_pk_mul_f32 v[78:79], s[8:9], v[88:89] op_sel_hi:[0,1]
	v_pk_mul_f32 v[80:81], s[8:9], v[90:91] op_sel_hi:[0,1]
	v_lshl_add_u64 v[50:51], v[64:65], 0, v[50:51]
	v_mfma_f32_16x16x16_bf16 v[38:41], v[54:55], v[70:71], v[38:41]
	v_mfma_f32_16x16x16_bf16 v[14:17], v[58:59], v[70:71], v[14:17]
	;; [unrolled: 1-line block ×4, first 2 shown]
	s_nop 4
	global_load_dwordx4 v[14:17], v[10:11], off
	s_nop 0
	global_load_dwordx4 v[10:13], v[10:11], off offset:16
	v_pk_mul_f32 v[72:73], s[8:9], v[38:39] op_sel_hi:[0,1]
	v_and_b32_e32 v38, 0xc0, v0
	v_add_u32_e32 v38, s18, v38
	v_lshl_or_b32 v38, v86, 2, v38
	v_pk_mul_f32 v[66:67], s[8:9], v[40:41] op_sel_hi:[0,1]
	v_or_b32_e32 v41, 1, v38
	v_mov_b32_e32 v39, 0xff7fffff
	v_cmp_gt_i32_e64 s[28:29], s33, v38
	v_cmp_gt_i32_e64 s[30:31], s33, v41
	v_or_b32_e32 v42, 3, v38
	v_cndmask_b32_e64 v40, v39, v62, s[28:29]
	v_cndmask_b32_e64 v41, v39, v63, s[30:31]
	v_max3_f32 v40, v40, s41, v41
	v_or_b32_e32 v41, 2, v38
	v_cmp_gt_i32_e64 s[34:35], s33, v41
	v_cmp_gt_i32_e64 s[36:37], s33, v42
	v_pk_mul_f32 v[70:71], s[8:9], v[58:59] op_sel_hi:[0,1]
	v_cndmask_b32_e64 v41, v39, v82, s[34:35]
	v_cndmask_b32_e64 v42, v39, v83, s[36:37]
	v_max3_f32 v40, v40, v41, v42
	v_or_b32_e32 v41, 16, v38
	v_or_b32_e32 v42, 17, v38
	v_cmp_gt_i32_e64 s[22:23], s33, v41
	v_cmp_gt_i32_e64 s[24:25], s33, v42
	v_pk_mul_f32 v[84:85], s[8:9], v[60:61] op_sel_hi:[0,1]
	v_cndmask_b32_e64 v41, v39, v70, s[22:23]
	v_cndmask_b32_e64 v42, v39, v71, s[24:25]
	v_max3_f32 v40, v40, v41, v42
	v_or_b32_e32 v41, 18, v38
	v_or_b32_e32 v42, 19, v38
	v_cmp_gt_i32_e64 s[18:19], s33, v41
	v_cmp_gt_i32_e64 s[20:21], s33, v42
	global_load_dwordx4 v[6:9], v[2:3], off
	s_nop 0
	global_load_dwordx4 v[2:5], v[2:3], off offset:16
	v_cndmask_b32_e64 v41, v39, v84, s[18:19]
	v_cndmask_b32_e64 v42, v39, v85, s[20:21]
	v_max3_f32 v40, v40, v41, v42
	v_or_b32_e32 v41, 32, v38
	v_or_b32_e32 v42, 33, v38
	v_cmp_gt_i32_e64 s[14:15], s33, v41
	v_cmp_gt_i32_e64 s[16:17], s33, v42
	s_nop 0
	v_cndmask_b32_e64 v41, v39, v78, s[14:15]
	v_cndmask_b32_e64 v42, v39, v79, s[16:17]
	v_max3_f32 v40, v40, v41, v42
	v_or_b32_e32 v41, 34, v38
	v_or_b32_e32 v42, 35, v38
	v_cmp_gt_i32_e64 s[10:11], s33, v41
	v_cmp_gt_i32_e64 s[12:13], s33, v42
	s_nop 0
	;; [unrolled: 8-line block ×3, first 2 shown]
	v_cndmask_b32_e64 v41, v39, v72, s[6:7]
	v_cndmask_b32_e64 v42, v39, v73, s[8:9]
	v_max3_f32 v40, v40, v41, v42
	v_or_b32_e32 v41, 50, v38
	v_or_b32_e32 v38, 51, v38
	v_cmp_gt_i32_e32 vcc, s33, v41
	v_cmp_gt_i32_e64 s[4:5], s33, v38
	s_nop 0
	v_cndmask_b32_e32 v41, v39, v66, vcc
	v_cndmask_b32_e64 v38, v39, v67, s[4:5]
	v_max3_f32 v54, v40, v41, v38
	v_mbcnt_lo_u32_b32 v38, -1, 0
	v_mbcnt_hi_u32_b32 v55, -1, v38
	v_and_b32_e32 v38, 64, v55
	v_add_u32_e32 v56, 64, v38
	v_xor_b32_e32 v38, 32, v55
	v_cmp_lt_i32_e64 s[38:39], v38, v56
	s_nop 1
	v_cndmask_b32_e64 v38, v55, v38, s[38:39]
	v_lshlrev_b32_e32 v89, 2, v38
	ds_bpermute_b32 v57, v89, v54
	global_load_dwordx4 v[46:49], v[34:35], off
	global_load_dwordx4 v[38:41], v[34:35], off offset:16
	v_lshl_add_u64 v[34:35], v[64:65], 0, v[36:37]
	global_load_dwordx4 v[42:45], v[34:35], off
	s_nop 0
	global_load_dwordx4 v[34:37], v[34:35], off offset:16
	s_waitcnt lgkmcnt(0)
	v_max_f32_e32 v57, v57, v57
	v_max_f32_e32 v68, v54, v57
	v_xor_b32_e32 v54, 16, v55
	v_cmp_lt_i32_e64 s[38:39], v54, v56
	s_nop 1
	v_cndmask_b32_e64 v54, v55, v54, s[38:39]
	v_lshlrev_b32_e32 v90, 2, v54
	ds_bpermute_b32 v69, v90, v68
	global_load_dwordx4 v[58:61], v[50:51], off
	global_load_dwordx4 v[54:57], v[50:51], off offset:16
	v_lshl_add_u64 v[50:51], v[64:65], 0, v[52:53]
	s_waitcnt lgkmcnt(0)
	v_max_f32_e32 v52, v69, v69
	v_max_f32_e32 v88, v68, v52
	v_sub_f32_e32 v52, v62, v88
	v_mul_f32_e32 v52, 0x3fb8aa3b, v52
	v_exp_f32_e32 v68, v52
	v_sub_f32_e32 v52, v63, v88
	v_mul_f32_e32 v52, 0x3fb8aa3b, v52
	v_exp_f32_e32 v69, v52
	global_load_dwordx4 v[62:65], v[50:51], off
	s_nop 0
	global_load_dwordx4 v[50:53], v[50:51], off offset:16
	v_sub_f32_e32 v82, v82, v88
	v_mul_f32_e32 v82, 0x3fb8aa3b, v82
	v_sub_f32_e32 v83, v83, v88
	v_exp_f32_e32 v82, v82
	v_mul_f32_e32 v83, 0x3fb8aa3b, v83
	v_sub_f32_e32 v70, v70, v88
	v_exp_f32_e32 v83, v83
	v_mul_f32_e32 v70, 0x3fb8aa3b, v70
	v_sub_f32_e32 v71, v71, v88
	v_cndmask_b32_e64 v68, 0, v68, s[28:29]
	v_exp_f32_e32 v70, v70
	v_mul_f32_e32 v71, 0x3fb8aa3b, v71
	v_sub_f32_e32 v84, v84, v88
	v_add_f32_e32 v91, 0, v68
	v_cndmask_b32_e64 v69, 0, v69, s[30:31]
	v_exp_f32_e32 v71, v71
	v_mul_f32_e32 v84, 0x3fb8aa3b, v84
	v_sub_f32_e32 v85, v85, v88
	v_add_f32_e32 v91, v91, v69
	;; [unrolled: 5-line block ×10, first 2 shown]
	v_cndmask_b32_e64 v80, 0, v80, s[10:11]
	v_exp_f32_e32 v66, v66
	v_mul_f32_e32 v67, 0x3fb8aa3b, v67
	v_add_f32_e32 v91, v91, v80
	v_cndmask_b32_e64 v81, 0, v81, s[12:13]
	v_exp_f32_e32 v67, v67
	v_add_f32_e32 v91, v91, v81
	v_cndmask_b32_e64 v72, 0, v72, s[6:7]
	v_add_f32_e32 v91, v91, v72
	v_cndmask_b32_e64 v73, 0, v73, s[8:9]
	v_add_f32_e32 v91, v91, v73
	v_cndmask_b32_e32 v66, 0, v66, vcc
	v_add_f32_e32 v91, v91, v66
	v_cndmask_b32_e64 v67, 0, v67, s[4:5]
	v_add_f32_e32 v91, v91, v67
	ds_bpermute_b32 v89, v89, v91
	v_cmp_gt_u32_e32 vcc, 16, v87
	s_waitcnt lgkmcnt(0)
	s_barrier
	v_add_f32_e32 v89, v91, v89
	ds_bpermute_b32 v90, v90, v89
	s_and_saveexec_b64 s[4:5], vcc
	s_cbranch_execz .LBB626_13
; %bb.12:
	s_waitcnt lgkmcnt(0)
	v_add_f32_e32 v87, v89, v90
	v_lshlrev_b32_e32 v75, 2, v75
	ds_write2st64_b32 v75, v88, v87 offset1:1
.LBB626_13:
	s_or_b64 exec, exec, s[4:5]
	v_lshlrev_b32_e32 v75, 2, v76
	s_load_dword s6, s[0:1], 0x94
	s_waitcnt lgkmcnt(0)
	s_barrier
	ds_read2_b32 v[88:89], v75 offset1:16
	ds_read2_b32 v[90:91], v75 offset0:32 offset1:48
	ds_read2_b32 v[92:93], v75 offset0:64 offset1:80
	;; [unrolled: 1-line block ×3, first 2 shown]
	s_movk_i32 s8, 0x7fff
	s_waitcnt lgkmcnt(3)
	v_max3_f32 v87, v88, s41, v89
	s_waitcnt lgkmcnt(2)
	v_max3_f32 v87, v87, v90, v91
	v_sub_f32_e32 v88, v88, v87
	v_mul_f32_e32 v88, 0x3fb8aa3b, v88
	v_exp_f32_e32 v1, v88
	v_sub_f32_e32 v88, v89, v87
	v_mul_f32_e32 v88, 0x3fb8aa3b, v88
	v_exp_f32_e32 v89, v88
	v_sub_f32_e32 v88, v90, v87
	v_mul_f32_e32 v88, 0x3fb8aa3b, v88
	v_sub_f32_e32 v75, v91, v87
	v_exp_f32_e32 v90, v88
	v_mul_f32_e32 v75, 0x3fb8aa3b, v75
	v_exp_f32_e32 v75, v75
	s_waitcnt lgkmcnt(1)
	v_fma_f32 v88, v1, v92, 0
	v_fmac_f32_e32 v88, v89, v93
	s_waitcnt lgkmcnt(0)
	v_fmac_f32_e32 v88, v90, v94
	v_fmac_f32_e32 v88, v75, v95
	v_add_f32_e32 v91, 0x358637bd, v88
	v_div_scale_f32 v92, s[4:5], v91, v91, 1.0
	v_rcp_f32_e32 v93, v92
	s_mov_b32 s9, 0x7060302
	s_barrier
	v_fma_f32 v94, -v92, v93, 1.0
	v_fmac_f32_e32 v93, v94, v93
	v_div_scale_f32 v94, vcc, 1.0, v91, 1.0
	v_mul_f32_e32 v95, v94, v93
	v_fma_f32 v86, -v92, v95, v94
	v_fmac_f32_e32 v95, v86, v93
	v_fma_f32 v86, -v92, v95, v94
	v_div_fmas_f32 v86, v86, v93, v95
	v_cmp_eq_u32_e32 vcc, 1, v77
	v_div_fixup_f32 v86, v86, v91, 1.0
	s_nop 0
	v_cndmask_b32_e32 v1, v1, v89, vcc
	v_cmp_eq_u32_e32 vcc, 2, v77
	s_mul_i32 s7, s27, 15
	s_nop 0
	v_cndmask_b32_e32 v1, v1, v90, vcc
	v_cmp_eq_u32_e32 vcc, 3, v77
	s_nop 1
	v_cndmask_b32_e32 v1, v1, v75, vcc
	v_mul_f32_e32 v90, v1, v86
	v_pk_mul_f32 v[68:69], v[90:91], v[68:69] op_sel_hi:[0,1]
	v_bfe_u32 v1, v69, 16, 1
	v_bfe_u32 v75, v68, 16, 1
	v_pk_mul_f32 v[82:83], v[90:91], v[82:83] op_sel_hi:[0,1]
	v_add3_u32 v68, v68, v75, s8
	v_add3_u32 v1, v69, v1, s8
	v_perm_b32 v92, v1, v68, s9
	v_bfe_u32 v1, v83, 16, 1
	v_bfe_u32 v68, v82, 16, 1
	v_add3_u32 v68, v82, v68, s8
	v_add3_u32 v1, v83, v1, s8
	v_bfe_u32 v86, v0, 4, 2
	v_perm_b32 v93, v1, v68, s9
	v_lshlrev_b32_e32 v1, 3, v86
	v_lshlrev_b32_e32 v68, 5, v76
	;; [unrolled: 1-line block ×3, first 2 shown]
	v_pk_mul_f32 v[70:71], v[90:91], v[70:71] op_sel_hi:[0,1]
	v_or3_b32 v75, v69, v68, v1
	v_bfe_u32 v1, v71, 16, 1
	v_bfe_u32 v69, v70, 16, 1
	v_pk_mul_f32 v[82:83], v[90:91], v[84:85] op_sel_hi:[0,1]
	v_add3_u32 v69, v70, v69, s8
	v_add3_u32 v1, v71, v1, s8
	v_perm_b32 v70, v1, v69, s9
	v_bfe_u32 v1, v83, 16, 1
	v_bfe_u32 v69, v82, 16, 1
	v_add3_u32 v69, v82, v69, s8
	v_add3_u32 v1, v83, v1, s8
	v_pk_mul_f32 v[78:79], v[90:91], v[78:79] op_sel_hi:[0,1]
	v_perm_b32 v71, v1, v69, s9
	v_bfe_u32 v1, v79, 16, 1
	v_bfe_u32 v69, v78, 16, 1
	ds_write2st64_b64 v75, v[92:93], v[70:71] offset1:1
	v_pk_mul_f32 v[70:71], v[90:91], v[80:81] op_sel_hi:[0,1]
	v_add3_u32 v69, v78, v69, s8
	v_add3_u32 v1, v79, v1, s8
	v_perm_b32 v78, v1, v69, s9
	v_bfe_u32 v1, v71, 16, 1
	v_bfe_u32 v69, v70, 16, 1
	v_add3_u32 v69, v70, v69, s8
	v_add3_u32 v1, v71, v1, s8
	v_pk_mul_f32 v[70:71], v[90:91], v[72:73] op_sel_hi:[0,1]
	v_perm_b32 v79, v1, v69, s9
	v_bfe_u32 v1, v71, 16, 1
	v_bfe_u32 v69, v70, 16, 1
	v_pk_mul_f32 v[66:67], v[90:91], v[66:67] op_sel_hi:[0,1]
	v_add3_u32 v69, v70, v69, s8
	v_add3_u32 v1, v71, v1, s8
	v_perm_b32 v70, v1, v69, s9
	v_bfe_u32 v1, v67, 16, 1
	v_bfe_u32 v69, v66, 16, 1
	v_add3_u32 v66, v66, v69, s8
	v_add3_u32 v1, v67, v1, s8
	v_perm_b32 v71, v1, v66, s9
	v_cmp_gt_u32_e32 vcc, 15, v0
	ds_write2st64_b64 v75, v[78:79], v[70:71] offset0:2 offset1:3
	s_and_saveexec_b64 s[4:5], vcc
	s_cbranch_execz .LBB626_15
; %bb.14:
	s_mov_b32 s41, 0
	v_mov_b32_e32 v77, 0
	v_lshl_add_u64 v[66:67], s[40:41], 0, v[76:77]
	v_mov_b32_e32 v1, s7
	v_mad_u64_u32 v[66:67], s[10:11], s2, v1, v[66:67]
	s_mul_i32 s3, s3, s7
	v_mov_b32_e32 v70, s26
	v_mov_b32_e32 v71, v77
	s_load_dwordx4 s[12:15], s[0:1], 0x58
	v_add_u32_e32 v1, s3, v67
	v_mad_u64_u32 v[66:67], s[10:11], v66, s6, v[70:71]
	v_mov_b32_e32 v70, v67
	v_mad_u64_u32 v[70:71], s[10:11], v1, s6, v[70:71]
	v_mov_b32_e32 v67, v70
	v_lshlrev_b64 v[66:67], 2, v[66:67]
	s_waitcnt lgkmcnt(0)
	v_lshl_add_u64 v[70:71], s[14:15], 0, v[66:67]
	v_lshl_add_u64 v[66:67], s[12:13], 0, v[66:67]
	global_store_dword v[70:71], v87, off
	global_store_dword v[66:67], v88, off
.LBB626_15:
	s_or_b64 exec, exec, s[4:5]
	v_lshl_or_b32 v1, v86, 9, v68
	s_waitcnt lgkmcnt(0)
	s_barrier
	ds_read_b128 v[70:73], v1
	ds_read_b128 v[66:69], v1 offset:16
	s_waitcnt vmcnt(15) lgkmcnt(1)
	v_mfma_f32_16x16x16_bf16 v[78:81], v[30:31], v[70:71], 0
	s_mov_b32 s3, 0
	v_cmp_gt_u32_e32 vcc, 64, v0
	v_mfma_f32_16x16x16_bf16 v[30:33], v[32:33], v[72:73], v[78:81]
	s_waitcnt vmcnt(14) lgkmcnt(0)
	v_mfma_f32_16x16x16_bf16 v[30:33], v[26:27], v[66:67], v[30:33]
	v_mfma_f32_16x16x16_bf16 v[26:29], v[28:29], v[68:69], v[30:33]
	s_nop 5
	ds_read_b128 v[30:33], v1 offset:2048
	ds_read_b128 v[78:81], v1 offset:2064
	s_waitcnt vmcnt(13) lgkmcnt(1)
	v_mfma_f32_16x16x16_bf16 v[26:29], v[22:23], v[30:31], v[26:29]
	v_mfma_f32_16x16x16_bf16 v[22:25], v[24:25], v[32:33], v[26:29]
	s_waitcnt vmcnt(12) lgkmcnt(0)
	v_mfma_f32_16x16x16_bf16 v[22:25], v[18:19], v[78:79], v[22:25]
	v_mfma_f32_16x16x16_bf16 v[18:21], v[20:21], v[80:81], v[22:25]
	s_nop 5
	ds_read_b128 v[22:25], v1 offset:4096
	ds_read_b128 v[26:29], v1 offset:4112
	s_waitcnt vmcnt(11) lgkmcnt(1)
	v_mfma_f32_16x16x16_bf16 v[18:21], v[14:15], v[22:23], v[18:21]
	v_mfma_f32_16x16x16_bf16 v[14:17], v[16:17], v[24:25], v[18:21]
	s_waitcnt vmcnt(10) lgkmcnt(0)
	v_mfma_f32_16x16x16_bf16 v[14:17], v[10:11], v[26:27], v[14:17]
	v_mfma_f32_16x16x16_bf16 v[10:13], v[12:13], v[28:29], v[14:17]
	s_nop 5
	ds_read_b128 v[14:17], v1 offset:6144
	ds_read_b128 v[18:21], v1 offset:6160
	s_waitcnt lgkmcnt(0)
	s_barrier
	s_waitcnt vmcnt(9)
	v_mfma_f32_16x16x16_bf16 v[10:13], v[6:7], v[14:15], v[10:13]
	v_mfma_f32_16x16x16_bf16 v[6:9], v[8:9], v[16:17], v[10:13]
	s_waitcnt vmcnt(8)
	v_mfma_f32_16x16x16_bf16 v[6:9], v[2:3], v[18:19], v[6:9]
	v_mfma_f32_16x16x16_bf16 v[2:5], v[4:5], v[20:21], v[6:9]
	;; [unrolled: 3-line block ×3, first 2 shown]
	s_nop 3
	v_bfe_u32 v1, v3, 16, 1
	v_bfe_u32 v10, v2, 16, 1
	v_add3_u32 v2, v2, v10, s8
	s_waitcnt vmcnt(6)
	v_mfma_f32_16x16x16_bf16 v[6:9], v[38:39], v[66:67], v[6:9]
	v_add3_u32 v1, v3, v1, s8
	v_perm_b32 v10, v1, v2, s9
	v_bfe_u32 v1, v5, 16, 1
	v_mfma_f32_16x16x16_bf16 v[6:9], v[40:41], v[68:69], v[6:9]
	v_bfe_u32 v2, v4, 16, 1
	v_add3_u32 v2, v4, v2, s8
	v_add3_u32 v1, v5, v1, s8
	s_waitcnt vmcnt(5)
	v_mfma_f32_16x16x16_bf16 v[6:9], v[42:43], v[30:31], v[6:9]
	v_perm_b32 v11, v1, v2, s9
	v_mfma_f32_16x16x16_bf16 v[6:9], v[44:45], v[32:33], v[6:9]
	s_waitcnt vmcnt(4)
	v_mfma_f32_16x16x16_bf16 v[6:9], v[34:35], v[78:79], v[6:9]
	v_mfma_f32_16x16x16_bf16 v[6:9], v[36:37], v[80:81], v[6:9]
	s_waitcnt vmcnt(3)
	v_mfma_f32_16x16x16_bf16 v[6:9], v[58:59], v[22:23], v[6:9]
	;; [unrolled: 3-line block ×5, first 2 shown]
	v_mfma_f32_16x16x16_bf16 v[2:5], v[52:53], v[20:21], v[6:9]
	s_nop 6
	v_bfe_u32 v1, v3, 16, 1
	v_bfe_u32 v6, v2, 16, 1
	v_add3_u32 v2, v2, v6, s8
	v_add3_u32 v1, v3, v1, s8
	v_perm_b32 v2, v1, v2, s9
	v_bfe_u32 v1, v5, 16, 1
	v_bfe_u32 v3, v4, 16, 1
	v_add3_u32 v3, v4, v3, s8
	v_add3_u32 v1, v5, v1, s8
	v_perm_b32 v3, v1, v3, s9
	ds_write2st64_b64 v75, v[10:11], v[2:3] offset1:1
	s_waitcnt lgkmcnt(0)
	s_barrier
	s_and_saveexec_b64 s[4:5], vcc
	s_cbranch_execz .LBB626_18
; %bb.16:
	s_load_dwordx2 s[4:5], s[0:1], 0x68
	s_lshl_b32 s0, s6, 7
	s_mul_i32 s1, s7, s2
	v_lshlrev_b32_e32 v3, 6, v76
	s_mul_hi_u32 s7, s1, s0
	s_mul_i32 s6, s1, s0
	v_lshlrev_b32_e32 v2, 4, v0
	v_lshl_or_b32 v0, v0, 10, v3
	s_lshl_b64 s[6:7], s[6:7], 1
	v_lshlrev_b32_e32 v1, 5, v86
	v_and_b32_e32 v2, 16, v2
	v_and_b32_e32 v0, 0x1a00, v0
	s_waitcnt lgkmcnt(0)
	s_add_u32 s1, s4, s6
	v_or3_b32 v2, v0, v1, v2
	s_addc_u32 s4, s5, s7
	s_lshl_b32 s2, s26, 7
	ds_read_b128 v[4:7], v2 offset:256
	s_lshl_b64 s[2:3], s[2:3], 1
	ds_read_b128 v[8:11], v2 offset:128
	ds_read_b128 v[12:15], v2
	s_add_u32 s2, s1, s2
	s_addc_u32 s3, s4, s3
	v_mov_b32_e32 v75, 0
	v_add_u32_e32 v3, s40, v86
	v_lshl_add_u64 v[0:1], s[2:3], 0, v[74:75]
	v_mad_u64_u32 v[16:17], s[2:3], v3, s0, 0
	v_lshl_add_u64 v[16:17], v[16:17], 1, v[0:1]
	s_waitcnt lgkmcnt(0)
	global_store_dwordx4 v[16:17], v[12:15], off
	v_cmp_ne_u32_e32 vcc, 3, v86
	s_nop 0
	v_add_u32_e32 v12, 4, v3
	v_mad_u64_u32 v[12:13], s[2:3], v12, s0, 0
	v_lshl_add_u64 v[12:13], v[12:13], 1, v[0:1]
	v_add_u32_e32 v3, 8, v3
	global_store_dwordx4 v[12:13], v[8:11], off
	s_nop 1
	v_mad_u64_u32 v[8:9], s[2:3], v3, s0, 0
	v_lshl_add_u64 v[8:9], v[8:9], 1, v[0:1]
	global_store_dwordx4 v[8:9], v[4:7], off
	s_and_b64 exec, exec, vcc
	s_cbranch_execz .LBB626_18
; %bb.17:
	ds_read_b128 v[2:5], v2 offset:384
	v_add3_u32 v6, s40, v86, 12
	v_mad_u64_u32 v[6:7], s[0:1], v6, s0, 0
	v_lshl_add_u64 v[0:1], v[6:7], 1, v[0:1]
	s_waitcnt lgkmcnt(0)
	global_store_dwordx4 v[0:1], v[2:5], off
.LBB626_18:
	s_endpgm
	.section	.rodata,"a",@progbits
	.p2align	6, 0x0
	.amdhsa_kernel _Z39paged_attention_ll4mi_QKV_mfma16_kernelI14__hip_bfloat16S0_LN4vllm18Fp8KVCacheDataTypeE0EhLi16ELi128ELi256ELb0ELi15EEvPKT_PKT0_S8_ifPKiSA_SA_iPKfiiiPfSD_PS3_PT2_iSC_SC_
		.amdhsa_group_segment_fixed_size 8192
		.amdhsa_private_segment_fixed_size 0
		.amdhsa_kernarg_size 400
		.amdhsa_user_sgpr_count 2
		.amdhsa_user_sgpr_dispatch_ptr 0
		.amdhsa_user_sgpr_queue_ptr 0
		.amdhsa_user_sgpr_kernarg_segment_ptr 1
		.amdhsa_user_sgpr_dispatch_id 0
		.amdhsa_user_sgpr_kernarg_preload_length 0
		.amdhsa_user_sgpr_kernarg_preload_offset 0
		.amdhsa_user_sgpr_private_segment_size 0
		.amdhsa_uses_dynamic_stack 0
		.amdhsa_enable_private_segment 0
		.amdhsa_system_sgpr_workgroup_id_x 1
		.amdhsa_system_sgpr_workgroup_id_y 1
		.amdhsa_system_sgpr_workgroup_id_z 1
		.amdhsa_system_sgpr_workgroup_info 0
		.amdhsa_system_vgpr_workitem_id 0
		.amdhsa_next_free_vgpr 96
		.amdhsa_next_free_sgpr 42
		.amdhsa_accum_offset 96
		.amdhsa_reserve_vcc 1
		.amdhsa_float_round_mode_32 0
		.amdhsa_float_round_mode_16_64 0
		.amdhsa_float_denorm_mode_32 3
		.amdhsa_float_denorm_mode_16_64 3
		.amdhsa_dx10_clamp 1
		.amdhsa_ieee_mode 1
		.amdhsa_fp16_overflow 0
		.amdhsa_tg_split 0
		.amdhsa_exception_fp_ieee_invalid_op 0
		.amdhsa_exception_fp_denorm_src 0
		.amdhsa_exception_fp_ieee_div_zero 0
		.amdhsa_exception_fp_ieee_overflow 0
		.amdhsa_exception_fp_ieee_underflow 0
		.amdhsa_exception_fp_ieee_inexact 0
		.amdhsa_exception_int_div_zero 0
	.end_amdhsa_kernel
	.section	.text._Z39paged_attention_ll4mi_QKV_mfma16_kernelI14__hip_bfloat16S0_LN4vllm18Fp8KVCacheDataTypeE0EhLi16ELi128ELi256ELb0ELi15EEvPKT_PKT0_S8_ifPKiSA_SA_iPKfiiiPfSD_PS3_PT2_iSC_SC_,"axG",@progbits,_Z39paged_attention_ll4mi_QKV_mfma16_kernelI14__hip_bfloat16S0_LN4vllm18Fp8KVCacheDataTypeE0EhLi16ELi128ELi256ELb0ELi15EEvPKT_PKT0_S8_ifPKiSA_SA_iPKfiiiPfSD_PS3_PT2_iSC_SC_,comdat
.Lfunc_end626:
	.size	_Z39paged_attention_ll4mi_QKV_mfma16_kernelI14__hip_bfloat16S0_LN4vllm18Fp8KVCacheDataTypeE0EhLi16ELi128ELi256ELb0ELi15EEvPKT_PKT0_S8_ifPKiSA_SA_iPKfiiiPfSD_PS3_PT2_iSC_SC_, .Lfunc_end626-_Z39paged_attention_ll4mi_QKV_mfma16_kernelI14__hip_bfloat16S0_LN4vllm18Fp8KVCacheDataTypeE0EhLi16ELi128ELi256ELb0ELi15EEvPKT_PKT0_S8_ifPKiSA_SA_iPKfiiiPfSD_PS3_PT2_iSC_SC_
                                        ; -- End function
	.section	.AMDGPU.csdata,"",@progbits
; Kernel info:
; codeLenInByte = 4752
; NumSgprs: 48
; NumVgprs: 96
; NumAgprs: 0
; TotalNumVgprs: 96
; ScratchSize: 0
; MemoryBound: 0
; FloatMode: 240
; IeeeMode: 1
; LDSByteSize: 8192 bytes/workgroup (compile time only)
; SGPRBlocks: 5
; VGPRBlocks: 11
; NumSGPRsForWavesPerEU: 48
; NumVGPRsForWavesPerEU: 96
; AccumOffset: 96
; Occupancy: 5
; WaveLimiterHint : 1
; COMPUTE_PGM_RSRC2:SCRATCH_EN: 0
; COMPUTE_PGM_RSRC2:USER_SGPR: 2
; COMPUTE_PGM_RSRC2:TRAP_HANDLER: 0
; COMPUTE_PGM_RSRC2:TGID_X_EN: 1
; COMPUTE_PGM_RSRC2:TGID_Y_EN: 1
; COMPUTE_PGM_RSRC2:TGID_Z_EN: 1
; COMPUTE_PGM_RSRC2:TIDIG_COMP_CNT: 0
; COMPUTE_PGM_RSRC3_GFX90A:ACCUM_OFFSET: 23
; COMPUTE_PGM_RSRC3_GFX90A:TG_SPLIT: 0
	.section	.text._Z39paged_attention_ll4mi_QKV_mfma16_kernelI14__hip_bfloat16S0_LN4vllm18Fp8KVCacheDataTypeE0EhLi16ELi128ELi256ELb0ELi16EEvPKT_PKT0_S8_ifPKiSA_SA_iPKfiiiPfSD_PS3_PT2_iSC_SC_,"axG",@progbits,_Z39paged_attention_ll4mi_QKV_mfma16_kernelI14__hip_bfloat16S0_LN4vllm18Fp8KVCacheDataTypeE0EhLi16ELi128ELi256ELb0ELi16EEvPKT_PKT0_S8_ifPKiSA_SA_iPKfiiiPfSD_PS3_PT2_iSC_SC_,comdat
	.protected	_Z39paged_attention_ll4mi_QKV_mfma16_kernelI14__hip_bfloat16S0_LN4vllm18Fp8KVCacheDataTypeE0EhLi16ELi128ELi256ELb0ELi16EEvPKT_PKT0_S8_ifPKiSA_SA_iPKfiiiPfSD_PS3_PT2_iSC_SC_ ; -- Begin function _Z39paged_attention_ll4mi_QKV_mfma16_kernelI14__hip_bfloat16S0_LN4vllm18Fp8KVCacheDataTypeE0EhLi16ELi128ELi256ELb0ELi16EEvPKT_PKT0_S8_ifPKiSA_SA_iPKfiiiPfSD_PS3_PT2_iSC_SC_
	.globl	_Z39paged_attention_ll4mi_QKV_mfma16_kernelI14__hip_bfloat16S0_LN4vllm18Fp8KVCacheDataTypeE0EhLi16ELi128ELi256ELb0ELi16EEvPKT_PKT0_S8_ifPKiSA_SA_iPKfiiiPfSD_PS3_PT2_iSC_SC_
	.p2align	8
	.type	_Z39paged_attention_ll4mi_QKV_mfma16_kernelI14__hip_bfloat16S0_LN4vllm18Fp8KVCacheDataTypeE0EhLi16ELi128ELi256ELb0ELi16EEvPKT_PKT0_S8_ifPKiSA_SA_iPKfiiiPfSD_PS3_PT2_iSC_SC_,@function
_Z39paged_attention_ll4mi_QKV_mfma16_kernelI14__hip_bfloat16S0_LN4vllm18Fp8KVCacheDataTypeE0EhLi16ELi128ELi256ELb0ELi16EEvPKT_PKT0_S8_ifPKiSA_SA_iPKfiiiPfSD_PS3_PT2_iSC_SC_: ; @_Z39paged_attention_ll4mi_QKV_mfma16_kernelI14__hip_bfloat16S0_LN4vllm18Fp8KVCacheDataTypeE0EhLi16ELi128ELi256ELb0ELi16EEvPKT_PKT0_S8_ifPKiSA_SA_iPKfiiiPfSD_PS3_PT2_iSC_SC_
; %bb.0:
	s_load_dwordx2 s[8:9], s[0:1], 0x30
	s_mov_b32 s26, s3
	s_mov_b64 s[6:7], 0
	s_waitcnt lgkmcnt(0)
	s_cmp_lg_u64 s[8:9], 0
	s_cselect_b64 s[10:11], -1, 0
	s_and_b64 vcc, exec, s[10:11]
	s_cbranch_vccz .LBB627_7
; %bb.1:
	s_add_i32 s12, s2, 1
	s_mov_b32 s13, 0
	s_lshl_b64 s[14:15], s[12:13], 2
	s_add_u32 s14, s8, s14
	s_mov_b32 s3, s13
	s_addc_u32 s15, s9, s15
	s_lshl_b64 s[12:13], s[2:3], 2
	s_add_u32 s12, s8, s12
	s_addc_u32 s13, s9, s13
	s_load_dword s5, s[14:15], 0x0
	s_load_dword s16, s[12:13], 0x0
	s_waitcnt lgkmcnt(0)
	s_sub_i32 s5, s5, s16
	s_cmp_eq_u32 s5, 1
	s_cselect_b64 s[12:13], -1, 0
	s_andn2_b64 vcc, exec, s[6:7]
	s_cbranch_vccnz .LBB627_3
.LBB627_2:
	s_mov_b32 s3, 0
	s_mov_b64 s[12:13], -1
.LBB627_3:
	s_andn2_b64 vcc, exec, s[12:13]
	s_cbranch_vccnz .LBB627_17
; %bb.4:
	s_load_dwordx2 s[6:7], s[0:1], 0x28
	s_lshl_b64 s[16:17], s[2:3], 2
	s_waitcnt lgkmcnt(0)
	s_add_u32 s6, s6, s16
	s_addc_u32 s7, s7, s17
	s_load_dword s38, s[6:7], 0x0
	s_lshl_b32 s18, s26, 8
	s_waitcnt lgkmcnt(0)
	s_cmp_ge_i32 s18, s38
	s_cbranch_scc1 .LBB627_17
; %bb.5:
	s_load_dwordx2 s[6:7], s[0:1], 0x20
	s_load_dword s5, s[0:1], 0x38
	s_add_i32 s12, s38, 15
	s_ashr_i32 s13, s12, 31
	v_and_b32_e32 v1, 0xcf, v0
	s_lshr_b32 s13, s13, 28
	v_add_u32_e32 v1, s18, v1
	s_add_i32 s12, s12, s13
	v_ashrrev_i32_e32 v2, 31, v1
	s_ashr_i32 s19, s12, 4
	v_lshrrev_b32_e32 v4, 28, v2
	s_add_i32 s19, s19, -1
	s_waitcnt lgkmcnt(0)
	s_mul_i32 s12, s2, s5
	s_mov_b32 s13, 0
	v_add_u32_e32 v2, v1, v4
	s_lshl_b64 s[12:13], s[12:13], 2
	v_ashrrev_i32_e32 v2, 4, v2
	v_mov_b32_e32 v5, s19
	v_cmp_gt_i32_e32 vcc, s38, v1
	s_add_u32 s6, s6, s12
	s_addc_u32 s7, s7, s13
	v_cndmask_b32_e32 v2, v5, v2, vcc
	v_ashrrev_i32_e32 v3, 31, v2
	v_lshl_add_u64 v[6:7], v[2:3], 2, s[6:7]
	v_or_b32_e32 v2, 16, v1
	v_add_u32_e32 v3, v2, v4
	v_ashrrev_i32_e32 v3, 4, v3
	v_cmp_gt_i32_e32 vcc, s38, v2
	s_load_dwordx4 s[12:15], s[0:1], 0x8
	s_nop 0
	v_cndmask_b32_e32 v2, v5, v3, vcc
	v_ashrrev_i32_e32 v3, 31, v2
	v_lshl_add_u64 v[8:9], v[2:3], 2, s[6:7]
	v_or_b32_e32 v2, 32, v1
	v_add_u32_e32 v3, v2, v4
	v_ashrrev_i32_e32 v3, 4, v3
	v_cmp_gt_i32_e32 vcc, s38, v2
	v_or_b32_e32 v1, 48, v1
	s_nop 0
	v_cndmask_b32_e32 v2, v5, v3, vcc
	v_ashrrev_i32_e32 v3, 31, v2
	v_lshl_add_u64 v[10:11], v[2:3], 2, s[6:7]
	v_add_u32_e32 v2, v1, v4
	v_ashrrev_i32_e32 v2, 4, v2
	v_cmp_gt_i32_e32 vcc, s38, v1
	s_nop 1
	v_cndmask_b32_e32 v2, v5, v2, vcc
	v_ashrrev_i32_e32 v3, 31, v2
	v_lshl_add_u64 v[12:13], v[2:3], 2, s[6:7]
	global_load_dword v4, v[6:7], off
	global_load_dword v3, v[8:9], off
	;; [unrolled: 1-line block ×4, first 2 shown]
	s_andn2_b64 vcc, exec, s[10:11]
	s_cbranch_vccnz .LBB627_8
; %bb.6:
	s_add_u32 s8, s8, s16
	s_addc_u32 s9, s9, s17
	s_load_dword s5, s[8:9], 0x0
	s_branch .LBB627_9
.LBB627_7:
	s_mov_b64 s[12:13], 0
	s_branch .LBB627_2
.LBB627_8:
	s_mov_b32 s5, s2
.LBB627_9:
	s_load_dwordx4 s[8:11], s[0:1], 0x48
	v_and_b32_e32 v81, 15, v0
	v_lshlrev_b32_e32 v1, 3, v81
	s_waitcnt lgkmcnt(0)
	s_movk_i32 s11, 0x100
	v_lshrrev_b32_e32 v94, 6, v0
	v_and_b32_e32 v74, 63, v0
	v_bfe_u32 v95, v0, 4, 2
	s_lshl_b32 s27, s4, 4
	v_cmp_gt_u32_e32 vcc, s11, v0
	v_lshlrev_b32_e32 v6, 1, v1
	scratch_store_dwordx2 off, v[6:7], off  ; 8-byte Folded Spill
	s_and_saveexec_b64 s[16:17], vcc
	s_cbranch_execz .LBB627_11
; %bb.10:
	scratch_load_dwordx2 v[8:9], off, off   ; 8-byte Folded Reload
	s_load_dwordx2 s[20:21], s[0:1], 0x0
	s_ashr_i32 s11, s8, 31
	s_mul_hi_u32 s22, s5, s8
	s_mul_i32 s11, s5, s11
	s_add_i32 s23, s22, s11
	s_mul_i32 s22, s5, s8
	v_lshl_or_b32 v1, v94, 2, v95
	s_lshl_b64 s[22:23], s[22:23], 1
	s_waitcnt lgkmcnt(0)
	s_add_u32 s20, s20, s22
	v_add_lshl_u32 v6, v1, s27, 7
	s_addc_u32 s21, s21, s23
	v_ashrrev_i32_e32 v7, 31, v6
	v_lshl_add_u64 v[6:7], v[6:7], 1, s[20:21]
	v_mov_b32_e32 v11, 0
	v_and_b32_e32 v5, 3, v0
	v_lshlrev_b32_e32 v1, 5, v1
	v_lshlrev_b32_e32 v5, 9, v5
	s_waitcnt vmcnt(0)
	v_mov_b32_e32 v10, v8
	v_lshl_add_u64 v[6:7], v[6:7], 0, v[10:11]
	scratch_store_dwordx2 off, v[8:9], off  ; 8-byte Folded Spill
	global_load_dwordx4 v[6:9], v[6:7], off
	v_lshlrev_b32_e32 v10, 9, v81
	v_and_b32_e32 v10, 0x1800, v10
	v_or3_b32 v1, v10, v5, v1
	s_waitcnt vmcnt(0)
	ds_write_b128 v1, v[6:9]
.LBB627_11:
	s_or_b64 exec, exec, s[16:17]
	s_mul_i32 s4, s4, s10
	s_mov_b32 s5, 0
	s_lshl_b64 s[4:5], s[4:5], 1
	s_add_u32 s10, s12, s4
	v_lshlrev_b32_e32 v1, 4, v0
	s_addc_u32 s11, s13, s5
	v_and_b32_e32 v38, 0xf0, v1
	v_mov_b32_e32 v39, 0
	v_lshl_add_u64 v[30:31], s[10:11], 0, v[38:39]
	s_waitcnt vmcnt(4)
	v_mad_i64_i32 v[4:5], s[10:11], v4, s9, 0
	v_lshl_add_u64 v[4:5], v[4:5], 1, v[30:31]
	v_and_b32_e32 v38, 0x300, v1
	v_lshl_add_u64 v[32:33], v[4:5], 0, v[38:39]
	s_load_dword s33, s[0:1], 0x98
	s_load_dword s8, s[0:1], 0x1c
	s_waitcnt lgkmcnt(0)
	s_barrier
	global_load_dwordx4 v[10:13], v[32:33], off
	global_load_dwordx4 v[22:25], v[32:33], off offset:1024
	s_waitcnt vmcnt(5)
	v_mad_i64_i32 v[4:5], s[10:11], v3, s9, 0
	s_waitcnt vmcnt(4)
	v_mad_i64_i32 v[2:3], s[10:11], v2, s9, 0
	v_lshl_add_u64 v[4:5], v[4:5], 1, v[30:31]
	v_lshl_add_u64 v[2:3], v[2:3], 1, v[30:31]
	;; [unrolled: 1-line block ×4, first 2 shown]
	global_load_dwordx4 v[14:17], v[40:41], off
	global_load_dwordx4 v[18:21], v[40:41], off offset:1024
	global_load_dwordx4 v[26:29], v[42:43], off
	global_load_dwordx4 v[64:67], v[40:41], off offset:2048
	global_load_dwordx4 v[48:51], v[42:43], off offset:1024
	v_lshlrev_b32_e32 v1, 5, v81
	v_lshl_or_b32 v85, v95, 9, v1
	ds_read_b128 v[6:9], v85
	ds_read_b128 v[2:5], v85 offset:2048
	global_load_dwordx4 v[56:59], v[32:33], off offset:2048
	v_mov_b32_e32 v72, s19
	scratch_store_dword off, v1, off offset:8 ; 4-byte Folded Spill
	v_and_or_b32 v1, v0, 48, s18
	v_cmp_gt_i32_e32 vcc, s38, v1
	v_or_b32_e32 v73, 64, v1
	v_or_b32_e32 v75, 0x80, v1
	;; [unrolled: 1-line block ×3, first 2 shown]
	s_add_u32 s4, s14, s4
	s_addc_u32 s5, s15, s5
	s_mov_b32 s40, 0xff7fffff
	v_mov_b32_e32 v84, v95
	s_waitcnt vmcnt(8) lgkmcnt(1)
	v_mfma_f32_16x16x16_bf16 v[44:47], v[10:11], v[6:7], 0
	v_mfma_f32_16x16x16_bf16 v[10:13], v[12:13], v[8:9], v[44:47]
	s_nop 5
	global_load_dwordx4 v[44:47], v[42:43], off offset:2048
	s_waitcnt vmcnt(7)
	v_mfma_f32_16x16x16_bf16 v[52:55], v[14:15], v[6:7], 0
	s_waitcnt vmcnt(5)
	v_mfma_f32_16x16x16_bf16 v[60:63], v[26:27], v[6:7], 0
	v_mfma_f32_16x16x16_bf16 v[14:17], v[16:17], v[8:9], v[52:55]
	s_nop 3
	global_load_dwordx4 v[52:55], v[32:33], off offset:3072
	v_mfma_f32_16x16x16_bf16 v[26:29], v[28:29], v[8:9], v[60:63]
	v_mad_i64_i32 v[32:33], s[10:11], v34, s9, 0
	s_nop 1
	ds_read_b128 v[60:63], v85 offset:4096
	ds_read_b128 v[34:37], v85 offset:6144
	s_waitcnt lgkmcnt(2)
	v_mfma_f32_16x16x16_bf16 v[10:13], v[22:23], v[2:3], v[10:13]
	v_ashrrev_i32_e32 v22, 4, v1
	v_ashrrev_i32_e32 v1, 4, v73
	global_load_dwordx4 v[68:71], v[40:41], off offset:3072
	v_mfma_f32_16x16x16_bf16 v[14:17], v[18:19], v[2:3], v[14:17]
	v_cndmask_b32_e32 v18, v72, v22, vcc
	v_ashrrev_i32_e32 v19, 31, v18
	v_cmp_gt_i32_e32 vcc, s38, v73
	s_waitcnt vmcnt(5)
	v_mfma_f32_16x16x16_bf16 v[26:29], v[48:49], v[2:3], v[26:29]
	v_ashrrev_i32_e32 v48, 4, v75
	v_lshl_add_u64 v[18:19], v[18:19], 2, s[6:7]
	v_mfma_f32_16x16x16_bf16 v[10:13], v[24:25], v[4:5], v[10:13]
	global_load_dwordx4 v[22:25], v[42:43], off offset:3072
	v_cndmask_b32_e32 v40, v72, v1, vcc
	v_cmp_gt_i32_e32 vcc, s38, v75
	v_mfma_f32_16x16x16_bf16 v[14:17], v[20:21], v[4:5], v[14:17]
	global_load_dword v42, v[18:19], off
	v_ashrrev_i32_e32 v41, 31, v40
	v_ashrrev_i32_e32 v1, 4, v80
	v_mfma_f32_16x16x16_bf16 v[18:21], v[50:51], v[4:5], v[26:29]
	s_nop 2
	v_cndmask_b32_e32 v28, v72, v48, vcc
	v_ashrrev_i32_e32 v29, 31, v28
	v_lshl_add_u64 v[26:27], v[40:41], 2, s[6:7]
	v_lshl_add_u64 v[28:29], v[28:29], 2, s[6:7]
	global_load_dword v43, v[26:27], off
	global_load_dword v50, v[28:29], off
	v_lshl_add_u64 v[26:27], v[32:33], 1, v[30:31]
	v_lshl_add_u64 v[26:27], v[26:27], 0, v[38:39]
	global_load_dwordx4 v[76:79], v[26:27], off
	s_waitcnt vmcnt(9) lgkmcnt(1)
	v_mfma_f32_16x16x16_bf16 v[10:13], v[56:57], v[60:61], v[10:13]
	v_cmp_gt_i32_e32 vcc, s38, v80
	global_load_dwordx4 v[90:93], v[26:27], off offset:3072
	v_mfma_f32_16x16x16_bf16 v[10:13], v[58:59], v[62:63], v[10:13]
	global_load_dwordx4 v[56:59], v[26:27], off offset:1024
	v_cndmask_b32_e32 v28, v72, v1, vcc
	v_ashrrev_i32_e32 v29, 31, v28
	s_waitcnt vmcnt(9)
	v_mfma_f32_16x16x16_bf16 v[18:21], v[44:45], v[60:61], v[18:21]
	v_lshl_add_u64 v[28:29], v[28:29], 2, s[6:7]
	v_lshl_or_b32 v1, v94, 4, v81
	v_lshlrev_b32_e32 v38, 5, v1
	v_mfma_f32_16x16x16_bf16 v[18:21], v[46:47], v[62:63], v[18:21]
	global_load_dwordx4 v[44:47], v[26:27], off offset:2048
	v_lshl_add_u64 v[40:41], s[4:5], 0, v[38:39]
	v_or_b32_e32 v38, 0x800, v38
	v_mfma_f32_16x16x16_bf16 v[14:17], v[64:65], v[60:61], v[14:17]
	global_load_dword v64, v[28:29], off
	v_mfma_f32_16x16x16_bf16 v[14:17], v[66:67], v[62:63], v[14:17]
	s_waitcnt vmcnt(10) lgkmcnt(0)
	v_mfma_f32_16x16x16_bf16 v[10:13], v[52:53], v[34:35], v[10:13]
	s_waitcnt vmcnt(8)
	v_mfma_f32_16x16x16_bf16 v[18:21], v[22:23], v[34:35], v[18:21]
	s_waitcnt vmcnt(7)
	v_mad_i64_i32 v[22:23], s[6:7], v42, s9, 0
	v_lshlrev_b64 v[48:49], 1, v[22:23]
	v_mfma_f32_16x16x16_bf16 v[14:17], v[68:69], v[34:35], v[14:17]
	v_mfma_f32_16x16x16_bf16 v[66:69], v[54:55], v[36:37], v[10:13]
	s_waitcnt vmcnt(6)
	s_nop 1
	v_mad_i64_i32 v[10:11], s[6:7], v43, s9, 0
	v_lshlrev_b64 v[42:43], 1, v[10:11]
	v_lshl_add_u64 v[12:13], v[40:41], 0, v[48:49]
	v_lshl_add_u64 v[10:11], v[40:41], 0, v[42:43]
	global_load_dwordx4 v[30:33], v[12:13], off
	global_load_dwordx4 v[26:29], v[12:13], off offset:16
	v_mfma_f32_16x16x16_bf16 v[86:89], v[24:25], v[36:37], v[18:21]
	global_load_dwordx4 v[22:25], v[10:11], off
	s_nop 1
	global_load_dwordx4 v[18:21], v[10:11], off offset:16
	v_pk_mul_f32 v[80:81], s[8:9], v[68:69] op_sel_hi:[0,1]
	s_waitcnt vmcnt(8)
	v_mfma_f32_16x16x16_bf16 v[10:13], v[76:77], v[6:7], 0
	v_mad_i64_i32 v[6:7], s[6:7], v50, s9, 0
	v_lshlrev_b64 v[50:51], 1, v[6:7]
	v_mfma_f32_16x16x16_bf16 v[6:9], v[78:79], v[8:9], v[10:13]
	v_pk_mul_f32 v[76:77], s[8:9], v[86:87] op_sel_hi:[0,1]
	v_pk_mul_f32 v[78:79], s[8:9], v[88:89] op_sel_hi:[0,1]
	s_waitcnt vmcnt(6)
	v_mfma_f32_16x16x16_bf16 v[6:9], v[56:57], v[2:3], v[6:9]
	v_lshl_add_u64 v[10:11], v[40:41], 0, v[50:51]
	s_waitcnt vmcnt(4)
	v_mad_i64_i32 v[2:3], s[6:7], v64, s9, 0
	v_mfma_f32_16x16x16_bf16 v[54:57], v[58:59], v[4:5], v[6:9]
	v_lshlrev_b64 v[52:53], 1, v[2:3]
	v_lshl_add_u64 v[2:3], v[40:41], 0, v[52:53]
	v_lshl_add_u64 v[64:65], s[4:5], 0, v[38:39]
	v_mfma_f32_16x16x16_bf16 v[54:57], v[44:45], v[60:61], v[54:57]
	v_lshl_add_u64 v[44:45], v[64:65], 0, v[48:49]
	v_lshl_add_u64 v[50:51], v[64:65], 0, v[50:51]
	v_mfma_f32_16x16x16_bf16 v[38:41], v[46:47], v[62:63], v[54:57]
	v_pk_mul_f32 v[62:63], s[8:9], v[66:67] op_sel_hi:[0,1]
	v_mfma_f32_16x16x16_bf16 v[38:41], v[90:91], v[34:35], v[38:41]
	v_mfma_f32_16x16x16_bf16 v[70:73], v[70:71], v[36:37], v[14:17]
	s_nop 2
	global_load_dwordx4 v[14:17], v[10:11], off
	s_nop 0
	global_load_dwordx4 v[10:13], v[10:11], off offset:16
	s_nop 0
	global_load_dwordx4 v[6:9], v[2:3], off
	s_nop 0
	global_load_dwordx4 v[2:5], v[2:3], off offset:16
	v_pk_mul_f32 v[82:83], s[8:9], v[72:73] op_sel_hi:[0,1]
	v_mfma_f32_16x16x16_bf16 v[34:37], v[92:93], v[36:37], v[38:41]
	v_pk_mul_f32 v[70:71], s[8:9], v[70:71] op_sel_hi:[0,1]
	s_nop 5
	v_pk_mul_f32 v[72:73], s[8:9], v[34:35] op_sel_hi:[0,1]
	v_and_b32_e32 v34, 0xc0, v0
	v_add_u32_e32 v34, s18, v34
	v_lshl_or_b32 v34, v95, 2, v34
	v_pk_mul_f32 v[66:67], s[8:9], v[36:37] op_sel_hi:[0,1]
	v_or_b32_e32 v37, 1, v34
	v_mov_b32_e32 v35, 0xff7fffff
	v_cmp_gt_i32_e64 s[28:29], s38, v34
	v_cmp_gt_i32_e64 s[30:31], s38, v37
	v_or_b32_e32 v38, 3, v34
	v_cndmask_b32_e64 v36, v35, v62, s[28:29]
	v_cndmask_b32_e64 v37, v35, v63, s[30:31]
	v_max3_f32 v36, v36, s40, v37
	v_or_b32_e32 v37, 2, v34
	v_cmp_gt_i32_e64 s[34:35], s38, v37
	v_cmp_gt_i32_e64 s[36:37], s38, v38
	s_nop 0
	v_cndmask_b32_e64 v37, v35, v80, s[34:35]
	v_cndmask_b32_e64 v38, v35, v81, s[36:37]
	v_max3_f32 v36, v36, v37, v38
	v_or_b32_e32 v37, 16, v34
	v_or_b32_e32 v38, 17, v34
	v_cmp_gt_i32_e64 s[22:23], s38, v37
	v_cmp_gt_i32_e64 s[24:25], s38, v38
	s_nop 0
	v_cndmask_b32_e64 v37, v35, v70, s[22:23]
	v_cndmask_b32_e64 v38, v35, v71, s[24:25]
	v_max3_f32 v36, v36, v37, v38
	v_or_b32_e32 v37, 18, v34
	;; [unrolled: 8-line block ×6, first 2 shown]
	v_or_b32_e32 v34, 51, v34
	v_cmp_gt_i32_e32 vcc, s38, v37
	v_cmp_gt_i32_e64 s[4:5], s38, v34
	global_load_dwordx4 v[46:49], v[44:45], off
	global_load_dwordx4 v[38:41], v[44:45], off offset:16
	v_cndmask_b32_e32 v37, v35, v66, vcc
	v_cndmask_b32_e64 v34, v35, v67, s[4:5]
	v_max3_f32 v54, v36, v37, v34
	v_mbcnt_lo_u32_b32 v34, -1, 0
	v_mbcnt_hi_u32_b32 v55, -1, v34
	v_and_b32_e32 v34, 64, v55
	v_add_u32_e32 v56, 64, v34
	v_xor_b32_e32 v34, 32, v55
	v_cmp_lt_i32_e64 s[38:39], v34, v56
	s_nop 1
	v_cndmask_b32_e64 v34, v55, v34, s[38:39]
	v_lshlrev_b32_e32 v75, 2, v34
	ds_bpermute_b32 v57, v75, v54
	v_lshl_add_u64 v[34:35], v[64:65], 0, v[42:43]
	global_load_dwordx4 v[42:45], v[34:35], off
	s_nop 0
	global_load_dwordx4 v[34:37], v[34:35], off offset:16
	s_waitcnt lgkmcnt(0)
	v_max_f32_e32 v57, v57, v57
	v_max_f32_e32 v68, v54, v57
	v_xor_b32_e32 v54, 16, v55
	v_cmp_lt_i32_e64 s[38:39], v54, v56
	s_nop 1
	v_cndmask_b32_e64 v54, v55, v54, s[38:39]
	v_lshlrev_b32_e32 v86, 2, v54
	ds_bpermute_b32 v69, v86, v68
	global_load_dwordx4 v[58:61], v[50:51], off
	global_load_dwordx4 v[54:57], v[50:51], off offset:16
	v_lshl_add_u64 v[50:51], v[64:65], 0, v[52:53]
	s_waitcnt lgkmcnt(0)
	v_max_f32_e32 v52, v69, v69
	v_max_f32_e32 v90, v68, v52
	v_sub_f32_e32 v52, v62, v90
	v_mul_f32_e32 v52, 0x3fb8aa3b, v52
	v_exp_f32_e32 v68, v52
	v_sub_f32_e32 v52, v63, v90
	v_mul_f32_e32 v52, 0x3fb8aa3b, v52
	v_exp_f32_e32 v69, v52
	global_load_dwordx4 v[62:65], v[50:51], off
	s_nop 0
	global_load_dwordx4 v[50:53], v[50:51], off offset:16
	v_sub_f32_e32 v80, v80, v90
	v_mul_f32_e32 v80, 0x3fb8aa3b, v80
	v_sub_f32_e32 v81, v81, v90
	v_exp_f32_e32 v80, v80
	v_mul_f32_e32 v81, 0x3fb8aa3b, v81
	v_sub_f32_e32 v70, v70, v90
	v_exp_f32_e32 v81, v81
	v_mul_f32_e32 v70, 0x3fb8aa3b, v70
	v_sub_f32_e32 v71, v71, v90
	v_cndmask_b32_e64 v68, 0, v68, s[28:29]
	v_exp_f32_e32 v70, v70
	v_mul_f32_e32 v71, 0x3fb8aa3b, v71
	v_sub_f32_e32 v82, v82, v90
	v_add_f32_e32 v87, 0, v68
	v_cndmask_b32_e64 v69, 0, v69, s[30:31]
	v_exp_f32_e32 v71, v71
	v_mul_f32_e32 v82, 0x3fb8aa3b, v82
	v_sub_f32_e32 v83, v83, v90
	v_add_f32_e32 v87, v87, v69
	v_cndmask_b32_e64 v80, 0, v80, s[34:35]
	v_exp_f32_e32 v82, v82
	v_mul_f32_e32 v83, 0x3fb8aa3b, v83
	v_sub_f32_e32 v76, v76, v90
	v_add_f32_e32 v87, v87, v80
	v_cndmask_b32_e64 v81, 0, v81, s[36:37]
	v_exp_f32_e32 v83, v83
	v_mul_f32_e32 v76, 0x3fb8aa3b, v76
	v_sub_f32_e32 v77, v77, v90
	v_add_f32_e32 v87, v87, v81
	v_cndmask_b32_e64 v70, 0, v70, s[22:23]
	v_exp_f32_e32 v76, v76
	v_mul_f32_e32 v77, 0x3fb8aa3b, v77
	v_sub_f32_e32 v78, v78, v90
	v_add_f32_e32 v87, v87, v70
	v_cndmask_b32_e64 v71, 0, v71, s[24:25]
	v_exp_f32_e32 v77, v77
	v_mul_f32_e32 v78, 0x3fb8aa3b, v78
	v_sub_f32_e32 v79, v79, v90
	v_add_f32_e32 v87, v87, v71
	v_cndmask_b32_e64 v82, 0, v82, s[18:19]
	v_exp_f32_e32 v78, v78
	v_mul_f32_e32 v79, 0x3fb8aa3b, v79
	v_sub_f32_e32 v72, v72, v90
	v_add_f32_e32 v87, v87, v82
	v_cndmask_b32_e64 v83, 0, v83, s[20:21]
	v_exp_f32_e32 v79, v79
	v_mul_f32_e32 v72, 0x3fb8aa3b, v72
	v_sub_f32_e32 v73, v73, v90
	v_add_f32_e32 v87, v87, v83
	v_cndmask_b32_e64 v76, 0, v76, s[14:15]
	v_exp_f32_e32 v72, v72
	v_mul_f32_e32 v73, 0x3fb8aa3b, v73
	v_sub_f32_e32 v66, v66, v90
	v_add_f32_e32 v87, v87, v76
	v_cndmask_b32_e64 v77, 0, v77, s[16:17]
	v_exp_f32_e32 v73, v73
	v_mul_f32_e32 v66, 0x3fb8aa3b, v66
	v_sub_f32_e32 v67, v67, v90
	v_add_f32_e32 v87, v87, v77
	v_cndmask_b32_e64 v78, 0, v78, s[10:11]
	v_exp_f32_e32 v66, v66
	v_mul_f32_e32 v67, 0x3fb8aa3b, v67
	v_add_f32_e32 v87, v87, v78
	v_cndmask_b32_e64 v79, 0, v79, s[12:13]
	v_exp_f32_e32 v67, v67
	v_add_f32_e32 v87, v87, v79
	v_cndmask_b32_e64 v72, 0, v72, s[6:7]
	v_add_f32_e32 v87, v87, v72
	v_cndmask_b32_e64 v73, 0, v73, s[8:9]
	v_add_f32_e32 v87, v87, v73
	v_cndmask_b32_e32 v66, 0, v66, vcc
	v_add_f32_e32 v87, v87, v66
	v_cndmask_b32_e64 v67, 0, v67, s[4:5]
	v_add_f32_e32 v87, v87, v67
	ds_bpermute_b32 v75, v75, v87
	v_cmp_gt_u32_e32 vcc, 16, v74
	s_waitcnt lgkmcnt(0)
	s_barrier
	v_add_f32_e32 v91, v87, v75
	ds_bpermute_b32 v92, v86, v91
	s_and_saveexec_b64 s[4:5], vcc
	s_cbranch_execz .LBB627_13
; %bb.12:
	s_waitcnt lgkmcnt(0)
	v_add_f32_e32 v74, v91, v92
	v_lshlrev_b32_e32 v1, 2, v1
	ds_write2st64_b32 v1, v90, v74 offset1:1
.LBB627_13:
	s_or_b64 exec, exec, s[4:5]
	v_and_b32_e32 v1, 15, v0
	v_lshlrev_b32_e32 v1, 2, v1
	s_load_dword s6, s[0:1], 0x94
	s_waitcnt lgkmcnt(0)
	s_barrier
	ds_read2_b32 v[88:89], v1 offset1:16
	ds_read2_b32 v[90:91], v1 offset0:32 offset1:48
	ds_read2_b32 v[92:93], v1 offset0:64 offset1:80
	s_movk_i32 s8, 0x7fff
	s_mov_b32 s9, 0x7060302
	s_waitcnt lgkmcnt(2)
	v_max3_f32 v74, v88, s40, v89
	s_waitcnt lgkmcnt(1)
	v_max3_f32 v87, v74, v90, v91
	v_sub_f32_e32 v74, v88, v87
	v_mul_f32_e32 v74, 0x3fb8aa3b, v74
	v_exp_f32_e32 v86, v74
	v_sub_f32_e32 v74, v89, v87
	v_mul_f32_e32 v74, 0x3fb8aa3b, v74
	v_exp_f32_e32 v88, v74
	;; [unrolled: 3-line block ×3, first 2 shown]
	ds_read2_b32 v[74:75], v1 offset0:96 offset1:112
	v_sub_f32_e32 v1, v91, v87
	v_mul_f32_e32 v1, 0x3fb8aa3b, v1
	v_exp_f32_e32 v1, v1
	s_waitcnt lgkmcnt(1)
	v_fma_f32 v89, v86, v92, 0
	v_fmac_f32_e32 v89, v88, v93
	s_waitcnt lgkmcnt(0)
	v_fmac_f32_e32 v89, v90, v74
	v_fmac_f32_e32 v89, v1, v75
	v_add_f32_e32 v74, 0x358637bd, v89
	v_div_scale_f32 v75, s[4:5], v74, v74, 1.0
	v_rcp_f32_e32 v91, v75
	s_barrier
	v_fma_f32 v92, -v75, v91, 1.0
	v_fmac_f32_e32 v91, v92, v91
	v_div_scale_f32 v92, vcc, 1.0, v74, 1.0
	v_mul_f32_e32 v93, v92, v91
	v_fma_f32 v95, -v75, v93, v92
	v_fmac_f32_e32 v93, v95, v91
	v_fma_f32 v75, -v75, v93, v92
	v_div_fmas_f32 v75, v75, v91, v93
	v_cmp_eq_u32_e32 vcc, 1, v94
	v_div_fixup_f32 v74, v75, v74, 1.0
	s_lshl_b32 s7, s33, 4
	v_cndmask_b32_e32 v75, v86, v88, vcc
	v_cmp_eq_u32_e32 vcc, 2, v94
	s_nop 1
	v_cndmask_b32_e32 v75, v75, v90, vcc
	v_cmp_eq_u32_e32 vcc, 3, v94
	s_nop 1
	v_cndmask_b32_e32 v1, v75, v1, vcc
	v_mul_f32_e32 v74, v1, v74
	v_pk_mul_f32 v[68:69], v[74:75], v[68:69] op_sel_hi:[0,1]
	v_pk_mul_f32 v[80:81], v[74:75], v[80:81] op_sel_hi:[0,1]
	v_bfe_u32 v1, v69, 16, 1
	v_add3_u32 v1, v69, v1, s8
	v_bfe_u32 v69, v80, 16, 1
	v_add3_u32 v69, v80, v69, s8
	scratch_load_dword v80, off, off offset:8 ; 4-byte Folded Reload
	v_bfe_u32 v75, v68, 16, 1
	v_add3_u32 v68, v68, v75, s8
	v_perm_b32 v68, v1, v68, s9
	v_bfe_u32 v1, v81, 16, 1
	v_add3_u32 v1, v81, v1, s8
	v_lshlrev_b32_e32 v75, 11, v94
	v_perm_b32 v69, v1, v69, s9
	v_lshlrev_b32_e32 v1, 3, v84
	v_pk_mul_f32 v[70:71], v[74:75], v[70:71] op_sel_hi:[0,1]
	v_pk_mul_f32 v[82:83], v[74:75], v[82:83] op_sel_hi:[0,1]
	v_cmp_gt_u32_e32 vcc, 16, v0
	s_waitcnt vmcnt(0)
	v_or3_b32 v80, v75, v80, v1
	v_bfe_u32 v1, v71, 16, 1
	v_bfe_u32 v75, v70, 16, 1
	v_add3_u32 v70, v70, v75, s8
	v_add3_u32 v1, v71, v1, s8
	v_perm_b32 v70, v1, v70, s9
	v_bfe_u32 v1, v83, 16, 1
	v_bfe_u32 v71, v82, 16, 1
	v_add3_u32 v71, v82, v71, s8
	v_add3_u32 v1, v83, v1, s8
	v_perm_b32 v71, v1, v71, s9
	ds_write2st64_b64 v80, v[68:69], v[70:71] offset1:1
	v_pk_mul_f32 v[70:71], v[74:75], v[76:77] op_sel_hi:[0,1]
	v_pk_mul_f32 v[68:69], v[74:75], v[78:79] op_sel_hi:[0,1]
	v_bfe_u32 v1, v71, 16, 1
	v_bfe_u32 v75, v70, 16, 1
	v_add3_u32 v70, v70, v75, s8
	v_add3_u32 v1, v71, v1, s8
	v_perm_b32 v70, v1, v70, s9
	v_bfe_u32 v1, v69, 16, 1
	v_bfe_u32 v71, v68, 16, 1
	v_add3_u32 v68, v68, v71, s8
	v_add3_u32 v1, v69, v1, s8
	v_perm_b32 v71, v1, v68, s9
	v_pk_mul_f32 v[68:69], v[74:75], v[72:73] op_sel_hi:[0,1]
	v_bfe_u32 v1, v69, 16, 1
	v_bfe_u32 v72, v68, 16, 1
	v_pk_mul_f32 v[66:67], v[74:75], v[66:67] op_sel_hi:[0,1]
	v_add3_u32 v68, v68, v72, s8
	v_add3_u32 v1, v69, v1, s8
	v_perm_b32 v68, v1, v68, s9
	v_bfe_u32 v1, v67, 16, 1
	v_bfe_u32 v69, v66, 16, 1
	v_add3_u32 v66, v66, v69, s8
	v_add3_u32 v1, v67, v1, s8
	v_perm_b32 v69, v1, v66, s9
	ds_write2st64_b64 v80, v[70:71], v[68:69] offset0:2 offset1:3
	s_and_saveexec_b64 s[4:5], vcc
	s_cbranch_execz .LBB627_15
; %bb.14:
	v_or_b32_e32 v66, s27, v0
	v_mov_b32_e32 v67, 0
	v_mov_b32_e32 v1, s7
	v_mad_u64_u32 v[68:69], s[10:11], s2, v1, v[66:67]
	v_mov_b32_e32 v66, s26
	s_load_dwordx4 s[12:15], s[0:1], 0x58
	s_mul_i32 s3, s3, s7
	v_mad_u64_u32 v[66:67], s[10:11], v68, s6, v[66:67]
	v_add_u32_e32 v1, s3, v69
	v_mov_b32_e32 v68, v67
	v_mad_u64_u32 v[68:69], s[10:11], v1, s6, v[68:69]
	v_mov_b32_e32 v67, v68
	v_lshlrev_b64 v[66:67], 2, v[66:67]
	s_waitcnt lgkmcnt(0)
	v_lshl_add_u64 v[68:69], s[14:15], 0, v[66:67]
	v_lshl_add_u64 v[66:67], s[12:13], 0, v[66:67]
	global_store_dword v[68:69], v87, off
	global_store_dword v[66:67], v89, off
.LBB627_15:
	s_or_b64 exec, exec, s[4:5]
	s_waitcnt lgkmcnt(0)
	s_barrier
	ds_read_b128 v[70:73], v85
	ds_read_b128 v[66:69], v85 offset:16
	s_waitcnt lgkmcnt(1)
	v_mfma_f32_16x16x16_bf16 v[76:79], v[30:31], v[70:71], 0
	s_mov_b32 s3, 0
	v_cmp_gt_u32_e32 vcc, 64, v0
	v_mfma_f32_16x16x16_bf16 v[30:33], v[32:33], v[72:73], v[76:79]
	s_waitcnt lgkmcnt(0)
	v_mfma_f32_16x16x16_bf16 v[30:33], v[26:27], v[66:67], v[30:33]
	v_mfma_f32_16x16x16_bf16 v[26:29], v[28:29], v[68:69], v[30:33]
	s_nop 5
	ds_read_b128 v[30:33], v85 offset:2048
	ds_read_b128 v[76:79], v85 offset:2064
	s_waitcnt lgkmcnt(1)
	v_mfma_f32_16x16x16_bf16 v[26:29], v[22:23], v[30:31], v[26:29]
	v_mfma_f32_16x16x16_bf16 v[22:25], v[24:25], v[32:33], v[26:29]
	s_waitcnt lgkmcnt(0)
	v_mfma_f32_16x16x16_bf16 v[22:25], v[18:19], v[76:77], v[22:25]
	v_mfma_f32_16x16x16_bf16 v[18:21], v[20:21], v[78:79], v[22:25]
	s_nop 5
	ds_read_b128 v[22:25], v85 offset:4096
	ds_read_b128 v[26:29], v85 offset:4112
	s_waitcnt lgkmcnt(1)
	v_mfma_f32_16x16x16_bf16 v[18:21], v[14:15], v[22:23], v[18:21]
	v_mfma_f32_16x16x16_bf16 v[14:17], v[16:17], v[24:25], v[18:21]
	s_waitcnt lgkmcnt(0)
	v_mfma_f32_16x16x16_bf16 v[14:17], v[10:11], v[26:27], v[14:17]
	v_mfma_f32_16x16x16_bf16 v[10:13], v[12:13], v[28:29], v[14:17]
	s_nop 5
	ds_read_b128 v[14:17], v85 offset:6144
	ds_read_b128 v[18:21], v85 offset:6160
	s_waitcnt lgkmcnt(0)
	s_barrier
	v_mfma_f32_16x16x16_bf16 v[10:13], v[6:7], v[14:15], v[10:13]
	v_mfma_f32_16x16x16_bf16 v[6:9], v[8:9], v[16:17], v[10:13]
	;; [unrolled: 1-line block ×6, first 2 shown]
	s_nop 4
	v_bfe_u32 v1, v3, 16, 1
	v_bfe_u32 v10, v2, 16, 1
	v_add3_u32 v2, v2, v10, s8
	v_mfma_f32_16x16x16_bf16 v[6:9], v[38:39], v[66:67], v[6:9]
	v_add3_u32 v1, v3, v1, s8
	v_perm_b32 v10, v1, v2, s9
	v_bfe_u32 v1, v5, 16, 1
	v_mfma_f32_16x16x16_bf16 v[6:9], v[40:41], v[68:69], v[6:9]
	v_bfe_u32 v2, v4, 16, 1
	v_add3_u32 v2, v4, v2, s8
	v_add3_u32 v1, v5, v1, s8
	v_mfma_f32_16x16x16_bf16 v[6:9], v[42:43], v[30:31], v[6:9]
	v_perm_b32 v11, v1, v2, s9
	v_mfma_f32_16x16x16_bf16 v[6:9], v[44:45], v[32:33], v[6:9]
	v_mfma_f32_16x16x16_bf16 v[6:9], v[34:35], v[76:77], v[6:9]
	;; [unrolled: 1-line block ×11, first 2 shown]
	s_nop 6
	v_bfe_u32 v1, v3, 16, 1
	v_bfe_u32 v6, v2, 16, 1
	v_add3_u32 v2, v2, v6, s8
	v_add3_u32 v1, v3, v1, s8
	v_perm_b32 v2, v1, v2, s9
	v_bfe_u32 v1, v5, 16, 1
	v_bfe_u32 v3, v4, 16, 1
	v_add3_u32 v3, v4, v3, s8
	v_add3_u32 v1, v5, v1, s8
	v_perm_b32 v3, v1, v3, s9
	ds_write2st64_b64 v80, v[10:11], v[2:3] offset1:1
	s_waitcnt lgkmcnt(0)
	s_barrier
	s_and_saveexec_b64 s[4:5], vcc
	s_cbranch_execz .LBB627_17
; %bb.16:
	v_and_b32_e32 v3, 15, v0
	v_lshlrev_b32_e32 v3, 6, v3
	v_lshlrev_b32_e32 v2, 4, v0
	v_lshl_or_b32 v0, v0, 10, v3
	v_lshlrev_b32_e32 v1, 5, v84
	v_and_b32_e32 v2, 16, v2
	v_and_b32_e32 v0, 0x1a00, v0
	v_or3_b32 v12, v0, v1, v2
	ds_read_b128 v[0:3], v12
	ds_read_b128 v[4:7], v12 offset:128
	ds_read_b128 v[8:11], v12 offset:256
	;; [unrolled: 1-line block ×3, first 2 shown]
	scratch_load_dwordx2 v[16:17], off, off ; 8-byte Folded Reload
	s_load_dwordx2 s[0:1], s[0:1], 0x68
	s_lshl_b32 s6, s6, 7
	s_mul_i32 s2, s7, s2
	s_mul_hi_u32 s5, s2, s6
	s_mul_i32 s4, s2, s6
	s_lshl_b64 s[4:5], s[4:5], 1
	s_waitcnt lgkmcnt(0)
	s_add_u32 s4, s0, s4
	s_addc_u32 s5, s1, s5
	s_lshl_b32 s2, s26, 7
	s_lshl_b64 s[0:1], s[2:3], 1
	s_add_u32 s0, s4, s0
	s_addc_u32 s1, s5, s1
	s_waitcnt vmcnt(0)
	v_mov_b32_e32 v17, 0
	v_or_b32_e32 v20, s27, v84
	v_lshl_add_u64 v[16:17], s[0:1], 0, v[16:17]
	v_mad_u64_u32 v[18:19], s[0:1], v20, s6, 0
	v_lshl_add_u64 v[18:19], v[18:19], 1, v[16:17]
	global_store_dwordx4 v[18:19], v[0:3], off
	s_nop 1
	v_or_b32_e32 v0, 4, v20
	v_mad_u64_u32 v[0:1], s[0:1], v0, s6, 0
	v_lshl_add_u64 v[0:1], v[0:1], 1, v[16:17]
	global_store_dwordx4 v[0:1], v[4:7], off
	v_or_b32_e32 v0, 8, v20
	v_mad_u64_u32 v[0:1], s[0:1], v0, s6, 0
	v_lshl_add_u64 v[0:1], v[0:1], 1, v[16:17]
	global_store_dwordx4 v[0:1], v[8:11], off
	;; [unrolled: 4-line block ×3, first 2 shown]
.LBB627_17:
	s_endpgm
	.section	.rodata,"a",@progbits
	.p2align	6, 0x0
	.amdhsa_kernel _Z39paged_attention_ll4mi_QKV_mfma16_kernelI14__hip_bfloat16S0_LN4vllm18Fp8KVCacheDataTypeE0EhLi16ELi128ELi256ELb0ELi16EEvPKT_PKT0_S8_ifPKiSA_SA_iPKfiiiPfSD_PS3_PT2_iSC_SC_
		.amdhsa_group_segment_fixed_size 8192
		.amdhsa_private_segment_fixed_size 16
		.amdhsa_kernarg_size 400
		.amdhsa_user_sgpr_count 2
		.amdhsa_user_sgpr_dispatch_ptr 0
		.amdhsa_user_sgpr_queue_ptr 0
		.amdhsa_user_sgpr_kernarg_segment_ptr 1
		.amdhsa_user_sgpr_dispatch_id 0
		.amdhsa_user_sgpr_kernarg_preload_length 0
		.amdhsa_user_sgpr_kernarg_preload_offset 0
		.amdhsa_user_sgpr_private_segment_size 0
		.amdhsa_uses_dynamic_stack 0
		.amdhsa_enable_private_segment 1
		.amdhsa_system_sgpr_workgroup_id_x 1
		.amdhsa_system_sgpr_workgroup_id_y 1
		.amdhsa_system_sgpr_workgroup_id_z 1
		.amdhsa_system_sgpr_workgroup_info 0
		.amdhsa_system_vgpr_workitem_id 0
		.amdhsa_next_free_vgpr 96
		.amdhsa_next_free_sgpr 41
		.amdhsa_accum_offset 96
		.amdhsa_reserve_vcc 1
		.amdhsa_float_round_mode_32 0
		.amdhsa_float_round_mode_16_64 0
		.amdhsa_float_denorm_mode_32 3
		.amdhsa_float_denorm_mode_16_64 3
		.amdhsa_dx10_clamp 1
		.amdhsa_ieee_mode 1
		.amdhsa_fp16_overflow 0
		.amdhsa_tg_split 0
		.amdhsa_exception_fp_ieee_invalid_op 0
		.amdhsa_exception_fp_denorm_src 0
		.amdhsa_exception_fp_ieee_div_zero 0
		.amdhsa_exception_fp_ieee_overflow 0
		.amdhsa_exception_fp_ieee_underflow 0
		.amdhsa_exception_fp_ieee_inexact 0
		.amdhsa_exception_int_div_zero 0
	.end_amdhsa_kernel
	.section	.text._Z39paged_attention_ll4mi_QKV_mfma16_kernelI14__hip_bfloat16S0_LN4vllm18Fp8KVCacheDataTypeE0EhLi16ELi128ELi256ELb0ELi16EEvPKT_PKT0_S8_ifPKiSA_SA_iPKfiiiPfSD_PS3_PT2_iSC_SC_,"axG",@progbits,_Z39paged_attention_ll4mi_QKV_mfma16_kernelI14__hip_bfloat16S0_LN4vllm18Fp8KVCacheDataTypeE0EhLi16ELi128ELi256ELb0ELi16EEvPKT_PKT0_S8_ifPKiSA_SA_iPKfiiiPfSD_PS3_PT2_iSC_SC_,comdat
.Lfunc_end627:
	.size	_Z39paged_attention_ll4mi_QKV_mfma16_kernelI14__hip_bfloat16S0_LN4vllm18Fp8KVCacheDataTypeE0EhLi16ELi128ELi256ELb0ELi16EEvPKT_PKT0_S8_ifPKiSA_SA_iPKfiiiPfSD_PS3_PT2_iSC_SC_, .Lfunc_end627-_Z39paged_attention_ll4mi_QKV_mfma16_kernelI14__hip_bfloat16S0_LN4vllm18Fp8KVCacheDataTypeE0EhLi16ELi128ELi256ELb0ELi16EEvPKT_PKT0_S8_ifPKiSA_SA_iPKfiiiPfSD_PS3_PT2_iSC_SC_
                                        ; -- End function
	.section	.AMDGPU.csdata,"",@progbits
; Kernel info:
; codeLenInByte = 4736
; NumSgprs: 47
; NumVgprs: 96
; NumAgprs: 0
; TotalNumVgprs: 96
; ScratchSize: 16
; MemoryBound: 0
; FloatMode: 240
; IeeeMode: 1
; LDSByteSize: 8192 bytes/workgroup (compile time only)
; SGPRBlocks: 5
; VGPRBlocks: 11
; NumSGPRsForWavesPerEU: 47
; NumVGPRsForWavesPerEU: 96
; AccumOffset: 96
; Occupancy: 5
; WaveLimiterHint : 1
; COMPUTE_PGM_RSRC2:SCRATCH_EN: 1
; COMPUTE_PGM_RSRC2:USER_SGPR: 2
; COMPUTE_PGM_RSRC2:TRAP_HANDLER: 0
; COMPUTE_PGM_RSRC2:TGID_X_EN: 1
; COMPUTE_PGM_RSRC2:TGID_Y_EN: 1
; COMPUTE_PGM_RSRC2:TGID_Z_EN: 1
; COMPUTE_PGM_RSRC2:TIDIG_COMP_CNT: 0
; COMPUTE_PGM_RSRC3_GFX90A:ACCUM_OFFSET: 23
; COMPUTE_PGM_RSRC3_GFX90A:TG_SPLIT: 0
	.section	.text._Z39paged_attention_ll4mi_QKV_mfma16_kernelI14__hip_bfloat16S0_LN4vllm18Fp8KVCacheDataTypeE0EhLi16ELi128ELi256ELb0ELi1EEvPKT_PKT0_S8_ifPKiSA_SA_iPKfiiiPfSD_PS3_PT2_iSC_SC_,"axG",@progbits,_Z39paged_attention_ll4mi_QKV_mfma16_kernelI14__hip_bfloat16S0_LN4vllm18Fp8KVCacheDataTypeE0EhLi16ELi128ELi256ELb0ELi1EEvPKT_PKT0_S8_ifPKiSA_SA_iPKfiiiPfSD_PS3_PT2_iSC_SC_,comdat
	.protected	_Z39paged_attention_ll4mi_QKV_mfma16_kernelI14__hip_bfloat16S0_LN4vllm18Fp8KVCacheDataTypeE0EhLi16ELi128ELi256ELb0ELi1EEvPKT_PKT0_S8_ifPKiSA_SA_iPKfiiiPfSD_PS3_PT2_iSC_SC_ ; -- Begin function _Z39paged_attention_ll4mi_QKV_mfma16_kernelI14__hip_bfloat16S0_LN4vllm18Fp8KVCacheDataTypeE0EhLi16ELi128ELi256ELb0ELi1EEvPKT_PKT0_S8_ifPKiSA_SA_iPKfiiiPfSD_PS3_PT2_iSC_SC_
	.globl	_Z39paged_attention_ll4mi_QKV_mfma16_kernelI14__hip_bfloat16S0_LN4vllm18Fp8KVCacheDataTypeE0EhLi16ELi128ELi256ELb0ELi1EEvPKT_PKT0_S8_ifPKiSA_SA_iPKfiiiPfSD_PS3_PT2_iSC_SC_
	.p2align	8
	.type	_Z39paged_attention_ll4mi_QKV_mfma16_kernelI14__hip_bfloat16S0_LN4vllm18Fp8KVCacheDataTypeE0EhLi16ELi128ELi256ELb0ELi1EEvPKT_PKT0_S8_ifPKiSA_SA_iPKfiiiPfSD_PS3_PT2_iSC_SC_,@function
_Z39paged_attention_ll4mi_QKV_mfma16_kernelI14__hip_bfloat16S0_LN4vllm18Fp8KVCacheDataTypeE0EhLi16ELi128ELi256ELb0ELi1EEvPKT_PKT0_S8_ifPKiSA_SA_iPKfiiiPfSD_PS3_PT2_iSC_SC_: ; @_Z39paged_attention_ll4mi_QKV_mfma16_kernelI14__hip_bfloat16S0_LN4vllm18Fp8KVCacheDataTypeE0EhLi16ELi128ELi256ELb0ELi1EEvPKT_PKT0_S8_ifPKiSA_SA_iPKfiiiPfSD_PS3_PT2_iSC_SC_
; %bb.0:
	s_load_dwordx2 s[8:9], s[0:1], 0x30
	s_mov_b32 s5, s3
	s_mov_b64 s[6:7], 0
	s_waitcnt lgkmcnt(0)
	s_cmp_lg_u64 s[8:9], 0
	s_cselect_b64 s[10:11], -1, 0
	s_and_b64 vcc, exec, s[10:11]
	s_cbranch_vccz .LBB628_7
; %bb.1:
	s_add_i32 s12, s2, 1
	s_mov_b32 s13, 0
	s_lshl_b64 s[14:15], s[12:13], 2
	s_add_u32 s14, s8, s14
	s_mov_b32 s3, s13
	s_addc_u32 s15, s9, s15
	s_lshl_b64 s[12:13], s[2:3], 2
	s_add_u32 s12, s8, s12
	s_addc_u32 s13, s9, s13
	s_load_dword s16, s[14:15], 0x0
	s_load_dword s17, s[12:13], 0x0
	s_waitcnt lgkmcnt(0)
	s_sub_i32 s12, s16, s17
	s_cmp_eq_u32 s12, 1
	s_cselect_b64 s[12:13], -1, 0
	s_andn2_b64 vcc, exec, s[6:7]
	s_cbranch_vccnz .LBB628_3
.LBB628_2:
	s_mov_b32 s3, 0
	s_mov_b64 s[12:13], -1
.LBB628_3:
	s_andn2_b64 vcc, exec, s[12:13]
	s_cbranch_vccnz .LBB628_17
; %bb.4:
	s_load_dwordx2 s[6:7], s[0:1], 0x28
	s_lshl_b64 s[16:17], s[2:3], 2
	s_waitcnt lgkmcnt(0)
	s_add_u32 s6, s6, s16
	s_addc_u32 s7, s7, s17
	s_load_dword s26, s[6:7], 0x0
	s_lshl_b32 s18, s5, 8
	s_waitcnt lgkmcnt(0)
	s_cmp_ge_i32 s18, s26
	s_cbranch_scc1 .LBB628_17
; %bb.5:
	s_load_dwordx2 s[6:7], s[0:1], 0x20
	s_load_dword s12, s[0:1], 0x38
	s_add_i32 s13, s26, 15
	s_ashr_i32 s14, s13, 31
	v_and_b32_e32 v1, 0xcf, v0
	s_lshr_b32 s14, s14, 28
	v_add_u32_e32 v1, s18, v1
	s_add_i32 s13, s13, s14
	v_ashrrev_i32_e32 v2, 31, v1
	s_ashr_i32 s19, s13, 4
	v_lshrrev_b32_e32 v4, 28, v2
	s_add_i32 s19, s19, -1
	s_waitcnt lgkmcnt(0)
	s_mul_i32 s12, s2, s12
	s_mov_b32 s13, 0
	v_add_u32_e32 v2, v1, v4
	s_lshl_b64 s[12:13], s[12:13], 2
	v_ashrrev_i32_e32 v2, 4, v2
	v_mov_b32_e32 v5, s19
	v_cmp_gt_i32_e32 vcc, s26, v1
	s_add_u32 s6, s6, s12
	s_addc_u32 s7, s7, s13
	v_cndmask_b32_e32 v2, v5, v2, vcc
	v_ashrrev_i32_e32 v3, 31, v2
	v_lshl_add_u64 v[6:7], v[2:3], 2, s[6:7]
	v_or_b32_e32 v2, 16, v1
	v_add_u32_e32 v3, v2, v4
	v_ashrrev_i32_e32 v3, 4, v3
	v_cmp_gt_i32_e32 vcc, s26, v2
	s_load_dwordx4 s[12:15], s[0:1], 0x8
	s_nop 0
	v_cndmask_b32_e32 v2, v5, v3, vcc
	v_ashrrev_i32_e32 v3, 31, v2
	v_lshl_add_u64 v[8:9], v[2:3], 2, s[6:7]
	v_or_b32_e32 v2, 32, v1
	v_add_u32_e32 v3, v2, v4
	v_ashrrev_i32_e32 v3, 4, v3
	v_cmp_gt_i32_e32 vcc, s26, v2
	v_or_b32_e32 v1, 48, v1
	s_nop 0
	v_cndmask_b32_e32 v2, v5, v3, vcc
	v_ashrrev_i32_e32 v3, 31, v2
	v_lshl_add_u64 v[10:11], v[2:3], 2, s[6:7]
	v_add_u32_e32 v2, v1, v4
	v_ashrrev_i32_e32 v2, 4, v2
	v_cmp_gt_i32_e32 vcc, s26, v1
	s_nop 1
	v_cndmask_b32_e32 v2, v5, v2, vcc
	v_ashrrev_i32_e32 v3, 31, v2
	v_lshl_add_u64 v[12:13], v[2:3], 2, s[6:7]
	global_load_dword v4, v[6:7], off
	global_load_dword v3, v[8:9], off
	;; [unrolled: 1-line block ×4, first 2 shown]
	s_andn2_b64 vcc, exec, s[10:11]
	s_cbranch_vccnz .LBB628_8
; %bb.6:
	s_add_u32 s8, s8, s16
	s_addc_u32 s9, s9, s17
	s_load_dword s20, s[8:9], 0x0
	s_branch .LBB628_9
.LBB628_7:
	s_mov_b64 s[12:13], 0
	s_branch .LBB628_2
.LBB628_8:
	s_mov_b32 s20, s2
.LBB628_9:
	s_load_dwordx4 s[8:11], s[0:1], 0x48
	v_lshrrev_b32_e32 v87, 6, v0
	v_bfe_u32 v84, v0, 4, 2
	v_and_b32_e32 v85, 15, v0
	v_lshl_or_b32 v1, v87, 2, v84
	v_lshlrev_b32_e32 v5, 3, v85
	v_and_b32_e32 v88, 63, v0
	v_cmp_eq_u32_e32 vcc, 0, v1
	v_lshlrev_b32_e32 v1, 1, v5
	scratch_store_dword off, v1, off        ; 4-byte Folded Spill
	s_and_saveexec_b64 s[16:17], vcc
	s_cbranch_execz .LBB628_11
; %bb.10:
	scratch_load_dword v1, off, off         ; 4-byte Folded Reload
	s_load_dwordx2 s[22:23], s[0:1], 0x0
	s_waitcnt lgkmcnt(0)
	s_ashr_i32 s11, s8, 31
	s_mul_hi_u32 s21, s20, s8
	s_mul_i32 s11, s20, s11
	s_add_i32 s21, s21, s11
	s_mul_i32 s20, s20, s8
	s_lshl_b64 s[20:21], s[20:21], 1
	s_add_u32 s8, s22, s20
	s_addc_u32 s11, s23, s21
	s_lshl_b32 s20, s4, 7
	s_ashr_i32 s21, s20, 31
	s_lshl_b64 s[20:21], s[20:21], 1
	s_add_u32 s20, s8, s20
	s_addc_u32 s21, s11, s21
	v_and_b32_e32 v5, 3, v0
	v_lshlrev_b32_e32 v10, 9, v85
	v_lshlrev_b32_e32 v5, 9, v5
	s_movk_i32 s8, 0x1800
	v_and_or_b32 v5, v10, s8, v5
	s_waitcnt vmcnt(0)
	global_load_dwordx4 v[6:9], v1, s[20:21]
	s_waitcnt vmcnt(0)
	ds_write_b128 v5, v[6:9]
.LBB628_11:
	s_or_b64 exec, exec, s[16:17]
	s_waitcnt lgkmcnt(0)
	s_mul_i32 s10, s4, s10
	s_mov_b32 s11, 0
	s_lshl_b64 s[10:11], s[10:11], 1
	s_add_u32 s12, s12, s10
	v_lshlrev_b32_e32 v1, 4, v0
	s_addc_u32 s13, s13, s11
	v_and_b32_e32 v66, 0xf0, v1
	v_mov_b32_e32 v67, 0
	v_lshl_add_u64 v[30:31], s[12:13], 0, v[66:67]
	s_waitcnt vmcnt(4)
	v_mad_i64_i32 v[4:5], s[12:13], v4, s9, 0
	v_lshl_add_u64 v[4:5], v[4:5], 1, v[30:31]
	v_and_b32_e32 v66, 0x300, v1
	v_lshl_add_u64 v[32:33], v[4:5], 0, v[66:67]
	s_waitcnt vmcnt(3)
	v_mad_i64_i32 v[4:5], s[12:13], v3, s9, 0
	s_barrier
	global_load_dwordx4 v[10:13], v[32:33], off
	v_lshl_add_u64 v[4:5], v[4:5], 1, v[30:31]
	v_lshl_add_u64 v[42:43], v[4:5], 0, v[66:67]
	global_load_dwordx4 v[14:17], v[42:43], off
	s_waitcnt vmcnt(4)
	v_mad_i64_i32 v[2:3], s[12:13], v2, s9, 0
	v_lshl_add_u64 v[2:3], v[2:3], 1, v[30:31]
	v_lshl_add_u64 v[44:45], v[2:3], 0, v[66:67]
	global_load_dwordx4 v[26:29], v[44:45], off
	global_load_dwordx4 v[22:25], v[32:33], off offset:1024
	global_load_dwordx4 v[18:21], v[42:43], off offset:1024
	global_load_dwordx4 v[54:57], v[32:33], off offset:2048
	global_load_dwordx4 v[46:49], v[44:45], off offset:1024
	global_load_dwordx4 v[62:65], v[42:43], off offset:2048
	global_load_dwordx4 v[68:71], v[44:45], off offset:2048
	v_lshlrev_b32_e32 v35, 9, v84
	ds_read_b128 v[6:9], v35
	ds_read_b128 v[2:5], v35 offset:2048
	v_and_or_b32 v74, v0, 48, s18
	v_mov_b32_e32 v76, s19
	v_or_b32_e32 v75, 64, v74
	v_cmp_gt_i32_e32 vcc, s26, v74
	s_waitcnt vmcnt(10)
	v_mad_i64_i32 v[72:73], s[12:13], v34, s9, 0
	v_or_b32_e32 v77, 0x80, v74
	v_or_b32_e32 v78, 0xc0, v74
	v_lshl_or_b32 v89, v87, 4, v85
	s_add_u32 s10, s14, s10
	s_addc_u32 s11, s15, s11
	s_mov_b32 s33, 0xff7fffff
	s_waitcnt vmcnt(6) lgkmcnt(1)
	v_mfma_f32_16x16x16_bf16 v[58:61], v[26:27], v[6:7], 0
	v_mfma_f32_16x16x16_bf16 v[36:39], v[10:11], v[6:7], 0
	;; [unrolled: 1-line block ×4, first 2 shown]
	s_nop 4
	ds_read_b128 v[38:41], v35 offset:4096
	ds_read_b128 v[34:37], v35 offset:6144
	v_mfma_f32_16x16x16_bf16 v[14:17], v[16:17], v[8:9], v[50:53]
	s_waitcnt vmcnt(5) lgkmcnt(2)
	v_mfma_f32_16x16x16_bf16 v[10:13], v[22:23], v[2:3], v[10:13]
	s_nop 0
	global_load_dwordx4 v[50:53], v[32:33], off offset:3072
	v_ashrrev_i32_e32 v22, 4, v75
	v_mfma_f32_16x16x16_bf16 v[26:29], v[28:29], v[8:9], v[58:61]
	s_nop 2
	v_ashrrev_i32_e32 v58, 4, v74
	s_waitcnt vmcnt(5)
	v_mfma_f32_16x16x16_bf16 v[14:17], v[18:19], v[2:3], v[14:17]
	v_cndmask_b32_e32 v18, v76, v58, vcc
	global_load_dwordx4 v[58:61], v[42:43], off offset:3072
	v_cmp_gt_i32_e32 vcc, s26, v75
	v_ashrrev_i32_e32 v32, 4, v77
	v_mfma_f32_16x16x16_bf16 v[10:13], v[24:25], v[4:5], v[10:13]
	v_cndmask_b32_e32 v22, v76, v22, vcc
	v_cmp_gt_i32_e32 vcc, s26, v77
	global_load_dwordx4 v[42:45], v[44:45], off offset:3072
	s_waitcnt vmcnt(5)
	v_mfma_f32_16x16x16_bf16 v[26:29], v[46:47], v[2:3], v[26:29]
	v_cndmask_b32_e32 v24, v76, v32, vcc
	v_ashrrev_i32_e32 v19, 31, v18
	v_ashrrev_i32_e32 v25, 31, v24
	v_lshl_add_u64 v[18:19], v[18:19], 2, s[6:7]
	v_ashrrev_i32_e32 v23, 31, v22
	v_lshl_add_u64 v[24:25], v[24:25], 2, s[6:7]
	global_load_dword v33, v[18:19], off
	global_load_dword v83, v[24:25], off
	v_lshl_add_u64 v[18:19], v[22:23], 2, s[6:7]
	v_lshl_add_u64 v[22:23], v[72:73], 1, v[30:31]
	;; [unrolled: 1-line block ×3, first 2 shown]
	v_mfma_f32_16x16x16_bf16 v[14:17], v[20:21], v[4:5], v[14:17]
	global_load_dword v82, v[18:19], off
	global_load_dwordx4 v[72:75], v[22:23], off offset:1024
	v_cmp_gt_i32_e32 vcc, s26, v78
	v_mfma_f32_16x16x16_bf16 v[18:21], v[48:49], v[4:5], v[26:29]
	global_load_dwordx4 v[46:49], v[22:23], off
	v_lshlrev_b32_e32 v66, 5, v89
	s_waitcnt lgkmcnt(1)
	v_mfma_f32_16x16x16_bf16 v[10:13], v[54:55], v[38:39], v[10:13]
	v_ashrrev_i32_e32 v26, 4, v78
	v_cndmask_b32_e32 v24, v76, v26, vcc
	v_ashrrev_i32_e32 v25, 31, v24
	v_mfma_f32_16x16x16_bf16 v[10:13], v[56:57], v[40:41], v[10:13]
	global_load_dwordx4 v[54:57], v[22:23], off offset:2048
	v_lshl_add_u64 v[24:25], v[24:25], 2, s[6:7]
	global_load_dword v94, v[24:25], off
	s_waitcnt vmcnt(10)
	v_mfma_f32_16x16x16_bf16 v[18:21], v[68:69], v[38:39], v[18:21]
	s_load_dword s6, s[0:1], 0x1c
	v_mfma_f32_16x16x16_bf16 v[18:21], v[70:71], v[40:41], v[18:21]
	global_load_dwordx4 v[68:71], v[22:23], off offset:3072
	s_waitcnt vmcnt(7)
	v_mad_i64_i32 v[22:23], s[12:13], v33, s9, 0
	s_waitcnt lgkmcnt(0)
	v_mfma_f32_16x16x16_bf16 v[10:13], v[50:51], v[34:35], v[10:13]
	v_lshlrev_b64 v[80:81], 1, v[22:23]
	v_mfma_f32_16x16x16_bf16 v[18:21], v[42:43], v[34:35], v[18:21]
	v_mfma_f32_16x16x16_bf16 v[76:79], v[52:53], v[36:37], v[10:13]
	s_waitcnt vmcnt(5)
	s_nop 2
	v_mad_i64_i32 v[10:11], s[12:13], v82, s9, 0
	v_mfma_f32_16x16x16_bf16 v[14:17], v[62:63], v[38:39], v[14:17]
	v_lshl_add_u64 v[62:63], s[10:11], 0, v[66:67]
	v_lshlrev_b64 v[42:43], 1, v[10:11]
	v_lshl_add_u64 v[12:13], v[62:63], 0, v[80:81]
	v_lshl_add_u64 v[10:11], v[62:63], 0, v[42:43]
	global_load_dwordx4 v[30:33], v[12:13], off
	global_load_dwordx4 v[26:29], v[12:13], off offset:16
	v_mfma_f32_16x16x16_bf16 v[90:93], v[44:45], v[36:37], v[18:21]
	global_load_dwordx4 v[22:25], v[10:11], off
	s_nop 1
	global_load_dwordx4 v[18:21], v[10:11], off offset:16
	v_or_b32_e32 v66, 0x800, v66
	s_waitcnt vmcnt(7)
	v_mfma_f32_16x16x16_bf16 v[10:13], v[46:47], v[6:7], 0
	v_mad_i64_i32 v[6:7], s[12:13], v83, s9, 0
	v_lshlrev_b64 v[50:51], 1, v[6:7]
	v_mfma_f32_16x16x16_bf16 v[6:9], v[48:49], v[8:9], v[10:13]
	v_mfma_f32_16x16x16_bf16 v[6:9], v[72:73], v[2:3], v[6:9]
	s_waitcnt vmcnt(5)
	v_mad_i64_i32 v[2:3], s[8:9], v94, s9, 0
	v_lshlrev_b64 v[52:53], 1, v[2:3]
	v_mfma_f32_16x16x16_bf16 v[44:47], v[74:75], v[4:5], v[6:9]
	v_lshl_add_u64 v[10:11], v[62:63], 0, v[50:51]
	v_lshl_add_u64 v[2:3], v[62:63], 0, v[52:53]
	v_pk_mul_f32 v[62:63], s[6:7], v[76:77] op_sel_hi:[0,1]
	v_mfma_f32_16x16x16_bf16 v[44:47], v[54:55], v[38:39], v[44:47]
	v_pk_mul_f32 v[76:77], s[6:7], v[90:91] op_sel_hi:[0,1]
	v_mfma_f32_16x16x16_bf16 v[14:17], v[64:65], v[40:41], v[14:17]
	v_lshl_add_u64 v[64:65], s[10:11], 0, v[66:67]
	v_lshl_add_u64 v[54:55], v[64:65], 0, v[80:81]
	v_pk_mul_f32 v[80:81], s[6:7], v[78:79] op_sel_hi:[0,1]
	v_mfma_f32_16x16x16_bf16 v[38:41], v[56:57], v[40:41], v[44:47]
	v_pk_mul_f32 v[78:79], s[6:7], v[92:93] op_sel_hi:[0,1]
	v_lshl_add_u64 v[50:51], v[64:65], 0, v[50:51]
	v_mfma_f32_16x16x16_bf16 v[14:17], v[58:59], v[34:35], v[14:17]
	s_waitcnt vmcnt(4)
	v_mfma_f32_16x16x16_bf16 v[38:41], v[68:69], v[34:35], v[38:41]
	v_mfma_f32_16x16x16_bf16 v[58:61], v[60:61], v[36:37], v[14:17]
	s_nop 3
	global_load_dwordx4 v[14:17], v[10:11], off
	s_nop 0
	global_load_dwordx4 v[10:13], v[10:11], off offset:16
	s_nop 0
	global_load_dwordx4 v[6:9], v[2:3], off
	s_nop 0
	global_load_dwordx4 v[2:5], v[2:3], off offset:16
	v_pk_mul_f32 v[72:73], s[6:7], v[58:59] op_sel_hi:[0,1]
	v_mfma_f32_16x16x16_bf16 v[34:37], v[70:71], v[36:37], v[38:41]
	v_pk_mul_f32 v[82:83], s[6:7], v[60:61] op_sel_hi:[0,1]
	s_nop 5
	v_pk_mul_f32 v[74:75], s[6:7], v[34:35] op_sel_hi:[0,1]
	v_and_b32_e32 v34, 0xc0, v0
	v_add_u32_e32 v34, s18, v34
	v_lshl_or_b32 v34, v84, 2, v34
	v_pk_mul_f32 v[68:69], s[6:7], v[36:37] op_sel_hi:[0,1]
	v_or_b32_e32 v37, 1, v34
	v_mov_b32_e32 v35, 0xff7fffff
	v_cmp_gt_i32_e64 s[28:29], s26, v34
	v_cmp_gt_i32_e64 s[30:31], s26, v37
	v_or_b32_e32 v38, 3, v34
	v_cndmask_b32_e64 v36, v35, v62, s[28:29]
	v_cndmask_b32_e64 v37, v35, v63, s[30:31]
	v_max3_f32 v36, v36, s33, v37
	v_or_b32_e32 v37, 2, v34
	v_cmp_gt_i32_e64 s[34:35], s26, v37
	v_cmp_gt_i32_e64 s[36:37], s26, v38
	s_nop 0
	v_cndmask_b32_e64 v37, v35, v80, s[34:35]
	v_cndmask_b32_e64 v38, v35, v81, s[36:37]
	v_max3_f32 v36, v36, v37, v38
	v_or_b32_e32 v37, 16, v34
	v_or_b32_e32 v38, 17, v34
	v_cmp_gt_i32_e64 s[22:23], s26, v37
	v_cmp_gt_i32_e64 s[24:25], s26, v38
	s_nop 0
	v_cndmask_b32_e64 v37, v35, v72, s[22:23]
	v_cndmask_b32_e64 v38, v35, v73, s[24:25]
	v_max3_f32 v36, v36, v37, v38
	v_or_b32_e32 v37, 18, v34
	;; [unrolled: 8-line block ×6, first 2 shown]
	v_or_b32_e32 v34, 51, v34
	v_cmp_gt_i32_e32 vcc, s26, v37
	v_cmp_gt_i32_e64 s[26:27], s26, v34
	global_load_dwordx4 v[46:49], v[54:55], off
	global_load_dwordx4 v[38:41], v[54:55], off offset:16
	v_cndmask_b32_e32 v37, v35, v68, vcc
	v_cndmask_b32_e64 v34, v35, v69, s[26:27]
	v_max3_f32 v56, v36, v37, v34
	v_mbcnt_lo_u32_b32 v34, -1, 0
	v_mbcnt_hi_u32_b32 v57, -1, v34
	v_and_b32_e32 v34, 64, v57
	v_add_u32_e32 v58, 64, v34
	v_xor_b32_e32 v34, 32, v57
	v_cmp_lt_i32_e64 s[38:39], v34, v58
	s_nop 1
	v_cndmask_b32_e64 v34, v57, v34, s[38:39]
	v_lshlrev_b32_e32 v90, 2, v34
	ds_bpermute_b32 v59, v90, v56
	v_lshl_add_u64 v[34:35], v[64:65], 0, v[42:43]
	global_load_dwordx4 v[42:45], v[34:35], off
	s_nop 0
	global_load_dwordx4 v[34:37], v[34:35], off offset:16
	s_waitcnt lgkmcnt(0)
	v_max_f32_e32 v54, v59, v59
	v_max_f32_e32 v66, v56, v54
	v_xor_b32_e32 v54, 16, v57
	v_cmp_lt_i32_e64 s[38:39], v54, v58
	s_nop 1
	v_cndmask_b32_e64 v54, v57, v54, s[38:39]
	v_lshlrev_b32_e32 v91, 2, v54
	ds_bpermute_b32 v70, v91, v66
	global_load_dwordx4 v[58:61], v[50:51], off
	global_load_dwordx4 v[54:57], v[50:51], off offset:16
	v_lshl_add_u64 v[50:51], v[64:65], 0, v[52:53]
	s_waitcnt lgkmcnt(0)
	v_max_f32_e32 v52, v70, v70
	v_max_f32_e32 v66, v66, v52
	v_sub_f32_e32 v52, v62, v66
	v_mul_f32_e32 v52, 0x3fb8aa3b, v52
	v_exp_f32_e32 v70, v52
	v_sub_f32_e32 v52, v63, v66
	v_mul_f32_e32 v52, 0x3fb8aa3b, v52
	v_exp_f32_e32 v71, v52
	global_load_dwordx4 v[62:65], v[50:51], off
	s_nop 0
	global_load_dwordx4 v[50:53], v[50:51], off offset:16
	v_sub_f32_e32 v80, v80, v66
	v_mul_f32_e32 v80, 0x3fb8aa3b, v80
	v_sub_f32_e32 v81, v81, v66
	v_exp_f32_e32 v80, v80
	v_mul_f32_e32 v81, 0x3fb8aa3b, v81
	v_sub_f32_e32 v72, v72, v66
	v_exp_f32_e32 v81, v81
	v_mul_f32_e32 v72, 0x3fb8aa3b, v72
	v_sub_f32_e32 v73, v73, v66
	v_cndmask_b32_e64 v70, 0, v70, s[28:29]
	v_exp_f32_e32 v72, v72
	v_mul_f32_e32 v73, 0x3fb8aa3b, v73
	v_sub_f32_e32 v82, v82, v66
	v_add_f32_e32 v92, 0, v70
	v_cndmask_b32_e64 v71, 0, v71, s[30:31]
	v_exp_f32_e32 v73, v73
	v_mul_f32_e32 v82, 0x3fb8aa3b, v82
	v_sub_f32_e32 v83, v83, v66
	v_add_f32_e32 v92, v92, v71
	;; [unrolled: 5-line block ×10, first 2 shown]
	v_cndmask_b32_e64 v78, 0, v78, s[10:11]
	v_exp_f32_e32 v68, v68
	v_mul_f32_e32 v69, 0x3fb8aa3b, v69
	v_add_f32_e32 v92, v92, v78
	v_cndmask_b32_e64 v79, 0, v79, s[12:13]
	v_exp_f32_e32 v69, v69
	v_add_f32_e32 v92, v92, v79
	v_cndmask_b32_e64 v74, 0, v74, s[6:7]
	v_add_f32_e32 v92, v92, v74
	v_cndmask_b32_e64 v75, 0, v75, s[8:9]
	v_add_f32_e32 v92, v92, v75
	v_cndmask_b32_e32 v68, 0, v68, vcc
	v_add_f32_e32 v92, v92, v68
	v_cndmask_b32_e64 v69, 0, v69, s[26:27]
	v_add_f32_e32 v92, v92, v69
	ds_bpermute_b32 v90, v90, v92
	v_cmp_lt_u32_e64 s[6:7], 15, v88
	v_cmp_gt_u32_e32 vcc, 16, v88
	s_waitcnt lgkmcnt(0)
	s_barrier
	v_add_f32_e32 v90, v92, v90
	ds_bpermute_b32 v91, v91, v90
	s_waitcnt lgkmcnt(0)
	s_and_saveexec_b64 s[8:9], vcc
	s_cbranch_execz .LBB628_13
; %bb.12:
	v_add_f32_e32 v88, v90, v91
	v_lshlrev_b32_e32 v89, 2, v89
	ds_write2st64_b32 v89, v66, v88 offset1:1
.LBB628_13:
	s_or_b64 exec, exec, s[8:9]
	v_lshlrev_b32_e32 v66, 2, v85
	s_load_dwordx2 s[8:9], s[0:1], 0x94
	s_waitcnt lgkmcnt(0)
	s_barrier
	ds_read2_b32 v[90:91], v66 offset1:16
	ds_read2_b32 v[92:93], v66 offset0:32 offset1:48
	ds_read2_b32 v[94:95], v66 offset0:64 offset1:80
	v_mov_b32_e32 v84, v85
	s_movk_i32 s12, 0x7fff
	s_waitcnt lgkmcnt(2)
	v_max3_f32 v88, v90, s33, v91
	s_waitcnt lgkmcnt(1)
	v_max3_f32 v88, v88, v92, v93
	v_sub_f32_e32 v89, v90, v88
	v_mul_f32_e32 v89, 0x3fb8aa3b, v89
	v_exp_f32_e32 v1, v89
	v_sub_f32_e32 v89, v91, v88
	v_mul_f32_e32 v89, 0x3fb8aa3b, v89
	v_exp_f32_e32 v86, v89
	v_sub_f32_e32 v89, v92, v88
	v_mul_f32_e32 v89, 0x3fb8aa3b, v89
	ds_read2_b32 v[90:91], v66 offset0:96 offset1:112
	v_sub_f32_e32 v66, v93, v88
	v_exp_f32_e32 v92, v89
	v_mul_f32_e32 v66, 0x3fb8aa3b, v66
	v_exp_f32_e32 v66, v66
	s_waitcnt lgkmcnt(1)
	v_fma_f32 v89, v1, v94, 0
	v_fmac_f32_e32 v89, v86, v95
	s_waitcnt lgkmcnt(0)
	v_fmac_f32_e32 v89, v92, v90
	v_fmac_f32_e32 v89, v66, v91
	v_add_f32_e32 v90, 0x358637bd, v89
	v_div_scale_f32 v91, s[10:11], v90, v90, 1.0
	v_rcp_f32_e32 v93, v91
	s_mov_b32 s13, 0x7060302
	s_barrier
	v_fma_f32 v94, -v91, v93, 1.0
	v_fmac_f32_e32 v93, v94, v93
	v_div_scale_f32 v94, vcc, 1.0, v90, 1.0
	v_mul_f32_e32 v95, v94, v93
	v_fma_f32 v85, -v91, v95, v94
	v_fmac_f32_e32 v95, v85, v93
	v_fma_f32 v85, -v91, v95, v94
	v_div_fmas_f32 v85, v85, v93, v95
	v_cmp_eq_u32_e32 vcc, 1, v87
	v_div_fixup_f32 v85, v85, v90, 1.0
	s_nop 0
	v_cndmask_b32_e32 v1, v1, v86, vcc
	v_cmp_eq_u32_e32 vcc, 2, v87
	s_nop 1
	v_cndmask_b32_e32 v1, v1, v92, vcc
	v_cmp_eq_u32_e32 vcc, 3, v87
	s_nop 1
	v_cndmask_b32_e32 v1, v1, v66, vcc
	v_mul_f32_e32 v90, v1, v85
	v_pk_mul_f32 v[70:71], v[90:91], v[70:71] op_sel_hi:[0,1]
	v_bfe_u32 v1, v71, 16, 1
	v_bfe_u32 v66, v70, 16, 1
	v_pk_mul_f32 v[80:81], v[90:91], v[80:81] op_sel_hi:[0,1]
	v_add3_u32 v66, v70, v66, s12
	v_add3_u32 v1, v71, v1, s12
	v_perm_b32 v70, v1, v66, s13
	v_bfe_u32 v1, v81, 16, 1
	v_bfe_u32 v66, v80, 16, 1
	v_mov_b32_e32 v85, v84
	v_add3_u32 v66, v80, v66, s12
	v_add3_u32 v1, v81, v1, s12
	v_bfe_u32 v84, v0, 4, 2
	v_perm_b32 v71, v1, v66, s13
	v_lshlrev_b32_e32 v1, 3, v84
	v_lshlrev_b32_e32 v66, 5, v85
	;; [unrolled: 1-line block ×3, first 2 shown]
	v_pk_mul_f32 v[72:73], v[90:91], v[72:73] op_sel_hi:[0,1]
	v_or3_b32 v80, v80, v66, v1
	v_bfe_u32 v1, v73, 16, 1
	v_bfe_u32 v81, v72, 16, 1
	v_pk_mul_f32 v[82:83], v[90:91], v[82:83] op_sel_hi:[0,1]
	v_add3_u32 v72, v72, v81, s12
	v_add3_u32 v1, v73, v1, s12
	v_perm_b32 v72, v1, v72, s13
	v_bfe_u32 v1, v83, 16, 1
	v_bfe_u32 v73, v82, 16, 1
	v_add3_u32 v73, v82, v73, s12
	v_add3_u32 v1, v83, v1, s12
	v_perm_b32 v73, v1, v73, s13
	ds_write2st64_b64 v80, v[70:71], v[72:73] offset1:1
	v_pk_mul_f32 v[72:73], v[90:91], v[76:77] op_sel_hi:[0,1]
	v_bfe_u32 v1, v73, 16, 1
	v_bfe_u32 v76, v72, 16, 1
	v_pk_mul_f32 v[70:71], v[90:91], v[78:79] op_sel_hi:[0,1]
	v_add3_u32 v72, v72, v76, s12
	v_add3_u32 v1, v73, v1, s12
	v_perm_b32 v72, v1, v72, s13
	v_bfe_u32 v1, v71, 16, 1
	v_bfe_u32 v73, v70, 16, 1
	v_add3_u32 v70, v70, v73, s12
	v_add3_u32 v1, v71, v1, s12
	v_perm_b32 v73, v1, v70, s13
	v_pk_mul_f32 v[70:71], v[90:91], v[74:75] op_sel_hi:[0,1]
	v_bfe_u32 v1, v71, 16, 1
	v_bfe_u32 v74, v70, 16, 1
	v_pk_mul_f32 v[68:69], v[90:91], v[68:69] op_sel_hi:[0,1]
	v_add3_u32 v70, v70, v74, s12
	v_add3_u32 v1, v71, v1, s12
	v_perm_b32 v70, v1, v70, s13
	v_bfe_u32 v1, v69, 16, 1
	v_bfe_u32 v71, v68, 16, 1
	v_add3_u32 v68, v68, v71, s12
	v_add3_u32 v1, v69, v1, s12
	v_perm_b32 v71, v1, v68, s13
	v_cmp_eq_u32_e32 vcc, 0, v0
	ds_write2st64_b64 v80, v[72:73], v[70:71] offset0:2 offset1:3
	s_and_saveexec_b64 s[10:11], vcc
	s_cbranch_execz .LBB628_15
; %bb.14:
	s_mul_i32 s3, s3, s9
	s_mul_hi_u32 s14, s2, s9
	s_add_i32 s14, s14, s3
	s_mul_i32 s3, s2, s9
	s_add_u32 s3, s3, s4
	s_addc_u32 s14, s14, 0
	s_load_dwordx4 s[16:19], s[0:1], 0x58
	s_mul_i32 s14, s14, s8
	s_mul_hi_u32 s15, s3, s8
	s_add_i32 s15, s15, s14
	s_mul_i32 s3, s3, s8
	s_add_u32 s14, s3, s5
	s_addc_u32 s15, s15, 0
	s_lshl_b64 s[14:15], s[14:15], 2
	s_waitcnt lgkmcnt(0)
	s_add_u32 s18, s18, s14
	s_addc_u32 s19, s19, s15
	s_add_u32 s14, s16, s14
	s_addc_u32 s15, s17, s15
	global_store_dword v67, v88, s[18:19]
	global_store_dword v67, v89, s[14:15]
.LBB628_15:
	s_or_b64 exec, exec, s[10:11]
	v_lshl_or_b32 v1, v84, 9, v66
	s_waitcnt lgkmcnt(0)
	s_barrier
	ds_read_b128 v[70:73], v1
	ds_read_b128 v[66:69], v1 offset:16
	s_waitcnt vmcnt(15) lgkmcnt(1)
	v_mfma_f32_16x16x16_bf16 v[74:77], v[30:31], v[70:71], 0
	v_cmp_gt_u32_e32 vcc, 64, v0
	s_xor_b64 s[6:7], s[6:7], -1
	s_mov_b32 s3, 0
	v_mfma_f32_16x16x16_bf16 v[30:33], v[32:33], v[72:73], v[74:77]
	s_and_b64 s[6:7], vcc, s[6:7]
	s_waitcnt vmcnt(14) lgkmcnt(0)
	v_mfma_f32_16x16x16_bf16 v[30:33], v[26:27], v[66:67], v[30:33]
	v_mfma_f32_16x16x16_bf16 v[26:29], v[28:29], v[68:69], v[30:33]
	s_nop 5
	ds_read_b128 v[30:33], v1 offset:2048
	ds_read_b128 v[74:77], v1 offset:2064
	s_waitcnt vmcnt(13) lgkmcnt(1)
	v_mfma_f32_16x16x16_bf16 v[26:29], v[22:23], v[30:31], v[26:29]
	v_mfma_f32_16x16x16_bf16 v[22:25], v[24:25], v[32:33], v[26:29]
	s_waitcnt vmcnt(12) lgkmcnt(0)
	v_mfma_f32_16x16x16_bf16 v[22:25], v[18:19], v[74:75], v[22:25]
	v_mfma_f32_16x16x16_bf16 v[18:21], v[20:21], v[76:77], v[22:25]
	s_nop 5
	ds_read_b128 v[22:25], v1 offset:4096
	ds_read_b128 v[26:29], v1 offset:4112
	s_waitcnt vmcnt(11) lgkmcnt(1)
	v_mfma_f32_16x16x16_bf16 v[18:21], v[14:15], v[22:23], v[18:21]
	v_mfma_f32_16x16x16_bf16 v[14:17], v[16:17], v[24:25], v[18:21]
	s_waitcnt vmcnt(10) lgkmcnt(0)
	v_mfma_f32_16x16x16_bf16 v[14:17], v[10:11], v[26:27], v[14:17]
	v_mfma_f32_16x16x16_bf16 v[10:13], v[12:13], v[28:29], v[14:17]
	s_nop 5
	ds_read_b128 v[14:17], v1 offset:6144
	ds_read_b128 v[18:21], v1 offset:6160
	s_waitcnt lgkmcnt(0)
	s_barrier
	s_waitcnt vmcnt(9)
	v_mfma_f32_16x16x16_bf16 v[10:13], v[6:7], v[14:15], v[10:13]
	v_mfma_f32_16x16x16_bf16 v[6:9], v[8:9], v[16:17], v[10:13]
	s_waitcnt vmcnt(8)
	v_mfma_f32_16x16x16_bf16 v[6:9], v[2:3], v[18:19], v[6:9]
	v_mfma_f32_16x16x16_bf16 v[2:5], v[4:5], v[20:21], v[6:9]
	;; [unrolled: 3-line block ×3, first 2 shown]
	s_nop 3
	v_bfe_u32 v1, v3, 16, 1
	v_bfe_u32 v10, v2, 16, 1
	v_add3_u32 v2, v2, v10, s12
	s_waitcnt vmcnt(6)
	v_mfma_f32_16x16x16_bf16 v[6:9], v[38:39], v[66:67], v[6:9]
	v_add3_u32 v1, v3, v1, s12
	v_perm_b32 v10, v1, v2, s13
	v_bfe_u32 v1, v5, 16, 1
	v_mfma_f32_16x16x16_bf16 v[6:9], v[40:41], v[68:69], v[6:9]
	v_bfe_u32 v2, v4, 16, 1
	v_add3_u32 v2, v4, v2, s12
	v_add3_u32 v1, v5, v1, s12
	s_waitcnt vmcnt(5)
	v_mfma_f32_16x16x16_bf16 v[6:9], v[42:43], v[30:31], v[6:9]
	v_perm_b32 v11, v1, v2, s13
	v_mfma_f32_16x16x16_bf16 v[6:9], v[44:45], v[32:33], v[6:9]
	s_waitcnt vmcnt(4)
	v_mfma_f32_16x16x16_bf16 v[6:9], v[34:35], v[74:75], v[6:9]
	v_mfma_f32_16x16x16_bf16 v[6:9], v[36:37], v[76:77], v[6:9]
	s_waitcnt vmcnt(3)
	v_mfma_f32_16x16x16_bf16 v[6:9], v[58:59], v[22:23], v[6:9]
	;; [unrolled: 3-line block ×5, first 2 shown]
	v_mfma_f32_16x16x16_bf16 v[2:5], v[52:53], v[20:21], v[6:9]
	s_nop 6
	v_bfe_u32 v1, v3, 16, 1
	v_bfe_u32 v6, v2, 16, 1
	v_add3_u32 v2, v2, v6, s12
	v_add3_u32 v1, v3, v1, s12
	v_perm_b32 v2, v1, v2, s13
	v_bfe_u32 v1, v5, 16, 1
	v_bfe_u32 v3, v4, 16, 1
	v_add3_u32 v3, v4, v3, s12
	v_add3_u32 v1, v5, v1, s12
	v_perm_b32 v3, v1, v3, s13
	ds_write2st64_b64 v80, v[10:11], v[2:3] offset1:1
	s_waitcnt lgkmcnt(0)
	s_barrier
	s_and_saveexec_b64 s[10:11], s[6:7]
	s_cbranch_execz .LBB628_17
; %bb.16:
	v_lshlrev_b32_e32 v3, 6, v85
	v_lshlrev_b32_e32 v2, 4, v0
	v_lshl_or_b32 v0, v0, 10, v3
	v_lshlrev_b32_e32 v1, 5, v84
	v_and_b32_e32 v2, 16, v2
	v_and_b32_e32 v0, 0x1a00, v0
	v_or3_b32 v0, v0, v1, v2
	ds_read_b128 v[2:5], v0
	scratch_load_dword v0, off, off         ; 4-byte Folded Reload
	s_load_dwordx2 s[0:1], s[0:1], 0x68
	s_mul_i32 s2, s9, s2
	s_lshl_b32 s8, s8, 7
	s_mul_hi_u32 s7, s2, s8
	s_mul_i32 s6, s2, s8
	s_lshl_b64 s[6:7], s[6:7], 1
	s_waitcnt lgkmcnt(0)
	s_add_u32 s6, s0, s6
	s_addc_u32 s7, s1, s7
	s_lshl_b32 s2, s5, 7
	s_lshl_b64 s[0:1], s[2:3], 1
	s_add_u32 s2, s6, s0
	s_addc_u32 s3, s7, s1
	s_mul_hi_u32 s1, s8, s4
	s_mul_i32 s0, s8, s4
	s_lshl_b64 s[0:1], s[0:1], 1
	s_add_u32 s0, s2, s0
	s_addc_u32 s1, s3, s1
	s_waitcnt vmcnt(0)
	global_store_dwordx4 v0, v[2:5], s[0:1]
.LBB628_17:
	s_endpgm
	.section	.rodata,"a",@progbits
	.p2align	6, 0x0
	.amdhsa_kernel _Z39paged_attention_ll4mi_QKV_mfma16_kernelI14__hip_bfloat16S0_LN4vllm18Fp8KVCacheDataTypeE0EhLi16ELi128ELi256ELb0ELi1EEvPKT_PKT0_S8_ifPKiSA_SA_iPKfiiiPfSD_PS3_PT2_iSC_SC_
		.amdhsa_group_segment_fixed_size 8192
		.amdhsa_private_segment_fixed_size 8
		.amdhsa_kernarg_size 400
		.amdhsa_user_sgpr_count 2
		.amdhsa_user_sgpr_dispatch_ptr 0
		.amdhsa_user_sgpr_queue_ptr 0
		.amdhsa_user_sgpr_kernarg_segment_ptr 1
		.amdhsa_user_sgpr_dispatch_id 0
		.amdhsa_user_sgpr_kernarg_preload_length 0
		.amdhsa_user_sgpr_kernarg_preload_offset 0
		.amdhsa_user_sgpr_private_segment_size 0
		.amdhsa_uses_dynamic_stack 0
		.amdhsa_enable_private_segment 1
		.amdhsa_system_sgpr_workgroup_id_x 1
		.amdhsa_system_sgpr_workgroup_id_y 1
		.amdhsa_system_sgpr_workgroup_id_z 1
		.amdhsa_system_sgpr_workgroup_info 0
		.amdhsa_system_vgpr_workitem_id 0
		.amdhsa_next_free_vgpr 96
		.amdhsa_next_free_sgpr 40
		.amdhsa_accum_offset 96
		.amdhsa_reserve_vcc 1
		.amdhsa_float_round_mode_32 0
		.amdhsa_float_round_mode_16_64 0
		.amdhsa_float_denorm_mode_32 3
		.amdhsa_float_denorm_mode_16_64 3
		.amdhsa_dx10_clamp 1
		.amdhsa_ieee_mode 1
		.amdhsa_fp16_overflow 0
		.amdhsa_tg_split 0
		.amdhsa_exception_fp_ieee_invalid_op 0
		.amdhsa_exception_fp_denorm_src 0
		.amdhsa_exception_fp_ieee_div_zero 0
		.amdhsa_exception_fp_ieee_overflow 0
		.amdhsa_exception_fp_ieee_underflow 0
		.amdhsa_exception_fp_ieee_inexact 0
		.amdhsa_exception_int_div_zero 0
	.end_amdhsa_kernel
	.section	.text._Z39paged_attention_ll4mi_QKV_mfma16_kernelI14__hip_bfloat16S0_LN4vllm18Fp8KVCacheDataTypeE0EhLi16ELi128ELi256ELb0ELi1EEvPKT_PKT0_S8_ifPKiSA_SA_iPKfiiiPfSD_PS3_PT2_iSC_SC_,"axG",@progbits,_Z39paged_attention_ll4mi_QKV_mfma16_kernelI14__hip_bfloat16S0_LN4vllm18Fp8KVCacheDataTypeE0EhLi16ELi128ELi256ELb0ELi1EEvPKT_PKT0_S8_ifPKiSA_SA_iPKfiiiPfSD_PS3_PT2_iSC_SC_,comdat
.Lfunc_end628:
	.size	_Z39paged_attention_ll4mi_QKV_mfma16_kernelI14__hip_bfloat16S0_LN4vllm18Fp8KVCacheDataTypeE0EhLi16ELi128ELi256ELb0ELi1EEvPKT_PKT0_S8_ifPKiSA_SA_iPKfiiiPfSD_PS3_PT2_iSC_SC_, .Lfunc_end628-_Z39paged_attention_ll4mi_QKV_mfma16_kernelI14__hip_bfloat16S0_LN4vllm18Fp8KVCacheDataTypeE0EhLi16ELi128ELi256ELb0ELi1EEvPKT_PKT0_S8_ifPKiSA_SA_iPKfiiiPfSD_PS3_PT2_iSC_SC_
                                        ; -- End function
	.section	.AMDGPU.csdata,"",@progbits
; Kernel info:
; codeLenInByte = 4584
; NumSgprs: 46
; NumVgprs: 96
; NumAgprs: 0
; TotalNumVgprs: 96
; ScratchSize: 8
; MemoryBound: 0
; FloatMode: 240
; IeeeMode: 1
; LDSByteSize: 8192 bytes/workgroup (compile time only)
; SGPRBlocks: 5
; VGPRBlocks: 11
; NumSGPRsForWavesPerEU: 46
; NumVGPRsForWavesPerEU: 96
; AccumOffset: 96
; Occupancy: 5
; WaveLimiterHint : 1
; COMPUTE_PGM_RSRC2:SCRATCH_EN: 1
; COMPUTE_PGM_RSRC2:USER_SGPR: 2
; COMPUTE_PGM_RSRC2:TRAP_HANDLER: 0
; COMPUTE_PGM_RSRC2:TGID_X_EN: 1
; COMPUTE_PGM_RSRC2:TGID_Y_EN: 1
; COMPUTE_PGM_RSRC2:TGID_Z_EN: 1
; COMPUTE_PGM_RSRC2:TIDIG_COMP_CNT: 0
; COMPUTE_PGM_RSRC3_GFX90A:ACCUM_OFFSET: 23
; COMPUTE_PGM_RSRC3_GFX90A:TG_SPLIT: 0
	.section	.text._Z39paged_attention_ll4mi_QKV_mfma16_kernelI14__hip_bfloat16S0_LN4vllm18Fp8KVCacheDataTypeE0EhLi16ELi128ELi256ELb0ELi2EEvPKT_PKT0_S8_ifPKiSA_SA_iPKfiiiPfSD_PS3_PT2_iSC_SC_,"axG",@progbits,_Z39paged_attention_ll4mi_QKV_mfma16_kernelI14__hip_bfloat16S0_LN4vllm18Fp8KVCacheDataTypeE0EhLi16ELi128ELi256ELb0ELi2EEvPKT_PKT0_S8_ifPKiSA_SA_iPKfiiiPfSD_PS3_PT2_iSC_SC_,comdat
	.protected	_Z39paged_attention_ll4mi_QKV_mfma16_kernelI14__hip_bfloat16S0_LN4vllm18Fp8KVCacheDataTypeE0EhLi16ELi128ELi256ELb0ELi2EEvPKT_PKT0_S8_ifPKiSA_SA_iPKfiiiPfSD_PS3_PT2_iSC_SC_ ; -- Begin function _Z39paged_attention_ll4mi_QKV_mfma16_kernelI14__hip_bfloat16S0_LN4vllm18Fp8KVCacheDataTypeE0EhLi16ELi128ELi256ELb0ELi2EEvPKT_PKT0_S8_ifPKiSA_SA_iPKfiiiPfSD_PS3_PT2_iSC_SC_
	.globl	_Z39paged_attention_ll4mi_QKV_mfma16_kernelI14__hip_bfloat16S0_LN4vllm18Fp8KVCacheDataTypeE0EhLi16ELi128ELi256ELb0ELi2EEvPKT_PKT0_S8_ifPKiSA_SA_iPKfiiiPfSD_PS3_PT2_iSC_SC_
	.p2align	8
	.type	_Z39paged_attention_ll4mi_QKV_mfma16_kernelI14__hip_bfloat16S0_LN4vllm18Fp8KVCacheDataTypeE0EhLi16ELi128ELi256ELb0ELi2EEvPKT_PKT0_S8_ifPKiSA_SA_iPKfiiiPfSD_PS3_PT2_iSC_SC_,@function
_Z39paged_attention_ll4mi_QKV_mfma16_kernelI14__hip_bfloat16S0_LN4vllm18Fp8KVCacheDataTypeE0EhLi16ELi128ELi256ELb0ELi2EEvPKT_PKT0_S8_ifPKiSA_SA_iPKfiiiPfSD_PS3_PT2_iSC_SC_: ; @_Z39paged_attention_ll4mi_QKV_mfma16_kernelI14__hip_bfloat16S0_LN4vllm18Fp8KVCacheDataTypeE0EhLi16ELi128ELi256ELb0ELi2EEvPKT_PKT0_S8_ifPKiSA_SA_iPKfiiiPfSD_PS3_PT2_iSC_SC_
; %bb.0:
	s_load_dwordx2 s[8:9], s[0:1], 0x30
	s_mov_b32 s26, s3
	s_mov_b64 s[6:7], 0
	s_waitcnt lgkmcnt(0)
	s_cmp_lg_u64 s[8:9], 0
	s_cselect_b64 s[10:11], -1, 0
	s_and_b64 vcc, exec, s[10:11]
	s_cbranch_vccz .LBB629_7
; %bb.1:
	s_add_i32 s12, s2, 1
	s_mov_b32 s13, 0
	s_lshl_b64 s[14:15], s[12:13], 2
	s_add_u32 s14, s8, s14
	s_mov_b32 s3, s13
	s_addc_u32 s15, s9, s15
	s_lshl_b64 s[12:13], s[2:3], 2
	s_add_u32 s12, s8, s12
	s_addc_u32 s13, s9, s13
	s_load_dword s5, s[14:15], 0x0
	s_load_dword s16, s[12:13], 0x0
	s_waitcnt lgkmcnt(0)
	s_sub_i32 s5, s5, s16
	s_cmp_eq_u32 s5, 1
	s_cselect_b64 s[12:13], -1, 0
	s_andn2_b64 vcc, exec, s[6:7]
	s_cbranch_vccnz .LBB629_3
.LBB629_2:
	s_mov_b32 s3, 0
	s_mov_b64 s[12:13], -1
.LBB629_3:
	s_andn2_b64 vcc, exec, s[12:13]
	s_cbranch_vccnz .LBB629_17
; %bb.4:
	s_load_dwordx2 s[6:7], s[0:1], 0x28
	s_lshl_b64 s[16:17], s[2:3], 2
	s_waitcnt lgkmcnt(0)
	s_add_u32 s6, s6, s16
	s_addc_u32 s7, s7, s17
	s_load_dword s38, s[6:7], 0x0
	s_lshl_b32 s18, s26, 8
	s_waitcnt lgkmcnt(0)
	s_cmp_ge_i32 s18, s38
	s_cbranch_scc1 .LBB629_17
; %bb.5:
	s_load_dwordx2 s[6:7], s[0:1], 0x20
	s_load_dword s5, s[0:1], 0x38
	s_add_i32 s12, s38, 15
	s_ashr_i32 s13, s12, 31
	v_and_b32_e32 v1, 0xcf, v0
	s_lshr_b32 s13, s13, 28
	v_add_u32_e32 v1, s18, v1
	s_add_i32 s12, s12, s13
	v_ashrrev_i32_e32 v2, 31, v1
	s_ashr_i32 s19, s12, 4
	v_lshrrev_b32_e32 v4, 28, v2
	s_add_i32 s19, s19, -1
	s_waitcnt lgkmcnt(0)
	s_mul_i32 s12, s2, s5
	s_mov_b32 s13, 0
	v_add_u32_e32 v2, v1, v4
	s_lshl_b64 s[12:13], s[12:13], 2
	v_ashrrev_i32_e32 v2, 4, v2
	v_mov_b32_e32 v5, s19
	v_cmp_gt_i32_e32 vcc, s38, v1
	s_add_u32 s6, s6, s12
	s_addc_u32 s7, s7, s13
	v_cndmask_b32_e32 v2, v5, v2, vcc
	v_ashrrev_i32_e32 v3, 31, v2
	v_lshl_add_u64 v[6:7], v[2:3], 2, s[6:7]
	v_or_b32_e32 v2, 16, v1
	v_add_u32_e32 v3, v2, v4
	v_ashrrev_i32_e32 v3, 4, v3
	v_cmp_gt_i32_e32 vcc, s38, v2
	s_load_dwordx4 s[12:15], s[0:1], 0x8
	s_nop 0
	v_cndmask_b32_e32 v2, v5, v3, vcc
	v_ashrrev_i32_e32 v3, 31, v2
	v_lshl_add_u64 v[8:9], v[2:3], 2, s[6:7]
	v_or_b32_e32 v2, 32, v1
	v_add_u32_e32 v3, v2, v4
	v_ashrrev_i32_e32 v3, 4, v3
	v_cmp_gt_i32_e32 vcc, s38, v2
	v_or_b32_e32 v1, 48, v1
	s_nop 0
	v_cndmask_b32_e32 v2, v5, v3, vcc
	v_ashrrev_i32_e32 v3, 31, v2
	v_lshl_add_u64 v[10:11], v[2:3], 2, s[6:7]
	v_add_u32_e32 v2, v1, v4
	v_ashrrev_i32_e32 v2, 4, v2
	v_cmp_gt_i32_e32 vcc, s38, v1
	s_nop 1
	v_cndmask_b32_e32 v2, v5, v2, vcc
	v_ashrrev_i32_e32 v3, 31, v2
	v_lshl_add_u64 v[12:13], v[2:3], 2, s[6:7]
	global_load_dword v4, v[6:7], off
	global_load_dword v3, v[8:9], off
	;; [unrolled: 1-line block ×4, first 2 shown]
	s_andn2_b64 vcc, exec, s[10:11]
	s_cbranch_vccnz .LBB629_8
; %bb.6:
	s_add_u32 s8, s8, s16
	s_addc_u32 s9, s9, s17
	s_load_dword s5, s[8:9], 0x0
	s_branch .LBB629_9
.LBB629_7:
	s_mov_b64 s[12:13], 0
	s_branch .LBB629_2
.LBB629_8:
	s_mov_b32 s5, s2
.LBB629_9:
	s_load_dwordx4 s[8:11], s[0:1], 0x48
	v_lshrrev_b32_e32 v86, 6, v0
	v_bfe_u32 v1, v0, 4, 2
	v_and_b32_e32 v84, 15, v0
	v_lshl_or_b32 v5, v86, 2, v1
	v_lshlrev_b32_e32 v6, 3, v84
	s_lshl_b32 s27, s4, 1
	v_cmp_gt_u32_e32 vcc, 2, v5
	v_lshlrev_b32_e32 v74, 1, v6
	s_and_saveexec_b64 s[16:17], vcc
	s_cbranch_execz .LBB629_11
; %bb.10:
	s_load_dwordx2 s[20:21], s[0:1], 0x0
	s_waitcnt lgkmcnt(0)
	s_ashr_i32 s11, s8, 31
	s_mul_hi_u32 s22, s5, s8
	s_mul_i32 s11, s5, s11
	s_add_i32 s23, s22, s11
	s_mul_i32 s22, s5, s8
	s_lshl_b64 s[22:23], s[22:23], 1
	s_add_u32 s20, s20, s22
	v_add_lshl_u32 v6, v1, s27, 7
	s_addc_u32 s21, s21, s23
	v_ashrrev_i32_e32 v7, 31, v6
	v_lshl_add_u64 v[6:7], v[6:7], 1, s[20:21]
	v_mov_b32_e32 v75, 0
	v_lshl_add_u64 v[6:7], v[6:7], 0, v[74:75]
	global_load_dwordx4 v[6:9], v[6:7], off
	v_and_b32_e32 v10, 3, v0
	v_lshlrev_b32_e32 v11, 9, v84
	v_lshlrev_b32_e32 v5, 5, v5
	;; [unrolled: 1-line block ×3, first 2 shown]
	v_and_b32_e32 v11, 0x1800, v11
	v_or3_b32 v5, v11, v10, v5
	s_waitcnt vmcnt(0)
	ds_write_b128 v5, v[6:9]
.LBB629_11:
	s_or_b64 exec, exec, s[16:17]
	s_waitcnt lgkmcnt(0)
	s_mul_i32 s4, s4, s10
	s_mov_b32 s5, 0
	s_lshl_b64 s[4:5], s[4:5], 1
	s_add_u32 s10, s12, s4
	v_lshlrev_b32_e32 v6, 4, v0
	s_addc_u32 s11, s13, s5
	v_and_b32_e32 v34, 0xf0, v6
	v_mov_b32_e32 v35, 0
	v_lshl_add_u64 v[30:31], s[10:11], 0, v[34:35]
	s_waitcnt vmcnt(3)
	v_mad_i64_i32 v[4:5], s[10:11], v4, s9, 0
	v_lshl_add_u64 v[4:5], v[4:5], 1, v[30:31]
	v_and_b32_e32 v34, 0x300, v6
	v_lshl_add_u64 v[32:33], v[4:5], 0, v[34:35]
	s_load_dword s33, s[0:1], 0x98
	s_load_dword s8, s[0:1], 0x1c
	s_waitcnt lgkmcnt(0)
	s_barrier
	global_load_dwordx4 v[10:13], v[32:33], off
	global_load_dwordx4 v[22:25], v[32:33], off offset:1024
	s_waitcnt vmcnt(4)
	v_mad_i64_i32 v[4:5], s[10:11], v3, s9, 0
	s_waitcnt vmcnt(3)
	v_mad_i64_i32 v[2:3], s[10:11], v2, s9, 0
	v_lshl_add_u64 v[4:5], v[4:5], 1, v[30:31]
	v_lshl_add_u64 v[2:3], v[2:3], 1, v[30:31]
	v_lshl_add_u64 v[36:37], v[4:5], 0, v[34:35]
	v_lshl_add_u64 v[38:39], v[2:3], 0, v[34:35]
	global_load_dwordx4 v[14:17], v[36:37], off
	global_load_dwordx4 v[18:21], v[36:37], off offset:1024
	global_load_dwordx4 v[26:29], v[38:39], off
	global_load_dwordx4 v[46:49], v[38:39], off offset:1024
	v_and_b32_e32 v2, 1, v0
	v_lshlrev_b32_e32 v2, 5, v2
	v_lshl_or_b32 v41, v1, 9, v2
	ds_read_b128 v[6:9], v41
	ds_read_b128 v[2:5], v41 offset:2048
	global_load_dwordx4 v[54:57], v[32:33], off offset:2048
	global_load_dwordx4 v[62:65], v[36:37], off offset:2048
	v_mov_b32_e32 v76, s19
	v_lshl_or_b32 v87, v86, 4, v84
	s_add_u32 s4, s14, s4
	s_addc_u32 s5, s15, s5
	s_mov_b32 s40, 0xff7fffff
	s_waitcnt vmcnt(7) lgkmcnt(1)
	v_mfma_f32_16x16x16_bf16 v[42:45], v[10:11], v[6:7], 0
	v_mfma_f32_16x16x16_bf16 v[10:13], v[12:13], v[8:9], v[42:45]
	s_nop 5
	global_load_dwordx4 v[42:45], v[38:39], off offset:2048
	s_waitcnt vmcnt(6)
	v_mfma_f32_16x16x16_bf16 v[50:53], v[14:15], v[6:7], 0
	s_waitcnt vmcnt(4)
	v_mfma_f32_16x16x16_bf16 v[58:61], v[26:27], v[6:7], 0
	v_mfma_f32_16x16x16_bf16 v[14:17], v[16:17], v[8:9], v[50:53]
	;; [unrolled: 1-line block ×3, first 2 shown]
	s_nop 2
	global_load_dwordx4 v[50:53], v[32:33], off offset:3072
	v_mad_i64_i32 v[32:33], s[10:11], v40, s9, 0
	global_load_dwordx4 v[58:61], v[36:37], off offset:3072
	v_and_or_b32 v40, v0, 48, s18
	s_waitcnt lgkmcnt(0)
	v_mfma_f32_16x16x16_bf16 v[10:13], v[22:23], v[2:3], v[10:13]
	v_ashrrev_i32_e32 v22, 4, v40
	v_cmp_gt_i32_e32 vcc, s38, v40
	v_or_b32_e32 v77, 64, v40
	v_mfma_f32_16x16x16_bf16 v[14:17], v[18:19], v[2:3], v[14:17]
	v_cndmask_b32_e32 v18, v76, v22, vcc
	v_or_b32_e32 v78, 0x80, v40
	v_or_b32_e32 v79, 0xc0, v40
	s_waitcnt vmcnt(5)
	v_mfma_f32_16x16x16_bf16 v[26:29], v[46:47], v[2:3], v[26:29]
	v_ashrrev_i32_e32 v40, 4, v77
	v_ashrrev_i32_e32 v19, 31, v18
	v_cmp_gt_i32_e32 vcc, s38, v77
	v_ashrrev_i32_e32 v46, 4, v78
	v_lshl_add_u64 v[18:19], v[18:19], 2, s[6:7]
	v_cndmask_b32_e32 v36, v76, v40, vcc
	v_cmp_gt_i32_e32 vcc, s38, v78
	ds_read_b128 v[66:69], v41 offset:4096
	ds_read_b128 v[70:73], v41 offset:6144
	v_mfma_f32_16x16x16_bf16 v[14:17], v[20:21], v[4:5], v[14:17]
	global_load_dword v77, v[18:19], off
	v_ashrrev_i32_e32 v37, 31, v36
	v_mfma_f32_16x16x16_bf16 v[18:21], v[48:49], v[4:5], v[26:29]
	s_nop 2
	v_cndmask_b32_e32 v28, v76, v46, vcc
	v_mfma_f32_16x16x16_bf16 v[10:13], v[24:25], v[4:5], v[10:13]
	global_load_dwordx4 v[22:25], v[38:39], off offset:3072
	v_ashrrev_i32_e32 v29, 31, v28
	v_lshl_add_u64 v[26:27], v[36:37], 2, s[6:7]
	v_lshl_add_u64 v[28:29], v[28:29], 2, s[6:7]
	global_load_dword v36, v[26:27], off
	global_load_dword v82, v[28:29], off
	v_lshl_add_u64 v[26:27], v[32:33], 1, v[30:31]
	v_lshl_add_u64 v[26:27], v[26:27], 0, v[34:35]
	global_load_dwordx4 v[38:41], v[26:27], off
	global_load_dwordx4 v[46:49], v[26:27], off offset:1024
	s_waitcnt vmcnt(10) lgkmcnt(1)
	v_mfma_f32_16x16x16_bf16 v[10:13], v[54:55], v[66:67], v[10:13]
	v_ashrrev_i32_e32 v37, 4, v79
	v_cmp_gt_i32_e32 vcc, s38, v79
	v_lshlrev_b32_e32 v34, 5, v87
	v_mfma_f32_16x16x16_bf16 v[10:13], v[56:57], v[68:69], v[10:13]
	v_cndmask_b32_e32 v28, v76, v37, vcc
	v_ashrrev_i32_e32 v29, 31, v28
	v_lshl_add_u64 v[28:29], v[28:29], 2, s[6:7]
	s_waitcnt vmcnt(9)
	v_mfma_f32_16x16x16_bf16 v[14:17], v[62:63], v[66:67], v[14:17]
	v_lshl_add_u64 v[62:63], s[4:5], 0, v[34:35]
	v_or_b32_e32 v34, 0x800, v34
	global_load_dwordx4 v[54:57], v[26:27], off offset:3072
	s_waitcnt vmcnt(9)
	v_mfma_f32_16x16x16_bf16 v[18:21], v[42:43], v[66:67], v[18:21]
	v_mfma_f32_16x16x16_bf16 v[18:21], v[44:45], v[68:69], v[18:21]
	global_load_dwordx4 v[42:45], v[26:27], off offset:2048
	v_mfma_f32_16x16x16_bf16 v[14:17], v[64:65], v[68:69], v[14:17]
	global_load_dword v64, v[28:29], off
	s_waitcnt vmcnt(10) lgkmcnt(0)
	v_mfma_f32_16x16x16_bf16 v[10:13], v[50:51], v[70:71], v[10:13]
	s_waitcnt vmcnt(7)
	v_mfma_f32_16x16x16_bf16 v[18:21], v[22:23], v[70:71], v[18:21]
	v_mad_i64_i32 v[22:23], s[6:7], v77, s9, 0
	v_lshlrev_b64 v[80:81], 1, v[22:23]
	v_mfma_f32_16x16x16_bf16 v[76:79], v[52:53], v[72:73], v[10:13]
	s_waitcnt vmcnt(6)
	s_nop 1
	v_mad_i64_i32 v[10:11], s[6:7], v36, s9, 0
	v_lshlrev_b64 v[36:37], 1, v[10:11]
	v_lshl_add_u64 v[12:13], v[62:63], 0, v[80:81]
	v_lshl_add_u64 v[10:11], v[62:63], 0, v[36:37]
	global_load_dwordx4 v[30:33], v[12:13], off
	global_load_dwordx4 v[26:29], v[12:13], off offset:16
	v_mfma_f32_16x16x16_bf16 v[88:91], v[24:25], v[72:73], v[18:21]
	global_load_dwordx4 v[22:25], v[10:11], off
	s_nop 1
	global_load_dwordx4 v[18:21], v[10:11], off offset:16
	s_waitcnt vmcnt(8)
	v_mfma_f32_16x16x16_bf16 v[10:13], v[38:39], v[6:7], 0
	v_mad_i64_i32 v[6:7], s[6:7], v82, s9, 0
	v_lshlrev_b64 v[50:51], 1, v[6:7]
	v_mfma_f32_16x16x16_bf16 v[6:9], v[40:41], v[8:9], v[10:13]
	s_waitcnt vmcnt(7)
	v_mfma_f32_16x16x16_bf16 v[6:9], v[46:47], v[2:3], v[6:9]
	s_nop 1
	v_lshl_add_u64 v[10:11], v[62:63], 0, v[50:51]
	s_waitcnt vmcnt(4)
	v_mad_i64_i32 v[2:3], s[6:7], v64, s9, 0
	v_mfma_f32_16x16x16_bf16 v[38:41], v[48:49], v[4:5], v[6:9]
	v_lshlrev_b64 v[52:53], 1, v[2:3]
	v_lshl_add_u64 v[2:3], v[62:63], 0, v[52:53]
	v_pk_mul_f32 v[62:63], s[8:9], v[76:77] op_sel_hi:[0,1]
	v_mfma_f32_16x16x16_bf16 v[38:41], v[42:43], v[66:67], v[38:41]
	v_lshl_add_u64 v[64:65], s[4:5], 0, v[34:35]
	v_lshl_add_u64 v[34:35], v[64:65], 0, v[80:81]
	v_pk_mul_f32 v[80:81], s[8:9], v[78:79] op_sel_hi:[0,1]
	v_mfma_f32_16x16x16_bf16 v[38:41], v[44:45], v[68:69], v[38:41]
	v_pk_mul_f32 v[76:77], s[8:9], v[88:89] op_sel_hi:[0,1]
	v_pk_mul_f32 v[78:79], s[8:9], v[90:91] op_sel_hi:[0,1]
	v_lshl_add_u64 v[50:51], v[64:65], 0, v[50:51]
	v_mfma_f32_16x16x16_bf16 v[38:41], v[54:55], v[70:71], v[38:41]
	v_mfma_f32_16x16x16_bf16 v[14:17], v[58:59], v[70:71], v[14:17]
	;; [unrolled: 1-line block ×4, first 2 shown]
	s_nop 4
	global_load_dwordx4 v[14:17], v[10:11], off
	s_nop 0
	global_load_dwordx4 v[10:13], v[10:11], off offset:16
	v_pk_mul_f32 v[72:73], s[8:9], v[38:39] op_sel_hi:[0,1]
	v_and_b32_e32 v38, 0xc0, v0
	v_add_u32_e32 v38, s18, v38
	v_lshl_or_b32 v38, v1, 2, v38
	v_pk_mul_f32 v[66:67], s[8:9], v[40:41] op_sel_hi:[0,1]
	v_or_b32_e32 v41, 1, v38
	v_mov_b32_e32 v39, 0xff7fffff
	v_cmp_gt_i32_e64 s[28:29], s38, v38
	v_cmp_gt_i32_e64 s[30:31], s38, v41
	v_or_b32_e32 v42, 3, v38
	v_cndmask_b32_e64 v40, v39, v62, s[28:29]
	v_cndmask_b32_e64 v41, v39, v63, s[30:31]
	v_max3_f32 v40, v40, s40, v41
	v_or_b32_e32 v41, 2, v38
	v_cmp_gt_i32_e64 s[34:35], s38, v41
	v_cmp_gt_i32_e64 s[36:37], s38, v42
	v_pk_mul_f32 v[70:71], s[8:9], v[58:59] op_sel_hi:[0,1]
	v_cndmask_b32_e64 v41, v39, v80, s[34:35]
	v_cndmask_b32_e64 v42, v39, v81, s[36:37]
	v_max3_f32 v40, v40, v41, v42
	v_or_b32_e32 v41, 16, v38
	v_or_b32_e32 v42, 17, v38
	v_cmp_gt_i32_e64 s[22:23], s38, v41
	v_cmp_gt_i32_e64 s[24:25], s38, v42
	v_pk_mul_f32 v[82:83], s[8:9], v[60:61] op_sel_hi:[0,1]
	v_cndmask_b32_e64 v41, v39, v70, s[22:23]
	v_cndmask_b32_e64 v42, v39, v71, s[24:25]
	v_max3_f32 v40, v40, v41, v42
	v_or_b32_e32 v41, 18, v38
	v_or_b32_e32 v42, 19, v38
	v_cmp_gt_i32_e64 s[18:19], s38, v41
	v_cmp_gt_i32_e64 s[20:21], s38, v42
	global_load_dwordx4 v[6:9], v[2:3], off
	s_nop 0
	global_load_dwordx4 v[2:5], v[2:3], off offset:16
	v_cndmask_b32_e64 v41, v39, v82, s[18:19]
	v_cndmask_b32_e64 v42, v39, v83, s[20:21]
	v_max3_f32 v40, v40, v41, v42
	v_or_b32_e32 v41, 32, v38
	v_or_b32_e32 v42, 33, v38
	v_cmp_gt_i32_e64 s[14:15], s38, v41
	v_cmp_gt_i32_e64 s[16:17], s38, v42
	v_and_b32_e32 v1, 63, v0
	v_cndmask_b32_e64 v41, v39, v76, s[14:15]
	v_cndmask_b32_e64 v42, v39, v77, s[16:17]
	v_max3_f32 v40, v40, v41, v42
	v_or_b32_e32 v41, 34, v38
	v_or_b32_e32 v42, 35, v38
	v_cmp_gt_i32_e64 s[10:11], s38, v41
	v_cmp_gt_i32_e64 s[12:13], s38, v42
	s_nop 0
	v_cndmask_b32_e64 v41, v39, v78, s[10:11]
	v_cndmask_b32_e64 v42, v39, v79, s[12:13]
	v_max3_f32 v40, v40, v41, v42
	v_or_b32_e32 v41, 48, v38
	v_or_b32_e32 v42, 49, v38
	v_cmp_gt_i32_e64 s[6:7], s38, v41
	v_cmp_gt_i32_e64 s[8:9], s38, v42
	s_nop 0
	v_cndmask_b32_e64 v41, v39, v72, s[6:7]
	v_cndmask_b32_e64 v42, v39, v73, s[8:9]
	v_max3_f32 v40, v40, v41, v42
	v_or_b32_e32 v41, 50, v38
	v_or_b32_e32 v38, 51, v38
	v_cmp_gt_i32_e32 vcc, s38, v41
	v_cmp_gt_i32_e64 s[4:5], s38, v38
	s_nop 0
	v_cndmask_b32_e32 v41, v39, v66, vcc
	v_cndmask_b32_e64 v38, v39, v67, s[4:5]
	v_max3_f32 v54, v40, v41, v38
	v_mbcnt_lo_u32_b32 v38, -1, 0
	v_mbcnt_hi_u32_b32 v55, -1, v38
	v_and_b32_e32 v38, 64, v55
	v_add_u32_e32 v56, 64, v38
	v_xor_b32_e32 v38, 32, v55
	v_cmp_lt_i32_e64 s[38:39], v38, v56
	s_nop 1
	v_cndmask_b32_e64 v38, v55, v38, s[38:39]
	v_lshlrev_b32_e32 v89, 2, v38
	ds_bpermute_b32 v57, v89, v54
	global_load_dwordx4 v[46:49], v[34:35], off
	global_load_dwordx4 v[38:41], v[34:35], off offset:16
	v_lshl_add_u64 v[34:35], v[64:65], 0, v[36:37]
	global_load_dwordx4 v[42:45], v[34:35], off
	s_nop 0
	global_load_dwordx4 v[34:37], v[34:35], off offset:16
	s_waitcnt lgkmcnt(0)
	v_max_f32_e32 v57, v57, v57
	v_max_f32_e32 v68, v54, v57
	v_xor_b32_e32 v54, 16, v55
	v_cmp_lt_i32_e64 s[38:39], v54, v56
	s_nop 1
	v_cndmask_b32_e64 v54, v55, v54, s[38:39]
	v_lshlrev_b32_e32 v90, 2, v54
	ds_bpermute_b32 v69, v90, v68
	global_load_dwordx4 v[58:61], v[50:51], off
	global_load_dwordx4 v[54:57], v[50:51], off offset:16
	v_lshl_add_u64 v[50:51], v[64:65], 0, v[52:53]
	s_waitcnt lgkmcnt(0)
	v_max_f32_e32 v52, v69, v69
	v_max_f32_e32 v88, v68, v52
	v_sub_f32_e32 v52, v62, v88
	v_mul_f32_e32 v52, 0x3fb8aa3b, v52
	v_exp_f32_e32 v68, v52
	v_sub_f32_e32 v52, v63, v88
	v_mul_f32_e32 v52, 0x3fb8aa3b, v52
	v_exp_f32_e32 v69, v52
	global_load_dwordx4 v[62:65], v[50:51], off
	s_nop 0
	global_load_dwordx4 v[50:53], v[50:51], off offset:16
	v_sub_f32_e32 v80, v80, v88
	v_mul_f32_e32 v80, 0x3fb8aa3b, v80
	v_sub_f32_e32 v81, v81, v88
	v_exp_f32_e32 v80, v80
	v_mul_f32_e32 v81, 0x3fb8aa3b, v81
	v_sub_f32_e32 v70, v70, v88
	v_exp_f32_e32 v81, v81
	v_mul_f32_e32 v70, 0x3fb8aa3b, v70
	v_sub_f32_e32 v71, v71, v88
	v_cndmask_b32_e64 v68, 0, v68, s[28:29]
	v_exp_f32_e32 v70, v70
	v_mul_f32_e32 v71, 0x3fb8aa3b, v71
	v_sub_f32_e32 v82, v82, v88
	v_add_f32_e32 v91, 0, v68
	v_cndmask_b32_e64 v69, 0, v69, s[30:31]
	v_exp_f32_e32 v71, v71
	v_mul_f32_e32 v82, 0x3fb8aa3b, v82
	v_sub_f32_e32 v83, v83, v88
	v_add_f32_e32 v91, v91, v69
	;; [unrolled: 5-line block ×10, first 2 shown]
	v_cndmask_b32_e64 v78, 0, v78, s[10:11]
	v_exp_f32_e32 v66, v66
	v_mul_f32_e32 v67, 0x3fb8aa3b, v67
	v_add_f32_e32 v91, v91, v78
	v_cndmask_b32_e64 v79, 0, v79, s[12:13]
	v_exp_f32_e32 v67, v67
	v_add_f32_e32 v91, v91, v79
	v_cndmask_b32_e64 v72, 0, v72, s[6:7]
	v_add_f32_e32 v91, v91, v72
	v_cndmask_b32_e64 v73, 0, v73, s[8:9]
	v_add_f32_e32 v91, v91, v73
	v_cndmask_b32_e32 v66, 0, v66, vcc
	v_add_f32_e32 v91, v91, v66
	v_cndmask_b32_e64 v67, 0, v67, s[4:5]
	v_add_f32_e32 v91, v91, v67
	ds_bpermute_b32 v89, v89, v91
	v_cmp_gt_u32_e32 vcc, 16, v1
	s_waitcnt lgkmcnt(0)
	s_barrier
	v_add_f32_e32 v89, v91, v89
	ds_bpermute_b32 v90, v90, v89
	s_and_saveexec_b64 s[4:5], vcc
	s_cbranch_execz .LBB629_13
; %bb.12:
	s_waitcnt lgkmcnt(0)
	v_add_f32_e32 v89, v89, v90
	v_lshlrev_b32_e32 v87, 2, v87
	ds_write2st64_b32 v87, v88, v89 offset1:1
.LBB629_13:
	s_or_b64 exec, exec, s[4:5]
	v_lshlrev_b32_e32 v94, 2, v84
	s_load_dword s6, s[0:1], 0x94
	s_waitcnt lgkmcnt(0)
	s_barrier
	ds_read2_b32 v[88:89], v94 offset1:16
	ds_read2_b32 v[90:91], v94 offset0:32 offset1:48
	ds_read2_b32 v[92:93], v94 offset0:64 offset1:80
	;; [unrolled: 1-line block ×3, first 2 shown]
	v_mov_b32_e32 v1, v84
	s_waitcnt lgkmcnt(3)
	v_max3_f32 v87, v88, s40, v89
	s_waitcnt lgkmcnt(2)
	v_max3_f32 v87, v87, v90, v91
	v_sub_f32_e32 v88, v88, v87
	v_mul_f32_e32 v88, 0x3fb8aa3b, v88
	v_exp_f32_e32 v85, v88
	v_sub_f32_e32 v88, v89, v87
	v_mul_f32_e32 v88, 0x3fb8aa3b, v88
	v_exp_f32_e32 v89, v88
	;; [unrolled: 3-line block ×4, first 2 shown]
	s_waitcnt lgkmcnt(1)
	v_fma_f32 v88, v85, v92, 0
	v_fmac_f32_e32 v88, v89, v93
	s_waitcnt lgkmcnt(0)
	v_fmac_f32_e32 v88, v90, v94
	v_fmac_f32_e32 v88, v91, v95
	v_add_f32_e32 v92, 0x358637bd, v88
	v_div_scale_f32 v93, s[4:5], v92, v92, 1.0
	v_rcp_f32_e32 v94, v93
	s_movk_i32 s8, 0x7fff
	s_mov_b32 s9, 0x7060302
	v_fma_f32 v95, -v93, v94, 1.0
	v_fmac_f32_e32 v94, v95, v94
	v_div_scale_f32 v95, vcc, 1.0, v92, 1.0
	v_mul_f32_e32 v75, v95, v94
	v_fma_f32 v84, -v93, v75, v95
	v_fmac_f32_e32 v75, v84, v94
	v_fma_f32 v84, -v93, v75, v95
	v_div_fmas_f32 v75, v84, v94, v75
	v_cmp_eq_u32_e32 vcc, 1, v86
	v_div_fixup_f32 v75, v75, v92, 1.0
	s_barrier
	v_cndmask_b32_e32 v84, v85, v89, vcc
	v_cmp_eq_u32_e32 vcc, 2, v86
	s_lshl_b32 s7, s33, 1
	s_nop 0
	v_cndmask_b32_e32 v84, v84, v90, vcc
	v_cmp_eq_u32_e32 vcc, 3, v86
	s_nop 1
	v_cndmask_b32_e32 v84, v84, v91, vcc
	v_mul_f32_e32 v90, v84, v75
	v_pk_mul_f32 v[68:69], v[90:91], v[68:69] op_sel_hi:[0,1]
	v_bfe_u32 v75, v69, 16, 1
	v_bfe_u32 v84, v68, 16, 1
	v_pk_mul_f32 v[80:81], v[90:91], v[80:81] op_sel_hi:[0,1]
	v_add3_u32 v68, v68, v84, s8
	v_add3_u32 v69, v69, v75, s8
	v_perm_b32 v92, v69, v68, s9
	v_bfe_u32 v68, v81, 16, 1
	v_bfe_u32 v69, v80, 16, 1
	v_mov_b32_e32 v84, v1
	v_add3_u32 v69, v80, v69, s8
	v_add3_u32 v68, v81, v68, s8
	v_bfe_u32 v1, v0, 4, 2
	v_perm_b32 v93, v68, v69, s9
	v_lshlrev_b32_e32 v69, 3, v1
	v_lshlrev_b32_e32 v68, 5, v84
	;; [unrolled: 1-line block ×3, first 2 shown]
	v_pk_mul_f32 v[70:71], v[90:91], v[70:71] op_sel_hi:[0,1]
	v_or3_b32 v80, v75, v68, v69
	v_bfe_u32 v69, v71, 16, 1
	v_bfe_u32 v75, v70, 16, 1
	v_pk_mul_f32 v[82:83], v[90:91], v[82:83] op_sel_hi:[0,1]
	v_add3_u32 v70, v70, v75, s8
	v_add3_u32 v69, v71, v69, s8
	v_perm_b32 v70, v69, v70, s9
	v_bfe_u32 v69, v83, 16, 1
	v_bfe_u32 v71, v82, 16, 1
	v_add3_u32 v71, v82, v71, s8
	v_add3_u32 v69, v83, v69, s8
	v_pk_mul_f32 v[76:77], v[90:91], v[76:77] op_sel_hi:[0,1]
	v_perm_b32 v71, v69, v71, s9
	v_bfe_u32 v69, v77, 16, 1
	v_bfe_u32 v75, v76, 16, 1
	ds_write2st64_b64 v80, v[92:93], v[70:71] offset1:1
	v_pk_mul_f32 v[70:71], v[90:91], v[78:79] op_sel_hi:[0,1]
	v_add3_u32 v75, v76, v75, s8
	v_add3_u32 v69, v77, v69, s8
	v_perm_b32 v76, v69, v75, s9
	v_bfe_u32 v69, v71, 16, 1
	v_bfe_u32 v75, v70, 16, 1
	v_add3_u32 v70, v70, v75, s8
	v_add3_u32 v69, v71, v69, s8
	v_perm_b32 v77, v69, v70, s9
	v_pk_mul_f32 v[70:71], v[90:91], v[72:73] op_sel_hi:[0,1]
	v_bfe_u32 v69, v71, 16, 1
	v_bfe_u32 v72, v70, 16, 1
	v_pk_mul_f32 v[66:67], v[90:91], v[66:67] op_sel_hi:[0,1]
	v_add3_u32 v70, v70, v72, s8
	v_add3_u32 v69, v71, v69, s8
	v_perm_b32 v70, v69, v70, s9
	v_bfe_u32 v69, v67, 16, 1
	v_bfe_u32 v71, v66, 16, 1
	v_add3_u32 v66, v66, v71, s8
	v_add3_u32 v67, v67, v69, s8
	v_perm_b32 v71, v67, v66, s9
	v_cmp_gt_u32_e32 vcc, 2, v0
	ds_write2st64_b64 v80, v[76:77], v[70:71] offset0:2 offset1:3
	s_and_saveexec_b64 s[4:5], vcc
	s_cbranch_execz .LBB629_15
; %bb.14:
	v_or_b32_e32 v66, s27, v0
	v_mov_b32_e32 v67, 0
	v_mov_b32_e32 v69, s7
	v_mad_u64_u32 v[70:71], s[10:11], s2, v69, v[66:67]
	v_mov_b32_e32 v66, s26
	s_load_dwordx4 s[12:15], s[0:1], 0x58
	s_mul_i32 s3, s3, s7
	v_mad_u64_u32 v[66:67], s[10:11], v70, s6, v[66:67]
	v_add_u32_e32 v69, s3, v71
	v_mov_b32_e32 v70, v67
	v_mad_u64_u32 v[70:71], s[10:11], v69, s6, v[70:71]
	v_mov_b32_e32 v67, v70
	v_lshlrev_b64 v[66:67], 2, v[66:67]
	s_waitcnt lgkmcnt(0)
	v_lshl_add_u64 v[70:71], s[14:15], 0, v[66:67]
	v_lshl_add_u64 v[66:67], s[12:13], 0, v[66:67]
	global_store_dword v[70:71], v87, off
	global_store_dword v[66:67], v88, off
.LBB629_15:
	s_or_b64 exec, exec, s[4:5]
	v_lshl_or_b32 v75, v1, 9, v68
	s_waitcnt lgkmcnt(0)
	s_barrier
	ds_read_b128 v[70:73], v75
	ds_read_b128 v[66:69], v75 offset:16
	s_waitcnt vmcnt(15) lgkmcnt(1)
	v_mfma_f32_16x16x16_bf16 v[76:79], v[30:31], v[70:71], 0
	v_cmp_gt_u32_e32 vcc, 64, v0
	s_mov_b32 s3, 0
	v_mfma_f32_16x16x16_bf16 v[30:33], v[32:33], v[72:73], v[76:79]
	s_waitcnt vmcnt(14) lgkmcnt(0)
	v_mfma_f32_16x16x16_bf16 v[30:33], v[26:27], v[66:67], v[30:33]
	v_mfma_f32_16x16x16_bf16 v[26:29], v[28:29], v[68:69], v[30:33]
	s_nop 5
	ds_read_b128 v[30:33], v75 offset:2048
	ds_read_b128 v[76:79], v75 offset:2064
	s_waitcnt vmcnt(13) lgkmcnt(1)
	v_mfma_f32_16x16x16_bf16 v[26:29], v[22:23], v[30:31], v[26:29]
	v_mfma_f32_16x16x16_bf16 v[22:25], v[24:25], v[32:33], v[26:29]
	s_waitcnt vmcnt(12) lgkmcnt(0)
	v_mfma_f32_16x16x16_bf16 v[22:25], v[18:19], v[76:77], v[22:25]
	v_mfma_f32_16x16x16_bf16 v[18:21], v[20:21], v[78:79], v[22:25]
	s_nop 5
	ds_read_b128 v[22:25], v75 offset:4096
	ds_read_b128 v[26:29], v75 offset:4112
	s_waitcnt vmcnt(11) lgkmcnt(1)
	v_mfma_f32_16x16x16_bf16 v[18:21], v[14:15], v[22:23], v[18:21]
	v_mfma_f32_16x16x16_bf16 v[14:17], v[16:17], v[24:25], v[18:21]
	s_waitcnt vmcnt(10) lgkmcnt(0)
	v_mfma_f32_16x16x16_bf16 v[14:17], v[10:11], v[26:27], v[14:17]
	v_mfma_f32_16x16x16_bf16 v[10:13], v[12:13], v[28:29], v[14:17]
	s_nop 5
	ds_read_b128 v[14:17], v75 offset:6144
	ds_read_b128 v[18:21], v75 offset:6160
	s_waitcnt lgkmcnt(0)
	s_barrier
	s_waitcnt vmcnt(9)
	v_mfma_f32_16x16x16_bf16 v[10:13], v[6:7], v[14:15], v[10:13]
	v_mfma_f32_16x16x16_bf16 v[6:9], v[8:9], v[16:17], v[10:13]
	s_waitcnt vmcnt(8)
	v_mfma_f32_16x16x16_bf16 v[6:9], v[2:3], v[18:19], v[6:9]
	v_mfma_f32_16x16x16_bf16 v[2:5], v[4:5], v[20:21], v[6:9]
	;; [unrolled: 3-line block ×3, first 2 shown]
	s_nop 3
	v_bfe_u32 v10, v3, 16, 1
	v_bfe_u32 v11, v2, 16, 1
	v_add3_u32 v2, v2, v11, s8
	s_waitcnt vmcnt(6)
	v_mfma_f32_16x16x16_bf16 v[6:9], v[38:39], v[66:67], v[6:9]
	v_add3_u32 v3, v3, v10, s8
	v_perm_b32 v10, v3, v2, s9
	v_bfe_u32 v2, v5, 16, 1
	v_mfma_f32_16x16x16_bf16 v[6:9], v[40:41], v[68:69], v[6:9]
	v_bfe_u32 v3, v4, 16, 1
	v_add3_u32 v3, v4, v3, s8
	v_add3_u32 v2, v5, v2, s8
	s_waitcnt vmcnt(5)
	v_mfma_f32_16x16x16_bf16 v[6:9], v[42:43], v[30:31], v[6:9]
	v_perm_b32 v11, v2, v3, s9
	v_mfma_f32_16x16x16_bf16 v[6:9], v[44:45], v[32:33], v[6:9]
	s_waitcnt vmcnt(4)
	v_mfma_f32_16x16x16_bf16 v[6:9], v[34:35], v[76:77], v[6:9]
	v_mfma_f32_16x16x16_bf16 v[6:9], v[36:37], v[78:79], v[6:9]
	s_waitcnt vmcnt(3)
	v_mfma_f32_16x16x16_bf16 v[6:9], v[58:59], v[22:23], v[6:9]
	;; [unrolled: 3-line block ×5, first 2 shown]
	v_mfma_f32_16x16x16_bf16 v[2:5], v[52:53], v[20:21], v[6:9]
	s_nop 6
	v_bfe_u32 v6, v3, 16, 1
	v_bfe_u32 v7, v2, 16, 1
	v_add3_u32 v2, v2, v7, s8
	v_add3_u32 v3, v3, v6, s8
	v_perm_b32 v2, v3, v2, s9
	v_bfe_u32 v3, v5, 16, 1
	v_bfe_u32 v6, v4, 16, 1
	v_add3_u32 v4, v4, v6, s8
	v_add3_u32 v3, v5, v3, s8
	v_perm_b32 v3, v3, v4, s9
	ds_write2st64_b64 v80, v[10:11], v[2:3] offset1:1
	v_and_b32_e32 v2, 63, v0
	v_cmp_gt_u32_e64 s[4:5], 32, v2
	s_and_b64 s[4:5], vcc, s[4:5]
	s_waitcnt lgkmcnt(0)
	s_barrier
	s_and_saveexec_b64 s[8:9], s[4:5]
	s_cbranch_execz .LBB629_17
; %bb.16:
	s_load_dwordx2 s[0:1], s[0:1], 0x68
	s_mul_i32 s2, s7, s2
	s_lshl_b32 s6, s6, 7
	v_lshlrev_b32_e32 v4, 6, v84
	s_mul_hi_u32 s5, s2, s6
	s_mul_i32 s4, s2, s6
	v_lshlrev_b32_e32 v3, 4, v0
	v_lshl_or_b32 v0, v0, 10, v4
	s_lshl_b64 s[4:5], s[4:5], 1
	v_lshlrev_b32_e32 v2, 5, v1
	v_and_b32_e32 v3, 16, v3
	v_and_b32_e32 v0, 0x1a00, v0
	s_waitcnt lgkmcnt(0)
	s_add_u32 s4, s0, s4
	v_or3_b32 v0, v0, v2, v3
	s_addc_u32 s5, s1, s5
	s_lshl_b32 s2, s26, 7
	ds_read_b128 v[2:5], v0
	s_lshl_b64 s[0:1], s[2:3], 1
	s_add_u32 s0, s4, s0
	v_or_b32_e32 v0, s27, v1
	s_addc_u32 s1, s5, s1
	v_mad_u64_u32 v[0:1], s[2:3], s6, v0, 0
	v_lshl_add_u64 v[0:1], v[0:1], 1, s[0:1]
	v_mov_b32_e32 v75, 0
	v_lshl_add_u64 v[0:1], v[0:1], 0, v[74:75]
	s_waitcnt lgkmcnt(0)
	global_store_dwordx4 v[0:1], v[2:5], off
.LBB629_17:
	s_endpgm
	.section	.rodata,"a",@progbits
	.p2align	6, 0x0
	.amdhsa_kernel _Z39paged_attention_ll4mi_QKV_mfma16_kernelI14__hip_bfloat16S0_LN4vllm18Fp8KVCacheDataTypeE0EhLi16ELi128ELi256ELb0ELi2EEvPKT_PKT0_S8_ifPKiSA_SA_iPKfiiiPfSD_PS3_PT2_iSC_SC_
		.amdhsa_group_segment_fixed_size 8192
		.amdhsa_private_segment_fixed_size 0
		.amdhsa_kernarg_size 400
		.amdhsa_user_sgpr_count 2
		.amdhsa_user_sgpr_dispatch_ptr 0
		.amdhsa_user_sgpr_queue_ptr 0
		.amdhsa_user_sgpr_kernarg_segment_ptr 1
		.amdhsa_user_sgpr_dispatch_id 0
		.amdhsa_user_sgpr_kernarg_preload_length 0
		.amdhsa_user_sgpr_kernarg_preload_offset 0
		.amdhsa_user_sgpr_private_segment_size 0
		.amdhsa_uses_dynamic_stack 0
		.amdhsa_enable_private_segment 0
		.amdhsa_system_sgpr_workgroup_id_x 1
		.amdhsa_system_sgpr_workgroup_id_y 1
		.amdhsa_system_sgpr_workgroup_id_z 1
		.amdhsa_system_sgpr_workgroup_info 0
		.amdhsa_system_vgpr_workitem_id 0
		.amdhsa_next_free_vgpr 96
		.amdhsa_next_free_sgpr 41
		.amdhsa_accum_offset 96
		.amdhsa_reserve_vcc 1
		.amdhsa_float_round_mode_32 0
		.amdhsa_float_round_mode_16_64 0
		.amdhsa_float_denorm_mode_32 3
		.amdhsa_float_denorm_mode_16_64 3
		.amdhsa_dx10_clamp 1
		.amdhsa_ieee_mode 1
		.amdhsa_fp16_overflow 0
		.amdhsa_tg_split 0
		.amdhsa_exception_fp_ieee_invalid_op 0
		.amdhsa_exception_fp_denorm_src 0
		.amdhsa_exception_fp_ieee_div_zero 0
		.amdhsa_exception_fp_ieee_overflow 0
		.amdhsa_exception_fp_ieee_underflow 0
		.amdhsa_exception_fp_ieee_inexact 0
		.amdhsa_exception_int_div_zero 0
	.end_amdhsa_kernel
	.section	.text._Z39paged_attention_ll4mi_QKV_mfma16_kernelI14__hip_bfloat16S0_LN4vllm18Fp8KVCacheDataTypeE0EhLi16ELi128ELi256ELb0ELi2EEvPKT_PKT0_S8_ifPKiSA_SA_iPKfiiiPfSD_PS3_PT2_iSC_SC_,"axG",@progbits,_Z39paged_attention_ll4mi_QKV_mfma16_kernelI14__hip_bfloat16S0_LN4vllm18Fp8KVCacheDataTypeE0EhLi16ELi128ELi256ELb0ELi2EEvPKT_PKT0_S8_ifPKiSA_SA_iPKfiiiPfSD_PS3_PT2_iSC_SC_,comdat
.Lfunc_end629:
	.size	_Z39paged_attention_ll4mi_QKV_mfma16_kernelI14__hip_bfloat16S0_LN4vllm18Fp8KVCacheDataTypeE0EhLi16ELi128ELi256ELb0ELi2EEvPKT_PKT0_S8_ifPKiSA_SA_iPKfiiiPfSD_PS3_PT2_iSC_SC_, .Lfunc_end629-_Z39paged_attention_ll4mi_QKV_mfma16_kernelI14__hip_bfloat16S0_LN4vllm18Fp8KVCacheDataTypeE0EhLi16ELi128ELi256ELb0ELi2EEvPKT_PKT0_S8_ifPKiSA_SA_iPKfiiiPfSD_PS3_PT2_iSC_SC_
                                        ; -- End function
	.section	.AMDGPU.csdata,"",@progbits
; Kernel info:
; codeLenInByte = 4616
; NumSgprs: 47
; NumVgprs: 96
; NumAgprs: 0
; TotalNumVgprs: 96
; ScratchSize: 0
; MemoryBound: 0
; FloatMode: 240
; IeeeMode: 1
; LDSByteSize: 8192 bytes/workgroup (compile time only)
; SGPRBlocks: 5
; VGPRBlocks: 11
; NumSGPRsForWavesPerEU: 47
; NumVGPRsForWavesPerEU: 96
; AccumOffset: 96
; Occupancy: 5
; WaveLimiterHint : 1
; COMPUTE_PGM_RSRC2:SCRATCH_EN: 0
; COMPUTE_PGM_RSRC2:USER_SGPR: 2
; COMPUTE_PGM_RSRC2:TRAP_HANDLER: 0
; COMPUTE_PGM_RSRC2:TGID_X_EN: 1
; COMPUTE_PGM_RSRC2:TGID_Y_EN: 1
; COMPUTE_PGM_RSRC2:TGID_Z_EN: 1
; COMPUTE_PGM_RSRC2:TIDIG_COMP_CNT: 0
; COMPUTE_PGM_RSRC3_GFX90A:ACCUM_OFFSET: 23
; COMPUTE_PGM_RSRC3_GFX90A:TG_SPLIT: 0
	.section	.text._Z39paged_attention_ll4mi_QKV_mfma16_kernelI14__hip_bfloat16S0_LN4vllm18Fp8KVCacheDataTypeE0EhLi16ELi128ELi256ELb0ELi3EEvPKT_PKT0_S8_ifPKiSA_SA_iPKfiiiPfSD_PS3_PT2_iSC_SC_,"axG",@progbits,_Z39paged_attention_ll4mi_QKV_mfma16_kernelI14__hip_bfloat16S0_LN4vllm18Fp8KVCacheDataTypeE0EhLi16ELi128ELi256ELb0ELi3EEvPKT_PKT0_S8_ifPKiSA_SA_iPKfiiiPfSD_PS3_PT2_iSC_SC_,comdat
	.protected	_Z39paged_attention_ll4mi_QKV_mfma16_kernelI14__hip_bfloat16S0_LN4vllm18Fp8KVCacheDataTypeE0EhLi16ELi128ELi256ELb0ELi3EEvPKT_PKT0_S8_ifPKiSA_SA_iPKfiiiPfSD_PS3_PT2_iSC_SC_ ; -- Begin function _Z39paged_attention_ll4mi_QKV_mfma16_kernelI14__hip_bfloat16S0_LN4vllm18Fp8KVCacheDataTypeE0EhLi16ELi128ELi256ELb0ELi3EEvPKT_PKT0_S8_ifPKiSA_SA_iPKfiiiPfSD_PS3_PT2_iSC_SC_
	.globl	_Z39paged_attention_ll4mi_QKV_mfma16_kernelI14__hip_bfloat16S0_LN4vllm18Fp8KVCacheDataTypeE0EhLi16ELi128ELi256ELb0ELi3EEvPKT_PKT0_S8_ifPKiSA_SA_iPKfiiiPfSD_PS3_PT2_iSC_SC_
	.p2align	8
	.type	_Z39paged_attention_ll4mi_QKV_mfma16_kernelI14__hip_bfloat16S0_LN4vllm18Fp8KVCacheDataTypeE0EhLi16ELi128ELi256ELb0ELi3EEvPKT_PKT0_S8_ifPKiSA_SA_iPKfiiiPfSD_PS3_PT2_iSC_SC_,@function
_Z39paged_attention_ll4mi_QKV_mfma16_kernelI14__hip_bfloat16S0_LN4vllm18Fp8KVCacheDataTypeE0EhLi16ELi128ELi256ELb0ELi3EEvPKT_PKT0_S8_ifPKiSA_SA_iPKfiiiPfSD_PS3_PT2_iSC_SC_: ; @_Z39paged_attention_ll4mi_QKV_mfma16_kernelI14__hip_bfloat16S0_LN4vllm18Fp8KVCacheDataTypeE0EhLi16ELi128ELi256ELb0ELi3EEvPKT_PKT0_S8_ifPKiSA_SA_iPKfiiiPfSD_PS3_PT2_iSC_SC_
; %bb.0:
	s_load_dwordx2 s[8:9], s[0:1], 0x30
	s_mov_b32 s26, s3
	s_mov_b64 s[6:7], 0
	s_waitcnt lgkmcnt(0)
	s_cmp_lg_u64 s[8:9], 0
	s_cselect_b64 s[10:11], -1, 0
	s_and_b64 vcc, exec, s[10:11]
	s_cbranch_vccz .LBB630_7
; %bb.1:
	s_add_i32 s12, s2, 1
	s_mov_b32 s13, 0
	s_lshl_b64 s[14:15], s[12:13], 2
	s_add_u32 s14, s8, s14
	s_mov_b32 s3, s13
	s_addc_u32 s15, s9, s15
	s_lshl_b64 s[12:13], s[2:3], 2
	s_add_u32 s12, s8, s12
	s_addc_u32 s13, s9, s13
	s_load_dword s5, s[14:15], 0x0
	s_load_dword s16, s[12:13], 0x0
	s_waitcnt lgkmcnt(0)
	s_sub_i32 s5, s5, s16
	s_cmp_eq_u32 s5, 1
	s_cselect_b64 s[12:13], -1, 0
	s_andn2_b64 vcc, exec, s[6:7]
	s_cbranch_vccnz .LBB630_3
.LBB630_2:
	s_mov_b32 s3, 0
	s_mov_b64 s[12:13], -1
.LBB630_3:
	s_andn2_b64 vcc, exec, s[12:13]
	s_cbranch_vccnz .LBB630_17
; %bb.4:
	s_load_dwordx2 s[6:7], s[0:1], 0x28
	s_lshl_b64 s[16:17], s[2:3], 2
	s_waitcnt lgkmcnt(0)
	s_add_u32 s6, s6, s16
	s_addc_u32 s7, s7, s17
	s_load_dword s33, s[6:7], 0x0
	s_lshl_b32 s18, s26, 8
	s_waitcnt lgkmcnt(0)
	s_cmp_ge_i32 s18, s33
	s_cbranch_scc1 .LBB630_17
; %bb.5:
	s_load_dwordx2 s[6:7], s[0:1], 0x20
	s_load_dword s5, s[0:1], 0x38
	s_add_i32 s12, s33, 15
	s_ashr_i32 s13, s12, 31
	v_and_b32_e32 v1, 0xcf, v0
	s_lshr_b32 s13, s13, 28
	v_add_u32_e32 v1, s18, v1
	s_add_i32 s12, s12, s13
	v_ashrrev_i32_e32 v2, 31, v1
	s_ashr_i32 s19, s12, 4
	v_lshrrev_b32_e32 v4, 28, v2
	s_add_i32 s19, s19, -1
	s_waitcnt lgkmcnt(0)
	s_mul_i32 s12, s2, s5
	s_mov_b32 s13, 0
	v_add_u32_e32 v2, v1, v4
	s_lshl_b64 s[12:13], s[12:13], 2
	v_ashrrev_i32_e32 v2, 4, v2
	v_mov_b32_e32 v5, s19
	v_cmp_gt_i32_e32 vcc, s33, v1
	s_add_u32 s6, s6, s12
	s_addc_u32 s7, s7, s13
	v_cndmask_b32_e32 v2, v5, v2, vcc
	v_ashrrev_i32_e32 v3, 31, v2
	v_lshl_add_u64 v[6:7], v[2:3], 2, s[6:7]
	v_or_b32_e32 v2, 16, v1
	v_add_u32_e32 v3, v2, v4
	v_ashrrev_i32_e32 v3, 4, v3
	v_cmp_gt_i32_e32 vcc, s33, v2
	s_load_dwordx4 s[12:15], s[0:1], 0x8
	s_nop 0
	v_cndmask_b32_e32 v2, v5, v3, vcc
	v_ashrrev_i32_e32 v3, 31, v2
	v_lshl_add_u64 v[8:9], v[2:3], 2, s[6:7]
	v_or_b32_e32 v2, 32, v1
	v_add_u32_e32 v3, v2, v4
	v_ashrrev_i32_e32 v3, 4, v3
	v_cmp_gt_i32_e32 vcc, s33, v2
	v_or_b32_e32 v1, 48, v1
	s_nop 0
	v_cndmask_b32_e32 v2, v5, v3, vcc
	v_ashrrev_i32_e32 v3, 31, v2
	v_lshl_add_u64 v[10:11], v[2:3], 2, s[6:7]
	v_add_u32_e32 v2, v1, v4
	v_ashrrev_i32_e32 v2, 4, v2
	v_cmp_gt_i32_e32 vcc, s33, v1
	s_nop 1
	v_cndmask_b32_e32 v2, v5, v2, vcc
	v_ashrrev_i32_e32 v3, 31, v2
	v_lshl_add_u64 v[12:13], v[2:3], 2, s[6:7]
	global_load_dword v4, v[6:7], off
	global_load_dword v3, v[8:9], off
	global_load_dword v2, v[10:11], off
	global_load_dword v40, v[12:13], off
	s_andn2_b64 vcc, exec, s[10:11]
	s_cbranch_vccnz .LBB630_8
; %bb.6:
	s_add_u32 s8, s8, s16
	s_addc_u32 s9, s9, s17
	s_load_dword s5, s[8:9], 0x0
	s_branch .LBB630_9
.LBB630_7:
	s_mov_b64 s[12:13], 0
	s_branch .LBB630_2
.LBB630_8:
	s_mov_b32 s5, s2
.LBB630_9:
	s_load_dwordx4 s[8:11], s[0:1], 0x48
	v_lshrrev_b32_e32 v77, 6, v0
	v_bfe_u32 v86, v0, 4, 2
	v_and_b32_e32 v76, 15, v0
	s_mul_i32 s40, s4, 3
	v_lshl_or_b32 v5, v77, 2, v86
	v_lshlrev_b32_e32 v6, 3, v76
	v_and_b32_e32 v87, 63, v0
	v_add_u32_e32 v1, s40, v86
	v_cmp_gt_u32_e32 vcc, 3, v5
	v_lshlrev_b32_e32 v6, 1, v6
	scratch_store_dword off, v1, off offset:8 ; 4-byte Folded Spill
	scratch_store_dwordx2 off, v[6:7], off  ; 8-byte Folded Spill
	s_and_saveexec_b64 s[16:17], vcc
	s_cbranch_execz .LBB630_11
; %bb.10:
	scratch_load_dword v1, off, off offset:8 ; 4-byte Folded Reload
	scratch_load_dwordx2 v[8:9], off, off   ; 8-byte Folded Reload
	s_load_dwordx2 s[20:21], s[0:1], 0x0
	s_waitcnt lgkmcnt(0)
	s_ashr_i32 s11, s8, 31
	s_mul_hi_u32 s22, s5, s8
	s_mul_i32 s11, s5, s11
	s_add_i32 s23, s22, s11
	s_mul_i32 s22, s5, s8
	s_lshl_b64 s[22:23], s[22:23], 1
	s_add_u32 s20, s20, s22
	s_addc_u32 s21, s21, s23
	v_mov_b32_e32 v11, 0
	v_lshlrev_b32_e32 v5, 5, v5
	s_waitcnt vmcnt(1)
	v_lshlrev_b32_e32 v6, 7, v1
	v_ashrrev_i32_e32 v7, 31, v6
	v_lshl_add_u64 v[6:7], v[6:7], 1, s[20:21]
	s_waitcnt vmcnt(0)
	v_mov_b32_e32 v10, v8
	v_lshl_add_u64 v[6:7], v[6:7], 0, v[10:11]
	scratch_store_dwordx2 off, v[8:9], off  ; 8-byte Folded Spill
	global_load_dwordx4 v[6:9], v[6:7], off
	v_and_b32_e32 v10, 3, v0
	v_lshlrev_b32_e32 v11, 9, v76
	v_lshlrev_b32_e32 v10, 9, v10
	v_and_b32_e32 v11, 0x1800, v11
	v_or3_b32 v5, v11, v10, v5
	s_waitcnt vmcnt(0)
	ds_write_b128 v5, v[6:9]
.LBB630_11:
	s_or_b64 exec, exec, s[16:17]
	s_waitcnt lgkmcnt(0)
	s_mul_i32 s4, s4, s10
	s_mov_b32 s5, 0
	s_lshl_b64 s[4:5], s[4:5], 1
	s_add_u32 s10, s12, s4
	v_lshlrev_b32_e32 v1, 4, v0
	s_addc_u32 s11, s13, s5
	v_and_b32_e32 v34, 0xf0, v1
	v_mov_b32_e32 v35, 0
	v_lshl_add_u64 v[30:31], s[10:11], 0, v[34:35]
	s_waitcnt vmcnt(5)
	v_mad_i64_i32 v[4:5], s[10:11], v4, s9, 0
	v_lshl_add_u64 v[4:5], v[4:5], 1, v[30:31]
	v_and_b32_e32 v34, 0x300, v1
	v_lshl_add_u64 v[32:33], v[4:5], 0, v[34:35]
	s_load_dword s27, s[0:1], 0x98
	s_load_dword s8, s[0:1], 0x1c
	s_waitcnt lgkmcnt(0)
	s_barrier
	global_load_dwordx4 v[6:9], v[32:33], off
	global_load_dwordx4 v[18:21], v[32:33], off offset:1024
	s_waitcnt vmcnt(6)
	v_mad_i64_i32 v[4:5], s[10:11], v3, s9, 0
	v_lshl_add_u64 v[4:5], v[4:5], 1, v[30:31]
	v_lshl_add_u64 v[36:37], v[4:5], 0, v[34:35]
	global_load_dwordx4 v[14:17], v[36:37], off
	global_load_dwordx4 v[22:25], v[36:37], off offset:1024
	s_waitcnt vmcnt(7)
	v_mad_i64_i32 v[2:3], s[10:11], v2, s9, 0
	v_lshl_add_u64 v[2:3], v[2:3], 1, v[30:31]
	v_lshl_add_u64 v[38:39], v[2:3], 0, v[34:35]
	global_load_dwordx4 v[26:29], v[38:39], off
	global_load_dwordx4 v[46:49], v[38:39], off offset:1024
	v_mul_lo_u16_e32 v2, 0x56, v76
	v_mov_b32_e32 v3, 3
	v_mul_lo_u16_sdwa v2, v2, v3 dst_sel:DWORD dst_unused:UNUSED_PAD src0_sel:BYTE_1 src1_sel:DWORD
	v_mov_b32_e32 v4, 5
	v_sub_u16_e32 v2, v76, v2
	v_lshlrev_b32_sdwa v2, v4, v2 dst_sel:DWORD dst_unused:UNUSED_PAD src0_sel:DWORD src1_sel:BYTE_0
	v_lshl_add_u32 v41, v86, 9, v2
	ds_read_b128 v[10:13], v41
	ds_read_b128 v[2:5], v41 offset:2048
	global_load_dwordx4 v[54:57], v[32:33], off offset:2048
	global_load_dwordx4 v[62:65], v[36:37], off offset:2048
	v_mov_b32_e32 v70, s19
	v_lshl_or_b32 v88, v77, 4, v76
	s_add_u32 s4, s14, s4
	s_addc_u32 s5, s15, s5
	s_mov_b32 s41, 0xff7fffff
	s_waitcnt vmcnt(7) lgkmcnt(1)
	v_mfma_f32_16x16x16_bf16 v[42:45], v[6:7], v[10:11], 0
	v_mfma_f32_16x16x16_bf16 v[6:9], v[8:9], v[12:13], v[42:45]
	s_nop 5
	global_load_dwordx4 v[42:45], v[38:39], off offset:2048
	s_waitcnt vmcnt(6)
	v_mfma_f32_16x16x16_bf16 v[50:53], v[14:15], v[10:11], 0
	s_waitcnt vmcnt(4)
	v_mfma_f32_16x16x16_bf16 v[58:61], v[26:27], v[10:11], 0
	v_mfma_f32_16x16x16_bf16 v[14:17], v[16:17], v[12:13], v[50:53]
	s_nop 3
	global_load_dwordx4 v[50:53], v[32:33], off offset:3072
	v_mfma_f32_16x16x16_bf16 v[26:29], v[28:29], v[12:13], v[58:61]
	v_mad_i64_i32 v[32:33], s[10:11], v40, s9, 0
	v_and_or_b32 v40, v0, 48, s18
	s_waitcnt lgkmcnt(0)
	v_mfma_f32_16x16x16_bf16 v[14:17], v[22:23], v[2:3], v[14:17]
	v_ashrrev_i32_e32 v58, 4, v40
	v_cmp_gt_i32_e32 vcc, s33, v40
	v_or_b32_e32 v66, 64, v40
	v_mfma_f32_16x16x16_bf16 v[6:9], v[18:19], v[2:3], v[6:9]
	v_cndmask_b32_e32 v18, v70, v58, vcc
	global_load_dwordx4 v[58:61], v[36:37], off offset:3072
	v_ashrrev_i32_e32 v22, 4, v66
	s_waitcnt vmcnt(5)
	v_mfma_f32_16x16x16_bf16 v[26:29], v[46:47], v[2:3], v[26:29]
	v_ashrrev_i32_e32 v19, 31, v18
	v_cmp_gt_i32_e32 vcc, s33, v66
	v_lshl_add_u64 v[18:19], v[18:19], 2, s[6:7]
	v_mfma_f32_16x16x16_bf16 v[14:17], v[24:25], v[4:5], v[14:17]
	v_cndmask_b32_e32 v36, v70, v22, vcc
	global_load_dwordx4 v[22:25], v[38:39], off offset:3072
	global_load_dword v82, v[18:19], off
	v_mfma_f32_16x16x16_bf16 v[6:9], v[20:21], v[4:5], v[6:9]
	v_ashrrev_i32_e32 v37, 31, v36
	ds_read_b128 v[66:69], v41 offset:4096
	v_or_b32_e32 v71, 0x80, v40
	v_mfma_f32_16x16x16_bf16 v[18:21], v[48:49], v[4:5], v[26:29]
	v_ashrrev_i32_e32 v73, 4, v71
	v_cmp_gt_i32_e32 vcc, s33, v71
	v_or_b32_e32 v72, 0xc0, v40
	v_lshl_add_u64 v[26:27], v[32:33], 1, v[30:31]
	v_lshl_add_u64 v[26:27], v[26:27], 0, v[34:35]
	;; [unrolled: 1-line block ×3, first 2 shown]
	global_load_dwordx4 v[46:49], v[26:27], off
	global_load_dword v36, v[28:29], off
	s_waitcnt vmcnt(8) lgkmcnt(0)
	v_mfma_f32_16x16x16_bf16 v[6:9], v[54:55], v[66:67], v[6:9]
	v_cndmask_b32_e32 v28, v70, v73, vcc
	v_ashrrev_i32_e32 v29, 31, v28
	v_ashrrev_i32_e32 v78, 4, v72
	v_mfma_f32_16x16x16_bf16 v[6:9], v[56:57], v[68:69], v[6:9]
	global_load_dwordx4 v[54:57], v[26:27], off offset:1024
	v_lshl_add_u64 v[28:29], v[28:29], 2, s[6:7]
	v_cmp_gt_i32_e32 vcc, s33, v72
	global_load_dword v84, v[28:29], off
	s_waitcnt vmcnt(9)
	v_mfma_f32_16x16x16_bf16 v[14:17], v[62:63], v[66:67], v[14:17]
	v_cndmask_b32_e32 v28, v70, v78, vcc
	v_ashrrev_i32_e32 v29, 31, v28
	v_lshl_add_u64 v[28:29], v[28:29], 2, s[6:7]
	v_mfma_f32_16x16x16_bf16 v[14:17], v[64:65], v[68:69], v[14:17]
	global_load_dword v64, v[28:29], off
	ds_read_b128 v[38:41], v41 offset:6144
	v_lshlrev_b32_e32 v34, 5, v88
	v_lshl_add_u64 v[62:63], s[4:5], 0, v[34:35]
	v_or_b32_e32 v34, 0x800, v34
	s_waitcnt vmcnt(9)
	v_mfma_f32_16x16x16_bf16 v[18:21], v[42:43], v[66:67], v[18:21]
	global_load_dwordx4 v[70:73], v[26:27], off offset:3072
	v_mfma_f32_16x16x16_bf16 v[18:21], v[44:45], v[68:69], v[18:21]
	global_load_dwordx4 v[42:45], v[26:27], off offset:2048
	s_waitcnt vmcnt(10) lgkmcnt(0)
	v_mfma_f32_16x16x16_bf16 v[6:9], v[50:51], v[38:39], v[6:9]
	v_mfma_f32_16x16x16_bf16 v[78:81], v[52:53], v[40:41], v[6:9]
	s_waitcnt vmcnt(9)
	v_mfma_f32_16x16x16_bf16 v[14:17], v[58:59], v[38:39], v[14:17]
	s_waitcnt vmcnt(7)
	s_nop 2
	v_mad_i64_i32 v[6:7], s[6:7], v82, s9, 0
	v_lshlrev_b64 v[82:83], 1, v[6:7]
	v_lshl_add_u64 v[6:7], v[62:63], 0, v[82:83]
	global_load_dwordx4 v[30:33], v[6:7], off
	global_load_dwordx4 v[26:29], v[6:7], off offset:16
	v_mfma_f32_16x16x16_bf16 v[6:9], v[22:23], v[38:39], v[18:21]
	v_mfma_f32_16x16x16_bf16 v[58:61], v[60:61], v[40:41], v[14:17]
	s_waitcnt vmcnt(7)
	s_nop 1
	v_mad_i64_i32 v[14:15], s[6:7], v36, s9, 0
	v_lshlrev_b64 v[36:37], 1, v[14:15]
	v_mfma_f32_16x16x16_bf16 v[90:93], v[24:25], v[40:41], v[6:9]
	s_nop 2
	v_lshl_add_u64 v[6:7], v[62:63], 0, v[36:37]
	global_load_dwordx4 v[22:25], v[6:7], off
	global_load_dwordx4 v[18:21], v[6:7], off offset:16
	v_mfma_f32_16x16x16_bf16 v[6:9], v[46:47], v[10:11], 0
	s_waitcnt vmcnt(7)
	v_mad_i64_i32 v[10:11], s[6:7], v84, s9, 0
	v_lshlrev_b64 v[50:51], 1, v[10:11]
	v_mfma_f32_16x16x16_bf16 v[6:9], v[48:49], v[12:13], v[6:9]
	v_lshl_add_u64 v[10:11], v[62:63], 0, v[50:51]
	v_pk_mul_f32 v[84:85], s[8:9], v[60:61] op_sel_hi:[0,1]
	global_load_dwordx4 v[14:17], v[10:11], off
	s_nop 0
	global_load_dwordx4 v[10:13], v[10:11], off offset:16
	v_mfma_f32_16x16x16_bf16 v[6:9], v[54:55], v[2:3], v[6:9]
	s_waitcnt vmcnt(8)
	v_mad_i64_i32 v[2:3], s[6:7], v64, s9, 0
	v_lshlrev_b64 v[52:53], 1, v[2:3]
	v_mfma_f32_16x16x16_bf16 v[46:49], v[56:57], v[4:5], v[6:9]
	v_lshl_add_u64 v[2:3], v[62:63], 0, v[52:53]
	v_pk_mul_f32 v[62:63], s[8:9], v[78:79] op_sel_hi:[0,1]
	v_lshl_add_u64 v[64:65], s[4:5], 0, v[34:35]
	v_lshl_add_u64 v[34:35], v[64:65], 0, v[82:83]
	v_pk_mul_f32 v[82:83], s[8:9], v[80:81] op_sel_hi:[0,1]
	v_pk_mul_f32 v[78:79], s[8:9], v[90:91] op_sel_hi:[0,1]
	v_pk_mul_f32 v[80:81], s[8:9], v[92:93] op_sel_hi:[0,1]
	global_load_dwordx4 v[6:9], v[2:3], off
	s_nop 0
	global_load_dwordx4 v[2:5], v[2:3], off offset:16
	v_lshl_add_u64 v[50:51], v[64:65], 0, v[50:51]
	s_waitcnt vmcnt(8)
	v_mfma_f32_16x16x16_bf16 v[46:49], v[42:43], v[66:67], v[46:49]
	v_mfma_f32_16x16x16_bf16 v[42:45], v[44:45], v[68:69], v[46:49]
	;; [unrolled: 1-line block ×3, first 2 shown]
	v_pk_mul_f32 v[70:71], s[8:9], v[58:59] op_sel_hi:[0,1]
	v_mfma_f32_16x16x16_bf16 v[38:41], v[72:73], v[40:41], v[42:45]
	s_nop 6
	v_pk_mul_f32 v[72:73], s[8:9], v[38:39] op_sel_hi:[0,1]
	v_and_b32_e32 v38, 0xc0, v0
	v_add_u32_e32 v38, s18, v38
	v_lshl_or_b32 v38, v86, 2, v38
	v_pk_mul_f32 v[66:67], s[8:9], v[40:41] op_sel_hi:[0,1]
	v_or_b32_e32 v41, 1, v38
	v_mov_b32_e32 v39, 0xff7fffff
	v_cmp_gt_i32_e64 s[28:29], s33, v38
	v_cmp_gt_i32_e64 s[30:31], s33, v41
	v_or_b32_e32 v42, 3, v38
	v_cndmask_b32_e64 v40, v39, v62, s[28:29]
	v_cndmask_b32_e64 v41, v39, v63, s[30:31]
	v_max3_f32 v40, v40, s41, v41
	v_or_b32_e32 v41, 2, v38
	v_cmp_gt_i32_e64 s[34:35], s33, v41
	v_cmp_gt_i32_e64 s[36:37], s33, v42
	s_nop 0
	v_cndmask_b32_e64 v41, v39, v82, s[34:35]
	v_cndmask_b32_e64 v42, v39, v83, s[36:37]
	v_max3_f32 v40, v40, v41, v42
	v_or_b32_e32 v41, 16, v38
	v_or_b32_e32 v42, 17, v38
	v_cmp_gt_i32_e64 s[22:23], s33, v41
	v_cmp_gt_i32_e64 s[24:25], s33, v42
	s_nop 0
	v_cndmask_b32_e64 v41, v39, v70, s[22:23]
	v_cndmask_b32_e64 v42, v39, v71, s[24:25]
	v_max3_f32 v40, v40, v41, v42
	v_or_b32_e32 v41, 18, v38
	;; [unrolled: 8-line block ×6, first 2 shown]
	v_or_b32_e32 v38, 51, v38
	v_cmp_gt_i32_e32 vcc, s33, v41
	v_cmp_gt_i32_e64 s[4:5], s33, v38
	s_nop 0
	v_cndmask_b32_e32 v41, v39, v66, vcc
	v_cndmask_b32_e64 v38, v39, v67, s[4:5]
	v_max3_f32 v54, v40, v41, v38
	v_mbcnt_lo_u32_b32 v38, -1, 0
	v_mbcnt_hi_u32_b32 v55, -1, v38
	v_and_b32_e32 v38, 64, v55
	v_add_u32_e32 v56, 64, v38
	v_xor_b32_e32 v38, 32, v55
	v_cmp_lt_i32_e64 s[38:39], v38, v56
	s_nop 1
	v_cndmask_b32_e64 v38, v55, v38, s[38:39]
	v_lshlrev_b32_e32 v90, 2, v38
	ds_bpermute_b32 v57, v90, v54
	global_load_dwordx4 v[46:49], v[34:35], off
	global_load_dwordx4 v[38:41], v[34:35], off offset:16
	v_lshl_add_u64 v[34:35], v[64:65], 0, v[36:37]
	global_load_dwordx4 v[42:45], v[34:35], off
	s_nop 0
	global_load_dwordx4 v[34:37], v[34:35], off offset:16
	s_waitcnt lgkmcnt(0)
	v_max_f32_e32 v57, v57, v57
	v_max_f32_e32 v68, v54, v57
	v_xor_b32_e32 v54, 16, v55
	v_cmp_lt_i32_e64 s[38:39], v54, v56
	s_nop 1
	v_cndmask_b32_e64 v54, v55, v54, s[38:39]
	v_lshlrev_b32_e32 v91, 2, v54
	ds_bpermute_b32 v69, v91, v68
	global_load_dwordx4 v[58:61], v[50:51], off
	global_load_dwordx4 v[54:57], v[50:51], off offset:16
	v_lshl_add_u64 v[50:51], v[64:65], 0, v[52:53]
	s_waitcnt lgkmcnt(0)
	v_max_f32_e32 v52, v69, v69
	v_max_f32_e32 v89, v68, v52
	v_sub_f32_e32 v52, v62, v89
	v_mul_f32_e32 v52, 0x3fb8aa3b, v52
	v_exp_f32_e32 v68, v52
	v_sub_f32_e32 v52, v63, v89
	v_mul_f32_e32 v52, 0x3fb8aa3b, v52
	v_exp_f32_e32 v69, v52
	global_load_dwordx4 v[62:65], v[50:51], off
	s_nop 0
	global_load_dwordx4 v[50:53], v[50:51], off offset:16
	v_sub_f32_e32 v82, v82, v89
	v_mul_f32_e32 v82, 0x3fb8aa3b, v82
	v_sub_f32_e32 v83, v83, v89
	v_exp_f32_e32 v82, v82
	v_mul_f32_e32 v83, 0x3fb8aa3b, v83
	v_sub_f32_e32 v70, v70, v89
	v_exp_f32_e32 v83, v83
	v_mul_f32_e32 v70, 0x3fb8aa3b, v70
	v_sub_f32_e32 v71, v71, v89
	v_cndmask_b32_e64 v68, 0, v68, s[28:29]
	v_exp_f32_e32 v70, v70
	v_mul_f32_e32 v71, 0x3fb8aa3b, v71
	v_sub_f32_e32 v84, v84, v89
	v_add_f32_e32 v92, 0, v68
	v_cndmask_b32_e64 v69, 0, v69, s[30:31]
	v_exp_f32_e32 v71, v71
	v_mul_f32_e32 v84, 0x3fb8aa3b, v84
	v_sub_f32_e32 v85, v85, v89
	v_add_f32_e32 v92, v92, v69
	;; [unrolled: 5-line block ×10, first 2 shown]
	v_cndmask_b32_e64 v80, 0, v80, s[10:11]
	v_exp_f32_e32 v66, v66
	v_mul_f32_e32 v67, 0x3fb8aa3b, v67
	v_add_f32_e32 v92, v92, v80
	v_cndmask_b32_e64 v81, 0, v81, s[12:13]
	v_exp_f32_e32 v67, v67
	v_add_f32_e32 v92, v92, v81
	v_cndmask_b32_e64 v72, 0, v72, s[6:7]
	v_add_f32_e32 v92, v92, v72
	v_cndmask_b32_e64 v73, 0, v73, s[8:9]
	v_add_f32_e32 v92, v92, v73
	v_cndmask_b32_e32 v66, 0, v66, vcc
	v_add_f32_e32 v92, v92, v66
	v_cndmask_b32_e64 v67, 0, v67, s[4:5]
	v_add_f32_e32 v92, v92, v67
	ds_bpermute_b32 v90, v90, v92
	v_cmp_gt_u32_e32 vcc, 16, v87
	s_waitcnt lgkmcnt(0)
	s_barrier
	v_add_f32_e32 v90, v92, v90
	ds_bpermute_b32 v91, v91, v90
	s_and_saveexec_b64 s[4:5], vcc
	s_cbranch_execz .LBB630_13
; %bb.12:
	s_waitcnt lgkmcnt(0)
	v_add_f32_e32 v87, v90, v91
	v_lshlrev_b32_e32 v88, 2, v88
	ds_write2st64_b32 v88, v89, v87 offset1:1
.LBB630_13:
	s_or_b64 exec, exec, s[4:5]
	v_lshlrev_b32_e32 v94, 2, v76
	s_load_dword s6, s[0:1], 0x94
	s_waitcnt lgkmcnt(0)
	s_barrier
	ds_read2_b32 v[88:89], v94 offset1:16
	ds_read2_b32 v[90:91], v94 offset0:32 offset1:48
	ds_read2_b32 v[92:93], v94 offset0:64 offset1:80
	;; [unrolled: 1-line block ×3, first 2 shown]
	s_movk_i32 s8, 0x7fff
	s_waitcnt lgkmcnt(3)
	v_max3_f32 v87, v88, s41, v89
	s_waitcnt lgkmcnt(2)
	v_max3_f32 v87, v87, v90, v91
	v_sub_f32_e32 v88, v88, v87
	v_mul_f32_e32 v88, 0x3fb8aa3b, v88
	v_exp_f32_e32 v1, v88
	v_sub_f32_e32 v88, v89, v87
	v_mul_f32_e32 v88, 0x3fb8aa3b, v88
	v_exp_f32_e32 v89, v88
	;; [unrolled: 3-line block ×4, first 2 shown]
	s_waitcnt lgkmcnt(1)
	v_fma_f32 v88, v1, v92, 0
	v_fmac_f32_e32 v88, v89, v93
	s_waitcnt lgkmcnt(0)
	v_fmac_f32_e32 v88, v90, v94
	v_fmac_f32_e32 v88, v91, v95
	v_add_f32_e32 v92, 0x358637bd, v88
	v_div_scale_f32 v93, s[4:5], v92, v92, 1.0
	v_rcp_f32_e32 v94, v93
	s_mov_b32 s9, 0x7060302
	s_barrier
	v_fma_f32 v95, -v93, v94, 1.0
	v_fmac_f32_e32 v94, v95, v94
	v_div_scale_f32 v95, vcc, 1.0, v92, 1.0
	v_mul_f32_e32 v75, v95, v94
	v_fma_f32 v74, -v93, v75, v95
	v_fmac_f32_e32 v75, v74, v94
	v_fma_f32 v74, -v93, v75, v95
	v_div_fmas_f32 v74, v74, v94, v75
	v_cmp_eq_u32_e32 vcc, 1, v77
	v_div_fixup_f32 v74, v74, v92, 1.0
	s_nop 0
	v_cndmask_b32_e32 v1, v1, v89, vcc
	v_cmp_eq_u32_e32 vcc, 2, v77
	s_mul_i32 s7, s27, 3
	s_nop 0
	v_cndmask_b32_e32 v1, v1, v90, vcc
	v_cmp_eq_u32_e32 vcc, 3, v77
	s_nop 1
	v_cndmask_b32_e32 v1, v1, v91, vcc
	v_mul_f32_e32 v90, v1, v74
	v_pk_mul_f32 v[68:69], v[90:91], v[68:69] op_sel_hi:[0,1]
	v_bfe_u32 v1, v69, 16, 1
	v_bfe_u32 v74, v68, 16, 1
	v_pk_mul_f32 v[82:83], v[90:91], v[82:83] op_sel_hi:[0,1]
	v_add3_u32 v68, v68, v74, s8
	v_add3_u32 v1, v69, v1, s8
	v_perm_b32 v92, v1, v68, s9
	v_bfe_u32 v1, v83, 16, 1
	v_bfe_u32 v68, v82, 16, 1
	v_add3_u32 v68, v82, v68, s8
	v_add3_u32 v1, v83, v1, s8
	v_perm_b32 v93, v1, v68, s9
	v_lshlrev_b32_e32 v1, 3, v86
	v_lshlrev_b32_e32 v68, 5, v76
	v_lshlrev_b32_e32 v69, 11, v77
	v_pk_mul_f32 v[70:71], v[90:91], v[70:71] op_sel_hi:[0,1]
	v_or3_b32 v82, v69, v68, v1
	v_bfe_u32 v1, v71, 16, 1
	v_bfe_u32 v69, v70, 16, 1
	v_pk_mul_f32 v[84:85], v[90:91], v[84:85] op_sel_hi:[0,1]
	v_add3_u32 v69, v70, v69, s8
	v_add3_u32 v1, v71, v1, s8
	v_perm_b32 v70, v1, v69, s9
	v_bfe_u32 v1, v85, 16, 1
	v_bfe_u32 v69, v84, 16, 1
	v_add3_u32 v69, v84, v69, s8
	v_add3_u32 v1, v85, v1, s8
	v_pk_mul_f32 v[78:79], v[90:91], v[78:79] op_sel_hi:[0,1]
	v_perm_b32 v71, v1, v69, s9
	v_bfe_u32 v1, v79, 16, 1
	v_bfe_u32 v69, v78, 16, 1
	ds_write2st64_b64 v82, v[92:93], v[70:71] offset1:1
	v_pk_mul_f32 v[70:71], v[90:91], v[80:81] op_sel_hi:[0,1]
	v_add3_u32 v69, v78, v69, s8
	v_add3_u32 v1, v79, v1, s8
	v_perm_b32 v78, v1, v69, s9
	v_bfe_u32 v1, v71, 16, 1
	v_bfe_u32 v69, v70, 16, 1
	v_add3_u32 v69, v70, v69, s8
	v_add3_u32 v1, v71, v1, s8
	v_pk_mul_f32 v[70:71], v[90:91], v[72:73] op_sel_hi:[0,1]
	v_perm_b32 v79, v1, v69, s9
	v_bfe_u32 v1, v71, 16, 1
	v_bfe_u32 v69, v70, 16, 1
	v_pk_mul_f32 v[66:67], v[90:91], v[66:67] op_sel_hi:[0,1]
	v_add3_u32 v69, v70, v69, s8
	v_add3_u32 v1, v71, v1, s8
	v_perm_b32 v70, v1, v69, s9
	v_bfe_u32 v1, v67, 16, 1
	v_bfe_u32 v69, v66, 16, 1
	v_add3_u32 v66, v66, v69, s8
	v_add3_u32 v1, v67, v1, s8
	v_perm_b32 v71, v1, v66, s9
	v_cmp_gt_u32_e32 vcc, 3, v0
	ds_write2st64_b64 v82, v[78:79], v[70:71] offset0:2 offset1:3
	s_and_saveexec_b64 s[4:5], vcc
	s_cbranch_execz .LBB630_15
; %bb.14:
	s_mov_b32 s41, 0
	v_mov_b32_e32 v77, 0
	v_lshl_add_u64 v[66:67], s[40:41], 0, v[76:77]
	v_mov_b32_e32 v1, s7
	v_mad_u64_u32 v[66:67], s[10:11], s2, v1, v[66:67]
	s_mul_i32 s3, s3, s7
	v_mov_b32_e32 v70, s26
	v_mov_b32_e32 v71, v77
	s_load_dwordx4 s[12:15], s[0:1], 0x58
	v_add_u32_e32 v1, s3, v67
	v_mad_u64_u32 v[66:67], s[10:11], v66, s6, v[70:71]
	v_mov_b32_e32 v70, v67
	v_mad_u64_u32 v[70:71], s[10:11], v1, s6, v[70:71]
	v_mov_b32_e32 v67, v70
	v_lshlrev_b64 v[66:67], 2, v[66:67]
	s_waitcnt lgkmcnt(0)
	v_lshl_add_u64 v[70:71], s[14:15], 0, v[66:67]
	v_lshl_add_u64 v[66:67], s[12:13], 0, v[66:67]
	global_store_dword v[70:71], v87, off
	global_store_dword v[66:67], v88, off
.LBB630_15:
	s_or_b64 exec, exec, s[4:5]
	v_lshl_or_b32 v1, v86, 9, v68
	s_waitcnt lgkmcnt(0)
	s_barrier
	ds_read_b128 v[70:73], v1
	ds_read_b128 v[66:69], v1 offset:16
	s_waitcnt vmcnt(15) lgkmcnt(1)
	v_mfma_f32_16x16x16_bf16 v[78:81], v[30:31], v[70:71], 0
	v_cmp_gt_u32_e32 vcc, 64, v0
	v_cmp_ne_u32_e64 s[4:5], 3, v86
	s_mov_b32 s3, 0
	v_mfma_f32_16x16x16_bf16 v[30:33], v[32:33], v[72:73], v[78:81]
	s_and_b64 s[4:5], vcc, s[4:5]
	s_waitcnt vmcnt(14) lgkmcnt(0)
	v_mfma_f32_16x16x16_bf16 v[30:33], v[26:27], v[66:67], v[30:33]
	v_mfma_f32_16x16x16_bf16 v[26:29], v[28:29], v[68:69], v[30:33]
	s_nop 5
	ds_read_b128 v[30:33], v1 offset:2048
	ds_read_b128 v[78:81], v1 offset:2064
	s_waitcnt vmcnt(13) lgkmcnt(1)
	v_mfma_f32_16x16x16_bf16 v[26:29], v[22:23], v[30:31], v[26:29]
	v_mfma_f32_16x16x16_bf16 v[22:25], v[24:25], v[32:33], v[26:29]
	s_waitcnt vmcnt(12) lgkmcnt(0)
	v_mfma_f32_16x16x16_bf16 v[22:25], v[18:19], v[78:79], v[22:25]
	v_mfma_f32_16x16x16_bf16 v[18:21], v[20:21], v[80:81], v[22:25]
	s_nop 5
	ds_read_b128 v[22:25], v1 offset:4096
	ds_read_b128 v[26:29], v1 offset:4112
	s_waitcnt vmcnt(11) lgkmcnt(1)
	v_mfma_f32_16x16x16_bf16 v[18:21], v[14:15], v[22:23], v[18:21]
	v_mfma_f32_16x16x16_bf16 v[14:17], v[16:17], v[24:25], v[18:21]
	s_waitcnt vmcnt(10) lgkmcnt(0)
	v_mfma_f32_16x16x16_bf16 v[14:17], v[10:11], v[26:27], v[14:17]
	v_mfma_f32_16x16x16_bf16 v[10:13], v[12:13], v[28:29], v[14:17]
	s_nop 5
	ds_read_b128 v[14:17], v1 offset:6144
	ds_read_b128 v[18:21], v1 offset:6160
	s_waitcnt lgkmcnt(0)
	s_barrier
	s_waitcnt vmcnt(9)
	v_mfma_f32_16x16x16_bf16 v[10:13], v[6:7], v[14:15], v[10:13]
	v_mfma_f32_16x16x16_bf16 v[6:9], v[8:9], v[16:17], v[10:13]
	s_waitcnt vmcnt(8)
	v_mfma_f32_16x16x16_bf16 v[6:9], v[2:3], v[18:19], v[6:9]
	v_mfma_f32_16x16x16_bf16 v[2:5], v[4:5], v[20:21], v[6:9]
	s_waitcnt vmcnt(7)
	v_mfma_f32_16x16x16_bf16 v[6:9], v[46:47], v[70:71], 0
	v_mfma_f32_16x16x16_bf16 v[6:9], v[48:49], v[72:73], v[6:9]
	s_nop 3
	v_bfe_u32 v1, v3, 16, 1
	v_bfe_u32 v10, v2, 16, 1
	v_add3_u32 v2, v2, v10, s8
	s_waitcnt vmcnt(6)
	v_mfma_f32_16x16x16_bf16 v[6:9], v[38:39], v[66:67], v[6:9]
	v_add3_u32 v1, v3, v1, s8
	v_perm_b32 v10, v1, v2, s9
	v_bfe_u32 v1, v5, 16, 1
	v_mfma_f32_16x16x16_bf16 v[6:9], v[40:41], v[68:69], v[6:9]
	v_bfe_u32 v2, v4, 16, 1
	v_add3_u32 v2, v4, v2, s8
	v_add3_u32 v1, v5, v1, s8
	s_waitcnt vmcnt(5)
	v_mfma_f32_16x16x16_bf16 v[6:9], v[42:43], v[30:31], v[6:9]
	v_perm_b32 v11, v1, v2, s9
	v_mfma_f32_16x16x16_bf16 v[6:9], v[44:45], v[32:33], v[6:9]
	s_waitcnt vmcnt(4)
	v_mfma_f32_16x16x16_bf16 v[6:9], v[34:35], v[78:79], v[6:9]
	v_mfma_f32_16x16x16_bf16 v[6:9], v[36:37], v[80:81], v[6:9]
	s_waitcnt vmcnt(3)
	v_mfma_f32_16x16x16_bf16 v[6:9], v[58:59], v[22:23], v[6:9]
	;; [unrolled: 3-line block ×5, first 2 shown]
	v_mfma_f32_16x16x16_bf16 v[2:5], v[52:53], v[20:21], v[6:9]
	s_nop 6
	v_bfe_u32 v1, v3, 16, 1
	v_bfe_u32 v6, v2, 16, 1
	v_add3_u32 v2, v2, v6, s8
	v_add3_u32 v1, v3, v1, s8
	v_perm_b32 v2, v1, v2, s9
	v_bfe_u32 v1, v5, 16, 1
	v_bfe_u32 v3, v4, 16, 1
	v_add3_u32 v3, v4, v3, s8
	v_add3_u32 v1, v5, v1, s8
	v_perm_b32 v3, v1, v3, s9
	ds_write2st64_b64 v82, v[10:11], v[2:3] offset1:1
	s_waitcnt lgkmcnt(0)
	s_barrier
	s_and_saveexec_b64 s[8:9], s[4:5]
	s_cbranch_execz .LBB630_17
; %bb.16:
	v_lshlrev_b32_e32 v3, 6, v76
	v_lshlrev_b32_e32 v2, 4, v0
	v_lshl_or_b32 v0, v0, 10, v3
	v_lshlrev_b32_e32 v1, 5, v86
	v_and_b32_e32 v2, 16, v2
	v_and_b32_e32 v0, 0x1a00, v0
	v_or3_b32 v0, v0, v1, v2
	ds_read_b128 v[2:5], v0
	scratch_load_dword v0, off, off offset:8 ; 4-byte Folded Reload
	scratch_load_dwordx2 v[6:7], off, off   ; 8-byte Folded Reload
	s_load_dwordx2 s[0:1], s[0:1], 0x68
	s_mul_i32 s2, s7, s2
	s_lshl_b32 s6, s6, 7
	s_mul_hi_u32 s5, s2, s6
	s_mul_i32 s4, s2, s6
	s_lshl_b64 s[4:5], s[4:5], 1
	s_waitcnt lgkmcnt(0)
	s_add_u32 s4, s0, s4
	s_addc_u32 s5, s1, s5
	s_lshl_b32 s2, s26, 7
	s_lshl_b64 s[0:1], s[2:3], 1
	s_add_u32 s0, s4, s0
	s_addc_u32 s1, s5, s1
	s_waitcnt vmcnt(0)
	v_mov_b32_e32 v7, 0
	v_mad_u64_u32 v[0:1], s[2:3], s6, v0, 0
	v_lshl_add_u64 v[0:1], v[0:1], 1, s[0:1]
	v_lshl_add_u64 v[0:1], v[0:1], 0, v[6:7]
	global_store_dwordx4 v[0:1], v[2:5], off
.LBB630_17:
	s_endpgm
	.section	.rodata,"a",@progbits
	.p2align	6, 0x0
	.amdhsa_kernel _Z39paged_attention_ll4mi_QKV_mfma16_kernelI14__hip_bfloat16S0_LN4vllm18Fp8KVCacheDataTypeE0EhLi16ELi128ELi256ELb0ELi3EEvPKT_PKT0_S8_ifPKiSA_SA_iPKfiiiPfSD_PS3_PT2_iSC_SC_
		.amdhsa_group_segment_fixed_size 8192
		.amdhsa_private_segment_fixed_size 16
		.amdhsa_kernarg_size 400
		.amdhsa_user_sgpr_count 2
		.amdhsa_user_sgpr_dispatch_ptr 0
		.amdhsa_user_sgpr_queue_ptr 0
		.amdhsa_user_sgpr_kernarg_segment_ptr 1
		.amdhsa_user_sgpr_dispatch_id 0
		.amdhsa_user_sgpr_kernarg_preload_length 0
		.amdhsa_user_sgpr_kernarg_preload_offset 0
		.amdhsa_user_sgpr_private_segment_size 0
		.amdhsa_uses_dynamic_stack 0
		.amdhsa_enable_private_segment 1
		.amdhsa_system_sgpr_workgroup_id_x 1
		.amdhsa_system_sgpr_workgroup_id_y 1
		.amdhsa_system_sgpr_workgroup_id_z 1
		.amdhsa_system_sgpr_workgroup_info 0
		.amdhsa_system_vgpr_workitem_id 0
		.amdhsa_next_free_vgpr 96
		.amdhsa_next_free_sgpr 42
		.amdhsa_accum_offset 96
		.amdhsa_reserve_vcc 1
		.amdhsa_float_round_mode_32 0
		.amdhsa_float_round_mode_16_64 0
		.amdhsa_float_denorm_mode_32 3
		.amdhsa_float_denorm_mode_16_64 3
		.amdhsa_dx10_clamp 1
		.amdhsa_ieee_mode 1
		.amdhsa_fp16_overflow 0
		.amdhsa_tg_split 0
		.amdhsa_exception_fp_ieee_invalid_op 0
		.amdhsa_exception_fp_denorm_src 0
		.amdhsa_exception_fp_ieee_div_zero 0
		.amdhsa_exception_fp_ieee_overflow 0
		.amdhsa_exception_fp_ieee_underflow 0
		.amdhsa_exception_fp_ieee_inexact 0
		.amdhsa_exception_int_div_zero 0
	.end_amdhsa_kernel
	.section	.text._Z39paged_attention_ll4mi_QKV_mfma16_kernelI14__hip_bfloat16S0_LN4vllm18Fp8KVCacheDataTypeE0EhLi16ELi128ELi256ELb0ELi3EEvPKT_PKT0_S8_ifPKiSA_SA_iPKfiiiPfSD_PS3_PT2_iSC_SC_,"axG",@progbits,_Z39paged_attention_ll4mi_QKV_mfma16_kernelI14__hip_bfloat16S0_LN4vllm18Fp8KVCacheDataTypeE0EhLi16ELi128ELi256ELb0ELi3EEvPKT_PKT0_S8_ifPKiSA_SA_iPKfiiiPfSD_PS3_PT2_iSC_SC_,comdat
.Lfunc_end630:
	.size	_Z39paged_attention_ll4mi_QKV_mfma16_kernelI14__hip_bfloat16S0_LN4vllm18Fp8KVCacheDataTypeE0EhLi16ELi128ELi256ELb0ELi3EEvPKT_PKT0_S8_ifPKiSA_SA_iPKfiiiPfSD_PS3_PT2_iSC_SC_, .Lfunc_end630-_Z39paged_attention_ll4mi_QKV_mfma16_kernelI14__hip_bfloat16S0_LN4vllm18Fp8KVCacheDataTypeE0EhLi16ELi128ELi256ELb0ELi3EEvPKT_PKT0_S8_ifPKiSA_SA_iPKfiiiPfSD_PS3_PT2_iSC_SC_
                                        ; -- End function
	.section	.AMDGPU.csdata,"",@progbits
; Kernel info:
; codeLenInByte = 4720
; NumSgprs: 48
; NumVgprs: 96
; NumAgprs: 0
; TotalNumVgprs: 96
; ScratchSize: 16
; MemoryBound: 0
; FloatMode: 240
; IeeeMode: 1
; LDSByteSize: 8192 bytes/workgroup (compile time only)
; SGPRBlocks: 5
; VGPRBlocks: 11
; NumSGPRsForWavesPerEU: 48
; NumVGPRsForWavesPerEU: 96
; AccumOffset: 96
; Occupancy: 5
; WaveLimiterHint : 1
; COMPUTE_PGM_RSRC2:SCRATCH_EN: 1
; COMPUTE_PGM_RSRC2:USER_SGPR: 2
; COMPUTE_PGM_RSRC2:TRAP_HANDLER: 0
; COMPUTE_PGM_RSRC2:TGID_X_EN: 1
; COMPUTE_PGM_RSRC2:TGID_Y_EN: 1
; COMPUTE_PGM_RSRC2:TGID_Z_EN: 1
; COMPUTE_PGM_RSRC2:TIDIG_COMP_CNT: 0
; COMPUTE_PGM_RSRC3_GFX90A:ACCUM_OFFSET: 23
; COMPUTE_PGM_RSRC3_GFX90A:TG_SPLIT: 0
	.section	.text._Z39paged_attention_ll4mi_QKV_mfma16_kernelI14__hip_bfloat16S0_LN4vllm18Fp8KVCacheDataTypeE0EhLi16ELi128ELi256ELb0ELi4EEvPKT_PKT0_S8_ifPKiSA_SA_iPKfiiiPfSD_PS3_PT2_iSC_SC_,"axG",@progbits,_Z39paged_attention_ll4mi_QKV_mfma16_kernelI14__hip_bfloat16S0_LN4vllm18Fp8KVCacheDataTypeE0EhLi16ELi128ELi256ELb0ELi4EEvPKT_PKT0_S8_ifPKiSA_SA_iPKfiiiPfSD_PS3_PT2_iSC_SC_,comdat
	.protected	_Z39paged_attention_ll4mi_QKV_mfma16_kernelI14__hip_bfloat16S0_LN4vllm18Fp8KVCacheDataTypeE0EhLi16ELi128ELi256ELb0ELi4EEvPKT_PKT0_S8_ifPKiSA_SA_iPKfiiiPfSD_PS3_PT2_iSC_SC_ ; -- Begin function _Z39paged_attention_ll4mi_QKV_mfma16_kernelI14__hip_bfloat16S0_LN4vllm18Fp8KVCacheDataTypeE0EhLi16ELi128ELi256ELb0ELi4EEvPKT_PKT0_S8_ifPKiSA_SA_iPKfiiiPfSD_PS3_PT2_iSC_SC_
	.globl	_Z39paged_attention_ll4mi_QKV_mfma16_kernelI14__hip_bfloat16S0_LN4vllm18Fp8KVCacheDataTypeE0EhLi16ELi128ELi256ELb0ELi4EEvPKT_PKT0_S8_ifPKiSA_SA_iPKfiiiPfSD_PS3_PT2_iSC_SC_
	.p2align	8
	.type	_Z39paged_attention_ll4mi_QKV_mfma16_kernelI14__hip_bfloat16S0_LN4vllm18Fp8KVCacheDataTypeE0EhLi16ELi128ELi256ELb0ELi4EEvPKT_PKT0_S8_ifPKiSA_SA_iPKfiiiPfSD_PS3_PT2_iSC_SC_,@function
_Z39paged_attention_ll4mi_QKV_mfma16_kernelI14__hip_bfloat16S0_LN4vllm18Fp8KVCacheDataTypeE0EhLi16ELi128ELi256ELb0ELi4EEvPKT_PKT0_S8_ifPKiSA_SA_iPKfiiiPfSD_PS3_PT2_iSC_SC_: ; @_Z39paged_attention_ll4mi_QKV_mfma16_kernelI14__hip_bfloat16S0_LN4vllm18Fp8KVCacheDataTypeE0EhLi16ELi128ELi256ELb0ELi4EEvPKT_PKT0_S8_ifPKiSA_SA_iPKfiiiPfSD_PS3_PT2_iSC_SC_
; %bb.0:
	s_load_dwordx2 s[8:9], s[0:1], 0x30
	s_mov_b32 s28, s3
	s_mov_b64 s[6:7], 0
	s_waitcnt lgkmcnt(0)
	s_cmp_lg_u64 s[8:9], 0
	s_cselect_b64 s[10:11], -1, 0
	s_and_b64 vcc, exec, s[10:11]
	s_cbranch_vccz .LBB631_7
; %bb.1:
	s_add_i32 s12, s2, 1
	s_mov_b32 s13, 0
	s_lshl_b64 s[14:15], s[12:13], 2
	s_add_u32 s14, s8, s14
	s_mov_b32 s3, s13
	s_addc_u32 s15, s9, s15
	s_lshl_b64 s[12:13], s[2:3], 2
	s_add_u32 s12, s8, s12
	s_addc_u32 s13, s9, s13
	s_load_dword s5, s[14:15], 0x0
	s_load_dword s16, s[12:13], 0x0
	s_waitcnt lgkmcnt(0)
	s_sub_i32 s5, s5, s16
	s_cmp_eq_u32 s5, 1
	s_cselect_b64 s[12:13], -1, 0
	s_andn2_b64 vcc, exec, s[6:7]
	s_cbranch_vccnz .LBB631_3
.LBB631_2:
	s_mov_b32 s3, 0
	s_mov_b64 s[12:13], -1
.LBB631_3:
	s_andn2_b64 vcc, exec, s[12:13]
	s_cbranch_vccnz .LBB631_17
; %bb.4:
	s_load_dwordx2 s[6:7], s[0:1], 0x28
	s_lshl_b64 s[16:17], s[2:3], 2
	s_waitcnt lgkmcnt(0)
	s_add_u32 s6, s6, s16
	s_addc_u32 s7, s7, s17
	s_load_dword s40, s[6:7], 0x0
	s_lshl_b32 s18, s28, 8
	s_waitcnt lgkmcnt(0)
	s_cmp_ge_i32 s18, s40
	s_cbranch_scc1 .LBB631_17
; %bb.5:
	s_load_dwordx2 s[6:7], s[0:1], 0x20
	s_load_dword s5, s[0:1], 0x38
	s_add_i32 s12, s40, 15
	s_ashr_i32 s13, s12, 31
	v_and_b32_e32 v1, 0xcf, v0
	s_lshr_b32 s13, s13, 28
	v_add_u32_e32 v1, s18, v1
	s_add_i32 s12, s12, s13
	v_ashrrev_i32_e32 v2, 31, v1
	s_ashr_i32 s19, s12, 4
	v_lshrrev_b32_e32 v4, 28, v2
	s_add_i32 s19, s19, -1
	s_waitcnt lgkmcnt(0)
	s_mul_i32 s12, s2, s5
	s_mov_b32 s13, 0
	v_add_u32_e32 v2, v1, v4
	s_lshl_b64 s[12:13], s[12:13], 2
	v_ashrrev_i32_e32 v2, 4, v2
	v_mov_b32_e32 v5, s19
	v_cmp_gt_i32_e32 vcc, s40, v1
	s_add_u32 s6, s6, s12
	s_addc_u32 s7, s7, s13
	v_cndmask_b32_e32 v2, v5, v2, vcc
	v_ashrrev_i32_e32 v3, 31, v2
	v_lshl_add_u64 v[6:7], v[2:3], 2, s[6:7]
	v_or_b32_e32 v2, 16, v1
	v_add_u32_e32 v3, v2, v4
	v_ashrrev_i32_e32 v3, 4, v3
	v_cmp_gt_i32_e32 vcc, s40, v2
	s_load_dwordx4 s[12:15], s[0:1], 0x8
	s_nop 0
	v_cndmask_b32_e32 v2, v5, v3, vcc
	v_ashrrev_i32_e32 v3, 31, v2
	v_lshl_add_u64 v[8:9], v[2:3], 2, s[6:7]
	v_or_b32_e32 v2, 32, v1
	v_add_u32_e32 v3, v2, v4
	v_ashrrev_i32_e32 v3, 4, v3
	v_cmp_gt_i32_e32 vcc, s40, v2
	v_or_b32_e32 v1, 48, v1
	s_nop 0
	v_cndmask_b32_e32 v2, v5, v3, vcc
	v_ashrrev_i32_e32 v3, 31, v2
	v_lshl_add_u64 v[10:11], v[2:3], 2, s[6:7]
	v_add_u32_e32 v2, v1, v4
	v_ashrrev_i32_e32 v2, 4, v2
	v_cmp_gt_i32_e32 vcc, s40, v1
	s_nop 1
	v_cndmask_b32_e32 v2, v5, v2, vcc
	v_ashrrev_i32_e32 v3, 31, v2
	v_lshl_add_u64 v[12:13], v[2:3], 2, s[6:7]
	global_load_dword v5, v[6:7], off
	global_load_dword v4, v[8:9], off
	;; [unrolled: 1-line block ×4, first 2 shown]
	s_andn2_b64 vcc, exec, s[10:11]
	s_cbranch_vccnz .LBB631_8
; %bb.6:
	s_add_u32 s8, s8, s16
	s_addc_u32 s9, s9, s17
	s_load_dword s5, s[8:9], 0x0
	s_branch .LBB631_9
.LBB631_7:
	s_mov_b64 s[12:13], 0
	s_branch .LBB631_2
.LBB631_8:
	s_mov_b32 s5, s2
.LBB631_9:
	s_load_dwordx4 s[8:11], s[0:1], 0x48
	v_and_b32_e32 v94, 15, v0
	v_bfe_u32 v1, v0, 4, 2
	s_lshl_b32 s29, s4, 2
	v_lshlrev_b32_e32 v6, 3, v94
	v_or_b32_e32 v3, s29, v1
	v_lshlrev_b32_e32 v6, 1, v6
	v_lshrrev_b32_e32 v74, 6, v0
	v_and_b32_e32 v88, 63, v0
	scratch_store_dword off, v3, off offset:8 ; 4-byte Folded Spill
	v_and_b32_e32 v3, 3, v0
	v_cmp_gt_u32_e64 s[30:31], 64, v0
	scratch_store_dwordx2 off, v[6:7], off  ; 8-byte Folded Spill
	v_lshlrev_b32_e32 v6, 5, v1
	scratch_store_dword off, v6, off offset:12 ; 4-byte Folded Spill
	s_and_saveexec_b64 s[16:17], s[30:31]
	s_cbranch_execz .LBB631_11
; %bb.10:
	scratch_load_dword v6, off, off offset:8 ; 4-byte Folded Reload
	scratch_load_dwordx2 v[8:9], off, off   ; 8-byte Folded Reload
	s_load_dwordx2 s[20:21], s[0:1], 0x0
	s_waitcnt lgkmcnt(0)
	s_ashr_i32 s11, s8, 31
	s_mul_hi_u32 s22, s5, s8
	s_mul_i32 s11, s5, s11
	s_add_i32 s23, s22, s11
	s_mul_i32 s22, s5, s8
	s_lshl_b64 s[22:23], s[22:23], 1
	s_add_u32 s20, s20, s22
	s_addc_u32 s21, s21, s23
	v_mov_b32_e32 v11, 0
	v_lshlrev_b32_e32 v12, 9, v94
	v_and_b32_e32 v12, 0x1800, v12
	s_waitcnt vmcnt(1)
	v_lshlrev_b32_e32 v6, 7, v6
	v_ashrrev_i32_e32 v7, 31, v6
	v_lshl_add_u64 v[6:7], v[6:7], 1, s[20:21]
	s_waitcnt vmcnt(0)
	v_mov_b32_e32 v10, v8
	v_lshl_add_u64 v[6:7], v[6:7], 0, v[10:11]
	scratch_store_dwordx2 off, v[8:9], off  ; 8-byte Folded Spill
	global_load_dwordx4 v[6:9], v[6:7], off
	v_lshlrev_b32_e32 v10, 5, v1
	v_lshl_or_b32 v10, v74, 7, v10
	v_lshlrev_b32_e32 v11, 9, v3
	v_or3_b32 v10, v12, v11, v10
	s_waitcnt vmcnt(0)
	ds_write_b128 v10, v[6:9]
.LBB631_11:
	s_or_b64 exec, exec, s[16:17]
	s_waitcnt lgkmcnt(0)
	s_mul_i32 s4, s4, s10
	s_mov_b32 s5, 0
	s_lshl_b64 s[4:5], s[4:5], 1
	s_add_u32 s10, s12, s4
	v_lshlrev_b32_e32 v8, 4, v0
	s_addc_u32 s11, s13, s5
	v_and_b32_e32 v38, 0xf0, v8
	v_mov_b32_e32 v39, 0
	v_lshl_add_u64 v[30:31], s[10:11], 0, v[38:39]
	s_waitcnt vmcnt(6)
	v_mad_i64_i32 v[6:7], s[10:11], v5, s9, 0
	v_lshl_add_u64 v[6:7], v[6:7], 1, v[30:31]
	v_and_b32_e32 v38, 0x300, v8
	v_lshl_add_u64 v[32:33], v[6:7], 0, v[38:39]
	s_load_dword s33, s[0:1], 0x98
	s_load_dword s8, s[0:1], 0x1c
	s_waitcnt lgkmcnt(0)
	s_barrier
	global_load_dwordx4 v[10:13], v[32:33], off
	global_load_dwordx4 v[22:25], v[32:33], off offset:1024
	s_waitcnt vmcnt(7)
	v_mad_i64_i32 v[4:5], s[10:11], v4, s9, 0
	v_lshl_add_u64 v[4:5], v[4:5], 1, v[30:31]
	v_lshl_add_u64 v[40:41], v[4:5], 0, v[38:39]
	s_waitcnt vmcnt(6)
	v_mad_i64_i32 v[4:5], s[10:11], v2, s9, 0
	v_lshl_add_u64 v[4:5], v[4:5], 1, v[30:31]
	v_lshl_add_u64 v[42:43], v[4:5], 0, v[38:39]
	global_load_dwordx4 v[14:17], v[40:41], off
	global_load_dwordx4 v[18:21], v[40:41], off offset:1024
	global_load_dwordx4 v[26:29], v[42:43], off
	global_load_dwordx4 v[64:67], v[40:41], off offset:2048
	global_load_dwordx4 v[48:51], v[42:43], off offset:1024
	v_lshlrev_b32_e32 v2, 5, v3
	v_lshl_or_b32 v35, v1, 9, v2
	ds_read_b128 v[6:9], v35
	ds_read_b128 v[2:5], v35 offset:2048
	global_load_dwordx4 v[56:59], v[32:33], off offset:2048
	v_and_or_b32 v68, v0, 48, s18
	v_mov_b32_e32 v72, s19
	v_cmp_gt_i32_e32 vcc, s40, v68
	v_or_b32_e32 v73, 64, v68
	v_or_b32_e32 v80, 0x80, v68
	;; [unrolled: 1-line block ×3, first 2 shown]
	v_lshl_or_b32 v89, v74, 4, v94
	s_add_u32 s4, s14, s4
	s_addc_u32 s5, s15, s5
	s_mov_b32 s42, 0xff7fffff
	s_waitcnt vmcnt(7) lgkmcnt(1)
	v_mfma_f32_16x16x16_bf16 v[44:47], v[10:11], v[6:7], 0
	v_mfma_f32_16x16x16_bf16 v[10:13], v[12:13], v[8:9], v[44:47]
	s_nop 5
	global_load_dwordx4 v[44:47], v[42:43], off offset:2048
	s_waitcnt vmcnt(6)
	v_mfma_f32_16x16x16_bf16 v[52:55], v[14:15], v[6:7], 0
	s_waitcnt vmcnt(4)
	v_mfma_f32_16x16x16_bf16 v[60:63], v[26:27], v[6:7], 0
	v_mfma_f32_16x16x16_bf16 v[14:17], v[16:17], v[8:9], v[52:55]
	s_nop 3
	global_load_dwordx4 v[52:55], v[32:33], off offset:3072
	v_mfma_f32_16x16x16_bf16 v[26:29], v[28:29], v[8:9], v[60:63]
	v_mad_i64_i32 v[32:33], s[10:11], v34, s9, 0
	s_nop 1
	ds_read_b128 v[60:63], v35 offset:4096
	ds_read_b128 v[34:37], v35 offset:6144
	s_waitcnt lgkmcnt(2)
	v_mfma_f32_16x16x16_bf16 v[10:13], v[22:23], v[2:3], v[10:13]
	v_ashrrev_i32_e32 v22, 4, v68
	global_load_dwordx4 v[68:71], v[40:41], off offset:3072
	v_mfma_f32_16x16x16_bf16 v[14:17], v[18:19], v[2:3], v[14:17]
	v_cndmask_b32_e32 v18, v72, v22, vcc
	v_ashrrev_i32_e32 v19, 31, v18
	v_cmp_gt_i32_e32 vcc, s40, v73
	s_waitcnt vmcnt(4)
	v_mfma_f32_16x16x16_bf16 v[26:29], v[48:49], v[2:3], v[26:29]
	v_ashrrev_i32_e32 v48, 4, v80
	v_lshl_add_u64 v[18:19], v[18:19], 2, s[6:7]
	v_mfma_f32_16x16x16_bf16 v[10:13], v[24:25], v[4:5], v[10:13]
	global_load_dwordx4 v[22:25], v[42:43], off offset:3072
	v_ashrrev_i32_e32 v40, 4, v73
	v_cndmask_b32_e32 v40, v72, v40, vcc
	v_cmp_gt_i32_e32 vcc, s40, v80
	v_mfma_f32_16x16x16_bf16 v[14:17], v[20:21], v[4:5], v[14:17]
	global_load_dword v42, v[18:19], off
	v_ashrrev_i32_e32 v41, 31, v40
	v_mfma_f32_16x16x16_bf16 v[18:21], v[50:51], v[4:5], v[26:29]
	s_nop 2
	v_cndmask_b32_e32 v28, v72, v48, vcc
	v_ashrrev_i32_e32 v29, 31, v28
	v_lshl_add_u64 v[26:27], v[40:41], 2, s[6:7]
	v_lshl_add_u64 v[28:29], v[28:29], 2, s[6:7]
	global_load_dword v43, v[26:27], off
	global_load_dword v50, v[28:29], off
	v_lshl_add_u64 v[26:27], v[32:33], 1, v[30:31]
	v_lshl_add_u64 v[26:27], v[26:27], 0, v[38:39]
	global_load_dwordx4 v[76:79], v[26:27], off
	s_waitcnt vmcnt(8) lgkmcnt(1)
	v_mfma_f32_16x16x16_bf16 v[10:13], v[56:57], v[60:61], v[10:13]
	v_ashrrev_i32_e32 v40, 4, v81
	v_cmp_gt_i32_e32 vcc, s40, v81
	v_lshlrev_b32_e32 v38, 5, v89
	v_mfma_f32_16x16x16_bf16 v[10:13], v[58:59], v[62:63], v[10:13]
	global_load_dwordx4 v[56:59], v[26:27], off offset:1024
	v_cndmask_b32_e32 v28, v72, v40, vcc
	v_ashrrev_i32_e32 v29, 31, v28
	v_lshl_add_u64 v[28:29], v[28:29], 2, s[6:7]
	v_mfma_f32_16x16x16_bf16 v[14:17], v[64:65], v[60:61], v[14:17]
	global_load_dword v64, v[28:29], off
	v_lshl_add_u64 v[40:41], s[4:5], 0, v[38:39]
	v_or_b32_e32 v38, 0x800, v38
	v_mfma_f32_16x16x16_bf16 v[14:17], v[66:67], v[62:63], v[14:17]
	global_load_dwordx4 v[90:93], v[26:27], off offset:3072
	s_waitcnt vmcnt(10)
	v_mfma_f32_16x16x16_bf16 v[18:21], v[44:45], v[60:61], v[18:21]
	v_mfma_f32_16x16x16_bf16 v[18:21], v[46:47], v[62:63], v[18:21]
	global_load_dwordx4 v[44:47], v[26:27], off offset:2048
	s_waitcnt vmcnt(10) lgkmcnt(0)
	v_mfma_f32_16x16x16_bf16 v[10:13], v[52:53], v[34:35], v[10:13]
	s_waitcnt vmcnt(8)
	v_mfma_f32_16x16x16_bf16 v[18:21], v[22:23], v[34:35], v[18:21]
	s_waitcnt vmcnt(7)
	v_mad_i64_i32 v[22:23], s[6:7], v42, s9, 0
	v_lshlrev_b64 v[48:49], 1, v[22:23]
	v_mfma_f32_16x16x16_bf16 v[14:17], v[68:69], v[34:35], v[14:17]
	v_mfma_f32_16x16x16_bf16 v[66:69], v[54:55], v[36:37], v[10:13]
	s_waitcnt vmcnt(6)
	s_nop 1
	v_mad_i64_i32 v[10:11], s[6:7], v43, s9, 0
	v_lshlrev_b64 v[42:43], 1, v[10:11]
	v_lshl_add_u64 v[12:13], v[40:41], 0, v[48:49]
	v_lshl_add_u64 v[10:11], v[40:41], 0, v[42:43]
	global_load_dwordx4 v[30:33], v[12:13], off
	global_load_dwordx4 v[26:29], v[12:13], off offset:16
	v_mfma_f32_16x16x16_bf16 v[84:87], v[24:25], v[36:37], v[18:21]
	global_load_dwordx4 v[22:25], v[10:11], off
	s_nop 1
	global_load_dwordx4 v[18:21], v[10:11], off offset:16
	v_pk_mul_f32 v[80:81], s[8:9], v[68:69] op_sel_hi:[0,1]
	s_waitcnt vmcnt(8)
	v_mfma_f32_16x16x16_bf16 v[10:13], v[76:77], v[6:7], 0
	v_mad_i64_i32 v[6:7], s[6:7], v50, s9, 0
	v_lshlrev_b64 v[50:51], 1, v[6:7]
	v_mfma_f32_16x16x16_bf16 v[6:9], v[78:79], v[8:9], v[10:13]
	v_pk_mul_f32 v[76:77], s[8:9], v[84:85] op_sel_hi:[0,1]
	v_pk_mul_f32 v[78:79], s[8:9], v[86:87] op_sel_hi:[0,1]
	s_waitcnt vmcnt(7)
	v_mfma_f32_16x16x16_bf16 v[6:9], v[56:57], v[2:3], v[6:9]
	s_waitcnt vmcnt(6)
	v_mad_i64_i32 v[2:3], s[6:7], v64, s9, 0
	v_lshlrev_b64 v[52:53], 1, v[2:3]
	v_mfma_f32_16x16x16_bf16 v[54:57], v[58:59], v[4:5], v[6:9]
	v_lshl_add_u64 v[10:11], v[40:41], 0, v[50:51]
	v_lshl_add_u64 v[2:3], v[40:41], 0, v[52:53]
	;; [unrolled: 1-line block ×3, first 2 shown]
	v_mfma_f32_16x16x16_bf16 v[70:73], v[70:71], v[36:37], v[14:17]
	v_lshl_add_u64 v[50:51], v[64:65], 0, v[50:51]
	s_nop 1
	global_load_dwordx4 v[14:17], v[10:11], off
	s_nop 0
	global_load_dwordx4 v[10:13], v[10:11], off offset:16
	s_nop 0
	global_load_dwordx4 v[6:9], v[2:3], off
	s_nop 0
	global_load_dwordx4 v[2:5], v[2:3], off offset:16
	s_waitcnt vmcnt(8)
	v_mfma_f32_16x16x16_bf16 v[54:57], v[44:45], v[60:61], v[54:57]
	v_pk_mul_f32 v[82:83], s[8:9], v[72:73] op_sel_hi:[0,1]
	v_pk_mul_f32 v[70:71], s[8:9], v[70:71] op_sel_hi:[0,1]
	v_lshl_add_u64 v[44:45], v[64:65], 0, v[48:49]
	v_mfma_f32_16x16x16_bf16 v[38:41], v[46:47], v[62:63], v[54:57]
	v_pk_mul_f32 v[62:63], s[8:9], v[66:67] op_sel_hi:[0,1]
	v_mfma_f32_16x16x16_bf16 v[38:41], v[90:91], v[34:35], v[38:41]
	v_mfma_f32_16x16x16_bf16 v[34:37], v[92:93], v[36:37], v[38:41]
	s_nop 6
	v_pk_mul_f32 v[72:73], s[8:9], v[34:35] op_sel_hi:[0,1]
	v_and_b32_e32 v34, 0xc0, v0
	v_add_u32_e32 v34, s18, v34
	v_lshl_or_b32 v34, v1, 2, v34
	v_pk_mul_f32 v[66:67], s[8:9], v[36:37] op_sel_hi:[0,1]
	v_or_b32_e32 v37, 1, v34
	v_mov_b32_e32 v35, 0xff7fffff
	v_cmp_gt_i32_e64 s[4:5], s40, v34
	v_cmp_gt_i32_e64 s[34:35], s40, v37
	v_or_b32_e32 v38, 3, v34
	v_cndmask_b32_e64 v36, v35, v62, s[4:5]
	v_cndmask_b32_e64 v37, v35, v63, s[34:35]
	v_max3_f32 v36, v36, s42, v37
	v_or_b32_e32 v37, 2, v34
	v_cmp_gt_i32_e64 s[36:37], s40, v37
	v_cmp_gt_i32_e64 s[38:39], s40, v38
	s_nop 0
	v_cndmask_b32_e64 v37, v35, v80, s[36:37]
	v_cndmask_b32_e64 v38, v35, v81, s[38:39]
	v_max3_f32 v36, v36, v37, v38
	v_or_b32_e32 v37, 16, v34
	v_or_b32_e32 v38, 17, v34
	v_cmp_gt_i32_e64 s[24:25], s40, v37
	v_cmp_gt_i32_e64 s[26:27], s40, v38
	s_nop 0
	v_cndmask_b32_e64 v37, v35, v70, s[24:25]
	v_cndmask_b32_e64 v38, v35, v71, s[26:27]
	v_max3_f32 v36, v36, v37, v38
	v_or_b32_e32 v37, 18, v34
	;; [unrolled: 8-line block ×6, first 2 shown]
	v_or_b32_e32 v34, 51, v34
	v_cmp_gt_i32_e32 vcc, s40, v37
	v_cmp_gt_i32_e64 s[6:7], s40, v34
	global_load_dwordx4 v[46:49], v[44:45], off
	global_load_dwordx4 v[38:41], v[44:45], off offset:16
	v_cndmask_b32_e32 v37, v35, v66, vcc
	v_cndmask_b32_e64 v34, v35, v67, s[6:7]
	v_max3_f32 v54, v36, v37, v34
	v_mbcnt_lo_u32_b32 v34, -1, 0
	v_mbcnt_hi_u32_b32 v55, -1, v34
	v_and_b32_e32 v34, 64, v55
	v_add_u32_e32 v56, 64, v34
	v_xor_b32_e32 v34, 32, v55
	v_cmp_lt_i32_e64 s[40:41], v34, v56
	s_nop 1
	v_cndmask_b32_e64 v34, v55, v34, s[40:41]
	v_lshlrev_b32_e32 v84, 2, v34
	ds_bpermute_b32 v57, v84, v54
	v_lshl_add_u64 v[34:35], v[64:65], 0, v[42:43]
	global_load_dwordx4 v[42:45], v[34:35], off
	s_nop 0
	global_load_dwordx4 v[34:37], v[34:35], off offset:16
	s_waitcnt lgkmcnt(0)
	v_max_f32_e32 v57, v57, v57
	v_max_f32_e32 v68, v54, v57
	v_xor_b32_e32 v54, 16, v55
	v_cmp_lt_i32_e64 s[40:41], v54, v56
	s_nop 1
	v_cndmask_b32_e64 v54, v55, v54, s[40:41]
	v_lshlrev_b32_e32 v85, 2, v54
	ds_bpermute_b32 v69, v85, v68
	global_load_dwordx4 v[58:61], v[50:51], off
	global_load_dwordx4 v[54:57], v[50:51], off offset:16
	v_lshl_add_u64 v[50:51], v[64:65], 0, v[52:53]
	s_waitcnt lgkmcnt(0)
	v_max_f32_e32 v52, v69, v69
	v_max_f32_e32 v90, v68, v52
	v_sub_f32_e32 v52, v62, v90
	v_mul_f32_e32 v52, 0x3fb8aa3b, v52
	v_exp_f32_e32 v68, v52
	v_sub_f32_e32 v52, v63, v90
	v_mul_f32_e32 v52, 0x3fb8aa3b, v52
	v_exp_f32_e32 v69, v52
	global_load_dwordx4 v[62:65], v[50:51], off
	s_nop 0
	global_load_dwordx4 v[50:53], v[50:51], off offset:16
	v_sub_f32_e32 v80, v80, v90
	v_mul_f32_e32 v80, 0x3fb8aa3b, v80
	v_sub_f32_e32 v81, v81, v90
	v_exp_f32_e32 v80, v80
	v_mul_f32_e32 v81, 0x3fb8aa3b, v81
	v_sub_f32_e32 v70, v70, v90
	v_exp_f32_e32 v81, v81
	v_mul_f32_e32 v70, 0x3fb8aa3b, v70
	v_sub_f32_e32 v71, v71, v90
	v_cndmask_b32_e64 v68, 0, v68, s[4:5]
	v_exp_f32_e32 v70, v70
	v_mul_f32_e32 v71, 0x3fb8aa3b, v71
	v_sub_f32_e32 v82, v82, v90
	v_add_f32_e32 v86, 0, v68
	v_cndmask_b32_e64 v69, 0, v69, s[34:35]
	v_exp_f32_e32 v71, v71
	v_mul_f32_e32 v82, 0x3fb8aa3b, v82
	v_sub_f32_e32 v83, v83, v90
	v_add_f32_e32 v86, v86, v69
	;; [unrolled: 5-line block ×10, first 2 shown]
	v_cndmask_b32_e64 v78, 0, v78, s[12:13]
	v_exp_f32_e32 v66, v66
	v_mul_f32_e32 v67, 0x3fb8aa3b, v67
	v_add_f32_e32 v86, v86, v78
	v_cndmask_b32_e64 v79, 0, v79, s[14:15]
	v_exp_f32_e32 v67, v67
	v_add_f32_e32 v86, v86, v79
	v_cndmask_b32_e64 v72, 0, v72, s[8:9]
	v_add_f32_e32 v86, v86, v72
	v_cndmask_b32_e64 v73, 0, v73, s[10:11]
	v_add_f32_e32 v86, v86, v73
	v_cndmask_b32_e32 v66, 0, v66, vcc
	v_add_f32_e32 v86, v86, v66
	v_cndmask_b32_e64 v67, 0, v67, s[6:7]
	v_add_f32_e32 v86, v86, v67
	ds_bpermute_b32 v84, v84, v86
	v_cmp_gt_u32_e32 vcc, 16, v88
	s_waitcnt lgkmcnt(0)
	s_barrier
	v_add_f32_e32 v91, v86, v84
	ds_bpermute_b32 v92, v85, v91
	s_and_saveexec_b64 s[4:5], vcc
	s_cbranch_execz .LBB631_13
; %bb.12:
	s_waitcnt lgkmcnt(0)
	v_add_f32_e32 v84, v91, v92
	v_lshlrev_b32_e32 v85, 2, v89
	ds_write2st64_b32 v85, v90, v84 offset1:1
.LBB631_13:
	s_or_b64 exec, exec, s[4:5]
	v_lshlrev_b32_e32 v89, 2, v94
	s_load_dword s6, s[0:1], 0x94
	s_waitcnt lgkmcnt(0)
	s_barrier
	ds_read2_b32 v[84:85], v89 offset1:16
	ds_read2_b32 v[86:87], v89 offset0:32 offset1:48
	ds_read2_b32 v[90:91], v89 offset0:64 offset1:80
	s_movk_i32 s8, 0x7fff
	s_mov_b32 s9, 0x7060302
	s_waitcnt lgkmcnt(2)
	v_max3_f32 v88, v84, s42, v85
	s_waitcnt lgkmcnt(1)
	v_max3_f32 v88, v88, v86, v87
	v_sub_f32_e32 v84, v84, v88
	v_mul_f32_e32 v84, 0x3fb8aa3b, v84
	v_exp_f32_e32 v92, v84
	v_sub_f32_e32 v84, v85, v88
	v_mul_f32_e32 v84, 0x3fb8aa3b, v84
	v_exp_f32_e32 v93, v84
	;; [unrolled: 3-line block ×3, first 2 shown]
	ds_read2_b32 v[84:85], v89 offset0:96 offset1:112
	v_sub_f32_e32 v87, v87, v88
	v_mul_f32_e32 v87, 0x3fb8aa3b, v87
	v_exp_f32_e32 v87, v87
	s_waitcnt lgkmcnt(1)
	v_fma_f32 v89, v92, v90, 0
	v_fmac_f32_e32 v89, v93, v91
	s_waitcnt lgkmcnt(0)
	v_fmac_f32_e32 v89, v86, v84
	v_fmac_f32_e32 v89, v87, v85
	v_add_f32_e32 v84, 0x358637bd, v89
	v_div_scale_f32 v85, s[4:5], v84, v84, 1.0
	v_rcp_f32_e32 v90, v85
	s_barrier
	v_fma_f32 v91, -v85, v90, 1.0
	v_fmac_f32_e32 v90, v91, v90
	v_div_scale_f32 v91, vcc, 1.0, v84, 1.0
	v_mul_f32_e32 v95, v91, v90
	v_fma_f32 v75, -v85, v95, v91
	v_fmac_f32_e32 v95, v75, v90
	v_fma_f32 v75, -v85, v95, v91
	v_div_fmas_f32 v75, v75, v90, v95
	v_cmp_eq_u32_e32 vcc, 1, v74
	v_div_fixup_f32 v75, v75, v84, 1.0
	s_lshl_b32 s7, s33, 2
	v_cndmask_b32_e32 v84, v92, v93, vcc
	v_cmp_eq_u32_e32 vcc, 2, v74
	s_nop 1
	v_cndmask_b32_e32 v84, v84, v86, vcc
	v_cmp_eq_u32_e32 vcc, 3, v74
	v_lshlrev_b32_e32 v74, 11, v74
	s_nop 0
	v_cndmask_b32_e32 v84, v84, v87, vcc
	v_mul_f32_e32 v84, v84, v75
	v_pk_mul_f32 v[68:69], v[84:85], v[68:69] op_sel_hi:[0,1]
	v_pk_mul_f32 v[80:81], v[84:85], v[80:81] op_sel_hi:[0,1]
	v_bfe_u32 v75, v69, 16, 1
	v_bfe_u32 v85, v68, 16, 1
	v_add3_u32 v68, v68, v85, s8
	v_add3_u32 v69, v69, v75, s8
	v_perm_b32 v86, v69, v68, s9
	v_bfe_u32 v68, v81, 16, 1
	v_bfe_u32 v69, v80, 16, 1
	v_add3_u32 v69, v80, v69, s8
	v_add3_u32 v68, v81, v68, s8
	v_perm_b32 v87, v68, v69, s9
	v_lshlrev_b32_e32 v69, 3, v1
	v_lshlrev_b32_e32 v68, 5, v94
	v_pk_mul_f32 v[70:71], v[84:85], v[70:71] op_sel_hi:[0,1]
	v_or3_b32 v80, v74, v68, v69
	v_bfe_u32 v69, v71, 16, 1
	v_bfe_u32 v74, v70, 16, 1
	v_pk_mul_f32 v[82:83], v[84:85], v[82:83] op_sel_hi:[0,1]
	v_add3_u32 v70, v70, v74, s8
	v_add3_u32 v69, v71, v69, s8
	v_perm_b32 v70, v69, v70, s9
	v_bfe_u32 v69, v83, 16, 1
	v_bfe_u32 v71, v82, 16, 1
	v_add3_u32 v71, v82, v71, s8
	v_add3_u32 v69, v83, v69, s8
	v_pk_mul_f32 v[76:77], v[84:85], v[76:77] op_sel_hi:[0,1]
	v_perm_b32 v71, v69, v71, s9
	v_bfe_u32 v69, v77, 16, 1
	v_bfe_u32 v74, v76, 16, 1
	ds_write2st64_b64 v80, v[86:87], v[70:71] offset1:1
	v_pk_mul_f32 v[70:71], v[84:85], v[78:79] op_sel_hi:[0,1]
	v_add3_u32 v74, v76, v74, s8
	v_add3_u32 v69, v77, v69, s8
	v_perm_b32 v76, v69, v74, s9
	v_bfe_u32 v69, v71, 16, 1
	v_bfe_u32 v74, v70, 16, 1
	v_add3_u32 v70, v70, v74, s8
	v_add3_u32 v69, v71, v69, s8
	v_perm_b32 v77, v69, v70, s9
	v_pk_mul_f32 v[70:71], v[84:85], v[72:73] op_sel_hi:[0,1]
	v_bfe_u32 v69, v71, 16, 1
	v_bfe_u32 v72, v70, 16, 1
	v_pk_mul_f32 v[66:67], v[84:85], v[66:67] op_sel_hi:[0,1]
	v_add3_u32 v70, v70, v72, s8
	v_add3_u32 v69, v71, v69, s8
	v_perm_b32 v70, v69, v70, s9
	v_bfe_u32 v69, v67, 16, 1
	v_bfe_u32 v71, v66, 16, 1
	v_add3_u32 v66, v66, v71, s8
	v_add3_u32 v67, v67, v69, s8
	v_perm_b32 v71, v67, v66, s9
	v_cmp_gt_u32_e32 vcc, 4, v0
	ds_write2st64_b64 v80, v[76:77], v[70:71] offset0:2 offset1:3
	s_and_saveexec_b64 s[4:5], vcc
	s_cbranch_execz .LBB631_15
; %bb.14:
	v_or_b32_e32 v66, s29, v0
	v_mov_b32_e32 v67, 0
	v_mov_b32_e32 v69, s7
	v_mad_u64_u32 v[70:71], s[10:11], s2, v69, v[66:67]
	v_mov_b32_e32 v66, s28
	s_load_dwordx4 s[12:15], s[0:1], 0x58
	s_mul_i32 s3, s3, s7
	v_mad_u64_u32 v[66:67], s[10:11], v70, s6, v[66:67]
	v_add_u32_e32 v69, s3, v71
	v_mov_b32_e32 v70, v67
	v_mad_u64_u32 v[70:71], s[10:11], v69, s6, v[70:71]
	v_mov_b32_e32 v67, v70
	v_lshlrev_b64 v[66:67], 2, v[66:67]
	s_waitcnt lgkmcnt(0)
	v_lshl_add_u64 v[70:71], s[14:15], 0, v[66:67]
	v_lshl_add_u64 v[66:67], s[12:13], 0, v[66:67]
	global_store_dword v[70:71], v88, off
	global_store_dword v[66:67], v89, off
.LBB631_15:
	s_or_b64 exec, exec, s[4:5]
	v_lshl_or_b32 v1, v1, 9, v68
	s_waitcnt lgkmcnt(0)
	s_barrier
	ds_read_b128 v[70:73], v1
	ds_read_b128 v[66:69], v1 offset:16
	s_waitcnt vmcnt(15) lgkmcnt(1)
	v_mfma_f32_16x16x16_bf16 v[76:79], v[30:31], v[70:71], 0
	s_mov_b32 s3, 0
	v_mfma_f32_16x16x16_bf16 v[30:33], v[32:33], v[72:73], v[76:79]
	s_waitcnt vmcnt(14) lgkmcnt(0)
	v_mfma_f32_16x16x16_bf16 v[30:33], v[26:27], v[66:67], v[30:33]
	v_mfma_f32_16x16x16_bf16 v[26:29], v[28:29], v[68:69], v[30:33]
	s_nop 5
	ds_read_b128 v[30:33], v1 offset:2048
	ds_read_b128 v[76:79], v1 offset:2064
	s_waitcnt vmcnt(13) lgkmcnt(1)
	v_mfma_f32_16x16x16_bf16 v[26:29], v[22:23], v[30:31], v[26:29]
	v_mfma_f32_16x16x16_bf16 v[22:25], v[24:25], v[32:33], v[26:29]
	s_waitcnt vmcnt(12) lgkmcnt(0)
	v_mfma_f32_16x16x16_bf16 v[22:25], v[18:19], v[76:77], v[22:25]
	v_mfma_f32_16x16x16_bf16 v[18:21], v[20:21], v[78:79], v[22:25]
	s_nop 5
	ds_read_b128 v[22:25], v1 offset:4096
	ds_read_b128 v[26:29], v1 offset:4112
	s_waitcnt vmcnt(11) lgkmcnt(1)
	v_mfma_f32_16x16x16_bf16 v[18:21], v[14:15], v[22:23], v[18:21]
	v_mfma_f32_16x16x16_bf16 v[14:17], v[16:17], v[24:25], v[18:21]
	s_waitcnt vmcnt(10) lgkmcnt(0)
	v_mfma_f32_16x16x16_bf16 v[14:17], v[10:11], v[26:27], v[14:17]
	v_mfma_f32_16x16x16_bf16 v[10:13], v[12:13], v[28:29], v[14:17]
	s_nop 5
	ds_read_b128 v[14:17], v1 offset:6144
	ds_read_b128 v[18:21], v1 offset:6160
	s_waitcnt lgkmcnt(0)
	s_barrier
	s_waitcnt vmcnt(9)
	v_mfma_f32_16x16x16_bf16 v[10:13], v[6:7], v[14:15], v[10:13]
	v_mfma_f32_16x16x16_bf16 v[6:9], v[8:9], v[16:17], v[10:13]
	s_waitcnt vmcnt(8)
	v_mfma_f32_16x16x16_bf16 v[6:9], v[2:3], v[18:19], v[6:9]
	v_mfma_f32_16x16x16_bf16 v[2:5], v[4:5], v[20:21], v[6:9]
	;; [unrolled: 3-line block ×3, first 2 shown]
	s_nop 3
	v_bfe_u32 v1, v3, 16, 1
	v_bfe_u32 v10, v2, 16, 1
	v_add3_u32 v2, v2, v10, s8
	s_waitcnt vmcnt(6)
	v_mfma_f32_16x16x16_bf16 v[6:9], v[38:39], v[66:67], v[6:9]
	v_add3_u32 v1, v3, v1, s8
	v_perm_b32 v10, v1, v2, s9
	v_bfe_u32 v1, v5, 16, 1
	v_mfma_f32_16x16x16_bf16 v[6:9], v[40:41], v[68:69], v[6:9]
	v_bfe_u32 v2, v4, 16, 1
	v_add3_u32 v2, v4, v2, s8
	v_add3_u32 v1, v5, v1, s8
	s_waitcnt vmcnt(5)
	v_mfma_f32_16x16x16_bf16 v[6:9], v[42:43], v[30:31], v[6:9]
	v_perm_b32 v11, v1, v2, s9
	v_mfma_f32_16x16x16_bf16 v[6:9], v[44:45], v[32:33], v[6:9]
	s_waitcnt vmcnt(4)
	v_mfma_f32_16x16x16_bf16 v[6:9], v[34:35], v[76:77], v[6:9]
	v_mfma_f32_16x16x16_bf16 v[6:9], v[36:37], v[78:79], v[6:9]
	s_waitcnt vmcnt(3)
	v_mfma_f32_16x16x16_bf16 v[6:9], v[58:59], v[22:23], v[6:9]
	;; [unrolled: 3-line block ×5, first 2 shown]
	v_mfma_f32_16x16x16_bf16 v[2:5], v[52:53], v[20:21], v[6:9]
	s_nop 6
	v_bfe_u32 v1, v3, 16, 1
	v_bfe_u32 v6, v2, 16, 1
	v_add3_u32 v2, v2, v6, s8
	v_add3_u32 v1, v3, v1, s8
	v_perm_b32 v2, v1, v2, s9
	v_bfe_u32 v1, v5, 16, 1
	v_bfe_u32 v3, v4, 16, 1
	v_add3_u32 v3, v4, v3, s8
	v_add3_u32 v1, v5, v1, s8
	v_perm_b32 v3, v1, v3, s9
	ds_write2st64_b64 v80, v[10:11], v[2:3] offset1:1
	s_waitcnt lgkmcnt(0)
	s_barrier
	s_and_saveexec_b64 s[4:5], s[30:31]
	s_cbranch_execz .LBB631_17
; %bb.16:
	v_lshlrev_b32_e32 v2, 6, v94
	v_lshlrev_b32_e32 v1, 4, v0
	v_lshl_or_b32 v0, v0, 10, v2
	scratch_load_dword v2, off, off offset:12 ; 4-byte Folded Reload
	scratch_load_dword v4, off, off offset:8 ; 4-byte Folded Reload
	scratch_load_dwordx2 v[6:7], off, off   ; 8-byte Folded Reload
	s_load_dwordx2 s[0:1], s[0:1], 0x68
	s_lshl_b32 s6, s6, 7
	s_mul_i32 s2, s7, s2
	s_mul_hi_u32 s5, s2, s6
	s_mul_i32 s4, s2, s6
	s_lshl_b64 s[4:5], s[4:5], 1
	v_and_b32_e32 v1, 16, v1
	v_and_b32_e32 v0, 0x1a00, v0
	s_waitcnt lgkmcnt(0)
	s_add_u32 s4, s0, s4
	s_addc_u32 s5, s1, s5
	s_lshl_b32 s2, s28, 7
	s_lshl_b64 s[0:1], s[2:3], 1
	s_add_u32 s0, s4, s0
	s_addc_u32 s1, s5, s1
	s_waitcnt vmcnt(0)
	v_mov_b32_e32 v7, 0
	v_or3_b32 v0, v0, v2, v1
	ds_read_b128 v[0:3], v0
	v_mad_u64_u32 v[4:5], s[2:3], s6, v4, 0
	v_lshl_add_u64 v[4:5], v[4:5], 1, s[0:1]
	v_lshl_add_u64 v[4:5], v[4:5], 0, v[6:7]
	s_waitcnt lgkmcnt(0)
	global_store_dwordx4 v[4:5], v[0:3], off
.LBB631_17:
	s_endpgm
	.section	.rodata,"a",@progbits
	.p2align	6, 0x0
	.amdhsa_kernel _Z39paged_attention_ll4mi_QKV_mfma16_kernelI14__hip_bfloat16S0_LN4vllm18Fp8KVCacheDataTypeE0EhLi16ELi128ELi256ELb0ELi4EEvPKT_PKT0_S8_ifPKiSA_SA_iPKfiiiPfSD_PS3_PT2_iSC_SC_
		.amdhsa_group_segment_fixed_size 8192
		.amdhsa_private_segment_fixed_size 20
		.amdhsa_kernarg_size 400
		.amdhsa_user_sgpr_count 2
		.amdhsa_user_sgpr_dispatch_ptr 0
		.amdhsa_user_sgpr_queue_ptr 0
		.amdhsa_user_sgpr_kernarg_segment_ptr 1
		.amdhsa_user_sgpr_dispatch_id 0
		.amdhsa_user_sgpr_kernarg_preload_length 0
		.amdhsa_user_sgpr_kernarg_preload_offset 0
		.amdhsa_user_sgpr_private_segment_size 0
		.amdhsa_uses_dynamic_stack 0
		.amdhsa_enable_private_segment 1
		.amdhsa_system_sgpr_workgroup_id_x 1
		.amdhsa_system_sgpr_workgroup_id_y 1
		.amdhsa_system_sgpr_workgroup_id_z 1
		.amdhsa_system_sgpr_workgroup_info 0
		.amdhsa_system_vgpr_workitem_id 0
		.amdhsa_next_free_vgpr 96
		.amdhsa_next_free_sgpr 43
		.amdhsa_accum_offset 96
		.amdhsa_reserve_vcc 1
		.amdhsa_float_round_mode_32 0
		.amdhsa_float_round_mode_16_64 0
		.amdhsa_float_denorm_mode_32 3
		.amdhsa_float_denorm_mode_16_64 3
		.amdhsa_dx10_clamp 1
		.amdhsa_ieee_mode 1
		.amdhsa_fp16_overflow 0
		.amdhsa_tg_split 0
		.amdhsa_exception_fp_ieee_invalid_op 0
		.amdhsa_exception_fp_denorm_src 0
		.amdhsa_exception_fp_ieee_div_zero 0
		.amdhsa_exception_fp_ieee_overflow 0
		.amdhsa_exception_fp_ieee_underflow 0
		.amdhsa_exception_fp_ieee_inexact 0
		.amdhsa_exception_int_div_zero 0
	.end_amdhsa_kernel
	.section	.text._Z39paged_attention_ll4mi_QKV_mfma16_kernelI14__hip_bfloat16S0_LN4vllm18Fp8KVCacheDataTypeE0EhLi16ELi128ELi256ELb0ELi4EEvPKT_PKT0_S8_ifPKiSA_SA_iPKfiiiPfSD_PS3_PT2_iSC_SC_,"axG",@progbits,_Z39paged_attention_ll4mi_QKV_mfma16_kernelI14__hip_bfloat16S0_LN4vllm18Fp8KVCacheDataTypeE0EhLi16ELi128ELi256ELb0ELi4EEvPKT_PKT0_S8_ifPKiSA_SA_iPKfiiiPfSD_PS3_PT2_iSC_SC_,comdat
.Lfunc_end631:
	.size	_Z39paged_attention_ll4mi_QKV_mfma16_kernelI14__hip_bfloat16S0_LN4vllm18Fp8KVCacheDataTypeE0EhLi16ELi128ELi256ELb0ELi4EEvPKT_PKT0_S8_ifPKiSA_SA_iPKfiiiPfSD_PS3_PT2_iSC_SC_, .Lfunc_end631-_Z39paged_attention_ll4mi_QKV_mfma16_kernelI14__hip_bfloat16S0_LN4vllm18Fp8KVCacheDataTypeE0EhLi16ELi128ELi256ELb0ELi4EEvPKT_PKT0_S8_ifPKiSA_SA_iPKfiiiPfSD_PS3_PT2_iSC_SC_
                                        ; -- End function
	.section	.AMDGPU.csdata,"",@progbits
; Kernel info:
; codeLenInByte = 4688
; NumSgprs: 49
; NumVgprs: 96
; NumAgprs: 0
; TotalNumVgprs: 96
; ScratchSize: 20
; MemoryBound: 0
; FloatMode: 240
; IeeeMode: 1
; LDSByteSize: 8192 bytes/workgroup (compile time only)
; SGPRBlocks: 6
; VGPRBlocks: 11
; NumSGPRsForWavesPerEU: 49
; NumVGPRsForWavesPerEU: 96
; AccumOffset: 96
; Occupancy: 5
; WaveLimiterHint : 1
; COMPUTE_PGM_RSRC2:SCRATCH_EN: 1
; COMPUTE_PGM_RSRC2:USER_SGPR: 2
; COMPUTE_PGM_RSRC2:TRAP_HANDLER: 0
; COMPUTE_PGM_RSRC2:TGID_X_EN: 1
; COMPUTE_PGM_RSRC2:TGID_Y_EN: 1
; COMPUTE_PGM_RSRC2:TGID_Z_EN: 1
; COMPUTE_PGM_RSRC2:TIDIG_COMP_CNT: 0
; COMPUTE_PGM_RSRC3_GFX90A:ACCUM_OFFSET: 23
; COMPUTE_PGM_RSRC3_GFX90A:TG_SPLIT: 0
	.section	.text._Z38paged_attention_ll4mi_QKV_mfma4_kernelI14__hip_bfloat16S0_LN4vllm18Fp8KVCacheDataTypeE0ES0_Li16ELi128ELi256ELb1ELi1EEvPKT_PKT0_S8_ifPKiSA_SA_iPKfiiiPfSD_PS3_PT2_iSC_SC_,"axG",@progbits,_Z38paged_attention_ll4mi_QKV_mfma4_kernelI14__hip_bfloat16S0_LN4vllm18Fp8KVCacheDataTypeE0ES0_Li16ELi128ELi256ELb1ELi1EEvPKT_PKT0_S8_ifPKiSA_SA_iPKfiiiPfSD_PS3_PT2_iSC_SC_,comdat
	.protected	_Z38paged_attention_ll4mi_QKV_mfma4_kernelI14__hip_bfloat16S0_LN4vllm18Fp8KVCacheDataTypeE0ES0_Li16ELi128ELi256ELb1ELi1EEvPKT_PKT0_S8_ifPKiSA_SA_iPKfiiiPfSD_PS3_PT2_iSC_SC_ ; -- Begin function _Z38paged_attention_ll4mi_QKV_mfma4_kernelI14__hip_bfloat16S0_LN4vllm18Fp8KVCacheDataTypeE0ES0_Li16ELi128ELi256ELb1ELi1EEvPKT_PKT0_S8_ifPKiSA_SA_iPKfiiiPfSD_PS3_PT2_iSC_SC_
	.globl	_Z38paged_attention_ll4mi_QKV_mfma4_kernelI14__hip_bfloat16S0_LN4vllm18Fp8KVCacheDataTypeE0ES0_Li16ELi128ELi256ELb1ELi1EEvPKT_PKT0_S8_ifPKiSA_SA_iPKfiiiPfSD_PS3_PT2_iSC_SC_
	.p2align	8
	.type	_Z38paged_attention_ll4mi_QKV_mfma4_kernelI14__hip_bfloat16S0_LN4vllm18Fp8KVCacheDataTypeE0ES0_Li16ELi128ELi256ELb1ELi1EEvPKT_PKT0_S8_ifPKiSA_SA_iPKfiiiPfSD_PS3_PT2_iSC_SC_,@function
_Z38paged_attention_ll4mi_QKV_mfma4_kernelI14__hip_bfloat16S0_LN4vllm18Fp8KVCacheDataTypeE0ES0_Li16ELi128ELi256ELb1ELi1EEvPKT_PKT0_S8_ifPKiSA_SA_iPKfiiiPfSD_PS3_PT2_iSC_SC_: ; @_Z38paged_attention_ll4mi_QKV_mfma4_kernelI14__hip_bfloat16S0_LN4vllm18Fp8KVCacheDataTypeE0ES0_Li16ELi128ELi256ELb1ELi1EEvPKT_PKT0_S8_ifPKiSA_SA_iPKfiiiPfSD_PS3_PT2_iSC_SC_
; %bb.0:
	s_load_dwordx2 s[8:9], s[0:1], 0x30
	s_mov_b32 s16, s3
	s_mov_b64 s[6:7], 0
	s_waitcnt lgkmcnt(0)
	s_cmp_lg_u64 s[8:9], 0
	s_cselect_b64 s[10:11], -1, 0
	s_and_b64 vcc, exec, s[10:11]
	s_cbranch_vccz .LBB632_10
; %bb.1:
	s_add_i32 s12, s2, 1
	s_mov_b32 s13, 0
	s_lshl_b64 s[14:15], s[12:13], 2
	s_add_u32 s14, s8, s14
	s_mov_b32 s3, s13
	s_addc_u32 s15, s9, s15
	s_lshl_b64 s[12:13], s[2:3], 2
	s_add_u32 s12, s8, s12
	s_addc_u32 s13, s9, s13
	s_load_dword s5, s[14:15], 0x0
	s_load_dword s17, s[12:13], 0x0
	s_waitcnt lgkmcnt(0)
	s_sub_i32 s5, s5, s17
	s_cmp_eq_u32 s5, 1
	s_cselect_b64 s[12:13], -1, 0
	s_andn2_b64 vcc, exec, s[6:7]
	s_cbranch_vccnz .LBB632_3
.LBB632_2:
	s_mov_b32 s3, 0
	s_mov_b64 s[12:13], -1
.LBB632_3:
	s_andn2_b64 vcc, exec, s[12:13]
	s_cbranch_vccnz .LBB632_27
; %bb.4:
	s_load_dword s5, s[0:1], 0x9c
	s_load_dwordx2 s[6:7], s[0:1], 0x28
	s_add_u32 s20, s0, 0x90
	s_addc_u32 s21, s1, 0
	s_lshl_b64 s[24:25], s[2:3], 2
	s_waitcnt lgkmcnt(0)
	s_and_b32 s5, s5, 0xffff
	s_add_u32 s6, s6, s24
	s_addc_u32 s7, s7, s25
	s_load_dword s3, s[6:7], 0x0
	s_mul_i32 s5, s16, s5
	s_waitcnt lgkmcnt(0)
	s_cmp_ge_i32 s5, s3
	s_cbranch_scc1 .LBB632_27
; %bb.5:
	v_and_b32_e32 v1, 0xc0, v0
	v_add_u32_e32 v2, s5, v1
	v_lshrrev_b32_e32 v90, 6, v0
	v_cmp_le_i32_e64 s[6:7], s3, v2
                                        ; implicit-def: $sgpr26
                                        ; implicit-def: $sgpr17
	s_and_saveexec_b64 s[12:13], s[6:7]
	s_xor_b64 s[12:13], exec, s[12:13]
	s_cbranch_execz .LBB632_7
; %bb.6:
	v_mul_u32_u24_e32 v1, 20, v90
	v_or_b32_e32 v1, 0x1400, v1
	v_mov_b32_e32 v2, 0x1450
	v_mov_b32_e32 v3, 0xff7fffff
	v_mad_u32_u24 v2, v90, 20, v2
	ds_write2_b32 v1, v3, v3 offset1:1
	v_mov_b32_e32 v1, 0
	ds_write2_b32 v2, v1, v1 offset1:1
	v_mov_b32_e32 v2, 0x1408
	s_mov_b32 s17, 0xff7fffff
	s_mov_b32 s26, 0
	v_mad_u32_u24 v2, v90, 20, v2
	v_mov_b32_e32 v4, 0x1458
	v_mad_u32_u24 v4, v90, 20, v4
	ds_write2_b32 v2, v3, v3 offset1:1
	ds_write2_b32 v4, v1, v1 offset1:1
                                        ; implicit-def: $vgpr2
.LBB632_7:
	s_or_saveexec_b64 s[22:23], s[12:13]
	s_load_dwordx2 s[18:19], s[0:1], 0x68
	s_load_dwordx4 s[12:15], s[0:1], 0x58
	s_load_dword s33, s[20:21], 0x4
	v_and_b32_e32 v1, 63, v0
	v_and_b32_e32 v91, 3, v0
	v_mov_b32_e32 v69, s26
	v_mov_b32_e32 v72, s17
	;; [unrolled: 1-line block ×5, first 2 shown]
                                        ; implicit-def: $vgpr3
                                        ; implicit-def: $vgpr11
                                        ; implicit-def: $vgpr23
                                        ; implicit-def: $vgpr31
                                        ; implicit-def: $vgpr47
                                        ; implicit-def: $vgpr35
                                        ; implicit-def: $vgpr51
                                        ; implicit-def: $vgpr55
                                        ; implicit-def: $vgpr15
                                        ; implicit-def: $vgpr7
                                        ; implicit-def: $vgpr19
                                        ; implicit-def: $vgpr27
                                        ; implicit-def: $vgpr39
                                        ; implicit-def: $vgpr43
                                        ; implicit-def: $vgpr59
                                        ; implicit-def: $vgpr63
	s_xor_b64 exec, exec, s[22:23]
	s_cbranch_execz .LBB632_19
; %bb.8:
	s_add_i32 s28, s3, 15
	s_ashr_i32 s29, s28, 31
	s_lshr_b32 s29, s29, 28
	v_add_u32_e32 v92, s5, v0
	s_add_i32 s28, s28, s29
	v_ashrrev_i32_e32 v3, 31, v92
	s_load_dwordx2 s[26:27], s[0:1], 0x20
	s_load_dword s17, s[0:1], 0x38
	s_ashr_i32 s28, s28, 4
	v_lshrrev_b32_e32 v3, 28, v3
	s_add_i32 s30, s28, -1
	v_add_u32_e32 v3, v92, v3
	v_ashrrev_i32_e32 v3, 4, v3
	v_mov_b32_e32 v4, s30
	v_cmp_gt_i32_e32 vcc, s3, v92
	s_waitcnt lgkmcnt(0)
	s_mul_i32 s28, s2, s17
	s_mov_b32 s29, 0
	v_cndmask_b32_e32 v4, v4, v3, vcc
	v_ashrrev_i32_e32 v3, 31, v2
	v_lshrrev_b32_e32 v3, 28, v3
	v_add_u32_e32 v2, v2, v3
	s_lshl_b64 s[28:29], s[28:29], 2
	v_ashrrev_i32_e32 v12, 4, v2
	s_add_u32 s26, s26, s28
	v_min_i32_e32 v2, s30, v12
	s_addc_u32 s27, s27, s29
	v_ashrrev_i32_e32 v3, 31, v2
	v_lshl_add_u64 v[6:7], v[2:3], 2, s[26:27]
	v_add_u32_e32 v2, 1, v12
	v_min_i32_e32 v2, s30, v2
	v_ashrrev_i32_e32 v3, 31, v2
	v_lshl_add_u64 v[8:9], v[2:3], 2, s[26:27]
	v_add_u32_e32 v2, 2, v12
	v_min_i32_e32 v2, s30, v2
	v_ashrrev_i32_e32 v3, 31, v2
	v_lshl_add_u64 v[10:11], v[2:3], 2, s[26:27]
	v_add_u32_e32 v2, 3, v12
	v_ashrrev_i32_e32 v5, 31, v4
	v_min_i32_e32 v2, s30, v2
	v_lshl_add_u64 v[4:5], v[4:5], 2, s[26:27]
	v_ashrrev_i32_e32 v3, 31, v2
	v_lshl_add_u64 v[12:13], v[2:3], 2, s[26:27]
	global_load_dword v3, v[4:5], off
	global_load_dword v2, v[6:7], off
	;; [unrolled: 1-line block ×5, first 2 shown]
	s_load_dwordx2 s[28:29], s[0:1], 0x8
	s_andn2_b64 vcc, exec, s[10:11]
	s_cbranch_vccnz .LBB632_11
; %bb.9:
	s_add_u32 s8, s8, s24
	s_addc_u32 s9, s9, s25
	s_load_dword s5, s[8:9], 0x0
	s_branch .LBB632_12
.LBB632_10:
	s_mov_b64 s[12:13], 0
	s_branch .LBB632_2
.LBB632_11:
	s_mov_b32 s5, s2
.LBB632_12:
	s_load_dwordx2 s[24:25], s[0:1], 0x10
	s_load_dwordx4 s[8:11], s[0:1], 0x48
	v_cmp_eq_u32_e32 vcc, 0, v91
	s_mov_b32 s27, 0
	v_mov_b32_e32 v89, 0
	v_mov_b32_e32 v56, 0
	;; [unrolled: 1-line block ×5, first 2 shown]
	s_and_saveexec_b64 s[30:31], vcc
	s_cbranch_execz .LBB632_14
; %bb.13:
	s_load_dwordx2 s[34:35], s[0:1], 0x0
	s_waitcnt lgkmcnt(0)
	s_ashr_i32 s11, s8, 31
	s_mul_hi_u32 s17, s5, s8
	s_mul_i32 s11, s5, s11
	s_add_i32 s37, s17, s11
	s_mul_i32 s36, s5, s8
	s_lshl_b64 s[36:37], s[36:37], 1
	s_add_u32 s5, s34, s36
	s_addc_u32 s8, s35, s37
	s_lshl_b32 s26, s4, 7
	s_lshl_b64 s[34:35], s[26:27], 1
	s_add_u32 s34, s5, s34
	s_addc_u32 s35, s8, s35
	v_lshlrev_b32_e32 v4, 2, v1
	global_load_dwordx4 v[56:59], v4, s[34:35]
.LBB632_14:
	s_or_b64 exec, exec, s[30:31]
	s_waitcnt lgkmcnt(0)
	s_mul_i32 s26, s4, s10
	s_lshl_b64 s[10:11], s[26:27], 1
	s_add_u32 s28, s10, s28
	s_waitcnt vmcnt(4)
	v_mad_i64_i32 v[4:5], s[30:31], v3, s9, 0
	s_addc_u32 s29, s11, s29
	v_and_b32_e32 v3, 15, v0
	v_lshl_add_u64 v[4:5], v[4:5], 1, s[28:29]
	v_lshlrev_b32_e32 v88, 4, v3
	v_lshl_add_u64 v[4:5], v[4:5], 0, v[88:89]
	global_load_dwordx4 v[84:87], v[4:5], off
	global_load_dwordx4 v[30:33], v[4:5], off offset:256
	global_load_dwordx4 v[26:29], v[4:5], off offset:512
	;; [unrolled: 1-line block ×15, first 2 shown]
	v_mov_b32_e32 v88, 0
	s_and_saveexec_b64 s[28:29], vcc
	s_cbranch_execz .LBB632_16
; %bb.15:
	s_load_dwordx2 s[30:31], s[0:1], 0x40
	s_mov_b32 s5, s27
	s_lshl_b64 s[26:27], s[4:5], 2
	v_mov_b32_e32 v89, 1.0
	s_waitcnt lgkmcnt(0)
	s_add_u32 s26, s30, s26
	s_addc_u32 s27, s31, s27
	s_load_dword s5, s[26:27], 0x0
	s_waitcnt lgkmcnt(0)
	v_mov_b32_e32 v88, s5
.LBB632_16:
	s_or_b64 exec, exec, s[28:29]
	s_waitcnt vmcnt(15)
	v_mfma_f32_4x4x4_16b_bf16 a[0:3], v[56:57], v[84:85], 0 cbsz:4
	v_mul_hi_i32 v3, v2, s9
	v_ashrrev_i32_e32 v3, 31, v3
	v_mfma_f32_4x4x4_16b_bf16 a[0:3], v[58:59], v[86:87], a[0:3] cbsz:4
	s_add_u32 s10, s24, s10
	v_lshrrev_b32_e32 v94, 29, v3
	s_waitcnt vmcnt(14)
	v_mfma_f32_4x4x4_16b_bf16 a[0:3], v[56:57], v[30:31], a[0:3] cbsz:4 abid:1
	v_mov_b32_e32 v95, 0
	s_addc_u32 s11, s25, s11
	v_mfma_f32_4x4x4_16b_bf16 a[0:3], v[58:59], v[32:33], a[0:3] cbsz:4 abid:1
	v_mad_i64_i32 v[2:3], s[24:25], v2, s9, v[94:95]
	s_waitcnt vmcnt(13)
	v_mfma_f32_4x4x4_16b_bf16 a[0:3], v[56:57], v[26:27], a[0:3] cbsz:4 abid:2
	v_lshlrev_b64 v[2:3], 1, v[2:3]
	v_and_b32_e32 v2, -16, v2
	v_mfma_f32_4x4x4_16b_bf16 a[0:3], v[58:59], v[28:29], a[0:3] cbsz:4 abid:2
	v_lshl_add_u64 v[2:3], s[10:11], 0, v[2:3]
	v_lshlrev_b32_e32 v94, 5, v1
	s_waitcnt vmcnt(12)
	v_mfma_f32_4x4x4_16b_bf16 a[0:3], v[56:57], v[22:23], a[0:3] cbsz:4 abid:3
	v_lshl_add_u64 v[96:97], v[2:3], 0, v[94:95]
	global_load_dwordx4 v[2:5], v[96:97], off
	global_load_dwordx4 v[10:13], v[96:97], off offset:16
	global_load_dwordx4 v[14:17], v[96:97], off offset:2048
	;; [unrolled: 1-line block ×3, first 2 shown]
	v_mfma_f32_4x4x4_16b_bf16 a[0:3], v[58:59], v[24:25], a[0:3] cbsz:4 abid:3
	v_mul_hi_i32 v96, v93, s9
	v_ashrrev_i32_e32 v84, 31, v96
	s_waitcnt vmcnt(15)
	v_mfma_f32_4x4x4_16b_bf16 a[0:3], v[56:57], v[18:19], a[0:3] cbsz:4 abid:4
	v_lshrrev_b32_e32 v84, 29, v84
	v_mov_b32_e32 v85, v95
	v_mfma_f32_4x4x4_16b_bf16 a[0:3], v[58:59], v[20:21], a[0:3] cbsz:4 abid:4
	s_load_dword s0, s[0:1], 0x1c
	v_mad_i64_i32 v[30:31], s[24:25], v93, s9, v[84:85]
	s_waitcnt vmcnt(14)
	v_mfma_f32_4x4x4_16b_bf16 a[0:3], v[56:57], v[80:81], a[0:3] cbsz:4 abid:5
	v_mul_hi_i32 v80, v55, s9
	v_ashrrev_i32_e32 v80, 31, v80
	v_mfma_f32_4x4x4_16b_bf16 a[0:3], v[58:59], v[82:83], a[0:3] cbsz:4 abid:5
	v_lshlrev_b64 v[26:27], 1, v[30:31]
	v_and_b32_e32 v26, -16, v26
	s_waitcnt vmcnt(13)
	v_mfma_f32_4x4x4_16b_bf16 a[0:3], v[56:57], v[46:47], a[0:3] cbsz:4 abid:6
	v_lshrrev_b32_e32 v46, 29, v80
	v_mov_b32_e32 v47, v95
	v_mfma_f32_4x4x4_16b_bf16 a[0:3], v[58:59], v[48:49], a[0:3] cbsz:4 abid:6
	v_lshl_add_u64 v[22:23], s[10:11], 0, v[26:27]
	v_lshl_add_u64 v[84:85], v[22:23], 0, v[94:95]
	s_waitcnt vmcnt(12)
	v_mfma_f32_4x4x4_16b_bf16 a[0:3], v[56:57], v[42:43], a[0:3] cbsz:4 abid:7
	v_mad_i64_i32 v[42:43], s[24:25], v55, s9, v[46:47]
	s_nop 0
	v_mfma_f32_4x4x4_16b_bf16 a[0:3], v[58:59], v[44:45], a[0:3] cbsz:4 abid:7
	v_mul_hi_i32 v55, v54, s9
	v_ashrrev_i32_e32 v55, 31, v55
	s_waitcnt vmcnt(11)
	v_mfma_f32_4x4x4_16b_bf16 a[0:3], v[56:57], v[38:39], a[0:3] cbsz:4 abid:8
	v_lshlrev_b64 v[42:43], 1, v[42:43]
	v_and_b32_e32 v42, -16, v42
	v_mfma_f32_4x4x4_16b_bf16 a[0:3], v[58:59], v[40:41], a[0:3] cbsz:4 abid:8
	v_lshl_add_u64 v[38:39], s[10:11], 0, v[42:43]
	v_lshl_add_u64 v[80:81], v[38:39], 0, v[94:95]
	s_waitcnt vmcnt(10)
	v_mfma_f32_4x4x4_16b_bf16 a[0:3], v[56:57], v[34:35], a[0:3] cbsz:4 abid:9
	global_load_dwordx4 v[22:25], v[84:85], off
	global_load_dwordx4 v[30:33], v[84:85], off offset:16
	v_mfma_f32_4x4x4_16b_bf16 a[0:3], v[58:59], v[36:37], a[0:3] cbsz:4 abid:9
	global_load_dwordx4 v[18:21], v[84:85], off offset:2048
	global_load_dwordx4 v[26:29], v[84:85], off offset:2064
	s_waitcnt vmcnt(13)
	v_mfma_f32_4x4x4_16b_bf16 a[0:3], v[56:57], v[76:77], a[0:3] cbsz:4 abid:10
	global_load_dwordx4 v[46:49], v[80:81], off
	global_load_dwordx4 v[34:37], v[80:81], off offset:16
	v_mfma_f32_4x4x4_16b_bf16 a[0:3], v[58:59], v[78:79], a[0:3] cbsz:4 abid:10
	global_load_dwordx4 v[38:41], v[80:81], off offset:2048
	global_load_dwordx4 v[42:45], v[80:81], off offset:2064
	s_waitcnt vmcnt(16)
	v_mfma_f32_4x4x4_16b_bf16 a[0:3], v[56:57], v[72:73], a[0:3] cbsz:4 abid:11
	v_lshrrev_b32_e32 v72, 29, v55
	v_mov_b32_e32 v73, v95
	v_mfma_f32_4x4x4_16b_bf16 a[0:3], v[58:59], v[74:75], a[0:3] cbsz:4 abid:11
	v_mad_i64_i32 v[54:55], s[8:9], v54, s9, v[72:73]
	s_waitcnt vmcnt(15)
	v_mfma_f32_4x4x4_16b_bf16 a[0:3], v[56:57], v[68:69], a[0:3] cbsz:4 abid:12
	v_lshlrev_b64 v[54:55], 1, v[54:55]
	v_and_b32_e32 v54, -16, v54
	v_mfma_f32_4x4x4_16b_bf16 a[0:3], v[58:59], v[70:71], a[0:3] cbsz:4 abid:12
	v_cmp_eq_u32_e32 vcc, 1, v91
	v_mov_b32_e32 v73, 0xff7fffff
	s_waitcnt vmcnt(14)
	v_mfma_f32_4x4x4_16b_bf16 a[0:3], v[56:57], v[64:65], a[0:3] cbsz:4 abid:13
	s_nop 1
	v_mfma_f32_4x4x4_16b_bf16 a[0:3], v[58:59], v[66:67], a[0:3] cbsz:4 abid:13
	s_waitcnt vmcnt(13)
	s_nop 0
	v_mfma_f32_4x4x4_16b_bf16 a[0:3], v[56:57], v[50:51], a[0:3] cbsz:4 abid:14
	v_lshl_add_u64 v[50:51], s[10:11], 0, v[54:55]
	v_lshl_add_u64 v[66:67], v[50:51], 0, v[94:95]
	v_mfma_f32_4x4x4_16b_bf16 a[0:3], v[58:59], v[52:53], a[0:3] cbsz:4 abid:14
	s_waitcnt vmcnt(12)
	s_nop 0
	v_mfma_f32_4x4x4_16b_bf16 a[0:3], v[56:57], v[60:61], a[0:3] cbsz:4 abid:15
	global_load_dwordx4 v[50:53], v[66:67], off
	global_load_dwordx4 v[54:57], v[66:67], off offset:16
	v_mfma_f32_4x4x4_16b_bf16 a[0:3], v[58:59], v[62:63], a[0:3] cbsz:4 abid:15
	s_nop 4
	v_accvgpr_read_b32 v59, a1
	v_accvgpr_read_b32 v58, a0
	s_waitcnt lgkmcnt(0)
	v_pk_mul_f32 v[68:69], s[0:1], v[58:59] op_sel_hi:[0,1]
	global_load_dwordx4 v[58:61], v[66:67], off offset:2048
	global_load_dwordx4 v[62:65], v[66:67], off offset:2064
	v_accvgpr_read_b32 v67, a3
	v_accvgpr_read_b32 v66, a2
	v_pk_mul_f32 v[66:67], s[0:1], v[66:67] op_sel_hi:[0,1]
	v_mfma_f32_4x4x1_16b_f32 a[0:3], v68, v89, 0
	v_cndmask_b32_e64 v68, 0, 1.0, vcc
	v_cmp_eq_u32_e32 vcc, 2, v91
	s_nop 0
	v_mfma_f32_4x4x1_16b_f32 a[0:3], v69, v68, a[0:3]
	v_cndmask_b32_e64 v68, 0, 1.0, vcc
	v_cmp_eq_u32_e32 vcc, 3, v91
	s_nop 0
	v_mfma_f32_4x4x1_16b_f32 a[0:3], v66, v68, a[0:3]
	v_cndmask_b32_e64 v66, 0, 1.0, vcc
	s_nop 1
	v_mfma_f32_4x4x1_16b_f32 a[0:3], v67, v66, a[0:3]
	v_and_b32_e32 v66, -4, v92
	v_subrev_u32_e32 v67, s3, v66
	v_add_u32_e32 v68, 1, v67
	v_cvt_f32_i32_e32 v68, v68
	v_add_u32_e32 v69, 2, v67
	v_cvt_f32_i32_e32 v69, v69
	v_accvgpr_read_b32 v70, a0
	v_fma_f32 v68, v88, v68, v70
	v_accvgpr_read_b32 v70, a1
	v_fma_f32 v69, v88, v69, v70
	v_add_u32_e32 v70, 3, v67
	v_cvt_f32_i32_e32 v70, v70
	v_add_u32_e32 v67, 4, v67
	v_max_f32_e32 v72, 0xff7fffff, v68
	v_cmp_gt_i32_e32 vcc, s3, v66
	v_cvt_f32_i32_e32 v67, v67
	v_accvgpr_read_b32 v71, a2
	v_cndmask_b32_e32 v72, v73, v72, vcc
	v_or_b32_e32 v73, 1, v66
	v_max_f32_e32 v74, v72, v69
	v_cmp_gt_i32_e64 s[0:1], s3, v73
	v_fma_f32 v70, v88, v70, v71
	v_or_b32_e32 v66, 2, v66
	v_cndmask_b32_e64 v72, v72, v74, s[0:1]
	v_accvgpr_read_b32 v71, a3
	v_max_f32_e32 v73, v72, v70
	v_cmp_gt_i32_e64 s[8:9], s3, v66
	v_fmac_f32_e32 v71, v88, v67
	v_lshlrev_b32_e32 v67, 2, v0
	v_cndmask_b32_e64 v66, v72, v73, s[8:9]
	v_or_b32_e32 v72, 3, v92
	v_max_f32_e32 v73, v66, v71
	v_cmp_gt_i32_e64 s[10:11], s3, v72
	v_and_or_b32 v67, v67, 48, v91
	s_nop 0
	v_cndmask_b32_e64 v66, v66, v73, s[10:11]
	;;#ASMSTART
	v_nop
 v_nop
 v_max_f32_dpp v66, v66, v66 row_ror:4
	;;#ASMEND
	v_lshlrev_b32_e32 v73, 2, v67
	;;#ASMSTART
	v_nop
 v_nop
 v_max_f32_dpp v66, v66, v66 row_ror:8
	;;#ASMEND
	ds_bpermute_b32 v66, v73, v66
	s_waitcnt lgkmcnt(0)
	;;#ASMSTART
	v_nop
 v_nop
 v_max_f32_dpp v66, v66, v66 row_ror:4
	;;#ASMEND
	s_nop 0
	;;#ASMSTART
	v_nop
 v_nop
 v_max_f32_dpp v72, v66, v66 row_ror:8
	;;#ASMEND
	s_nop 0
	v_sub_f32_e32 v66, v68, v72
	v_mul_f32_e32 v66, 0x3fb8aa3b, v66
	v_sub_f32_e32 v67, v69, v72
	v_exp_f32_e32 v66, v66
	v_mul_f32_e32 v67, 0x3fb8aa3b, v67
	v_sub_f32_e32 v69, v70, v72
	v_exp_f32_e32 v67, v67
	;; [unrolled: 3-line block ×3, first 2 shown]
	v_mul_f32_e32 v70, 0x3fb8aa3b, v70
	v_exp_f32_e32 v70, v70
	v_cndmask_b32_e32 v66, 0, v66, vcc
	v_add_f32_e32 v68, 0, v66
	v_cndmask_b32_e64 v67, 0, v67, s[0:1]
	v_add_f32_e32 v71, v68, v67
	v_cndmask_b32_e64 v68, 0, v69, s[8:9]
	;; [unrolled: 2-line block ×3, first 2 shown]
	v_add_f32_e32 v70, v71, v69
	;;#ASMSTART
	v_nop
 v_nop
 v_add_f32_dpp v70, v70, v70 row_ror:4
	;;#ASMEND
	v_cmp_gt_u32_e32 vcc, 4, v1
	;;#ASMSTART
	v_nop
 v_nop
 v_add_f32_dpp v70, v70, v70 row_ror:8
	;;#ASMEND
	ds_bpermute_b32 v70, v73, v70
	s_waitcnt lgkmcnt(0)
	;;#ASMSTART
	v_nop
 v_nop
 v_add_f32_dpp v70, v70, v70 row_ror:4
	;;#ASMEND
	s_nop 0
	;;#ASMSTART
	v_nop
 v_nop
 v_add_f32_dpp v70, v70, v70 row_ror:8
	;;#ASMEND
	s_and_saveexec_b64 s[0:1], vcc
	s_cbranch_execz .LBB632_18
; %bb.17:
	v_mul_u32_u24_e32 v71, 20, v90
	v_lshl_add_u32 v71, v91, 2, v71
	v_add_u32_e32 v71, 0x1400, v71
	ds_write2_b32 v71, v72, v70 offset1:20
.LBB632_18:
	s_or_b64 exec, exec, s[0:1]
.LBB632_19:
	s_or_b64 exec, exec, s[22:23]
	s_waitcnt lgkmcnt(0)
	s_barrier
	s_load_dword s0, s[20:21], 0x8
	v_lshlrev_b32_e32 v70, 2, v91
	v_add_u32_e32 v73, 0x1400, v70
	ds_read2_b32 v[70:71], v73 offset1:5
	ds_read2_b32 v[76:77], v73 offset0:10 offset1:15
	s_mul_i32 s1, s33, s2
	s_waitcnt lgkmcnt(0)
	s_mul_i32 s0, s1, s0
	s_mov_b32 s1, 0xff7fffff
	v_max3_f32 v74, v70, s1, v71
	v_max3_f32 v74, v74, v76, v77
	v_sub_f32_e32 v70, v70, v74
	ds_read2_b32 v[78:79], v73 offset0:20 offset1:25
	v_mul_f32_e32 v70, 0x3fb8aa3b, v70
	v_sub_f32_e32 v71, v71, v74
	v_exp_f32_e32 v75, v70
	v_mul_f32_e32 v71, 0x3fb8aa3b, v71
	ds_read2_b32 v[80:81], v73 offset0:30 offset1:35
	v_sub_f32_e32 v73, v76, v74
	v_exp_f32_e32 v71, v71
	v_mul_f32_e32 v73, 0x3fb8aa3b, v73
	v_sub_f32_e32 v76, v77, v74
	v_exp_f32_e32 v73, v73
	v_mul_f32_e32 v76, 0x3fb8aa3b, v76
	v_exp_f32_e32 v76, v76
	s_waitcnt lgkmcnt(1)
	v_fma_f32 v75, v75, v78, 0
	v_fmac_f32_e32 v75, v71, v79
	s_waitcnt lgkmcnt(0)
	v_fmac_f32_e32 v75, v73, v80
	v_mov_b32_e32 v70, 0
	v_fmac_f32_e32 v75, v76, v81
	s_mov_b32 s1, 0
	v_cmp_eq_u32_e32 vcc, 0, v91
	s_and_saveexec_b64 s[2:3], vcc
	s_cbranch_execz .LBB632_21
; %bb.20:
	s_lshl_b64 s[8:9], s[0:1], 2
	s_add_u32 s5, s12, s8
	s_mov_b32 s17, s1
	s_addc_u32 s12, s13, s9
	s_lshl_b64 s[10:11], s[16:17], 2
	s_add_u32 s5, s5, s10
	s_addc_u32 s12, s12, s11
	s_add_u32 s8, s14, s8
	s_addc_u32 s9, s15, s9
	;; [unrolled: 2-line block ×3, first 2 shown]
	s_mul_i32 s8, s33, s4
	s_mov_b32 s9, s1
	s_lshl_b64 s[8:9], s[8:9], 2
	s_add_u32 s10, s5, s8
	s_addc_u32 s11, s12, s9
	s_add_u32 s8, s13, s8
	s_addc_u32 s9, s14, s9
	global_store_dword v70, v74, s[8:9]
	global_store_dword v70, v75, s[10:11]
.LBB632_21:
	s_or_b64 exec, exec, s[2:3]
	v_lshlrev_b32_e32 v73, 3, v90
                                        ; implicit-def: $sgpr1
	s_and_saveexec_b64 s[2:3], s[6:7]
	s_xor_b64 s[2:3], exec, s[2:3]
	s_cbranch_execz .LBB632_23
; %bb.22:
	s_waitcnt vmcnt(15)
	v_mov_b32_e32 v2, 0
	v_mad_u32_u24 v4, v1, 40, v73
	s_mov_b32 s1, 0
	v_mov_b32_e32 v3, v2
	ds_write_b64 v4, v[2:3]
                                        ; implicit-def: $vgpr69
                                        ; implicit-def: $vgpr67
                                        ; implicit-def: $vgpr3
                                        ; implicit-def: $vgpr11
                                        ; implicit-def: $vgpr23
                                        ; implicit-def: $vgpr31
                                        ; implicit-def: $vgpr47
                                        ; implicit-def: $vgpr35
                                        ; implicit-def: $vgpr51
                                        ; implicit-def: $vgpr55
                                        ; implicit-def: $vgpr15
                                        ; implicit-def: $vgpr7
                                        ; implicit-def: $vgpr19
                                        ; implicit-def: $vgpr27
                                        ; implicit-def: $vgpr39
                                        ; implicit-def: $vgpr43
                                        ; implicit-def: $vgpr59
                                        ; implicit-def: $vgpr63
                                        ; implicit-def: $vgpr72
                                        ; implicit-def: $vgpr74
                                        ; implicit-def: $vgpr75
.LBB632_23:
	s_or_saveexec_b64 s[2:3], s[2:3]
	v_mov_b32_e32 v70, s1
	v_mov_b32_e32 v71, s1
	s_xor_b64 exec, exec, s[2:3]
	s_cbranch_execz .LBB632_25
; %bb.24:
	v_add_f32_e32 v70, 0x358637bd, v75
	v_div_scale_f32 v71, s[6:7], v70, v70, 1.0
	v_rcp_f32_e32 v75, v71
	v_sub_f32_e32 v72, v72, v74
	v_mul_f32_e32 v72, 0x3fb8aa3b, v72
	v_exp_f32_e32 v72, v72
	v_fma_f32 v74, -v71, v75, 1.0
	v_fmac_f32_e32 v75, v74, v75
	v_div_scale_f32 v74, vcc, 1.0, v70, 1.0
	v_mul_f32_e32 v76, v74, v75
	v_fma_f32 v77, -v71, v76, v74
	v_fmac_f32_e32 v76, v77, v75
	v_fma_f32 v71, -v71, v76, v74
	v_div_fmas_f32 v71, v71, v75, v76
	v_div_fixup_f32 v70, v71, v70, 1.0
	v_mul_f32_e32 v70, v72, v70
	v_pk_mul_f32 v[66:67], v[66:67], v[70:71] op_sel_hi:[1,0]
	v_pk_mul_f32 v[68:69], v[68:69], v[70:71] op_sel_hi:[1,0]
	v_bfe_u32 v70, v67, 16, 1
	v_bfe_u32 v71, v66, 16, 1
	s_movk_i32 s1, 0x7fff
	v_add3_u32 v66, v66, v71, s1
	v_add3_u32 v67, v67, v70, s1
	s_mov_b32 s5, 0x7060302
	v_perm_b32 v66, v67, v66, s5
	v_bfe_u32 v67, v69, 16, 1
	v_bfe_u32 v70, v68, 16, 1
	v_add3_u32 v68, v68, v70, s1
	v_add3_u32 v67, v69, v67, s1
	v_perm_b32 v67, v67, v68, s5
	s_waitcnt vmcnt(15)
	s_nop 0
	v_mfma_f32_4x4x4_16b_bf16 a[0:3], v[66:67], v[2:3], 0 cbsz:4
	s_nop 1
	v_mfma_f32_4x4x4_16b_bf16 a[0:3], v[66:67], v[4:5], a[0:3] cbsz:4 abid:1
	s_waitcnt vmcnt(13)
	v_mfma_f32_4x4x4_16b_bf16 a[4:7], v[66:67], v[14:15], 0 cbsz:4
	v_mfma_f32_4x4x4_16b_bf16 a[0:3], v[66:67], v[10:11], a[0:3] cbsz:4 abid:2
	s_nop 0
	v_mfma_f32_4x4x4_16b_bf16 a[4:7], v[66:67], v[16:17], a[4:7] cbsz:4 abid:1
	v_mfma_f32_4x4x4_16b_bf16 a[0:3], v[66:67], v[12:13], a[0:3] cbsz:4 abid:3
	s_waitcnt vmcnt(12)
	v_mfma_f32_4x4x4_16b_bf16 a[4:7], v[66:67], v[6:7], a[4:7] cbsz:4 abid:2
	s_waitcnt vmcnt(11)
	v_mfma_f32_4x4x4_16b_bf16 a[0:3], v[66:67], v[22:23], a[0:3] cbsz:4 abid:4
	s_nop 1
	v_mfma_f32_4x4x4_16b_bf16 a[0:3], v[66:67], v[24:25], a[0:3] cbsz:4 abid:5
	s_waitcnt vmcnt(10)
	s_nop 0
	v_mfma_f32_4x4x4_16b_bf16 a[0:3], v[66:67], v[30:31], a[0:3] cbsz:4 abid:6
	s_nop 1
	v_mfma_f32_4x4x4_16b_bf16 a[0:3], v[66:67], v[32:33], a[0:3] cbsz:4 abid:7
	s_waitcnt vmcnt(7)
	s_nop 0
	;; [unrolled: 5-line block ×5, first 2 shown]
	v_mfma_f32_4x4x4_16b_bf16 a[0:3], v[66:67], v[54:55], a[0:3] cbsz:4 abid:14
	s_nop 1
	v_mfma_f32_4x4x4_16b_bf16 a[0:3], v[66:67], v[56:57], a[0:3] cbsz:4 abid:15
	s_nop 4
	v_accvgpr_read_b32 v3, a2
	v_accvgpr_read_b32 v4, a3
	;; [unrolled: 1-line block ×4, first 2 shown]
	v_mfma_f32_4x4x4_16b_bf16 a[0:3], v[66:67], v[8:9], a[4:7] cbsz:4 abid:3
	v_bfe_u32 v6, v5, 16, 1
	v_bfe_u32 v7, v2, 16, 1
	v_mfma_f32_4x4x4_16b_bf16 a[0:3], v[66:67], v[18:19], a[0:3] cbsz:4 abid:4
	v_add3_u32 v2, v2, v7, s1
	v_add3_u32 v5, v5, v6, s1
	v_mfma_f32_4x4x4_16b_bf16 a[0:3], v[66:67], v[20:21], a[0:3] cbsz:4 abid:5
	v_perm_b32 v2, v5, v2, s5
	v_bfe_u32 v5, v4, 16, 1
	v_mfma_f32_4x4x4_16b_bf16 a[0:3], v[66:67], v[26:27], a[0:3] cbsz:4 abid:6
	v_bfe_u32 v6, v3, 16, 1
	v_add3_u32 v3, v3, v6, s1
	v_mfma_f32_4x4x4_16b_bf16 a[0:3], v[66:67], v[28:29], a[0:3] cbsz:4 abid:7
	v_add3_u32 v4, v4, v5, s1
	v_perm_b32 v3, v4, v3, s5
	v_mfma_f32_4x4x4_16b_bf16 a[0:3], v[66:67], v[38:39], a[0:3] cbsz:4 abid:8
	v_mad_u32_u24 v4, v1, 40, v73
	ds_write_b64 v4, v[2:3]
	v_mfma_f32_4x4x4_16b_bf16 a[0:3], v[66:67], v[40:41], a[0:3] cbsz:4 abid:9
	s_nop 1
	v_mfma_f32_4x4x4_16b_bf16 a[0:3], v[66:67], v[42:43], a[0:3] cbsz:4 abid:10
	s_nop 1
	v_mfma_f32_4x4x4_16b_bf16 a[0:3], v[66:67], v[44:45], a[0:3] cbsz:4 abid:11
	s_waitcnt vmcnt(1)
	s_nop 0
	v_mfma_f32_4x4x4_16b_bf16 a[0:3], v[66:67], v[58:59], a[0:3] cbsz:4 abid:12
	s_nop 1
	v_mfma_f32_4x4x4_16b_bf16 a[0:3], v[66:67], v[60:61], a[0:3] cbsz:4 abid:13
	s_waitcnt vmcnt(0)
	s_nop 0
	v_mfma_f32_4x4x4_16b_bf16 a[0:3], v[66:67], v[62:63], a[0:3] cbsz:4 abid:14
	s_nop 1
	v_mfma_f32_4x4x4_16b_bf16 a[0:3], v[66:67], v[64:65], a[0:3] cbsz:4 abid:15
	s_nop 4
	v_accvgpr_read_b32 v4, a0
	v_accvgpr_read_b32 v5, a1
	;; [unrolled: 1-line block ×4, first 2 shown]
	v_bfe_u32 v6, v5, 16, 1
	v_bfe_u32 v7, v4, 16, 1
	v_add3_u32 v4, v4, v7, s1
	v_add3_u32 v5, v5, v6, s1
	v_bfe_u32 v6, v3, 16, 1
	v_bfe_u32 v7, v2, 16, 1
	v_add3_u32 v2, v2, v7, s1
	v_add3_u32 v3, v3, v6, s1
	v_perm_b32 v71, v3, v2, s5
	v_perm_b32 v70, v5, v4, s5
.LBB632_25:
	s_or_b64 exec, exec, s[2:3]
	s_waitcnt vmcnt(15)
	v_mad_u32_u24 v2, v1, 40, v73
	v_cmp_gt_u32_e32 vcc, 64, v0
	ds_write_b64 v2, v[70:71] offset:2560
	s_waitcnt lgkmcnt(0)
	s_barrier
	s_and_saveexec_b64 s[2:3], vcc
	s_cbranch_execz .LBB632_27
; %bb.26:
	v_mov_b32_e32 v2, 0xa00
	v_mad_u32_u24 v2, v1, 40, v2
	ds_read2_b64 v[2:5], v2 offset1:1
	s_waitcnt lgkmcnt(0)
	v_mov_b32_e32 v3, 0xa10
	s_waitcnt vmcnt(14)
	v_mul_u32_u24_e32 v10, 40, v1
	v_mad_u32_u24 v1, v1, 40, v3
	s_waitcnt vmcnt(12)
	ds_read2_b64 v[6:9], v1 offset1:1
	v_lshlrev_b32_e32 v1, 16, v2
	v_add_f32_e32 v1, 0, v1
	v_and_b32_e32 v1, 0xffff0000, v1
	v_lshlrev_b32_e32 v2, 16, v4
	v_add_f32_e32 v1, v1, v2
	v_and_b32_e32 v1, 0xffff0000, v1
	s_waitcnt lgkmcnt(0)
	v_lshlrev_b32_e32 v2, 16, v6
	v_add_f32_e32 v1, v1, v2
	v_and_b32_e32 v1, 0xffff0000, v1
	v_lshlrev_b32_e32 v2, 16, v8
	v_add_f32_e32 v11, v1, v2
	ds_read2_b64 v[2:5], v10 offset1:1
	ds_read2_b64 v[6:9], v10 offset0:2 offset1:3
	s_mov_b32 s1, 0
	s_lshl_b32 s0, s0, 7
	s_lshl_b64 s[2:3], s[0:1], 1
	s_waitcnt lgkmcnt(1)
	v_lshlrev_b32_e32 v2, 16, v2
	v_add_f32_e32 v2, 0, v2
	s_add_u32 s2, s18, s2
	v_and_b32_e32 v2, 0xffff0000, v2
	v_lshlrev_b32_e32 v3, 16, v4
	s_addc_u32 s3, s19, s3
	s_lshl_b32 s0, s16, 7
	v_add_f32_e32 v2, v2, v3
	s_lshl_b64 s[0:1], s[0:1], 1
	v_and_b32_e32 v2, 0xffff0000, v2
	s_waitcnt lgkmcnt(0)
	v_lshlrev_b32_e32 v3, 16, v6
	s_add_u32 s0, s2, s0
	s_mul_i32 s2, s4, s33
	v_add_f32_e32 v2, v2, v3
	s_addc_u32 s1, s3, s1
	v_lshl_or_b32 v0, s2, 7, v0
	v_mov_b32_e32 v1, 0
	v_and_b32_e32 v2, 0xffff0000, v2
	v_lshlrev_b32_e32 v3, 16, v8
	v_lshl_add_u64 v[0:1], v[0:1], 1, s[0:1]
	v_add_f32_e32 v2, v2, v3
	global_store_short_d16_hi v[0:1], v2, off
	global_store_short_d16_hi v[0:1], v11, off offset:128
.LBB632_27:
	s_endpgm
	.section	.rodata,"a",@progbits
	.p2align	6, 0x0
	.amdhsa_kernel _Z38paged_attention_ll4mi_QKV_mfma4_kernelI14__hip_bfloat16S0_LN4vllm18Fp8KVCacheDataTypeE0ES0_Li16ELi128ELi256ELb1ELi1EEvPKT_PKT0_S8_ifPKiSA_SA_iPKfiiiPfSD_PS3_PT2_iSC_SC_
		.amdhsa_group_segment_fixed_size 5280
		.amdhsa_private_segment_fixed_size 0
		.amdhsa_kernarg_size 400
		.amdhsa_user_sgpr_count 2
		.amdhsa_user_sgpr_dispatch_ptr 0
		.amdhsa_user_sgpr_queue_ptr 0
		.amdhsa_user_sgpr_kernarg_segment_ptr 1
		.amdhsa_user_sgpr_dispatch_id 0
		.amdhsa_user_sgpr_kernarg_preload_length 0
		.amdhsa_user_sgpr_kernarg_preload_offset 0
		.amdhsa_user_sgpr_private_segment_size 0
		.amdhsa_uses_dynamic_stack 0
		.amdhsa_enable_private_segment 0
		.amdhsa_system_sgpr_workgroup_id_x 1
		.amdhsa_system_sgpr_workgroup_id_y 1
		.amdhsa_system_sgpr_workgroup_id_z 1
		.amdhsa_system_sgpr_workgroup_info 0
		.amdhsa_system_vgpr_workitem_id 0
		.amdhsa_next_free_vgpr 108
		.amdhsa_next_free_sgpr 38
		.amdhsa_accum_offset 100
		.amdhsa_reserve_vcc 1
		.amdhsa_float_round_mode_32 0
		.amdhsa_float_round_mode_16_64 0
		.amdhsa_float_denorm_mode_32 3
		.amdhsa_float_denorm_mode_16_64 3
		.amdhsa_dx10_clamp 1
		.amdhsa_ieee_mode 1
		.amdhsa_fp16_overflow 0
		.amdhsa_tg_split 0
		.amdhsa_exception_fp_ieee_invalid_op 0
		.amdhsa_exception_fp_denorm_src 0
		.amdhsa_exception_fp_ieee_div_zero 0
		.amdhsa_exception_fp_ieee_overflow 0
		.amdhsa_exception_fp_ieee_underflow 0
		.amdhsa_exception_fp_ieee_inexact 0
		.amdhsa_exception_int_div_zero 0
	.end_amdhsa_kernel
	.section	.text._Z38paged_attention_ll4mi_QKV_mfma4_kernelI14__hip_bfloat16S0_LN4vllm18Fp8KVCacheDataTypeE0ES0_Li16ELi128ELi256ELb1ELi1EEvPKT_PKT0_S8_ifPKiSA_SA_iPKfiiiPfSD_PS3_PT2_iSC_SC_,"axG",@progbits,_Z38paged_attention_ll4mi_QKV_mfma4_kernelI14__hip_bfloat16S0_LN4vllm18Fp8KVCacheDataTypeE0ES0_Li16ELi128ELi256ELb1ELi1EEvPKT_PKT0_S8_ifPKiSA_SA_iPKfiiiPfSD_PS3_PT2_iSC_SC_,comdat
.Lfunc_end632:
	.size	_Z38paged_attention_ll4mi_QKV_mfma4_kernelI14__hip_bfloat16S0_LN4vllm18Fp8KVCacheDataTypeE0ES0_Li16ELi128ELi256ELb1ELi1EEvPKT_PKT0_S8_ifPKiSA_SA_iPKfiiiPfSD_PS3_PT2_iSC_SC_, .Lfunc_end632-_Z38paged_attention_ll4mi_QKV_mfma4_kernelI14__hip_bfloat16S0_LN4vllm18Fp8KVCacheDataTypeE0ES0_Li16ELi128ELi256ELb1ELi1EEvPKT_PKT0_S8_ifPKiSA_SA_iPKfiiiPfSD_PS3_PT2_iSC_SC_
                                        ; -- End function
	.section	.AMDGPU.csdata,"",@progbits
; Kernel info:
; codeLenInByte = 4060
; NumSgprs: 44
; NumVgprs: 98
; NumAgprs: 8
; TotalNumVgprs: 108
; ScratchSize: 0
; MemoryBound: 0
; FloatMode: 240
; IeeeMode: 1
; LDSByteSize: 5280 bytes/workgroup (compile time only)
; SGPRBlocks: 5
; VGPRBlocks: 13
; NumSGPRsForWavesPerEU: 44
; NumVGPRsForWavesPerEU: 108
; AccumOffset: 100
; Occupancy: 4
; WaveLimiterHint : 1
; COMPUTE_PGM_RSRC2:SCRATCH_EN: 0
; COMPUTE_PGM_RSRC2:USER_SGPR: 2
; COMPUTE_PGM_RSRC2:TRAP_HANDLER: 0
; COMPUTE_PGM_RSRC2:TGID_X_EN: 1
; COMPUTE_PGM_RSRC2:TGID_Y_EN: 1
; COMPUTE_PGM_RSRC2:TGID_Z_EN: 1
; COMPUTE_PGM_RSRC2:TIDIG_COMP_CNT: 0
; COMPUTE_PGM_RSRC3_GFX90A:ACCUM_OFFSET: 24
; COMPUTE_PGM_RSRC3_GFX90A:TG_SPLIT: 0
	.section	.text._Z38paged_attention_ll4mi_QKV_mfma4_kernelI14__hip_bfloat16S0_LN4vllm18Fp8KVCacheDataTypeE0ES0_Li16ELi128ELi256ELb1ELi2EEvPKT_PKT0_S8_ifPKiSA_SA_iPKfiiiPfSD_PS3_PT2_iSC_SC_,"axG",@progbits,_Z38paged_attention_ll4mi_QKV_mfma4_kernelI14__hip_bfloat16S0_LN4vllm18Fp8KVCacheDataTypeE0ES0_Li16ELi128ELi256ELb1ELi2EEvPKT_PKT0_S8_ifPKiSA_SA_iPKfiiiPfSD_PS3_PT2_iSC_SC_,comdat
	.protected	_Z38paged_attention_ll4mi_QKV_mfma4_kernelI14__hip_bfloat16S0_LN4vllm18Fp8KVCacheDataTypeE0ES0_Li16ELi128ELi256ELb1ELi2EEvPKT_PKT0_S8_ifPKiSA_SA_iPKfiiiPfSD_PS3_PT2_iSC_SC_ ; -- Begin function _Z38paged_attention_ll4mi_QKV_mfma4_kernelI14__hip_bfloat16S0_LN4vllm18Fp8KVCacheDataTypeE0ES0_Li16ELi128ELi256ELb1ELi2EEvPKT_PKT0_S8_ifPKiSA_SA_iPKfiiiPfSD_PS3_PT2_iSC_SC_
	.globl	_Z38paged_attention_ll4mi_QKV_mfma4_kernelI14__hip_bfloat16S0_LN4vllm18Fp8KVCacheDataTypeE0ES0_Li16ELi128ELi256ELb1ELi2EEvPKT_PKT0_S8_ifPKiSA_SA_iPKfiiiPfSD_PS3_PT2_iSC_SC_
	.p2align	8
	.type	_Z38paged_attention_ll4mi_QKV_mfma4_kernelI14__hip_bfloat16S0_LN4vllm18Fp8KVCacheDataTypeE0ES0_Li16ELi128ELi256ELb1ELi2EEvPKT_PKT0_S8_ifPKiSA_SA_iPKfiiiPfSD_PS3_PT2_iSC_SC_,@function
_Z38paged_attention_ll4mi_QKV_mfma4_kernelI14__hip_bfloat16S0_LN4vllm18Fp8KVCacheDataTypeE0ES0_Li16ELi128ELi256ELb1ELi2EEvPKT_PKT0_S8_ifPKiSA_SA_iPKfiiiPfSD_PS3_PT2_iSC_SC_: ; @_Z38paged_attention_ll4mi_QKV_mfma4_kernelI14__hip_bfloat16S0_LN4vllm18Fp8KVCacheDataTypeE0ES0_Li16ELi128ELi256ELb1ELi2EEvPKT_PKT0_S8_ifPKiSA_SA_iPKfiiiPfSD_PS3_PT2_iSC_SC_
; %bb.0:
	s_load_dwordx2 s[8:9], s[0:1], 0x30
	s_mov_b32 s16, s3
	s_mov_b64 s[6:7], 0
	s_waitcnt lgkmcnt(0)
	s_cmp_lg_u64 s[8:9], 0
	s_cselect_b64 s[10:11], -1, 0
	s_and_b64 vcc, exec, s[10:11]
	s_cbranch_vccz .LBB633_10
; %bb.1:
	s_add_i32 s12, s2, 1
	s_mov_b32 s13, 0
	s_lshl_b64 s[14:15], s[12:13], 2
	s_add_u32 s14, s8, s14
	s_mov_b32 s3, s13
	s_addc_u32 s15, s9, s15
	s_lshl_b64 s[12:13], s[2:3], 2
	s_add_u32 s12, s8, s12
	s_addc_u32 s13, s9, s13
	s_load_dword s5, s[14:15], 0x0
	s_load_dword s17, s[12:13], 0x0
	s_waitcnt lgkmcnt(0)
	s_sub_i32 s5, s5, s17
	s_cmp_eq_u32 s5, 1
	s_cselect_b64 s[12:13], -1, 0
	s_andn2_b64 vcc, exec, s[6:7]
	s_cbranch_vccnz .LBB633_3
.LBB633_2:
	s_mov_b32 s3, 0
	s_mov_b64 s[12:13], -1
.LBB633_3:
	s_andn2_b64 vcc, exec, s[12:13]
	s_cbranch_vccnz .LBB633_27
; %bb.4:
	s_load_dword s5, s[0:1], 0x9c
	s_load_dwordx2 s[6:7], s[0:1], 0x28
	s_add_u32 s20, s0, 0x90
	s_addc_u32 s21, s1, 0
	s_lshl_b64 s[24:25], s[2:3], 2
	s_waitcnt lgkmcnt(0)
	s_and_b32 s5, s5, 0xffff
	s_add_u32 s6, s6, s24
	s_addc_u32 s7, s7, s25
	s_load_dword s3, s[6:7], 0x0
	s_mul_i32 s5, s16, s5
	s_waitcnt lgkmcnt(0)
	s_cmp_ge_i32 s5, s3
	s_cbranch_scc1 .LBB633_27
; %bb.5:
	v_and_b32_e32 v1, 0xc0, v0
	v_add_u32_e32 v2, s5, v1
	v_lshrrev_b32_e32 v88, 6, v0
	v_cmp_le_i32_e64 s[6:7], s3, v2
                                        ; implicit-def: $sgpr26
                                        ; implicit-def: $sgpr17
	s_and_saveexec_b64 s[12:13], s[6:7]
	s_xor_b64 s[12:13], exec, s[12:13]
	s_cbranch_execz .LBB633_7
; %bb.6:
	v_mul_u32_u24_e32 v1, 20, v88
	v_or_b32_e32 v1, 0x1400, v1
	v_mov_b32_e32 v2, 0x1450
	v_mov_b32_e32 v3, 0xff7fffff
	v_mad_u32_u24 v2, v88, 20, v2
	ds_write2_b32 v1, v3, v3 offset1:1
	v_mov_b32_e32 v1, 0
	ds_write2_b32 v2, v1, v1 offset1:1
	v_mov_b32_e32 v2, 0x1408
	s_mov_b32 s17, 0xff7fffff
	s_mov_b32 s26, 0
	v_mad_u32_u24 v2, v88, 20, v2
	v_mov_b32_e32 v4, 0x1458
	v_mad_u32_u24 v4, v88, 20, v4
	ds_write2_b32 v2, v3, v3 offset1:1
	ds_write2_b32 v4, v1, v1 offset1:1
                                        ; implicit-def: $vgpr2
.LBB633_7:
	s_or_saveexec_b64 s[22:23], s[12:13]
	s_load_dwordx2 s[18:19], s[0:1], 0x68
	s_load_dwordx4 s[12:15], s[0:1], 0x58
	s_load_dword s34, s[20:21], 0x4
	v_and_b32_e32 v1, 63, v0
	v_and_b32_e32 v89, 3, v0
	s_lshl_b32 s33, s4, 1
	v_mov_b32_e32 v69, s26
	v_mov_b32_e32 v72, s17
	;; [unrolled: 1-line block ×5, first 2 shown]
                                        ; implicit-def: $vgpr3
                                        ; implicit-def: $vgpr7
                                        ; implicit-def: $vgpr23
                                        ; implicit-def: $vgpr31
                                        ; implicit-def: $vgpr47
                                        ; implicit-def: $vgpr35
                                        ; implicit-def: $vgpr51
                                        ; implicit-def: $vgpr55
                                        ; implicit-def: $vgpr15
                                        ; implicit-def: $vgpr11
                                        ; implicit-def: $vgpr19
                                        ; implicit-def: $vgpr27
                                        ; implicit-def: $vgpr39
                                        ; implicit-def: $vgpr43
                                        ; implicit-def: $vgpr59
                                        ; implicit-def: $vgpr63
	s_xor_b64 exec, exec, s[22:23]
	s_cbranch_execz .LBB633_19
; %bb.8:
	s_add_i32 s28, s3, 15
	s_ashr_i32 s29, s28, 31
	s_lshr_b32 s29, s29, 28
	v_add_u32_e32 v90, s5, v0
	s_add_i32 s28, s28, s29
	v_ashrrev_i32_e32 v3, 31, v90
	s_load_dwordx2 s[26:27], s[0:1], 0x20
	s_load_dword s17, s[0:1], 0x38
	s_ashr_i32 s28, s28, 4
	v_lshrrev_b32_e32 v3, 28, v3
	s_add_i32 s30, s28, -1
	v_add_u32_e32 v3, v90, v3
	v_ashrrev_i32_e32 v3, 4, v3
	v_mov_b32_e32 v4, s30
	v_cmp_gt_i32_e32 vcc, s3, v90
	s_waitcnt lgkmcnt(0)
	s_mul_i32 s28, s2, s17
	s_mov_b32 s29, 0
	v_cndmask_b32_e32 v4, v4, v3, vcc
	v_ashrrev_i32_e32 v3, 31, v2
	v_lshrrev_b32_e32 v3, 28, v3
	v_add_u32_e32 v2, v2, v3
	s_lshl_b64 s[28:29], s[28:29], 2
	v_ashrrev_i32_e32 v12, 4, v2
	s_add_u32 s26, s26, s28
	v_min_i32_e32 v2, s30, v12
	s_addc_u32 s27, s27, s29
	v_ashrrev_i32_e32 v3, 31, v2
	v_lshl_add_u64 v[6:7], v[2:3], 2, s[26:27]
	v_add_u32_e32 v2, 1, v12
	v_min_i32_e32 v2, s30, v2
	v_ashrrev_i32_e32 v3, 31, v2
	v_lshl_add_u64 v[8:9], v[2:3], 2, s[26:27]
	v_add_u32_e32 v2, 2, v12
	v_min_i32_e32 v2, s30, v2
	v_ashrrev_i32_e32 v3, 31, v2
	v_lshl_add_u64 v[10:11], v[2:3], 2, s[26:27]
	v_add_u32_e32 v2, 3, v12
	v_ashrrev_i32_e32 v5, 31, v4
	v_min_i32_e32 v2, s30, v2
	v_lshl_add_u64 v[4:5], v[4:5], 2, s[26:27]
	v_ashrrev_i32_e32 v3, 31, v2
	v_lshl_add_u64 v[12:13], v[2:3], 2, s[26:27]
	global_load_dword v3, v[4:5], off
	global_load_dword v2, v[6:7], off
	;; [unrolled: 1-line block ×5, first 2 shown]
	s_load_dwordx2 s[26:27], s[0:1], 0x8
	s_andn2_b64 vcc, exec, s[10:11]
	s_cbranch_vccnz .LBB633_11
; %bb.9:
	s_add_u32 s8, s8, s24
	s_addc_u32 s9, s9, s25
	s_load_dword s5, s[8:9], 0x0
	s_branch .LBB633_12
.LBB633_10:
	s_mov_b64 s[12:13], 0
	s_branch .LBB633_2
.LBB633_11:
	s_mov_b32 s5, s2
.LBB633_12:
	s_load_dwordx2 s[24:25], s[0:1], 0x10
	s_load_dwordx4 s[8:11], s[0:1], 0x48
	v_cmp_gt_u32_e32 vcc, 2, v89
	s_mov_b32 s29, 0
	v_mov_b32_e32 v63, 0
	v_mov_b32_e32 v64, 0
	;; [unrolled: 1-line block ×5, first 2 shown]
	s_and_saveexec_b64 s[30:31], vcc
	s_cbranch_execz .LBB633_14
; %bb.13:
	s_load_dwordx2 s[36:37], s[0:1], 0x0
	s_waitcnt lgkmcnt(0)
	s_ashr_i32 s11, s8, 31
	s_mul_hi_u32 s17, s5, s8
	s_mul_i32 s11, s5, s11
	s_add_i32 s39, s17, s11
	s_mul_i32 s38, s5, s8
	s_lshl_b64 s[38:39], s[38:39], 1
	s_add_u32 s5, s36, s38
	s_addc_u32 s8, s37, s39
	s_lshl_b32 s28, s4, 8
	s_lshl_b64 s[36:37], s[28:29], 1
	v_lshlrev_b32_e32 v4, 2, v1
	s_add_u32 s36, s5, s36
	v_and_b32_e32 v4, 0xf0, v4
	s_addc_u32 s37, s8, s37
	v_lshl_or_b32 v4, v89, 8, v4
	global_load_dwordx4 v[64:67], v4, s[36:37]
.LBB633_14:
	s_or_b64 exec, exec, s[30:31]
	s_waitcnt lgkmcnt(0)
	s_mul_i32 s28, s4, s10
	s_lshl_b64 s[4:5], s[28:29], 1
	s_add_u32 s10, s4, s26
	s_waitcnt vmcnt(4)
	v_mad_i64_i32 v[4:5], s[30:31], v3, s9, 0
	s_addc_u32 s11, s5, s27
	v_and_b32_e32 v3, 15, v0
	v_lshl_add_u64 v[4:5], v[4:5], 1, s[10:11]
	v_lshlrev_b32_e32 v62, 4, v3
	v_lshl_add_u64 v[4:5], v[4:5], 0, v[62:63]
	global_load_dwordx4 v[84:87], v[4:5], off
	global_load_dwordx4 v[30:33], v[4:5], off offset:256
	global_load_dwordx4 v[26:29], v[4:5], off offset:512
	;; [unrolled: 1-line block ×15, first 2 shown]
	v_mov_b32_e32 v94, 0
	s_and_saveexec_b64 s[10:11], vcc
	s_cbranch_execz .LBB633_16
; %bb.15:
	s_load_dwordx2 s[26:27], s[0:1], 0x40
	v_or_b32_e32 v4, s33, v89
	v_mov_b32_e32 v5, 0
	s_waitcnt lgkmcnt(0)
	v_lshl_add_u64 v[4:5], v[4:5], 2, s[26:27]
	global_load_dword v94, v[4:5], off
.LBB633_16:
	s_or_b64 exec, exec, s[10:11]
	s_waitcnt vmcnt(15)
	v_mfma_f32_4x4x4_16b_bf16 a[0:3], v[64:65], v[84:85], 0 cbsz:4
	v_mul_hi_i32 v3, v2, s9
	v_ashrrev_i32_e32 v3, 31, v3
	v_mfma_f32_4x4x4_16b_bf16 a[0:3], v[66:67], v[86:87], a[0:3] cbsz:4
	v_mul_hi_i32 v84, v93, s9
	v_lshrrev_b32_e32 v96, 29, v3
	s_waitcnt vmcnt(14)
	v_mfma_f32_4x4x4_16b_bf16 a[0:3], v[64:65], v[30:31], a[0:3] cbsz:4 abid:1
	v_mov_b32_e32 v97, 0
	v_ashrrev_i32_e32 v30, 31, v84
	v_mfma_f32_4x4x4_16b_bf16 a[0:3], v[66:67], v[32:33], a[0:3] cbsz:4 abid:1
	v_mad_i64_i32 v[2:3], s[10:11], v2, s9, v[96:97]
	s_waitcnt vmcnt(13)
	v_mfma_f32_4x4x4_16b_bf16 a[0:3], v[64:65], v[26:27], a[0:3] cbsz:4 abid:2
	v_lshrrev_b32_e32 v96, 29, v30
	v_mad_i64_i32 v[26:27], s[10:11], v93, s9, v[96:97]
	v_mfma_f32_4x4x4_16b_bf16 a[0:3], v[66:67], v[28:29], a[0:3] cbsz:4 abid:2
	s_add_u32 s4, s24, s4
	v_lshlrev_b64 v[2:3], 1, v[2:3]
	s_waitcnt vmcnt(12)
	v_mfma_f32_4x4x4_16b_bf16 a[0:3], v[64:65], v[22:23], a[0:3] cbsz:4 abid:3
	v_lshlrev_b64 v[26:27], 1, v[26:27]
	s_addc_u32 s5, s25, s5
	v_mfma_f32_4x4x4_16b_bf16 a[0:3], v[66:67], v[24:25], a[0:3] cbsz:4 abid:3
	v_and_b32_e32 v2, -16, v2
	v_and_b32_e32 v26, -16, v26
	s_waitcnt vmcnt(11)
	v_mfma_f32_4x4x4_16b_bf16 a[0:3], v[64:65], v[18:19], a[0:3] cbsz:4 abid:4
	v_lshl_add_u64 v[2:3], s[4:5], 0, v[2:3]
	v_lshlrev_b32_e32 v62, 5, v1
	v_mfma_f32_4x4x4_16b_bf16 a[0:3], v[66:67], v[20:21], a[0:3] cbsz:4 abid:4
	v_lshl_add_u64 v[22:23], s[4:5], 0, v[26:27]
	v_lshl_add_u64 v[98:99], v[2:3], 0, v[62:63]
	s_waitcnt vmcnt(10)
	v_mfma_f32_4x4x4_16b_bf16 a[0:3], v[64:65], v[80:81], a[0:3] cbsz:4 abid:5
	v_mul_hi_i32 v80, v92, s9
	v_lshl_add_u64 v[84:85], v[22:23], 0, v[62:63]
	v_mfma_f32_4x4x4_16b_bf16 a[0:3], v[66:67], v[82:83], a[0:3] cbsz:4 abid:5
	global_load_dwordx4 v[2:5], v[98:99], off
	global_load_dwordx4 v[6:9], v[98:99], off offset:16
	s_waitcnt vmcnt(11)
	v_mfma_f32_4x4x4_16b_bf16 a[0:3], v[64:65], v[46:47], a[0:3] cbsz:4 abid:6
	v_ashrrev_i32_e32 v46, 31, v80
	v_lshrrev_b32_e32 v96, 29, v46
	v_mfma_f32_4x4x4_16b_bf16 a[0:3], v[66:67], v[48:49], a[0:3] cbsz:4 abid:6
	global_load_dwordx4 v[14:17], v[98:99], off offset:2048
	global_load_dwordx4 v[10:13], v[98:99], off offset:2064
	s_waitcnt vmcnt(12)
	v_mfma_f32_4x4x4_16b_bf16 a[0:3], v[64:65], v[42:43], a[0:3] cbsz:4 abid:7
	v_mad_i64_i32 v[42:43], s[10:11], v92, s9, v[96:97]
	s_nop 0
	v_mfma_f32_4x4x4_16b_bf16 a[0:3], v[66:67], v[44:45], a[0:3] cbsz:4 abid:7
	v_lshlrev_b64 v[42:43], 1, v[42:43]
	v_and_b32_e32 v42, -16, v42
	s_waitcnt vmcnt(11)
	v_mfma_f32_4x4x4_16b_bf16 a[0:3], v[64:65], v[38:39], a[0:3] cbsz:4 abid:8
	v_lshl_add_u64 v[38:39], s[4:5], 0, v[42:43]
	v_lshl_add_u64 v[80:81], v[38:39], 0, v[62:63]
	v_mfma_f32_4x4x4_16b_bf16 a[0:3], v[66:67], v[40:41], a[0:3] cbsz:4 abid:8
	global_load_dwordx4 v[22:25], v[84:85], off
	global_load_dwordx4 v[30:33], v[84:85], off offset:16
	s_waitcnt vmcnt(12)
	v_mfma_f32_4x4x4_16b_bf16 a[0:3], v[64:65], v[34:35], a[0:3] cbsz:4 abid:9
	global_load_dwordx4 v[18:21], v[84:85], off offset:2048
	global_load_dwordx4 v[26:29], v[84:85], off offset:2064
	v_mfma_f32_4x4x4_16b_bf16 a[0:3], v[66:67], v[36:37], a[0:3] cbsz:4 abid:9
	global_load_dwordx4 v[46:49], v[80:81], off
	global_load_dwordx4 v[34:37], v[80:81], off offset:16
	s_waitcnt vmcnt(15)
	v_mfma_f32_4x4x4_16b_bf16 a[0:3], v[64:65], v[76:77], a[0:3] cbsz:4 abid:10
	v_mul_hi_i32 v76, v91, s9
	global_load_dwordx4 v[38:41], v[80:81], off offset:2048
	global_load_dwordx4 v[42:45], v[80:81], off offset:2064
	v_mfma_f32_4x4x4_16b_bf16 a[0:3], v[66:67], v[78:79], a[0:3] cbsz:4 abid:10
	s_load_dword s0, s[0:1], 0x1c
	v_cmp_eq_u32_e32 vcc, 0, v89
	s_waitcnt vmcnt(16)
	v_mfma_f32_4x4x4_16b_bf16 a[0:3], v[64:65], v[72:73], a[0:3] cbsz:4 abid:11
	v_ashrrev_i32_e32 v72, 31, v76
	v_lshrrev_b32_e32 v96, 29, v72
	v_mfma_f32_4x4x4_16b_bf16 a[0:3], v[66:67], v[74:75], a[0:3] cbsz:4 abid:11
	s_waitcnt vmcnt(15)
	s_nop 0
	v_mfma_f32_4x4x4_16b_bf16 a[0:3], v[64:65], v[58:59], a[0:3] cbsz:4 abid:12
	v_mad_i64_i32 v[58:59], s[8:9], v91, s9, v[96:97]
	s_nop 0
	v_mfma_f32_4x4x4_16b_bf16 a[0:3], v[66:67], v[60:61], a[0:3] cbsz:4 abid:12
	v_lshlrev_b64 v[58:59], 1, v[58:59]
	v_and_b32_e32 v58, -16, v58
	s_waitcnt vmcnt(14)
	v_mfma_f32_4x4x4_16b_bf16 a[0:3], v[64:65], v[54:55], a[0:3] cbsz:4 abid:13
	v_lshl_add_u64 v[54:55], s[4:5], 0, v[58:59]
	v_lshl_add_u64 v[72:73], v[54:55], 0, v[62:63]
	v_mfma_f32_4x4x4_16b_bf16 a[0:3], v[66:67], v[56:57], a[0:3] cbsz:4 abid:13
	s_waitcnt vmcnt(13)
	s_nop 0
	v_mfma_f32_4x4x4_16b_bf16 a[0:3], v[64:65], v[50:51], a[0:3] cbsz:4 abid:14
	s_nop 1
	v_mfma_f32_4x4x4_16b_bf16 a[0:3], v[66:67], v[52:53], a[0:3] cbsz:4 abid:14
	global_load_dwordx4 v[50:53], v[72:73], off
	global_load_dwordx4 v[54:57], v[72:73], off offset:16
	s_waitcnt vmcnt(14)
	v_mfma_f32_4x4x4_16b_bf16 a[0:3], v[64:65], v[68:69], a[0:3] cbsz:4 abid:15
	global_load_dwordx4 v[58:61], v[72:73], off offset:2048
	global_load_dwordx4 v[62:65], v[72:73], off offset:2064
	v_mfma_f32_4x4x4_16b_bf16 a[0:3], v[66:67], v[70:71], a[0:3] cbsz:4 abid:15
	v_cndmask_b32_e64 v70, 0, 1.0, vcc
	v_cmp_eq_u32_e32 vcc, 1, v89
	v_mov_b32_e32 v73, 0xff7fffff
	s_nop 1
	v_accvgpr_read_b32 v69, a1
	v_accvgpr_read_b32 v68, a0
	s_waitcnt lgkmcnt(0)
	v_pk_mul_f32 v[68:69], s[0:1], v[68:69] op_sel_hi:[0,1]
	v_accvgpr_read_b32 v67, a3
	v_accvgpr_read_b32 v66, a2
	v_pk_mul_f32 v[66:67], s[0:1], v[66:67] op_sel_hi:[0,1]
	v_mfma_f32_4x4x1_16b_f32 a[0:3], v68, v70, 0
	v_cndmask_b32_e64 v68, 0, 1.0, vcc
	v_cmp_eq_u32_e32 vcc, 2, v89
	s_nop 0
	v_mfma_f32_4x4x1_16b_f32 a[0:3], v69, v68, a[0:3]
	v_cndmask_b32_e64 v68, 0, 1.0, vcc
	v_cmp_eq_u32_e32 vcc, 3, v89
	s_nop 0
	v_mfma_f32_4x4x1_16b_f32 a[0:3], v66, v68, a[0:3]
	v_cndmask_b32_e64 v66, 0, 1.0, vcc
	s_nop 1
	v_mfma_f32_4x4x1_16b_f32 a[0:3], v67, v66, a[0:3]
	v_and_b32_e32 v66, -4, v90
	v_subrev_u32_e32 v67, s3, v66
	v_add_u32_e32 v68, 1, v67
	v_cvt_f32_i32_e32 v68, v68
	v_add_u32_e32 v69, 2, v67
	v_cvt_f32_i32_e32 v69, v69
	v_accvgpr_read_b32 v70, a0
	v_fma_f32 v68, v94, v68, v70
	v_accvgpr_read_b32 v70, a1
	v_fma_f32 v69, v94, v69, v70
	v_add_u32_e32 v70, 3, v67
	v_cvt_f32_i32_e32 v70, v70
	v_add_u32_e32 v67, 4, v67
	v_max_f32_e32 v72, 0xff7fffff, v68
	v_cmp_gt_i32_e32 vcc, s3, v66
	v_cvt_f32_i32_e32 v67, v67
	v_accvgpr_read_b32 v71, a2
	v_cndmask_b32_e32 v72, v73, v72, vcc
	v_or_b32_e32 v73, 1, v66
	v_max_f32_e32 v74, v72, v69
	v_cmp_gt_i32_e64 s[0:1], s3, v73
	v_fma_f32 v70, v94, v70, v71
	v_or_b32_e32 v66, 2, v66
	v_cndmask_b32_e64 v72, v72, v74, s[0:1]
	v_accvgpr_read_b32 v71, a3
	v_max_f32_e32 v73, v72, v70
	v_cmp_gt_i32_e64 s[4:5], s3, v66
	v_fmac_f32_e32 v71, v94, v67
	v_lshlrev_b32_e32 v67, 2, v0
	v_cndmask_b32_e64 v66, v72, v73, s[4:5]
	v_or_b32_e32 v72, 3, v90
	v_max_f32_e32 v73, v66, v71
	v_cmp_gt_i32_e64 s[8:9], s3, v72
	v_and_or_b32 v67, v67, 48, v89
	s_nop 0
	v_cndmask_b32_e64 v66, v66, v73, s[8:9]
	;;#ASMSTART
	v_nop
 v_nop
 v_max_f32_dpp v66, v66, v66 row_ror:4
	;;#ASMEND
	v_lshlrev_b32_e32 v73, 2, v67
	;;#ASMSTART
	v_nop
 v_nop
 v_max_f32_dpp v66, v66, v66 row_ror:8
	;;#ASMEND
	ds_bpermute_b32 v66, v73, v66
	s_waitcnt lgkmcnt(0)
	;;#ASMSTART
	v_nop
 v_nop
 v_max_f32_dpp v66, v66, v66 row_ror:4
	;;#ASMEND
	s_nop 0
	;;#ASMSTART
	v_nop
 v_nop
 v_max_f32_dpp v72, v66, v66 row_ror:8
	;;#ASMEND
	s_nop 0
	v_sub_f32_e32 v66, v68, v72
	v_mul_f32_e32 v66, 0x3fb8aa3b, v66
	v_sub_f32_e32 v67, v69, v72
	v_exp_f32_e32 v66, v66
	v_mul_f32_e32 v67, 0x3fb8aa3b, v67
	v_sub_f32_e32 v69, v70, v72
	v_exp_f32_e32 v67, v67
	;; [unrolled: 3-line block ×3, first 2 shown]
	v_mul_f32_e32 v70, 0x3fb8aa3b, v70
	v_exp_f32_e32 v70, v70
	v_cndmask_b32_e32 v66, 0, v66, vcc
	v_add_f32_e32 v68, 0, v66
	v_cndmask_b32_e64 v67, 0, v67, s[0:1]
	v_add_f32_e32 v71, v68, v67
	v_cndmask_b32_e64 v68, 0, v69, s[4:5]
	v_add_f32_e32 v71, v71, v68
	v_cndmask_b32_e64 v69, 0, v70, s[8:9]
	v_add_f32_e32 v70, v71, v69
	;;#ASMSTART
	v_nop
 v_nop
 v_add_f32_dpp v70, v70, v70 row_ror:4
	;;#ASMEND
	v_cmp_gt_u32_e32 vcc, 4, v1
	;;#ASMSTART
	v_nop
 v_nop
 v_add_f32_dpp v70, v70, v70 row_ror:8
	;;#ASMEND
	ds_bpermute_b32 v70, v73, v70
	s_waitcnt lgkmcnt(0)
	;;#ASMSTART
	v_nop
 v_nop
 v_add_f32_dpp v70, v70, v70 row_ror:4
	;;#ASMEND
	s_nop 0
	;;#ASMSTART
	v_nop
 v_nop
 v_add_f32_dpp v70, v70, v70 row_ror:8
	;;#ASMEND
	s_and_saveexec_b64 s[0:1], vcc
	s_cbranch_execz .LBB633_18
; %bb.17:
	v_mul_u32_u24_e32 v71, 20, v88
	v_lshl_add_u32 v71, v89, 2, v71
	v_add_u32_e32 v71, 0x1400, v71
	ds_write2_b32 v71, v72, v70 offset1:20
.LBB633_18:
	s_or_b64 exec, exec, s[0:1]
.LBB633_19:
	s_or_b64 exec, exec, s[22:23]
	s_waitcnt lgkmcnt(0)
	s_barrier
	s_load_dword s0, s[20:21], 0x8
	v_lshlrev_b32_e32 v70, 2, v89
	v_add_u32_e32 v73, 0x1400, v70
	ds_read2_b32 v[70:71], v73 offset1:5
	ds_read2_b32 v[76:77], v73 offset0:10 offset1:15
	s_mul_i32 s1, s2, s34
	s_waitcnt lgkmcnt(0)
	s_mul_i32 s1, s1, s0
	s_lshl_b32 s0, s1, 1
	s_mov_b32 s1, 0xff7fffff
	v_max3_f32 v74, v70, s1, v71
	v_max3_f32 v74, v74, v76, v77
	v_sub_f32_e32 v70, v70, v74
	v_mul_f32_e32 v70, 0x3fb8aa3b, v70
	v_exp_f32_e32 v75, v70
	v_sub_f32_e32 v70, v71, v74
	ds_read2_b32 v[78:79], v73 offset0:20 offset1:25
	v_mul_f32_e32 v70, 0x3fb8aa3b, v70
	v_exp_f32_e32 v80, v70
	ds_read2_b32 v[70:71], v73 offset0:30 offset1:35
	v_sub_f32_e32 v73, v76, v74
	v_mul_f32_e32 v73, 0x3fb8aa3b, v73
	v_sub_f32_e32 v76, v77, v74
	v_exp_f32_e32 v73, v73
	v_mul_f32_e32 v76, 0x3fb8aa3b, v76
	v_exp_f32_e32 v76, v76
	s_waitcnt lgkmcnt(1)
	v_fma_f32 v75, v75, v78, 0
	v_fmac_f32_e32 v75, v80, v79
	s_waitcnt lgkmcnt(0)
	v_fmac_f32_e32 v75, v73, v70
	v_fmac_f32_e32 v75, v76, v71
	v_cmp_gt_u32_e32 vcc, 2, v89
	s_and_saveexec_b64 s[2:3], vcc
	s_cbranch_execz .LBB633_21
; %bb.20:
	s_mov_b32 s1, 0
	s_lshl_b64 s[4:5], s[0:1], 2
	s_add_u32 s10, s12, s4
	s_mov_b32 s17, s1
	s_addc_u32 s11, s13, s5
	s_lshl_b64 s[8:9], s[16:17], 2
	s_add_u32 s10, s10, s8
	s_addc_u32 s11, s11, s9
	s_add_u32 s1, s14, s4
	s_addc_u32 s5, s15, s5
	v_or_b32_e32 v70, s33, v89
	s_add_u32 s4, s1, s8
	v_mul_lo_u32 v70, s34, v70
	v_mov_b32_e32 v71, 0
	s_addc_u32 s5, s5, s9
	v_lshlrev_b64 v[70:71], 2, v[70:71]
	v_lshl_add_u64 v[76:77], s[10:11], 0, v[70:71]
	v_lshl_add_u64 v[70:71], s[4:5], 0, v[70:71]
	global_store_dword v[70:71], v74, off
	global_store_dword v[76:77], v75, off
.LBB633_21:
	s_or_b64 exec, exec, s[2:3]
	v_lshlrev_b32_e32 v73, 3, v88
                                        ; implicit-def: $sgpr1
	s_and_saveexec_b64 s[2:3], s[6:7]
	s_xor_b64 s[2:3], exec, s[2:3]
	s_cbranch_execz .LBB633_23
; %bb.22:
	s_waitcnt vmcnt(15)
	v_mov_b32_e32 v2, 0
	v_mad_u32_u24 v4, v1, 40, v73
	s_mov_b32 s1, 0
	v_mov_b32_e32 v3, v2
	ds_write_b64 v4, v[2:3]
                                        ; implicit-def: $vgpr69
                                        ; implicit-def: $vgpr67
                                        ; implicit-def: $vgpr3
                                        ; implicit-def: $vgpr7
                                        ; implicit-def: $vgpr23
                                        ; implicit-def: $vgpr31
                                        ; implicit-def: $vgpr47
                                        ; implicit-def: $vgpr35
                                        ; implicit-def: $vgpr51
                                        ; implicit-def: $vgpr55
                                        ; implicit-def: $vgpr15
                                        ; implicit-def: $vgpr11
                                        ; implicit-def: $vgpr19
                                        ; implicit-def: $vgpr27
                                        ; implicit-def: $vgpr39
                                        ; implicit-def: $vgpr43
                                        ; implicit-def: $vgpr59
                                        ; implicit-def: $vgpr63
                                        ; implicit-def: $vgpr72
                                        ; implicit-def: $vgpr74
                                        ; implicit-def: $vgpr75
.LBB633_23:
	s_or_saveexec_b64 s[2:3], s[2:3]
	v_mov_b32_e32 v70, s1
	v_mov_b32_e32 v71, s1
	s_xor_b64 exec, exec, s[2:3]
	s_cbranch_execz .LBB633_25
; %bb.24:
	v_add_f32_e32 v70, 0x358637bd, v75
	v_div_scale_f32 v71, s[4:5], v70, v70, 1.0
	v_rcp_f32_e32 v75, v71
	v_sub_f32_e32 v72, v72, v74
	v_mul_f32_e32 v72, 0x3fb8aa3b, v72
	v_exp_f32_e32 v72, v72
	v_fma_f32 v74, -v71, v75, 1.0
	v_fmac_f32_e32 v75, v74, v75
	v_div_scale_f32 v74, vcc, 1.0, v70, 1.0
	v_mul_f32_e32 v76, v74, v75
	v_fma_f32 v77, -v71, v76, v74
	v_fmac_f32_e32 v76, v77, v75
	v_fma_f32 v71, -v71, v76, v74
	v_div_fmas_f32 v71, v71, v75, v76
	v_div_fixup_f32 v70, v71, v70, 1.0
	v_mul_f32_e32 v70, v72, v70
	v_pk_mul_f32 v[66:67], v[66:67], v[70:71] op_sel_hi:[1,0]
	v_pk_mul_f32 v[68:69], v[68:69], v[70:71] op_sel_hi:[1,0]
	v_bfe_u32 v70, v67, 16, 1
	v_bfe_u32 v71, v66, 16, 1
	s_movk_i32 s1, 0x7fff
	v_add3_u32 v66, v66, v71, s1
	v_add3_u32 v67, v67, v70, s1
	s_mov_b32 s4, 0x7060302
	v_perm_b32 v66, v67, v66, s4
	v_bfe_u32 v67, v69, 16, 1
	v_bfe_u32 v70, v68, 16, 1
	v_add3_u32 v68, v68, v70, s1
	v_add3_u32 v67, v69, v67, s1
	v_perm_b32 v67, v67, v68, s4
	s_waitcnt vmcnt(15)
	s_nop 0
	v_mfma_f32_4x4x4_16b_bf16 a[0:3], v[66:67], v[2:3], 0 cbsz:4
	s_nop 1
	v_mfma_f32_4x4x4_16b_bf16 a[0:3], v[66:67], v[4:5], a[0:3] cbsz:4 abid:1
	s_waitcnt vmcnt(13)
	v_mfma_f32_4x4x4_16b_bf16 a[4:7], v[66:67], v[14:15], 0 cbsz:4
	v_mfma_f32_4x4x4_16b_bf16 a[0:3], v[66:67], v[6:7], a[0:3] cbsz:4 abid:2
	s_nop 0
	v_mfma_f32_4x4x4_16b_bf16 a[4:7], v[66:67], v[16:17], a[4:7] cbsz:4 abid:1
	v_mfma_f32_4x4x4_16b_bf16 a[0:3], v[66:67], v[8:9], a[0:3] cbsz:4 abid:3
	s_waitcnt vmcnt(12)
	v_mfma_f32_4x4x4_16b_bf16 a[4:7], v[66:67], v[10:11], a[4:7] cbsz:4 abid:2
	s_waitcnt vmcnt(11)
	v_mfma_f32_4x4x4_16b_bf16 a[0:3], v[66:67], v[22:23], a[0:3] cbsz:4 abid:4
	s_nop 1
	v_mfma_f32_4x4x4_16b_bf16 a[0:3], v[66:67], v[24:25], a[0:3] cbsz:4 abid:5
	s_waitcnt vmcnt(10)
	s_nop 0
	v_mfma_f32_4x4x4_16b_bf16 a[0:3], v[66:67], v[30:31], a[0:3] cbsz:4 abid:6
	s_nop 1
	v_mfma_f32_4x4x4_16b_bf16 a[0:3], v[66:67], v[32:33], a[0:3] cbsz:4 abid:7
	s_waitcnt vmcnt(7)
	s_nop 0
	;; [unrolled: 5-line block ×5, first 2 shown]
	v_mfma_f32_4x4x4_16b_bf16 a[0:3], v[66:67], v[54:55], a[0:3] cbsz:4 abid:14
	s_nop 1
	v_mfma_f32_4x4x4_16b_bf16 a[0:3], v[66:67], v[56:57], a[0:3] cbsz:4 abid:15
	s_nop 4
	v_accvgpr_read_b32 v3, a2
	v_accvgpr_read_b32 v4, a3
	;; [unrolled: 1-line block ×4, first 2 shown]
	v_mfma_f32_4x4x4_16b_bf16 a[0:3], v[66:67], v[12:13], a[4:7] cbsz:4 abid:3
	v_bfe_u32 v6, v5, 16, 1
	v_bfe_u32 v7, v2, 16, 1
	v_mfma_f32_4x4x4_16b_bf16 a[0:3], v[66:67], v[18:19], a[0:3] cbsz:4 abid:4
	v_add3_u32 v2, v2, v7, s1
	v_add3_u32 v5, v5, v6, s1
	v_mfma_f32_4x4x4_16b_bf16 a[0:3], v[66:67], v[20:21], a[0:3] cbsz:4 abid:5
	v_perm_b32 v2, v5, v2, s4
	v_bfe_u32 v5, v4, 16, 1
	v_mfma_f32_4x4x4_16b_bf16 a[0:3], v[66:67], v[26:27], a[0:3] cbsz:4 abid:6
	v_bfe_u32 v6, v3, 16, 1
	v_add3_u32 v3, v3, v6, s1
	v_mfma_f32_4x4x4_16b_bf16 a[0:3], v[66:67], v[28:29], a[0:3] cbsz:4 abid:7
	v_add3_u32 v4, v4, v5, s1
	v_perm_b32 v3, v4, v3, s4
	v_mfma_f32_4x4x4_16b_bf16 a[0:3], v[66:67], v[38:39], a[0:3] cbsz:4 abid:8
	v_mad_u32_u24 v4, v1, 40, v73
	ds_write_b64 v4, v[2:3]
	v_mfma_f32_4x4x4_16b_bf16 a[0:3], v[66:67], v[40:41], a[0:3] cbsz:4 abid:9
	s_nop 1
	v_mfma_f32_4x4x4_16b_bf16 a[0:3], v[66:67], v[42:43], a[0:3] cbsz:4 abid:10
	s_nop 1
	v_mfma_f32_4x4x4_16b_bf16 a[0:3], v[66:67], v[44:45], a[0:3] cbsz:4 abid:11
	s_waitcnt vmcnt(1)
	s_nop 0
	v_mfma_f32_4x4x4_16b_bf16 a[0:3], v[66:67], v[58:59], a[0:3] cbsz:4 abid:12
	s_nop 1
	v_mfma_f32_4x4x4_16b_bf16 a[0:3], v[66:67], v[60:61], a[0:3] cbsz:4 abid:13
	s_waitcnt vmcnt(0)
	s_nop 0
	v_mfma_f32_4x4x4_16b_bf16 a[0:3], v[66:67], v[62:63], a[0:3] cbsz:4 abid:14
	s_nop 1
	v_mfma_f32_4x4x4_16b_bf16 a[0:3], v[66:67], v[64:65], a[0:3] cbsz:4 abid:15
	s_nop 4
	v_accvgpr_read_b32 v4, a0
	v_accvgpr_read_b32 v5, a1
	;; [unrolled: 1-line block ×4, first 2 shown]
	v_bfe_u32 v6, v5, 16, 1
	v_bfe_u32 v7, v4, 16, 1
	v_add3_u32 v4, v4, v7, s1
	v_add3_u32 v5, v5, v6, s1
	v_bfe_u32 v6, v3, 16, 1
	v_bfe_u32 v7, v2, 16, 1
	v_add3_u32 v2, v2, v7, s1
	v_add3_u32 v3, v3, v6, s1
	v_perm_b32 v71, v3, v2, s4
	v_perm_b32 v70, v5, v4, s4
.LBB633_25:
	s_or_b64 exec, exec, s[2:3]
	s_waitcnt vmcnt(15)
	v_mad_u32_u24 v2, v1, 40, v73
	v_cmp_gt_u32_e32 vcc, 64, v0
	ds_write_b64 v2, v[70:71] offset:2560
	s_waitcnt lgkmcnt(0)
	s_barrier
	s_and_saveexec_b64 s[2:3], vcc
	s_cbranch_execz .LBB633_27
; %bb.26:
	s_waitcnt vmcnt(14)
	v_mul_u32_u24_e32 v6, 40, v1
	ds_read2_b64 v[2:5], v6 offset1:1
	ds_read2_b64 v[6:9], v6 offset0:2 offset1:3
	s_mov_b32 s1, 0
	s_lshl_b32 s0, s0, 7
	s_lshl_b64 s[2:3], s[0:1], 1
	s_waitcnt lgkmcnt(1)
	v_and_b32_e32 v3, 0xffff0000, v2
	v_add_f32_e32 v3, 0, v3
	v_and_b32_e32 v5, 0xffff0000, v4
	v_and_b32_e32 v3, 0xffff0000, v3
	v_add_f32_e32 v3, v3, v5
	s_waitcnt lgkmcnt(0)
	v_and_b32_e32 v7, 0xffff0000, v6
	v_and_b32_e32 v3, 0xffff0000, v3
	v_add_f32_e32 v3, v3, v7
	v_mov_b32_e32 v7, 0xa00
	v_mad_u32_u24 v7, v1, 40, v7
	s_waitcnt vmcnt(12)
	ds_read2_b64 v[10:13], v7 offset1:1
	v_and_b32_e32 v3, 0xffff0000, v3
	v_and_b32_e32 v5, 0xffff0000, v8
	v_add_f32_e32 v7, v3, v5
	v_mov_b32_e32 v3, 0xa10
	v_mad_u32_u24 v1, v1, 40, v3
	ds_read2_b64 v[14:17], v1 offset1:1
	s_waitcnt lgkmcnt(1)
	v_lshlrev_b32_e32 v1, 16, v10
	v_add_f32_e32 v1, 0, v1
	v_and_b32_e32 v3, 0xffff0000, v10
	v_and_b32_e32 v1, 0xffff0000, v1
	v_add_f32_e32 v3, 0, v3
	v_lshlrev_b32_e32 v5, 16, v12
	v_and_b32_e32 v3, 0xffff0000, v3
	v_add_f32_e32 v1, v1, v5
	v_and_b32_e32 v5, 0xffff0000, v12
	v_and_b32_e32 v1, 0xffff0000, v1
	v_add_f32_e32 v3, v3, v5
	s_waitcnt lgkmcnt(0)
	v_lshlrev_b32_e32 v5, 16, v14
	v_and_b32_e32 v3, 0xffff0000, v3
	v_add_f32_e32 v1, v1, v5
	v_and_b32_e32 v5, 0xffff0000, v14
	v_and_b32_e32 v1, 0xffff0000, v1
	v_add_f32_e32 v3, v3, v5
	v_lshlrev_b32_e32 v5, 16, v16
	v_and_b32_e32 v3, 0xffff0000, v3
	v_add_f32_e32 v9, v1, v5
	v_and_b32_e32 v1, 0xffff0000, v16
	v_add_f32_e32 v10, v3, v1
	v_lshlrev_b32_e32 v1, 16, v2
	s_add_u32 s2, s18, s2
	v_add_f32_e32 v1, 0, v1
	s_addc_u32 s3, s19, s3
	s_lshl_b32 s0, s16, 7
	v_and_b32_e32 v1, 0xffff0000, v1
	v_lshlrev_b32_e32 v2, 16, v4
	s_lshl_b64 s[0:1], s[0:1], 1
	v_add_f32_e32 v1, v1, v2
	s_add_u32 s0, s2, s0
	v_and_b32_e32 v1, 0xffff0000, v1
	v_lshlrev_b32_e32 v2, 16, v6
	s_addc_u32 s1, s3, s1
	s_lshl_b32 s2, s34, 7
	v_add_f32_e32 v1, v1, v2
	v_and_b32_e32 v1, 0xffff0000, v1
	v_lshlrev_b32_e32 v2, 16, v8
	s_mul_i32 s3, s2, s33
	v_add_f32_e32 v1, v1, v2
	v_or_b32_e32 v2, s3, v0
	v_mov_b32_e32 v3, 0
	s_add_i32 s3, s3, s2
	v_lshl_add_u64 v[4:5], v[2:3], 1, s[0:1]
	v_or_b32_e32 v2, s3, v0
	global_store_short_d16_hi v[4:5], v1, off
	v_lshl_add_u64 v[0:1], v[2:3], 1, s[0:1]
	global_store_short_d16_hi v[0:1], v7, off
	global_store_short_d16_hi v[4:5], v9, off offset:128
	global_store_short_d16_hi v[0:1], v10, off offset:128
.LBB633_27:
	s_endpgm
	.section	.rodata,"a",@progbits
	.p2align	6, 0x0
	.amdhsa_kernel _Z38paged_attention_ll4mi_QKV_mfma4_kernelI14__hip_bfloat16S0_LN4vllm18Fp8KVCacheDataTypeE0ES0_Li16ELi128ELi256ELb1ELi2EEvPKT_PKT0_S8_ifPKiSA_SA_iPKfiiiPfSD_PS3_PT2_iSC_SC_
		.amdhsa_group_segment_fixed_size 5280
		.amdhsa_private_segment_fixed_size 0
		.amdhsa_kernarg_size 400
		.amdhsa_user_sgpr_count 2
		.amdhsa_user_sgpr_dispatch_ptr 0
		.amdhsa_user_sgpr_queue_ptr 0
		.amdhsa_user_sgpr_kernarg_segment_ptr 1
		.amdhsa_user_sgpr_dispatch_id 0
		.amdhsa_user_sgpr_kernarg_preload_length 0
		.amdhsa_user_sgpr_kernarg_preload_offset 0
		.amdhsa_user_sgpr_private_segment_size 0
		.amdhsa_uses_dynamic_stack 0
		.amdhsa_enable_private_segment 0
		.amdhsa_system_sgpr_workgroup_id_x 1
		.amdhsa_system_sgpr_workgroup_id_y 1
		.amdhsa_system_sgpr_workgroup_id_z 1
		.amdhsa_system_sgpr_workgroup_info 0
		.amdhsa_system_vgpr_workitem_id 0
		.amdhsa_next_free_vgpr 108
		.amdhsa_next_free_sgpr 40
		.amdhsa_accum_offset 100
		.amdhsa_reserve_vcc 1
		.amdhsa_float_round_mode_32 0
		.amdhsa_float_round_mode_16_64 0
		.amdhsa_float_denorm_mode_32 3
		.amdhsa_float_denorm_mode_16_64 3
		.amdhsa_dx10_clamp 1
		.amdhsa_ieee_mode 1
		.amdhsa_fp16_overflow 0
		.amdhsa_tg_split 0
		.amdhsa_exception_fp_ieee_invalid_op 0
		.amdhsa_exception_fp_denorm_src 0
		.amdhsa_exception_fp_ieee_div_zero 0
		.amdhsa_exception_fp_ieee_overflow 0
		.amdhsa_exception_fp_ieee_underflow 0
		.amdhsa_exception_fp_ieee_inexact 0
		.amdhsa_exception_int_div_zero 0
	.end_amdhsa_kernel
	.section	.text._Z38paged_attention_ll4mi_QKV_mfma4_kernelI14__hip_bfloat16S0_LN4vllm18Fp8KVCacheDataTypeE0ES0_Li16ELi128ELi256ELb1ELi2EEvPKT_PKT0_S8_ifPKiSA_SA_iPKfiiiPfSD_PS3_PT2_iSC_SC_,"axG",@progbits,_Z38paged_attention_ll4mi_QKV_mfma4_kernelI14__hip_bfloat16S0_LN4vllm18Fp8KVCacheDataTypeE0ES0_Li16ELi128ELi256ELb1ELi2EEvPKT_PKT0_S8_ifPKiSA_SA_iPKfiiiPfSD_PS3_PT2_iSC_SC_,comdat
.Lfunc_end633:
	.size	_Z38paged_attention_ll4mi_QKV_mfma4_kernelI14__hip_bfloat16S0_LN4vllm18Fp8KVCacheDataTypeE0ES0_Li16ELi128ELi256ELb1ELi2EEvPKT_PKT0_S8_ifPKiSA_SA_iPKfiiiPfSD_PS3_PT2_iSC_SC_, .Lfunc_end633-_Z38paged_attention_ll4mi_QKV_mfma4_kernelI14__hip_bfloat16S0_LN4vllm18Fp8KVCacheDataTypeE0ES0_Li16ELi128ELi256ELb1ELi2EEvPKT_PKT0_S8_ifPKiSA_SA_iPKfiiiPfSD_PS3_PT2_iSC_SC_
                                        ; -- End function
	.section	.AMDGPU.csdata,"",@progbits
; Kernel info:
; codeLenInByte = 4260
; NumSgprs: 46
; NumVgprs: 100
; NumAgprs: 8
; TotalNumVgprs: 108
; ScratchSize: 0
; MemoryBound: 0
; FloatMode: 240
; IeeeMode: 1
; LDSByteSize: 5280 bytes/workgroup (compile time only)
; SGPRBlocks: 5
; VGPRBlocks: 13
; NumSGPRsForWavesPerEU: 46
; NumVGPRsForWavesPerEU: 108
; AccumOffset: 100
; Occupancy: 4
; WaveLimiterHint : 1
; COMPUTE_PGM_RSRC2:SCRATCH_EN: 0
; COMPUTE_PGM_RSRC2:USER_SGPR: 2
; COMPUTE_PGM_RSRC2:TRAP_HANDLER: 0
; COMPUTE_PGM_RSRC2:TGID_X_EN: 1
; COMPUTE_PGM_RSRC2:TGID_Y_EN: 1
; COMPUTE_PGM_RSRC2:TGID_Z_EN: 1
; COMPUTE_PGM_RSRC2:TIDIG_COMP_CNT: 0
; COMPUTE_PGM_RSRC3_GFX90A:ACCUM_OFFSET: 24
; COMPUTE_PGM_RSRC3_GFX90A:TG_SPLIT: 0
	.section	.text._Z38paged_attention_ll4mi_QKV_mfma4_kernelI14__hip_bfloat16S0_LN4vllm18Fp8KVCacheDataTypeE0ES0_Li16ELi128ELi256ELb1ELi3EEvPKT_PKT0_S8_ifPKiSA_SA_iPKfiiiPfSD_PS3_PT2_iSC_SC_,"axG",@progbits,_Z38paged_attention_ll4mi_QKV_mfma4_kernelI14__hip_bfloat16S0_LN4vllm18Fp8KVCacheDataTypeE0ES0_Li16ELi128ELi256ELb1ELi3EEvPKT_PKT0_S8_ifPKiSA_SA_iPKfiiiPfSD_PS3_PT2_iSC_SC_,comdat
	.protected	_Z38paged_attention_ll4mi_QKV_mfma4_kernelI14__hip_bfloat16S0_LN4vllm18Fp8KVCacheDataTypeE0ES0_Li16ELi128ELi256ELb1ELi3EEvPKT_PKT0_S8_ifPKiSA_SA_iPKfiiiPfSD_PS3_PT2_iSC_SC_ ; -- Begin function _Z38paged_attention_ll4mi_QKV_mfma4_kernelI14__hip_bfloat16S0_LN4vllm18Fp8KVCacheDataTypeE0ES0_Li16ELi128ELi256ELb1ELi3EEvPKT_PKT0_S8_ifPKiSA_SA_iPKfiiiPfSD_PS3_PT2_iSC_SC_
	.globl	_Z38paged_attention_ll4mi_QKV_mfma4_kernelI14__hip_bfloat16S0_LN4vllm18Fp8KVCacheDataTypeE0ES0_Li16ELi128ELi256ELb1ELi3EEvPKT_PKT0_S8_ifPKiSA_SA_iPKfiiiPfSD_PS3_PT2_iSC_SC_
	.p2align	8
	.type	_Z38paged_attention_ll4mi_QKV_mfma4_kernelI14__hip_bfloat16S0_LN4vllm18Fp8KVCacheDataTypeE0ES0_Li16ELi128ELi256ELb1ELi3EEvPKT_PKT0_S8_ifPKiSA_SA_iPKfiiiPfSD_PS3_PT2_iSC_SC_,@function
_Z38paged_attention_ll4mi_QKV_mfma4_kernelI14__hip_bfloat16S0_LN4vllm18Fp8KVCacheDataTypeE0ES0_Li16ELi128ELi256ELb1ELi3EEvPKT_PKT0_S8_ifPKiSA_SA_iPKfiiiPfSD_PS3_PT2_iSC_SC_: ; @_Z38paged_attention_ll4mi_QKV_mfma4_kernelI14__hip_bfloat16S0_LN4vllm18Fp8KVCacheDataTypeE0ES0_Li16ELi128ELi256ELb1ELi3EEvPKT_PKT0_S8_ifPKiSA_SA_iPKfiiiPfSD_PS3_PT2_iSC_SC_
; %bb.0:
	s_load_dwordx2 s[8:9], s[0:1], 0x30
	s_mov_b32 s16, s3
	s_mov_b64 s[6:7], 0
	s_waitcnt lgkmcnt(0)
	s_cmp_lg_u64 s[8:9], 0
	s_cselect_b64 s[10:11], -1, 0
	s_and_b64 vcc, exec, s[10:11]
	s_cbranch_vccz .LBB634_10
; %bb.1:
	s_add_i32 s12, s2, 1
	s_mov_b32 s13, 0
	s_lshl_b64 s[14:15], s[12:13], 2
	s_add_u32 s14, s8, s14
	s_mov_b32 s3, s13
	s_addc_u32 s15, s9, s15
	s_lshl_b64 s[12:13], s[2:3], 2
	s_add_u32 s12, s8, s12
	s_addc_u32 s13, s9, s13
	s_load_dword s5, s[14:15], 0x0
	s_load_dword s17, s[12:13], 0x0
	s_waitcnt lgkmcnt(0)
	s_sub_i32 s5, s5, s17
	s_cmp_eq_u32 s5, 1
	s_cselect_b64 s[12:13], -1, 0
	s_andn2_b64 vcc, exec, s[6:7]
	s_cbranch_vccnz .LBB634_3
.LBB634_2:
	s_mov_b32 s3, 0
	s_mov_b64 s[12:13], -1
.LBB634_3:
	s_andn2_b64 vcc, exec, s[12:13]
	s_cbranch_vccnz .LBB634_27
; %bb.4:
	s_load_dword s5, s[0:1], 0x9c
	s_load_dwordx2 s[6:7], s[0:1], 0x28
	s_add_u32 s20, s0, 0x90
	s_addc_u32 s21, s1, 0
	s_lshl_b64 s[24:25], s[2:3], 2
	s_waitcnt lgkmcnt(0)
	s_and_b32 s5, s5, 0xffff
	s_add_u32 s6, s6, s24
	s_addc_u32 s7, s7, s25
	s_load_dword s3, s[6:7], 0x0
	s_mul_i32 s5, s16, s5
	s_waitcnt lgkmcnt(0)
	s_cmp_ge_i32 s5, s3
	s_cbranch_scc1 .LBB634_27
; %bb.5:
	v_and_b32_e32 v1, 0xc0, v0
	v_add_u32_e32 v2, s5, v1
	v_lshrrev_b32_e32 v90, 6, v0
	v_cmp_le_i32_e64 s[6:7], s3, v2
                                        ; implicit-def: $sgpr26
                                        ; implicit-def: $sgpr17
	s_and_saveexec_b64 s[12:13], s[6:7]
	s_xor_b64 s[12:13], exec, s[12:13]
	s_cbranch_execz .LBB634_7
; %bb.6:
	v_mul_u32_u24_e32 v1, 20, v90
	v_or_b32_e32 v1, 0x1400, v1
	v_mov_b32_e32 v2, 0x1450
	v_mov_b32_e32 v3, 0xff7fffff
	v_mad_u32_u24 v2, v90, 20, v2
	ds_write2_b32 v1, v3, v3 offset1:1
	v_mov_b32_e32 v1, 0
	ds_write2_b32 v2, v1, v1 offset1:1
	v_mov_b32_e32 v2, 0x1408
	s_mov_b32 s17, 0xff7fffff
	s_mov_b32 s26, 0
	v_mad_u32_u24 v2, v90, 20, v2
	v_mov_b32_e32 v4, 0x1458
	v_mad_u32_u24 v4, v90, 20, v4
	ds_write2_b32 v2, v3, v3 offset1:1
	ds_write2_b32 v4, v1, v1 offset1:1
                                        ; implicit-def: $vgpr2
.LBB634_7:
	s_or_saveexec_b64 s[22:23], s[12:13]
	s_load_dwordx2 s[18:19], s[0:1], 0x68
	s_load_dwordx4 s[12:15], s[0:1], 0x58
	s_load_dword s34, s[20:21], 0x4
	v_and_b32_e32 v1, 63, v0
	v_and_b32_e32 v91, 3, v0
	s_mul_i32 s33, s4, 3
	v_mov_b32_e32 v69, s26
	v_mov_b32_e32 v72, s17
	;; [unrolled: 1-line block ×5, first 2 shown]
                                        ; implicit-def: $vgpr3
                                        ; implicit-def: $vgpr7
                                        ; implicit-def: $vgpr23
                                        ; implicit-def: $vgpr31
                                        ; implicit-def: $vgpr47
                                        ; implicit-def: $vgpr35
                                        ; implicit-def: $vgpr51
                                        ; implicit-def: $vgpr55
                                        ; implicit-def: $vgpr15
                                        ; implicit-def: $vgpr11
                                        ; implicit-def: $vgpr19
                                        ; implicit-def: $vgpr27
                                        ; implicit-def: $vgpr39
                                        ; implicit-def: $vgpr43
                                        ; implicit-def: $vgpr59
                                        ; implicit-def: $vgpr63
	s_xor_b64 exec, exec, s[22:23]
	s_cbranch_execz .LBB634_19
; %bb.8:
	s_add_i32 s28, s3, 15
	s_ashr_i32 s29, s28, 31
	s_lshr_b32 s29, s29, 28
	v_add_u32_e32 v92, s5, v0
	s_add_i32 s28, s28, s29
	v_ashrrev_i32_e32 v3, 31, v92
	s_load_dwordx2 s[26:27], s[0:1], 0x20
	s_load_dword s17, s[0:1], 0x38
	s_ashr_i32 s28, s28, 4
	v_lshrrev_b32_e32 v3, 28, v3
	s_add_i32 s30, s28, -1
	v_add_u32_e32 v3, v92, v3
	v_ashrrev_i32_e32 v3, 4, v3
	v_mov_b32_e32 v4, s30
	v_cmp_gt_i32_e32 vcc, s3, v92
	s_waitcnt lgkmcnt(0)
	s_mul_i32 s28, s2, s17
	s_mov_b32 s29, 0
	v_cndmask_b32_e32 v4, v4, v3, vcc
	v_ashrrev_i32_e32 v3, 31, v2
	v_lshrrev_b32_e32 v3, 28, v3
	v_add_u32_e32 v2, v2, v3
	s_lshl_b64 s[28:29], s[28:29], 2
	v_ashrrev_i32_e32 v12, 4, v2
	s_add_u32 s26, s26, s28
	v_min_i32_e32 v2, s30, v12
	s_addc_u32 s27, s27, s29
	v_ashrrev_i32_e32 v3, 31, v2
	v_lshl_add_u64 v[6:7], v[2:3], 2, s[26:27]
	v_add_u32_e32 v2, 1, v12
	v_min_i32_e32 v2, s30, v2
	v_ashrrev_i32_e32 v3, 31, v2
	v_lshl_add_u64 v[8:9], v[2:3], 2, s[26:27]
	v_add_u32_e32 v2, 2, v12
	v_min_i32_e32 v2, s30, v2
	v_ashrrev_i32_e32 v3, 31, v2
	v_lshl_add_u64 v[10:11], v[2:3], 2, s[26:27]
	v_add_u32_e32 v2, 3, v12
	v_ashrrev_i32_e32 v5, 31, v4
	v_min_i32_e32 v2, s30, v2
	v_lshl_add_u64 v[4:5], v[4:5], 2, s[26:27]
	v_ashrrev_i32_e32 v3, 31, v2
	v_lshl_add_u64 v[12:13], v[2:3], 2, s[26:27]
	global_load_dword v3, v[4:5], off
	global_load_dword v2, v[6:7], off
	;; [unrolled: 1-line block ×5, first 2 shown]
	s_load_dwordx2 s[26:27], s[0:1], 0x8
	s_andn2_b64 vcc, exec, s[10:11]
	s_cbranch_vccnz .LBB634_11
; %bb.9:
	s_add_u32 s8, s8, s24
	s_addc_u32 s9, s9, s25
	s_load_dword s5, s[8:9], 0x0
	s_branch .LBB634_12
.LBB634_10:
	s_mov_b64 s[12:13], 0
	s_branch .LBB634_2
.LBB634_11:
	s_mov_b32 s5, s2
.LBB634_12:
	s_load_dwordx2 s[24:25], s[0:1], 0x10
	s_load_dwordx4 s[8:11], s[0:1], 0x48
	v_cmp_ne_u32_e32 vcc, 3, v91
	s_mov_b32 s29, 0
	v_mov_b32_e32 v55, 0
	v_mov_b32_e32 v56, 0
	;; [unrolled: 1-line block ×5, first 2 shown]
	s_and_saveexec_b64 s[30:31], vcc
	s_cbranch_execz .LBB634_14
; %bb.13:
	s_load_dwordx2 s[36:37], s[0:1], 0x0
	s_waitcnt lgkmcnt(0)
	s_ashr_i32 s11, s8, 31
	s_mul_hi_u32 s17, s5, s8
	s_mul_i32 s11, s5, s11
	s_add_i32 s39, s17, s11
	s_mul_i32 s38, s5, s8
	s_lshl_b64 s[38:39], s[38:39], 1
	s_add_u32 s5, s36, s38
	s_mul_i32 s28, s4, 0x180
	s_addc_u32 s8, s37, s39
	s_lshl_b64 s[36:37], s[28:29], 1
	v_lshlrev_b32_e32 v4, 2, v1
	s_add_u32 s36, s5, s36
	v_and_b32_e32 v4, 0xf0, v4
	s_addc_u32 s37, s8, s37
	v_lshl_or_b32 v4, v91, 8, v4
	global_load_dwordx4 v[56:59], v4, s[36:37]
.LBB634_14:
	s_or_b64 exec, exec, s[30:31]
	s_waitcnt lgkmcnt(0)
	s_mul_i32 s28, s4, s10
	s_lshl_b64 s[4:5], s[28:29], 1
	s_add_u32 s10, s4, s26
	s_waitcnt vmcnt(4)
	v_mad_i64_i32 v[4:5], s[30:31], v3, s9, 0
	s_addc_u32 s11, s5, s27
	v_and_b32_e32 v3, 15, v0
	v_lshl_add_u64 v[4:5], v[4:5], 1, s[10:11]
	v_lshlrev_b32_e32 v54, 4, v3
	v_lshl_add_u64 v[4:5], v[4:5], 0, v[54:55]
	global_load_dwordx4 v[8:11], v[4:5], off
	global_load_dwordx4 v[84:87], v[4:5], off offset:256
	global_load_dwordx4 v[30:33], v[4:5], off offset:512
	;; [unrolled: 1-line block ×15, first 2 shown]
	v_mov_b32_e32 v89, 1.0
	v_mov_b32_e32 v88, 0
	s_and_saveexec_b64 s[10:11], vcc
	s_cbranch_execz .LBB634_16
; %bb.15:
	s_load_dwordx2 s[26:27], s[0:1], 0x40
	v_add_u32_e32 v88, s33, v91
	v_mov_b32_e32 v89, 0
	s_waitcnt lgkmcnt(0)
	v_lshl_add_u64 v[4:5], v[88:89], 2, s[26:27]
	global_load_dword v88, v[4:5], off
.LBB634_16:
	s_or_b64 exec, exec, s[10:11]
	s_waitcnt vmcnt(15)
	v_mfma_f32_4x4x4_16b_bf16 a[0:3], v[56:57], v[8:9], 0 cbsz:4
	v_mul_hi_i32 v3, v2, s9
	v_ashrrev_i32_e32 v3, 31, v3
	v_mfma_f32_4x4x4_16b_bf16 a[0:3], v[58:59], v[10:11], a[0:3] cbsz:4
	v_lshrrev_b32_e32 v94, 29, v3
	v_mov_b32_e32 v95, 0
	s_waitcnt vmcnt(14)
	v_mfma_f32_4x4x4_16b_bf16 a[0:3], v[56:57], v[84:85], a[0:3] cbsz:4 abid:1
	v_mad_i64_i32 v[2:3], s[10:11], v2, s9, v[94:95]
	s_nop 0
	v_mfma_f32_4x4x4_16b_bf16 a[0:3], v[58:59], v[86:87], a[0:3] cbsz:4 abid:1
	s_add_u32 s4, s24, s4
	v_lshlrev_b64 v[2:3], 1, v[2:3]
	s_waitcnt vmcnt(13)
	v_mfma_f32_4x4x4_16b_bf16 a[0:3], v[56:57], v[30:31], a[0:3] cbsz:4 abid:2
	s_addc_u32 s5, s25, s5
	v_and_b32_e32 v2, -16, v2
	v_mfma_f32_4x4x4_16b_bf16 a[0:3], v[58:59], v[32:33], a[0:3] cbsz:4 abid:2
	v_lshl_add_u64 v[2:3], s[4:5], 0, v[2:3]
	v_lshlrev_b32_e32 v54, 5, v1
	s_waitcnt vmcnt(12)
	v_mfma_f32_4x4x4_16b_bf16 a[0:3], v[56:57], v[26:27], a[0:3] cbsz:4 abid:3
	s_load_dword s0, s[0:1], 0x1c
	v_lshl_add_u64 v[48:49], v[2:3], 0, v[54:55]
	v_mfma_f32_4x4x4_16b_bf16 a[0:3], v[58:59], v[28:29], a[0:3] cbsz:4 abid:3
	global_load_dwordx4 v[2:5], v[48:49], off
	global_load_dwordx4 v[6:9], v[48:49], off offset:16
	s_waitcnt vmcnt(13)
	v_mfma_f32_4x4x4_16b_bf16 a[0:3], v[56:57], v[22:23], a[0:3] cbsz:4 abid:4
	global_load_dwordx4 v[14:17], v[48:49], off offset:2048
	global_load_dwordx4 v[10:13], v[48:49], off offset:2064
	v_mfma_f32_4x4x4_16b_bf16 a[0:3], v[58:59], v[24:25], a[0:3] cbsz:4 abid:4
	v_mul_hi_i32 v48, v35, s9
	v_ashrrev_i32_e32 v48, 31, v48
	s_waitcnt vmcnt(14)
	v_mfma_f32_4x4x4_16b_bf16 a[0:3], v[56:57], v[18:19], a[0:3] cbsz:4 abid:5
	v_lshrrev_b32_e32 v94, 29, v48
	v_mad_i64_i32 v[30:31], s[10:11], v35, s9, v[94:95]
	v_mfma_f32_4x4x4_16b_bf16 a[0:3], v[58:59], v[20:21], a[0:3] cbsz:4 abid:5
	v_mul_hi_i32 v35, v34, s9
	v_ashrrev_i32_e32 v35, 31, v35
	s_waitcnt vmcnt(13)
	v_mfma_f32_4x4x4_16b_bf16 a[0:3], v[56:57], v[80:81], a[0:3] cbsz:4 abid:6
	v_lshrrev_b32_e32 v94, 29, v35
	v_mad_i64_i32 v[34:35], s[10:11], v34, s9, v[94:95]
	v_mfma_f32_4x4x4_16b_bf16 a[0:3], v[58:59], v[82:83], a[0:3] cbsz:4 abid:6
	v_cmp_eq_u32_e32 vcc, 0, v91
	v_lshlrev_b64 v[26:27], 1, v[30:31]
	s_waitcnt vmcnt(12)
	v_mfma_f32_4x4x4_16b_bf16 a[0:3], v[56:57], v[76:77], a[0:3] cbsz:4 abid:7
	v_lshlrev_b64 v[34:35], 1, v[34:35]
	v_and_b32_e32 v26, -16, v26
	v_mfma_f32_4x4x4_16b_bf16 a[0:3], v[58:59], v[78:79], a[0:3] cbsz:4 abid:7
	v_and_b32_e32 v34, -16, v34
	v_lshl_add_u64 v[22:23], s[4:5], 0, v[26:27]
	s_waitcnt vmcnt(11)
	v_mfma_f32_4x4x4_16b_bf16 a[0:3], v[56:57], v[44:45], a[0:3] cbsz:4 abid:8
	v_lshl_add_u64 v[34:35], s[4:5], 0, v[34:35]
	v_lshl_add_u64 v[48:49], v[22:23], 0, v[54:55]
	v_mfma_f32_4x4x4_16b_bf16 a[0:3], v[58:59], v[46:47], a[0:3] cbsz:4 abid:8
	v_lshl_add_u64 v[76:77], v[34:35], 0, v[54:55]
	global_load_dwordx4 v[22:25], v[48:49], off
	global_load_dwordx4 v[30:33], v[48:49], off offset:16
	s_waitcnt vmcnt(12)
	v_mfma_f32_4x4x4_16b_bf16 a[0:3], v[56:57], v[40:41], a[0:3] cbsz:4 abid:9
	global_load_dwordx4 v[18:21], v[48:49], off offset:2048
	global_load_dwordx4 v[26:29], v[48:49], off offset:2064
	v_mfma_f32_4x4x4_16b_bf16 a[0:3], v[58:59], v[42:43], a[0:3] cbsz:4 abid:9
	s_waitcnt vmcnt(13)
	s_nop 0
	v_mfma_f32_4x4x4_16b_bf16 a[0:3], v[56:57], v[36:37], a[0:3] cbsz:4 abid:10
	global_load_dwordx4 v[46:49], v[76:77], off
	global_load_dwordx4 v[34:37], v[76:77], off offset:16
	v_mfma_f32_4x4x4_16b_bf16 a[0:3], v[58:59], v[38:39], a[0:3] cbsz:4 abid:10
	global_load_dwordx4 v[38:41], v[76:77], off offset:2048
	global_load_dwordx4 v[42:45], v[76:77], off offset:2064
	s_waitcnt vmcnt(16)
	v_mfma_f32_4x4x4_16b_bf16 a[0:3], v[56:57], v[72:73], a[0:3] cbsz:4 abid:11
	v_mul_hi_i32 v72, v93, s9
	v_ashrrev_i32_e32 v72, 31, v72
	v_mfma_f32_4x4x4_16b_bf16 a[0:3], v[58:59], v[74:75], a[0:3] cbsz:4 abid:11
	v_lshrrev_b32_e32 v94, 29, v72
	v_mov_b32_e32 v73, 0xff7fffff
	s_waitcnt vmcnt(15)
	v_mfma_f32_4x4x4_16b_bf16 a[0:3], v[56:57], v[68:69], a[0:3] cbsz:4 abid:12
	v_mad_i64_i32 v[68:69], s[8:9], v93, s9, v[94:95]
	s_nop 0
	v_mfma_f32_4x4x4_16b_bf16 a[0:3], v[58:59], v[70:71], a[0:3] cbsz:4 abid:12
	s_waitcnt vmcnt(14)
	s_nop 0
	v_mfma_f32_4x4x4_16b_bf16 a[0:3], v[56:57], v[64:65], a[0:3] cbsz:4 abid:13
	v_lshlrev_b64 v[64:65], 1, v[68:69]
	v_and_b32_e32 v64, -16, v64
	v_mfma_f32_4x4x4_16b_bf16 a[0:3], v[58:59], v[66:67], a[0:3] cbsz:4 abid:13
	s_waitcnt vmcnt(13)
	s_nop 0
	v_mfma_f32_4x4x4_16b_bf16 a[0:3], v[56:57], v[50:51], a[0:3] cbsz:4 abid:14
	v_lshl_add_u64 v[50:51], s[4:5], 0, v[64:65]
	v_lshl_add_u64 v[66:67], v[50:51], 0, v[54:55]
	v_mfma_f32_4x4x4_16b_bf16 a[0:3], v[58:59], v[52:53], a[0:3] cbsz:4 abid:14
	s_waitcnt vmcnt(12)
	s_nop 0
	v_mfma_f32_4x4x4_16b_bf16 a[0:3], v[56:57], v[60:61], a[0:3] cbsz:4 abid:15
	global_load_dwordx4 v[50:53], v[66:67], off
	global_load_dwordx4 v[54:57], v[66:67], off offset:16
	v_mfma_f32_4x4x4_16b_bf16 a[0:3], v[58:59], v[62:63], a[0:3] cbsz:4 abid:15
	s_nop 4
	v_accvgpr_read_b32 v61, a1
	v_accvgpr_read_b32 v60, a0
	s_waitcnt lgkmcnt(0)
	v_pk_mul_f32 v[60:61], s[0:1], v[60:61] op_sel_hi:[0,1]
	v_accvgpr_read_b32 v59, a3
	v_accvgpr_read_b32 v58, a2
	v_pk_mul_f32 v[68:69], s[0:1], v[58:59] op_sel_hi:[0,1]
	v_cndmask_b32_e64 v58, 0, 1.0, vcc
	v_cmp_eq_u32_e32 vcc, 1, v91
	s_nop 0
	v_mfma_f32_4x4x1_16b_f32 a[0:3], v60, v58, 0
	v_cndmask_b32_e64 v58, 0, 1.0, vcc
	v_cmp_eq_u32_e32 vcc, 2, v91
	s_nop 0
	v_mfma_f32_4x4x1_16b_f32 a[0:3], v61, v58, a[0:3]
	v_cndmask_b32_e64 v58, 0, 1.0, vcc
	s_nop 1
	v_mfma_f32_4x4x1_16b_f32 a[0:3], v68, v58, a[0:3]
	global_load_dwordx4 v[58:61], v[66:67], off offset:2048
	global_load_dwordx4 v[62:65], v[66:67], off offset:2064
	v_and_b32_e32 v66, -4, v92
	v_subrev_u32_e32 v67, s3, v66
	v_add_u32_e32 v68, 1, v67
	v_mfma_f32_4x4x1_16b_f32 a[0:3], v69, v89, a[0:3]
	v_cvt_f32_i32_e32 v68, v68
	v_add_u32_e32 v69, 2, v67
	v_cvt_f32_i32_e32 v69, v69
	v_cmp_gt_i32_e32 vcc, s3, v66
	v_accvgpr_read_b32 v70, a0
	v_fma_f32 v68, v88, v68, v70
	v_accvgpr_read_b32 v70, a1
	v_fma_f32 v69, v88, v69, v70
	v_add_u32_e32 v70, 3, v67
	v_cvt_f32_i32_e32 v70, v70
	v_add_u32_e32 v67, 4, v67
	v_max_f32_e32 v72, 0xff7fffff, v68
	v_cvt_f32_i32_e32 v67, v67
	v_cndmask_b32_e32 v72, v73, v72, vcc
	v_or_b32_e32 v73, 1, v66
	v_accvgpr_read_b32 v71, a2
	v_max_f32_e32 v74, v72, v69
	v_cmp_gt_i32_e64 s[0:1], s3, v73
	v_fma_f32 v70, v88, v70, v71
	v_or_b32_e32 v66, 2, v66
	v_cndmask_b32_e64 v72, v72, v74, s[0:1]
	v_accvgpr_read_b32 v71, a3
	v_max_f32_e32 v73, v72, v70
	v_cmp_gt_i32_e64 s[4:5], s3, v66
	v_fmac_f32_e32 v71, v88, v67
	v_lshlrev_b32_e32 v67, 2, v0
	v_cndmask_b32_e64 v66, v72, v73, s[4:5]
	v_or_b32_e32 v72, 3, v92
	v_max_f32_e32 v73, v66, v71
	v_cmp_gt_i32_e64 s[8:9], s3, v72
	v_and_or_b32 v67, v67, 48, v91
	s_nop 0
	v_cndmask_b32_e64 v66, v66, v73, s[8:9]
	;;#ASMSTART
	v_nop
 v_nop
 v_max_f32_dpp v66, v66, v66 row_ror:4
	;;#ASMEND
	v_lshlrev_b32_e32 v73, 2, v67
	;;#ASMSTART
	v_nop
 v_nop
 v_max_f32_dpp v66, v66, v66 row_ror:8
	;;#ASMEND
	ds_bpermute_b32 v66, v73, v66
	s_waitcnt lgkmcnt(0)
	;;#ASMSTART
	v_nop
 v_nop
 v_max_f32_dpp v66, v66, v66 row_ror:4
	;;#ASMEND
	s_nop 0
	;;#ASMSTART
	v_nop
 v_nop
 v_max_f32_dpp v72, v66, v66 row_ror:8
	;;#ASMEND
	s_nop 0
	v_sub_f32_e32 v66, v68, v72
	v_mul_f32_e32 v66, 0x3fb8aa3b, v66
	v_sub_f32_e32 v67, v69, v72
	v_exp_f32_e32 v66, v66
	v_mul_f32_e32 v67, 0x3fb8aa3b, v67
	v_sub_f32_e32 v69, v70, v72
	v_exp_f32_e32 v67, v67
	;; [unrolled: 3-line block ×3, first 2 shown]
	v_mul_f32_e32 v70, 0x3fb8aa3b, v70
	v_exp_f32_e32 v70, v70
	v_cndmask_b32_e32 v66, 0, v66, vcc
	v_add_f32_e32 v68, 0, v66
	v_cndmask_b32_e64 v67, 0, v67, s[0:1]
	v_add_f32_e32 v71, v68, v67
	v_cndmask_b32_e64 v68, 0, v69, s[4:5]
	;; [unrolled: 2-line block ×3, first 2 shown]
	v_add_f32_e32 v70, v71, v69
	;;#ASMSTART
	v_nop
 v_nop
 v_add_f32_dpp v70, v70, v70 row_ror:4
	;;#ASMEND
	v_cmp_gt_u32_e32 vcc, 4, v1
	;;#ASMSTART
	v_nop
 v_nop
 v_add_f32_dpp v70, v70, v70 row_ror:8
	;;#ASMEND
	ds_bpermute_b32 v70, v73, v70
	s_waitcnt lgkmcnt(0)
	;;#ASMSTART
	v_nop
 v_nop
 v_add_f32_dpp v70, v70, v70 row_ror:4
	;;#ASMEND
	s_nop 0
	;;#ASMSTART
	v_nop
 v_nop
 v_add_f32_dpp v70, v70, v70 row_ror:8
	;;#ASMEND
	s_and_saveexec_b64 s[0:1], vcc
	s_cbranch_execz .LBB634_18
; %bb.17:
	v_mul_u32_u24_e32 v71, 20, v90
	v_lshl_add_u32 v71, v91, 2, v71
	v_add_u32_e32 v71, 0x1400, v71
	ds_write2_b32 v71, v72, v70 offset1:20
.LBB634_18:
	s_or_b64 exec, exec, s[0:1]
.LBB634_19:
	s_or_b64 exec, exec, s[22:23]
	s_waitcnt lgkmcnt(0)
	s_barrier
	s_load_dword s0, s[20:21], 0x8
	v_lshlrev_b32_e32 v70, 2, v91
	v_add_u32_e32 v73, 0x1400, v70
	ds_read2_b32 v[70:71], v73 offset1:5
	ds_read2_b32 v[76:77], v73 offset0:10 offset1:15
	s_mul_i32 s1, s2, s34
	s_waitcnt lgkmcnt(0)
	s_mul_i32 s0, s1, s0
	s_mov_b32 s1, 0xff7fffff
	v_max3_f32 v74, v70, s1, v71
	v_max3_f32 v74, v74, v76, v77
	v_sub_f32_e32 v70, v70, v74
	v_mul_f32_e32 v70, 0x3fb8aa3b, v70
	v_exp_f32_e32 v75, v70
	v_sub_f32_e32 v70, v71, v74
	ds_read2_b32 v[78:79], v73 offset0:20 offset1:25
	v_mul_f32_e32 v70, 0x3fb8aa3b, v70
	v_exp_f32_e32 v80, v70
	ds_read2_b32 v[70:71], v73 offset0:30 offset1:35
	v_sub_f32_e32 v73, v76, v74
	v_mul_f32_e32 v73, 0x3fb8aa3b, v73
	v_sub_f32_e32 v76, v77, v74
	v_exp_f32_e32 v73, v73
	v_mul_f32_e32 v76, 0x3fb8aa3b, v76
	v_exp_f32_e32 v76, v76
	s_waitcnt lgkmcnt(1)
	v_fma_f32 v75, v75, v78, 0
	v_fmac_f32_e32 v75, v80, v79
	s_waitcnt lgkmcnt(0)
	v_fmac_f32_e32 v75, v73, v70
	s_mul_i32 s0, s0, 3
	v_fmac_f32_e32 v75, v76, v71
	v_cmp_ne_u32_e32 vcc, 3, v91
	s_and_saveexec_b64 s[2:3], vcc
	s_cbranch_execz .LBB634_21
; %bb.20:
	s_mov_b32 s1, 0
	s_lshl_b64 s[4:5], s[0:1], 2
	s_add_u32 s10, s12, s4
	s_mov_b32 s17, s1
	s_addc_u32 s11, s13, s5
	s_lshl_b64 s[8:9], s[16:17], 2
	s_add_u32 s10, s10, s8
	s_addc_u32 s11, s11, s9
	s_add_u32 s1, s14, s4
	s_addc_u32 s5, s15, s5
	v_add_u32_e32 v70, s33, v91
	s_add_u32 s4, s1, s8
	v_mul_lo_u32 v70, s34, v70
	v_mov_b32_e32 v71, 0
	s_addc_u32 s5, s5, s9
	v_lshlrev_b64 v[70:71], 2, v[70:71]
	v_lshl_add_u64 v[76:77], s[10:11], 0, v[70:71]
	v_lshl_add_u64 v[70:71], s[4:5], 0, v[70:71]
	global_store_dword v[70:71], v74, off
	global_store_dword v[76:77], v75, off
.LBB634_21:
	s_or_b64 exec, exec, s[2:3]
	v_lshlrev_b32_e32 v73, 3, v90
                                        ; implicit-def: $sgpr1
	s_and_saveexec_b64 s[2:3], s[6:7]
	s_xor_b64 s[2:3], exec, s[2:3]
	s_cbranch_execz .LBB634_23
; %bb.22:
	s_waitcnt vmcnt(15)
	v_mov_b32_e32 v2, 0
	v_mad_u32_u24 v4, v1, 40, v73
	s_mov_b32 s1, 0
	v_mov_b32_e32 v3, v2
	ds_write_b64 v4, v[2:3]
                                        ; implicit-def: $vgpr69
                                        ; implicit-def: $vgpr67
                                        ; implicit-def: $vgpr3
                                        ; implicit-def: $vgpr7
                                        ; implicit-def: $vgpr23
                                        ; implicit-def: $vgpr31
                                        ; implicit-def: $vgpr47
                                        ; implicit-def: $vgpr35
                                        ; implicit-def: $vgpr51
                                        ; implicit-def: $vgpr55
                                        ; implicit-def: $vgpr15
                                        ; implicit-def: $vgpr11
                                        ; implicit-def: $vgpr19
                                        ; implicit-def: $vgpr27
                                        ; implicit-def: $vgpr39
                                        ; implicit-def: $vgpr43
                                        ; implicit-def: $vgpr59
                                        ; implicit-def: $vgpr63
                                        ; implicit-def: $vgpr72
                                        ; implicit-def: $vgpr74
                                        ; implicit-def: $vgpr75
.LBB634_23:
	s_or_saveexec_b64 s[2:3], s[2:3]
	v_mov_b32_e32 v70, s1
	v_mov_b32_e32 v71, s1
	s_xor_b64 exec, exec, s[2:3]
	s_cbranch_execz .LBB634_25
; %bb.24:
	v_add_f32_e32 v70, 0x358637bd, v75
	v_div_scale_f32 v71, s[4:5], v70, v70, 1.0
	v_rcp_f32_e32 v75, v71
	v_sub_f32_e32 v72, v72, v74
	v_mul_f32_e32 v72, 0x3fb8aa3b, v72
	v_exp_f32_e32 v72, v72
	v_fma_f32 v74, -v71, v75, 1.0
	v_fmac_f32_e32 v75, v74, v75
	v_div_scale_f32 v74, vcc, 1.0, v70, 1.0
	v_mul_f32_e32 v76, v74, v75
	v_fma_f32 v77, -v71, v76, v74
	v_fmac_f32_e32 v76, v77, v75
	v_fma_f32 v71, -v71, v76, v74
	v_div_fmas_f32 v71, v71, v75, v76
	v_div_fixup_f32 v70, v71, v70, 1.0
	v_mul_f32_e32 v70, v72, v70
	v_pk_mul_f32 v[66:67], v[66:67], v[70:71] op_sel_hi:[1,0]
	v_pk_mul_f32 v[68:69], v[68:69], v[70:71] op_sel_hi:[1,0]
	v_bfe_u32 v70, v67, 16, 1
	v_bfe_u32 v71, v66, 16, 1
	s_movk_i32 s1, 0x7fff
	v_add3_u32 v66, v66, v71, s1
	v_add3_u32 v67, v67, v70, s1
	s_mov_b32 s4, 0x7060302
	v_perm_b32 v66, v67, v66, s4
	v_bfe_u32 v67, v69, 16, 1
	v_bfe_u32 v70, v68, 16, 1
	v_add3_u32 v68, v68, v70, s1
	v_add3_u32 v67, v69, v67, s1
	v_perm_b32 v67, v67, v68, s4
	s_waitcnt vmcnt(15)
	s_nop 0
	v_mfma_f32_4x4x4_16b_bf16 a[0:3], v[66:67], v[2:3], 0 cbsz:4
	s_nop 1
	v_mfma_f32_4x4x4_16b_bf16 a[0:3], v[66:67], v[4:5], a[0:3] cbsz:4 abid:1
	s_waitcnt vmcnt(13)
	v_mfma_f32_4x4x4_16b_bf16 a[4:7], v[66:67], v[14:15], 0 cbsz:4
	v_mfma_f32_4x4x4_16b_bf16 a[0:3], v[66:67], v[6:7], a[0:3] cbsz:4 abid:2
	s_nop 0
	v_mfma_f32_4x4x4_16b_bf16 a[4:7], v[66:67], v[16:17], a[4:7] cbsz:4 abid:1
	v_mfma_f32_4x4x4_16b_bf16 a[0:3], v[66:67], v[8:9], a[0:3] cbsz:4 abid:3
	s_waitcnt vmcnt(12)
	v_mfma_f32_4x4x4_16b_bf16 a[4:7], v[66:67], v[10:11], a[4:7] cbsz:4 abid:2
	s_waitcnt vmcnt(11)
	v_mfma_f32_4x4x4_16b_bf16 a[0:3], v[66:67], v[22:23], a[0:3] cbsz:4 abid:4
	s_nop 1
	v_mfma_f32_4x4x4_16b_bf16 a[0:3], v[66:67], v[24:25], a[0:3] cbsz:4 abid:5
	s_waitcnt vmcnt(10)
	s_nop 0
	v_mfma_f32_4x4x4_16b_bf16 a[0:3], v[66:67], v[30:31], a[0:3] cbsz:4 abid:6
	s_nop 1
	v_mfma_f32_4x4x4_16b_bf16 a[0:3], v[66:67], v[32:33], a[0:3] cbsz:4 abid:7
	s_waitcnt vmcnt(7)
	s_nop 0
	;; [unrolled: 5-line block ×5, first 2 shown]
	v_mfma_f32_4x4x4_16b_bf16 a[0:3], v[66:67], v[54:55], a[0:3] cbsz:4 abid:14
	s_nop 1
	v_mfma_f32_4x4x4_16b_bf16 a[0:3], v[66:67], v[56:57], a[0:3] cbsz:4 abid:15
	s_nop 4
	v_accvgpr_read_b32 v3, a2
	v_accvgpr_read_b32 v4, a3
	;; [unrolled: 1-line block ×4, first 2 shown]
	v_mfma_f32_4x4x4_16b_bf16 a[0:3], v[66:67], v[12:13], a[4:7] cbsz:4 abid:3
	v_bfe_u32 v6, v5, 16, 1
	v_bfe_u32 v7, v2, 16, 1
	v_mfma_f32_4x4x4_16b_bf16 a[0:3], v[66:67], v[18:19], a[0:3] cbsz:4 abid:4
	v_add3_u32 v2, v2, v7, s1
	v_add3_u32 v5, v5, v6, s1
	v_mfma_f32_4x4x4_16b_bf16 a[0:3], v[66:67], v[20:21], a[0:3] cbsz:4 abid:5
	v_perm_b32 v2, v5, v2, s4
	v_bfe_u32 v5, v4, 16, 1
	v_mfma_f32_4x4x4_16b_bf16 a[0:3], v[66:67], v[26:27], a[0:3] cbsz:4 abid:6
	v_bfe_u32 v6, v3, 16, 1
	v_add3_u32 v3, v3, v6, s1
	v_mfma_f32_4x4x4_16b_bf16 a[0:3], v[66:67], v[28:29], a[0:3] cbsz:4 abid:7
	v_add3_u32 v4, v4, v5, s1
	v_perm_b32 v3, v4, v3, s4
	v_mfma_f32_4x4x4_16b_bf16 a[0:3], v[66:67], v[38:39], a[0:3] cbsz:4 abid:8
	v_mad_u32_u24 v4, v1, 40, v73
	ds_write_b64 v4, v[2:3]
	v_mfma_f32_4x4x4_16b_bf16 a[0:3], v[66:67], v[40:41], a[0:3] cbsz:4 abid:9
	s_nop 1
	v_mfma_f32_4x4x4_16b_bf16 a[0:3], v[66:67], v[42:43], a[0:3] cbsz:4 abid:10
	s_nop 1
	v_mfma_f32_4x4x4_16b_bf16 a[0:3], v[66:67], v[44:45], a[0:3] cbsz:4 abid:11
	s_waitcnt vmcnt(1)
	s_nop 0
	v_mfma_f32_4x4x4_16b_bf16 a[0:3], v[66:67], v[58:59], a[0:3] cbsz:4 abid:12
	s_nop 1
	v_mfma_f32_4x4x4_16b_bf16 a[0:3], v[66:67], v[60:61], a[0:3] cbsz:4 abid:13
	s_waitcnt vmcnt(0)
	s_nop 0
	v_mfma_f32_4x4x4_16b_bf16 a[0:3], v[66:67], v[62:63], a[0:3] cbsz:4 abid:14
	s_nop 1
	v_mfma_f32_4x4x4_16b_bf16 a[0:3], v[66:67], v[64:65], a[0:3] cbsz:4 abid:15
	s_nop 4
	v_accvgpr_read_b32 v4, a0
	v_accvgpr_read_b32 v5, a1
	;; [unrolled: 1-line block ×4, first 2 shown]
	v_bfe_u32 v6, v5, 16, 1
	v_bfe_u32 v7, v4, 16, 1
	v_add3_u32 v4, v4, v7, s1
	v_add3_u32 v5, v5, v6, s1
	v_bfe_u32 v6, v3, 16, 1
	v_bfe_u32 v7, v2, 16, 1
	v_add3_u32 v2, v2, v7, s1
	v_add3_u32 v3, v3, v6, s1
	v_perm_b32 v71, v3, v2, s4
	v_perm_b32 v70, v5, v4, s4
.LBB634_25:
	s_or_b64 exec, exec, s[2:3]
	s_waitcnt vmcnt(15)
	v_mad_u32_u24 v2, v1, 40, v73
	v_cmp_gt_u32_e32 vcc, 64, v0
	ds_write_b64 v2, v[70:71] offset:2560
	s_waitcnt lgkmcnt(0)
	s_barrier
	s_and_saveexec_b64 s[2:3], vcc
	s_cbranch_execz .LBB634_27
; %bb.26:
	s_waitcnt vmcnt(14)
	v_mul_u32_u24_e32 v6, 40, v1
	ds_read2_b64 v[2:5], v6 offset1:1
	ds_read2_b64 v[6:9], v6 offset0:2 offset1:3
	s_mov_b32 s1, 0
	s_lshl_b32 s0, s0, 7
	s_lshl_b64 s[2:3], s[0:1], 1
	s_waitcnt vmcnt(12) lgkmcnt(1)
	v_and_b32_e32 v10, 0xffff0000, v2
	v_lshlrev_b32_e32 v3, 16, v3
	v_add_f32_e32 v10, 0, v10
	v_add_f32_e32 v3, 0, v3
	v_and_b32_e32 v10, 0xffff0000, v10
	v_and_b32_e32 v11, 0xffff0000, v4
	;; [unrolled: 1-line block ×3, first 2 shown]
	v_add_f32_e32 v10, v10, v11
	v_lshlrev_b32_e32 v5, 16, v5
	v_and_b32_e32 v10, 0xffff0000, v10
	v_add_f32_e32 v3, v3, v5
	s_waitcnt lgkmcnt(0)
	v_and_b32_e32 v5, 0xffff0000, v6
	v_and_b32_e32 v3, 0xffff0000, v3
	v_add_f32_e32 v5, v10, v5
	v_lshlrev_b32_e32 v7, 16, v7
	v_and_b32_e32 v5, 0xffff0000, v5
	v_add_f32_e32 v3, v3, v7
	v_and_b32_e32 v7, 0xffff0000, v8
	s_waitcnt vmcnt(9)
	v_add_f32_e32 v18, v5, v7
	v_mov_b32_e32 v7, 0xa00
	v_mad_u32_u24 v7, v1, 40, v7
	ds_read2_b64 v[10:13], v7 offset1:1
	v_and_b32_e32 v3, 0xffff0000, v3
	v_lshlrev_b32_e32 v5, 16, v9
	v_add_f32_e32 v9, v3, v5
	v_mov_b32_e32 v3, 0xa10
	v_mad_u32_u24 v1, v1, 40, v3
	ds_read2_b64 v[14:17], v1 offset1:1
	s_waitcnt lgkmcnt(1)
	v_lshlrev_b32_e32 v1, 16, v10
	v_add_f32_e32 v1, 0, v1
	v_and_b32_e32 v3, 0xffff0000, v10
	v_and_b32_e32 v1, 0xffff0000, v1
	v_add_f32_e32 v3, 0, v3
	v_lshlrev_b32_e32 v5, 16, v11
	v_lshlrev_b32_e32 v7, 16, v12
	v_and_b32_e32 v3, 0xffff0000, v3
	v_add_f32_e32 v5, 0, v5
	v_add_f32_e32 v1, v1, v7
	v_and_b32_e32 v7, 0xffff0000, v12
	v_and_b32_e32 v5, 0xffff0000, v5
	v_add_f32_e32 v3, v3, v7
	v_lshlrev_b32_e32 v7, 16, v13
	v_and_b32_e32 v1, 0xffff0000, v1
	v_add_f32_e32 v5, v5, v7
	s_waitcnt lgkmcnt(0)
	v_lshlrev_b32_e32 v7, 16, v14
	v_and_b32_e32 v3, 0xffff0000, v3
	v_add_f32_e32 v1, v1, v7
	v_and_b32_e32 v7, 0xffff0000, v14
	v_and_b32_e32 v5, 0xffff0000, v5
	v_add_f32_e32 v3, v3, v7
	v_lshlrev_b32_e32 v7, 16, v15
	v_and_b32_e32 v1, 0xffff0000, v1
	v_add_f32_e32 v5, v5, v7
	v_lshlrev_b32_e32 v7, 16, v16
	v_and_b32_e32 v3, 0xffff0000, v3
	v_add_f32_e32 v10, v1, v7
	v_and_b32_e32 v1, 0xffff0000, v16
	v_and_b32_e32 v5, 0xffff0000, v5
	v_add_f32_e32 v11, v3, v1
	v_lshlrev_b32_e32 v1, 16, v17
	v_add_f32_e32 v12, v5, v1
	v_lshlrev_b32_e32 v1, 16, v2
	s_add_u32 s2, s18, s2
	v_add_f32_e32 v1, 0, v1
	s_addc_u32 s3, s19, s3
	s_lshl_b32 s0, s16, 7
	v_and_b32_e32 v1, 0xffff0000, v1
	v_lshlrev_b32_e32 v2, 16, v4
	s_lshl_b64 s[0:1], s[0:1], 1
	v_add_f32_e32 v1, v1, v2
	s_add_u32 s0, s2, s0
	v_and_b32_e32 v1, 0xffff0000, v1
	v_lshlrev_b32_e32 v2, 16, v6
	s_addc_u32 s1, s3, s1
	s_lshl_b32 s2, s34, 7
	v_add_f32_e32 v1, v1, v2
	v_and_b32_e32 v1, 0xffff0000, v1
	v_lshlrev_b32_e32 v2, 16, v8
	s_mul_i32 s3, s2, s33
	v_add_f32_e32 v1, v1, v2
	v_or_b32_e32 v2, s3, v0
	v_mov_b32_e32 v3, 0
	s_add_i32 s3, s3, s2
	v_lshl_add_u64 v[4:5], v[2:3], 1, s[0:1]
	v_or_b32_e32 v2, s3, v0
	s_add_i32 s3, s3, s2
	v_lshl_add_u64 v[6:7], v[2:3], 1, s[0:1]
	v_or_b32_e32 v2, s3, v0
	global_store_short_d16_hi v[4:5], v1, off
	v_lshl_add_u64 v[0:1], v[2:3], 1, s[0:1]
	global_store_short_d16_hi v[6:7], v18, off
	global_store_short_d16_hi v[0:1], v9, off
	global_store_short_d16_hi v[4:5], v10, off offset:128
	global_store_short_d16_hi v[6:7], v11, off offset:128
	;; [unrolled: 1-line block ×3, first 2 shown]
.LBB634_27:
	s_endpgm
	.section	.rodata,"a",@progbits
	.p2align	6, 0x0
	.amdhsa_kernel _Z38paged_attention_ll4mi_QKV_mfma4_kernelI14__hip_bfloat16S0_LN4vllm18Fp8KVCacheDataTypeE0ES0_Li16ELi128ELi256ELb1ELi3EEvPKT_PKT0_S8_ifPKiSA_SA_iPKfiiiPfSD_PS3_PT2_iSC_SC_
		.amdhsa_group_segment_fixed_size 5280
		.amdhsa_private_segment_fixed_size 0
		.amdhsa_kernarg_size 400
		.amdhsa_user_sgpr_count 2
		.amdhsa_user_sgpr_dispatch_ptr 0
		.amdhsa_user_sgpr_queue_ptr 0
		.amdhsa_user_sgpr_kernarg_segment_ptr 1
		.amdhsa_user_sgpr_dispatch_id 0
		.amdhsa_user_sgpr_kernarg_preload_length 0
		.amdhsa_user_sgpr_kernarg_preload_offset 0
		.amdhsa_user_sgpr_private_segment_size 0
		.amdhsa_uses_dynamic_stack 0
		.amdhsa_enable_private_segment 0
		.amdhsa_system_sgpr_workgroup_id_x 1
		.amdhsa_system_sgpr_workgroup_id_y 1
		.amdhsa_system_sgpr_workgroup_id_z 1
		.amdhsa_system_sgpr_workgroup_info 0
		.amdhsa_system_vgpr_workitem_id 0
		.amdhsa_next_free_vgpr 104
		.amdhsa_next_free_sgpr 40
		.amdhsa_accum_offset 96
		.amdhsa_reserve_vcc 1
		.amdhsa_float_round_mode_32 0
		.amdhsa_float_round_mode_16_64 0
		.amdhsa_float_denorm_mode_32 3
		.amdhsa_float_denorm_mode_16_64 3
		.amdhsa_dx10_clamp 1
		.amdhsa_ieee_mode 1
		.amdhsa_fp16_overflow 0
		.amdhsa_tg_split 0
		.amdhsa_exception_fp_ieee_invalid_op 0
		.amdhsa_exception_fp_denorm_src 0
		.amdhsa_exception_fp_ieee_div_zero 0
		.amdhsa_exception_fp_ieee_overflow 0
		.amdhsa_exception_fp_ieee_underflow 0
		.amdhsa_exception_fp_ieee_inexact 0
		.amdhsa_exception_int_div_zero 0
	.end_amdhsa_kernel
	.section	.text._Z38paged_attention_ll4mi_QKV_mfma4_kernelI14__hip_bfloat16S0_LN4vllm18Fp8KVCacheDataTypeE0ES0_Li16ELi128ELi256ELb1ELi3EEvPKT_PKT0_S8_ifPKiSA_SA_iPKfiiiPfSD_PS3_PT2_iSC_SC_,"axG",@progbits,_Z38paged_attention_ll4mi_QKV_mfma4_kernelI14__hip_bfloat16S0_LN4vllm18Fp8KVCacheDataTypeE0ES0_Li16ELi128ELi256ELb1ELi3EEvPKT_PKT0_S8_ifPKiSA_SA_iPKfiiiPfSD_PS3_PT2_iSC_SC_,comdat
.Lfunc_end634:
	.size	_Z38paged_attention_ll4mi_QKV_mfma4_kernelI14__hip_bfloat16S0_LN4vllm18Fp8KVCacheDataTypeE0ES0_Li16ELi128ELi256ELb1ELi3EEvPKT_PKT0_S8_ifPKiSA_SA_iPKfiiiPfSD_PS3_PT2_iSC_SC_, .Lfunc_end634-_Z38paged_attention_ll4mi_QKV_mfma4_kernelI14__hip_bfloat16S0_LN4vllm18Fp8KVCacheDataTypeE0ES0_Li16ELi128ELi256ELb1ELi3EEvPKT_PKT0_S8_ifPKiSA_SA_iPKfiiiPfSD_PS3_PT2_iSC_SC_
                                        ; -- End function
	.section	.AMDGPU.csdata,"",@progbits
; Kernel info:
; codeLenInByte = 4404
; NumSgprs: 46
; NumVgprs: 96
; NumAgprs: 8
; TotalNumVgprs: 104
; ScratchSize: 0
; MemoryBound: 0
; FloatMode: 240
; IeeeMode: 1
; LDSByteSize: 5280 bytes/workgroup (compile time only)
; SGPRBlocks: 5
; VGPRBlocks: 12
; NumSGPRsForWavesPerEU: 46
; NumVGPRsForWavesPerEU: 104
; AccumOffset: 96
; Occupancy: 4
; WaveLimiterHint : 1
; COMPUTE_PGM_RSRC2:SCRATCH_EN: 0
; COMPUTE_PGM_RSRC2:USER_SGPR: 2
; COMPUTE_PGM_RSRC2:TRAP_HANDLER: 0
; COMPUTE_PGM_RSRC2:TGID_X_EN: 1
; COMPUTE_PGM_RSRC2:TGID_Y_EN: 1
; COMPUTE_PGM_RSRC2:TGID_Z_EN: 1
; COMPUTE_PGM_RSRC2:TIDIG_COMP_CNT: 0
; COMPUTE_PGM_RSRC3_GFX90A:ACCUM_OFFSET: 23
; COMPUTE_PGM_RSRC3_GFX90A:TG_SPLIT: 0
	.section	.text._Z38paged_attention_ll4mi_QKV_mfma4_kernelI14__hip_bfloat16S0_LN4vllm18Fp8KVCacheDataTypeE0ES0_Li16ELi128ELi256ELb1ELi4EEvPKT_PKT0_S8_ifPKiSA_SA_iPKfiiiPfSD_PS3_PT2_iSC_SC_,"axG",@progbits,_Z38paged_attention_ll4mi_QKV_mfma4_kernelI14__hip_bfloat16S0_LN4vllm18Fp8KVCacheDataTypeE0ES0_Li16ELi128ELi256ELb1ELi4EEvPKT_PKT0_S8_ifPKiSA_SA_iPKfiiiPfSD_PS3_PT2_iSC_SC_,comdat
	.protected	_Z38paged_attention_ll4mi_QKV_mfma4_kernelI14__hip_bfloat16S0_LN4vllm18Fp8KVCacheDataTypeE0ES0_Li16ELi128ELi256ELb1ELi4EEvPKT_PKT0_S8_ifPKiSA_SA_iPKfiiiPfSD_PS3_PT2_iSC_SC_ ; -- Begin function _Z38paged_attention_ll4mi_QKV_mfma4_kernelI14__hip_bfloat16S0_LN4vllm18Fp8KVCacheDataTypeE0ES0_Li16ELi128ELi256ELb1ELi4EEvPKT_PKT0_S8_ifPKiSA_SA_iPKfiiiPfSD_PS3_PT2_iSC_SC_
	.globl	_Z38paged_attention_ll4mi_QKV_mfma4_kernelI14__hip_bfloat16S0_LN4vllm18Fp8KVCacheDataTypeE0ES0_Li16ELi128ELi256ELb1ELi4EEvPKT_PKT0_S8_ifPKiSA_SA_iPKfiiiPfSD_PS3_PT2_iSC_SC_
	.p2align	8
	.type	_Z38paged_attention_ll4mi_QKV_mfma4_kernelI14__hip_bfloat16S0_LN4vllm18Fp8KVCacheDataTypeE0ES0_Li16ELi128ELi256ELb1ELi4EEvPKT_PKT0_S8_ifPKiSA_SA_iPKfiiiPfSD_PS3_PT2_iSC_SC_,@function
_Z38paged_attention_ll4mi_QKV_mfma4_kernelI14__hip_bfloat16S0_LN4vllm18Fp8KVCacheDataTypeE0ES0_Li16ELi128ELi256ELb1ELi4EEvPKT_PKT0_S8_ifPKiSA_SA_iPKfiiiPfSD_PS3_PT2_iSC_SC_: ; @_Z38paged_attention_ll4mi_QKV_mfma4_kernelI14__hip_bfloat16S0_LN4vllm18Fp8KVCacheDataTypeE0ES0_Li16ELi128ELi256ELb1ELi4EEvPKT_PKT0_S8_ifPKiSA_SA_iPKfiiiPfSD_PS3_PT2_iSC_SC_
; %bb.0:
	s_load_dwordx2 s[8:9], s[0:1], 0x30
	s_mov_b32 s20, s3
	s_mov_b64 s[6:7], 0
	s_waitcnt lgkmcnt(0)
	s_cmp_lg_u64 s[8:9], 0
	s_cselect_b64 s[10:11], -1, 0
	s_and_b64 vcc, exec, s[10:11]
	s_cbranch_vccz .LBB635_20
; %bb.1:
	s_add_i32 s12, s2, 1
	s_mov_b32 s13, 0
	s_lshl_b64 s[14:15], s[12:13], 2
	s_add_u32 s14, s8, s14
	s_mov_b32 s3, s13
	s_addc_u32 s15, s9, s15
	s_lshl_b64 s[12:13], s[2:3], 2
	s_add_u32 s12, s8, s12
	s_addc_u32 s13, s9, s13
	s_load_dword s5, s[14:15], 0x0
	s_load_dword s16, s[12:13], 0x0
	s_mov_b64 s[34:35], s[2:3]
	s_waitcnt lgkmcnt(0)
	s_sub_i32 s5, s5, s16
	s_cmp_eq_u32 s5, 1
	s_cselect_b64 s[12:13], -1, 0
	s_andn2_b64 vcc, exec, s[6:7]
	s_cbranch_vccnz .LBB635_3
.LBB635_2:
	s_mov_b32 s3, 0
	s_mov_b64 s[12:13], -1
	s_mov_b64 s[34:35], s[2:3]
.LBB635_3:
	s_andn2_b64 vcc, exec, s[12:13]
	s_cbranch_vccnz .LBB635_19
; %bb.4:
	s_load_dword s3, s[0:1], 0x9c
	s_load_dwordx2 s[6:7], s[0:1], 0x28
	s_add_u32 s24, s0, 0x90
	s_addc_u32 s25, s1, 0
	s_lshl_b64 s[36:37], s[34:35], 2
	s_waitcnt lgkmcnt(0)
	s_and_b32 s5, s3, 0xffff
	s_add_u32 s6, s6, s36
	s_addc_u32 s7, s7, s37
	s_load_dword s3, s[6:7], 0x0
	s_mul_i32 s5, s20, s5
	s_waitcnt lgkmcnt(0)
	s_cmp_ge_i32 s5, s3
	s_cbranch_scc1 .LBB635_19
; %bb.5:
	v_and_b32_e32 v1, 0xc0, v0
	v_and_b32_e32 v73, 3, v0
	s_lshl_b32 s33, s4, 2
	v_add_u32_e32 v2, s5, v1
	v_lshrrev_b32_e32 v72, 6, v0
	v_cmp_le_i32_e64 s[6:7], s3, v2
	v_or_b32_e32 v66, s33, v73
                                        ; implicit-def: $sgpr17
                                        ; implicit-def: $sgpr16
	s_and_saveexec_b64 s[12:13], s[6:7]
	s_xor_b64 s[12:13], exec, s[12:13]
	s_cbranch_execz .LBB635_7
; %bb.6:
	v_mul_u32_u24_e32 v1, 20, v72
	v_or_b32_e32 v1, 0x1400, v1
	v_mov_b32_e32 v2, 0x1450
	v_mov_b32_e32 v3, 0xff7fffff
	v_mad_u32_u24 v2, v72, 20, v2
	ds_write2_b32 v1, v3, v3 offset1:1
	v_mov_b32_e32 v1, 0
	ds_write2_b32 v2, v1, v1 offset1:1
	v_mov_b32_e32 v2, 0x1408
	s_mov_b32 s16, 0xff7fffff
	s_mov_b32 s17, 0
	v_mad_u32_u24 v2, v72, 20, v2
	v_mov_b32_e32 v4, 0x1458
	v_or_b32_e32 v66, s33, v73
	v_mad_u32_u24 v4, v72, 20, v4
	ds_write2_b32 v2, v3, v3 offset1:1
	ds_write2_b32 v4, v1, v1 offset1:1
                                        ; implicit-def: $vgpr2
.LBB635_7:
	s_or_saveexec_b64 s[26:27], s[12:13]
	s_load_dwordx2 s[22:23], s[0:1], 0x68
	s_load_dwordx4 s[12:15], s[0:1], 0x58
	s_load_dword s40, s[24:25], 0x4
	v_and_b32_e32 v1, 63, v0
	v_mov_b32_e32 v71, s17
	v_mov_b32_e32 v74, s16
	;; [unrolled: 1-line block ×5, first 2 shown]
                                        ; implicit-def: $vgpr51
                                        ; implicit-def: $vgpr55
                                        ; implicit-def: $vgpr11
                                        ; implicit-def: $vgpr23
                                        ; implicit-def: $vgpr39
                                        ; implicit-def: $vgpr3
                                        ; implicit-def: $vgpr19
                                        ; implicit-def: $vgpr27
                                        ; implicit-def: $vgpr63
                                        ; implicit-def: $vgpr59
                                        ; implicit-def: $vgpr7
                                        ; implicit-def: $vgpr15
                                        ; implicit-def: $vgpr31
                                        ; implicit-def: $vgpr35
                                        ; implicit-def: $vgpr43
                                        ; implicit-def: $vgpr47
	s_xor_b64 exec, exec, s[26:27]
	s_cbranch_execz .LBB635_13
; %bb.8:
	s_add_i32 s19, s3, 15
	s_load_dwordx2 s[16:17], s[0:1], 0x20
	s_load_dword s18, s[0:1], 0x38
	s_ashr_i32 s21, s19, 31
	s_lshr_b32 s21, s21, 28
	v_add_u32_e32 v68, s5, v0
	s_add_i32 s19, s19, s21
	v_ashrrev_i32_e32 v3, 31, v68
	s_ashr_i32 s19, s19, 4
	v_lshrrev_b32_e32 v3, 28, v3
	s_add_i32 s21, s19, -1
	v_add_u32_e32 v3, v68, v3
	s_waitcnt lgkmcnt(0)
	s_mul_i32 s38, s2, s18
	s_mov_b32 s39, 0
	v_ashrrev_i32_e32 v3, 4, v3
	v_mov_b32_e32 v4, s21
	v_cmp_gt_i32_e32 vcc, s3, v68
	s_lshl_b64 s[18:19], s[38:39], 2
	s_add_u32 s16, s16, s18
	v_cndmask_b32_e32 v4, v4, v3, vcc
	v_ashrrev_i32_e32 v3, 31, v2
	v_lshrrev_b32_e32 v3, 28, v3
	s_addc_u32 s17, s17, s19
	v_ashrrev_i32_e32 v5, 31, v4
	v_add_u32_e32 v2, v2, v3
	v_lshl_add_u64 v[8:9], v[4:5], 2, s[16:17]
	v_ashrrev_i32_e32 v4, 4, v2
	v_min_i32_e32 v2, s21, v4
	v_ashrrev_i32_e32 v3, 31, v2
	v_lshl_add_u64 v[10:11], v[2:3], 2, s[16:17]
	v_add_u32_e32 v2, 1, v4
	v_min_i32_e32 v2, s21, v2
	v_ashrrev_i32_e32 v3, 31, v2
	v_lshl_add_u64 v[12:13], v[2:3], 2, s[16:17]
	v_add_u32_e32 v2, 2, v4
	;; [unrolled: 4-line block ×3, first 2 shown]
	v_min_i32_e32 v2, s21, v2
	v_ashrrev_i32_e32 v3, 31, v2
	v_lshl_add_u64 v[16:17], v[2:3], 2, s[16:17]
	global_load_dword v2, v[8:9], off
	global_load_dword v4, v[10:11], off
	;; [unrolled: 1-line block ×5, first 2 shown]
	s_load_dwordx2 s[30:31], s[0:1], 0x40
	s_load_dwordx4 s[16:19], s[0:1], 0x0
	s_load_dwordx2 s[28:29], s[0:1], 0x10
	s_andn2_b64 vcc, exec, s[10:11]
	s_cbranch_vccnz .LBB635_10
; %bb.9:
	s_add_u32 s8, s8, s36
	s_addc_u32 s9, s9, s37
	s_load_dword s38, s[8:9], 0x0
	s_waitcnt lgkmcnt(0)
	s_mov_b64 s[34:35], s[38:39]
.LBB635_10:
	s_load_dwordx4 s[8:11], s[0:1], 0x48
	v_lshlrev_b32_e32 v3, 2, v1
	v_and_b32_e32 v3, 0xf0, v3
	v_lshl_or_b32 v3, v73, 8, v3
	v_and_b32_e32 v8, 15, v0
	s_waitcnt lgkmcnt(0)
	s_ashr_i32 s5, s8, 31
	s_mul_hi_u32 s11, s34, s8
	s_mul_i32 s5, s34, s5
	s_mul_i32 s21, s35, s8
	s_add_i32 s5, s11, s5
	s_mul_i32 s36, s34, s8
	s_add_i32 s37, s5, s21
	s_lshl_b64 s[34:35], s[36:37], 1
	s_add_u32 s5, s16, s34
	s_addc_u32 s8, s17, s35
	s_lshl_b32 s38, s4, 9
	s_lshl_b64 s[16:17], s[38:39], 1
	s_add_u32 s16, s5, s16
	s_addc_u32 s17, s8, s17
	global_load_dwordx4 v[74:77], v3, s[16:17]
	s_mul_i32 s38, s4, s10
	s_lshl_b64 s[4:5], s[38:39], 1
	s_add_u32 s10, s4, s18
	s_waitcnt vmcnt(5)
	v_mad_i64_i32 v[2:3], s[16:17], v2, s9, 0
	s_addc_u32 s11, s5, s19
	v_lshl_add_u64 v[2:3], v[2:3], 1, s[10:11]
	v_lshlrev_b32_e32 v50, 4, v8
	v_mov_b32_e32 v51, 0
	v_lshl_add_u64 v[2:3], v[2:3], 0, v[50:51]
	global_load_dwordx4 v[8:11], v[2:3], off
	global_load_dwordx4 v[12:15], v[2:3], off offset:256
	global_load_dwordx4 v[16:19], v[2:3], off offset:512
	;; [unrolled: 1-line block ×13, first 2 shown]
	v_mov_b32_e32 v67, v51
	v_lshl_add_u64 v[86:87], v[66:67], 2, s[30:31]
	global_load_dword v99, v[86:87], off
	global_load_dwordx4 v[82:85], v[2:3], off offset:3584
	v_and_b32_e32 v93, -4, v68
	global_load_dwordx4 v[86:89], v[2:3], off offset:3840
	v_subrev_u32_e32 v50, s3, v93
	v_lshlrev_b32_e32 v48, 2, v0
	v_add_u32_e32 v67, 1, v50
	v_add_u32_e32 v96, 2, v50
	;; [unrolled: 1-line block ×4, first 2 shown]
	s_waitcnt vmcnt(20)
	v_mul_hi_i32 v50, v7, s9
	s_waitcnt vmcnt(19)
	v_mul_hi_i32 v64, v6, s9
	;; [unrolled: 2-line block ×3, first 2 shown]
	v_and_or_b32 v95, v48, 48, v73
	v_mul_hi_i32 v48, v4, s9
	v_ashrrev_i32_e32 v2, 31, v50
	v_ashrrev_i32_e32 v3, 31, v64
	;; [unrolled: 1-line block ×3, first 2 shown]
	v_mov_b32_e32 v49, v51
	v_mov_b32_e32 v65, v51
	;; [unrolled: 1-line block ×3, first 2 shown]
	v_ashrrev_i32_e32 v100, 31, v48
	v_lshrrev_b32_e32 v48, 29, v2
	v_lshrrev_b32_e32 v64, 29, v3
	;; [unrolled: 1-line block ×3, first 2 shown]
	v_mad_i64_i32 v[2:3], s[10:11], v7, s9, v[48:49]
	v_mad_i64_i32 v[6:7], s[10:11], v6, s9, v[64:65]
	v_lshrrev_b32_e32 v50, 29, v100
	v_lshlrev_b64 v[2:3], 1, v[2:3]
	v_lshlrev_b64 v[6:7], 1, v[6:7]
	s_add_u32 s4, s28, s4
	v_and_b32_e32 v2, -16, v2
	v_and_b32_e32 v6, -16, v6
	s_addc_u32 s5, s29, s5
	v_lshl_add_u64 v[2:3], s[4:5], 0, v[2:3]
	v_lshl_add_u64 v[6:7], s[4:5], 0, v[6:7]
	s_load_dword s0, s[0:1], 0x1c
	v_cmp_eq_u32_e32 vcc, 0, v73
	v_cvt_f32_i32_e32 v67, v67
	v_mov_b32_e32 v94, 0xff7fffff
	v_cndmask_b32_e64 v69, 0, 1.0, vcc
	v_cmp_eq_u32_e32 vcc, 1, v73
	v_or_b32_e32 v68, 3, v68
	s_waitcnt vmcnt(16)
	v_mfma_f32_4x4x4_16b_bf16 a[0:3], v[74:75], v[8:9], 0 cbsz:4
	v_mad_i64_i32 v[8:9], s[10:11], v5, s9, v[70:71]
	s_nop 0
	v_mfma_f32_4x4x4_16b_bf16 a[0:3], v[76:77], v[10:11], a[0:3] cbsz:4
	v_lshlrev_b64 v[8:9], 1, v[8:9]
	v_mad_i64_i32 v[4:5], s[8:9], v4, s9, v[50:51]
	s_waitcnt vmcnt(15)
	v_mfma_f32_4x4x4_16b_bf16 a[0:3], v[74:75], v[12:13], a[0:3] cbsz:4 abid:1
	v_and_b32_e32 v8, -16, v8
	v_lshlrev_b64 v[64:65], 1, v[4:5]
	v_mfma_f32_4x4x4_16b_bf16 a[0:3], v[76:77], v[14:15], a[0:3] cbsz:4 abid:1
	v_lshlrev_b32_e32 v50, 5, v1
	v_lshl_add_u64 v[8:9], s[4:5], 0, v[8:9]
	s_waitcnt vmcnt(14)
	v_mfma_f32_4x4x4_16b_bf16 a[0:3], v[74:75], v[16:17], a[0:3] cbsz:4 abid:2
	v_and_b32_e32 v64, -16, v64
	v_lshl_add_u64 v[2:3], v[2:3], 0, v[50:51]
	v_mfma_f32_4x4x4_16b_bf16 a[0:3], v[76:77], v[18:19], a[0:3] cbsz:4 abid:2
	v_lshl_add_u64 v[18:19], v[6:7], 0, v[50:51]
	v_lshl_add_u64 v[70:71], v[8:9], 0, v[50:51]
	s_waitcnt vmcnt(13)
	v_mfma_f32_4x4x4_16b_bf16 a[0:3], v[74:75], v[20:21], a[0:3] cbsz:4 abid:3
	v_cndmask_b32_e64 v90, 0, 1.0, vcc
	v_cmp_eq_u32_e32 vcc, 2, v73
	v_mfma_f32_4x4x4_16b_bf16 a[0:3], v[76:77], v[22:23], a[0:3] cbsz:4 abid:3
	v_cmp_gt_i32_e64 s[8:9], s3, v68
	v_cndmask_b32_e64 v91, 0, 1.0, vcc
	s_waitcnt vmcnt(12)
	v_mfma_f32_4x4x4_16b_bf16 a[0:3], v[74:75], v[24:25], a[0:3] cbsz:4 abid:4
	global_load_dwordx4 v[10:13], v[2:3], off
	global_load_dwordx4 v[22:25], v[2:3], off offset:16
	v_mfma_f32_4x4x4_16b_bf16 a[0:3], v[76:77], v[26:27], a[0:3] cbsz:4 abid:4
	global_load_dwordx4 v[6:9], v[2:3], off offset:2048
	global_load_dwordx4 v[14:17], v[2:3], off offset:2064
	s_waitcnt vmcnt(15)
	v_mfma_f32_4x4x4_16b_bf16 a[0:3], v[74:75], v[28:29], a[0:3] cbsz:4 abid:5
	v_cmp_eq_u32_e32 vcc, 3, v73
	s_nop 0
	v_mfma_f32_4x4x4_16b_bf16 a[0:3], v[76:77], v[30:31], a[0:3] cbsz:4 abid:5
	v_cndmask_b32_e64 v92, 0, 1.0, vcc
	v_cmp_gt_i32_e32 vcc, s3, v93
	s_waitcnt vmcnt(14)
	v_mfma_f32_4x4x4_16b_bf16 a[0:3], v[74:75], v[32:33], a[0:3] cbsz:4 abid:6
	s_nop 1
	v_mfma_f32_4x4x4_16b_bf16 a[0:3], v[76:77], v[34:35], a[0:3] cbsz:4 abid:6
	s_waitcnt vmcnt(13)
	s_nop 0
	v_mfma_f32_4x4x4_16b_bf16 a[0:3], v[74:75], v[36:37], a[0:3] cbsz:4 abid:7
	s_nop 1
	v_mfma_f32_4x4x4_16b_bf16 a[0:3], v[76:77], v[38:39], a[0:3] cbsz:4 abid:7
	s_waitcnt vmcnt(12)
	s_nop 0
	v_mfma_f32_4x4x4_16b_bf16 a[0:3], v[74:75], v[40:41], a[0:3] cbsz:4 abid:8
	global_load_dwordx4 v[38:41], v[18:19], off
	global_load_dwordx4 v[2:5], v[18:19], off offset:16
	v_mfma_f32_4x4x4_16b_bf16 a[0:3], v[76:77], v[42:43], a[0:3] cbsz:4 abid:8
	global_load_dwordx4 v[30:33], v[18:19], off offset:2048
	global_load_dwordx4 v[34:37], v[18:19], off offset:2064
	s_waitcnt vmcnt(15)
	v_mfma_f32_4x4x4_16b_bf16 a[0:3], v[74:75], v[44:45], a[0:3] cbsz:4 abid:9
	global_load_dwordx4 v[18:21], v[70:71], off
	global_load_dwordx4 v[26:29], v[70:71], off offset:16
	v_mfma_f32_4x4x4_16b_bf16 a[0:3], v[76:77], v[46:47], a[0:3] cbsz:4 abid:9
	global_load_dwordx4 v[42:45], v[70:71], off offset:2048
	global_load_dwordx4 v[46:49], v[70:71], off offset:2064
	s_waitcnt vmcnt(18)
	v_mfma_f32_4x4x4_16b_bf16 a[0:3], v[74:75], v[52:53], a[0:3] cbsz:4 abid:10
	v_lshl_add_u64 v[52:53], s[4:5], 0, v[64:65]
	v_lshl_add_u64 v[70:71], v[52:53], 0, v[50:51]
	v_mfma_f32_4x4x4_16b_bf16 a[0:3], v[76:77], v[54:55], a[0:3] cbsz:4 abid:10
	s_waitcnt vmcnt(17)
	s_nop 0
	v_mfma_f32_4x4x4_16b_bf16 a[0:3], v[74:75], v[56:57], a[0:3] cbsz:4 abid:11
	global_load_dwordx4 v[50:53], v[70:71], off
	global_load_dwordx4 v[54:57], v[70:71], off offset:16
	v_mfma_f32_4x4x4_16b_bf16 a[0:3], v[76:77], v[58:59], a[0:3] cbsz:4 abid:11
	s_waitcnt vmcnt(18)
	s_nop 0
	v_mfma_f32_4x4x4_16b_bf16 a[0:3], v[74:75], v[60:61], a[0:3] cbsz:4 abid:12
	s_nop 1
	v_mfma_f32_4x4x4_16b_bf16 a[0:3], v[76:77], v[62:63], a[0:3] cbsz:4 abid:12
	global_load_dwordx4 v[62:65], v[70:71], off offset:2048
	global_load_dwordx4 v[58:61], v[70:71], off offset:2064
	s_waitcnt vmcnt(19)
	v_mfma_f32_4x4x4_16b_bf16 a[0:3], v[74:75], v[78:79], a[0:3] cbsz:4 abid:13
	s_nop 1
	v_mfma_f32_4x4x4_16b_bf16 a[0:3], v[76:77], v[80:81], a[0:3] cbsz:4 abid:13
	s_waitcnt vmcnt(17)
	s_nop 0
	v_mfma_f32_4x4x4_16b_bf16 a[0:3], v[74:75], v[82:83], a[0:3] cbsz:4 abid:14
	s_nop 1
	v_mfma_f32_4x4x4_16b_bf16 a[0:3], v[76:77], v[84:85], a[0:3] cbsz:4 abid:14
	s_waitcnt vmcnt(16)
	s_nop 0
	v_mfma_f32_4x4x4_16b_bf16 a[0:3], v[74:75], v[86:87], a[0:3] cbsz:4 abid:15
	s_nop 1
	v_mfma_f32_4x4x4_16b_bf16 a[0:3], v[76:77], v[88:89], a[0:3] cbsz:4 abid:15
	s_nop 4
	v_accvgpr_read_b32 v71, a1
	v_accvgpr_read_b32 v70, a0
	s_waitcnt lgkmcnt(0)
	v_pk_mul_f32 v[70:71], s[0:1], v[70:71] op_sel_hi:[0,1]
	v_accvgpr_read_b32 v75, a3
	v_accvgpr_read_b32 v74, a2
	v_pk_mul_f32 v[74:75], s[0:1], v[74:75] op_sel_hi:[0,1]
	v_mfma_f32_4x4x1_16b_f32 a[0:3], v70, v69, 0
	v_cvt_f32_i32_e32 v69, v96
	s_nop 0
	v_mfma_f32_4x4x1_16b_f32 a[0:3], v71, v90, a[0:3]
	v_cvt_f32_i32_e32 v71, v98
	v_cvt_f32_i32_e32 v70, v97
	v_mfma_f32_4x4x1_16b_f32 a[0:3], v74, v91, a[0:3]
	s_nop 1
	v_mfma_f32_4x4x1_16b_f32 a[0:3], v75, v92, a[0:3]
	s_nop 3
	v_accvgpr_read_b32 v74, a0
	v_accvgpr_read_b32 v77, a3
	v_fma_f32 v67, v99, v67, v74
	v_accvgpr_read_b32 v75, a1
	v_fmac_f32_e32 v77, v99, v71
	v_max_f32_e32 v71, 0xff7fffff, v67
	v_fma_f32 v69, v99, v69, v75
	v_cndmask_b32_e32 v71, v94, v71, vcc
	v_or_b32_e32 v74, 1, v93
	v_accvgpr_read_b32 v76, a2
	v_max_f32_e32 v75, v71, v69
	v_cmp_gt_i32_e64 s[0:1], s3, v74
	v_fma_f32 v70, v99, v70, v76
	v_or_b32_e32 v74, 2, v93
	v_cndmask_b32_e64 v71, v71, v75, s[0:1]
	v_max_f32_e32 v75, v71, v70
	v_cmp_gt_i32_e64 s[4:5], s3, v74
	s_nop 1
	v_cndmask_b32_e64 v71, v71, v75, s[4:5]
	v_max_f32_e32 v74, v71, v77
	v_cndmask_b32_e64 v68, v71, v74, s[8:9]
	;;#ASMSTART
	v_nop
 v_nop
 v_max_f32_dpp v68, v68, v68 row_ror:4
	;;#ASMEND
	v_lshlrev_b32_e32 v75, 2, v95
	;;#ASMSTART
	v_nop
 v_nop
 v_max_f32_dpp v68, v68, v68 row_ror:8
	;;#ASMEND
	ds_bpermute_b32 v68, v75, v68
	s_waitcnt lgkmcnt(0)
	;;#ASMSTART
	v_nop
 v_nop
 v_max_f32_dpp v68, v68, v68 row_ror:4
	;;#ASMEND
	s_nop 0
	;;#ASMSTART
	v_nop
 v_nop
 v_max_f32_dpp v74, v68, v68 row_ror:8
	;;#ASMEND
	s_nop 0
	v_sub_f32_e32 v67, v67, v74
	v_mul_f32_e32 v67, 0x3fb8aa3b, v67
	v_sub_f32_e32 v68, v69, v74
	v_exp_f32_e32 v67, v67
	v_mul_f32_e32 v68, 0x3fb8aa3b, v68
	v_sub_f32_e32 v70, v70, v74
	v_exp_f32_e32 v69, v68
	v_mul_f32_e32 v70, 0x3fb8aa3b, v70
	v_sub_f32_e32 v71, v77, v74
	v_exp_f32_e32 v70, v70
	v_mul_f32_e32 v71, 0x3fb8aa3b, v71
	v_exp_f32_e32 v71, v71
	v_cndmask_b32_e32 v68, 0, v67, vcc
	v_add_f32_e32 v67, 0, v68
	v_cndmask_b32_e64 v69, 0, v69, s[0:1]
	v_add_f32_e32 v67, v67, v69
	v_cndmask_b32_e64 v70, 0, v70, s[4:5]
	;; [unrolled: 2-line block ×3, first 2 shown]
	v_add_f32_e32 v67, v67, v71
	;;#ASMSTART
	v_nop
 v_nop
 v_add_f32_dpp v67, v67, v67 row_ror:4
	;;#ASMEND
	v_cmp_gt_u32_e32 vcc, 4, v1
	;;#ASMSTART
	v_nop
 v_nop
 v_add_f32_dpp v67, v67, v67 row_ror:8
	;;#ASMEND
	ds_bpermute_b32 v67, v75, v67
	s_waitcnt lgkmcnt(0)
	;;#ASMSTART
	v_nop
 v_nop
 v_add_f32_dpp v67, v67, v67 row_ror:4
	;;#ASMEND
	s_nop 0
	;;#ASMSTART
	v_nop
 v_nop
 v_add_f32_dpp v67, v67, v67 row_ror:8
	;;#ASMEND
	s_and_saveexec_b64 s[0:1], vcc
	s_cbranch_execz .LBB635_12
; %bb.11:
	v_mul_u32_u24_e32 v75, 20, v72
	v_lshl_add_u32 v75, v73, 2, v75
	v_add_u32_e32 v75, 0x1400, v75
	ds_write2_b32 v75, v74, v67 offset1:20
.LBB635_12:
	s_or_b64 exec, exec, s[0:1]
.LBB635_13:
	s_or_b64 exec, exec, s[26:27]
	v_lshlrev_b32_e32 v67, 2, v73
	v_add_u32_e32 v67, 0x1400, v67
	s_waitcnt lgkmcnt(0)
	s_barrier
	s_load_dword s0, s[24:25], 0x8
	ds_read2_b32 v[76:77], v67 offset1:5
	ds_read2_b32 v[78:79], v67 offset0:10 offset1:15
	s_mov_b32 s4, 0xff7fffff
	s_mul_i32 s1, s2, s40
	ds_read2_b32 v[80:81], v67 offset0:20 offset1:25
	s_waitcnt lgkmcnt(0)
	v_max3_f32 v73, v76, s4, v77
	s_mul_i32 s1, s1, s0
	v_max3_f32 v73, v73, v78, v79
	s_lshl_b32 s0, s1, 2
	s_mov_b32 s1, 0
	v_sub_f32_e32 v75, v76, v73
	v_sub_f32_e32 v76, v77, v73
	s_lshl_b64 s[2:3], s[0:1], 2
	v_mul_f32_e32 v75, 0x3fb8aa3b, v75
	v_mul_f32_e32 v76, 0x3fb8aa3b, v76
	s_add_u32 s8, s12, s2
	v_exp_f32_e32 v75, v75
	v_exp_f32_e32 v82, v76
	ds_read2_b32 v[76:77], v67 offset0:30 offset1:35
	v_sub_f32_e32 v67, v78, v73
	s_addc_u32 s9, s13, s3
	v_mul_f32_e32 v67, 0x3fb8aa3b, v67
	v_sub_f32_e32 v78, v79, v73
	s_mov_b32 s21, s1
	s_add_u32 s4, s14, s2
	v_exp_f32_e32 v67, v67
	v_mul_f32_e32 v78, 0x3fb8aa3b, v78
	s_addc_u32 s5, s15, s3
	s_lshl_b64 s[2:3], s[20:21], 2
	v_exp_f32_e32 v78, v78
	s_add_u32 s4, s4, s2
	v_fma_f32 v75, v75, v80, 0
	s_addc_u32 s5, s5, s3
	v_fmac_f32_e32 v75, v82, v81
	s_waitcnt lgkmcnt(0)
	v_fmac_f32_e32 v75, v67, v76
	s_add_u32 s2, s8, s2
	v_mul_lo_u32 v66, s40, v66
	v_mov_b32_e32 v67, 0
	v_fmac_f32_e32 v75, v78, v77
	s_addc_u32 s3, s9, s3
	v_lshlrev_b64 v[76:77], 2, v[66:67]
	v_lshl_add_u64 v[78:79], s[4:5], 0, v[76:77]
	v_lshl_add_u64 v[76:77], s[2:3], 0, v[76:77]
	v_lshlrev_b32_e32 v72, 3, v72
	global_store_dword v[78:79], v73, off
	global_store_dword v[76:77], v75, off
	s_and_saveexec_b64 s[2:3], s[6:7]
	s_xor_b64 s[2:3], exec, s[2:3]
	s_cbranch_execz .LBB635_15
; %bb.14:
	s_waitcnt vmcnt(12)
	v_mad_u32_u24 v2, v1, 40, v72
	v_mov_b32_e32 v66, v67
	ds_write_b64 v2, v[66:67]
                                        ; implicit-def: $vgpr71
                                        ; implicit-def: $vgpr69
                                        ; implicit-def: $vgpr51
                                        ; implicit-def: $vgpr55
                                        ; implicit-def: $vgpr11
                                        ; implicit-def: $vgpr23
                                        ; implicit-def: $vgpr39
                                        ; implicit-def: $vgpr3
                                        ; implicit-def: $vgpr19
                                        ; implicit-def: $vgpr27
                                        ; implicit-def: $vgpr63
                                        ; implicit-def: $vgpr59
                                        ; implicit-def: $vgpr7
                                        ; implicit-def: $vgpr15
                                        ; implicit-def: $vgpr31
                                        ; implicit-def: $vgpr35
                                        ; implicit-def: $vgpr43
                                        ; implicit-def: $vgpr47
                                        ; implicit-def: $vgpr74
                                        ; implicit-def: $vgpr73
                                        ; implicit-def: $vgpr75
.LBB635_15:
	s_or_saveexec_b64 s[2:3], s[2:3]
	v_mov_b32_e32 v66, s1
	v_mov_b32_e32 v67, s1
	s_xor_b64 exec, exec, s[2:3]
	s_cbranch_execz .LBB635_17
; %bb.16:
	v_add_f32_e32 v66, 0x358637bd, v75
	v_div_scale_f32 v67, s[4:5], v66, v66, 1.0
	v_rcp_f32_e32 v75, v67
	v_sub_f32_e32 v73, v74, v73
	v_mul_f32_e32 v73, 0x3fb8aa3b, v73
	v_exp_f32_e32 v73, v73
	v_fma_f32 v74, -v67, v75, 1.0
	v_fmac_f32_e32 v75, v74, v75
	v_div_scale_f32 v74, vcc, 1.0, v66, 1.0
	v_mul_f32_e32 v76, v74, v75
	v_fma_f32 v77, -v67, v76, v74
	v_fmac_f32_e32 v76, v77, v75
	v_fma_f32 v67, -v67, v76, v74
	v_div_fmas_f32 v67, v67, v75, v76
	v_div_fixup_f32 v66, v67, v66, 1.0
	v_mul_f32_e32 v66, v73, v66
	v_pk_mul_f32 v[70:71], v[70:71], v[66:67] op_sel_hi:[1,0]
	v_pk_mul_f32 v[66:67], v[68:69], v[66:67] op_sel_hi:[1,0]
	s_movk_i32 s1, 0x7fff
	v_bfe_u32 v68, v67, 16, 1
	v_bfe_u32 v69, v66, 16, 1
	v_add3_u32 v66, v66, v69, s1
	v_add3_u32 v67, v67, v68, s1
	s_mov_b32 s4, 0x7060302
	v_perm_b32 v66, v67, v66, s4
	v_bfe_u32 v67, v71, 16, 1
	v_bfe_u32 v68, v70, 16, 1
	v_add3_u32 v68, v70, v68, s1
	v_add3_u32 v67, v71, v67, s1
	v_perm_b32 v67, v67, v68, s4
	s_waitcnt vmcnt(5)
	s_nop 0
	v_mfma_f32_4x4x4_16b_bf16 a[0:3], v[66:67], v[50:51], 0 cbsz:4
	s_nop 1
	v_mfma_f32_4x4x4_16b_bf16 a[0:3], v[66:67], v[52:53], a[0:3] cbsz:4 abid:1
	s_waitcnt vmcnt(3)
	v_mfma_f32_4x4x4_16b_bf16 a[4:7], v[66:67], v[62:63], 0 cbsz:4
	v_mfma_f32_4x4x4_16b_bf16 a[0:3], v[66:67], v[54:55], a[0:3] cbsz:4 abid:2
	s_nop 0
	v_mfma_f32_4x4x4_16b_bf16 a[4:7], v[66:67], v[64:65], a[4:7] cbsz:4 abid:1
	v_mfma_f32_4x4x4_16b_bf16 a[0:3], v[66:67], v[56:57], a[0:3] cbsz:4 abid:3
	s_waitcnt vmcnt(2)
	v_mfma_f32_4x4x4_16b_bf16 a[4:7], v[66:67], v[58:59], a[4:7] cbsz:4 abid:2
	v_mfma_f32_4x4x4_16b_bf16 a[0:3], v[66:67], v[10:11], a[0:3] cbsz:4 abid:4
	s_nop 1
	v_mfma_f32_4x4x4_16b_bf16 a[0:3], v[66:67], v[12:13], a[0:3] cbsz:4 abid:5
	s_nop 1
	;; [unrolled: 2-line block ×12, first 2 shown]
	v_accvgpr_read_b32 v3, a2
	v_accvgpr_read_b32 v4, a3
	;; [unrolled: 1-line block ×4, first 2 shown]
	v_mfma_f32_4x4x4_16b_bf16 a[0:3], v[66:67], v[60:61], a[4:7] cbsz:4 abid:3
	v_bfe_u32 v10, v5, 16, 1
	v_add3_u32 v5, v5, v10, s1
	v_mfma_f32_4x4x4_16b_bf16 a[0:3], v[66:67], v[6:7], a[0:3] cbsz:4 abid:4
	v_bfe_u32 v6, v2, 16, 1
	v_add3_u32 v2, v2, v6, s1
	v_mfma_f32_4x4x4_16b_bf16 a[0:3], v[66:67], v[8:9], a[0:3] cbsz:4 abid:5
	v_perm_b32 v2, v5, v2, s4
	v_bfe_u32 v5, v4, 16, 1
	v_mfma_f32_4x4x4_16b_bf16 a[0:3], v[66:67], v[14:15], a[0:3] cbsz:4 abid:6
	v_bfe_u32 v6, v3, 16, 1
	v_add3_u32 v3, v3, v6, s1
	v_mfma_f32_4x4x4_16b_bf16 a[0:3], v[66:67], v[16:17], a[0:3] cbsz:4 abid:7
	v_add3_u32 v4, v4, v5, s1
	v_perm_b32 v3, v4, v3, s4
	v_mfma_f32_4x4x4_16b_bf16 a[0:3], v[66:67], v[30:31], a[0:3] cbsz:4 abid:8
	v_mad_u32_u24 v4, v1, 40, v72
	ds_write_b64 v4, v[2:3]
	v_mfma_f32_4x4x4_16b_bf16 a[0:3], v[66:67], v[32:33], a[0:3] cbsz:4 abid:9
	s_nop 1
	v_mfma_f32_4x4x4_16b_bf16 a[0:3], v[66:67], v[34:35], a[0:3] cbsz:4 abid:10
	s_nop 1
	v_mfma_f32_4x4x4_16b_bf16 a[0:3], v[66:67], v[36:37], a[0:3] cbsz:4 abid:11
	s_nop 1
	v_mfma_f32_4x4x4_16b_bf16 a[0:3], v[66:67], v[42:43], a[0:3] cbsz:4 abid:12
	s_nop 1
	v_mfma_f32_4x4x4_16b_bf16 a[0:3], v[66:67], v[44:45], a[0:3] cbsz:4 abid:13
	s_nop 1
	v_mfma_f32_4x4x4_16b_bf16 a[0:3], v[66:67], v[46:47], a[0:3] cbsz:4 abid:14
	s_nop 1
	v_mfma_f32_4x4x4_16b_bf16 a[0:3], v[66:67], v[48:49], a[0:3] cbsz:4 abid:15
	s_nop 4
	v_accvgpr_read_b32 v4, a0
	v_accvgpr_read_b32 v5, a1
	;; [unrolled: 1-line block ×4, first 2 shown]
	v_bfe_u32 v6, v5, 16, 1
	v_bfe_u32 v7, v4, 16, 1
	v_add3_u32 v4, v4, v7, s1
	v_add3_u32 v5, v5, v6, s1
	v_bfe_u32 v6, v3, 16, 1
	v_bfe_u32 v7, v2, 16, 1
	v_add3_u32 v2, v2, v7, s1
	v_add3_u32 v3, v3, v6, s1
	v_perm_b32 v67, v3, v2, s4
	v_perm_b32 v66, v5, v4, s4
.LBB635_17:
	s_or_b64 exec, exec, s[2:3]
	s_waitcnt vmcnt(12)
	v_mad_u32_u24 v2, v1, 40, v72
	v_cmp_gt_u32_e32 vcc, 64, v0
	ds_write_b64 v2, v[66:67] offset:2560
	s_waitcnt lgkmcnt(0)
	s_barrier
	s_and_saveexec_b64 s[2:3], vcc
	s_cbranch_execz .LBB635_19
; %bb.18:
	v_mul_u32_u24_e32 v6, 40, v1
	ds_read2_b64 v[2:5], v6 offset1:1
	ds_read2_b64 v[6:9], v6 offset0:2 offset1:3
	s_mov_b32 s1, 0
	s_lshl_b32 s0, s0, 7
	s_lshl_b64 s[2:3], s[0:1], 1
	s_waitcnt lgkmcnt(1)
	v_lshlrev_b32_e32 v10, 16, v2
	v_and_b32_e32 v2, 0xffff0000, v2
	v_add_f32_e32 v2, 0, v2
	v_lshlrev_b32_e32 v11, 16, v3
	v_and_b32_e32 v3, 0xffff0000, v3
	v_and_b32_e32 v2, 0xffff0000, v2
	v_add_f32_e32 v11, 0, v11
	v_add_f32_e32 v3, 0, v3
	v_lshlrev_b32_e32 v12, 16, v4
	v_and_b32_e32 v4, 0xffff0000, v4
	v_add_f32_e32 v10, 0, v10
	v_and_b32_e32 v11, 0xffff0000, v11
	v_and_b32_e32 v3, 0xffff0000, v3
	v_add_f32_e32 v2, v2, v4
	v_lshlrev_b32_e32 v4, 16, v5
	v_and_b32_e32 v5, 0xffff0000, v5
	v_and_b32_e32 v10, 0xffff0000, v10
	;; [unrolled: 1-line block ×3, first 2 shown]
	v_add_f32_e32 v4, v11, v4
	v_add_f32_e32 v3, v3, v5
	s_waitcnt lgkmcnt(0)
	v_lshlrev_b32_e32 v5, 16, v6
	v_and_b32_e32 v6, 0xffff0000, v6
	v_add_f32_e32 v10, v10, v12
	v_and_b32_e32 v4, 0xffff0000, v4
	v_add_f32_e32 v2, v2, v6
	v_lshlrev_b32_e32 v6, 16, v7
	v_and_b32_e32 v10, 0xffff0000, v10
	v_and_b32_e32 v3, 0xffff0000, v3
	v_add_f32_e32 v4, v4, v6
	v_and_b32_e32 v6, 0xffff0000, v7
	v_add_f32_e32 v5, v10, v5
	v_add_f32_e32 v3, v3, v6
	v_and_b32_e32 v5, 0xffff0000, v5
	v_and_b32_e32 v6, 0xffff0000, v3
	v_lshlrev_b32_e32 v3, 16, v8
	v_and_b32_e32 v2, 0xffff0000, v2
	v_add_f32_e32 v10, v5, v3
	v_and_b32_e32 v3, 0xffff0000, v8
	v_and_b32_e32 v4, 0xffff0000, v4
	v_add_f32_e32 v11, v2, v3
	v_lshlrev_b32_e32 v2, 16, v9
	v_add_f32_e32 v12, v4, v2
	v_mov_b32_e32 v2, 0xa00
	v_mad_u32_u24 v2, v1, 40, v2
	ds_read2_b64 v[2:5], v2 offset1:1
	v_and_b32_e32 v7, 0xffff0000, v9
	v_add_f32_e32 v13, v6, v7
	v_mov_b32_e32 v6, 0xa10
	v_mad_u32_u24 v1, v1, 40, v6
	ds_read2_b64 v[6:9], v1 offset1:1
	s_waitcnt lgkmcnt(1)
	v_lshlrev_b32_e32 v1, 16, v2
	v_and_b32_e32 v2, 0xffff0000, v2
	v_add_f32_e32 v1, 0, v1
	v_add_f32_e32 v2, 0, v2
	v_lshlrev_b32_e32 v14, 16, v3
	v_and_b32_e32 v3, 0xffff0000, v3
	v_and_b32_e32 v1, 0xffff0000, v1
	;; [unrolled: 1-line block ×3, first 2 shown]
	v_add_f32_e32 v3, 0, v3
	v_lshlrev_b32_e32 v15, 16, v4
	v_and_b32_e32 v4, 0xffff0000, v4
	v_add_f32_e32 v14, 0, v14
	v_and_b32_e32 v3, 0xffff0000, v3
	v_add_f32_e32 v1, v1, v15
	v_add_f32_e32 v2, v2, v4
	v_lshlrev_b32_e32 v4, 16, v5
	v_and_b32_e32 v5, 0xffff0000, v5
	v_and_b32_e32 v14, 0xffff0000, v14
	;; [unrolled: 1-line block ×3, first 2 shown]
	v_add_f32_e32 v3, v3, v5
	s_waitcnt lgkmcnt(0)
	v_lshlrev_b32_e32 v5, 16, v6
	v_and_b32_e32 v2, 0xffff0000, v2
	v_add_f32_e32 v4, v14, v4
	v_add_f32_e32 v1, v1, v5
	v_and_b32_e32 v5, 0xffff0000, v6
	v_and_b32_e32 v4, 0xffff0000, v4
	v_add_f32_e32 v2, v2, v5
	v_lshlrev_b32_e32 v5, 16, v7
	s_add_u32 s2, s22, s2
	v_and_b32_e32 v3, 0xffff0000, v3
	v_add_f32_e32 v4, v4, v5
	v_and_b32_e32 v5, 0xffff0000, v7
	s_addc_u32 s3, s23, s3
	s_lshl_b32 s0, s20, 7
	v_and_b32_e32 v1, 0xffff0000, v1
	v_add_f32_e32 v3, v3, v5
	v_lshlrev_b32_e32 v5, 16, v8
	s_lshl_b64 s[0:1], s[0:1], 1
	v_and_b32_e32 v2, 0xffff0000, v2
	v_add_f32_e32 v14, v1, v5
	v_and_b32_e32 v1, 0xffff0000, v8
	s_add_u32 s0, s2, s0
	v_and_b32_e32 v4, 0xffff0000, v4
	v_add_f32_e32 v15, v2, v1
	v_lshlrev_b32_e32 v1, 16, v9
	s_addc_u32 s1, s3, s1
	s_lshl_b32 s2, s40, 7
	v_and_b32_e32 v3, 0xffff0000, v3
	v_add_f32_e32 v16, v4, v1
	v_and_b32_e32 v1, 0xffff0000, v9
	s_mul_i32 s3, s2, s33
	v_add_f32_e32 v17, v3, v1
	v_or_b32_e32 v2, s3, v0
	v_mov_b32_e32 v3, 0
	s_add_i32 s3, s3, s2
	v_lshl_add_u64 v[4:5], v[2:3], 1, s[0:1]
	v_or_b32_e32 v2, s3, v0
	s_add_i32 s3, s3, s2
	v_lshl_add_u64 v[6:7], v[2:3], 1, s[0:1]
	v_or_b32_e32 v2, s3, v0
	;; [unrolled: 3-line block ×3, first 2 shown]
	v_lshl_add_u64 v[0:1], v[2:3], 1, s[0:1]
	global_store_short_d16_hi v[4:5], v10, off
	global_store_short_d16_hi v[6:7], v11, off
	;; [unrolled: 1-line block ×4, first 2 shown]
	global_store_short_d16_hi v[4:5], v14, off offset:128
	global_store_short_d16_hi v[6:7], v15, off offset:128
	;; [unrolled: 1-line block ×4, first 2 shown]
.LBB635_19:
	s_endpgm
.LBB635_20:
	s_mov_b64 s[12:13], 0
                                        ; implicit-def: $sgpr34_sgpr35
	s_branch .LBB635_2
	.section	.rodata,"a",@progbits
	.p2align	6, 0x0
	.amdhsa_kernel _Z38paged_attention_ll4mi_QKV_mfma4_kernelI14__hip_bfloat16S0_LN4vllm18Fp8KVCacheDataTypeE0ES0_Li16ELi128ELi256ELb1ELi4EEvPKT_PKT0_S8_ifPKiSA_SA_iPKfiiiPfSD_PS3_PT2_iSC_SC_
		.amdhsa_group_segment_fixed_size 5280
		.amdhsa_private_segment_fixed_size 0
		.amdhsa_kernarg_size 400
		.amdhsa_user_sgpr_count 2
		.amdhsa_user_sgpr_dispatch_ptr 0
		.amdhsa_user_sgpr_queue_ptr 0
		.amdhsa_user_sgpr_kernarg_segment_ptr 1
		.amdhsa_user_sgpr_dispatch_id 0
		.amdhsa_user_sgpr_kernarg_preload_length 0
		.amdhsa_user_sgpr_kernarg_preload_offset 0
		.amdhsa_user_sgpr_private_segment_size 0
		.amdhsa_uses_dynamic_stack 0
		.amdhsa_enable_private_segment 0
		.amdhsa_system_sgpr_workgroup_id_x 1
		.amdhsa_system_sgpr_workgroup_id_y 1
		.amdhsa_system_sgpr_workgroup_id_z 1
		.amdhsa_system_sgpr_workgroup_info 0
		.amdhsa_system_vgpr_workitem_id 0
		.amdhsa_next_free_vgpr 112
		.amdhsa_next_free_sgpr 41
		.amdhsa_accum_offset 104
		.amdhsa_reserve_vcc 1
		.amdhsa_float_round_mode_32 0
		.amdhsa_float_round_mode_16_64 0
		.amdhsa_float_denorm_mode_32 3
		.amdhsa_float_denorm_mode_16_64 3
		.amdhsa_dx10_clamp 1
		.amdhsa_ieee_mode 1
		.amdhsa_fp16_overflow 0
		.amdhsa_tg_split 0
		.amdhsa_exception_fp_ieee_invalid_op 0
		.amdhsa_exception_fp_denorm_src 0
		.amdhsa_exception_fp_ieee_div_zero 0
		.amdhsa_exception_fp_ieee_overflow 0
		.amdhsa_exception_fp_ieee_underflow 0
		.amdhsa_exception_fp_ieee_inexact 0
		.amdhsa_exception_int_div_zero 0
	.end_amdhsa_kernel
	.section	.text._Z38paged_attention_ll4mi_QKV_mfma4_kernelI14__hip_bfloat16S0_LN4vllm18Fp8KVCacheDataTypeE0ES0_Li16ELi128ELi256ELb1ELi4EEvPKT_PKT0_S8_ifPKiSA_SA_iPKfiiiPfSD_PS3_PT2_iSC_SC_,"axG",@progbits,_Z38paged_attention_ll4mi_QKV_mfma4_kernelI14__hip_bfloat16S0_LN4vllm18Fp8KVCacheDataTypeE0ES0_Li16ELi128ELi256ELb1ELi4EEvPKT_PKT0_S8_ifPKiSA_SA_iPKfiiiPfSD_PS3_PT2_iSC_SC_,comdat
.Lfunc_end635:
	.size	_Z38paged_attention_ll4mi_QKV_mfma4_kernelI14__hip_bfloat16S0_LN4vllm18Fp8KVCacheDataTypeE0ES0_Li16ELi128ELi256ELb1ELi4EEvPKT_PKT0_S8_ifPKiSA_SA_iPKfiiiPfSD_PS3_PT2_iSC_SC_, .Lfunc_end635-_Z38paged_attention_ll4mi_QKV_mfma4_kernelI14__hip_bfloat16S0_LN4vllm18Fp8KVCacheDataTypeE0ES0_Li16ELi128ELi256ELb1ELi4EEvPKT_PKT0_S8_ifPKiSA_SA_iPKfiiiPfSD_PS3_PT2_iSC_SC_
                                        ; -- End function
	.section	.AMDGPU.csdata,"",@progbits
; Kernel info:
; codeLenInByte = 4516
; NumSgprs: 47
; NumVgprs: 101
; NumAgprs: 8
; TotalNumVgprs: 112
; ScratchSize: 0
; MemoryBound: 0
; FloatMode: 240
; IeeeMode: 1
; LDSByteSize: 5280 bytes/workgroup (compile time only)
; SGPRBlocks: 5
; VGPRBlocks: 13
; NumSGPRsForWavesPerEU: 47
; NumVGPRsForWavesPerEU: 112
; AccumOffset: 104
; Occupancy: 4
; WaveLimiterHint : 1
; COMPUTE_PGM_RSRC2:SCRATCH_EN: 0
; COMPUTE_PGM_RSRC2:USER_SGPR: 2
; COMPUTE_PGM_RSRC2:TRAP_HANDLER: 0
; COMPUTE_PGM_RSRC2:TGID_X_EN: 1
; COMPUTE_PGM_RSRC2:TGID_Y_EN: 1
; COMPUTE_PGM_RSRC2:TGID_Z_EN: 1
; COMPUTE_PGM_RSRC2:TIDIG_COMP_CNT: 0
; COMPUTE_PGM_RSRC3_GFX90A:ACCUM_OFFSET: 25
; COMPUTE_PGM_RSRC3_GFX90A:TG_SPLIT: 0
	.section	.text._Z39paged_attention_ll4mi_QKV_mfma16_kernelI14__hip_bfloat16S0_LN4vllm18Fp8KVCacheDataTypeE0ES0_Li16ELi128ELi256ELb1ELi5EEvPKT_PKT0_S8_ifPKiSA_SA_iPKfiiiPfSD_PS3_PT2_iSC_SC_,"axG",@progbits,_Z39paged_attention_ll4mi_QKV_mfma16_kernelI14__hip_bfloat16S0_LN4vllm18Fp8KVCacheDataTypeE0ES0_Li16ELi128ELi256ELb1ELi5EEvPKT_PKT0_S8_ifPKiSA_SA_iPKfiiiPfSD_PS3_PT2_iSC_SC_,comdat
	.protected	_Z39paged_attention_ll4mi_QKV_mfma16_kernelI14__hip_bfloat16S0_LN4vllm18Fp8KVCacheDataTypeE0ES0_Li16ELi128ELi256ELb1ELi5EEvPKT_PKT0_S8_ifPKiSA_SA_iPKfiiiPfSD_PS3_PT2_iSC_SC_ ; -- Begin function _Z39paged_attention_ll4mi_QKV_mfma16_kernelI14__hip_bfloat16S0_LN4vllm18Fp8KVCacheDataTypeE0ES0_Li16ELi128ELi256ELb1ELi5EEvPKT_PKT0_S8_ifPKiSA_SA_iPKfiiiPfSD_PS3_PT2_iSC_SC_
	.globl	_Z39paged_attention_ll4mi_QKV_mfma16_kernelI14__hip_bfloat16S0_LN4vllm18Fp8KVCacheDataTypeE0ES0_Li16ELi128ELi256ELb1ELi5EEvPKT_PKT0_S8_ifPKiSA_SA_iPKfiiiPfSD_PS3_PT2_iSC_SC_
	.p2align	8
	.type	_Z39paged_attention_ll4mi_QKV_mfma16_kernelI14__hip_bfloat16S0_LN4vllm18Fp8KVCacheDataTypeE0ES0_Li16ELi128ELi256ELb1ELi5EEvPKT_PKT0_S8_ifPKiSA_SA_iPKfiiiPfSD_PS3_PT2_iSC_SC_,@function
_Z39paged_attention_ll4mi_QKV_mfma16_kernelI14__hip_bfloat16S0_LN4vllm18Fp8KVCacheDataTypeE0ES0_Li16ELi128ELi256ELb1ELi5EEvPKT_PKT0_S8_ifPKiSA_SA_iPKfiiiPfSD_PS3_PT2_iSC_SC_: ; @_Z39paged_attention_ll4mi_QKV_mfma16_kernelI14__hip_bfloat16S0_LN4vllm18Fp8KVCacheDataTypeE0ES0_Li16ELi128ELi256ELb1ELi5EEvPKT_PKT0_S8_ifPKiSA_SA_iPKfiiiPfSD_PS3_PT2_iSC_SC_
; %bb.0:
	s_load_dwordx2 s[8:9], s[0:1], 0x30
	s_mov_b32 s26, s3
	s_mov_b64 s[6:7], 0
	s_waitcnt lgkmcnt(0)
	s_cmp_lg_u64 s[8:9], 0
	s_cselect_b64 s[10:11], -1, 0
	s_and_b64 vcc, exec, s[10:11]
	s_cbranch_vccz .LBB636_7
; %bb.1:
	s_add_i32 s12, s2, 1
	s_mov_b32 s13, 0
	s_lshl_b64 s[14:15], s[12:13], 2
	s_add_u32 s14, s8, s14
	s_mov_b32 s3, s13
	s_addc_u32 s15, s9, s15
	s_lshl_b64 s[12:13], s[2:3], 2
	s_add_u32 s12, s8, s12
	s_addc_u32 s13, s9, s13
	s_load_dword s5, s[14:15], 0x0
	s_load_dword s16, s[12:13], 0x0
	s_waitcnt lgkmcnt(0)
	s_sub_i32 s5, s5, s16
	s_cmp_eq_u32 s5, 1
	s_cselect_b64 s[12:13], -1, 0
	s_andn2_b64 vcc, exec, s[6:7]
	s_cbranch_vccnz .LBB636_3
.LBB636_2:
	s_mov_b32 s3, 0
	s_mov_b64 s[12:13], -1
.LBB636_3:
	s_andn2_b64 vcc, exec, s[12:13]
	s_cbranch_vccnz .LBB636_20
; %bb.4:
	s_load_dwordx2 s[6:7], s[0:1], 0x28
	s_lshl_b64 s[12:13], s[2:3], 2
	s_waitcnt lgkmcnt(0)
	s_add_u32 s6, s6, s12
	s_addc_u32 s7, s7, s13
	s_load_dword s27, s[6:7], 0x0
	s_lshl_b32 s18, s26, 8
	s_waitcnt lgkmcnt(0)
	s_cmp_ge_i32 s18, s27
	s_cbranch_scc1 .LBB636_20
; %bb.5:
	s_load_dwordx2 s[6:7], s[0:1], 0x20
	s_load_dword s5, s[0:1], 0x38
	s_add_i32 s14, s27, 15
	s_ashr_i32 s15, s14, 31
	v_and_b32_e32 v1, 0xcf, v0
	s_lshr_b32 s15, s15, 28
	v_add_u32_e32 v1, s18, v1
	s_add_i32 s14, s14, s15
	v_ashrrev_i32_e32 v2, 31, v1
	s_ashr_i32 s19, s14, 4
	v_lshrrev_b32_e32 v4, 28, v2
	s_add_i32 s19, s19, -1
	s_waitcnt lgkmcnt(0)
	s_mul_i32 s14, s2, s5
	s_mov_b32 s15, 0
	v_add_u32_e32 v2, v1, v4
	s_lshl_b64 s[14:15], s[14:15], 2
	v_ashrrev_i32_e32 v2, 4, v2
	v_mov_b32_e32 v5, s19
	v_cmp_gt_i32_e32 vcc, s27, v1
	s_add_u32 s6, s6, s14
	s_addc_u32 s7, s7, s15
	v_cndmask_b32_e32 v2, v5, v2, vcc
	v_ashrrev_i32_e32 v3, 31, v2
	v_lshl_add_u64 v[6:7], v[2:3], 2, s[6:7]
	v_or_b32_e32 v2, 16, v1
	v_add_u32_e32 v3, v2, v4
	v_ashrrev_i32_e32 v3, 4, v3
	v_cmp_gt_i32_e32 vcc, s27, v2
	s_load_dwordx2 s[14:15], s[0:1], 0x8
	s_nop 0
	v_cndmask_b32_e32 v2, v5, v3, vcc
	v_ashrrev_i32_e32 v3, 31, v2
	v_lshl_add_u64 v[8:9], v[2:3], 2, s[6:7]
	v_or_b32_e32 v2, 32, v1
	v_add_u32_e32 v3, v2, v4
	v_ashrrev_i32_e32 v3, 4, v3
	v_cmp_gt_i32_e32 vcc, s27, v2
	v_or_b32_e32 v1, 48, v1
	s_nop 0
	v_cndmask_b32_e32 v2, v5, v3, vcc
	v_ashrrev_i32_e32 v3, 31, v2
	v_lshl_add_u64 v[10:11], v[2:3], 2, s[6:7]
	v_add_u32_e32 v2, v1, v4
	v_ashrrev_i32_e32 v2, 4, v2
	v_cmp_gt_i32_e32 vcc, s27, v1
	s_nop 1
	v_cndmask_b32_e32 v2, v5, v2, vcc
	v_ashrrev_i32_e32 v3, 31, v2
	v_lshl_add_u64 v[12:13], v[2:3], 2, s[6:7]
	global_load_dword v5, v[6:7], off
	global_load_dword v4, v[8:9], off
	;; [unrolled: 1-line block ×4, first 2 shown]
	s_andn2_b64 vcc, exec, s[10:11]
	s_cbranch_vccnz .LBB636_8
; %bb.6:
	s_add_u32 s8, s8, s12
	s_addc_u32 s9, s9, s13
	s_load_dword s5, s[8:9], 0x0
	s_branch .LBB636_9
.LBB636_7:
	s_mov_b64 s[12:13], 0
	s_branch .LBB636_2
.LBB636_8:
	s_mov_b32 s5, s2
.LBB636_9:
	s_load_dwordx2 s[12:13], s[0:1], 0x10
	s_load_dwordx4 s[8:11], s[0:1], 0x48
	v_lshrrev_b32_e32 v85, 6, v0
	v_bfe_u32 v88, v0, 4, 2
	v_and_b32_e32 v84, 15, v0
	v_lshl_or_b32 v1, v85, 2, v88
	v_lshlrev_b32_e32 v6, 3, v84
	s_mul_i32 s40, s4, 5
	v_cmp_gt_u32_e32 vcc, 5, v1
	v_lshlrev_b32_e32 v82, 1, v6
	s_and_saveexec_b64 s[16:17], vcc
	s_cbranch_execz .LBB636_11
; %bb.10:
	s_load_dwordx2 s[20:21], s[0:1], 0x0
	s_waitcnt lgkmcnt(0)
	s_ashr_i32 s11, s8, 31
	s_mul_hi_u32 s22, s5, s8
	s_mul_i32 s11, s5, s11
	s_add_i32 s23, s22, s11
	s_mul_i32 s22, s5, s8
	s_lshl_b64 s[22:23], s[22:23], 1
	s_add_u32 s20, s20, s22
	v_add_lshl_u32 v6, v1, s40, 7
	s_addc_u32 s21, s21, s23
	v_ashrrev_i32_e32 v7, 31, v6
	v_lshl_add_u64 v[6:7], v[6:7], 1, s[20:21]
	v_mov_b32_e32 v83, 0
	v_lshl_add_u64 v[6:7], v[6:7], 0, v[82:83]
	global_load_dwordx4 v[6:9], v[6:7], off
	v_and_b32_e32 v10, 3, v0
	v_lshlrev_b32_e32 v11, 9, v84
	v_lshlrev_b32_e32 v1, 5, v1
	;; [unrolled: 1-line block ×3, first 2 shown]
	v_and_b32_e32 v11, 0x1800, v11
	v_or3_b32 v1, v11, v10, v1
	s_waitcnt vmcnt(0)
	ds_write_b128 v1, v[6:9]
.LBB636_11:
	s_or_b64 exec, exec, s[16:17]
	s_waitcnt lgkmcnt(0)
	s_mul_i32 s4, s4, s10
	s_mov_b32 s5, 0
	s_lshl_b64 s[4:5], s[4:5], 1
	s_add_u32 s10, s14, s4
	v_lshlrev_b32_e32 v1, 4, v0
	s_addc_u32 s11, s15, s5
	v_and_b32_e32 v86, 0xf0, v1
	v_mov_b32_e32 v87, 0
	v_lshl_add_u64 v[6:7], s[10:11], 0, v[86:87]
	s_waitcnt vmcnt(3)
	v_mad_i64_i32 v[8:9], s[10:11], v5, s9, 0
	s_waitcnt vmcnt(2)
	v_mad_i64_i32 v[4:5], s[10:11], v4, s9, 0
	v_lshl_add_u64 v[8:9], v[8:9], 1, v[6:7]
	v_and_b32_e32 v86, 0x300, v1
	v_lshl_add_u64 v[4:5], v[4:5], 1, v[6:7]
	v_lshl_add_u64 v[8:9], v[8:9], 0, v[86:87]
	;; [unrolled: 1-line block ×3, first 2 shown]
	s_barrier
	global_load_dwordx4 v[78:81], v[8:9], off
	global_load_dwordx4 v[74:77], v[8:9], off offset:1024
	global_load_dwordx4 v[70:73], v[8:9], off offset:2048
	;; [unrolled: 1-line block ×3, first 2 shown]
	global_load_dwordx4 v[66:69], v[4:5], off
	global_load_dwordx4 v[62:65], v[4:5], off offset:1024
	global_load_dwordx4 v[58:61], v[4:5], off offset:2048
	;; [unrolled: 1-line block ×3, first 2 shown]
	s_waitcnt vmcnt(9)
	v_mad_i64_i32 v[4:5], s[10:11], v3, s9, 0
	s_waitcnt vmcnt(8)
	v_mad_i64_i32 v[2:3], s[10:11], v2, s9, 0
	v_lshl_add_u64 v[4:5], v[4:5], 1, v[6:7]
	v_lshl_add_u64 v[2:3], v[2:3], 1, v[6:7]
	;; [unrolled: 1-line block ×4, first 2 shown]
	global_load_dwordx4 v[30:33], v[4:5], off
	global_load_dwordx4 v[26:29], v[4:5], off offset:1024
	global_load_dwordx4 v[22:25], v[4:5], off offset:2048
	;; [unrolled: 1-line block ×3, first 2 shown]
	global_load_dwordx4 v[6:9], v[34:35], off
	s_nop 0
	global_load_dwordx4 v[2:5], v[34:35], off offset:1024
	global_load_dwordx4 v[38:41], v[34:35], off offset:2048
	s_nop 0
	global_load_dwordx4 v[34:37], v[34:35], off offset:3072
	v_mul_lo_u16_e32 v42, 52, v84
	v_mov_b32_e32 v43, 5
	v_mul_lo_u16_sdwa v42, v42, v43 dst_sel:DWORD dst_unused:UNUSED_PAD src0_sel:BYTE_1 src1_sel:DWORD
	v_sub_u16_e32 v42, v84, v42
	v_lshlrev_b32_sdwa v42, v43, v42 dst_sel:DWORD dst_unused:UNUSED_PAD src0_sel:DWORD src1_sel:BYTE_0
	v_lshl_add_u32 v42, v88, 9, v42
	ds_read_b128 v[54:57], v42
	ds_read_b128 v[50:53], v42 offset:2048
	ds_read_b128 v[46:49], v42 offset:4096
	;; [unrolled: 1-line block ×3, first 2 shown]
	v_and_b32_e32 v83, 63, v0
	v_cmp_gt_u32_e32 vcc, 5, v84
	v_mov_b32_e32 v89, 0
	s_and_saveexec_b64 s[10:11], vcc
	s_cbranch_execz .LBB636_13
; %bb.12:
	s_load_dwordx2 s[14:15], s[0:1], 0x40
	v_add_u32_e32 v90, s40, v84
	v_ashrrev_i32_e32 v91, 31, v90
	s_waitcnt lgkmcnt(0)
	v_lshl_add_u64 v[90:91], v[90:91], 2, s[14:15]
	global_load_dword v89, v[90:91], off
.LBB636_13:
	s_or_b64 exec, exec, s[10:11]
	s_waitcnt vmcnt(15) lgkmcnt(3)
	v_mfma_f32_16x16x16_bf16 v[90:93], v[78:79], v[54:55], 0
	s_add_u32 s4, s12, s4
	s_addc_u32 s5, s13, s5
	s_mov_b32 s33, 0xff7fffff
	v_mfma_f32_16x16x16_bf16 v[78:81], v[80:81], v[56:57], v[90:93]
	s_waitcnt vmcnt(14) lgkmcnt(2)
	v_mfma_f32_16x16x16_bf16 v[78:81], v[74:75], v[50:51], v[78:81]
	s_nop 0
	v_lshl_or_b32 v90, v85, 4, v84
	v_lshlrev_b32_e32 v86, 5, v90
	v_mfma_f32_16x16x16_bf16 v[74:77], v[76:77], v[52:53], v[78:81]
	s_waitcnt vmcnt(13) lgkmcnt(1)
	v_mfma_f32_16x16x16_bf16 v[74:77], v[70:71], v[46:47], v[74:77]
	v_mfma_f32_16x16x16_bf16 v[70:73], v[72:73], v[48:49], v[74:77]
	s_waitcnt vmcnt(11)
	v_mfma_f32_16x16x16_bf16 v[74:77], v[66:67], v[54:55], 0
	v_mfma_f32_16x16x16_bf16 v[66:69], v[68:69], v[56:57], v[74:77]
	s_nop 5
	v_and_or_b32 v74, v0, 48, s18
	s_waitcnt lgkmcnt(0)
	v_mfma_f32_16x16x16_bf16 v[70:73], v[10:11], v[42:43], v[70:73]
	v_ashrrev_i32_e32 v10, 4, v74
	v_mov_b32_e32 v75, s19
	v_cmp_gt_i32_e32 vcc, s27, v74
	s_waitcnt vmcnt(10)
	v_mfma_f32_16x16x16_bf16 v[66:69], v[62:63], v[50:51], v[66:69]
	v_cndmask_b32_e32 v10, v75, v10, vcc
	v_ashrrev_i32_e32 v11, 31, v10
	v_lshl_add_u64 v[10:11], v[10:11], 2, s[6:7]
	global_load_dword v76, v[10:11], off
	v_mfma_f32_16x16x16_bf16 v[62:65], v[64:65], v[52:53], v[66:69]
	v_or_b32_e32 v10, 64, v74
	v_ashrrev_i32_e32 v11, 4, v10
	v_cmp_gt_i32_e32 vcc, s27, v10
	s_waitcnt vmcnt(10)
	v_mfma_f32_16x16x16_bf16 v[62:65], v[58:59], v[46:47], v[62:65]
	v_cndmask_b32_e32 v10, v75, v11, vcc
	v_ashrrev_i32_e32 v11, 31, v10
	v_lshl_add_u64 v[10:11], v[10:11], 2, s[6:7]
	global_load_dword v78, v[10:11], off
	v_or_b32_e32 v10, 0x80, v74
	v_mfma_f32_16x16x16_bf16 v[58:61], v[60:61], v[48:49], v[62:65]
	v_ashrrev_i32_e32 v11, 4, v10
	v_cmp_gt_i32_e32 vcc, s27, v10
	s_waitcnt vmcnt(9)
	v_mfma_f32_16x16x16_bf16 v[62:65], v[30:31], v[54:55], 0
	v_cndmask_b32_e32 v10, v75, v11, vcc
	v_ashrrev_i32_e32 v11, 31, v10
	v_lshl_add_u64 v[10:11], v[10:11], 2, s[6:7]
	v_mfma_f32_16x16x16_bf16 v[30:33], v[32:33], v[56:57], v[62:65]
	s_nop 2
	global_load_dword v62, v[10:11], off
	v_or_b32_e32 v10, 0xc0, v74
	v_ashrrev_i32_e32 v11, 4, v10
	v_cmp_gt_i32_e32 vcc, s27, v10
	s_waitcnt vmcnt(9)
	v_mfma_f32_16x16x16_bf16 v[30:33], v[26:27], v[50:51], v[30:33]
	v_cndmask_b32_e32 v10, v75, v11, vcc
	v_ashrrev_i32_e32 v11, 31, v10
	v_lshl_add_u64 v[10:11], v[10:11], 2, s[6:7]
	global_load_dword v63, v[10:11], off
	v_mfma_f32_16x16x16_bf16 v[26:29], v[28:29], v[52:53], v[30:33]
	s_load_dword s6, s[0:1], 0x1c
	s_waitcnt vmcnt(3)
	v_mad_i64_i32 v[10:11], s[10:11], v76, s9, 0
	v_mfma_f32_16x16x16_bf16 v[26:29], v[22:23], v[46:47], v[26:29]
	v_lshlrev_b64 v[76:77], 1, v[10:11]
	v_mfma_f32_16x16x16_bf16 v[64:67], v[12:13], v[44:45], v[70:73]
	v_mfma_f32_16x16x16_bf16 v[10:13], v[24:25], v[48:49], v[26:29]
	s_nop 1
	v_lshl_add_u64 v[72:73], s[4:5], 0, v[86:87]
	v_or_b32_e32 v86, 0x800, v86
	v_mfma_f32_16x16x16_bf16 v[30:33], v[14:15], v[42:43], v[58:61]
	v_lshl_add_u64 v[14:15], v[72:73], 0, v[76:77]
	v_mfma_f32_16x16x16_bf16 v[10:13], v[18:19], v[42:43], v[10:13]
	v_mfma_f32_16x16x16_bf16 v[68:71], v[16:17], v[44:45], v[30:33]
	s_nop 3
	global_load_dwordx4 v[30:33], v[14:15], off
	global_load_dwordx4 v[26:29], v[14:15], off offset:16
	s_waitcnt vmcnt(4)
	v_mad_i64_i32 v[14:15], s[10:11], v78, s9, 0
	v_lshlrev_b64 v[58:59], 1, v[14:15]
	v_mfma_f32_16x16x16_bf16 v[92:95], v[20:21], v[44:45], v[10:13]
	s_waitcnt lgkmcnt(0)
	v_pk_mul_f32 v[78:79], s[6:7], v[66:67] op_sel_hi:[0,1]
	s_nop 0
	v_lshl_add_u64 v[10:11], v[72:73], 0, v[58:59]
	global_load_dwordx4 v[22:25], v[10:11], off
	global_load_dwordx4 v[18:21], v[10:11], off offset:16
	v_mfma_f32_16x16x16_bf16 v[10:13], v[6:7], v[54:55], 0
	s_waitcnt vmcnt(5)
	v_mad_i64_i32 v[6:7], s[10:11], v62, s9, 0
	v_lshlrev_b64 v[54:55], 1, v[6:7]
	v_mfma_f32_16x16x16_bf16 v[6:9], v[8:9], v[56:57], v[10:13]
	v_mfma_f32_16x16x16_bf16 v[6:9], v[2:3], v[50:51], v[6:9]
	s_waitcnt vmcnt(4)
	v_mad_i64_i32 v[2:3], s[8:9], v63, s9, 0
	v_lshlrev_b64 v[50:51], 1, v[2:3]
	v_mfma_f32_16x16x16_bf16 v[60:63], v[4:5], v[52:53], v[6:9]
	v_lshl_add_u64 v[10:11], v[72:73], 0, v[54:55]
	v_lshl_add_u64 v[2:3], v[72:73], 0, v[50:51]
	v_pk_mul_f32 v[52:53], s[6:7], v[64:65] op_sel_hi:[0,1]
	v_mfma_f32_16x16x16_bf16 v[72:75], v[38:39], v[46:47], v[60:63]
	global_load_dwordx4 v[14:17], v[10:11], off
	s_nop 0
	global_load_dwordx4 v[10:13], v[10:11], off offset:16
	v_lshl_add_u64 v[62:63], s[4:5], 0, v[86:87]
	v_lshl_add_u64 v[38:39], v[62:63], 0, v[76:77]
	v_mfma_f32_16x16x16_bf16 v[46:49], v[40:41], v[48:49], v[72:75]
	v_pk_mul_f32 v[76:77], s[6:7], v[68:69] op_sel_hi:[0,1]
	v_lshl_add_u64 v[54:55], v[62:63], 0, v[54:55]
	v_lshl_add_u64 v[50:51], v[62:63], 0, v[50:51]
	v_mfma_f32_16x16x16_bf16 v[40:43], v[34:35], v[42:43], v[46:49]
	v_pk_mul_f32 v[74:75], s[6:7], v[70:71] op_sel_hi:[0,1]
	v_pk_mul_f32 v[70:71], s[6:7], v[94:95] op_sel_hi:[0,1]
	v_pk_mul_f32 v[72:73], s[6:7], v[92:93] op_sel_hi:[0,1]
	v_mfma_f32_16x16x16_bf16 v[34:37], v[36:37], v[44:45], v[40:43]
	global_load_dwordx4 v[6:9], v[2:3], off
	s_nop 0
	global_load_dwordx4 v[2:5], v[2:3], off offset:16
	s_nop 3
	v_pk_mul_f32 v[68:69], s[6:7], v[34:35] op_sel_hi:[0,1]
	v_and_b32_e32 v34, 0xc0, v0
	v_add_u32_e32 v34, s18, v34
	v_lshl_or_b32 v34, v88, 2, v34
	v_or_b32_e32 v35, 1, v34
	v_pk_mul_f32 v[66:67], s[6:7], v[36:37] op_sel_hi:[0,1]
	v_subrev_u32_e32 v36, s27, v35
	v_add_u32_e32 v40, 1, v36
	v_add_u32_e32 v41, 2, v36
	v_cvt_f32_i32_e32 v37, v36
	v_cvt_f32_i32_e32 v40, v40
	;; [unrolled: 1-line block ×3, first 2 shown]
	v_add_u32_e32 v42, 3, v36
	v_fma_f32 v52, v89, v37, v52
	v_fmac_f32_e32 v53, v89, v40
	v_fma_f32 v78, v89, v41, v78
	v_add_u32_e32 v37, 16, v36
	v_add_u32_e32 v40, 17, v36
	;; [unrolled: 1-line block ×3, first 2 shown]
	v_cvt_f32_i32_e32 v42, v42
	v_cvt_f32_i32_e32 v37, v37
	v_cvt_f32_i32_e32 v40, v40
	v_cvt_f32_i32_e32 v41, v41
	v_fmac_f32_e32 v79, v89, v42
	v_add_u32_e32 v42, 19, v36
	v_fma_f32 v76, v89, v37, v76
	v_fmac_f32_e32 v77, v89, v40
	v_fma_f32 v74, v89, v41, v74
	v_add_u32_e32 v37, 32, v36
	v_add_u32_e32 v40, 33, v36
	;; [unrolled: 1-line block ×3, first 2 shown]
	v_cvt_f32_i32_e32 v42, v42
	v_cvt_f32_i32_e32 v37, v37
	;; [unrolled: 1-line block ×4, first 2 shown]
	v_fmac_f32_e32 v75, v89, v42
	v_add_u32_e32 v42, 35, v36
	v_fma_f32 v72, v89, v37, v72
	v_fmac_f32_e32 v73, v89, v40
	v_fma_f32 v70, v89, v41, v70
	v_add_u32_e32 v37, 48, v36
	v_add_u32_e32 v40, 49, v36
	;; [unrolled: 1-line block ×4, first 2 shown]
	v_cvt_f32_i32_e32 v36, v36
	v_cvt_f32_i32_e32 v37, v37
	;; [unrolled: 1-line block ×3, first 2 shown]
	v_cmp_gt_i32_e64 s[28:29], s27, v34
	v_fmac_f32_e32 v67, v89, v36
	v_mov_b32_e32 v36, 0xff7fffff
	v_cmp_gt_i32_e64 s[30:31], s27, v35
	v_fma_f32 v68, v89, v37, v68
	v_cndmask_b32_e64 v37, v36, v52, s[28:29]
	v_cndmask_b32_e64 v35, v36, v53, s[30:31]
	v_fmac_f32_e32 v69, v89, v40
	v_max3_f32 v35, v37, s33, v35
	v_or_b32_e32 v37, 2, v34
	v_or_b32_e32 v40, 3, v34
	v_cmp_gt_i32_e64 s[34:35], s27, v37
	v_cmp_gt_i32_e64 s[36:37], s27, v40
	v_cvt_f32_i32_e32 v42, v42
	v_cndmask_b32_e64 v37, v36, v78, s[34:35]
	v_cndmask_b32_e64 v40, v36, v79, s[36:37]
	v_max3_f32 v35, v35, v37, v40
	v_or_b32_e32 v37, 16, v34
	v_or_b32_e32 v40, 17, v34
	v_cmp_gt_i32_e64 s[22:23], s27, v37
	v_cmp_gt_i32_e64 s[24:25], s27, v40
	v_fmac_f32_e32 v71, v89, v42
	v_cndmask_b32_e64 v37, v36, v76, s[22:23]
	v_cndmask_b32_e64 v40, v36, v77, s[24:25]
	v_max3_f32 v35, v35, v37, v40
	v_or_b32_e32 v37, 18, v34
	v_or_b32_e32 v40, 19, v34
	v_cmp_gt_i32_e64 s[18:19], s27, v37
	v_cmp_gt_i32_e64 s[20:21], s27, v40
	v_cvt_f32_i32_e32 v41, v41
	v_cndmask_b32_e64 v37, v36, v74, s[18:19]
	v_cndmask_b32_e64 v40, v36, v75, s[20:21]
	v_max3_f32 v35, v35, v37, v40
	v_or_b32_e32 v37, 32, v34
	v_or_b32_e32 v40, 33, v34
	v_cmp_gt_i32_e64 s[14:15], s27, v37
	v_cmp_gt_i32_e64 s[16:17], s27, v40
	v_fma_f32 v66, v89, v41, v66
	v_cndmask_b32_e64 v37, v36, v72, s[14:15]
	v_cndmask_b32_e64 v40, v36, v73, s[16:17]
	v_max3_f32 v35, v35, v37, v40
	v_or_b32_e32 v37, 34, v34
	v_or_b32_e32 v40, 35, v34
	v_cmp_gt_i32_e64 s[10:11], s27, v37
	v_cmp_gt_i32_e64 s[12:13], s27, v40
	s_nop 0
	v_cndmask_b32_e64 v37, v36, v70, s[10:11]
	v_cndmask_b32_e64 v40, v36, v71, s[12:13]
	v_max3_f32 v35, v35, v37, v40
	v_or_b32_e32 v37, 48, v34
	v_or_b32_e32 v40, 49, v34
	v_cmp_gt_i32_e64 s[6:7], s27, v37
	v_cmp_gt_i32_e64 s[8:9], s27, v40
	s_nop 0
	v_cndmask_b32_e64 v37, v36, v68, s[6:7]
	v_cndmask_b32_e64 v40, v36, v69, s[8:9]
	v_max3_f32 v35, v35, v37, v40
	v_or_b32_e32 v37, 50, v34
	v_or_b32_e32 v34, 51, v34
	v_cmp_gt_i32_e32 vcc, s27, v37
	v_cmp_gt_i32_e64 s[4:5], s27, v34
	global_load_dwordx4 v[46:49], v[38:39], off
	s_nop 0
	global_load_dwordx4 v[38:41], v[38:39], off offset:16
	v_cndmask_b32_e32 v37, v36, v66, vcc
	v_cndmask_b32_e64 v34, v36, v67, s[4:5]
	v_max3_f32 v56, v35, v37, v34
	v_mbcnt_lo_u32_b32 v34, -1, 0
	v_mbcnt_hi_u32_b32 v57, -1, v34
	v_and_b32_e32 v34, 64, v57
	v_add_u32_e32 v60, 64, v34
	v_xor_b32_e32 v34, 32, v57
	v_cmp_lt_i32_e64 s[38:39], v34, v60
	s_nop 1
	v_cndmask_b32_e64 v34, v57, v34, s[38:39]
	v_lshlrev_b32_e32 v87, 2, v34
	ds_bpermute_b32 v61, v87, v56
	v_lshl_add_u64 v[34:35], v[62:63], 0, v[58:59]
	global_load_dwordx4 v[42:45], v[34:35], off
	s_nop 0
	global_load_dwordx4 v[34:37], v[34:35], off offset:16
	s_waitcnt lgkmcnt(0)
	v_max_f32_e32 v58, v61, v61
	v_max_f32_e32 v64, v56, v58
	v_xor_b32_e32 v56, 16, v57
	v_cmp_lt_i32_e64 s[38:39], v56, v60
	s_nop 1
	v_cndmask_b32_e64 v56, v57, v56, s[38:39]
	v_lshlrev_b32_e32 v89, 2, v56
	ds_bpermute_b32 v65, v89, v64
	global_load_dwordx4 v[58:61], v[54:55], off
	s_nop 0
	global_load_dwordx4 v[54:57], v[54:55], off offset:16
	s_waitcnt lgkmcnt(0)
	v_max_f32_e32 v62, v65, v65
	v_max_f32_e32 v86, v64, v62
	v_sub_f32_e32 v52, v52, v86
	v_mul_f32_e32 v52, 0x3fb8aa3b, v52
	v_exp_f32_e32 v80, v52
	v_sub_f32_e32 v52, v53, v86
	v_mul_f32_e32 v52, 0x3fb8aa3b, v52
	v_exp_f32_e32 v81, v52
	global_load_dwordx4 v[62:65], v[50:51], off
	s_nop 0
	global_load_dwordx4 v[50:53], v[50:51], off offset:16
	v_sub_f32_e32 v78, v78, v86
	v_mul_f32_e32 v78, 0x3fb8aa3b, v78
	v_sub_f32_e32 v79, v79, v86
	v_exp_f32_e32 v78, v78
	v_mul_f32_e32 v79, 0x3fb8aa3b, v79
	v_sub_f32_e32 v76, v76, v86
	v_exp_f32_e32 v79, v79
	v_mul_f32_e32 v76, 0x3fb8aa3b, v76
	v_sub_f32_e32 v77, v77, v86
	v_cndmask_b32_e64 v80, 0, v80, s[28:29]
	v_exp_f32_e32 v76, v76
	v_mul_f32_e32 v77, 0x3fb8aa3b, v77
	v_sub_f32_e32 v74, v74, v86
	v_add_f32_e32 v91, 0, v80
	v_cndmask_b32_e64 v81, 0, v81, s[30:31]
	v_exp_f32_e32 v77, v77
	v_mul_f32_e32 v74, 0x3fb8aa3b, v74
	v_sub_f32_e32 v75, v75, v86
	v_add_f32_e32 v91, v91, v81
	;; [unrolled: 5-line block ×10, first 2 shown]
	v_cndmask_b32_e64 v70, 0, v70, s[10:11]
	v_exp_f32_e32 v66, v66
	v_mul_f32_e32 v67, 0x3fb8aa3b, v67
	v_add_f32_e32 v91, v91, v70
	v_cndmask_b32_e64 v71, 0, v71, s[12:13]
	v_exp_f32_e32 v67, v67
	v_add_f32_e32 v91, v91, v71
	v_cndmask_b32_e64 v68, 0, v68, s[6:7]
	v_add_f32_e32 v91, v91, v68
	v_cndmask_b32_e64 v69, 0, v69, s[8:9]
	v_add_f32_e32 v91, v91, v69
	v_cndmask_b32_e32 v66, 0, v66, vcc
	v_add_f32_e32 v91, v91, v66
	v_cndmask_b32_e64 v67, 0, v67, s[4:5]
	v_add_f32_e32 v91, v91, v67
	ds_bpermute_b32 v87, v87, v91
	s_load_dword s9, s[0:1], 0x98
	v_cmp_gt_u32_e64 s[4:5], 16, v83
	s_waitcnt lgkmcnt(0)
	s_barrier
	v_add_f32_e32 v87, v91, v87
	ds_bpermute_b32 v89, v89, v87
	s_waitcnt lgkmcnt(0)
	s_and_saveexec_b64 s[6:7], s[4:5]
	s_cbranch_execz .LBB636_15
; %bb.14:
	v_add_f32_e32 v83, v87, v89
	v_lshlrev_b32_e32 v87, 2, v90
	ds_write2st64_b32 v87, v86, v83 offset1:1
.LBB636_15:
	s_or_b64 exec, exec, s[6:7]
	v_lshlrev_b32_e32 v89, 2, v84
	s_load_dword s8, s[0:1], 0x94
	s_waitcnt lgkmcnt(0)
	s_barrier
	ds_read2_b32 v[86:87], v89 offset1:16
	ds_read2_b32 v[90:91], v89 offset0:32 offset1:48
	ds_read2_b32 v[92:93], v89 offset0:64 offset1:80
	;; [unrolled: 1-line block ×3, first 2 shown]
	s_movk_i32 s10, 0x7fff
	s_waitcnt lgkmcnt(3)
	v_max3_f32 v83, v86, s33, v87
	s_waitcnt lgkmcnt(2)
	v_max3_f32 v83, v83, v90, v91
	v_sub_f32_e32 v86, v86, v83
	v_mul_f32_e32 v86, 0x3fb8aa3b, v86
	v_exp_f32_e32 v1, v86
	v_sub_f32_e32 v86, v87, v83
	v_mul_f32_e32 v86, 0x3fb8aa3b, v86
	v_exp_f32_e32 v87, v86
	;; [unrolled: 3-line block ×4, first 2 shown]
	s_waitcnt lgkmcnt(1)
	v_fma_f32 v86, v1, v92, 0
	v_fmac_f32_e32 v86, v87, v93
	s_waitcnt lgkmcnt(0)
	v_fmac_f32_e32 v86, v90, v94
	v_fmac_f32_e32 v86, v89, v95
	v_add_f32_e32 v91, 0x358637bd, v86
	v_div_scale_f32 v92, s[6:7], v91, v91, 1.0
	v_rcp_f32_e32 v93, v92
	s_mov_b32 s11, 0x7060302
	s_mul_i32 s9, s9, 5
	v_fma_f32 v94, -v92, v93, 1.0
	v_fmac_f32_e32 v93, v94, v93
	v_div_scale_f32 v94, vcc, 1.0, v91, 1.0
	v_mul_f32_e32 v95, v94, v93
	v_fma_f32 v88, -v92, v95, v94
	v_fmac_f32_e32 v95, v88, v93
	v_fma_f32 v88, -v92, v95, v94
	v_div_fmas_f32 v88, v88, v93, v95
	v_cmp_eq_u32_e32 vcc, 1, v85
	v_div_fixup_f32 v88, v88, v91, 1.0
	s_barrier
	v_cndmask_b32_e32 v1, v1, v87, vcc
	v_cmp_eq_u32_e32 vcc, 2, v85
	s_nop 1
	v_cndmask_b32_e32 v1, v1, v90, vcc
	v_cmp_eq_u32_e32 vcc, 3, v85
	s_nop 1
	v_cndmask_b32_e32 v1, v1, v89, vcc
	v_mul_f32_e32 v90, v1, v88
	v_pk_mul_f32 v[80:81], v[90:91], v[80:81] op_sel_hi:[0,1]
	v_bfe_u32 v1, v81, 16, 1
	v_bfe_u32 v87, v80, 16, 1
	v_pk_mul_f32 v[78:79], v[90:91], v[78:79] op_sel_hi:[0,1]
	v_add3_u32 v80, v80, v87, s10
	v_add3_u32 v1, v81, v1, s10
	v_perm_b32 v80, v1, v80, s11
	v_bfe_u32 v1, v79, 16, 1
	v_bfe_u32 v81, v78, 16, 1
	v_add3_u32 v78, v78, v81, s10
	v_add3_u32 v1, v79, v1, s10
	v_bfe_u32 v87, v0, 4, 2
	v_perm_b32 v81, v1, v78, s11
	v_lshlrev_b32_e32 v1, 3, v87
	v_lshlrev_b32_e32 v79, 5, v84
	;; [unrolled: 1-line block ×3, first 2 shown]
	v_pk_mul_f32 v[76:77], v[90:91], v[76:77] op_sel_hi:[0,1]
	v_or3_b32 v78, v78, v79, v1
	v_bfe_u32 v1, v77, 16, 1
	v_bfe_u32 v85, v76, 16, 1
	v_pk_mul_f32 v[74:75], v[90:91], v[74:75] op_sel_hi:[0,1]
	v_add3_u32 v76, v76, v85, s10
	v_add3_u32 v1, v77, v1, s10
	v_perm_b32 v76, v1, v76, s11
	v_bfe_u32 v1, v75, 16, 1
	v_bfe_u32 v77, v74, 16, 1
	v_add3_u32 v74, v74, v77, s10
	v_add3_u32 v1, v75, v1, s10
	v_pk_mul_f32 v[72:73], v[90:91], v[72:73] op_sel_hi:[0,1]
	v_perm_b32 v77, v1, v74, s11
	v_bfe_u32 v1, v73, 16, 1
	v_bfe_u32 v74, v72, 16, 1
	v_pk_mul_f32 v[70:71], v[90:91], v[70:71] op_sel_hi:[0,1]
	v_add3_u32 v72, v72, v74, s10
	v_add3_u32 v1, v73, v1, s10
	v_perm_b32 v72, v1, v72, s11
	v_bfe_u32 v1, v71, 16, 1
	v_bfe_u32 v73, v70, 16, 1
	v_add3_u32 v70, v70, v73, s10
	v_add3_u32 v1, v71, v1, s10
	v_pk_mul_f32 v[68:69], v[90:91], v[68:69] op_sel_hi:[0,1]
	v_perm_b32 v73, v1, v70, s11
	v_bfe_u32 v1, v69, 16, 1
	v_bfe_u32 v70, v68, 16, 1
	v_pk_mul_f32 v[66:67], v[90:91], v[66:67] op_sel_hi:[0,1]
	v_add3_u32 v68, v68, v70, s10
	v_add3_u32 v1, v69, v1, s10
	v_perm_b32 v68, v1, v68, s11
	v_bfe_u32 v1, v67, 16, 1
	v_bfe_u32 v69, v66, 16, 1
	v_add3_u32 v66, v66, v69, s10
	v_add3_u32 v1, v67, v1, s10
	v_perm_b32 v69, v1, v66, s11
	v_cmp_gt_u32_e32 vcc, 5, v0
	ds_write2st64_b64 v78, v[80:81], v[76:77] offset1:1
	ds_write2st64_b64 v78, v[72:73], v[68:69] offset0:2 offset1:3
	s_and_saveexec_b64 s[6:7], vcc
	s_cbranch_execz .LBB636_17
; %bb.16:
	s_mov_b32 s41, 0
	v_mov_b32_e32 v85, 0
	v_lshl_add_u64 v[66:67], s[40:41], 0, v[84:85]
	v_mov_b32_e32 v1, s9
	v_mad_u64_u32 v[66:67], s[16:17], s2, v1, v[66:67]
	s_mul_i32 s3, s3, s9
	v_mov_b32_e32 v68, s26
	v_mov_b32_e32 v69, v85
	s_load_dwordx4 s[12:15], s[0:1], 0x58
	v_add_u32_e32 v1, s3, v67
	v_mad_u64_u32 v[66:67], s[16:17], v66, s8, v[68:69]
	v_mov_b32_e32 v68, v67
	v_mad_u64_u32 v[68:69], s[16:17], v1, s8, v[68:69]
	v_mov_b32_e32 v67, v68
	v_lshlrev_b64 v[66:67], 2, v[66:67]
	s_waitcnt lgkmcnt(0)
	v_lshl_add_u64 v[68:69], s[14:15], 0, v[66:67]
	v_lshl_add_u64 v[66:67], s[12:13], 0, v[66:67]
	global_store_dword v[68:69], v83, off
	global_store_dword v[66:67], v86, off
.LBB636_17:
	s_or_b64 exec, exec, s[6:7]
	v_lshl_or_b32 v1, v87, 9, v79
	s_waitcnt lgkmcnt(0)
	s_barrier
	ds_read_b128 v[70:73], v1
	ds_read_b128 v[66:69], v1 offset:16
	s_waitcnt vmcnt(15) lgkmcnt(1)
	v_mfma_f32_16x16x16_bf16 v[74:77], v[30:31], v[70:71], 0
	s_mov_b32 s3, 0
	v_cmp_gt_u32_e32 vcc, 64, v0
	v_mfma_f32_16x16x16_bf16 v[30:33], v[32:33], v[72:73], v[74:77]
	s_waitcnt vmcnt(14) lgkmcnt(0)
	v_mfma_f32_16x16x16_bf16 v[30:33], v[26:27], v[66:67], v[30:33]
	v_mfma_f32_16x16x16_bf16 v[26:29], v[28:29], v[68:69], v[30:33]
	s_nop 5
	ds_read_b128 v[30:33], v1 offset:2048
	ds_read_b128 v[74:77], v1 offset:2064
	s_waitcnt vmcnt(13) lgkmcnt(1)
	v_mfma_f32_16x16x16_bf16 v[26:29], v[22:23], v[30:31], v[26:29]
	v_mfma_f32_16x16x16_bf16 v[22:25], v[24:25], v[32:33], v[26:29]
	s_waitcnt vmcnt(12) lgkmcnt(0)
	v_mfma_f32_16x16x16_bf16 v[22:25], v[18:19], v[74:75], v[22:25]
	v_mfma_f32_16x16x16_bf16 v[18:21], v[20:21], v[76:77], v[22:25]
	s_nop 5
	ds_read_b128 v[22:25], v1 offset:4096
	ds_read_b128 v[26:29], v1 offset:4112
	s_waitcnt vmcnt(11) lgkmcnt(1)
	v_mfma_f32_16x16x16_bf16 v[18:21], v[14:15], v[22:23], v[18:21]
	v_mfma_f32_16x16x16_bf16 v[14:17], v[16:17], v[24:25], v[18:21]
	s_waitcnt vmcnt(10) lgkmcnt(0)
	v_mfma_f32_16x16x16_bf16 v[14:17], v[10:11], v[26:27], v[14:17]
	v_mfma_f32_16x16x16_bf16 v[10:13], v[12:13], v[28:29], v[14:17]
	s_nop 5
	ds_read_b128 v[14:17], v1 offset:6144
	ds_read_b128 v[18:21], v1 offset:6160
	s_waitcnt lgkmcnt(0)
	s_barrier
	s_waitcnt vmcnt(9)
	v_mfma_f32_16x16x16_bf16 v[10:13], v[6:7], v[14:15], v[10:13]
	v_mfma_f32_16x16x16_bf16 v[6:9], v[8:9], v[16:17], v[10:13]
	s_waitcnt vmcnt(8)
	v_mfma_f32_16x16x16_bf16 v[6:9], v[2:3], v[18:19], v[6:9]
	v_mfma_f32_16x16x16_bf16 v[2:5], v[4:5], v[20:21], v[6:9]
	;; [unrolled: 3-line block ×3, first 2 shown]
	s_nop 3
	v_bfe_u32 v1, v3, 16, 1
	v_bfe_u32 v10, v2, 16, 1
	v_add3_u32 v2, v2, v10, s10
	s_waitcnt vmcnt(6)
	v_mfma_f32_16x16x16_bf16 v[6:9], v[38:39], v[66:67], v[6:9]
	v_add3_u32 v1, v3, v1, s10
	v_perm_b32 v10, v1, v2, s11
	v_bfe_u32 v1, v5, 16, 1
	v_mfma_f32_16x16x16_bf16 v[6:9], v[40:41], v[68:69], v[6:9]
	v_bfe_u32 v2, v4, 16, 1
	v_add3_u32 v2, v4, v2, s10
	v_add3_u32 v1, v5, v1, s10
	s_waitcnt vmcnt(5)
	v_mfma_f32_16x16x16_bf16 v[6:9], v[42:43], v[30:31], v[6:9]
	v_perm_b32 v11, v1, v2, s11
	v_mfma_f32_16x16x16_bf16 v[6:9], v[44:45], v[32:33], v[6:9]
	s_waitcnt vmcnt(4)
	v_mfma_f32_16x16x16_bf16 v[6:9], v[34:35], v[74:75], v[6:9]
	v_mfma_f32_16x16x16_bf16 v[6:9], v[36:37], v[76:77], v[6:9]
	s_waitcnt vmcnt(3)
	v_mfma_f32_16x16x16_bf16 v[6:9], v[58:59], v[22:23], v[6:9]
	;; [unrolled: 3-line block ×5, first 2 shown]
	v_mfma_f32_16x16x16_bf16 v[2:5], v[52:53], v[20:21], v[6:9]
	s_nop 6
	v_bfe_u32 v1, v3, 16, 1
	v_bfe_u32 v6, v2, 16, 1
	v_add3_u32 v2, v2, v6, s10
	v_add3_u32 v1, v3, v1, s10
	v_perm_b32 v2, v1, v2, s11
	v_bfe_u32 v1, v5, 16, 1
	v_bfe_u32 v3, v4, 16, 1
	v_add3_u32 v3, v4, v3, s10
	v_add3_u32 v1, v5, v1, s10
	v_perm_b32 v3, v1, v3, s11
	ds_write2st64_b64 v78, v[10:11], v[2:3] offset1:1
	s_waitcnt lgkmcnt(0)
	s_barrier
	s_and_saveexec_b64 s[6:7], vcc
	s_cbranch_execz .LBB636_20
; %bb.18:
	s_load_dwordx2 s[6:7], s[0:1], 0x68
	s_lshl_b32 s0, s8, 7
	s_mul_i32 s1, s9, s2
	v_lshlrev_b32_e32 v3, 6, v84
	s_mul_hi_u32 s9, s1, s0
	s_mul_i32 s8, s1, s0
	v_lshlrev_b32_e32 v2, 4, v0
	v_lshl_or_b32 v0, v0, 10, v3
	s_lshl_b64 s[8:9], s[8:9], 1
	v_lshlrev_b32_e32 v1, 5, v87
	v_and_b32_e32 v2, 16, v2
	v_and_b32_e32 v0, 0x1a00, v0
	s_waitcnt lgkmcnt(0)
	s_add_u32 s1, s6, s8
	v_or3_b32 v2, v0, v1, v2
	s_addc_u32 s6, s7, s9
	s_lshl_b32 s2, s26, 7
	s_lshl_b64 s[2:3], s[2:3], 1
	ds_read_b128 v[4:7], v2
	s_add_u32 s2, s1, s2
	s_addc_u32 s3, s6, s3
	v_mov_b32_e32 v83, 0
	v_add_u32_e32 v3, s40, v87
	v_lshl_add_u64 v[0:1], s[2:3], 0, v[82:83]
	v_mad_u64_u32 v[8:9], s[2:3], v3, s0, 0
	v_lshl_add_u64 v[8:9], v[8:9], 1, v[0:1]
	s_waitcnt lgkmcnt(0)
	global_store_dwordx4 v[8:9], v[4:7], off
	s_and_b64 exec, exec, s[4:5]
	s_cbranch_execz .LBB636_20
; %bb.19:
	ds_read_b128 v[2:5], v2 offset:128
	v_add3_u32 v6, s40, v87, 4
	v_mad_u64_u32 v[6:7], s[0:1], v6, s0, 0
	v_lshl_add_u64 v[0:1], v[6:7], 1, v[0:1]
	s_waitcnt lgkmcnt(0)
	global_store_dwordx4 v[0:1], v[2:5], off
.LBB636_20:
	s_endpgm
	.section	.rodata,"a",@progbits
	.p2align	6, 0x0
	.amdhsa_kernel _Z39paged_attention_ll4mi_QKV_mfma16_kernelI14__hip_bfloat16S0_LN4vllm18Fp8KVCacheDataTypeE0ES0_Li16ELi128ELi256ELb1ELi5EEvPKT_PKT0_S8_ifPKiSA_SA_iPKfiiiPfSD_PS3_PT2_iSC_SC_
		.amdhsa_group_segment_fixed_size 8192
		.amdhsa_private_segment_fixed_size 0
		.amdhsa_kernarg_size 400
		.amdhsa_user_sgpr_count 2
		.amdhsa_user_sgpr_dispatch_ptr 0
		.amdhsa_user_sgpr_queue_ptr 0
		.amdhsa_user_sgpr_kernarg_segment_ptr 1
		.amdhsa_user_sgpr_dispatch_id 0
		.amdhsa_user_sgpr_kernarg_preload_length 0
		.amdhsa_user_sgpr_kernarg_preload_offset 0
		.amdhsa_user_sgpr_private_segment_size 0
		.amdhsa_uses_dynamic_stack 0
		.amdhsa_enable_private_segment 0
		.amdhsa_system_sgpr_workgroup_id_x 1
		.amdhsa_system_sgpr_workgroup_id_y 1
		.amdhsa_system_sgpr_workgroup_id_z 1
		.amdhsa_system_sgpr_workgroup_info 0
		.amdhsa_system_vgpr_workitem_id 0
		.amdhsa_next_free_vgpr 96
		.amdhsa_next_free_sgpr 42
		.amdhsa_accum_offset 96
		.amdhsa_reserve_vcc 1
		.amdhsa_float_round_mode_32 0
		.amdhsa_float_round_mode_16_64 0
		.amdhsa_float_denorm_mode_32 3
		.amdhsa_float_denorm_mode_16_64 3
		.amdhsa_dx10_clamp 1
		.amdhsa_ieee_mode 1
		.amdhsa_fp16_overflow 0
		.amdhsa_tg_split 0
		.amdhsa_exception_fp_ieee_invalid_op 0
		.amdhsa_exception_fp_denorm_src 0
		.amdhsa_exception_fp_ieee_div_zero 0
		.amdhsa_exception_fp_ieee_overflow 0
		.amdhsa_exception_fp_ieee_underflow 0
		.amdhsa_exception_fp_ieee_inexact 0
		.amdhsa_exception_int_div_zero 0
	.end_amdhsa_kernel
	.section	.text._Z39paged_attention_ll4mi_QKV_mfma16_kernelI14__hip_bfloat16S0_LN4vllm18Fp8KVCacheDataTypeE0ES0_Li16ELi128ELi256ELb1ELi5EEvPKT_PKT0_S8_ifPKiSA_SA_iPKfiiiPfSD_PS3_PT2_iSC_SC_,"axG",@progbits,_Z39paged_attention_ll4mi_QKV_mfma16_kernelI14__hip_bfloat16S0_LN4vllm18Fp8KVCacheDataTypeE0ES0_Li16ELi128ELi256ELb1ELi5EEvPKT_PKT0_S8_ifPKiSA_SA_iPKfiiiPfSD_PS3_PT2_iSC_SC_,comdat
.Lfunc_end636:
	.size	_Z39paged_attention_ll4mi_QKV_mfma16_kernelI14__hip_bfloat16S0_LN4vllm18Fp8KVCacheDataTypeE0ES0_Li16ELi128ELi256ELb1ELi5EEvPKT_PKT0_S8_ifPKiSA_SA_iPKfiiiPfSD_PS3_PT2_iSC_SC_, .Lfunc_end636-_Z39paged_attention_ll4mi_QKV_mfma16_kernelI14__hip_bfloat16S0_LN4vllm18Fp8KVCacheDataTypeE0ES0_Li16ELi128ELi256ELb1ELi5EEvPKT_PKT0_S8_ifPKiSA_SA_iPKfiiiPfSD_PS3_PT2_iSC_SC_
                                        ; -- End function
	.section	.AMDGPU.csdata,"",@progbits
; Kernel info:
; codeLenInByte = 4980
; NumSgprs: 48
; NumVgprs: 96
; NumAgprs: 0
; TotalNumVgprs: 96
; ScratchSize: 0
; MemoryBound: 0
; FloatMode: 240
; IeeeMode: 1
; LDSByteSize: 8192 bytes/workgroup (compile time only)
; SGPRBlocks: 5
; VGPRBlocks: 11
; NumSGPRsForWavesPerEU: 48
; NumVGPRsForWavesPerEU: 96
; AccumOffset: 96
; Occupancy: 5
; WaveLimiterHint : 1
; COMPUTE_PGM_RSRC2:SCRATCH_EN: 0
; COMPUTE_PGM_RSRC2:USER_SGPR: 2
; COMPUTE_PGM_RSRC2:TRAP_HANDLER: 0
; COMPUTE_PGM_RSRC2:TGID_X_EN: 1
; COMPUTE_PGM_RSRC2:TGID_Y_EN: 1
; COMPUTE_PGM_RSRC2:TGID_Z_EN: 1
; COMPUTE_PGM_RSRC2:TIDIG_COMP_CNT: 0
; COMPUTE_PGM_RSRC3_GFX90A:ACCUM_OFFSET: 23
; COMPUTE_PGM_RSRC3_GFX90A:TG_SPLIT: 0
	.section	.text._Z39paged_attention_ll4mi_QKV_mfma16_kernelI14__hip_bfloat16S0_LN4vllm18Fp8KVCacheDataTypeE0ES0_Li16ELi128ELi256ELb1ELi6EEvPKT_PKT0_S8_ifPKiSA_SA_iPKfiiiPfSD_PS3_PT2_iSC_SC_,"axG",@progbits,_Z39paged_attention_ll4mi_QKV_mfma16_kernelI14__hip_bfloat16S0_LN4vllm18Fp8KVCacheDataTypeE0ES0_Li16ELi128ELi256ELb1ELi6EEvPKT_PKT0_S8_ifPKiSA_SA_iPKfiiiPfSD_PS3_PT2_iSC_SC_,comdat
	.protected	_Z39paged_attention_ll4mi_QKV_mfma16_kernelI14__hip_bfloat16S0_LN4vllm18Fp8KVCacheDataTypeE0ES0_Li16ELi128ELi256ELb1ELi6EEvPKT_PKT0_S8_ifPKiSA_SA_iPKfiiiPfSD_PS3_PT2_iSC_SC_ ; -- Begin function _Z39paged_attention_ll4mi_QKV_mfma16_kernelI14__hip_bfloat16S0_LN4vllm18Fp8KVCacheDataTypeE0ES0_Li16ELi128ELi256ELb1ELi6EEvPKT_PKT0_S8_ifPKiSA_SA_iPKfiiiPfSD_PS3_PT2_iSC_SC_
	.globl	_Z39paged_attention_ll4mi_QKV_mfma16_kernelI14__hip_bfloat16S0_LN4vllm18Fp8KVCacheDataTypeE0ES0_Li16ELi128ELi256ELb1ELi6EEvPKT_PKT0_S8_ifPKiSA_SA_iPKfiiiPfSD_PS3_PT2_iSC_SC_
	.p2align	8
	.type	_Z39paged_attention_ll4mi_QKV_mfma16_kernelI14__hip_bfloat16S0_LN4vllm18Fp8KVCacheDataTypeE0ES0_Li16ELi128ELi256ELb1ELi6EEvPKT_PKT0_S8_ifPKiSA_SA_iPKfiiiPfSD_PS3_PT2_iSC_SC_,@function
_Z39paged_attention_ll4mi_QKV_mfma16_kernelI14__hip_bfloat16S0_LN4vllm18Fp8KVCacheDataTypeE0ES0_Li16ELi128ELi256ELb1ELi6EEvPKT_PKT0_S8_ifPKiSA_SA_iPKfiiiPfSD_PS3_PT2_iSC_SC_: ; @_Z39paged_attention_ll4mi_QKV_mfma16_kernelI14__hip_bfloat16S0_LN4vllm18Fp8KVCacheDataTypeE0ES0_Li16ELi128ELi256ELb1ELi6EEvPKT_PKT0_S8_ifPKiSA_SA_iPKfiiiPfSD_PS3_PT2_iSC_SC_
; %bb.0:
	s_load_dwordx2 s[8:9], s[0:1], 0x30
	s_mov_b32 s26, s3
	s_mov_b64 s[6:7], 0
	s_waitcnt lgkmcnt(0)
	s_cmp_lg_u64 s[8:9], 0
	s_cselect_b64 s[10:11], -1, 0
	s_and_b64 vcc, exec, s[10:11]
	s_cbranch_vccz .LBB637_7
; %bb.1:
	s_add_i32 s12, s2, 1
	s_mov_b32 s13, 0
	s_lshl_b64 s[14:15], s[12:13], 2
	s_add_u32 s14, s8, s14
	s_mov_b32 s3, s13
	s_addc_u32 s15, s9, s15
	s_lshl_b64 s[12:13], s[2:3], 2
	s_add_u32 s12, s8, s12
	s_addc_u32 s13, s9, s13
	s_load_dword s5, s[14:15], 0x0
	s_load_dword s16, s[12:13], 0x0
	s_waitcnt lgkmcnt(0)
	s_sub_i32 s5, s5, s16
	s_cmp_eq_u32 s5, 1
	s_cselect_b64 s[12:13], -1, 0
	s_andn2_b64 vcc, exec, s[6:7]
	s_cbranch_vccnz .LBB637_3
.LBB637_2:
	s_mov_b32 s3, 0
	s_mov_b64 s[12:13], -1
.LBB637_3:
	s_andn2_b64 vcc, exec, s[12:13]
	s_cbranch_vccnz .LBB637_20
; %bb.4:
	s_load_dwordx2 s[6:7], s[0:1], 0x28
	s_lshl_b64 s[12:13], s[2:3], 2
	s_waitcnt lgkmcnt(0)
	s_add_u32 s6, s6, s12
	s_addc_u32 s7, s7, s13
	s_load_dword s27, s[6:7], 0x0
	s_lshl_b32 s18, s26, 8
	s_waitcnt lgkmcnt(0)
	s_cmp_ge_i32 s18, s27
	s_cbranch_scc1 .LBB637_20
; %bb.5:
	s_load_dwordx2 s[6:7], s[0:1], 0x20
	s_load_dword s5, s[0:1], 0x38
	s_add_i32 s14, s27, 15
	s_ashr_i32 s15, s14, 31
	v_and_b32_e32 v1, 0xcf, v0
	s_lshr_b32 s15, s15, 28
	v_add_u32_e32 v1, s18, v1
	s_add_i32 s14, s14, s15
	v_ashrrev_i32_e32 v2, 31, v1
	s_ashr_i32 s19, s14, 4
	v_lshrrev_b32_e32 v4, 28, v2
	s_add_i32 s19, s19, -1
	s_waitcnt lgkmcnt(0)
	s_mul_i32 s14, s2, s5
	s_mov_b32 s15, 0
	v_add_u32_e32 v2, v1, v4
	s_lshl_b64 s[14:15], s[14:15], 2
	v_ashrrev_i32_e32 v2, 4, v2
	v_mov_b32_e32 v5, s19
	v_cmp_gt_i32_e32 vcc, s27, v1
	s_add_u32 s6, s6, s14
	s_addc_u32 s7, s7, s15
	v_cndmask_b32_e32 v2, v5, v2, vcc
	v_ashrrev_i32_e32 v3, 31, v2
	v_lshl_add_u64 v[6:7], v[2:3], 2, s[6:7]
	v_or_b32_e32 v2, 16, v1
	v_add_u32_e32 v3, v2, v4
	v_ashrrev_i32_e32 v3, 4, v3
	v_cmp_gt_i32_e32 vcc, s27, v2
	s_load_dwordx2 s[14:15], s[0:1], 0x8
	s_nop 0
	v_cndmask_b32_e32 v2, v5, v3, vcc
	v_ashrrev_i32_e32 v3, 31, v2
	v_lshl_add_u64 v[8:9], v[2:3], 2, s[6:7]
	v_or_b32_e32 v2, 32, v1
	v_add_u32_e32 v3, v2, v4
	v_ashrrev_i32_e32 v3, 4, v3
	v_cmp_gt_i32_e32 vcc, s27, v2
	v_or_b32_e32 v1, 48, v1
	s_nop 0
	v_cndmask_b32_e32 v2, v5, v3, vcc
	v_ashrrev_i32_e32 v3, 31, v2
	v_lshl_add_u64 v[10:11], v[2:3], 2, s[6:7]
	v_add_u32_e32 v2, v1, v4
	v_ashrrev_i32_e32 v2, 4, v2
	v_cmp_gt_i32_e32 vcc, s27, v1
	s_nop 1
	v_cndmask_b32_e32 v2, v5, v2, vcc
	v_ashrrev_i32_e32 v3, 31, v2
	v_lshl_add_u64 v[12:13], v[2:3], 2, s[6:7]
	global_load_dword v5, v[6:7], off
	global_load_dword v4, v[8:9], off
	;; [unrolled: 1-line block ×4, first 2 shown]
	s_andn2_b64 vcc, exec, s[10:11]
	s_cbranch_vccnz .LBB637_8
; %bb.6:
	s_add_u32 s8, s8, s12
	s_addc_u32 s9, s9, s13
	s_load_dword s5, s[8:9], 0x0
	s_branch .LBB637_9
.LBB637_7:
	s_mov_b64 s[12:13], 0
	s_branch .LBB637_2
.LBB637_8:
	s_mov_b32 s5, s2
.LBB637_9:
	s_load_dwordx2 s[12:13], s[0:1], 0x10
	s_load_dwordx4 s[8:11], s[0:1], 0x48
	v_lshrrev_b32_e32 v85, 6, v0
	v_bfe_u32 v88, v0, 4, 2
	v_and_b32_e32 v84, 15, v0
	v_lshl_or_b32 v1, v85, 2, v88
	v_lshlrev_b32_e32 v6, 3, v84
	s_mul_i32 s40, s4, 6
	v_cmp_gt_u32_e32 vcc, 6, v1
	v_lshlrev_b32_e32 v82, 1, v6
	s_and_saveexec_b64 s[16:17], vcc
	s_cbranch_execz .LBB637_11
; %bb.10:
	s_load_dwordx2 s[20:21], s[0:1], 0x0
	s_waitcnt lgkmcnt(0)
	s_ashr_i32 s11, s8, 31
	s_mul_hi_u32 s22, s5, s8
	s_mul_i32 s11, s5, s11
	s_add_i32 s23, s22, s11
	s_mul_i32 s22, s5, s8
	s_lshl_b64 s[22:23], s[22:23], 1
	s_add_u32 s20, s20, s22
	v_add_lshl_u32 v6, v1, s40, 7
	s_addc_u32 s21, s21, s23
	v_ashrrev_i32_e32 v7, 31, v6
	v_lshl_add_u64 v[6:7], v[6:7], 1, s[20:21]
	v_mov_b32_e32 v83, 0
	v_lshl_add_u64 v[6:7], v[6:7], 0, v[82:83]
	global_load_dwordx4 v[6:9], v[6:7], off
	v_and_b32_e32 v10, 3, v0
	v_lshlrev_b32_e32 v11, 9, v84
	v_lshlrev_b32_e32 v1, 5, v1
	;; [unrolled: 1-line block ×3, first 2 shown]
	v_and_b32_e32 v11, 0x1800, v11
	v_or3_b32 v1, v11, v10, v1
	s_waitcnt vmcnt(0)
	ds_write_b128 v1, v[6:9]
.LBB637_11:
	s_or_b64 exec, exec, s[16:17]
	s_waitcnt lgkmcnt(0)
	s_mul_i32 s4, s4, s10
	s_mov_b32 s5, 0
	s_lshl_b64 s[4:5], s[4:5], 1
	s_add_u32 s10, s14, s4
	v_lshlrev_b32_e32 v1, 4, v0
	s_addc_u32 s11, s15, s5
	v_and_b32_e32 v86, 0xf0, v1
	v_mov_b32_e32 v87, 0
	v_lshl_add_u64 v[6:7], s[10:11], 0, v[86:87]
	s_waitcnt vmcnt(3)
	v_mad_i64_i32 v[8:9], s[10:11], v5, s9, 0
	s_waitcnt vmcnt(2)
	v_mad_i64_i32 v[4:5], s[10:11], v4, s9, 0
	v_lshl_add_u64 v[8:9], v[8:9], 1, v[6:7]
	v_and_b32_e32 v86, 0x300, v1
	v_lshl_add_u64 v[4:5], v[4:5], 1, v[6:7]
	v_lshl_add_u64 v[8:9], v[8:9], 0, v[86:87]
	;; [unrolled: 1-line block ×3, first 2 shown]
	s_barrier
	global_load_dwordx4 v[78:81], v[8:9], off
	global_load_dwordx4 v[74:77], v[8:9], off offset:1024
	global_load_dwordx4 v[70:73], v[8:9], off offset:2048
	;; [unrolled: 1-line block ×3, first 2 shown]
	global_load_dwordx4 v[66:69], v[4:5], off
	global_load_dwordx4 v[62:65], v[4:5], off offset:1024
	global_load_dwordx4 v[58:61], v[4:5], off offset:2048
	;; [unrolled: 1-line block ×3, first 2 shown]
	s_waitcnt vmcnt(9)
	v_mad_i64_i32 v[4:5], s[10:11], v3, s9, 0
	s_waitcnt vmcnt(8)
	v_mad_i64_i32 v[2:3], s[10:11], v2, s9, 0
	v_lshl_add_u64 v[4:5], v[4:5], 1, v[6:7]
	v_lshl_add_u64 v[2:3], v[2:3], 1, v[6:7]
	;; [unrolled: 1-line block ×4, first 2 shown]
	global_load_dwordx4 v[30:33], v[4:5], off
	global_load_dwordx4 v[26:29], v[4:5], off offset:1024
	global_load_dwordx4 v[22:25], v[4:5], off offset:2048
	;; [unrolled: 1-line block ×3, first 2 shown]
	global_load_dwordx4 v[6:9], v[34:35], off
	s_nop 0
	global_load_dwordx4 v[2:5], v[34:35], off offset:1024
	global_load_dwordx4 v[38:41], v[34:35], off offset:2048
	s_nop 0
	global_load_dwordx4 v[34:37], v[34:35], off offset:3072
	v_mul_lo_u16_e32 v42, 43, v84
	v_mov_b32_e32 v43, 6
	v_mul_lo_u16_sdwa v42, v42, v43 dst_sel:DWORD dst_unused:UNUSED_PAD src0_sel:BYTE_1 src1_sel:DWORD
	v_sub_u16_e32 v42, v84, v42
	v_mov_b32_e32 v43, 5
	v_lshlrev_b32_sdwa v42, v43, v42 dst_sel:DWORD dst_unused:UNUSED_PAD src0_sel:DWORD src1_sel:BYTE_0
	v_lshl_add_u32 v42, v88, 9, v42
	ds_read_b128 v[54:57], v42
	ds_read_b128 v[50:53], v42 offset:2048
	ds_read_b128 v[46:49], v42 offset:4096
	;; [unrolled: 1-line block ×3, first 2 shown]
	v_and_b32_e32 v83, 63, v0
	v_cmp_gt_u32_e32 vcc, 6, v84
	v_mov_b32_e32 v89, 0
	s_and_saveexec_b64 s[10:11], vcc
	s_cbranch_execz .LBB637_13
; %bb.12:
	s_load_dwordx2 s[14:15], s[0:1], 0x40
	v_add_u32_e32 v90, s40, v84
	v_ashrrev_i32_e32 v91, 31, v90
	s_waitcnt lgkmcnt(0)
	v_lshl_add_u64 v[90:91], v[90:91], 2, s[14:15]
	global_load_dword v89, v[90:91], off
.LBB637_13:
	s_or_b64 exec, exec, s[10:11]
	s_waitcnt vmcnt(15) lgkmcnt(3)
	v_mfma_f32_16x16x16_bf16 v[90:93], v[78:79], v[54:55], 0
	s_add_u32 s4, s12, s4
	s_addc_u32 s5, s13, s5
	s_mov_b32 s33, 0xff7fffff
	v_mfma_f32_16x16x16_bf16 v[78:81], v[80:81], v[56:57], v[90:93]
	s_waitcnt vmcnt(14) lgkmcnt(2)
	v_mfma_f32_16x16x16_bf16 v[78:81], v[74:75], v[50:51], v[78:81]
	s_nop 0
	v_lshl_or_b32 v90, v85, 4, v84
	v_lshlrev_b32_e32 v86, 5, v90
	v_mfma_f32_16x16x16_bf16 v[74:77], v[76:77], v[52:53], v[78:81]
	s_waitcnt vmcnt(13) lgkmcnt(1)
	v_mfma_f32_16x16x16_bf16 v[74:77], v[70:71], v[46:47], v[74:77]
	v_mfma_f32_16x16x16_bf16 v[70:73], v[72:73], v[48:49], v[74:77]
	s_waitcnt vmcnt(11)
	v_mfma_f32_16x16x16_bf16 v[74:77], v[66:67], v[54:55], 0
	v_mfma_f32_16x16x16_bf16 v[66:69], v[68:69], v[56:57], v[74:77]
	s_nop 5
	v_and_or_b32 v74, v0, 48, s18
	s_waitcnt lgkmcnt(0)
	v_mfma_f32_16x16x16_bf16 v[70:73], v[10:11], v[42:43], v[70:73]
	v_ashrrev_i32_e32 v10, 4, v74
	v_mov_b32_e32 v75, s19
	v_cmp_gt_i32_e32 vcc, s27, v74
	s_waitcnt vmcnt(10)
	v_mfma_f32_16x16x16_bf16 v[66:69], v[62:63], v[50:51], v[66:69]
	v_cndmask_b32_e32 v10, v75, v10, vcc
	v_ashrrev_i32_e32 v11, 31, v10
	v_lshl_add_u64 v[10:11], v[10:11], 2, s[6:7]
	global_load_dword v76, v[10:11], off
	v_mfma_f32_16x16x16_bf16 v[62:65], v[64:65], v[52:53], v[66:69]
	v_or_b32_e32 v10, 64, v74
	v_ashrrev_i32_e32 v11, 4, v10
	v_cmp_gt_i32_e32 vcc, s27, v10
	s_waitcnt vmcnt(10)
	v_mfma_f32_16x16x16_bf16 v[62:65], v[58:59], v[46:47], v[62:65]
	v_cndmask_b32_e32 v10, v75, v11, vcc
	v_ashrrev_i32_e32 v11, 31, v10
	v_lshl_add_u64 v[10:11], v[10:11], 2, s[6:7]
	global_load_dword v78, v[10:11], off
	v_or_b32_e32 v10, 0x80, v74
	v_mfma_f32_16x16x16_bf16 v[58:61], v[60:61], v[48:49], v[62:65]
	v_ashrrev_i32_e32 v11, 4, v10
	v_cmp_gt_i32_e32 vcc, s27, v10
	s_waitcnt vmcnt(9)
	v_mfma_f32_16x16x16_bf16 v[62:65], v[30:31], v[54:55], 0
	v_cndmask_b32_e32 v10, v75, v11, vcc
	v_ashrrev_i32_e32 v11, 31, v10
	v_lshl_add_u64 v[10:11], v[10:11], 2, s[6:7]
	v_mfma_f32_16x16x16_bf16 v[30:33], v[32:33], v[56:57], v[62:65]
	s_nop 2
	global_load_dword v62, v[10:11], off
	v_or_b32_e32 v10, 0xc0, v74
	v_ashrrev_i32_e32 v11, 4, v10
	v_cmp_gt_i32_e32 vcc, s27, v10
	s_waitcnt vmcnt(9)
	v_mfma_f32_16x16x16_bf16 v[30:33], v[26:27], v[50:51], v[30:33]
	v_cndmask_b32_e32 v10, v75, v11, vcc
	v_ashrrev_i32_e32 v11, 31, v10
	v_lshl_add_u64 v[10:11], v[10:11], 2, s[6:7]
	global_load_dword v63, v[10:11], off
	v_mfma_f32_16x16x16_bf16 v[26:29], v[28:29], v[52:53], v[30:33]
	s_load_dword s6, s[0:1], 0x1c
	s_waitcnt vmcnt(3)
	v_mad_i64_i32 v[10:11], s[10:11], v76, s9, 0
	v_mfma_f32_16x16x16_bf16 v[26:29], v[22:23], v[46:47], v[26:29]
	v_lshlrev_b64 v[76:77], 1, v[10:11]
	v_mfma_f32_16x16x16_bf16 v[64:67], v[12:13], v[44:45], v[70:73]
	v_mfma_f32_16x16x16_bf16 v[10:13], v[24:25], v[48:49], v[26:29]
	s_nop 1
	v_lshl_add_u64 v[72:73], s[4:5], 0, v[86:87]
	v_or_b32_e32 v86, 0x800, v86
	v_mfma_f32_16x16x16_bf16 v[30:33], v[14:15], v[42:43], v[58:61]
	v_lshl_add_u64 v[14:15], v[72:73], 0, v[76:77]
	v_mfma_f32_16x16x16_bf16 v[10:13], v[18:19], v[42:43], v[10:13]
	v_mfma_f32_16x16x16_bf16 v[68:71], v[16:17], v[44:45], v[30:33]
	s_nop 3
	global_load_dwordx4 v[30:33], v[14:15], off
	global_load_dwordx4 v[26:29], v[14:15], off offset:16
	s_waitcnt vmcnt(4)
	v_mad_i64_i32 v[14:15], s[10:11], v78, s9, 0
	v_lshlrev_b64 v[58:59], 1, v[14:15]
	v_mfma_f32_16x16x16_bf16 v[92:95], v[20:21], v[44:45], v[10:13]
	s_waitcnt lgkmcnt(0)
	v_pk_mul_f32 v[78:79], s[6:7], v[66:67] op_sel_hi:[0,1]
	s_nop 0
	v_lshl_add_u64 v[10:11], v[72:73], 0, v[58:59]
	global_load_dwordx4 v[22:25], v[10:11], off
	global_load_dwordx4 v[18:21], v[10:11], off offset:16
	v_mfma_f32_16x16x16_bf16 v[10:13], v[6:7], v[54:55], 0
	s_waitcnt vmcnt(5)
	v_mad_i64_i32 v[6:7], s[10:11], v62, s9, 0
	v_lshlrev_b64 v[54:55], 1, v[6:7]
	v_mfma_f32_16x16x16_bf16 v[6:9], v[8:9], v[56:57], v[10:13]
	v_mfma_f32_16x16x16_bf16 v[6:9], v[2:3], v[50:51], v[6:9]
	s_waitcnt vmcnt(4)
	v_mad_i64_i32 v[2:3], s[8:9], v63, s9, 0
	v_lshlrev_b64 v[50:51], 1, v[2:3]
	v_mfma_f32_16x16x16_bf16 v[60:63], v[4:5], v[52:53], v[6:9]
	v_lshl_add_u64 v[10:11], v[72:73], 0, v[54:55]
	v_lshl_add_u64 v[2:3], v[72:73], 0, v[50:51]
	v_pk_mul_f32 v[52:53], s[6:7], v[64:65] op_sel_hi:[0,1]
	v_mfma_f32_16x16x16_bf16 v[72:75], v[38:39], v[46:47], v[60:63]
	global_load_dwordx4 v[14:17], v[10:11], off
	s_nop 0
	global_load_dwordx4 v[10:13], v[10:11], off offset:16
	v_lshl_add_u64 v[62:63], s[4:5], 0, v[86:87]
	v_lshl_add_u64 v[38:39], v[62:63], 0, v[76:77]
	v_mfma_f32_16x16x16_bf16 v[46:49], v[40:41], v[48:49], v[72:75]
	v_pk_mul_f32 v[76:77], s[6:7], v[68:69] op_sel_hi:[0,1]
	v_lshl_add_u64 v[54:55], v[62:63], 0, v[54:55]
	v_lshl_add_u64 v[50:51], v[62:63], 0, v[50:51]
	v_mfma_f32_16x16x16_bf16 v[40:43], v[34:35], v[42:43], v[46:49]
	v_pk_mul_f32 v[74:75], s[6:7], v[70:71] op_sel_hi:[0,1]
	v_pk_mul_f32 v[70:71], s[6:7], v[94:95] op_sel_hi:[0,1]
	;; [unrolled: 1-line block ×3, first 2 shown]
	v_mfma_f32_16x16x16_bf16 v[34:37], v[36:37], v[44:45], v[40:43]
	global_load_dwordx4 v[6:9], v[2:3], off
	s_nop 0
	global_load_dwordx4 v[2:5], v[2:3], off offset:16
	s_nop 3
	v_pk_mul_f32 v[68:69], s[6:7], v[34:35] op_sel_hi:[0,1]
	v_and_b32_e32 v34, 0xc0, v0
	v_add_u32_e32 v34, s18, v34
	v_lshl_or_b32 v34, v88, 2, v34
	v_or_b32_e32 v35, 1, v34
	v_pk_mul_f32 v[66:67], s[6:7], v[36:37] op_sel_hi:[0,1]
	v_subrev_u32_e32 v36, s27, v35
	v_add_u32_e32 v40, 1, v36
	v_add_u32_e32 v41, 2, v36
	v_cvt_f32_i32_e32 v37, v36
	v_cvt_f32_i32_e32 v40, v40
	;; [unrolled: 1-line block ×3, first 2 shown]
	v_add_u32_e32 v42, 3, v36
	v_fma_f32 v52, v89, v37, v52
	v_fmac_f32_e32 v53, v89, v40
	v_fma_f32 v78, v89, v41, v78
	v_add_u32_e32 v37, 16, v36
	v_add_u32_e32 v40, 17, v36
	;; [unrolled: 1-line block ×3, first 2 shown]
	v_cvt_f32_i32_e32 v42, v42
	v_cvt_f32_i32_e32 v37, v37
	;; [unrolled: 1-line block ×4, first 2 shown]
	v_fmac_f32_e32 v79, v89, v42
	v_add_u32_e32 v42, 19, v36
	v_fma_f32 v76, v89, v37, v76
	v_fmac_f32_e32 v77, v89, v40
	v_fma_f32 v74, v89, v41, v74
	v_add_u32_e32 v37, 32, v36
	v_add_u32_e32 v40, 33, v36
	;; [unrolled: 1-line block ×3, first 2 shown]
	v_cvt_f32_i32_e32 v42, v42
	v_cvt_f32_i32_e32 v37, v37
	;; [unrolled: 1-line block ×4, first 2 shown]
	v_fmac_f32_e32 v75, v89, v42
	v_add_u32_e32 v42, 35, v36
	v_fma_f32 v72, v89, v37, v72
	v_fmac_f32_e32 v73, v89, v40
	v_fma_f32 v70, v89, v41, v70
	v_add_u32_e32 v37, 48, v36
	v_add_u32_e32 v40, 49, v36
	;; [unrolled: 1-line block ×4, first 2 shown]
	v_cvt_f32_i32_e32 v36, v36
	v_cvt_f32_i32_e32 v37, v37
	;; [unrolled: 1-line block ×3, first 2 shown]
	v_cmp_gt_i32_e64 s[28:29], s27, v34
	v_fmac_f32_e32 v67, v89, v36
	v_mov_b32_e32 v36, 0xff7fffff
	v_cmp_gt_i32_e64 s[30:31], s27, v35
	v_fma_f32 v68, v89, v37, v68
	v_cndmask_b32_e64 v37, v36, v52, s[28:29]
	v_cndmask_b32_e64 v35, v36, v53, s[30:31]
	v_fmac_f32_e32 v69, v89, v40
	v_max3_f32 v35, v37, s33, v35
	v_or_b32_e32 v37, 2, v34
	v_or_b32_e32 v40, 3, v34
	v_cmp_gt_i32_e64 s[34:35], s27, v37
	v_cmp_gt_i32_e64 s[36:37], s27, v40
	v_cvt_f32_i32_e32 v42, v42
	v_cndmask_b32_e64 v37, v36, v78, s[34:35]
	v_cndmask_b32_e64 v40, v36, v79, s[36:37]
	v_max3_f32 v35, v35, v37, v40
	v_or_b32_e32 v37, 16, v34
	v_or_b32_e32 v40, 17, v34
	v_cmp_gt_i32_e64 s[22:23], s27, v37
	v_cmp_gt_i32_e64 s[24:25], s27, v40
	v_fmac_f32_e32 v71, v89, v42
	v_cndmask_b32_e64 v37, v36, v76, s[22:23]
	v_cndmask_b32_e64 v40, v36, v77, s[24:25]
	v_max3_f32 v35, v35, v37, v40
	v_or_b32_e32 v37, 18, v34
	v_or_b32_e32 v40, 19, v34
	v_cmp_gt_i32_e64 s[18:19], s27, v37
	v_cmp_gt_i32_e64 s[20:21], s27, v40
	v_cvt_f32_i32_e32 v41, v41
	v_cndmask_b32_e64 v37, v36, v74, s[18:19]
	v_cndmask_b32_e64 v40, v36, v75, s[20:21]
	v_max3_f32 v35, v35, v37, v40
	v_or_b32_e32 v37, 32, v34
	v_or_b32_e32 v40, 33, v34
	v_cmp_gt_i32_e64 s[14:15], s27, v37
	v_cmp_gt_i32_e64 s[16:17], s27, v40
	v_fma_f32 v66, v89, v41, v66
	v_cndmask_b32_e64 v37, v36, v72, s[14:15]
	v_cndmask_b32_e64 v40, v36, v73, s[16:17]
	v_max3_f32 v35, v35, v37, v40
	v_or_b32_e32 v37, 34, v34
	v_or_b32_e32 v40, 35, v34
	v_cmp_gt_i32_e64 s[10:11], s27, v37
	v_cmp_gt_i32_e64 s[12:13], s27, v40
	s_nop 0
	v_cndmask_b32_e64 v37, v36, v70, s[10:11]
	v_cndmask_b32_e64 v40, v36, v71, s[12:13]
	v_max3_f32 v35, v35, v37, v40
	v_or_b32_e32 v37, 48, v34
	v_or_b32_e32 v40, 49, v34
	v_cmp_gt_i32_e64 s[6:7], s27, v37
	v_cmp_gt_i32_e64 s[8:9], s27, v40
	s_nop 0
	v_cndmask_b32_e64 v37, v36, v68, s[6:7]
	v_cndmask_b32_e64 v40, v36, v69, s[8:9]
	v_max3_f32 v35, v35, v37, v40
	v_or_b32_e32 v37, 50, v34
	v_or_b32_e32 v34, 51, v34
	v_cmp_gt_i32_e32 vcc, s27, v37
	v_cmp_gt_i32_e64 s[4:5], s27, v34
	global_load_dwordx4 v[46:49], v[38:39], off
	s_nop 0
	global_load_dwordx4 v[38:41], v[38:39], off offset:16
	v_cndmask_b32_e32 v37, v36, v66, vcc
	v_cndmask_b32_e64 v34, v36, v67, s[4:5]
	v_max3_f32 v56, v35, v37, v34
	v_mbcnt_lo_u32_b32 v34, -1, 0
	v_mbcnt_hi_u32_b32 v57, -1, v34
	v_and_b32_e32 v34, 64, v57
	v_add_u32_e32 v60, 64, v34
	v_xor_b32_e32 v34, 32, v57
	v_cmp_lt_i32_e64 s[38:39], v34, v60
	s_nop 1
	v_cndmask_b32_e64 v34, v57, v34, s[38:39]
	v_lshlrev_b32_e32 v87, 2, v34
	ds_bpermute_b32 v61, v87, v56
	v_lshl_add_u64 v[34:35], v[62:63], 0, v[58:59]
	global_load_dwordx4 v[42:45], v[34:35], off
	s_nop 0
	global_load_dwordx4 v[34:37], v[34:35], off offset:16
	s_waitcnt lgkmcnt(0)
	v_max_f32_e32 v58, v61, v61
	v_max_f32_e32 v64, v56, v58
	v_xor_b32_e32 v56, 16, v57
	v_cmp_lt_i32_e64 s[38:39], v56, v60
	s_nop 1
	v_cndmask_b32_e64 v56, v57, v56, s[38:39]
	v_lshlrev_b32_e32 v89, 2, v56
	ds_bpermute_b32 v65, v89, v64
	global_load_dwordx4 v[58:61], v[54:55], off
	s_nop 0
	global_load_dwordx4 v[54:57], v[54:55], off offset:16
	s_waitcnt lgkmcnt(0)
	v_max_f32_e32 v62, v65, v65
	v_max_f32_e32 v86, v64, v62
	v_sub_f32_e32 v52, v52, v86
	v_mul_f32_e32 v52, 0x3fb8aa3b, v52
	v_exp_f32_e32 v80, v52
	v_sub_f32_e32 v52, v53, v86
	v_mul_f32_e32 v52, 0x3fb8aa3b, v52
	v_exp_f32_e32 v81, v52
	global_load_dwordx4 v[62:65], v[50:51], off
	s_nop 0
	global_load_dwordx4 v[50:53], v[50:51], off offset:16
	v_sub_f32_e32 v78, v78, v86
	v_mul_f32_e32 v78, 0x3fb8aa3b, v78
	v_sub_f32_e32 v79, v79, v86
	v_exp_f32_e32 v78, v78
	v_mul_f32_e32 v79, 0x3fb8aa3b, v79
	v_sub_f32_e32 v76, v76, v86
	v_exp_f32_e32 v79, v79
	v_mul_f32_e32 v76, 0x3fb8aa3b, v76
	v_sub_f32_e32 v77, v77, v86
	v_cndmask_b32_e64 v80, 0, v80, s[28:29]
	v_exp_f32_e32 v76, v76
	v_mul_f32_e32 v77, 0x3fb8aa3b, v77
	v_sub_f32_e32 v74, v74, v86
	v_add_f32_e32 v91, 0, v80
	v_cndmask_b32_e64 v81, 0, v81, s[30:31]
	v_exp_f32_e32 v77, v77
	v_mul_f32_e32 v74, 0x3fb8aa3b, v74
	v_sub_f32_e32 v75, v75, v86
	v_add_f32_e32 v91, v91, v81
	;; [unrolled: 5-line block ×10, first 2 shown]
	v_cndmask_b32_e64 v70, 0, v70, s[10:11]
	v_exp_f32_e32 v66, v66
	v_mul_f32_e32 v67, 0x3fb8aa3b, v67
	v_add_f32_e32 v91, v91, v70
	v_cndmask_b32_e64 v71, 0, v71, s[12:13]
	v_exp_f32_e32 v67, v67
	v_add_f32_e32 v91, v91, v71
	v_cndmask_b32_e64 v68, 0, v68, s[6:7]
	v_add_f32_e32 v91, v91, v68
	v_cndmask_b32_e64 v69, 0, v69, s[8:9]
	v_add_f32_e32 v91, v91, v69
	v_cndmask_b32_e32 v66, 0, v66, vcc
	v_add_f32_e32 v91, v91, v66
	v_cndmask_b32_e64 v67, 0, v67, s[4:5]
	v_add_f32_e32 v91, v91, v67
	ds_bpermute_b32 v87, v87, v91
	s_load_dword s7, s[0:1], 0x98
	v_cmp_gt_u32_e32 vcc, 16, v83
	s_waitcnt lgkmcnt(0)
	s_barrier
	v_add_f32_e32 v87, v91, v87
	ds_bpermute_b32 v89, v89, v87
	s_waitcnt lgkmcnt(0)
	s_and_saveexec_b64 s[4:5], vcc
	s_cbranch_execz .LBB637_15
; %bb.14:
	v_add_f32_e32 v83, v87, v89
	v_lshlrev_b32_e32 v87, 2, v90
	ds_write2st64_b32 v87, v86, v83 offset1:1
.LBB637_15:
	s_or_b64 exec, exec, s[4:5]
	v_lshlrev_b32_e32 v89, 2, v84
	s_load_dword s6, s[0:1], 0x94
	s_waitcnt lgkmcnt(0)
	s_barrier
	ds_read2_b32 v[86:87], v89 offset1:16
	ds_read2_b32 v[90:91], v89 offset0:32 offset1:48
	ds_read2_b32 v[92:93], v89 offset0:64 offset1:80
	;; [unrolled: 1-line block ×3, first 2 shown]
	s_movk_i32 s8, 0x7fff
	s_waitcnt lgkmcnt(3)
	v_max3_f32 v83, v86, s33, v87
	s_waitcnt lgkmcnt(2)
	v_max3_f32 v83, v83, v90, v91
	v_sub_f32_e32 v86, v86, v83
	v_mul_f32_e32 v86, 0x3fb8aa3b, v86
	v_exp_f32_e32 v1, v86
	v_sub_f32_e32 v86, v87, v83
	v_mul_f32_e32 v86, 0x3fb8aa3b, v86
	v_exp_f32_e32 v87, v86
	v_sub_f32_e32 v86, v90, v83
	v_mul_f32_e32 v86, 0x3fb8aa3b, v86
	v_exp_f32_e32 v90, v86
	v_sub_f32_e32 v86, v91, v83
	v_mul_f32_e32 v86, 0x3fb8aa3b, v86
	v_exp_f32_e32 v89, v86
	s_waitcnt lgkmcnt(1)
	v_fma_f32 v86, v1, v92, 0
	v_fmac_f32_e32 v86, v87, v93
	s_waitcnt lgkmcnt(0)
	v_fmac_f32_e32 v86, v90, v94
	v_fmac_f32_e32 v86, v89, v95
	v_add_f32_e32 v91, 0x358637bd, v86
	v_div_scale_f32 v92, s[4:5], v91, v91, 1.0
	v_rcp_f32_e32 v93, v92
	s_mov_b32 s9, 0x7060302
	s_mul_i32 s7, s7, 6
	v_fma_f32 v94, -v92, v93, 1.0
	v_fmac_f32_e32 v93, v94, v93
	v_div_scale_f32 v94, vcc, 1.0, v91, 1.0
	v_mul_f32_e32 v95, v94, v93
	v_fma_f32 v88, -v92, v95, v94
	v_fmac_f32_e32 v95, v88, v93
	v_fma_f32 v88, -v92, v95, v94
	v_div_fmas_f32 v88, v88, v93, v95
	v_cmp_eq_u32_e32 vcc, 1, v85
	v_div_fixup_f32 v88, v88, v91, 1.0
	s_barrier
	v_cndmask_b32_e32 v1, v1, v87, vcc
	v_cmp_eq_u32_e32 vcc, 2, v85
	s_nop 1
	v_cndmask_b32_e32 v1, v1, v90, vcc
	v_cmp_eq_u32_e32 vcc, 3, v85
	s_nop 1
	v_cndmask_b32_e32 v1, v1, v89, vcc
	v_mul_f32_e32 v90, v1, v88
	v_pk_mul_f32 v[80:81], v[90:91], v[80:81] op_sel_hi:[0,1]
	v_bfe_u32 v1, v81, 16, 1
	v_bfe_u32 v87, v80, 16, 1
	v_pk_mul_f32 v[78:79], v[90:91], v[78:79] op_sel_hi:[0,1]
	v_add3_u32 v80, v80, v87, s8
	v_add3_u32 v1, v81, v1, s8
	v_perm_b32 v80, v1, v80, s9
	v_bfe_u32 v1, v79, 16, 1
	v_bfe_u32 v81, v78, 16, 1
	v_add3_u32 v78, v78, v81, s8
	v_add3_u32 v1, v79, v1, s8
	v_bfe_u32 v87, v0, 4, 2
	v_perm_b32 v81, v1, v78, s9
	v_lshlrev_b32_e32 v1, 3, v87
	v_lshlrev_b32_e32 v79, 5, v84
	;; [unrolled: 1-line block ×3, first 2 shown]
	v_pk_mul_f32 v[76:77], v[90:91], v[76:77] op_sel_hi:[0,1]
	v_or3_b32 v78, v78, v79, v1
	v_bfe_u32 v1, v77, 16, 1
	v_bfe_u32 v85, v76, 16, 1
	v_pk_mul_f32 v[74:75], v[90:91], v[74:75] op_sel_hi:[0,1]
	v_add3_u32 v76, v76, v85, s8
	v_add3_u32 v1, v77, v1, s8
	v_perm_b32 v76, v1, v76, s9
	v_bfe_u32 v1, v75, 16, 1
	v_bfe_u32 v77, v74, 16, 1
	v_add3_u32 v74, v74, v77, s8
	v_add3_u32 v1, v75, v1, s8
	v_pk_mul_f32 v[72:73], v[90:91], v[72:73] op_sel_hi:[0,1]
	v_perm_b32 v77, v1, v74, s9
	v_bfe_u32 v1, v73, 16, 1
	v_bfe_u32 v74, v72, 16, 1
	v_pk_mul_f32 v[70:71], v[90:91], v[70:71] op_sel_hi:[0,1]
	v_add3_u32 v72, v72, v74, s8
	v_add3_u32 v1, v73, v1, s8
	v_perm_b32 v72, v1, v72, s9
	v_bfe_u32 v1, v71, 16, 1
	v_bfe_u32 v73, v70, 16, 1
	v_add3_u32 v70, v70, v73, s8
	v_add3_u32 v1, v71, v1, s8
	v_pk_mul_f32 v[68:69], v[90:91], v[68:69] op_sel_hi:[0,1]
	v_perm_b32 v73, v1, v70, s9
	v_bfe_u32 v1, v69, 16, 1
	v_bfe_u32 v70, v68, 16, 1
	v_pk_mul_f32 v[66:67], v[90:91], v[66:67] op_sel_hi:[0,1]
	v_add3_u32 v68, v68, v70, s8
	v_add3_u32 v1, v69, v1, s8
	v_perm_b32 v68, v1, v68, s9
	v_bfe_u32 v1, v67, 16, 1
	v_bfe_u32 v69, v66, 16, 1
	v_add3_u32 v66, v66, v69, s8
	v_add3_u32 v1, v67, v1, s8
	v_perm_b32 v69, v1, v66, s9
	v_cmp_gt_u32_e32 vcc, 6, v0
	ds_write2st64_b64 v78, v[80:81], v[76:77] offset1:1
	ds_write2st64_b64 v78, v[72:73], v[68:69] offset0:2 offset1:3
	s_and_saveexec_b64 s[4:5], vcc
	s_cbranch_execz .LBB637_17
; %bb.16:
	s_mov_b32 s41, 0
	v_mov_b32_e32 v85, 0
	v_lshl_add_u64 v[66:67], s[40:41], 0, v[84:85]
	v_mov_b32_e32 v1, s7
	v_mad_u64_u32 v[66:67], s[10:11], s2, v1, v[66:67]
	s_mul_i32 s3, s3, s7
	v_mov_b32_e32 v68, s26
	v_mov_b32_e32 v69, v85
	s_load_dwordx4 s[12:15], s[0:1], 0x58
	v_add_u32_e32 v1, s3, v67
	v_mad_u64_u32 v[66:67], s[10:11], v66, s6, v[68:69]
	v_mov_b32_e32 v68, v67
	v_mad_u64_u32 v[68:69], s[10:11], v1, s6, v[68:69]
	v_mov_b32_e32 v67, v68
	v_lshlrev_b64 v[66:67], 2, v[66:67]
	s_waitcnt lgkmcnt(0)
	v_lshl_add_u64 v[68:69], s[14:15], 0, v[66:67]
	v_lshl_add_u64 v[66:67], s[12:13], 0, v[66:67]
	global_store_dword v[68:69], v83, off
	global_store_dword v[66:67], v86, off
.LBB637_17:
	s_or_b64 exec, exec, s[4:5]
	v_lshl_or_b32 v1, v87, 9, v79
	s_waitcnt lgkmcnt(0)
	s_barrier
	ds_read_b128 v[70:73], v1
	ds_read_b128 v[66:69], v1 offset:16
	s_waitcnt vmcnt(15) lgkmcnt(1)
	v_mfma_f32_16x16x16_bf16 v[74:77], v[30:31], v[70:71], 0
	s_mov_b32 s3, 0
	v_cmp_gt_u32_e32 vcc, 64, v0
	v_mfma_f32_16x16x16_bf16 v[30:33], v[32:33], v[72:73], v[74:77]
	s_waitcnt vmcnt(14) lgkmcnt(0)
	v_mfma_f32_16x16x16_bf16 v[30:33], v[26:27], v[66:67], v[30:33]
	v_mfma_f32_16x16x16_bf16 v[26:29], v[28:29], v[68:69], v[30:33]
	s_nop 5
	ds_read_b128 v[30:33], v1 offset:2048
	ds_read_b128 v[74:77], v1 offset:2064
	s_waitcnt vmcnt(13) lgkmcnt(1)
	v_mfma_f32_16x16x16_bf16 v[26:29], v[22:23], v[30:31], v[26:29]
	v_mfma_f32_16x16x16_bf16 v[22:25], v[24:25], v[32:33], v[26:29]
	s_waitcnt vmcnt(12) lgkmcnt(0)
	v_mfma_f32_16x16x16_bf16 v[22:25], v[18:19], v[74:75], v[22:25]
	v_mfma_f32_16x16x16_bf16 v[18:21], v[20:21], v[76:77], v[22:25]
	s_nop 5
	ds_read_b128 v[22:25], v1 offset:4096
	ds_read_b128 v[26:29], v1 offset:4112
	s_waitcnt vmcnt(11) lgkmcnt(1)
	v_mfma_f32_16x16x16_bf16 v[18:21], v[14:15], v[22:23], v[18:21]
	v_mfma_f32_16x16x16_bf16 v[14:17], v[16:17], v[24:25], v[18:21]
	s_waitcnt vmcnt(10) lgkmcnt(0)
	v_mfma_f32_16x16x16_bf16 v[14:17], v[10:11], v[26:27], v[14:17]
	v_mfma_f32_16x16x16_bf16 v[10:13], v[12:13], v[28:29], v[14:17]
	s_nop 5
	ds_read_b128 v[14:17], v1 offset:6144
	ds_read_b128 v[18:21], v1 offset:6160
	s_waitcnt lgkmcnt(0)
	s_barrier
	s_waitcnt vmcnt(9)
	v_mfma_f32_16x16x16_bf16 v[10:13], v[6:7], v[14:15], v[10:13]
	v_mfma_f32_16x16x16_bf16 v[6:9], v[8:9], v[16:17], v[10:13]
	s_waitcnt vmcnt(8)
	v_mfma_f32_16x16x16_bf16 v[6:9], v[2:3], v[18:19], v[6:9]
	v_mfma_f32_16x16x16_bf16 v[2:5], v[4:5], v[20:21], v[6:9]
	;; [unrolled: 3-line block ×3, first 2 shown]
	s_nop 3
	v_bfe_u32 v1, v3, 16, 1
	v_bfe_u32 v10, v2, 16, 1
	v_add3_u32 v2, v2, v10, s8
	s_waitcnt vmcnt(6)
	v_mfma_f32_16x16x16_bf16 v[6:9], v[38:39], v[66:67], v[6:9]
	v_add3_u32 v1, v3, v1, s8
	v_perm_b32 v10, v1, v2, s9
	v_bfe_u32 v1, v5, 16, 1
	v_mfma_f32_16x16x16_bf16 v[6:9], v[40:41], v[68:69], v[6:9]
	v_bfe_u32 v2, v4, 16, 1
	v_add3_u32 v2, v4, v2, s8
	v_add3_u32 v1, v5, v1, s8
	s_waitcnt vmcnt(5)
	v_mfma_f32_16x16x16_bf16 v[6:9], v[42:43], v[30:31], v[6:9]
	v_perm_b32 v11, v1, v2, s9
	v_mfma_f32_16x16x16_bf16 v[6:9], v[44:45], v[32:33], v[6:9]
	s_waitcnt vmcnt(4)
	v_mfma_f32_16x16x16_bf16 v[6:9], v[34:35], v[74:75], v[6:9]
	v_mfma_f32_16x16x16_bf16 v[6:9], v[36:37], v[76:77], v[6:9]
	s_waitcnt vmcnt(3)
	v_mfma_f32_16x16x16_bf16 v[6:9], v[58:59], v[22:23], v[6:9]
	;; [unrolled: 3-line block ×5, first 2 shown]
	v_mfma_f32_16x16x16_bf16 v[2:5], v[52:53], v[20:21], v[6:9]
	s_nop 6
	v_bfe_u32 v1, v3, 16, 1
	v_bfe_u32 v6, v2, 16, 1
	v_add3_u32 v2, v2, v6, s8
	v_add3_u32 v1, v3, v1, s8
	v_perm_b32 v2, v1, v2, s9
	v_bfe_u32 v1, v5, 16, 1
	v_bfe_u32 v3, v4, 16, 1
	v_add3_u32 v3, v4, v3, s8
	v_add3_u32 v1, v5, v1, s8
	v_perm_b32 v3, v1, v3, s9
	ds_write2st64_b64 v78, v[10:11], v[2:3] offset1:1
	s_waitcnt lgkmcnt(0)
	s_barrier
	s_and_saveexec_b64 s[4:5], vcc
	s_cbranch_execz .LBB637_20
; %bb.18:
	s_load_dwordx2 s[4:5], s[0:1], 0x68
	s_lshl_b32 s0, s6, 7
	s_mul_i32 s1, s7, s2
	v_lshlrev_b32_e32 v4, 6, v84
	s_mul_hi_u32 s7, s1, s0
	s_mul_i32 s6, s1, s0
	v_lshlrev_b32_e32 v3, 4, v0
	v_lshl_or_b32 v0, v0, 10, v4
	s_lshl_b64 s[6:7], s[6:7], 1
	v_lshlrev_b32_e32 v1, 5, v87
	v_and_b32_e32 v3, 16, v3
	v_and_b32_e32 v0, 0x1a00, v0
	s_waitcnt lgkmcnt(0)
	s_add_u32 s1, s4, s6
	v_or3_b32 v3, v0, v1, v3
	s_addc_u32 s4, s5, s7
	s_lshl_b32 s2, s26, 7
	s_lshl_b64 s[2:3], s[2:3], 1
	ds_read_b128 v[4:7], v3
	s_add_u32 s2, s1, s2
	s_addc_u32 s3, s4, s3
	v_mov_b32_e32 v83, 0
	v_add_u32_e32 v8, s40, v87
	v_or_b32_e32 v2, 4, v87
	v_lshl_add_u64 v[0:1], s[2:3], 0, v[82:83]
	v_mad_u64_u32 v[8:9], s[2:3], v8, s0, 0
	v_lshl_add_u64 v[8:9], v[8:9], 1, v[0:1]
	v_cmp_gt_u32_e32 vcc, 6, v2
	s_waitcnt lgkmcnt(0)
	global_store_dwordx4 v[8:9], v[4:7], off
	s_and_b64 exec, exec, vcc
	s_cbranch_execz .LBB637_20
; %bb.19:
	ds_read_b128 v[4:7], v3 offset:128
	v_add_u32_e32 v2, s40, v2
	v_mad_u64_u32 v[2:3], s[0:1], v2, s0, 0
	v_lshl_add_u64 v[0:1], v[2:3], 1, v[0:1]
	s_waitcnt lgkmcnt(0)
	global_store_dwordx4 v[0:1], v[4:7], off
.LBB637_20:
	s_endpgm
	.section	.rodata,"a",@progbits
	.p2align	6, 0x0
	.amdhsa_kernel _Z39paged_attention_ll4mi_QKV_mfma16_kernelI14__hip_bfloat16S0_LN4vllm18Fp8KVCacheDataTypeE0ES0_Li16ELi128ELi256ELb1ELi6EEvPKT_PKT0_S8_ifPKiSA_SA_iPKfiiiPfSD_PS3_PT2_iSC_SC_
		.amdhsa_group_segment_fixed_size 8192
		.amdhsa_private_segment_fixed_size 0
		.amdhsa_kernarg_size 400
		.amdhsa_user_sgpr_count 2
		.amdhsa_user_sgpr_dispatch_ptr 0
		.amdhsa_user_sgpr_queue_ptr 0
		.amdhsa_user_sgpr_kernarg_segment_ptr 1
		.amdhsa_user_sgpr_dispatch_id 0
		.amdhsa_user_sgpr_kernarg_preload_length 0
		.amdhsa_user_sgpr_kernarg_preload_offset 0
		.amdhsa_user_sgpr_private_segment_size 0
		.amdhsa_uses_dynamic_stack 0
		.amdhsa_enable_private_segment 0
		.amdhsa_system_sgpr_workgroup_id_x 1
		.amdhsa_system_sgpr_workgroup_id_y 1
		.amdhsa_system_sgpr_workgroup_id_z 1
		.amdhsa_system_sgpr_workgroup_info 0
		.amdhsa_system_vgpr_workitem_id 0
		.amdhsa_next_free_vgpr 96
		.amdhsa_next_free_sgpr 42
		.amdhsa_accum_offset 96
		.amdhsa_reserve_vcc 1
		.amdhsa_float_round_mode_32 0
		.amdhsa_float_round_mode_16_64 0
		.amdhsa_float_denorm_mode_32 3
		.amdhsa_float_denorm_mode_16_64 3
		.amdhsa_dx10_clamp 1
		.amdhsa_ieee_mode 1
		.amdhsa_fp16_overflow 0
		.amdhsa_tg_split 0
		.amdhsa_exception_fp_ieee_invalid_op 0
		.amdhsa_exception_fp_denorm_src 0
		.amdhsa_exception_fp_ieee_div_zero 0
		.amdhsa_exception_fp_ieee_overflow 0
		.amdhsa_exception_fp_ieee_underflow 0
		.amdhsa_exception_fp_ieee_inexact 0
		.amdhsa_exception_int_div_zero 0
	.end_amdhsa_kernel
	.section	.text._Z39paged_attention_ll4mi_QKV_mfma16_kernelI14__hip_bfloat16S0_LN4vllm18Fp8KVCacheDataTypeE0ES0_Li16ELi128ELi256ELb1ELi6EEvPKT_PKT0_S8_ifPKiSA_SA_iPKfiiiPfSD_PS3_PT2_iSC_SC_,"axG",@progbits,_Z39paged_attention_ll4mi_QKV_mfma16_kernelI14__hip_bfloat16S0_LN4vllm18Fp8KVCacheDataTypeE0ES0_Li16ELi128ELi256ELb1ELi6EEvPKT_PKT0_S8_ifPKiSA_SA_iPKfiiiPfSD_PS3_PT2_iSC_SC_,comdat
.Lfunc_end637:
	.size	_Z39paged_attention_ll4mi_QKV_mfma16_kernelI14__hip_bfloat16S0_LN4vllm18Fp8KVCacheDataTypeE0ES0_Li16ELi128ELi256ELb1ELi6EEvPKT_PKT0_S8_ifPKiSA_SA_iPKfiiiPfSD_PS3_PT2_iSC_SC_, .Lfunc_end637-_Z39paged_attention_ll4mi_QKV_mfma16_kernelI14__hip_bfloat16S0_LN4vllm18Fp8KVCacheDataTypeE0ES0_Li16ELi128ELi256ELb1ELi6EEvPKT_PKT0_S8_ifPKiSA_SA_iPKfiiiPfSD_PS3_PT2_iSC_SC_
                                        ; -- End function
	.section	.AMDGPU.csdata,"",@progbits
; Kernel info:
; codeLenInByte = 4984
; NumSgprs: 48
; NumVgprs: 96
; NumAgprs: 0
; TotalNumVgprs: 96
; ScratchSize: 0
; MemoryBound: 0
; FloatMode: 240
; IeeeMode: 1
; LDSByteSize: 8192 bytes/workgroup (compile time only)
; SGPRBlocks: 5
; VGPRBlocks: 11
; NumSGPRsForWavesPerEU: 48
; NumVGPRsForWavesPerEU: 96
; AccumOffset: 96
; Occupancy: 5
; WaveLimiterHint : 1
; COMPUTE_PGM_RSRC2:SCRATCH_EN: 0
; COMPUTE_PGM_RSRC2:USER_SGPR: 2
; COMPUTE_PGM_RSRC2:TRAP_HANDLER: 0
; COMPUTE_PGM_RSRC2:TGID_X_EN: 1
; COMPUTE_PGM_RSRC2:TGID_Y_EN: 1
; COMPUTE_PGM_RSRC2:TGID_Z_EN: 1
; COMPUTE_PGM_RSRC2:TIDIG_COMP_CNT: 0
; COMPUTE_PGM_RSRC3_GFX90A:ACCUM_OFFSET: 23
; COMPUTE_PGM_RSRC3_GFX90A:TG_SPLIT: 0
	.section	.text._Z39paged_attention_ll4mi_QKV_mfma16_kernelI14__hip_bfloat16S0_LN4vllm18Fp8KVCacheDataTypeE0ES0_Li16ELi128ELi256ELb1ELi7EEvPKT_PKT0_S8_ifPKiSA_SA_iPKfiiiPfSD_PS3_PT2_iSC_SC_,"axG",@progbits,_Z39paged_attention_ll4mi_QKV_mfma16_kernelI14__hip_bfloat16S0_LN4vllm18Fp8KVCacheDataTypeE0ES0_Li16ELi128ELi256ELb1ELi7EEvPKT_PKT0_S8_ifPKiSA_SA_iPKfiiiPfSD_PS3_PT2_iSC_SC_,comdat
	.protected	_Z39paged_attention_ll4mi_QKV_mfma16_kernelI14__hip_bfloat16S0_LN4vllm18Fp8KVCacheDataTypeE0ES0_Li16ELi128ELi256ELb1ELi7EEvPKT_PKT0_S8_ifPKiSA_SA_iPKfiiiPfSD_PS3_PT2_iSC_SC_ ; -- Begin function _Z39paged_attention_ll4mi_QKV_mfma16_kernelI14__hip_bfloat16S0_LN4vllm18Fp8KVCacheDataTypeE0ES0_Li16ELi128ELi256ELb1ELi7EEvPKT_PKT0_S8_ifPKiSA_SA_iPKfiiiPfSD_PS3_PT2_iSC_SC_
	.globl	_Z39paged_attention_ll4mi_QKV_mfma16_kernelI14__hip_bfloat16S0_LN4vllm18Fp8KVCacheDataTypeE0ES0_Li16ELi128ELi256ELb1ELi7EEvPKT_PKT0_S8_ifPKiSA_SA_iPKfiiiPfSD_PS3_PT2_iSC_SC_
	.p2align	8
	.type	_Z39paged_attention_ll4mi_QKV_mfma16_kernelI14__hip_bfloat16S0_LN4vllm18Fp8KVCacheDataTypeE0ES0_Li16ELi128ELi256ELb1ELi7EEvPKT_PKT0_S8_ifPKiSA_SA_iPKfiiiPfSD_PS3_PT2_iSC_SC_,@function
_Z39paged_attention_ll4mi_QKV_mfma16_kernelI14__hip_bfloat16S0_LN4vllm18Fp8KVCacheDataTypeE0ES0_Li16ELi128ELi256ELb1ELi7EEvPKT_PKT0_S8_ifPKiSA_SA_iPKfiiiPfSD_PS3_PT2_iSC_SC_: ; @_Z39paged_attention_ll4mi_QKV_mfma16_kernelI14__hip_bfloat16S0_LN4vllm18Fp8KVCacheDataTypeE0ES0_Li16ELi128ELi256ELb1ELi7EEvPKT_PKT0_S8_ifPKiSA_SA_iPKfiiiPfSD_PS3_PT2_iSC_SC_
; %bb.0:
	s_load_dwordx2 s[8:9], s[0:1], 0x30
	s_mov_b32 s26, s3
	s_mov_b64 s[6:7], 0
	s_waitcnt lgkmcnt(0)
	s_cmp_lg_u64 s[8:9], 0
	s_cselect_b64 s[10:11], -1, 0
	s_and_b64 vcc, exec, s[10:11]
	s_cbranch_vccz .LBB638_7
; %bb.1:
	s_add_i32 s12, s2, 1
	s_mov_b32 s13, 0
	s_lshl_b64 s[14:15], s[12:13], 2
	s_add_u32 s14, s8, s14
	s_mov_b32 s3, s13
	s_addc_u32 s15, s9, s15
	s_lshl_b64 s[12:13], s[2:3], 2
	s_add_u32 s12, s8, s12
	s_addc_u32 s13, s9, s13
	s_load_dword s5, s[14:15], 0x0
	s_load_dword s16, s[12:13], 0x0
	s_waitcnt lgkmcnt(0)
	s_sub_i32 s5, s5, s16
	s_cmp_eq_u32 s5, 1
	s_cselect_b64 s[12:13], -1, 0
	s_andn2_b64 vcc, exec, s[6:7]
	s_cbranch_vccnz .LBB638_3
.LBB638_2:
	s_mov_b32 s3, 0
	s_mov_b64 s[12:13], -1
.LBB638_3:
	s_andn2_b64 vcc, exec, s[12:13]
	s_cbranch_vccnz .LBB638_20
; %bb.4:
	s_load_dwordx2 s[6:7], s[0:1], 0x28
	s_lshl_b64 s[12:13], s[2:3], 2
	s_waitcnt lgkmcnt(0)
	s_add_u32 s6, s6, s12
	s_addc_u32 s7, s7, s13
	s_load_dword s27, s[6:7], 0x0
	s_lshl_b32 s18, s26, 8
	s_waitcnt lgkmcnt(0)
	s_cmp_ge_i32 s18, s27
	s_cbranch_scc1 .LBB638_20
; %bb.5:
	s_load_dwordx2 s[6:7], s[0:1], 0x20
	s_load_dword s5, s[0:1], 0x38
	s_add_i32 s14, s27, 15
	s_ashr_i32 s15, s14, 31
	v_and_b32_e32 v1, 0xcf, v0
	s_lshr_b32 s15, s15, 28
	v_add_u32_e32 v1, s18, v1
	s_add_i32 s14, s14, s15
	v_ashrrev_i32_e32 v2, 31, v1
	s_ashr_i32 s19, s14, 4
	v_lshrrev_b32_e32 v4, 28, v2
	s_add_i32 s19, s19, -1
	s_waitcnt lgkmcnt(0)
	s_mul_i32 s14, s2, s5
	s_mov_b32 s15, 0
	v_add_u32_e32 v2, v1, v4
	s_lshl_b64 s[14:15], s[14:15], 2
	v_ashrrev_i32_e32 v2, 4, v2
	v_mov_b32_e32 v5, s19
	v_cmp_gt_i32_e32 vcc, s27, v1
	s_add_u32 s6, s6, s14
	s_addc_u32 s7, s7, s15
	v_cndmask_b32_e32 v2, v5, v2, vcc
	v_ashrrev_i32_e32 v3, 31, v2
	v_lshl_add_u64 v[6:7], v[2:3], 2, s[6:7]
	v_or_b32_e32 v2, 16, v1
	v_add_u32_e32 v3, v2, v4
	v_ashrrev_i32_e32 v3, 4, v3
	v_cmp_gt_i32_e32 vcc, s27, v2
	s_load_dwordx2 s[14:15], s[0:1], 0x8
	s_nop 0
	v_cndmask_b32_e32 v2, v5, v3, vcc
	v_ashrrev_i32_e32 v3, 31, v2
	v_lshl_add_u64 v[8:9], v[2:3], 2, s[6:7]
	v_or_b32_e32 v2, 32, v1
	v_add_u32_e32 v3, v2, v4
	v_ashrrev_i32_e32 v3, 4, v3
	v_cmp_gt_i32_e32 vcc, s27, v2
	v_or_b32_e32 v1, 48, v1
	s_nop 0
	v_cndmask_b32_e32 v2, v5, v3, vcc
	v_ashrrev_i32_e32 v3, 31, v2
	v_lshl_add_u64 v[10:11], v[2:3], 2, s[6:7]
	v_add_u32_e32 v2, v1, v4
	v_ashrrev_i32_e32 v2, 4, v2
	v_cmp_gt_i32_e32 vcc, s27, v1
	s_nop 1
	v_cndmask_b32_e32 v2, v5, v2, vcc
	v_ashrrev_i32_e32 v3, 31, v2
	v_lshl_add_u64 v[12:13], v[2:3], 2, s[6:7]
	global_load_dword v5, v[6:7], off
	global_load_dword v4, v[8:9], off
	global_load_dword v3, v[10:11], off
	global_load_dword v2, v[12:13], off
	s_andn2_b64 vcc, exec, s[10:11]
	s_cbranch_vccnz .LBB638_8
; %bb.6:
	s_add_u32 s8, s8, s12
	s_addc_u32 s9, s9, s13
	s_load_dword s5, s[8:9], 0x0
	s_branch .LBB638_9
.LBB638_7:
	s_mov_b64 s[12:13], 0
	s_branch .LBB638_2
.LBB638_8:
	s_mov_b32 s5, s2
.LBB638_9:
	s_load_dwordx2 s[12:13], s[0:1], 0x10
	s_load_dwordx4 s[8:11], s[0:1], 0x48
	v_lshrrev_b32_e32 v85, 6, v0
	v_bfe_u32 v88, v0, 4, 2
	v_and_b32_e32 v84, 15, v0
	v_lshl_or_b32 v1, v85, 2, v88
	v_lshlrev_b32_e32 v6, 3, v84
	s_mul_i32 s40, s4, 7
	v_cmp_gt_u32_e32 vcc, 7, v1
	v_lshlrev_b32_e32 v82, 1, v6
	s_and_saveexec_b64 s[16:17], vcc
	s_cbranch_execz .LBB638_11
; %bb.10:
	s_load_dwordx2 s[20:21], s[0:1], 0x0
	s_waitcnt lgkmcnt(0)
	s_ashr_i32 s11, s8, 31
	s_mul_hi_u32 s22, s5, s8
	s_mul_i32 s11, s5, s11
	s_add_i32 s23, s22, s11
	s_mul_i32 s22, s5, s8
	s_lshl_b64 s[22:23], s[22:23], 1
	s_add_u32 s20, s20, s22
	v_add_lshl_u32 v6, v1, s40, 7
	s_addc_u32 s21, s21, s23
	v_ashrrev_i32_e32 v7, 31, v6
	v_lshl_add_u64 v[6:7], v[6:7], 1, s[20:21]
	v_mov_b32_e32 v83, 0
	v_lshl_add_u64 v[6:7], v[6:7], 0, v[82:83]
	global_load_dwordx4 v[6:9], v[6:7], off
	v_and_b32_e32 v10, 3, v0
	v_lshlrev_b32_e32 v11, 9, v84
	v_lshlrev_b32_e32 v1, 5, v1
	;; [unrolled: 1-line block ×3, first 2 shown]
	v_and_b32_e32 v11, 0x1800, v11
	v_or3_b32 v1, v11, v10, v1
	s_waitcnt vmcnt(0)
	ds_write_b128 v1, v[6:9]
.LBB638_11:
	s_or_b64 exec, exec, s[16:17]
	s_waitcnt lgkmcnt(0)
	s_mul_i32 s4, s4, s10
	s_mov_b32 s5, 0
	s_lshl_b64 s[4:5], s[4:5], 1
	s_add_u32 s10, s14, s4
	v_lshlrev_b32_e32 v1, 4, v0
	s_addc_u32 s11, s15, s5
	v_and_b32_e32 v86, 0xf0, v1
	v_mov_b32_e32 v87, 0
	v_lshl_add_u64 v[6:7], s[10:11], 0, v[86:87]
	s_waitcnt vmcnt(3)
	v_mad_i64_i32 v[8:9], s[10:11], v5, s9, 0
	s_waitcnt vmcnt(2)
	v_mad_i64_i32 v[4:5], s[10:11], v4, s9, 0
	v_lshl_add_u64 v[8:9], v[8:9], 1, v[6:7]
	v_and_b32_e32 v86, 0x300, v1
	v_lshl_add_u64 v[4:5], v[4:5], 1, v[6:7]
	v_lshl_add_u64 v[8:9], v[8:9], 0, v[86:87]
	;; [unrolled: 1-line block ×3, first 2 shown]
	s_barrier
	global_load_dwordx4 v[78:81], v[8:9], off
	global_load_dwordx4 v[74:77], v[8:9], off offset:1024
	global_load_dwordx4 v[70:73], v[8:9], off offset:2048
	;; [unrolled: 1-line block ×3, first 2 shown]
	global_load_dwordx4 v[66:69], v[4:5], off
	global_load_dwordx4 v[62:65], v[4:5], off offset:1024
	global_load_dwordx4 v[58:61], v[4:5], off offset:2048
	;; [unrolled: 1-line block ×3, first 2 shown]
	s_waitcnt vmcnt(9)
	v_mad_i64_i32 v[4:5], s[10:11], v3, s9, 0
	s_waitcnt vmcnt(8)
	v_mad_i64_i32 v[2:3], s[10:11], v2, s9, 0
	v_lshl_add_u64 v[4:5], v[4:5], 1, v[6:7]
	v_lshl_add_u64 v[2:3], v[2:3], 1, v[6:7]
	v_lshl_add_u64 v[4:5], v[4:5], 0, v[86:87]
	v_lshl_add_u64 v[34:35], v[2:3], 0, v[86:87]
	global_load_dwordx4 v[30:33], v[4:5], off
	global_load_dwordx4 v[26:29], v[4:5], off offset:1024
	global_load_dwordx4 v[22:25], v[4:5], off offset:2048
	;; [unrolled: 1-line block ×3, first 2 shown]
	global_load_dwordx4 v[6:9], v[34:35], off
	s_nop 0
	global_load_dwordx4 v[2:5], v[34:35], off offset:1024
	global_load_dwordx4 v[38:41], v[34:35], off offset:2048
	s_nop 0
	global_load_dwordx4 v[34:37], v[34:35], off offset:3072
	v_mul_lo_u16_e32 v42, 37, v84
	v_mov_b32_e32 v43, 7
	v_mul_lo_u16_sdwa v42, v42, v43 dst_sel:DWORD dst_unused:UNUSED_PAD src0_sel:BYTE_1 src1_sel:DWORD
	v_sub_u16_e32 v42, v84, v42
	v_mov_b32_e32 v43, 5
	v_lshlrev_b32_sdwa v42, v43, v42 dst_sel:DWORD dst_unused:UNUSED_PAD src0_sel:DWORD src1_sel:BYTE_0
	v_lshl_add_u32 v42, v88, 9, v42
	ds_read_b128 v[54:57], v42
	ds_read_b128 v[50:53], v42 offset:2048
	ds_read_b128 v[46:49], v42 offset:4096
	;; [unrolled: 1-line block ×3, first 2 shown]
	v_and_b32_e32 v83, 63, v0
	v_cmp_gt_u32_e32 vcc, 7, v84
	v_mov_b32_e32 v89, 0
	s_and_saveexec_b64 s[10:11], vcc
	s_cbranch_execz .LBB638_13
; %bb.12:
	s_load_dwordx2 s[14:15], s[0:1], 0x40
	v_add_u32_e32 v90, s40, v84
	v_ashrrev_i32_e32 v91, 31, v90
	s_waitcnt lgkmcnt(0)
	v_lshl_add_u64 v[90:91], v[90:91], 2, s[14:15]
	global_load_dword v89, v[90:91], off
.LBB638_13:
	s_or_b64 exec, exec, s[10:11]
	s_waitcnt vmcnt(15) lgkmcnt(3)
	v_mfma_f32_16x16x16_bf16 v[90:93], v[78:79], v[54:55], 0
	s_add_u32 s4, s12, s4
	s_addc_u32 s5, s13, s5
	s_mov_b32 s33, 0xff7fffff
	v_mfma_f32_16x16x16_bf16 v[78:81], v[80:81], v[56:57], v[90:93]
	s_waitcnt vmcnt(14) lgkmcnt(2)
	v_mfma_f32_16x16x16_bf16 v[78:81], v[74:75], v[50:51], v[78:81]
	s_nop 0
	v_lshl_or_b32 v90, v85, 4, v84
	v_lshlrev_b32_e32 v86, 5, v90
	v_mfma_f32_16x16x16_bf16 v[74:77], v[76:77], v[52:53], v[78:81]
	s_waitcnt vmcnt(13) lgkmcnt(1)
	v_mfma_f32_16x16x16_bf16 v[74:77], v[70:71], v[46:47], v[74:77]
	v_mfma_f32_16x16x16_bf16 v[70:73], v[72:73], v[48:49], v[74:77]
	s_waitcnt vmcnt(11)
	v_mfma_f32_16x16x16_bf16 v[74:77], v[66:67], v[54:55], 0
	v_mfma_f32_16x16x16_bf16 v[66:69], v[68:69], v[56:57], v[74:77]
	s_nop 5
	v_and_or_b32 v74, v0, 48, s18
	s_waitcnt lgkmcnt(0)
	v_mfma_f32_16x16x16_bf16 v[70:73], v[10:11], v[42:43], v[70:73]
	v_ashrrev_i32_e32 v10, 4, v74
	v_mov_b32_e32 v75, s19
	v_cmp_gt_i32_e32 vcc, s27, v74
	s_waitcnt vmcnt(10)
	v_mfma_f32_16x16x16_bf16 v[66:69], v[62:63], v[50:51], v[66:69]
	v_cndmask_b32_e32 v10, v75, v10, vcc
	v_ashrrev_i32_e32 v11, 31, v10
	v_lshl_add_u64 v[10:11], v[10:11], 2, s[6:7]
	global_load_dword v76, v[10:11], off
	v_mfma_f32_16x16x16_bf16 v[62:65], v[64:65], v[52:53], v[66:69]
	v_or_b32_e32 v10, 64, v74
	v_ashrrev_i32_e32 v11, 4, v10
	v_cmp_gt_i32_e32 vcc, s27, v10
	s_waitcnt vmcnt(10)
	v_mfma_f32_16x16x16_bf16 v[62:65], v[58:59], v[46:47], v[62:65]
	v_cndmask_b32_e32 v10, v75, v11, vcc
	v_ashrrev_i32_e32 v11, 31, v10
	v_lshl_add_u64 v[10:11], v[10:11], 2, s[6:7]
	global_load_dword v78, v[10:11], off
	v_or_b32_e32 v10, 0x80, v74
	v_mfma_f32_16x16x16_bf16 v[58:61], v[60:61], v[48:49], v[62:65]
	v_ashrrev_i32_e32 v11, 4, v10
	v_cmp_gt_i32_e32 vcc, s27, v10
	s_waitcnt vmcnt(9)
	v_mfma_f32_16x16x16_bf16 v[62:65], v[30:31], v[54:55], 0
	v_cndmask_b32_e32 v10, v75, v11, vcc
	v_ashrrev_i32_e32 v11, 31, v10
	v_lshl_add_u64 v[10:11], v[10:11], 2, s[6:7]
	v_mfma_f32_16x16x16_bf16 v[30:33], v[32:33], v[56:57], v[62:65]
	s_nop 2
	global_load_dword v62, v[10:11], off
	v_or_b32_e32 v10, 0xc0, v74
	v_ashrrev_i32_e32 v11, 4, v10
	v_cmp_gt_i32_e32 vcc, s27, v10
	s_waitcnt vmcnt(9)
	v_mfma_f32_16x16x16_bf16 v[30:33], v[26:27], v[50:51], v[30:33]
	v_cndmask_b32_e32 v10, v75, v11, vcc
	v_ashrrev_i32_e32 v11, 31, v10
	v_lshl_add_u64 v[10:11], v[10:11], 2, s[6:7]
	global_load_dword v63, v[10:11], off
	v_mfma_f32_16x16x16_bf16 v[26:29], v[28:29], v[52:53], v[30:33]
	s_load_dword s6, s[0:1], 0x1c
	s_waitcnt vmcnt(3)
	v_mad_i64_i32 v[10:11], s[10:11], v76, s9, 0
	v_mfma_f32_16x16x16_bf16 v[26:29], v[22:23], v[46:47], v[26:29]
	v_lshlrev_b64 v[76:77], 1, v[10:11]
	v_mfma_f32_16x16x16_bf16 v[64:67], v[12:13], v[44:45], v[70:73]
	v_mfma_f32_16x16x16_bf16 v[10:13], v[24:25], v[48:49], v[26:29]
	s_nop 1
	v_lshl_add_u64 v[72:73], s[4:5], 0, v[86:87]
	v_or_b32_e32 v86, 0x800, v86
	v_mfma_f32_16x16x16_bf16 v[30:33], v[14:15], v[42:43], v[58:61]
	v_lshl_add_u64 v[14:15], v[72:73], 0, v[76:77]
	v_mfma_f32_16x16x16_bf16 v[10:13], v[18:19], v[42:43], v[10:13]
	v_mfma_f32_16x16x16_bf16 v[68:71], v[16:17], v[44:45], v[30:33]
	s_nop 3
	global_load_dwordx4 v[30:33], v[14:15], off
	global_load_dwordx4 v[26:29], v[14:15], off offset:16
	s_waitcnt vmcnt(4)
	v_mad_i64_i32 v[14:15], s[10:11], v78, s9, 0
	v_lshlrev_b64 v[58:59], 1, v[14:15]
	v_mfma_f32_16x16x16_bf16 v[92:95], v[20:21], v[44:45], v[10:13]
	s_waitcnt lgkmcnt(0)
	v_pk_mul_f32 v[78:79], s[6:7], v[66:67] op_sel_hi:[0,1]
	s_nop 0
	v_lshl_add_u64 v[10:11], v[72:73], 0, v[58:59]
	global_load_dwordx4 v[22:25], v[10:11], off
	global_load_dwordx4 v[18:21], v[10:11], off offset:16
	v_mfma_f32_16x16x16_bf16 v[10:13], v[6:7], v[54:55], 0
	s_waitcnt vmcnt(5)
	v_mad_i64_i32 v[6:7], s[10:11], v62, s9, 0
	v_lshlrev_b64 v[54:55], 1, v[6:7]
	v_mfma_f32_16x16x16_bf16 v[6:9], v[8:9], v[56:57], v[10:13]
	v_mfma_f32_16x16x16_bf16 v[6:9], v[2:3], v[50:51], v[6:9]
	s_waitcnt vmcnt(4)
	v_mad_i64_i32 v[2:3], s[8:9], v63, s9, 0
	v_lshlrev_b64 v[50:51], 1, v[2:3]
	v_mfma_f32_16x16x16_bf16 v[60:63], v[4:5], v[52:53], v[6:9]
	v_lshl_add_u64 v[10:11], v[72:73], 0, v[54:55]
	v_lshl_add_u64 v[2:3], v[72:73], 0, v[50:51]
	v_pk_mul_f32 v[52:53], s[6:7], v[64:65] op_sel_hi:[0,1]
	v_mfma_f32_16x16x16_bf16 v[72:75], v[38:39], v[46:47], v[60:63]
	global_load_dwordx4 v[14:17], v[10:11], off
	s_nop 0
	global_load_dwordx4 v[10:13], v[10:11], off offset:16
	v_lshl_add_u64 v[62:63], s[4:5], 0, v[86:87]
	v_lshl_add_u64 v[38:39], v[62:63], 0, v[76:77]
	v_mfma_f32_16x16x16_bf16 v[46:49], v[40:41], v[48:49], v[72:75]
	v_pk_mul_f32 v[76:77], s[6:7], v[68:69] op_sel_hi:[0,1]
	v_lshl_add_u64 v[54:55], v[62:63], 0, v[54:55]
	v_lshl_add_u64 v[50:51], v[62:63], 0, v[50:51]
	v_mfma_f32_16x16x16_bf16 v[40:43], v[34:35], v[42:43], v[46:49]
	v_pk_mul_f32 v[74:75], s[6:7], v[70:71] op_sel_hi:[0,1]
	v_pk_mul_f32 v[70:71], s[6:7], v[94:95] op_sel_hi:[0,1]
	;; [unrolled: 1-line block ×3, first 2 shown]
	v_mfma_f32_16x16x16_bf16 v[34:37], v[36:37], v[44:45], v[40:43]
	global_load_dwordx4 v[6:9], v[2:3], off
	s_nop 0
	global_load_dwordx4 v[2:5], v[2:3], off offset:16
	s_nop 3
	v_pk_mul_f32 v[68:69], s[6:7], v[34:35] op_sel_hi:[0,1]
	v_and_b32_e32 v34, 0xc0, v0
	v_add_u32_e32 v34, s18, v34
	v_lshl_or_b32 v34, v88, 2, v34
	v_or_b32_e32 v35, 1, v34
	v_pk_mul_f32 v[66:67], s[6:7], v[36:37] op_sel_hi:[0,1]
	v_subrev_u32_e32 v36, s27, v35
	v_add_u32_e32 v40, 1, v36
	v_add_u32_e32 v41, 2, v36
	v_cvt_f32_i32_e32 v37, v36
	v_cvt_f32_i32_e32 v40, v40
	v_cvt_f32_i32_e32 v41, v41
	v_add_u32_e32 v42, 3, v36
	v_fma_f32 v52, v89, v37, v52
	v_fmac_f32_e32 v53, v89, v40
	v_fma_f32 v78, v89, v41, v78
	v_add_u32_e32 v37, 16, v36
	v_add_u32_e32 v40, 17, v36
	;; [unrolled: 1-line block ×3, first 2 shown]
	v_cvt_f32_i32_e32 v42, v42
	v_cvt_f32_i32_e32 v37, v37
	;; [unrolled: 1-line block ×4, first 2 shown]
	v_fmac_f32_e32 v79, v89, v42
	v_add_u32_e32 v42, 19, v36
	v_fma_f32 v76, v89, v37, v76
	v_fmac_f32_e32 v77, v89, v40
	v_fma_f32 v74, v89, v41, v74
	v_add_u32_e32 v37, 32, v36
	v_add_u32_e32 v40, 33, v36
	;; [unrolled: 1-line block ×3, first 2 shown]
	v_cvt_f32_i32_e32 v42, v42
	v_cvt_f32_i32_e32 v37, v37
	;; [unrolled: 1-line block ×4, first 2 shown]
	v_fmac_f32_e32 v75, v89, v42
	v_add_u32_e32 v42, 35, v36
	v_fma_f32 v72, v89, v37, v72
	v_fmac_f32_e32 v73, v89, v40
	v_fma_f32 v70, v89, v41, v70
	v_add_u32_e32 v37, 48, v36
	v_add_u32_e32 v40, 49, v36
	;; [unrolled: 1-line block ×4, first 2 shown]
	v_cvt_f32_i32_e32 v36, v36
	v_cvt_f32_i32_e32 v37, v37
	;; [unrolled: 1-line block ×3, first 2 shown]
	v_cmp_gt_i32_e64 s[28:29], s27, v34
	v_fmac_f32_e32 v67, v89, v36
	v_mov_b32_e32 v36, 0xff7fffff
	v_cmp_gt_i32_e64 s[30:31], s27, v35
	v_fma_f32 v68, v89, v37, v68
	v_cndmask_b32_e64 v37, v36, v52, s[28:29]
	v_cndmask_b32_e64 v35, v36, v53, s[30:31]
	v_fmac_f32_e32 v69, v89, v40
	v_max3_f32 v35, v37, s33, v35
	v_or_b32_e32 v37, 2, v34
	v_or_b32_e32 v40, 3, v34
	v_cmp_gt_i32_e64 s[34:35], s27, v37
	v_cmp_gt_i32_e64 s[36:37], s27, v40
	v_cvt_f32_i32_e32 v42, v42
	v_cndmask_b32_e64 v37, v36, v78, s[34:35]
	v_cndmask_b32_e64 v40, v36, v79, s[36:37]
	v_max3_f32 v35, v35, v37, v40
	v_or_b32_e32 v37, 16, v34
	v_or_b32_e32 v40, 17, v34
	v_cmp_gt_i32_e64 s[22:23], s27, v37
	v_cmp_gt_i32_e64 s[24:25], s27, v40
	v_fmac_f32_e32 v71, v89, v42
	v_cndmask_b32_e64 v37, v36, v76, s[22:23]
	v_cndmask_b32_e64 v40, v36, v77, s[24:25]
	v_max3_f32 v35, v35, v37, v40
	v_or_b32_e32 v37, 18, v34
	v_or_b32_e32 v40, 19, v34
	v_cmp_gt_i32_e64 s[18:19], s27, v37
	v_cmp_gt_i32_e64 s[20:21], s27, v40
	v_cvt_f32_i32_e32 v41, v41
	v_cndmask_b32_e64 v37, v36, v74, s[18:19]
	v_cndmask_b32_e64 v40, v36, v75, s[20:21]
	v_max3_f32 v35, v35, v37, v40
	v_or_b32_e32 v37, 32, v34
	v_or_b32_e32 v40, 33, v34
	v_cmp_gt_i32_e64 s[14:15], s27, v37
	v_cmp_gt_i32_e64 s[16:17], s27, v40
	v_fma_f32 v66, v89, v41, v66
	v_cndmask_b32_e64 v37, v36, v72, s[14:15]
	v_cndmask_b32_e64 v40, v36, v73, s[16:17]
	v_max3_f32 v35, v35, v37, v40
	v_or_b32_e32 v37, 34, v34
	v_or_b32_e32 v40, 35, v34
	v_cmp_gt_i32_e64 s[10:11], s27, v37
	v_cmp_gt_i32_e64 s[12:13], s27, v40
	s_nop 0
	v_cndmask_b32_e64 v37, v36, v70, s[10:11]
	v_cndmask_b32_e64 v40, v36, v71, s[12:13]
	v_max3_f32 v35, v35, v37, v40
	v_or_b32_e32 v37, 48, v34
	v_or_b32_e32 v40, 49, v34
	v_cmp_gt_i32_e64 s[6:7], s27, v37
	v_cmp_gt_i32_e64 s[8:9], s27, v40
	s_nop 0
	v_cndmask_b32_e64 v37, v36, v68, s[6:7]
	v_cndmask_b32_e64 v40, v36, v69, s[8:9]
	v_max3_f32 v35, v35, v37, v40
	v_or_b32_e32 v37, 50, v34
	v_or_b32_e32 v34, 51, v34
	v_cmp_gt_i32_e32 vcc, s27, v37
	v_cmp_gt_i32_e64 s[4:5], s27, v34
	global_load_dwordx4 v[46:49], v[38:39], off
	s_nop 0
	global_load_dwordx4 v[38:41], v[38:39], off offset:16
	v_cndmask_b32_e32 v37, v36, v66, vcc
	v_cndmask_b32_e64 v34, v36, v67, s[4:5]
	v_max3_f32 v56, v35, v37, v34
	v_mbcnt_lo_u32_b32 v34, -1, 0
	v_mbcnt_hi_u32_b32 v57, -1, v34
	v_and_b32_e32 v34, 64, v57
	v_add_u32_e32 v60, 64, v34
	v_xor_b32_e32 v34, 32, v57
	v_cmp_lt_i32_e64 s[38:39], v34, v60
	s_nop 1
	v_cndmask_b32_e64 v34, v57, v34, s[38:39]
	v_lshlrev_b32_e32 v87, 2, v34
	ds_bpermute_b32 v61, v87, v56
	v_lshl_add_u64 v[34:35], v[62:63], 0, v[58:59]
	global_load_dwordx4 v[42:45], v[34:35], off
	s_nop 0
	global_load_dwordx4 v[34:37], v[34:35], off offset:16
	s_waitcnt lgkmcnt(0)
	v_max_f32_e32 v58, v61, v61
	v_max_f32_e32 v64, v56, v58
	v_xor_b32_e32 v56, 16, v57
	v_cmp_lt_i32_e64 s[38:39], v56, v60
	s_nop 1
	v_cndmask_b32_e64 v56, v57, v56, s[38:39]
	v_lshlrev_b32_e32 v89, 2, v56
	ds_bpermute_b32 v65, v89, v64
	global_load_dwordx4 v[58:61], v[54:55], off
	s_nop 0
	global_load_dwordx4 v[54:57], v[54:55], off offset:16
	s_waitcnt lgkmcnt(0)
	v_max_f32_e32 v62, v65, v65
	v_max_f32_e32 v86, v64, v62
	v_sub_f32_e32 v52, v52, v86
	v_mul_f32_e32 v52, 0x3fb8aa3b, v52
	v_exp_f32_e32 v80, v52
	v_sub_f32_e32 v52, v53, v86
	v_mul_f32_e32 v52, 0x3fb8aa3b, v52
	v_exp_f32_e32 v81, v52
	global_load_dwordx4 v[62:65], v[50:51], off
	s_nop 0
	global_load_dwordx4 v[50:53], v[50:51], off offset:16
	v_sub_f32_e32 v78, v78, v86
	v_mul_f32_e32 v78, 0x3fb8aa3b, v78
	v_sub_f32_e32 v79, v79, v86
	v_exp_f32_e32 v78, v78
	v_mul_f32_e32 v79, 0x3fb8aa3b, v79
	v_sub_f32_e32 v76, v76, v86
	v_exp_f32_e32 v79, v79
	v_mul_f32_e32 v76, 0x3fb8aa3b, v76
	v_sub_f32_e32 v77, v77, v86
	v_cndmask_b32_e64 v80, 0, v80, s[28:29]
	v_exp_f32_e32 v76, v76
	v_mul_f32_e32 v77, 0x3fb8aa3b, v77
	v_sub_f32_e32 v74, v74, v86
	v_add_f32_e32 v91, 0, v80
	v_cndmask_b32_e64 v81, 0, v81, s[30:31]
	v_exp_f32_e32 v77, v77
	v_mul_f32_e32 v74, 0x3fb8aa3b, v74
	v_sub_f32_e32 v75, v75, v86
	v_add_f32_e32 v91, v91, v81
	;; [unrolled: 5-line block ×10, first 2 shown]
	v_cndmask_b32_e64 v70, 0, v70, s[10:11]
	v_exp_f32_e32 v66, v66
	v_mul_f32_e32 v67, 0x3fb8aa3b, v67
	v_add_f32_e32 v91, v91, v70
	v_cndmask_b32_e64 v71, 0, v71, s[12:13]
	v_exp_f32_e32 v67, v67
	v_add_f32_e32 v91, v91, v71
	v_cndmask_b32_e64 v68, 0, v68, s[6:7]
	v_add_f32_e32 v91, v91, v68
	v_cndmask_b32_e64 v69, 0, v69, s[8:9]
	v_add_f32_e32 v91, v91, v69
	v_cndmask_b32_e32 v66, 0, v66, vcc
	v_add_f32_e32 v91, v91, v66
	v_cndmask_b32_e64 v67, 0, v67, s[4:5]
	v_add_f32_e32 v91, v91, v67
	ds_bpermute_b32 v87, v87, v91
	s_load_dword s7, s[0:1], 0x98
	v_cmp_gt_u32_e32 vcc, 16, v83
	s_waitcnt lgkmcnt(0)
	s_barrier
	v_add_f32_e32 v87, v91, v87
	ds_bpermute_b32 v89, v89, v87
	s_waitcnt lgkmcnt(0)
	s_and_saveexec_b64 s[4:5], vcc
	s_cbranch_execz .LBB638_15
; %bb.14:
	v_add_f32_e32 v83, v87, v89
	v_lshlrev_b32_e32 v87, 2, v90
	ds_write2st64_b32 v87, v86, v83 offset1:1
.LBB638_15:
	s_or_b64 exec, exec, s[4:5]
	v_lshlrev_b32_e32 v89, 2, v84
	s_load_dword s6, s[0:1], 0x94
	s_waitcnt lgkmcnt(0)
	s_barrier
	ds_read2_b32 v[86:87], v89 offset1:16
	ds_read2_b32 v[90:91], v89 offset0:32 offset1:48
	ds_read2_b32 v[92:93], v89 offset0:64 offset1:80
	;; [unrolled: 1-line block ×3, first 2 shown]
	s_movk_i32 s8, 0x7fff
	s_waitcnt lgkmcnt(3)
	v_max3_f32 v83, v86, s33, v87
	s_waitcnt lgkmcnt(2)
	v_max3_f32 v83, v83, v90, v91
	v_sub_f32_e32 v86, v86, v83
	v_mul_f32_e32 v86, 0x3fb8aa3b, v86
	v_exp_f32_e32 v1, v86
	v_sub_f32_e32 v86, v87, v83
	v_mul_f32_e32 v86, 0x3fb8aa3b, v86
	v_exp_f32_e32 v87, v86
	;; [unrolled: 3-line block ×4, first 2 shown]
	s_waitcnt lgkmcnt(1)
	v_fma_f32 v86, v1, v92, 0
	v_fmac_f32_e32 v86, v87, v93
	s_waitcnt lgkmcnt(0)
	v_fmac_f32_e32 v86, v90, v94
	v_fmac_f32_e32 v86, v89, v95
	v_add_f32_e32 v91, 0x358637bd, v86
	v_div_scale_f32 v92, s[4:5], v91, v91, 1.0
	v_rcp_f32_e32 v93, v92
	s_mov_b32 s9, 0x7060302
	s_mul_i32 s7, s7, 7
	v_fma_f32 v94, -v92, v93, 1.0
	v_fmac_f32_e32 v93, v94, v93
	v_div_scale_f32 v94, vcc, 1.0, v91, 1.0
	v_mul_f32_e32 v95, v94, v93
	v_fma_f32 v88, -v92, v95, v94
	v_fmac_f32_e32 v95, v88, v93
	v_fma_f32 v88, -v92, v95, v94
	v_div_fmas_f32 v88, v88, v93, v95
	v_cmp_eq_u32_e32 vcc, 1, v85
	v_div_fixup_f32 v88, v88, v91, 1.0
	s_barrier
	v_cndmask_b32_e32 v1, v1, v87, vcc
	v_cmp_eq_u32_e32 vcc, 2, v85
	s_nop 1
	v_cndmask_b32_e32 v1, v1, v90, vcc
	v_cmp_eq_u32_e32 vcc, 3, v85
	s_nop 1
	v_cndmask_b32_e32 v1, v1, v89, vcc
	v_mul_f32_e32 v90, v1, v88
	v_pk_mul_f32 v[80:81], v[90:91], v[80:81] op_sel_hi:[0,1]
	v_bfe_u32 v1, v81, 16, 1
	v_bfe_u32 v87, v80, 16, 1
	v_pk_mul_f32 v[78:79], v[90:91], v[78:79] op_sel_hi:[0,1]
	v_add3_u32 v80, v80, v87, s8
	v_add3_u32 v1, v81, v1, s8
	v_perm_b32 v80, v1, v80, s9
	v_bfe_u32 v1, v79, 16, 1
	v_bfe_u32 v81, v78, 16, 1
	v_add3_u32 v78, v78, v81, s8
	v_add3_u32 v1, v79, v1, s8
	v_bfe_u32 v87, v0, 4, 2
	v_perm_b32 v81, v1, v78, s9
	v_lshlrev_b32_e32 v1, 3, v87
	v_lshlrev_b32_e32 v79, 5, v84
	;; [unrolled: 1-line block ×3, first 2 shown]
	v_pk_mul_f32 v[76:77], v[90:91], v[76:77] op_sel_hi:[0,1]
	v_or3_b32 v78, v78, v79, v1
	v_bfe_u32 v1, v77, 16, 1
	v_bfe_u32 v85, v76, 16, 1
	v_pk_mul_f32 v[74:75], v[90:91], v[74:75] op_sel_hi:[0,1]
	v_add3_u32 v76, v76, v85, s8
	v_add3_u32 v1, v77, v1, s8
	v_perm_b32 v76, v1, v76, s9
	v_bfe_u32 v1, v75, 16, 1
	v_bfe_u32 v77, v74, 16, 1
	v_add3_u32 v74, v74, v77, s8
	v_add3_u32 v1, v75, v1, s8
	v_pk_mul_f32 v[72:73], v[90:91], v[72:73] op_sel_hi:[0,1]
	v_perm_b32 v77, v1, v74, s9
	v_bfe_u32 v1, v73, 16, 1
	v_bfe_u32 v74, v72, 16, 1
	v_pk_mul_f32 v[70:71], v[90:91], v[70:71] op_sel_hi:[0,1]
	v_add3_u32 v72, v72, v74, s8
	v_add3_u32 v1, v73, v1, s8
	v_perm_b32 v72, v1, v72, s9
	v_bfe_u32 v1, v71, 16, 1
	v_bfe_u32 v73, v70, 16, 1
	v_add3_u32 v70, v70, v73, s8
	v_add3_u32 v1, v71, v1, s8
	v_pk_mul_f32 v[68:69], v[90:91], v[68:69] op_sel_hi:[0,1]
	v_perm_b32 v73, v1, v70, s9
	v_bfe_u32 v1, v69, 16, 1
	v_bfe_u32 v70, v68, 16, 1
	v_pk_mul_f32 v[66:67], v[90:91], v[66:67] op_sel_hi:[0,1]
	v_add3_u32 v68, v68, v70, s8
	v_add3_u32 v1, v69, v1, s8
	v_perm_b32 v68, v1, v68, s9
	v_bfe_u32 v1, v67, 16, 1
	v_bfe_u32 v69, v66, 16, 1
	v_add3_u32 v66, v66, v69, s8
	v_add3_u32 v1, v67, v1, s8
	v_perm_b32 v69, v1, v66, s9
	v_cmp_gt_u32_e32 vcc, 7, v0
	ds_write2st64_b64 v78, v[80:81], v[76:77] offset1:1
	ds_write2st64_b64 v78, v[72:73], v[68:69] offset0:2 offset1:3
	s_and_saveexec_b64 s[4:5], vcc
	s_cbranch_execz .LBB638_17
; %bb.16:
	s_mov_b32 s41, 0
	v_mov_b32_e32 v85, 0
	v_lshl_add_u64 v[66:67], s[40:41], 0, v[84:85]
	v_mov_b32_e32 v1, s7
	v_mad_u64_u32 v[66:67], s[10:11], s2, v1, v[66:67]
	s_mul_i32 s3, s3, s7
	v_mov_b32_e32 v68, s26
	v_mov_b32_e32 v69, v85
	s_load_dwordx4 s[12:15], s[0:1], 0x58
	v_add_u32_e32 v1, s3, v67
	v_mad_u64_u32 v[66:67], s[10:11], v66, s6, v[68:69]
	v_mov_b32_e32 v68, v67
	v_mad_u64_u32 v[68:69], s[10:11], v1, s6, v[68:69]
	v_mov_b32_e32 v67, v68
	v_lshlrev_b64 v[66:67], 2, v[66:67]
	s_waitcnt lgkmcnt(0)
	v_lshl_add_u64 v[68:69], s[14:15], 0, v[66:67]
	v_lshl_add_u64 v[66:67], s[12:13], 0, v[66:67]
	global_store_dword v[68:69], v83, off
	global_store_dword v[66:67], v86, off
.LBB638_17:
	s_or_b64 exec, exec, s[4:5]
	v_lshl_or_b32 v1, v87, 9, v79
	s_waitcnt lgkmcnt(0)
	s_barrier
	ds_read_b128 v[70:73], v1
	ds_read_b128 v[66:69], v1 offset:16
	s_waitcnt vmcnt(15) lgkmcnt(1)
	v_mfma_f32_16x16x16_bf16 v[74:77], v[30:31], v[70:71], 0
	s_mov_b32 s3, 0
	v_cmp_gt_u32_e32 vcc, 64, v0
	v_mfma_f32_16x16x16_bf16 v[30:33], v[32:33], v[72:73], v[74:77]
	s_waitcnt vmcnt(14) lgkmcnt(0)
	v_mfma_f32_16x16x16_bf16 v[30:33], v[26:27], v[66:67], v[30:33]
	v_mfma_f32_16x16x16_bf16 v[26:29], v[28:29], v[68:69], v[30:33]
	s_nop 5
	ds_read_b128 v[30:33], v1 offset:2048
	ds_read_b128 v[74:77], v1 offset:2064
	s_waitcnt vmcnt(13) lgkmcnt(1)
	v_mfma_f32_16x16x16_bf16 v[26:29], v[22:23], v[30:31], v[26:29]
	v_mfma_f32_16x16x16_bf16 v[22:25], v[24:25], v[32:33], v[26:29]
	s_waitcnt vmcnt(12) lgkmcnt(0)
	v_mfma_f32_16x16x16_bf16 v[22:25], v[18:19], v[74:75], v[22:25]
	v_mfma_f32_16x16x16_bf16 v[18:21], v[20:21], v[76:77], v[22:25]
	s_nop 5
	ds_read_b128 v[22:25], v1 offset:4096
	ds_read_b128 v[26:29], v1 offset:4112
	s_waitcnt vmcnt(11) lgkmcnt(1)
	v_mfma_f32_16x16x16_bf16 v[18:21], v[14:15], v[22:23], v[18:21]
	v_mfma_f32_16x16x16_bf16 v[14:17], v[16:17], v[24:25], v[18:21]
	s_waitcnt vmcnt(10) lgkmcnt(0)
	v_mfma_f32_16x16x16_bf16 v[14:17], v[10:11], v[26:27], v[14:17]
	v_mfma_f32_16x16x16_bf16 v[10:13], v[12:13], v[28:29], v[14:17]
	s_nop 5
	ds_read_b128 v[14:17], v1 offset:6144
	ds_read_b128 v[18:21], v1 offset:6160
	s_waitcnt lgkmcnt(0)
	s_barrier
	s_waitcnt vmcnt(9)
	v_mfma_f32_16x16x16_bf16 v[10:13], v[6:7], v[14:15], v[10:13]
	v_mfma_f32_16x16x16_bf16 v[6:9], v[8:9], v[16:17], v[10:13]
	s_waitcnt vmcnt(8)
	v_mfma_f32_16x16x16_bf16 v[6:9], v[2:3], v[18:19], v[6:9]
	v_mfma_f32_16x16x16_bf16 v[2:5], v[4:5], v[20:21], v[6:9]
	;; [unrolled: 3-line block ×3, first 2 shown]
	s_nop 3
	v_bfe_u32 v1, v3, 16, 1
	v_bfe_u32 v10, v2, 16, 1
	v_add3_u32 v2, v2, v10, s8
	s_waitcnt vmcnt(6)
	v_mfma_f32_16x16x16_bf16 v[6:9], v[38:39], v[66:67], v[6:9]
	v_add3_u32 v1, v3, v1, s8
	v_perm_b32 v10, v1, v2, s9
	v_bfe_u32 v1, v5, 16, 1
	v_mfma_f32_16x16x16_bf16 v[6:9], v[40:41], v[68:69], v[6:9]
	v_bfe_u32 v2, v4, 16, 1
	v_add3_u32 v2, v4, v2, s8
	v_add3_u32 v1, v5, v1, s8
	s_waitcnt vmcnt(5)
	v_mfma_f32_16x16x16_bf16 v[6:9], v[42:43], v[30:31], v[6:9]
	v_perm_b32 v11, v1, v2, s9
	v_mfma_f32_16x16x16_bf16 v[6:9], v[44:45], v[32:33], v[6:9]
	s_waitcnt vmcnt(4)
	v_mfma_f32_16x16x16_bf16 v[6:9], v[34:35], v[74:75], v[6:9]
	v_mfma_f32_16x16x16_bf16 v[6:9], v[36:37], v[76:77], v[6:9]
	s_waitcnt vmcnt(3)
	v_mfma_f32_16x16x16_bf16 v[6:9], v[58:59], v[22:23], v[6:9]
	;; [unrolled: 3-line block ×5, first 2 shown]
	v_mfma_f32_16x16x16_bf16 v[2:5], v[52:53], v[20:21], v[6:9]
	s_nop 6
	v_bfe_u32 v1, v3, 16, 1
	v_bfe_u32 v6, v2, 16, 1
	v_add3_u32 v2, v2, v6, s8
	v_add3_u32 v1, v3, v1, s8
	v_perm_b32 v2, v1, v2, s9
	v_bfe_u32 v1, v5, 16, 1
	v_bfe_u32 v3, v4, 16, 1
	v_add3_u32 v3, v4, v3, s8
	v_add3_u32 v1, v5, v1, s8
	v_perm_b32 v3, v1, v3, s9
	ds_write2st64_b64 v78, v[10:11], v[2:3] offset1:1
	s_waitcnt lgkmcnt(0)
	s_barrier
	s_and_saveexec_b64 s[4:5], vcc
	s_cbranch_execz .LBB638_20
; %bb.18:
	s_load_dwordx2 s[4:5], s[0:1], 0x68
	s_lshl_b32 s0, s6, 7
	s_mul_i32 s1, s7, s2
	v_lshlrev_b32_e32 v3, 6, v84
	s_mul_hi_u32 s7, s1, s0
	s_mul_i32 s6, s1, s0
	v_lshlrev_b32_e32 v2, 4, v0
	v_lshl_or_b32 v0, v0, 10, v3
	s_lshl_b64 s[6:7], s[6:7], 1
	v_lshlrev_b32_e32 v1, 5, v87
	v_and_b32_e32 v2, 16, v2
	v_and_b32_e32 v0, 0x1a00, v0
	s_waitcnt lgkmcnt(0)
	s_add_u32 s1, s4, s6
	v_or3_b32 v2, v0, v1, v2
	s_addc_u32 s4, s5, s7
	s_lshl_b32 s2, s26, 7
	s_lshl_b64 s[2:3], s[2:3], 1
	ds_read_b128 v[4:7], v2
	s_add_u32 s2, s1, s2
	s_addc_u32 s3, s4, s3
	v_mov_b32_e32 v83, 0
	v_add_u32_e32 v3, s40, v87
	v_lshl_add_u64 v[0:1], s[2:3], 0, v[82:83]
	v_mad_u64_u32 v[8:9], s[2:3], v3, s0, 0
	v_lshl_add_u64 v[8:9], v[8:9], 1, v[0:1]
	v_cmp_ne_u32_e32 vcc, 3, v87
	s_waitcnt lgkmcnt(0)
	global_store_dwordx4 v[8:9], v[4:7], off
	s_and_b64 exec, exec, vcc
	s_cbranch_execz .LBB638_20
; %bb.19:
	ds_read_b128 v[2:5], v2 offset:128
	v_add3_u32 v6, s40, v87, 4
	v_mad_u64_u32 v[6:7], s[0:1], v6, s0, 0
	v_lshl_add_u64 v[0:1], v[6:7], 1, v[0:1]
	s_waitcnt lgkmcnt(0)
	global_store_dwordx4 v[0:1], v[2:5], off
.LBB638_20:
	s_endpgm
	.section	.rodata,"a",@progbits
	.p2align	6, 0x0
	.amdhsa_kernel _Z39paged_attention_ll4mi_QKV_mfma16_kernelI14__hip_bfloat16S0_LN4vllm18Fp8KVCacheDataTypeE0ES0_Li16ELi128ELi256ELb1ELi7EEvPKT_PKT0_S8_ifPKiSA_SA_iPKfiiiPfSD_PS3_PT2_iSC_SC_
		.amdhsa_group_segment_fixed_size 8192
		.amdhsa_private_segment_fixed_size 0
		.amdhsa_kernarg_size 400
		.amdhsa_user_sgpr_count 2
		.amdhsa_user_sgpr_dispatch_ptr 0
		.amdhsa_user_sgpr_queue_ptr 0
		.amdhsa_user_sgpr_kernarg_segment_ptr 1
		.amdhsa_user_sgpr_dispatch_id 0
		.amdhsa_user_sgpr_kernarg_preload_length 0
		.amdhsa_user_sgpr_kernarg_preload_offset 0
		.amdhsa_user_sgpr_private_segment_size 0
		.amdhsa_uses_dynamic_stack 0
		.amdhsa_enable_private_segment 0
		.amdhsa_system_sgpr_workgroup_id_x 1
		.amdhsa_system_sgpr_workgroup_id_y 1
		.amdhsa_system_sgpr_workgroup_id_z 1
		.amdhsa_system_sgpr_workgroup_info 0
		.amdhsa_system_vgpr_workitem_id 0
		.amdhsa_next_free_vgpr 96
		.amdhsa_next_free_sgpr 42
		.amdhsa_accum_offset 96
		.amdhsa_reserve_vcc 1
		.amdhsa_float_round_mode_32 0
		.amdhsa_float_round_mode_16_64 0
		.amdhsa_float_denorm_mode_32 3
		.amdhsa_float_denorm_mode_16_64 3
		.amdhsa_dx10_clamp 1
		.amdhsa_ieee_mode 1
		.amdhsa_fp16_overflow 0
		.amdhsa_tg_split 0
		.amdhsa_exception_fp_ieee_invalid_op 0
		.amdhsa_exception_fp_denorm_src 0
		.amdhsa_exception_fp_ieee_div_zero 0
		.amdhsa_exception_fp_ieee_overflow 0
		.amdhsa_exception_fp_ieee_underflow 0
		.amdhsa_exception_fp_ieee_inexact 0
		.amdhsa_exception_int_div_zero 0
	.end_amdhsa_kernel
	.section	.text._Z39paged_attention_ll4mi_QKV_mfma16_kernelI14__hip_bfloat16S0_LN4vllm18Fp8KVCacheDataTypeE0ES0_Li16ELi128ELi256ELb1ELi7EEvPKT_PKT0_S8_ifPKiSA_SA_iPKfiiiPfSD_PS3_PT2_iSC_SC_,"axG",@progbits,_Z39paged_attention_ll4mi_QKV_mfma16_kernelI14__hip_bfloat16S0_LN4vllm18Fp8KVCacheDataTypeE0ES0_Li16ELi128ELi256ELb1ELi7EEvPKT_PKT0_S8_ifPKiSA_SA_iPKfiiiPfSD_PS3_PT2_iSC_SC_,comdat
.Lfunc_end638:
	.size	_Z39paged_attention_ll4mi_QKV_mfma16_kernelI14__hip_bfloat16S0_LN4vllm18Fp8KVCacheDataTypeE0ES0_Li16ELi128ELi256ELb1ELi7EEvPKT_PKT0_S8_ifPKiSA_SA_iPKfiiiPfSD_PS3_PT2_iSC_SC_, .Lfunc_end638-_Z39paged_attention_ll4mi_QKV_mfma16_kernelI14__hip_bfloat16S0_LN4vllm18Fp8KVCacheDataTypeE0ES0_Li16ELi128ELi256ELb1ELi7EEvPKT_PKT0_S8_ifPKiSA_SA_iPKfiiiPfSD_PS3_PT2_iSC_SC_
                                        ; -- End function
	.section	.AMDGPU.csdata,"",@progbits
; Kernel info:
; codeLenInByte = 4984
; NumSgprs: 48
; NumVgprs: 96
; NumAgprs: 0
; TotalNumVgprs: 96
; ScratchSize: 0
; MemoryBound: 0
; FloatMode: 240
; IeeeMode: 1
; LDSByteSize: 8192 bytes/workgroup (compile time only)
; SGPRBlocks: 5
; VGPRBlocks: 11
; NumSGPRsForWavesPerEU: 48
; NumVGPRsForWavesPerEU: 96
; AccumOffset: 96
; Occupancy: 5
; WaveLimiterHint : 1
; COMPUTE_PGM_RSRC2:SCRATCH_EN: 0
; COMPUTE_PGM_RSRC2:USER_SGPR: 2
; COMPUTE_PGM_RSRC2:TRAP_HANDLER: 0
; COMPUTE_PGM_RSRC2:TGID_X_EN: 1
; COMPUTE_PGM_RSRC2:TGID_Y_EN: 1
; COMPUTE_PGM_RSRC2:TGID_Z_EN: 1
; COMPUTE_PGM_RSRC2:TIDIG_COMP_CNT: 0
; COMPUTE_PGM_RSRC3_GFX90A:ACCUM_OFFSET: 23
; COMPUTE_PGM_RSRC3_GFX90A:TG_SPLIT: 0
	.section	.text._Z39paged_attention_ll4mi_QKV_mfma16_kernelI14__hip_bfloat16S0_LN4vllm18Fp8KVCacheDataTypeE0ES0_Li16ELi128ELi256ELb1ELi8EEvPKT_PKT0_S8_ifPKiSA_SA_iPKfiiiPfSD_PS3_PT2_iSC_SC_,"axG",@progbits,_Z39paged_attention_ll4mi_QKV_mfma16_kernelI14__hip_bfloat16S0_LN4vllm18Fp8KVCacheDataTypeE0ES0_Li16ELi128ELi256ELb1ELi8EEvPKT_PKT0_S8_ifPKiSA_SA_iPKfiiiPfSD_PS3_PT2_iSC_SC_,comdat
	.protected	_Z39paged_attention_ll4mi_QKV_mfma16_kernelI14__hip_bfloat16S0_LN4vllm18Fp8KVCacheDataTypeE0ES0_Li16ELi128ELi256ELb1ELi8EEvPKT_PKT0_S8_ifPKiSA_SA_iPKfiiiPfSD_PS3_PT2_iSC_SC_ ; -- Begin function _Z39paged_attention_ll4mi_QKV_mfma16_kernelI14__hip_bfloat16S0_LN4vllm18Fp8KVCacheDataTypeE0ES0_Li16ELi128ELi256ELb1ELi8EEvPKT_PKT0_S8_ifPKiSA_SA_iPKfiiiPfSD_PS3_PT2_iSC_SC_
	.globl	_Z39paged_attention_ll4mi_QKV_mfma16_kernelI14__hip_bfloat16S0_LN4vllm18Fp8KVCacheDataTypeE0ES0_Li16ELi128ELi256ELb1ELi8EEvPKT_PKT0_S8_ifPKiSA_SA_iPKfiiiPfSD_PS3_PT2_iSC_SC_
	.p2align	8
	.type	_Z39paged_attention_ll4mi_QKV_mfma16_kernelI14__hip_bfloat16S0_LN4vllm18Fp8KVCacheDataTypeE0ES0_Li16ELi128ELi256ELb1ELi8EEvPKT_PKT0_S8_ifPKiSA_SA_iPKfiiiPfSD_PS3_PT2_iSC_SC_,@function
_Z39paged_attention_ll4mi_QKV_mfma16_kernelI14__hip_bfloat16S0_LN4vllm18Fp8KVCacheDataTypeE0ES0_Li16ELi128ELi256ELb1ELi8EEvPKT_PKT0_S8_ifPKiSA_SA_iPKfiiiPfSD_PS3_PT2_iSC_SC_: ; @_Z39paged_attention_ll4mi_QKV_mfma16_kernelI14__hip_bfloat16S0_LN4vllm18Fp8KVCacheDataTypeE0ES0_Li16ELi128ELi256ELb1ELi8EEvPKT_PKT0_S8_ifPKiSA_SA_iPKfiiiPfSD_PS3_PT2_iSC_SC_
; %bb.0:
	s_load_dwordx2 s[8:9], s[0:1], 0x30
	s_mov_b32 s26, s3
	s_mov_b64 s[6:7], 0
	s_waitcnt lgkmcnt(0)
	s_cmp_lg_u64 s[8:9], 0
	s_cselect_b64 s[10:11], -1, 0
	s_and_b64 vcc, exec, s[10:11]
	s_cbranch_vccz .LBB639_7
; %bb.1:
	s_add_i32 s12, s2, 1
	s_mov_b32 s13, 0
	s_lshl_b64 s[14:15], s[12:13], 2
	s_add_u32 s14, s8, s14
	s_mov_b32 s3, s13
	s_addc_u32 s15, s9, s15
	s_lshl_b64 s[12:13], s[2:3], 2
	s_add_u32 s12, s8, s12
	s_addc_u32 s13, s9, s13
	s_load_dword s5, s[14:15], 0x0
	s_load_dword s16, s[12:13], 0x0
	s_waitcnt lgkmcnt(0)
	s_sub_i32 s5, s5, s16
	s_cmp_eq_u32 s5, 1
	s_cselect_b64 s[12:13], -1, 0
	s_andn2_b64 vcc, exec, s[6:7]
	s_cbranch_vccnz .LBB639_3
.LBB639_2:
	s_mov_b32 s3, 0
	s_mov_b64 s[12:13], -1
.LBB639_3:
	s_andn2_b64 vcc, exec, s[12:13]
	s_cbranch_vccnz .LBB639_19
; %bb.4:
	s_load_dwordx2 s[6:7], s[0:1], 0x28
	s_lshl_b64 s[12:13], s[2:3], 2
	s_waitcnt lgkmcnt(0)
	s_add_u32 s6, s6, s12
	s_addc_u32 s7, s7, s13
	s_load_dword s33, s[6:7], 0x0
	s_lshl_b32 s18, s26, 8
	s_waitcnt lgkmcnt(0)
	s_cmp_ge_i32 s18, s33
	s_cbranch_scc1 .LBB639_19
; %bb.5:
	s_load_dwordx2 s[6:7], s[0:1], 0x20
	s_load_dword s5, s[0:1], 0x38
	s_add_i32 s14, s33, 15
	s_ashr_i32 s15, s14, 31
	v_and_b32_e32 v1, 0xcf, v0
	s_lshr_b32 s15, s15, 28
	v_add_u32_e32 v1, s18, v1
	s_add_i32 s14, s14, s15
	v_ashrrev_i32_e32 v2, 31, v1
	s_ashr_i32 s19, s14, 4
	v_lshrrev_b32_e32 v4, 28, v2
	s_add_i32 s19, s19, -1
	s_waitcnt lgkmcnt(0)
	s_mul_i32 s14, s2, s5
	s_mov_b32 s15, 0
	v_add_u32_e32 v2, v1, v4
	s_lshl_b64 s[14:15], s[14:15], 2
	v_ashrrev_i32_e32 v2, 4, v2
	v_mov_b32_e32 v5, s19
	v_cmp_gt_i32_e32 vcc, s33, v1
	s_add_u32 s6, s6, s14
	s_addc_u32 s7, s7, s15
	v_cndmask_b32_e32 v2, v5, v2, vcc
	v_ashrrev_i32_e32 v3, 31, v2
	v_lshl_add_u64 v[6:7], v[2:3], 2, s[6:7]
	v_or_b32_e32 v2, 16, v1
	v_add_u32_e32 v3, v2, v4
	v_ashrrev_i32_e32 v3, 4, v3
	v_cmp_gt_i32_e32 vcc, s33, v2
	s_load_dwordx2 s[14:15], s[0:1], 0x8
	s_nop 0
	v_cndmask_b32_e32 v2, v5, v3, vcc
	v_ashrrev_i32_e32 v3, 31, v2
	v_lshl_add_u64 v[8:9], v[2:3], 2, s[6:7]
	v_or_b32_e32 v2, 32, v1
	v_add_u32_e32 v3, v2, v4
	v_ashrrev_i32_e32 v3, 4, v3
	v_cmp_gt_i32_e32 vcc, s33, v2
	v_or_b32_e32 v1, 48, v1
	s_nop 0
	v_cndmask_b32_e32 v2, v5, v3, vcc
	v_ashrrev_i32_e32 v3, 31, v2
	v_lshl_add_u64 v[10:11], v[2:3], 2, s[6:7]
	v_add_u32_e32 v2, v1, v4
	v_ashrrev_i32_e32 v2, 4, v2
	v_cmp_gt_i32_e32 vcc, s33, v1
	s_nop 1
	v_cndmask_b32_e32 v2, v5, v2, vcc
	v_ashrrev_i32_e32 v3, 31, v2
	v_lshl_add_u64 v[12:13], v[2:3], 2, s[6:7]
	global_load_dword v5, v[6:7], off
	global_load_dword v4, v[8:9], off
	;; [unrolled: 1-line block ×4, first 2 shown]
	s_andn2_b64 vcc, exec, s[10:11]
	s_cbranch_vccnz .LBB639_8
; %bb.6:
	s_add_u32 s8, s8, s12
	s_addc_u32 s9, s9, s13
	s_load_dword s5, s[8:9], 0x0
	s_branch .LBB639_9
.LBB639_7:
	s_mov_b64 s[12:13], 0
	s_branch .LBB639_2
.LBB639_8:
	s_mov_b32 s5, s2
.LBB639_9:
	s_load_dwordx2 s[12:13], s[0:1], 0x10
	s_load_dwordx4 s[8:11], s[0:1], 0x48
	v_and_b32_e32 v86, 15, v0
	v_lshlrev_b32_e32 v6, 3, v86
	s_waitcnt lgkmcnt(0)
	s_movk_i32 s11, 0x80
	v_lshrrev_b32_e32 v87, 6, v0
	v_bfe_u32 v1, v0, 4, 2
	s_lshl_b32 s27, s4, 3
	v_cmp_gt_u32_e32 vcc, s11, v0
	v_lshlrev_b32_e32 v82, 1, v6
	s_and_saveexec_b64 s[16:17], vcc
	s_cbranch_execz .LBB639_11
; %bb.10:
	s_load_dwordx2 s[20:21], s[0:1], 0x0
	s_ashr_i32 s11, s8, 31
	s_mul_hi_u32 s22, s5, s8
	s_mul_i32 s11, s5, s11
	s_add_i32 s23, s22, s11
	s_mul_i32 s22, s5, s8
	v_lshl_or_b32 v10, v87, 2, v1
	s_lshl_b64 s[22:23], s[22:23], 1
	s_waitcnt lgkmcnt(0)
	s_add_u32 s20, s20, s22
	v_add_lshl_u32 v6, v10, s27, 7
	s_addc_u32 s21, s21, s23
	v_ashrrev_i32_e32 v7, 31, v6
	v_lshl_add_u64 v[6:7], v[6:7], 1, s[20:21]
	v_mov_b32_e32 v83, 0
	v_lshl_add_u64 v[6:7], v[6:7], 0, v[82:83]
	global_load_dwordx4 v[6:9], v[6:7], off
	v_and_b32_e32 v11, 3, v0
	v_lshlrev_b32_e32 v12, 9, v86
	v_lshlrev_b32_e32 v10, 5, v10
	;; [unrolled: 1-line block ×3, first 2 shown]
	v_and_b32_e32 v12, 0x1800, v12
	v_or3_b32 v10, v12, v11, v10
	s_waitcnt vmcnt(0)
	ds_write_b128 v10, v[6:9]
.LBB639_11:
	s_or_b64 exec, exec, s[16:17]
	s_mul_i32 s4, s4, s10
	s_mov_b32 s5, 0
	s_lshl_b64 s[4:5], s[4:5], 1
	s_add_u32 s10, s14, s4
	v_lshlrev_b32_e32 v10, 4, v0
	s_addc_u32 s11, s15, s5
	v_and_b32_e32 v84, 0xf0, v10
	v_mov_b32_e32 v85, 0
	v_lshl_add_u64 v[6:7], s[10:11], 0, v[84:85]
	s_waitcnt vmcnt(3)
	v_mad_i64_i32 v[8:9], s[10:11], v5, s9, 0
	s_waitcnt vmcnt(2)
	v_mad_i64_i32 v[4:5], s[10:11], v4, s9, 0
	v_lshl_add_u64 v[8:9], v[8:9], 1, v[6:7]
	v_and_b32_e32 v84, 0x300, v10
	v_lshl_add_u64 v[4:5], v[4:5], 1, v[6:7]
	v_lshl_add_u64 v[8:9], v[8:9], 0, v[84:85]
	;; [unrolled: 1-line block ×3, first 2 shown]
	s_waitcnt lgkmcnt(0)
	s_barrier
	global_load_dwordx4 v[78:81], v[8:9], off
	global_load_dwordx4 v[74:77], v[8:9], off offset:1024
	global_load_dwordx4 v[70:73], v[8:9], off offset:2048
	;; [unrolled: 1-line block ×3, first 2 shown]
	global_load_dwordx4 v[66:69], v[4:5], off
	global_load_dwordx4 v[62:65], v[4:5], off offset:1024
	global_load_dwordx4 v[58:61], v[4:5], off offset:2048
	;; [unrolled: 1-line block ×3, first 2 shown]
	s_waitcnt vmcnt(9)
	v_mad_i64_i32 v[4:5], s[10:11], v3, s9, 0
	s_waitcnt vmcnt(8)
	v_mad_i64_i32 v[2:3], s[10:11], v2, s9, 0
	v_lshl_add_u64 v[4:5], v[4:5], 1, v[6:7]
	v_lshl_add_u64 v[2:3], v[2:3], 1, v[6:7]
	;; [unrolled: 1-line block ×4, first 2 shown]
	global_load_dwordx4 v[54:57], v[4:5], off
	global_load_dwordx4 v[30:33], v[4:5], off offset:1024
	global_load_dwordx4 v[26:29], v[4:5], off offset:2048
	;; [unrolled: 1-line block ×3, first 2 shown]
	global_load_dwordx4 v[6:9], v[14:15], off
	s_nop 0
	global_load_dwordx4 v[2:5], v[14:15], off offset:1024
	global_load_dwordx4 v[42:45], v[14:15], off offset:2048
	;; [unrolled: 1-line block ×3, first 2 shown]
	v_and_b32_e32 v14, 7, v0
	v_lshlrev_b32_e32 v14, 5, v14
	v_lshl_or_b32 v38, v1, 9, v14
	ds_read_b128 v[14:17], v38
	ds_read_b128 v[50:53], v38 offset:2048
	ds_read_b128 v[46:49], v38 offset:4096
	;; [unrolled: 1-line block ×3, first 2 shown]
	v_and_b32_e32 v88, 63, v0
	v_cmp_gt_u32_e32 vcc, 8, v86
	v_mov_b32_e32 v89, 0
	s_and_saveexec_b64 s[10:11], vcc
	s_cbranch_execz .LBB639_13
; %bb.12:
	s_load_dwordx2 s[14:15], s[0:1], 0x40
	v_or_b32_e32 v90, s27, v86
	v_ashrrev_i32_e32 v91, 31, v90
	s_waitcnt lgkmcnt(0)
	v_lshl_add_u64 v[90:91], v[90:91], 2, s[14:15]
	global_load_dword v89, v[90:91], off
.LBB639_13:
	s_or_b64 exec, exec, s[10:11]
	s_waitcnt vmcnt(15) lgkmcnt(3)
	v_mfma_f32_16x16x16_bf16 v[90:93], v[78:79], v[14:15], 0
	s_add_u32 s4, s12, s4
	s_addc_u32 s5, s13, s5
	s_mov_b32 s40, 0xff7fffff
	v_mfma_f32_16x16x16_bf16 v[78:81], v[80:81], v[16:17], v[90:93]
	s_waitcnt vmcnt(14) lgkmcnt(2)
	v_mfma_f32_16x16x16_bf16 v[78:81], v[74:75], v[50:51], v[78:81]
	s_nop 0
	v_lshl_or_b32 v90, v87, 4, v86
	v_lshlrev_b32_e32 v84, 5, v90
	v_mfma_f32_16x16x16_bf16 v[74:77], v[76:77], v[52:53], v[78:81]
	s_waitcnt vmcnt(13) lgkmcnt(1)
	v_mfma_f32_16x16x16_bf16 v[74:77], v[70:71], v[46:47], v[74:77]
	v_mfma_f32_16x16x16_bf16 v[70:73], v[72:73], v[48:49], v[74:77]
	s_waitcnt vmcnt(11)
	v_mfma_f32_16x16x16_bf16 v[74:77], v[66:67], v[14:15], 0
	v_mfma_f32_16x16x16_bf16 v[66:69], v[68:69], v[16:17], v[74:77]
	s_nop 5
	v_and_or_b32 v74, v0, 48, s18
	s_waitcnt lgkmcnt(0)
	v_mfma_f32_16x16x16_bf16 v[70:73], v[10:11], v[38:39], v[70:73]
	v_ashrrev_i32_e32 v10, 4, v74
	v_mov_b32_e32 v75, s19
	v_cmp_gt_i32_e32 vcc, s33, v74
	s_waitcnt vmcnt(10)
	v_mfma_f32_16x16x16_bf16 v[66:69], v[62:63], v[50:51], v[66:69]
	v_cndmask_b32_e32 v10, v75, v10, vcc
	v_ashrrev_i32_e32 v11, 31, v10
	v_lshl_add_u64 v[10:11], v[10:11], 2, s[6:7]
	v_mfma_f32_16x16x16_bf16 v[62:65], v[64:65], v[52:53], v[66:69]
	s_nop 2
	global_load_dword v68, v[10:11], off
	v_or_b32_e32 v10, 64, v74
	v_ashrrev_i32_e32 v11, 4, v10
	v_cmp_gt_i32_e32 vcc, s33, v10
	s_waitcnt vmcnt(10)
	v_mfma_f32_16x16x16_bf16 v[62:65], v[58:59], v[46:47], v[62:65]
	v_cndmask_b32_e32 v10, v75, v11, vcc
	v_ashrrev_i32_e32 v11, 31, v10
	v_lshl_add_u64 v[10:11], v[10:11], 2, s[6:7]
	global_load_dword v69, v[10:11], off
	v_or_b32_e32 v10, 0x80, v74
	v_ashrrev_i32_e32 v11, 4, v10
	v_cmp_gt_i32_e32 vcc, s33, v10
	v_mfma_f32_16x16x16_bf16 v[58:61], v[60:61], v[48:49], v[62:65]
	s_nop 0
	v_cndmask_b32_e32 v10, v75, v11, vcc
	v_ashrrev_i32_e32 v11, 31, v10
	v_lshl_add_u64 v[10:11], v[10:11], 2, s[6:7]
	global_load_dword v78, v[10:11], off
	v_or_b32_e32 v10, 0xc0, v74
	v_ashrrev_i32_e32 v11, 4, v10
	v_cmp_gt_i32_e32 vcc, s33, v10
	s_waitcnt vmcnt(10)
	v_mfma_f32_16x16x16_bf16 v[62:65], v[54:55], v[14:15], 0
	v_cndmask_b32_e32 v10, v75, v11, vcc
	v_ashrrev_i32_e32 v11, 31, v10
	v_lshl_add_u64 v[10:11], v[10:11], 2, s[6:7]
	global_load_dword v74, v[10:11], off
	v_mfma_f32_16x16x16_bf16 v[54:57], v[56:57], v[16:17], v[62:65]
	s_load_dword s6, s[0:1], 0x1c
	s_waitcnt vmcnt(3)
	v_mad_i64_i32 v[10:11], s[10:11], v68, s9, 0
	v_mfma_f32_16x16x16_bf16 v[54:57], v[30:31], v[50:51], v[54:57]
	v_lshlrev_b64 v[76:77], 1, v[10:11]
	v_lshl_add_u64 v[62:63], s[4:5], 0, v[84:85]
	v_or_b32_e32 v84, 0x800, v84
	v_mfma_f32_16x16x16_bf16 v[30:33], v[32:33], v[52:53], v[54:57]
	v_mfma_f32_16x16x16_bf16 v[30:33], v[26:27], v[46:47], v[30:33]
	;; [unrolled: 1-line block ×3, first 2 shown]
	v_lshl_add_u64 v[18:19], v[62:63], 0, v[76:77]
	v_mfma_f32_16x16x16_bf16 v[58:61], v[12:13], v[40:41], v[70:73]
	v_mfma_f32_16x16x16_bf16 v[10:13], v[28:29], v[48:49], v[30:33]
	s_nop 2
	global_load_dwordx4 v[30:33], v[18:19], off
	global_load_dwordx4 v[26:29], v[18:19], off offset:16
	s_waitcnt vmcnt(4)
	v_mad_i64_i32 v[18:19], s[10:11], v69, s9, 0
	v_mfma_f32_16x16x16_bf16 v[10:13], v[22:23], v[38:39], v[10:13]
	v_mfma_f32_16x16x16_bf16 v[64:67], v[20:21], v[40:41], v[54:57]
	s_nop 2
	v_lshlrev_b64 v[54:55], 1, v[18:19]
	v_mfma_f32_16x16x16_bf16 v[68:71], v[24:25], v[40:41], v[10:13]
	s_nop 2
	v_lshl_add_u64 v[10:11], v[62:63], 0, v[54:55]
	global_load_dwordx4 v[22:25], v[10:11], off
	global_load_dwordx4 v[18:21], v[10:11], off offset:16
	v_mfma_f32_16x16x16_bf16 v[10:13], v[6:7], v[14:15], 0
	s_waitcnt vmcnt(5)
	v_mad_i64_i32 v[6:7], s[10:11], v78, s9, 0
	v_lshlrev_b64 v[56:57], 1, v[6:7]
	v_mfma_f32_16x16x16_bf16 v[6:9], v[8:9], v[16:17], v[10:13]
	s_waitcnt lgkmcnt(0)
	v_pk_mul_f32 v[78:79], s[6:7], v[60:61] op_sel_hi:[0,1]
	v_pk_mul_f32 v[70:71], s[6:7], v[70:71] op_sel_hi:[0,1]
	v_mfma_f32_16x16x16_bf16 v[6:9], v[2:3], v[50:51], v[6:9]
	s_waitcnt vmcnt(4)
	v_mad_i64_i32 v[2:3], s[8:9], v74, s9, 0
	v_lshlrev_b64 v[50:51], 1, v[2:3]
	v_mfma_f32_16x16x16_bf16 v[72:75], v[4:5], v[52:53], v[6:9]
	v_pk_mul_f32 v[52:53], s[6:7], v[58:59] op_sel_hi:[0,1]
	v_lshl_add_u64 v[10:11], v[62:63], 0, v[56:57]
	v_lshl_add_u64 v[2:3], v[62:63], 0, v[50:51]
	v_mfma_f32_16x16x16_bf16 v[72:75], v[42:43], v[46:47], v[72:75]
	v_lshl_add_u64 v[62:63], s[4:5], 0, v[84:85]
	v_lshl_add_u64 v[42:43], v[62:63], 0, v[76:77]
	v_pk_mul_f32 v[76:77], s[6:7], v[64:65] op_sel_hi:[0,1]
	v_mfma_f32_16x16x16_bf16 v[44:47], v[44:45], v[48:49], v[72:75]
	v_lshl_add_u64 v[50:51], v[62:63], 0, v[50:51]
	global_load_dwordx4 v[14:17], v[10:11], off
	s_nop 0
	global_load_dwordx4 v[10:13], v[10:11], off offset:16
	v_pk_mul_f32 v[72:73], s[6:7], v[68:69] op_sel_hi:[0,1]
	v_mfma_f32_16x16x16_bf16 v[44:47], v[34:35], v[38:39], v[44:47]
	v_pk_mul_f32 v[74:75], s[6:7], v[66:67] op_sel_hi:[0,1]
	global_load_dwordx4 v[6:9], v[2:3], off
	s_nop 0
	global_load_dwordx4 v[2:5], v[2:3], off offset:16
	v_mfma_f32_16x16x16_bf16 v[34:37], v[36:37], v[40:41], v[44:47]
	s_nop 6
	v_pk_mul_f32 v[68:69], s[6:7], v[34:35] op_sel_hi:[0,1]
	v_and_b32_e32 v34, 0xc0, v0
	v_add_u32_e32 v34, s18, v34
	v_lshl_or_b32 v34, v1, 2, v34
	v_or_b32_e32 v35, 1, v34
	v_pk_mul_f32 v[66:67], s[6:7], v[36:37] op_sel_hi:[0,1]
	v_subrev_u32_e32 v36, s33, v35
	v_add_u32_e32 v38, 1, v36
	v_add_u32_e32 v39, 2, v36
	v_cvt_f32_i32_e32 v37, v36
	v_cvt_f32_i32_e32 v38, v38
	;; [unrolled: 1-line block ×3, first 2 shown]
	v_add_u32_e32 v40, 3, v36
	v_fma_f32 v52, v89, v37, v52
	v_fmac_f32_e32 v53, v89, v38
	v_fma_f32 v78, v89, v39, v78
	v_add_u32_e32 v37, 16, v36
	v_add_u32_e32 v38, 17, v36
	;; [unrolled: 1-line block ×3, first 2 shown]
	v_cvt_f32_i32_e32 v40, v40
	v_cvt_f32_i32_e32 v37, v37
	;; [unrolled: 1-line block ×4, first 2 shown]
	v_fmac_f32_e32 v79, v89, v40
	v_add_u32_e32 v40, 19, v36
	v_fma_f32 v76, v89, v37, v76
	v_fmac_f32_e32 v77, v89, v38
	v_fma_f32 v74, v89, v39, v74
	v_add_u32_e32 v37, 32, v36
	v_add_u32_e32 v38, 33, v36
	;; [unrolled: 1-line block ×3, first 2 shown]
	v_cvt_f32_i32_e32 v40, v40
	v_cvt_f32_i32_e32 v37, v37
	;; [unrolled: 1-line block ×4, first 2 shown]
	v_fmac_f32_e32 v75, v89, v40
	v_add_u32_e32 v40, 35, v36
	v_fma_f32 v72, v89, v37, v72
	v_fmac_f32_e32 v73, v89, v38
	v_fma_f32 v70, v89, v39, v70
	v_add_u32_e32 v37, 48, v36
	v_add_u32_e32 v38, 49, v36
	;; [unrolled: 1-line block ×4, first 2 shown]
	v_cvt_f32_i32_e32 v36, v36
	v_cvt_f32_i32_e32 v37, v37
	v_cvt_f32_i32_e32 v38, v38
	v_cmp_gt_i32_e64 s[28:29], s33, v34
	v_fmac_f32_e32 v67, v89, v36
	v_mov_b32_e32 v36, 0xff7fffff
	v_cmp_gt_i32_e64 s[30:31], s33, v35
	v_fma_f32 v68, v89, v37, v68
	v_cndmask_b32_e64 v37, v36, v52, s[28:29]
	v_cndmask_b32_e64 v35, v36, v53, s[30:31]
	v_fmac_f32_e32 v69, v89, v38
	v_max3_f32 v35, v37, s40, v35
	v_or_b32_e32 v37, 2, v34
	v_or_b32_e32 v38, 3, v34
	v_cmp_gt_i32_e64 s[34:35], s33, v37
	v_cmp_gt_i32_e64 s[36:37], s33, v38
	v_cvt_f32_i32_e32 v40, v40
	v_cndmask_b32_e64 v37, v36, v78, s[34:35]
	v_cndmask_b32_e64 v38, v36, v79, s[36:37]
	v_max3_f32 v35, v35, v37, v38
	v_or_b32_e32 v37, 16, v34
	v_or_b32_e32 v38, 17, v34
	v_cmp_gt_i32_e64 s[22:23], s33, v37
	v_cmp_gt_i32_e64 s[24:25], s33, v38
	v_fmac_f32_e32 v71, v89, v40
	v_cndmask_b32_e64 v37, v36, v76, s[22:23]
	v_cndmask_b32_e64 v38, v36, v77, s[24:25]
	v_max3_f32 v35, v35, v37, v38
	v_or_b32_e32 v37, 18, v34
	v_or_b32_e32 v38, 19, v34
	v_cmp_gt_i32_e64 s[18:19], s33, v37
	v_cmp_gt_i32_e64 s[20:21], s33, v38
	v_cvt_f32_i32_e32 v39, v39
	v_cndmask_b32_e64 v37, v36, v74, s[18:19]
	v_cndmask_b32_e64 v38, v36, v75, s[20:21]
	v_max3_f32 v35, v35, v37, v38
	v_or_b32_e32 v37, 32, v34
	v_or_b32_e32 v38, 33, v34
	v_cmp_gt_i32_e64 s[14:15], s33, v37
	v_cmp_gt_i32_e64 s[16:17], s33, v38
	v_fma_f32 v66, v89, v39, v66
	v_cndmask_b32_e64 v37, v36, v72, s[14:15]
	v_cndmask_b32_e64 v38, v36, v73, s[16:17]
	v_max3_f32 v35, v35, v37, v38
	v_or_b32_e32 v37, 34, v34
	v_or_b32_e32 v38, 35, v34
	v_cmp_gt_i32_e64 s[10:11], s33, v37
	v_cmp_gt_i32_e64 s[12:13], s33, v38
	s_nop 0
	v_cndmask_b32_e64 v37, v36, v70, s[10:11]
	v_cndmask_b32_e64 v38, v36, v71, s[12:13]
	v_max3_f32 v35, v35, v37, v38
	v_or_b32_e32 v37, 48, v34
	v_or_b32_e32 v38, 49, v34
	v_cmp_gt_i32_e64 s[6:7], s33, v37
	v_cmp_gt_i32_e64 s[8:9], s33, v38
	s_nop 0
	v_cndmask_b32_e64 v37, v36, v68, s[6:7]
	v_cndmask_b32_e64 v38, v36, v69, s[8:9]
	v_max3_f32 v35, v35, v37, v38
	v_or_b32_e32 v37, 50, v34
	v_or_b32_e32 v34, 51, v34
	v_cmp_gt_i32_e32 vcc, s33, v37
	v_cmp_gt_i32_e64 s[4:5], s33, v34
	global_load_dwordx4 v[46:49], v[42:43], off
	global_load_dwordx4 v[38:41], v[42:43], off offset:16
	v_cndmask_b32_e32 v37, v36, v66, vcc
	v_cndmask_b32_e64 v34, v36, v67, s[4:5]
	v_max3_f32 v58, v35, v37, v34
	v_mbcnt_lo_u32_b32 v34, -1, 0
	v_mbcnt_hi_u32_b32 v59, -1, v34
	v_and_b32_e32 v34, 64, v59
	v_add_u32_e32 v60, 64, v34
	v_xor_b32_e32 v34, 32, v59
	v_cmp_lt_i32_e64 s[38:39], v34, v60
	s_nop 1
	v_cndmask_b32_e64 v34, v59, v34, s[38:39]
	v_lshlrev_b32_e32 v85, 2, v34
	ds_bpermute_b32 v61, v85, v58
	v_lshl_add_u64 v[34:35], v[62:63], 0, v[54:55]
	global_load_dwordx4 v[42:45], v[34:35], off
	s_nop 0
	global_load_dwordx4 v[34:37], v[34:35], off offset:16
	s_waitcnt lgkmcnt(0)
	v_max_f32_e32 v54, v61, v61
	v_max_f32_e32 v64, v58, v54
	v_xor_b32_e32 v54, 16, v59
	v_cmp_lt_i32_e64 s[38:39], v54, v60
	s_nop 1
	v_cndmask_b32_e64 v54, v59, v54, s[38:39]
	v_lshlrev_b32_e32 v89, 2, v54
	ds_bpermute_b32 v65, v89, v64
	v_lshl_add_u64 v[54:55], v[62:63], 0, v[56:57]
	global_load_dwordx4 v[58:61], v[54:55], off
	s_nop 0
	global_load_dwordx4 v[54:57], v[54:55], off offset:16
	s_waitcnt lgkmcnt(0)
	v_max_f32_e32 v62, v65, v65
	v_max_f32_e32 v84, v64, v62
	v_sub_f32_e32 v52, v52, v84
	v_mul_f32_e32 v52, 0x3fb8aa3b, v52
	v_exp_f32_e32 v80, v52
	v_sub_f32_e32 v52, v53, v84
	v_mul_f32_e32 v52, 0x3fb8aa3b, v52
	v_exp_f32_e32 v81, v52
	global_load_dwordx4 v[62:65], v[50:51], off
	s_nop 0
	global_load_dwordx4 v[50:53], v[50:51], off offset:16
	v_sub_f32_e32 v78, v78, v84
	v_mul_f32_e32 v78, 0x3fb8aa3b, v78
	v_sub_f32_e32 v79, v79, v84
	v_exp_f32_e32 v78, v78
	v_mul_f32_e32 v79, 0x3fb8aa3b, v79
	v_sub_f32_e32 v76, v76, v84
	v_exp_f32_e32 v79, v79
	v_mul_f32_e32 v76, 0x3fb8aa3b, v76
	v_sub_f32_e32 v77, v77, v84
	v_cndmask_b32_e64 v80, 0, v80, s[28:29]
	v_exp_f32_e32 v76, v76
	v_mul_f32_e32 v77, 0x3fb8aa3b, v77
	v_sub_f32_e32 v74, v74, v84
	v_add_f32_e32 v91, 0, v80
	v_cndmask_b32_e64 v81, 0, v81, s[30:31]
	v_exp_f32_e32 v77, v77
	v_mul_f32_e32 v74, 0x3fb8aa3b, v74
	v_sub_f32_e32 v75, v75, v84
	v_add_f32_e32 v91, v91, v81
	;; [unrolled: 5-line block ×10, first 2 shown]
	v_cndmask_b32_e64 v70, 0, v70, s[10:11]
	v_exp_f32_e32 v66, v66
	v_mul_f32_e32 v67, 0x3fb8aa3b, v67
	v_add_f32_e32 v91, v91, v70
	v_cndmask_b32_e64 v71, 0, v71, s[12:13]
	v_exp_f32_e32 v67, v67
	v_add_f32_e32 v91, v91, v71
	v_cndmask_b32_e64 v68, 0, v68, s[6:7]
	v_add_f32_e32 v91, v91, v68
	v_cndmask_b32_e64 v69, 0, v69, s[8:9]
	v_add_f32_e32 v91, v91, v69
	v_cndmask_b32_e32 v66, 0, v66, vcc
	v_add_f32_e32 v91, v91, v66
	v_cndmask_b32_e64 v67, 0, v67, s[4:5]
	v_add_f32_e32 v91, v91, v67
	ds_bpermute_b32 v85, v85, v91
	s_load_dword s7, s[0:1], 0x98
	v_cmp_gt_u32_e32 vcc, 16, v88
	s_waitcnt lgkmcnt(0)
	s_barrier
	v_add_f32_e32 v85, v91, v85
	ds_bpermute_b32 v89, v89, v85
	s_waitcnt lgkmcnt(0)
	s_and_saveexec_b64 s[4:5], vcc
	s_cbranch_execz .LBB639_15
; %bb.14:
	v_add_f32_e32 v85, v85, v89
	v_lshlrev_b32_e32 v88, 2, v90
	ds_write2st64_b32 v88, v84, v85 offset1:1
.LBB639_15:
	s_or_b64 exec, exec, s[4:5]
	v_lshlrev_b32_e32 v85, 2, v86
	s_load_dword s6, s[0:1], 0x94
	s_waitcnt lgkmcnt(0)
	s_barrier
	ds_read2_b32 v[88:89], v85 offset1:16
	ds_read2_b32 v[90:91], v85 offset0:32 offset1:48
	ds_read2_b32 v[92:93], v85 offset0:64 offset1:80
	s_movk_i32 s8, 0x7fff
	s_mov_b32 s9, 0x7060302
	s_waitcnt lgkmcnt(2)
	v_max3_f32 v84, v88, s40, v89
	s_waitcnt lgkmcnt(1)
	v_max3_f32 v84, v84, v90, v91
	v_sub_f32_e32 v88, v88, v84
	v_mul_f32_e32 v88, 0x3fb8aa3b, v88
	v_exp_f32_e32 v94, v88
	v_sub_f32_e32 v88, v89, v84
	v_mul_f32_e32 v88, 0x3fb8aa3b, v88
	v_exp_f32_e32 v95, v88
	;; [unrolled: 3-line block ×3, first 2 shown]
	ds_read2_b32 v[88:89], v85 offset0:96 offset1:112
	v_sub_f32_e32 v85, v91, v84
	v_mul_f32_e32 v85, 0x3fb8aa3b, v85
	v_exp_f32_e32 v91, v85
	s_waitcnt lgkmcnt(1)
	v_fma_f32 v85, v94, v92, 0
	v_fmac_f32_e32 v85, v95, v93
	s_waitcnt lgkmcnt(0)
	v_fmac_f32_e32 v85, v90, v88
	v_fmac_f32_e32 v85, v91, v89
	v_add_f32_e32 v88, 0x358637bd, v85
	v_div_scale_f32 v89, s[4:5], v88, v88, 1.0
	v_rcp_f32_e32 v92, v89
	s_lshl_b32 s7, s7, 3
	s_barrier
	v_fma_f32 v93, -v89, v92, 1.0
	v_fmac_f32_e32 v92, v93, v92
	v_div_scale_f32 v93, vcc, 1.0, v88, 1.0
	v_mul_f32_e32 v83, v93, v92
	v_fma_f32 v1, -v89, v83, v93
	v_fmac_f32_e32 v83, v1, v92
	v_fma_f32 v1, -v89, v83, v93
	v_div_fmas_f32 v1, v1, v92, v83
	v_cmp_eq_u32_e32 vcc, 1, v87
	v_div_fixup_f32 v1, v1, v88, 1.0
	s_nop 0
	v_cndmask_b32_e32 v83, v94, v95, vcc
	v_cmp_eq_u32_e32 vcc, 2, v87
	s_nop 1
	v_cndmask_b32_e32 v83, v83, v90, vcc
	v_cmp_eq_u32_e32 vcc, 3, v87
	s_nop 1
	v_cndmask_b32_e32 v83, v83, v91, vcc
	v_mul_f32_e32 v88, v83, v1
	v_pk_mul_f32 v[80:81], v[88:89], v[80:81] op_sel_hi:[0,1]
	v_bfe_u32 v1, v81, 16, 1
	v_bfe_u32 v83, v80, 16, 1
	v_pk_mul_f32 v[78:79], v[88:89], v[78:79] op_sel_hi:[0,1]
	v_add3_u32 v80, v80, v83, s8
	v_add3_u32 v1, v81, v1, s8
	v_perm_b32 v80, v1, v80, s9
	v_bfe_u32 v1, v79, 16, 1
	v_bfe_u32 v81, v78, 16, 1
	v_add3_u32 v78, v78, v81, s8
	v_add3_u32 v1, v79, v1, s8
	v_bfe_u32 v89, v0, 4, 2
	v_perm_b32 v81, v1, v78, s9
	v_lshlrev_b32_e32 v1, 3, v89
	v_lshlrev_b32_e32 v79, 5, v86
	;; [unrolled: 1-line block ×3, first 2 shown]
	v_pk_mul_f32 v[76:77], v[88:89], v[76:77] op_sel_hi:[0,1]
	v_or3_b32 v78, v78, v79, v1
	v_bfe_u32 v1, v77, 16, 1
	v_bfe_u32 v83, v76, 16, 1
	v_pk_mul_f32 v[74:75], v[88:89], v[74:75] op_sel_hi:[0,1]
	v_add3_u32 v76, v76, v83, s8
	v_add3_u32 v1, v77, v1, s8
	v_perm_b32 v76, v1, v76, s9
	v_bfe_u32 v1, v75, 16, 1
	v_bfe_u32 v77, v74, 16, 1
	v_add3_u32 v74, v74, v77, s8
	v_add3_u32 v1, v75, v1, s8
	v_pk_mul_f32 v[72:73], v[88:89], v[72:73] op_sel_hi:[0,1]
	v_perm_b32 v77, v1, v74, s9
	v_bfe_u32 v1, v73, 16, 1
	v_bfe_u32 v74, v72, 16, 1
	v_pk_mul_f32 v[70:71], v[88:89], v[70:71] op_sel_hi:[0,1]
	v_add3_u32 v72, v72, v74, s8
	v_add3_u32 v1, v73, v1, s8
	v_perm_b32 v72, v1, v72, s9
	v_bfe_u32 v1, v71, 16, 1
	v_bfe_u32 v73, v70, 16, 1
	v_add3_u32 v70, v70, v73, s8
	v_add3_u32 v1, v71, v1, s8
	v_pk_mul_f32 v[68:69], v[88:89], v[68:69] op_sel_hi:[0,1]
	v_perm_b32 v73, v1, v70, s9
	v_bfe_u32 v1, v69, 16, 1
	v_bfe_u32 v70, v68, 16, 1
	v_pk_mul_f32 v[66:67], v[88:89], v[66:67] op_sel_hi:[0,1]
	v_add3_u32 v68, v68, v70, s8
	v_add3_u32 v1, v69, v1, s8
	v_perm_b32 v68, v1, v68, s9
	v_bfe_u32 v1, v67, 16, 1
	v_bfe_u32 v69, v66, 16, 1
	v_add3_u32 v66, v66, v69, s8
	v_add3_u32 v1, v67, v1, s8
	v_perm_b32 v69, v1, v66, s9
	v_cmp_gt_u32_e32 vcc, 8, v0
	ds_write2st64_b64 v78, v[80:81], v[76:77] offset1:1
	ds_write2st64_b64 v78, v[72:73], v[68:69] offset0:2 offset1:3
	s_and_saveexec_b64 s[4:5], vcc
	s_cbranch_execz .LBB639_17
; %bb.16:
	v_or_b32_e32 v66, s27, v0
	v_mov_b32_e32 v67, 0
	v_mov_b32_e32 v1, s7
	v_mad_u64_u32 v[68:69], s[10:11], s2, v1, v[66:67]
	v_mov_b32_e32 v66, s26
	s_load_dwordx4 s[12:15], s[0:1], 0x58
	s_mul_i32 s3, s3, s7
	v_mad_u64_u32 v[66:67], s[10:11], v68, s6, v[66:67]
	v_add_u32_e32 v1, s3, v69
	v_mov_b32_e32 v68, v67
	v_mad_u64_u32 v[68:69], s[10:11], v1, s6, v[68:69]
	v_mov_b32_e32 v67, v68
	v_lshlrev_b64 v[66:67], 2, v[66:67]
	s_waitcnt lgkmcnt(0)
	v_lshl_add_u64 v[68:69], s[14:15], 0, v[66:67]
	v_lshl_add_u64 v[66:67], s[12:13], 0, v[66:67]
	global_store_dword v[68:69], v84, off
	global_store_dword v[66:67], v85, off
.LBB639_17:
	s_or_b64 exec, exec, s[4:5]
	v_lshl_or_b32 v1, v89, 9, v79
	s_waitcnt lgkmcnt(0)
	s_barrier
	ds_read_b128 v[70:73], v1
	ds_read_b128 v[66:69], v1 offset:16
	s_waitcnt vmcnt(15) lgkmcnt(1)
	v_mfma_f32_16x16x16_bf16 v[74:77], v[30:31], v[70:71], 0
	s_mov_b32 s3, 0
	v_cmp_gt_u32_e32 vcc, 64, v0
	v_mfma_f32_16x16x16_bf16 v[30:33], v[32:33], v[72:73], v[74:77]
	s_waitcnt vmcnt(14) lgkmcnt(0)
	v_mfma_f32_16x16x16_bf16 v[30:33], v[26:27], v[66:67], v[30:33]
	v_mfma_f32_16x16x16_bf16 v[26:29], v[28:29], v[68:69], v[30:33]
	s_nop 5
	ds_read_b128 v[30:33], v1 offset:2048
	ds_read_b128 v[74:77], v1 offset:2064
	s_waitcnt vmcnt(13) lgkmcnt(1)
	v_mfma_f32_16x16x16_bf16 v[26:29], v[22:23], v[30:31], v[26:29]
	v_mfma_f32_16x16x16_bf16 v[22:25], v[24:25], v[32:33], v[26:29]
	s_waitcnt vmcnt(12) lgkmcnt(0)
	v_mfma_f32_16x16x16_bf16 v[22:25], v[18:19], v[74:75], v[22:25]
	v_mfma_f32_16x16x16_bf16 v[18:21], v[20:21], v[76:77], v[22:25]
	s_nop 5
	ds_read_b128 v[22:25], v1 offset:4096
	ds_read_b128 v[26:29], v1 offset:4112
	s_waitcnt vmcnt(11) lgkmcnt(1)
	v_mfma_f32_16x16x16_bf16 v[18:21], v[14:15], v[22:23], v[18:21]
	v_mfma_f32_16x16x16_bf16 v[14:17], v[16:17], v[24:25], v[18:21]
	s_waitcnt vmcnt(10) lgkmcnt(0)
	v_mfma_f32_16x16x16_bf16 v[14:17], v[10:11], v[26:27], v[14:17]
	v_mfma_f32_16x16x16_bf16 v[10:13], v[12:13], v[28:29], v[14:17]
	s_nop 5
	ds_read_b128 v[14:17], v1 offset:6144
	ds_read_b128 v[18:21], v1 offset:6160
	s_waitcnt lgkmcnt(0)
	s_barrier
	s_waitcnt vmcnt(9)
	v_mfma_f32_16x16x16_bf16 v[10:13], v[6:7], v[14:15], v[10:13]
	v_mfma_f32_16x16x16_bf16 v[6:9], v[8:9], v[16:17], v[10:13]
	s_waitcnt vmcnt(8)
	v_mfma_f32_16x16x16_bf16 v[6:9], v[2:3], v[18:19], v[6:9]
	v_mfma_f32_16x16x16_bf16 v[2:5], v[4:5], v[20:21], v[6:9]
	;; [unrolled: 3-line block ×3, first 2 shown]
	s_nop 3
	v_bfe_u32 v1, v3, 16, 1
	v_bfe_u32 v10, v2, 16, 1
	v_add3_u32 v2, v2, v10, s8
	s_waitcnt vmcnt(6)
	v_mfma_f32_16x16x16_bf16 v[6:9], v[38:39], v[66:67], v[6:9]
	v_add3_u32 v1, v3, v1, s8
	v_perm_b32 v10, v1, v2, s9
	v_bfe_u32 v1, v5, 16, 1
	v_mfma_f32_16x16x16_bf16 v[6:9], v[40:41], v[68:69], v[6:9]
	v_bfe_u32 v2, v4, 16, 1
	v_add3_u32 v2, v4, v2, s8
	v_add3_u32 v1, v5, v1, s8
	s_waitcnt vmcnt(5)
	v_mfma_f32_16x16x16_bf16 v[6:9], v[42:43], v[30:31], v[6:9]
	v_perm_b32 v11, v1, v2, s9
	v_mfma_f32_16x16x16_bf16 v[6:9], v[44:45], v[32:33], v[6:9]
	s_waitcnt vmcnt(4)
	v_mfma_f32_16x16x16_bf16 v[6:9], v[34:35], v[74:75], v[6:9]
	v_mfma_f32_16x16x16_bf16 v[6:9], v[36:37], v[76:77], v[6:9]
	s_waitcnt vmcnt(3)
	v_mfma_f32_16x16x16_bf16 v[6:9], v[58:59], v[22:23], v[6:9]
	;; [unrolled: 3-line block ×5, first 2 shown]
	v_mfma_f32_16x16x16_bf16 v[2:5], v[52:53], v[20:21], v[6:9]
	s_nop 6
	v_bfe_u32 v1, v3, 16, 1
	v_bfe_u32 v6, v2, 16, 1
	v_add3_u32 v2, v2, v6, s8
	v_add3_u32 v1, v3, v1, s8
	v_perm_b32 v2, v1, v2, s9
	v_bfe_u32 v1, v5, 16, 1
	v_bfe_u32 v3, v4, 16, 1
	v_add3_u32 v3, v4, v3, s8
	v_add3_u32 v1, v5, v1, s8
	v_perm_b32 v3, v1, v3, s9
	ds_write2st64_b64 v78, v[10:11], v[2:3] offset1:1
	s_waitcnt lgkmcnt(0)
	s_barrier
	s_and_saveexec_b64 s[4:5], vcc
	s_cbranch_execz .LBB639_19
; %bb.18:
	s_load_dwordx2 s[0:1], s[0:1], 0x68
	s_lshl_b32 s6, s6, 7
	s_mul_i32 s2, s7, s2
	s_mul_hi_u32 s5, s2, s6
	s_mul_i32 s4, s2, s6
	v_lshlrev_b32_e32 v3, 6, v86
	s_lshl_b64 s[4:5], s[4:5], 1
	v_lshlrev_b32_e32 v2, 4, v0
	v_lshl_or_b32 v0, v0, 10, v3
	s_waitcnt lgkmcnt(0)
	s_add_u32 s4, s0, s4
	v_lshlrev_b32_e32 v1, 5, v89
	v_and_b32_e32 v2, 16, v2
	v_and_b32_e32 v0, 0x1a00, v0
	s_addc_u32 s5, s1, s5
	s_lshl_b32 s2, s26, 7
	v_or3_b32 v0, v0, v1, v2
	s_lshl_b64 s[0:1], s[2:3], 1
	ds_read_b128 v[2:5], v0
	ds_read_b128 v[6:9], v0 offset:128
	s_add_u32 s0, s4, s0
	s_addc_u32 s1, s5, s1
	v_mov_b32_e32 v83, 0
	v_or_b32_e32 v12, s27, v89
	v_lshl_add_u64 v[10:11], s[0:1], 0, v[82:83]
	v_mad_u64_u32 v[0:1], s[0:1], v12, s6, 0
	v_lshl_add_u64 v[0:1], v[0:1], 1, v[10:11]
	s_waitcnt lgkmcnt(1)
	global_store_dwordx4 v[0:1], v[2:5], off
	v_or_b32_e32 v0, 4, v12
	v_mad_u64_u32 v[0:1], s[0:1], v0, s6, 0
	v_lshl_add_u64 v[0:1], v[0:1], 1, v[10:11]
	s_waitcnt lgkmcnt(0)
	global_store_dwordx4 v[0:1], v[6:9], off
.LBB639_19:
	s_endpgm
	.section	.rodata,"a",@progbits
	.p2align	6, 0x0
	.amdhsa_kernel _Z39paged_attention_ll4mi_QKV_mfma16_kernelI14__hip_bfloat16S0_LN4vllm18Fp8KVCacheDataTypeE0ES0_Li16ELi128ELi256ELb1ELi8EEvPKT_PKT0_S8_ifPKiSA_SA_iPKfiiiPfSD_PS3_PT2_iSC_SC_
		.amdhsa_group_segment_fixed_size 8192
		.amdhsa_private_segment_fixed_size 0
		.amdhsa_kernarg_size 400
		.amdhsa_user_sgpr_count 2
		.amdhsa_user_sgpr_dispatch_ptr 0
		.amdhsa_user_sgpr_queue_ptr 0
		.amdhsa_user_sgpr_kernarg_segment_ptr 1
		.amdhsa_user_sgpr_dispatch_id 0
		.amdhsa_user_sgpr_kernarg_preload_length 0
		.amdhsa_user_sgpr_kernarg_preload_offset 0
		.amdhsa_user_sgpr_private_segment_size 0
		.amdhsa_uses_dynamic_stack 0
		.amdhsa_enable_private_segment 0
		.amdhsa_system_sgpr_workgroup_id_x 1
		.amdhsa_system_sgpr_workgroup_id_y 1
		.amdhsa_system_sgpr_workgroup_id_z 1
		.amdhsa_system_sgpr_workgroup_info 0
		.amdhsa_system_vgpr_workitem_id 0
		.amdhsa_next_free_vgpr 96
		.amdhsa_next_free_sgpr 41
		.amdhsa_accum_offset 96
		.amdhsa_reserve_vcc 1
		.amdhsa_float_round_mode_32 0
		.amdhsa_float_round_mode_16_64 0
		.amdhsa_float_denorm_mode_32 3
		.amdhsa_float_denorm_mode_16_64 3
		.amdhsa_dx10_clamp 1
		.amdhsa_ieee_mode 1
		.amdhsa_fp16_overflow 0
		.amdhsa_tg_split 0
		.amdhsa_exception_fp_ieee_invalid_op 0
		.amdhsa_exception_fp_denorm_src 0
		.amdhsa_exception_fp_ieee_div_zero 0
		.amdhsa_exception_fp_ieee_overflow 0
		.amdhsa_exception_fp_ieee_underflow 0
		.amdhsa_exception_fp_ieee_inexact 0
		.amdhsa_exception_int_div_zero 0
	.end_amdhsa_kernel
	.section	.text._Z39paged_attention_ll4mi_QKV_mfma16_kernelI14__hip_bfloat16S0_LN4vllm18Fp8KVCacheDataTypeE0ES0_Li16ELi128ELi256ELb1ELi8EEvPKT_PKT0_S8_ifPKiSA_SA_iPKfiiiPfSD_PS3_PT2_iSC_SC_,"axG",@progbits,_Z39paged_attention_ll4mi_QKV_mfma16_kernelI14__hip_bfloat16S0_LN4vllm18Fp8KVCacheDataTypeE0ES0_Li16ELi128ELi256ELb1ELi8EEvPKT_PKT0_S8_ifPKiSA_SA_iPKfiiiPfSD_PS3_PT2_iSC_SC_,comdat
.Lfunc_end639:
	.size	_Z39paged_attention_ll4mi_QKV_mfma16_kernelI14__hip_bfloat16S0_LN4vllm18Fp8KVCacheDataTypeE0ES0_Li16ELi128ELi256ELb1ELi8EEvPKT_PKT0_S8_ifPKiSA_SA_iPKfiiiPfSD_PS3_PT2_iSC_SC_, .Lfunc_end639-_Z39paged_attention_ll4mi_QKV_mfma16_kernelI14__hip_bfloat16S0_LN4vllm18Fp8KVCacheDataTypeE0ES0_Li16ELi128ELi256ELb1ELi8EEvPKT_PKT0_S8_ifPKiSA_SA_iPKfiiiPfSD_PS3_PT2_iSC_SC_
                                        ; -- End function
	.section	.AMDGPU.csdata,"",@progbits
; Kernel info:
; codeLenInByte = 4936
; NumSgprs: 47
; NumVgprs: 96
; NumAgprs: 0
; TotalNumVgprs: 96
; ScratchSize: 0
; MemoryBound: 0
; FloatMode: 240
; IeeeMode: 1
; LDSByteSize: 8192 bytes/workgroup (compile time only)
; SGPRBlocks: 5
; VGPRBlocks: 11
; NumSGPRsForWavesPerEU: 47
; NumVGPRsForWavesPerEU: 96
; AccumOffset: 96
; Occupancy: 5
; WaveLimiterHint : 1
; COMPUTE_PGM_RSRC2:SCRATCH_EN: 0
; COMPUTE_PGM_RSRC2:USER_SGPR: 2
; COMPUTE_PGM_RSRC2:TRAP_HANDLER: 0
; COMPUTE_PGM_RSRC2:TGID_X_EN: 1
; COMPUTE_PGM_RSRC2:TGID_Y_EN: 1
; COMPUTE_PGM_RSRC2:TGID_Z_EN: 1
; COMPUTE_PGM_RSRC2:TIDIG_COMP_CNT: 0
; COMPUTE_PGM_RSRC3_GFX90A:ACCUM_OFFSET: 23
; COMPUTE_PGM_RSRC3_GFX90A:TG_SPLIT: 0
	.section	.text._Z39paged_attention_ll4mi_QKV_mfma16_kernelI14__hip_bfloat16S0_LN4vllm18Fp8KVCacheDataTypeE0ES0_Li16ELi128ELi256ELb1ELi9EEvPKT_PKT0_S8_ifPKiSA_SA_iPKfiiiPfSD_PS3_PT2_iSC_SC_,"axG",@progbits,_Z39paged_attention_ll4mi_QKV_mfma16_kernelI14__hip_bfloat16S0_LN4vllm18Fp8KVCacheDataTypeE0ES0_Li16ELi128ELi256ELb1ELi9EEvPKT_PKT0_S8_ifPKiSA_SA_iPKfiiiPfSD_PS3_PT2_iSC_SC_,comdat
	.protected	_Z39paged_attention_ll4mi_QKV_mfma16_kernelI14__hip_bfloat16S0_LN4vllm18Fp8KVCacheDataTypeE0ES0_Li16ELi128ELi256ELb1ELi9EEvPKT_PKT0_S8_ifPKiSA_SA_iPKfiiiPfSD_PS3_PT2_iSC_SC_ ; -- Begin function _Z39paged_attention_ll4mi_QKV_mfma16_kernelI14__hip_bfloat16S0_LN4vllm18Fp8KVCacheDataTypeE0ES0_Li16ELi128ELi256ELb1ELi9EEvPKT_PKT0_S8_ifPKiSA_SA_iPKfiiiPfSD_PS3_PT2_iSC_SC_
	.globl	_Z39paged_attention_ll4mi_QKV_mfma16_kernelI14__hip_bfloat16S0_LN4vllm18Fp8KVCacheDataTypeE0ES0_Li16ELi128ELi256ELb1ELi9EEvPKT_PKT0_S8_ifPKiSA_SA_iPKfiiiPfSD_PS3_PT2_iSC_SC_
	.p2align	8
	.type	_Z39paged_attention_ll4mi_QKV_mfma16_kernelI14__hip_bfloat16S0_LN4vllm18Fp8KVCacheDataTypeE0ES0_Li16ELi128ELi256ELb1ELi9EEvPKT_PKT0_S8_ifPKiSA_SA_iPKfiiiPfSD_PS3_PT2_iSC_SC_,@function
_Z39paged_attention_ll4mi_QKV_mfma16_kernelI14__hip_bfloat16S0_LN4vllm18Fp8KVCacheDataTypeE0ES0_Li16ELi128ELi256ELb1ELi9EEvPKT_PKT0_S8_ifPKiSA_SA_iPKfiiiPfSD_PS3_PT2_iSC_SC_: ; @_Z39paged_attention_ll4mi_QKV_mfma16_kernelI14__hip_bfloat16S0_LN4vllm18Fp8KVCacheDataTypeE0ES0_Li16ELi128ELi256ELb1ELi9EEvPKT_PKT0_S8_ifPKiSA_SA_iPKfiiiPfSD_PS3_PT2_iSC_SC_
; %bb.0:
	s_load_dwordx2 s[8:9], s[0:1], 0x30
	s_mov_b32 s26, s3
	s_mov_b64 s[6:7], 0
	s_waitcnt lgkmcnt(0)
	s_cmp_lg_u64 s[8:9], 0
	s_cselect_b64 s[10:11], -1, 0
	s_and_b64 vcc, exec, s[10:11]
	s_cbranch_vccz .LBB640_7
; %bb.1:
	s_add_i32 s12, s2, 1
	s_mov_b32 s13, 0
	s_lshl_b64 s[14:15], s[12:13], 2
	s_add_u32 s14, s8, s14
	s_mov_b32 s3, s13
	s_addc_u32 s15, s9, s15
	s_lshl_b64 s[12:13], s[2:3], 2
	s_add_u32 s12, s8, s12
	s_addc_u32 s13, s9, s13
	s_load_dword s5, s[14:15], 0x0
	s_load_dword s16, s[12:13], 0x0
	s_waitcnt lgkmcnt(0)
	s_sub_i32 s5, s5, s16
	s_cmp_eq_u32 s5, 1
	s_cselect_b64 s[12:13], -1, 0
	s_andn2_b64 vcc, exec, s[6:7]
	s_cbranch_vccnz .LBB640_3
.LBB640_2:
	s_mov_b32 s3, 0
	s_mov_b64 s[12:13], -1
.LBB640_3:
	s_andn2_b64 vcc, exec, s[12:13]
	s_cbranch_vccnz .LBB640_20
; %bb.4:
	s_load_dwordx2 s[6:7], s[0:1], 0x28
	s_lshl_b64 s[12:13], s[2:3], 2
	s_waitcnt lgkmcnt(0)
	s_add_u32 s6, s6, s12
	s_addc_u32 s7, s7, s13
	s_load_dword s27, s[6:7], 0x0
	s_lshl_b32 s18, s26, 8
	s_waitcnt lgkmcnt(0)
	s_cmp_ge_i32 s18, s27
	s_cbranch_scc1 .LBB640_20
; %bb.5:
	s_load_dwordx2 s[6:7], s[0:1], 0x20
	s_load_dword s5, s[0:1], 0x38
	s_add_i32 s14, s27, 15
	s_ashr_i32 s15, s14, 31
	v_and_b32_e32 v1, 0xcf, v0
	s_lshr_b32 s15, s15, 28
	v_add_u32_e32 v1, s18, v1
	s_add_i32 s14, s14, s15
	v_ashrrev_i32_e32 v2, 31, v1
	s_ashr_i32 s19, s14, 4
	v_lshrrev_b32_e32 v4, 28, v2
	s_add_i32 s19, s19, -1
	s_waitcnt lgkmcnt(0)
	s_mul_i32 s14, s2, s5
	s_mov_b32 s15, 0
	v_add_u32_e32 v2, v1, v4
	s_lshl_b64 s[14:15], s[14:15], 2
	v_ashrrev_i32_e32 v2, 4, v2
	v_mov_b32_e32 v5, s19
	v_cmp_gt_i32_e32 vcc, s27, v1
	s_add_u32 s6, s6, s14
	s_addc_u32 s7, s7, s15
	v_cndmask_b32_e32 v2, v5, v2, vcc
	v_ashrrev_i32_e32 v3, 31, v2
	v_lshl_add_u64 v[6:7], v[2:3], 2, s[6:7]
	v_or_b32_e32 v2, 16, v1
	v_add_u32_e32 v3, v2, v4
	v_ashrrev_i32_e32 v3, 4, v3
	v_cmp_gt_i32_e32 vcc, s27, v2
	s_load_dwordx2 s[14:15], s[0:1], 0x8
	s_nop 0
	v_cndmask_b32_e32 v2, v5, v3, vcc
	v_ashrrev_i32_e32 v3, 31, v2
	v_lshl_add_u64 v[8:9], v[2:3], 2, s[6:7]
	v_or_b32_e32 v2, 32, v1
	v_add_u32_e32 v3, v2, v4
	v_ashrrev_i32_e32 v3, 4, v3
	v_cmp_gt_i32_e32 vcc, s27, v2
	v_or_b32_e32 v1, 48, v1
	s_nop 0
	v_cndmask_b32_e32 v2, v5, v3, vcc
	v_ashrrev_i32_e32 v3, 31, v2
	v_lshl_add_u64 v[10:11], v[2:3], 2, s[6:7]
	v_add_u32_e32 v2, v1, v4
	v_ashrrev_i32_e32 v2, 4, v2
	v_cmp_gt_i32_e32 vcc, s27, v1
	s_nop 1
	v_cndmask_b32_e32 v2, v5, v2, vcc
	v_ashrrev_i32_e32 v3, 31, v2
	v_lshl_add_u64 v[12:13], v[2:3], 2, s[6:7]
	global_load_dword v5, v[6:7], off
	global_load_dword v4, v[8:9], off
	;; [unrolled: 1-line block ×4, first 2 shown]
	s_andn2_b64 vcc, exec, s[10:11]
	s_cbranch_vccnz .LBB640_8
; %bb.6:
	s_add_u32 s8, s8, s12
	s_addc_u32 s9, s9, s13
	s_load_dword s5, s[8:9], 0x0
	s_branch .LBB640_9
.LBB640_7:
	s_mov_b64 s[12:13], 0
	s_branch .LBB640_2
.LBB640_8:
	s_mov_b32 s5, s2
.LBB640_9:
	s_load_dwordx2 s[12:13], s[0:1], 0x10
	s_load_dwordx4 s[8:11], s[0:1], 0x48
	v_lshrrev_b32_e32 v85, 6, v0
	v_bfe_u32 v88, v0, 4, 2
	v_and_b32_e32 v84, 15, v0
	v_lshl_or_b32 v1, v85, 2, v88
	v_lshlrev_b32_e32 v6, 3, v84
	s_mul_i32 s40, s4, 9
	v_cmp_gt_u32_e32 vcc, 9, v1
	v_lshlrev_b32_e32 v82, 1, v6
	s_and_saveexec_b64 s[16:17], vcc
	s_cbranch_execz .LBB640_11
; %bb.10:
	s_load_dwordx2 s[20:21], s[0:1], 0x0
	s_waitcnt lgkmcnt(0)
	s_ashr_i32 s11, s8, 31
	s_mul_hi_u32 s22, s5, s8
	s_mul_i32 s11, s5, s11
	s_add_i32 s23, s22, s11
	s_mul_i32 s22, s5, s8
	s_lshl_b64 s[22:23], s[22:23], 1
	s_add_u32 s20, s20, s22
	v_add_lshl_u32 v6, v1, s40, 7
	s_addc_u32 s21, s21, s23
	v_ashrrev_i32_e32 v7, 31, v6
	v_lshl_add_u64 v[6:7], v[6:7], 1, s[20:21]
	v_mov_b32_e32 v83, 0
	v_lshl_add_u64 v[6:7], v[6:7], 0, v[82:83]
	global_load_dwordx4 v[6:9], v[6:7], off
	v_and_b32_e32 v10, 3, v0
	v_lshlrev_b32_e32 v11, 9, v84
	v_lshlrev_b32_e32 v1, 5, v1
	;; [unrolled: 1-line block ×3, first 2 shown]
	v_and_b32_e32 v11, 0x1800, v11
	v_or3_b32 v1, v11, v10, v1
	s_waitcnt vmcnt(0)
	ds_write_b128 v1, v[6:9]
.LBB640_11:
	s_or_b64 exec, exec, s[16:17]
	s_waitcnt lgkmcnt(0)
	s_mul_i32 s4, s4, s10
	s_mov_b32 s5, 0
	s_lshl_b64 s[4:5], s[4:5], 1
	s_add_u32 s10, s14, s4
	v_lshlrev_b32_e32 v1, 4, v0
	s_addc_u32 s11, s15, s5
	v_and_b32_e32 v86, 0xf0, v1
	v_mov_b32_e32 v87, 0
	v_lshl_add_u64 v[6:7], s[10:11], 0, v[86:87]
	s_waitcnt vmcnt(3)
	v_mad_i64_i32 v[8:9], s[10:11], v5, s9, 0
	s_waitcnt vmcnt(2)
	v_mad_i64_i32 v[4:5], s[10:11], v4, s9, 0
	v_lshl_add_u64 v[8:9], v[8:9], 1, v[6:7]
	v_and_b32_e32 v86, 0x300, v1
	v_lshl_add_u64 v[4:5], v[4:5], 1, v[6:7]
	v_lshl_add_u64 v[8:9], v[8:9], 0, v[86:87]
	;; [unrolled: 1-line block ×3, first 2 shown]
	s_barrier
	global_load_dwordx4 v[78:81], v[8:9], off
	global_load_dwordx4 v[74:77], v[8:9], off offset:1024
	global_load_dwordx4 v[70:73], v[8:9], off offset:2048
	;; [unrolled: 1-line block ×3, first 2 shown]
	global_load_dwordx4 v[66:69], v[4:5], off
	global_load_dwordx4 v[62:65], v[4:5], off offset:1024
	global_load_dwordx4 v[58:61], v[4:5], off offset:2048
	;; [unrolled: 1-line block ×3, first 2 shown]
	s_waitcnt vmcnt(9)
	v_mad_i64_i32 v[4:5], s[10:11], v3, s9, 0
	s_waitcnt vmcnt(8)
	v_mad_i64_i32 v[2:3], s[10:11], v2, s9, 0
	v_lshl_add_u64 v[4:5], v[4:5], 1, v[6:7]
	v_lshl_add_u64 v[2:3], v[2:3], 1, v[6:7]
	;; [unrolled: 1-line block ×4, first 2 shown]
	global_load_dwordx4 v[30:33], v[4:5], off
	global_load_dwordx4 v[26:29], v[4:5], off offset:1024
	global_load_dwordx4 v[22:25], v[4:5], off offset:2048
	;; [unrolled: 1-line block ×3, first 2 shown]
	global_load_dwordx4 v[6:9], v[34:35], off
	s_nop 0
	global_load_dwordx4 v[2:5], v[34:35], off offset:1024
	global_load_dwordx4 v[38:41], v[34:35], off offset:2048
	s_nop 0
	global_load_dwordx4 v[34:37], v[34:35], off offset:3072
	v_add_u32_e32 v42, -9, v84
	v_cmp_gt_u32_e32 vcc, 9, v84
	v_and_b32_e32 v83, 63, v0
	v_mov_b32_e32 v89, 0
	v_cndmask_b32_e32 v42, v42, v84, vcc
	v_lshlrev_b32_e32 v42, 5, v42
	v_lshl_add_u32 v42, v88, 9, v42
	ds_read_b128 v[54:57], v42
	ds_read_b128 v[50:53], v42 offset:2048
	ds_read_b128 v[46:49], v42 offset:4096
	;; [unrolled: 1-line block ×3, first 2 shown]
	s_and_saveexec_b64 s[10:11], vcc
	s_cbranch_execz .LBB640_13
; %bb.12:
	s_load_dwordx2 s[14:15], s[0:1], 0x40
	v_add_u32_e32 v90, s40, v84
	v_ashrrev_i32_e32 v91, 31, v90
	s_waitcnt lgkmcnt(0)
	v_lshl_add_u64 v[90:91], v[90:91], 2, s[14:15]
	global_load_dword v89, v[90:91], off
.LBB640_13:
	s_or_b64 exec, exec, s[10:11]
	s_waitcnt vmcnt(15) lgkmcnt(3)
	v_mfma_f32_16x16x16_bf16 v[90:93], v[78:79], v[54:55], 0
	s_add_u32 s4, s12, s4
	s_addc_u32 s5, s13, s5
	s_mov_b32 s33, 0xff7fffff
	v_mfma_f32_16x16x16_bf16 v[78:81], v[80:81], v[56:57], v[90:93]
	s_waitcnt vmcnt(14) lgkmcnt(2)
	v_mfma_f32_16x16x16_bf16 v[78:81], v[74:75], v[50:51], v[78:81]
	s_nop 0
	v_lshl_or_b32 v90, v85, 4, v84
	v_lshlrev_b32_e32 v86, 5, v90
	v_mfma_f32_16x16x16_bf16 v[74:77], v[76:77], v[52:53], v[78:81]
	s_waitcnt vmcnt(13) lgkmcnt(1)
	v_mfma_f32_16x16x16_bf16 v[74:77], v[70:71], v[46:47], v[74:77]
	v_mfma_f32_16x16x16_bf16 v[70:73], v[72:73], v[48:49], v[74:77]
	s_waitcnt vmcnt(11)
	v_mfma_f32_16x16x16_bf16 v[74:77], v[66:67], v[54:55], 0
	v_mfma_f32_16x16x16_bf16 v[66:69], v[68:69], v[56:57], v[74:77]
	s_nop 5
	v_and_or_b32 v74, v0, 48, s18
	s_waitcnt lgkmcnt(0)
	v_mfma_f32_16x16x16_bf16 v[70:73], v[10:11], v[42:43], v[70:73]
	v_ashrrev_i32_e32 v10, 4, v74
	v_mov_b32_e32 v75, s19
	v_cmp_gt_i32_e32 vcc, s27, v74
	s_waitcnt vmcnt(10)
	v_mfma_f32_16x16x16_bf16 v[66:69], v[62:63], v[50:51], v[66:69]
	v_cndmask_b32_e32 v10, v75, v10, vcc
	v_ashrrev_i32_e32 v11, 31, v10
	v_lshl_add_u64 v[10:11], v[10:11], 2, s[6:7]
	global_load_dword v76, v[10:11], off
	v_mfma_f32_16x16x16_bf16 v[62:65], v[64:65], v[52:53], v[66:69]
	v_or_b32_e32 v10, 64, v74
	v_ashrrev_i32_e32 v11, 4, v10
	v_cmp_gt_i32_e32 vcc, s27, v10
	s_waitcnt vmcnt(10)
	v_mfma_f32_16x16x16_bf16 v[62:65], v[58:59], v[46:47], v[62:65]
	v_cndmask_b32_e32 v10, v75, v11, vcc
	v_ashrrev_i32_e32 v11, 31, v10
	v_lshl_add_u64 v[10:11], v[10:11], 2, s[6:7]
	global_load_dword v78, v[10:11], off
	v_or_b32_e32 v10, 0x80, v74
	v_mfma_f32_16x16x16_bf16 v[58:61], v[60:61], v[48:49], v[62:65]
	v_ashrrev_i32_e32 v11, 4, v10
	v_cmp_gt_i32_e32 vcc, s27, v10
	s_waitcnt vmcnt(9)
	v_mfma_f32_16x16x16_bf16 v[62:65], v[30:31], v[54:55], 0
	v_cndmask_b32_e32 v10, v75, v11, vcc
	v_ashrrev_i32_e32 v11, 31, v10
	v_lshl_add_u64 v[10:11], v[10:11], 2, s[6:7]
	v_mfma_f32_16x16x16_bf16 v[30:33], v[32:33], v[56:57], v[62:65]
	s_nop 2
	global_load_dword v62, v[10:11], off
	v_or_b32_e32 v10, 0xc0, v74
	v_ashrrev_i32_e32 v11, 4, v10
	v_cmp_gt_i32_e32 vcc, s27, v10
	s_waitcnt vmcnt(9)
	v_mfma_f32_16x16x16_bf16 v[30:33], v[26:27], v[50:51], v[30:33]
	v_cndmask_b32_e32 v10, v75, v11, vcc
	v_ashrrev_i32_e32 v11, 31, v10
	v_lshl_add_u64 v[10:11], v[10:11], 2, s[6:7]
	global_load_dword v63, v[10:11], off
	v_mfma_f32_16x16x16_bf16 v[26:29], v[28:29], v[52:53], v[30:33]
	s_load_dword s6, s[0:1], 0x1c
	s_waitcnt vmcnt(3)
	v_mad_i64_i32 v[10:11], s[10:11], v76, s9, 0
	v_mfma_f32_16x16x16_bf16 v[26:29], v[22:23], v[46:47], v[26:29]
	v_lshlrev_b64 v[76:77], 1, v[10:11]
	v_mfma_f32_16x16x16_bf16 v[64:67], v[12:13], v[44:45], v[70:73]
	v_mfma_f32_16x16x16_bf16 v[10:13], v[24:25], v[48:49], v[26:29]
	s_nop 1
	v_lshl_add_u64 v[72:73], s[4:5], 0, v[86:87]
	v_or_b32_e32 v86, 0x800, v86
	v_mfma_f32_16x16x16_bf16 v[30:33], v[14:15], v[42:43], v[58:61]
	v_lshl_add_u64 v[14:15], v[72:73], 0, v[76:77]
	v_mfma_f32_16x16x16_bf16 v[10:13], v[18:19], v[42:43], v[10:13]
	v_mfma_f32_16x16x16_bf16 v[68:71], v[16:17], v[44:45], v[30:33]
	s_nop 3
	global_load_dwordx4 v[30:33], v[14:15], off
	global_load_dwordx4 v[26:29], v[14:15], off offset:16
	s_waitcnt vmcnt(4)
	v_mad_i64_i32 v[14:15], s[10:11], v78, s9, 0
	v_lshlrev_b64 v[58:59], 1, v[14:15]
	v_mfma_f32_16x16x16_bf16 v[92:95], v[20:21], v[44:45], v[10:13]
	s_waitcnt lgkmcnt(0)
	v_pk_mul_f32 v[78:79], s[6:7], v[66:67] op_sel_hi:[0,1]
	s_nop 0
	v_lshl_add_u64 v[10:11], v[72:73], 0, v[58:59]
	global_load_dwordx4 v[22:25], v[10:11], off
	global_load_dwordx4 v[18:21], v[10:11], off offset:16
	v_mfma_f32_16x16x16_bf16 v[10:13], v[6:7], v[54:55], 0
	s_waitcnt vmcnt(5)
	v_mad_i64_i32 v[6:7], s[10:11], v62, s9, 0
	v_lshlrev_b64 v[54:55], 1, v[6:7]
	v_mfma_f32_16x16x16_bf16 v[6:9], v[8:9], v[56:57], v[10:13]
	v_mfma_f32_16x16x16_bf16 v[6:9], v[2:3], v[50:51], v[6:9]
	s_waitcnt vmcnt(4)
	v_mad_i64_i32 v[2:3], s[8:9], v63, s9, 0
	v_lshlrev_b64 v[50:51], 1, v[2:3]
	v_mfma_f32_16x16x16_bf16 v[60:63], v[4:5], v[52:53], v[6:9]
	v_lshl_add_u64 v[10:11], v[72:73], 0, v[54:55]
	v_lshl_add_u64 v[2:3], v[72:73], 0, v[50:51]
	v_pk_mul_f32 v[52:53], s[6:7], v[64:65] op_sel_hi:[0,1]
	v_mfma_f32_16x16x16_bf16 v[72:75], v[38:39], v[46:47], v[60:63]
	global_load_dwordx4 v[14:17], v[10:11], off
	s_nop 0
	global_load_dwordx4 v[10:13], v[10:11], off offset:16
	v_lshl_add_u64 v[62:63], s[4:5], 0, v[86:87]
	v_lshl_add_u64 v[38:39], v[62:63], 0, v[76:77]
	v_mfma_f32_16x16x16_bf16 v[46:49], v[40:41], v[48:49], v[72:75]
	v_pk_mul_f32 v[76:77], s[6:7], v[68:69] op_sel_hi:[0,1]
	v_lshl_add_u64 v[54:55], v[62:63], 0, v[54:55]
	v_lshl_add_u64 v[50:51], v[62:63], 0, v[50:51]
	v_mfma_f32_16x16x16_bf16 v[40:43], v[34:35], v[42:43], v[46:49]
	v_pk_mul_f32 v[74:75], s[6:7], v[70:71] op_sel_hi:[0,1]
	v_pk_mul_f32 v[70:71], s[6:7], v[94:95] op_sel_hi:[0,1]
	;; [unrolled: 1-line block ×3, first 2 shown]
	v_mfma_f32_16x16x16_bf16 v[34:37], v[36:37], v[44:45], v[40:43]
	global_load_dwordx4 v[6:9], v[2:3], off
	s_nop 0
	global_load_dwordx4 v[2:5], v[2:3], off offset:16
	s_nop 3
	v_pk_mul_f32 v[68:69], s[6:7], v[34:35] op_sel_hi:[0,1]
	v_and_b32_e32 v34, 0xc0, v0
	v_add_u32_e32 v34, s18, v34
	v_lshl_or_b32 v34, v88, 2, v34
	v_or_b32_e32 v35, 1, v34
	v_pk_mul_f32 v[66:67], s[6:7], v[36:37] op_sel_hi:[0,1]
	v_subrev_u32_e32 v36, s27, v35
	v_add_u32_e32 v40, 1, v36
	v_add_u32_e32 v41, 2, v36
	v_cvt_f32_i32_e32 v37, v36
	v_cvt_f32_i32_e32 v40, v40
	v_cvt_f32_i32_e32 v41, v41
	v_add_u32_e32 v42, 3, v36
	v_fma_f32 v52, v89, v37, v52
	v_fmac_f32_e32 v53, v89, v40
	v_fma_f32 v78, v89, v41, v78
	v_add_u32_e32 v37, 16, v36
	v_add_u32_e32 v40, 17, v36
	;; [unrolled: 1-line block ×3, first 2 shown]
	v_cvt_f32_i32_e32 v42, v42
	v_cvt_f32_i32_e32 v37, v37
	;; [unrolled: 1-line block ×4, first 2 shown]
	v_fmac_f32_e32 v79, v89, v42
	v_add_u32_e32 v42, 19, v36
	v_fma_f32 v76, v89, v37, v76
	v_fmac_f32_e32 v77, v89, v40
	v_fma_f32 v74, v89, v41, v74
	v_add_u32_e32 v37, 32, v36
	v_add_u32_e32 v40, 33, v36
	;; [unrolled: 1-line block ×3, first 2 shown]
	v_cvt_f32_i32_e32 v42, v42
	v_cvt_f32_i32_e32 v37, v37
	;; [unrolled: 1-line block ×4, first 2 shown]
	v_fmac_f32_e32 v75, v89, v42
	v_add_u32_e32 v42, 35, v36
	v_fma_f32 v72, v89, v37, v72
	v_fmac_f32_e32 v73, v89, v40
	v_fma_f32 v70, v89, v41, v70
	v_add_u32_e32 v37, 48, v36
	v_add_u32_e32 v40, 49, v36
	;; [unrolled: 1-line block ×4, first 2 shown]
	v_cvt_f32_i32_e32 v36, v36
	v_cvt_f32_i32_e32 v37, v37
	;; [unrolled: 1-line block ×3, first 2 shown]
	v_cmp_gt_i32_e64 s[28:29], s27, v34
	v_fmac_f32_e32 v67, v89, v36
	v_mov_b32_e32 v36, 0xff7fffff
	v_cmp_gt_i32_e64 s[30:31], s27, v35
	v_fma_f32 v68, v89, v37, v68
	v_cndmask_b32_e64 v37, v36, v52, s[28:29]
	v_cndmask_b32_e64 v35, v36, v53, s[30:31]
	v_fmac_f32_e32 v69, v89, v40
	v_max3_f32 v35, v37, s33, v35
	v_or_b32_e32 v37, 2, v34
	v_or_b32_e32 v40, 3, v34
	v_cmp_gt_i32_e64 s[34:35], s27, v37
	v_cmp_gt_i32_e64 s[36:37], s27, v40
	v_cvt_f32_i32_e32 v42, v42
	v_cndmask_b32_e64 v37, v36, v78, s[34:35]
	v_cndmask_b32_e64 v40, v36, v79, s[36:37]
	v_max3_f32 v35, v35, v37, v40
	v_or_b32_e32 v37, 16, v34
	v_or_b32_e32 v40, 17, v34
	v_cmp_gt_i32_e64 s[22:23], s27, v37
	v_cmp_gt_i32_e64 s[24:25], s27, v40
	v_fmac_f32_e32 v71, v89, v42
	v_cndmask_b32_e64 v37, v36, v76, s[22:23]
	v_cndmask_b32_e64 v40, v36, v77, s[24:25]
	v_max3_f32 v35, v35, v37, v40
	v_or_b32_e32 v37, 18, v34
	v_or_b32_e32 v40, 19, v34
	v_cmp_gt_i32_e64 s[18:19], s27, v37
	v_cmp_gt_i32_e64 s[20:21], s27, v40
	v_cvt_f32_i32_e32 v41, v41
	v_cndmask_b32_e64 v37, v36, v74, s[18:19]
	v_cndmask_b32_e64 v40, v36, v75, s[20:21]
	v_max3_f32 v35, v35, v37, v40
	v_or_b32_e32 v37, 32, v34
	v_or_b32_e32 v40, 33, v34
	v_cmp_gt_i32_e64 s[14:15], s27, v37
	v_cmp_gt_i32_e64 s[16:17], s27, v40
	v_fma_f32 v66, v89, v41, v66
	v_cndmask_b32_e64 v37, v36, v72, s[14:15]
	v_cndmask_b32_e64 v40, v36, v73, s[16:17]
	v_max3_f32 v35, v35, v37, v40
	v_or_b32_e32 v37, 34, v34
	v_or_b32_e32 v40, 35, v34
	v_cmp_gt_i32_e64 s[10:11], s27, v37
	v_cmp_gt_i32_e64 s[12:13], s27, v40
	s_nop 0
	v_cndmask_b32_e64 v37, v36, v70, s[10:11]
	v_cndmask_b32_e64 v40, v36, v71, s[12:13]
	v_max3_f32 v35, v35, v37, v40
	v_or_b32_e32 v37, 48, v34
	v_or_b32_e32 v40, 49, v34
	v_cmp_gt_i32_e64 s[6:7], s27, v37
	v_cmp_gt_i32_e64 s[8:9], s27, v40
	s_nop 0
	v_cndmask_b32_e64 v37, v36, v68, s[6:7]
	v_cndmask_b32_e64 v40, v36, v69, s[8:9]
	v_max3_f32 v35, v35, v37, v40
	v_or_b32_e32 v37, 50, v34
	v_or_b32_e32 v34, 51, v34
	v_cmp_gt_i32_e32 vcc, s27, v37
	v_cmp_gt_i32_e64 s[4:5], s27, v34
	global_load_dwordx4 v[46:49], v[38:39], off
	s_nop 0
	global_load_dwordx4 v[38:41], v[38:39], off offset:16
	v_cndmask_b32_e32 v37, v36, v66, vcc
	v_cndmask_b32_e64 v34, v36, v67, s[4:5]
	v_max3_f32 v56, v35, v37, v34
	v_mbcnt_lo_u32_b32 v34, -1, 0
	v_mbcnt_hi_u32_b32 v57, -1, v34
	v_and_b32_e32 v34, 64, v57
	v_add_u32_e32 v60, 64, v34
	v_xor_b32_e32 v34, 32, v57
	v_cmp_lt_i32_e64 s[38:39], v34, v60
	s_nop 1
	v_cndmask_b32_e64 v34, v57, v34, s[38:39]
	v_lshlrev_b32_e32 v87, 2, v34
	ds_bpermute_b32 v61, v87, v56
	v_lshl_add_u64 v[34:35], v[62:63], 0, v[58:59]
	global_load_dwordx4 v[42:45], v[34:35], off
	s_nop 0
	global_load_dwordx4 v[34:37], v[34:35], off offset:16
	s_waitcnt lgkmcnt(0)
	v_max_f32_e32 v58, v61, v61
	v_max_f32_e32 v64, v56, v58
	v_xor_b32_e32 v56, 16, v57
	v_cmp_lt_i32_e64 s[38:39], v56, v60
	s_nop 1
	v_cndmask_b32_e64 v56, v57, v56, s[38:39]
	v_lshlrev_b32_e32 v89, 2, v56
	ds_bpermute_b32 v65, v89, v64
	global_load_dwordx4 v[58:61], v[54:55], off
	s_nop 0
	global_load_dwordx4 v[54:57], v[54:55], off offset:16
	s_waitcnt lgkmcnt(0)
	v_max_f32_e32 v62, v65, v65
	v_max_f32_e32 v86, v64, v62
	v_sub_f32_e32 v52, v52, v86
	v_mul_f32_e32 v52, 0x3fb8aa3b, v52
	v_exp_f32_e32 v80, v52
	v_sub_f32_e32 v52, v53, v86
	v_mul_f32_e32 v52, 0x3fb8aa3b, v52
	v_exp_f32_e32 v81, v52
	global_load_dwordx4 v[62:65], v[50:51], off
	s_nop 0
	global_load_dwordx4 v[50:53], v[50:51], off offset:16
	v_sub_f32_e32 v78, v78, v86
	v_mul_f32_e32 v78, 0x3fb8aa3b, v78
	v_sub_f32_e32 v79, v79, v86
	v_exp_f32_e32 v78, v78
	v_mul_f32_e32 v79, 0x3fb8aa3b, v79
	v_sub_f32_e32 v76, v76, v86
	v_exp_f32_e32 v79, v79
	v_mul_f32_e32 v76, 0x3fb8aa3b, v76
	v_sub_f32_e32 v77, v77, v86
	v_cndmask_b32_e64 v80, 0, v80, s[28:29]
	v_exp_f32_e32 v76, v76
	v_mul_f32_e32 v77, 0x3fb8aa3b, v77
	v_sub_f32_e32 v74, v74, v86
	v_add_f32_e32 v91, 0, v80
	v_cndmask_b32_e64 v81, 0, v81, s[30:31]
	v_exp_f32_e32 v77, v77
	v_mul_f32_e32 v74, 0x3fb8aa3b, v74
	v_sub_f32_e32 v75, v75, v86
	v_add_f32_e32 v91, v91, v81
	;; [unrolled: 5-line block ×10, first 2 shown]
	v_cndmask_b32_e64 v70, 0, v70, s[10:11]
	v_exp_f32_e32 v66, v66
	v_mul_f32_e32 v67, 0x3fb8aa3b, v67
	v_add_f32_e32 v91, v91, v70
	v_cndmask_b32_e64 v71, 0, v71, s[12:13]
	v_exp_f32_e32 v67, v67
	v_add_f32_e32 v91, v91, v71
	v_cndmask_b32_e64 v68, 0, v68, s[6:7]
	v_add_f32_e32 v91, v91, v68
	v_cndmask_b32_e64 v69, 0, v69, s[8:9]
	v_add_f32_e32 v91, v91, v69
	v_cndmask_b32_e32 v66, 0, v66, vcc
	v_add_f32_e32 v91, v91, v66
	v_cndmask_b32_e64 v67, 0, v67, s[4:5]
	v_add_f32_e32 v91, v91, v67
	ds_bpermute_b32 v87, v87, v91
	s_load_dword s9, s[0:1], 0x98
	v_cmp_gt_u32_e64 s[4:5], 16, v83
	s_waitcnt lgkmcnt(0)
	s_barrier
	v_add_f32_e32 v87, v91, v87
	ds_bpermute_b32 v89, v89, v87
	s_waitcnt lgkmcnt(0)
	s_and_saveexec_b64 s[6:7], s[4:5]
	s_cbranch_execz .LBB640_15
; %bb.14:
	v_add_f32_e32 v83, v87, v89
	v_lshlrev_b32_e32 v87, 2, v90
	ds_write2st64_b32 v87, v86, v83 offset1:1
.LBB640_15:
	s_or_b64 exec, exec, s[6:7]
	v_lshlrev_b32_e32 v89, 2, v84
	s_load_dword s8, s[0:1], 0x94
	s_waitcnt lgkmcnt(0)
	s_barrier
	ds_read2_b32 v[86:87], v89 offset1:16
	ds_read2_b32 v[90:91], v89 offset0:32 offset1:48
	ds_read2_b32 v[92:93], v89 offset0:64 offset1:80
	;; [unrolled: 1-line block ×3, first 2 shown]
	s_movk_i32 s10, 0x7fff
	s_waitcnt lgkmcnt(3)
	v_max3_f32 v83, v86, s33, v87
	s_waitcnt lgkmcnt(2)
	v_max3_f32 v83, v83, v90, v91
	v_sub_f32_e32 v86, v86, v83
	v_mul_f32_e32 v86, 0x3fb8aa3b, v86
	v_exp_f32_e32 v1, v86
	v_sub_f32_e32 v86, v87, v83
	v_mul_f32_e32 v86, 0x3fb8aa3b, v86
	v_exp_f32_e32 v87, v86
	;; [unrolled: 3-line block ×4, first 2 shown]
	s_waitcnt lgkmcnt(1)
	v_fma_f32 v86, v1, v92, 0
	v_fmac_f32_e32 v86, v87, v93
	s_waitcnt lgkmcnt(0)
	v_fmac_f32_e32 v86, v90, v94
	v_fmac_f32_e32 v86, v89, v95
	v_add_f32_e32 v91, 0x358637bd, v86
	v_div_scale_f32 v92, s[6:7], v91, v91, 1.0
	v_rcp_f32_e32 v93, v92
	s_mov_b32 s11, 0x7060302
	s_mul_i32 s9, s9, 9
	v_fma_f32 v94, -v92, v93, 1.0
	v_fmac_f32_e32 v93, v94, v93
	v_div_scale_f32 v94, vcc, 1.0, v91, 1.0
	v_mul_f32_e32 v95, v94, v93
	v_fma_f32 v88, -v92, v95, v94
	v_fmac_f32_e32 v95, v88, v93
	v_fma_f32 v88, -v92, v95, v94
	v_div_fmas_f32 v88, v88, v93, v95
	v_cmp_eq_u32_e32 vcc, 1, v85
	v_div_fixup_f32 v88, v88, v91, 1.0
	s_barrier
	v_cndmask_b32_e32 v1, v1, v87, vcc
	v_cmp_eq_u32_e32 vcc, 2, v85
	s_nop 1
	v_cndmask_b32_e32 v1, v1, v90, vcc
	v_cmp_eq_u32_e32 vcc, 3, v85
	s_nop 1
	v_cndmask_b32_e32 v1, v1, v89, vcc
	v_mul_f32_e32 v90, v1, v88
	v_pk_mul_f32 v[80:81], v[90:91], v[80:81] op_sel_hi:[0,1]
	v_bfe_u32 v1, v81, 16, 1
	v_bfe_u32 v87, v80, 16, 1
	v_pk_mul_f32 v[78:79], v[90:91], v[78:79] op_sel_hi:[0,1]
	v_add3_u32 v80, v80, v87, s10
	v_add3_u32 v1, v81, v1, s10
	v_perm_b32 v80, v1, v80, s11
	v_bfe_u32 v1, v79, 16, 1
	v_bfe_u32 v81, v78, 16, 1
	v_add3_u32 v78, v78, v81, s10
	v_add3_u32 v1, v79, v1, s10
	v_bfe_u32 v87, v0, 4, 2
	v_perm_b32 v81, v1, v78, s11
	v_lshlrev_b32_e32 v1, 3, v87
	v_lshlrev_b32_e32 v79, 5, v84
	;; [unrolled: 1-line block ×3, first 2 shown]
	v_pk_mul_f32 v[76:77], v[90:91], v[76:77] op_sel_hi:[0,1]
	v_or3_b32 v78, v78, v79, v1
	v_bfe_u32 v1, v77, 16, 1
	v_bfe_u32 v85, v76, 16, 1
	v_pk_mul_f32 v[74:75], v[90:91], v[74:75] op_sel_hi:[0,1]
	v_add3_u32 v76, v76, v85, s10
	v_add3_u32 v1, v77, v1, s10
	v_perm_b32 v76, v1, v76, s11
	v_bfe_u32 v1, v75, 16, 1
	v_bfe_u32 v77, v74, 16, 1
	v_add3_u32 v74, v74, v77, s10
	v_add3_u32 v1, v75, v1, s10
	v_pk_mul_f32 v[72:73], v[90:91], v[72:73] op_sel_hi:[0,1]
	v_perm_b32 v77, v1, v74, s11
	v_bfe_u32 v1, v73, 16, 1
	v_bfe_u32 v74, v72, 16, 1
	v_pk_mul_f32 v[70:71], v[90:91], v[70:71] op_sel_hi:[0,1]
	v_add3_u32 v72, v72, v74, s10
	v_add3_u32 v1, v73, v1, s10
	v_perm_b32 v72, v1, v72, s11
	v_bfe_u32 v1, v71, 16, 1
	v_bfe_u32 v73, v70, 16, 1
	v_add3_u32 v70, v70, v73, s10
	v_add3_u32 v1, v71, v1, s10
	v_pk_mul_f32 v[68:69], v[90:91], v[68:69] op_sel_hi:[0,1]
	v_perm_b32 v73, v1, v70, s11
	v_bfe_u32 v1, v69, 16, 1
	v_bfe_u32 v70, v68, 16, 1
	v_pk_mul_f32 v[66:67], v[90:91], v[66:67] op_sel_hi:[0,1]
	v_add3_u32 v68, v68, v70, s10
	v_add3_u32 v1, v69, v1, s10
	v_perm_b32 v68, v1, v68, s11
	v_bfe_u32 v1, v67, 16, 1
	v_bfe_u32 v69, v66, 16, 1
	v_add3_u32 v66, v66, v69, s10
	v_add3_u32 v1, v67, v1, s10
	v_perm_b32 v69, v1, v66, s11
	v_cmp_gt_u32_e32 vcc, 9, v0
	ds_write2st64_b64 v78, v[80:81], v[76:77] offset1:1
	ds_write2st64_b64 v78, v[72:73], v[68:69] offset0:2 offset1:3
	s_and_saveexec_b64 s[6:7], vcc
	s_cbranch_execz .LBB640_17
; %bb.16:
	s_mov_b32 s41, 0
	v_mov_b32_e32 v85, 0
	v_lshl_add_u64 v[66:67], s[40:41], 0, v[84:85]
	v_mov_b32_e32 v1, s9
	v_mad_u64_u32 v[66:67], s[16:17], s2, v1, v[66:67]
	s_mul_i32 s3, s3, s9
	v_mov_b32_e32 v68, s26
	v_mov_b32_e32 v69, v85
	s_load_dwordx4 s[12:15], s[0:1], 0x58
	v_add_u32_e32 v1, s3, v67
	v_mad_u64_u32 v[66:67], s[16:17], v66, s8, v[68:69]
	v_mov_b32_e32 v68, v67
	v_mad_u64_u32 v[68:69], s[16:17], v1, s8, v[68:69]
	v_mov_b32_e32 v67, v68
	v_lshlrev_b64 v[66:67], 2, v[66:67]
	s_waitcnt lgkmcnt(0)
	v_lshl_add_u64 v[68:69], s[14:15], 0, v[66:67]
	v_lshl_add_u64 v[66:67], s[12:13], 0, v[66:67]
	global_store_dword v[68:69], v83, off
	global_store_dword v[66:67], v86, off
.LBB640_17:
	s_or_b64 exec, exec, s[6:7]
	v_lshl_or_b32 v1, v87, 9, v79
	s_waitcnt lgkmcnt(0)
	s_barrier
	ds_read_b128 v[70:73], v1
	ds_read_b128 v[66:69], v1 offset:16
	s_waitcnt vmcnt(15) lgkmcnt(1)
	v_mfma_f32_16x16x16_bf16 v[74:77], v[30:31], v[70:71], 0
	s_mov_b32 s3, 0
	v_cmp_gt_u32_e32 vcc, 64, v0
	v_mfma_f32_16x16x16_bf16 v[30:33], v[32:33], v[72:73], v[74:77]
	s_waitcnt vmcnt(14) lgkmcnt(0)
	v_mfma_f32_16x16x16_bf16 v[30:33], v[26:27], v[66:67], v[30:33]
	v_mfma_f32_16x16x16_bf16 v[26:29], v[28:29], v[68:69], v[30:33]
	s_nop 5
	ds_read_b128 v[30:33], v1 offset:2048
	ds_read_b128 v[74:77], v1 offset:2064
	s_waitcnt vmcnt(13) lgkmcnt(1)
	v_mfma_f32_16x16x16_bf16 v[26:29], v[22:23], v[30:31], v[26:29]
	v_mfma_f32_16x16x16_bf16 v[22:25], v[24:25], v[32:33], v[26:29]
	s_waitcnt vmcnt(12) lgkmcnt(0)
	v_mfma_f32_16x16x16_bf16 v[22:25], v[18:19], v[74:75], v[22:25]
	v_mfma_f32_16x16x16_bf16 v[18:21], v[20:21], v[76:77], v[22:25]
	s_nop 5
	ds_read_b128 v[22:25], v1 offset:4096
	ds_read_b128 v[26:29], v1 offset:4112
	s_waitcnt vmcnt(11) lgkmcnt(1)
	v_mfma_f32_16x16x16_bf16 v[18:21], v[14:15], v[22:23], v[18:21]
	v_mfma_f32_16x16x16_bf16 v[14:17], v[16:17], v[24:25], v[18:21]
	s_waitcnt vmcnt(10) lgkmcnt(0)
	v_mfma_f32_16x16x16_bf16 v[14:17], v[10:11], v[26:27], v[14:17]
	v_mfma_f32_16x16x16_bf16 v[10:13], v[12:13], v[28:29], v[14:17]
	s_nop 5
	ds_read_b128 v[14:17], v1 offset:6144
	ds_read_b128 v[18:21], v1 offset:6160
	s_waitcnt lgkmcnt(0)
	s_barrier
	s_waitcnt vmcnt(9)
	v_mfma_f32_16x16x16_bf16 v[10:13], v[6:7], v[14:15], v[10:13]
	v_mfma_f32_16x16x16_bf16 v[6:9], v[8:9], v[16:17], v[10:13]
	s_waitcnt vmcnt(8)
	v_mfma_f32_16x16x16_bf16 v[6:9], v[2:3], v[18:19], v[6:9]
	v_mfma_f32_16x16x16_bf16 v[2:5], v[4:5], v[20:21], v[6:9]
	;; [unrolled: 3-line block ×3, first 2 shown]
	s_nop 3
	v_bfe_u32 v1, v3, 16, 1
	v_bfe_u32 v10, v2, 16, 1
	v_add3_u32 v2, v2, v10, s10
	s_waitcnt vmcnt(6)
	v_mfma_f32_16x16x16_bf16 v[6:9], v[38:39], v[66:67], v[6:9]
	v_add3_u32 v1, v3, v1, s10
	v_perm_b32 v10, v1, v2, s11
	v_bfe_u32 v1, v5, 16, 1
	v_mfma_f32_16x16x16_bf16 v[6:9], v[40:41], v[68:69], v[6:9]
	v_bfe_u32 v2, v4, 16, 1
	v_add3_u32 v2, v4, v2, s10
	v_add3_u32 v1, v5, v1, s10
	s_waitcnt vmcnt(5)
	v_mfma_f32_16x16x16_bf16 v[6:9], v[42:43], v[30:31], v[6:9]
	v_perm_b32 v11, v1, v2, s11
	v_mfma_f32_16x16x16_bf16 v[6:9], v[44:45], v[32:33], v[6:9]
	s_waitcnt vmcnt(4)
	v_mfma_f32_16x16x16_bf16 v[6:9], v[34:35], v[74:75], v[6:9]
	v_mfma_f32_16x16x16_bf16 v[6:9], v[36:37], v[76:77], v[6:9]
	s_waitcnt vmcnt(3)
	v_mfma_f32_16x16x16_bf16 v[6:9], v[58:59], v[22:23], v[6:9]
	;; [unrolled: 3-line block ×5, first 2 shown]
	v_mfma_f32_16x16x16_bf16 v[2:5], v[52:53], v[20:21], v[6:9]
	s_nop 6
	v_bfe_u32 v1, v3, 16, 1
	v_bfe_u32 v6, v2, 16, 1
	v_add3_u32 v2, v2, v6, s10
	v_add3_u32 v1, v3, v1, s10
	v_perm_b32 v2, v1, v2, s11
	v_bfe_u32 v1, v5, 16, 1
	v_bfe_u32 v3, v4, 16, 1
	v_add3_u32 v3, v4, v3, s10
	v_add3_u32 v1, v5, v1, s10
	v_perm_b32 v3, v1, v3, s11
	ds_write2st64_b64 v78, v[10:11], v[2:3] offset1:1
	s_waitcnt lgkmcnt(0)
	s_barrier
	s_and_saveexec_b64 s[6:7], vcc
	s_cbranch_execz .LBB640_20
; %bb.18:
	s_load_dwordx2 s[6:7], s[0:1], 0x68
	s_lshl_b32 s0, s8, 7
	s_mul_i32 s1, s9, s2
	v_lshlrev_b32_e32 v3, 6, v84
	s_mul_hi_u32 s9, s1, s0
	s_mul_i32 s8, s1, s0
	v_lshlrev_b32_e32 v2, 4, v0
	v_lshl_or_b32 v0, v0, 10, v3
	s_lshl_b64 s[8:9], s[8:9], 1
	v_lshlrev_b32_e32 v1, 5, v87
	v_and_b32_e32 v2, 16, v2
	v_and_b32_e32 v0, 0x1a00, v0
	s_waitcnt lgkmcnt(0)
	s_add_u32 s1, s6, s8
	v_or3_b32 v2, v0, v1, v2
	s_addc_u32 s6, s7, s9
	s_lshl_b32 s2, s26, 7
	s_lshl_b64 s[2:3], s[2:3], 1
	ds_read_b128 v[4:7], v2 offset:128
	ds_read_b128 v[8:11], v2
	s_add_u32 s2, s1, s2
	s_addc_u32 s3, s6, s3
	v_mov_b32_e32 v83, 0
	v_add_u32_e32 v3, s40, v87
	v_lshl_add_u64 v[0:1], s[2:3], 0, v[82:83]
	v_mad_u64_u32 v[12:13], s[2:3], v3, s0, 0
	v_lshl_add_u64 v[12:13], v[12:13], 1, v[0:1]
	v_add_u32_e32 v3, 4, v3
	s_waitcnt lgkmcnt(0)
	global_store_dwordx4 v[12:13], v[8:11], off
	s_nop 1
	v_mad_u64_u32 v[8:9], s[2:3], v3, s0, 0
	v_lshl_add_u64 v[8:9], v[8:9], 1, v[0:1]
	global_store_dwordx4 v[8:9], v[4:7], off
	s_and_b64 exec, exec, s[4:5]
	s_cbranch_execz .LBB640_20
; %bb.19:
	ds_read_b128 v[2:5], v2 offset:256
	v_add3_u32 v6, s40, v87, 8
	v_mad_u64_u32 v[6:7], s[0:1], v6, s0, 0
	v_lshl_add_u64 v[0:1], v[6:7], 1, v[0:1]
	s_waitcnt lgkmcnt(0)
	global_store_dwordx4 v[0:1], v[2:5], off
.LBB640_20:
	s_endpgm
	.section	.rodata,"a",@progbits
	.p2align	6, 0x0
	.amdhsa_kernel _Z39paged_attention_ll4mi_QKV_mfma16_kernelI14__hip_bfloat16S0_LN4vllm18Fp8KVCacheDataTypeE0ES0_Li16ELi128ELi256ELb1ELi9EEvPKT_PKT0_S8_ifPKiSA_SA_iPKfiiiPfSD_PS3_PT2_iSC_SC_
		.amdhsa_group_segment_fixed_size 8192
		.amdhsa_private_segment_fixed_size 0
		.amdhsa_kernarg_size 400
		.amdhsa_user_sgpr_count 2
		.amdhsa_user_sgpr_dispatch_ptr 0
		.amdhsa_user_sgpr_queue_ptr 0
		.amdhsa_user_sgpr_kernarg_segment_ptr 1
		.amdhsa_user_sgpr_dispatch_id 0
		.amdhsa_user_sgpr_kernarg_preload_length 0
		.amdhsa_user_sgpr_kernarg_preload_offset 0
		.amdhsa_user_sgpr_private_segment_size 0
		.amdhsa_uses_dynamic_stack 0
		.amdhsa_enable_private_segment 0
		.amdhsa_system_sgpr_workgroup_id_x 1
		.amdhsa_system_sgpr_workgroup_id_y 1
		.amdhsa_system_sgpr_workgroup_id_z 1
		.amdhsa_system_sgpr_workgroup_info 0
		.amdhsa_system_vgpr_workitem_id 0
		.amdhsa_next_free_vgpr 96
		.amdhsa_next_free_sgpr 42
		.amdhsa_accum_offset 96
		.amdhsa_reserve_vcc 1
		.amdhsa_float_round_mode_32 0
		.amdhsa_float_round_mode_16_64 0
		.amdhsa_float_denorm_mode_32 3
		.amdhsa_float_denorm_mode_16_64 3
		.amdhsa_dx10_clamp 1
		.amdhsa_ieee_mode 1
		.amdhsa_fp16_overflow 0
		.amdhsa_tg_split 0
		.amdhsa_exception_fp_ieee_invalid_op 0
		.amdhsa_exception_fp_denorm_src 0
		.amdhsa_exception_fp_ieee_div_zero 0
		.amdhsa_exception_fp_ieee_overflow 0
		.amdhsa_exception_fp_ieee_underflow 0
		.amdhsa_exception_fp_ieee_inexact 0
		.amdhsa_exception_int_div_zero 0
	.end_amdhsa_kernel
	.section	.text._Z39paged_attention_ll4mi_QKV_mfma16_kernelI14__hip_bfloat16S0_LN4vllm18Fp8KVCacheDataTypeE0ES0_Li16ELi128ELi256ELb1ELi9EEvPKT_PKT0_S8_ifPKiSA_SA_iPKfiiiPfSD_PS3_PT2_iSC_SC_,"axG",@progbits,_Z39paged_attention_ll4mi_QKV_mfma16_kernelI14__hip_bfloat16S0_LN4vllm18Fp8KVCacheDataTypeE0ES0_Li16ELi128ELi256ELb1ELi9EEvPKT_PKT0_S8_ifPKiSA_SA_iPKfiiiPfSD_PS3_PT2_iSC_SC_,comdat
.Lfunc_end640:
	.size	_Z39paged_attention_ll4mi_QKV_mfma16_kernelI14__hip_bfloat16S0_LN4vllm18Fp8KVCacheDataTypeE0ES0_Li16ELi128ELi256ELb1ELi9EEvPKT_PKT0_S8_ifPKiSA_SA_iPKfiiiPfSD_PS3_PT2_iSC_SC_, .Lfunc_end640-_Z39paged_attention_ll4mi_QKV_mfma16_kernelI14__hip_bfloat16S0_LN4vllm18Fp8KVCacheDataTypeE0ES0_Li16ELi128ELi256ELb1ELi9EEvPKT_PKT0_S8_ifPKiSA_SA_iPKfiiiPfSD_PS3_PT2_iSC_SC_
                                        ; -- End function
	.section	.AMDGPU.csdata,"",@progbits
; Kernel info:
; codeLenInByte = 5004
; NumSgprs: 48
; NumVgprs: 96
; NumAgprs: 0
; TotalNumVgprs: 96
; ScratchSize: 0
; MemoryBound: 0
; FloatMode: 240
; IeeeMode: 1
; LDSByteSize: 8192 bytes/workgroup (compile time only)
; SGPRBlocks: 5
; VGPRBlocks: 11
; NumSGPRsForWavesPerEU: 48
; NumVGPRsForWavesPerEU: 96
; AccumOffset: 96
; Occupancy: 5
; WaveLimiterHint : 1
; COMPUTE_PGM_RSRC2:SCRATCH_EN: 0
; COMPUTE_PGM_RSRC2:USER_SGPR: 2
; COMPUTE_PGM_RSRC2:TRAP_HANDLER: 0
; COMPUTE_PGM_RSRC2:TGID_X_EN: 1
; COMPUTE_PGM_RSRC2:TGID_Y_EN: 1
; COMPUTE_PGM_RSRC2:TGID_Z_EN: 1
; COMPUTE_PGM_RSRC2:TIDIG_COMP_CNT: 0
; COMPUTE_PGM_RSRC3_GFX90A:ACCUM_OFFSET: 23
; COMPUTE_PGM_RSRC3_GFX90A:TG_SPLIT: 0
	.section	.text._Z39paged_attention_ll4mi_QKV_mfma16_kernelI14__hip_bfloat16S0_LN4vllm18Fp8KVCacheDataTypeE0ES0_Li16ELi128ELi256ELb1ELi10EEvPKT_PKT0_S8_ifPKiSA_SA_iPKfiiiPfSD_PS3_PT2_iSC_SC_,"axG",@progbits,_Z39paged_attention_ll4mi_QKV_mfma16_kernelI14__hip_bfloat16S0_LN4vllm18Fp8KVCacheDataTypeE0ES0_Li16ELi128ELi256ELb1ELi10EEvPKT_PKT0_S8_ifPKiSA_SA_iPKfiiiPfSD_PS3_PT2_iSC_SC_,comdat
	.protected	_Z39paged_attention_ll4mi_QKV_mfma16_kernelI14__hip_bfloat16S0_LN4vllm18Fp8KVCacheDataTypeE0ES0_Li16ELi128ELi256ELb1ELi10EEvPKT_PKT0_S8_ifPKiSA_SA_iPKfiiiPfSD_PS3_PT2_iSC_SC_ ; -- Begin function _Z39paged_attention_ll4mi_QKV_mfma16_kernelI14__hip_bfloat16S0_LN4vllm18Fp8KVCacheDataTypeE0ES0_Li16ELi128ELi256ELb1ELi10EEvPKT_PKT0_S8_ifPKiSA_SA_iPKfiiiPfSD_PS3_PT2_iSC_SC_
	.globl	_Z39paged_attention_ll4mi_QKV_mfma16_kernelI14__hip_bfloat16S0_LN4vllm18Fp8KVCacheDataTypeE0ES0_Li16ELi128ELi256ELb1ELi10EEvPKT_PKT0_S8_ifPKiSA_SA_iPKfiiiPfSD_PS3_PT2_iSC_SC_
	.p2align	8
	.type	_Z39paged_attention_ll4mi_QKV_mfma16_kernelI14__hip_bfloat16S0_LN4vllm18Fp8KVCacheDataTypeE0ES0_Li16ELi128ELi256ELb1ELi10EEvPKT_PKT0_S8_ifPKiSA_SA_iPKfiiiPfSD_PS3_PT2_iSC_SC_,@function
_Z39paged_attention_ll4mi_QKV_mfma16_kernelI14__hip_bfloat16S0_LN4vllm18Fp8KVCacheDataTypeE0ES0_Li16ELi128ELi256ELb1ELi10EEvPKT_PKT0_S8_ifPKiSA_SA_iPKfiiiPfSD_PS3_PT2_iSC_SC_: ; @_Z39paged_attention_ll4mi_QKV_mfma16_kernelI14__hip_bfloat16S0_LN4vllm18Fp8KVCacheDataTypeE0ES0_Li16ELi128ELi256ELb1ELi10EEvPKT_PKT0_S8_ifPKiSA_SA_iPKfiiiPfSD_PS3_PT2_iSC_SC_
; %bb.0:
	s_load_dwordx2 s[8:9], s[0:1], 0x30
	s_mov_b32 s26, s3
	s_mov_b64 s[6:7], 0
	s_waitcnt lgkmcnt(0)
	s_cmp_lg_u64 s[8:9], 0
	s_cselect_b64 s[10:11], -1, 0
	s_and_b64 vcc, exec, s[10:11]
	s_cbranch_vccz .LBB641_7
; %bb.1:
	s_add_i32 s12, s2, 1
	s_mov_b32 s13, 0
	s_lshl_b64 s[14:15], s[12:13], 2
	s_add_u32 s14, s8, s14
	s_mov_b32 s3, s13
	s_addc_u32 s15, s9, s15
	s_lshl_b64 s[12:13], s[2:3], 2
	s_add_u32 s12, s8, s12
	s_addc_u32 s13, s9, s13
	s_load_dword s5, s[14:15], 0x0
	s_load_dword s16, s[12:13], 0x0
	s_waitcnt lgkmcnt(0)
	s_sub_i32 s5, s5, s16
	s_cmp_eq_u32 s5, 1
	s_cselect_b64 s[12:13], -1, 0
	s_andn2_b64 vcc, exec, s[6:7]
	s_cbranch_vccnz .LBB641_3
.LBB641_2:
	s_mov_b32 s3, 0
	s_mov_b64 s[12:13], -1
.LBB641_3:
	s_andn2_b64 vcc, exec, s[12:13]
	s_cbranch_vccnz .LBB641_20
; %bb.4:
	s_load_dwordx2 s[6:7], s[0:1], 0x28
	s_lshl_b64 s[12:13], s[2:3], 2
	s_waitcnt lgkmcnt(0)
	s_add_u32 s6, s6, s12
	s_addc_u32 s7, s7, s13
	s_load_dword s27, s[6:7], 0x0
	s_lshl_b32 s18, s26, 8
	s_waitcnt lgkmcnt(0)
	s_cmp_ge_i32 s18, s27
	s_cbranch_scc1 .LBB641_20
; %bb.5:
	s_load_dwordx2 s[6:7], s[0:1], 0x20
	s_load_dword s5, s[0:1], 0x38
	s_add_i32 s14, s27, 15
	s_ashr_i32 s15, s14, 31
	v_and_b32_e32 v1, 0xcf, v0
	s_lshr_b32 s15, s15, 28
	v_add_u32_e32 v1, s18, v1
	s_add_i32 s14, s14, s15
	v_ashrrev_i32_e32 v2, 31, v1
	s_ashr_i32 s19, s14, 4
	v_lshrrev_b32_e32 v4, 28, v2
	s_add_i32 s19, s19, -1
	s_waitcnt lgkmcnt(0)
	s_mul_i32 s14, s2, s5
	s_mov_b32 s15, 0
	v_add_u32_e32 v2, v1, v4
	s_lshl_b64 s[14:15], s[14:15], 2
	v_ashrrev_i32_e32 v2, 4, v2
	v_mov_b32_e32 v5, s19
	v_cmp_gt_i32_e32 vcc, s27, v1
	s_add_u32 s6, s6, s14
	s_addc_u32 s7, s7, s15
	v_cndmask_b32_e32 v2, v5, v2, vcc
	v_ashrrev_i32_e32 v3, 31, v2
	v_lshl_add_u64 v[6:7], v[2:3], 2, s[6:7]
	v_or_b32_e32 v2, 16, v1
	v_add_u32_e32 v3, v2, v4
	v_ashrrev_i32_e32 v3, 4, v3
	v_cmp_gt_i32_e32 vcc, s27, v2
	s_load_dwordx2 s[14:15], s[0:1], 0x8
	s_nop 0
	v_cndmask_b32_e32 v2, v5, v3, vcc
	v_ashrrev_i32_e32 v3, 31, v2
	v_lshl_add_u64 v[8:9], v[2:3], 2, s[6:7]
	v_or_b32_e32 v2, 32, v1
	v_add_u32_e32 v3, v2, v4
	v_ashrrev_i32_e32 v3, 4, v3
	v_cmp_gt_i32_e32 vcc, s27, v2
	v_or_b32_e32 v1, 48, v1
	s_nop 0
	v_cndmask_b32_e32 v2, v5, v3, vcc
	v_ashrrev_i32_e32 v3, 31, v2
	v_lshl_add_u64 v[10:11], v[2:3], 2, s[6:7]
	v_add_u32_e32 v2, v1, v4
	v_ashrrev_i32_e32 v2, 4, v2
	v_cmp_gt_i32_e32 vcc, s27, v1
	s_nop 1
	v_cndmask_b32_e32 v2, v5, v2, vcc
	v_ashrrev_i32_e32 v3, 31, v2
	v_lshl_add_u64 v[12:13], v[2:3], 2, s[6:7]
	global_load_dword v5, v[6:7], off
	global_load_dword v4, v[8:9], off
	;; [unrolled: 1-line block ×4, first 2 shown]
	s_andn2_b64 vcc, exec, s[10:11]
	s_cbranch_vccnz .LBB641_8
; %bb.6:
	s_add_u32 s8, s8, s12
	s_addc_u32 s9, s9, s13
	s_load_dword s5, s[8:9], 0x0
	s_branch .LBB641_9
.LBB641_7:
	s_mov_b64 s[12:13], 0
	s_branch .LBB641_2
.LBB641_8:
	s_mov_b32 s5, s2
.LBB641_9:
	s_load_dwordx2 s[12:13], s[0:1], 0x10
	s_load_dwordx4 s[8:11], s[0:1], 0x48
	v_lshrrev_b32_e32 v85, 6, v0
	v_bfe_u32 v88, v0, 4, 2
	v_and_b32_e32 v84, 15, v0
	v_lshl_or_b32 v1, v85, 2, v88
	v_lshlrev_b32_e32 v6, 3, v84
	s_mul_i32 s40, s4, 10
	v_cmp_gt_u32_e32 vcc, 10, v1
	v_lshlrev_b32_e32 v82, 1, v6
	s_and_saveexec_b64 s[16:17], vcc
	s_cbranch_execz .LBB641_11
; %bb.10:
	s_load_dwordx2 s[20:21], s[0:1], 0x0
	s_waitcnt lgkmcnt(0)
	s_ashr_i32 s11, s8, 31
	s_mul_hi_u32 s22, s5, s8
	s_mul_i32 s11, s5, s11
	s_add_i32 s23, s22, s11
	s_mul_i32 s22, s5, s8
	s_lshl_b64 s[22:23], s[22:23], 1
	s_add_u32 s20, s20, s22
	v_add_lshl_u32 v6, v1, s40, 7
	s_addc_u32 s21, s21, s23
	v_ashrrev_i32_e32 v7, 31, v6
	v_lshl_add_u64 v[6:7], v[6:7], 1, s[20:21]
	v_mov_b32_e32 v83, 0
	v_lshl_add_u64 v[6:7], v[6:7], 0, v[82:83]
	global_load_dwordx4 v[6:9], v[6:7], off
	v_and_b32_e32 v10, 3, v0
	v_lshlrev_b32_e32 v11, 9, v84
	v_lshlrev_b32_e32 v1, 5, v1
	v_lshlrev_b32_e32 v10, 9, v10
	v_and_b32_e32 v11, 0x1800, v11
	v_or3_b32 v1, v11, v10, v1
	s_waitcnt vmcnt(0)
	ds_write_b128 v1, v[6:9]
.LBB641_11:
	s_or_b64 exec, exec, s[16:17]
	s_waitcnt lgkmcnt(0)
	s_mul_i32 s4, s4, s10
	s_mov_b32 s5, 0
	s_lshl_b64 s[4:5], s[4:5], 1
	s_add_u32 s10, s14, s4
	v_lshlrev_b32_e32 v1, 4, v0
	s_addc_u32 s11, s15, s5
	v_and_b32_e32 v86, 0xf0, v1
	v_mov_b32_e32 v87, 0
	v_lshl_add_u64 v[6:7], s[10:11], 0, v[86:87]
	s_waitcnt vmcnt(3)
	v_mad_i64_i32 v[8:9], s[10:11], v5, s9, 0
	s_waitcnt vmcnt(2)
	v_mad_i64_i32 v[4:5], s[10:11], v4, s9, 0
	v_lshl_add_u64 v[8:9], v[8:9], 1, v[6:7]
	v_and_b32_e32 v86, 0x300, v1
	v_lshl_add_u64 v[4:5], v[4:5], 1, v[6:7]
	v_lshl_add_u64 v[8:9], v[8:9], 0, v[86:87]
	;; [unrolled: 1-line block ×3, first 2 shown]
	s_barrier
	global_load_dwordx4 v[78:81], v[8:9], off
	global_load_dwordx4 v[74:77], v[8:9], off offset:1024
	global_load_dwordx4 v[70:73], v[8:9], off offset:2048
	;; [unrolled: 1-line block ×3, first 2 shown]
	global_load_dwordx4 v[66:69], v[4:5], off
	global_load_dwordx4 v[62:65], v[4:5], off offset:1024
	global_load_dwordx4 v[58:61], v[4:5], off offset:2048
	;; [unrolled: 1-line block ×3, first 2 shown]
	s_waitcnt vmcnt(9)
	v_mad_i64_i32 v[4:5], s[10:11], v3, s9, 0
	s_waitcnt vmcnt(8)
	v_mad_i64_i32 v[2:3], s[10:11], v2, s9, 0
	v_lshl_add_u64 v[4:5], v[4:5], 1, v[6:7]
	v_lshl_add_u64 v[2:3], v[2:3], 1, v[6:7]
	;; [unrolled: 1-line block ×4, first 2 shown]
	global_load_dwordx4 v[30:33], v[4:5], off
	global_load_dwordx4 v[26:29], v[4:5], off offset:1024
	global_load_dwordx4 v[22:25], v[4:5], off offset:2048
	;; [unrolled: 1-line block ×3, first 2 shown]
	global_load_dwordx4 v[6:9], v[34:35], off
	s_nop 0
	global_load_dwordx4 v[2:5], v[34:35], off offset:1024
	global_load_dwordx4 v[38:41], v[34:35], off offset:2048
	s_nop 0
	global_load_dwordx4 v[34:37], v[34:35], off offset:3072
	v_add_u32_e32 v42, -10, v84
	v_cmp_gt_u32_e32 vcc, 10, v84
	v_and_b32_e32 v83, 63, v0
	v_mov_b32_e32 v89, 0
	v_cndmask_b32_e32 v42, v42, v84, vcc
	v_lshlrev_b32_e32 v42, 5, v42
	v_lshl_add_u32 v42, v88, 9, v42
	ds_read_b128 v[54:57], v42
	ds_read_b128 v[50:53], v42 offset:2048
	ds_read_b128 v[46:49], v42 offset:4096
	ds_read_b128 v[42:45], v42 offset:6144
	s_and_saveexec_b64 s[10:11], vcc
	s_cbranch_execz .LBB641_13
; %bb.12:
	s_load_dwordx2 s[14:15], s[0:1], 0x40
	v_add_u32_e32 v90, s40, v84
	v_ashrrev_i32_e32 v91, 31, v90
	s_waitcnt lgkmcnt(0)
	v_lshl_add_u64 v[90:91], v[90:91], 2, s[14:15]
	global_load_dword v89, v[90:91], off
.LBB641_13:
	s_or_b64 exec, exec, s[10:11]
	s_waitcnt vmcnt(15) lgkmcnt(3)
	v_mfma_f32_16x16x16_bf16 v[90:93], v[78:79], v[54:55], 0
	s_add_u32 s4, s12, s4
	s_addc_u32 s5, s13, s5
	s_mov_b32 s33, 0xff7fffff
	v_mfma_f32_16x16x16_bf16 v[78:81], v[80:81], v[56:57], v[90:93]
	s_waitcnt vmcnt(14) lgkmcnt(2)
	v_mfma_f32_16x16x16_bf16 v[78:81], v[74:75], v[50:51], v[78:81]
	s_nop 0
	v_lshl_or_b32 v90, v85, 4, v84
	v_lshlrev_b32_e32 v86, 5, v90
	v_mfma_f32_16x16x16_bf16 v[74:77], v[76:77], v[52:53], v[78:81]
	s_waitcnt vmcnt(13) lgkmcnt(1)
	v_mfma_f32_16x16x16_bf16 v[74:77], v[70:71], v[46:47], v[74:77]
	v_mfma_f32_16x16x16_bf16 v[70:73], v[72:73], v[48:49], v[74:77]
	s_waitcnt vmcnt(11)
	v_mfma_f32_16x16x16_bf16 v[74:77], v[66:67], v[54:55], 0
	v_mfma_f32_16x16x16_bf16 v[66:69], v[68:69], v[56:57], v[74:77]
	s_nop 5
	v_and_or_b32 v74, v0, 48, s18
	s_waitcnt lgkmcnt(0)
	v_mfma_f32_16x16x16_bf16 v[70:73], v[10:11], v[42:43], v[70:73]
	v_ashrrev_i32_e32 v10, 4, v74
	v_mov_b32_e32 v75, s19
	v_cmp_gt_i32_e32 vcc, s27, v74
	s_waitcnt vmcnt(10)
	v_mfma_f32_16x16x16_bf16 v[66:69], v[62:63], v[50:51], v[66:69]
	v_cndmask_b32_e32 v10, v75, v10, vcc
	v_ashrrev_i32_e32 v11, 31, v10
	v_lshl_add_u64 v[10:11], v[10:11], 2, s[6:7]
	global_load_dword v76, v[10:11], off
	v_mfma_f32_16x16x16_bf16 v[62:65], v[64:65], v[52:53], v[66:69]
	v_or_b32_e32 v10, 64, v74
	v_ashrrev_i32_e32 v11, 4, v10
	v_cmp_gt_i32_e32 vcc, s27, v10
	s_waitcnt vmcnt(10)
	v_mfma_f32_16x16x16_bf16 v[62:65], v[58:59], v[46:47], v[62:65]
	v_cndmask_b32_e32 v10, v75, v11, vcc
	v_ashrrev_i32_e32 v11, 31, v10
	v_lshl_add_u64 v[10:11], v[10:11], 2, s[6:7]
	global_load_dword v78, v[10:11], off
	v_or_b32_e32 v10, 0x80, v74
	v_mfma_f32_16x16x16_bf16 v[58:61], v[60:61], v[48:49], v[62:65]
	v_ashrrev_i32_e32 v11, 4, v10
	v_cmp_gt_i32_e32 vcc, s27, v10
	s_waitcnt vmcnt(9)
	v_mfma_f32_16x16x16_bf16 v[62:65], v[30:31], v[54:55], 0
	v_cndmask_b32_e32 v10, v75, v11, vcc
	v_ashrrev_i32_e32 v11, 31, v10
	v_lshl_add_u64 v[10:11], v[10:11], 2, s[6:7]
	v_mfma_f32_16x16x16_bf16 v[30:33], v[32:33], v[56:57], v[62:65]
	s_nop 2
	global_load_dword v62, v[10:11], off
	v_or_b32_e32 v10, 0xc0, v74
	v_ashrrev_i32_e32 v11, 4, v10
	v_cmp_gt_i32_e32 vcc, s27, v10
	s_waitcnt vmcnt(9)
	v_mfma_f32_16x16x16_bf16 v[30:33], v[26:27], v[50:51], v[30:33]
	v_cndmask_b32_e32 v10, v75, v11, vcc
	v_ashrrev_i32_e32 v11, 31, v10
	v_lshl_add_u64 v[10:11], v[10:11], 2, s[6:7]
	global_load_dword v63, v[10:11], off
	v_mfma_f32_16x16x16_bf16 v[26:29], v[28:29], v[52:53], v[30:33]
	s_load_dword s6, s[0:1], 0x1c
	s_waitcnt vmcnt(3)
	v_mad_i64_i32 v[10:11], s[10:11], v76, s9, 0
	v_mfma_f32_16x16x16_bf16 v[26:29], v[22:23], v[46:47], v[26:29]
	v_lshlrev_b64 v[76:77], 1, v[10:11]
	v_mfma_f32_16x16x16_bf16 v[64:67], v[12:13], v[44:45], v[70:73]
	v_mfma_f32_16x16x16_bf16 v[10:13], v[24:25], v[48:49], v[26:29]
	s_nop 1
	v_lshl_add_u64 v[72:73], s[4:5], 0, v[86:87]
	v_or_b32_e32 v86, 0x800, v86
	v_mfma_f32_16x16x16_bf16 v[30:33], v[14:15], v[42:43], v[58:61]
	v_lshl_add_u64 v[14:15], v[72:73], 0, v[76:77]
	v_mfma_f32_16x16x16_bf16 v[10:13], v[18:19], v[42:43], v[10:13]
	v_mfma_f32_16x16x16_bf16 v[68:71], v[16:17], v[44:45], v[30:33]
	s_nop 3
	global_load_dwordx4 v[30:33], v[14:15], off
	global_load_dwordx4 v[26:29], v[14:15], off offset:16
	s_waitcnt vmcnt(4)
	v_mad_i64_i32 v[14:15], s[10:11], v78, s9, 0
	v_lshlrev_b64 v[58:59], 1, v[14:15]
	v_mfma_f32_16x16x16_bf16 v[92:95], v[20:21], v[44:45], v[10:13]
	s_waitcnt lgkmcnt(0)
	v_pk_mul_f32 v[78:79], s[6:7], v[66:67] op_sel_hi:[0,1]
	s_nop 0
	v_lshl_add_u64 v[10:11], v[72:73], 0, v[58:59]
	global_load_dwordx4 v[22:25], v[10:11], off
	global_load_dwordx4 v[18:21], v[10:11], off offset:16
	v_mfma_f32_16x16x16_bf16 v[10:13], v[6:7], v[54:55], 0
	s_waitcnt vmcnt(5)
	v_mad_i64_i32 v[6:7], s[10:11], v62, s9, 0
	v_lshlrev_b64 v[54:55], 1, v[6:7]
	v_mfma_f32_16x16x16_bf16 v[6:9], v[8:9], v[56:57], v[10:13]
	v_mfma_f32_16x16x16_bf16 v[6:9], v[2:3], v[50:51], v[6:9]
	s_waitcnt vmcnt(4)
	v_mad_i64_i32 v[2:3], s[8:9], v63, s9, 0
	v_lshlrev_b64 v[50:51], 1, v[2:3]
	v_mfma_f32_16x16x16_bf16 v[60:63], v[4:5], v[52:53], v[6:9]
	v_lshl_add_u64 v[10:11], v[72:73], 0, v[54:55]
	v_lshl_add_u64 v[2:3], v[72:73], 0, v[50:51]
	v_pk_mul_f32 v[52:53], s[6:7], v[64:65] op_sel_hi:[0,1]
	v_mfma_f32_16x16x16_bf16 v[72:75], v[38:39], v[46:47], v[60:63]
	global_load_dwordx4 v[14:17], v[10:11], off
	s_nop 0
	global_load_dwordx4 v[10:13], v[10:11], off offset:16
	v_lshl_add_u64 v[62:63], s[4:5], 0, v[86:87]
	v_lshl_add_u64 v[38:39], v[62:63], 0, v[76:77]
	v_mfma_f32_16x16x16_bf16 v[46:49], v[40:41], v[48:49], v[72:75]
	v_pk_mul_f32 v[76:77], s[6:7], v[68:69] op_sel_hi:[0,1]
	v_lshl_add_u64 v[54:55], v[62:63], 0, v[54:55]
	v_lshl_add_u64 v[50:51], v[62:63], 0, v[50:51]
	v_mfma_f32_16x16x16_bf16 v[40:43], v[34:35], v[42:43], v[46:49]
	v_pk_mul_f32 v[74:75], s[6:7], v[70:71] op_sel_hi:[0,1]
	v_pk_mul_f32 v[70:71], s[6:7], v[94:95] op_sel_hi:[0,1]
	;; [unrolled: 1-line block ×3, first 2 shown]
	v_mfma_f32_16x16x16_bf16 v[34:37], v[36:37], v[44:45], v[40:43]
	global_load_dwordx4 v[6:9], v[2:3], off
	s_nop 0
	global_load_dwordx4 v[2:5], v[2:3], off offset:16
	s_nop 3
	v_pk_mul_f32 v[68:69], s[6:7], v[34:35] op_sel_hi:[0,1]
	v_and_b32_e32 v34, 0xc0, v0
	v_add_u32_e32 v34, s18, v34
	v_lshl_or_b32 v34, v88, 2, v34
	v_or_b32_e32 v35, 1, v34
	v_pk_mul_f32 v[66:67], s[6:7], v[36:37] op_sel_hi:[0,1]
	v_subrev_u32_e32 v36, s27, v35
	v_add_u32_e32 v40, 1, v36
	v_add_u32_e32 v41, 2, v36
	v_cvt_f32_i32_e32 v37, v36
	v_cvt_f32_i32_e32 v40, v40
	;; [unrolled: 1-line block ×3, first 2 shown]
	v_add_u32_e32 v42, 3, v36
	v_fma_f32 v52, v89, v37, v52
	v_fmac_f32_e32 v53, v89, v40
	v_fma_f32 v78, v89, v41, v78
	v_add_u32_e32 v37, 16, v36
	v_add_u32_e32 v40, 17, v36
	;; [unrolled: 1-line block ×3, first 2 shown]
	v_cvt_f32_i32_e32 v42, v42
	v_cvt_f32_i32_e32 v37, v37
	;; [unrolled: 1-line block ×4, first 2 shown]
	v_fmac_f32_e32 v79, v89, v42
	v_add_u32_e32 v42, 19, v36
	v_fma_f32 v76, v89, v37, v76
	v_fmac_f32_e32 v77, v89, v40
	v_fma_f32 v74, v89, v41, v74
	v_add_u32_e32 v37, 32, v36
	v_add_u32_e32 v40, 33, v36
	;; [unrolled: 1-line block ×3, first 2 shown]
	v_cvt_f32_i32_e32 v42, v42
	v_cvt_f32_i32_e32 v37, v37
	;; [unrolled: 1-line block ×4, first 2 shown]
	v_fmac_f32_e32 v75, v89, v42
	v_add_u32_e32 v42, 35, v36
	v_fma_f32 v72, v89, v37, v72
	v_fmac_f32_e32 v73, v89, v40
	v_fma_f32 v70, v89, v41, v70
	v_add_u32_e32 v37, 48, v36
	v_add_u32_e32 v40, 49, v36
	;; [unrolled: 1-line block ×4, first 2 shown]
	v_cvt_f32_i32_e32 v36, v36
	v_cvt_f32_i32_e32 v37, v37
	;; [unrolled: 1-line block ×3, first 2 shown]
	v_cmp_gt_i32_e64 s[28:29], s27, v34
	v_fmac_f32_e32 v67, v89, v36
	v_mov_b32_e32 v36, 0xff7fffff
	v_cmp_gt_i32_e64 s[30:31], s27, v35
	v_fma_f32 v68, v89, v37, v68
	v_cndmask_b32_e64 v37, v36, v52, s[28:29]
	v_cndmask_b32_e64 v35, v36, v53, s[30:31]
	v_fmac_f32_e32 v69, v89, v40
	v_max3_f32 v35, v37, s33, v35
	v_or_b32_e32 v37, 2, v34
	v_or_b32_e32 v40, 3, v34
	v_cmp_gt_i32_e64 s[34:35], s27, v37
	v_cmp_gt_i32_e64 s[36:37], s27, v40
	v_cvt_f32_i32_e32 v42, v42
	v_cndmask_b32_e64 v37, v36, v78, s[34:35]
	v_cndmask_b32_e64 v40, v36, v79, s[36:37]
	v_max3_f32 v35, v35, v37, v40
	v_or_b32_e32 v37, 16, v34
	v_or_b32_e32 v40, 17, v34
	v_cmp_gt_i32_e64 s[22:23], s27, v37
	v_cmp_gt_i32_e64 s[24:25], s27, v40
	v_fmac_f32_e32 v71, v89, v42
	v_cndmask_b32_e64 v37, v36, v76, s[22:23]
	v_cndmask_b32_e64 v40, v36, v77, s[24:25]
	v_max3_f32 v35, v35, v37, v40
	v_or_b32_e32 v37, 18, v34
	v_or_b32_e32 v40, 19, v34
	v_cmp_gt_i32_e64 s[18:19], s27, v37
	v_cmp_gt_i32_e64 s[20:21], s27, v40
	v_cvt_f32_i32_e32 v41, v41
	v_cndmask_b32_e64 v37, v36, v74, s[18:19]
	v_cndmask_b32_e64 v40, v36, v75, s[20:21]
	v_max3_f32 v35, v35, v37, v40
	v_or_b32_e32 v37, 32, v34
	v_or_b32_e32 v40, 33, v34
	v_cmp_gt_i32_e64 s[14:15], s27, v37
	v_cmp_gt_i32_e64 s[16:17], s27, v40
	v_fma_f32 v66, v89, v41, v66
	v_cndmask_b32_e64 v37, v36, v72, s[14:15]
	v_cndmask_b32_e64 v40, v36, v73, s[16:17]
	v_max3_f32 v35, v35, v37, v40
	v_or_b32_e32 v37, 34, v34
	v_or_b32_e32 v40, 35, v34
	v_cmp_gt_i32_e64 s[10:11], s27, v37
	v_cmp_gt_i32_e64 s[12:13], s27, v40
	s_nop 0
	v_cndmask_b32_e64 v37, v36, v70, s[10:11]
	v_cndmask_b32_e64 v40, v36, v71, s[12:13]
	v_max3_f32 v35, v35, v37, v40
	v_or_b32_e32 v37, 48, v34
	v_or_b32_e32 v40, 49, v34
	v_cmp_gt_i32_e64 s[6:7], s27, v37
	v_cmp_gt_i32_e64 s[8:9], s27, v40
	s_nop 0
	v_cndmask_b32_e64 v37, v36, v68, s[6:7]
	v_cndmask_b32_e64 v40, v36, v69, s[8:9]
	v_max3_f32 v35, v35, v37, v40
	v_or_b32_e32 v37, 50, v34
	v_or_b32_e32 v34, 51, v34
	v_cmp_gt_i32_e32 vcc, s27, v37
	v_cmp_gt_i32_e64 s[4:5], s27, v34
	global_load_dwordx4 v[46:49], v[38:39], off
	s_nop 0
	global_load_dwordx4 v[38:41], v[38:39], off offset:16
	v_cndmask_b32_e32 v37, v36, v66, vcc
	v_cndmask_b32_e64 v34, v36, v67, s[4:5]
	v_max3_f32 v56, v35, v37, v34
	v_mbcnt_lo_u32_b32 v34, -1, 0
	v_mbcnt_hi_u32_b32 v57, -1, v34
	v_and_b32_e32 v34, 64, v57
	v_add_u32_e32 v60, 64, v34
	v_xor_b32_e32 v34, 32, v57
	v_cmp_lt_i32_e64 s[38:39], v34, v60
	s_nop 1
	v_cndmask_b32_e64 v34, v57, v34, s[38:39]
	v_lshlrev_b32_e32 v87, 2, v34
	ds_bpermute_b32 v61, v87, v56
	v_lshl_add_u64 v[34:35], v[62:63], 0, v[58:59]
	global_load_dwordx4 v[42:45], v[34:35], off
	s_nop 0
	global_load_dwordx4 v[34:37], v[34:35], off offset:16
	s_waitcnt lgkmcnt(0)
	v_max_f32_e32 v58, v61, v61
	v_max_f32_e32 v64, v56, v58
	v_xor_b32_e32 v56, 16, v57
	v_cmp_lt_i32_e64 s[38:39], v56, v60
	s_nop 1
	v_cndmask_b32_e64 v56, v57, v56, s[38:39]
	v_lshlrev_b32_e32 v89, 2, v56
	ds_bpermute_b32 v65, v89, v64
	global_load_dwordx4 v[58:61], v[54:55], off
	s_nop 0
	global_load_dwordx4 v[54:57], v[54:55], off offset:16
	s_waitcnt lgkmcnt(0)
	v_max_f32_e32 v62, v65, v65
	v_max_f32_e32 v86, v64, v62
	v_sub_f32_e32 v52, v52, v86
	v_mul_f32_e32 v52, 0x3fb8aa3b, v52
	v_exp_f32_e32 v80, v52
	v_sub_f32_e32 v52, v53, v86
	v_mul_f32_e32 v52, 0x3fb8aa3b, v52
	v_exp_f32_e32 v81, v52
	global_load_dwordx4 v[62:65], v[50:51], off
	s_nop 0
	global_load_dwordx4 v[50:53], v[50:51], off offset:16
	v_sub_f32_e32 v78, v78, v86
	v_mul_f32_e32 v78, 0x3fb8aa3b, v78
	v_sub_f32_e32 v79, v79, v86
	v_exp_f32_e32 v78, v78
	v_mul_f32_e32 v79, 0x3fb8aa3b, v79
	v_sub_f32_e32 v76, v76, v86
	v_exp_f32_e32 v79, v79
	v_mul_f32_e32 v76, 0x3fb8aa3b, v76
	v_sub_f32_e32 v77, v77, v86
	v_cndmask_b32_e64 v80, 0, v80, s[28:29]
	v_exp_f32_e32 v76, v76
	v_mul_f32_e32 v77, 0x3fb8aa3b, v77
	v_sub_f32_e32 v74, v74, v86
	v_add_f32_e32 v91, 0, v80
	v_cndmask_b32_e64 v81, 0, v81, s[30:31]
	v_exp_f32_e32 v77, v77
	v_mul_f32_e32 v74, 0x3fb8aa3b, v74
	v_sub_f32_e32 v75, v75, v86
	v_add_f32_e32 v91, v91, v81
	;; [unrolled: 5-line block ×10, first 2 shown]
	v_cndmask_b32_e64 v70, 0, v70, s[10:11]
	v_exp_f32_e32 v66, v66
	v_mul_f32_e32 v67, 0x3fb8aa3b, v67
	v_add_f32_e32 v91, v91, v70
	v_cndmask_b32_e64 v71, 0, v71, s[12:13]
	v_exp_f32_e32 v67, v67
	v_add_f32_e32 v91, v91, v71
	v_cndmask_b32_e64 v68, 0, v68, s[6:7]
	v_add_f32_e32 v91, v91, v68
	v_cndmask_b32_e64 v69, 0, v69, s[8:9]
	v_add_f32_e32 v91, v91, v69
	v_cndmask_b32_e32 v66, 0, v66, vcc
	v_add_f32_e32 v91, v91, v66
	v_cndmask_b32_e64 v67, 0, v67, s[4:5]
	v_add_f32_e32 v91, v91, v67
	ds_bpermute_b32 v87, v87, v91
	s_load_dword s7, s[0:1], 0x98
	v_cmp_gt_u32_e32 vcc, 16, v83
	s_waitcnt lgkmcnt(0)
	s_barrier
	v_add_f32_e32 v87, v91, v87
	ds_bpermute_b32 v89, v89, v87
	s_waitcnt lgkmcnt(0)
	s_and_saveexec_b64 s[4:5], vcc
	s_cbranch_execz .LBB641_15
; %bb.14:
	v_add_f32_e32 v83, v87, v89
	v_lshlrev_b32_e32 v87, 2, v90
	ds_write2st64_b32 v87, v86, v83 offset1:1
.LBB641_15:
	s_or_b64 exec, exec, s[4:5]
	v_lshlrev_b32_e32 v89, 2, v84
	s_load_dword s6, s[0:1], 0x94
	s_waitcnt lgkmcnt(0)
	s_barrier
	ds_read2_b32 v[86:87], v89 offset1:16
	ds_read2_b32 v[90:91], v89 offset0:32 offset1:48
	ds_read2_b32 v[92:93], v89 offset0:64 offset1:80
	;; [unrolled: 1-line block ×3, first 2 shown]
	s_movk_i32 s8, 0x7fff
	s_waitcnt lgkmcnt(3)
	v_max3_f32 v83, v86, s33, v87
	s_waitcnt lgkmcnt(2)
	v_max3_f32 v83, v83, v90, v91
	v_sub_f32_e32 v86, v86, v83
	v_mul_f32_e32 v86, 0x3fb8aa3b, v86
	v_exp_f32_e32 v1, v86
	v_sub_f32_e32 v86, v87, v83
	v_mul_f32_e32 v86, 0x3fb8aa3b, v86
	v_exp_f32_e32 v87, v86
	;; [unrolled: 3-line block ×4, first 2 shown]
	s_waitcnt lgkmcnt(1)
	v_fma_f32 v86, v1, v92, 0
	v_fmac_f32_e32 v86, v87, v93
	s_waitcnt lgkmcnt(0)
	v_fmac_f32_e32 v86, v90, v94
	v_fmac_f32_e32 v86, v89, v95
	v_add_f32_e32 v91, 0x358637bd, v86
	v_div_scale_f32 v92, s[4:5], v91, v91, 1.0
	v_rcp_f32_e32 v93, v92
	s_mov_b32 s9, 0x7060302
	s_mul_i32 s7, s7, 10
	v_fma_f32 v94, -v92, v93, 1.0
	v_fmac_f32_e32 v93, v94, v93
	v_div_scale_f32 v94, vcc, 1.0, v91, 1.0
	v_mul_f32_e32 v95, v94, v93
	v_fma_f32 v88, -v92, v95, v94
	v_fmac_f32_e32 v95, v88, v93
	v_fma_f32 v88, -v92, v95, v94
	v_div_fmas_f32 v88, v88, v93, v95
	v_cmp_eq_u32_e32 vcc, 1, v85
	v_div_fixup_f32 v88, v88, v91, 1.0
	s_barrier
	v_cndmask_b32_e32 v1, v1, v87, vcc
	v_cmp_eq_u32_e32 vcc, 2, v85
	s_nop 1
	v_cndmask_b32_e32 v1, v1, v90, vcc
	v_cmp_eq_u32_e32 vcc, 3, v85
	s_nop 1
	v_cndmask_b32_e32 v1, v1, v89, vcc
	v_mul_f32_e32 v90, v1, v88
	v_pk_mul_f32 v[80:81], v[90:91], v[80:81] op_sel_hi:[0,1]
	v_bfe_u32 v1, v81, 16, 1
	v_bfe_u32 v87, v80, 16, 1
	v_pk_mul_f32 v[78:79], v[90:91], v[78:79] op_sel_hi:[0,1]
	v_add3_u32 v80, v80, v87, s8
	v_add3_u32 v1, v81, v1, s8
	v_perm_b32 v80, v1, v80, s9
	v_bfe_u32 v1, v79, 16, 1
	v_bfe_u32 v81, v78, 16, 1
	v_add3_u32 v78, v78, v81, s8
	v_add3_u32 v1, v79, v1, s8
	v_bfe_u32 v87, v0, 4, 2
	v_perm_b32 v81, v1, v78, s9
	v_lshlrev_b32_e32 v1, 3, v87
	v_lshlrev_b32_e32 v79, 5, v84
	;; [unrolled: 1-line block ×3, first 2 shown]
	v_pk_mul_f32 v[76:77], v[90:91], v[76:77] op_sel_hi:[0,1]
	v_or3_b32 v78, v78, v79, v1
	v_bfe_u32 v1, v77, 16, 1
	v_bfe_u32 v85, v76, 16, 1
	v_pk_mul_f32 v[74:75], v[90:91], v[74:75] op_sel_hi:[0,1]
	v_add3_u32 v76, v76, v85, s8
	v_add3_u32 v1, v77, v1, s8
	v_perm_b32 v76, v1, v76, s9
	v_bfe_u32 v1, v75, 16, 1
	v_bfe_u32 v77, v74, 16, 1
	v_add3_u32 v74, v74, v77, s8
	v_add3_u32 v1, v75, v1, s8
	v_pk_mul_f32 v[72:73], v[90:91], v[72:73] op_sel_hi:[0,1]
	v_perm_b32 v77, v1, v74, s9
	v_bfe_u32 v1, v73, 16, 1
	v_bfe_u32 v74, v72, 16, 1
	v_pk_mul_f32 v[70:71], v[90:91], v[70:71] op_sel_hi:[0,1]
	v_add3_u32 v72, v72, v74, s8
	v_add3_u32 v1, v73, v1, s8
	v_perm_b32 v72, v1, v72, s9
	v_bfe_u32 v1, v71, 16, 1
	v_bfe_u32 v73, v70, 16, 1
	v_add3_u32 v70, v70, v73, s8
	v_add3_u32 v1, v71, v1, s8
	v_pk_mul_f32 v[68:69], v[90:91], v[68:69] op_sel_hi:[0,1]
	v_perm_b32 v73, v1, v70, s9
	v_bfe_u32 v1, v69, 16, 1
	v_bfe_u32 v70, v68, 16, 1
	v_pk_mul_f32 v[66:67], v[90:91], v[66:67] op_sel_hi:[0,1]
	v_add3_u32 v68, v68, v70, s8
	v_add3_u32 v1, v69, v1, s8
	v_perm_b32 v68, v1, v68, s9
	v_bfe_u32 v1, v67, 16, 1
	v_bfe_u32 v69, v66, 16, 1
	v_add3_u32 v66, v66, v69, s8
	v_add3_u32 v1, v67, v1, s8
	v_perm_b32 v69, v1, v66, s9
	v_cmp_gt_u32_e32 vcc, 10, v0
	ds_write2st64_b64 v78, v[80:81], v[76:77] offset1:1
	ds_write2st64_b64 v78, v[72:73], v[68:69] offset0:2 offset1:3
	s_and_saveexec_b64 s[4:5], vcc
	s_cbranch_execz .LBB641_17
; %bb.16:
	s_mov_b32 s41, 0
	v_mov_b32_e32 v85, 0
	v_lshl_add_u64 v[66:67], s[40:41], 0, v[84:85]
	v_mov_b32_e32 v1, s7
	v_mad_u64_u32 v[66:67], s[10:11], s2, v1, v[66:67]
	s_mul_i32 s3, s3, s7
	v_mov_b32_e32 v68, s26
	v_mov_b32_e32 v69, v85
	s_load_dwordx4 s[12:15], s[0:1], 0x58
	v_add_u32_e32 v1, s3, v67
	v_mad_u64_u32 v[66:67], s[10:11], v66, s6, v[68:69]
	v_mov_b32_e32 v68, v67
	v_mad_u64_u32 v[68:69], s[10:11], v1, s6, v[68:69]
	v_mov_b32_e32 v67, v68
	v_lshlrev_b64 v[66:67], 2, v[66:67]
	s_waitcnt lgkmcnt(0)
	v_lshl_add_u64 v[68:69], s[14:15], 0, v[66:67]
	v_lshl_add_u64 v[66:67], s[12:13], 0, v[66:67]
	global_store_dword v[68:69], v83, off
	global_store_dword v[66:67], v86, off
.LBB641_17:
	s_or_b64 exec, exec, s[4:5]
	v_lshl_or_b32 v1, v87, 9, v79
	s_waitcnt lgkmcnt(0)
	s_barrier
	ds_read_b128 v[70:73], v1
	ds_read_b128 v[66:69], v1 offset:16
	s_waitcnt vmcnt(15) lgkmcnt(1)
	v_mfma_f32_16x16x16_bf16 v[74:77], v[30:31], v[70:71], 0
	s_mov_b32 s3, 0
	v_cmp_gt_u32_e32 vcc, 64, v0
	v_mfma_f32_16x16x16_bf16 v[30:33], v[32:33], v[72:73], v[74:77]
	s_waitcnt vmcnt(14) lgkmcnt(0)
	v_mfma_f32_16x16x16_bf16 v[30:33], v[26:27], v[66:67], v[30:33]
	v_mfma_f32_16x16x16_bf16 v[26:29], v[28:29], v[68:69], v[30:33]
	s_nop 5
	ds_read_b128 v[30:33], v1 offset:2048
	ds_read_b128 v[74:77], v1 offset:2064
	s_waitcnt vmcnt(13) lgkmcnt(1)
	v_mfma_f32_16x16x16_bf16 v[26:29], v[22:23], v[30:31], v[26:29]
	v_mfma_f32_16x16x16_bf16 v[22:25], v[24:25], v[32:33], v[26:29]
	s_waitcnt vmcnt(12) lgkmcnt(0)
	v_mfma_f32_16x16x16_bf16 v[22:25], v[18:19], v[74:75], v[22:25]
	v_mfma_f32_16x16x16_bf16 v[18:21], v[20:21], v[76:77], v[22:25]
	s_nop 5
	ds_read_b128 v[22:25], v1 offset:4096
	ds_read_b128 v[26:29], v1 offset:4112
	s_waitcnt vmcnt(11) lgkmcnt(1)
	v_mfma_f32_16x16x16_bf16 v[18:21], v[14:15], v[22:23], v[18:21]
	v_mfma_f32_16x16x16_bf16 v[14:17], v[16:17], v[24:25], v[18:21]
	s_waitcnt vmcnt(10) lgkmcnt(0)
	v_mfma_f32_16x16x16_bf16 v[14:17], v[10:11], v[26:27], v[14:17]
	v_mfma_f32_16x16x16_bf16 v[10:13], v[12:13], v[28:29], v[14:17]
	s_nop 5
	ds_read_b128 v[14:17], v1 offset:6144
	ds_read_b128 v[18:21], v1 offset:6160
	s_waitcnt lgkmcnt(0)
	s_barrier
	s_waitcnt vmcnt(9)
	v_mfma_f32_16x16x16_bf16 v[10:13], v[6:7], v[14:15], v[10:13]
	v_mfma_f32_16x16x16_bf16 v[6:9], v[8:9], v[16:17], v[10:13]
	s_waitcnt vmcnt(8)
	v_mfma_f32_16x16x16_bf16 v[6:9], v[2:3], v[18:19], v[6:9]
	v_mfma_f32_16x16x16_bf16 v[2:5], v[4:5], v[20:21], v[6:9]
	;; [unrolled: 3-line block ×3, first 2 shown]
	s_nop 3
	v_bfe_u32 v1, v3, 16, 1
	v_bfe_u32 v10, v2, 16, 1
	v_add3_u32 v2, v2, v10, s8
	s_waitcnt vmcnt(6)
	v_mfma_f32_16x16x16_bf16 v[6:9], v[38:39], v[66:67], v[6:9]
	v_add3_u32 v1, v3, v1, s8
	v_perm_b32 v10, v1, v2, s9
	v_bfe_u32 v1, v5, 16, 1
	v_mfma_f32_16x16x16_bf16 v[6:9], v[40:41], v[68:69], v[6:9]
	v_bfe_u32 v2, v4, 16, 1
	v_add3_u32 v2, v4, v2, s8
	v_add3_u32 v1, v5, v1, s8
	s_waitcnt vmcnt(5)
	v_mfma_f32_16x16x16_bf16 v[6:9], v[42:43], v[30:31], v[6:9]
	v_perm_b32 v11, v1, v2, s9
	v_mfma_f32_16x16x16_bf16 v[6:9], v[44:45], v[32:33], v[6:9]
	s_waitcnt vmcnt(4)
	v_mfma_f32_16x16x16_bf16 v[6:9], v[34:35], v[74:75], v[6:9]
	v_mfma_f32_16x16x16_bf16 v[6:9], v[36:37], v[76:77], v[6:9]
	s_waitcnt vmcnt(3)
	v_mfma_f32_16x16x16_bf16 v[6:9], v[58:59], v[22:23], v[6:9]
	;; [unrolled: 3-line block ×5, first 2 shown]
	v_mfma_f32_16x16x16_bf16 v[2:5], v[52:53], v[20:21], v[6:9]
	s_nop 6
	v_bfe_u32 v1, v3, 16, 1
	v_bfe_u32 v6, v2, 16, 1
	v_add3_u32 v2, v2, v6, s8
	v_add3_u32 v1, v3, v1, s8
	v_perm_b32 v2, v1, v2, s9
	v_bfe_u32 v1, v5, 16, 1
	v_bfe_u32 v3, v4, 16, 1
	v_add3_u32 v3, v4, v3, s8
	v_add3_u32 v1, v5, v1, s8
	v_perm_b32 v3, v1, v3, s9
	ds_write2st64_b64 v78, v[10:11], v[2:3] offset1:1
	s_waitcnt lgkmcnt(0)
	s_barrier
	s_and_saveexec_b64 s[4:5], vcc
	s_cbranch_execz .LBB641_20
; %bb.18:
	s_load_dwordx2 s[4:5], s[0:1], 0x68
	s_lshl_b32 s0, s6, 7
	s_mul_i32 s1, s7, s2
	v_lshlrev_b32_e32 v3, 6, v84
	s_mul_hi_u32 s7, s1, s0
	s_mul_i32 s6, s1, s0
	v_lshlrev_b32_e32 v2, 4, v0
	v_lshl_or_b32 v0, v0, 10, v3
	s_lshl_b64 s[6:7], s[6:7], 1
	v_lshlrev_b32_e32 v1, 5, v87
	v_and_b32_e32 v2, 16, v2
	v_and_b32_e32 v0, 0x1a00, v0
	s_waitcnt lgkmcnt(0)
	s_add_u32 s1, s4, s6
	v_or3_b32 v2, v0, v1, v2
	s_addc_u32 s4, s5, s7
	s_lshl_b32 s2, s26, 7
	s_lshl_b64 s[2:3], s[2:3], 1
	ds_read_b128 v[4:7], v2 offset:128
	ds_read_b128 v[8:11], v2
	s_add_u32 s2, s1, s2
	s_addc_u32 s3, s4, s3
	v_mov_b32_e32 v83, 0
	v_add_u32_e32 v14, s40, v87
	v_lshl_add_u64 v[0:1], s[2:3], 0, v[82:83]
	v_mad_u64_u32 v[12:13], s[2:3], v14, s0, 0
	v_lshl_add_u64 v[12:13], v[12:13], 1, v[0:1]
	s_waitcnt lgkmcnt(0)
	global_store_dwordx4 v[12:13], v[8:11], off
	v_or_b32_e32 v3, 8, v87
	v_cmp_gt_u32_e32 vcc, 10, v3
	v_add_u32_e32 v8, 4, v14
	v_mad_u64_u32 v[8:9], s[2:3], v8, s0, 0
	v_lshl_add_u64 v[8:9], v[8:9], 1, v[0:1]
	global_store_dwordx4 v[8:9], v[4:7], off
	s_and_b64 exec, exec, vcc
	s_cbranch_execz .LBB641_20
; %bb.19:
	ds_read_b128 v[4:7], v2 offset:256
	v_add_u32_e32 v2, s40, v3
	v_mad_u64_u32 v[2:3], s[0:1], v2, s0, 0
	v_lshl_add_u64 v[0:1], v[2:3], 1, v[0:1]
	s_waitcnt lgkmcnt(0)
	global_store_dwordx4 v[0:1], v[4:7], off
.LBB641_20:
	s_endpgm
	.section	.rodata,"a",@progbits
	.p2align	6, 0x0
	.amdhsa_kernel _Z39paged_attention_ll4mi_QKV_mfma16_kernelI14__hip_bfloat16S0_LN4vllm18Fp8KVCacheDataTypeE0ES0_Li16ELi128ELi256ELb1ELi10EEvPKT_PKT0_S8_ifPKiSA_SA_iPKfiiiPfSD_PS3_PT2_iSC_SC_
		.amdhsa_group_segment_fixed_size 8192
		.amdhsa_private_segment_fixed_size 0
		.amdhsa_kernarg_size 400
		.amdhsa_user_sgpr_count 2
		.amdhsa_user_sgpr_dispatch_ptr 0
		.amdhsa_user_sgpr_queue_ptr 0
		.amdhsa_user_sgpr_kernarg_segment_ptr 1
		.amdhsa_user_sgpr_dispatch_id 0
		.amdhsa_user_sgpr_kernarg_preload_length 0
		.amdhsa_user_sgpr_kernarg_preload_offset 0
		.amdhsa_user_sgpr_private_segment_size 0
		.amdhsa_uses_dynamic_stack 0
		.amdhsa_enable_private_segment 0
		.amdhsa_system_sgpr_workgroup_id_x 1
		.amdhsa_system_sgpr_workgroup_id_y 1
		.amdhsa_system_sgpr_workgroup_id_z 1
		.amdhsa_system_sgpr_workgroup_info 0
		.amdhsa_system_vgpr_workitem_id 0
		.amdhsa_next_free_vgpr 96
		.amdhsa_next_free_sgpr 42
		.amdhsa_accum_offset 96
		.amdhsa_reserve_vcc 1
		.amdhsa_float_round_mode_32 0
		.amdhsa_float_round_mode_16_64 0
		.amdhsa_float_denorm_mode_32 3
		.amdhsa_float_denorm_mode_16_64 3
		.amdhsa_dx10_clamp 1
		.amdhsa_ieee_mode 1
		.amdhsa_fp16_overflow 0
		.amdhsa_tg_split 0
		.amdhsa_exception_fp_ieee_invalid_op 0
		.amdhsa_exception_fp_denorm_src 0
		.amdhsa_exception_fp_ieee_div_zero 0
		.amdhsa_exception_fp_ieee_overflow 0
		.amdhsa_exception_fp_ieee_underflow 0
		.amdhsa_exception_fp_ieee_inexact 0
		.amdhsa_exception_int_div_zero 0
	.end_amdhsa_kernel
	.section	.text._Z39paged_attention_ll4mi_QKV_mfma16_kernelI14__hip_bfloat16S0_LN4vllm18Fp8KVCacheDataTypeE0ES0_Li16ELi128ELi256ELb1ELi10EEvPKT_PKT0_S8_ifPKiSA_SA_iPKfiiiPfSD_PS3_PT2_iSC_SC_,"axG",@progbits,_Z39paged_attention_ll4mi_QKV_mfma16_kernelI14__hip_bfloat16S0_LN4vllm18Fp8KVCacheDataTypeE0ES0_Li16ELi128ELi256ELb1ELi10EEvPKT_PKT0_S8_ifPKiSA_SA_iPKfiiiPfSD_PS3_PT2_iSC_SC_,comdat
.Lfunc_end641:
	.size	_Z39paged_attention_ll4mi_QKV_mfma16_kernelI14__hip_bfloat16S0_LN4vllm18Fp8KVCacheDataTypeE0ES0_Li16ELi128ELi256ELb1ELi10EEvPKT_PKT0_S8_ifPKiSA_SA_iPKfiiiPfSD_PS3_PT2_iSC_SC_, .Lfunc_end641-_Z39paged_attention_ll4mi_QKV_mfma16_kernelI14__hip_bfloat16S0_LN4vllm18Fp8KVCacheDataTypeE0ES0_Li16ELi128ELi256ELb1ELi10EEvPKT_PKT0_S8_ifPKiSA_SA_iPKfiiiPfSD_PS3_PT2_iSC_SC_
                                        ; -- End function
	.section	.AMDGPU.csdata,"",@progbits
; Kernel info:
; codeLenInByte = 5000
; NumSgprs: 48
; NumVgprs: 96
; NumAgprs: 0
; TotalNumVgprs: 96
; ScratchSize: 0
; MemoryBound: 0
; FloatMode: 240
; IeeeMode: 1
; LDSByteSize: 8192 bytes/workgroup (compile time only)
; SGPRBlocks: 5
; VGPRBlocks: 11
; NumSGPRsForWavesPerEU: 48
; NumVGPRsForWavesPerEU: 96
; AccumOffset: 96
; Occupancy: 5
; WaveLimiterHint : 1
; COMPUTE_PGM_RSRC2:SCRATCH_EN: 0
; COMPUTE_PGM_RSRC2:USER_SGPR: 2
; COMPUTE_PGM_RSRC2:TRAP_HANDLER: 0
; COMPUTE_PGM_RSRC2:TGID_X_EN: 1
; COMPUTE_PGM_RSRC2:TGID_Y_EN: 1
; COMPUTE_PGM_RSRC2:TGID_Z_EN: 1
; COMPUTE_PGM_RSRC2:TIDIG_COMP_CNT: 0
; COMPUTE_PGM_RSRC3_GFX90A:ACCUM_OFFSET: 23
; COMPUTE_PGM_RSRC3_GFX90A:TG_SPLIT: 0
	.section	.text._Z39paged_attention_ll4mi_QKV_mfma16_kernelI14__hip_bfloat16S0_LN4vllm18Fp8KVCacheDataTypeE0ES0_Li16ELi128ELi256ELb1ELi11EEvPKT_PKT0_S8_ifPKiSA_SA_iPKfiiiPfSD_PS3_PT2_iSC_SC_,"axG",@progbits,_Z39paged_attention_ll4mi_QKV_mfma16_kernelI14__hip_bfloat16S0_LN4vllm18Fp8KVCacheDataTypeE0ES0_Li16ELi128ELi256ELb1ELi11EEvPKT_PKT0_S8_ifPKiSA_SA_iPKfiiiPfSD_PS3_PT2_iSC_SC_,comdat
	.protected	_Z39paged_attention_ll4mi_QKV_mfma16_kernelI14__hip_bfloat16S0_LN4vllm18Fp8KVCacheDataTypeE0ES0_Li16ELi128ELi256ELb1ELi11EEvPKT_PKT0_S8_ifPKiSA_SA_iPKfiiiPfSD_PS3_PT2_iSC_SC_ ; -- Begin function _Z39paged_attention_ll4mi_QKV_mfma16_kernelI14__hip_bfloat16S0_LN4vllm18Fp8KVCacheDataTypeE0ES0_Li16ELi128ELi256ELb1ELi11EEvPKT_PKT0_S8_ifPKiSA_SA_iPKfiiiPfSD_PS3_PT2_iSC_SC_
	.globl	_Z39paged_attention_ll4mi_QKV_mfma16_kernelI14__hip_bfloat16S0_LN4vllm18Fp8KVCacheDataTypeE0ES0_Li16ELi128ELi256ELb1ELi11EEvPKT_PKT0_S8_ifPKiSA_SA_iPKfiiiPfSD_PS3_PT2_iSC_SC_
	.p2align	8
	.type	_Z39paged_attention_ll4mi_QKV_mfma16_kernelI14__hip_bfloat16S0_LN4vllm18Fp8KVCacheDataTypeE0ES0_Li16ELi128ELi256ELb1ELi11EEvPKT_PKT0_S8_ifPKiSA_SA_iPKfiiiPfSD_PS3_PT2_iSC_SC_,@function
_Z39paged_attention_ll4mi_QKV_mfma16_kernelI14__hip_bfloat16S0_LN4vllm18Fp8KVCacheDataTypeE0ES0_Li16ELi128ELi256ELb1ELi11EEvPKT_PKT0_S8_ifPKiSA_SA_iPKfiiiPfSD_PS3_PT2_iSC_SC_: ; @_Z39paged_attention_ll4mi_QKV_mfma16_kernelI14__hip_bfloat16S0_LN4vllm18Fp8KVCacheDataTypeE0ES0_Li16ELi128ELi256ELb1ELi11EEvPKT_PKT0_S8_ifPKiSA_SA_iPKfiiiPfSD_PS3_PT2_iSC_SC_
; %bb.0:
	s_load_dwordx2 s[8:9], s[0:1], 0x30
	s_mov_b32 s26, s3
	s_mov_b64 s[6:7], 0
	s_waitcnt lgkmcnt(0)
	s_cmp_lg_u64 s[8:9], 0
	s_cselect_b64 s[10:11], -1, 0
	s_and_b64 vcc, exec, s[10:11]
	s_cbranch_vccz .LBB642_7
; %bb.1:
	s_add_i32 s12, s2, 1
	s_mov_b32 s13, 0
	s_lshl_b64 s[14:15], s[12:13], 2
	s_add_u32 s14, s8, s14
	s_mov_b32 s3, s13
	s_addc_u32 s15, s9, s15
	s_lshl_b64 s[12:13], s[2:3], 2
	s_add_u32 s12, s8, s12
	s_addc_u32 s13, s9, s13
	s_load_dword s5, s[14:15], 0x0
	s_load_dword s16, s[12:13], 0x0
	s_waitcnt lgkmcnt(0)
	s_sub_i32 s5, s5, s16
	s_cmp_eq_u32 s5, 1
	s_cselect_b64 s[12:13], -1, 0
	s_andn2_b64 vcc, exec, s[6:7]
	s_cbranch_vccnz .LBB642_3
.LBB642_2:
	s_mov_b32 s3, 0
	s_mov_b64 s[12:13], -1
.LBB642_3:
	s_andn2_b64 vcc, exec, s[12:13]
	s_cbranch_vccnz .LBB642_20
; %bb.4:
	s_load_dwordx2 s[6:7], s[0:1], 0x28
	s_lshl_b64 s[12:13], s[2:3], 2
	s_waitcnt lgkmcnt(0)
	s_add_u32 s6, s6, s12
	s_addc_u32 s7, s7, s13
	s_load_dword s27, s[6:7], 0x0
	s_lshl_b32 s18, s26, 8
	s_waitcnt lgkmcnt(0)
	s_cmp_ge_i32 s18, s27
	s_cbranch_scc1 .LBB642_20
; %bb.5:
	s_load_dwordx2 s[6:7], s[0:1], 0x20
	s_load_dword s5, s[0:1], 0x38
	s_add_i32 s14, s27, 15
	s_ashr_i32 s15, s14, 31
	v_and_b32_e32 v1, 0xcf, v0
	s_lshr_b32 s15, s15, 28
	v_add_u32_e32 v1, s18, v1
	s_add_i32 s14, s14, s15
	v_ashrrev_i32_e32 v2, 31, v1
	s_ashr_i32 s19, s14, 4
	v_lshrrev_b32_e32 v4, 28, v2
	s_add_i32 s19, s19, -1
	s_waitcnt lgkmcnt(0)
	s_mul_i32 s14, s2, s5
	s_mov_b32 s15, 0
	v_add_u32_e32 v2, v1, v4
	s_lshl_b64 s[14:15], s[14:15], 2
	v_ashrrev_i32_e32 v2, 4, v2
	v_mov_b32_e32 v5, s19
	v_cmp_gt_i32_e32 vcc, s27, v1
	s_add_u32 s6, s6, s14
	s_addc_u32 s7, s7, s15
	v_cndmask_b32_e32 v2, v5, v2, vcc
	v_ashrrev_i32_e32 v3, 31, v2
	v_lshl_add_u64 v[6:7], v[2:3], 2, s[6:7]
	v_or_b32_e32 v2, 16, v1
	v_add_u32_e32 v3, v2, v4
	v_ashrrev_i32_e32 v3, 4, v3
	v_cmp_gt_i32_e32 vcc, s27, v2
	s_load_dwordx2 s[14:15], s[0:1], 0x8
	s_nop 0
	v_cndmask_b32_e32 v2, v5, v3, vcc
	v_ashrrev_i32_e32 v3, 31, v2
	v_lshl_add_u64 v[8:9], v[2:3], 2, s[6:7]
	v_or_b32_e32 v2, 32, v1
	v_add_u32_e32 v3, v2, v4
	v_ashrrev_i32_e32 v3, 4, v3
	v_cmp_gt_i32_e32 vcc, s27, v2
	v_or_b32_e32 v1, 48, v1
	s_nop 0
	v_cndmask_b32_e32 v2, v5, v3, vcc
	v_ashrrev_i32_e32 v3, 31, v2
	v_lshl_add_u64 v[10:11], v[2:3], 2, s[6:7]
	v_add_u32_e32 v2, v1, v4
	v_ashrrev_i32_e32 v2, 4, v2
	v_cmp_gt_i32_e32 vcc, s27, v1
	s_nop 1
	v_cndmask_b32_e32 v2, v5, v2, vcc
	v_ashrrev_i32_e32 v3, 31, v2
	v_lshl_add_u64 v[12:13], v[2:3], 2, s[6:7]
	global_load_dword v5, v[6:7], off
	global_load_dword v4, v[8:9], off
	;; [unrolled: 1-line block ×4, first 2 shown]
	s_andn2_b64 vcc, exec, s[10:11]
	s_cbranch_vccnz .LBB642_8
; %bb.6:
	s_add_u32 s8, s8, s12
	s_addc_u32 s9, s9, s13
	s_load_dword s5, s[8:9], 0x0
	s_branch .LBB642_9
.LBB642_7:
	s_mov_b64 s[12:13], 0
	s_branch .LBB642_2
.LBB642_8:
	s_mov_b32 s5, s2
.LBB642_9:
	s_load_dwordx2 s[12:13], s[0:1], 0x10
	s_load_dwordx4 s[8:11], s[0:1], 0x48
	v_lshrrev_b32_e32 v85, 6, v0
	v_bfe_u32 v88, v0, 4, 2
	v_and_b32_e32 v84, 15, v0
	v_lshl_or_b32 v1, v85, 2, v88
	v_lshlrev_b32_e32 v6, 3, v84
	s_mul_i32 s40, s4, 11
	v_cmp_gt_u32_e32 vcc, 11, v1
	v_lshlrev_b32_e32 v82, 1, v6
	s_and_saveexec_b64 s[16:17], vcc
	s_cbranch_execz .LBB642_11
; %bb.10:
	s_load_dwordx2 s[20:21], s[0:1], 0x0
	s_waitcnt lgkmcnt(0)
	s_ashr_i32 s11, s8, 31
	s_mul_hi_u32 s22, s5, s8
	s_mul_i32 s11, s5, s11
	s_add_i32 s23, s22, s11
	s_mul_i32 s22, s5, s8
	s_lshl_b64 s[22:23], s[22:23], 1
	s_add_u32 s20, s20, s22
	v_add_lshl_u32 v6, v1, s40, 7
	s_addc_u32 s21, s21, s23
	v_ashrrev_i32_e32 v7, 31, v6
	v_lshl_add_u64 v[6:7], v[6:7], 1, s[20:21]
	v_mov_b32_e32 v83, 0
	v_lshl_add_u64 v[6:7], v[6:7], 0, v[82:83]
	global_load_dwordx4 v[6:9], v[6:7], off
	v_and_b32_e32 v10, 3, v0
	v_lshlrev_b32_e32 v11, 9, v84
	v_lshlrev_b32_e32 v1, 5, v1
	;; [unrolled: 1-line block ×3, first 2 shown]
	v_and_b32_e32 v11, 0x1800, v11
	v_or3_b32 v1, v11, v10, v1
	s_waitcnt vmcnt(0)
	ds_write_b128 v1, v[6:9]
.LBB642_11:
	s_or_b64 exec, exec, s[16:17]
	s_waitcnt lgkmcnt(0)
	s_mul_i32 s4, s4, s10
	s_mov_b32 s5, 0
	s_lshl_b64 s[4:5], s[4:5], 1
	s_add_u32 s10, s14, s4
	v_lshlrev_b32_e32 v1, 4, v0
	s_addc_u32 s11, s15, s5
	v_and_b32_e32 v86, 0xf0, v1
	v_mov_b32_e32 v87, 0
	v_lshl_add_u64 v[6:7], s[10:11], 0, v[86:87]
	s_waitcnt vmcnt(3)
	v_mad_i64_i32 v[8:9], s[10:11], v5, s9, 0
	s_waitcnt vmcnt(2)
	v_mad_i64_i32 v[4:5], s[10:11], v4, s9, 0
	v_lshl_add_u64 v[8:9], v[8:9], 1, v[6:7]
	v_and_b32_e32 v86, 0x300, v1
	v_lshl_add_u64 v[4:5], v[4:5], 1, v[6:7]
	v_lshl_add_u64 v[8:9], v[8:9], 0, v[86:87]
	;; [unrolled: 1-line block ×3, first 2 shown]
	s_barrier
	global_load_dwordx4 v[78:81], v[8:9], off
	global_load_dwordx4 v[74:77], v[8:9], off offset:1024
	global_load_dwordx4 v[70:73], v[8:9], off offset:2048
	;; [unrolled: 1-line block ×3, first 2 shown]
	global_load_dwordx4 v[66:69], v[4:5], off
	global_load_dwordx4 v[62:65], v[4:5], off offset:1024
	global_load_dwordx4 v[58:61], v[4:5], off offset:2048
	;; [unrolled: 1-line block ×3, first 2 shown]
	s_waitcnt vmcnt(9)
	v_mad_i64_i32 v[4:5], s[10:11], v3, s9, 0
	s_waitcnt vmcnt(8)
	v_mad_i64_i32 v[2:3], s[10:11], v2, s9, 0
	v_lshl_add_u64 v[4:5], v[4:5], 1, v[6:7]
	v_lshl_add_u64 v[2:3], v[2:3], 1, v[6:7]
	;; [unrolled: 1-line block ×4, first 2 shown]
	global_load_dwordx4 v[30:33], v[4:5], off
	global_load_dwordx4 v[26:29], v[4:5], off offset:1024
	global_load_dwordx4 v[22:25], v[4:5], off offset:2048
	;; [unrolled: 1-line block ×3, first 2 shown]
	global_load_dwordx4 v[6:9], v[34:35], off
	s_nop 0
	global_load_dwordx4 v[2:5], v[34:35], off offset:1024
	global_load_dwordx4 v[38:41], v[34:35], off offset:2048
	s_nop 0
	global_load_dwordx4 v[34:37], v[34:35], off offset:3072
	v_add_u32_e32 v42, -11, v84
	v_cmp_gt_u32_e32 vcc, 11, v84
	v_and_b32_e32 v83, 63, v0
	v_mov_b32_e32 v89, 0
	v_cndmask_b32_e32 v42, v42, v84, vcc
	v_lshlrev_b32_e32 v42, 5, v42
	v_lshl_add_u32 v42, v88, 9, v42
	ds_read_b128 v[54:57], v42
	ds_read_b128 v[50:53], v42 offset:2048
	ds_read_b128 v[46:49], v42 offset:4096
	;; [unrolled: 1-line block ×3, first 2 shown]
	s_and_saveexec_b64 s[10:11], vcc
	s_cbranch_execz .LBB642_13
; %bb.12:
	s_load_dwordx2 s[14:15], s[0:1], 0x40
	v_add_u32_e32 v90, s40, v84
	v_ashrrev_i32_e32 v91, 31, v90
	s_waitcnt lgkmcnt(0)
	v_lshl_add_u64 v[90:91], v[90:91], 2, s[14:15]
	global_load_dword v89, v[90:91], off
.LBB642_13:
	s_or_b64 exec, exec, s[10:11]
	s_waitcnt vmcnt(15) lgkmcnt(3)
	v_mfma_f32_16x16x16_bf16 v[90:93], v[78:79], v[54:55], 0
	s_add_u32 s4, s12, s4
	s_addc_u32 s5, s13, s5
	s_mov_b32 s33, 0xff7fffff
	v_mfma_f32_16x16x16_bf16 v[78:81], v[80:81], v[56:57], v[90:93]
	s_waitcnt vmcnt(14) lgkmcnt(2)
	v_mfma_f32_16x16x16_bf16 v[78:81], v[74:75], v[50:51], v[78:81]
	s_nop 0
	v_lshl_or_b32 v90, v85, 4, v84
	v_lshlrev_b32_e32 v86, 5, v90
	v_mfma_f32_16x16x16_bf16 v[74:77], v[76:77], v[52:53], v[78:81]
	s_waitcnt vmcnt(13) lgkmcnt(1)
	v_mfma_f32_16x16x16_bf16 v[74:77], v[70:71], v[46:47], v[74:77]
	v_mfma_f32_16x16x16_bf16 v[70:73], v[72:73], v[48:49], v[74:77]
	s_waitcnt vmcnt(11)
	v_mfma_f32_16x16x16_bf16 v[74:77], v[66:67], v[54:55], 0
	v_mfma_f32_16x16x16_bf16 v[66:69], v[68:69], v[56:57], v[74:77]
	s_nop 5
	v_and_or_b32 v74, v0, 48, s18
	s_waitcnt lgkmcnt(0)
	v_mfma_f32_16x16x16_bf16 v[70:73], v[10:11], v[42:43], v[70:73]
	v_ashrrev_i32_e32 v10, 4, v74
	v_mov_b32_e32 v75, s19
	v_cmp_gt_i32_e32 vcc, s27, v74
	s_waitcnt vmcnt(10)
	v_mfma_f32_16x16x16_bf16 v[66:69], v[62:63], v[50:51], v[66:69]
	v_cndmask_b32_e32 v10, v75, v10, vcc
	v_ashrrev_i32_e32 v11, 31, v10
	v_lshl_add_u64 v[10:11], v[10:11], 2, s[6:7]
	global_load_dword v76, v[10:11], off
	v_mfma_f32_16x16x16_bf16 v[62:65], v[64:65], v[52:53], v[66:69]
	v_or_b32_e32 v10, 64, v74
	v_ashrrev_i32_e32 v11, 4, v10
	v_cmp_gt_i32_e32 vcc, s27, v10
	s_waitcnt vmcnt(10)
	v_mfma_f32_16x16x16_bf16 v[62:65], v[58:59], v[46:47], v[62:65]
	v_cndmask_b32_e32 v10, v75, v11, vcc
	v_ashrrev_i32_e32 v11, 31, v10
	v_lshl_add_u64 v[10:11], v[10:11], 2, s[6:7]
	global_load_dword v78, v[10:11], off
	v_or_b32_e32 v10, 0x80, v74
	v_mfma_f32_16x16x16_bf16 v[58:61], v[60:61], v[48:49], v[62:65]
	v_ashrrev_i32_e32 v11, 4, v10
	v_cmp_gt_i32_e32 vcc, s27, v10
	s_waitcnt vmcnt(9)
	v_mfma_f32_16x16x16_bf16 v[62:65], v[30:31], v[54:55], 0
	v_cndmask_b32_e32 v10, v75, v11, vcc
	v_ashrrev_i32_e32 v11, 31, v10
	v_lshl_add_u64 v[10:11], v[10:11], 2, s[6:7]
	v_mfma_f32_16x16x16_bf16 v[30:33], v[32:33], v[56:57], v[62:65]
	s_nop 2
	global_load_dword v62, v[10:11], off
	v_or_b32_e32 v10, 0xc0, v74
	v_ashrrev_i32_e32 v11, 4, v10
	v_cmp_gt_i32_e32 vcc, s27, v10
	s_waitcnt vmcnt(9)
	v_mfma_f32_16x16x16_bf16 v[30:33], v[26:27], v[50:51], v[30:33]
	v_cndmask_b32_e32 v10, v75, v11, vcc
	v_ashrrev_i32_e32 v11, 31, v10
	v_lshl_add_u64 v[10:11], v[10:11], 2, s[6:7]
	global_load_dword v63, v[10:11], off
	v_mfma_f32_16x16x16_bf16 v[26:29], v[28:29], v[52:53], v[30:33]
	s_load_dword s6, s[0:1], 0x1c
	s_waitcnt vmcnt(3)
	v_mad_i64_i32 v[10:11], s[10:11], v76, s9, 0
	v_mfma_f32_16x16x16_bf16 v[26:29], v[22:23], v[46:47], v[26:29]
	v_lshlrev_b64 v[76:77], 1, v[10:11]
	v_mfma_f32_16x16x16_bf16 v[64:67], v[12:13], v[44:45], v[70:73]
	v_mfma_f32_16x16x16_bf16 v[10:13], v[24:25], v[48:49], v[26:29]
	s_nop 1
	v_lshl_add_u64 v[72:73], s[4:5], 0, v[86:87]
	v_or_b32_e32 v86, 0x800, v86
	v_mfma_f32_16x16x16_bf16 v[30:33], v[14:15], v[42:43], v[58:61]
	v_lshl_add_u64 v[14:15], v[72:73], 0, v[76:77]
	v_mfma_f32_16x16x16_bf16 v[10:13], v[18:19], v[42:43], v[10:13]
	v_mfma_f32_16x16x16_bf16 v[68:71], v[16:17], v[44:45], v[30:33]
	s_nop 3
	global_load_dwordx4 v[30:33], v[14:15], off
	global_load_dwordx4 v[26:29], v[14:15], off offset:16
	s_waitcnt vmcnt(4)
	v_mad_i64_i32 v[14:15], s[10:11], v78, s9, 0
	v_lshlrev_b64 v[58:59], 1, v[14:15]
	v_mfma_f32_16x16x16_bf16 v[92:95], v[20:21], v[44:45], v[10:13]
	s_waitcnt lgkmcnt(0)
	v_pk_mul_f32 v[78:79], s[6:7], v[66:67] op_sel_hi:[0,1]
	s_nop 0
	v_lshl_add_u64 v[10:11], v[72:73], 0, v[58:59]
	global_load_dwordx4 v[22:25], v[10:11], off
	global_load_dwordx4 v[18:21], v[10:11], off offset:16
	v_mfma_f32_16x16x16_bf16 v[10:13], v[6:7], v[54:55], 0
	s_waitcnt vmcnt(5)
	v_mad_i64_i32 v[6:7], s[10:11], v62, s9, 0
	v_lshlrev_b64 v[54:55], 1, v[6:7]
	v_mfma_f32_16x16x16_bf16 v[6:9], v[8:9], v[56:57], v[10:13]
	v_mfma_f32_16x16x16_bf16 v[6:9], v[2:3], v[50:51], v[6:9]
	s_waitcnt vmcnt(4)
	v_mad_i64_i32 v[2:3], s[8:9], v63, s9, 0
	v_lshlrev_b64 v[50:51], 1, v[2:3]
	v_mfma_f32_16x16x16_bf16 v[60:63], v[4:5], v[52:53], v[6:9]
	v_lshl_add_u64 v[10:11], v[72:73], 0, v[54:55]
	v_lshl_add_u64 v[2:3], v[72:73], 0, v[50:51]
	v_pk_mul_f32 v[52:53], s[6:7], v[64:65] op_sel_hi:[0,1]
	v_mfma_f32_16x16x16_bf16 v[72:75], v[38:39], v[46:47], v[60:63]
	global_load_dwordx4 v[14:17], v[10:11], off
	s_nop 0
	global_load_dwordx4 v[10:13], v[10:11], off offset:16
	v_lshl_add_u64 v[62:63], s[4:5], 0, v[86:87]
	v_lshl_add_u64 v[38:39], v[62:63], 0, v[76:77]
	v_mfma_f32_16x16x16_bf16 v[46:49], v[40:41], v[48:49], v[72:75]
	v_pk_mul_f32 v[76:77], s[6:7], v[68:69] op_sel_hi:[0,1]
	v_lshl_add_u64 v[54:55], v[62:63], 0, v[54:55]
	v_lshl_add_u64 v[50:51], v[62:63], 0, v[50:51]
	v_mfma_f32_16x16x16_bf16 v[40:43], v[34:35], v[42:43], v[46:49]
	v_pk_mul_f32 v[74:75], s[6:7], v[70:71] op_sel_hi:[0,1]
	v_pk_mul_f32 v[70:71], s[6:7], v[94:95] op_sel_hi:[0,1]
	;; [unrolled: 1-line block ×3, first 2 shown]
	v_mfma_f32_16x16x16_bf16 v[34:37], v[36:37], v[44:45], v[40:43]
	global_load_dwordx4 v[6:9], v[2:3], off
	s_nop 0
	global_load_dwordx4 v[2:5], v[2:3], off offset:16
	s_nop 3
	v_pk_mul_f32 v[68:69], s[6:7], v[34:35] op_sel_hi:[0,1]
	v_and_b32_e32 v34, 0xc0, v0
	v_add_u32_e32 v34, s18, v34
	v_lshl_or_b32 v34, v88, 2, v34
	v_or_b32_e32 v35, 1, v34
	v_pk_mul_f32 v[66:67], s[6:7], v[36:37] op_sel_hi:[0,1]
	v_subrev_u32_e32 v36, s27, v35
	v_add_u32_e32 v40, 1, v36
	v_add_u32_e32 v41, 2, v36
	v_cvt_f32_i32_e32 v37, v36
	v_cvt_f32_i32_e32 v40, v40
	;; [unrolled: 1-line block ×3, first 2 shown]
	v_add_u32_e32 v42, 3, v36
	v_fma_f32 v52, v89, v37, v52
	v_fmac_f32_e32 v53, v89, v40
	v_fma_f32 v78, v89, v41, v78
	v_add_u32_e32 v37, 16, v36
	v_add_u32_e32 v40, 17, v36
	;; [unrolled: 1-line block ×3, first 2 shown]
	v_cvt_f32_i32_e32 v42, v42
	v_cvt_f32_i32_e32 v37, v37
	;; [unrolled: 1-line block ×4, first 2 shown]
	v_fmac_f32_e32 v79, v89, v42
	v_add_u32_e32 v42, 19, v36
	v_fma_f32 v76, v89, v37, v76
	v_fmac_f32_e32 v77, v89, v40
	v_fma_f32 v74, v89, v41, v74
	v_add_u32_e32 v37, 32, v36
	v_add_u32_e32 v40, 33, v36
	;; [unrolled: 1-line block ×3, first 2 shown]
	v_cvt_f32_i32_e32 v42, v42
	v_cvt_f32_i32_e32 v37, v37
	;; [unrolled: 1-line block ×4, first 2 shown]
	v_fmac_f32_e32 v75, v89, v42
	v_add_u32_e32 v42, 35, v36
	v_fma_f32 v72, v89, v37, v72
	v_fmac_f32_e32 v73, v89, v40
	v_fma_f32 v70, v89, v41, v70
	v_add_u32_e32 v37, 48, v36
	v_add_u32_e32 v40, 49, v36
	v_add_u32_e32 v41, 50, v36
	v_add_u32_e32 v36, 51, v36
	v_cvt_f32_i32_e32 v36, v36
	v_cvt_f32_i32_e32 v37, v37
	;; [unrolled: 1-line block ×3, first 2 shown]
	v_cmp_gt_i32_e64 s[28:29], s27, v34
	v_fmac_f32_e32 v67, v89, v36
	v_mov_b32_e32 v36, 0xff7fffff
	v_cmp_gt_i32_e64 s[30:31], s27, v35
	v_fma_f32 v68, v89, v37, v68
	v_cndmask_b32_e64 v37, v36, v52, s[28:29]
	v_cndmask_b32_e64 v35, v36, v53, s[30:31]
	v_fmac_f32_e32 v69, v89, v40
	v_max3_f32 v35, v37, s33, v35
	v_or_b32_e32 v37, 2, v34
	v_or_b32_e32 v40, 3, v34
	v_cmp_gt_i32_e64 s[34:35], s27, v37
	v_cmp_gt_i32_e64 s[36:37], s27, v40
	v_cvt_f32_i32_e32 v42, v42
	v_cndmask_b32_e64 v37, v36, v78, s[34:35]
	v_cndmask_b32_e64 v40, v36, v79, s[36:37]
	v_max3_f32 v35, v35, v37, v40
	v_or_b32_e32 v37, 16, v34
	v_or_b32_e32 v40, 17, v34
	v_cmp_gt_i32_e64 s[22:23], s27, v37
	v_cmp_gt_i32_e64 s[24:25], s27, v40
	v_fmac_f32_e32 v71, v89, v42
	v_cndmask_b32_e64 v37, v36, v76, s[22:23]
	v_cndmask_b32_e64 v40, v36, v77, s[24:25]
	v_max3_f32 v35, v35, v37, v40
	v_or_b32_e32 v37, 18, v34
	v_or_b32_e32 v40, 19, v34
	v_cmp_gt_i32_e64 s[18:19], s27, v37
	v_cmp_gt_i32_e64 s[20:21], s27, v40
	v_cvt_f32_i32_e32 v41, v41
	v_cndmask_b32_e64 v37, v36, v74, s[18:19]
	v_cndmask_b32_e64 v40, v36, v75, s[20:21]
	v_max3_f32 v35, v35, v37, v40
	v_or_b32_e32 v37, 32, v34
	v_or_b32_e32 v40, 33, v34
	v_cmp_gt_i32_e64 s[14:15], s27, v37
	v_cmp_gt_i32_e64 s[16:17], s27, v40
	v_fma_f32 v66, v89, v41, v66
	v_cndmask_b32_e64 v37, v36, v72, s[14:15]
	v_cndmask_b32_e64 v40, v36, v73, s[16:17]
	v_max3_f32 v35, v35, v37, v40
	v_or_b32_e32 v37, 34, v34
	v_or_b32_e32 v40, 35, v34
	v_cmp_gt_i32_e64 s[10:11], s27, v37
	v_cmp_gt_i32_e64 s[12:13], s27, v40
	s_nop 0
	v_cndmask_b32_e64 v37, v36, v70, s[10:11]
	v_cndmask_b32_e64 v40, v36, v71, s[12:13]
	v_max3_f32 v35, v35, v37, v40
	v_or_b32_e32 v37, 48, v34
	v_or_b32_e32 v40, 49, v34
	v_cmp_gt_i32_e64 s[6:7], s27, v37
	v_cmp_gt_i32_e64 s[8:9], s27, v40
	s_nop 0
	v_cndmask_b32_e64 v37, v36, v68, s[6:7]
	v_cndmask_b32_e64 v40, v36, v69, s[8:9]
	v_max3_f32 v35, v35, v37, v40
	v_or_b32_e32 v37, 50, v34
	v_or_b32_e32 v34, 51, v34
	v_cmp_gt_i32_e32 vcc, s27, v37
	v_cmp_gt_i32_e64 s[4:5], s27, v34
	global_load_dwordx4 v[46:49], v[38:39], off
	s_nop 0
	global_load_dwordx4 v[38:41], v[38:39], off offset:16
	v_cndmask_b32_e32 v37, v36, v66, vcc
	v_cndmask_b32_e64 v34, v36, v67, s[4:5]
	v_max3_f32 v56, v35, v37, v34
	v_mbcnt_lo_u32_b32 v34, -1, 0
	v_mbcnt_hi_u32_b32 v57, -1, v34
	v_and_b32_e32 v34, 64, v57
	v_add_u32_e32 v60, 64, v34
	v_xor_b32_e32 v34, 32, v57
	v_cmp_lt_i32_e64 s[38:39], v34, v60
	s_nop 1
	v_cndmask_b32_e64 v34, v57, v34, s[38:39]
	v_lshlrev_b32_e32 v87, 2, v34
	ds_bpermute_b32 v61, v87, v56
	v_lshl_add_u64 v[34:35], v[62:63], 0, v[58:59]
	global_load_dwordx4 v[42:45], v[34:35], off
	s_nop 0
	global_load_dwordx4 v[34:37], v[34:35], off offset:16
	s_waitcnt lgkmcnt(0)
	v_max_f32_e32 v58, v61, v61
	v_max_f32_e32 v64, v56, v58
	v_xor_b32_e32 v56, 16, v57
	v_cmp_lt_i32_e64 s[38:39], v56, v60
	s_nop 1
	v_cndmask_b32_e64 v56, v57, v56, s[38:39]
	v_lshlrev_b32_e32 v89, 2, v56
	ds_bpermute_b32 v65, v89, v64
	global_load_dwordx4 v[58:61], v[54:55], off
	s_nop 0
	global_load_dwordx4 v[54:57], v[54:55], off offset:16
	s_waitcnt lgkmcnt(0)
	v_max_f32_e32 v62, v65, v65
	v_max_f32_e32 v86, v64, v62
	v_sub_f32_e32 v52, v52, v86
	v_mul_f32_e32 v52, 0x3fb8aa3b, v52
	v_exp_f32_e32 v80, v52
	v_sub_f32_e32 v52, v53, v86
	v_mul_f32_e32 v52, 0x3fb8aa3b, v52
	v_exp_f32_e32 v81, v52
	global_load_dwordx4 v[62:65], v[50:51], off
	s_nop 0
	global_load_dwordx4 v[50:53], v[50:51], off offset:16
	v_sub_f32_e32 v78, v78, v86
	v_mul_f32_e32 v78, 0x3fb8aa3b, v78
	v_sub_f32_e32 v79, v79, v86
	v_exp_f32_e32 v78, v78
	v_mul_f32_e32 v79, 0x3fb8aa3b, v79
	v_sub_f32_e32 v76, v76, v86
	v_exp_f32_e32 v79, v79
	v_mul_f32_e32 v76, 0x3fb8aa3b, v76
	v_sub_f32_e32 v77, v77, v86
	v_cndmask_b32_e64 v80, 0, v80, s[28:29]
	v_exp_f32_e32 v76, v76
	v_mul_f32_e32 v77, 0x3fb8aa3b, v77
	v_sub_f32_e32 v74, v74, v86
	v_add_f32_e32 v91, 0, v80
	v_cndmask_b32_e64 v81, 0, v81, s[30:31]
	v_exp_f32_e32 v77, v77
	v_mul_f32_e32 v74, 0x3fb8aa3b, v74
	v_sub_f32_e32 v75, v75, v86
	v_add_f32_e32 v91, v91, v81
	;; [unrolled: 5-line block ×10, first 2 shown]
	v_cndmask_b32_e64 v70, 0, v70, s[10:11]
	v_exp_f32_e32 v66, v66
	v_mul_f32_e32 v67, 0x3fb8aa3b, v67
	v_add_f32_e32 v91, v91, v70
	v_cndmask_b32_e64 v71, 0, v71, s[12:13]
	v_exp_f32_e32 v67, v67
	v_add_f32_e32 v91, v91, v71
	v_cndmask_b32_e64 v68, 0, v68, s[6:7]
	v_add_f32_e32 v91, v91, v68
	v_cndmask_b32_e64 v69, 0, v69, s[8:9]
	v_add_f32_e32 v91, v91, v69
	v_cndmask_b32_e32 v66, 0, v66, vcc
	v_add_f32_e32 v91, v91, v66
	v_cndmask_b32_e64 v67, 0, v67, s[4:5]
	v_add_f32_e32 v91, v91, v67
	ds_bpermute_b32 v87, v87, v91
	s_load_dword s7, s[0:1], 0x98
	v_cmp_gt_u32_e32 vcc, 16, v83
	s_waitcnt lgkmcnt(0)
	s_barrier
	v_add_f32_e32 v87, v91, v87
	ds_bpermute_b32 v89, v89, v87
	s_waitcnt lgkmcnt(0)
	s_and_saveexec_b64 s[4:5], vcc
	s_cbranch_execz .LBB642_15
; %bb.14:
	v_add_f32_e32 v83, v87, v89
	v_lshlrev_b32_e32 v87, 2, v90
	ds_write2st64_b32 v87, v86, v83 offset1:1
.LBB642_15:
	s_or_b64 exec, exec, s[4:5]
	v_lshlrev_b32_e32 v89, 2, v84
	s_load_dword s6, s[0:1], 0x94
	s_waitcnt lgkmcnt(0)
	s_barrier
	ds_read2_b32 v[86:87], v89 offset1:16
	ds_read2_b32 v[90:91], v89 offset0:32 offset1:48
	ds_read2_b32 v[92:93], v89 offset0:64 offset1:80
	;; [unrolled: 1-line block ×3, first 2 shown]
	s_movk_i32 s8, 0x7fff
	s_waitcnt lgkmcnt(3)
	v_max3_f32 v83, v86, s33, v87
	s_waitcnt lgkmcnt(2)
	v_max3_f32 v83, v83, v90, v91
	v_sub_f32_e32 v86, v86, v83
	v_mul_f32_e32 v86, 0x3fb8aa3b, v86
	v_exp_f32_e32 v1, v86
	v_sub_f32_e32 v86, v87, v83
	v_mul_f32_e32 v86, 0x3fb8aa3b, v86
	v_exp_f32_e32 v87, v86
	v_sub_f32_e32 v86, v90, v83
	v_mul_f32_e32 v86, 0x3fb8aa3b, v86
	v_exp_f32_e32 v90, v86
	v_sub_f32_e32 v86, v91, v83
	v_mul_f32_e32 v86, 0x3fb8aa3b, v86
	v_exp_f32_e32 v89, v86
	s_waitcnt lgkmcnt(1)
	v_fma_f32 v86, v1, v92, 0
	v_fmac_f32_e32 v86, v87, v93
	s_waitcnt lgkmcnt(0)
	v_fmac_f32_e32 v86, v90, v94
	v_fmac_f32_e32 v86, v89, v95
	v_add_f32_e32 v91, 0x358637bd, v86
	v_div_scale_f32 v92, s[4:5], v91, v91, 1.0
	v_rcp_f32_e32 v93, v92
	s_mov_b32 s9, 0x7060302
	s_mul_i32 s7, s7, 11
	v_fma_f32 v94, -v92, v93, 1.0
	v_fmac_f32_e32 v93, v94, v93
	v_div_scale_f32 v94, vcc, 1.0, v91, 1.0
	v_mul_f32_e32 v95, v94, v93
	v_fma_f32 v88, -v92, v95, v94
	v_fmac_f32_e32 v95, v88, v93
	v_fma_f32 v88, -v92, v95, v94
	v_div_fmas_f32 v88, v88, v93, v95
	v_cmp_eq_u32_e32 vcc, 1, v85
	v_div_fixup_f32 v88, v88, v91, 1.0
	s_barrier
	v_cndmask_b32_e32 v1, v1, v87, vcc
	v_cmp_eq_u32_e32 vcc, 2, v85
	s_nop 1
	v_cndmask_b32_e32 v1, v1, v90, vcc
	v_cmp_eq_u32_e32 vcc, 3, v85
	s_nop 1
	v_cndmask_b32_e32 v1, v1, v89, vcc
	v_mul_f32_e32 v90, v1, v88
	v_pk_mul_f32 v[80:81], v[90:91], v[80:81] op_sel_hi:[0,1]
	v_bfe_u32 v1, v81, 16, 1
	v_bfe_u32 v87, v80, 16, 1
	v_pk_mul_f32 v[78:79], v[90:91], v[78:79] op_sel_hi:[0,1]
	v_add3_u32 v80, v80, v87, s8
	v_add3_u32 v1, v81, v1, s8
	v_perm_b32 v80, v1, v80, s9
	v_bfe_u32 v1, v79, 16, 1
	v_bfe_u32 v81, v78, 16, 1
	v_add3_u32 v78, v78, v81, s8
	v_add3_u32 v1, v79, v1, s8
	v_bfe_u32 v87, v0, 4, 2
	v_perm_b32 v81, v1, v78, s9
	v_lshlrev_b32_e32 v1, 3, v87
	v_lshlrev_b32_e32 v79, 5, v84
	;; [unrolled: 1-line block ×3, first 2 shown]
	v_pk_mul_f32 v[76:77], v[90:91], v[76:77] op_sel_hi:[0,1]
	v_or3_b32 v78, v78, v79, v1
	v_bfe_u32 v1, v77, 16, 1
	v_bfe_u32 v85, v76, 16, 1
	v_pk_mul_f32 v[74:75], v[90:91], v[74:75] op_sel_hi:[0,1]
	v_add3_u32 v76, v76, v85, s8
	v_add3_u32 v1, v77, v1, s8
	v_perm_b32 v76, v1, v76, s9
	v_bfe_u32 v1, v75, 16, 1
	v_bfe_u32 v77, v74, 16, 1
	v_add3_u32 v74, v74, v77, s8
	v_add3_u32 v1, v75, v1, s8
	v_pk_mul_f32 v[72:73], v[90:91], v[72:73] op_sel_hi:[0,1]
	v_perm_b32 v77, v1, v74, s9
	v_bfe_u32 v1, v73, 16, 1
	v_bfe_u32 v74, v72, 16, 1
	v_pk_mul_f32 v[70:71], v[90:91], v[70:71] op_sel_hi:[0,1]
	v_add3_u32 v72, v72, v74, s8
	v_add3_u32 v1, v73, v1, s8
	v_perm_b32 v72, v1, v72, s9
	v_bfe_u32 v1, v71, 16, 1
	v_bfe_u32 v73, v70, 16, 1
	v_add3_u32 v70, v70, v73, s8
	v_add3_u32 v1, v71, v1, s8
	v_pk_mul_f32 v[68:69], v[90:91], v[68:69] op_sel_hi:[0,1]
	v_perm_b32 v73, v1, v70, s9
	v_bfe_u32 v1, v69, 16, 1
	v_bfe_u32 v70, v68, 16, 1
	v_pk_mul_f32 v[66:67], v[90:91], v[66:67] op_sel_hi:[0,1]
	v_add3_u32 v68, v68, v70, s8
	v_add3_u32 v1, v69, v1, s8
	v_perm_b32 v68, v1, v68, s9
	v_bfe_u32 v1, v67, 16, 1
	v_bfe_u32 v69, v66, 16, 1
	v_add3_u32 v66, v66, v69, s8
	v_add3_u32 v1, v67, v1, s8
	v_perm_b32 v69, v1, v66, s9
	v_cmp_gt_u32_e32 vcc, 11, v0
	ds_write2st64_b64 v78, v[80:81], v[76:77] offset1:1
	ds_write2st64_b64 v78, v[72:73], v[68:69] offset0:2 offset1:3
	s_and_saveexec_b64 s[4:5], vcc
	s_cbranch_execz .LBB642_17
; %bb.16:
	s_mov_b32 s41, 0
	v_mov_b32_e32 v85, 0
	v_lshl_add_u64 v[66:67], s[40:41], 0, v[84:85]
	v_mov_b32_e32 v1, s7
	v_mad_u64_u32 v[66:67], s[10:11], s2, v1, v[66:67]
	s_mul_i32 s3, s3, s7
	v_mov_b32_e32 v68, s26
	v_mov_b32_e32 v69, v85
	s_load_dwordx4 s[12:15], s[0:1], 0x58
	v_add_u32_e32 v1, s3, v67
	v_mad_u64_u32 v[66:67], s[10:11], v66, s6, v[68:69]
	v_mov_b32_e32 v68, v67
	v_mad_u64_u32 v[68:69], s[10:11], v1, s6, v[68:69]
	v_mov_b32_e32 v67, v68
	v_lshlrev_b64 v[66:67], 2, v[66:67]
	s_waitcnt lgkmcnt(0)
	v_lshl_add_u64 v[68:69], s[14:15], 0, v[66:67]
	v_lshl_add_u64 v[66:67], s[12:13], 0, v[66:67]
	global_store_dword v[68:69], v83, off
	global_store_dword v[66:67], v86, off
.LBB642_17:
	s_or_b64 exec, exec, s[4:5]
	v_lshl_or_b32 v1, v87, 9, v79
	s_waitcnt lgkmcnt(0)
	s_barrier
	ds_read_b128 v[70:73], v1
	ds_read_b128 v[66:69], v1 offset:16
	s_waitcnt vmcnt(15) lgkmcnt(1)
	v_mfma_f32_16x16x16_bf16 v[74:77], v[30:31], v[70:71], 0
	s_mov_b32 s3, 0
	v_cmp_gt_u32_e32 vcc, 64, v0
	v_mfma_f32_16x16x16_bf16 v[30:33], v[32:33], v[72:73], v[74:77]
	s_waitcnt vmcnt(14) lgkmcnt(0)
	v_mfma_f32_16x16x16_bf16 v[30:33], v[26:27], v[66:67], v[30:33]
	v_mfma_f32_16x16x16_bf16 v[26:29], v[28:29], v[68:69], v[30:33]
	s_nop 5
	ds_read_b128 v[30:33], v1 offset:2048
	ds_read_b128 v[74:77], v1 offset:2064
	s_waitcnt vmcnt(13) lgkmcnt(1)
	v_mfma_f32_16x16x16_bf16 v[26:29], v[22:23], v[30:31], v[26:29]
	v_mfma_f32_16x16x16_bf16 v[22:25], v[24:25], v[32:33], v[26:29]
	s_waitcnt vmcnt(12) lgkmcnt(0)
	v_mfma_f32_16x16x16_bf16 v[22:25], v[18:19], v[74:75], v[22:25]
	v_mfma_f32_16x16x16_bf16 v[18:21], v[20:21], v[76:77], v[22:25]
	s_nop 5
	ds_read_b128 v[22:25], v1 offset:4096
	ds_read_b128 v[26:29], v1 offset:4112
	s_waitcnt vmcnt(11) lgkmcnt(1)
	v_mfma_f32_16x16x16_bf16 v[18:21], v[14:15], v[22:23], v[18:21]
	v_mfma_f32_16x16x16_bf16 v[14:17], v[16:17], v[24:25], v[18:21]
	s_waitcnt vmcnt(10) lgkmcnt(0)
	v_mfma_f32_16x16x16_bf16 v[14:17], v[10:11], v[26:27], v[14:17]
	v_mfma_f32_16x16x16_bf16 v[10:13], v[12:13], v[28:29], v[14:17]
	s_nop 5
	ds_read_b128 v[14:17], v1 offset:6144
	ds_read_b128 v[18:21], v1 offset:6160
	s_waitcnt lgkmcnt(0)
	s_barrier
	s_waitcnt vmcnt(9)
	v_mfma_f32_16x16x16_bf16 v[10:13], v[6:7], v[14:15], v[10:13]
	v_mfma_f32_16x16x16_bf16 v[6:9], v[8:9], v[16:17], v[10:13]
	s_waitcnt vmcnt(8)
	v_mfma_f32_16x16x16_bf16 v[6:9], v[2:3], v[18:19], v[6:9]
	v_mfma_f32_16x16x16_bf16 v[2:5], v[4:5], v[20:21], v[6:9]
	;; [unrolled: 3-line block ×3, first 2 shown]
	s_nop 3
	v_bfe_u32 v1, v3, 16, 1
	v_bfe_u32 v10, v2, 16, 1
	v_add3_u32 v2, v2, v10, s8
	s_waitcnt vmcnt(6)
	v_mfma_f32_16x16x16_bf16 v[6:9], v[38:39], v[66:67], v[6:9]
	v_add3_u32 v1, v3, v1, s8
	v_perm_b32 v10, v1, v2, s9
	v_bfe_u32 v1, v5, 16, 1
	v_mfma_f32_16x16x16_bf16 v[6:9], v[40:41], v[68:69], v[6:9]
	v_bfe_u32 v2, v4, 16, 1
	v_add3_u32 v2, v4, v2, s8
	v_add3_u32 v1, v5, v1, s8
	s_waitcnt vmcnt(5)
	v_mfma_f32_16x16x16_bf16 v[6:9], v[42:43], v[30:31], v[6:9]
	v_perm_b32 v11, v1, v2, s9
	v_mfma_f32_16x16x16_bf16 v[6:9], v[44:45], v[32:33], v[6:9]
	s_waitcnt vmcnt(4)
	v_mfma_f32_16x16x16_bf16 v[6:9], v[34:35], v[74:75], v[6:9]
	v_mfma_f32_16x16x16_bf16 v[6:9], v[36:37], v[76:77], v[6:9]
	s_waitcnt vmcnt(3)
	v_mfma_f32_16x16x16_bf16 v[6:9], v[58:59], v[22:23], v[6:9]
	;; [unrolled: 3-line block ×5, first 2 shown]
	v_mfma_f32_16x16x16_bf16 v[2:5], v[52:53], v[20:21], v[6:9]
	s_nop 6
	v_bfe_u32 v1, v3, 16, 1
	v_bfe_u32 v6, v2, 16, 1
	v_add3_u32 v2, v2, v6, s8
	v_add3_u32 v1, v3, v1, s8
	v_perm_b32 v2, v1, v2, s9
	v_bfe_u32 v1, v5, 16, 1
	v_bfe_u32 v3, v4, 16, 1
	v_add3_u32 v3, v4, v3, s8
	v_add3_u32 v1, v5, v1, s8
	v_perm_b32 v3, v1, v3, s9
	ds_write2st64_b64 v78, v[10:11], v[2:3] offset1:1
	s_waitcnt lgkmcnt(0)
	s_barrier
	s_and_saveexec_b64 s[4:5], vcc
	s_cbranch_execz .LBB642_20
; %bb.18:
	s_load_dwordx2 s[4:5], s[0:1], 0x68
	s_lshl_b32 s0, s6, 7
	s_mul_i32 s1, s7, s2
	v_lshlrev_b32_e32 v3, 6, v84
	s_mul_hi_u32 s7, s1, s0
	s_mul_i32 s6, s1, s0
	v_lshlrev_b32_e32 v2, 4, v0
	v_lshl_or_b32 v0, v0, 10, v3
	s_lshl_b64 s[6:7], s[6:7], 1
	v_lshlrev_b32_e32 v1, 5, v87
	v_and_b32_e32 v2, 16, v2
	v_and_b32_e32 v0, 0x1a00, v0
	s_waitcnt lgkmcnt(0)
	s_add_u32 s1, s4, s6
	v_or3_b32 v2, v0, v1, v2
	s_addc_u32 s4, s5, s7
	s_lshl_b32 s2, s26, 7
	s_lshl_b64 s[2:3], s[2:3], 1
	ds_read_b128 v[4:7], v2 offset:128
	ds_read_b128 v[8:11], v2
	s_add_u32 s2, s1, s2
	s_addc_u32 s3, s4, s3
	v_mov_b32_e32 v83, 0
	v_add_u32_e32 v3, s40, v87
	v_lshl_add_u64 v[0:1], s[2:3], 0, v[82:83]
	v_mad_u64_u32 v[12:13], s[2:3], v3, s0, 0
	v_lshl_add_u64 v[12:13], v[12:13], 1, v[0:1]
	v_add_u32_e32 v3, 4, v3
	s_waitcnt lgkmcnt(0)
	global_store_dwordx4 v[12:13], v[8:11], off
	v_cmp_ne_u32_e32 vcc, 3, v87
	s_nop 0
	v_mad_u64_u32 v[8:9], s[2:3], v3, s0, 0
	v_lshl_add_u64 v[8:9], v[8:9], 1, v[0:1]
	global_store_dwordx4 v[8:9], v[4:7], off
	s_and_b64 exec, exec, vcc
	s_cbranch_execz .LBB642_20
; %bb.19:
	ds_read_b128 v[2:5], v2 offset:256
	v_add3_u32 v6, s40, v87, 8
	v_mad_u64_u32 v[6:7], s[0:1], v6, s0, 0
	v_lshl_add_u64 v[0:1], v[6:7], 1, v[0:1]
	s_waitcnt lgkmcnt(0)
	global_store_dwordx4 v[0:1], v[2:5], off
.LBB642_20:
	s_endpgm
	.section	.rodata,"a",@progbits
	.p2align	6, 0x0
	.amdhsa_kernel _Z39paged_attention_ll4mi_QKV_mfma16_kernelI14__hip_bfloat16S0_LN4vllm18Fp8KVCacheDataTypeE0ES0_Li16ELi128ELi256ELb1ELi11EEvPKT_PKT0_S8_ifPKiSA_SA_iPKfiiiPfSD_PS3_PT2_iSC_SC_
		.amdhsa_group_segment_fixed_size 8192
		.amdhsa_private_segment_fixed_size 0
		.amdhsa_kernarg_size 400
		.amdhsa_user_sgpr_count 2
		.amdhsa_user_sgpr_dispatch_ptr 0
		.amdhsa_user_sgpr_queue_ptr 0
		.amdhsa_user_sgpr_kernarg_segment_ptr 1
		.amdhsa_user_sgpr_dispatch_id 0
		.amdhsa_user_sgpr_kernarg_preload_length 0
		.amdhsa_user_sgpr_kernarg_preload_offset 0
		.amdhsa_user_sgpr_private_segment_size 0
		.amdhsa_uses_dynamic_stack 0
		.amdhsa_enable_private_segment 0
		.amdhsa_system_sgpr_workgroup_id_x 1
		.amdhsa_system_sgpr_workgroup_id_y 1
		.amdhsa_system_sgpr_workgroup_id_z 1
		.amdhsa_system_sgpr_workgroup_info 0
		.amdhsa_system_vgpr_workitem_id 0
		.amdhsa_next_free_vgpr 96
		.amdhsa_next_free_sgpr 42
		.amdhsa_accum_offset 96
		.amdhsa_reserve_vcc 1
		.amdhsa_float_round_mode_32 0
		.amdhsa_float_round_mode_16_64 0
		.amdhsa_float_denorm_mode_32 3
		.amdhsa_float_denorm_mode_16_64 3
		.amdhsa_dx10_clamp 1
		.amdhsa_ieee_mode 1
		.amdhsa_fp16_overflow 0
		.amdhsa_tg_split 0
		.amdhsa_exception_fp_ieee_invalid_op 0
		.amdhsa_exception_fp_denorm_src 0
		.amdhsa_exception_fp_ieee_div_zero 0
		.amdhsa_exception_fp_ieee_overflow 0
		.amdhsa_exception_fp_ieee_underflow 0
		.amdhsa_exception_fp_ieee_inexact 0
		.amdhsa_exception_int_div_zero 0
	.end_amdhsa_kernel
	.section	.text._Z39paged_attention_ll4mi_QKV_mfma16_kernelI14__hip_bfloat16S0_LN4vllm18Fp8KVCacheDataTypeE0ES0_Li16ELi128ELi256ELb1ELi11EEvPKT_PKT0_S8_ifPKiSA_SA_iPKfiiiPfSD_PS3_PT2_iSC_SC_,"axG",@progbits,_Z39paged_attention_ll4mi_QKV_mfma16_kernelI14__hip_bfloat16S0_LN4vllm18Fp8KVCacheDataTypeE0ES0_Li16ELi128ELi256ELb1ELi11EEvPKT_PKT0_S8_ifPKiSA_SA_iPKfiiiPfSD_PS3_PT2_iSC_SC_,comdat
.Lfunc_end642:
	.size	_Z39paged_attention_ll4mi_QKV_mfma16_kernelI14__hip_bfloat16S0_LN4vllm18Fp8KVCacheDataTypeE0ES0_Li16ELi128ELi256ELb1ELi11EEvPKT_PKT0_S8_ifPKiSA_SA_iPKfiiiPfSD_PS3_PT2_iSC_SC_, .Lfunc_end642-_Z39paged_attention_ll4mi_QKV_mfma16_kernelI14__hip_bfloat16S0_LN4vllm18Fp8KVCacheDataTypeE0ES0_Li16ELi128ELi256ELb1ELi11EEvPKT_PKT0_S8_ifPKiSA_SA_iPKfiiiPfSD_PS3_PT2_iSC_SC_
                                        ; -- End function
	.section	.AMDGPU.csdata,"",@progbits
; Kernel info:
; codeLenInByte = 5004
; NumSgprs: 48
; NumVgprs: 96
; NumAgprs: 0
; TotalNumVgprs: 96
; ScratchSize: 0
; MemoryBound: 0
; FloatMode: 240
; IeeeMode: 1
; LDSByteSize: 8192 bytes/workgroup (compile time only)
; SGPRBlocks: 5
; VGPRBlocks: 11
; NumSGPRsForWavesPerEU: 48
; NumVGPRsForWavesPerEU: 96
; AccumOffset: 96
; Occupancy: 5
; WaveLimiterHint : 1
; COMPUTE_PGM_RSRC2:SCRATCH_EN: 0
; COMPUTE_PGM_RSRC2:USER_SGPR: 2
; COMPUTE_PGM_RSRC2:TRAP_HANDLER: 0
; COMPUTE_PGM_RSRC2:TGID_X_EN: 1
; COMPUTE_PGM_RSRC2:TGID_Y_EN: 1
; COMPUTE_PGM_RSRC2:TGID_Z_EN: 1
; COMPUTE_PGM_RSRC2:TIDIG_COMP_CNT: 0
; COMPUTE_PGM_RSRC3_GFX90A:ACCUM_OFFSET: 23
; COMPUTE_PGM_RSRC3_GFX90A:TG_SPLIT: 0
	.section	.text._Z39paged_attention_ll4mi_QKV_mfma16_kernelI14__hip_bfloat16S0_LN4vllm18Fp8KVCacheDataTypeE0ES0_Li16ELi128ELi256ELb1ELi12EEvPKT_PKT0_S8_ifPKiSA_SA_iPKfiiiPfSD_PS3_PT2_iSC_SC_,"axG",@progbits,_Z39paged_attention_ll4mi_QKV_mfma16_kernelI14__hip_bfloat16S0_LN4vllm18Fp8KVCacheDataTypeE0ES0_Li16ELi128ELi256ELb1ELi12EEvPKT_PKT0_S8_ifPKiSA_SA_iPKfiiiPfSD_PS3_PT2_iSC_SC_,comdat
	.protected	_Z39paged_attention_ll4mi_QKV_mfma16_kernelI14__hip_bfloat16S0_LN4vllm18Fp8KVCacheDataTypeE0ES0_Li16ELi128ELi256ELb1ELi12EEvPKT_PKT0_S8_ifPKiSA_SA_iPKfiiiPfSD_PS3_PT2_iSC_SC_ ; -- Begin function _Z39paged_attention_ll4mi_QKV_mfma16_kernelI14__hip_bfloat16S0_LN4vllm18Fp8KVCacheDataTypeE0ES0_Li16ELi128ELi256ELb1ELi12EEvPKT_PKT0_S8_ifPKiSA_SA_iPKfiiiPfSD_PS3_PT2_iSC_SC_
	.globl	_Z39paged_attention_ll4mi_QKV_mfma16_kernelI14__hip_bfloat16S0_LN4vllm18Fp8KVCacheDataTypeE0ES0_Li16ELi128ELi256ELb1ELi12EEvPKT_PKT0_S8_ifPKiSA_SA_iPKfiiiPfSD_PS3_PT2_iSC_SC_
	.p2align	8
	.type	_Z39paged_attention_ll4mi_QKV_mfma16_kernelI14__hip_bfloat16S0_LN4vllm18Fp8KVCacheDataTypeE0ES0_Li16ELi128ELi256ELb1ELi12EEvPKT_PKT0_S8_ifPKiSA_SA_iPKfiiiPfSD_PS3_PT2_iSC_SC_,@function
_Z39paged_attention_ll4mi_QKV_mfma16_kernelI14__hip_bfloat16S0_LN4vllm18Fp8KVCacheDataTypeE0ES0_Li16ELi128ELi256ELb1ELi12EEvPKT_PKT0_S8_ifPKiSA_SA_iPKfiiiPfSD_PS3_PT2_iSC_SC_: ; @_Z39paged_attention_ll4mi_QKV_mfma16_kernelI14__hip_bfloat16S0_LN4vllm18Fp8KVCacheDataTypeE0ES0_Li16ELi128ELi256ELb1ELi12EEvPKT_PKT0_S8_ifPKiSA_SA_iPKfiiiPfSD_PS3_PT2_iSC_SC_
; %bb.0:
	s_load_dwordx2 s[8:9], s[0:1], 0x30
	s_mov_b32 s26, s3
	s_mov_b64 s[6:7], 0
	s_waitcnt lgkmcnt(0)
	s_cmp_lg_u64 s[8:9], 0
	s_cselect_b64 s[10:11], -1, 0
	s_and_b64 vcc, exec, s[10:11]
	s_cbranch_vccz .LBB643_7
; %bb.1:
	s_add_i32 s12, s2, 1
	s_mov_b32 s13, 0
	s_lshl_b64 s[14:15], s[12:13], 2
	s_add_u32 s14, s8, s14
	s_mov_b32 s3, s13
	s_addc_u32 s15, s9, s15
	s_lshl_b64 s[12:13], s[2:3], 2
	s_add_u32 s12, s8, s12
	s_addc_u32 s13, s9, s13
	s_load_dword s5, s[14:15], 0x0
	s_load_dword s16, s[12:13], 0x0
	s_waitcnt lgkmcnt(0)
	s_sub_i32 s5, s5, s16
	s_cmp_eq_u32 s5, 1
	s_cselect_b64 s[12:13], -1, 0
	s_andn2_b64 vcc, exec, s[6:7]
	s_cbranch_vccnz .LBB643_3
.LBB643_2:
	s_mov_b32 s3, 0
	s_mov_b64 s[12:13], -1
.LBB643_3:
	s_andn2_b64 vcc, exec, s[12:13]
	s_cbranch_vccnz .LBB643_19
; %bb.4:
	s_load_dwordx2 s[6:7], s[0:1], 0x28
	s_lshl_b64 s[12:13], s[2:3], 2
	s_waitcnt lgkmcnt(0)
	s_add_u32 s6, s6, s12
	s_addc_u32 s7, s7, s13
	s_load_dword s27, s[6:7], 0x0
	s_lshl_b32 s18, s26, 8
	s_waitcnt lgkmcnt(0)
	s_cmp_ge_i32 s18, s27
	s_cbranch_scc1 .LBB643_19
; %bb.5:
	s_load_dwordx2 s[6:7], s[0:1], 0x20
	s_load_dword s5, s[0:1], 0x38
	s_add_i32 s14, s27, 15
	s_ashr_i32 s15, s14, 31
	v_and_b32_e32 v1, 0xcf, v0
	s_lshr_b32 s15, s15, 28
	v_add_u32_e32 v1, s18, v1
	s_add_i32 s14, s14, s15
	v_ashrrev_i32_e32 v2, 31, v1
	s_ashr_i32 s19, s14, 4
	v_lshrrev_b32_e32 v4, 28, v2
	s_add_i32 s19, s19, -1
	s_waitcnt lgkmcnt(0)
	s_mul_i32 s14, s2, s5
	s_mov_b32 s15, 0
	v_add_u32_e32 v2, v1, v4
	s_lshl_b64 s[14:15], s[14:15], 2
	v_ashrrev_i32_e32 v2, 4, v2
	v_mov_b32_e32 v5, s19
	v_cmp_gt_i32_e32 vcc, s27, v1
	s_add_u32 s6, s6, s14
	s_addc_u32 s7, s7, s15
	v_cndmask_b32_e32 v2, v5, v2, vcc
	v_ashrrev_i32_e32 v3, 31, v2
	v_lshl_add_u64 v[6:7], v[2:3], 2, s[6:7]
	v_or_b32_e32 v2, 16, v1
	v_add_u32_e32 v3, v2, v4
	v_ashrrev_i32_e32 v3, 4, v3
	v_cmp_gt_i32_e32 vcc, s27, v2
	s_load_dwordx2 s[14:15], s[0:1], 0x8
	s_nop 0
	v_cndmask_b32_e32 v2, v5, v3, vcc
	v_ashrrev_i32_e32 v3, 31, v2
	v_lshl_add_u64 v[8:9], v[2:3], 2, s[6:7]
	v_or_b32_e32 v2, 32, v1
	v_add_u32_e32 v3, v2, v4
	v_ashrrev_i32_e32 v3, 4, v3
	v_cmp_gt_i32_e32 vcc, s27, v2
	v_or_b32_e32 v1, 48, v1
	s_nop 0
	v_cndmask_b32_e32 v2, v5, v3, vcc
	v_ashrrev_i32_e32 v3, 31, v2
	v_lshl_add_u64 v[10:11], v[2:3], 2, s[6:7]
	v_add_u32_e32 v2, v1, v4
	v_ashrrev_i32_e32 v2, 4, v2
	v_cmp_gt_i32_e32 vcc, s27, v1
	s_nop 1
	v_cndmask_b32_e32 v2, v5, v2, vcc
	v_ashrrev_i32_e32 v3, 31, v2
	v_lshl_add_u64 v[12:13], v[2:3], 2, s[6:7]
	global_load_dword v5, v[6:7], off
	global_load_dword v4, v[8:9], off
	;; [unrolled: 1-line block ×4, first 2 shown]
	s_andn2_b64 vcc, exec, s[10:11]
	s_cbranch_vccnz .LBB643_8
; %bb.6:
	s_add_u32 s8, s8, s12
	s_addc_u32 s9, s9, s13
	s_load_dword s5, s[8:9], 0x0
	s_branch .LBB643_9
.LBB643_7:
	s_mov_b64 s[12:13], 0
	s_branch .LBB643_2
.LBB643_8:
	s_mov_b32 s5, s2
.LBB643_9:
	s_load_dwordx2 s[12:13], s[0:1], 0x10
	s_load_dwordx4 s[8:11], s[0:1], 0x48
	v_and_b32_e32 v84, 15, v0
	v_lshlrev_b32_e32 v6, 3, v84
	s_waitcnt lgkmcnt(0)
	s_movk_i32 s11, 0xc0
	v_lshrrev_b32_e32 v85, 6, v0
	v_bfe_u32 v1, v0, 4, 2
	s_mul_i32 s40, s4, 12
	v_cmp_gt_u32_e32 vcc, s11, v0
	v_lshlrev_b32_e32 v82, 1, v6
	s_and_saveexec_b64 s[16:17], vcc
	s_cbranch_execz .LBB643_11
; %bb.10:
	s_load_dwordx2 s[20:21], s[0:1], 0x0
	s_ashr_i32 s11, s8, 31
	s_mul_hi_u32 s22, s5, s8
	s_mul_i32 s11, s5, s11
	s_add_i32 s23, s22, s11
	s_mul_i32 s22, s5, s8
	v_lshl_or_b32 v10, v85, 2, v1
	s_lshl_b64 s[22:23], s[22:23], 1
	s_waitcnt lgkmcnt(0)
	s_add_u32 s20, s20, s22
	v_add_lshl_u32 v6, v10, s40, 7
	s_addc_u32 s21, s21, s23
	v_ashrrev_i32_e32 v7, 31, v6
	v_lshl_add_u64 v[6:7], v[6:7], 1, s[20:21]
	v_mov_b32_e32 v83, 0
	v_lshl_add_u64 v[6:7], v[6:7], 0, v[82:83]
	global_load_dwordx4 v[6:9], v[6:7], off
	v_and_b32_e32 v11, 3, v0
	v_lshlrev_b32_e32 v12, 9, v84
	v_lshlrev_b32_e32 v10, 5, v10
	;; [unrolled: 1-line block ×3, first 2 shown]
	v_and_b32_e32 v12, 0x1800, v12
	v_or3_b32 v10, v12, v11, v10
	s_waitcnt vmcnt(0)
	ds_write_b128 v10, v[6:9]
.LBB643_11:
	s_or_b64 exec, exec, s[16:17]
	s_mul_i32 s4, s4, s10
	s_mov_b32 s5, 0
	s_lshl_b64 s[4:5], s[4:5], 1
	s_add_u32 s10, s14, s4
	v_lshlrev_b32_e32 v10, 4, v0
	s_addc_u32 s11, s15, s5
	v_and_b32_e32 v86, 0xf0, v10
	v_mov_b32_e32 v87, 0
	v_lshl_add_u64 v[6:7], s[10:11], 0, v[86:87]
	s_waitcnt vmcnt(3)
	v_mad_i64_i32 v[8:9], s[10:11], v5, s9, 0
	s_waitcnt vmcnt(2)
	v_mad_i64_i32 v[4:5], s[10:11], v4, s9, 0
	v_lshl_add_u64 v[8:9], v[8:9], 1, v[6:7]
	v_and_b32_e32 v86, 0x300, v10
	v_lshl_add_u64 v[4:5], v[4:5], 1, v[6:7]
	v_lshl_add_u64 v[8:9], v[8:9], 0, v[86:87]
	;; [unrolled: 1-line block ×3, first 2 shown]
	s_waitcnt lgkmcnt(0)
	s_barrier
	global_load_dwordx4 v[78:81], v[8:9], off
	global_load_dwordx4 v[74:77], v[8:9], off offset:1024
	global_load_dwordx4 v[70:73], v[8:9], off offset:2048
	;; [unrolled: 1-line block ×3, first 2 shown]
	global_load_dwordx4 v[66:69], v[4:5], off
	global_load_dwordx4 v[62:65], v[4:5], off offset:1024
	global_load_dwordx4 v[58:61], v[4:5], off offset:2048
	global_load_dwordx4 v[14:17], v[4:5], off offset:3072
	s_waitcnt vmcnt(9)
	v_mad_i64_i32 v[4:5], s[10:11], v3, s9, 0
	s_waitcnt vmcnt(8)
	v_mad_i64_i32 v[2:3], s[10:11], v2, s9, 0
	v_lshl_add_u64 v[4:5], v[4:5], 1, v[6:7]
	v_lshl_add_u64 v[2:3], v[2:3], 1, v[6:7]
	;; [unrolled: 1-line block ×4, first 2 shown]
	global_load_dwordx4 v[30:33], v[4:5], off
	global_load_dwordx4 v[26:29], v[4:5], off offset:1024
	global_load_dwordx4 v[22:25], v[4:5], off offset:2048
	;; [unrolled: 1-line block ×3, first 2 shown]
	global_load_dwordx4 v[6:9], v[34:35], off
	s_nop 0
	global_load_dwordx4 v[2:5], v[34:35], off offset:1024
	global_load_dwordx4 v[38:41], v[34:35], off offset:2048
	s_nop 0
	global_load_dwordx4 v[34:37], v[34:35], off offset:3072
	v_add_u32_e32 v42, -12, v84
	v_cmp_gt_u32_e32 vcc, 12, v84
	v_and_b32_e32 v88, 63, v0
	v_mov_b32_e32 v89, 0
	v_cndmask_b32_e32 v42, v42, v84, vcc
	v_lshlrev_b32_e32 v42, 5, v42
	v_lshl_add_u32 v42, v1, 9, v42
	ds_read_b128 v[54:57], v42
	ds_read_b128 v[50:53], v42 offset:2048
	ds_read_b128 v[46:49], v42 offset:4096
	ds_read_b128 v[42:45], v42 offset:6144
	s_and_saveexec_b64 s[10:11], vcc
	s_cbranch_execz .LBB643_13
; %bb.12:
	s_load_dwordx2 s[14:15], s[0:1], 0x40
	v_add_u32_e32 v90, s40, v84
	v_ashrrev_i32_e32 v91, 31, v90
	s_waitcnt lgkmcnt(0)
	v_lshl_add_u64 v[90:91], v[90:91], 2, s[14:15]
	global_load_dword v89, v[90:91], off
.LBB643_13:
	s_or_b64 exec, exec, s[10:11]
	s_waitcnt vmcnt(15) lgkmcnt(3)
	v_mfma_f32_16x16x16_bf16 v[90:93], v[78:79], v[54:55], 0
	s_add_u32 s4, s12, s4
	s_addc_u32 s5, s13, s5
	v_bfe_u32 v1, v0, 4, 2
	v_mfma_f32_16x16x16_bf16 v[78:81], v[80:81], v[56:57], v[90:93]
	s_mov_b32 s33, 0xff7fffff
	s_waitcnt vmcnt(14) lgkmcnt(2)
	v_mfma_f32_16x16x16_bf16 v[78:81], v[74:75], v[50:51], v[78:81]
	v_lshl_or_b32 v90, v85, 4, v84
	v_lshlrev_b32_e32 v86, 5, v90
	v_mfma_f32_16x16x16_bf16 v[74:77], v[76:77], v[52:53], v[78:81]
	s_waitcnt vmcnt(13) lgkmcnt(1)
	v_mfma_f32_16x16x16_bf16 v[74:77], v[70:71], v[46:47], v[74:77]
	v_mfma_f32_16x16x16_bf16 v[70:73], v[72:73], v[48:49], v[74:77]
	s_waitcnt vmcnt(11)
	v_mfma_f32_16x16x16_bf16 v[74:77], v[66:67], v[54:55], 0
	v_mfma_f32_16x16x16_bf16 v[66:69], v[68:69], v[56:57], v[74:77]
	s_nop 5
	v_and_or_b32 v74, v0, 48, s18
	s_waitcnt lgkmcnt(0)
	v_mfma_f32_16x16x16_bf16 v[70:73], v[10:11], v[42:43], v[70:73]
	v_ashrrev_i32_e32 v10, 4, v74
	v_mov_b32_e32 v75, s19
	v_cmp_gt_i32_e32 vcc, s27, v74
	s_waitcnt vmcnt(10)
	v_mfma_f32_16x16x16_bf16 v[66:69], v[62:63], v[50:51], v[66:69]
	v_cndmask_b32_e32 v10, v75, v10, vcc
	v_ashrrev_i32_e32 v11, 31, v10
	v_lshl_add_u64 v[10:11], v[10:11], 2, s[6:7]
	global_load_dword v76, v[10:11], off
	v_mfma_f32_16x16x16_bf16 v[62:65], v[64:65], v[52:53], v[66:69]
	v_or_b32_e32 v10, 64, v74
	v_ashrrev_i32_e32 v11, 4, v10
	v_cmp_gt_i32_e32 vcc, s27, v10
	s_waitcnt vmcnt(10)
	v_mfma_f32_16x16x16_bf16 v[62:65], v[58:59], v[46:47], v[62:65]
	v_cndmask_b32_e32 v10, v75, v11, vcc
	v_ashrrev_i32_e32 v11, 31, v10
	v_lshl_add_u64 v[10:11], v[10:11], 2, s[6:7]
	global_load_dword v78, v[10:11], off
	v_or_b32_e32 v10, 0x80, v74
	v_mfma_f32_16x16x16_bf16 v[58:61], v[60:61], v[48:49], v[62:65]
	v_ashrrev_i32_e32 v11, 4, v10
	v_cmp_gt_i32_e32 vcc, s27, v10
	s_waitcnt vmcnt(9)
	v_mfma_f32_16x16x16_bf16 v[62:65], v[30:31], v[54:55], 0
	v_cndmask_b32_e32 v10, v75, v11, vcc
	v_ashrrev_i32_e32 v11, 31, v10
	v_lshl_add_u64 v[10:11], v[10:11], 2, s[6:7]
	v_mfma_f32_16x16x16_bf16 v[30:33], v[32:33], v[56:57], v[62:65]
	s_nop 2
	global_load_dword v62, v[10:11], off
	v_or_b32_e32 v10, 0xc0, v74
	v_ashrrev_i32_e32 v11, 4, v10
	v_cmp_gt_i32_e32 vcc, s27, v10
	s_waitcnt vmcnt(9)
	v_mfma_f32_16x16x16_bf16 v[30:33], v[26:27], v[50:51], v[30:33]
	v_cndmask_b32_e32 v10, v75, v11, vcc
	v_ashrrev_i32_e32 v11, 31, v10
	v_lshl_add_u64 v[10:11], v[10:11], 2, s[6:7]
	global_load_dword v63, v[10:11], off
	v_mfma_f32_16x16x16_bf16 v[26:29], v[28:29], v[52:53], v[30:33]
	s_load_dword s6, s[0:1], 0x1c
	s_waitcnt vmcnt(3)
	v_mad_i64_i32 v[10:11], s[10:11], v76, s9, 0
	v_mfma_f32_16x16x16_bf16 v[26:29], v[22:23], v[46:47], v[26:29]
	v_lshlrev_b64 v[76:77], 1, v[10:11]
	v_mfma_f32_16x16x16_bf16 v[64:67], v[12:13], v[44:45], v[70:73]
	v_mfma_f32_16x16x16_bf16 v[10:13], v[24:25], v[48:49], v[26:29]
	s_nop 1
	v_lshl_add_u64 v[72:73], s[4:5], 0, v[86:87]
	v_or_b32_e32 v86, 0x800, v86
	v_mfma_f32_16x16x16_bf16 v[30:33], v[14:15], v[42:43], v[58:61]
	v_lshl_add_u64 v[14:15], v[72:73], 0, v[76:77]
	v_mfma_f32_16x16x16_bf16 v[10:13], v[18:19], v[42:43], v[10:13]
	v_mfma_f32_16x16x16_bf16 v[68:71], v[16:17], v[44:45], v[30:33]
	s_nop 3
	global_load_dwordx4 v[30:33], v[14:15], off
	global_load_dwordx4 v[26:29], v[14:15], off offset:16
	s_waitcnt vmcnt(4)
	v_mad_i64_i32 v[14:15], s[10:11], v78, s9, 0
	v_lshlrev_b64 v[58:59], 1, v[14:15]
	v_mfma_f32_16x16x16_bf16 v[92:95], v[20:21], v[44:45], v[10:13]
	s_waitcnt lgkmcnt(0)
	v_pk_mul_f32 v[78:79], s[6:7], v[66:67] op_sel_hi:[0,1]
	s_nop 0
	v_lshl_add_u64 v[10:11], v[72:73], 0, v[58:59]
	global_load_dwordx4 v[22:25], v[10:11], off
	global_load_dwordx4 v[18:21], v[10:11], off offset:16
	v_mfma_f32_16x16x16_bf16 v[10:13], v[6:7], v[54:55], 0
	s_waitcnt vmcnt(5)
	v_mad_i64_i32 v[6:7], s[10:11], v62, s9, 0
	v_lshlrev_b64 v[54:55], 1, v[6:7]
	v_mfma_f32_16x16x16_bf16 v[6:9], v[8:9], v[56:57], v[10:13]
	v_mfma_f32_16x16x16_bf16 v[6:9], v[2:3], v[50:51], v[6:9]
	s_waitcnt vmcnt(4)
	v_mad_i64_i32 v[2:3], s[8:9], v63, s9, 0
	v_lshlrev_b64 v[50:51], 1, v[2:3]
	v_mfma_f32_16x16x16_bf16 v[60:63], v[4:5], v[52:53], v[6:9]
	v_lshl_add_u64 v[10:11], v[72:73], 0, v[54:55]
	v_lshl_add_u64 v[2:3], v[72:73], 0, v[50:51]
	v_pk_mul_f32 v[52:53], s[6:7], v[64:65] op_sel_hi:[0,1]
	v_mfma_f32_16x16x16_bf16 v[72:75], v[38:39], v[46:47], v[60:63]
	global_load_dwordx4 v[14:17], v[10:11], off
	s_nop 0
	global_load_dwordx4 v[10:13], v[10:11], off offset:16
	v_lshl_add_u64 v[62:63], s[4:5], 0, v[86:87]
	v_lshl_add_u64 v[38:39], v[62:63], 0, v[76:77]
	v_mfma_f32_16x16x16_bf16 v[46:49], v[40:41], v[48:49], v[72:75]
	v_pk_mul_f32 v[76:77], s[6:7], v[68:69] op_sel_hi:[0,1]
	v_lshl_add_u64 v[54:55], v[62:63], 0, v[54:55]
	v_lshl_add_u64 v[50:51], v[62:63], 0, v[50:51]
	v_mfma_f32_16x16x16_bf16 v[40:43], v[34:35], v[42:43], v[46:49]
	v_pk_mul_f32 v[74:75], s[6:7], v[70:71] op_sel_hi:[0,1]
	v_pk_mul_f32 v[70:71], s[6:7], v[94:95] op_sel_hi:[0,1]
	;; [unrolled: 1-line block ×3, first 2 shown]
	v_mfma_f32_16x16x16_bf16 v[34:37], v[36:37], v[44:45], v[40:43]
	global_load_dwordx4 v[6:9], v[2:3], off
	s_nop 0
	global_load_dwordx4 v[2:5], v[2:3], off offset:16
	s_nop 3
	v_pk_mul_f32 v[68:69], s[6:7], v[34:35] op_sel_hi:[0,1]
	v_and_b32_e32 v34, 0xc0, v0
	v_add_u32_e32 v34, s18, v34
	v_lshl_or_b32 v34, v1, 2, v34
	v_or_b32_e32 v35, 1, v34
	v_pk_mul_f32 v[66:67], s[6:7], v[36:37] op_sel_hi:[0,1]
	v_subrev_u32_e32 v36, s27, v35
	v_add_u32_e32 v40, 1, v36
	v_add_u32_e32 v41, 2, v36
	v_cvt_f32_i32_e32 v37, v36
	v_cvt_f32_i32_e32 v40, v40
	;; [unrolled: 1-line block ×3, first 2 shown]
	v_add_u32_e32 v42, 3, v36
	v_fma_f32 v52, v89, v37, v52
	v_fmac_f32_e32 v53, v89, v40
	v_fma_f32 v78, v89, v41, v78
	v_add_u32_e32 v37, 16, v36
	v_add_u32_e32 v40, 17, v36
	;; [unrolled: 1-line block ×3, first 2 shown]
	v_cvt_f32_i32_e32 v42, v42
	v_cvt_f32_i32_e32 v37, v37
	v_cvt_f32_i32_e32 v40, v40
	v_cvt_f32_i32_e32 v41, v41
	v_fmac_f32_e32 v79, v89, v42
	v_add_u32_e32 v42, 19, v36
	v_fma_f32 v76, v89, v37, v76
	v_fmac_f32_e32 v77, v89, v40
	v_fma_f32 v74, v89, v41, v74
	v_add_u32_e32 v37, 32, v36
	v_add_u32_e32 v40, 33, v36
	;; [unrolled: 1-line block ×3, first 2 shown]
	v_cvt_f32_i32_e32 v42, v42
	v_cvt_f32_i32_e32 v37, v37
	;; [unrolled: 1-line block ×4, first 2 shown]
	v_fmac_f32_e32 v75, v89, v42
	v_add_u32_e32 v42, 35, v36
	v_fma_f32 v72, v89, v37, v72
	v_fmac_f32_e32 v73, v89, v40
	v_fma_f32 v70, v89, v41, v70
	v_add_u32_e32 v37, 48, v36
	v_add_u32_e32 v40, 49, v36
	;; [unrolled: 1-line block ×4, first 2 shown]
	v_cvt_f32_i32_e32 v36, v36
	v_cvt_f32_i32_e32 v37, v37
	;; [unrolled: 1-line block ×3, first 2 shown]
	v_cmp_gt_i32_e64 s[28:29], s27, v34
	v_fmac_f32_e32 v67, v89, v36
	v_mov_b32_e32 v36, 0xff7fffff
	v_cmp_gt_i32_e64 s[30:31], s27, v35
	v_fma_f32 v68, v89, v37, v68
	v_cndmask_b32_e64 v37, v36, v52, s[28:29]
	v_cndmask_b32_e64 v35, v36, v53, s[30:31]
	v_fmac_f32_e32 v69, v89, v40
	v_max3_f32 v35, v37, s33, v35
	v_or_b32_e32 v37, 2, v34
	v_or_b32_e32 v40, 3, v34
	v_cmp_gt_i32_e64 s[34:35], s27, v37
	v_cmp_gt_i32_e64 s[36:37], s27, v40
	v_cvt_f32_i32_e32 v42, v42
	v_cndmask_b32_e64 v37, v36, v78, s[34:35]
	v_cndmask_b32_e64 v40, v36, v79, s[36:37]
	v_max3_f32 v35, v35, v37, v40
	v_or_b32_e32 v37, 16, v34
	v_or_b32_e32 v40, 17, v34
	v_cmp_gt_i32_e64 s[22:23], s27, v37
	v_cmp_gt_i32_e64 s[24:25], s27, v40
	v_fmac_f32_e32 v71, v89, v42
	v_cndmask_b32_e64 v37, v36, v76, s[22:23]
	v_cndmask_b32_e64 v40, v36, v77, s[24:25]
	v_max3_f32 v35, v35, v37, v40
	v_or_b32_e32 v37, 18, v34
	v_or_b32_e32 v40, 19, v34
	v_cmp_gt_i32_e64 s[18:19], s27, v37
	v_cmp_gt_i32_e64 s[20:21], s27, v40
	v_cvt_f32_i32_e32 v41, v41
	v_cndmask_b32_e64 v37, v36, v74, s[18:19]
	v_cndmask_b32_e64 v40, v36, v75, s[20:21]
	v_max3_f32 v35, v35, v37, v40
	v_or_b32_e32 v37, 32, v34
	v_or_b32_e32 v40, 33, v34
	v_cmp_gt_i32_e64 s[14:15], s27, v37
	v_cmp_gt_i32_e64 s[16:17], s27, v40
	v_fma_f32 v66, v89, v41, v66
	v_cndmask_b32_e64 v37, v36, v72, s[14:15]
	v_cndmask_b32_e64 v40, v36, v73, s[16:17]
	v_max3_f32 v35, v35, v37, v40
	v_or_b32_e32 v37, 34, v34
	v_or_b32_e32 v40, 35, v34
	v_cmp_gt_i32_e64 s[10:11], s27, v37
	v_cmp_gt_i32_e64 s[12:13], s27, v40
	s_nop 0
	v_cndmask_b32_e64 v37, v36, v70, s[10:11]
	v_cndmask_b32_e64 v40, v36, v71, s[12:13]
	v_max3_f32 v35, v35, v37, v40
	v_or_b32_e32 v37, 48, v34
	v_or_b32_e32 v40, 49, v34
	v_cmp_gt_i32_e64 s[6:7], s27, v37
	v_cmp_gt_i32_e64 s[8:9], s27, v40
	s_nop 0
	v_cndmask_b32_e64 v37, v36, v68, s[6:7]
	v_cndmask_b32_e64 v40, v36, v69, s[8:9]
	v_max3_f32 v35, v35, v37, v40
	v_or_b32_e32 v37, 50, v34
	v_or_b32_e32 v34, 51, v34
	v_cmp_gt_i32_e32 vcc, s27, v37
	v_cmp_gt_i32_e64 s[4:5], s27, v34
	global_load_dwordx4 v[46:49], v[38:39], off
	s_nop 0
	global_load_dwordx4 v[38:41], v[38:39], off offset:16
	v_cndmask_b32_e32 v37, v36, v66, vcc
	v_cndmask_b32_e64 v34, v36, v67, s[4:5]
	v_max3_f32 v56, v35, v37, v34
	v_mbcnt_lo_u32_b32 v34, -1, 0
	v_mbcnt_hi_u32_b32 v57, -1, v34
	v_and_b32_e32 v34, 64, v57
	v_add_u32_e32 v60, 64, v34
	v_xor_b32_e32 v34, 32, v57
	v_cmp_lt_i32_e64 s[38:39], v34, v60
	s_nop 1
	v_cndmask_b32_e64 v34, v57, v34, s[38:39]
	v_lshlrev_b32_e32 v87, 2, v34
	ds_bpermute_b32 v61, v87, v56
	v_lshl_add_u64 v[34:35], v[62:63], 0, v[58:59]
	global_load_dwordx4 v[42:45], v[34:35], off
	s_nop 0
	global_load_dwordx4 v[34:37], v[34:35], off offset:16
	s_waitcnt lgkmcnt(0)
	v_max_f32_e32 v58, v61, v61
	v_max_f32_e32 v64, v56, v58
	v_xor_b32_e32 v56, 16, v57
	v_cmp_lt_i32_e64 s[38:39], v56, v60
	s_nop 1
	v_cndmask_b32_e64 v56, v57, v56, s[38:39]
	v_lshlrev_b32_e32 v89, 2, v56
	ds_bpermute_b32 v65, v89, v64
	global_load_dwordx4 v[58:61], v[54:55], off
	s_nop 0
	global_load_dwordx4 v[54:57], v[54:55], off offset:16
	s_waitcnt lgkmcnt(0)
	v_max_f32_e32 v62, v65, v65
	v_max_f32_e32 v86, v64, v62
	v_sub_f32_e32 v52, v52, v86
	v_mul_f32_e32 v52, 0x3fb8aa3b, v52
	v_exp_f32_e32 v80, v52
	v_sub_f32_e32 v52, v53, v86
	v_mul_f32_e32 v52, 0x3fb8aa3b, v52
	v_exp_f32_e32 v81, v52
	global_load_dwordx4 v[62:65], v[50:51], off
	s_nop 0
	global_load_dwordx4 v[50:53], v[50:51], off offset:16
	v_sub_f32_e32 v78, v78, v86
	v_mul_f32_e32 v78, 0x3fb8aa3b, v78
	v_sub_f32_e32 v79, v79, v86
	v_exp_f32_e32 v78, v78
	v_mul_f32_e32 v79, 0x3fb8aa3b, v79
	v_sub_f32_e32 v76, v76, v86
	v_exp_f32_e32 v79, v79
	v_mul_f32_e32 v76, 0x3fb8aa3b, v76
	v_sub_f32_e32 v77, v77, v86
	v_cndmask_b32_e64 v80, 0, v80, s[28:29]
	v_exp_f32_e32 v76, v76
	v_mul_f32_e32 v77, 0x3fb8aa3b, v77
	v_sub_f32_e32 v74, v74, v86
	v_add_f32_e32 v91, 0, v80
	v_cndmask_b32_e64 v81, 0, v81, s[30:31]
	v_exp_f32_e32 v77, v77
	v_mul_f32_e32 v74, 0x3fb8aa3b, v74
	v_sub_f32_e32 v75, v75, v86
	v_add_f32_e32 v91, v91, v81
	;; [unrolled: 5-line block ×10, first 2 shown]
	v_cndmask_b32_e64 v70, 0, v70, s[10:11]
	v_exp_f32_e32 v66, v66
	v_mul_f32_e32 v67, 0x3fb8aa3b, v67
	v_add_f32_e32 v91, v91, v70
	v_cndmask_b32_e64 v71, 0, v71, s[12:13]
	v_exp_f32_e32 v67, v67
	v_add_f32_e32 v91, v91, v71
	v_cndmask_b32_e64 v68, 0, v68, s[6:7]
	v_add_f32_e32 v91, v91, v68
	v_cndmask_b32_e64 v69, 0, v69, s[8:9]
	v_add_f32_e32 v91, v91, v69
	v_cndmask_b32_e32 v66, 0, v66, vcc
	v_add_f32_e32 v91, v91, v66
	v_cndmask_b32_e64 v67, 0, v67, s[4:5]
	v_add_f32_e32 v91, v91, v67
	ds_bpermute_b32 v87, v87, v91
	s_load_dword s7, s[0:1], 0x98
	v_cmp_gt_u32_e32 vcc, 16, v88
	s_waitcnt lgkmcnt(0)
	s_barrier
	v_add_f32_e32 v87, v91, v87
	ds_bpermute_b32 v89, v89, v87
	s_waitcnt lgkmcnt(0)
	s_and_saveexec_b64 s[4:5], vcc
	s_cbranch_execz .LBB643_15
; %bb.14:
	v_add_f32_e32 v87, v87, v89
	v_lshlrev_b32_e32 v88, 2, v90
	ds_write2st64_b32 v88, v86, v87 offset1:1
.LBB643_15:
	s_or_b64 exec, exec, s[4:5]
	v_lshlrev_b32_e32 v87, 2, v84
	s_load_dword s6, s[0:1], 0x94
	s_waitcnt lgkmcnt(0)
	s_barrier
	ds_read2_b32 v[88:89], v87 offset1:16
	ds_read2_b32 v[90:91], v87 offset0:32 offset1:48
	ds_read2_b32 v[92:93], v87 offset0:64 offset1:80
	s_movk_i32 s8, 0x7fff
	s_mov_b32 s9, 0x7060302
	s_waitcnt lgkmcnt(2)
	v_max3_f32 v86, v88, s33, v89
	s_waitcnt lgkmcnt(1)
	v_max3_f32 v86, v86, v90, v91
	v_sub_f32_e32 v88, v88, v86
	v_mul_f32_e32 v88, 0x3fb8aa3b, v88
	v_exp_f32_e32 v94, v88
	v_sub_f32_e32 v88, v89, v86
	v_mul_f32_e32 v88, 0x3fb8aa3b, v88
	v_exp_f32_e32 v95, v88
	;; [unrolled: 3-line block ×3, first 2 shown]
	ds_read2_b32 v[88:89], v87 offset0:96 offset1:112
	v_sub_f32_e32 v87, v91, v86
	v_mul_f32_e32 v87, 0x3fb8aa3b, v87
	v_exp_f32_e32 v91, v87
	s_waitcnt lgkmcnt(1)
	v_fma_f32 v87, v94, v92, 0
	v_fmac_f32_e32 v87, v95, v93
	s_waitcnt lgkmcnt(0)
	v_fmac_f32_e32 v87, v90, v88
	v_fmac_f32_e32 v87, v91, v89
	v_add_f32_e32 v88, 0x358637bd, v87
	v_div_scale_f32 v89, s[4:5], v88, v88, 1.0
	v_rcp_f32_e32 v92, v89
	s_mul_i32 s7, s7, 12
	s_barrier
	v_fma_f32 v93, -v89, v92, 1.0
	v_fmac_f32_e32 v92, v93, v92
	v_div_scale_f32 v93, vcc, 1.0, v88, 1.0
	v_mul_f32_e32 v83, v93, v92
	v_fma_f32 v1, -v89, v83, v93
	v_fmac_f32_e32 v83, v1, v92
	v_fma_f32 v1, -v89, v83, v93
	v_div_fmas_f32 v1, v1, v92, v83
	v_cmp_eq_u32_e32 vcc, 1, v85
	v_div_fixup_f32 v1, v1, v88, 1.0
	s_nop 0
	v_cndmask_b32_e32 v83, v94, v95, vcc
	v_cmp_eq_u32_e32 vcc, 2, v85
	s_nop 1
	v_cndmask_b32_e32 v83, v83, v90, vcc
	v_cmp_eq_u32_e32 vcc, 3, v85
	s_nop 1
	v_cndmask_b32_e32 v83, v83, v91, vcc
	v_mul_f32_e32 v88, v83, v1
	v_pk_mul_f32 v[80:81], v[88:89], v[80:81] op_sel_hi:[0,1]
	v_bfe_u32 v1, v81, 16, 1
	v_bfe_u32 v83, v80, 16, 1
	v_pk_mul_f32 v[78:79], v[88:89], v[78:79] op_sel_hi:[0,1]
	v_add3_u32 v80, v80, v83, s8
	v_add3_u32 v1, v81, v1, s8
	v_perm_b32 v80, v1, v80, s9
	v_bfe_u32 v1, v79, 16, 1
	v_bfe_u32 v81, v78, 16, 1
	v_add3_u32 v78, v78, v81, s8
	v_add3_u32 v1, v79, v1, s8
	v_bfe_u32 v89, v0, 4, 2
	v_perm_b32 v81, v1, v78, s9
	v_lshlrev_b32_e32 v1, 3, v89
	v_lshlrev_b32_e32 v79, 5, v84
	;; [unrolled: 1-line block ×3, first 2 shown]
	v_pk_mul_f32 v[76:77], v[88:89], v[76:77] op_sel_hi:[0,1]
	v_or3_b32 v78, v78, v79, v1
	v_bfe_u32 v1, v77, 16, 1
	v_bfe_u32 v83, v76, 16, 1
	v_pk_mul_f32 v[74:75], v[88:89], v[74:75] op_sel_hi:[0,1]
	v_add3_u32 v76, v76, v83, s8
	v_add3_u32 v1, v77, v1, s8
	v_perm_b32 v76, v1, v76, s9
	v_bfe_u32 v1, v75, 16, 1
	v_bfe_u32 v77, v74, 16, 1
	v_add3_u32 v74, v74, v77, s8
	v_add3_u32 v1, v75, v1, s8
	v_pk_mul_f32 v[72:73], v[88:89], v[72:73] op_sel_hi:[0,1]
	v_perm_b32 v77, v1, v74, s9
	v_bfe_u32 v1, v73, 16, 1
	v_bfe_u32 v74, v72, 16, 1
	v_pk_mul_f32 v[70:71], v[88:89], v[70:71] op_sel_hi:[0,1]
	v_add3_u32 v72, v72, v74, s8
	v_add3_u32 v1, v73, v1, s8
	v_perm_b32 v72, v1, v72, s9
	v_bfe_u32 v1, v71, 16, 1
	v_bfe_u32 v73, v70, 16, 1
	v_add3_u32 v70, v70, v73, s8
	v_add3_u32 v1, v71, v1, s8
	v_pk_mul_f32 v[68:69], v[88:89], v[68:69] op_sel_hi:[0,1]
	v_perm_b32 v73, v1, v70, s9
	v_bfe_u32 v1, v69, 16, 1
	v_bfe_u32 v70, v68, 16, 1
	v_pk_mul_f32 v[66:67], v[88:89], v[66:67] op_sel_hi:[0,1]
	v_add3_u32 v68, v68, v70, s8
	v_add3_u32 v1, v69, v1, s8
	v_perm_b32 v68, v1, v68, s9
	v_bfe_u32 v1, v67, 16, 1
	v_bfe_u32 v69, v66, 16, 1
	v_add3_u32 v66, v66, v69, s8
	v_add3_u32 v1, v67, v1, s8
	v_perm_b32 v69, v1, v66, s9
	v_cmp_gt_u32_e32 vcc, 12, v0
	ds_write2st64_b64 v78, v[80:81], v[76:77] offset1:1
	ds_write2st64_b64 v78, v[72:73], v[68:69] offset0:2 offset1:3
	s_and_saveexec_b64 s[4:5], vcc
	s_cbranch_execz .LBB643_17
; %bb.16:
	s_mov_b32 s41, 0
	v_mov_b32_e32 v85, 0
	v_lshl_add_u64 v[66:67], s[40:41], 0, v[84:85]
	v_mov_b32_e32 v1, s7
	v_mad_u64_u32 v[66:67], s[10:11], s2, v1, v[66:67]
	s_mul_i32 s3, s3, s7
	v_mov_b32_e32 v68, s26
	v_mov_b32_e32 v69, v85
	s_load_dwordx4 s[12:15], s[0:1], 0x58
	v_add_u32_e32 v1, s3, v67
	v_mad_u64_u32 v[66:67], s[10:11], v66, s6, v[68:69]
	v_mov_b32_e32 v68, v67
	v_mad_u64_u32 v[68:69], s[10:11], v1, s6, v[68:69]
	v_mov_b32_e32 v67, v68
	v_lshlrev_b64 v[66:67], 2, v[66:67]
	s_waitcnt lgkmcnt(0)
	v_lshl_add_u64 v[68:69], s[14:15], 0, v[66:67]
	v_lshl_add_u64 v[66:67], s[12:13], 0, v[66:67]
	global_store_dword v[68:69], v86, off
	global_store_dword v[66:67], v87, off
.LBB643_17:
	s_or_b64 exec, exec, s[4:5]
	v_lshl_or_b32 v1, v89, 9, v79
	s_waitcnt lgkmcnt(0)
	s_barrier
	ds_read_b128 v[70:73], v1
	ds_read_b128 v[66:69], v1 offset:16
	s_waitcnt vmcnt(15) lgkmcnt(1)
	v_mfma_f32_16x16x16_bf16 v[74:77], v[30:31], v[70:71], 0
	s_mov_b32 s3, 0
	v_cmp_gt_u32_e32 vcc, 64, v0
	v_mfma_f32_16x16x16_bf16 v[30:33], v[32:33], v[72:73], v[74:77]
	s_waitcnt vmcnt(14) lgkmcnt(0)
	v_mfma_f32_16x16x16_bf16 v[30:33], v[26:27], v[66:67], v[30:33]
	v_mfma_f32_16x16x16_bf16 v[26:29], v[28:29], v[68:69], v[30:33]
	s_nop 5
	ds_read_b128 v[30:33], v1 offset:2048
	ds_read_b128 v[74:77], v1 offset:2064
	s_waitcnt vmcnt(13) lgkmcnt(1)
	v_mfma_f32_16x16x16_bf16 v[26:29], v[22:23], v[30:31], v[26:29]
	v_mfma_f32_16x16x16_bf16 v[22:25], v[24:25], v[32:33], v[26:29]
	s_waitcnt vmcnt(12) lgkmcnt(0)
	v_mfma_f32_16x16x16_bf16 v[22:25], v[18:19], v[74:75], v[22:25]
	v_mfma_f32_16x16x16_bf16 v[18:21], v[20:21], v[76:77], v[22:25]
	s_nop 5
	ds_read_b128 v[22:25], v1 offset:4096
	ds_read_b128 v[26:29], v1 offset:4112
	s_waitcnt vmcnt(11) lgkmcnt(1)
	v_mfma_f32_16x16x16_bf16 v[18:21], v[14:15], v[22:23], v[18:21]
	v_mfma_f32_16x16x16_bf16 v[14:17], v[16:17], v[24:25], v[18:21]
	s_waitcnt vmcnt(10) lgkmcnt(0)
	v_mfma_f32_16x16x16_bf16 v[14:17], v[10:11], v[26:27], v[14:17]
	v_mfma_f32_16x16x16_bf16 v[10:13], v[12:13], v[28:29], v[14:17]
	s_nop 5
	ds_read_b128 v[14:17], v1 offset:6144
	ds_read_b128 v[18:21], v1 offset:6160
	s_waitcnt lgkmcnt(0)
	s_barrier
	s_waitcnt vmcnt(9)
	v_mfma_f32_16x16x16_bf16 v[10:13], v[6:7], v[14:15], v[10:13]
	v_mfma_f32_16x16x16_bf16 v[6:9], v[8:9], v[16:17], v[10:13]
	s_waitcnt vmcnt(8)
	v_mfma_f32_16x16x16_bf16 v[6:9], v[2:3], v[18:19], v[6:9]
	v_mfma_f32_16x16x16_bf16 v[2:5], v[4:5], v[20:21], v[6:9]
	s_waitcnt vmcnt(7)
	v_mfma_f32_16x16x16_bf16 v[6:9], v[46:47], v[70:71], 0
	v_mfma_f32_16x16x16_bf16 v[6:9], v[48:49], v[72:73], v[6:9]
	s_nop 3
	v_bfe_u32 v1, v3, 16, 1
	v_bfe_u32 v10, v2, 16, 1
	v_add3_u32 v2, v2, v10, s8
	s_waitcnt vmcnt(6)
	v_mfma_f32_16x16x16_bf16 v[6:9], v[38:39], v[66:67], v[6:9]
	v_add3_u32 v1, v3, v1, s8
	v_perm_b32 v10, v1, v2, s9
	v_bfe_u32 v1, v5, 16, 1
	v_mfma_f32_16x16x16_bf16 v[6:9], v[40:41], v[68:69], v[6:9]
	v_bfe_u32 v2, v4, 16, 1
	v_add3_u32 v2, v4, v2, s8
	v_add3_u32 v1, v5, v1, s8
	s_waitcnt vmcnt(5)
	v_mfma_f32_16x16x16_bf16 v[6:9], v[42:43], v[30:31], v[6:9]
	v_perm_b32 v11, v1, v2, s9
	v_mfma_f32_16x16x16_bf16 v[6:9], v[44:45], v[32:33], v[6:9]
	s_waitcnt vmcnt(4)
	v_mfma_f32_16x16x16_bf16 v[6:9], v[34:35], v[74:75], v[6:9]
	v_mfma_f32_16x16x16_bf16 v[6:9], v[36:37], v[76:77], v[6:9]
	s_waitcnt vmcnt(3)
	v_mfma_f32_16x16x16_bf16 v[6:9], v[58:59], v[22:23], v[6:9]
	;; [unrolled: 3-line block ×5, first 2 shown]
	v_mfma_f32_16x16x16_bf16 v[2:5], v[52:53], v[20:21], v[6:9]
	s_nop 6
	v_bfe_u32 v1, v3, 16, 1
	v_bfe_u32 v6, v2, 16, 1
	v_add3_u32 v2, v2, v6, s8
	v_add3_u32 v1, v3, v1, s8
	v_perm_b32 v2, v1, v2, s9
	v_bfe_u32 v1, v5, 16, 1
	v_bfe_u32 v3, v4, 16, 1
	v_add3_u32 v3, v4, v3, s8
	v_add3_u32 v1, v5, v1, s8
	v_perm_b32 v3, v1, v3, s9
	ds_write2st64_b64 v78, v[10:11], v[2:3] offset1:1
	s_waitcnt lgkmcnt(0)
	s_barrier
	s_and_saveexec_b64 s[4:5], vcc
	s_cbranch_execz .LBB643_19
; %bb.18:
	s_load_dwordx2 s[0:1], s[0:1], 0x68
	s_lshl_b32 s6, s6, 7
	s_mul_i32 s2, s7, s2
	s_mul_hi_u32 s5, s2, s6
	s_mul_i32 s4, s2, s6
	s_lshl_b64 s[4:5], s[4:5], 1
	v_lshlrev_b32_e32 v3, 6, v84
	s_waitcnt lgkmcnt(0)
	s_add_u32 s4, s0, s4
	v_lshlrev_b32_e32 v2, 4, v0
	v_lshl_or_b32 v0, v0, 10, v3
	s_addc_u32 s5, s1, s5
	s_lshl_b32 s2, s26, 7
	v_lshlrev_b32_e32 v1, 5, v89
	v_and_b32_e32 v2, 16, v2
	v_and_b32_e32 v0, 0x1a00, v0
	s_lshl_b64 s[0:1], s[2:3], 1
	v_or3_b32 v0, v0, v1, v2
	s_add_u32 s0, s4, s0
	ds_read_b128 v[2:5], v0
	ds_read_b128 v[6:9], v0 offset:128
	ds_read_b128 v[10:13], v0 offset:256
	s_addc_u32 s1, s5, s1
	v_or_b32_e32 v16, s40, v89
	v_mov_b32_e32 v83, 0
	v_lshl_add_u64 v[0:1], s[0:1], 0, v[82:83]
	v_mad_u64_u32 v[14:15], s[0:1], v16, s6, 0
	v_lshl_add_u64 v[14:15], v[14:15], 1, v[0:1]
	s_waitcnt lgkmcnt(2)
	global_store_dwordx4 v[14:15], v[2:5], off
	s_nop 1
	v_add_u32_e32 v2, 4, v16
	v_mad_u64_u32 v[2:3], s[0:1], v2, s6, 0
	v_lshl_add_u64 v[2:3], v[2:3], 1, v[0:1]
	s_waitcnt lgkmcnt(1)
	global_store_dwordx4 v[2:3], v[6:9], off
	v_add_u32_e32 v2, 8, v16
	v_mad_u64_u32 v[2:3], s[0:1], v2, s6, 0
	v_lshl_add_u64 v[0:1], v[2:3], 1, v[0:1]
	s_waitcnt lgkmcnt(0)
	global_store_dwordx4 v[0:1], v[10:13], off
.LBB643_19:
	s_endpgm
	.section	.rodata,"a",@progbits
	.p2align	6, 0x0
	.amdhsa_kernel _Z39paged_attention_ll4mi_QKV_mfma16_kernelI14__hip_bfloat16S0_LN4vllm18Fp8KVCacheDataTypeE0ES0_Li16ELi128ELi256ELb1ELi12EEvPKT_PKT0_S8_ifPKiSA_SA_iPKfiiiPfSD_PS3_PT2_iSC_SC_
		.amdhsa_group_segment_fixed_size 8192
		.amdhsa_private_segment_fixed_size 0
		.amdhsa_kernarg_size 400
		.amdhsa_user_sgpr_count 2
		.amdhsa_user_sgpr_dispatch_ptr 0
		.amdhsa_user_sgpr_queue_ptr 0
		.amdhsa_user_sgpr_kernarg_segment_ptr 1
		.amdhsa_user_sgpr_dispatch_id 0
		.amdhsa_user_sgpr_kernarg_preload_length 0
		.amdhsa_user_sgpr_kernarg_preload_offset 0
		.amdhsa_user_sgpr_private_segment_size 0
		.amdhsa_uses_dynamic_stack 0
		.amdhsa_enable_private_segment 0
		.amdhsa_system_sgpr_workgroup_id_x 1
		.amdhsa_system_sgpr_workgroup_id_y 1
		.amdhsa_system_sgpr_workgroup_id_z 1
		.amdhsa_system_sgpr_workgroup_info 0
		.amdhsa_system_vgpr_workitem_id 0
		.amdhsa_next_free_vgpr 96
		.amdhsa_next_free_sgpr 42
		.amdhsa_accum_offset 96
		.amdhsa_reserve_vcc 1
		.amdhsa_float_round_mode_32 0
		.amdhsa_float_round_mode_16_64 0
		.amdhsa_float_denorm_mode_32 3
		.amdhsa_float_denorm_mode_16_64 3
		.amdhsa_dx10_clamp 1
		.amdhsa_ieee_mode 1
		.amdhsa_fp16_overflow 0
		.amdhsa_tg_split 0
		.amdhsa_exception_fp_ieee_invalid_op 0
		.amdhsa_exception_fp_denorm_src 0
		.amdhsa_exception_fp_ieee_div_zero 0
		.amdhsa_exception_fp_ieee_overflow 0
		.amdhsa_exception_fp_ieee_underflow 0
		.amdhsa_exception_fp_ieee_inexact 0
		.amdhsa_exception_int_div_zero 0
	.end_amdhsa_kernel
	.section	.text._Z39paged_attention_ll4mi_QKV_mfma16_kernelI14__hip_bfloat16S0_LN4vllm18Fp8KVCacheDataTypeE0ES0_Li16ELi128ELi256ELb1ELi12EEvPKT_PKT0_S8_ifPKiSA_SA_iPKfiiiPfSD_PS3_PT2_iSC_SC_,"axG",@progbits,_Z39paged_attention_ll4mi_QKV_mfma16_kernelI14__hip_bfloat16S0_LN4vllm18Fp8KVCacheDataTypeE0ES0_Li16ELi128ELi256ELb1ELi12EEvPKT_PKT0_S8_ifPKiSA_SA_iPKfiiiPfSD_PS3_PT2_iSC_SC_,comdat
.Lfunc_end643:
	.size	_Z39paged_attention_ll4mi_QKV_mfma16_kernelI14__hip_bfloat16S0_LN4vllm18Fp8KVCacheDataTypeE0ES0_Li16ELi128ELi256ELb1ELi12EEvPKT_PKT0_S8_ifPKiSA_SA_iPKfiiiPfSD_PS3_PT2_iSC_SC_, .Lfunc_end643-_Z39paged_attention_ll4mi_QKV_mfma16_kernelI14__hip_bfloat16S0_LN4vllm18Fp8KVCacheDataTypeE0ES0_Li16ELi128ELi256ELb1ELi12EEvPKT_PKT0_S8_ifPKiSA_SA_iPKfiiiPfSD_PS3_PT2_iSC_SC_
                                        ; -- End function
	.section	.AMDGPU.csdata,"",@progbits
; Kernel info:
; codeLenInByte = 5008
; NumSgprs: 48
; NumVgprs: 96
; NumAgprs: 0
; TotalNumVgprs: 96
; ScratchSize: 0
; MemoryBound: 0
; FloatMode: 240
; IeeeMode: 1
; LDSByteSize: 8192 bytes/workgroup (compile time only)
; SGPRBlocks: 5
; VGPRBlocks: 11
; NumSGPRsForWavesPerEU: 48
; NumVGPRsForWavesPerEU: 96
; AccumOffset: 96
; Occupancy: 5
; WaveLimiterHint : 1
; COMPUTE_PGM_RSRC2:SCRATCH_EN: 0
; COMPUTE_PGM_RSRC2:USER_SGPR: 2
; COMPUTE_PGM_RSRC2:TRAP_HANDLER: 0
; COMPUTE_PGM_RSRC2:TGID_X_EN: 1
; COMPUTE_PGM_RSRC2:TGID_Y_EN: 1
; COMPUTE_PGM_RSRC2:TGID_Z_EN: 1
; COMPUTE_PGM_RSRC2:TIDIG_COMP_CNT: 0
; COMPUTE_PGM_RSRC3_GFX90A:ACCUM_OFFSET: 23
; COMPUTE_PGM_RSRC3_GFX90A:TG_SPLIT: 0
	.section	.text._Z39paged_attention_ll4mi_QKV_mfma16_kernelI14__hip_bfloat16S0_LN4vllm18Fp8KVCacheDataTypeE0ES0_Li16ELi128ELi256ELb1ELi13EEvPKT_PKT0_S8_ifPKiSA_SA_iPKfiiiPfSD_PS3_PT2_iSC_SC_,"axG",@progbits,_Z39paged_attention_ll4mi_QKV_mfma16_kernelI14__hip_bfloat16S0_LN4vllm18Fp8KVCacheDataTypeE0ES0_Li16ELi128ELi256ELb1ELi13EEvPKT_PKT0_S8_ifPKiSA_SA_iPKfiiiPfSD_PS3_PT2_iSC_SC_,comdat
	.protected	_Z39paged_attention_ll4mi_QKV_mfma16_kernelI14__hip_bfloat16S0_LN4vllm18Fp8KVCacheDataTypeE0ES0_Li16ELi128ELi256ELb1ELi13EEvPKT_PKT0_S8_ifPKiSA_SA_iPKfiiiPfSD_PS3_PT2_iSC_SC_ ; -- Begin function _Z39paged_attention_ll4mi_QKV_mfma16_kernelI14__hip_bfloat16S0_LN4vllm18Fp8KVCacheDataTypeE0ES0_Li16ELi128ELi256ELb1ELi13EEvPKT_PKT0_S8_ifPKiSA_SA_iPKfiiiPfSD_PS3_PT2_iSC_SC_
	.globl	_Z39paged_attention_ll4mi_QKV_mfma16_kernelI14__hip_bfloat16S0_LN4vllm18Fp8KVCacheDataTypeE0ES0_Li16ELi128ELi256ELb1ELi13EEvPKT_PKT0_S8_ifPKiSA_SA_iPKfiiiPfSD_PS3_PT2_iSC_SC_
	.p2align	8
	.type	_Z39paged_attention_ll4mi_QKV_mfma16_kernelI14__hip_bfloat16S0_LN4vllm18Fp8KVCacheDataTypeE0ES0_Li16ELi128ELi256ELb1ELi13EEvPKT_PKT0_S8_ifPKiSA_SA_iPKfiiiPfSD_PS3_PT2_iSC_SC_,@function
_Z39paged_attention_ll4mi_QKV_mfma16_kernelI14__hip_bfloat16S0_LN4vllm18Fp8KVCacheDataTypeE0ES0_Li16ELi128ELi256ELb1ELi13EEvPKT_PKT0_S8_ifPKiSA_SA_iPKfiiiPfSD_PS3_PT2_iSC_SC_: ; @_Z39paged_attention_ll4mi_QKV_mfma16_kernelI14__hip_bfloat16S0_LN4vllm18Fp8KVCacheDataTypeE0ES0_Li16ELi128ELi256ELb1ELi13EEvPKT_PKT0_S8_ifPKiSA_SA_iPKfiiiPfSD_PS3_PT2_iSC_SC_
; %bb.0:
	s_load_dwordx2 s[8:9], s[0:1], 0x30
	s_mov_b32 s26, s3
	s_mov_b64 s[6:7], 0
	s_waitcnt lgkmcnt(0)
	s_cmp_lg_u64 s[8:9], 0
	s_cselect_b64 s[10:11], -1, 0
	s_and_b64 vcc, exec, s[10:11]
	s_cbranch_vccz .LBB644_7
; %bb.1:
	s_add_i32 s12, s2, 1
	s_mov_b32 s13, 0
	s_lshl_b64 s[14:15], s[12:13], 2
	s_add_u32 s14, s8, s14
	s_mov_b32 s3, s13
	s_addc_u32 s15, s9, s15
	s_lshl_b64 s[12:13], s[2:3], 2
	s_add_u32 s12, s8, s12
	s_addc_u32 s13, s9, s13
	s_load_dword s5, s[14:15], 0x0
	s_load_dword s16, s[12:13], 0x0
	s_waitcnt lgkmcnt(0)
	s_sub_i32 s5, s5, s16
	s_cmp_eq_u32 s5, 1
	s_cselect_b64 s[12:13], -1, 0
	s_andn2_b64 vcc, exec, s[6:7]
	s_cbranch_vccnz .LBB644_3
.LBB644_2:
	s_mov_b32 s3, 0
	s_mov_b64 s[12:13], -1
.LBB644_3:
	s_andn2_b64 vcc, exec, s[12:13]
	s_cbranch_vccnz .LBB644_20
; %bb.4:
	s_load_dwordx2 s[6:7], s[0:1], 0x28
	s_lshl_b64 s[12:13], s[2:3], 2
	s_waitcnt lgkmcnt(0)
	s_add_u32 s6, s6, s12
	s_addc_u32 s7, s7, s13
	s_load_dword s27, s[6:7], 0x0
	s_lshl_b32 s18, s26, 8
	s_waitcnt lgkmcnt(0)
	s_cmp_ge_i32 s18, s27
	s_cbranch_scc1 .LBB644_20
; %bb.5:
	s_load_dwordx2 s[6:7], s[0:1], 0x20
	s_load_dword s5, s[0:1], 0x38
	s_add_i32 s14, s27, 15
	s_ashr_i32 s15, s14, 31
	v_and_b32_e32 v1, 0xcf, v0
	s_lshr_b32 s15, s15, 28
	v_add_u32_e32 v1, s18, v1
	s_add_i32 s14, s14, s15
	v_ashrrev_i32_e32 v2, 31, v1
	s_ashr_i32 s19, s14, 4
	v_lshrrev_b32_e32 v4, 28, v2
	s_add_i32 s19, s19, -1
	s_waitcnt lgkmcnt(0)
	s_mul_i32 s14, s2, s5
	s_mov_b32 s15, 0
	v_add_u32_e32 v2, v1, v4
	s_lshl_b64 s[14:15], s[14:15], 2
	v_ashrrev_i32_e32 v2, 4, v2
	v_mov_b32_e32 v5, s19
	v_cmp_gt_i32_e32 vcc, s27, v1
	s_add_u32 s6, s6, s14
	s_addc_u32 s7, s7, s15
	v_cndmask_b32_e32 v2, v5, v2, vcc
	v_ashrrev_i32_e32 v3, 31, v2
	v_lshl_add_u64 v[6:7], v[2:3], 2, s[6:7]
	v_or_b32_e32 v2, 16, v1
	v_add_u32_e32 v3, v2, v4
	v_ashrrev_i32_e32 v3, 4, v3
	v_cmp_gt_i32_e32 vcc, s27, v2
	s_load_dwordx2 s[14:15], s[0:1], 0x8
	s_nop 0
	v_cndmask_b32_e32 v2, v5, v3, vcc
	v_ashrrev_i32_e32 v3, 31, v2
	v_lshl_add_u64 v[8:9], v[2:3], 2, s[6:7]
	v_or_b32_e32 v2, 32, v1
	v_add_u32_e32 v3, v2, v4
	v_ashrrev_i32_e32 v3, 4, v3
	v_cmp_gt_i32_e32 vcc, s27, v2
	v_or_b32_e32 v1, 48, v1
	s_nop 0
	v_cndmask_b32_e32 v2, v5, v3, vcc
	v_ashrrev_i32_e32 v3, 31, v2
	v_lshl_add_u64 v[10:11], v[2:3], 2, s[6:7]
	v_add_u32_e32 v2, v1, v4
	v_ashrrev_i32_e32 v2, 4, v2
	v_cmp_gt_i32_e32 vcc, s27, v1
	s_nop 1
	v_cndmask_b32_e32 v2, v5, v2, vcc
	v_ashrrev_i32_e32 v3, 31, v2
	v_lshl_add_u64 v[12:13], v[2:3], 2, s[6:7]
	global_load_dword v5, v[6:7], off
	global_load_dword v4, v[8:9], off
	;; [unrolled: 1-line block ×4, first 2 shown]
	s_andn2_b64 vcc, exec, s[10:11]
	s_cbranch_vccnz .LBB644_8
; %bb.6:
	s_add_u32 s8, s8, s12
	s_addc_u32 s9, s9, s13
	s_load_dword s5, s[8:9], 0x0
	s_branch .LBB644_9
.LBB644_7:
	s_mov_b64 s[12:13], 0
	s_branch .LBB644_2
.LBB644_8:
	s_mov_b32 s5, s2
.LBB644_9:
	s_load_dwordx2 s[12:13], s[0:1], 0x10
	s_load_dwordx4 s[8:11], s[0:1], 0x48
	v_lshrrev_b32_e32 v85, 6, v0
	v_bfe_u32 v88, v0, 4, 2
	v_and_b32_e32 v84, 15, v0
	v_lshl_or_b32 v1, v85, 2, v88
	v_lshlrev_b32_e32 v6, 3, v84
	s_mul_i32 s40, s4, 13
	v_cmp_gt_u32_e32 vcc, 13, v1
	v_lshlrev_b32_e32 v82, 1, v6
	s_and_saveexec_b64 s[16:17], vcc
	s_cbranch_execz .LBB644_11
; %bb.10:
	s_load_dwordx2 s[20:21], s[0:1], 0x0
	s_waitcnt lgkmcnt(0)
	s_ashr_i32 s11, s8, 31
	s_mul_hi_u32 s22, s5, s8
	s_mul_i32 s11, s5, s11
	s_add_i32 s23, s22, s11
	s_mul_i32 s22, s5, s8
	s_lshl_b64 s[22:23], s[22:23], 1
	s_add_u32 s20, s20, s22
	v_add_lshl_u32 v6, v1, s40, 7
	s_addc_u32 s21, s21, s23
	v_ashrrev_i32_e32 v7, 31, v6
	v_lshl_add_u64 v[6:7], v[6:7], 1, s[20:21]
	v_mov_b32_e32 v83, 0
	v_lshl_add_u64 v[6:7], v[6:7], 0, v[82:83]
	global_load_dwordx4 v[6:9], v[6:7], off
	v_and_b32_e32 v10, 3, v0
	v_lshlrev_b32_e32 v11, 9, v84
	v_lshlrev_b32_e32 v1, 5, v1
	;; [unrolled: 1-line block ×3, first 2 shown]
	v_and_b32_e32 v11, 0x1800, v11
	v_or3_b32 v1, v11, v10, v1
	s_waitcnt vmcnt(0)
	ds_write_b128 v1, v[6:9]
.LBB644_11:
	s_or_b64 exec, exec, s[16:17]
	s_waitcnt lgkmcnt(0)
	s_mul_i32 s4, s4, s10
	s_mov_b32 s5, 0
	s_lshl_b64 s[4:5], s[4:5], 1
	s_add_u32 s10, s14, s4
	v_lshlrev_b32_e32 v1, 4, v0
	s_addc_u32 s11, s15, s5
	v_and_b32_e32 v86, 0xf0, v1
	v_mov_b32_e32 v87, 0
	v_lshl_add_u64 v[6:7], s[10:11], 0, v[86:87]
	s_waitcnt vmcnt(3)
	v_mad_i64_i32 v[8:9], s[10:11], v5, s9, 0
	s_waitcnt vmcnt(2)
	v_mad_i64_i32 v[4:5], s[10:11], v4, s9, 0
	v_lshl_add_u64 v[8:9], v[8:9], 1, v[6:7]
	v_and_b32_e32 v86, 0x300, v1
	v_lshl_add_u64 v[4:5], v[4:5], 1, v[6:7]
	v_lshl_add_u64 v[8:9], v[8:9], 0, v[86:87]
	;; [unrolled: 1-line block ×3, first 2 shown]
	s_barrier
	global_load_dwordx4 v[78:81], v[8:9], off
	global_load_dwordx4 v[74:77], v[8:9], off offset:1024
	global_load_dwordx4 v[70:73], v[8:9], off offset:2048
	;; [unrolled: 1-line block ×3, first 2 shown]
	global_load_dwordx4 v[66:69], v[4:5], off
	global_load_dwordx4 v[62:65], v[4:5], off offset:1024
	global_load_dwordx4 v[58:61], v[4:5], off offset:2048
	;; [unrolled: 1-line block ×3, first 2 shown]
	s_waitcnt vmcnt(9)
	v_mad_i64_i32 v[4:5], s[10:11], v3, s9, 0
	s_waitcnt vmcnt(8)
	v_mad_i64_i32 v[2:3], s[10:11], v2, s9, 0
	v_lshl_add_u64 v[4:5], v[4:5], 1, v[6:7]
	v_lshl_add_u64 v[2:3], v[2:3], 1, v[6:7]
	v_lshl_add_u64 v[4:5], v[4:5], 0, v[86:87]
	v_lshl_add_u64 v[34:35], v[2:3], 0, v[86:87]
	global_load_dwordx4 v[30:33], v[4:5], off
	global_load_dwordx4 v[26:29], v[4:5], off offset:1024
	global_load_dwordx4 v[22:25], v[4:5], off offset:2048
	;; [unrolled: 1-line block ×3, first 2 shown]
	global_load_dwordx4 v[6:9], v[34:35], off
	s_nop 0
	global_load_dwordx4 v[2:5], v[34:35], off offset:1024
	global_load_dwordx4 v[38:41], v[34:35], off offset:2048
	s_nop 0
	global_load_dwordx4 v[34:37], v[34:35], off offset:3072
	v_add_u32_e32 v42, -13, v84
	v_cmp_gt_u32_e32 vcc, 13, v84
	v_and_b32_e32 v83, 63, v0
	v_mov_b32_e32 v89, 0
	v_cndmask_b32_e32 v42, v42, v84, vcc
	v_lshlrev_b32_e32 v42, 5, v42
	v_lshl_add_u32 v42, v88, 9, v42
	ds_read_b128 v[54:57], v42
	ds_read_b128 v[50:53], v42 offset:2048
	ds_read_b128 v[46:49], v42 offset:4096
	;; [unrolled: 1-line block ×3, first 2 shown]
	s_and_saveexec_b64 s[10:11], vcc
	s_cbranch_execz .LBB644_13
; %bb.12:
	s_load_dwordx2 s[14:15], s[0:1], 0x40
	v_add_u32_e32 v90, s40, v84
	v_ashrrev_i32_e32 v91, 31, v90
	s_waitcnt lgkmcnt(0)
	v_lshl_add_u64 v[90:91], v[90:91], 2, s[14:15]
	global_load_dword v89, v[90:91], off
.LBB644_13:
	s_or_b64 exec, exec, s[10:11]
	s_waitcnt vmcnt(15) lgkmcnt(3)
	v_mfma_f32_16x16x16_bf16 v[90:93], v[78:79], v[54:55], 0
	s_add_u32 s4, s12, s4
	s_addc_u32 s5, s13, s5
	s_mov_b32 s33, 0xff7fffff
	v_mfma_f32_16x16x16_bf16 v[78:81], v[80:81], v[56:57], v[90:93]
	s_waitcnt vmcnt(14) lgkmcnt(2)
	v_mfma_f32_16x16x16_bf16 v[78:81], v[74:75], v[50:51], v[78:81]
	s_nop 0
	v_lshl_or_b32 v90, v85, 4, v84
	v_lshlrev_b32_e32 v86, 5, v90
	v_mfma_f32_16x16x16_bf16 v[74:77], v[76:77], v[52:53], v[78:81]
	s_waitcnt vmcnt(13) lgkmcnt(1)
	v_mfma_f32_16x16x16_bf16 v[74:77], v[70:71], v[46:47], v[74:77]
	v_mfma_f32_16x16x16_bf16 v[70:73], v[72:73], v[48:49], v[74:77]
	s_waitcnt vmcnt(11)
	v_mfma_f32_16x16x16_bf16 v[74:77], v[66:67], v[54:55], 0
	v_mfma_f32_16x16x16_bf16 v[66:69], v[68:69], v[56:57], v[74:77]
	s_nop 5
	v_and_or_b32 v74, v0, 48, s18
	s_waitcnt lgkmcnt(0)
	v_mfma_f32_16x16x16_bf16 v[70:73], v[10:11], v[42:43], v[70:73]
	v_ashrrev_i32_e32 v10, 4, v74
	v_mov_b32_e32 v75, s19
	v_cmp_gt_i32_e32 vcc, s27, v74
	s_waitcnt vmcnt(10)
	v_mfma_f32_16x16x16_bf16 v[66:69], v[62:63], v[50:51], v[66:69]
	v_cndmask_b32_e32 v10, v75, v10, vcc
	v_ashrrev_i32_e32 v11, 31, v10
	v_lshl_add_u64 v[10:11], v[10:11], 2, s[6:7]
	global_load_dword v76, v[10:11], off
	v_mfma_f32_16x16x16_bf16 v[62:65], v[64:65], v[52:53], v[66:69]
	v_or_b32_e32 v10, 64, v74
	v_ashrrev_i32_e32 v11, 4, v10
	v_cmp_gt_i32_e32 vcc, s27, v10
	s_waitcnt vmcnt(10)
	v_mfma_f32_16x16x16_bf16 v[62:65], v[58:59], v[46:47], v[62:65]
	v_cndmask_b32_e32 v10, v75, v11, vcc
	v_ashrrev_i32_e32 v11, 31, v10
	v_lshl_add_u64 v[10:11], v[10:11], 2, s[6:7]
	global_load_dword v78, v[10:11], off
	v_or_b32_e32 v10, 0x80, v74
	v_mfma_f32_16x16x16_bf16 v[58:61], v[60:61], v[48:49], v[62:65]
	v_ashrrev_i32_e32 v11, 4, v10
	v_cmp_gt_i32_e32 vcc, s27, v10
	s_waitcnt vmcnt(9)
	v_mfma_f32_16x16x16_bf16 v[62:65], v[30:31], v[54:55], 0
	v_cndmask_b32_e32 v10, v75, v11, vcc
	v_ashrrev_i32_e32 v11, 31, v10
	v_lshl_add_u64 v[10:11], v[10:11], 2, s[6:7]
	v_mfma_f32_16x16x16_bf16 v[30:33], v[32:33], v[56:57], v[62:65]
	s_nop 2
	global_load_dword v62, v[10:11], off
	v_or_b32_e32 v10, 0xc0, v74
	v_ashrrev_i32_e32 v11, 4, v10
	v_cmp_gt_i32_e32 vcc, s27, v10
	s_waitcnt vmcnt(9)
	v_mfma_f32_16x16x16_bf16 v[30:33], v[26:27], v[50:51], v[30:33]
	v_cndmask_b32_e32 v10, v75, v11, vcc
	v_ashrrev_i32_e32 v11, 31, v10
	v_lshl_add_u64 v[10:11], v[10:11], 2, s[6:7]
	global_load_dword v63, v[10:11], off
	v_mfma_f32_16x16x16_bf16 v[26:29], v[28:29], v[52:53], v[30:33]
	s_load_dword s6, s[0:1], 0x1c
	s_waitcnt vmcnt(3)
	v_mad_i64_i32 v[10:11], s[10:11], v76, s9, 0
	v_mfma_f32_16x16x16_bf16 v[26:29], v[22:23], v[46:47], v[26:29]
	v_lshlrev_b64 v[76:77], 1, v[10:11]
	v_mfma_f32_16x16x16_bf16 v[64:67], v[12:13], v[44:45], v[70:73]
	v_mfma_f32_16x16x16_bf16 v[10:13], v[24:25], v[48:49], v[26:29]
	s_nop 1
	v_lshl_add_u64 v[72:73], s[4:5], 0, v[86:87]
	v_or_b32_e32 v86, 0x800, v86
	v_mfma_f32_16x16x16_bf16 v[30:33], v[14:15], v[42:43], v[58:61]
	v_lshl_add_u64 v[14:15], v[72:73], 0, v[76:77]
	v_mfma_f32_16x16x16_bf16 v[10:13], v[18:19], v[42:43], v[10:13]
	v_mfma_f32_16x16x16_bf16 v[68:71], v[16:17], v[44:45], v[30:33]
	s_nop 3
	global_load_dwordx4 v[30:33], v[14:15], off
	global_load_dwordx4 v[26:29], v[14:15], off offset:16
	s_waitcnt vmcnt(4)
	v_mad_i64_i32 v[14:15], s[10:11], v78, s9, 0
	v_lshlrev_b64 v[58:59], 1, v[14:15]
	v_mfma_f32_16x16x16_bf16 v[92:95], v[20:21], v[44:45], v[10:13]
	s_waitcnt lgkmcnt(0)
	v_pk_mul_f32 v[78:79], s[6:7], v[66:67] op_sel_hi:[0,1]
	s_nop 0
	v_lshl_add_u64 v[10:11], v[72:73], 0, v[58:59]
	global_load_dwordx4 v[22:25], v[10:11], off
	global_load_dwordx4 v[18:21], v[10:11], off offset:16
	v_mfma_f32_16x16x16_bf16 v[10:13], v[6:7], v[54:55], 0
	s_waitcnt vmcnt(5)
	v_mad_i64_i32 v[6:7], s[10:11], v62, s9, 0
	v_lshlrev_b64 v[54:55], 1, v[6:7]
	v_mfma_f32_16x16x16_bf16 v[6:9], v[8:9], v[56:57], v[10:13]
	v_mfma_f32_16x16x16_bf16 v[6:9], v[2:3], v[50:51], v[6:9]
	s_waitcnt vmcnt(4)
	v_mad_i64_i32 v[2:3], s[8:9], v63, s9, 0
	v_lshlrev_b64 v[50:51], 1, v[2:3]
	v_mfma_f32_16x16x16_bf16 v[60:63], v[4:5], v[52:53], v[6:9]
	v_lshl_add_u64 v[10:11], v[72:73], 0, v[54:55]
	v_lshl_add_u64 v[2:3], v[72:73], 0, v[50:51]
	v_pk_mul_f32 v[52:53], s[6:7], v[64:65] op_sel_hi:[0,1]
	v_mfma_f32_16x16x16_bf16 v[72:75], v[38:39], v[46:47], v[60:63]
	global_load_dwordx4 v[14:17], v[10:11], off
	s_nop 0
	global_load_dwordx4 v[10:13], v[10:11], off offset:16
	v_lshl_add_u64 v[62:63], s[4:5], 0, v[86:87]
	v_lshl_add_u64 v[38:39], v[62:63], 0, v[76:77]
	v_mfma_f32_16x16x16_bf16 v[46:49], v[40:41], v[48:49], v[72:75]
	v_pk_mul_f32 v[76:77], s[6:7], v[68:69] op_sel_hi:[0,1]
	v_lshl_add_u64 v[54:55], v[62:63], 0, v[54:55]
	v_lshl_add_u64 v[50:51], v[62:63], 0, v[50:51]
	v_mfma_f32_16x16x16_bf16 v[40:43], v[34:35], v[42:43], v[46:49]
	v_pk_mul_f32 v[74:75], s[6:7], v[70:71] op_sel_hi:[0,1]
	v_pk_mul_f32 v[70:71], s[6:7], v[94:95] op_sel_hi:[0,1]
	;; [unrolled: 1-line block ×3, first 2 shown]
	v_mfma_f32_16x16x16_bf16 v[34:37], v[36:37], v[44:45], v[40:43]
	global_load_dwordx4 v[6:9], v[2:3], off
	s_nop 0
	global_load_dwordx4 v[2:5], v[2:3], off offset:16
	s_nop 3
	v_pk_mul_f32 v[68:69], s[6:7], v[34:35] op_sel_hi:[0,1]
	v_and_b32_e32 v34, 0xc0, v0
	v_add_u32_e32 v34, s18, v34
	v_lshl_or_b32 v34, v88, 2, v34
	v_or_b32_e32 v35, 1, v34
	v_pk_mul_f32 v[66:67], s[6:7], v[36:37] op_sel_hi:[0,1]
	v_subrev_u32_e32 v36, s27, v35
	v_add_u32_e32 v40, 1, v36
	v_add_u32_e32 v41, 2, v36
	v_cvt_f32_i32_e32 v37, v36
	v_cvt_f32_i32_e32 v40, v40
	;; [unrolled: 1-line block ×3, first 2 shown]
	v_add_u32_e32 v42, 3, v36
	v_fma_f32 v52, v89, v37, v52
	v_fmac_f32_e32 v53, v89, v40
	v_fma_f32 v78, v89, v41, v78
	v_add_u32_e32 v37, 16, v36
	v_add_u32_e32 v40, 17, v36
	;; [unrolled: 1-line block ×3, first 2 shown]
	v_cvt_f32_i32_e32 v42, v42
	v_cvt_f32_i32_e32 v37, v37
	;; [unrolled: 1-line block ×4, first 2 shown]
	v_fmac_f32_e32 v79, v89, v42
	v_add_u32_e32 v42, 19, v36
	v_fma_f32 v76, v89, v37, v76
	v_fmac_f32_e32 v77, v89, v40
	v_fma_f32 v74, v89, v41, v74
	v_add_u32_e32 v37, 32, v36
	v_add_u32_e32 v40, 33, v36
	;; [unrolled: 1-line block ×3, first 2 shown]
	v_cvt_f32_i32_e32 v42, v42
	v_cvt_f32_i32_e32 v37, v37
	;; [unrolled: 1-line block ×4, first 2 shown]
	v_fmac_f32_e32 v75, v89, v42
	v_add_u32_e32 v42, 35, v36
	v_fma_f32 v72, v89, v37, v72
	v_fmac_f32_e32 v73, v89, v40
	v_fma_f32 v70, v89, v41, v70
	v_add_u32_e32 v37, 48, v36
	v_add_u32_e32 v40, 49, v36
	;; [unrolled: 1-line block ×4, first 2 shown]
	v_cvt_f32_i32_e32 v36, v36
	v_cvt_f32_i32_e32 v37, v37
	;; [unrolled: 1-line block ×3, first 2 shown]
	v_cmp_gt_i32_e64 s[28:29], s27, v34
	v_fmac_f32_e32 v67, v89, v36
	v_mov_b32_e32 v36, 0xff7fffff
	v_cmp_gt_i32_e64 s[30:31], s27, v35
	v_fma_f32 v68, v89, v37, v68
	v_cndmask_b32_e64 v37, v36, v52, s[28:29]
	v_cndmask_b32_e64 v35, v36, v53, s[30:31]
	v_fmac_f32_e32 v69, v89, v40
	v_max3_f32 v35, v37, s33, v35
	v_or_b32_e32 v37, 2, v34
	v_or_b32_e32 v40, 3, v34
	v_cmp_gt_i32_e64 s[34:35], s27, v37
	v_cmp_gt_i32_e64 s[36:37], s27, v40
	v_cvt_f32_i32_e32 v42, v42
	v_cndmask_b32_e64 v37, v36, v78, s[34:35]
	v_cndmask_b32_e64 v40, v36, v79, s[36:37]
	v_max3_f32 v35, v35, v37, v40
	v_or_b32_e32 v37, 16, v34
	v_or_b32_e32 v40, 17, v34
	v_cmp_gt_i32_e64 s[22:23], s27, v37
	v_cmp_gt_i32_e64 s[24:25], s27, v40
	v_fmac_f32_e32 v71, v89, v42
	v_cndmask_b32_e64 v37, v36, v76, s[22:23]
	v_cndmask_b32_e64 v40, v36, v77, s[24:25]
	v_max3_f32 v35, v35, v37, v40
	v_or_b32_e32 v37, 18, v34
	v_or_b32_e32 v40, 19, v34
	v_cmp_gt_i32_e64 s[18:19], s27, v37
	v_cmp_gt_i32_e64 s[20:21], s27, v40
	v_cvt_f32_i32_e32 v41, v41
	v_cndmask_b32_e64 v37, v36, v74, s[18:19]
	v_cndmask_b32_e64 v40, v36, v75, s[20:21]
	v_max3_f32 v35, v35, v37, v40
	v_or_b32_e32 v37, 32, v34
	v_or_b32_e32 v40, 33, v34
	v_cmp_gt_i32_e64 s[14:15], s27, v37
	v_cmp_gt_i32_e64 s[16:17], s27, v40
	v_fma_f32 v66, v89, v41, v66
	v_cndmask_b32_e64 v37, v36, v72, s[14:15]
	v_cndmask_b32_e64 v40, v36, v73, s[16:17]
	v_max3_f32 v35, v35, v37, v40
	v_or_b32_e32 v37, 34, v34
	v_or_b32_e32 v40, 35, v34
	v_cmp_gt_i32_e64 s[10:11], s27, v37
	v_cmp_gt_i32_e64 s[12:13], s27, v40
	s_nop 0
	v_cndmask_b32_e64 v37, v36, v70, s[10:11]
	v_cndmask_b32_e64 v40, v36, v71, s[12:13]
	v_max3_f32 v35, v35, v37, v40
	v_or_b32_e32 v37, 48, v34
	v_or_b32_e32 v40, 49, v34
	v_cmp_gt_i32_e64 s[6:7], s27, v37
	v_cmp_gt_i32_e64 s[8:9], s27, v40
	s_nop 0
	v_cndmask_b32_e64 v37, v36, v68, s[6:7]
	v_cndmask_b32_e64 v40, v36, v69, s[8:9]
	v_max3_f32 v35, v35, v37, v40
	v_or_b32_e32 v37, 50, v34
	v_or_b32_e32 v34, 51, v34
	v_cmp_gt_i32_e32 vcc, s27, v37
	v_cmp_gt_i32_e64 s[4:5], s27, v34
	global_load_dwordx4 v[46:49], v[38:39], off
	s_nop 0
	global_load_dwordx4 v[38:41], v[38:39], off offset:16
	v_cndmask_b32_e32 v37, v36, v66, vcc
	v_cndmask_b32_e64 v34, v36, v67, s[4:5]
	v_max3_f32 v56, v35, v37, v34
	v_mbcnt_lo_u32_b32 v34, -1, 0
	v_mbcnt_hi_u32_b32 v57, -1, v34
	v_and_b32_e32 v34, 64, v57
	v_add_u32_e32 v60, 64, v34
	v_xor_b32_e32 v34, 32, v57
	v_cmp_lt_i32_e64 s[38:39], v34, v60
	s_nop 1
	v_cndmask_b32_e64 v34, v57, v34, s[38:39]
	v_lshlrev_b32_e32 v87, 2, v34
	ds_bpermute_b32 v61, v87, v56
	v_lshl_add_u64 v[34:35], v[62:63], 0, v[58:59]
	global_load_dwordx4 v[42:45], v[34:35], off
	s_nop 0
	global_load_dwordx4 v[34:37], v[34:35], off offset:16
	s_waitcnt lgkmcnt(0)
	v_max_f32_e32 v58, v61, v61
	v_max_f32_e32 v64, v56, v58
	v_xor_b32_e32 v56, 16, v57
	v_cmp_lt_i32_e64 s[38:39], v56, v60
	s_nop 1
	v_cndmask_b32_e64 v56, v57, v56, s[38:39]
	v_lshlrev_b32_e32 v89, 2, v56
	ds_bpermute_b32 v65, v89, v64
	global_load_dwordx4 v[58:61], v[54:55], off
	s_nop 0
	global_load_dwordx4 v[54:57], v[54:55], off offset:16
	s_waitcnt lgkmcnt(0)
	v_max_f32_e32 v62, v65, v65
	v_max_f32_e32 v86, v64, v62
	v_sub_f32_e32 v52, v52, v86
	v_mul_f32_e32 v52, 0x3fb8aa3b, v52
	v_exp_f32_e32 v80, v52
	v_sub_f32_e32 v52, v53, v86
	v_mul_f32_e32 v52, 0x3fb8aa3b, v52
	v_exp_f32_e32 v81, v52
	global_load_dwordx4 v[62:65], v[50:51], off
	s_nop 0
	global_load_dwordx4 v[50:53], v[50:51], off offset:16
	v_sub_f32_e32 v78, v78, v86
	v_mul_f32_e32 v78, 0x3fb8aa3b, v78
	v_sub_f32_e32 v79, v79, v86
	v_exp_f32_e32 v78, v78
	v_mul_f32_e32 v79, 0x3fb8aa3b, v79
	v_sub_f32_e32 v76, v76, v86
	v_exp_f32_e32 v79, v79
	v_mul_f32_e32 v76, 0x3fb8aa3b, v76
	v_sub_f32_e32 v77, v77, v86
	v_cndmask_b32_e64 v80, 0, v80, s[28:29]
	v_exp_f32_e32 v76, v76
	v_mul_f32_e32 v77, 0x3fb8aa3b, v77
	v_sub_f32_e32 v74, v74, v86
	v_add_f32_e32 v91, 0, v80
	v_cndmask_b32_e64 v81, 0, v81, s[30:31]
	v_exp_f32_e32 v77, v77
	v_mul_f32_e32 v74, 0x3fb8aa3b, v74
	v_sub_f32_e32 v75, v75, v86
	v_add_f32_e32 v91, v91, v81
	;; [unrolled: 5-line block ×10, first 2 shown]
	v_cndmask_b32_e64 v70, 0, v70, s[10:11]
	v_exp_f32_e32 v66, v66
	v_mul_f32_e32 v67, 0x3fb8aa3b, v67
	v_add_f32_e32 v91, v91, v70
	v_cndmask_b32_e64 v71, 0, v71, s[12:13]
	v_exp_f32_e32 v67, v67
	v_add_f32_e32 v91, v91, v71
	v_cndmask_b32_e64 v68, 0, v68, s[6:7]
	v_add_f32_e32 v91, v91, v68
	v_cndmask_b32_e64 v69, 0, v69, s[8:9]
	v_add_f32_e32 v91, v91, v69
	v_cndmask_b32_e32 v66, 0, v66, vcc
	v_add_f32_e32 v91, v91, v66
	v_cndmask_b32_e64 v67, 0, v67, s[4:5]
	v_add_f32_e32 v91, v91, v67
	ds_bpermute_b32 v87, v87, v91
	s_load_dword s9, s[0:1], 0x98
	v_cmp_gt_u32_e64 s[4:5], 16, v83
	s_waitcnt lgkmcnt(0)
	s_barrier
	v_add_f32_e32 v87, v91, v87
	ds_bpermute_b32 v89, v89, v87
	s_waitcnt lgkmcnt(0)
	s_and_saveexec_b64 s[6:7], s[4:5]
	s_cbranch_execz .LBB644_15
; %bb.14:
	v_add_f32_e32 v83, v87, v89
	v_lshlrev_b32_e32 v87, 2, v90
	ds_write2st64_b32 v87, v86, v83 offset1:1
.LBB644_15:
	s_or_b64 exec, exec, s[6:7]
	v_lshlrev_b32_e32 v89, 2, v84
	s_load_dword s8, s[0:1], 0x94
	s_waitcnt lgkmcnt(0)
	s_barrier
	ds_read2_b32 v[86:87], v89 offset1:16
	ds_read2_b32 v[90:91], v89 offset0:32 offset1:48
	ds_read2_b32 v[92:93], v89 offset0:64 offset1:80
	;; [unrolled: 1-line block ×3, first 2 shown]
	s_movk_i32 s10, 0x7fff
	s_waitcnt lgkmcnt(3)
	v_max3_f32 v83, v86, s33, v87
	s_waitcnt lgkmcnt(2)
	v_max3_f32 v83, v83, v90, v91
	v_sub_f32_e32 v86, v86, v83
	v_mul_f32_e32 v86, 0x3fb8aa3b, v86
	v_exp_f32_e32 v1, v86
	v_sub_f32_e32 v86, v87, v83
	v_mul_f32_e32 v86, 0x3fb8aa3b, v86
	v_exp_f32_e32 v87, v86
	;; [unrolled: 3-line block ×4, first 2 shown]
	s_waitcnt lgkmcnt(1)
	v_fma_f32 v86, v1, v92, 0
	v_fmac_f32_e32 v86, v87, v93
	s_waitcnt lgkmcnt(0)
	v_fmac_f32_e32 v86, v90, v94
	v_fmac_f32_e32 v86, v89, v95
	v_add_f32_e32 v91, 0x358637bd, v86
	v_div_scale_f32 v92, s[6:7], v91, v91, 1.0
	v_rcp_f32_e32 v93, v92
	s_mov_b32 s11, 0x7060302
	s_mul_i32 s9, s9, 13
	v_fma_f32 v94, -v92, v93, 1.0
	v_fmac_f32_e32 v93, v94, v93
	v_div_scale_f32 v94, vcc, 1.0, v91, 1.0
	v_mul_f32_e32 v95, v94, v93
	v_fma_f32 v88, -v92, v95, v94
	v_fmac_f32_e32 v95, v88, v93
	v_fma_f32 v88, -v92, v95, v94
	v_div_fmas_f32 v88, v88, v93, v95
	v_cmp_eq_u32_e32 vcc, 1, v85
	v_div_fixup_f32 v88, v88, v91, 1.0
	s_barrier
	v_cndmask_b32_e32 v1, v1, v87, vcc
	v_cmp_eq_u32_e32 vcc, 2, v85
	s_nop 1
	v_cndmask_b32_e32 v1, v1, v90, vcc
	v_cmp_eq_u32_e32 vcc, 3, v85
	s_nop 1
	v_cndmask_b32_e32 v1, v1, v89, vcc
	v_mul_f32_e32 v90, v1, v88
	v_pk_mul_f32 v[80:81], v[90:91], v[80:81] op_sel_hi:[0,1]
	v_bfe_u32 v1, v81, 16, 1
	v_bfe_u32 v87, v80, 16, 1
	v_pk_mul_f32 v[78:79], v[90:91], v[78:79] op_sel_hi:[0,1]
	v_add3_u32 v80, v80, v87, s10
	v_add3_u32 v1, v81, v1, s10
	v_perm_b32 v80, v1, v80, s11
	v_bfe_u32 v1, v79, 16, 1
	v_bfe_u32 v81, v78, 16, 1
	v_add3_u32 v78, v78, v81, s10
	v_add3_u32 v1, v79, v1, s10
	v_bfe_u32 v87, v0, 4, 2
	v_perm_b32 v81, v1, v78, s11
	v_lshlrev_b32_e32 v1, 3, v87
	v_lshlrev_b32_e32 v79, 5, v84
	;; [unrolled: 1-line block ×3, first 2 shown]
	v_pk_mul_f32 v[76:77], v[90:91], v[76:77] op_sel_hi:[0,1]
	v_or3_b32 v78, v78, v79, v1
	v_bfe_u32 v1, v77, 16, 1
	v_bfe_u32 v85, v76, 16, 1
	v_pk_mul_f32 v[74:75], v[90:91], v[74:75] op_sel_hi:[0,1]
	v_add3_u32 v76, v76, v85, s10
	v_add3_u32 v1, v77, v1, s10
	v_perm_b32 v76, v1, v76, s11
	v_bfe_u32 v1, v75, 16, 1
	v_bfe_u32 v77, v74, 16, 1
	v_add3_u32 v74, v74, v77, s10
	v_add3_u32 v1, v75, v1, s10
	v_pk_mul_f32 v[72:73], v[90:91], v[72:73] op_sel_hi:[0,1]
	v_perm_b32 v77, v1, v74, s11
	v_bfe_u32 v1, v73, 16, 1
	v_bfe_u32 v74, v72, 16, 1
	v_pk_mul_f32 v[70:71], v[90:91], v[70:71] op_sel_hi:[0,1]
	v_add3_u32 v72, v72, v74, s10
	v_add3_u32 v1, v73, v1, s10
	v_perm_b32 v72, v1, v72, s11
	v_bfe_u32 v1, v71, 16, 1
	v_bfe_u32 v73, v70, 16, 1
	v_add3_u32 v70, v70, v73, s10
	v_add3_u32 v1, v71, v1, s10
	v_pk_mul_f32 v[68:69], v[90:91], v[68:69] op_sel_hi:[0,1]
	v_perm_b32 v73, v1, v70, s11
	v_bfe_u32 v1, v69, 16, 1
	v_bfe_u32 v70, v68, 16, 1
	v_pk_mul_f32 v[66:67], v[90:91], v[66:67] op_sel_hi:[0,1]
	v_add3_u32 v68, v68, v70, s10
	v_add3_u32 v1, v69, v1, s10
	v_perm_b32 v68, v1, v68, s11
	v_bfe_u32 v1, v67, 16, 1
	v_bfe_u32 v69, v66, 16, 1
	v_add3_u32 v66, v66, v69, s10
	v_add3_u32 v1, v67, v1, s10
	v_perm_b32 v69, v1, v66, s11
	v_cmp_gt_u32_e32 vcc, 13, v0
	ds_write2st64_b64 v78, v[80:81], v[76:77] offset1:1
	ds_write2st64_b64 v78, v[72:73], v[68:69] offset0:2 offset1:3
	s_and_saveexec_b64 s[6:7], vcc
	s_cbranch_execz .LBB644_17
; %bb.16:
	s_mov_b32 s41, 0
	v_mov_b32_e32 v85, 0
	v_lshl_add_u64 v[66:67], s[40:41], 0, v[84:85]
	v_mov_b32_e32 v1, s9
	v_mad_u64_u32 v[66:67], s[16:17], s2, v1, v[66:67]
	s_mul_i32 s3, s3, s9
	v_mov_b32_e32 v68, s26
	v_mov_b32_e32 v69, v85
	s_load_dwordx4 s[12:15], s[0:1], 0x58
	v_add_u32_e32 v1, s3, v67
	v_mad_u64_u32 v[66:67], s[16:17], v66, s8, v[68:69]
	v_mov_b32_e32 v68, v67
	v_mad_u64_u32 v[68:69], s[16:17], v1, s8, v[68:69]
	v_mov_b32_e32 v67, v68
	v_lshlrev_b64 v[66:67], 2, v[66:67]
	s_waitcnt lgkmcnt(0)
	v_lshl_add_u64 v[68:69], s[14:15], 0, v[66:67]
	v_lshl_add_u64 v[66:67], s[12:13], 0, v[66:67]
	global_store_dword v[68:69], v83, off
	global_store_dword v[66:67], v86, off
.LBB644_17:
	s_or_b64 exec, exec, s[6:7]
	v_lshl_or_b32 v1, v87, 9, v79
	s_waitcnt lgkmcnt(0)
	s_barrier
	ds_read_b128 v[70:73], v1
	ds_read_b128 v[66:69], v1 offset:16
	s_waitcnt vmcnt(15) lgkmcnt(1)
	v_mfma_f32_16x16x16_bf16 v[74:77], v[30:31], v[70:71], 0
	s_mov_b32 s3, 0
	v_cmp_gt_u32_e32 vcc, 64, v0
	v_mfma_f32_16x16x16_bf16 v[30:33], v[32:33], v[72:73], v[74:77]
	s_waitcnt vmcnt(14) lgkmcnt(0)
	v_mfma_f32_16x16x16_bf16 v[30:33], v[26:27], v[66:67], v[30:33]
	v_mfma_f32_16x16x16_bf16 v[26:29], v[28:29], v[68:69], v[30:33]
	s_nop 5
	ds_read_b128 v[30:33], v1 offset:2048
	ds_read_b128 v[74:77], v1 offset:2064
	s_waitcnt vmcnt(13) lgkmcnt(1)
	v_mfma_f32_16x16x16_bf16 v[26:29], v[22:23], v[30:31], v[26:29]
	v_mfma_f32_16x16x16_bf16 v[22:25], v[24:25], v[32:33], v[26:29]
	s_waitcnt vmcnt(12) lgkmcnt(0)
	v_mfma_f32_16x16x16_bf16 v[22:25], v[18:19], v[74:75], v[22:25]
	v_mfma_f32_16x16x16_bf16 v[18:21], v[20:21], v[76:77], v[22:25]
	s_nop 5
	ds_read_b128 v[22:25], v1 offset:4096
	ds_read_b128 v[26:29], v1 offset:4112
	s_waitcnt vmcnt(11) lgkmcnt(1)
	v_mfma_f32_16x16x16_bf16 v[18:21], v[14:15], v[22:23], v[18:21]
	v_mfma_f32_16x16x16_bf16 v[14:17], v[16:17], v[24:25], v[18:21]
	s_waitcnt vmcnt(10) lgkmcnt(0)
	v_mfma_f32_16x16x16_bf16 v[14:17], v[10:11], v[26:27], v[14:17]
	v_mfma_f32_16x16x16_bf16 v[10:13], v[12:13], v[28:29], v[14:17]
	s_nop 5
	ds_read_b128 v[14:17], v1 offset:6144
	ds_read_b128 v[18:21], v1 offset:6160
	s_waitcnt lgkmcnt(0)
	s_barrier
	s_waitcnt vmcnt(9)
	v_mfma_f32_16x16x16_bf16 v[10:13], v[6:7], v[14:15], v[10:13]
	v_mfma_f32_16x16x16_bf16 v[6:9], v[8:9], v[16:17], v[10:13]
	s_waitcnt vmcnt(8)
	v_mfma_f32_16x16x16_bf16 v[6:9], v[2:3], v[18:19], v[6:9]
	v_mfma_f32_16x16x16_bf16 v[2:5], v[4:5], v[20:21], v[6:9]
	;; [unrolled: 3-line block ×3, first 2 shown]
	s_nop 3
	v_bfe_u32 v1, v3, 16, 1
	v_bfe_u32 v10, v2, 16, 1
	v_add3_u32 v2, v2, v10, s10
	s_waitcnt vmcnt(6)
	v_mfma_f32_16x16x16_bf16 v[6:9], v[38:39], v[66:67], v[6:9]
	v_add3_u32 v1, v3, v1, s10
	v_perm_b32 v10, v1, v2, s11
	v_bfe_u32 v1, v5, 16, 1
	v_mfma_f32_16x16x16_bf16 v[6:9], v[40:41], v[68:69], v[6:9]
	v_bfe_u32 v2, v4, 16, 1
	v_add3_u32 v2, v4, v2, s10
	v_add3_u32 v1, v5, v1, s10
	s_waitcnt vmcnt(5)
	v_mfma_f32_16x16x16_bf16 v[6:9], v[42:43], v[30:31], v[6:9]
	v_perm_b32 v11, v1, v2, s11
	v_mfma_f32_16x16x16_bf16 v[6:9], v[44:45], v[32:33], v[6:9]
	s_waitcnt vmcnt(4)
	v_mfma_f32_16x16x16_bf16 v[6:9], v[34:35], v[74:75], v[6:9]
	v_mfma_f32_16x16x16_bf16 v[6:9], v[36:37], v[76:77], v[6:9]
	s_waitcnt vmcnt(3)
	v_mfma_f32_16x16x16_bf16 v[6:9], v[58:59], v[22:23], v[6:9]
	v_mfma_f32_16x16x16_bf16 v[6:9], v[60:61], v[24:25], v[6:9]
	s_waitcnt vmcnt(2)
	v_mfma_f32_16x16x16_bf16 v[6:9], v[54:55], v[26:27], v[6:9]
	v_mfma_f32_16x16x16_bf16 v[6:9], v[56:57], v[28:29], v[6:9]
	s_waitcnt vmcnt(1)
	v_mfma_f32_16x16x16_bf16 v[6:9], v[62:63], v[14:15], v[6:9]
	v_mfma_f32_16x16x16_bf16 v[6:9], v[64:65], v[16:17], v[6:9]
	s_waitcnt vmcnt(0)
	v_mfma_f32_16x16x16_bf16 v[6:9], v[50:51], v[18:19], v[6:9]
	v_mfma_f32_16x16x16_bf16 v[2:5], v[52:53], v[20:21], v[6:9]
	s_nop 6
	v_bfe_u32 v1, v3, 16, 1
	v_bfe_u32 v6, v2, 16, 1
	v_add3_u32 v2, v2, v6, s10
	v_add3_u32 v1, v3, v1, s10
	v_perm_b32 v2, v1, v2, s11
	v_bfe_u32 v1, v5, 16, 1
	v_bfe_u32 v3, v4, 16, 1
	v_add3_u32 v3, v4, v3, s10
	v_add3_u32 v1, v5, v1, s10
	v_perm_b32 v3, v1, v3, s11
	ds_write2st64_b64 v78, v[10:11], v[2:3] offset1:1
	s_waitcnt lgkmcnt(0)
	s_barrier
	s_and_saveexec_b64 s[6:7], vcc
	s_cbranch_execz .LBB644_20
; %bb.18:
	s_load_dwordx2 s[6:7], s[0:1], 0x68
	s_lshl_b32 s0, s8, 7
	s_mul_i32 s1, s9, s2
	v_lshlrev_b32_e32 v3, 6, v84
	s_mul_hi_u32 s9, s1, s0
	s_mul_i32 s8, s1, s0
	v_lshlrev_b32_e32 v2, 4, v0
	v_lshl_or_b32 v0, v0, 10, v3
	s_lshl_b64 s[8:9], s[8:9], 1
	v_lshlrev_b32_e32 v1, 5, v87
	v_and_b32_e32 v2, 16, v2
	v_and_b32_e32 v0, 0x1a00, v0
	s_waitcnt lgkmcnt(0)
	s_add_u32 s1, s6, s8
	v_or3_b32 v2, v0, v1, v2
	s_addc_u32 s6, s7, s9
	s_lshl_b32 s2, s26, 7
	ds_read_b128 v[4:7], v2 offset:256
	s_lshl_b64 s[2:3], s[2:3], 1
	ds_read_b128 v[8:11], v2 offset:128
	ds_read_b128 v[12:15], v2
	s_add_u32 s2, s1, s2
	s_addc_u32 s3, s6, s3
	v_mov_b32_e32 v83, 0
	v_add_u32_e32 v3, s40, v87
	v_lshl_add_u64 v[0:1], s[2:3], 0, v[82:83]
	v_mad_u64_u32 v[16:17], s[2:3], v3, s0, 0
	v_lshl_add_u64 v[16:17], v[16:17], 1, v[0:1]
	s_waitcnt lgkmcnt(0)
	global_store_dwordx4 v[16:17], v[12:15], off
	s_nop 1
	v_add_u32_e32 v12, 4, v3
	v_mad_u64_u32 v[12:13], s[2:3], v12, s0, 0
	v_lshl_add_u64 v[12:13], v[12:13], 1, v[0:1]
	v_add_u32_e32 v3, 8, v3
	global_store_dwordx4 v[12:13], v[8:11], off
	s_nop 1
	v_mad_u64_u32 v[8:9], s[2:3], v3, s0, 0
	v_lshl_add_u64 v[8:9], v[8:9], 1, v[0:1]
	global_store_dwordx4 v[8:9], v[4:7], off
	s_and_b64 exec, exec, s[4:5]
	s_cbranch_execz .LBB644_20
; %bb.19:
	ds_read_b128 v[2:5], v2 offset:384
	v_add3_u32 v6, s40, v87, 12
	v_mad_u64_u32 v[6:7], s[0:1], v6, s0, 0
	v_lshl_add_u64 v[0:1], v[6:7], 1, v[0:1]
	s_waitcnt lgkmcnt(0)
	global_store_dwordx4 v[0:1], v[2:5], off
.LBB644_20:
	s_endpgm
	.section	.rodata,"a",@progbits
	.p2align	6, 0x0
	.amdhsa_kernel _Z39paged_attention_ll4mi_QKV_mfma16_kernelI14__hip_bfloat16S0_LN4vllm18Fp8KVCacheDataTypeE0ES0_Li16ELi128ELi256ELb1ELi13EEvPKT_PKT0_S8_ifPKiSA_SA_iPKfiiiPfSD_PS3_PT2_iSC_SC_
		.amdhsa_group_segment_fixed_size 8192
		.amdhsa_private_segment_fixed_size 0
		.amdhsa_kernarg_size 400
		.amdhsa_user_sgpr_count 2
		.amdhsa_user_sgpr_dispatch_ptr 0
		.amdhsa_user_sgpr_queue_ptr 0
		.amdhsa_user_sgpr_kernarg_segment_ptr 1
		.amdhsa_user_sgpr_dispatch_id 0
		.amdhsa_user_sgpr_kernarg_preload_length 0
		.amdhsa_user_sgpr_kernarg_preload_offset 0
		.amdhsa_user_sgpr_private_segment_size 0
		.amdhsa_uses_dynamic_stack 0
		.amdhsa_enable_private_segment 0
		.amdhsa_system_sgpr_workgroup_id_x 1
		.amdhsa_system_sgpr_workgroup_id_y 1
		.amdhsa_system_sgpr_workgroup_id_z 1
		.amdhsa_system_sgpr_workgroup_info 0
		.amdhsa_system_vgpr_workitem_id 0
		.amdhsa_next_free_vgpr 96
		.amdhsa_next_free_sgpr 42
		.amdhsa_accum_offset 96
		.amdhsa_reserve_vcc 1
		.amdhsa_float_round_mode_32 0
		.amdhsa_float_round_mode_16_64 0
		.amdhsa_float_denorm_mode_32 3
		.amdhsa_float_denorm_mode_16_64 3
		.amdhsa_dx10_clamp 1
		.amdhsa_ieee_mode 1
		.amdhsa_fp16_overflow 0
		.amdhsa_tg_split 0
		.amdhsa_exception_fp_ieee_invalid_op 0
		.amdhsa_exception_fp_denorm_src 0
		.amdhsa_exception_fp_ieee_div_zero 0
		.amdhsa_exception_fp_ieee_overflow 0
		.amdhsa_exception_fp_ieee_underflow 0
		.amdhsa_exception_fp_ieee_inexact 0
		.amdhsa_exception_int_div_zero 0
	.end_amdhsa_kernel
	.section	.text._Z39paged_attention_ll4mi_QKV_mfma16_kernelI14__hip_bfloat16S0_LN4vllm18Fp8KVCacheDataTypeE0ES0_Li16ELi128ELi256ELb1ELi13EEvPKT_PKT0_S8_ifPKiSA_SA_iPKfiiiPfSD_PS3_PT2_iSC_SC_,"axG",@progbits,_Z39paged_attention_ll4mi_QKV_mfma16_kernelI14__hip_bfloat16S0_LN4vllm18Fp8KVCacheDataTypeE0ES0_Li16ELi128ELi256ELb1ELi13EEvPKT_PKT0_S8_ifPKiSA_SA_iPKfiiiPfSD_PS3_PT2_iSC_SC_,comdat
.Lfunc_end644:
	.size	_Z39paged_attention_ll4mi_QKV_mfma16_kernelI14__hip_bfloat16S0_LN4vllm18Fp8KVCacheDataTypeE0ES0_Li16ELi128ELi256ELb1ELi13EEvPKT_PKT0_S8_ifPKiSA_SA_iPKfiiiPfSD_PS3_PT2_iSC_SC_, .Lfunc_end644-_Z39paged_attention_ll4mi_QKV_mfma16_kernelI14__hip_bfloat16S0_LN4vllm18Fp8KVCacheDataTypeE0ES0_Li16ELi128ELi256ELb1ELi13EEvPKT_PKT0_S8_ifPKiSA_SA_iPKfiiiPfSD_PS3_PT2_iSC_SC_
                                        ; -- End function
	.section	.AMDGPU.csdata,"",@progbits
; Kernel info:
; codeLenInByte = 5044
; NumSgprs: 48
; NumVgprs: 96
; NumAgprs: 0
; TotalNumVgprs: 96
; ScratchSize: 0
; MemoryBound: 0
; FloatMode: 240
; IeeeMode: 1
; LDSByteSize: 8192 bytes/workgroup (compile time only)
; SGPRBlocks: 5
; VGPRBlocks: 11
; NumSGPRsForWavesPerEU: 48
; NumVGPRsForWavesPerEU: 96
; AccumOffset: 96
; Occupancy: 5
; WaveLimiterHint : 1
; COMPUTE_PGM_RSRC2:SCRATCH_EN: 0
; COMPUTE_PGM_RSRC2:USER_SGPR: 2
; COMPUTE_PGM_RSRC2:TRAP_HANDLER: 0
; COMPUTE_PGM_RSRC2:TGID_X_EN: 1
; COMPUTE_PGM_RSRC2:TGID_Y_EN: 1
; COMPUTE_PGM_RSRC2:TGID_Z_EN: 1
; COMPUTE_PGM_RSRC2:TIDIG_COMP_CNT: 0
; COMPUTE_PGM_RSRC3_GFX90A:ACCUM_OFFSET: 23
; COMPUTE_PGM_RSRC3_GFX90A:TG_SPLIT: 0
	.section	.text._Z39paged_attention_ll4mi_QKV_mfma16_kernelI14__hip_bfloat16S0_LN4vllm18Fp8KVCacheDataTypeE0ES0_Li16ELi128ELi256ELb1ELi14EEvPKT_PKT0_S8_ifPKiSA_SA_iPKfiiiPfSD_PS3_PT2_iSC_SC_,"axG",@progbits,_Z39paged_attention_ll4mi_QKV_mfma16_kernelI14__hip_bfloat16S0_LN4vllm18Fp8KVCacheDataTypeE0ES0_Li16ELi128ELi256ELb1ELi14EEvPKT_PKT0_S8_ifPKiSA_SA_iPKfiiiPfSD_PS3_PT2_iSC_SC_,comdat
	.protected	_Z39paged_attention_ll4mi_QKV_mfma16_kernelI14__hip_bfloat16S0_LN4vllm18Fp8KVCacheDataTypeE0ES0_Li16ELi128ELi256ELb1ELi14EEvPKT_PKT0_S8_ifPKiSA_SA_iPKfiiiPfSD_PS3_PT2_iSC_SC_ ; -- Begin function _Z39paged_attention_ll4mi_QKV_mfma16_kernelI14__hip_bfloat16S0_LN4vllm18Fp8KVCacheDataTypeE0ES0_Li16ELi128ELi256ELb1ELi14EEvPKT_PKT0_S8_ifPKiSA_SA_iPKfiiiPfSD_PS3_PT2_iSC_SC_
	.globl	_Z39paged_attention_ll4mi_QKV_mfma16_kernelI14__hip_bfloat16S0_LN4vllm18Fp8KVCacheDataTypeE0ES0_Li16ELi128ELi256ELb1ELi14EEvPKT_PKT0_S8_ifPKiSA_SA_iPKfiiiPfSD_PS3_PT2_iSC_SC_
	.p2align	8
	.type	_Z39paged_attention_ll4mi_QKV_mfma16_kernelI14__hip_bfloat16S0_LN4vllm18Fp8KVCacheDataTypeE0ES0_Li16ELi128ELi256ELb1ELi14EEvPKT_PKT0_S8_ifPKiSA_SA_iPKfiiiPfSD_PS3_PT2_iSC_SC_,@function
_Z39paged_attention_ll4mi_QKV_mfma16_kernelI14__hip_bfloat16S0_LN4vllm18Fp8KVCacheDataTypeE0ES0_Li16ELi128ELi256ELb1ELi14EEvPKT_PKT0_S8_ifPKiSA_SA_iPKfiiiPfSD_PS3_PT2_iSC_SC_: ; @_Z39paged_attention_ll4mi_QKV_mfma16_kernelI14__hip_bfloat16S0_LN4vllm18Fp8KVCacheDataTypeE0ES0_Li16ELi128ELi256ELb1ELi14EEvPKT_PKT0_S8_ifPKiSA_SA_iPKfiiiPfSD_PS3_PT2_iSC_SC_
; %bb.0:
	s_load_dwordx2 s[8:9], s[0:1], 0x30
	s_mov_b32 s26, s3
	s_mov_b64 s[6:7], 0
	s_waitcnt lgkmcnt(0)
	s_cmp_lg_u64 s[8:9], 0
	s_cselect_b64 s[10:11], -1, 0
	s_and_b64 vcc, exec, s[10:11]
	s_cbranch_vccz .LBB645_7
; %bb.1:
	s_add_i32 s12, s2, 1
	s_mov_b32 s13, 0
	s_lshl_b64 s[14:15], s[12:13], 2
	s_add_u32 s14, s8, s14
	s_mov_b32 s3, s13
	s_addc_u32 s15, s9, s15
	s_lshl_b64 s[12:13], s[2:3], 2
	s_add_u32 s12, s8, s12
	s_addc_u32 s13, s9, s13
	s_load_dword s5, s[14:15], 0x0
	s_load_dword s16, s[12:13], 0x0
	s_waitcnt lgkmcnt(0)
	s_sub_i32 s5, s5, s16
	s_cmp_eq_u32 s5, 1
	s_cselect_b64 s[12:13], -1, 0
	s_andn2_b64 vcc, exec, s[6:7]
	s_cbranch_vccnz .LBB645_3
.LBB645_2:
	s_mov_b32 s3, 0
	s_mov_b64 s[12:13], -1
.LBB645_3:
	s_andn2_b64 vcc, exec, s[12:13]
	s_cbranch_vccnz .LBB645_20
; %bb.4:
	s_load_dwordx2 s[6:7], s[0:1], 0x28
	s_lshl_b64 s[12:13], s[2:3], 2
	s_waitcnt lgkmcnt(0)
	s_add_u32 s6, s6, s12
	s_addc_u32 s7, s7, s13
	s_load_dword s27, s[6:7], 0x0
	s_lshl_b32 s18, s26, 8
	s_waitcnt lgkmcnt(0)
	s_cmp_ge_i32 s18, s27
	s_cbranch_scc1 .LBB645_20
; %bb.5:
	s_load_dwordx2 s[6:7], s[0:1], 0x20
	s_load_dword s5, s[0:1], 0x38
	s_add_i32 s14, s27, 15
	s_ashr_i32 s15, s14, 31
	v_and_b32_e32 v1, 0xcf, v0
	s_lshr_b32 s15, s15, 28
	v_add_u32_e32 v1, s18, v1
	s_add_i32 s14, s14, s15
	v_ashrrev_i32_e32 v2, 31, v1
	s_ashr_i32 s19, s14, 4
	v_lshrrev_b32_e32 v4, 28, v2
	s_add_i32 s19, s19, -1
	s_waitcnt lgkmcnt(0)
	s_mul_i32 s14, s2, s5
	s_mov_b32 s15, 0
	v_add_u32_e32 v2, v1, v4
	s_lshl_b64 s[14:15], s[14:15], 2
	v_ashrrev_i32_e32 v2, 4, v2
	v_mov_b32_e32 v5, s19
	v_cmp_gt_i32_e32 vcc, s27, v1
	s_add_u32 s6, s6, s14
	s_addc_u32 s7, s7, s15
	v_cndmask_b32_e32 v2, v5, v2, vcc
	v_ashrrev_i32_e32 v3, 31, v2
	v_lshl_add_u64 v[6:7], v[2:3], 2, s[6:7]
	v_or_b32_e32 v2, 16, v1
	v_add_u32_e32 v3, v2, v4
	v_ashrrev_i32_e32 v3, 4, v3
	v_cmp_gt_i32_e32 vcc, s27, v2
	s_load_dwordx2 s[14:15], s[0:1], 0x8
	s_nop 0
	v_cndmask_b32_e32 v2, v5, v3, vcc
	v_ashrrev_i32_e32 v3, 31, v2
	v_lshl_add_u64 v[8:9], v[2:3], 2, s[6:7]
	v_or_b32_e32 v2, 32, v1
	v_add_u32_e32 v3, v2, v4
	v_ashrrev_i32_e32 v3, 4, v3
	v_cmp_gt_i32_e32 vcc, s27, v2
	v_or_b32_e32 v1, 48, v1
	s_nop 0
	v_cndmask_b32_e32 v2, v5, v3, vcc
	v_ashrrev_i32_e32 v3, 31, v2
	v_lshl_add_u64 v[10:11], v[2:3], 2, s[6:7]
	v_add_u32_e32 v2, v1, v4
	v_ashrrev_i32_e32 v2, 4, v2
	v_cmp_gt_i32_e32 vcc, s27, v1
	s_nop 1
	v_cndmask_b32_e32 v2, v5, v2, vcc
	v_ashrrev_i32_e32 v3, 31, v2
	v_lshl_add_u64 v[12:13], v[2:3], 2, s[6:7]
	global_load_dword v5, v[6:7], off
	global_load_dword v4, v[8:9], off
	;; [unrolled: 1-line block ×4, first 2 shown]
	s_andn2_b64 vcc, exec, s[10:11]
	s_cbranch_vccnz .LBB645_8
; %bb.6:
	s_add_u32 s8, s8, s12
	s_addc_u32 s9, s9, s13
	s_load_dword s5, s[8:9], 0x0
	s_branch .LBB645_9
.LBB645_7:
	s_mov_b64 s[12:13], 0
	s_branch .LBB645_2
.LBB645_8:
	s_mov_b32 s5, s2
.LBB645_9:
	s_load_dwordx2 s[12:13], s[0:1], 0x10
	s_load_dwordx4 s[8:11], s[0:1], 0x48
	v_lshrrev_b32_e32 v85, 6, v0
	v_bfe_u32 v88, v0, 4, 2
	v_and_b32_e32 v84, 15, v0
	v_lshl_or_b32 v1, v85, 2, v88
	v_lshlrev_b32_e32 v6, 3, v84
	s_mul_i32 s40, s4, 14
	v_cmp_gt_u32_e32 vcc, 14, v1
	v_lshlrev_b32_e32 v82, 1, v6
	s_and_saveexec_b64 s[16:17], vcc
	s_cbranch_execz .LBB645_11
; %bb.10:
	s_load_dwordx2 s[20:21], s[0:1], 0x0
	s_waitcnt lgkmcnt(0)
	s_ashr_i32 s11, s8, 31
	s_mul_hi_u32 s22, s5, s8
	s_mul_i32 s11, s5, s11
	s_add_i32 s23, s22, s11
	s_mul_i32 s22, s5, s8
	s_lshl_b64 s[22:23], s[22:23], 1
	s_add_u32 s20, s20, s22
	v_add_lshl_u32 v6, v1, s40, 7
	s_addc_u32 s21, s21, s23
	v_ashrrev_i32_e32 v7, 31, v6
	v_lshl_add_u64 v[6:7], v[6:7], 1, s[20:21]
	v_mov_b32_e32 v83, 0
	v_lshl_add_u64 v[6:7], v[6:7], 0, v[82:83]
	global_load_dwordx4 v[6:9], v[6:7], off
	v_and_b32_e32 v10, 3, v0
	v_lshlrev_b32_e32 v11, 9, v84
	v_lshlrev_b32_e32 v1, 5, v1
	;; [unrolled: 1-line block ×3, first 2 shown]
	v_and_b32_e32 v11, 0x1800, v11
	v_or3_b32 v1, v11, v10, v1
	s_waitcnt vmcnt(0)
	ds_write_b128 v1, v[6:9]
.LBB645_11:
	s_or_b64 exec, exec, s[16:17]
	s_waitcnt lgkmcnt(0)
	s_mul_i32 s4, s4, s10
	s_mov_b32 s5, 0
	s_lshl_b64 s[4:5], s[4:5], 1
	s_add_u32 s10, s14, s4
	v_lshlrev_b32_e32 v1, 4, v0
	s_addc_u32 s11, s15, s5
	v_and_b32_e32 v86, 0xf0, v1
	v_mov_b32_e32 v87, 0
	v_lshl_add_u64 v[6:7], s[10:11], 0, v[86:87]
	s_waitcnt vmcnt(3)
	v_mad_i64_i32 v[8:9], s[10:11], v5, s9, 0
	s_waitcnt vmcnt(2)
	v_mad_i64_i32 v[4:5], s[10:11], v4, s9, 0
	v_lshl_add_u64 v[8:9], v[8:9], 1, v[6:7]
	v_and_b32_e32 v86, 0x300, v1
	v_lshl_add_u64 v[4:5], v[4:5], 1, v[6:7]
	v_lshl_add_u64 v[8:9], v[8:9], 0, v[86:87]
	;; [unrolled: 1-line block ×3, first 2 shown]
	s_barrier
	global_load_dwordx4 v[78:81], v[8:9], off
	global_load_dwordx4 v[74:77], v[8:9], off offset:1024
	global_load_dwordx4 v[70:73], v[8:9], off offset:2048
	;; [unrolled: 1-line block ×3, first 2 shown]
	global_load_dwordx4 v[66:69], v[4:5], off
	global_load_dwordx4 v[62:65], v[4:5], off offset:1024
	global_load_dwordx4 v[58:61], v[4:5], off offset:2048
	;; [unrolled: 1-line block ×3, first 2 shown]
	s_waitcnt vmcnt(9)
	v_mad_i64_i32 v[4:5], s[10:11], v3, s9, 0
	s_waitcnt vmcnt(8)
	v_mad_i64_i32 v[2:3], s[10:11], v2, s9, 0
	v_lshl_add_u64 v[4:5], v[4:5], 1, v[6:7]
	v_lshl_add_u64 v[2:3], v[2:3], 1, v[6:7]
	;; [unrolled: 1-line block ×4, first 2 shown]
	global_load_dwordx4 v[30:33], v[4:5], off
	global_load_dwordx4 v[26:29], v[4:5], off offset:1024
	global_load_dwordx4 v[22:25], v[4:5], off offset:2048
	;; [unrolled: 1-line block ×3, first 2 shown]
	global_load_dwordx4 v[6:9], v[34:35], off
	s_nop 0
	global_load_dwordx4 v[2:5], v[34:35], off offset:1024
	global_load_dwordx4 v[38:41], v[34:35], off offset:2048
	s_nop 0
	global_load_dwordx4 v[34:37], v[34:35], off offset:3072
	v_add_u32_e32 v42, -14, v84
	v_cmp_gt_u32_e32 vcc, 14, v84
	v_and_b32_e32 v83, 63, v0
	v_mov_b32_e32 v89, 0
	v_cndmask_b32_e32 v42, v42, v84, vcc
	v_lshlrev_b32_e32 v42, 5, v42
	v_lshl_add_u32 v42, v88, 9, v42
	ds_read_b128 v[54:57], v42
	ds_read_b128 v[50:53], v42 offset:2048
	ds_read_b128 v[46:49], v42 offset:4096
	;; [unrolled: 1-line block ×3, first 2 shown]
	s_and_saveexec_b64 s[10:11], vcc
	s_cbranch_execz .LBB645_13
; %bb.12:
	s_load_dwordx2 s[14:15], s[0:1], 0x40
	v_add_u32_e32 v90, s40, v84
	v_ashrrev_i32_e32 v91, 31, v90
	s_waitcnt lgkmcnt(0)
	v_lshl_add_u64 v[90:91], v[90:91], 2, s[14:15]
	global_load_dword v89, v[90:91], off
.LBB645_13:
	s_or_b64 exec, exec, s[10:11]
	s_waitcnt vmcnt(15) lgkmcnt(3)
	v_mfma_f32_16x16x16_bf16 v[90:93], v[78:79], v[54:55], 0
	s_add_u32 s4, s12, s4
	s_addc_u32 s5, s13, s5
	s_mov_b32 s33, 0xff7fffff
	v_mfma_f32_16x16x16_bf16 v[78:81], v[80:81], v[56:57], v[90:93]
	s_waitcnt vmcnt(14) lgkmcnt(2)
	v_mfma_f32_16x16x16_bf16 v[78:81], v[74:75], v[50:51], v[78:81]
	s_nop 0
	v_lshl_or_b32 v90, v85, 4, v84
	v_lshlrev_b32_e32 v86, 5, v90
	v_mfma_f32_16x16x16_bf16 v[74:77], v[76:77], v[52:53], v[78:81]
	s_waitcnt vmcnt(13) lgkmcnt(1)
	v_mfma_f32_16x16x16_bf16 v[74:77], v[70:71], v[46:47], v[74:77]
	v_mfma_f32_16x16x16_bf16 v[70:73], v[72:73], v[48:49], v[74:77]
	s_waitcnt vmcnt(11)
	v_mfma_f32_16x16x16_bf16 v[74:77], v[66:67], v[54:55], 0
	v_mfma_f32_16x16x16_bf16 v[66:69], v[68:69], v[56:57], v[74:77]
	s_nop 5
	v_and_or_b32 v74, v0, 48, s18
	s_waitcnt lgkmcnt(0)
	v_mfma_f32_16x16x16_bf16 v[70:73], v[10:11], v[42:43], v[70:73]
	v_ashrrev_i32_e32 v10, 4, v74
	v_mov_b32_e32 v75, s19
	v_cmp_gt_i32_e32 vcc, s27, v74
	s_waitcnt vmcnt(10)
	v_mfma_f32_16x16x16_bf16 v[66:69], v[62:63], v[50:51], v[66:69]
	v_cndmask_b32_e32 v10, v75, v10, vcc
	v_ashrrev_i32_e32 v11, 31, v10
	v_lshl_add_u64 v[10:11], v[10:11], 2, s[6:7]
	global_load_dword v76, v[10:11], off
	v_mfma_f32_16x16x16_bf16 v[62:65], v[64:65], v[52:53], v[66:69]
	v_or_b32_e32 v10, 64, v74
	v_ashrrev_i32_e32 v11, 4, v10
	v_cmp_gt_i32_e32 vcc, s27, v10
	s_waitcnt vmcnt(10)
	v_mfma_f32_16x16x16_bf16 v[62:65], v[58:59], v[46:47], v[62:65]
	v_cndmask_b32_e32 v10, v75, v11, vcc
	v_ashrrev_i32_e32 v11, 31, v10
	v_lshl_add_u64 v[10:11], v[10:11], 2, s[6:7]
	global_load_dword v78, v[10:11], off
	v_or_b32_e32 v10, 0x80, v74
	v_mfma_f32_16x16x16_bf16 v[58:61], v[60:61], v[48:49], v[62:65]
	v_ashrrev_i32_e32 v11, 4, v10
	v_cmp_gt_i32_e32 vcc, s27, v10
	s_waitcnt vmcnt(9)
	v_mfma_f32_16x16x16_bf16 v[62:65], v[30:31], v[54:55], 0
	v_cndmask_b32_e32 v10, v75, v11, vcc
	v_ashrrev_i32_e32 v11, 31, v10
	v_lshl_add_u64 v[10:11], v[10:11], 2, s[6:7]
	v_mfma_f32_16x16x16_bf16 v[30:33], v[32:33], v[56:57], v[62:65]
	s_nop 2
	global_load_dword v62, v[10:11], off
	v_or_b32_e32 v10, 0xc0, v74
	v_ashrrev_i32_e32 v11, 4, v10
	v_cmp_gt_i32_e32 vcc, s27, v10
	s_waitcnt vmcnt(9)
	v_mfma_f32_16x16x16_bf16 v[30:33], v[26:27], v[50:51], v[30:33]
	v_cndmask_b32_e32 v10, v75, v11, vcc
	v_ashrrev_i32_e32 v11, 31, v10
	v_lshl_add_u64 v[10:11], v[10:11], 2, s[6:7]
	global_load_dword v63, v[10:11], off
	v_mfma_f32_16x16x16_bf16 v[26:29], v[28:29], v[52:53], v[30:33]
	s_load_dword s6, s[0:1], 0x1c
	s_waitcnt vmcnt(3)
	v_mad_i64_i32 v[10:11], s[10:11], v76, s9, 0
	v_mfma_f32_16x16x16_bf16 v[26:29], v[22:23], v[46:47], v[26:29]
	v_lshlrev_b64 v[76:77], 1, v[10:11]
	v_mfma_f32_16x16x16_bf16 v[64:67], v[12:13], v[44:45], v[70:73]
	v_mfma_f32_16x16x16_bf16 v[10:13], v[24:25], v[48:49], v[26:29]
	s_nop 1
	v_lshl_add_u64 v[72:73], s[4:5], 0, v[86:87]
	v_or_b32_e32 v86, 0x800, v86
	v_mfma_f32_16x16x16_bf16 v[30:33], v[14:15], v[42:43], v[58:61]
	v_lshl_add_u64 v[14:15], v[72:73], 0, v[76:77]
	v_mfma_f32_16x16x16_bf16 v[10:13], v[18:19], v[42:43], v[10:13]
	v_mfma_f32_16x16x16_bf16 v[68:71], v[16:17], v[44:45], v[30:33]
	s_nop 3
	global_load_dwordx4 v[30:33], v[14:15], off
	global_load_dwordx4 v[26:29], v[14:15], off offset:16
	s_waitcnt vmcnt(4)
	v_mad_i64_i32 v[14:15], s[10:11], v78, s9, 0
	v_lshlrev_b64 v[58:59], 1, v[14:15]
	v_mfma_f32_16x16x16_bf16 v[92:95], v[20:21], v[44:45], v[10:13]
	s_waitcnt lgkmcnt(0)
	v_pk_mul_f32 v[78:79], s[6:7], v[66:67] op_sel_hi:[0,1]
	s_nop 0
	v_lshl_add_u64 v[10:11], v[72:73], 0, v[58:59]
	global_load_dwordx4 v[22:25], v[10:11], off
	global_load_dwordx4 v[18:21], v[10:11], off offset:16
	v_mfma_f32_16x16x16_bf16 v[10:13], v[6:7], v[54:55], 0
	s_waitcnt vmcnt(5)
	v_mad_i64_i32 v[6:7], s[10:11], v62, s9, 0
	v_lshlrev_b64 v[54:55], 1, v[6:7]
	v_mfma_f32_16x16x16_bf16 v[6:9], v[8:9], v[56:57], v[10:13]
	v_mfma_f32_16x16x16_bf16 v[6:9], v[2:3], v[50:51], v[6:9]
	s_waitcnt vmcnt(4)
	v_mad_i64_i32 v[2:3], s[8:9], v63, s9, 0
	v_lshlrev_b64 v[50:51], 1, v[2:3]
	v_mfma_f32_16x16x16_bf16 v[60:63], v[4:5], v[52:53], v[6:9]
	v_lshl_add_u64 v[10:11], v[72:73], 0, v[54:55]
	v_lshl_add_u64 v[2:3], v[72:73], 0, v[50:51]
	v_pk_mul_f32 v[52:53], s[6:7], v[64:65] op_sel_hi:[0,1]
	v_mfma_f32_16x16x16_bf16 v[72:75], v[38:39], v[46:47], v[60:63]
	global_load_dwordx4 v[14:17], v[10:11], off
	s_nop 0
	global_load_dwordx4 v[10:13], v[10:11], off offset:16
	v_lshl_add_u64 v[62:63], s[4:5], 0, v[86:87]
	v_lshl_add_u64 v[38:39], v[62:63], 0, v[76:77]
	v_mfma_f32_16x16x16_bf16 v[46:49], v[40:41], v[48:49], v[72:75]
	v_pk_mul_f32 v[76:77], s[6:7], v[68:69] op_sel_hi:[0,1]
	v_lshl_add_u64 v[54:55], v[62:63], 0, v[54:55]
	v_lshl_add_u64 v[50:51], v[62:63], 0, v[50:51]
	v_mfma_f32_16x16x16_bf16 v[40:43], v[34:35], v[42:43], v[46:49]
	v_pk_mul_f32 v[74:75], s[6:7], v[70:71] op_sel_hi:[0,1]
	v_pk_mul_f32 v[70:71], s[6:7], v[94:95] op_sel_hi:[0,1]
	;; [unrolled: 1-line block ×3, first 2 shown]
	v_mfma_f32_16x16x16_bf16 v[34:37], v[36:37], v[44:45], v[40:43]
	global_load_dwordx4 v[6:9], v[2:3], off
	s_nop 0
	global_load_dwordx4 v[2:5], v[2:3], off offset:16
	s_nop 3
	v_pk_mul_f32 v[68:69], s[6:7], v[34:35] op_sel_hi:[0,1]
	v_and_b32_e32 v34, 0xc0, v0
	v_add_u32_e32 v34, s18, v34
	v_lshl_or_b32 v34, v88, 2, v34
	v_or_b32_e32 v35, 1, v34
	v_pk_mul_f32 v[66:67], s[6:7], v[36:37] op_sel_hi:[0,1]
	v_subrev_u32_e32 v36, s27, v35
	v_add_u32_e32 v40, 1, v36
	v_add_u32_e32 v41, 2, v36
	v_cvt_f32_i32_e32 v37, v36
	v_cvt_f32_i32_e32 v40, v40
	;; [unrolled: 1-line block ×3, first 2 shown]
	v_add_u32_e32 v42, 3, v36
	v_fma_f32 v52, v89, v37, v52
	v_fmac_f32_e32 v53, v89, v40
	v_fma_f32 v78, v89, v41, v78
	v_add_u32_e32 v37, 16, v36
	v_add_u32_e32 v40, 17, v36
	;; [unrolled: 1-line block ×3, first 2 shown]
	v_cvt_f32_i32_e32 v42, v42
	v_cvt_f32_i32_e32 v37, v37
	;; [unrolled: 1-line block ×4, first 2 shown]
	v_fmac_f32_e32 v79, v89, v42
	v_add_u32_e32 v42, 19, v36
	v_fma_f32 v76, v89, v37, v76
	v_fmac_f32_e32 v77, v89, v40
	v_fma_f32 v74, v89, v41, v74
	v_add_u32_e32 v37, 32, v36
	v_add_u32_e32 v40, 33, v36
	;; [unrolled: 1-line block ×3, first 2 shown]
	v_cvt_f32_i32_e32 v42, v42
	v_cvt_f32_i32_e32 v37, v37
	;; [unrolled: 1-line block ×4, first 2 shown]
	v_fmac_f32_e32 v75, v89, v42
	v_add_u32_e32 v42, 35, v36
	v_fma_f32 v72, v89, v37, v72
	v_fmac_f32_e32 v73, v89, v40
	v_fma_f32 v70, v89, v41, v70
	v_add_u32_e32 v37, 48, v36
	v_add_u32_e32 v40, 49, v36
	;; [unrolled: 1-line block ×4, first 2 shown]
	v_cvt_f32_i32_e32 v36, v36
	v_cvt_f32_i32_e32 v37, v37
	;; [unrolled: 1-line block ×3, first 2 shown]
	v_cmp_gt_i32_e64 s[28:29], s27, v34
	v_fmac_f32_e32 v67, v89, v36
	v_mov_b32_e32 v36, 0xff7fffff
	v_cmp_gt_i32_e64 s[30:31], s27, v35
	v_fma_f32 v68, v89, v37, v68
	v_cndmask_b32_e64 v37, v36, v52, s[28:29]
	v_cndmask_b32_e64 v35, v36, v53, s[30:31]
	v_fmac_f32_e32 v69, v89, v40
	v_max3_f32 v35, v37, s33, v35
	v_or_b32_e32 v37, 2, v34
	v_or_b32_e32 v40, 3, v34
	v_cmp_gt_i32_e64 s[34:35], s27, v37
	v_cmp_gt_i32_e64 s[36:37], s27, v40
	v_cvt_f32_i32_e32 v42, v42
	v_cndmask_b32_e64 v37, v36, v78, s[34:35]
	v_cndmask_b32_e64 v40, v36, v79, s[36:37]
	v_max3_f32 v35, v35, v37, v40
	v_or_b32_e32 v37, 16, v34
	v_or_b32_e32 v40, 17, v34
	v_cmp_gt_i32_e64 s[22:23], s27, v37
	v_cmp_gt_i32_e64 s[24:25], s27, v40
	v_fmac_f32_e32 v71, v89, v42
	v_cndmask_b32_e64 v37, v36, v76, s[22:23]
	v_cndmask_b32_e64 v40, v36, v77, s[24:25]
	v_max3_f32 v35, v35, v37, v40
	v_or_b32_e32 v37, 18, v34
	v_or_b32_e32 v40, 19, v34
	v_cmp_gt_i32_e64 s[18:19], s27, v37
	v_cmp_gt_i32_e64 s[20:21], s27, v40
	v_cvt_f32_i32_e32 v41, v41
	v_cndmask_b32_e64 v37, v36, v74, s[18:19]
	v_cndmask_b32_e64 v40, v36, v75, s[20:21]
	v_max3_f32 v35, v35, v37, v40
	v_or_b32_e32 v37, 32, v34
	v_or_b32_e32 v40, 33, v34
	v_cmp_gt_i32_e64 s[14:15], s27, v37
	v_cmp_gt_i32_e64 s[16:17], s27, v40
	v_fma_f32 v66, v89, v41, v66
	v_cndmask_b32_e64 v37, v36, v72, s[14:15]
	v_cndmask_b32_e64 v40, v36, v73, s[16:17]
	v_max3_f32 v35, v35, v37, v40
	v_or_b32_e32 v37, 34, v34
	v_or_b32_e32 v40, 35, v34
	v_cmp_gt_i32_e64 s[10:11], s27, v37
	v_cmp_gt_i32_e64 s[12:13], s27, v40
	s_nop 0
	v_cndmask_b32_e64 v37, v36, v70, s[10:11]
	v_cndmask_b32_e64 v40, v36, v71, s[12:13]
	v_max3_f32 v35, v35, v37, v40
	v_or_b32_e32 v37, 48, v34
	v_or_b32_e32 v40, 49, v34
	v_cmp_gt_i32_e64 s[6:7], s27, v37
	v_cmp_gt_i32_e64 s[8:9], s27, v40
	s_nop 0
	v_cndmask_b32_e64 v37, v36, v68, s[6:7]
	v_cndmask_b32_e64 v40, v36, v69, s[8:9]
	v_max3_f32 v35, v35, v37, v40
	v_or_b32_e32 v37, 50, v34
	v_or_b32_e32 v34, 51, v34
	v_cmp_gt_i32_e32 vcc, s27, v37
	v_cmp_gt_i32_e64 s[4:5], s27, v34
	global_load_dwordx4 v[46:49], v[38:39], off
	s_nop 0
	global_load_dwordx4 v[38:41], v[38:39], off offset:16
	v_cndmask_b32_e32 v37, v36, v66, vcc
	v_cndmask_b32_e64 v34, v36, v67, s[4:5]
	v_max3_f32 v56, v35, v37, v34
	v_mbcnt_lo_u32_b32 v34, -1, 0
	v_mbcnt_hi_u32_b32 v57, -1, v34
	v_and_b32_e32 v34, 64, v57
	v_add_u32_e32 v60, 64, v34
	v_xor_b32_e32 v34, 32, v57
	v_cmp_lt_i32_e64 s[38:39], v34, v60
	s_nop 1
	v_cndmask_b32_e64 v34, v57, v34, s[38:39]
	v_lshlrev_b32_e32 v87, 2, v34
	ds_bpermute_b32 v61, v87, v56
	v_lshl_add_u64 v[34:35], v[62:63], 0, v[58:59]
	global_load_dwordx4 v[42:45], v[34:35], off
	s_nop 0
	global_load_dwordx4 v[34:37], v[34:35], off offset:16
	s_waitcnt lgkmcnt(0)
	v_max_f32_e32 v58, v61, v61
	v_max_f32_e32 v64, v56, v58
	v_xor_b32_e32 v56, 16, v57
	v_cmp_lt_i32_e64 s[38:39], v56, v60
	s_nop 1
	v_cndmask_b32_e64 v56, v57, v56, s[38:39]
	v_lshlrev_b32_e32 v89, 2, v56
	ds_bpermute_b32 v65, v89, v64
	global_load_dwordx4 v[58:61], v[54:55], off
	s_nop 0
	global_load_dwordx4 v[54:57], v[54:55], off offset:16
	s_waitcnt lgkmcnt(0)
	v_max_f32_e32 v62, v65, v65
	v_max_f32_e32 v86, v64, v62
	v_sub_f32_e32 v52, v52, v86
	v_mul_f32_e32 v52, 0x3fb8aa3b, v52
	v_exp_f32_e32 v80, v52
	v_sub_f32_e32 v52, v53, v86
	v_mul_f32_e32 v52, 0x3fb8aa3b, v52
	v_exp_f32_e32 v81, v52
	global_load_dwordx4 v[62:65], v[50:51], off
	s_nop 0
	global_load_dwordx4 v[50:53], v[50:51], off offset:16
	v_sub_f32_e32 v78, v78, v86
	v_mul_f32_e32 v78, 0x3fb8aa3b, v78
	v_sub_f32_e32 v79, v79, v86
	v_exp_f32_e32 v78, v78
	v_mul_f32_e32 v79, 0x3fb8aa3b, v79
	v_sub_f32_e32 v76, v76, v86
	v_exp_f32_e32 v79, v79
	v_mul_f32_e32 v76, 0x3fb8aa3b, v76
	v_sub_f32_e32 v77, v77, v86
	v_cndmask_b32_e64 v80, 0, v80, s[28:29]
	v_exp_f32_e32 v76, v76
	v_mul_f32_e32 v77, 0x3fb8aa3b, v77
	v_sub_f32_e32 v74, v74, v86
	v_add_f32_e32 v91, 0, v80
	v_cndmask_b32_e64 v81, 0, v81, s[30:31]
	v_exp_f32_e32 v77, v77
	v_mul_f32_e32 v74, 0x3fb8aa3b, v74
	v_sub_f32_e32 v75, v75, v86
	v_add_f32_e32 v91, v91, v81
	;; [unrolled: 5-line block ×10, first 2 shown]
	v_cndmask_b32_e64 v70, 0, v70, s[10:11]
	v_exp_f32_e32 v66, v66
	v_mul_f32_e32 v67, 0x3fb8aa3b, v67
	v_add_f32_e32 v91, v91, v70
	v_cndmask_b32_e64 v71, 0, v71, s[12:13]
	v_exp_f32_e32 v67, v67
	v_add_f32_e32 v91, v91, v71
	v_cndmask_b32_e64 v68, 0, v68, s[6:7]
	v_add_f32_e32 v91, v91, v68
	v_cndmask_b32_e64 v69, 0, v69, s[8:9]
	v_add_f32_e32 v91, v91, v69
	v_cndmask_b32_e32 v66, 0, v66, vcc
	v_add_f32_e32 v91, v91, v66
	v_cndmask_b32_e64 v67, 0, v67, s[4:5]
	v_add_f32_e32 v91, v91, v67
	ds_bpermute_b32 v87, v87, v91
	s_load_dword s7, s[0:1], 0x98
	v_cmp_gt_u32_e32 vcc, 16, v83
	s_waitcnt lgkmcnt(0)
	s_barrier
	v_add_f32_e32 v87, v91, v87
	ds_bpermute_b32 v89, v89, v87
	s_waitcnt lgkmcnt(0)
	s_and_saveexec_b64 s[4:5], vcc
	s_cbranch_execz .LBB645_15
; %bb.14:
	v_add_f32_e32 v83, v87, v89
	v_lshlrev_b32_e32 v87, 2, v90
	ds_write2st64_b32 v87, v86, v83 offset1:1
.LBB645_15:
	s_or_b64 exec, exec, s[4:5]
	v_lshlrev_b32_e32 v89, 2, v84
	s_load_dword s6, s[0:1], 0x94
	s_waitcnt lgkmcnt(0)
	s_barrier
	ds_read2_b32 v[86:87], v89 offset1:16
	ds_read2_b32 v[90:91], v89 offset0:32 offset1:48
	ds_read2_b32 v[92:93], v89 offset0:64 offset1:80
	;; [unrolled: 1-line block ×3, first 2 shown]
	s_movk_i32 s8, 0x7fff
	s_waitcnt lgkmcnt(3)
	v_max3_f32 v83, v86, s33, v87
	s_waitcnt lgkmcnt(2)
	v_max3_f32 v83, v83, v90, v91
	v_sub_f32_e32 v86, v86, v83
	v_mul_f32_e32 v86, 0x3fb8aa3b, v86
	v_exp_f32_e32 v1, v86
	v_sub_f32_e32 v86, v87, v83
	v_mul_f32_e32 v86, 0x3fb8aa3b, v86
	v_exp_f32_e32 v87, v86
	;; [unrolled: 3-line block ×4, first 2 shown]
	s_waitcnt lgkmcnt(1)
	v_fma_f32 v86, v1, v92, 0
	v_fmac_f32_e32 v86, v87, v93
	s_waitcnt lgkmcnt(0)
	v_fmac_f32_e32 v86, v90, v94
	v_fmac_f32_e32 v86, v89, v95
	v_add_f32_e32 v91, 0x358637bd, v86
	v_div_scale_f32 v92, s[4:5], v91, v91, 1.0
	v_rcp_f32_e32 v93, v92
	s_mov_b32 s9, 0x7060302
	s_mul_i32 s7, s7, 14
	v_fma_f32 v94, -v92, v93, 1.0
	v_fmac_f32_e32 v93, v94, v93
	v_div_scale_f32 v94, vcc, 1.0, v91, 1.0
	v_mul_f32_e32 v95, v94, v93
	v_fma_f32 v88, -v92, v95, v94
	v_fmac_f32_e32 v95, v88, v93
	v_fma_f32 v88, -v92, v95, v94
	v_div_fmas_f32 v88, v88, v93, v95
	v_cmp_eq_u32_e32 vcc, 1, v85
	v_div_fixup_f32 v88, v88, v91, 1.0
	s_barrier
	v_cndmask_b32_e32 v1, v1, v87, vcc
	v_cmp_eq_u32_e32 vcc, 2, v85
	s_nop 1
	v_cndmask_b32_e32 v1, v1, v90, vcc
	v_cmp_eq_u32_e32 vcc, 3, v85
	s_nop 1
	v_cndmask_b32_e32 v1, v1, v89, vcc
	v_mul_f32_e32 v90, v1, v88
	v_pk_mul_f32 v[80:81], v[90:91], v[80:81] op_sel_hi:[0,1]
	v_bfe_u32 v1, v81, 16, 1
	v_bfe_u32 v87, v80, 16, 1
	v_pk_mul_f32 v[78:79], v[90:91], v[78:79] op_sel_hi:[0,1]
	v_add3_u32 v80, v80, v87, s8
	v_add3_u32 v1, v81, v1, s8
	v_perm_b32 v80, v1, v80, s9
	v_bfe_u32 v1, v79, 16, 1
	v_bfe_u32 v81, v78, 16, 1
	v_add3_u32 v78, v78, v81, s8
	v_add3_u32 v1, v79, v1, s8
	v_bfe_u32 v87, v0, 4, 2
	v_perm_b32 v81, v1, v78, s9
	v_lshlrev_b32_e32 v1, 3, v87
	v_lshlrev_b32_e32 v79, 5, v84
	v_lshlrev_b32_e32 v78, 11, v85
	v_pk_mul_f32 v[76:77], v[90:91], v[76:77] op_sel_hi:[0,1]
	v_or3_b32 v78, v78, v79, v1
	v_bfe_u32 v1, v77, 16, 1
	v_bfe_u32 v85, v76, 16, 1
	v_pk_mul_f32 v[74:75], v[90:91], v[74:75] op_sel_hi:[0,1]
	v_add3_u32 v76, v76, v85, s8
	v_add3_u32 v1, v77, v1, s8
	v_perm_b32 v76, v1, v76, s9
	v_bfe_u32 v1, v75, 16, 1
	v_bfe_u32 v77, v74, 16, 1
	v_add3_u32 v74, v74, v77, s8
	v_add3_u32 v1, v75, v1, s8
	v_pk_mul_f32 v[72:73], v[90:91], v[72:73] op_sel_hi:[0,1]
	v_perm_b32 v77, v1, v74, s9
	v_bfe_u32 v1, v73, 16, 1
	v_bfe_u32 v74, v72, 16, 1
	v_pk_mul_f32 v[70:71], v[90:91], v[70:71] op_sel_hi:[0,1]
	v_add3_u32 v72, v72, v74, s8
	v_add3_u32 v1, v73, v1, s8
	v_perm_b32 v72, v1, v72, s9
	v_bfe_u32 v1, v71, 16, 1
	v_bfe_u32 v73, v70, 16, 1
	v_add3_u32 v70, v70, v73, s8
	v_add3_u32 v1, v71, v1, s8
	v_pk_mul_f32 v[68:69], v[90:91], v[68:69] op_sel_hi:[0,1]
	v_perm_b32 v73, v1, v70, s9
	v_bfe_u32 v1, v69, 16, 1
	v_bfe_u32 v70, v68, 16, 1
	v_pk_mul_f32 v[66:67], v[90:91], v[66:67] op_sel_hi:[0,1]
	v_add3_u32 v68, v68, v70, s8
	v_add3_u32 v1, v69, v1, s8
	v_perm_b32 v68, v1, v68, s9
	v_bfe_u32 v1, v67, 16, 1
	v_bfe_u32 v69, v66, 16, 1
	v_add3_u32 v66, v66, v69, s8
	v_add3_u32 v1, v67, v1, s8
	v_perm_b32 v69, v1, v66, s9
	v_cmp_gt_u32_e32 vcc, 14, v0
	ds_write2st64_b64 v78, v[80:81], v[76:77] offset1:1
	ds_write2st64_b64 v78, v[72:73], v[68:69] offset0:2 offset1:3
	s_and_saveexec_b64 s[4:5], vcc
	s_cbranch_execz .LBB645_17
; %bb.16:
	s_mov_b32 s41, 0
	v_mov_b32_e32 v85, 0
	v_lshl_add_u64 v[66:67], s[40:41], 0, v[84:85]
	v_mov_b32_e32 v1, s7
	v_mad_u64_u32 v[66:67], s[10:11], s2, v1, v[66:67]
	s_mul_i32 s3, s3, s7
	v_mov_b32_e32 v68, s26
	v_mov_b32_e32 v69, v85
	s_load_dwordx4 s[12:15], s[0:1], 0x58
	v_add_u32_e32 v1, s3, v67
	v_mad_u64_u32 v[66:67], s[10:11], v66, s6, v[68:69]
	v_mov_b32_e32 v68, v67
	v_mad_u64_u32 v[68:69], s[10:11], v1, s6, v[68:69]
	v_mov_b32_e32 v67, v68
	v_lshlrev_b64 v[66:67], 2, v[66:67]
	s_waitcnt lgkmcnt(0)
	v_lshl_add_u64 v[68:69], s[14:15], 0, v[66:67]
	v_lshl_add_u64 v[66:67], s[12:13], 0, v[66:67]
	global_store_dword v[68:69], v83, off
	global_store_dword v[66:67], v86, off
.LBB645_17:
	s_or_b64 exec, exec, s[4:5]
	v_lshl_or_b32 v1, v87, 9, v79
	s_waitcnt lgkmcnt(0)
	s_barrier
	ds_read_b128 v[70:73], v1
	ds_read_b128 v[66:69], v1 offset:16
	s_waitcnt vmcnt(15) lgkmcnt(1)
	v_mfma_f32_16x16x16_bf16 v[74:77], v[30:31], v[70:71], 0
	s_mov_b32 s3, 0
	v_cmp_gt_u32_e32 vcc, 64, v0
	v_mfma_f32_16x16x16_bf16 v[30:33], v[32:33], v[72:73], v[74:77]
	s_waitcnt vmcnt(14) lgkmcnt(0)
	v_mfma_f32_16x16x16_bf16 v[30:33], v[26:27], v[66:67], v[30:33]
	v_mfma_f32_16x16x16_bf16 v[26:29], v[28:29], v[68:69], v[30:33]
	s_nop 5
	ds_read_b128 v[30:33], v1 offset:2048
	ds_read_b128 v[74:77], v1 offset:2064
	s_waitcnt vmcnt(13) lgkmcnt(1)
	v_mfma_f32_16x16x16_bf16 v[26:29], v[22:23], v[30:31], v[26:29]
	v_mfma_f32_16x16x16_bf16 v[22:25], v[24:25], v[32:33], v[26:29]
	s_waitcnt vmcnt(12) lgkmcnt(0)
	v_mfma_f32_16x16x16_bf16 v[22:25], v[18:19], v[74:75], v[22:25]
	v_mfma_f32_16x16x16_bf16 v[18:21], v[20:21], v[76:77], v[22:25]
	s_nop 5
	ds_read_b128 v[22:25], v1 offset:4096
	ds_read_b128 v[26:29], v1 offset:4112
	s_waitcnt vmcnt(11) lgkmcnt(1)
	v_mfma_f32_16x16x16_bf16 v[18:21], v[14:15], v[22:23], v[18:21]
	v_mfma_f32_16x16x16_bf16 v[14:17], v[16:17], v[24:25], v[18:21]
	s_waitcnt vmcnt(10) lgkmcnt(0)
	v_mfma_f32_16x16x16_bf16 v[14:17], v[10:11], v[26:27], v[14:17]
	v_mfma_f32_16x16x16_bf16 v[10:13], v[12:13], v[28:29], v[14:17]
	s_nop 5
	ds_read_b128 v[14:17], v1 offset:6144
	ds_read_b128 v[18:21], v1 offset:6160
	s_waitcnt lgkmcnt(0)
	s_barrier
	s_waitcnt vmcnt(9)
	v_mfma_f32_16x16x16_bf16 v[10:13], v[6:7], v[14:15], v[10:13]
	v_mfma_f32_16x16x16_bf16 v[6:9], v[8:9], v[16:17], v[10:13]
	s_waitcnt vmcnt(8)
	v_mfma_f32_16x16x16_bf16 v[6:9], v[2:3], v[18:19], v[6:9]
	v_mfma_f32_16x16x16_bf16 v[2:5], v[4:5], v[20:21], v[6:9]
	;; [unrolled: 3-line block ×3, first 2 shown]
	s_nop 3
	v_bfe_u32 v1, v3, 16, 1
	v_bfe_u32 v10, v2, 16, 1
	v_add3_u32 v2, v2, v10, s8
	s_waitcnt vmcnt(6)
	v_mfma_f32_16x16x16_bf16 v[6:9], v[38:39], v[66:67], v[6:9]
	v_add3_u32 v1, v3, v1, s8
	v_perm_b32 v10, v1, v2, s9
	v_bfe_u32 v1, v5, 16, 1
	v_mfma_f32_16x16x16_bf16 v[6:9], v[40:41], v[68:69], v[6:9]
	v_bfe_u32 v2, v4, 16, 1
	v_add3_u32 v2, v4, v2, s8
	v_add3_u32 v1, v5, v1, s8
	s_waitcnt vmcnt(5)
	v_mfma_f32_16x16x16_bf16 v[6:9], v[42:43], v[30:31], v[6:9]
	v_perm_b32 v11, v1, v2, s9
	v_mfma_f32_16x16x16_bf16 v[6:9], v[44:45], v[32:33], v[6:9]
	s_waitcnt vmcnt(4)
	v_mfma_f32_16x16x16_bf16 v[6:9], v[34:35], v[74:75], v[6:9]
	v_mfma_f32_16x16x16_bf16 v[6:9], v[36:37], v[76:77], v[6:9]
	s_waitcnt vmcnt(3)
	v_mfma_f32_16x16x16_bf16 v[6:9], v[58:59], v[22:23], v[6:9]
	;; [unrolled: 3-line block ×5, first 2 shown]
	v_mfma_f32_16x16x16_bf16 v[2:5], v[52:53], v[20:21], v[6:9]
	s_nop 6
	v_bfe_u32 v1, v3, 16, 1
	v_bfe_u32 v6, v2, 16, 1
	v_add3_u32 v2, v2, v6, s8
	v_add3_u32 v1, v3, v1, s8
	v_perm_b32 v2, v1, v2, s9
	v_bfe_u32 v1, v5, 16, 1
	v_bfe_u32 v3, v4, 16, 1
	v_add3_u32 v3, v4, v3, s8
	v_add3_u32 v1, v5, v1, s8
	v_perm_b32 v3, v1, v3, s9
	ds_write2st64_b64 v78, v[10:11], v[2:3] offset1:1
	s_waitcnt lgkmcnt(0)
	s_barrier
	s_and_saveexec_b64 s[4:5], vcc
	s_cbranch_execz .LBB645_20
; %bb.18:
	s_load_dwordx2 s[4:5], s[0:1], 0x68
	s_lshl_b32 s0, s6, 7
	s_mul_i32 s1, s7, s2
	v_lshlrev_b32_e32 v3, 6, v84
	s_mul_hi_u32 s7, s1, s0
	s_mul_i32 s6, s1, s0
	v_lshlrev_b32_e32 v2, 4, v0
	v_lshl_or_b32 v0, v0, 10, v3
	s_lshl_b64 s[6:7], s[6:7], 1
	v_lshlrev_b32_e32 v1, 5, v87
	v_and_b32_e32 v2, 16, v2
	v_and_b32_e32 v0, 0x1a00, v0
	s_waitcnt lgkmcnt(0)
	s_add_u32 s1, s4, s6
	v_or3_b32 v2, v0, v1, v2
	s_addc_u32 s4, s5, s7
	s_lshl_b32 s2, s26, 7
	ds_read_b128 v[4:7], v2 offset:256
	s_lshl_b64 s[2:3], s[2:3], 1
	ds_read_b128 v[8:11], v2 offset:128
	ds_read_b128 v[12:15], v2
	s_add_u32 s2, s1, s2
	s_addc_u32 s3, s4, s3
	v_mov_b32_e32 v83, 0
	v_add_u32_e32 v18, s40, v87
	v_lshl_add_u64 v[0:1], s[2:3], 0, v[82:83]
	v_mad_u64_u32 v[16:17], s[2:3], v18, s0, 0
	v_lshl_add_u64 v[16:17], v[16:17], 1, v[0:1]
	s_waitcnt lgkmcnt(0)
	global_store_dwordx4 v[16:17], v[12:15], off
	v_or_b32_e32 v3, 12, v87
	v_cmp_gt_u32_e32 vcc, 14, v3
	v_add_u32_e32 v12, 4, v18
	v_mad_u64_u32 v[12:13], s[2:3], v12, s0, 0
	v_lshl_add_u64 v[12:13], v[12:13], 1, v[0:1]
	global_store_dwordx4 v[12:13], v[8:11], off
	s_nop 1
	v_add_u32_e32 v8, 8, v18
	v_mad_u64_u32 v[8:9], s[2:3], v8, s0, 0
	v_lshl_add_u64 v[8:9], v[8:9], 1, v[0:1]
	global_store_dwordx4 v[8:9], v[4:7], off
	s_and_b64 exec, exec, vcc
	s_cbranch_execz .LBB645_20
; %bb.19:
	ds_read_b128 v[4:7], v2 offset:384
	v_add_u32_e32 v2, s40, v3
	v_mad_u64_u32 v[2:3], s[0:1], v2, s0, 0
	v_lshl_add_u64 v[0:1], v[2:3], 1, v[0:1]
	s_waitcnt lgkmcnt(0)
	global_store_dwordx4 v[0:1], v[4:7], off
.LBB645_20:
	s_endpgm
	.section	.rodata,"a",@progbits
	.p2align	6, 0x0
	.amdhsa_kernel _Z39paged_attention_ll4mi_QKV_mfma16_kernelI14__hip_bfloat16S0_LN4vllm18Fp8KVCacheDataTypeE0ES0_Li16ELi128ELi256ELb1ELi14EEvPKT_PKT0_S8_ifPKiSA_SA_iPKfiiiPfSD_PS3_PT2_iSC_SC_
		.amdhsa_group_segment_fixed_size 8192
		.amdhsa_private_segment_fixed_size 0
		.amdhsa_kernarg_size 400
		.amdhsa_user_sgpr_count 2
		.amdhsa_user_sgpr_dispatch_ptr 0
		.amdhsa_user_sgpr_queue_ptr 0
		.amdhsa_user_sgpr_kernarg_segment_ptr 1
		.amdhsa_user_sgpr_dispatch_id 0
		.amdhsa_user_sgpr_kernarg_preload_length 0
		.amdhsa_user_sgpr_kernarg_preload_offset 0
		.amdhsa_user_sgpr_private_segment_size 0
		.amdhsa_uses_dynamic_stack 0
		.amdhsa_enable_private_segment 0
		.amdhsa_system_sgpr_workgroup_id_x 1
		.amdhsa_system_sgpr_workgroup_id_y 1
		.amdhsa_system_sgpr_workgroup_id_z 1
		.amdhsa_system_sgpr_workgroup_info 0
		.amdhsa_system_vgpr_workitem_id 0
		.amdhsa_next_free_vgpr 96
		.amdhsa_next_free_sgpr 42
		.amdhsa_accum_offset 96
		.amdhsa_reserve_vcc 1
		.amdhsa_float_round_mode_32 0
		.amdhsa_float_round_mode_16_64 0
		.amdhsa_float_denorm_mode_32 3
		.amdhsa_float_denorm_mode_16_64 3
		.amdhsa_dx10_clamp 1
		.amdhsa_ieee_mode 1
		.amdhsa_fp16_overflow 0
		.amdhsa_tg_split 0
		.amdhsa_exception_fp_ieee_invalid_op 0
		.amdhsa_exception_fp_denorm_src 0
		.amdhsa_exception_fp_ieee_div_zero 0
		.amdhsa_exception_fp_ieee_overflow 0
		.amdhsa_exception_fp_ieee_underflow 0
		.amdhsa_exception_fp_ieee_inexact 0
		.amdhsa_exception_int_div_zero 0
	.end_amdhsa_kernel
	.section	.text._Z39paged_attention_ll4mi_QKV_mfma16_kernelI14__hip_bfloat16S0_LN4vllm18Fp8KVCacheDataTypeE0ES0_Li16ELi128ELi256ELb1ELi14EEvPKT_PKT0_S8_ifPKiSA_SA_iPKfiiiPfSD_PS3_PT2_iSC_SC_,"axG",@progbits,_Z39paged_attention_ll4mi_QKV_mfma16_kernelI14__hip_bfloat16S0_LN4vllm18Fp8KVCacheDataTypeE0ES0_Li16ELi128ELi256ELb1ELi14EEvPKT_PKT0_S8_ifPKiSA_SA_iPKfiiiPfSD_PS3_PT2_iSC_SC_,comdat
.Lfunc_end645:
	.size	_Z39paged_attention_ll4mi_QKV_mfma16_kernelI14__hip_bfloat16S0_LN4vllm18Fp8KVCacheDataTypeE0ES0_Li16ELi128ELi256ELb1ELi14EEvPKT_PKT0_S8_ifPKiSA_SA_iPKfiiiPfSD_PS3_PT2_iSC_SC_, .Lfunc_end645-_Z39paged_attention_ll4mi_QKV_mfma16_kernelI14__hip_bfloat16S0_LN4vllm18Fp8KVCacheDataTypeE0ES0_Li16ELi128ELi256ELb1ELi14EEvPKT_PKT0_S8_ifPKiSA_SA_iPKfiiiPfSD_PS3_PT2_iSC_SC_
                                        ; -- End function
	.section	.AMDGPU.csdata,"",@progbits
; Kernel info:
; codeLenInByte = 5040
; NumSgprs: 48
; NumVgprs: 96
; NumAgprs: 0
; TotalNumVgprs: 96
; ScratchSize: 0
; MemoryBound: 0
; FloatMode: 240
; IeeeMode: 1
; LDSByteSize: 8192 bytes/workgroup (compile time only)
; SGPRBlocks: 5
; VGPRBlocks: 11
; NumSGPRsForWavesPerEU: 48
; NumVGPRsForWavesPerEU: 96
; AccumOffset: 96
; Occupancy: 5
; WaveLimiterHint : 1
; COMPUTE_PGM_RSRC2:SCRATCH_EN: 0
; COMPUTE_PGM_RSRC2:USER_SGPR: 2
; COMPUTE_PGM_RSRC2:TRAP_HANDLER: 0
; COMPUTE_PGM_RSRC2:TGID_X_EN: 1
; COMPUTE_PGM_RSRC2:TGID_Y_EN: 1
; COMPUTE_PGM_RSRC2:TGID_Z_EN: 1
; COMPUTE_PGM_RSRC2:TIDIG_COMP_CNT: 0
; COMPUTE_PGM_RSRC3_GFX90A:ACCUM_OFFSET: 23
; COMPUTE_PGM_RSRC3_GFX90A:TG_SPLIT: 0
	.section	.text._Z39paged_attention_ll4mi_QKV_mfma16_kernelI14__hip_bfloat16S0_LN4vllm18Fp8KVCacheDataTypeE0ES0_Li16ELi128ELi256ELb1ELi15EEvPKT_PKT0_S8_ifPKiSA_SA_iPKfiiiPfSD_PS3_PT2_iSC_SC_,"axG",@progbits,_Z39paged_attention_ll4mi_QKV_mfma16_kernelI14__hip_bfloat16S0_LN4vllm18Fp8KVCacheDataTypeE0ES0_Li16ELi128ELi256ELb1ELi15EEvPKT_PKT0_S8_ifPKiSA_SA_iPKfiiiPfSD_PS3_PT2_iSC_SC_,comdat
	.protected	_Z39paged_attention_ll4mi_QKV_mfma16_kernelI14__hip_bfloat16S0_LN4vllm18Fp8KVCacheDataTypeE0ES0_Li16ELi128ELi256ELb1ELi15EEvPKT_PKT0_S8_ifPKiSA_SA_iPKfiiiPfSD_PS3_PT2_iSC_SC_ ; -- Begin function _Z39paged_attention_ll4mi_QKV_mfma16_kernelI14__hip_bfloat16S0_LN4vllm18Fp8KVCacheDataTypeE0ES0_Li16ELi128ELi256ELb1ELi15EEvPKT_PKT0_S8_ifPKiSA_SA_iPKfiiiPfSD_PS3_PT2_iSC_SC_
	.globl	_Z39paged_attention_ll4mi_QKV_mfma16_kernelI14__hip_bfloat16S0_LN4vllm18Fp8KVCacheDataTypeE0ES0_Li16ELi128ELi256ELb1ELi15EEvPKT_PKT0_S8_ifPKiSA_SA_iPKfiiiPfSD_PS3_PT2_iSC_SC_
	.p2align	8
	.type	_Z39paged_attention_ll4mi_QKV_mfma16_kernelI14__hip_bfloat16S0_LN4vllm18Fp8KVCacheDataTypeE0ES0_Li16ELi128ELi256ELb1ELi15EEvPKT_PKT0_S8_ifPKiSA_SA_iPKfiiiPfSD_PS3_PT2_iSC_SC_,@function
_Z39paged_attention_ll4mi_QKV_mfma16_kernelI14__hip_bfloat16S0_LN4vllm18Fp8KVCacheDataTypeE0ES0_Li16ELi128ELi256ELb1ELi15EEvPKT_PKT0_S8_ifPKiSA_SA_iPKfiiiPfSD_PS3_PT2_iSC_SC_: ; @_Z39paged_attention_ll4mi_QKV_mfma16_kernelI14__hip_bfloat16S0_LN4vllm18Fp8KVCacheDataTypeE0ES0_Li16ELi128ELi256ELb1ELi15EEvPKT_PKT0_S8_ifPKiSA_SA_iPKfiiiPfSD_PS3_PT2_iSC_SC_
; %bb.0:
	s_load_dwordx2 s[8:9], s[0:1], 0x30
	s_mov_b32 s26, s3
	s_mov_b64 s[6:7], 0
	s_waitcnt lgkmcnt(0)
	s_cmp_lg_u64 s[8:9], 0
	s_cselect_b64 s[10:11], -1, 0
	s_and_b64 vcc, exec, s[10:11]
	s_cbranch_vccz .LBB646_7
; %bb.1:
	s_add_i32 s12, s2, 1
	s_mov_b32 s13, 0
	s_lshl_b64 s[14:15], s[12:13], 2
	s_add_u32 s14, s8, s14
	s_mov_b32 s3, s13
	s_addc_u32 s15, s9, s15
	s_lshl_b64 s[12:13], s[2:3], 2
	s_add_u32 s12, s8, s12
	s_addc_u32 s13, s9, s13
	s_load_dword s5, s[14:15], 0x0
	s_load_dword s16, s[12:13], 0x0
	s_waitcnt lgkmcnt(0)
	s_sub_i32 s5, s5, s16
	s_cmp_eq_u32 s5, 1
	s_cselect_b64 s[12:13], -1, 0
	s_andn2_b64 vcc, exec, s[6:7]
	s_cbranch_vccnz .LBB646_3
.LBB646_2:
	s_mov_b32 s3, 0
	s_mov_b64 s[12:13], -1
.LBB646_3:
	s_andn2_b64 vcc, exec, s[12:13]
	s_cbranch_vccnz .LBB646_20
; %bb.4:
	s_load_dwordx2 s[6:7], s[0:1], 0x28
	s_lshl_b64 s[12:13], s[2:3], 2
	s_waitcnt lgkmcnt(0)
	s_add_u32 s6, s6, s12
	s_addc_u32 s7, s7, s13
	s_load_dword s27, s[6:7], 0x0
	s_lshl_b32 s18, s26, 8
	s_waitcnt lgkmcnt(0)
	s_cmp_ge_i32 s18, s27
	s_cbranch_scc1 .LBB646_20
; %bb.5:
	s_load_dwordx2 s[6:7], s[0:1], 0x20
	s_load_dword s5, s[0:1], 0x38
	s_add_i32 s14, s27, 15
	s_ashr_i32 s15, s14, 31
	v_and_b32_e32 v1, 0xcf, v0
	s_lshr_b32 s15, s15, 28
	v_add_u32_e32 v1, s18, v1
	s_add_i32 s14, s14, s15
	v_ashrrev_i32_e32 v2, 31, v1
	s_ashr_i32 s19, s14, 4
	v_lshrrev_b32_e32 v4, 28, v2
	s_add_i32 s19, s19, -1
	s_waitcnt lgkmcnt(0)
	s_mul_i32 s14, s2, s5
	s_mov_b32 s15, 0
	v_add_u32_e32 v2, v1, v4
	s_lshl_b64 s[14:15], s[14:15], 2
	v_ashrrev_i32_e32 v2, 4, v2
	v_mov_b32_e32 v5, s19
	v_cmp_gt_i32_e32 vcc, s27, v1
	s_add_u32 s6, s6, s14
	s_addc_u32 s7, s7, s15
	v_cndmask_b32_e32 v2, v5, v2, vcc
	v_ashrrev_i32_e32 v3, 31, v2
	v_lshl_add_u64 v[6:7], v[2:3], 2, s[6:7]
	v_or_b32_e32 v2, 16, v1
	v_add_u32_e32 v3, v2, v4
	v_ashrrev_i32_e32 v3, 4, v3
	v_cmp_gt_i32_e32 vcc, s27, v2
	s_load_dwordx2 s[14:15], s[0:1], 0x8
	s_nop 0
	v_cndmask_b32_e32 v2, v5, v3, vcc
	v_ashrrev_i32_e32 v3, 31, v2
	v_lshl_add_u64 v[8:9], v[2:3], 2, s[6:7]
	v_or_b32_e32 v2, 32, v1
	v_add_u32_e32 v3, v2, v4
	v_ashrrev_i32_e32 v3, 4, v3
	v_cmp_gt_i32_e32 vcc, s27, v2
	v_or_b32_e32 v1, 48, v1
	s_nop 0
	v_cndmask_b32_e32 v2, v5, v3, vcc
	v_ashrrev_i32_e32 v3, 31, v2
	v_lshl_add_u64 v[10:11], v[2:3], 2, s[6:7]
	v_add_u32_e32 v2, v1, v4
	v_ashrrev_i32_e32 v2, 4, v2
	v_cmp_gt_i32_e32 vcc, s27, v1
	s_nop 1
	v_cndmask_b32_e32 v2, v5, v2, vcc
	v_ashrrev_i32_e32 v3, 31, v2
	v_lshl_add_u64 v[12:13], v[2:3], 2, s[6:7]
	global_load_dword v5, v[6:7], off
	global_load_dword v4, v[8:9], off
	;; [unrolled: 1-line block ×4, first 2 shown]
	s_andn2_b64 vcc, exec, s[10:11]
	s_cbranch_vccnz .LBB646_8
; %bb.6:
	s_add_u32 s8, s8, s12
	s_addc_u32 s9, s9, s13
	s_load_dword s5, s[8:9], 0x0
	s_branch .LBB646_9
.LBB646_7:
	s_mov_b64 s[12:13], 0
	s_branch .LBB646_2
.LBB646_8:
	s_mov_b32 s5, s2
.LBB646_9:
	s_load_dwordx2 s[12:13], s[0:1], 0x10
	s_load_dwordx4 s[8:11], s[0:1], 0x48
	v_lshrrev_b32_e32 v85, 6, v0
	v_bfe_u32 v88, v0, 4, 2
	v_and_b32_e32 v84, 15, v0
	v_lshl_or_b32 v1, v85, 2, v88
	v_lshlrev_b32_e32 v6, 3, v84
	s_mul_i32 s40, s4, 15
	v_cmp_gt_u32_e32 vcc, 15, v1
	v_lshlrev_b32_e32 v82, 1, v6
	s_and_saveexec_b64 s[16:17], vcc
	s_cbranch_execz .LBB646_11
; %bb.10:
	s_load_dwordx2 s[20:21], s[0:1], 0x0
	s_waitcnt lgkmcnt(0)
	s_ashr_i32 s11, s8, 31
	s_mul_hi_u32 s22, s5, s8
	s_mul_i32 s11, s5, s11
	s_add_i32 s23, s22, s11
	s_mul_i32 s22, s5, s8
	s_lshl_b64 s[22:23], s[22:23], 1
	s_add_u32 s20, s20, s22
	v_add_lshl_u32 v6, v1, s40, 7
	s_addc_u32 s21, s21, s23
	v_ashrrev_i32_e32 v7, 31, v6
	v_lshl_add_u64 v[6:7], v[6:7], 1, s[20:21]
	v_mov_b32_e32 v83, 0
	v_lshl_add_u64 v[6:7], v[6:7], 0, v[82:83]
	global_load_dwordx4 v[6:9], v[6:7], off
	v_and_b32_e32 v10, 3, v0
	v_lshlrev_b32_e32 v11, 9, v84
	v_lshlrev_b32_e32 v1, 5, v1
	;; [unrolled: 1-line block ×3, first 2 shown]
	v_and_b32_e32 v11, 0x1800, v11
	v_or3_b32 v1, v11, v10, v1
	s_waitcnt vmcnt(0)
	ds_write_b128 v1, v[6:9]
.LBB646_11:
	s_or_b64 exec, exec, s[16:17]
	s_waitcnt lgkmcnt(0)
	s_mov_b32 s5, 0
	s_mul_i32 s4, s4, s10
	s_lshl_b64 s[4:5], s[4:5], 1
	s_add_u32 s10, s14, s4
	v_lshlrev_b32_e32 v1, 4, v0
	v_mov_b32_e32 v87, 0
	s_addc_u32 s11, s15, s5
	v_and_b32_e32 v86, 0xf0, v1
	v_lshl_add_u64 v[6:7], s[10:11], 0, v[86:87]
	s_waitcnt vmcnt(3)
	v_mad_i64_i32 v[8:9], s[10:11], v5, s9, 0
	s_waitcnt vmcnt(2)
	v_mad_i64_i32 v[4:5], s[10:11], v4, s9, 0
	v_lshl_add_u64 v[8:9], v[8:9], 1, v[6:7]
	v_and_b32_e32 v86, 0x300, v1
	v_lshl_add_u64 v[4:5], v[4:5], 1, v[6:7]
	v_lshl_add_u64 v[8:9], v[8:9], 0, v[86:87]
	;; [unrolled: 1-line block ×3, first 2 shown]
	s_barrier
	global_load_dwordx4 v[78:81], v[8:9], off
	global_load_dwordx4 v[74:77], v[8:9], off offset:1024
	global_load_dwordx4 v[70:73], v[8:9], off offset:2048
	;; [unrolled: 1-line block ×3, first 2 shown]
	global_load_dwordx4 v[66:69], v[4:5], off
	global_load_dwordx4 v[62:65], v[4:5], off offset:1024
	global_load_dwordx4 v[58:61], v[4:5], off offset:2048
	;; [unrolled: 1-line block ×3, first 2 shown]
	s_waitcnt vmcnt(9)
	v_mad_i64_i32 v[4:5], s[10:11], v3, s9, 0
	s_waitcnt vmcnt(8)
	v_mad_i64_i32 v[2:3], s[10:11], v2, s9, 0
	v_lshl_add_u64 v[4:5], v[4:5], 1, v[6:7]
	v_lshl_add_u64 v[2:3], v[2:3], 1, v[6:7]
	;; [unrolled: 1-line block ×4, first 2 shown]
	global_load_dwordx4 v[30:33], v[4:5], off
	global_load_dwordx4 v[26:29], v[4:5], off offset:1024
	global_load_dwordx4 v[22:25], v[4:5], off offset:2048
	;; [unrolled: 1-line block ×3, first 2 shown]
	global_load_dwordx4 v[6:9], v[34:35], off
	s_nop 0
	global_load_dwordx4 v[2:5], v[34:35], off offset:1024
	global_load_dwordx4 v[38:41], v[34:35], off offset:2048
	s_nop 0
	global_load_dwordx4 v[34:37], v[34:35], off offset:3072
	v_cmp_ne_u32_e32 vcc, 15, v84
	v_and_b32_e32 v83, 63, v0
	v_mov_b32_e32 v89, 0
	v_cndmask_b32_e32 v42, 0, v84, vcc
	v_lshlrev_b32_e32 v42, 5, v42
	v_lshl_or_b32 v42, v88, 9, v42
	ds_read_b128 v[54:57], v42
	ds_read_b128 v[50:53], v42 offset:2048
	ds_read_b128 v[46:49], v42 offset:4096
	;; [unrolled: 1-line block ×3, first 2 shown]
	s_and_saveexec_b64 s[10:11], vcc
	s_cbranch_execz .LBB646_13
; %bb.12:
	s_load_dwordx2 s[14:15], s[0:1], 0x40
	v_add_u32_e32 v90, s40, v84
	v_ashrrev_i32_e32 v91, 31, v90
	s_waitcnt lgkmcnt(0)
	v_lshl_add_u64 v[90:91], v[90:91], 2, s[14:15]
	global_load_dword v89, v[90:91], off
.LBB646_13:
	s_or_b64 exec, exec, s[10:11]
	s_waitcnt vmcnt(15) lgkmcnt(3)
	v_mfma_f32_16x16x16_bf16 v[90:93], v[78:79], v[54:55], 0
	s_add_u32 s4, s12, s4
	s_addc_u32 s5, s13, s5
	s_mov_b32 s33, 0xff7fffff
	v_mfma_f32_16x16x16_bf16 v[78:81], v[80:81], v[56:57], v[90:93]
	s_waitcnt vmcnt(14) lgkmcnt(2)
	v_mfma_f32_16x16x16_bf16 v[78:81], v[74:75], v[50:51], v[78:81]
	s_nop 0
	v_lshl_or_b32 v90, v85, 4, v84
	v_lshlrev_b32_e32 v86, 5, v90
	v_mfma_f32_16x16x16_bf16 v[74:77], v[76:77], v[52:53], v[78:81]
	s_waitcnt vmcnt(13) lgkmcnt(1)
	v_mfma_f32_16x16x16_bf16 v[74:77], v[70:71], v[46:47], v[74:77]
	v_mfma_f32_16x16x16_bf16 v[70:73], v[72:73], v[48:49], v[74:77]
	s_waitcnt vmcnt(11)
	v_mfma_f32_16x16x16_bf16 v[74:77], v[66:67], v[54:55], 0
	v_mfma_f32_16x16x16_bf16 v[66:69], v[68:69], v[56:57], v[74:77]
	s_nop 5
	v_and_or_b32 v74, v0, 48, s18
	s_waitcnt lgkmcnt(0)
	v_mfma_f32_16x16x16_bf16 v[70:73], v[10:11], v[42:43], v[70:73]
	v_ashrrev_i32_e32 v10, 4, v74
	v_mov_b32_e32 v75, s19
	v_cmp_gt_i32_e32 vcc, s27, v74
	s_waitcnt vmcnt(10)
	v_mfma_f32_16x16x16_bf16 v[66:69], v[62:63], v[50:51], v[66:69]
	v_cndmask_b32_e32 v10, v75, v10, vcc
	v_ashrrev_i32_e32 v11, 31, v10
	v_lshl_add_u64 v[10:11], v[10:11], 2, s[6:7]
	global_load_dword v76, v[10:11], off
	v_mfma_f32_16x16x16_bf16 v[62:65], v[64:65], v[52:53], v[66:69]
	v_or_b32_e32 v10, 64, v74
	v_ashrrev_i32_e32 v11, 4, v10
	v_cmp_gt_i32_e32 vcc, s27, v10
	s_waitcnt vmcnt(10)
	v_mfma_f32_16x16x16_bf16 v[62:65], v[58:59], v[46:47], v[62:65]
	v_cndmask_b32_e32 v10, v75, v11, vcc
	v_ashrrev_i32_e32 v11, 31, v10
	v_lshl_add_u64 v[10:11], v[10:11], 2, s[6:7]
	global_load_dword v78, v[10:11], off
	v_or_b32_e32 v10, 0x80, v74
	v_mfma_f32_16x16x16_bf16 v[58:61], v[60:61], v[48:49], v[62:65]
	v_ashrrev_i32_e32 v11, 4, v10
	v_cmp_gt_i32_e32 vcc, s27, v10
	s_waitcnt vmcnt(9)
	v_mfma_f32_16x16x16_bf16 v[62:65], v[30:31], v[54:55], 0
	v_cndmask_b32_e32 v10, v75, v11, vcc
	v_ashrrev_i32_e32 v11, 31, v10
	v_lshl_add_u64 v[10:11], v[10:11], 2, s[6:7]
	v_mfma_f32_16x16x16_bf16 v[30:33], v[32:33], v[56:57], v[62:65]
	s_nop 2
	global_load_dword v62, v[10:11], off
	v_or_b32_e32 v10, 0xc0, v74
	v_ashrrev_i32_e32 v11, 4, v10
	v_cmp_gt_i32_e32 vcc, s27, v10
	s_waitcnt vmcnt(9)
	v_mfma_f32_16x16x16_bf16 v[30:33], v[26:27], v[50:51], v[30:33]
	v_cndmask_b32_e32 v10, v75, v11, vcc
	v_ashrrev_i32_e32 v11, 31, v10
	v_lshl_add_u64 v[10:11], v[10:11], 2, s[6:7]
	global_load_dword v63, v[10:11], off
	v_mfma_f32_16x16x16_bf16 v[26:29], v[28:29], v[52:53], v[30:33]
	s_load_dword s6, s[0:1], 0x1c
	s_waitcnt vmcnt(3)
	v_mad_i64_i32 v[10:11], s[10:11], v76, s9, 0
	v_mfma_f32_16x16x16_bf16 v[26:29], v[22:23], v[46:47], v[26:29]
	v_lshlrev_b64 v[76:77], 1, v[10:11]
	v_mfma_f32_16x16x16_bf16 v[64:67], v[12:13], v[44:45], v[70:73]
	v_mfma_f32_16x16x16_bf16 v[10:13], v[24:25], v[48:49], v[26:29]
	s_nop 1
	v_lshl_add_u64 v[72:73], s[4:5], 0, v[86:87]
	v_or_b32_e32 v86, 0x800, v86
	v_mfma_f32_16x16x16_bf16 v[30:33], v[14:15], v[42:43], v[58:61]
	v_lshl_add_u64 v[14:15], v[72:73], 0, v[76:77]
	v_mfma_f32_16x16x16_bf16 v[10:13], v[18:19], v[42:43], v[10:13]
	v_mfma_f32_16x16x16_bf16 v[68:71], v[16:17], v[44:45], v[30:33]
	s_nop 3
	global_load_dwordx4 v[30:33], v[14:15], off
	global_load_dwordx4 v[26:29], v[14:15], off offset:16
	s_waitcnt vmcnt(4)
	v_mad_i64_i32 v[14:15], s[10:11], v78, s9, 0
	v_lshlrev_b64 v[58:59], 1, v[14:15]
	v_mfma_f32_16x16x16_bf16 v[92:95], v[20:21], v[44:45], v[10:13]
	s_waitcnt lgkmcnt(0)
	v_pk_mul_f32 v[78:79], s[6:7], v[66:67] op_sel_hi:[0,1]
	s_nop 0
	v_lshl_add_u64 v[10:11], v[72:73], 0, v[58:59]
	global_load_dwordx4 v[22:25], v[10:11], off
	global_load_dwordx4 v[18:21], v[10:11], off offset:16
	v_mfma_f32_16x16x16_bf16 v[10:13], v[6:7], v[54:55], 0
	s_waitcnt vmcnt(5)
	v_mad_i64_i32 v[6:7], s[10:11], v62, s9, 0
	v_lshlrev_b64 v[54:55], 1, v[6:7]
	v_mfma_f32_16x16x16_bf16 v[6:9], v[8:9], v[56:57], v[10:13]
	v_mfma_f32_16x16x16_bf16 v[6:9], v[2:3], v[50:51], v[6:9]
	s_waitcnt vmcnt(4)
	v_mad_i64_i32 v[2:3], s[8:9], v63, s9, 0
	v_lshlrev_b64 v[50:51], 1, v[2:3]
	v_mfma_f32_16x16x16_bf16 v[60:63], v[4:5], v[52:53], v[6:9]
	v_lshl_add_u64 v[10:11], v[72:73], 0, v[54:55]
	v_lshl_add_u64 v[2:3], v[72:73], 0, v[50:51]
	v_pk_mul_f32 v[52:53], s[6:7], v[64:65] op_sel_hi:[0,1]
	v_mfma_f32_16x16x16_bf16 v[72:75], v[38:39], v[46:47], v[60:63]
	global_load_dwordx4 v[14:17], v[10:11], off
	s_nop 0
	global_load_dwordx4 v[10:13], v[10:11], off offset:16
	v_lshl_add_u64 v[62:63], s[4:5], 0, v[86:87]
	v_lshl_add_u64 v[38:39], v[62:63], 0, v[76:77]
	v_mfma_f32_16x16x16_bf16 v[46:49], v[40:41], v[48:49], v[72:75]
	v_pk_mul_f32 v[76:77], s[6:7], v[68:69] op_sel_hi:[0,1]
	v_lshl_add_u64 v[54:55], v[62:63], 0, v[54:55]
	v_lshl_add_u64 v[50:51], v[62:63], 0, v[50:51]
	v_mfma_f32_16x16x16_bf16 v[40:43], v[34:35], v[42:43], v[46:49]
	v_pk_mul_f32 v[74:75], s[6:7], v[70:71] op_sel_hi:[0,1]
	v_pk_mul_f32 v[70:71], s[6:7], v[94:95] op_sel_hi:[0,1]
	;; [unrolled: 1-line block ×3, first 2 shown]
	v_mfma_f32_16x16x16_bf16 v[34:37], v[36:37], v[44:45], v[40:43]
	global_load_dwordx4 v[6:9], v[2:3], off
	s_nop 0
	global_load_dwordx4 v[2:5], v[2:3], off offset:16
	s_nop 3
	v_pk_mul_f32 v[68:69], s[6:7], v[34:35] op_sel_hi:[0,1]
	v_and_b32_e32 v34, 0xc0, v0
	v_add_u32_e32 v34, s18, v34
	v_lshl_or_b32 v34, v88, 2, v34
	v_or_b32_e32 v35, 1, v34
	v_pk_mul_f32 v[66:67], s[6:7], v[36:37] op_sel_hi:[0,1]
	v_subrev_u32_e32 v36, s27, v35
	v_add_u32_e32 v40, 1, v36
	v_add_u32_e32 v41, 2, v36
	v_cvt_f32_i32_e32 v37, v36
	v_cvt_f32_i32_e32 v40, v40
	;; [unrolled: 1-line block ×3, first 2 shown]
	v_add_u32_e32 v42, 3, v36
	v_fma_f32 v52, v89, v37, v52
	v_fmac_f32_e32 v53, v89, v40
	v_fma_f32 v78, v89, v41, v78
	v_add_u32_e32 v37, 16, v36
	v_add_u32_e32 v40, 17, v36
	;; [unrolled: 1-line block ×3, first 2 shown]
	v_cvt_f32_i32_e32 v42, v42
	v_cvt_f32_i32_e32 v37, v37
	;; [unrolled: 1-line block ×4, first 2 shown]
	v_fmac_f32_e32 v79, v89, v42
	v_add_u32_e32 v42, 19, v36
	v_fma_f32 v76, v89, v37, v76
	v_fmac_f32_e32 v77, v89, v40
	v_fma_f32 v74, v89, v41, v74
	v_add_u32_e32 v37, 32, v36
	v_add_u32_e32 v40, 33, v36
	;; [unrolled: 1-line block ×3, first 2 shown]
	v_cvt_f32_i32_e32 v42, v42
	v_cvt_f32_i32_e32 v37, v37
	;; [unrolled: 1-line block ×4, first 2 shown]
	v_fmac_f32_e32 v75, v89, v42
	v_add_u32_e32 v42, 35, v36
	v_fma_f32 v72, v89, v37, v72
	v_fmac_f32_e32 v73, v89, v40
	v_fma_f32 v70, v89, v41, v70
	v_add_u32_e32 v37, 48, v36
	v_add_u32_e32 v40, 49, v36
	;; [unrolled: 1-line block ×4, first 2 shown]
	v_cvt_f32_i32_e32 v36, v36
	v_cvt_f32_i32_e32 v37, v37
	;; [unrolled: 1-line block ×3, first 2 shown]
	v_cmp_gt_i32_e64 s[28:29], s27, v34
	v_fmac_f32_e32 v67, v89, v36
	v_mov_b32_e32 v36, 0xff7fffff
	v_cmp_gt_i32_e64 s[30:31], s27, v35
	v_fma_f32 v68, v89, v37, v68
	v_cndmask_b32_e64 v37, v36, v52, s[28:29]
	v_cndmask_b32_e64 v35, v36, v53, s[30:31]
	v_fmac_f32_e32 v69, v89, v40
	v_max3_f32 v35, v37, s33, v35
	v_or_b32_e32 v37, 2, v34
	v_or_b32_e32 v40, 3, v34
	v_cmp_gt_i32_e64 s[34:35], s27, v37
	v_cmp_gt_i32_e64 s[36:37], s27, v40
	v_cvt_f32_i32_e32 v42, v42
	v_cndmask_b32_e64 v37, v36, v78, s[34:35]
	v_cndmask_b32_e64 v40, v36, v79, s[36:37]
	v_max3_f32 v35, v35, v37, v40
	v_or_b32_e32 v37, 16, v34
	v_or_b32_e32 v40, 17, v34
	v_cmp_gt_i32_e64 s[22:23], s27, v37
	v_cmp_gt_i32_e64 s[24:25], s27, v40
	v_fmac_f32_e32 v71, v89, v42
	v_cndmask_b32_e64 v37, v36, v76, s[22:23]
	v_cndmask_b32_e64 v40, v36, v77, s[24:25]
	v_max3_f32 v35, v35, v37, v40
	v_or_b32_e32 v37, 18, v34
	v_or_b32_e32 v40, 19, v34
	v_cmp_gt_i32_e64 s[18:19], s27, v37
	v_cmp_gt_i32_e64 s[20:21], s27, v40
	v_cvt_f32_i32_e32 v41, v41
	v_cndmask_b32_e64 v37, v36, v74, s[18:19]
	v_cndmask_b32_e64 v40, v36, v75, s[20:21]
	v_max3_f32 v35, v35, v37, v40
	v_or_b32_e32 v37, 32, v34
	v_or_b32_e32 v40, 33, v34
	v_cmp_gt_i32_e64 s[14:15], s27, v37
	v_cmp_gt_i32_e64 s[16:17], s27, v40
	v_fma_f32 v66, v89, v41, v66
	v_cndmask_b32_e64 v37, v36, v72, s[14:15]
	v_cndmask_b32_e64 v40, v36, v73, s[16:17]
	v_max3_f32 v35, v35, v37, v40
	v_or_b32_e32 v37, 34, v34
	v_or_b32_e32 v40, 35, v34
	v_cmp_gt_i32_e64 s[10:11], s27, v37
	v_cmp_gt_i32_e64 s[12:13], s27, v40
	s_nop 0
	v_cndmask_b32_e64 v37, v36, v70, s[10:11]
	v_cndmask_b32_e64 v40, v36, v71, s[12:13]
	v_max3_f32 v35, v35, v37, v40
	v_or_b32_e32 v37, 48, v34
	v_or_b32_e32 v40, 49, v34
	v_cmp_gt_i32_e64 s[6:7], s27, v37
	v_cmp_gt_i32_e64 s[8:9], s27, v40
	s_nop 0
	v_cndmask_b32_e64 v37, v36, v68, s[6:7]
	v_cndmask_b32_e64 v40, v36, v69, s[8:9]
	v_max3_f32 v35, v35, v37, v40
	v_or_b32_e32 v37, 50, v34
	v_or_b32_e32 v34, 51, v34
	v_cmp_gt_i32_e32 vcc, s27, v37
	v_cmp_gt_i32_e64 s[4:5], s27, v34
	global_load_dwordx4 v[46:49], v[38:39], off
	s_nop 0
	global_load_dwordx4 v[38:41], v[38:39], off offset:16
	v_cndmask_b32_e32 v37, v36, v66, vcc
	v_cndmask_b32_e64 v34, v36, v67, s[4:5]
	v_max3_f32 v56, v35, v37, v34
	v_mbcnt_lo_u32_b32 v34, -1, 0
	v_mbcnt_hi_u32_b32 v57, -1, v34
	v_and_b32_e32 v34, 64, v57
	v_add_u32_e32 v60, 64, v34
	v_xor_b32_e32 v34, 32, v57
	v_cmp_lt_i32_e64 s[38:39], v34, v60
	s_nop 1
	v_cndmask_b32_e64 v34, v57, v34, s[38:39]
	v_lshlrev_b32_e32 v87, 2, v34
	ds_bpermute_b32 v61, v87, v56
	v_lshl_add_u64 v[34:35], v[62:63], 0, v[58:59]
	global_load_dwordx4 v[42:45], v[34:35], off
	s_nop 0
	global_load_dwordx4 v[34:37], v[34:35], off offset:16
	s_waitcnt lgkmcnt(0)
	v_max_f32_e32 v58, v61, v61
	v_max_f32_e32 v64, v56, v58
	v_xor_b32_e32 v56, 16, v57
	v_cmp_lt_i32_e64 s[38:39], v56, v60
	s_nop 1
	v_cndmask_b32_e64 v56, v57, v56, s[38:39]
	v_lshlrev_b32_e32 v89, 2, v56
	ds_bpermute_b32 v65, v89, v64
	global_load_dwordx4 v[58:61], v[54:55], off
	s_nop 0
	global_load_dwordx4 v[54:57], v[54:55], off offset:16
	s_waitcnt lgkmcnt(0)
	v_max_f32_e32 v62, v65, v65
	v_max_f32_e32 v86, v64, v62
	v_sub_f32_e32 v52, v52, v86
	v_mul_f32_e32 v52, 0x3fb8aa3b, v52
	v_exp_f32_e32 v80, v52
	v_sub_f32_e32 v52, v53, v86
	v_mul_f32_e32 v52, 0x3fb8aa3b, v52
	v_exp_f32_e32 v81, v52
	global_load_dwordx4 v[62:65], v[50:51], off
	s_nop 0
	global_load_dwordx4 v[50:53], v[50:51], off offset:16
	v_sub_f32_e32 v78, v78, v86
	v_mul_f32_e32 v78, 0x3fb8aa3b, v78
	v_sub_f32_e32 v79, v79, v86
	v_exp_f32_e32 v78, v78
	v_mul_f32_e32 v79, 0x3fb8aa3b, v79
	v_sub_f32_e32 v76, v76, v86
	v_exp_f32_e32 v79, v79
	v_mul_f32_e32 v76, 0x3fb8aa3b, v76
	v_sub_f32_e32 v77, v77, v86
	v_cndmask_b32_e64 v80, 0, v80, s[28:29]
	v_exp_f32_e32 v76, v76
	v_mul_f32_e32 v77, 0x3fb8aa3b, v77
	v_sub_f32_e32 v74, v74, v86
	v_add_f32_e32 v91, 0, v80
	v_cndmask_b32_e64 v81, 0, v81, s[30:31]
	v_exp_f32_e32 v77, v77
	v_mul_f32_e32 v74, 0x3fb8aa3b, v74
	v_sub_f32_e32 v75, v75, v86
	v_add_f32_e32 v91, v91, v81
	v_cndmask_b32_e64 v78, 0, v78, s[34:35]
	v_exp_f32_e32 v74, v74
	v_mul_f32_e32 v75, 0x3fb8aa3b, v75
	v_sub_f32_e32 v72, v72, v86
	v_add_f32_e32 v91, v91, v78
	v_cndmask_b32_e64 v79, 0, v79, s[36:37]
	v_exp_f32_e32 v75, v75
	v_mul_f32_e32 v72, 0x3fb8aa3b, v72
	v_sub_f32_e32 v73, v73, v86
	v_add_f32_e32 v91, v91, v79
	v_cndmask_b32_e64 v76, 0, v76, s[22:23]
	v_exp_f32_e32 v72, v72
	v_mul_f32_e32 v73, 0x3fb8aa3b, v73
	v_sub_f32_e32 v70, v70, v86
	v_add_f32_e32 v91, v91, v76
	v_cndmask_b32_e64 v77, 0, v77, s[24:25]
	v_exp_f32_e32 v73, v73
	v_mul_f32_e32 v70, 0x3fb8aa3b, v70
	v_sub_f32_e32 v71, v71, v86
	v_add_f32_e32 v91, v91, v77
	v_cndmask_b32_e64 v74, 0, v74, s[18:19]
	v_exp_f32_e32 v70, v70
	v_mul_f32_e32 v71, 0x3fb8aa3b, v71
	v_sub_f32_e32 v68, v68, v86
	v_add_f32_e32 v91, v91, v74
	v_cndmask_b32_e64 v75, 0, v75, s[20:21]
	v_exp_f32_e32 v71, v71
	v_mul_f32_e32 v68, 0x3fb8aa3b, v68
	v_sub_f32_e32 v69, v69, v86
	v_add_f32_e32 v91, v91, v75
	v_cndmask_b32_e64 v72, 0, v72, s[14:15]
	v_exp_f32_e32 v68, v68
	v_mul_f32_e32 v69, 0x3fb8aa3b, v69
	v_sub_f32_e32 v66, v66, v86
	v_add_f32_e32 v91, v91, v72
	v_cndmask_b32_e64 v73, 0, v73, s[16:17]
	v_exp_f32_e32 v69, v69
	v_mul_f32_e32 v66, 0x3fb8aa3b, v66
	v_sub_f32_e32 v67, v67, v86
	v_add_f32_e32 v91, v91, v73
	v_cndmask_b32_e64 v70, 0, v70, s[10:11]
	v_exp_f32_e32 v66, v66
	v_mul_f32_e32 v67, 0x3fb8aa3b, v67
	v_add_f32_e32 v91, v91, v70
	v_cndmask_b32_e64 v71, 0, v71, s[12:13]
	v_exp_f32_e32 v67, v67
	v_add_f32_e32 v91, v91, v71
	v_cndmask_b32_e64 v68, 0, v68, s[6:7]
	v_add_f32_e32 v91, v91, v68
	v_cndmask_b32_e64 v69, 0, v69, s[8:9]
	v_add_f32_e32 v91, v91, v69
	v_cndmask_b32_e32 v66, 0, v66, vcc
	v_add_f32_e32 v91, v91, v66
	v_cndmask_b32_e64 v67, 0, v67, s[4:5]
	v_add_f32_e32 v91, v91, v67
	ds_bpermute_b32 v87, v87, v91
	s_load_dword s7, s[0:1], 0x98
	v_cmp_gt_u32_e32 vcc, 16, v83
	s_waitcnt lgkmcnt(0)
	s_barrier
	v_add_f32_e32 v87, v91, v87
	ds_bpermute_b32 v89, v89, v87
	s_waitcnt lgkmcnt(0)
	s_and_saveexec_b64 s[4:5], vcc
	s_cbranch_execz .LBB646_15
; %bb.14:
	v_add_f32_e32 v83, v87, v89
	v_lshlrev_b32_e32 v87, 2, v90
	ds_write2st64_b32 v87, v86, v83 offset1:1
.LBB646_15:
	s_or_b64 exec, exec, s[4:5]
	v_lshlrev_b32_e32 v89, 2, v84
	s_load_dword s6, s[0:1], 0x94
	s_waitcnt lgkmcnt(0)
	s_barrier
	ds_read2_b32 v[86:87], v89 offset1:16
	ds_read2_b32 v[90:91], v89 offset0:32 offset1:48
	ds_read2_b32 v[92:93], v89 offset0:64 offset1:80
	;; [unrolled: 1-line block ×3, first 2 shown]
	s_movk_i32 s8, 0x7fff
	s_waitcnt lgkmcnt(3)
	v_max3_f32 v83, v86, s33, v87
	s_waitcnt lgkmcnt(2)
	v_max3_f32 v83, v83, v90, v91
	v_sub_f32_e32 v86, v86, v83
	v_mul_f32_e32 v86, 0x3fb8aa3b, v86
	v_exp_f32_e32 v1, v86
	v_sub_f32_e32 v86, v87, v83
	v_mul_f32_e32 v86, 0x3fb8aa3b, v86
	v_exp_f32_e32 v87, v86
	;; [unrolled: 3-line block ×4, first 2 shown]
	s_waitcnt lgkmcnt(1)
	v_fma_f32 v86, v1, v92, 0
	v_fmac_f32_e32 v86, v87, v93
	s_waitcnt lgkmcnt(0)
	v_fmac_f32_e32 v86, v90, v94
	v_fmac_f32_e32 v86, v89, v95
	v_add_f32_e32 v91, 0x358637bd, v86
	v_div_scale_f32 v92, s[4:5], v91, v91, 1.0
	v_rcp_f32_e32 v93, v92
	s_mov_b32 s9, 0x7060302
	s_mul_i32 s7, s7, 15
	v_fma_f32 v94, -v92, v93, 1.0
	v_fmac_f32_e32 v93, v94, v93
	v_div_scale_f32 v94, vcc, 1.0, v91, 1.0
	v_mul_f32_e32 v95, v94, v93
	v_fma_f32 v88, -v92, v95, v94
	v_fmac_f32_e32 v95, v88, v93
	v_fma_f32 v88, -v92, v95, v94
	v_div_fmas_f32 v88, v88, v93, v95
	v_cmp_eq_u32_e32 vcc, 1, v85
	v_div_fixup_f32 v88, v88, v91, 1.0
	s_barrier
	v_cndmask_b32_e32 v1, v1, v87, vcc
	v_cmp_eq_u32_e32 vcc, 2, v85
	s_nop 1
	v_cndmask_b32_e32 v1, v1, v90, vcc
	v_cmp_eq_u32_e32 vcc, 3, v85
	s_nop 1
	v_cndmask_b32_e32 v1, v1, v89, vcc
	v_mul_f32_e32 v90, v1, v88
	v_pk_mul_f32 v[80:81], v[90:91], v[80:81] op_sel_hi:[0,1]
	v_bfe_u32 v1, v81, 16, 1
	v_bfe_u32 v87, v80, 16, 1
	v_pk_mul_f32 v[78:79], v[90:91], v[78:79] op_sel_hi:[0,1]
	v_add3_u32 v80, v80, v87, s8
	v_add3_u32 v1, v81, v1, s8
	v_perm_b32 v80, v1, v80, s9
	v_bfe_u32 v1, v79, 16, 1
	v_bfe_u32 v81, v78, 16, 1
	v_add3_u32 v78, v78, v81, s8
	v_add3_u32 v1, v79, v1, s8
	v_bfe_u32 v87, v0, 4, 2
	v_perm_b32 v81, v1, v78, s9
	v_lshlrev_b32_e32 v1, 3, v87
	v_lshlrev_b32_e32 v79, 5, v84
	;; [unrolled: 1-line block ×3, first 2 shown]
	v_pk_mul_f32 v[76:77], v[90:91], v[76:77] op_sel_hi:[0,1]
	v_or3_b32 v78, v78, v79, v1
	v_bfe_u32 v1, v77, 16, 1
	v_bfe_u32 v85, v76, 16, 1
	v_pk_mul_f32 v[74:75], v[90:91], v[74:75] op_sel_hi:[0,1]
	v_add3_u32 v76, v76, v85, s8
	v_add3_u32 v1, v77, v1, s8
	v_perm_b32 v76, v1, v76, s9
	v_bfe_u32 v1, v75, 16, 1
	v_bfe_u32 v77, v74, 16, 1
	v_add3_u32 v74, v74, v77, s8
	v_add3_u32 v1, v75, v1, s8
	v_pk_mul_f32 v[72:73], v[90:91], v[72:73] op_sel_hi:[0,1]
	v_perm_b32 v77, v1, v74, s9
	v_bfe_u32 v1, v73, 16, 1
	v_bfe_u32 v74, v72, 16, 1
	v_pk_mul_f32 v[70:71], v[90:91], v[70:71] op_sel_hi:[0,1]
	v_add3_u32 v72, v72, v74, s8
	v_add3_u32 v1, v73, v1, s8
	v_perm_b32 v72, v1, v72, s9
	v_bfe_u32 v1, v71, 16, 1
	v_bfe_u32 v73, v70, 16, 1
	v_add3_u32 v70, v70, v73, s8
	v_add3_u32 v1, v71, v1, s8
	v_pk_mul_f32 v[68:69], v[90:91], v[68:69] op_sel_hi:[0,1]
	v_perm_b32 v73, v1, v70, s9
	v_bfe_u32 v1, v69, 16, 1
	v_bfe_u32 v70, v68, 16, 1
	v_pk_mul_f32 v[66:67], v[90:91], v[66:67] op_sel_hi:[0,1]
	v_add3_u32 v68, v68, v70, s8
	v_add3_u32 v1, v69, v1, s8
	v_perm_b32 v68, v1, v68, s9
	v_bfe_u32 v1, v67, 16, 1
	v_bfe_u32 v69, v66, 16, 1
	v_add3_u32 v66, v66, v69, s8
	v_add3_u32 v1, v67, v1, s8
	v_perm_b32 v69, v1, v66, s9
	v_cmp_gt_u32_e32 vcc, 15, v0
	ds_write2st64_b64 v78, v[80:81], v[76:77] offset1:1
	ds_write2st64_b64 v78, v[72:73], v[68:69] offset0:2 offset1:3
	s_and_saveexec_b64 s[4:5], vcc
	s_cbranch_execz .LBB646_17
; %bb.16:
	s_mov_b32 s41, 0
	v_mov_b32_e32 v85, 0
	v_lshl_add_u64 v[66:67], s[40:41], 0, v[84:85]
	v_mov_b32_e32 v1, s7
	v_mad_u64_u32 v[66:67], s[10:11], s2, v1, v[66:67]
	s_mul_i32 s3, s3, s7
	v_mov_b32_e32 v68, s26
	v_mov_b32_e32 v69, v85
	s_load_dwordx4 s[12:15], s[0:1], 0x58
	v_add_u32_e32 v1, s3, v67
	v_mad_u64_u32 v[66:67], s[10:11], v66, s6, v[68:69]
	v_mov_b32_e32 v68, v67
	v_mad_u64_u32 v[68:69], s[10:11], v1, s6, v[68:69]
	v_mov_b32_e32 v67, v68
	v_lshlrev_b64 v[66:67], 2, v[66:67]
	s_waitcnt lgkmcnt(0)
	v_lshl_add_u64 v[68:69], s[14:15], 0, v[66:67]
	v_lshl_add_u64 v[66:67], s[12:13], 0, v[66:67]
	global_store_dword v[68:69], v83, off
	global_store_dword v[66:67], v86, off
.LBB646_17:
	s_or_b64 exec, exec, s[4:5]
	v_lshl_or_b32 v1, v87, 9, v79
	s_waitcnt lgkmcnt(0)
	s_barrier
	ds_read_b128 v[70:73], v1
	ds_read_b128 v[66:69], v1 offset:16
	s_waitcnt vmcnt(15) lgkmcnt(1)
	v_mfma_f32_16x16x16_bf16 v[74:77], v[30:31], v[70:71], 0
	s_mov_b32 s3, 0
	v_cmp_gt_u32_e32 vcc, 64, v0
	v_mfma_f32_16x16x16_bf16 v[30:33], v[32:33], v[72:73], v[74:77]
	s_waitcnt vmcnt(14) lgkmcnt(0)
	v_mfma_f32_16x16x16_bf16 v[30:33], v[26:27], v[66:67], v[30:33]
	v_mfma_f32_16x16x16_bf16 v[26:29], v[28:29], v[68:69], v[30:33]
	s_nop 5
	ds_read_b128 v[30:33], v1 offset:2048
	ds_read_b128 v[74:77], v1 offset:2064
	s_waitcnt vmcnt(13) lgkmcnt(1)
	v_mfma_f32_16x16x16_bf16 v[26:29], v[22:23], v[30:31], v[26:29]
	v_mfma_f32_16x16x16_bf16 v[22:25], v[24:25], v[32:33], v[26:29]
	s_waitcnt vmcnt(12) lgkmcnt(0)
	v_mfma_f32_16x16x16_bf16 v[22:25], v[18:19], v[74:75], v[22:25]
	v_mfma_f32_16x16x16_bf16 v[18:21], v[20:21], v[76:77], v[22:25]
	s_nop 5
	ds_read_b128 v[22:25], v1 offset:4096
	ds_read_b128 v[26:29], v1 offset:4112
	s_waitcnt vmcnt(11) lgkmcnt(1)
	v_mfma_f32_16x16x16_bf16 v[18:21], v[14:15], v[22:23], v[18:21]
	v_mfma_f32_16x16x16_bf16 v[14:17], v[16:17], v[24:25], v[18:21]
	s_waitcnt vmcnt(10) lgkmcnt(0)
	v_mfma_f32_16x16x16_bf16 v[14:17], v[10:11], v[26:27], v[14:17]
	v_mfma_f32_16x16x16_bf16 v[10:13], v[12:13], v[28:29], v[14:17]
	s_nop 5
	ds_read_b128 v[14:17], v1 offset:6144
	ds_read_b128 v[18:21], v1 offset:6160
	s_waitcnt lgkmcnt(0)
	s_barrier
	s_waitcnt vmcnt(9)
	v_mfma_f32_16x16x16_bf16 v[10:13], v[6:7], v[14:15], v[10:13]
	v_mfma_f32_16x16x16_bf16 v[6:9], v[8:9], v[16:17], v[10:13]
	s_waitcnt vmcnt(8)
	v_mfma_f32_16x16x16_bf16 v[6:9], v[2:3], v[18:19], v[6:9]
	v_mfma_f32_16x16x16_bf16 v[2:5], v[4:5], v[20:21], v[6:9]
	s_waitcnt vmcnt(7)
	v_mfma_f32_16x16x16_bf16 v[6:9], v[46:47], v[70:71], 0
	v_mfma_f32_16x16x16_bf16 v[6:9], v[48:49], v[72:73], v[6:9]
	s_nop 3
	v_bfe_u32 v1, v3, 16, 1
	v_bfe_u32 v10, v2, 16, 1
	v_add3_u32 v2, v2, v10, s8
	s_waitcnt vmcnt(6)
	v_mfma_f32_16x16x16_bf16 v[6:9], v[38:39], v[66:67], v[6:9]
	v_add3_u32 v1, v3, v1, s8
	v_perm_b32 v10, v1, v2, s9
	v_bfe_u32 v1, v5, 16, 1
	v_mfma_f32_16x16x16_bf16 v[6:9], v[40:41], v[68:69], v[6:9]
	v_bfe_u32 v2, v4, 16, 1
	v_add3_u32 v2, v4, v2, s8
	v_add3_u32 v1, v5, v1, s8
	s_waitcnt vmcnt(5)
	v_mfma_f32_16x16x16_bf16 v[6:9], v[42:43], v[30:31], v[6:9]
	v_perm_b32 v11, v1, v2, s9
	v_mfma_f32_16x16x16_bf16 v[6:9], v[44:45], v[32:33], v[6:9]
	s_waitcnt vmcnt(4)
	v_mfma_f32_16x16x16_bf16 v[6:9], v[34:35], v[74:75], v[6:9]
	v_mfma_f32_16x16x16_bf16 v[6:9], v[36:37], v[76:77], v[6:9]
	s_waitcnt vmcnt(3)
	v_mfma_f32_16x16x16_bf16 v[6:9], v[58:59], v[22:23], v[6:9]
	;; [unrolled: 3-line block ×5, first 2 shown]
	v_mfma_f32_16x16x16_bf16 v[2:5], v[52:53], v[20:21], v[6:9]
	s_nop 6
	v_bfe_u32 v1, v3, 16, 1
	v_bfe_u32 v6, v2, 16, 1
	v_add3_u32 v2, v2, v6, s8
	v_add3_u32 v1, v3, v1, s8
	v_perm_b32 v2, v1, v2, s9
	v_bfe_u32 v1, v5, 16, 1
	v_bfe_u32 v3, v4, 16, 1
	v_add3_u32 v3, v4, v3, s8
	v_add3_u32 v1, v5, v1, s8
	v_perm_b32 v3, v1, v3, s9
	ds_write2st64_b64 v78, v[10:11], v[2:3] offset1:1
	s_waitcnt lgkmcnt(0)
	s_barrier
	s_and_saveexec_b64 s[4:5], vcc
	s_cbranch_execz .LBB646_20
; %bb.18:
	s_load_dwordx2 s[4:5], s[0:1], 0x68
	s_lshl_b32 s0, s6, 7
	s_mul_i32 s1, s7, s2
	v_lshlrev_b32_e32 v3, 6, v84
	s_mul_hi_u32 s7, s1, s0
	s_mul_i32 s6, s1, s0
	v_lshlrev_b32_e32 v2, 4, v0
	v_lshl_or_b32 v0, v0, 10, v3
	s_lshl_b64 s[6:7], s[6:7], 1
	v_lshlrev_b32_e32 v1, 5, v87
	v_and_b32_e32 v2, 16, v2
	v_and_b32_e32 v0, 0x1a00, v0
	s_waitcnt lgkmcnt(0)
	s_add_u32 s1, s4, s6
	v_or3_b32 v2, v0, v1, v2
	s_addc_u32 s4, s5, s7
	s_lshl_b32 s2, s26, 7
	ds_read_b128 v[4:7], v2 offset:256
	s_lshl_b64 s[2:3], s[2:3], 1
	ds_read_b128 v[8:11], v2 offset:128
	ds_read_b128 v[12:15], v2
	s_add_u32 s2, s1, s2
	s_addc_u32 s3, s4, s3
	v_mov_b32_e32 v83, 0
	v_add_u32_e32 v3, s40, v87
	v_lshl_add_u64 v[0:1], s[2:3], 0, v[82:83]
	v_mad_u64_u32 v[16:17], s[2:3], v3, s0, 0
	v_lshl_add_u64 v[16:17], v[16:17], 1, v[0:1]
	s_waitcnt lgkmcnt(0)
	global_store_dwordx4 v[16:17], v[12:15], off
	v_cmp_ne_u32_e32 vcc, 3, v87
	s_nop 0
	v_add_u32_e32 v12, 4, v3
	v_mad_u64_u32 v[12:13], s[2:3], v12, s0, 0
	v_lshl_add_u64 v[12:13], v[12:13], 1, v[0:1]
	v_add_u32_e32 v3, 8, v3
	global_store_dwordx4 v[12:13], v[8:11], off
	s_nop 1
	v_mad_u64_u32 v[8:9], s[2:3], v3, s0, 0
	v_lshl_add_u64 v[8:9], v[8:9], 1, v[0:1]
	global_store_dwordx4 v[8:9], v[4:7], off
	s_and_b64 exec, exec, vcc
	s_cbranch_execz .LBB646_20
; %bb.19:
	ds_read_b128 v[2:5], v2 offset:384
	v_add3_u32 v6, s40, v87, 12
	v_mad_u64_u32 v[6:7], s[0:1], v6, s0, 0
	v_lshl_add_u64 v[0:1], v[6:7], 1, v[0:1]
	s_waitcnt lgkmcnt(0)
	global_store_dwordx4 v[0:1], v[2:5], off
.LBB646_20:
	s_endpgm
	.section	.rodata,"a",@progbits
	.p2align	6, 0x0
	.amdhsa_kernel _Z39paged_attention_ll4mi_QKV_mfma16_kernelI14__hip_bfloat16S0_LN4vllm18Fp8KVCacheDataTypeE0ES0_Li16ELi128ELi256ELb1ELi15EEvPKT_PKT0_S8_ifPKiSA_SA_iPKfiiiPfSD_PS3_PT2_iSC_SC_
		.amdhsa_group_segment_fixed_size 8192
		.amdhsa_private_segment_fixed_size 0
		.amdhsa_kernarg_size 400
		.amdhsa_user_sgpr_count 2
		.amdhsa_user_sgpr_dispatch_ptr 0
		.amdhsa_user_sgpr_queue_ptr 0
		.amdhsa_user_sgpr_kernarg_segment_ptr 1
		.amdhsa_user_sgpr_dispatch_id 0
		.amdhsa_user_sgpr_kernarg_preload_length 0
		.amdhsa_user_sgpr_kernarg_preload_offset 0
		.amdhsa_user_sgpr_private_segment_size 0
		.amdhsa_uses_dynamic_stack 0
		.amdhsa_enable_private_segment 0
		.amdhsa_system_sgpr_workgroup_id_x 1
		.amdhsa_system_sgpr_workgroup_id_y 1
		.amdhsa_system_sgpr_workgroup_id_z 1
		.amdhsa_system_sgpr_workgroup_info 0
		.amdhsa_system_vgpr_workitem_id 0
		.amdhsa_next_free_vgpr 96
		.amdhsa_next_free_sgpr 42
		.amdhsa_accum_offset 96
		.amdhsa_reserve_vcc 1
		.amdhsa_float_round_mode_32 0
		.amdhsa_float_round_mode_16_64 0
		.amdhsa_float_denorm_mode_32 3
		.amdhsa_float_denorm_mode_16_64 3
		.amdhsa_dx10_clamp 1
		.amdhsa_ieee_mode 1
		.amdhsa_fp16_overflow 0
		.amdhsa_tg_split 0
		.amdhsa_exception_fp_ieee_invalid_op 0
		.amdhsa_exception_fp_denorm_src 0
		.amdhsa_exception_fp_ieee_div_zero 0
		.amdhsa_exception_fp_ieee_overflow 0
		.amdhsa_exception_fp_ieee_underflow 0
		.amdhsa_exception_fp_ieee_inexact 0
		.amdhsa_exception_int_div_zero 0
	.end_amdhsa_kernel
	.section	.text._Z39paged_attention_ll4mi_QKV_mfma16_kernelI14__hip_bfloat16S0_LN4vllm18Fp8KVCacheDataTypeE0ES0_Li16ELi128ELi256ELb1ELi15EEvPKT_PKT0_S8_ifPKiSA_SA_iPKfiiiPfSD_PS3_PT2_iSC_SC_,"axG",@progbits,_Z39paged_attention_ll4mi_QKV_mfma16_kernelI14__hip_bfloat16S0_LN4vllm18Fp8KVCacheDataTypeE0ES0_Li16ELi128ELi256ELb1ELi15EEvPKT_PKT0_S8_ifPKiSA_SA_iPKfiiiPfSD_PS3_PT2_iSC_SC_,comdat
.Lfunc_end646:
	.size	_Z39paged_attention_ll4mi_QKV_mfma16_kernelI14__hip_bfloat16S0_LN4vllm18Fp8KVCacheDataTypeE0ES0_Li16ELi128ELi256ELb1ELi15EEvPKT_PKT0_S8_ifPKiSA_SA_iPKfiiiPfSD_PS3_PT2_iSC_SC_, .Lfunc_end646-_Z39paged_attention_ll4mi_QKV_mfma16_kernelI14__hip_bfloat16S0_LN4vllm18Fp8KVCacheDataTypeE0ES0_Li16ELi128ELi256ELb1ELi15EEvPKT_PKT0_S8_ifPKiSA_SA_iPKfiiiPfSD_PS3_PT2_iSC_SC_
                                        ; -- End function
	.section	.AMDGPU.csdata,"",@progbits
; Kernel info:
; codeLenInByte = 5040
; NumSgprs: 48
; NumVgprs: 96
; NumAgprs: 0
; TotalNumVgprs: 96
; ScratchSize: 0
; MemoryBound: 0
; FloatMode: 240
; IeeeMode: 1
; LDSByteSize: 8192 bytes/workgroup (compile time only)
; SGPRBlocks: 5
; VGPRBlocks: 11
; NumSGPRsForWavesPerEU: 48
; NumVGPRsForWavesPerEU: 96
; AccumOffset: 96
; Occupancy: 5
; WaveLimiterHint : 1
; COMPUTE_PGM_RSRC2:SCRATCH_EN: 0
; COMPUTE_PGM_RSRC2:USER_SGPR: 2
; COMPUTE_PGM_RSRC2:TRAP_HANDLER: 0
; COMPUTE_PGM_RSRC2:TGID_X_EN: 1
; COMPUTE_PGM_RSRC2:TGID_Y_EN: 1
; COMPUTE_PGM_RSRC2:TGID_Z_EN: 1
; COMPUTE_PGM_RSRC2:TIDIG_COMP_CNT: 0
; COMPUTE_PGM_RSRC3_GFX90A:ACCUM_OFFSET: 23
; COMPUTE_PGM_RSRC3_GFX90A:TG_SPLIT: 0
	.section	.text._Z39paged_attention_ll4mi_QKV_mfma16_kernelI14__hip_bfloat16S0_LN4vllm18Fp8KVCacheDataTypeE0ES0_Li16ELi128ELi256ELb1ELi16EEvPKT_PKT0_S8_ifPKiSA_SA_iPKfiiiPfSD_PS3_PT2_iSC_SC_,"axG",@progbits,_Z39paged_attention_ll4mi_QKV_mfma16_kernelI14__hip_bfloat16S0_LN4vllm18Fp8KVCacheDataTypeE0ES0_Li16ELi128ELi256ELb1ELi16EEvPKT_PKT0_S8_ifPKiSA_SA_iPKfiiiPfSD_PS3_PT2_iSC_SC_,comdat
	.protected	_Z39paged_attention_ll4mi_QKV_mfma16_kernelI14__hip_bfloat16S0_LN4vllm18Fp8KVCacheDataTypeE0ES0_Li16ELi128ELi256ELb1ELi16EEvPKT_PKT0_S8_ifPKiSA_SA_iPKfiiiPfSD_PS3_PT2_iSC_SC_ ; -- Begin function _Z39paged_attention_ll4mi_QKV_mfma16_kernelI14__hip_bfloat16S0_LN4vllm18Fp8KVCacheDataTypeE0ES0_Li16ELi128ELi256ELb1ELi16EEvPKT_PKT0_S8_ifPKiSA_SA_iPKfiiiPfSD_PS3_PT2_iSC_SC_
	.globl	_Z39paged_attention_ll4mi_QKV_mfma16_kernelI14__hip_bfloat16S0_LN4vllm18Fp8KVCacheDataTypeE0ES0_Li16ELi128ELi256ELb1ELi16EEvPKT_PKT0_S8_ifPKiSA_SA_iPKfiiiPfSD_PS3_PT2_iSC_SC_
	.p2align	8
	.type	_Z39paged_attention_ll4mi_QKV_mfma16_kernelI14__hip_bfloat16S0_LN4vllm18Fp8KVCacheDataTypeE0ES0_Li16ELi128ELi256ELb1ELi16EEvPKT_PKT0_S8_ifPKiSA_SA_iPKfiiiPfSD_PS3_PT2_iSC_SC_,@function
_Z39paged_attention_ll4mi_QKV_mfma16_kernelI14__hip_bfloat16S0_LN4vllm18Fp8KVCacheDataTypeE0ES0_Li16ELi128ELi256ELb1ELi16EEvPKT_PKT0_S8_ifPKiSA_SA_iPKfiiiPfSD_PS3_PT2_iSC_SC_: ; @_Z39paged_attention_ll4mi_QKV_mfma16_kernelI14__hip_bfloat16S0_LN4vllm18Fp8KVCacheDataTypeE0ES0_Li16ELi128ELi256ELb1ELi16EEvPKT_PKT0_S8_ifPKiSA_SA_iPKfiiiPfSD_PS3_PT2_iSC_SC_
; %bb.0:
	s_load_dwordx2 s[8:9], s[0:1], 0x30
	s_mov_b32 s26, s3
	s_mov_b64 s[6:7], 0
	s_waitcnt lgkmcnt(0)
	s_cmp_lg_u64 s[8:9], 0
	s_cselect_b64 s[10:11], -1, 0
	s_and_b64 vcc, exec, s[10:11]
	s_cbranch_vccz .LBB647_7
; %bb.1:
	s_add_i32 s12, s2, 1
	s_mov_b32 s13, 0
	s_lshl_b64 s[14:15], s[12:13], 2
	s_add_u32 s14, s8, s14
	s_mov_b32 s3, s13
	s_addc_u32 s15, s9, s15
	s_lshl_b64 s[12:13], s[2:3], 2
	s_add_u32 s12, s8, s12
	s_addc_u32 s13, s9, s13
	s_load_dword s5, s[14:15], 0x0
	s_load_dword s16, s[12:13], 0x0
	s_waitcnt lgkmcnt(0)
	s_sub_i32 s5, s5, s16
	s_cmp_eq_u32 s5, 1
	s_cselect_b64 s[12:13], -1, 0
	s_andn2_b64 vcc, exec, s[6:7]
	s_cbranch_vccnz .LBB647_3
.LBB647_2:
	s_mov_b32 s3, 0
	s_mov_b64 s[12:13], -1
.LBB647_3:
	s_andn2_b64 vcc, exec, s[12:13]
	s_cbranch_vccnz .LBB647_17
; %bb.4:
	s_load_dwordx2 s[6:7], s[0:1], 0x28
	s_lshl_b64 s[18:19], s[2:3], 2
	s_waitcnt lgkmcnt(0)
	s_add_u32 s6, s6, s18
	s_addc_u32 s7, s7, s19
	s_load_dword s38, s[6:7], 0x0
	s_lshl_b32 s20, s26, 8
	s_waitcnt lgkmcnt(0)
	s_cmp_ge_i32 s20, s38
	s_cbranch_scc1 .LBB647_17
; %bb.5:
	s_load_dwordx2 s[6:7], s[0:1], 0x20
	s_load_dword s5, s[0:1], 0x38
	s_add_i32 s12, s38, 15
	s_ashr_i32 s13, s12, 31
	v_and_b32_e32 v1, 0xcf, v0
	s_lshr_b32 s13, s13, 28
	v_add_u32_e32 v1, s20, v1
	s_add_i32 s12, s12, s13
	v_ashrrev_i32_e32 v2, 31, v1
	s_ashr_i32 s21, s12, 4
	v_lshrrev_b32_e32 v4, 28, v2
	s_add_i32 s21, s21, -1
	s_waitcnt lgkmcnt(0)
	s_mul_i32 s12, s2, s5
	s_mov_b32 s13, 0
	v_add_u32_e32 v2, v1, v4
	s_lshl_b64 s[12:13], s[12:13], 2
	v_ashrrev_i32_e32 v2, 4, v2
	v_mov_b32_e32 v5, s21
	v_cmp_gt_i32_e32 vcc, s38, v1
	s_add_u32 s6, s6, s12
	s_addc_u32 s7, s7, s13
	v_cndmask_b32_e32 v2, v5, v2, vcc
	v_ashrrev_i32_e32 v3, 31, v2
	v_lshl_add_u64 v[6:7], v[2:3], 2, s[6:7]
	v_or_b32_e32 v2, 16, v1
	v_add_u32_e32 v3, v2, v4
	v_ashrrev_i32_e32 v3, 4, v3
	v_cmp_gt_i32_e32 vcc, s38, v2
	s_nop 1
	v_cndmask_b32_e32 v2, v5, v3, vcc
	v_ashrrev_i32_e32 v3, 31, v2
	v_lshl_add_u64 v[8:9], v[2:3], 2, s[6:7]
	v_or_b32_e32 v2, 32, v1
	v_add_u32_e32 v3, v2, v4
	v_ashrrev_i32_e32 v3, 4, v3
	v_cmp_gt_i32_e32 vcc, s38, v2
	v_or_b32_e32 v1, 48, v1
	s_nop 0
	v_cndmask_b32_e32 v2, v5, v3, vcc
	v_ashrrev_i32_e32 v3, 31, v2
	v_lshl_add_u64 v[10:11], v[2:3], 2, s[6:7]
	v_add_u32_e32 v2, v1, v4
	v_ashrrev_i32_e32 v2, 4, v2
	v_cmp_gt_i32_e32 vcc, s38, v1
	s_nop 1
	v_cndmask_b32_e32 v2, v5, v2, vcc
	v_ashrrev_i32_e32 v3, 31, v2
	v_lshl_add_u64 v[12:13], v[2:3], 2, s[6:7]
	global_load_dword v4, v[6:7], off
	global_load_dword v3, v[8:9], off
	;; [unrolled: 1-line block ×4, first 2 shown]
	s_load_dwordx2 s[16:17], s[0:1], 0x40
	s_load_dwordx4 s[12:15], s[0:1], 0x8
	s_andn2_b64 vcc, exec, s[10:11]
	s_cbranch_vccnz .LBB647_8
; %bb.6:
	s_add_u32 s8, s8, s18
	s_addc_u32 s9, s9, s19
	s_load_dword s5, s[8:9], 0x0
	s_branch .LBB647_9
.LBB647_7:
	s_mov_b64 s[12:13], 0
	s_branch .LBB647_2
.LBB647_8:
	s_mov_b32 s5, s2
.LBB647_9:
	s_load_dwordx4 s[8:11], s[0:1], 0x48
	v_and_b32_e32 v86, 15, v0
	v_lshlrev_b32_e32 v5, 3, v86
	s_waitcnt lgkmcnt(0)
	s_movk_i32 s11, 0x100
	v_lshrrev_b32_e32 v88, 6, v0
	v_and_b32_e32 v89, 63, v0
	v_bfe_u32 v1, v0, 4, 2
	s_lshl_b32 s27, s4, 4
	v_cmp_gt_u32_e32 vcc, s11, v0
	v_lshlrev_b32_e32 v6, 1, v5
	scratch_store_dwordx2 off, v[6:7], off  ; 8-byte Folded Spill
	s_and_saveexec_b64 s[18:19], vcc
	s_cbranch_execz .LBB647_11
; %bb.10:
	scratch_load_dwordx2 v[8:9], off, off   ; 8-byte Folded Reload
	s_load_dwordx2 s[22:23], s[0:1], 0x0
	s_ashr_i32 s11, s8, 31
	s_mul_hi_u32 s24, s5, s8
	s_mul_i32 s11, s5, s11
	s_add_i32 s25, s24, s11
	s_mul_i32 s24, s5, s8
	v_lshl_or_b32 v5, v88, 2, v1
	s_lshl_b64 s[24:25], s[24:25], 1
	s_waitcnt lgkmcnt(0)
	s_add_u32 s22, s22, s24
	v_add_lshl_u32 v6, v5, s27, 7
	s_addc_u32 s23, s23, s25
	v_ashrrev_i32_e32 v7, 31, v6
	v_lshl_add_u64 v[6:7], v[6:7], 1, s[22:23]
	v_mov_b32_e32 v11, 0
	v_lshlrev_b32_e32 v5, 5, v5
	s_waitcnt vmcnt(0)
	v_mov_b32_e32 v10, v8
	v_lshl_add_u64 v[6:7], v[6:7], 0, v[10:11]
	scratch_store_dwordx2 off, v[8:9], off  ; 8-byte Folded Spill
	global_load_dwordx4 v[6:9], v[6:7], off
	v_and_b32_e32 v10, 3, v0
	v_lshlrev_b32_e32 v11, 9, v86
	v_lshlrev_b32_e32 v10, 9, v10
	v_and_b32_e32 v11, 0x1800, v11
	v_or3_b32 v5, v11, v10, v5
	s_waitcnt vmcnt(0)
	ds_write_b128 v5, v[6:9]
.LBB647_11:
	s_or_b64 exec, exec, s[18:19]
	s_mul_i32 s4, s4, s10
	s_mov_b32 s5, 0
	s_lshl_b64 s[4:5], s[4:5], 1
	s_add_u32 s10, s12, s4
	v_lshlrev_b32_e32 v6, 4, v0
	s_addc_u32 s11, s13, s5
	v_and_b32_e32 v38, 0xf0, v6
	v_mov_b32_e32 v39, 0
	v_lshl_add_u64 v[40:41], s[10:11], 0, v[38:39]
	s_waitcnt vmcnt(4)
	v_mad_i64_i32 v[4:5], s[10:11], v4, s9, 0
	v_lshl_add_u64 v[4:5], v[4:5], 1, v[40:41]
	v_and_b32_e32 v38, 0x300, v6
	v_lshl_add_u64 v[34:35], v[4:5], 0, v[38:39]
	s_waitcnt vmcnt(3)
	v_mad_i64_i32 v[4:5], s[10:11], v3, s9, 0
	s_load_dword s33, s[0:1], 0x98
	s_load_dword s8, s[0:1], 0x1c
	s_waitcnt lgkmcnt(0)
	s_barrier
	global_load_dwordx4 v[10:13], v[34:35], off
	v_lshl_add_u64 v[4:5], v[4:5], 1, v[40:41]
	v_lshl_add_u64 v[42:43], v[4:5], 0, v[38:39]
	global_load_dwordx4 v[14:17], v[42:43], off
	s_waitcnt vmcnt(4)
	v_mad_i64_i32 v[2:3], s[10:11], v2, s9, 0
	v_lshl_add_u64 v[2:3], v[2:3], 1, v[40:41]
	v_lshl_add_u64 v[44:45], v[2:3], 0, v[38:39]
	global_load_dwordx4 v[30:33], v[44:45], off
	global_load_dwordx4 v[22:25], v[34:35], off offset:1024
	global_load_dwordx4 v[18:21], v[42:43], off offset:1024
	;; [unrolled: 1-line block ×3, first 2 shown]
	v_lshlrev_b32_e32 v2, 5, v86
	scratch_store_dword off, v2, off offset:8 ; 4-byte Folded Spill
	v_lshl_or_b32 v87, v1, 9, v2
	ds_read_b128 v[6:9], v87
	ds_read_b128 v[2:5], v87 offset:2048
	global_load_dwordx4 v[50:53], v[34:35], off offset:2048
	global_load_dwordx4 v[58:61], v[42:43], off offset:2048
	global_load_dwordx4 v[66:69], v[44:45], off offset:2048
	global_load_dwordx4 v[70:73], v[34:35], off offset:3072
	v_and_or_b32 v74, v0, 48, s20
	v_mov_b32_e32 v75, s21
	v_cmp_gt_i32_e32 vcc, s38, v74
	s_waitcnt vmcnt(12)
	v_mad_i64_i32 v[76:77], s[10:11], v36, s9, 0
	v_or_b32_e32 v78, 64, v74
	v_or_b32_e32 v79, 0x80, v74
	;; [unrolled: 1-line block ×3, first 2 shown]
	v_ashrrev_i32_e32 v81, 4, v80
	s_add_u32 s4, s14, s4
	s_addc_u32 s5, s15, s5
	s_mov_b32 s40, 0xff7fffff
	s_waitcnt vmcnt(8) lgkmcnt(1)
	v_mfma_f32_16x16x16_bf16 v[62:65], v[30:31], v[6:7], 0
	v_mfma_f32_16x16x16_bf16 v[46:49], v[10:11], v[6:7], 0
	;; [unrolled: 1-line block ×4, first 2 shown]
	s_nop 4
	ds_read_b128 v[46:49], v87 offset:4096
	ds_read_b128 v[34:37], v87 offset:6144
	v_mfma_f32_16x16x16_bf16 v[14:17], v[16:17], v[8:9], v[54:57]
	s_nop 2
	v_ashrrev_i32_e32 v54, 4, v74
	v_mfma_f32_16x16x16_bf16 v[30:33], v[32:33], v[8:9], v[62:65]
	v_ashrrev_i32_e32 v74, 4, v79
	s_waitcnt vmcnt(7) lgkmcnt(2)
	v_mfma_f32_16x16x16_bf16 v[10:13], v[22:23], v[2:3], v[10:13]
	v_cndmask_b32_e32 v22, v75, v54, vcc
	global_load_dwordx4 v[54:57], v[42:43], off offset:3072
	v_ashrrev_i32_e32 v23, 31, v22
	global_load_dwordx4 v[42:45], v[44:45], off offset:3072
	v_ashrrev_i32_e32 v62, 4, v78
	s_waitcnt vmcnt(8)
	v_mfma_f32_16x16x16_bf16 v[14:17], v[18:19], v[2:3], v[14:17]
	v_lshl_add_u64 v[18:19], v[22:23], 2, s[6:7]
	v_cmp_gt_i32_e32 vcc, s38, v78
	v_lshl_add_u64 v[22:23], v[76:77], 1, v[40:41]
	s_waitcnt vmcnt(7)
	v_mfma_f32_16x16x16_bf16 v[30:33], v[26:27], v[2:3], v[30:33]
	global_load_dword v26, v[18:19], off
	v_cndmask_b32_e32 v18, v75, v62, vcc
	v_ashrrev_i32_e32 v19, 31, v18
	v_lshl_add_u64 v[22:23], v[22:23], 0, v[38:39]
	v_lshl_add_u64 v[18:19], v[18:19], 2, s[6:7]
	global_load_dwordx4 v[62:65], v[22:23], off
	global_load_dword v91, v[18:19], off
	v_mfma_f32_16x16x16_bf16 v[10:13], v[24:25], v[4:5], v[10:13]
	v_cmp_gt_i32_e32 vcc, s38, v79
	global_load_dwordx4 v[76:79], v[22:23], off offset:1024
	s_nop 0
	v_cndmask_b32_e32 v24, v75, v74, vcc
	v_ashrrev_i32_e32 v25, 31, v24
	v_lshl_add_u64 v[24:25], v[24:25], 2, s[6:7]
	s_waitcnt vmcnt(9) lgkmcnt(1)
	v_mfma_f32_16x16x16_bf16 v[10:13], v[50:51], v[46:47], v[10:13]
	global_load_dword v50, v[24:25], off
	v_cmp_gt_i32_e32 vcc, s38, v80
	v_mfma_f32_16x16x16_bf16 v[14:17], v[20:21], v[4:5], v[14:17]
	s_nop 0
	v_cndmask_b32_e32 v24, v75, v81, vcc
	global_load_dwordx4 v[80:83], v[22:23], off offset:2048
	v_ashrrev_i32_e32 v25, 31, v24
	s_waitcnt vmcnt(10)
	v_mfma_f32_16x16x16_bf16 v[14:17], v[58:59], v[46:47], v[14:17]
	v_lshl_add_u64 v[24:25], v[24:25], 2, s[6:7]
	global_load_dword v74, v[24:25], off
	v_mfma_f32_16x16x16_bf16 v[14:17], v[60:61], v[48:49], v[14:17]
	global_load_dwordx4 v[58:61], v[22:23], off offset:3072
	v_mfma_f32_16x16x16_bf16 v[18:21], v[28:29], v[4:5], v[30:33]
	s_waitcnt vmcnt(11)
	v_mfma_f32_16x16x16_bf16 v[18:21], v[66:67], v[46:47], v[18:21]
	v_or_b32_e32 v66, s27, v86
	v_ashrrev_i32_e32 v67, 31, v66
	v_lshl_add_u64 v[22:23], v[66:67], 2, s[16:17]
	global_load_dword v75, v[22:23], off
	v_mfma_f32_16x16x16_bf16 v[10:13], v[52:53], v[48:49], v[10:13]
	v_lshl_or_b32 v67, v88, 4, v86
	v_lshlrev_b32_e32 v38, 5, v67
	v_lshl_add_u64 v[40:41], s[4:5], 0, v[38:39]
	v_mfma_f32_16x16x16_bf16 v[18:21], v[68:69], v[48:49], v[18:21]
	v_or_b32_e32 v38, 0x800, v38
	s_waitcnt vmcnt(8)
	v_mad_i64_i32 v[22:23], s[6:7], v26, s9, 0
	s_waitcnt lgkmcnt(0)
	v_mfma_f32_16x16x16_bf16 v[10:13], v[70:71], v[34:35], v[10:13]
	v_lshlrev_b64 v[84:85], 1, v[22:23]
	v_mfma_f32_16x16x16_bf16 v[18:21], v[42:43], v[34:35], v[18:21]
	v_mfma_f32_16x16x16_bf16 v[68:71], v[72:73], v[36:37], v[10:13]
	s_nop 3
	v_lshl_add_u64 v[10:11], v[40:41], 0, v[84:85]
	global_load_dwordx4 v[30:33], v[10:11], off
	global_load_dwordx4 v[26:29], v[10:11], off offset:16
	s_waitcnt vmcnt(8)
	v_mad_i64_i32 v[10:11], s[6:7], v91, s9, 0
	v_lshlrev_b64 v[42:43], 1, v[10:11]
	v_lshl_add_u64 v[10:11], v[40:41], 0, v[42:43]
	v_mfma_f32_16x16x16_bf16 v[92:95], v[44:45], v[36:37], v[18:21]
	global_load_dwordx4 v[22:25], v[10:11], off
	s_nop 1
	global_load_dwordx4 v[18:21], v[10:11], off offset:16
	v_mfma_f32_16x16x16_bf16 v[10:13], v[62:63], v[6:7], 0
	s_waitcnt vmcnt(8)
	v_mad_i64_i32 v[6:7], s[6:7], v50, s9, 0
	v_lshlrev_b64 v[50:51], 1, v[6:7]
	v_mfma_f32_16x16x16_bf16 v[6:9], v[64:65], v[8:9], v[10:13]
	v_pk_mul_f32 v[72:73], s[8:9], v[94:95] op_sel_hi:[0,1]
	v_mfma_f32_16x16x16_bf16 v[6:9], v[76:77], v[2:3], v[6:9]
	s_waitcnt vmcnt(6)
	v_mad_i64_i32 v[2:3], s[6:7], v74, s9, 0
	v_lshlrev_b64 v[52:53], 1, v[2:3]
	v_mfma_f32_16x16x16_bf16 v[62:65], v[78:79], v[4:5], v[6:9]
	v_lshl_add_u64 v[10:11], v[40:41], 0, v[50:51]
	v_lshl_add_u64 v[2:3], v[40:41], 0, v[52:53]
	v_pk_mul_f32 v[76:77], s[8:9], v[92:93] op_sel_hi:[0,1]
	v_mfma_f32_16x16x16_bf16 v[44:47], v[80:81], v[46:47], v[62:65]
	v_mfma_f32_16x16x16_bf16 v[44:47], v[82:83], v[48:49], v[44:47]
	v_pk_mul_f32 v[82:83], s[8:9], v[70:71] op_sel_hi:[0,1]
	s_nop 0
	v_pk_mul_f32 v[62:63], s[8:9], v[68:69] op_sel_hi:[0,1]
	v_lshl_add_u64 v[64:65], s[4:5], 0, v[38:39]
	v_mfma_f32_16x16x16_bf16 v[14:17], v[54:55], v[34:35], v[14:17]
	v_lshl_add_u64 v[38:39], v[64:65], 0, v[84:85]
	v_lshl_add_u64 v[50:51], v[64:65], 0, v[50:51]
	s_waitcnt vmcnt(5)
	v_mfma_f32_16x16x16_bf16 v[44:47], v[58:59], v[34:35], v[44:47]
	v_mfma_f32_16x16x16_bf16 v[54:57], v[56:57], v[36:37], v[14:17]
	s_nop 2
	global_load_dwordx4 v[14:17], v[10:11], off
	s_nop 0
	global_load_dwordx4 v[10:13], v[10:11], off offset:16
	s_nop 0
	global_load_dwordx4 v[6:9], v[2:3], off
	s_nop 0
	global_load_dwordx4 v[2:5], v[2:3], off offset:16
	v_pk_mul_f32 v[78:79], s[8:9], v[56:57] op_sel_hi:[0,1]
	v_mfma_f32_16x16x16_bf16 v[34:37], v[60:61], v[36:37], v[44:47]
	v_pk_mul_f32 v[80:81], s[8:9], v[54:55] op_sel_hi:[0,1]
	s_nop 5
	v_pk_mul_f32 v[70:71], s[8:9], v[34:35] op_sel_hi:[0,1]
	v_and_b32_e32 v34, 0xc0, v0
	v_add_u32_e32 v34, s20, v34
	v_lshl_or_b32 v34, v1, 2, v34
	v_or_b32_e32 v35, 1, v34
	v_pk_mul_f32 v[68:69], s[8:9], v[36:37] op_sel_hi:[0,1]
	v_subrev_u32_e32 v36, s38, v35
	v_add_u32_e32 v40, 1, v36
	v_add_u32_e32 v41, 2, v36
	v_cvt_f32_i32_e32 v37, v36
	v_cvt_f32_i32_e32 v40, v40
	;; [unrolled: 1-line block ×3, first 2 shown]
	v_add_u32_e32 v44, 3, v36
	s_waitcnt vmcnt(8)
	v_fma_f32 v62, v75, v37, v62
	v_fmac_f32_e32 v63, v75, v40
	v_fma_f32 v74, v75, v41, v82
	v_add_u32_e32 v37, 16, v36
	v_add_u32_e32 v40, 17, v36
	;; [unrolled: 1-line block ×3, first 2 shown]
	v_cvt_f32_i32_e32 v44, v44
	v_cvt_f32_i32_e32 v37, v37
	v_cvt_f32_i32_e32 v40, v40
	v_cvt_f32_i32_e32 v41, v41
	v_fmac_f32_e32 v83, v75, v44
	v_add_u32_e32 v44, 19, v36
	v_fma_f32 v80, v75, v37, v80
	v_fmac_f32_e32 v81, v75, v40
	v_fma_f32 v78, v75, v41, v78
	v_add_u32_e32 v37, 32, v36
	v_add_u32_e32 v40, 33, v36
	;; [unrolled: 1-line block ×3, first 2 shown]
	v_cvt_f32_i32_e32 v44, v44
	v_cvt_f32_i32_e32 v37, v37
	;; [unrolled: 1-line block ×4, first 2 shown]
	v_fmac_f32_e32 v79, v75, v44
	v_add_u32_e32 v44, 35, v36
	v_fma_f32 v76, v75, v37, v76
	v_fmac_f32_e32 v77, v75, v40
	v_fma_f32 v72, v75, v41, v72
	v_add_u32_e32 v37, 48, v36
	v_add_u32_e32 v40, 49, v36
	v_add_u32_e32 v41, 50, v36
	v_add_u32_e32 v36, 51, v36
	v_cvt_f32_i32_e32 v36, v36
	v_cvt_f32_i32_e32 v37, v37
	;; [unrolled: 1-line block ×3, first 2 shown]
	v_cmp_gt_i32_e64 s[28:29], s38, v34
	v_fmac_f32_e32 v69, v75, v36
	v_mov_b32_e32 v36, 0xff7fffff
	v_cmp_gt_i32_e64 s[30:31], s38, v35
	v_fma_f32 v70, v75, v37, v70
	v_cndmask_b32_e64 v37, v36, v62, s[28:29]
	v_cndmask_b32_e64 v35, v36, v63, s[30:31]
	v_fmac_f32_e32 v71, v75, v40
	v_max3_f32 v35, v37, s40, v35
	v_or_b32_e32 v37, 2, v34
	v_or_b32_e32 v40, 3, v34
	v_cmp_gt_i32_e64 s[34:35], s38, v37
	v_cmp_gt_i32_e64 s[36:37], s38, v40
	v_cvt_f32_i32_e32 v44, v44
	v_cndmask_b32_e64 v37, v36, v74, s[34:35]
	v_cndmask_b32_e64 v40, v36, v83, s[36:37]
	v_max3_f32 v35, v35, v37, v40
	v_or_b32_e32 v37, 16, v34
	v_or_b32_e32 v40, 17, v34
	v_cmp_gt_i32_e64 s[22:23], s38, v37
	v_cmp_gt_i32_e64 s[24:25], s38, v40
	v_fmac_f32_e32 v73, v75, v44
	v_cndmask_b32_e64 v37, v36, v80, s[22:23]
	v_cndmask_b32_e64 v40, v36, v81, s[24:25]
	v_max3_f32 v35, v35, v37, v40
	v_or_b32_e32 v37, 18, v34
	v_or_b32_e32 v40, 19, v34
	v_cmp_gt_i32_e64 s[18:19], s38, v37
	v_cmp_gt_i32_e64 s[20:21], s38, v40
	v_cvt_f32_i32_e32 v41, v41
	v_cndmask_b32_e64 v37, v36, v78, s[18:19]
	v_cndmask_b32_e64 v40, v36, v79, s[20:21]
	v_max3_f32 v35, v35, v37, v40
	v_or_b32_e32 v37, 32, v34
	v_or_b32_e32 v40, 33, v34
	v_cmp_gt_i32_e64 s[14:15], s38, v37
	v_cmp_gt_i32_e64 s[16:17], s38, v40
	v_fma_f32 v68, v75, v41, v68
	v_cndmask_b32_e64 v37, v36, v76, s[14:15]
	v_cndmask_b32_e64 v40, v36, v77, s[16:17]
	v_max3_f32 v35, v35, v37, v40
	v_or_b32_e32 v37, 34, v34
	v_or_b32_e32 v40, 35, v34
	v_cmp_gt_i32_e64 s[10:11], s38, v37
	v_cmp_gt_i32_e64 s[12:13], s38, v40
	s_nop 0
	v_cndmask_b32_e64 v37, v36, v72, s[10:11]
	v_cndmask_b32_e64 v40, v36, v73, s[12:13]
	v_max3_f32 v35, v35, v37, v40
	v_or_b32_e32 v37, 48, v34
	v_or_b32_e32 v40, 49, v34
	v_cmp_gt_i32_e64 s[6:7], s38, v37
	v_cmp_gt_i32_e64 s[8:9], s38, v40
	s_nop 0
	v_cndmask_b32_e64 v37, v36, v70, s[6:7]
	v_cndmask_b32_e64 v40, v36, v71, s[8:9]
	v_max3_f32 v35, v35, v37, v40
	v_or_b32_e32 v37, 50, v34
	v_or_b32_e32 v34, 51, v34
	v_cmp_gt_i32_e32 vcc, s38, v37
	v_cmp_gt_i32_e64 s[4:5], s38, v34
	global_load_dwordx4 v[46:49], v[38:39], off
	s_nop 0
	global_load_dwordx4 v[38:41], v[38:39], off offset:16
	v_cndmask_b32_e32 v37, v36, v68, vcc
	v_cndmask_b32_e64 v34, v36, v69, s[4:5]
	v_max3_f32 v54, v35, v37, v34
	v_mbcnt_lo_u32_b32 v34, -1, 0
	v_mbcnt_hi_u32_b32 v55, -1, v34
	v_and_b32_e32 v34, 64, v55
	v_add_u32_e32 v56, 64, v34
	v_xor_b32_e32 v34, 32, v55
	v_cmp_lt_i32_e64 s[38:39], v34, v56
	s_nop 1
	v_cndmask_b32_e64 v34, v55, v34, s[38:39]
	v_lshlrev_b32_e32 v75, 2, v34
	ds_bpermute_b32 v57, v75, v54
	v_lshl_add_u64 v[34:35], v[64:65], 0, v[42:43]
	global_load_dwordx4 v[42:45], v[34:35], off
	s_nop 0
	global_load_dwordx4 v[34:37], v[34:35], off offset:16
	s_waitcnt lgkmcnt(0)
	v_max_f32_e32 v57, v57, v57
	v_max_f32_e32 v82, v54, v57
	v_xor_b32_e32 v54, 16, v55
	v_cmp_lt_i32_e64 s[38:39], v54, v56
	s_nop 1
	v_cndmask_b32_e64 v54, v55, v54, s[38:39]
	v_lshlrev_b32_e32 v93, 2, v54
	ds_bpermute_b32 v84, v93, v82
	global_load_dwordx4 v[58:61], v[50:51], off
	global_load_dwordx4 v[54:57], v[50:51], off offset:16
	v_lshl_add_u64 v[50:51], v[64:65], 0, v[52:53]
	s_waitcnt lgkmcnt(0)
	v_max_f32_e32 v52, v84, v84
	v_max_f32_e32 v91, v82, v52
	v_sub_f32_e32 v52, v62, v91
	v_mul_f32_e32 v52, 0x3fb8aa3b, v52
	v_exp_f32_e32 v82, v52
	v_sub_f32_e32 v52, v63, v91
	v_mul_f32_e32 v52, 0x3fb8aa3b, v52
	v_exp_f32_e32 v85, v52
	global_load_dwordx4 v[62:65], v[50:51], off
	s_nop 0
	global_load_dwordx4 v[50:53], v[50:51], off offset:16
	v_sub_f32_e32 v74, v74, v91
	v_mul_f32_e32 v74, 0x3fb8aa3b, v74
	v_sub_f32_e32 v83, v83, v91
	v_exp_f32_e32 v74, v74
	v_mul_f32_e32 v83, 0x3fb8aa3b, v83
	v_sub_f32_e32 v80, v80, v91
	v_exp_f32_e32 v83, v83
	v_mul_f32_e32 v80, 0x3fb8aa3b, v80
	v_sub_f32_e32 v81, v81, v91
	v_cndmask_b32_e64 v84, 0, v82, s[28:29]
	v_exp_f32_e32 v80, v80
	v_mul_f32_e32 v81, 0x3fb8aa3b, v81
	v_sub_f32_e32 v78, v78, v91
	v_add_f32_e32 v82, 0, v84
	v_cndmask_b32_e64 v85, 0, v85, s[30:31]
	v_exp_f32_e32 v81, v81
	v_mul_f32_e32 v78, 0x3fb8aa3b, v78
	v_sub_f32_e32 v79, v79, v91
	v_add_f32_e32 v92, v82, v85
	;; [unrolled: 5-line block ×10, first 2 shown]
	v_cndmask_b32_e64 v72, 0, v72, s[10:11]
	v_exp_f32_e32 v68, v68
	v_mul_f32_e32 v69, 0x3fb8aa3b, v69
	v_add_f32_e32 v74, v74, v72
	v_cndmask_b32_e64 v73, 0, v73, s[12:13]
	v_exp_f32_e32 v69, v69
	v_add_f32_e32 v74, v74, v73
	v_cndmask_b32_e64 v70, 0, v70, s[6:7]
	v_add_f32_e32 v74, v74, v70
	v_cndmask_b32_e64 v71, 0, v71, s[8:9]
	v_add_f32_e32 v74, v74, v71
	v_cndmask_b32_e32 v68, 0, v68, vcc
	v_add_f32_e32 v74, v74, v68
	v_cndmask_b32_e64 v69, 0, v69, s[4:5]
	v_add_f32_e32 v74, v74, v69
	ds_bpermute_b32 v75, v75, v74
	v_cmp_gt_u32_e32 vcc, 16, v89
	s_waitcnt lgkmcnt(0)
	s_barrier
	v_add_f32_e32 v92, v74, v75
	ds_bpermute_b32 v93, v93, v92
	s_and_saveexec_b64 s[4:5], vcc
	s_cbranch_execz .LBB647_13
; %bb.12:
	s_waitcnt lgkmcnt(0)
	v_add_f32_e32 v74, v92, v93
	v_lshlrev_b32_e32 v67, 2, v67
	ds_write2st64_b32 v67, v91, v74 offset1:1
.LBB647_13:
	s_or_b64 exec, exec, s[4:5]
	v_lshlrev_b32_e32 v67, 2, v86
	s_load_dword s6, s[0:1], 0x94
	s_waitcnt lgkmcnt(0)
	s_barrier
	ds_read2_b32 v[92:93], v67 offset1:16
	ds_read2_b32 v[94:95], v67 offset0:32 offset1:48
	s_movk_i32 s8, 0x7fff
	s_mov_b32 s9, 0x7060302
	s_lshl_b32 s7, s33, 4
	s_waitcnt lgkmcnt(1)
	v_max3_f32 v74, v92, s40, v93
	s_waitcnt lgkmcnt(0)
	v_max3_f32 v89, v74, v94, v95
	v_sub_f32_e32 v74, v92, v89
	v_mul_f32_e32 v74, 0x3fb8aa3b, v74
	v_sub_f32_e32 v91, v93, v89
	v_exp_f32_e32 v1, v74
	ds_read2_b32 v[74:75], v67 offset0:64 offset1:80
	v_mul_f32_e32 v91, 0x3fb8aa3b, v91
	v_exp_f32_e32 v90, v91
	v_sub_f32_e32 v91, v94, v89
	v_mul_f32_e32 v91, 0x3fb8aa3b, v91
	ds_read2_b32 v[92:93], v67 offset0:96 offset1:112
	v_sub_f32_e32 v67, v95, v89
	v_exp_f32_e32 v94, v91
	v_mul_f32_e32 v67, 0x3fb8aa3b, v67
	v_exp_f32_e32 v67, v67
	s_waitcnt lgkmcnt(1)
	v_fma_f32 v91, v1, v74, 0
	v_fmac_f32_e32 v91, v90, v75
	s_waitcnt lgkmcnt(0)
	v_fmac_f32_e32 v91, v94, v92
	v_fmac_f32_e32 v91, v67, v93
	v_add_f32_e32 v74, 0x358637bd, v91
	v_div_scale_f32 v75, s[4:5], v74, v74, 1.0
	v_rcp_f32_e32 v92, v75
	s_barrier
	v_fma_f32 v93, -v75, v92, 1.0
	v_fmac_f32_e32 v92, v93, v92
	v_div_scale_f32 v93, vcc, 1.0, v74, 1.0
	v_mul_f32_e32 v95, v93, v92
	v_fma_f32 v86, -v75, v95, v93
	v_fmac_f32_e32 v95, v86, v92
	v_fma_f32 v75, -v75, v95, v93
	v_div_fmas_f32 v75, v75, v92, v95
	v_cmp_eq_u32_e32 vcc, 1, v88
	v_div_fixup_f32 v74, v75, v74, 1.0
	s_nop 0
	v_cndmask_b32_e32 v1, v1, v90, vcc
	v_cmp_eq_u32_e32 vcc, 2, v88
	s_nop 1
	v_cndmask_b32_e32 v1, v1, v94, vcc
	v_cmp_eq_u32_e32 vcc, 3, v88
	s_nop 1
	v_cndmask_b32_e32 v1, v1, v67, vcc
	v_mul_f32_e32 v74, v1, v74
	v_pk_mul_f32 v[84:85], v[74:75], v[84:85] op_sel_hi:[0,1]
	v_bfe_u32 v1, v85, 16, 1
	v_bfe_u32 v67, v84, 16, 1
	v_pk_mul_f32 v[82:83], v[74:75], v[82:83] op_sel_hi:[0,1]
	v_add3_u32 v67, v84, v67, s8
	v_add3_u32 v1, v85, v1, s8
	v_perm_b32 v84, v1, v67, s9
	v_bfe_u32 v67, v82, 16, 1
	v_add3_u32 v67, v82, v67, s8
	scratch_load_dword v82, off, off offset:8 ; 4-byte Folded Reload
	v_bfe_u32 v1, v83, 16, 1
	v_add3_u32 v1, v83, v1, s8
	v_bfe_u32 v75, v0, 4, 2
	v_perm_b32 v85, v1, v67, s9
	v_lshlrev_b32_e32 v1, 3, v75
	v_lshlrev_b32_e32 v67, 11, v88
	v_pk_mul_f32 v[80:81], v[74:75], v[80:81] op_sel_hi:[0,1]
	v_pk_mul_f32 v[78:79], v[74:75], v[78:79] op_sel_hi:[0,1]
	;; [unrolled: 1-line block ×6, first 2 shown]
	v_cmp_gt_u32_e32 vcc, 16, v0
	s_waitcnt vmcnt(0)
	v_or3_b32 v82, v67, v82, v1
	v_bfe_u32 v1, v81, 16, 1
	v_bfe_u32 v67, v80, 16, 1
	v_add3_u32 v67, v80, v67, s8
	v_add3_u32 v1, v81, v1, s8
	v_perm_b32 v80, v1, v67, s9
	v_bfe_u32 v1, v79, 16, 1
	v_bfe_u32 v67, v78, 16, 1
	v_add3_u32 v67, v78, v67, s8
	v_add3_u32 v1, v79, v1, s8
	v_perm_b32 v81, v1, v67, s9
	;; [unrolled: 5-line block ×6, first 2 shown]
	ds_write2st64_b64 v82, v[84:85], v[80:81] offset1:1
	ds_write2st64_b64 v82, v[76:77], v[70:71] offset0:2 offset1:3
	s_and_saveexec_b64 s[4:5], vcc
	s_cbranch_execz .LBB647_15
; %bb.14:
	v_mov_b32_e32 v67, 0
	v_mov_b32_e32 v1, s7
	v_mad_u64_u32 v[68:69], s[10:11], s2, v1, v[66:67]
	v_mov_b32_e32 v66, s26
	s_load_dwordx4 s[12:15], s[0:1], 0x58
	s_mul_i32 s3, s3, s7
	v_mad_u64_u32 v[66:67], s[10:11], v68, s6, v[66:67]
	v_add_u32_e32 v1, s3, v69
	v_mov_b32_e32 v68, v67
	v_mad_u64_u32 v[68:69], s[10:11], v1, s6, v[68:69]
	v_mov_b32_e32 v67, v68
	v_lshlrev_b64 v[66:67], 2, v[66:67]
	s_waitcnt lgkmcnt(0)
	v_lshl_add_u64 v[68:69], s[14:15], 0, v[66:67]
	v_lshl_add_u64 v[66:67], s[12:13], 0, v[66:67]
	global_store_dword v[68:69], v89, off
	global_store_dword v[66:67], v91, off
.LBB647_15:
	s_or_b64 exec, exec, s[4:5]
	s_waitcnt lgkmcnt(0)
	s_barrier
	ds_read_b128 v[70:73], v87
	ds_read_b128 v[66:69], v87 offset:16
	s_waitcnt lgkmcnt(1)
	v_mfma_f32_16x16x16_bf16 v[76:79], v[30:31], v[70:71], 0
	s_mov_b32 s3, 0
	v_cmp_gt_u32_e32 vcc, 64, v0
	v_mfma_f32_16x16x16_bf16 v[30:33], v[32:33], v[72:73], v[76:79]
	s_waitcnt lgkmcnt(0)
	v_mfma_f32_16x16x16_bf16 v[30:33], v[26:27], v[66:67], v[30:33]
	v_mfma_f32_16x16x16_bf16 v[26:29], v[28:29], v[68:69], v[30:33]
	s_nop 5
	ds_read_b128 v[30:33], v87 offset:2048
	ds_read_b128 v[76:79], v87 offset:2064
	s_waitcnt lgkmcnt(1)
	v_mfma_f32_16x16x16_bf16 v[26:29], v[22:23], v[30:31], v[26:29]
	v_mfma_f32_16x16x16_bf16 v[22:25], v[24:25], v[32:33], v[26:29]
	s_waitcnt lgkmcnt(0)
	v_mfma_f32_16x16x16_bf16 v[22:25], v[18:19], v[76:77], v[22:25]
	v_mfma_f32_16x16x16_bf16 v[18:21], v[20:21], v[78:79], v[22:25]
	s_nop 5
	ds_read_b128 v[22:25], v87 offset:4096
	ds_read_b128 v[26:29], v87 offset:4112
	s_waitcnt lgkmcnt(1)
	v_mfma_f32_16x16x16_bf16 v[18:21], v[14:15], v[22:23], v[18:21]
	v_mfma_f32_16x16x16_bf16 v[14:17], v[16:17], v[24:25], v[18:21]
	s_waitcnt lgkmcnt(0)
	v_mfma_f32_16x16x16_bf16 v[14:17], v[10:11], v[26:27], v[14:17]
	v_mfma_f32_16x16x16_bf16 v[10:13], v[12:13], v[28:29], v[14:17]
	s_nop 5
	ds_read_b128 v[14:17], v87 offset:6144
	ds_read_b128 v[18:21], v87 offset:6160
	s_waitcnt lgkmcnt(0)
	s_barrier
	v_mfma_f32_16x16x16_bf16 v[10:13], v[6:7], v[14:15], v[10:13]
	v_mfma_f32_16x16x16_bf16 v[6:9], v[8:9], v[16:17], v[10:13]
	;; [unrolled: 1-line block ×6, first 2 shown]
	s_nop 4
	v_bfe_u32 v1, v3, 16, 1
	v_bfe_u32 v10, v2, 16, 1
	v_add3_u32 v2, v2, v10, s8
	v_mfma_f32_16x16x16_bf16 v[6:9], v[38:39], v[66:67], v[6:9]
	v_add3_u32 v1, v3, v1, s8
	v_perm_b32 v10, v1, v2, s9
	v_bfe_u32 v1, v5, 16, 1
	v_mfma_f32_16x16x16_bf16 v[6:9], v[40:41], v[68:69], v[6:9]
	v_bfe_u32 v2, v4, 16, 1
	v_add3_u32 v2, v4, v2, s8
	v_add3_u32 v1, v5, v1, s8
	v_mfma_f32_16x16x16_bf16 v[6:9], v[42:43], v[30:31], v[6:9]
	v_perm_b32 v11, v1, v2, s9
	v_mfma_f32_16x16x16_bf16 v[6:9], v[44:45], v[32:33], v[6:9]
	v_mfma_f32_16x16x16_bf16 v[6:9], v[34:35], v[76:77], v[6:9]
	;; [unrolled: 1-line block ×11, first 2 shown]
	s_nop 6
	v_bfe_u32 v1, v3, 16, 1
	v_bfe_u32 v6, v2, 16, 1
	v_add3_u32 v2, v2, v6, s8
	v_add3_u32 v1, v3, v1, s8
	v_perm_b32 v2, v1, v2, s9
	v_bfe_u32 v1, v5, 16, 1
	v_bfe_u32 v3, v4, 16, 1
	v_add3_u32 v3, v4, v3, s8
	v_add3_u32 v1, v5, v1, s8
	v_perm_b32 v3, v1, v3, s9
	ds_write2st64_b64 v82, v[10:11], v[2:3] offset1:1
	s_waitcnt lgkmcnt(0)
	s_barrier
	s_and_saveexec_b64 s[4:5], vcc
	s_cbranch_execz .LBB647_17
; %bb.16:
	v_and_b32_e32 v3, 15, v0
	v_lshlrev_b32_e32 v3, 6, v3
	v_lshlrev_b32_e32 v2, 4, v0
	v_lshl_or_b32 v0, v0, 10, v3
	v_lshlrev_b32_e32 v1, 5, v75
	v_and_b32_e32 v2, 16, v2
	v_and_b32_e32 v0, 0x1a00, v0
	v_or3_b32 v0, v0, v1, v2
	ds_read_b128 v[2:5], v0
	ds_read_b128 v[6:9], v0 offset:128
	ds_read_b128 v[10:13], v0 offset:256
	;; [unrolled: 1-line block ×3, first 2 shown]
	scratch_load_dwordx2 v[0:1], off, off   ; 8-byte Folded Reload
	s_load_dwordx2 s[0:1], s[0:1], 0x68
	s_lshl_b32 s6, s6, 7
	s_mul_i32 s2, s7, s2
	s_mul_hi_u32 s5, s2, s6
	s_mul_i32 s4, s2, s6
	s_lshl_b64 s[4:5], s[4:5], 1
	s_waitcnt lgkmcnt(0)
	s_add_u32 s4, s0, s4
	s_addc_u32 s5, s1, s5
	s_lshl_b32 s2, s26, 7
	s_lshl_b64 s[0:1], s[2:3], 1
	s_add_u32 s0, s4, s0
	s_addc_u32 s1, s5, s1
	s_waitcnt vmcnt(0)
	v_mov_b32_e32 v1, 0
	v_or_b32_e32 v20, s27, v75
	v_lshl_add_u64 v[18:19], s[0:1], 0, v[0:1]
	v_mad_u64_u32 v[0:1], s[0:1], v20, s6, 0
	v_lshl_add_u64 v[0:1], v[0:1], 1, v[18:19]
	global_store_dwordx4 v[0:1], v[2:5], off
	v_or_b32_e32 v0, 4, v20
	v_mad_u64_u32 v[0:1], s[0:1], v0, s6, 0
	v_lshl_add_u64 v[0:1], v[0:1], 1, v[18:19]
	global_store_dwordx4 v[0:1], v[6:9], off
	v_or_b32_e32 v0, 8, v20
	;; [unrolled: 4-line block ×3, first 2 shown]
	v_mad_u64_u32 v[0:1], s[0:1], v0, s6, 0
	v_lshl_add_u64 v[0:1], v[0:1], 1, v[18:19]
	global_store_dwordx4 v[0:1], v[14:17], off
.LBB647_17:
	s_endpgm
	.section	.rodata,"a",@progbits
	.p2align	6, 0x0
	.amdhsa_kernel _Z39paged_attention_ll4mi_QKV_mfma16_kernelI14__hip_bfloat16S0_LN4vllm18Fp8KVCacheDataTypeE0ES0_Li16ELi128ELi256ELb1ELi16EEvPKT_PKT0_S8_ifPKiSA_SA_iPKfiiiPfSD_PS3_PT2_iSC_SC_
		.amdhsa_group_segment_fixed_size 8192
		.amdhsa_private_segment_fixed_size 16
		.amdhsa_kernarg_size 400
		.amdhsa_user_sgpr_count 2
		.amdhsa_user_sgpr_dispatch_ptr 0
		.amdhsa_user_sgpr_queue_ptr 0
		.amdhsa_user_sgpr_kernarg_segment_ptr 1
		.amdhsa_user_sgpr_dispatch_id 0
		.amdhsa_user_sgpr_kernarg_preload_length 0
		.amdhsa_user_sgpr_kernarg_preload_offset 0
		.amdhsa_user_sgpr_private_segment_size 0
		.amdhsa_uses_dynamic_stack 0
		.amdhsa_enable_private_segment 1
		.amdhsa_system_sgpr_workgroup_id_x 1
		.amdhsa_system_sgpr_workgroup_id_y 1
		.amdhsa_system_sgpr_workgroup_id_z 1
		.amdhsa_system_sgpr_workgroup_info 0
		.amdhsa_system_vgpr_workitem_id 0
		.amdhsa_next_free_vgpr 96
		.amdhsa_next_free_sgpr 41
		.amdhsa_accum_offset 96
		.amdhsa_reserve_vcc 1
		.amdhsa_float_round_mode_32 0
		.amdhsa_float_round_mode_16_64 0
		.amdhsa_float_denorm_mode_32 3
		.amdhsa_float_denorm_mode_16_64 3
		.amdhsa_dx10_clamp 1
		.amdhsa_ieee_mode 1
		.amdhsa_fp16_overflow 0
		.amdhsa_tg_split 0
		.amdhsa_exception_fp_ieee_invalid_op 0
		.amdhsa_exception_fp_denorm_src 0
		.amdhsa_exception_fp_ieee_div_zero 0
		.amdhsa_exception_fp_ieee_overflow 0
		.amdhsa_exception_fp_ieee_underflow 0
		.amdhsa_exception_fp_ieee_inexact 0
		.amdhsa_exception_int_div_zero 0
	.end_amdhsa_kernel
	.section	.text._Z39paged_attention_ll4mi_QKV_mfma16_kernelI14__hip_bfloat16S0_LN4vllm18Fp8KVCacheDataTypeE0ES0_Li16ELi128ELi256ELb1ELi16EEvPKT_PKT0_S8_ifPKiSA_SA_iPKfiiiPfSD_PS3_PT2_iSC_SC_,"axG",@progbits,_Z39paged_attention_ll4mi_QKV_mfma16_kernelI14__hip_bfloat16S0_LN4vllm18Fp8KVCacheDataTypeE0ES0_Li16ELi128ELi256ELb1ELi16EEvPKT_PKT0_S8_ifPKiSA_SA_iPKfiiiPfSD_PS3_PT2_iSC_SC_,comdat
.Lfunc_end647:
	.size	_Z39paged_attention_ll4mi_QKV_mfma16_kernelI14__hip_bfloat16S0_LN4vllm18Fp8KVCacheDataTypeE0ES0_Li16ELi128ELi256ELb1ELi16EEvPKT_PKT0_S8_ifPKiSA_SA_iPKfiiiPfSD_PS3_PT2_iSC_SC_, .Lfunc_end647-_Z39paged_attention_ll4mi_QKV_mfma16_kernelI14__hip_bfloat16S0_LN4vllm18Fp8KVCacheDataTypeE0ES0_Li16ELi128ELi256ELb1ELi16EEvPKT_PKT0_S8_ifPKiSA_SA_iPKfiiiPfSD_PS3_PT2_iSC_SC_
                                        ; -- End function
	.section	.AMDGPU.csdata,"",@progbits
; Kernel info:
; codeLenInByte = 4984
; NumSgprs: 47
; NumVgprs: 96
; NumAgprs: 0
; TotalNumVgprs: 96
; ScratchSize: 16
; MemoryBound: 0
; FloatMode: 240
; IeeeMode: 1
; LDSByteSize: 8192 bytes/workgroup (compile time only)
; SGPRBlocks: 5
; VGPRBlocks: 11
; NumSGPRsForWavesPerEU: 47
; NumVGPRsForWavesPerEU: 96
; AccumOffset: 96
; Occupancy: 5
; WaveLimiterHint : 1
; COMPUTE_PGM_RSRC2:SCRATCH_EN: 1
; COMPUTE_PGM_RSRC2:USER_SGPR: 2
; COMPUTE_PGM_RSRC2:TRAP_HANDLER: 0
; COMPUTE_PGM_RSRC2:TGID_X_EN: 1
; COMPUTE_PGM_RSRC2:TGID_Y_EN: 1
; COMPUTE_PGM_RSRC2:TGID_Z_EN: 1
; COMPUTE_PGM_RSRC2:TIDIG_COMP_CNT: 0
; COMPUTE_PGM_RSRC3_GFX90A:ACCUM_OFFSET: 23
; COMPUTE_PGM_RSRC3_GFX90A:TG_SPLIT: 0
	.section	.text._Z35paged_attention_ll4mi_reduce_kernelI14__hip_bfloat16S0_Li128ELi128ELi256ELi1EEvPT0_PKfS4_PKT_PKiS9_iS4_,"axG",@progbits,_Z35paged_attention_ll4mi_reduce_kernelI14__hip_bfloat16S0_Li128ELi128ELi256ELi1EEvPT0_PKfS4_PKT_PKiS9_iS4_,comdat
	.protected	_Z35paged_attention_ll4mi_reduce_kernelI14__hip_bfloat16S0_Li128ELi128ELi256ELi1EEvPT0_PKfS4_PKT_PKiS9_iS4_ ; -- Begin function _Z35paged_attention_ll4mi_reduce_kernelI14__hip_bfloat16S0_Li128ELi128ELi256ELi1EEvPT0_PKfS4_PKT_PKiS9_iS4_
	.globl	_Z35paged_attention_ll4mi_reduce_kernelI14__hip_bfloat16S0_Li128ELi128ELi256ELi1EEvPT0_PKfS4_PKT_PKiS9_iS4_
	.p2align	8
	.type	_Z35paged_attention_ll4mi_reduce_kernelI14__hip_bfloat16S0_Li128ELi128ELi256ELi1EEvPT0_PKfS4_PKT_PKiS9_iS4_,@function
_Z35paged_attention_ll4mi_reduce_kernelI14__hip_bfloat16S0_Li128ELi128ELi256ELi1EEvPT0_PKfS4_PKT_PKiS9_iS4_: ; @_Z35paged_attention_ll4mi_reduce_kernelI14__hip_bfloat16S0_Li128ELi128ELi256ELi1EEvPT0_PKfS4_PKT_PKiS9_iS4_
; %bb.0:
	s_load_dwordx2 s[14:15], s[0:1], 0x28
	s_mov_b32 s12, s3
	s_mov_b64 s[4:5], 0
	s_waitcnt lgkmcnt(0)
	s_cmp_lg_u64 s[14:15], 0
	s_cselect_b64 s[16:17], -1, 0
	s_and_b64 vcc, exec, s[16:17]
	s_cbranch_vccz .LBB648_23
; %bb.1:
	s_add_i32 s6, s12, 1
	s_mov_b32 s7, 0
	s_lshl_b64 s[8:9], s[6:7], 2
	s_add_u32 s8, s14, s8
	s_mov_b32 s13, s7
	s_addc_u32 s9, s15, s9
	s_lshl_b64 s[6:7], s[12:13], 2
	s_add_u32 s6, s14, s6
	s_addc_u32 s7, s15, s7
	s_load_dword s3, s[8:9], 0x0
	s_load_dword s10, s[6:7], 0x0
	s_waitcnt lgkmcnt(0)
	s_sub_i32 s3, s3, s10
	s_cmp_eq_u32 s3, 1
	s_cselect_b64 s[6:7], -1, 0
	s_andn2_b64 vcc, exec, s[4:5]
	s_cbranch_vccnz .LBB648_3
.LBB648_2:
	s_mov_b32 s13, 0
	s_mov_b64 s[6:7], -1
.LBB648_3:
	s_andn2_b64 vcc, exec, s[6:7]
	s_cbranch_vccz .LBB648_5
; %bb.4:
	s_endpgm
.LBB648_5:
	s_load_dwordx4 s[8:11], s[0:1], 0x18
	s_load_dword s20, s[0:1], 0x30
	s_lshl_b64 s[18:19], s[12:13], 2
	v_cmp_lt_u32_e32 vcc, 63, v0
	s_waitcnt lgkmcnt(0)
	s_add_u32 s4, s10, s18
	s_addc_u32 s5, s11, s19
	s_load_dword s24, s[4:5], 0x0
	s_load_dword s3, s[0:1], 0x40
	s_mul_i32 s10, s2, s20
	s_mul_i32 s6, s12, s20
	s_waitcnt lgkmcnt(0)
	s_add_i32 s7, s24, 0xff
	s_ashr_i32 s4, s7, 31
	s_lshr_b32 s4, s4, 24
	s_add_i32 s7, s7, s4
	s_and_saveexec_b64 s[4:5], vcc
	s_xor_b64 s[4:5], exec, s[4:5]
	s_or_saveexec_b64 s[20:21], s[4:5]
	s_ashr_i32 s25, s7, 8
	v_mov_b32_e32 v1, s10
	s_mul_i32 s22, s6, s3
	s_xor_b64 exec, exec, s[20:21]
	s_cbranch_execz .LBB648_9
; %bb.6:
	s_load_dwordx4 s[4:7], s[0:1], 0x8
	s_mov_b32 s23, 0
	s_lshl_b64 s[26:27], s[22:23], 2
	s_mov_b32 s11, s23
	v_cmp_gt_u32_e32 vcc, s25, v0
	s_waitcnt lgkmcnt(0)
	s_add_u32 s23, s6, s26
	s_addc_u32 s29, s7, s27
	s_lshl_b64 s[6:7], s[10:11], 2
	s_add_u32 s28, s23, s6
	s_addc_u32 s29, s29, s7
	s_add_i32 s11, s25, -1
	v_mov_b32_e32 v1, s11
	v_cndmask_b32_e32 v2, v1, v0, vcc
	v_ashrrev_i32_e32 v3, 31, v2
	v_lshlrev_b64 v[2:3], 2, v[2:3]
	v_lshl_add_u64 v[4:5], s[28:29], 0, v[2:3]
	global_load_dword v1, v[4:5], off
	s_add_u32 s4, s4, s26
	s_addc_u32 s5, s5, s27
	s_add_u32 s4, s4, s6
	s_addc_u32 s5, s5, s7
	v_lshl_add_u64 v[2:3], s[4:5], 0, v[2:3]
	global_load_dword v2, v[2:3], off
	v_mbcnt_lo_u32_b32 v3, -1, 0
	v_mbcnt_hi_u32_b32 v3, -1, v3
	v_and_b32_e32 v4, 64, v3
	v_xor_b32_e32 v5, 32, v3
	v_add_u32_e32 v4, 64, v4
	v_cmp_lt_i32_e64 s[4:5], v5, v4
	v_xor_b32_e32 v6, 16, v3
	v_xor_b32_e32 v9, 8, v3
	v_cndmask_b32_e64 v5, v3, v5, s[4:5]
	v_lshlrev_b32_e32 v5, 2, v5
	v_cmp_lt_i32_e64 s[4:5], v6, v4
	v_xor_b32_e32 v10, 4, v3
	v_xor_b32_e32 v11, 2, v3
	v_cndmask_b32_e64 v6, v3, v6, s[4:5]
	v_lshlrev_b32_e32 v6, 2, v6
	v_cmp_lt_i32_e64 s[4:5], v9, v4
	v_xor_b32_e32 v12, 1, v3
	s_mov_b32 s6, 0x42b17218
	v_cndmask_b32_e64 v9, v3, v9, s[4:5]
	v_lshlrev_b32_e32 v9, 2, v9
	v_cmp_lt_i32_e64 s[4:5], v10, v4
	s_waitcnt vmcnt(1)
	ds_bpermute_b32 v7, v5, v1
	v_max_f32_e32 v8, v1, v1
	v_cndmask_b32_e64 v10, v3, v10, s[4:5]
	v_lshlrev_b32_e32 v10, 2, v10
	v_cmp_lt_i32_e64 s[4:5], v11, v4
	s_waitcnt lgkmcnt(0)
	v_max_f32_e32 v7, v7, v7
	v_max_f32_e32 v7, v8, v7
	ds_bpermute_b32 v8, v6, v7
	v_cndmask_b32_e64 v11, v3, v11, s[4:5]
	v_lshlrev_b32_e32 v11, 2, v11
	v_cmp_lt_i32_e64 s[4:5], v12, v4
	s_waitcnt lgkmcnt(0)
	v_max_f32_e32 v8, v8, v8
	v_max_f32_e32 v7, v7, v8
	ds_bpermute_b32 v8, v9, v7
	v_cndmask_b32_e64 v3, v3, v12, s[4:5]
	v_lshlrev_b32_e32 v3, 2, v3
	s_mov_b32 s4, 0x3fb8aa3b
	s_waitcnt lgkmcnt(0)
	v_max_f32_e32 v8, v8, v8
	v_max_f32_e32 v7, v7, v8
	ds_bpermute_b32 v8, v10, v7
	s_waitcnt lgkmcnt(0)
	v_max_f32_e32 v8, v8, v8
	v_max_f32_e32 v7, v7, v8
	ds_bpermute_b32 v8, v11, v7
	;; [unrolled: 4-line block ×3, first 2 shown]
	s_waitcnt lgkmcnt(0)
	v_max_f32_e32 v7, v7, v7
	v_max_f32_e32 v4, v4, v7
	v_sub_f32_e32 v1, v1, v4
	v_mul_f32_e32 v4, 0x3fb8aa3b, v1
	v_fma_f32 v7, v1, s4, -v4
	v_rndne_f32_e32 v8, v4
	v_fmamk_f32 v7, v1, 0x32a5705f, v7
	v_sub_f32_e32 v4, v4, v8
	v_add_f32_e32 v4, v4, v7
	v_cvt_i32_f32_e32 v8, v8
	v_exp_f32_e32 v4, v4
	s_mov_b32 s4, 0xc2ce8ed0
	v_cmp_ngt_f32_e64 s[4:5], s4, v1
	v_mov_b32_e32 v7, 0x7f800000
	v_ldexp_f32 v4, v4, v8
	v_cndmask_b32_e64 v4, 0, v4, s[4:5]
	v_cmp_nlt_f32_e64 s[4:5], s6, v1
	s_nop 1
	v_cndmask_b32_e64 v1, v7, v4, s[4:5]
	v_cndmask_b32_e32 v1, 0, v1, vcc
	s_waitcnt vmcnt(0)
	v_mul_f32_e32 v4, v1, v2
	ds_bpermute_b32 v1, v5, v4
	v_cmp_eq_u32_e32 vcc, 0, v0
	s_waitcnt lgkmcnt(0)
	v_add_f32_e32 v1, v4, v1
	ds_bpermute_b32 v2, v6, v1
	s_waitcnt lgkmcnt(0)
	v_add_f32_e32 v1, v1, v2
	ds_bpermute_b32 v2, v9, v1
	s_waitcnt lgkmcnt(0)
	v_add_f32_e32 v1, v1, v2
	ds_bpermute_b32 v2, v10, v1
	s_waitcnt lgkmcnt(0)
	v_add_f32_e32 v1, v1, v2
	ds_bpermute_b32 v2, v11, v1
	s_waitcnt lgkmcnt(0)
	v_add_f32_e32 v1, v1, v2
	ds_bpermute_b32 v2, v3, v1
	v_lshlrev_b32_e32 v3, 2, v0
	ds_write_b32 v3, v4
	s_and_saveexec_b64 s[4:5], vcc
	s_cbranch_execz .LBB648_8
; %bb.7:
	s_waitcnt lgkmcnt(1)
	v_add_f32_e32 v1, v1, v2
	v_mov_b32_e32 v2, 0
	ds_write_b32 v2, v1 offset:256
.LBB648_8:
	s_or_b64 exec, exec, s[4:5]
	v_mov_b32_e32 v1, s10
.LBB648_9:
	s_or_b64 exec, exec, s[20:21]
	s_lshl_b32 s4, s22, 7
	s_mov_b32 s5, 0
	s_lshl_b64 s[4:5], s[4:5], 1
	s_add_u32 s4, s8, s4
	s_addc_u32 s5, s9, s5
	s_lshl_b32 s6, s25, 7
	s_addk_i32 s6, 0xff80
	s_waitcnt lgkmcnt(1)
	v_lshlrev_b32_e32 v2, 7, v1
	v_mov_b32_e32 v3, 0
	s_cmp_lt_i32 s24, 1
	v_lshl_add_u64 v[4:5], v[2:3], 1, s[4:5]
	s_cselect_b32 s4, s6, 0
	v_lshlrev_b32_e32 v2, 1, v0
	s_ashr_i32 s5, s4, 31
	v_lshl_add_u64 v[0:1], v[4:5], 0, v[2:3]
	s_cmpk_lt_i32 s24, 0x101
	v_lshl_add_u64 v[4:5], s[4:5], 1, v[0:1]
	s_cselect_b32 s4, s6, 0x80
	s_ashr_i32 s5, s4, 31
	s_cmpk_lt_i32 s24, 0x201
	v_lshl_add_u64 v[6:7], s[4:5], 1, v[0:1]
	s_cselect_b32 s4, s6, 0x100
	s_ashr_i32 s5, s4, 31
	;; [unrolled: 4-line block ×8, first 2 shown]
	s_cmpk_lt_i32 s24, 0x901
	global_load_ushort v23, v[4:5], off
	global_load_ushort v22, v[6:7], off
	;; [unrolled: 1-line block ×8, first 2 shown]
	v_lshl_add_u64 v[4:5], s[4:5], 1, v[0:1]
	s_cselect_b32 s4, s6, 0x480
	s_ashr_i32 s5, s4, 31
	s_cmpk_lt_i32 s24, 0xa01
	v_lshl_add_u64 v[6:7], s[4:5], 1, v[0:1]
	s_cselect_b32 s4, s6, 0x500
	s_ashr_i32 s5, s4, 31
	s_cmpk_lt_i32 s24, 0xb01
	;; [unrolled: 4-line block ×6, first 2 shown]
	v_lshl_add_u64 v[32:33], s[4:5], 1, v[0:1]
	s_cselect_b32 s4, s6, 0x780
	s_ashr_i32 s5, s4, 31
	v_lshl_add_u64 v[34:35], s[4:5], 1, v[0:1]
	global_load_ushort v30, v[4:5], off
	global_load_ushort v31, v[6:7], off
	;; [unrolled: 1-line block ×8, first 2 shown]
	s_cmpk_gt_i32 s24, 0x1000
	s_cselect_b64 s[4:5], -1, 0
	s_cmpk_lt_i32 s24, 0x1001
	v_mov_b32_e32 v40, 0
	v_mov_b32_e32 v41, 0
	;; [unrolled: 1-line block ×48, first 2 shown]
	s_waitcnt lgkmcnt(0)
	s_barrier
	s_cbranch_scc1 .LBB648_12
; %bb.10:
	s_cmpk_lt_u32 s24, 0x1101
	s_cselect_b32 s8, s6, 0x880
	s_ashr_i32 s9, s8, 31
	s_cmpk_lt_u32 s24, 0x1201
	v_lshl_add_u64 v[6:7], s[8:9], 1, v[0:1]
	s_cselect_b32 s8, s6, 0x900
	s_ashr_i32 s9, s8, 31
	s_cmpk_lt_u32 s24, 0x1301
	v_lshl_add_u64 v[8:9], s[8:9], 1, v[0:1]
	;; [unrolled: 4-line block ×7, first 2 shown]
	s_cselect_b32 s8, s6, 0xc00
	v_add_co_u32_e32 v4, vcc, 0x1000, v0
	s_ashr_i32 s9, s8, 31
	s_nop 0
	v_addc_co_u32_e32 v5, vcc, 0, v1, vcc
	s_cmpk_lt_u32 s24, 0x1901
	global_load_ushort v39, v[4:5], off
	global_load_ushort v38, v[6:7], off
	;; [unrolled: 1-line block ×8, first 2 shown]
	v_lshl_add_u64 v[4:5], s[8:9], 1, v[0:1]
	s_cselect_b32 s8, s6, 0xc80
	s_ashr_i32 s9, s8, 31
	s_cmpk_lt_u32 s24, 0x1a01
	v_lshl_add_u64 v[6:7], s[8:9], 1, v[0:1]
	s_cselect_b32 s8, s6, 0xd00
	s_ashr_i32 s9, s8, 31
	s_cmpk_lt_u32 s24, 0x1b01
	;; [unrolled: 4-line block ×6, first 2 shown]
	v_lshl_add_u64 v[48:49], s[8:9], 1, v[0:1]
	s_cselect_b32 s8, s6, 0xf80
	s_ashr_i32 s9, s8, 31
	v_lshl_add_u64 v[50:51], s[8:9], 1, v[0:1]
	global_load_ushort v47, v[4:5], off
	global_load_ushort v46, v[6:7], off
	;; [unrolled: 1-line block ×8, first 2 shown]
	s_cmpk_lt_u32 s24, 0x2001
	v_mov_b32_e32 v67, 0
	v_mov_b32_e32 v65, 0
	;; [unrolled: 1-line block ×32, first 2 shown]
	s_cbranch_scc1 .LBB648_12
; %bb.11:
	s_cmpk_lt_u32 s24, 0x2101
	s_cselect_b32 s8, s6, 0x1080
	s_ashr_i32 s9, s8, 31
	s_cmpk_lt_u32 s24, 0x2201
	v_lshl_add_u64 v[4:5], s[8:9], 1, v[0:1]
	s_cselect_b32 s8, s6, 0x1100
	s_ashr_i32 s9, s8, 31
	s_cmpk_lt_u32 s24, 0x2301
	v_lshl_add_u64 v[6:7], s[8:9], 1, v[0:1]
	;; [unrolled: 4-line block ×29, first 2 shown]
	s_cselect_b32 s8, s6, 0x1f00
	s_ashr_i32 s9, s8, 31
	s_cmpk_lt_u32 s24, 0x3f01
	s_movk_i32 s7, 0x2000
	s_cselect_b32 s6, s6, 0x1f80
	v_add_co_u32_e32 v96, vcc, s7, v0
	s_ashr_i32 s7, s6, 31
	v_lshl_add_u64 v[94:95], s[8:9], 1, v[0:1]
	v_addc_co_u32_e32 v97, vcc, 0, v1, vcc
	v_lshl_add_u64 v[0:1], s[6:7], 1, v[0:1]
	global_load_ushort v98, v[96:97], off
	global_load_ushort v99, v[4:5], off
	;; [unrolled: 1-line block ×15, first 2 shown]
                                        ; kill: killed $vgpr54_vgpr55
                                        ; kill: killed $vgpr6_vgpr7
                                        ; kill: killed $vgpr60_vgpr61
                                        ; kill: killed $vgpr12_vgpr13
                                        ; kill: killed $vgpr50_vgpr51
                                        ; kill: killed $vgpr56_vgpr57
                                        ; kill: killed $vgpr8_vgpr9
                                        ; kill: killed $vgpr62_vgpr63
                                        ; kill: killed $vgpr14_vgpr15
                                        ; kill: killed $vgpr96 killed $vgpr97
                                        ; kill: killed $vgpr52_vgpr53
                                        ; kill: killed $vgpr4_vgpr5
                                        ; kill: killed $vgpr58_vgpr59
                                        ; kill: killed $vgpr10_vgpr11
                                        ; kill: killed $vgpr48_vgpr49
	global_load_ushort v4, v[64:65], off
	global_load_ushort v5, v[66:67], off
	;; [unrolled: 1-line block ×15, first 2 shown]
                                        ; kill: killed $vgpr70_vgpr71
                                        ; kill: killed $vgpr92_vgpr93
                                        ; kill: killed $vgpr76_vgpr77
                                        ; kill: killed $vgpr82_vgpr83
                                        ; kill: killed $vgpr66_vgpr67
                                        ; kill: killed $vgpr88_vgpr89
                                        ; kill: killed $vgpr72_vgpr73
                                        ; kill: killed $vgpr94_vgpr95
                                        ; kill: killed $vgpr78_vgpr79
                                        ; kill: killed $vgpr84_vgpr85
                                        ; kill: killed $vgpr68_vgpr69
                                        ; kill: killed $vgpr90_vgpr91
                                        ; kill: killed $vgpr74_vgpr75
                                        ; kill: killed $vgpr80_vgpr81
                                        ; kill: killed $vgpr64_vgpr65
	global_load_ushort v68, v[86:87], off
	s_waitcnt vmcnt(30)
	v_lshlrev_b32_e32 v67, 16, v98
	global_load_ushort v0, v[0:1], off
	s_waitcnt vmcnt(30)
	v_lshlrev_b32_e32 v65, 16, v99
	s_waitcnt vmcnt(28)
	v_lshlrev_b32_e32 v63, 16, v101
	v_lshlrev_b32_e32 v66, 16, v100
	s_waitcnt vmcnt(26)
	v_lshlrev_b32_e32 v61, 16, v103
	;; [unrolled: 3-line block ×7, first 2 shown]
	s_waitcnt vmcnt(16)
	v_lshlrev_b32_e32 v52, 16, v4
	s_waitcnt vmcnt(15)
	v_lshlrev_b32_e32 v51, 16, v5
	;; [unrolled: 2-line block ×7, first 2 shown]
	v_lshlrev_b32_e32 v12, 16, v11
	v_lshlrev_b32_e32 v13, 16, v10
	v_lshlrev_b32_e32 v10, 16, v9
	s_waitcnt vmcnt(6)
	v_lshlrev_b32_e32 v11, 16, v96
	s_waitcnt vmcnt(2)
	v_lshlrev_b32_e32 v9, 16, v115
	v_lshlrev_b32_e32 v6, 16, v114
	;; [unrolled: 1-line block ×4, first 2 shown]
	s_waitcnt vmcnt(1)
	v_lshlrev_b32_e32 v8, 16, v68
	s_waitcnt vmcnt(0)
	v_lshlrev_b32_e32 v5, 16, v0
.LBB648_12:
	ds_read_b128 v[68:71], v3
	s_waitcnt vmcnt(15)
	v_lshlrev_b32_e32 v0, 16, v23
	ds_read_b128 v[72:75], v3 offset:16
	ds_read_b128 v[76:79], v3 offset:32
	;; [unrolled: 1-line block ×3, first 2 shown]
	s_waitcnt vmcnt(10)
	v_lshlrev_b32_e32 v1, 16, v19
	s_load_dwordx2 s[6:7], s[0:1], 0x38
	s_waitcnt lgkmcnt(0)
	v_fma_f32 v23, v68, v0, 0
	v_lshlrev_b32_e32 v0, 16, v22
	v_fmac_f32_e32 v23, v69, v0
	v_lshlrev_b32_e32 v0, 16, v21
	v_fmac_f32_e32 v23, v70, v0
	;; [unrolled: 2-line block ×3, first 2 shown]
	v_lshlrev_b32_e32 v0, 16, v18
	v_pk_mul_f32 v[0:1], v[72:73], v[0:1]
	s_andn2_b64 vcc, exec, s[4:5]
	v_add_f32_e32 v0, v23, v0
	v_add_f32_e32 v18, v0, v1
	s_waitcnt vmcnt(8)
	v_lshlrev_b32_e32 v1, 16, v17
	v_lshlrev_b32_e32 v0, 16, v16
	v_pk_mul_f32 v[0:1], v[74:75], v[0:1]
	s_nop 0
	v_add_f32_e32 v0, v18, v0
	v_add_f32_e32 v16, v0, v1
	s_waitcnt vmcnt(6)
	v_lshlrev_b32_e32 v1, 16, v31
	v_lshlrev_b32_e32 v0, 16, v30
	v_pk_mul_f32 v[0:1], v[76:77], v[0:1]
	s_nop 0
	;; [unrolled: 7-line block ×5, first 2 shown]
	v_add_f32_e32 v0, v16, v0
	v_add_f32_e32 v0, v0, v1
	s_cbranch_vccnz .LBB648_15
; %bb.13:
	ds_read_b128 v[16:19], v3 offset:64
	v_lshlrev_b32_e32 v1, 16, v39
	ds_read_b128 v[20:23], v3 offset:80
	ds_read_b128 v[24:27], v3 offset:96
	;; [unrolled: 1-line block ×3, first 2 shown]
	s_cmpk_lt_u32 s24, 0x2001
	s_waitcnt lgkmcnt(3)
	v_fmac_f32_e32 v0, v16, v1
	v_lshlrev_b32_e32 v1, 16, v38
	v_fmac_f32_e32 v0, v17, v1
	v_lshlrev_b32_e32 v1, 16, v37
	v_fmac_f32_e32 v0, v18, v1
	v_lshlrev_b32_e32 v1, 16, v36
	v_fmac_f32_e32 v0, v19, v1
	v_lshlrev_b32_e32 v1, 16, v35
	s_waitcnt lgkmcnt(2)
	v_fmac_f32_e32 v0, v20, v1
	v_lshlrev_b32_e32 v1, 16, v34
	v_fmac_f32_e32 v0, v21, v1
	v_lshlrev_b32_e32 v1, 16, v33
	v_fmac_f32_e32 v0, v22, v1
	v_lshlrev_b32_e32 v1, 16, v32
	v_fmac_f32_e32 v0, v23, v1
	v_lshlrev_b32_e32 v1, 16, v47
	;; [unrolled: 9-line block ×3, first 2 shown]
	s_waitcnt lgkmcnt(0)
	v_fmac_f32_e32 v0, v28, v1
	v_lshlrev_b32_e32 v1, 16, v42
	v_fmac_f32_e32 v0, v29, v1
	v_lshlrev_b32_e32 v1, 16, v41
	;; [unrolled: 2-line block ×3, first 2 shown]
	v_fmac_f32_e32 v0, v31, v1
	s_cbranch_scc1 .LBB648_15
; %bb.14:
	v_mov_b32_e32 v32, 0
	ds_read_b128 v[16:19], v32 offset:128
	ds_read_b128 v[20:23], v32 offset:144
	;; [unrolled: 1-line block ×4, first 2 shown]
	s_waitcnt lgkmcnt(3)
	v_fmac_f32_e32 v0, v16, v67
	v_fmac_f32_e32 v0, v17, v65
	v_fmac_f32_e32 v0, v18, v66
	v_fmac_f32_e32 v0, v19, v63
	s_waitcnt lgkmcnt(2)
	v_fmac_f32_e32 v0, v20, v64
	v_fmac_f32_e32 v0, v21, v61
	v_fmac_f32_e32 v0, v22, v62
	v_fmac_f32_e32 v0, v23, v59
	;; [unrolled: 5-line block ×3, first 2 shown]
	ds_read_b128 v[16:19], v32 offset:192
	ds_read_b128 v[20:23], v32 offset:208
	s_waitcnt lgkmcnt(2)
	v_fmac_f32_e32 v0, v28, v56
	v_fmac_f32_e32 v0, v29, v53
	;; [unrolled: 1-line block ×4, first 2 shown]
	s_waitcnt lgkmcnt(1)
	v_fmac_f32_e32 v0, v16, v51
	v_fmac_f32_e32 v0, v17, v49
	;; [unrolled: 1-line block ×4, first 2 shown]
	s_waitcnt lgkmcnt(0)
	v_pk_mul_f32 v[14:15], v[20:21], v[14:15]
	s_nop 0
	v_add_f32_e32 v0, v0, v14
	v_add_f32_e32 v18, v0, v15
	ds_read_b128 v[14:17], v32 offset:224
	v_pk_mul_f32 v[0:1], v[22:23], v[12:13]
	s_nop 0
	v_add_f32_e32 v0, v18, v0
	ds_read_b128 v[18:21], v32 offset:240
	v_add_f32_e32 v12, v0, v1
	s_waitcnt lgkmcnt(1)
	v_pk_mul_f32 v[0:1], v[14:15], v[10:11]
	s_nop 0
	v_add_f32_e32 v0, v12, v0
	v_add_f32_e32 v10, v0, v1
	v_pk_mul_f32 v[0:1], v[16:17], v[8:9]
	s_nop 0
	v_add_f32_e32 v0, v10, v0
	v_add_f32_e32 v8, v0, v1
	s_waitcnt lgkmcnt(0)
	v_pk_mul_f32 v[0:1], v[18:19], v[6:7]
	s_nop 0
	v_add_f32_e32 v0, v8, v0
	v_add_f32_e32 v6, v0, v1
	v_pk_mul_f32 v[0:1], v[20:21], v[4:5]
	s_nop 0
	v_add_f32_e32 v0, v6, v0
	v_add_f32_e32 v0, v0, v1
.LBB648_15:
	ds_read_b32 v1, v3 offset:256
	s_cmp_eq_u64 s[6:7], 0
	s_cbranch_scc1 .LBB648_24
; %bb.16:
	s_load_dword s6, s[6:7], 0x0
	s_waitcnt lgkmcnt(0)
	v_div_scale_f32 v3, s[4:5], s6, s6, 1.0
	v_rcp_f32_e32 v4, v3
	v_div_scale_f32 v5, vcc, 1.0, s6, 1.0
	v_fma_f32 v6, -v3, v4, 1.0
	v_fmac_f32_e32 v4, v6, v4
	v_mul_f32_e32 v6, v5, v4
	v_fma_f32 v7, -v3, v6, v5
	v_fmac_f32_e32 v6, v7, v4
	v_fma_f32 v3, -v3, v6, v5
	v_div_fmas_f32 v3, v3, v4, v6
	v_div_fixup_f32 v3, v3, s6, 1.0
	s_andn2_b64 vcc, exec, s[16:17]
	s_cbranch_vccnz .LBB648_18
.LBB648_17:
	s_add_u32 s4, s14, s18
	s_addc_u32 s5, s15, s19
	s_load_dword s12, s[4:5], 0x0
	s_mov_b32 s13, 0
.LBB648_18:
	s_waitcnt lgkmcnt(0)
	v_add_f32_e32 v1, 0x358637bd, v1
	v_div_scale_f32 v4, s[4:5], v1, v1, 1.0
	v_rcp_f32_e32 v5, v4
	s_load_dwordx2 s[0:1], s[0:1], 0x0
	s_mov_b32 s4, 0x7f800000
	v_fma_f32 v6, -v4, v5, 1.0
	v_fmac_f32_e32 v5, v6, v5
	v_div_scale_f32 v6, vcc, 1.0, v1, 1.0
	v_mul_f32_e32 v7, v6, v5
	v_fma_f32 v8, -v4, v7, v6
	v_fmac_f32_e32 v7, v8, v5
	v_fma_f32 v4, -v4, v7, v6
	v_div_fmas_f32 v4, v4, v5, v7
	v_div_fixup_f32 v1, v4, v1, 1.0
	v_mul_f32_e32 v0, v0, v1
	v_mul_f32_e32 v1, v0, v3
	v_and_b32_e32 v0, 0x7f800000, v1
	v_cmp_ne_u32_e32 vcc, s4, v0
                                        ; implicit-def: $vgpr0
	s_and_saveexec_b64 s[4:5], vcc
	s_xor_b64 s[4:5], exec, s[4:5]
; %bb.19:
	v_bfe_u32 v0, v1, 16, 1
	s_movk_i32 s6, 0x7fff
	v_add3_u32 v0, v1, v0, s6
                                        ; implicit-def: $vgpr1
; %bb.20:
	s_andn2_saveexec_b64 s[4:5], s[4:5]
; %bb.21:
	v_mov_b32_e32 v0, 0
	v_or_b32_e32 v3, 0x10000, v1
	v_cmp_eq_u32_sdwa vcc, v1, v0 src0_sel:WORD_0 src1_sel:DWORD
	s_nop 1
	v_cndmask_b32_e32 v0, v3, v1, vcc
; %bb.22:
	s_or_b64 exec, exec, s[4:5]
	s_mul_i32 s4, s3, s13
	s_mul_hi_u32 s5, s3, s12
	s_add_i32 s5, s5, s4
	s_mul_i32 s4, s3, s12
	s_lshl_b64 s[4:5], s[4:5], 8
	s_waitcnt lgkmcnt(0)
	s_add_u32 s4, s0, s4
	s_mov_b32 s3, 0
	s_addc_u32 s5, s1, s5
	s_lshl_b64 s[0:1], s[2:3], 8
	s_add_u32 s0, s4, s0
	s_addc_u32 s1, s5, s1
	global_store_short_d16_hi v2, v0, s[0:1]
	s_endpgm
.LBB648_23:
	s_mov_b64 s[6:7], 0
	s_branch .LBB648_2
.LBB648_24:
	v_mov_b32_e32 v3, 1.0
	s_andn2_b64 vcc, exec, s[16:17]
	s_cbranch_vccz .LBB648_17
	s_branch .LBB648_18
	.section	.rodata,"a",@progbits
	.p2align	6, 0x0
	.amdhsa_kernel _Z35paged_attention_ll4mi_reduce_kernelI14__hip_bfloat16S0_Li128ELi128ELi256ELi1EEvPT0_PKfS4_PKT_PKiS9_iS4_
		.amdhsa_group_segment_fixed_size 260
		.amdhsa_private_segment_fixed_size 0
		.amdhsa_kernarg_size 320
		.amdhsa_user_sgpr_count 2
		.amdhsa_user_sgpr_dispatch_ptr 0
		.amdhsa_user_sgpr_queue_ptr 0
		.amdhsa_user_sgpr_kernarg_segment_ptr 1
		.amdhsa_user_sgpr_dispatch_id 0
		.amdhsa_user_sgpr_kernarg_preload_length 0
		.amdhsa_user_sgpr_kernarg_preload_offset 0
		.amdhsa_user_sgpr_private_segment_size 0
		.amdhsa_uses_dynamic_stack 0
		.amdhsa_enable_private_segment 0
		.amdhsa_system_sgpr_workgroup_id_x 1
		.amdhsa_system_sgpr_workgroup_id_y 1
		.amdhsa_system_sgpr_workgroup_id_z 0
		.amdhsa_system_sgpr_workgroup_info 0
		.amdhsa_system_vgpr_workitem_id 0
		.amdhsa_next_free_vgpr 116
		.amdhsa_next_free_sgpr 30
		.amdhsa_accum_offset 116
		.amdhsa_reserve_vcc 1
		.amdhsa_float_round_mode_32 0
		.amdhsa_float_round_mode_16_64 0
		.amdhsa_float_denorm_mode_32 3
		.amdhsa_float_denorm_mode_16_64 3
		.amdhsa_dx10_clamp 1
		.amdhsa_ieee_mode 1
		.amdhsa_fp16_overflow 0
		.amdhsa_tg_split 0
		.amdhsa_exception_fp_ieee_invalid_op 0
		.amdhsa_exception_fp_denorm_src 0
		.amdhsa_exception_fp_ieee_div_zero 0
		.amdhsa_exception_fp_ieee_overflow 0
		.amdhsa_exception_fp_ieee_underflow 0
		.amdhsa_exception_fp_ieee_inexact 0
		.amdhsa_exception_int_div_zero 0
	.end_amdhsa_kernel
	.section	.text._Z35paged_attention_ll4mi_reduce_kernelI14__hip_bfloat16S0_Li128ELi128ELi256ELi1EEvPT0_PKfS4_PKT_PKiS9_iS4_,"axG",@progbits,_Z35paged_attention_ll4mi_reduce_kernelI14__hip_bfloat16S0_Li128ELi128ELi256ELi1EEvPT0_PKfS4_PKT_PKiS9_iS4_,comdat
.Lfunc_end648:
	.size	_Z35paged_attention_ll4mi_reduce_kernelI14__hip_bfloat16S0_Li128ELi128ELi256ELi1EEvPT0_PKfS4_PKT_PKiS9_iS4_, .Lfunc_end648-_Z35paged_attention_ll4mi_reduce_kernelI14__hip_bfloat16S0_Li128ELi128ELi256ELi1EEvPT0_PKfS4_PKT_PKiS9_iS4_
                                        ; -- End function
	.section	.AMDGPU.csdata,"",@progbits
; Kernel info:
; codeLenInByte = 4748
; NumSgprs: 36
; NumVgprs: 116
; NumAgprs: 0
; TotalNumVgprs: 116
; ScratchSize: 0
; MemoryBound: 0
; FloatMode: 240
; IeeeMode: 1
; LDSByteSize: 260 bytes/workgroup (compile time only)
; SGPRBlocks: 4
; VGPRBlocks: 14
; NumSGPRsForWavesPerEU: 36
; NumVGPRsForWavesPerEU: 116
; AccumOffset: 116
; Occupancy: 4
; WaveLimiterHint : 1
; COMPUTE_PGM_RSRC2:SCRATCH_EN: 0
; COMPUTE_PGM_RSRC2:USER_SGPR: 2
; COMPUTE_PGM_RSRC2:TRAP_HANDLER: 0
; COMPUTE_PGM_RSRC2:TGID_X_EN: 1
; COMPUTE_PGM_RSRC2:TGID_Y_EN: 1
; COMPUTE_PGM_RSRC2:TGID_Z_EN: 0
; COMPUTE_PGM_RSRC2:TIDIG_COMP_CNT: 0
; COMPUTE_PGM_RSRC3_GFX90A:ACCUM_OFFSET: 28
; COMPUTE_PGM_RSRC3_GFX90A:TG_SPLIT: 0
	.section	.text._Z35paged_attention_ll4mi_reduce_kernelI14__hip_bfloat16S0_Li128ELi128ELi256ELi2EEvPT0_PKfS4_PKT_PKiS9_iS4_,"axG",@progbits,_Z35paged_attention_ll4mi_reduce_kernelI14__hip_bfloat16S0_Li128ELi128ELi256ELi2EEvPT0_PKfS4_PKT_PKiS9_iS4_,comdat
	.protected	_Z35paged_attention_ll4mi_reduce_kernelI14__hip_bfloat16S0_Li128ELi128ELi256ELi2EEvPT0_PKfS4_PKT_PKiS9_iS4_ ; -- Begin function _Z35paged_attention_ll4mi_reduce_kernelI14__hip_bfloat16S0_Li128ELi128ELi256ELi2EEvPT0_PKfS4_PKT_PKiS9_iS4_
	.globl	_Z35paged_attention_ll4mi_reduce_kernelI14__hip_bfloat16S0_Li128ELi128ELi256ELi2EEvPT0_PKfS4_PKT_PKiS9_iS4_
	.p2align	8
	.type	_Z35paged_attention_ll4mi_reduce_kernelI14__hip_bfloat16S0_Li128ELi128ELi256ELi2EEvPT0_PKfS4_PKT_PKiS9_iS4_,@function
_Z35paged_attention_ll4mi_reduce_kernelI14__hip_bfloat16S0_Li128ELi128ELi256ELi2EEvPT0_PKfS4_PKT_PKiS9_iS4_: ; @_Z35paged_attention_ll4mi_reduce_kernelI14__hip_bfloat16S0_Li128ELi128ELi256ELi2EEvPT0_PKfS4_PKT_PKiS9_iS4_
; %bb.0:
	s_load_dwordx2 s[18:19], s[0:1], 0x28
	s_mov_b32 s16, s3
	s_mov_b64 s[4:5], 0
	s_waitcnt lgkmcnt(0)
	s_cmp_lg_u64 s[18:19], 0
	s_cselect_b64 s[20:21], -1, 0
	s_and_b64 vcc, exec, s[20:21]
	s_cbranch_vccz .LBB649_25
; %bb.1:
	s_add_i32 s6, s16, 1
	s_mov_b32 s7, 0
	s_lshl_b64 s[8:9], s[6:7], 2
	s_add_u32 s8, s18, s8
	s_mov_b32 s17, s7
	s_addc_u32 s9, s19, s9
	s_lshl_b64 s[6:7], s[16:17], 2
	s_add_u32 s6, s18, s6
	s_addc_u32 s7, s19, s7
	s_load_dword s3, s[8:9], 0x0
	s_load_dword s10, s[6:7], 0x0
	s_waitcnt lgkmcnt(0)
	s_sub_i32 s3, s3, s10
	s_cmp_eq_u32 s3, 1
	s_cselect_b64 s[6:7], -1, 0
	s_andn2_b64 vcc, exec, s[4:5]
	s_cbranch_vccnz .LBB649_3
.LBB649_2:
	s_mov_b32 s17, 0
	s_mov_b64 s[6:7], -1
.LBB649_3:
	s_andn2_b64 vcc, exec, s[6:7]
	s_cbranch_vccz .LBB649_5
; %bb.4:
	s_endpgm
.LBB649_5:
	s_load_dwordx4 s[8:11], s[0:1], 0x18
	s_load_dword s12, s[0:1], 0x30
	s_lshl_b64 s[22:23], s[16:17], 2
	v_cmp_lt_u32_e32 vcc, 63, v0
	s_waitcnt lgkmcnt(0)
	s_add_u32 s4, s10, s22
	s_addc_u32 s5, s11, s23
	s_load_dword s28, s[4:5], 0x0
	s_load_dword s3, s[0:1], 0x40
	s_mul_i32 s10, s2, s12
	s_mul_i32 s6, s16, s12
	s_waitcnt lgkmcnt(0)
	s_add_i32 s7, s28, 0xff
	s_ashr_i32 s4, s7, 31
	s_lshr_b32 s4, s4, 24
	s_add_i32 s7, s7, s4
	s_and_saveexec_b64 s[4:5], vcc
	s_xor_b64 s[4:5], exec, s[4:5]
	s_or_saveexec_b64 s[24:25], s[4:5]
	s_ashr_i32 s29, s7, 8
	v_mov_b32_e32 v1, s10
	s_mul_i32 s26, s6, s3
	s_xor_b64 exec, exec, s[24:25]
	s_cbranch_execz .LBB649_9
; %bb.6:
	s_load_dwordx4 s[12:15], s[0:1], 0x8
	s_mov_b32 s27, 0
	s_add_i32 s4, s29, -1
	v_or_b32_e32 v3, 64, v0
	s_lshl_b64 s[30:31], s[26:27], 2
	s_mov_b32 s11, s27
	v_mov_b32_e32 v1, s4
	v_cmp_gt_u32_e64 s[4:5], s29, v3
	s_waitcnt lgkmcnt(0)
	s_add_u32 s6, s14, s30
	v_cmp_gt_u32_e32 vcc, s29, v0
	v_cndmask_b32_e64 v4, v1, v3, s[4:5]
	s_addc_u32 s7, s15, s31
	s_lshl_b64 s[14:15], s[10:11], 2
	v_cndmask_b32_e32 v2, v1, v0, vcc
	s_add_u32 s6, s6, s14
	v_ashrrev_i32_e32 v5, 31, v4
	s_addc_u32 s7, s7, s15
	v_ashrrev_i32_e32 v3, 31, v2
	v_lshlrev_b64 v[4:5], 2, v[4:5]
	v_lshlrev_b64 v[2:3], 2, v[2:3]
	v_lshl_add_u64 v[8:9], s[6:7], 0, v[4:5]
	v_lshl_add_u64 v[6:7], s[6:7], 0, v[2:3]
	global_load_dword v1, v[8:9], off
	global_load_dword v10, v[6:7], off
	v_mbcnt_lo_u32_b32 v6, -1, 0
	v_mbcnt_hi_u32_b32 v6, -1, v6
	v_and_b32_e32 v7, 64, v6
	v_xor_b32_e32 v8, 32, v6
	v_add_u32_e32 v7, 64, v7
	v_cmp_lt_i32_e64 s[6:7], v8, v7
	v_xor_b32_e32 v12, 4, v6
	v_xor_b32_e32 v13, 2, v6
	v_cndmask_b32_e64 v8, v6, v8, s[6:7]
	s_add_u32 s6, s12, s30
	s_addc_u32 s7, s13, s31
	s_add_u32 s6, s6, s14
	s_addc_u32 s7, s7, s15
	v_lshl_add_u64 v[2:3], s[6:7], 0, v[2:3]
	v_lshl_add_u64 v[4:5], s[6:7], 0, v[4:5]
	global_load_dword v9, v[2:3], off
	global_load_dword v11, v[4:5], off
	v_lshlrev_b32_e32 v2, 2, v8
	v_xor_b32_e32 v5, 16, v6
	v_cmp_lt_i32_e64 s[6:7], v5, v7
	v_xor_b32_e32 v8, 8, v6
	v_xor_b32_e32 v14, 1, v6
	v_cndmask_b32_e64 v5, v6, v5, s[6:7]
	v_lshlrev_b32_e32 v5, 2, v5
	v_cmp_lt_i32_e64 s[6:7], v8, v7
	s_mov_b32 s11, 0xc2ce8ed0
	s_mov_b32 s12, 0x42b17218
	v_cndmask_b32_e64 v8, v6, v8, s[6:7]
	v_lshlrev_b32_e32 v8, 2, v8
	v_cmp_lt_i32_e64 s[6:7], v12, v7
	s_waitcnt vmcnt(3)
	v_max_f32_e32 v3, v1, v1
	s_waitcnt vmcnt(2)
	v_max_f32_e32 v4, v10, v10
	v_max_f32_e32 v3, v4, v3
	ds_bpermute_b32 v4, v2, v3
	v_cndmask_b32_e64 v12, v6, v12, s[6:7]
	v_lshlrev_b32_e32 v12, 2, v12
	v_cmp_lt_i32_e64 s[6:7], v13, v7
	s_waitcnt lgkmcnt(0)
	v_max_f32_e32 v4, v4, v4
	v_max_f32_e32 v3, v3, v4
	ds_bpermute_b32 v4, v5, v3
	v_cndmask_b32_e64 v13, v6, v13, s[6:7]
	v_lshlrev_b32_e32 v13, 2, v13
	v_cmp_lt_i32_e64 s[6:7], v14, v7
	s_waitcnt lgkmcnt(0)
	v_max_f32_e32 v4, v4, v4
	v_max_f32_e32 v3, v3, v4
	ds_bpermute_b32 v4, v8, v3
	v_cndmask_b32_e64 v6, v6, v14, s[6:7]
	v_lshlrev_b32_e32 v6, 2, v6
	s_mov_b32 s6, 0x3fb8aa3b
	s_waitcnt lgkmcnt(0)
	v_max_f32_e32 v4, v4, v4
	v_max_f32_e32 v3, v3, v4
	ds_bpermute_b32 v4, v12, v3
	s_waitcnt lgkmcnt(0)
	v_max_f32_e32 v4, v4, v4
	v_max_f32_e32 v3, v3, v4
	ds_bpermute_b32 v4, v13, v3
	;; [unrolled: 4-line block ×3, first 2 shown]
	s_waitcnt lgkmcnt(0)
	v_max_f32_e32 v4, v4, v4
	v_max_f32_e32 v3, v3, v4
	v_sub_f32_e32 v4, v10, v3
	v_sub_f32_e32 v1, v1, v3
	v_mul_f32_e32 v3, 0x3fb8aa3b, v4
	v_mul_f32_e32 v7, 0x3fb8aa3b, v1
	v_fma_f32 v10, v4, s6, -v3
	v_rndne_f32_e32 v14, v3
	v_fma_f32 v15, v1, s6, -v7
	v_rndne_f32_e32 v16, v7
	v_fmac_f32_e32 v10, 0x32a5705f, v4
	v_sub_f32_e32 v3, v3, v14
	v_fmac_f32_e32 v15, 0x32a5705f, v1
	v_sub_f32_e32 v7, v7, v16
	v_add_f32_e32 v3, v3, v10
	v_cvt_i32_f32_e32 v14, v14
	v_add_f32_e32 v7, v7, v15
	v_exp_f32_e32 v3, v3
	v_cvt_i32_f32_e32 v16, v16
	v_exp_f32_e32 v7, v7
	v_cmp_ngt_f32_e64 s[6:7], s11, v4
	v_ldexp_f32 v3, v3, v14
	v_mov_b32_e32 v10, 0x7f800000
	v_ldexp_f32 v7, v7, v16
	v_cndmask_b32_e64 v3, 0, v3, s[6:7]
	v_cmp_ngt_f32_e64 s[6:7], s11, v1
	v_lshlrev_b32_e32 v15, 2, v0
	s_nop 0
	v_cndmask_b32_e64 v7, 0, v7, s[6:7]
	v_cmp_nlt_f32_e64 s[6:7], s12, v4
	s_nop 1
	v_cndmask_b32_e64 v3, v10, v3, s[6:7]
	v_cmp_nlt_f32_e64 s[6:7], s12, v1
	v_cndmask_b32_e32 v3, 0, v3, vcc
	s_waitcnt vmcnt(1)
	v_mul_f32_e32 v3, v9, v3
	v_cndmask_b32_e64 v1, v10, v7, s[6:7]
	v_cndmask_b32_e64 v1, 0, v1, s[4:5]
	s_waitcnt vmcnt(0)
	v_mul_f32_e32 v4, v11, v1
	ds_write2st64_b32 v15, v3, v4 offset1:1
	v_fmac_f32_e32 v3, v11, v1
	ds_bpermute_b32 v1, v2, v3
	v_cmp_eq_u32_e32 vcc, 0, v0
	s_waitcnt lgkmcnt(0)
	v_add_f32_e32 v1, v3, v1
	ds_bpermute_b32 v2, v5, v1
	s_waitcnt lgkmcnt(0)
	v_add_f32_e32 v1, v1, v2
	ds_bpermute_b32 v2, v8, v1
	;; [unrolled: 3-line block ×5, first 2 shown]
	s_and_saveexec_b64 s[4:5], vcc
	s_cbranch_execz .LBB649_8
; %bb.7:
	s_waitcnt lgkmcnt(0)
	v_add_f32_e32 v1, v1, v2
	v_mov_b32_e32 v2, 0
	ds_write_b32 v2, v1 offset:512
.LBB649_8:
	s_or_b64 exec, exec, s[4:5]
	v_mov_b32_e32 v1, s10
.LBB649_9:
	s_or_b64 exec, exec, s[24:25]
	s_lshl_b32 s4, s26, 7
	s_mov_b32 s5, 0
	s_lshl_b64 s[4:5], s[4:5], 1
	s_add_u32 s4, s8, s4
	s_addc_u32 s5, s9, s5
	s_lshl_b32 s6, s29, 7
	s_addk_i32 s6, 0xff80
	s_waitcnt lgkmcnt(0)
	v_lshlrev_b32_e32 v2, 7, v1
	v_mov_b32_e32 v3, 0
	s_cmp_lt_i32 s28, 1
	v_lshl_add_u64 v[4:5], v[2:3], 1, s[4:5]
	s_cselect_b32 s4, s6, 0
	v_lshlrev_b32_e32 v2, 1, v0
	s_ashr_i32 s5, s4, 31
	v_lshl_add_u64 v[0:1], v[4:5], 0, v[2:3]
	s_cmpk_lt_i32 s28, 0x101
	v_lshl_add_u64 v[4:5], s[4:5], 1, v[0:1]
	s_cselect_b32 s4, s6, 0x80
	s_ashr_i32 s5, s4, 31
	s_cmpk_lt_i32 s28, 0x201
	v_lshl_add_u64 v[6:7], s[4:5], 1, v[0:1]
	s_cselect_b32 s4, s6, 0x100
	s_ashr_i32 s5, s4, 31
	;; [unrolled: 4-line block ×8, first 2 shown]
	s_cmpk_lt_i32 s28, 0x901
	global_load_ushort v23, v[4:5], off
	global_load_ushort v22, v[6:7], off
	;; [unrolled: 1-line block ×8, first 2 shown]
	v_lshl_add_u64 v[4:5], s[4:5], 1, v[0:1]
	s_cselect_b32 s4, s6, 0x480
	s_ashr_i32 s5, s4, 31
	s_cmpk_lt_i32 s28, 0xa01
	v_lshl_add_u64 v[6:7], s[4:5], 1, v[0:1]
	s_cselect_b32 s4, s6, 0x500
	s_ashr_i32 s5, s4, 31
	s_cmpk_lt_i32 s28, 0xb01
	;; [unrolled: 4-line block ×6, first 2 shown]
	v_lshl_add_u64 v[32:33], s[4:5], 1, v[0:1]
	s_cselect_b32 s4, s6, 0x780
	s_ashr_i32 s5, s4, 31
	v_lshl_add_u64 v[34:35], s[4:5], 1, v[0:1]
	global_load_ushort v30, v[4:5], off
	global_load_ushort v31, v[6:7], off
	;; [unrolled: 1-line block ×8, first 2 shown]
	s_cmpk_gt_i32 s28, 0x1000
	s_cselect_b64 s[4:5], -1, 0
	s_cmpk_lt_i32 s28, 0x1001
	v_mov_b32_e32 v40, 0
	v_mov_b32_e32 v41, 0
	v_mov_b32_e32 v42, 0
	v_mov_b32_e32 v43, 0
	v_mov_b32_e32 v44, 0
	v_mov_b32_e32 v45, 0
	v_mov_b32_e32 v46, 0
	v_mov_b32_e32 v47, 0
	v_mov_b32_e32 v32, 0
	v_mov_b32_e32 v33, 0
	v_mov_b32_e32 v34, 0
	v_mov_b32_e32 v35, 0
	v_mov_b32_e32 v36, 0
	v_mov_b32_e32 v37, 0
	v_mov_b32_e32 v38, 0
	v_mov_b32_e32 v39, 0
	v_mov_b32_e32 v4, 0
	v_mov_b32_e32 v5, 0
	v_mov_b32_e32 v6, 0
	v_mov_b32_e32 v7, 0
	v_mov_b32_e32 v8, 0
	v_mov_b32_e32 v9, 0
	v_mov_b32_e32 v10, 0
	v_mov_b32_e32 v11, 0
	v_mov_b32_e32 v12, 0
	v_mov_b32_e32 v13, 0
	v_mov_b32_e32 v14, 0
	v_mov_b32_e32 v15, 0
	v_mov_b32_e32 v48, 0
	v_mov_b32_e32 v50, 0
	v_mov_b32_e32 v49, 0
	v_mov_b32_e32 v51, 0
	v_mov_b32_e32 v52, 0
	v_mov_b32_e32 v54, 0
	v_mov_b32_e32 v53, 0
	v_mov_b32_e32 v56, 0
	v_mov_b32_e32 v55, 0
	v_mov_b32_e32 v58, 0
	v_mov_b32_e32 v57, 0
	v_mov_b32_e32 v60, 0
	v_mov_b32_e32 v59, 0
	v_mov_b32_e32 v62, 0
	v_mov_b32_e32 v61, 0
	v_mov_b32_e32 v64, 0
	v_mov_b32_e32 v63, 0
	v_mov_b32_e32 v66, 0
	v_mov_b32_e32 v65, 0
	v_mov_b32_e32 v67, 0
	s_barrier
	s_cbranch_scc1 .LBB649_12
; %bb.10:
	s_cmpk_lt_u32 s28, 0x1101
	s_cselect_b32 s8, s6, 0x880
	s_ashr_i32 s9, s8, 31
	s_cmpk_lt_u32 s28, 0x1201
	v_lshl_add_u64 v[6:7], s[8:9], 1, v[0:1]
	s_cselect_b32 s8, s6, 0x900
	s_ashr_i32 s9, s8, 31
	s_cmpk_lt_u32 s28, 0x1301
	v_lshl_add_u64 v[8:9], s[8:9], 1, v[0:1]
	;; [unrolled: 4-line block ×7, first 2 shown]
	s_cselect_b32 s8, s6, 0xc00
	v_add_co_u32_e32 v4, vcc, 0x1000, v0
	s_ashr_i32 s9, s8, 31
	s_nop 0
	v_addc_co_u32_e32 v5, vcc, 0, v1, vcc
	s_cmpk_lt_u32 s28, 0x1901
	global_load_ushort v39, v[4:5], off
	global_load_ushort v38, v[6:7], off
	;; [unrolled: 1-line block ×8, first 2 shown]
	v_lshl_add_u64 v[4:5], s[8:9], 1, v[0:1]
	s_cselect_b32 s8, s6, 0xc80
	s_ashr_i32 s9, s8, 31
	s_cmpk_lt_u32 s28, 0x1a01
	v_lshl_add_u64 v[6:7], s[8:9], 1, v[0:1]
	s_cselect_b32 s8, s6, 0xd00
	s_ashr_i32 s9, s8, 31
	s_cmpk_lt_u32 s28, 0x1b01
	;; [unrolled: 4-line block ×6, first 2 shown]
	v_lshl_add_u64 v[48:49], s[8:9], 1, v[0:1]
	s_cselect_b32 s8, s6, 0xf80
	s_ashr_i32 s9, s8, 31
	v_lshl_add_u64 v[50:51], s[8:9], 1, v[0:1]
	global_load_ushort v47, v[4:5], off
	global_load_ushort v46, v[6:7], off
	;; [unrolled: 1-line block ×8, first 2 shown]
	s_cmpk_lt_u32 s28, 0x2001
	v_mov_b32_e32 v67, 0
	v_mov_b32_e32 v65, 0
	;; [unrolled: 1-line block ×32, first 2 shown]
	s_cbranch_scc1 .LBB649_12
; %bb.11:
	s_cmpk_lt_u32 s28, 0x2101
	s_cselect_b32 s8, s6, 0x1080
	s_ashr_i32 s9, s8, 31
	s_cmpk_lt_u32 s28, 0x2201
	v_lshl_add_u64 v[4:5], s[8:9], 1, v[0:1]
	s_cselect_b32 s8, s6, 0x1100
	s_ashr_i32 s9, s8, 31
	s_cmpk_lt_u32 s28, 0x2301
	v_lshl_add_u64 v[6:7], s[8:9], 1, v[0:1]
	;; [unrolled: 4-line block ×29, first 2 shown]
	s_cselect_b32 s8, s6, 0x1f00
	s_ashr_i32 s9, s8, 31
	s_movk_i32 s7, 0x2000
	s_cmpk_lt_u32 s28, 0x3f01
	v_lshl_add_u64 v[94:95], s[8:9], 1, v[0:1]
	v_add_co_u32_e32 v96, vcc, s7, v0
	s_cselect_b32 s8, s6, 0x1f80
	s_nop 0
	v_addc_co_u32_e32 v97, vcc, 0, v1, vcc
	s_ashr_i32 s9, s8, 31
	global_load_ushort v98, v[96:97], off
	global_load_ushort v99, v[4:5], off
	;; [unrolled: 1-line block ×15, first 2 shown]
                                        ; kill: killed $vgpr58_vgpr59
                                        ; kill: killed $vgpr10_vgpr11
                                        ; kill: killed $vgpr48_vgpr49
                                        ; kill: killed $vgpr54_vgpr55
                                        ; kill: killed $vgpr6_vgpr7
                                        ; kill: killed $vgpr60_vgpr61
                                        ; kill: killed $vgpr12_vgpr13
                                        ; kill: killed $vgpr50_vgpr51
                                        ; kill: killed $vgpr56_vgpr57
                                        ; kill: killed $vgpr8_vgpr9
                                        ; kill: killed $vgpr62_vgpr63
                                        ; kill: killed $vgpr14_vgpr15
                                        ; kill: killed $vgpr96 killed $vgpr97
                                        ; kill: killed $vgpr52_vgpr53
                                        ; kill: killed $vgpr4_vgpr5
	global_load_ushort v6, v[64:65], off
	global_load_ushort v7, v[66:67], off
	;; [unrolled: 1-line block ×15, first 2 shown]
                                        ; kill: killed $vgpr90_vgpr91
                                        ; kill: killed $vgpr74_vgpr75
                                        ; kill: killed $vgpr80_vgpr81
                                        ; kill: killed $vgpr64_vgpr65
                                        ; kill: killed $vgpr70_vgpr71
                                        ; kill: killed $vgpr92_vgpr93
                                        ; kill: killed $vgpr76_vgpr77
                                        ; kill: killed $vgpr82_vgpr83
                                        ; kill: killed $vgpr66_vgpr67
                                        ; kill: killed $vgpr88_vgpr89
                                        ; kill: killed $vgpr72_vgpr73
                                        ; kill: killed $vgpr94_vgpr95
                                        ; kill: killed $vgpr78_vgpr79
                                        ; kill: killed $vgpr84_vgpr85
                                        ; kill: killed $vgpr68_vgpr69
	global_load_ushort v68, v[86:87], off
	v_lshl_add_u64 v[4:5], s[8:9], 1, v[0:1]
	global_load_ushort v5, v[4:5], off
	s_waitcnt vmcnt(31)
	v_lshlrev_b32_e32 v67, 16, v98
	s_waitcnt vmcnt(30)
	v_lshlrev_b32_e32 v65, 16, v99
	;; [unrolled: 2-line block ×32, first 2 shown]
.LBB649_12:
	ds_read_b128 v[68:71], v3
	s_waitcnt vmcnt(15)
	v_lshlrev_b32_e32 v23, 16, v23
	ds_read_b128 v[72:75], v3 offset:16
	ds_read_b128 v[76:79], v3 offset:32
	;; [unrolled: 1-line block ×3, first 2 shown]
	s_waitcnt vmcnt(14)
	v_lshlrev_b32_e32 v22, 16, v22
	s_waitcnt vmcnt(13)
	v_lshlrev_b32_e32 v21, 16, v21
	s_waitcnt lgkmcnt(3)
	v_fma_f32 v23, v68, v23, 0
	v_fmac_f32_e32 v23, v69, v22
	v_fmac_f32_e32 v23, v70, v21
	s_waitcnt vmcnt(12)
	v_lshlrev_b32_e32 v20, 16, v20
	s_waitcnt vmcnt(10)
	v_lshlrev_b32_e32 v19, 16, v19
	v_lshlrev_b32_e32 v18, 16, v18
	v_fmac_f32_e32 v23, v71, v20
	s_waitcnt lgkmcnt(2)
	v_pk_mul_f32 v[18:19], v[72:73], v[18:19]
	s_waitcnt vmcnt(8)
	v_lshlrev_b32_e32 v17, 16, v17
	v_add_f32_e32 v18, v23, v18
	v_lshlrev_b32_e32 v16, 16, v16
	v_add_f32_e32 v18, v18, v19
	v_pk_mul_f32 v[16:17], v[74:75], v[16:17]
	s_andn2_b64 vcc, exec, s[4:5]
	v_add_f32_e32 v16, v18, v16
	v_add_f32_e32 v18, v16, v17
	s_waitcnt vmcnt(6)
	v_lshlrev_b32_e32 v17, 16, v31
	v_lshlrev_b32_e32 v16, 16, v30
	s_waitcnt lgkmcnt(1)
	v_pk_mul_f32 v[16:17], v[76:77], v[16:17]
	s_nop 0
	v_add_f32_e32 v16, v18, v16
	v_add_f32_e32 v18, v16, v17
	s_waitcnt vmcnt(4)
	v_lshlrev_b32_e32 v17, 16, v29
	v_lshlrev_b32_e32 v16, 16, v28
	v_pk_mul_f32 v[16:17], v[78:79], v[16:17]
	s_nop 0
	v_add_f32_e32 v16, v18, v16
	v_add_f32_e32 v18, v16, v17
	s_waitcnt vmcnt(2)
	v_lshlrev_b32_e32 v17, 16, v27
	v_lshlrev_b32_e32 v16, 16, v26
	s_waitcnt lgkmcnt(0)
	v_pk_mul_f32 v[16:17], v[80:81], v[16:17]
	s_nop 0
	v_add_f32_e32 v16, v18, v16
	v_add_f32_e32 v18, v16, v17
	s_waitcnt vmcnt(0)
	v_lshlrev_b32_e32 v17, 16, v25
	v_lshlrev_b32_e32 v16, 16, v24
	v_pk_mul_f32 v[16:17], v[82:83], v[16:17]
	s_nop 0
	v_add_f32_e32 v16, v18, v16
	v_add_f32_e32 v108, v16, v17
	s_cbranch_vccnz .LBB649_15
; %bb.13:
	ds_read_b128 v[16:19], v3 offset:64
	v_lshlrev_b32_e32 v39, 16, v39
	ds_read_b128 v[20:23], v3 offset:80
	ds_read_b128 v[24:27], v3 offset:96
	;; [unrolled: 1-line block ×3, first 2 shown]
	v_lshlrev_b32_e32 v3, 16, v38
	s_cmpk_lt_u32 s28, 0x2001
	s_waitcnt lgkmcnt(3)
	v_fmac_f32_e32 v108, v16, v39
	v_fmac_f32_e32 v108, v17, v3
	v_lshlrev_b32_e32 v3, 16, v37
	v_fmac_f32_e32 v108, v18, v3
	v_lshlrev_b32_e32 v3, 16, v36
	v_fmac_f32_e32 v108, v19, v3
	v_lshlrev_b32_e32 v3, 16, v35
	s_waitcnt lgkmcnt(2)
	v_fmac_f32_e32 v108, v20, v3
	v_lshlrev_b32_e32 v3, 16, v34
	v_fmac_f32_e32 v108, v21, v3
	v_lshlrev_b32_e32 v3, 16, v33
	v_fmac_f32_e32 v108, v22, v3
	v_lshlrev_b32_e32 v3, 16, v32
	v_fmac_f32_e32 v108, v23, v3
	v_lshlrev_b32_e32 v3, 16, v47
	s_waitcnt lgkmcnt(1)
	v_fmac_f32_e32 v108, v24, v3
	v_lshlrev_b32_e32 v3, 16, v46
	;; [unrolled: 9-line block ×3, first 2 shown]
	v_fmac_f32_e32 v108, v29, v3
	v_lshlrev_b32_e32 v3, 16, v41
	v_fmac_f32_e32 v108, v30, v3
	v_lshlrev_b32_e32 v3, 16, v40
	v_fmac_f32_e32 v108, v31, v3
	s_cbranch_scc1 .LBB649_15
; %bb.14:
	v_mov_b32_e32 v3, 0
	ds_read_b128 v[16:19], v3 offset:128
	ds_read_b128 v[20:23], v3 offset:144
	;; [unrolled: 1-line block ×4, first 2 shown]
	s_waitcnt lgkmcnt(3)
	v_fmac_f32_e32 v108, v16, v67
	v_fmac_f32_e32 v108, v17, v65
	v_fmac_f32_e32 v108, v18, v66
	v_fmac_f32_e32 v108, v19, v63
	s_waitcnt lgkmcnt(2)
	v_fmac_f32_e32 v108, v20, v64
	v_fmac_f32_e32 v108, v21, v61
	v_fmac_f32_e32 v108, v22, v62
	v_fmac_f32_e32 v108, v23, v59
	;; [unrolled: 5-line block ×3, first 2 shown]
	ds_read_b128 v[16:19], v3 offset:192
	ds_read_b128 v[20:23], v3 offset:208
	s_waitcnt lgkmcnt(2)
	v_fmac_f32_e32 v108, v28, v56
	v_fmac_f32_e32 v108, v29, v53
	v_fmac_f32_e32 v108, v30, v54
	v_fmac_f32_e32 v108, v31, v52
	s_waitcnt lgkmcnt(1)
	v_fmac_f32_e32 v108, v16, v51
	v_fmac_f32_e32 v108, v17, v49
	;; [unrolled: 1-line block ×4, first 2 shown]
	s_waitcnt lgkmcnt(0)
	v_pk_mul_f32 v[14:15], v[20:21], v[14:15]
	v_pk_mul_f32 v[12:13], v[22:23], v[12:13]
	v_add_f32_e32 v14, v108, v14
	v_add_f32_e32 v18, v14, v15
	ds_read_b128 v[14:17], v3 offset:224
	v_add_f32_e32 v12, v18, v12
	ds_read_b128 v[18:21], v3 offset:240
	v_add_f32_e32 v12, v12, v13
	s_waitcnt lgkmcnt(1)
	v_pk_mul_f32 v[10:11], v[14:15], v[10:11]
	s_nop 0
	v_add_f32_e32 v3, v12, v10
	v_add_f32_e32 v3, v3, v11
	v_pk_mul_f32 v[8:9], v[16:17], v[8:9]
	s_waitcnt lgkmcnt(0)
	v_pk_mul_f32 v[6:7], v[18:19], v[6:7]
	v_add_f32_e32 v3, v3, v8
	v_add_f32_e32 v3, v3, v9
	;; [unrolled: 1-line block ×4, first 2 shown]
	v_pk_mul_f32 v[4:5], v[20:21], v[4:5]
	s_nop 0
	v_add_f32_e32 v3, v3, v4
	v_add_f32_e32 v108, v3, v5
.LBB649_15:
	s_load_dwordx2 s[4:5], s[0:1], 0x38
	s_cmpk_lt_i32 s28, 0x4001
	s_cbranch_scc1 .LBB649_17
; %bb.16:
	s_cmpk_lt_u32 s28, 0x4101
	s_cselect_b32 s8, s6, 0x2080
	s_ashr_i32 s9, s8, 31
	s_cmpk_lt_u32 s28, 0x4201
	v_lshl_add_u64 v[106:107], s[8:9], 1, v[0:1]
	s_cselect_b32 s8, s6, 0x2100
	s_ashr_i32 s9, s8, 31
	s_cmpk_lt_u32 s28, 0x4301
	v_lshl_add_u64 v[90:91], s[8:9], 1, v[0:1]
	;; [unrolled: 4-line block ×35, first 2 shown]
	s_cselect_b32 s8, s6, 0x3200
	s_ashr_i32 s9, s8, 31
	s_movk_i32 s7, 0x4000
	s_cmpk_lt_u32 s28, 0x6501
	v_add_co_u32_e32 v70, vcc, s7, v0
	v_lshl_add_u64 v[42:43], s[8:9], 1, v[0:1]
	s_cselect_b32 s8, s6, 0x3280
	v_addc_co_u32_e32 v71, vcc, 0, v1, vcc
	s_ashr_i32 s9, s8, 31
	global_load_ushort v3, v[70:71], off
	global_load_ushort v114, v[76:77], off
	s_cmpk_lt_u32 s28, 0x6601
	v_lshl_add_u64 v[44:45], s[8:9], 1, v[0:1]
	s_cselect_b32 s8, s6, 0x3300
	s_ashr_i32 s9, s8, 31
	s_cmpk_lt_u32 s28, 0x6701
	v_lshl_add_u64 v[46:47], s[8:9], 1, v[0:1]
	s_cselect_b32 s8, s6, 0x3380
	global_load_ushort v106, v[106:107], off
	s_ashr_i32 s9, s8, 31
	global_load_ushort v110, v[102:103], off
	global_load_ushort v107, v[90:91], off
	s_cmpk_lt_u32 s28, 0x6801
	global_load_ushort v104, v[104:105], off
	v_lshl_add_u64 v[48:49], s[8:9], 1, v[0:1]
	global_load_ushort v105, v[100:101], off
	global_load_ushort v109, v[94:95], off
	;; [unrolled: 1-line block ×3, first 2 shown]
	s_cselect_b32 s8, s6, 0x3400
	global_load_ushort v98, v[98:99], off
	s_ashr_i32 s9, s8, 31
	s_cmpk_lt_u32 s28, 0x6901
	v_lshl_add_u64 v[50:51], s[8:9], 1, v[0:1]
	s_cselect_b32 s8, s6, 0x3480
	s_ashr_i32 s9, s8, 31
	s_cmpk_lt_u32 s28, 0x6a01
	global_load_ushort v99, v[92:93], off
	v_lshl_add_u64 v[52:53], s[8:9], 1, v[0:1]
	s_cselect_b32 s8, s6, 0x3500
	global_load_ushort v112, v[86:87], off
	s_ashr_i32 s9, s8, 31
	global_load_ushort v88, v[88:89], off
	s_cmpk_lt_u32 s28, 0x6b01
	v_lshl_add_u64 v[54:55], s[8:9], 1, v[0:1]
	s_cselect_b32 s8, s6, 0x3580
	s_ashr_i32 s9, s8, 31
	s_cmpk_lt_u32 s28, 0x6c01
	v_lshl_add_u64 v[56:57], s[8:9], 1, v[0:1]
	s_cselect_b32 s8, s6, 0x3600
	s_ashr_i32 s9, s8, 31
	;; [unrolled: 4-line block ×5, first 2 shown]
	s_cmpk_lt_u32 s28, 0x7001
	global_load_ushort v89, v[82:83], off
	v_lshl_add_u64 v[64:65], s[8:9], 1, v[0:1]
	global_load_ushort v84, v[84:85], off
	s_cselect_b32 s8, s6, 0x3800
	s_ashr_i32 s9, s8, 31
	global_load_ushort v85, v[80:81], off
	global_load_ushort v113, v[78:79], off
	s_cmpk_lt_u32 s28, 0x7101
	v_lshl_add_u64 v[66:67], s[8:9], 1, v[0:1]
	s_cselect_b32 s8, s6, 0x3880
	s_ashr_i32 s9, s8, 31
	s_cmpk_lt_u32 s28, 0x7201
	v_lshl_add_u64 v[68:69], s[8:9], 1, v[0:1]
	s_cselect_b32 s8, s6, 0x3900
	s_ashr_i32 s9, s8, 31
	;; [unrolled: 4-line block ×14, first 2 shown]
	s_cmpk_lt_u32 s28, 0x7f01
	s_cselect_b32 s6, s6, 0x3f80
	s_ashr_i32 s7, s6, 31
	v_lshl_add_u64 v[78:79], s[8:9], 1, v[0:1]
	v_lshl_add_u64 v[0:1], s[6:7], 1, v[0:1]
	global_load_ushort v115, v[4:5], off
	global_load_ushort v116, v[6:7], off
	global_load_ushort v117, v[96:97], off
	global_load_ushort v118, v[92:93], off
	global_load_ushort v119, v[86:87], off
	global_load_ushort v120, v[82:83], off
	global_load_ushort v121, v[80:81], off
	global_load_ushort v122, v[78:79], off
	global_load_ushort v123, v[0:1], off
	global_load_ushort v124, v[8:9], off
	s_waitcnt vmcnt(26)
	v_lshlrev_b32_e32 v0, 16, v3
	v_mov_b32_e32 v3, 0
	global_load_ushort v1, v[10:11], off
	ds_read_b128 v[4:7], v3 offset:256
	ds_read_b128 v[8:11], v3 offset:272
	global_load_ushort v80, v[12:13], off
	global_load_ushort v81, v[14:15], off
	ds_read_b128 v[12:15], v3 offset:288
	ds_read_b128 v[76:79], v3 offset:304
	global_load_ushort v16, v[16:17], off
	s_waitcnt lgkmcnt(0)
	v_fmac_f32_e32 v108, v4, v0
	s_waitcnt vmcnt(28)
	v_lshlrev_b32_e32 v0, 16, v106
	v_fmac_f32_e32 v108, v5, v0
	global_load_ushort v0, v[18:19], off
	s_waitcnt vmcnt(27)
	v_lshlrev_b32_e32 v4, 16, v107
	v_fmac_f32_e32 v108, v6, v4
	s_waitcnt vmcnt(24)
	v_lshlrev_b32_e32 v4, 16, v109
	v_fmac_f32_e32 v108, v7, v4
	v_lshlrev_b32_e32 v4, 16, v104
	v_fmac_f32_e32 v108, v8, v4
	;; [unrolled: 2-line block ×4, first 2 shown]
	s_waitcnt vmcnt(23)
	v_lshlrev_b32_e32 v4, 16, v111
	v_fmac_f32_e32 v108, v11, v4
	s_waitcnt vmcnt(22)
	v_lshlrev_b32_e32 v4, 16, v98
	v_fmac_f32_e32 v108, v12, v4
	global_load_ushort v12, v[40:41], off
	s_waitcnt vmcnt(22)
	v_lshlrev_b32_e32 v4, 16, v99
	v_fmac_f32_e32 v108, v13, v4
	s_waitcnt vmcnt(21)
	v_lshlrev_b32_e32 v4, 16, v112
	v_fmac_f32_e32 v108, v14, v4
	;; [unrolled: 3-line block ×3, first 2 shown]
	global_load_ushort v15, v[50:51], off
	global_load_ushort v17, v[20:21], off
	;; [unrolled: 1-line block ×6, first 2 shown]
	s_waitcnt vmcnt(25)
	v_lshlrev_b32_e32 v4, 16, v89
	global_load_ushort v20, v[26:27], off
	global_load_ushort v21, v[28:29], off
	;; [unrolled: 1-line block ×14, first 2 shown]
	v_fmac_f32_e32 v108, v76, v4
	s_waitcnt vmcnt(38)
	v_lshlrev_b32_e32 v4, 16, v84
	v_fmac_f32_e32 v108, v77, v4
	s_waitcnt vmcnt(37)
	v_lshlrev_b32_e32 v4, 16, v85
	;; [unrolled: 3-line block ×3, first 2 shown]
	v_fmac_f32_e32 v108, v79, v4
	ds_read_b128 v[4:7], v3 offset:320
	ds_read_b128 v[8:11], v3 offset:336
	global_load_ushort v34, v[62:63], off
	global_load_ushort v35, v[64:65], off
	;; [unrolled: 1-line block ×3, first 2 shown]
	v_lshlrev_b32_e32 v36, 16, v114
	s_waitcnt lgkmcnt(1)
	v_fmac_f32_e32 v108, v4, v36
	global_load_ushort v36, v[68:69], off
	global_load_ushort v38, v[72:73], off
	;; [unrolled: 1-line block ×8, first 2 shown]
	s_waitcnt vmcnt(46)
	v_lshlrev_b32_e32 v4, 16, v115
	v_fmac_f32_e32 v108, v5, v4
	s_waitcnt vmcnt(45)
	v_lshlrev_b32_e32 v4, 16, v116
	v_fmac_f32_e32 v108, v6, v4
	;; [unrolled: 3-line block ×3, first 2 shown]
	ds_read_b128 v[4:7], v3 offset:352
	s_waitcnt vmcnt(36)
	v_lshlrev_b32_e32 v1, 16, v1
	s_waitcnt lgkmcnt(1)
	v_fmac_f32_e32 v108, v8, v1
	s_waitcnt vmcnt(35)
	v_lshlrev_b32_e32 v1, 16, v80
	v_fmac_f32_e32 v108, v9, v1
	s_waitcnt vmcnt(34)
	v_lshlrev_b32_e32 v1, 16, v81
	;; [unrolled: 3-line block ×3, first 2 shown]
	v_fmac_f32_e32 v108, v11, v1
	ds_read_b128 v[8:11], v3 offset:368
	s_waitcnt vmcnt(32)
	v_lshlrev_b32_e32 v0, 16, v0
	s_waitcnt lgkmcnt(1)
	v_fmac_f32_e32 v108, v4, v0
	s_waitcnt vmcnt(29)
	v_lshlrev_b32_e32 v0, 16, v17
	v_fmac_f32_e32 v108, v5, v0
	s_waitcnt vmcnt(28)
	v_lshlrev_b32_e32 v0, 16, v18
	;; [unrolled: 3-line block ×4, first 2 shown]
	ds_read_b128 v[4:7], v3 offset:384
	s_waitcnt lgkmcnt(1)
	v_fmac_f32_e32 v108, v8, v0
	s_waitcnt vmcnt(23)
	v_lshlrev_b32_e32 v0, 16, v21
	v_fmac_f32_e32 v108, v9, v0
	s_waitcnt vmcnt(22)
	v_lshlrev_b32_e32 v0, 16, v22
	;; [unrolled: 3-line block ×3, first 2 shown]
	v_fmac_f32_e32 v108, v11, v0
	ds_read_b128 v[8:11], v3 offset:400
	s_waitcnt vmcnt(20)
	v_lshlrev_b32_e32 v0, 16, v24
	s_waitcnt lgkmcnt(1)
	v_fmac_f32_e32 v108, v4, v0
	s_waitcnt vmcnt(19)
	v_lshlrev_b32_e32 v0, 16, v25
	v_fmac_f32_e32 v108, v5, v0
	s_waitcnt vmcnt(18)
	v_lshlrev_b32_e32 v0, 16, v26
	v_fmac_f32_e32 v108, v6, v0
	v_lshlrev_b32_e32 v0, 16, v12
	v_fmac_f32_e32 v108, v7, v0
	s_waitcnt vmcnt(17)
	v_lshlrev_b32_e32 v0, 16, v27
	ds_read_b128 v[4:7], v3 offset:416
	s_waitcnt lgkmcnt(1)
	v_fmac_f32_e32 v108, v8, v0
	v_lshlrev_b32_e32 v0, 16, v13
	v_fmac_f32_e32 v108, v9, v0
	s_waitcnt vmcnt(16)
	v_lshlrev_b32_e32 v0, 16, v28
	v_fmac_f32_e32 v108, v10, v0
	v_lshlrev_b32_e32 v0, 16, v14
	v_fmac_f32_e32 v108, v11, v0
	ds_read_b128 v[8:11], v3 offset:432
	v_lshlrev_b32_e32 v0, 16, v15
	s_waitcnt lgkmcnt(1)
	v_fmac_f32_e32 v108, v4, v0
	s_waitcnt vmcnt(15)
	v_lshlrev_b32_e32 v0, 16, v29
	v_fmac_f32_e32 v108, v5, v0
	s_waitcnt vmcnt(14)
	v_lshlrev_b32_e32 v0, 16, v30
	;; [unrolled: 3-line block ×4, first 2 shown]
	ds_read_b128 v[4:7], v3 offset:448
	s_waitcnt lgkmcnt(1)
	v_fmac_f32_e32 v108, v8, v0
	s_waitcnt vmcnt(11)
	v_lshlrev_b32_e32 v0, 16, v33
	v_fmac_f32_e32 v108, v9, v0
	s_waitcnt vmcnt(10)
	v_lshlrev_b32_e32 v0, 16, v34
	;; [unrolled: 3-line block ×3, first 2 shown]
	v_fmac_f32_e32 v108, v11, v0
	ds_read_b128 v[8:11], v3 offset:464
	s_waitcnt vmcnt(8)
	v_lshlrev_b32_e32 v0, 16, v37
	s_waitcnt lgkmcnt(1)
	v_fmac_f32_e32 v108, v4, v0
	s_waitcnt vmcnt(7)
	v_lshlrev_b32_e32 v0, 16, v36
	v_fmac_f32_e32 v108, v5, v0
	s_waitcnt vmcnt(6)
	v_lshlrev_b32_e32 v0, 16, v38
	;; [unrolled: 3-line block ×4, first 2 shown]
	v_lshlrev_b32_e32 v0, 16, v40
	s_waitcnt lgkmcnt(0)
	v_pk_mul_f32 v[0:1], v[8:9], v[0:1]
	s_nop 0
	v_add_f32_e32 v0, v108, v0
	v_add_f32_e32 v4, v0, v1
	s_waitcnt vmcnt(1)
	v_lshlrev_b32_e32 v1, 16, v43
	v_lshlrev_b32_e32 v0, 16, v42
	v_pk_mul_f32 v[0:1], v[10:11], v[0:1]
	ds_read_b128 v[8:11], v3 offset:496
	v_add_f32_e32 v0, v4, v0
	ds_read_b128 v[4:7], v3 offset:480
	v_add_f32_e32 v12, v0, v1
	v_lshlrev_b32_e32 v1, 16, v117
	s_waitcnt vmcnt(0)
	v_lshlrev_b32_e32 v0, 16, v44
	s_waitcnt lgkmcnt(0)
	v_pk_mul_f32 v[0:1], v[4:5], v[0:1]
	s_nop 0
	v_add_f32_e32 v0, v12, v0
	v_add_f32_e32 v3, v0, v1
	v_lshlrev_b32_e32 v1, 16, v119
	v_lshlrev_b32_e32 v0, 16, v118
	v_pk_mul_f32 v[0:1], v[6:7], v[0:1]
	s_nop 0
	v_add_f32_e32 v0, v3, v0
	v_add_f32_e32 v3, v0, v1
	v_lshlrev_b32_e32 v1, 16, v121
	v_lshlrev_b32_e32 v0, 16, v120
	;; [unrolled: 6-line block ×3, first 2 shown]
	v_pk_mul_f32 v[0:1], v[10:11], v[0:1]
	s_nop 0
	v_add_f32_e32 v0, v3, v0
	v_add_f32_e32 v108, v0, v1
.LBB649_17:
	v_mov_b32_e32 v0, 0
	ds_read_b32 v0, v0 offset:512
	s_waitcnt lgkmcnt(0)
	s_cmp_eq_u64 s[4:5], 0
	s_cbranch_scc1 .LBB649_26
; %bb.18:
	s_load_dword s6, s[4:5], 0x0
	s_waitcnt lgkmcnt(0)
	v_div_scale_f32 v1, s[4:5], s6, s6, 1.0
	v_rcp_f32_e32 v3, v1
	v_div_scale_f32 v4, vcc, 1.0, s6, 1.0
	v_fma_f32 v5, -v1, v3, 1.0
	v_fmac_f32_e32 v3, v5, v3
	v_mul_f32_e32 v5, v4, v3
	v_fma_f32 v6, -v1, v5, v4
	v_fmac_f32_e32 v5, v6, v3
	v_fma_f32 v1, -v1, v5, v4
	v_div_fmas_f32 v1, v1, v3, v5
	v_div_fixup_f32 v1, v1, s6, 1.0
	s_andn2_b64 vcc, exec, s[20:21]
	s_cbranch_vccnz .LBB649_20
.LBB649_19:
	s_add_u32 s4, s18, s22
	s_addc_u32 s5, s19, s23
	s_load_dword s16, s[4:5], 0x0
	s_mov_b32 s17, 0
.LBB649_20:
	v_add_f32_e32 v0, 0x358637bd, v0
	v_div_scale_f32 v3, s[4:5], v0, v0, 1.0
	v_rcp_f32_e32 v4, v3
	s_load_dwordx2 s[0:1], s[0:1], 0x0
	s_mov_b32 s4, 0x7f800000
	v_fma_f32 v5, -v3, v4, 1.0
	v_fmac_f32_e32 v4, v5, v4
	v_div_scale_f32 v5, vcc, 1.0, v0, 1.0
	v_mul_f32_e32 v6, v5, v4
	v_fma_f32 v7, -v3, v6, v5
	v_fmac_f32_e32 v6, v7, v4
	v_fma_f32 v3, -v3, v6, v5
	v_div_fmas_f32 v3, v3, v4, v6
	v_div_fixup_f32 v0, v3, v0, 1.0
	v_mul_f32_e32 v0, v108, v0
	v_mul_f32_e32 v1, v0, v1
	v_and_b32_e32 v0, 0x7f800000, v1
	v_cmp_ne_u32_e32 vcc, s4, v0
                                        ; implicit-def: $vgpr0
	s_and_saveexec_b64 s[4:5], vcc
	s_xor_b64 s[4:5], exec, s[4:5]
; %bb.21:
	v_bfe_u32 v0, v1, 16, 1
	s_movk_i32 s6, 0x7fff
	v_add3_u32 v0, v1, v0, s6
                                        ; implicit-def: $vgpr1
; %bb.22:
	s_andn2_saveexec_b64 s[4:5], s[4:5]
; %bb.23:
	v_mov_b32_e32 v0, 0
	v_or_b32_e32 v3, 0x10000, v1
	v_cmp_eq_u32_sdwa vcc, v1, v0 src0_sel:WORD_0 src1_sel:DWORD
	s_nop 1
	v_cndmask_b32_e32 v0, v3, v1, vcc
; %bb.24:
	s_or_b64 exec, exec, s[4:5]
	s_mul_i32 s4, s3, s17
	s_waitcnt lgkmcnt(0)
	s_mul_hi_u32 s5, s3, s16
	s_add_i32 s5, s5, s4
	s_mul_i32 s4, s3, s16
	s_lshl_b64 s[4:5], s[4:5], 8
	s_add_u32 s4, s0, s4
	s_mov_b32 s3, 0
	s_addc_u32 s5, s1, s5
	s_lshl_b64 s[0:1], s[2:3], 8
	s_add_u32 s0, s4, s0
	s_addc_u32 s1, s5, s1
	global_store_short_d16_hi v2, v0, s[0:1]
	s_endpgm
.LBB649_25:
	s_mov_b64 s[6:7], 0
	s_branch .LBB649_2
.LBB649_26:
	v_mov_b32_e32 v1, 1.0
	s_andn2_b64 vcc, exec, s[20:21]
	s_cbranch_vccz .LBB649_19
	s_branch .LBB649_20
	.section	.rodata,"a",@progbits
	.p2align	6, 0x0
	.amdhsa_kernel _Z35paged_attention_ll4mi_reduce_kernelI14__hip_bfloat16S0_Li128ELi128ELi256ELi2EEvPT0_PKfS4_PKT_PKiS9_iS4_
		.amdhsa_group_segment_fixed_size 516
		.amdhsa_private_segment_fixed_size 0
		.amdhsa_kernarg_size 320
		.amdhsa_user_sgpr_count 2
		.amdhsa_user_sgpr_dispatch_ptr 0
		.amdhsa_user_sgpr_queue_ptr 0
		.amdhsa_user_sgpr_kernarg_segment_ptr 1
		.amdhsa_user_sgpr_dispatch_id 0
		.amdhsa_user_sgpr_kernarg_preload_length 0
		.amdhsa_user_sgpr_kernarg_preload_offset 0
		.amdhsa_user_sgpr_private_segment_size 0
		.amdhsa_uses_dynamic_stack 0
		.amdhsa_enable_private_segment 0
		.amdhsa_system_sgpr_workgroup_id_x 1
		.amdhsa_system_sgpr_workgroup_id_y 1
		.amdhsa_system_sgpr_workgroup_id_z 0
		.amdhsa_system_sgpr_workgroup_info 0
		.amdhsa_system_vgpr_workitem_id 0
		.amdhsa_next_free_vgpr 125
		.amdhsa_next_free_sgpr 32
		.amdhsa_accum_offset 128
		.amdhsa_reserve_vcc 1
		.amdhsa_float_round_mode_32 0
		.amdhsa_float_round_mode_16_64 0
		.amdhsa_float_denorm_mode_32 3
		.amdhsa_float_denorm_mode_16_64 3
		.amdhsa_dx10_clamp 1
		.amdhsa_ieee_mode 1
		.amdhsa_fp16_overflow 0
		.amdhsa_tg_split 0
		.amdhsa_exception_fp_ieee_invalid_op 0
		.amdhsa_exception_fp_denorm_src 0
		.amdhsa_exception_fp_ieee_div_zero 0
		.amdhsa_exception_fp_ieee_overflow 0
		.amdhsa_exception_fp_ieee_underflow 0
		.amdhsa_exception_fp_ieee_inexact 0
		.amdhsa_exception_int_div_zero 0
	.end_amdhsa_kernel
	.section	.text._Z35paged_attention_ll4mi_reduce_kernelI14__hip_bfloat16S0_Li128ELi128ELi256ELi2EEvPT0_PKfS4_PKT_PKiS9_iS4_,"axG",@progbits,_Z35paged_attention_ll4mi_reduce_kernelI14__hip_bfloat16S0_Li128ELi128ELi256ELi2EEvPT0_PKfS4_PKT_PKiS9_iS4_,comdat
.Lfunc_end649:
	.size	_Z35paged_attention_ll4mi_reduce_kernelI14__hip_bfloat16S0_Li128ELi128ELi256ELi2EEvPT0_PKfS4_PKT_PKiS9_iS4_, .Lfunc_end649-_Z35paged_attention_ll4mi_reduce_kernelI14__hip_bfloat16S0_Li128ELi128ELi256ELi2EEvPT0_PKfS4_PKT_PKiS9_iS4_
                                        ; -- End function
	.section	.AMDGPU.csdata,"",@progbits
; Kernel info:
; codeLenInByte = 7984
; NumSgprs: 38
; NumVgprs: 125
; NumAgprs: 0
; TotalNumVgprs: 125
; ScratchSize: 0
; MemoryBound: 0
; FloatMode: 240
; IeeeMode: 1
; LDSByteSize: 516 bytes/workgroup (compile time only)
; SGPRBlocks: 4
; VGPRBlocks: 15
; NumSGPRsForWavesPerEU: 38
; NumVGPRsForWavesPerEU: 125
; AccumOffset: 128
; Occupancy: 4
; WaveLimiterHint : 1
; COMPUTE_PGM_RSRC2:SCRATCH_EN: 0
; COMPUTE_PGM_RSRC2:USER_SGPR: 2
; COMPUTE_PGM_RSRC2:TRAP_HANDLER: 0
; COMPUTE_PGM_RSRC2:TGID_X_EN: 1
; COMPUTE_PGM_RSRC2:TGID_Y_EN: 1
; COMPUTE_PGM_RSRC2:TGID_Z_EN: 0
; COMPUTE_PGM_RSRC2:TIDIG_COMP_CNT: 0
; COMPUTE_PGM_RSRC3_GFX90A:ACCUM_OFFSET: 31
; COMPUTE_PGM_RSRC3_GFX90A:TG_SPLIT: 0
	.section	.text._Z35paged_attention_ll4mi_reduce_kernelI14__hip_bfloat16S0_Li128ELi128ELi256ELi3EEvPT0_PKfS4_PKT_PKiS9_iS4_,"axG",@progbits,_Z35paged_attention_ll4mi_reduce_kernelI14__hip_bfloat16S0_Li128ELi128ELi256ELi3EEvPT0_PKfS4_PKT_PKiS9_iS4_,comdat
	.protected	_Z35paged_attention_ll4mi_reduce_kernelI14__hip_bfloat16S0_Li128ELi128ELi256ELi3EEvPT0_PKfS4_PKT_PKiS9_iS4_ ; -- Begin function _Z35paged_attention_ll4mi_reduce_kernelI14__hip_bfloat16S0_Li128ELi128ELi256ELi3EEvPT0_PKfS4_PKT_PKiS9_iS4_
	.globl	_Z35paged_attention_ll4mi_reduce_kernelI14__hip_bfloat16S0_Li128ELi128ELi256ELi3EEvPT0_PKfS4_PKT_PKiS9_iS4_
	.p2align	8
	.type	_Z35paged_attention_ll4mi_reduce_kernelI14__hip_bfloat16S0_Li128ELi128ELi256ELi3EEvPT0_PKfS4_PKT_PKiS9_iS4_,@function
_Z35paged_attention_ll4mi_reduce_kernelI14__hip_bfloat16S0_Li128ELi128ELi256ELi3EEvPT0_PKfS4_PKT_PKiS9_iS4_: ; @_Z35paged_attention_ll4mi_reduce_kernelI14__hip_bfloat16S0_Li128ELi128ELi256ELi3EEvPT0_PKfS4_PKT_PKiS9_iS4_
; %bb.0:
	s_load_dwordx2 s[20:21], s[0:1], 0x28
	s_mov_b32 s10, s3
	s_mov_b64 s[4:5], 0
	s_waitcnt lgkmcnt(0)
	s_cmp_lg_u64 s[20:21], 0
	s_cselect_b64 s[22:23], -1, 0
	s_and_b64 vcc, exec, s[22:23]
	s_cbranch_vccz .LBB650_25
; %bb.1:
	s_add_i32 s6, s10, 1
	s_mov_b32 s7, 0
	s_lshl_b64 s[8:9], s[6:7], 2
	s_add_u32 s8, s20, s8
	s_mov_b32 s11, s7
	s_addc_u32 s9, s21, s9
	s_lshl_b64 s[6:7], s[10:11], 2
	s_add_u32 s6, s20, s6
	s_addc_u32 s7, s21, s7
	s_load_dword s3, s[8:9], 0x0
	s_load_dword s12, s[6:7], 0x0
	s_waitcnt lgkmcnt(0)
	s_sub_i32 s3, s3, s12
	s_cmp_eq_u32 s3, 1
	s_cselect_b64 s[6:7], -1, 0
	s_andn2_b64 vcc, exec, s[4:5]
	s_cbranch_vccnz .LBB650_3
.LBB650_2:
	s_mov_b32 s11, 0
	s_mov_b64 s[6:7], -1
.LBB650_3:
	s_andn2_b64 vcc, exec, s[6:7]
	s_cbranch_vccz .LBB650_5
; %bb.4:
	s_endpgm
.LBB650_5:
	s_load_dwordx4 s[12:15], s[0:1], 0x18
	s_load_dword s8, s[0:1], 0x30
	s_lshl_b64 s[24:25], s[10:11], 2
	v_cmp_lt_u32_e32 vcc, 63, v0
	s_waitcnt lgkmcnt(0)
	s_add_u32 s4, s14, s24
	s_addc_u32 s5, s15, s25
	s_load_dword s30, s[4:5], 0x0
	s_load_dword s3, s[0:1], 0x40
	s_mul_i32 s14, s2, s8
	s_mul_i32 s6, s10, s8
	s_waitcnt lgkmcnt(0)
	s_add_i32 s7, s30, 0xff
	s_ashr_i32 s4, s7, 31
	s_lshr_b32 s4, s4, 24
	s_add_i32 s7, s7, s4
	s_and_saveexec_b64 s[4:5], vcc
	s_xor_b64 s[4:5], exec, s[4:5]
	s_or_saveexec_b64 s[26:27], s[4:5]
	s_ashr_i32 s31, s7, 8
	v_mov_b32_e32 v1, s14
	s_mul_i32 s28, s6, s3
	s_xor_b64 exec, exec, s[26:27]
	s_cbranch_execz .LBB650_9
; %bb.6:
	s_load_dwordx4 s[16:19], s[0:1], 0x8
	s_mov_b32 s29, 0
	s_add_i32 s4, s31, -1
	v_or_b32_e32 v3, 64, v0
	v_mov_b32_e32 v1, s4
	v_cmp_gt_u32_e64 s[4:5], s31, v3
	s_lshl_b64 s[34:35], s[28:29], 2
	s_mov_b32 s15, s29
	v_cmp_gt_u32_e32 vcc, s31, v0
	v_cndmask_b32_e64 v4, v1, v3, s[4:5]
	v_or_b32_e32 v3, 0x80, v0
	s_waitcnt lgkmcnt(0)
	s_add_u32 s8, s18, s34
	v_cndmask_b32_e32 v2, v1, v0, vcc
	v_cmp_gt_u32_e64 s[6:7], s31, v3
	s_addc_u32 s9, s19, s35
	s_lshl_b64 s[18:19], s[14:15], 2
	v_cndmask_b32_e64 v6, v1, v3, s[6:7]
	s_add_u32 s8, s8, s18
	v_ashrrev_i32_e32 v3, 31, v2
	s_addc_u32 s9, s9, s19
	v_lshlrev_b64 v[2:3], 2, v[2:3]
	v_ashrrev_i32_e32 v5, 31, v4
	v_ashrrev_i32_e32 v7, 31, v6
	v_lshl_add_u64 v[8:9], s[8:9], 0, v[2:3]
	v_lshlrev_b64 v[4:5], 2, v[4:5]
	v_lshlrev_b64 v[6:7], 2, v[6:7]
	v_lshl_add_u64 v[10:11], s[8:9], 0, v[4:5]
	v_lshl_add_u64 v[12:13], s[8:9], 0, v[6:7]
	global_load_dword v1, v[8:9], off
	global_load_dword v14, v[10:11], off
	;; [unrolled: 1-line block ×3, first 2 shown]
	v_mbcnt_lo_u32_b32 v8, -1, 0
	v_mbcnt_hi_u32_b32 v8, -1, v8
	v_and_b32_e32 v9, 64, v8
	v_xor_b32_e32 v10, 32, v8
	v_add_u32_e32 v9, 64, v9
	v_xor_b32_e32 v11, 16, v8
	v_cmp_lt_i32_e64 s[8:9], v10, v9
	v_xor_b32_e32 v12, 8, v8
	s_mov_b32 s15, 0xc2ce8ed0
	v_cndmask_b32_e64 v10, v8, v10, s[8:9]
	v_cmp_lt_i32_e64 s[8:9], v11, v9
	v_lshlrev_b32_e32 v10, 2, v10
	s_waitcnt vmcnt(0)
	v_max3_f32 v13, v1, v14, v15
	v_cndmask_b32_e64 v11, v8, v11, s[8:9]
	v_cmp_lt_i32_e64 s[8:9], v12, v9
	ds_bpermute_b32 v16, v10, v13
	v_lshlrev_b32_e32 v11, 2, v11
	v_cndmask_b32_e64 v12, v8, v12, s[8:9]
	s_add_u32 s8, s16, s34
	s_addc_u32 s9, s17, s35
	s_add_u32 s8, s8, s18
	s_addc_u32 s9, s9, s19
	v_lshl_add_u64 v[2:3], s[8:9], 0, v[2:3]
	v_lshl_add_u64 v[4:5], s[8:9], 0, v[4:5]
	global_load_dword v17, v[2:3], off
	global_load_dword v18, v[4:5], off
	v_lshl_add_u64 v[2:3], s[8:9], 0, v[6:7]
	global_load_dword v3, v[2:3], off
	s_waitcnt lgkmcnt(0)
	v_max_f32_e32 v16, v16, v16
	v_max_f32_e32 v13, v13, v16
	ds_bpermute_b32 v16, v11, v13
	v_lshlrev_b32_e32 v12, 2, v12
	v_xor_b32_e32 v5, 4, v8
	v_cmp_lt_i32_e64 s[8:9], v5, v9
	v_xor_b32_e32 v6, 2, v8
	s_waitcnt lgkmcnt(0)
	v_max_f32_e32 v2, v16, v16
	v_max_f32_e32 v2, v13, v2
	ds_bpermute_b32 v4, v12, v2
	v_cndmask_b32_e64 v5, v8, v5, s[8:9]
	v_lshlrev_b32_e32 v5, 2, v5
	v_cmp_lt_i32_e64 s[8:9], v6, v9
	v_xor_b32_e32 v7, 1, v8
	s_waitcnt lgkmcnt(0)
	v_max_f32_e32 v4, v4, v4
	v_max_f32_e32 v2, v2, v4
	ds_bpermute_b32 v4, v5, v2
	v_cndmask_b32_e64 v6, v8, v6, s[8:9]
	v_lshlrev_b32_e32 v6, 2, v6
	v_cmp_lt_i32_e64 s[8:9], v7, v9
	s_mov_b32 s16, 0x42b17218
	s_waitcnt lgkmcnt(0)
	v_max_f32_e32 v4, v4, v4
	v_max_f32_e32 v2, v2, v4
	ds_bpermute_b32 v4, v6, v2
	v_cndmask_b32_e64 v7, v8, v7, s[8:9]
	v_lshlrev_b32_e32 v7, 2, v7
	s_mov_b32 s8, 0x3fb8aa3b
	v_mov_b32_e32 v8, 0x7f800000
	s_waitcnt lgkmcnt(0)
	v_max_f32_e32 v4, v4, v4
	v_max_f32_e32 v2, v2, v4
	ds_bpermute_b32 v4, v7, v2
	s_waitcnt lgkmcnt(0)
	v_max_f32_e32 v4, v4, v4
	v_max_f32_e32 v2, v2, v4
	v_sub_f32_e32 v1, v1, v2
	v_sub_f32_e32 v4, v14, v2
	v_mul_f32_e32 v9, 0x3fb8aa3b, v1
	v_sub_f32_e32 v2, v15, v2
	v_mul_f32_e32 v13, 0x3fb8aa3b, v4
	v_fma_f32 v15, v1, s8, -v9
	v_rndne_f32_e32 v16, v9
	v_mul_f32_e32 v14, 0x3fb8aa3b, v2
	v_fma_f32 v19, v4, s8, -v13
	v_rndne_f32_e32 v20, v13
	v_fmac_f32_e32 v15, 0x32a5705f, v1
	v_sub_f32_e32 v9, v9, v16
	v_fma_f32 v21, v2, s8, -v14
	v_rndne_f32_e32 v22, v14
	v_fmac_f32_e32 v19, 0x32a5705f, v4
	v_sub_f32_e32 v13, v13, v20
	v_add_f32_e32 v9, v9, v15
	v_cvt_i32_f32_e32 v16, v16
	v_fmac_f32_e32 v21, 0x32a5705f, v2
	v_sub_f32_e32 v14, v14, v22
	v_add_f32_e32 v13, v13, v19
	v_exp_f32_e32 v9, v9
	v_cvt_i32_f32_e32 v20, v20
	v_add_f32_e32 v14, v14, v21
	v_exp_f32_e32 v13, v13
	v_cvt_i32_f32_e32 v22, v22
	v_exp_f32_e32 v14, v14
	v_ldexp_f32 v9, v9, v16
	v_cmp_ngt_f32_e64 s[8:9], s15, v1
	v_ldexp_f32 v13, v13, v20
	v_ldexp_f32 v14, v14, v22
	v_cndmask_b32_e64 v9, 0, v9, s[8:9]
	v_cmp_ngt_f32_e64 s[8:9], s15, v4
	v_lshlrev_b32_e32 v15, 2, v0
	s_nop 0
	v_cndmask_b32_e64 v13, 0, v13, s[8:9]
	v_cmp_ngt_f32_e64 s[8:9], s15, v2
	s_nop 1
	v_cndmask_b32_e64 v14, 0, v14, s[8:9]
	v_cmp_nlt_f32_e64 s[8:9], s16, v1
	s_nop 1
	v_cndmask_b32_e64 v1, v8, v9, s[8:9]
	v_cmp_nlt_f32_e64 s[8:9], s16, v4
	v_cndmask_b32_e32 v1, 0, v1, vcc
	s_waitcnt vmcnt(2)
	v_mul_f32_e32 v1, v17, v1
	v_cndmask_b32_e64 v4, v8, v13, s[8:9]
	v_cmp_nlt_f32_e64 s[8:9], s16, v2
	v_cndmask_b32_e64 v4, 0, v4, s[4:5]
	v_cmp_eq_u32_e32 vcc, 0, v0
	v_cndmask_b32_e64 v2, v8, v14, s[8:9]
	v_cndmask_b32_e64 v8, 0, v2, s[6:7]
	s_waitcnt vmcnt(1)
	v_mul_f32_e32 v2, v18, v4
	ds_write2st64_b32 v15, v1, v2 offset1:1
	v_fmac_f32_e32 v1, v18, v4
	s_waitcnt vmcnt(0)
	v_fmac_f32_e32 v1, v3, v8
	ds_bpermute_b32 v2, v10, v1
	v_mul_f32_e32 v3, v3, v8
	ds_write_b32 v15, v3 offset:512
	s_waitcnt lgkmcnt(1)
	v_add_f32_e32 v1, v1, v2
	ds_bpermute_b32 v2, v11, v1
	s_waitcnt lgkmcnt(0)
	v_add_f32_e32 v1, v1, v2
	ds_bpermute_b32 v2, v12, v1
	;; [unrolled: 3-line block ×5, first 2 shown]
	s_and_saveexec_b64 s[4:5], vcc
	s_cbranch_execz .LBB650_8
; %bb.7:
	s_waitcnt lgkmcnt(0)
	v_add_f32_e32 v1, v1, v2
	v_mov_b32_e32 v2, 0
	ds_write_b32 v2, v1 offset:768
.LBB650_8:
	s_or_b64 exec, exec, s[4:5]
	v_mov_b32_e32 v1, s14
.LBB650_9:
	s_or_b64 exec, exec, s[26:27]
	s_lshl_b32 s4, s28, 7
	s_mov_b32 s5, 0
	s_lshl_b64 s[4:5], s[4:5], 1
	s_add_u32 s4, s12, s4
	s_addc_u32 s5, s13, s5
	s_lshl_b32 s6, s31, 7
	s_addk_i32 s6, 0xff80
	s_waitcnt lgkmcnt(0)
	v_lshlrev_b32_e32 v2, 7, v1
	v_mov_b32_e32 v3, 0
	s_cmp_lt_i32 s30, 1
	v_lshl_add_u64 v[4:5], v[2:3], 1, s[4:5]
	s_cselect_b32 s4, s6, 0
	v_lshlrev_b32_e32 v2, 1, v0
	s_ashr_i32 s5, s4, 31
	v_lshl_add_u64 v[0:1], v[4:5], 0, v[2:3]
	s_cmpk_lt_i32 s30, 0x101
	v_lshl_add_u64 v[4:5], s[4:5], 1, v[0:1]
	s_cselect_b32 s4, s6, 0x80
	s_ashr_i32 s5, s4, 31
	s_cmpk_lt_i32 s30, 0x201
	v_lshl_add_u64 v[6:7], s[4:5], 1, v[0:1]
	s_cselect_b32 s4, s6, 0x100
	s_ashr_i32 s5, s4, 31
	;; [unrolled: 4-line block ×8, first 2 shown]
	s_cmpk_lt_i32 s30, 0x901
	global_load_ushort v23, v[4:5], off
	global_load_ushort v22, v[6:7], off
	;; [unrolled: 1-line block ×8, first 2 shown]
	v_lshl_add_u64 v[4:5], s[4:5], 1, v[0:1]
	s_cselect_b32 s4, s6, 0x480
	s_ashr_i32 s5, s4, 31
	s_cmpk_lt_i32 s30, 0xa01
	v_lshl_add_u64 v[6:7], s[4:5], 1, v[0:1]
	s_cselect_b32 s4, s6, 0x500
	s_ashr_i32 s5, s4, 31
	s_cmpk_lt_i32 s30, 0xb01
	;; [unrolled: 4-line block ×6, first 2 shown]
	v_lshl_add_u64 v[32:33], s[4:5], 1, v[0:1]
	s_cselect_b32 s4, s6, 0x780
	s_ashr_i32 s5, s4, 31
	v_lshl_add_u64 v[34:35], s[4:5], 1, v[0:1]
	global_load_ushort v30, v[4:5], off
	global_load_ushort v31, v[6:7], off
	;; [unrolled: 1-line block ×8, first 2 shown]
	s_cmpk_gt_i32 s30, 0x1000
	s_cselect_b64 s[4:5], -1, 0
	s_cmpk_lt_i32 s30, 0x1001
	v_mov_b32_e32 v40, 0
	v_mov_b32_e32 v41, 0
	;; [unrolled: 1-line block ×48, first 2 shown]
	s_barrier
	s_cbranch_scc1 .LBB650_12
; %bb.10:
	s_cmpk_lt_u32 s30, 0x1101
	s_cselect_b32 s8, s6, 0x880
	s_ashr_i32 s9, s8, 31
	s_cmpk_lt_u32 s30, 0x1201
	v_lshl_add_u64 v[6:7], s[8:9], 1, v[0:1]
	s_cselect_b32 s8, s6, 0x900
	s_ashr_i32 s9, s8, 31
	s_cmpk_lt_u32 s30, 0x1301
	v_lshl_add_u64 v[8:9], s[8:9], 1, v[0:1]
	;; [unrolled: 4-line block ×7, first 2 shown]
	s_cselect_b32 s8, s6, 0xc00
	v_add_co_u32_e32 v4, vcc, 0x1000, v0
	s_ashr_i32 s9, s8, 31
	s_nop 0
	v_addc_co_u32_e32 v5, vcc, 0, v1, vcc
	s_cmpk_lt_u32 s30, 0x1901
	global_load_ushort v39, v[4:5], off
	global_load_ushort v38, v[6:7], off
	;; [unrolled: 1-line block ×8, first 2 shown]
	v_lshl_add_u64 v[4:5], s[8:9], 1, v[0:1]
	s_cselect_b32 s8, s6, 0xc80
	s_ashr_i32 s9, s8, 31
	s_cmpk_lt_u32 s30, 0x1a01
	v_lshl_add_u64 v[6:7], s[8:9], 1, v[0:1]
	s_cselect_b32 s8, s6, 0xd00
	s_ashr_i32 s9, s8, 31
	s_cmpk_lt_u32 s30, 0x1b01
	;; [unrolled: 4-line block ×6, first 2 shown]
	v_lshl_add_u64 v[48:49], s[8:9], 1, v[0:1]
	s_cselect_b32 s8, s6, 0xf80
	s_ashr_i32 s9, s8, 31
	v_lshl_add_u64 v[50:51], s[8:9], 1, v[0:1]
	global_load_ushort v47, v[4:5], off
	global_load_ushort v46, v[6:7], off
	;; [unrolled: 1-line block ×8, first 2 shown]
	s_cmpk_lt_u32 s30, 0x2001
	v_mov_b32_e32 v67, 0
	v_mov_b32_e32 v65, 0
	;; [unrolled: 1-line block ×32, first 2 shown]
	s_cbranch_scc1 .LBB650_12
; %bb.11:
	s_cmpk_lt_u32 s30, 0x2101
	s_cselect_b32 s8, s6, 0x1080
	s_ashr_i32 s9, s8, 31
	s_cmpk_lt_u32 s30, 0x2201
	v_lshl_add_u64 v[4:5], s[8:9], 1, v[0:1]
	s_cselect_b32 s8, s6, 0x1100
	s_ashr_i32 s9, s8, 31
	s_cmpk_lt_u32 s30, 0x2301
	v_lshl_add_u64 v[6:7], s[8:9], 1, v[0:1]
	;; [unrolled: 4-line block ×29, first 2 shown]
	s_cselect_b32 s8, s6, 0x1f00
	s_ashr_i32 s9, s8, 31
	s_movk_i32 s7, 0x2000
	s_cmpk_lt_u32 s30, 0x3f01
	v_lshl_add_u64 v[94:95], s[8:9], 1, v[0:1]
	v_add_co_u32_e32 v96, vcc, s7, v0
	s_cselect_b32 s8, s6, 0x1f80
	s_nop 0
	v_addc_co_u32_e32 v97, vcc, 0, v1, vcc
	s_ashr_i32 s9, s8, 31
	global_load_ushort v98, v[96:97], off
	global_load_ushort v99, v[4:5], off
	;; [unrolled: 1-line block ×15, first 2 shown]
                                        ; kill: killed $vgpr62_vgpr63
                                        ; kill: killed $vgpr14_vgpr15
                                        ; kill: killed $vgpr96 killed $vgpr97
                                        ; kill: killed $vgpr52_vgpr53
                                        ; kill: killed $vgpr4_vgpr5
                                        ; kill: killed $vgpr58_vgpr59
                                        ; kill: killed $vgpr10_vgpr11
                                        ; kill: killed $vgpr48_vgpr49
                                        ; kill: killed $vgpr54_vgpr55
                                        ; kill: killed $vgpr6_vgpr7
                                        ; kill: killed $vgpr60_vgpr61
                                        ; kill: killed $vgpr12_vgpr13
                                        ; kill: killed $vgpr50_vgpr51
                                        ; kill: killed $vgpr56_vgpr57
                                        ; kill: killed $vgpr8_vgpr9
	global_load_ushort v6, v[64:65], off
	global_load_ushort v7, v[66:67], off
	;; [unrolled: 1-line block ×15, first 2 shown]
                                        ; kill: killed $vgpr94_vgpr95
                                        ; kill: killed $vgpr78_vgpr79
                                        ; kill: killed $vgpr84_vgpr85
                                        ; kill: killed $vgpr68_vgpr69
                                        ; kill: killed $vgpr90_vgpr91
                                        ; kill: killed $vgpr74_vgpr75
                                        ; kill: killed $vgpr80_vgpr81
                                        ; kill: killed $vgpr64_vgpr65
                                        ; kill: killed $vgpr70_vgpr71
                                        ; kill: killed $vgpr92_vgpr93
                                        ; kill: killed $vgpr76_vgpr77
                                        ; kill: killed $vgpr82_vgpr83
                                        ; kill: killed $vgpr66_vgpr67
                                        ; kill: killed $vgpr88_vgpr89
                                        ; kill: killed $vgpr72_vgpr73
	global_load_ushort v68, v[86:87], off
	v_lshl_add_u64 v[4:5], s[8:9], 1, v[0:1]
	global_load_ushort v5, v[4:5], off
	s_waitcnt vmcnt(31)
	v_lshlrev_b32_e32 v67, 16, v98
	s_waitcnt vmcnt(30)
	v_lshlrev_b32_e32 v65, 16, v99
	;; [unrolled: 2-line block ×32, first 2 shown]
.LBB650_12:
	ds_read_b128 v[68:71], v3
	s_waitcnt vmcnt(15)
	v_lshlrev_b32_e32 v23, 16, v23
	ds_read_b128 v[72:75], v3 offset:16
	ds_read_b128 v[76:79], v3 offset:32
	ds_read_b128 v[80:83], v3 offset:48
	s_waitcnt vmcnt(14)
	v_lshlrev_b32_e32 v22, 16, v22
	s_waitcnt vmcnt(13)
	v_lshlrev_b32_e32 v21, 16, v21
	s_waitcnt lgkmcnt(3)
	v_fma_f32 v23, v68, v23, 0
	v_fmac_f32_e32 v23, v69, v22
	v_fmac_f32_e32 v23, v70, v21
	s_waitcnt vmcnt(12)
	v_lshlrev_b32_e32 v20, 16, v20
	s_waitcnt vmcnt(10)
	v_lshlrev_b32_e32 v19, 16, v19
	v_lshlrev_b32_e32 v18, 16, v18
	v_fmac_f32_e32 v23, v71, v20
	s_waitcnt lgkmcnt(2)
	v_pk_mul_f32 v[18:19], v[72:73], v[18:19]
	s_waitcnt vmcnt(8)
	v_lshlrev_b32_e32 v17, 16, v17
	v_add_f32_e32 v18, v23, v18
	v_lshlrev_b32_e32 v16, 16, v16
	v_add_f32_e32 v18, v18, v19
	v_pk_mul_f32 v[16:17], v[74:75], v[16:17]
	s_andn2_b64 vcc, exec, s[4:5]
	v_add_f32_e32 v16, v18, v16
	v_add_f32_e32 v18, v16, v17
	s_waitcnt vmcnt(6)
	v_lshlrev_b32_e32 v17, 16, v31
	v_lshlrev_b32_e32 v16, 16, v30
	s_waitcnt lgkmcnt(1)
	v_pk_mul_f32 v[16:17], v[76:77], v[16:17]
	s_nop 0
	v_add_f32_e32 v16, v18, v16
	v_add_f32_e32 v18, v16, v17
	s_waitcnt vmcnt(4)
	v_lshlrev_b32_e32 v17, 16, v29
	v_lshlrev_b32_e32 v16, 16, v28
	v_pk_mul_f32 v[16:17], v[78:79], v[16:17]
	s_nop 0
	v_add_f32_e32 v16, v18, v16
	v_add_f32_e32 v18, v16, v17
	s_waitcnt vmcnt(2)
	v_lshlrev_b32_e32 v17, 16, v27
	v_lshlrev_b32_e32 v16, 16, v26
	s_waitcnt lgkmcnt(0)
	v_pk_mul_f32 v[16:17], v[80:81], v[16:17]
	s_nop 0
	v_add_f32_e32 v16, v18, v16
	v_add_f32_e32 v18, v16, v17
	s_waitcnt vmcnt(0)
	v_lshlrev_b32_e32 v17, 16, v25
	v_lshlrev_b32_e32 v16, 16, v24
	v_pk_mul_f32 v[16:17], v[82:83], v[16:17]
	s_nop 0
	v_add_f32_e32 v16, v18, v16
	v_add_f32_e32 v108, v16, v17
	s_cbranch_vccnz .LBB650_15
; %bb.13:
	ds_read_b128 v[16:19], v3 offset:64
	v_lshlrev_b32_e32 v39, 16, v39
	ds_read_b128 v[20:23], v3 offset:80
	ds_read_b128 v[24:27], v3 offset:96
	ds_read_b128 v[28:31], v3 offset:112
	v_lshlrev_b32_e32 v3, 16, v38
	s_cmpk_lt_u32 s30, 0x2001
	s_waitcnt lgkmcnt(3)
	v_fmac_f32_e32 v108, v16, v39
	v_fmac_f32_e32 v108, v17, v3
	v_lshlrev_b32_e32 v3, 16, v37
	v_fmac_f32_e32 v108, v18, v3
	v_lshlrev_b32_e32 v3, 16, v36
	v_fmac_f32_e32 v108, v19, v3
	v_lshlrev_b32_e32 v3, 16, v35
	s_waitcnt lgkmcnt(2)
	v_fmac_f32_e32 v108, v20, v3
	v_lshlrev_b32_e32 v3, 16, v34
	v_fmac_f32_e32 v108, v21, v3
	v_lshlrev_b32_e32 v3, 16, v33
	v_fmac_f32_e32 v108, v22, v3
	v_lshlrev_b32_e32 v3, 16, v32
	v_fmac_f32_e32 v108, v23, v3
	v_lshlrev_b32_e32 v3, 16, v47
	s_waitcnt lgkmcnt(1)
	v_fmac_f32_e32 v108, v24, v3
	v_lshlrev_b32_e32 v3, 16, v46
	;; [unrolled: 9-line block ×3, first 2 shown]
	v_fmac_f32_e32 v108, v29, v3
	v_lshlrev_b32_e32 v3, 16, v41
	v_fmac_f32_e32 v108, v30, v3
	v_lshlrev_b32_e32 v3, 16, v40
	v_fmac_f32_e32 v108, v31, v3
	s_cbranch_scc1 .LBB650_15
; %bb.14:
	v_mov_b32_e32 v3, 0
	ds_read_b128 v[16:19], v3 offset:128
	ds_read_b128 v[20:23], v3 offset:144
	;; [unrolled: 1-line block ×4, first 2 shown]
	s_waitcnt lgkmcnt(3)
	v_fmac_f32_e32 v108, v16, v67
	v_fmac_f32_e32 v108, v17, v65
	v_fmac_f32_e32 v108, v18, v66
	v_fmac_f32_e32 v108, v19, v63
	s_waitcnt lgkmcnt(2)
	v_fmac_f32_e32 v108, v20, v64
	v_fmac_f32_e32 v108, v21, v61
	v_fmac_f32_e32 v108, v22, v62
	v_fmac_f32_e32 v108, v23, v59
	;; [unrolled: 5-line block ×3, first 2 shown]
	ds_read_b128 v[16:19], v3 offset:192
	ds_read_b128 v[20:23], v3 offset:208
	s_waitcnt lgkmcnt(2)
	v_fmac_f32_e32 v108, v28, v56
	v_fmac_f32_e32 v108, v29, v53
	;; [unrolled: 1-line block ×4, first 2 shown]
	s_waitcnt lgkmcnt(1)
	v_fmac_f32_e32 v108, v16, v51
	v_fmac_f32_e32 v108, v17, v49
	;; [unrolled: 1-line block ×4, first 2 shown]
	s_waitcnt lgkmcnt(0)
	v_pk_mul_f32 v[14:15], v[20:21], v[14:15]
	v_pk_mul_f32 v[12:13], v[22:23], v[12:13]
	v_add_f32_e32 v14, v108, v14
	v_add_f32_e32 v18, v14, v15
	ds_read_b128 v[14:17], v3 offset:224
	v_add_f32_e32 v12, v18, v12
	ds_read_b128 v[18:21], v3 offset:240
	v_add_f32_e32 v12, v12, v13
	s_waitcnt lgkmcnt(1)
	v_pk_mul_f32 v[10:11], v[14:15], v[10:11]
	s_nop 0
	v_add_f32_e32 v3, v12, v10
	v_add_f32_e32 v3, v3, v11
	v_pk_mul_f32 v[8:9], v[16:17], v[8:9]
	s_waitcnt lgkmcnt(0)
	v_pk_mul_f32 v[6:7], v[18:19], v[6:7]
	v_add_f32_e32 v3, v3, v8
	v_add_f32_e32 v3, v3, v9
	;; [unrolled: 1-line block ×4, first 2 shown]
	v_pk_mul_f32 v[4:5], v[20:21], v[4:5]
	s_nop 0
	v_add_f32_e32 v3, v3, v4
	v_add_f32_e32 v108, v3, v5
.LBB650_15:
	s_cmpk_lt_i32 s30, 0x4001
	s_cbranch_scc0 .LBB650_26
; %bb.16:
	s_load_dwordx2 s[4:5], s[0:1], 0x38
	s_cmp_lt_i32 s30, 0x8001
	s_cbranch_scc0 .LBB650_27
.LBB650_17:
	v_mov_b32_e32 v0, 0
	ds_read_b32 v0, v0 offset:768
	s_waitcnt lgkmcnt(0)
	s_cmp_eq_u64 s[4:5], 0
	s_cbranch_scc1 .LBB650_28
.LBB650_18:
	s_load_dword s6, s[4:5], 0x0
	s_waitcnt lgkmcnt(0)
	v_div_scale_f32 v1, s[4:5], s6, s6, 1.0
	v_rcp_f32_e32 v3, v1
	v_div_scale_f32 v4, vcc, 1.0, s6, 1.0
	v_fma_f32 v5, -v1, v3, 1.0
	v_fmac_f32_e32 v3, v5, v3
	v_mul_f32_e32 v5, v4, v3
	v_fma_f32 v6, -v1, v5, v4
	v_fmac_f32_e32 v5, v6, v3
	v_fma_f32 v1, -v1, v5, v4
	v_div_fmas_f32 v1, v1, v3, v5
	v_div_fixup_f32 v1, v1, s6, 1.0
	s_andn2_b64 vcc, exec, s[22:23]
	s_cbranch_vccnz .LBB650_20
.LBB650_19:
	s_add_u32 s4, s20, s24
	s_addc_u32 s5, s21, s25
	s_load_dword s10, s[4:5], 0x0
	s_mov_b32 s11, 0
.LBB650_20:
	s_waitcnt lgkmcnt(0)
	v_add_f32_e32 v0, 0x358637bd, v0
	v_div_scale_f32 v3, s[4:5], v0, v0, 1.0
	v_rcp_f32_e32 v4, v3
	s_load_dwordx2 s[0:1], s[0:1], 0x0
	s_mov_b32 s4, 0x7f800000
	v_fma_f32 v5, -v3, v4, 1.0
	v_fmac_f32_e32 v4, v5, v4
	v_div_scale_f32 v5, vcc, 1.0, v0, 1.0
	v_mul_f32_e32 v6, v5, v4
	v_fma_f32 v7, -v3, v6, v5
	v_fmac_f32_e32 v6, v7, v4
	v_fma_f32 v3, -v3, v6, v5
	v_div_fmas_f32 v3, v3, v4, v6
	v_div_fixup_f32 v0, v3, v0, 1.0
	v_mul_f32_e32 v0, v108, v0
	v_mul_f32_e32 v1, v0, v1
	v_and_b32_e32 v0, 0x7f800000, v1
	v_cmp_ne_u32_e32 vcc, s4, v0
                                        ; implicit-def: $vgpr0
	s_and_saveexec_b64 s[4:5], vcc
	s_xor_b64 s[4:5], exec, s[4:5]
; %bb.21:
	v_bfe_u32 v0, v1, 16, 1
	s_movk_i32 s6, 0x7fff
	v_add3_u32 v0, v1, v0, s6
                                        ; implicit-def: $vgpr1
; %bb.22:
	s_andn2_saveexec_b64 s[4:5], s[4:5]
; %bb.23:
	v_mov_b32_e32 v0, 0
	v_or_b32_e32 v3, 0x10000, v1
	v_cmp_eq_u32_sdwa vcc, v1, v0 src0_sel:WORD_0 src1_sel:DWORD
	s_nop 1
	v_cndmask_b32_e32 v0, v3, v1, vcc
; %bb.24:
	s_or_b64 exec, exec, s[4:5]
	s_mul_i32 s4, s3, s11
	s_mul_hi_u32 s5, s3, s10
	s_add_i32 s5, s5, s4
	s_mul_i32 s4, s3, s10
	s_lshl_b64 s[4:5], s[4:5], 8
	s_waitcnt lgkmcnt(0)
	s_add_u32 s4, s0, s4
	s_mov_b32 s3, 0
	s_addc_u32 s5, s1, s5
	s_lshl_b64 s[0:1], s[2:3], 8
	s_add_u32 s0, s4, s0
	s_addc_u32 s1, s5, s1
	global_store_short_d16_hi v2, v0, s[0:1]
	s_endpgm
.LBB650_25:
	s_mov_b64 s[6:7], 0
	s_branch .LBB650_2
.LBB650_26:
	s_cmpk_lt_i32 s30, 0x4101
	s_cselect_b32 s4, s6, 0x2080
	s_ashr_i32 s5, s4, 31
	s_cmpk_lt_i32 s30, 0x4201
	v_lshl_add_u64 v[106:107], s[4:5], 1, v[0:1]
	s_cselect_b32 s4, s6, 0x2100
	s_ashr_i32 s5, s4, 31
	s_cmpk_lt_i32 s30, 0x4301
	v_lshl_add_u64 v[86:87], s[4:5], 1, v[0:1]
	;; [unrolled: 4-line block ×36, first 2 shown]
	s_cselect_b32 s4, s6, 0x3280
	s_ashr_i32 s5, s4, 31
	s_movk_i32 s7, 0x4000
	s_cmpk_lt_i32 s30, 0x6601
	v_add_co_u32_e32 v70, vcc, s7, v0
	v_lshl_add_u64 v[44:45], s[4:5], 1, v[0:1]
	s_cselect_b32 s4, s6, 0x3300
	v_addc_co_u32_e32 v71, vcc, 0, v1, vcc
	s_ashr_i32 s5, s4, 31
	global_load_ushort v3, v[70:71], off
	global_load_ushort v114, v[76:77], off
	s_cmpk_lt_i32 s30, 0x6701
	global_load_ushort v106, v[106:107], off
	v_lshl_add_u64 v[46:47], s[4:5], 1, v[0:1]
	global_load_ushort v110, v[102:103], off
	s_cselect_b32 s4, s6, 0x3380
	global_load_ushort v107, v[86:87], off
	global_load_ushort v112, v[88:89], off
	s_ashr_i32 s5, s4, 31
	global_load_ushort v104, v[104:105], off
	s_cmpk_lt_i32 s30, 0x6801
	global_load_ushort v105, v[100:101], off
	global_load_ushort v109, v[94:95], off
	;; [unrolled: 1-line block ×3, first 2 shown]
	v_lshl_add_u64 v[48:49], s[4:5], 1, v[0:1]
	global_load_ushort v98, v[98:99], off
	s_cselect_b32 s4, s6, 0x3400
	s_ashr_i32 s5, s4, 31
	s_cmpk_lt_i32 s30, 0x6901
	v_lshl_add_u64 v[50:51], s[4:5], 1, v[0:1]
	s_cselect_b32 s4, s6, 0x3480
	s_ashr_i32 s5, s4, 31
	global_load_ushort v99, v[92:93], off
	s_cmpk_lt_i32 s30, 0x6a01
	global_load_ushort v90, v[90:91], off
	v_lshl_add_u64 v[52:53], s[4:5], 1, v[0:1]
	s_cselect_b32 s4, s6, 0x3500
	s_ashr_i32 s5, s4, 31
	global_load_ushort v91, v[82:83], off
	s_cmpk_lt_i32 s30, 0x6b01
	global_load_ushort v84, v[84:85], off
	v_lshl_add_u64 v[54:55], s[4:5], 1, v[0:1]
	s_cselect_b32 s4, s6, 0x3580
	global_load_ushort v85, v[80:81], off
	global_load_ushort v113, v[78:79], off
	s_ashr_i32 s5, s4, 31
	s_cmpk_lt_i32 s30, 0x6c01
	v_lshl_add_u64 v[56:57], s[4:5], 1, v[0:1]
	s_cselect_b32 s4, s6, 0x3600
	s_ashr_i32 s5, s4, 31
	s_cmpk_lt_i32 s30, 0x6d01
	v_lshl_add_u64 v[58:59], s[4:5], 1, v[0:1]
	s_cselect_b32 s4, s6, 0x3680
	s_ashr_i32 s5, s4, 31
	s_cmpk_lt_i32 s30, 0x6e01
	v_lshl_add_u64 v[60:61], s[4:5], 1, v[0:1]
	s_cselect_b32 s4, s6, 0x3700
	s_ashr_i32 s5, s4, 31
	s_cmpk_lt_i32 s30, 0x6f01
	v_lshl_add_u64 v[62:63], s[4:5], 1, v[0:1]
	s_cselect_b32 s4, s6, 0x3780
	s_ashr_i32 s5, s4, 31
	s_cmpk_lt_i32 s30, 0x7001
	v_lshl_add_u64 v[64:65], s[4:5], 1, v[0:1]
	s_cselect_b32 s4, s6, 0x3800
	s_ashr_i32 s5, s4, 31
	s_cmpk_lt_i32 s30, 0x7101
	v_lshl_add_u64 v[66:67], s[4:5], 1, v[0:1]
	s_cselect_b32 s4, s6, 0x3880
	s_ashr_i32 s5, s4, 31
	s_cmpk_lt_i32 s30, 0x7201
	v_lshl_add_u64 v[68:69], s[4:5], 1, v[0:1]
	s_cselect_b32 s4, s6, 0x3900
	s_ashr_i32 s5, s4, 31
	s_cmpk_lt_i32 s30, 0x7301
	v_lshl_add_u64 v[72:73], s[4:5], 1, v[0:1]
	s_cselect_b32 s4, s6, 0x3980
	s_ashr_i32 s5, s4, 31
	s_cmpk_lt_i32 s30, 0x7401
	v_lshl_add_u64 v[70:71], s[4:5], 1, v[0:1]
	s_cselect_b32 s4, s6, 0x3a00
	s_ashr_i32 s5, s4, 31
	s_cmpk_lt_i32 s30, 0x7501
	v_lshl_add_u64 v[74:75], s[4:5], 1, v[0:1]
	s_cselect_b32 s4, s6, 0x3a80
	s_ashr_i32 s5, s4, 31
	s_cmpk_lt_i32 s30, 0x7601
	v_lshl_add_u64 v[86:87], s[4:5], 1, v[0:1]
	s_cselect_b32 s4, s6, 0x3b00
	s_ashr_i32 s5, s4, 31
	s_cmpk_lt_i32 s30, 0x7701
	v_lshl_add_u64 v[94:95], s[4:5], 1, v[0:1]
	s_cselect_b32 s4, s6, 0x3b80
	s_ashr_i32 s5, s4, 31
	s_cmpk_lt_i32 s30, 0x7801
	v_lshl_add_u64 v[100:101], s[4:5], 1, v[0:1]
	s_cselect_b32 s4, s6, 0x3c00
	s_ashr_i32 s5, s4, 31
	s_cmpk_lt_i32 s30, 0x7901
	v_lshl_add_u64 v[102:103], s[4:5], 1, v[0:1]
	s_cselect_b32 s4, s6, 0x3c80
	s_ashr_i32 s5, s4, 31
	s_cmpk_lt_i32 s30, 0x7a01
	v_lshl_add_u64 v[96:97], s[4:5], 1, v[0:1]
	s_cselect_b32 s4, s6, 0x3d00
	s_ashr_i32 s5, s4, 31
	s_cmpk_lt_i32 s30, 0x7b01
	v_lshl_add_u64 v[92:93], s[4:5], 1, v[0:1]
	s_cselect_b32 s4, s6, 0x3d80
	s_ashr_i32 s5, s4, 31
	s_cmpk_lt_i32 s30, 0x7c01
	v_lshl_add_u64 v[88:89], s[4:5], 1, v[0:1]
	s_cselect_b32 s4, s6, 0x3e00
	s_ashr_i32 s5, s4, 31
	s_cmpk_lt_i32 s30, 0x7d01
	v_lshl_add_u64 v[82:83], s[4:5], 1, v[0:1]
	s_cselect_b32 s4, s6, 0x3e80
	s_ashr_i32 s5, s4, 31
	s_cmpk_lt_i32 s30, 0x7e01
	v_lshl_add_u64 v[80:81], s[4:5], 1, v[0:1]
	s_cselect_b32 s4, s6, 0x3f00
	s_ashr_i32 s5, s4, 31
	s_cmpk_lt_i32 s30, 0x7f01
	v_lshl_add_u64 v[78:79], s[4:5], 1, v[0:1]
	s_cselect_b32 s4, s6, 0x3f80
	s_ashr_i32 s5, s4, 31
	v_lshl_add_u64 v[76:77], s[4:5], 1, v[0:1]
	global_load_ushort v115, v[4:5], off
	global_load_ushort v116, v[6:7], off
	;; [unrolled: 1-line block ×10, first 2 shown]
	v_mov_b32_e32 v80, 0
	global_load_ushort v81, v[8:9], off
	ds_read_b128 v[4:7], v80 offset:256
	ds_read_b128 v[76:79], v80 offset:272
	s_waitcnt vmcnt(27)
	v_lshlrev_b32_e32 v3, 16, v3
	global_load_ushort v82, v[10:11], off
	global_load_ushort v83, v[14:15], off
	ds_read_b128 v[8:11], v80 offset:288
	ds_read_b128 v[12:15], v80 offset:304
	s_waitcnt lgkmcnt(3)
	v_fmac_f32_e32 v108, v4, v3
	s_waitcnt vmcnt(27)
	v_lshlrev_b32_e32 v3, 16, v106
	v_fmac_f32_e32 v108, v5, v3
	s_waitcnt vmcnt(25)
	v_lshlrev_b32_e32 v4, 16, v107
	;; [unrolled: 3-line block ×3, first 2 shown]
	v_fmac_f32_e32 v108, v7, v4
	v_lshlrev_b32_e32 v4, 16, v104
	s_waitcnt lgkmcnt(2)
	v_fmac_f32_e32 v108, v76, v4
	v_lshlrev_b32_e32 v4, 16, v105
	v_fmac_f32_e32 v108, v77, v4
	v_lshlrev_b32_e32 v4, 16, v110
	v_fmac_f32_e32 v108, v78, v4
	s_waitcnt vmcnt(20)
	v_lshlrev_b32_e32 v4, 16, v111
	v_fmac_f32_e32 v108, v79, v4
	s_waitcnt vmcnt(19)
	v_lshlrev_b32_e32 v4, 16, v98
	s_waitcnt lgkmcnt(1)
	v_fmac_f32_e32 v108, v8, v4
	s_waitcnt vmcnt(18)
	v_lshlrev_b32_e32 v4, 16, v99
	v_fmac_f32_e32 v108, v9, v4
	v_lshlrev_b32_e32 v4, 16, v112
	v_fmac_f32_e32 v108, v10, v4
	s_waitcnt vmcnt(17)
	v_lshlrev_b32_e32 v4, 16, v90
	v_fmac_f32_e32 v108, v11, v4
	s_waitcnt vmcnt(16)
	v_lshlrev_b32_e32 v4, 16, v91
	s_waitcnt lgkmcnt(0)
	v_fmac_f32_e32 v108, v12, v4
	s_waitcnt vmcnt(15)
	v_lshlrev_b32_e32 v4, 16, v84
	global_load_ushort v16, v[16:17], off
	v_fmac_f32_e32 v108, v13, v4
	global_load_ushort v3, v[18:19], off
	global_load_ushort v12, v[52:53], off
	s_waitcnt vmcnt(17)
	v_lshlrev_b32_e32 v4, 16, v85
	v_fmac_f32_e32 v108, v14, v4
	s_waitcnt vmcnt(16)
	v_lshlrev_b32_e32 v4, 16, v113
	v_fmac_f32_e32 v108, v15, v4
	global_load_ushort v15, v[64:65], off
	global_load_ushort v17, v[20:21], off
	;; [unrolled: 1-line block ×6, first 2 shown]
	ds_read_b128 v[4:7], v80 offset:320
	ds_read_b128 v[8:11], v80 offset:336
	global_load_ushort v20, v[26:27], off
	global_load_ushort v21, v[28:29], off
	;; [unrolled: 1-line block ×17, first 2 shown]
	v_lshlrev_b32_e32 v36, 16, v114
	s_waitcnt lgkmcnt(1)
	v_fmac_f32_e32 v108, v4, v36
	global_load_ushort v36, v[68:69], off
	global_load_ushort v38, v[72:73], off
	;; [unrolled: 1-line block ×8, first 2 shown]
	s_waitcnt vmcnt(46)
	v_lshlrev_b32_e32 v4, 16, v115
	v_fmac_f32_e32 v108, v5, v4
	s_waitcnt vmcnt(45)
	v_lshlrev_b32_e32 v4, 16, v116
	v_fmac_f32_e32 v108, v6, v4
	;; [unrolled: 3-line block ×3, first 2 shown]
	s_waitcnt vmcnt(36)
	v_lshlrev_b32_e32 v4, 16, v81
	s_waitcnt lgkmcnt(0)
	v_fmac_f32_e32 v108, v8, v4
	s_waitcnt vmcnt(35)
	v_lshlrev_b32_e32 v4, 16, v82
	v_fmac_f32_e32 v108, v9, v4
	s_waitcnt vmcnt(34)
	v_lshlrev_b32_e32 v4, 16, v83
	v_fmac_f32_e32 v108, v10, v4
	ds_read_b128 v[4:7], v80 offset:352
	s_waitcnt vmcnt(33)
	v_lshlrev_b32_e32 v8, 16, v16
	v_fmac_f32_e32 v108, v11, v8
	ds_read_b128 v[8:11], v80 offset:368
	s_waitcnt vmcnt(32)
	v_lshlrev_b32_e32 v3, 16, v3
	s_waitcnt lgkmcnt(1)
	v_fmac_f32_e32 v108, v4, v3
	s_waitcnt vmcnt(29)
	v_lshlrev_b32_e32 v3, 16, v17
	v_fmac_f32_e32 v108, v5, v3
	s_waitcnt vmcnt(28)
	v_lshlrev_b32_e32 v3, 16, v18
	v_fmac_f32_e32 v108, v6, v3
	s_waitcnt vmcnt(27)
	v_lshlrev_b32_e32 v3, 16, v19
	v_fmac_f32_e32 v108, v7, v3
	ds_read_b128 v[4:7], v80 offset:384
	s_waitcnt vmcnt(24)
	v_lshlrev_b32_e32 v3, 16, v20
	s_waitcnt lgkmcnt(1)
	v_fmac_f32_e32 v108, v8, v3
	s_waitcnt vmcnt(23)
	v_lshlrev_b32_e32 v3, 16, v21
	v_fmac_f32_e32 v108, v9, v3
	s_waitcnt vmcnt(22)
	v_lshlrev_b32_e32 v3, 16, v22
	v_fmac_f32_e32 v108, v10, v3
	;; [unrolled: 14-line block ×3, first 2 shown]
	s_waitcnt vmcnt(17)
	v_lshlrev_b32_e32 v3, 16, v27
	v_fmac_f32_e32 v108, v7, v3
	s_waitcnt vmcnt(16)
	v_lshlrev_b32_e32 v3, 16, v28
	ds_read_b128 v[4:7], v80 offset:416
	s_waitcnt lgkmcnt(1)
	v_fmac_f32_e32 v108, v8, v3
	s_waitcnt vmcnt(15)
	v_lshlrev_b32_e32 v3, 16, v29
	v_fmac_f32_e32 v108, v9, v3
	s_waitcnt vmcnt(14)
	v_lshlrev_b32_e32 v3, 16, v30
	;; [unrolled: 3-line block ×3, first 2 shown]
	v_fmac_f32_e32 v108, v11, v3
	ds_read_b128 v[8:11], v80 offset:432
	s_waitcnt vmcnt(12)
	v_lshlrev_b32_e32 v3, 16, v32
	s_waitcnt lgkmcnt(1)
	v_fmac_f32_e32 v108, v4, v3
	v_lshlrev_b32_e32 v3, 16, v12
	v_fmac_f32_e32 v108, v5, v3
	s_waitcnt vmcnt(11)
	v_lshlrev_b32_e32 v3, 16, v33
	v_fmac_f32_e32 v108, v6, v3
	v_lshlrev_b32_e32 v3, 16, v13
	v_fmac_f32_e32 v108, v7, v3
	s_waitcnt vmcnt(10)
	v_lshlrev_b32_e32 v3, 16, v34
	s_waitcnt lgkmcnt(0)
	v_fmac_f32_e32 v108, v8, v3
	v_lshlrev_b32_e32 v3, 16, v14
	ds_read_b128 v[4:7], v80 offset:448
	v_fmac_f32_e32 v108, v9, v3
	s_waitcnt vmcnt(9)
	v_lshlrev_b32_e32 v3, 16, v35
	v_fmac_f32_e32 v108, v10, v3
	v_lshlrev_b32_e32 v3, 16, v15
	v_fmac_f32_e32 v108, v11, v3
	ds_read_b128 v[8:11], v80 offset:464
	s_waitcnt vmcnt(8)
	v_lshlrev_b32_e32 v3, 16, v37
	s_waitcnt lgkmcnt(1)
	v_fmac_f32_e32 v108, v4, v3
	s_waitcnt vmcnt(7)
	v_lshlrev_b32_e32 v3, 16, v36
	v_fmac_f32_e32 v108, v5, v3
	s_waitcnt vmcnt(6)
	v_lshlrev_b32_e32 v3, 16, v38
	;; [unrolled: 3-line block ×3, first 2 shown]
	s_waitcnt vmcnt(3)
	v_lshlrev_b32_e32 v5, 16, v41
	v_lshlrev_b32_e32 v4, 16, v40
	v_fmac_f32_e32 v108, v7, v3
	s_waitcnt lgkmcnt(0)
	v_pk_mul_f32 v[4:5], v[8:9], v[4:5]
	v_lshlrev_b32_e32 v13, 16, v117
	v_add_f32_e32 v3, v108, v4
	v_add_f32_e32 v3, v3, v5
	s_waitcnt vmcnt(1)
	v_lshlrev_b32_e32 v5, 16, v43
	v_lshlrev_b32_e32 v4, 16, v42
	v_pk_mul_f32 v[8:9], v[10:11], v[4:5]
	ds_read_b128 v[4:7], v80 offset:480
	v_add_f32_e32 v3, v3, v8
	s_waitcnt vmcnt(0)
	v_lshlrev_b32_e32 v12, 16, v44
	v_add_f32_e32 v3, v3, v9
	ds_read_b128 v[8:11], v80 offset:496
	s_waitcnt lgkmcnt(1)
	v_pk_mul_f32 v[4:5], v[4:5], v[12:13]
	s_nop 0
	v_add_f32_e32 v3, v3, v4
	v_add_f32_e32 v3, v3, v5
	v_lshlrev_b32_e32 v5, 16, v119
	v_lshlrev_b32_e32 v4, 16, v118
	v_pk_mul_f32 v[4:5], v[6:7], v[4:5]
	s_nop 0
	v_add_f32_e32 v3, v3, v4
	v_add_f32_e32 v3, v3, v5
	v_lshlrev_b32_e32 v5, 16, v121
	v_lshlrev_b32_e32 v4, 16, v120
	s_waitcnt lgkmcnt(0)
	v_pk_mul_f32 v[4:5], v[8:9], v[4:5]
	s_nop 0
	v_add_f32_e32 v3, v3, v4
	v_add_f32_e32 v3, v3, v5
	v_lshlrev_b32_e32 v5, 16, v123
	v_lshlrev_b32_e32 v4, 16, v122
	v_pk_mul_f32 v[4:5], v[10:11], v[4:5]
	s_nop 0
	v_add_f32_e32 v3, v3, v4
	v_add_f32_e32 v108, v3, v5
	s_load_dwordx2 s[4:5], s[0:1], 0x38
	s_cmp_lt_i32 s30, 0x8001
	s_cbranch_scc1 .LBB650_17
.LBB650_27:
	s_cmp_lt_i32 s30, 0x8101
	s_cselect_b32 s8, s6, 0x4080
	s_ashr_i32 s9, s8, 31
	s_cmp_lt_i32 s30, 0x8201
	v_lshl_add_u64 v[106:107], s[8:9], 1, v[0:1]
	s_cselect_b32 s8, s6, 0x4100
	s_ashr_i32 s9, s8, 31
	s_cmp_lt_i32 s30, 0x8301
	v_lshl_add_u64 v[90:91], s[8:9], 1, v[0:1]
	;; [unrolled: 4-line block ×35, first 2 shown]
	s_cselect_b32 s8, s6, 0x5200
	s_ashr_i32 s9, s8, 31
	s_mov_b32 s7, 0x8000
	s_cmp_lt_i32 s30, 0xa501
	v_add_co_u32_e32 v70, vcc, s7, v0
	v_lshl_add_u64 v[42:43], s[8:9], 1, v[0:1]
	s_cselect_b32 s8, s6, 0x5280
	v_addc_co_u32_e32 v71, vcc, 0, v1, vcc
	s_ashr_i32 s9, s8, 31
	global_load_ushort v3, v[70:71], off
	global_load_ushort v114, v[76:77], off
	s_cmp_lt_i32 s30, 0xa601
	v_lshl_add_u64 v[44:45], s[8:9], 1, v[0:1]
	s_cselect_b32 s8, s6, 0x5300
	s_ashr_i32 s9, s8, 31
	s_cmp_lt_i32 s30, 0xa701
	v_lshl_add_u64 v[46:47], s[8:9], 1, v[0:1]
	s_cselect_b32 s8, s6, 0x5380
	global_load_ushort v106, v[106:107], off
	s_ashr_i32 s9, s8, 31
	global_load_ushort v110, v[102:103], off
	global_load_ushort v107, v[90:91], off
	;; [unrolled: 1-line block ×3, first 2 shown]
	s_cmp_lt_i32 s30, 0xa801
	global_load_ushort v104, v[104:105], off
	v_lshl_add_u64 v[48:49], s[8:9], 1, v[0:1]
	global_load_ushort v105, v[100:101], off
	s_cselect_b32 s8, s6, 0x5400
	s_ashr_i32 s9, s8, 31
	s_cmp_lt_i32 s30, 0xa901
	v_lshl_add_u64 v[50:51], s[8:9], 1, v[0:1]
	s_cselect_b32 s8, s6, 0x5480
	global_load_ushort v111, v[96:97], off
	s_ashr_i32 s9, s8, 31
	global_load_ushort v98, v[98:99], off
	s_cmp_lt_i32 s30, 0xaa01
	global_load_ushort v99, v[94:95], off
	v_lshl_add_u64 v[52:53], s[8:9], 1, v[0:1]
	s_cselect_b32 s8, s6, 0x5500
	global_load_ushort v112, v[86:87], off
	s_ashr_i32 s9, s8, 31
	global_load_ushort v88, v[88:89], off
	s_cmp_lt_i32 s30, 0xab01
	v_lshl_add_u64 v[54:55], s[8:9], 1, v[0:1]
	s_cselect_b32 s8, s6, 0x5580
	s_ashr_i32 s9, s8, 31
	s_cmp_lt_i32 s30, 0xac01
	v_lshl_add_u64 v[56:57], s[8:9], 1, v[0:1]
	s_cselect_b32 s8, s6, 0x5600
	s_ashr_i32 s9, s8, 31
	;; [unrolled: 4-line block ×5, first 2 shown]
	s_cmp_lt_i32 s30, 0xb001
	global_load_ushort v89, v[82:83], off
	v_lshl_add_u64 v[64:65], s[8:9], 1, v[0:1]
	global_load_ushort v84, v[84:85], off
	s_cselect_b32 s8, s6, 0x5800
	s_ashr_i32 s9, s8, 31
	global_load_ushort v85, v[80:81], off
	global_load_ushort v113, v[78:79], off
	s_cmp_lt_i32 s30, 0xb101
	v_lshl_add_u64 v[66:67], s[8:9], 1, v[0:1]
	s_cselect_b32 s8, s6, 0x5880
	s_ashr_i32 s9, s8, 31
	s_cmp_lt_i32 s30, 0xb201
	v_lshl_add_u64 v[68:69], s[8:9], 1, v[0:1]
	s_cselect_b32 s8, s6, 0x5900
	s_ashr_i32 s9, s8, 31
	;; [unrolled: 4-line block ×14, first 2 shown]
	s_cmp_lt_i32 s30, 0xbf01
	s_cselect_b32 s6, s6, 0x5f80
	s_ashr_i32 s7, s6, 31
	v_lshl_add_u64 v[78:79], s[8:9], 1, v[0:1]
	v_lshl_add_u64 v[0:1], s[6:7], 1, v[0:1]
	global_load_ushort v115, v[4:5], off
	global_load_ushort v116, v[6:7], off
	;; [unrolled: 1-line block ×10, first 2 shown]
	s_waitcnt vmcnt(26)
	v_lshlrev_b32_e32 v0, 16, v3
	v_mov_b32_e32 v3, 0
	global_load_ushort v1, v[8:9], off
	ds_read_b128 v[4:7], v3 offset:512
	ds_read_b128 v[8:11], v3 offset:528
	global_load_ushort v80, v[12:13], off
	global_load_ushort v81, v[14:15], off
	ds_read_b128 v[12:15], v3 offset:544
	ds_read_b128 v[76:79], v3 offset:560
	global_load_ushort v16, v[16:17], off
	s_waitcnt lgkmcnt(0)
	v_fmac_f32_e32 v108, v4, v0
	s_waitcnt vmcnt(28)
	v_lshlrev_b32_e32 v0, 16, v106
	v_fmac_f32_e32 v108, v5, v0
	global_load_ushort v0, v[18:19], off
	s_waitcnt vmcnt(27)
	v_lshlrev_b32_e32 v4, 16, v107
	v_fmac_f32_e32 v108, v6, v4
	s_waitcnt vmcnt(26)
	v_lshlrev_b32_e32 v4, 16, v109
	v_fmac_f32_e32 v108, v7, v4
	;; [unrolled: 3-line block ×4, first 2 shown]
	v_lshlrev_b32_e32 v4, 16, v110
	v_fmac_f32_e32 v108, v10, v4
	s_waitcnt vmcnt(23)
	v_lshlrev_b32_e32 v4, 16, v111
	v_fmac_f32_e32 v108, v11, v4
	s_waitcnt vmcnt(22)
	v_lshlrev_b32_e32 v4, 16, v98
	v_fmac_f32_e32 v108, v12, v4
	global_load_ushort v12, v[40:41], off
	s_waitcnt vmcnt(22)
	v_lshlrev_b32_e32 v4, 16, v99
	v_fmac_f32_e32 v108, v13, v4
	s_waitcnt vmcnt(21)
	v_lshlrev_b32_e32 v4, 16, v112
	v_fmac_f32_e32 v108, v14, v4
	s_waitcnt vmcnt(20)
	v_lshlrev_b32_e32 v4, 16, v88
	v_fmac_f32_e32 v108, v15, v4
	global_load_ushort v15, v[50:51], off
	global_load_ushort v17, v[20:21], off
	;; [unrolled: 1-line block ×6, first 2 shown]
	s_waitcnt vmcnt(25)
	v_lshlrev_b32_e32 v4, 16, v89
	global_load_ushort v20, v[26:27], off
	global_load_ushort v21, v[28:29], off
	;; [unrolled: 1-line block ×14, first 2 shown]
	v_fmac_f32_e32 v108, v76, v4
	s_waitcnt vmcnt(38)
	v_lshlrev_b32_e32 v4, 16, v84
	v_fmac_f32_e32 v108, v77, v4
	s_waitcnt vmcnt(37)
	v_lshlrev_b32_e32 v4, 16, v85
	;; [unrolled: 3-line block ×3, first 2 shown]
	v_fmac_f32_e32 v108, v79, v4
	ds_read_b128 v[4:7], v3 offset:576
	ds_read_b128 v[8:11], v3 offset:592
	global_load_ushort v34, v[62:63], off
	global_load_ushort v35, v[64:65], off
	;; [unrolled: 1-line block ×3, first 2 shown]
	v_lshlrev_b32_e32 v36, 16, v114
	s_waitcnt lgkmcnt(1)
	v_fmac_f32_e32 v108, v4, v36
	global_load_ushort v36, v[68:69], off
	global_load_ushort v38, v[72:73], off
	global_load_ushort v39, v[70:71], off
	global_load_ushort v40, v[74:75], off
	global_load_ushort v41, v[90:91], off
	global_load_ushort v42, v[92:93], off
	global_load_ushort v43, v[100:101], off
	global_load_ushort v44, v[102:103], off
	s_waitcnt vmcnt(46)
	v_lshlrev_b32_e32 v4, 16, v115
	v_fmac_f32_e32 v108, v5, v4
	s_waitcnt vmcnt(45)
	v_lshlrev_b32_e32 v4, 16, v116
	v_fmac_f32_e32 v108, v6, v4
	;; [unrolled: 3-line block ×3, first 2 shown]
	ds_read_b128 v[4:7], v3 offset:608
	s_waitcnt vmcnt(36)
	v_lshlrev_b32_e32 v1, 16, v1
	s_waitcnt lgkmcnt(1)
	v_fmac_f32_e32 v108, v8, v1
	s_waitcnt vmcnt(35)
	v_lshlrev_b32_e32 v1, 16, v80
	v_fmac_f32_e32 v108, v9, v1
	s_waitcnt vmcnt(34)
	v_lshlrev_b32_e32 v1, 16, v81
	;; [unrolled: 3-line block ×3, first 2 shown]
	v_fmac_f32_e32 v108, v11, v1
	ds_read_b128 v[8:11], v3 offset:624
	s_waitcnt vmcnt(32)
	v_lshlrev_b32_e32 v0, 16, v0
	s_waitcnt lgkmcnt(1)
	v_fmac_f32_e32 v108, v4, v0
	s_waitcnt vmcnt(29)
	v_lshlrev_b32_e32 v0, 16, v17
	v_fmac_f32_e32 v108, v5, v0
	s_waitcnt vmcnt(28)
	v_lshlrev_b32_e32 v0, 16, v18
	;; [unrolled: 3-line block ×4, first 2 shown]
	ds_read_b128 v[4:7], v3 offset:640
	s_waitcnt lgkmcnt(1)
	v_fmac_f32_e32 v108, v8, v0
	s_waitcnt vmcnt(23)
	v_lshlrev_b32_e32 v0, 16, v21
	v_fmac_f32_e32 v108, v9, v0
	s_waitcnt vmcnt(22)
	v_lshlrev_b32_e32 v0, 16, v22
	;; [unrolled: 3-line block ×3, first 2 shown]
	v_fmac_f32_e32 v108, v11, v0
	ds_read_b128 v[8:11], v3 offset:656
	s_waitcnt vmcnt(20)
	v_lshlrev_b32_e32 v0, 16, v24
	s_waitcnt lgkmcnt(1)
	v_fmac_f32_e32 v108, v4, v0
	s_waitcnt vmcnt(19)
	v_lshlrev_b32_e32 v0, 16, v25
	v_fmac_f32_e32 v108, v5, v0
	s_waitcnt vmcnt(18)
	v_lshlrev_b32_e32 v0, 16, v26
	v_fmac_f32_e32 v108, v6, v0
	v_lshlrev_b32_e32 v0, 16, v12
	v_fmac_f32_e32 v108, v7, v0
	s_waitcnt vmcnt(17)
	v_lshlrev_b32_e32 v0, 16, v27
	ds_read_b128 v[4:7], v3 offset:672
	s_waitcnt lgkmcnt(1)
	v_fmac_f32_e32 v108, v8, v0
	v_lshlrev_b32_e32 v0, 16, v13
	v_fmac_f32_e32 v108, v9, v0
	s_waitcnt vmcnt(16)
	v_lshlrev_b32_e32 v0, 16, v28
	v_fmac_f32_e32 v108, v10, v0
	v_lshlrev_b32_e32 v0, 16, v14
	v_fmac_f32_e32 v108, v11, v0
	ds_read_b128 v[8:11], v3 offset:688
	v_lshlrev_b32_e32 v0, 16, v15
	s_waitcnt lgkmcnt(1)
	v_fmac_f32_e32 v108, v4, v0
	s_waitcnt vmcnt(15)
	v_lshlrev_b32_e32 v0, 16, v29
	v_fmac_f32_e32 v108, v5, v0
	s_waitcnt vmcnt(14)
	v_lshlrev_b32_e32 v0, 16, v30
	;; [unrolled: 3-line block ×4, first 2 shown]
	ds_read_b128 v[4:7], v3 offset:704
	s_waitcnt lgkmcnt(1)
	v_fmac_f32_e32 v108, v8, v0
	s_waitcnt vmcnt(11)
	v_lshlrev_b32_e32 v0, 16, v33
	v_fmac_f32_e32 v108, v9, v0
	s_waitcnt vmcnt(10)
	v_lshlrev_b32_e32 v0, 16, v34
	;; [unrolled: 3-line block ×3, first 2 shown]
	v_fmac_f32_e32 v108, v11, v0
	ds_read_b128 v[8:11], v3 offset:720
	s_waitcnt vmcnt(8)
	v_lshlrev_b32_e32 v0, 16, v37
	s_waitcnt lgkmcnt(1)
	v_fmac_f32_e32 v108, v4, v0
	s_waitcnt vmcnt(7)
	v_lshlrev_b32_e32 v0, 16, v36
	v_fmac_f32_e32 v108, v5, v0
	s_waitcnt vmcnt(6)
	v_lshlrev_b32_e32 v0, 16, v38
	;; [unrolled: 3-line block ×4, first 2 shown]
	v_lshlrev_b32_e32 v0, 16, v40
	s_waitcnt lgkmcnt(0)
	v_pk_mul_f32 v[0:1], v[8:9], v[0:1]
	s_nop 0
	v_add_f32_e32 v0, v108, v0
	v_add_f32_e32 v4, v0, v1
	s_waitcnt vmcnt(1)
	v_lshlrev_b32_e32 v1, 16, v43
	v_lshlrev_b32_e32 v0, 16, v42
	v_pk_mul_f32 v[0:1], v[10:11], v[0:1]
	ds_read_b128 v[8:11], v3 offset:752
	v_add_f32_e32 v0, v4, v0
	ds_read_b128 v[4:7], v3 offset:736
	v_add_f32_e32 v12, v0, v1
	v_lshlrev_b32_e32 v1, 16, v117
	s_waitcnt vmcnt(0)
	v_lshlrev_b32_e32 v0, 16, v44
	s_waitcnt lgkmcnt(0)
	v_pk_mul_f32 v[0:1], v[4:5], v[0:1]
	s_nop 0
	v_add_f32_e32 v0, v12, v0
	v_add_f32_e32 v3, v0, v1
	v_lshlrev_b32_e32 v1, 16, v119
	v_lshlrev_b32_e32 v0, 16, v118
	v_pk_mul_f32 v[0:1], v[6:7], v[0:1]
	s_nop 0
	v_add_f32_e32 v0, v3, v0
	v_add_f32_e32 v3, v0, v1
	v_lshlrev_b32_e32 v1, 16, v121
	v_lshlrev_b32_e32 v0, 16, v120
	;; [unrolled: 6-line block ×3, first 2 shown]
	v_pk_mul_f32 v[0:1], v[10:11], v[0:1]
	s_nop 0
	v_add_f32_e32 v0, v3, v0
	v_add_f32_e32 v108, v0, v1
	v_mov_b32_e32 v0, 0
	ds_read_b32 v0, v0 offset:768
	s_cmp_eq_u64 s[4:5], 0
	s_cbranch_scc0 .LBB650_18
.LBB650_28:
	v_mov_b32_e32 v1, 1.0
	s_andn2_b64 vcc, exec, s[22:23]
	s_cbranch_vccz .LBB650_19
	s_branch .LBB650_20
	.section	.rodata,"a",@progbits
	.p2align	6, 0x0
	.amdhsa_kernel _Z35paged_attention_ll4mi_reduce_kernelI14__hip_bfloat16S0_Li128ELi128ELi256ELi3EEvPT0_PKfS4_PKT_PKiS9_iS4_
		.amdhsa_group_segment_fixed_size 772
		.amdhsa_private_segment_fixed_size 0
		.amdhsa_kernarg_size 320
		.amdhsa_user_sgpr_count 2
		.amdhsa_user_sgpr_dispatch_ptr 0
		.amdhsa_user_sgpr_queue_ptr 0
		.amdhsa_user_sgpr_kernarg_segment_ptr 1
		.amdhsa_user_sgpr_dispatch_id 0
		.amdhsa_user_sgpr_kernarg_preload_length 0
		.amdhsa_user_sgpr_kernarg_preload_offset 0
		.amdhsa_user_sgpr_private_segment_size 0
		.amdhsa_uses_dynamic_stack 0
		.amdhsa_enable_private_segment 0
		.amdhsa_system_sgpr_workgroup_id_x 1
		.amdhsa_system_sgpr_workgroup_id_y 1
		.amdhsa_system_sgpr_workgroup_id_z 0
		.amdhsa_system_sgpr_workgroup_info 0
		.amdhsa_system_vgpr_workitem_id 0
		.amdhsa_next_free_vgpr 125
		.amdhsa_next_free_sgpr 36
		.amdhsa_accum_offset 128
		.amdhsa_reserve_vcc 1
		.amdhsa_float_round_mode_32 0
		.amdhsa_float_round_mode_16_64 0
		.amdhsa_float_denorm_mode_32 3
		.amdhsa_float_denorm_mode_16_64 3
		.amdhsa_dx10_clamp 1
		.amdhsa_ieee_mode 1
		.amdhsa_fp16_overflow 0
		.amdhsa_tg_split 0
		.amdhsa_exception_fp_ieee_invalid_op 0
		.amdhsa_exception_fp_denorm_src 0
		.amdhsa_exception_fp_ieee_div_zero 0
		.amdhsa_exception_fp_ieee_overflow 0
		.amdhsa_exception_fp_ieee_underflow 0
		.amdhsa_exception_fp_ieee_inexact 0
		.amdhsa_exception_int_div_zero 0
	.end_amdhsa_kernel
	.section	.text._Z35paged_attention_ll4mi_reduce_kernelI14__hip_bfloat16S0_Li128ELi128ELi256ELi3EEvPT0_PKfS4_PKT_PKiS9_iS4_,"axG",@progbits,_Z35paged_attention_ll4mi_reduce_kernelI14__hip_bfloat16S0_Li128ELi128ELi256ELi3EEvPT0_PKfS4_PKT_PKiS9_iS4_,comdat
.Lfunc_end650:
	.size	_Z35paged_attention_ll4mi_reduce_kernelI14__hip_bfloat16S0_Li128ELi128ELi256ELi3EEvPT0_PKfS4_PKT_PKiS9_iS4_, .Lfunc_end650-_Z35paged_attention_ll4mi_reduce_kernelI14__hip_bfloat16S0_Li128ELi128ELi256ELi3EEvPT0_PKfS4_PKT_PKiS9_iS4_
                                        ; -- End function
	.section	.AMDGPU.csdata,"",@progbits
; Kernel info:
; codeLenInByte = 11476
; NumSgprs: 42
; NumVgprs: 125
; NumAgprs: 0
; TotalNumVgprs: 125
; ScratchSize: 0
; MemoryBound: 0
; FloatMode: 240
; IeeeMode: 1
; LDSByteSize: 772 bytes/workgroup (compile time only)
; SGPRBlocks: 5
; VGPRBlocks: 15
; NumSGPRsForWavesPerEU: 42
; NumVGPRsForWavesPerEU: 125
; AccumOffset: 128
; Occupancy: 4
; WaveLimiterHint : 1
; COMPUTE_PGM_RSRC2:SCRATCH_EN: 0
; COMPUTE_PGM_RSRC2:USER_SGPR: 2
; COMPUTE_PGM_RSRC2:TRAP_HANDLER: 0
; COMPUTE_PGM_RSRC2:TGID_X_EN: 1
; COMPUTE_PGM_RSRC2:TGID_Y_EN: 1
; COMPUTE_PGM_RSRC2:TGID_Z_EN: 0
; COMPUTE_PGM_RSRC2:TIDIG_COMP_CNT: 0
; COMPUTE_PGM_RSRC3_GFX90A:ACCUM_OFFSET: 31
; COMPUTE_PGM_RSRC3_GFX90A:TG_SPLIT: 0
	.section	.text._Z35paged_attention_ll4mi_reduce_kernelI14__hip_bfloat16S0_Li128ELi128ELi256ELi4EEvPT0_PKfS4_PKT_PKiS9_iS4_,"axG",@progbits,_Z35paged_attention_ll4mi_reduce_kernelI14__hip_bfloat16S0_Li128ELi128ELi256ELi4EEvPT0_PKfS4_PKT_PKiS9_iS4_,comdat
	.protected	_Z35paged_attention_ll4mi_reduce_kernelI14__hip_bfloat16S0_Li128ELi128ELi256ELi4EEvPT0_PKfS4_PKT_PKiS9_iS4_ ; -- Begin function _Z35paged_attention_ll4mi_reduce_kernelI14__hip_bfloat16S0_Li128ELi128ELi256ELi4EEvPT0_PKfS4_PKT_PKiS9_iS4_
	.globl	_Z35paged_attention_ll4mi_reduce_kernelI14__hip_bfloat16S0_Li128ELi128ELi256ELi4EEvPT0_PKfS4_PKT_PKiS9_iS4_
	.p2align	8
	.type	_Z35paged_attention_ll4mi_reduce_kernelI14__hip_bfloat16S0_Li128ELi128ELi256ELi4EEvPT0_PKfS4_PKT_PKiS9_iS4_,@function
_Z35paged_attention_ll4mi_reduce_kernelI14__hip_bfloat16S0_Li128ELi128ELi256ELi4EEvPT0_PKfS4_PKT_PKiS9_iS4_: ; @_Z35paged_attention_ll4mi_reduce_kernelI14__hip_bfloat16S0_Li128ELi128ELi256ELi4EEvPT0_PKfS4_PKT_PKiS9_iS4_
; %bb.0:
	s_load_dwordx2 s[22:23], s[0:1], 0x28
	s_mov_b32 s20, s3
	s_mov_b64 s[4:5], 0
	s_waitcnt lgkmcnt(0)
	s_cmp_lg_u64 s[22:23], 0
	s_cselect_b64 s[24:25], -1, 0
	s_and_b64 vcc, exec, s[24:25]
	s_cbranch_vccz .LBB651_27
; %bb.1:
	s_add_i32 s6, s20, 1
	s_mov_b32 s7, 0
	s_lshl_b64 s[8:9], s[6:7], 2
	s_add_u32 s8, s22, s8
	s_mov_b32 s21, s7
	s_addc_u32 s9, s23, s9
	s_lshl_b64 s[6:7], s[20:21], 2
	s_add_u32 s6, s22, s6
	s_addc_u32 s7, s23, s7
	s_load_dword s3, s[8:9], 0x0
	s_load_dword s10, s[6:7], 0x0
	s_waitcnt lgkmcnt(0)
	s_sub_i32 s3, s3, s10
	s_cmp_eq_u32 s3, 1
	s_cselect_b64 s[6:7], -1, 0
	s_andn2_b64 vcc, exec, s[4:5]
	s_cbranch_vccnz .LBB651_3
.LBB651_2:
	s_mov_b32 s21, 0
	s_mov_b64 s[6:7], -1
.LBB651_3:
	s_andn2_b64 vcc, exec, s[6:7]
	s_cbranch_vccz .LBB651_5
; %bb.4:
	s_endpgm
.LBB651_5:
	s_load_dwordx4 s[12:15], s[0:1], 0x18
	s_load_dword s8, s[0:1], 0x30
	s_lshl_b64 s[26:27], s[20:21], 2
	v_cmp_lt_u32_e32 vcc, 63, v0
	s_waitcnt lgkmcnt(0)
	s_add_u32 s4, s14, s26
	s_addc_u32 s5, s15, s27
	s_load_dword s34, s[4:5], 0x0
	s_load_dword s3, s[0:1], 0x40
	s_mul_i32 s14, s2, s8
	s_mul_i32 s6, s20, s8
	s_waitcnt lgkmcnt(0)
	s_add_i32 s7, s34, 0xff
	s_ashr_i32 s4, s7, 31
	s_lshr_b32 s4, s4, 24
	s_add_i32 s7, s7, s4
	s_and_saveexec_b64 s[4:5], vcc
	s_xor_b64 s[4:5], exec, s[4:5]
	s_or_saveexec_b64 s[28:29], s[4:5]
	s_ashr_i32 s33, s7, 8
	v_mov_b32_e32 v1, s14
	s_mul_i32 s30, s6, s3
	s_xor_b64 exec, exec, s[28:29]
	s_cbranch_execz .LBB651_9
; %bb.6:
	s_load_dwordx4 s[16:19], s[0:1], 0x8
	s_add_i32 s4, s33, -1
	v_or_b32_e32 v3, 64, v0
	v_mov_b32_e32 v1, s4
	v_cmp_gt_u32_e64 s[8:9], s33, v3
	s_mov_b32 s31, 0
	s_lshl_b64 s[36:37], s[30:31], 2
	v_cndmask_b32_e64 v4, v1, v3, s[8:9]
	v_or_b32_e32 v3, 0x80, v0
	v_cmp_gt_u32_e64 s[4:5], s33, v3
	s_mov_b32 s15, s31
	v_cmp_gt_u32_e64 s[6:7], s33, v0
	v_cndmask_b32_e64 v6, v1, v3, s[4:5]
	v_or_b32_e32 v3, 0xc0, v0
	s_waitcnt lgkmcnt(0)
	s_add_u32 s10, s18, s36
	v_cndmask_b32_e64 v2, v1, v0, s[6:7]
	v_cmp_gt_u32_e32 vcc, s33, v3
	s_addc_u32 s11, s19, s37
	s_lshl_b64 s[18:19], s[14:15], 2
	v_cndmask_b32_e32 v8, v1, v3, vcc
	s_add_u32 s10, s10, s18
	v_ashrrev_i32_e32 v3, 31, v2
	s_addc_u32 s11, s11, s19
	v_lshlrev_b64 v[2:3], 2, v[2:3]
	v_ashrrev_i32_e32 v5, 31, v4
	v_lshl_add_u64 v[10:11], s[10:11], 0, v[2:3]
	v_lshlrev_b64 v[4:5], 2, v[4:5]
	v_ashrrev_i32_e32 v7, 31, v6
	v_lshl_add_u64 v[12:13], s[10:11], 0, v[4:5]
	v_lshlrev_b64 v[6:7], 2, v[6:7]
	v_ashrrev_i32_e32 v9, 31, v8
	global_load_dword v1, v[10:11], off
	global_load_dword v16, v[12:13], off
	v_lshl_add_u64 v[14:15], s[10:11], 0, v[6:7]
	v_lshlrev_b64 v[8:9], 2, v[8:9]
	v_lshl_add_u64 v[10:11], s[10:11], 0, v[8:9]
	global_load_dword v12, v[14:15], off
	global_load_dword v13, v[10:11], off
	v_mbcnt_lo_u32_b32 v10, -1, 0
	v_mbcnt_hi_u32_b32 v10, -1, v10
	v_and_b32_e32 v11, 64, v10
	v_xor_b32_e32 v14, 32, v10
	v_add_u32_e32 v11, 64, v11
	v_cmp_lt_i32_e64 s[10:11], v14, v11
	v_xor_b32_e32 v15, 16, v10
	v_xor_b32_e32 v17, 8, v10
	v_cndmask_b32_e64 v14, v10, v14, s[10:11]
	v_cmp_lt_i32_e64 s[10:11], v15, v11
	v_lshlrev_b32_e32 v14, 2, v14
	v_xor_b32_e32 v18, 4, v10
	v_cndmask_b32_e64 v15, v10, v15, s[10:11]
	s_add_u32 s10, s16, s36
	s_addc_u32 s11, s17, s37
	s_add_u32 s16, s10, s18
	s_addc_u32 s17, s11, s19
	v_lshl_add_u64 v[2:3], s[16:17], 0, v[2:3]
	v_lshl_add_u64 v[4:5], s[16:17], 0, v[4:5]
	global_load_dword v22, v[2:3], off
	global_load_dword v23, v[4:5], off
	v_lshlrev_b32_e32 v15, 2, v15
	v_cmp_lt_i32_e64 s[10:11], v17, v11
	v_xor_b32_e32 v19, 2, v10
	s_mov_b32 s15, 0x3fb8aa3b
	v_cndmask_b32_e64 v4, v10, v17, s[10:11]
	v_lshlrev_b32_e32 v17, 2, v4
	v_cmp_lt_i32_e64 s[10:11], v18, v11
	s_waitcnt vmcnt(5)
	v_max_f32_e32 v21, v1, v1
	s_waitcnt vmcnt(4)
	v_max_f32_e32 v20, v16, v16
	v_max_f32_e32 v20, v21, v20
	v_cndmask_b32_e64 v5, v10, v18, s[10:11]
	v_cmp_lt_i32_e64 s[10:11], v19, v11
	s_waitcnt vmcnt(2)
	v_max3_f32 v20, v20, v12, v13
	ds_bpermute_b32 v21, v14, v20
	v_cndmask_b32_e64 v4, v10, v19, s[10:11]
	v_lshlrev_b32_e32 v18, 2, v5
	v_lshlrev_b32_e32 v19, 2, v4
	v_lshl_add_u64 v[4:5], s[16:17], 0, v[8:9]
	s_waitcnt lgkmcnt(0)
	v_max_f32_e32 v2, v21, v21
	v_max_f32_e32 v2, v20, v2
	ds_bpermute_b32 v3, v15, v2
	s_waitcnt lgkmcnt(0)
	v_max_f32_e32 v3, v3, v3
	v_max_f32_e32 v2, v2, v3
	ds_bpermute_b32 v3, v17, v2
	s_waitcnt lgkmcnt(0)
	v_max_f32_e32 v3, v3, v3
	v_max_f32_e32 v20, v2, v3
	v_lshl_add_u64 v[2:3], s[16:17], 0, v[6:7]
	global_load_dword v6, v[2:3], off
	global_load_dword v7, v[4:5], off
	ds_bpermute_b32 v21, v18, v20
	v_xor_b32_e32 v4, 1, v10
	v_cmp_lt_i32_e64 s[10:11], v4, v11
	s_mov_b32 s16, 0xc2ce8ed0
	s_mov_b32 s17, 0x42b17218
	s_waitcnt lgkmcnt(0)
	v_max_f32_e32 v2, v21, v21
	v_max_f32_e32 v2, v20, v2
	ds_bpermute_b32 v3, v19, v2
	v_cndmask_b32_e64 v4, v10, v4, s[10:11]
	v_lshlrev_b32_e32 v4, 2, v4
	v_mov_b32_e32 v5, 0x7f800000
	s_waitcnt lgkmcnt(0)
	v_max_f32_e32 v3, v3, v3
	v_max_f32_e32 v2, v2, v3
	ds_bpermute_b32 v3, v4, v2
	s_waitcnt lgkmcnt(0)
	v_max_f32_e32 v3, v3, v3
	v_max_f32_e32 v2, v2, v3
	v_sub_f32_e32 v1, v1, v2
	v_sub_f32_e32 v3, v16, v2
	v_mul_f32_e32 v9, 0x3fb8aa3b, v1
	v_sub_f32_e32 v8, v12, v2
	v_mul_f32_e32 v10, 0x3fb8aa3b, v3
	v_fma_f32 v12, v1, s15, -v9
	v_rndne_f32_e32 v16, v9
	v_mul_f32_e32 v11, 0x3fb8aa3b, v8
	v_fma_f32 v20, v3, s15, -v10
	v_rndne_f32_e32 v21, v10
	v_fmac_f32_e32 v12, 0x32a5705f, v1
	v_sub_f32_e32 v9, v9, v16
	v_fma_f32 v24, v8, s15, -v11
	v_rndne_f32_e32 v25, v11
	v_fmac_f32_e32 v20, 0x32a5705f, v3
	v_sub_f32_e32 v10, v10, v21
	v_add_f32_e32 v9, v9, v12
	v_cvt_i32_f32_e32 v16, v16
	v_fmac_f32_e32 v24, 0x32a5705f, v8
	v_sub_f32_e32 v11, v11, v25
	v_add_f32_e32 v10, v10, v20
	v_exp_f32_e32 v9, v9
	v_cvt_i32_f32_e32 v21, v21
	v_add_f32_e32 v11, v11, v24
	v_exp_f32_e32 v10, v10
	v_cvt_i32_f32_e32 v25, v25
	v_exp_f32_e32 v11, v11
	v_ldexp_f32 v9, v9, v16
	v_cmp_ngt_f32_e64 s[10:11], s16, v1
	v_ldexp_f32 v10, v10, v21
	v_ldexp_f32 v11, v11, v25
	v_cndmask_b32_e64 v9, 0, v9, s[10:11]
	v_cmp_ngt_f32_e64 s[10:11], s16, v3
	v_sub_f32_e32 v2, v13, v2
	s_nop 0
	v_cndmask_b32_e64 v10, 0, v10, s[10:11]
	v_cmp_ngt_f32_e64 s[10:11], s16, v8
	s_nop 1
	v_cndmask_b32_e64 v11, 0, v11, s[10:11]
	v_cmp_nlt_f32_e64 s[10:11], s17, v1
	s_nop 1
	v_cndmask_b32_e64 v1, v5, v9, s[10:11]
	v_cmp_nlt_f32_e64 s[10:11], s17, v3
	v_cndmask_b32_e64 v1, 0, v1, s[6:7]
	v_cmp_nlt_f32_e64 s[6:7], s17, v8
	v_cndmask_b32_e64 v3, v5, v10, s[10:11]
	v_mul_f32_e32 v10, 0x3fb8aa3b, v2
	v_fma_f32 v12, v2, s15, -v10
	v_rndne_f32_e32 v13, v10
	v_fmac_f32_e32 v12, 0x32a5705f, v2
	v_sub_f32_e32 v10, v10, v13
	v_add_f32_e32 v10, v10, v12
	v_exp_f32_e32 v10, v10
	v_cvt_i32_f32_e32 v12, v13
	v_cndmask_b32_e64 v8, v5, v11, s[6:7]
	v_cndmask_b32_e64 v8, 0, v8, s[4:5]
	v_cmp_ngt_f32_e64 s[4:5], s16, v2
	v_ldexp_f32 v10, v10, v12
	v_cndmask_b32_e64 v3, 0, v3, s[8:9]
	v_cndmask_b32_e64 v10, 0, v10, s[4:5]
	v_cmp_nlt_f32_e64 s[4:5], s17, v2
	s_waitcnt vmcnt(3)
	v_mul_f32_e32 v1, v22, v1
	s_waitcnt vmcnt(2)
	v_mul_f32_e32 v9, v23, v3
	v_cndmask_b32_e64 v2, v5, v10, s[4:5]
	v_lshlrev_b32_e32 v10, 2, v0
	ds_write2st64_b32 v10, v1, v9 offset1:1
	v_fmac_f32_e32 v1, v23, v3
	v_cndmask_b32_e32 v5, 0, v2, vcc
	s_waitcnt vmcnt(1)
	v_fmac_f32_e32 v1, v6, v8
	s_waitcnt vmcnt(0)
	v_fmac_f32_e32 v1, v7, v5
	ds_bpermute_b32 v2, v14, v1
	v_mul_f32_e32 v3, v6, v8
	v_cmp_eq_u32_e32 vcc, 0, v0
	s_waitcnt lgkmcnt(0)
	v_add_f32_e32 v1, v1, v2
	ds_bpermute_b32 v2, v15, v1
	s_waitcnt lgkmcnt(0)
	v_add_f32_e32 v1, v1, v2
	ds_bpermute_b32 v2, v17, v1
	;; [unrolled: 3-line block ×5, first 2 shown]
	v_mul_f32_e32 v4, v7, v5
	ds_write2st64_b32 v10, v3, v4 offset0:2 offset1:3
	s_and_saveexec_b64 s[4:5], vcc
	s_cbranch_execz .LBB651_8
; %bb.7:
	s_waitcnt lgkmcnt(1)
	v_add_f32_e32 v1, v1, v2
	v_mov_b32_e32 v2, 0
	ds_write_b32 v2, v1 offset:1024
.LBB651_8:
	s_or_b64 exec, exec, s[4:5]
	v_mov_b32_e32 v1, s14
.LBB651_9:
	s_or_b64 exec, exec, s[28:29]
	s_lshl_b32 s4, s30, 7
	s_mov_b32 s5, 0
	s_lshl_b64 s[4:5], s[4:5], 1
	s_add_u32 s4, s12, s4
	s_addc_u32 s5, s13, s5
	s_lshl_b32 s10, s33, 7
	s_add_i32 s11, s10, 0xffffff80
	s_waitcnt lgkmcnt(1)
	v_lshlrev_b32_e32 v2, 7, v1
	v_mov_b32_e32 v3, 0
	s_cmp_lt_i32 s34, 1
	v_lshl_add_u64 v[4:5], v[2:3], 1, s[4:5]
	s_cselect_b32 s4, s11, 0
	v_lshlrev_b32_e32 v2, 1, v0
	s_ashr_i32 s5, s4, 31
	v_lshl_add_u64 v[0:1], v[4:5], 0, v[2:3]
	s_cmpk_lt_i32 s34, 0x101
	v_lshl_add_u64 v[4:5], s[4:5], 1, v[0:1]
	s_cselect_b32 s4, s11, 0x80
	s_ashr_i32 s5, s4, 31
	s_cmpk_lt_i32 s34, 0x201
	v_lshl_add_u64 v[6:7], s[4:5], 1, v[0:1]
	s_cselect_b32 s4, s11, 0x100
	s_ashr_i32 s5, s4, 31
	;; [unrolled: 4-line block ×8, first 2 shown]
	s_cmpk_lt_i32 s34, 0x901
	global_load_ushort v23, v[4:5], off
	global_load_ushort v22, v[6:7], off
	;; [unrolled: 1-line block ×8, first 2 shown]
	v_lshl_add_u64 v[4:5], s[4:5], 1, v[0:1]
	s_cselect_b32 s4, s11, 0x480
	s_ashr_i32 s5, s4, 31
	s_cmpk_lt_i32 s34, 0xa01
	v_lshl_add_u64 v[6:7], s[4:5], 1, v[0:1]
	s_cselect_b32 s4, s11, 0x500
	s_ashr_i32 s5, s4, 31
	s_cmpk_lt_i32 s34, 0xb01
	v_lshl_add_u64 v[8:9], s[4:5], 1, v[0:1]
	s_cselect_b32 s4, s11, 0x580
	s_ashr_i32 s5, s4, 31
	s_cmpk_lt_i32 s34, 0xc01
	v_lshl_add_u64 v[10:11], s[4:5], 1, v[0:1]
	s_cselect_b32 s4, s11, 0x600
	s_ashr_i32 s5, s4, 31
	s_cmpk_lt_i32 s34, 0xd01
	v_lshl_add_u64 v[12:13], s[4:5], 1, v[0:1]
	s_cselect_b32 s4, s11, 0x680
	s_ashr_i32 s5, s4, 31
	s_cmpk_lt_i32 s34, 0xe01
	v_lshl_add_u64 v[14:15], s[4:5], 1, v[0:1]
	s_cselect_b32 s4, s11, 0x700
	s_ashr_i32 s5, s4, 31
	s_cmpk_lt_i32 s34, 0xf01
	v_lshl_add_u64 v[32:33], s[4:5], 1, v[0:1]
	s_cselect_b32 s4, s11, 0x780
	s_ashr_i32 s5, s4, 31
	v_lshl_add_u64 v[34:35], s[4:5], 1, v[0:1]
	global_load_ushort v30, v[4:5], off
	global_load_ushort v31, v[6:7], off
	;; [unrolled: 1-line block ×8, first 2 shown]
	s_cmpk_gt_i32 s34, 0x1000
	s_cselect_b64 s[8:9], -1, 0
	s_cmpk_lt_i32 s34, 0x1001
	v_mov_b32_e32 v40, 0
	v_mov_b32_e32 v41, 0
	;; [unrolled: 1-line block ×48, first 2 shown]
	s_waitcnt lgkmcnt(0)
	s_barrier
	s_cbranch_scc1 .LBB651_12
; %bb.10:
	s_cmpk_lt_u32 s34, 0x1101
	s_cselect_b32 s4, s11, 0x880
	s_ashr_i32 s5, s4, 31
	s_cmpk_lt_u32 s34, 0x1201
	v_lshl_add_u64 v[6:7], s[4:5], 1, v[0:1]
	s_cselect_b32 s4, s11, 0x900
	s_ashr_i32 s5, s4, 31
	s_cmpk_lt_u32 s34, 0x1301
	v_lshl_add_u64 v[8:9], s[4:5], 1, v[0:1]
	;; [unrolled: 4-line block ×7, first 2 shown]
	s_cselect_b32 s4, s11, 0xc00
	v_add_co_u32_e32 v4, vcc, 0x1000, v0
	s_ashr_i32 s5, s4, 31
	s_nop 0
	v_addc_co_u32_e32 v5, vcc, 0, v1, vcc
	s_cmpk_lt_u32 s34, 0x1901
	global_load_ushort v39, v[4:5], off
	global_load_ushort v38, v[6:7], off
	;; [unrolled: 1-line block ×8, first 2 shown]
	v_lshl_add_u64 v[4:5], s[4:5], 1, v[0:1]
	s_cselect_b32 s4, s11, 0xc80
	s_ashr_i32 s5, s4, 31
	s_cmpk_lt_u32 s34, 0x1a01
	v_lshl_add_u64 v[6:7], s[4:5], 1, v[0:1]
	s_cselect_b32 s4, s11, 0xd00
	s_ashr_i32 s5, s4, 31
	s_cmpk_lt_u32 s34, 0x1b01
	;; [unrolled: 4-line block ×6, first 2 shown]
	v_lshl_add_u64 v[48:49], s[4:5], 1, v[0:1]
	s_cselect_b32 s4, s11, 0xf80
	s_ashr_i32 s5, s4, 31
	v_lshl_add_u64 v[50:51], s[4:5], 1, v[0:1]
	global_load_ushort v47, v[4:5], off
	global_load_ushort v46, v[6:7], off
	;; [unrolled: 1-line block ×8, first 2 shown]
	s_cmpk_lt_u32 s34, 0x2001
	v_mov_b32_e32 v67, 0
	v_mov_b32_e32 v65, 0
	;; [unrolled: 1-line block ×32, first 2 shown]
	s_cbranch_scc1 .LBB651_12
; %bb.11:
	s_cmpk_lt_u32 s34, 0x2101
	s_cselect_b32 s4, s11, 0x1080
	s_ashr_i32 s5, s4, 31
	s_cmpk_lt_u32 s34, 0x2201
	v_lshl_add_u64 v[4:5], s[4:5], 1, v[0:1]
	s_cselect_b32 s4, s11, 0x1100
	s_ashr_i32 s5, s4, 31
	s_cmpk_lt_u32 s34, 0x2301
	v_lshl_add_u64 v[6:7], s[4:5], 1, v[0:1]
	;; [unrolled: 4-line block ×29, first 2 shown]
	s_cselect_b32 s4, s11, 0x1f00
	s_ashr_i32 s5, s4, 31
	v_lshl_add_u64 v[94:95], s[4:5], 1, v[0:1]
	s_movk_i32 s4, 0x2000
	s_cmpk_lt_u32 s34, 0x3f01
	v_add_co_u32_e32 v96, vcc, s4, v0
	s_cselect_b32 s4, s11, 0x1f80
	s_nop 0
	v_addc_co_u32_e32 v97, vcc, 0, v1, vcc
	s_ashr_i32 s5, s4, 31
	global_load_ushort v98, v[96:97], off
	global_load_ushort v99, v[4:5], off
	global_load_ushort v100, v[6:7], off
	global_load_ushort v101, v[8:9], off
	global_load_ushort v102, v[10:11], off
	global_load_ushort v103, v[12:13], off
	global_load_ushort v104, v[14:15], off
	global_load_ushort v105, v[48:49], off
	global_load_ushort v106, v[50:51], off
	global_load_ushort v107, v[52:53], off
	global_load_ushort v108, v[54:55], off
	global_load_ushort v109, v[56:57], off
	global_load_ushort v110, v[58:59], off
	global_load_ushort v111, v[60:61], off
	global_load_ushort v112, v[62:63], off
                                        ; kill: killed $vgpr54_vgpr55
                                        ; kill: killed $vgpr6_vgpr7
                                        ; kill: killed $vgpr60_vgpr61
                                        ; kill: killed $vgpr12_vgpr13
                                        ; kill: killed $vgpr50_vgpr51
                                        ; kill: killed $vgpr56_vgpr57
                                        ; kill: killed $vgpr8_vgpr9
                                        ; kill: killed $vgpr62_vgpr63
                                        ; kill: killed $vgpr14_vgpr15
                                        ; kill: killed $vgpr96 killed $vgpr97
                                        ; kill: killed $vgpr52_vgpr53
                                        ; kill: killed $vgpr4_vgpr5
                                        ; kill: killed $vgpr58_vgpr59
                                        ; kill: killed $vgpr10_vgpr11
                                        ; kill: killed $vgpr48_vgpr49
	global_load_ushort v6, v[64:65], off
	global_load_ushort v7, v[66:67], off
	;; [unrolled: 1-line block ×15, first 2 shown]
                                        ; kill: killed $vgpr70_vgpr71
                                        ; kill: killed $vgpr92_vgpr93
                                        ; kill: killed $vgpr76_vgpr77
                                        ; kill: killed $vgpr82_vgpr83
                                        ; kill: killed $vgpr66_vgpr67
                                        ; kill: killed $vgpr88_vgpr89
                                        ; kill: killed $vgpr72_vgpr73
                                        ; kill: killed $vgpr94_vgpr95
                                        ; kill: killed $vgpr78_vgpr79
                                        ; kill: killed $vgpr84_vgpr85
                                        ; kill: killed $vgpr68_vgpr69
                                        ; kill: killed $vgpr90_vgpr91
                                        ; kill: killed $vgpr74_vgpr75
                                        ; kill: killed $vgpr80_vgpr81
                                        ; kill: killed $vgpr64_vgpr65
	global_load_ushort v68, v[86:87], off
	v_lshl_add_u64 v[4:5], s[4:5], 1, v[0:1]
	global_load_ushort v5, v[4:5], off
	s_waitcnt vmcnt(31)
	v_lshlrev_b32_e32 v67, 16, v98
	s_waitcnt vmcnt(30)
	v_lshlrev_b32_e32 v65, 16, v99
	;; [unrolled: 2-line block ×32, first 2 shown]
.LBB651_12:
	s_load_dwordx2 s[4:5], s[0:1], 0x0
	s_load_dwordx2 s[6:7], s[0:1], 0x38
	ds_read_b128 v[68:71], v3
	s_waitcnt vmcnt(15)
	v_lshlrev_b32_e32 v23, 16, v23
	ds_read_b128 v[72:75], v3 offset:16
	ds_read_b128 v[76:79], v3 offset:32
	;; [unrolled: 1-line block ×3, first 2 shown]
	s_waitcnt vmcnt(14)
	v_lshlrev_b32_e32 v22, 16, v22
	s_waitcnt vmcnt(13)
	v_lshlrev_b32_e32 v21, 16, v21
	s_waitcnt lgkmcnt(0)
	v_fma_f32 v23, v68, v23, 0
	v_fmac_f32_e32 v23, v69, v22
	v_fmac_f32_e32 v23, v70, v21
	s_waitcnt vmcnt(12)
	v_lshlrev_b32_e32 v20, 16, v20
	s_waitcnt vmcnt(10)
	v_lshlrev_b32_e32 v19, 16, v19
	v_lshlrev_b32_e32 v18, 16, v18
	v_fmac_f32_e32 v23, v71, v20
	v_pk_mul_f32 v[18:19], v[72:73], v[18:19]
	s_waitcnt vmcnt(8)
	v_lshlrev_b32_e32 v17, 16, v17
	v_add_f32_e32 v18, v23, v18
	v_lshlrev_b32_e32 v16, 16, v16
	v_add_f32_e32 v18, v18, v19
	v_pk_mul_f32 v[16:17], v[74:75], v[16:17]
	s_and_b64 vcc, exec, s[8:9]
	v_add_f32_e32 v16, v18, v16
	v_add_f32_e32 v18, v16, v17
	s_waitcnt vmcnt(6)
	v_lshlrev_b32_e32 v17, 16, v31
	v_lshlrev_b32_e32 v16, 16, v30
	v_pk_mul_f32 v[16:17], v[76:77], v[16:17]
	s_nop 0
	v_add_f32_e32 v16, v18, v16
	v_add_f32_e32 v18, v16, v17
	s_waitcnt vmcnt(4)
	v_lshlrev_b32_e32 v17, 16, v29
	v_lshlrev_b32_e32 v16, 16, v28
	v_pk_mul_f32 v[16:17], v[78:79], v[16:17]
	s_nop 0
	;; [unrolled: 7-line block ×4, first 2 shown]
	v_add_f32_e32 v16, v18, v16
	v_add_f32_e32 v110, v16, v17
	s_cbranch_vccz .LBB651_15
; %bb.13:
	ds_read_b128 v[16:19], v3 offset:64
	v_lshlrev_b32_e32 v39, 16, v39
	ds_read_b128 v[20:23], v3 offset:80
	ds_read_b128 v[24:27], v3 offset:96
	;; [unrolled: 1-line block ×3, first 2 shown]
	v_lshlrev_b32_e32 v3, 16, v38
	s_cmpk_lt_u32 s34, 0x2001
	s_waitcnt lgkmcnt(3)
	v_fmac_f32_e32 v110, v16, v39
	v_fmac_f32_e32 v110, v17, v3
	v_lshlrev_b32_e32 v3, 16, v37
	v_fmac_f32_e32 v110, v18, v3
	v_lshlrev_b32_e32 v3, 16, v36
	v_fmac_f32_e32 v110, v19, v3
	v_lshlrev_b32_e32 v3, 16, v35
	s_waitcnt lgkmcnt(2)
	v_fmac_f32_e32 v110, v20, v3
	v_lshlrev_b32_e32 v3, 16, v34
	v_fmac_f32_e32 v110, v21, v3
	v_lshlrev_b32_e32 v3, 16, v33
	v_fmac_f32_e32 v110, v22, v3
	v_lshlrev_b32_e32 v3, 16, v32
	v_fmac_f32_e32 v110, v23, v3
	v_lshlrev_b32_e32 v3, 16, v47
	s_waitcnt lgkmcnt(1)
	v_fmac_f32_e32 v110, v24, v3
	v_lshlrev_b32_e32 v3, 16, v46
	v_fmac_f32_e32 v110, v25, v3
	v_lshlrev_b32_e32 v3, 16, v45
	v_fmac_f32_e32 v110, v26, v3
	v_lshlrev_b32_e32 v3, 16, v44
	v_fmac_f32_e32 v110, v27, v3
	v_lshlrev_b32_e32 v3, 16, v43
	s_waitcnt lgkmcnt(0)
	v_fmac_f32_e32 v110, v28, v3
	v_lshlrev_b32_e32 v3, 16, v42
	v_fmac_f32_e32 v110, v29, v3
	v_lshlrev_b32_e32 v3, 16, v41
	v_fmac_f32_e32 v110, v30, v3
	v_lshlrev_b32_e32 v3, 16, v40
	v_fmac_f32_e32 v110, v31, v3
	s_cbranch_scc1 .LBB651_15
; %bb.14:
	v_mov_b32_e32 v3, 0
	ds_read_b128 v[16:19], v3 offset:128
	ds_read_b128 v[20:23], v3 offset:144
	;; [unrolled: 1-line block ×4, first 2 shown]
	s_waitcnt lgkmcnt(3)
	v_fmac_f32_e32 v110, v16, v67
	v_fmac_f32_e32 v110, v17, v65
	v_fmac_f32_e32 v110, v18, v66
	v_fmac_f32_e32 v110, v19, v63
	s_waitcnt lgkmcnt(2)
	v_fmac_f32_e32 v110, v20, v64
	v_fmac_f32_e32 v110, v21, v61
	v_fmac_f32_e32 v110, v22, v62
	v_fmac_f32_e32 v110, v23, v59
	;; [unrolled: 5-line block ×3, first 2 shown]
	ds_read_b128 v[16:19], v3 offset:192
	ds_read_b128 v[20:23], v3 offset:208
	s_waitcnt lgkmcnt(2)
	v_fmac_f32_e32 v110, v28, v56
	v_fmac_f32_e32 v110, v29, v53
	;; [unrolled: 1-line block ×4, first 2 shown]
	s_waitcnt lgkmcnt(1)
	v_fmac_f32_e32 v110, v16, v51
	v_fmac_f32_e32 v110, v17, v49
	;; [unrolled: 1-line block ×4, first 2 shown]
	s_waitcnt lgkmcnt(0)
	v_pk_mul_f32 v[14:15], v[20:21], v[14:15]
	v_pk_mul_f32 v[12:13], v[22:23], v[12:13]
	v_add_f32_e32 v14, v110, v14
	v_add_f32_e32 v18, v14, v15
	ds_read_b128 v[14:17], v3 offset:224
	v_add_f32_e32 v12, v18, v12
	ds_read_b128 v[18:21], v3 offset:240
	v_add_f32_e32 v12, v12, v13
	s_waitcnt lgkmcnt(1)
	v_pk_mul_f32 v[10:11], v[14:15], v[10:11]
	s_nop 0
	v_add_f32_e32 v3, v12, v10
	v_add_f32_e32 v3, v3, v11
	v_pk_mul_f32 v[8:9], v[16:17], v[8:9]
	s_waitcnt lgkmcnt(0)
	v_pk_mul_f32 v[6:7], v[18:19], v[6:7]
	v_add_f32_e32 v3, v3, v8
	v_add_f32_e32 v3, v3, v9
	;; [unrolled: 1-line block ×4, first 2 shown]
	v_pk_mul_f32 v[4:5], v[20:21], v[4:5]
	s_nop 0
	v_add_f32_e32 v3, v3, v4
	v_add_f32_e32 v110, v3, v5
.LBB651_15:
	s_movk_i32 s0, 0x3f80
	s_movk_i32 s1, 0x100
	s_mov_b32 s8, 64
	s_branch .LBB651_17
.LBB651_16:                             ;   in Loop: Header=BB651_17 Depth=1
	s_addk_i32 s0, 0x2000
	s_addk_i32 s1, 0x100
	s_add_i32 s8, s8, 64
	s_cmpk_eq_u32 s0, 0x9f80
	s_cbranch_scc1 .LBB651_19
.LBB651_17:                             ; =>This Inner Loop Header: Depth=1
	s_cmp_le_i32 s33, s8
	s_cbranch_scc1 .LBB651_16
; %bb.18:                               ;   in Loop: Header=BB651_17 Depth=1
	s_add_i32 s9, s0, 0xffffe080
	s_cmp_lt_i32 s9, s10
	s_cselect_b32 s12, s9, s11
	s_ashr_i32 s13, s12, 31
	s_add_i32 s9, s0, 0xffffe100
	s_cmp_lt_i32 s9, s10
	v_lshl_add_u64 v[42:43], s[12:13], 1, v[0:1]
	s_cselect_b32 s12, s9, s11
	s_ashr_i32 s13, s12, 31
	s_add_i32 s9, s0, 0xffffe180
	s_cmp_lt_i32 s9, s10
	v_lshl_add_u64 v[4:5], s[12:13], 1, v[0:1]
	;; [unrolled: 5-line block ×25, first 2 shown]
	s_cselect_b32 s12, s9, s11
	s_ashr_i32 s13, s12, 31
	s_add_i32 s9, s0, 0xffffed80
	s_cmp_lt_i32 s9, s10
	global_load_ushort v3, v[42:43], off
	global_load_ushort v120, v[44:45], off
	v_lshl_add_u64 v[18:19], s[12:13], 1, v[0:1]
	s_cselect_b32 s12, s9, s11
	global_load_ushort v111, v[4:5], off
	global_load_ushort v112, v[6:7], off
	;; [unrolled: 1-line block ×8, first 2 shown]
	s_ashr_i32 s13, s12, 31
	s_add_i32 s9, s0, 0xffffee00
	s_cmp_lt_i32 s9, s10
	v_lshl_add_u64 v[20:21], s[12:13], 1, v[0:1]
	s_cselect_b32 s12, s9, s11
	s_ashr_i32 s13, s12, 31
	s_add_i32 s9, s0, 0xffffee80
	s_cmp_lt_i32 s9, s10
	v_lshl_add_u64 v[38:39], s[12:13], 1, v[0:1]
	s_cselect_b32 s12, s9, s11
	s_ashr_i32 s13, s12, 31
	s_add_i32 s9, s0, 0xffffef00
	s_cmp_lt_i32 s9, s10
	global_load_ushort v119, v[28:29], off
	v_lshl_add_u64 v[40:41], s[12:13], 1, v[0:1]
	s_cselect_b32 s12, s9, s11
	s_ashr_i32 s13, s12, 31
	s_add_i32 s9, s0, 0xffffef80
	global_load_ushort v121, v[54:55], off
	global_load_ushort v122, v[56:57], off
	s_cmp_lt_i32 s9, s10
	global_load_ushort v58, v[58:59], off
	v_lshl_add_u64 v[50:51], s[12:13], 1, v[0:1]
	s_cselect_b32 s12, s9, s11
	s_ashr_i32 s13, s12, 31
	s_add_i32 s9, s0, 0xfffff000
	s_cmp_lt_i32 s9, s10
	v_lshl_add_u64 v[52:53], s[12:13], 1, v[0:1]
	s_cselect_b32 s12, s9, s11
	s_ashr_i32 s13, s12, 31
	s_add_i32 s9, s0, 0xfffff080
	global_load_ushort v59, v[60:61], off
	s_cmp_lt_i32 s9, s10
	global_load_ushort v60, v[66:67], off
	global_load_ushort v61, v[62:63], off
	v_lshl_add_u64 v[64:65], s[12:13], 1, v[0:1]
	s_cselect_b32 s12, s9, s11
	s_ashr_i32 s13, s12, 31
	s_add_i32 s9, s0, 0xfffff100
	s_cmp_lt_i32 s9, s10
	v_lshl_add_u64 v[68:69], s[12:13], 1, v[0:1]
	s_cselect_b32 s12, s9, s11
	s_ashr_i32 s13, s12, 31
	s_add_i32 s9, s0, 0xfffff180
	s_cmp_lt_i32 s9, s10
	;; [unrolled: 5-line block ×3, first 2 shown]
	global_load_ushort v62, v[24:25], off
	v_lshl_add_u64 v[72:73], s[12:13], 1, v[0:1]
	s_cselect_b32 s12, s9, s11
	global_load_ushort v66, v[30:31], off
	global_load_ushort v123, v[32:33], off
	;; [unrolled: 1-line block ×4, first 2 shown]
	s_ashr_i32 s13, s12, 31
	s_add_i32 s9, s0, 0xfffff280
	s_cmp_lt_i32 s9, s10
	global_load_ushort v67, v[46:47], off
	v_lshl_add_u64 v[74:75], s[12:13], 1, v[0:1]
	s_cselect_b32 s12, s9, s11
	s_ashr_i32 s13, s12, 31
	s_add_i32 s9, s0, 0xfffff300
	s_cmp_lt_i32 s9, s10
	v_lshl_add_u64 v[76:77], s[12:13], 1, v[0:1]
	s_cselect_b32 s12, s9, s11
	s_ashr_i32 s13, s12, 31
	s_add_i32 s9, s0, 0xfffff380
	s_cmp_lt_i32 s9, s10
	v_mov_b32_e32 v124, s1
	v_lshl_add_u64 v[78:79], s[12:13], 1, v[0:1]
	s_cselect_b32 s12, s9, s11
	ds_read_b128 v[28:31], v124
	ds_read_b128 v[32:35], v124 offset:16
	global_load_ushort v48, v[48:49], off
	s_ashr_i32 s13, s12, 31
	s_add_i32 s9, s0, 0xfffff400
	s_cmp_lt_i32 s9, s10
	v_lshl_add_u64 v[80:81], s[12:13], 1, v[0:1]
	s_cselect_b32 s12, s9, s11
	ds_read_b128 v[44:47], v124 offset:32
	ds_read_b128 v[54:57], v124 offset:48
	global_load_ushort v36, v[36:37], off
	s_ashr_i32 s13, s12, 31
	v_lshl_add_u64 v[82:83], s[12:13], 1, v[0:1]
	global_load_ushort v49, v[82:83], off
	global_load_ushort v37, v[18:19], off
	s_add_i32 s9, s0, 0xfffff480
	s_cmp_lt_i32 s9, s10
	s_cselect_b32 s12, s9, s11
	s_ashr_i32 s13, s12, 31
	s_add_i32 s9, s0, 0xfffff500
	s_cmp_lt_i32 s9, s10
	v_lshl_add_u64 v[84:85], s[12:13], 1, v[0:1]
	s_cselect_b32 s12, s9, s11
	s_ashr_i32 s13, s12, 31
	s_add_i32 s9, s0, 0xfffff580
	s_cmp_lt_i32 s9, s10
	v_lshl_add_u64 v[86:87], s[12:13], 1, v[0:1]
	;; [unrolled: 5-line block ×7, first 2 shown]
	s_cselect_b32 s12, s9, s11
	s_ashr_i32 s13, s12, 31
	s_add_i32 s9, s0, 0xfffff880
	s_waitcnt vmcnt(26)
	v_lshlrev_b32_e32 v3, 16, v3
	s_cmp_lt_i32 s9, s10
	s_waitcnt lgkmcnt(3)
	v_fmac_f32_e32 v110, v28, v3
	s_waitcnt vmcnt(24)
	v_lshlrev_b32_e32 v3, 16, v111
	v_lshl_add_u64 v[98:99], s[12:13], 1, v[0:1]
	s_cselect_b32 s12, s9, s11
	v_fmac_f32_e32 v110, v29, v3
	s_waitcnt vmcnt(23)
	v_lshlrev_b32_e32 v3, 16, v112
	s_ashr_i32 s13, s12, 31
	s_add_i32 s9, s0, 0xfffff900
	v_fmac_f32_e32 v110, v30, v3
	s_waitcnt vmcnt(22)
	v_lshlrev_b32_e32 v3, 16, v113
	s_cmp_lt_i32 s9, s10
	v_fmac_f32_e32 v110, v31, v3
	s_waitcnt vmcnt(21)
	v_lshlrev_b32_e32 v3, 16, v114
	v_lshl_add_u64 v[102:103], s[12:13], 1, v[0:1]
	s_cselect_b32 s12, s9, s11
	s_waitcnt lgkmcnt(2)
	v_fmac_f32_e32 v110, v32, v3
	global_load_ushort v3, v[20:21], off
	global_load_ushort v32, v[38:39], off
	s_waitcnt vmcnt(22)
	v_lshlrev_b32_e32 v18, 16, v115
	s_ashr_i32 s13, s12, 31
	s_add_i32 s9, s0, 0xfffff980
	v_fmac_f32_e32 v110, v33, v18
	s_waitcnt vmcnt(21)
	v_lshlrev_b32_e32 v18, 16, v116
	s_cmp_lt_i32 s9, s10
	v_fmac_f32_e32 v110, v34, v18
	s_waitcnt vmcnt(20)
	v_lshlrev_b32_e32 v18, 16, v117
	v_lshl_add_u64 v[104:105], s[12:13], 1, v[0:1]
	s_cselect_b32 s12, s9, s11
	global_load_ushort v33, v[40:41], off
	global_load_ushort v34, v[50:51], off
	v_fmac_f32_e32 v110, v35, v18
	global_load_ushort v35, v[52:53], off
	global_load_ushort v38, v[64:65], off
	;; [unrolled: 1-line block ×3, first 2 shown]
	s_waitcnt vmcnt(24)
	v_lshlrev_b32_e32 v18, 16, v118
	s_ashr_i32 s13, s12, 31
	s_add_i32 s9, s0, 0xfffffa00
	s_waitcnt lgkmcnt(1)
	v_fmac_f32_e32 v110, v44, v18
	global_load_ushort v44, v[74:75], off
	s_waitcnt vmcnt(24)
	v_lshlrev_b32_e32 v18, 16, v119
	s_cmp_lt_i32 s9, s10
	v_fmac_f32_e32 v110, v45, v18
	v_lshlrev_b32_e32 v18, 16, v120
	v_lshl_add_u64 v[106:107], s[12:13], 1, v[0:1]
	s_cselect_b32 s12, s9, s11
	v_fmac_f32_e32 v110, v46, v18
	global_load_ushort v46, v[78:79], off
	s_waitcnt vmcnt(24)
	v_lshlrev_b32_e32 v18, 16, v121
	s_ashr_i32 s13, s12, 31
	s_add_i32 s9, s0, 0xfffffa80
	v_fmac_f32_e32 v110, v47, v18
	s_waitcnt vmcnt(23)
	v_lshlrev_b32_e32 v18, 16, v122
	s_cmp_lt_i32 s9, s10
	s_waitcnt lgkmcnt(0)
	v_fmac_f32_e32 v110, v54, v18
	global_load_ushort v54, v[90:91], off
	global_load_ushort v40, v[70:71], off
	;; [unrolled: 1-line block ×8, first 2 shown]
	v_lshl_add_u64 v[100:101], s[12:13], 1, v[0:1]
	s_cselect_b32 s12, s9, s11
	s_ashr_i32 s13, s12, 31
	s_add_i32 s9, s0, 0xfffffb00
	s_cmp_lt_i32 s9, s10
	s_waitcnt vmcnt(30)
	v_lshlrev_b32_e32 v18, 16, v58
	v_lshl_add_u64 v[42:43], s[12:13], 1, v[0:1]
	s_cselect_b32 s12, s9, s11
	v_fmac_f32_e32 v110, v55, v18
	s_waitcnt vmcnt(29)
	v_lshlrev_b32_e32 v18, 16, v59
	s_ashr_i32 s13, s12, 31
	s_add_i32 s9, s0, 0xfffffb80
	v_fmac_f32_e32 v110, v56, v18
	s_waitcnt vmcnt(28)
	v_lshlrev_b32_e32 v18, 16, v60
	s_cmp_lt_i32 s9, s10
	v_fmac_f32_e32 v110, v57, v18
	ds_read_b128 v[18:21], v124 offset:64
	ds_read_b128 v[28:31], v124 offset:80
	v_lshl_add_u64 v[108:109], s[12:13], 1, v[0:1]
	s_cselect_b32 s12, s9, s11
	s_ashr_i32 s13, s12, 31
	s_add_i32 s9, s0, 0xfffffc00
	s_cmp_lt_i32 s9, s10
	v_lshl_add_u64 v[4:5], s[12:13], 1, v[0:1]
	s_cselect_b32 s12, s9, s11
	s_waitcnt vmcnt(27)
	v_lshlrev_b32_e32 v52, 16, v61
	s_ashr_i32 s13, s12, 31
	s_add_i32 s9, s0, 0xfffffc80
	s_waitcnt lgkmcnt(1)
	v_fmac_f32_e32 v110, v18, v52
	global_load_ushort v52, v[92:93], off
	s_cmp_lt_i32 s9, s10
	global_load_ushort v55, v[94:95], off
	global_load_ushort v56, v[96:97], off
	;; [unrolled: 1-line block ×5, first 2 shown]
	v_lshl_add_u64 v[6:7], s[12:13], 1, v[0:1]
	s_cselect_b32 s12, s9, s11
	s_ashr_i32 s13, s12, 31
	s_add_i32 s9, s0, 0xfffffd00
	s_waitcnt vmcnt(32)
	v_lshlrev_b32_e32 v18, 16, v62
	s_cmp_lt_i32 s9, s10
	v_fmac_f32_e32 v110, v19, v18
	s_waitcnt vmcnt(28)
	v_lshlrev_b32_e32 v18, 16, v63
	v_lshl_add_u64 v[8:9], s[12:13], 1, v[0:1]
	s_cselect_b32 s12, s9, s11
	v_fmac_f32_e32 v110, v20, v18
	v_lshlrev_b32_e32 v18, 16, v66
	s_ashr_i32 s13, s12, 31
	s_add_i32 s9, s0, 0xfffffd80
	v_fmac_f32_e32 v110, v21, v18
	s_waitcnt vmcnt(27)
	v_lshlrev_b32_e32 v18, 16, v67
	s_cmp_lt_i32 s9, s10
	s_waitcnt lgkmcnt(0)
	v_fmac_f32_e32 v110, v28, v18
	global_load_ushort v28, v[106:107], off
	v_lshl_add_u64 v[12:13], s[12:13], 1, v[0:1]
	s_cselect_b32 s12, s9, s11
	global_load_ushort v60, v[100:101], off
	global_load_ushort v61, v[42:43], off
	;; [unrolled: 1-line block ×3, first 2 shown]
	s_ashr_i32 s13, s12, 31
	s_add_i32 s9, s0, 0xfffffe00
	v_lshlrev_b32_e32 v18, 16, v123
	s_cmp_lt_i32 s9, s10
	v_fmac_f32_e32 v110, v29, v18
	v_lshlrev_b32_e32 v18, 16, v125
	v_lshl_add_u64 v[10:11], s[12:13], 1, v[0:1]
	s_cselect_b32 s12, s9, s11
	v_fmac_f32_e32 v110, v30, v18
	global_load_ushort v29, v[4:5], off
	global_load_ushort v30, v[6:7], off
	s_ashr_i32 s13, s12, 31
	s_add_i32 s9, s0, 0xfffffe80
	s_cmp_lt_i32 s9, s10
	s_waitcnt vmcnt(32)
	v_lshlrev_b32_e32 v4, 16, v48
	v_lshl_add_u64 v[22:23], s[12:13], 1, v[0:1]
	s_cselect_b32 s12, s9, s11
	v_fmac_f32_e32 v110, v31, v4
	ds_read_b128 v[4:7], v124 offset:96
	s_ashr_i32 s13, s12, 31
	s_add_i32 s9, s0, 0xffffff00
	s_cmp_lt_i32 s9, s10
	s_waitcnt vmcnt(31)
	v_lshlrev_b32_e32 v31, 16, v36
	global_load_ushort v36, v[8:9], off
	global_load_ushort v42, v[12:13], off
	v_lshl_add_u64 v[14:15], s[12:13], 1, v[0:1]
	s_cselect_b32 s12, s9, s11
	s_ashr_i32 s13, s12, 31
	s_add_i32 s9, s0, 0xffffff80
	s_cmp_lt_i32 s9, s10
	ds_read_b128 v[18:21], v124 offset:112
	s_waitcnt lgkmcnt(1)
	v_fmac_f32_e32 v110, v4, v31
	s_waitcnt vmcnt(31)
	v_lshlrev_b32_e32 v4, 16, v37
	global_load_ushort v31, v[10:11], off
	global_load_ushort v37, v[22:23], off
	v_lshl_add_u64 v[24:25], s[12:13], 1, v[0:1]
	s_cselect_b32 s12, s9, s11
	s_ashr_i32 s13, s12, 31
	s_cmp_lt_i32 s0, s10
	global_load_ushort v22, v[14:15], off
	global_load_ushort v23, v[24:25], off
	v_lshl_add_u64 v[16:17], s[12:13], 1, v[0:1]
	s_cselect_b32 s12, s0, s11
	s_ashr_i32 s13, s12, 31
	v_lshl_add_u64 v[26:27], s[12:13], 1, v[0:1]
	global_load_ushort v14, v[16:17], off
	global_load_ushort v15, v[26:27], off
	v_fmac_f32_e32 v110, v5, v4
	s_waitcnt vmcnt(36)
	v_lshlrev_b32_e32 v3, 16, v3
	v_fmac_f32_e32 v110, v6, v3
	s_waitcnt vmcnt(35)
	v_lshlrev_b32_e32 v3, 16, v32
	;; [unrolled: 3-line block ×3, first 2 shown]
	ds_read_b128 v[4:7], v124 offset:128
	ds_read_b128 v[8:11], v124 offset:144
	s_waitcnt lgkmcnt(2)
	v_fmac_f32_e32 v110, v18, v3
	s_waitcnt vmcnt(33)
	v_lshlrev_b32_e32 v3, 16, v34
	v_fmac_f32_e32 v110, v19, v3
	s_waitcnt vmcnt(32)
	v_lshlrev_b32_e32 v3, 16, v35
	;; [unrolled: 3-line block ×4, first 2 shown]
	s_waitcnt lgkmcnt(1)
	v_fmac_f32_e32 v110, v4, v3
	s_waitcnt vmcnt(26)
	v_lshlrev_b32_e32 v3, 16, v40
	v_fmac_f32_e32 v110, v5, v3
	s_waitcnt vmcnt(25)
	v_lshlrev_b32_e32 v3, 16, v41
	v_fmac_f32_e32 v110, v6, v3
	v_lshlrev_b32_e32 v3, 16, v44
	v_fmac_f32_e32 v110, v7, v3
	s_waitcnt vmcnt(24)
	v_lshlrev_b32_e32 v3, 16, v45
	ds_read_b128 v[4:7], v124 offset:160
	s_waitcnt lgkmcnt(1)
	v_fmac_f32_e32 v110, v8, v3
	v_lshlrev_b32_e32 v3, 16, v46
	v_fmac_f32_e32 v110, v9, v3
	s_waitcnt vmcnt(23)
	v_lshlrev_b32_e32 v3, 16, v47
	v_fmac_f32_e32 v110, v10, v3
	v_lshlrev_b32_e32 v3, 16, v49
	v_fmac_f32_e32 v110, v11, v3
	ds_read_b128 v[8:11], v124 offset:176
	s_waitcnt vmcnt(22)
	v_lshlrev_b32_e32 v3, 16, v50
	s_waitcnt lgkmcnt(1)
	v_fmac_f32_e32 v110, v4, v3
	s_waitcnt vmcnt(21)
	v_lshlrev_b32_e32 v3, 16, v51
	v_fmac_f32_e32 v110, v5, v3
	s_waitcnt vmcnt(20)
	v_lshlrev_b32_e32 v3, 16, v53
	v_fmac_f32_e32 v110, v6, v3
	v_lshlrev_b32_e32 v3, 16, v54
	v_fmac_f32_e32 v110, v7, v3
	s_waitcnt vmcnt(19)
	v_lshlrev_b32_e32 v3, 16, v52
	s_waitcnt lgkmcnt(0)
	v_fmac_f32_e32 v110, v8, v3
	s_waitcnt vmcnt(18)
	v_lshlrev_b32_e32 v3, 16, v55
	ds_read_b128 v[4:7], v124 offset:192
	v_fmac_f32_e32 v110, v9, v3
	s_waitcnt vmcnt(17)
	v_lshlrev_b32_e32 v3, 16, v56
	v_fmac_f32_e32 v110, v10, v3
	s_waitcnt vmcnt(16)
	v_lshlrev_b32_e32 v3, 16, v57
	v_fmac_f32_e32 v110, v11, v3
	ds_read_b128 v[8:11], v124 offset:208
	s_waitcnt vmcnt(15)
	v_lshlrev_b32_e32 v3, 16, v58
	s_waitcnt lgkmcnt(1)
	v_fmac_f32_e32 v110, v4, v3
	s_waitcnt vmcnt(14)
	v_lshlrev_b32_e32 v3, 16, v59
	v_fmac_f32_e32 v110, v5, v3
	s_waitcnt vmcnt(13)
	v_lshlrev_b32_e32 v3, 16, v28
	;; [unrolled: 3-line block ×3, first 2 shown]
	s_waitcnt vmcnt(10)
	v_lshlrev_b32_e32 v5, 16, v62
	v_lshlrev_b32_e32 v4, 16, v61
	v_fmac_f32_e32 v110, v7, v3
	s_waitcnt lgkmcnt(0)
	v_pk_mul_f32 v[4:5], v[8:9], v[4:5]
	s_waitcnt vmcnt(6)
	v_lshlrev_b32_e32 v13, 16, v42
	v_add_f32_e32 v3, v110, v4
	v_add_f32_e32 v3, v3, v5
	v_lshlrev_b32_e32 v5, 16, v30
	v_lshlrev_b32_e32 v4, 16, v29
	v_pk_mul_f32 v[8:9], v[10:11], v[4:5]
	ds_read_b128 v[4:7], v124 offset:224
	v_add_f32_e32 v3, v3, v8
	v_lshlrev_b32_e32 v12, 16, v36
	v_add_f32_e32 v3, v3, v9
	ds_read_b128 v[8:11], v124 offset:240
	s_waitcnt lgkmcnt(1)
	v_pk_mul_f32 v[4:5], v[4:5], v[12:13]
	s_nop 0
	v_add_f32_e32 v3, v3, v4
	v_add_f32_e32 v3, v3, v5
	s_waitcnt vmcnt(4)
	v_lshlrev_b32_e32 v5, 16, v37
	v_lshlrev_b32_e32 v4, 16, v31
	v_pk_mul_f32 v[4:5], v[6:7], v[4:5]
	s_nop 0
	v_add_f32_e32 v3, v3, v4
	v_add_f32_e32 v3, v3, v5
	s_waitcnt vmcnt(2)
	v_lshlrev_b32_e32 v5, 16, v23
	v_lshlrev_b32_e32 v4, 16, v22
	s_waitcnt lgkmcnt(0)
	v_pk_mul_f32 v[4:5], v[8:9], v[4:5]
	s_nop 0
	v_add_f32_e32 v3, v3, v4
	v_add_f32_e32 v3, v3, v5
	s_waitcnt vmcnt(1)
	v_lshlrev_b32_e32 v4, 16, v14
	s_waitcnt vmcnt(0)
	v_lshlrev_b32_e32 v5, 16, v15
	v_pk_mul_f32 v[4:5], v[10:11], v[4:5]
	s_nop 0
	v_add_f32_e32 v3, v3, v4
	v_add_f32_e32 v110, v3, v5
	s_branch .LBB651_16
.LBB651_19:
	v_mov_b32_e32 v0, 0
	ds_read_b32 v0, v0 offset:1024
	s_cmp_lg_u64 s[6:7], 0
	s_cbranch_scc0 .LBB651_28
; %bb.20:
	s_load_dword s6, s[6:7], 0x0
	s_waitcnt lgkmcnt(0)
	v_div_scale_f32 v1, s[0:1], s6, s6, 1.0
	v_rcp_f32_e32 v3, v1
	v_div_scale_f32 v4, vcc, 1.0, s6, 1.0
	v_fma_f32 v5, -v1, v3, 1.0
	v_fmac_f32_e32 v3, v5, v3
	v_mul_f32_e32 v5, v4, v3
	v_fma_f32 v6, -v1, v5, v4
	v_fmac_f32_e32 v5, v6, v3
	v_fma_f32 v1, -v1, v5, v4
	v_div_fmas_f32 v1, v1, v3, v5
	v_div_fixup_f32 v1, v1, s6, 1.0
	s_andn2_b64 vcc, exec, s[24:25]
	s_cbranch_vccnz .LBB651_22
.LBB651_21:
	s_add_u32 s0, s22, s26
	s_addc_u32 s1, s23, s27
	s_load_dword s20, s[0:1], 0x0
	s_mov_b32 s21, 0
.LBB651_22:
	s_waitcnt lgkmcnt(0)
	v_add_f32_e32 v0, 0x358637bd, v0
	v_div_scale_f32 v3, s[0:1], v0, v0, 1.0
	v_rcp_f32_e32 v4, v3
	v_div_scale_f32 v5, vcc, 1.0, v0, 1.0
	s_mov_b32 s0, 0x7f800000
	v_fma_f32 v6, -v3, v4, 1.0
	v_fmac_f32_e32 v4, v6, v4
	v_mul_f32_e32 v6, v5, v4
	v_fma_f32 v7, -v3, v6, v5
	v_fmac_f32_e32 v6, v7, v4
	v_fma_f32 v3, -v3, v6, v5
	v_div_fmas_f32 v3, v3, v4, v6
	v_div_fixup_f32 v0, v3, v0, 1.0
	v_mul_f32_e32 v0, v110, v0
	v_mul_f32_e32 v1, v0, v1
	v_and_b32_e32 v0, 0x7f800000, v1
	v_cmp_ne_u32_e32 vcc, s0, v0
                                        ; implicit-def: $vgpr0
	s_and_saveexec_b64 s[0:1], vcc
	s_xor_b64 s[0:1], exec, s[0:1]
; %bb.23:
	v_bfe_u32 v0, v1, 16, 1
	s_movk_i32 s6, 0x7fff
	v_add3_u32 v0, v1, v0, s6
                                        ; implicit-def: $vgpr1
; %bb.24:
	s_andn2_saveexec_b64 s[0:1], s[0:1]
; %bb.25:
	v_mov_b32_e32 v0, 0
	v_or_b32_e32 v3, 0x10000, v1
	v_cmp_eq_u32_sdwa vcc, v1, v0 src0_sel:WORD_0 src1_sel:DWORD
	s_nop 1
	v_cndmask_b32_e32 v0, v3, v1, vcc
; %bb.26:
	s_or_b64 exec, exec, s[0:1]
	s_mul_i32 s0, s3, s21
	s_mul_hi_u32 s1, s3, s20
	s_add_i32 s1, s1, s0
	s_mul_i32 s0, s3, s20
	s_lshl_b64 s[0:1], s[0:1], 8
	s_add_u32 s4, s4, s0
	s_mov_b32 s3, 0
	s_addc_u32 s5, s5, s1
	s_lshl_b64 s[0:1], s[2:3], 8
	s_add_u32 s0, s4, s0
	s_addc_u32 s1, s5, s1
	global_store_short_d16_hi v2, v0, s[0:1]
	s_endpgm
.LBB651_27:
	s_mov_b64 s[6:7], 0
	s_branch .LBB651_2
.LBB651_28:
	v_mov_b32_e32 v1, 1.0
	s_andn2_b64 vcc, exec, s[24:25]
	s_cbranch_vccz .LBB651_21
	s_branch .LBB651_22
	.section	.rodata,"a",@progbits
	.p2align	6, 0x0
	.amdhsa_kernel _Z35paged_attention_ll4mi_reduce_kernelI14__hip_bfloat16S0_Li128ELi128ELi256ELi4EEvPT0_PKfS4_PKT_PKiS9_iS4_
		.amdhsa_group_segment_fixed_size 1028
		.amdhsa_private_segment_fixed_size 0
		.amdhsa_kernarg_size 320
		.amdhsa_user_sgpr_count 2
		.amdhsa_user_sgpr_dispatch_ptr 0
		.amdhsa_user_sgpr_queue_ptr 0
		.amdhsa_user_sgpr_kernarg_segment_ptr 1
		.amdhsa_user_sgpr_dispatch_id 0
		.amdhsa_user_sgpr_kernarg_preload_length 0
		.amdhsa_user_sgpr_kernarg_preload_offset 0
		.amdhsa_user_sgpr_private_segment_size 0
		.amdhsa_uses_dynamic_stack 0
		.amdhsa_enable_private_segment 0
		.amdhsa_system_sgpr_workgroup_id_x 1
		.amdhsa_system_sgpr_workgroup_id_y 1
		.amdhsa_system_sgpr_workgroup_id_z 0
		.amdhsa_system_sgpr_workgroup_info 0
		.amdhsa_system_vgpr_workitem_id 0
		.amdhsa_next_free_vgpr 126
		.amdhsa_next_free_sgpr 38
		.amdhsa_accum_offset 128
		.amdhsa_reserve_vcc 1
		.amdhsa_float_round_mode_32 0
		.amdhsa_float_round_mode_16_64 0
		.amdhsa_float_denorm_mode_32 3
		.amdhsa_float_denorm_mode_16_64 3
		.amdhsa_dx10_clamp 1
		.amdhsa_ieee_mode 1
		.amdhsa_fp16_overflow 0
		.amdhsa_tg_split 0
		.amdhsa_exception_fp_ieee_invalid_op 0
		.amdhsa_exception_fp_denorm_src 0
		.amdhsa_exception_fp_ieee_div_zero 0
		.amdhsa_exception_fp_ieee_overflow 0
		.amdhsa_exception_fp_ieee_underflow 0
		.amdhsa_exception_fp_ieee_inexact 0
		.amdhsa_exception_int_div_zero 0
	.end_amdhsa_kernel
	.section	.text._Z35paged_attention_ll4mi_reduce_kernelI14__hip_bfloat16S0_Li128ELi128ELi256ELi4EEvPT0_PKfS4_PKT_PKiS9_iS4_,"axG",@progbits,_Z35paged_attention_ll4mi_reduce_kernelI14__hip_bfloat16S0_Li128ELi128ELi256ELi4EEvPT0_PKfS4_PKT_PKiS9_iS4_,comdat
.Lfunc_end651:
	.size	_Z35paged_attention_ll4mi_reduce_kernelI14__hip_bfloat16S0_Li128ELi128ELi256ELi4EEvPT0_PKfS4_PKT_PKiS9_iS4_, .Lfunc_end651-_Z35paged_attention_ll4mi_reduce_kernelI14__hip_bfloat16S0_Li128ELi128ELi256ELi4EEvPT0_PKfS4_PKT_PKiS9_iS4_
                                        ; -- End function
	.section	.AMDGPU.csdata,"",@progbits
; Kernel info:
; codeLenInByte = 8676
; NumSgprs: 44
; NumVgprs: 126
; NumAgprs: 0
; TotalNumVgprs: 126
; ScratchSize: 0
; MemoryBound: 0
; FloatMode: 240
; IeeeMode: 1
; LDSByteSize: 1028 bytes/workgroup (compile time only)
; SGPRBlocks: 5
; VGPRBlocks: 15
; NumSGPRsForWavesPerEU: 44
; NumVGPRsForWavesPerEU: 126
; AccumOffset: 128
; Occupancy: 4
; WaveLimiterHint : 1
; COMPUTE_PGM_RSRC2:SCRATCH_EN: 0
; COMPUTE_PGM_RSRC2:USER_SGPR: 2
; COMPUTE_PGM_RSRC2:TRAP_HANDLER: 0
; COMPUTE_PGM_RSRC2:TGID_X_EN: 1
; COMPUTE_PGM_RSRC2:TGID_Y_EN: 1
; COMPUTE_PGM_RSRC2:TGID_Z_EN: 0
; COMPUTE_PGM_RSRC2:TIDIG_COMP_CNT: 0
; COMPUTE_PGM_RSRC3_GFX90A:ACCUM_OFFSET: 31
; COMPUTE_PGM_RSRC3_GFX90A:TG_SPLIT: 0
	.section	.text._Z35paged_attention_ll4mi_reduce_kernelI14__hip_bfloat16S0_Li128ELi128ELi256ELi5EEvPT0_PKfS4_PKT_PKiS9_iS4_,"axG",@progbits,_Z35paged_attention_ll4mi_reduce_kernelI14__hip_bfloat16S0_Li128ELi128ELi256ELi5EEvPT0_PKfS4_PKT_PKiS9_iS4_,comdat
	.protected	_Z35paged_attention_ll4mi_reduce_kernelI14__hip_bfloat16S0_Li128ELi128ELi256ELi5EEvPT0_PKfS4_PKT_PKiS9_iS4_ ; -- Begin function _Z35paged_attention_ll4mi_reduce_kernelI14__hip_bfloat16S0_Li128ELi128ELi256ELi5EEvPT0_PKfS4_PKT_PKiS9_iS4_
	.globl	_Z35paged_attention_ll4mi_reduce_kernelI14__hip_bfloat16S0_Li128ELi128ELi256ELi5EEvPT0_PKfS4_PKT_PKiS9_iS4_
	.p2align	8
	.type	_Z35paged_attention_ll4mi_reduce_kernelI14__hip_bfloat16S0_Li128ELi128ELi256ELi5EEvPT0_PKfS4_PKT_PKiS9_iS4_,@function
_Z35paged_attention_ll4mi_reduce_kernelI14__hip_bfloat16S0_Li128ELi128ELi256ELi5EEvPT0_PKfS4_PKT_PKiS9_iS4_: ; @_Z35paged_attention_ll4mi_reduce_kernelI14__hip_bfloat16S0_Li128ELi128ELi256ELi5EEvPT0_PKfS4_PKT_PKiS9_iS4_
; %bb.0:
	s_load_dwordx2 s[24:25], s[0:1], 0x28
	s_mov_b32 s14, s3
	s_mov_b64 s[4:5], 0
	s_waitcnt lgkmcnt(0)
	s_cmp_lg_u64 s[24:25], 0
	s_cselect_b64 s[26:27], -1, 0
	s_and_b64 vcc, exec, s[26:27]
	s_cbranch_vccz .LBB652_27
; %bb.1:
	s_add_i32 s6, s14, 1
	s_mov_b32 s7, 0
	s_lshl_b64 s[8:9], s[6:7], 2
	s_add_u32 s8, s24, s8
	s_mov_b32 s15, s7
	s_addc_u32 s9, s25, s9
	s_lshl_b64 s[6:7], s[14:15], 2
	s_add_u32 s6, s24, s6
	s_addc_u32 s7, s25, s7
	s_load_dword s3, s[8:9], 0x0
	s_load_dword s10, s[6:7], 0x0
	s_waitcnt lgkmcnt(0)
	s_sub_i32 s3, s3, s10
	s_cmp_eq_u32 s3, 1
	s_cselect_b64 s[6:7], -1, 0
	s_andn2_b64 vcc, exec, s[4:5]
	s_cbranch_vccnz .LBB652_3
.LBB652_2:
	s_mov_b32 s15, 0
	s_mov_b64 s[6:7], -1
.LBB652_3:
	s_andn2_b64 vcc, exec, s[6:7]
	s_cbranch_vccz .LBB652_5
; %bb.4:
	s_endpgm
.LBB652_5:
	s_load_dwordx4 s[16:19], s[0:1], 0x18
	s_load_dword s8, s[0:1], 0x30
	s_lshl_b64 s[28:29], s[14:15], 2
	v_cmp_lt_u32_e32 vcc, 63, v0
	s_waitcnt lgkmcnt(0)
	s_add_u32 s4, s18, s28
	s_addc_u32 s5, s19, s29
	s_load_dword s38, s[4:5], 0x0
	s_load_dword s3, s[0:1], 0x40
	s_mul_i32 s18, s2, s8
	s_mul_i32 s6, s14, s8
	s_waitcnt lgkmcnt(0)
	s_add_i32 s7, s38, 0xff
	s_ashr_i32 s4, s7, 31
	s_lshr_b32 s4, s4, 24
	s_add_i32 s7, s7, s4
	s_and_saveexec_b64 s[4:5], vcc
	s_xor_b64 s[4:5], exec, s[4:5]
	s_or_saveexec_b64 s[30:31], s[4:5]
	s_ashr_i32 s33, s7, 8
	v_mov_b32_e32 v1, s18
	s_mul_i32 s34, s6, s3
	s_xor_b64 exec, exec, s[30:31]
	s_cbranch_execz .LBB652_9
; %bb.6:
	s_add_i32 s4, s33, -1
	v_or_b32_e32 v3, 64, v0
	s_load_dwordx4 s[20:23], s[0:1], 0x8
	v_mov_b32_e32 v1, s4
	v_cmp_gt_u32_e64 s[8:9], s33, v3
	s_mov_b32 s35, 0
	s_lshl_b64 s[36:37], s[34:35], 2
	v_cndmask_b32_e64 v4, v1, v3, s[8:9]
	v_or_b32_e32 v3, 0x80, v0
	v_cmp_gt_u32_e64 s[6:7], s33, v3
	s_mov_b32 s19, s35
	v_cmp_gt_u32_e64 s[10:11], s33, v0
	v_cndmask_b32_e64 v6, v1, v3, s[6:7]
	v_or_b32_e32 v3, 0xc0, v0
	v_cmp_gt_u32_e64 s[4:5], s33, v3
	s_waitcnt lgkmcnt(0)
	s_add_u32 s12, s22, s36
	v_cndmask_b32_e64 v2, v1, v0, s[10:11]
	v_cndmask_b32_e64 v8, v1, v3, s[4:5]
	v_or_b32_e32 v3, 0x100, v0
	v_cmp_gt_u32_e32 vcc, s33, v3
	s_addc_u32 s13, s23, s37
	s_lshl_b64 s[22:23], s[18:19], 2
	v_cndmask_b32_e32 v10, v1, v3, vcc
	s_add_u32 s12, s12, s22
	v_ashrrev_i32_e32 v3, 31, v2
	s_addc_u32 s13, s13, s23
	v_lshlrev_b64 v[2:3], 2, v[2:3]
	v_ashrrev_i32_e32 v5, 31, v4
	v_ashrrev_i32_e32 v7, 31, v6
	;; [unrolled: 1-line block ×4, first 2 shown]
	v_lshl_add_u64 v[12:13], s[12:13], 0, v[2:3]
	v_lshlrev_b64 v[4:5], 2, v[4:5]
	v_lshlrev_b64 v[6:7], 2, v[6:7]
	;; [unrolled: 1-line block ×4, first 2 shown]
	v_lshl_add_u64 v[14:15], s[12:13], 0, v[4:5]
	v_lshl_add_u64 v[16:17], s[12:13], 0, v[6:7]
	;; [unrolled: 1-line block ×4, first 2 shown]
	global_load_dword v1, v[12:13], off
	global_load_dword v22, v[14:15], off
	;; [unrolled: 1-line block ×5, first 2 shown]
	v_mbcnt_lo_u32_b32 v12, -1, 0
	v_mbcnt_hi_u32_b32 v12, -1, v12
	v_and_b32_e32 v14, 64, v12
	v_xor_b32_e32 v15, 32, v12
	v_add_u32_e32 v14, 64, v14
	v_cmp_lt_i32_e64 s[12:13], v15, v14
	v_xor_b32_e32 v16, 16, v12
	v_xor_b32_e32 v17, 8, v12
	v_cndmask_b32_e64 v15, v12, v15, s[12:13]
	s_add_u32 s12, s20, s36
	s_addc_u32 s13, s21, s37
	s_add_u32 s20, s12, s22
	s_addc_u32 s21, s13, s23
	v_lshl_add_u64 v[2:3], s[20:21], 0, v[2:3]
	global_load_dword v18, v[2:3], off
	v_lshlrev_b32_e32 v15, 2, v15
	v_cmp_lt_i32_e64 s[12:13], v16, v14
	s_mov_b32 s19, 0x3fb8aa3b
	s_mov_b32 s35, 0xc2ce8ed0
	v_cndmask_b32_e64 v16, v12, v16, s[12:13]
	v_lshlrev_b32_e32 v16, 2, v16
	v_cmp_lt_i32_e64 s[12:13], v17, v14
	s_mov_b32 s39, 0x42b17218
	v_mov_b32_e32 v13, 0x7f800000
	s_waitcnt vmcnt(3)
	v_max3_f32 v2, v1, v22, v23
	s_waitcnt vmcnt(1)
	v_max3_f32 v19, v2, v24, v25
	ds_bpermute_b32 v20, v15, v19
	v_lshl_add_u64 v[2:3], s[20:21], 0, v[4:5]
	global_load_dword v21, v[2:3], off
	v_cndmask_b32_e64 v5, v12, v17, s[12:13]
	v_lshlrev_b32_e32 v17, 2, v5
	s_waitcnt lgkmcnt(0)
	v_max_f32_e32 v2, v20, v20
	v_max_f32_e32 v2, v19, v2
	ds_bpermute_b32 v3, v16, v2
	v_xor_b32_e32 v4, 4, v12
	v_cmp_lt_i32_e64 s[12:13], v4, v14
	v_xor_b32_e32 v5, 2, v12
	s_waitcnt lgkmcnt(0)
	v_max_f32_e32 v3, v3, v3
	v_max_f32_e32 v2, v2, v3
	ds_bpermute_b32 v3, v17, v2
	v_cndmask_b32_e64 v4, v12, v4, s[12:13]
	v_lshlrev_b32_e32 v19, 2, v4
	v_cmp_lt_i32_e64 s[12:13], v5, v14
	v_xor_b32_e32 v4, 1, v12
	s_waitcnt lgkmcnt(0)
	v_max_f32_e32 v3, v3, v3
	v_max_f32_e32 v2, v2, v3
	ds_bpermute_b32 v3, v19, v2
	v_cndmask_b32_e64 v5, v12, v5, s[12:13]
	v_lshlrev_b32_e32 v20, 2, v5
	v_cmp_lt_i32_e64 s[12:13], v4, v14
	s_waitcnt lgkmcnt(0)
	v_max_f32_e32 v3, v3, v3
	v_max_f32_e32 v26, v2, v3
	ds_bpermute_b32 v27, v20, v26
	v_cndmask_b32_e64 v2, v12, v4, s[12:13]
	v_lshlrev_b32_e32 v12, 2, v2
	v_lshl_add_u64 v[2:3], s[20:21], 0, v[6:7]
	v_lshl_add_u64 v[4:5], s[20:21], 0, v[8:9]
	s_waitcnt lgkmcnt(0)
	v_max_f32_e32 v6, v27, v27
	v_max_f32_e32 v8, v26, v6
	v_lshl_add_u64 v[6:7], s[20:21], 0, v[10:11]
	global_load_dword v10, v[2:3], off
	global_load_dword v11, v[4:5], off
	;; [unrolled: 1-line block ×3, first 2 shown]
	ds_bpermute_b32 v9, v12, v8
	s_waitcnt lgkmcnt(0)
	v_max_f32_e32 v2, v9, v9
	v_max_f32_e32 v2, v8, v2
	v_sub_f32_e32 v1, v1, v2
	v_sub_f32_e32 v3, v22, v2
	v_mul_f32_e32 v5, 0x3fb8aa3b, v1
	v_mul_f32_e32 v6, 0x3fb8aa3b, v3
	v_fma_f32 v8, v1, s19, -v5
	v_rndne_f32_e32 v9, v5
	v_sub_f32_e32 v4, v23, v2
	v_fma_f32 v22, v3, s19, -v6
	v_rndne_f32_e32 v23, v6
	v_fmac_f32_e32 v8, 0x32a5705f, v1
	v_sub_f32_e32 v5, v5, v9
	v_fmac_f32_e32 v22, 0x32a5705f, v3
	v_sub_f32_e32 v6, v6, v23
	v_add_f32_e32 v5, v5, v8
	v_cvt_i32_f32_e32 v9, v9
	v_add_f32_e32 v6, v6, v22
	v_exp_f32_e32 v5, v5
	v_mul_f32_e32 v7, 0x3fb8aa3b, v4
	v_cvt_i32_f32_e32 v23, v23
	v_exp_f32_e32 v6, v6
	v_fma_f32 v26, v4, s19, -v7
	v_rndne_f32_e32 v27, v7
	v_fmac_f32_e32 v26, 0x32a5705f, v4
	v_sub_f32_e32 v7, v7, v27
	v_add_f32_e32 v7, v7, v26
	v_ldexp_f32 v5, v5, v9
	v_cmp_ngt_f32_e64 s[12:13], s35, v1
	v_cvt_i32_f32_e32 v27, v27
	v_exp_f32_e32 v7, v7
	v_ldexp_f32 v6, v6, v23
	v_cndmask_b32_e64 v5, 0, v5, s[12:13]
	v_cmp_ngt_f32_e64 s[12:13], s35, v3
	s_nop 1
	v_cndmask_b32_e64 v6, 0, v6, s[12:13]
	v_cmp_nlt_f32_e64 s[12:13], s39, v1
	s_nop 1
	v_cndmask_b32_e64 v1, v13, v5, s[12:13]
	v_cndmask_b32_e64 v1, 0, v1, s[10:11]
	v_cmp_nlt_f32_e64 s[10:11], s39, v3
	s_waitcnt vmcnt(4)
	v_mul_f32_e32 v1, v18, v1
	v_cndmask_b32_e64 v3, v13, v6, s[10:11]
	v_ldexp_f32 v6, v7, v27
	v_sub_f32_e32 v7, v24, v2
	v_mul_f32_e32 v8, 0x3fb8aa3b, v7
	v_fma_f32 v9, v7, s19, -v8
	v_rndne_f32_e32 v18, v8
	v_fmac_f32_e32 v9, 0x32a5705f, v7
	v_sub_f32_e32 v8, v8, v18
	v_add_f32_e32 v8, v8, v9
	v_exp_f32_e32 v8, v8
	v_cvt_i32_f32_e32 v9, v18
	v_cndmask_b32_e64 v3, 0, v3, s[8:9]
	v_cmp_ngt_f32_e64 s[8:9], s35, v4
	v_sub_f32_e32 v2, v25, v2
	s_waitcnt vmcnt(3)
	v_mul_f32_e32 v5, v21, v3
	v_cndmask_b32_e64 v6, 0, v6, s[8:9]
	v_cmp_nlt_f32_e64 s[8:9], s39, v4
	s_nop 1
	v_cndmask_b32_e64 v4, v13, v6, s[8:9]
	v_ldexp_f32 v6, v8, v9
	v_mul_f32_e32 v8, 0x3fb8aa3b, v2
	v_fma_f32 v9, v2, s19, -v8
	v_rndne_f32_e32 v18, v8
	v_fmac_f32_e32 v9, 0x32a5705f, v2
	v_sub_f32_e32 v8, v8, v18
	v_add_f32_e32 v8, v8, v9
	v_exp_f32_e32 v8, v8
	v_cvt_i32_f32_e32 v9, v18
	v_cndmask_b32_e64 v4, 0, v4, s[6:7]
	v_cmp_ngt_f32_e64 s[6:7], s35, v7
	s_nop 1
	v_cndmask_b32_e64 v6, 0, v6, s[6:7]
	v_cmp_nlt_f32_e64 s[6:7], s39, v7
	v_ldexp_f32 v7, v8, v9
	v_lshlrev_b32_e32 v8, 2, v0
	v_cndmask_b32_e64 v6, v13, v6, s[6:7]
	v_cndmask_b32_e64 v6, 0, v6, s[4:5]
	v_cmp_ngt_f32_e64 s[4:5], s35, v2
	ds_write2st64_b32 v8, v1, v5 offset1:1
	v_fmac_f32_e32 v1, v21, v3
	v_cndmask_b32_e64 v7, 0, v7, s[4:5]
	v_cmp_nlt_f32_e64 s[4:5], s39, v2
	s_waitcnt vmcnt(2)
	v_fmac_f32_e32 v1, v10, v4
	s_waitcnt vmcnt(1)
	v_fmac_f32_e32 v1, v11, v6
	v_cndmask_b32_e64 v2, v13, v7, s[4:5]
	v_cndmask_b32_e32 v7, 0, v2, vcc
	s_waitcnt vmcnt(0)
	v_fmac_f32_e32 v1, v14, v7
	ds_bpermute_b32 v2, v15, v1
	v_mul_f32_e32 v3, v10, v4
	v_mul_f32_e32 v4, v11, v6
	v_cmp_eq_u32_e32 vcc, 0, v0
	v_mul_f32_e32 v5, v14, v7
	s_waitcnt lgkmcnt(0)
	v_add_f32_e32 v1, v1, v2
	ds_bpermute_b32 v2, v16, v1
	ds_write2st64_b32 v8, v3, v4 offset0:2 offset1:3
	ds_write_b32 v8, v5 offset:1024
	s_waitcnt lgkmcnt(2)
	v_add_f32_e32 v1, v1, v2
	ds_bpermute_b32 v2, v17, v1
	s_waitcnt lgkmcnt(0)
	v_add_f32_e32 v1, v1, v2
	ds_bpermute_b32 v2, v19, v1
	;; [unrolled: 3-line block ×4, first 2 shown]
	s_and_saveexec_b64 s[4:5], vcc
	s_cbranch_execz .LBB652_8
; %bb.7:
	s_waitcnt lgkmcnt(0)
	v_add_f32_e32 v1, v1, v2
	v_mov_b32_e32 v2, 0
	ds_write_b32 v2, v1 offset:1280
.LBB652_8:
	s_or_b64 exec, exec, s[4:5]
	v_mov_b32_e32 v1, s18
.LBB652_9:
	s_or_b64 exec, exec, s[30:31]
	s_lshl_b32 s4, s34, 7
	s_mov_b32 s5, 0
	s_lshl_b64 s[4:5], s[4:5], 1
	s_add_u32 s4, s16, s4
	s_addc_u32 s5, s17, s5
	s_lshl_b32 s10, s33, 7
	s_add_i32 s11, s10, 0xffffff80
	s_waitcnt lgkmcnt(0)
	v_lshlrev_b32_e32 v2, 7, v1
	v_mov_b32_e32 v3, 0
	s_cmp_lt_i32 s38, 1
	v_lshl_add_u64 v[4:5], v[2:3], 1, s[4:5]
	s_cselect_b32 s4, s11, 0
	v_lshlrev_b32_e32 v2, 1, v0
	s_ashr_i32 s5, s4, 31
	v_lshl_add_u64 v[0:1], v[4:5], 0, v[2:3]
	s_cmpk_lt_i32 s38, 0x101
	v_lshl_add_u64 v[4:5], s[4:5], 1, v[0:1]
	s_cselect_b32 s4, s11, 0x80
	s_ashr_i32 s5, s4, 31
	s_cmpk_lt_i32 s38, 0x201
	v_lshl_add_u64 v[6:7], s[4:5], 1, v[0:1]
	s_cselect_b32 s4, s11, 0x100
	s_ashr_i32 s5, s4, 31
	;; [unrolled: 4-line block ×8, first 2 shown]
	s_cmpk_lt_i32 s38, 0x901
	global_load_ushort v23, v[4:5], off
	global_load_ushort v22, v[6:7], off
	;; [unrolled: 1-line block ×8, first 2 shown]
	v_lshl_add_u64 v[4:5], s[4:5], 1, v[0:1]
	s_cselect_b32 s4, s11, 0x480
	s_ashr_i32 s5, s4, 31
	s_cmpk_lt_i32 s38, 0xa01
	v_lshl_add_u64 v[6:7], s[4:5], 1, v[0:1]
	s_cselect_b32 s4, s11, 0x500
	s_ashr_i32 s5, s4, 31
	s_cmpk_lt_i32 s38, 0xb01
	;; [unrolled: 4-line block ×6, first 2 shown]
	v_lshl_add_u64 v[32:33], s[4:5], 1, v[0:1]
	s_cselect_b32 s4, s11, 0x780
	s_ashr_i32 s5, s4, 31
	v_lshl_add_u64 v[34:35], s[4:5], 1, v[0:1]
	global_load_ushort v30, v[4:5], off
	global_load_ushort v31, v[6:7], off
	;; [unrolled: 1-line block ×8, first 2 shown]
	s_cmpk_gt_i32 s38, 0x1000
	s_cselect_b64 s[8:9], -1, 0
	s_cmpk_lt_i32 s38, 0x1001
	v_mov_b32_e32 v40, 0
	v_mov_b32_e32 v41, 0
	;; [unrolled: 1-line block ×48, first 2 shown]
	s_barrier
	s_cbranch_scc1 .LBB652_12
; %bb.10:
	s_cmpk_lt_u32 s38, 0x1101
	s_cselect_b32 s4, s11, 0x880
	s_ashr_i32 s5, s4, 31
	s_cmpk_lt_u32 s38, 0x1201
	v_lshl_add_u64 v[6:7], s[4:5], 1, v[0:1]
	s_cselect_b32 s4, s11, 0x900
	s_ashr_i32 s5, s4, 31
	s_cmpk_lt_u32 s38, 0x1301
	v_lshl_add_u64 v[8:9], s[4:5], 1, v[0:1]
	;; [unrolled: 4-line block ×7, first 2 shown]
	s_cselect_b32 s4, s11, 0xc00
	v_add_co_u32_e32 v4, vcc, 0x1000, v0
	s_ashr_i32 s5, s4, 31
	s_nop 0
	v_addc_co_u32_e32 v5, vcc, 0, v1, vcc
	s_cmpk_lt_u32 s38, 0x1901
	global_load_ushort v39, v[4:5], off
	global_load_ushort v38, v[6:7], off
	;; [unrolled: 1-line block ×8, first 2 shown]
	v_lshl_add_u64 v[4:5], s[4:5], 1, v[0:1]
	s_cselect_b32 s4, s11, 0xc80
	s_ashr_i32 s5, s4, 31
	s_cmpk_lt_u32 s38, 0x1a01
	v_lshl_add_u64 v[6:7], s[4:5], 1, v[0:1]
	s_cselect_b32 s4, s11, 0xd00
	s_ashr_i32 s5, s4, 31
	s_cmpk_lt_u32 s38, 0x1b01
	;; [unrolled: 4-line block ×6, first 2 shown]
	v_lshl_add_u64 v[48:49], s[4:5], 1, v[0:1]
	s_cselect_b32 s4, s11, 0xf80
	s_ashr_i32 s5, s4, 31
	v_lshl_add_u64 v[50:51], s[4:5], 1, v[0:1]
	global_load_ushort v47, v[4:5], off
	global_load_ushort v46, v[6:7], off
	;; [unrolled: 1-line block ×8, first 2 shown]
	s_cmpk_lt_u32 s38, 0x2001
	v_mov_b32_e32 v67, 0
	v_mov_b32_e32 v65, 0
	;; [unrolled: 1-line block ×32, first 2 shown]
	s_cbranch_scc1 .LBB652_12
; %bb.11:
	s_cmpk_lt_u32 s38, 0x2101
	s_cselect_b32 s4, s11, 0x1080
	s_ashr_i32 s5, s4, 31
	s_cmpk_lt_u32 s38, 0x2201
	v_lshl_add_u64 v[4:5], s[4:5], 1, v[0:1]
	s_cselect_b32 s4, s11, 0x1100
	s_ashr_i32 s5, s4, 31
	s_cmpk_lt_u32 s38, 0x2301
	v_lshl_add_u64 v[6:7], s[4:5], 1, v[0:1]
	;; [unrolled: 4-line block ×29, first 2 shown]
	s_cselect_b32 s4, s11, 0x1f00
	s_ashr_i32 s5, s4, 31
	v_lshl_add_u64 v[94:95], s[4:5], 1, v[0:1]
	s_movk_i32 s4, 0x2000
	s_cmpk_lt_u32 s38, 0x3f01
	v_add_co_u32_e32 v96, vcc, s4, v0
	s_cselect_b32 s4, s11, 0x1f80
	s_nop 0
	v_addc_co_u32_e32 v97, vcc, 0, v1, vcc
	s_ashr_i32 s5, s4, 31
	global_load_ushort v98, v[96:97], off
	global_load_ushort v99, v[4:5], off
	;; [unrolled: 1-line block ×15, first 2 shown]
                                        ; kill: killed $vgpr54_vgpr55
                                        ; kill: killed $vgpr6_vgpr7
                                        ; kill: killed $vgpr60_vgpr61
                                        ; kill: killed $vgpr12_vgpr13
                                        ; kill: killed $vgpr50_vgpr51
                                        ; kill: killed $vgpr56_vgpr57
                                        ; kill: killed $vgpr8_vgpr9
                                        ; kill: killed $vgpr62_vgpr63
                                        ; kill: killed $vgpr14_vgpr15
                                        ; kill: killed $vgpr96 killed $vgpr97
                                        ; kill: killed $vgpr52_vgpr53
                                        ; kill: killed $vgpr4_vgpr5
                                        ; kill: killed $vgpr58_vgpr59
                                        ; kill: killed $vgpr10_vgpr11
                                        ; kill: killed $vgpr48_vgpr49
	global_load_ushort v6, v[64:65], off
	global_load_ushort v7, v[66:67], off
	;; [unrolled: 1-line block ×15, first 2 shown]
                                        ; kill: killed $vgpr70_vgpr71
                                        ; kill: killed $vgpr92_vgpr93
                                        ; kill: killed $vgpr76_vgpr77
                                        ; kill: killed $vgpr82_vgpr83
                                        ; kill: killed $vgpr66_vgpr67
                                        ; kill: killed $vgpr88_vgpr89
                                        ; kill: killed $vgpr72_vgpr73
                                        ; kill: killed $vgpr94_vgpr95
                                        ; kill: killed $vgpr78_vgpr79
                                        ; kill: killed $vgpr84_vgpr85
                                        ; kill: killed $vgpr68_vgpr69
                                        ; kill: killed $vgpr90_vgpr91
                                        ; kill: killed $vgpr74_vgpr75
                                        ; kill: killed $vgpr80_vgpr81
                                        ; kill: killed $vgpr64_vgpr65
	global_load_ushort v68, v[86:87], off
	v_lshl_add_u64 v[4:5], s[4:5], 1, v[0:1]
	global_load_ushort v5, v[4:5], off
	s_waitcnt vmcnt(31)
	v_lshlrev_b32_e32 v67, 16, v98
	s_waitcnt vmcnt(30)
	v_lshlrev_b32_e32 v65, 16, v99
	;; [unrolled: 2-line block ×32, first 2 shown]
.LBB652_12:
	s_load_dwordx2 s[4:5], s[0:1], 0x0
	s_load_dwordx2 s[6:7], s[0:1], 0x38
	ds_read_b128 v[68:71], v3
	s_waitcnt vmcnt(15)
	v_lshlrev_b32_e32 v23, 16, v23
	ds_read_b128 v[72:75], v3 offset:16
	ds_read_b128 v[76:79], v3 offset:32
	;; [unrolled: 1-line block ×3, first 2 shown]
	s_waitcnt vmcnt(14)
	v_lshlrev_b32_e32 v22, 16, v22
	s_waitcnt vmcnt(13)
	v_lshlrev_b32_e32 v21, 16, v21
	s_waitcnt lgkmcnt(0)
	v_fma_f32 v23, v68, v23, 0
	v_fmac_f32_e32 v23, v69, v22
	v_fmac_f32_e32 v23, v70, v21
	s_waitcnt vmcnt(12)
	v_lshlrev_b32_e32 v20, 16, v20
	s_waitcnt vmcnt(10)
	v_lshlrev_b32_e32 v19, 16, v19
	v_lshlrev_b32_e32 v18, 16, v18
	v_fmac_f32_e32 v23, v71, v20
	v_pk_mul_f32 v[18:19], v[72:73], v[18:19]
	s_waitcnt vmcnt(8)
	v_lshlrev_b32_e32 v17, 16, v17
	v_add_f32_e32 v18, v23, v18
	v_lshlrev_b32_e32 v16, 16, v16
	v_add_f32_e32 v18, v18, v19
	v_pk_mul_f32 v[16:17], v[74:75], v[16:17]
	s_and_b64 vcc, exec, s[8:9]
	v_add_f32_e32 v16, v18, v16
	v_add_f32_e32 v18, v16, v17
	s_waitcnt vmcnt(6)
	v_lshlrev_b32_e32 v17, 16, v31
	v_lshlrev_b32_e32 v16, 16, v30
	v_pk_mul_f32 v[16:17], v[76:77], v[16:17]
	s_nop 0
	v_add_f32_e32 v16, v18, v16
	v_add_f32_e32 v18, v16, v17
	s_waitcnt vmcnt(4)
	v_lshlrev_b32_e32 v17, 16, v29
	v_lshlrev_b32_e32 v16, 16, v28
	v_pk_mul_f32 v[16:17], v[78:79], v[16:17]
	s_nop 0
	;; [unrolled: 7-line block ×4, first 2 shown]
	v_add_f32_e32 v16, v18, v16
	v_add_f32_e32 v110, v16, v17
	s_cbranch_vccz .LBB652_15
; %bb.13:
	ds_read_b128 v[16:19], v3 offset:64
	v_lshlrev_b32_e32 v39, 16, v39
	ds_read_b128 v[20:23], v3 offset:80
	ds_read_b128 v[24:27], v3 offset:96
	;; [unrolled: 1-line block ×3, first 2 shown]
	v_lshlrev_b32_e32 v3, 16, v38
	s_cmpk_lt_u32 s38, 0x2001
	s_waitcnt lgkmcnt(3)
	v_fmac_f32_e32 v110, v16, v39
	v_fmac_f32_e32 v110, v17, v3
	v_lshlrev_b32_e32 v3, 16, v37
	v_fmac_f32_e32 v110, v18, v3
	v_lshlrev_b32_e32 v3, 16, v36
	v_fmac_f32_e32 v110, v19, v3
	v_lshlrev_b32_e32 v3, 16, v35
	s_waitcnt lgkmcnt(2)
	v_fmac_f32_e32 v110, v20, v3
	v_lshlrev_b32_e32 v3, 16, v34
	v_fmac_f32_e32 v110, v21, v3
	v_lshlrev_b32_e32 v3, 16, v33
	v_fmac_f32_e32 v110, v22, v3
	v_lshlrev_b32_e32 v3, 16, v32
	v_fmac_f32_e32 v110, v23, v3
	v_lshlrev_b32_e32 v3, 16, v47
	s_waitcnt lgkmcnt(1)
	v_fmac_f32_e32 v110, v24, v3
	v_lshlrev_b32_e32 v3, 16, v46
	;; [unrolled: 9-line block ×3, first 2 shown]
	v_fmac_f32_e32 v110, v29, v3
	v_lshlrev_b32_e32 v3, 16, v41
	v_fmac_f32_e32 v110, v30, v3
	v_lshlrev_b32_e32 v3, 16, v40
	v_fmac_f32_e32 v110, v31, v3
	s_cbranch_scc1 .LBB652_15
; %bb.14:
	v_mov_b32_e32 v3, 0
	ds_read_b128 v[16:19], v3 offset:128
	ds_read_b128 v[20:23], v3 offset:144
	;; [unrolled: 1-line block ×4, first 2 shown]
	s_waitcnt lgkmcnt(3)
	v_fmac_f32_e32 v110, v16, v67
	v_fmac_f32_e32 v110, v17, v65
	v_fmac_f32_e32 v110, v18, v66
	v_fmac_f32_e32 v110, v19, v63
	s_waitcnt lgkmcnt(2)
	v_fmac_f32_e32 v110, v20, v64
	v_fmac_f32_e32 v110, v21, v61
	v_fmac_f32_e32 v110, v22, v62
	v_fmac_f32_e32 v110, v23, v59
	;; [unrolled: 5-line block ×3, first 2 shown]
	ds_read_b128 v[16:19], v3 offset:192
	ds_read_b128 v[20:23], v3 offset:208
	s_waitcnt lgkmcnt(2)
	v_fmac_f32_e32 v110, v28, v56
	v_fmac_f32_e32 v110, v29, v53
	;; [unrolled: 1-line block ×4, first 2 shown]
	s_waitcnt lgkmcnt(1)
	v_fmac_f32_e32 v110, v16, v51
	v_fmac_f32_e32 v110, v17, v49
	;; [unrolled: 1-line block ×4, first 2 shown]
	s_waitcnt lgkmcnt(0)
	v_pk_mul_f32 v[14:15], v[20:21], v[14:15]
	v_pk_mul_f32 v[12:13], v[22:23], v[12:13]
	v_add_f32_e32 v14, v110, v14
	v_add_f32_e32 v18, v14, v15
	ds_read_b128 v[14:17], v3 offset:224
	v_add_f32_e32 v12, v18, v12
	ds_read_b128 v[18:21], v3 offset:240
	v_add_f32_e32 v12, v12, v13
	s_waitcnt lgkmcnt(1)
	v_pk_mul_f32 v[10:11], v[14:15], v[10:11]
	s_nop 0
	v_add_f32_e32 v3, v12, v10
	v_add_f32_e32 v3, v3, v11
	v_pk_mul_f32 v[8:9], v[16:17], v[8:9]
	s_waitcnt lgkmcnt(0)
	v_pk_mul_f32 v[6:7], v[18:19], v[6:7]
	v_add_f32_e32 v3, v3, v8
	v_add_f32_e32 v3, v3, v9
	;; [unrolled: 1-line block ×4, first 2 shown]
	v_pk_mul_f32 v[4:5], v[20:21], v[4:5]
	s_nop 0
	v_add_f32_e32 v3, v3, v4
	v_add_f32_e32 v110, v3, v5
.LBB652_15:
	s_movk_i32 s0, 0x3f80
	s_movk_i32 s1, 0x100
	s_mov_b32 s8, 64
	s_branch .LBB652_17
.LBB652_16:                             ;   in Loop: Header=BB652_17 Depth=1
	s_addk_i32 s0, 0x2000
	s_addk_i32 s1, 0x100
	s_add_i32 s8, s8, 64
	s_cmpk_eq_u32 s0, 0xbf80
	s_cbranch_scc1 .LBB652_19
.LBB652_17:                             ; =>This Inner Loop Header: Depth=1
	s_cmp_le_i32 s33, s8
	s_cbranch_scc1 .LBB652_16
; %bb.18:                               ;   in Loop: Header=BB652_17 Depth=1
	s_add_i32 s9, s0, 0xffffe080
	s_cmp_lt_i32 s9, s10
	s_cselect_b32 s12, s9, s11
	s_ashr_i32 s13, s12, 31
	s_add_i32 s9, s0, 0xffffe100
	s_cmp_lt_i32 s9, s10
	v_lshl_add_u64 v[42:43], s[12:13], 1, v[0:1]
	s_cselect_b32 s12, s9, s11
	s_ashr_i32 s13, s12, 31
	s_add_i32 s9, s0, 0xffffe180
	s_cmp_lt_i32 s9, s10
	v_lshl_add_u64 v[4:5], s[12:13], 1, v[0:1]
	;; [unrolled: 5-line block ×25, first 2 shown]
	s_cselect_b32 s12, s9, s11
	s_ashr_i32 s13, s12, 31
	s_add_i32 s9, s0, 0xffffed80
	s_cmp_lt_i32 s9, s10
	global_load_ushort v3, v[42:43], off
	global_load_ushort v120, v[44:45], off
	v_lshl_add_u64 v[18:19], s[12:13], 1, v[0:1]
	s_cselect_b32 s12, s9, s11
	global_load_ushort v111, v[4:5], off
	global_load_ushort v112, v[6:7], off
	;; [unrolled: 1-line block ×8, first 2 shown]
	s_ashr_i32 s13, s12, 31
	s_add_i32 s9, s0, 0xffffee00
	s_cmp_lt_i32 s9, s10
	v_lshl_add_u64 v[20:21], s[12:13], 1, v[0:1]
	s_cselect_b32 s12, s9, s11
	s_ashr_i32 s13, s12, 31
	s_add_i32 s9, s0, 0xffffee80
	s_cmp_lt_i32 s9, s10
	v_lshl_add_u64 v[38:39], s[12:13], 1, v[0:1]
	s_cselect_b32 s12, s9, s11
	s_ashr_i32 s13, s12, 31
	s_add_i32 s9, s0, 0xffffef00
	s_cmp_lt_i32 s9, s10
	global_load_ushort v119, v[28:29], off
	v_lshl_add_u64 v[40:41], s[12:13], 1, v[0:1]
	s_cselect_b32 s12, s9, s11
	s_ashr_i32 s13, s12, 31
	s_add_i32 s9, s0, 0xffffef80
	global_load_ushort v121, v[54:55], off
	global_load_ushort v122, v[56:57], off
	s_cmp_lt_i32 s9, s10
	global_load_ushort v58, v[58:59], off
	v_lshl_add_u64 v[50:51], s[12:13], 1, v[0:1]
	s_cselect_b32 s12, s9, s11
	s_ashr_i32 s13, s12, 31
	s_add_i32 s9, s0, 0xfffff000
	s_cmp_lt_i32 s9, s10
	v_lshl_add_u64 v[52:53], s[12:13], 1, v[0:1]
	s_cselect_b32 s12, s9, s11
	s_ashr_i32 s13, s12, 31
	s_add_i32 s9, s0, 0xfffff080
	global_load_ushort v59, v[60:61], off
	s_cmp_lt_i32 s9, s10
	global_load_ushort v60, v[66:67], off
	global_load_ushort v61, v[62:63], off
	v_lshl_add_u64 v[64:65], s[12:13], 1, v[0:1]
	s_cselect_b32 s12, s9, s11
	s_ashr_i32 s13, s12, 31
	s_add_i32 s9, s0, 0xfffff100
	s_cmp_lt_i32 s9, s10
	v_lshl_add_u64 v[68:69], s[12:13], 1, v[0:1]
	s_cselect_b32 s12, s9, s11
	s_ashr_i32 s13, s12, 31
	s_add_i32 s9, s0, 0xfffff180
	s_cmp_lt_i32 s9, s10
	;; [unrolled: 5-line block ×3, first 2 shown]
	global_load_ushort v62, v[24:25], off
	v_lshl_add_u64 v[72:73], s[12:13], 1, v[0:1]
	s_cselect_b32 s12, s9, s11
	global_load_ushort v66, v[30:31], off
	global_load_ushort v123, v[32:33], off
	;; [unrolled: 1-line block ×4, first 2 shown]
	s_ashr_i32 s13, s12, 31
	s_add_i32 s9, s0, 0xfffff280
	s_cmp_lt_i32 s9, s10
	global_load_ushort v67, v[46:47], off
	v_lshl_add_u64 v[74:75], s[12:13], 1, v[0:1]
	s_cselect_b32 s12, s9, s11
	s_ashr_i32 s13, s12, 31
	s_add_i32 s9, s0, 0xfffff300
	s_cmp_lt_i32 s9, s10
	v_lshl_add_u64 v[76:77], s[12:13], 1, v[0:1]
	s_cselect_b32 s12, s9, s11
	s_ashr_i32 s13, s12, 31
	s_add_i32 s9, s0, 0xfffff380
	s_cmp_lt_i32 s9, s10
	v_mov_b32_e32 v124, s1
	v_lshl_add_u64 v[78:79], s[12:13], 1, v[0:1]
	s_cselect_b32 s12, s9, s11
	ds_read_b128 v[28:31], v124
	ds_read_b128 v[32:35], v124 offset:16
	global_load_ushort v48, v[48:49], off
	s_ashr_i32 s13, s12, 31
	s_add_i32 s9, s0, 0xfffff400
	s_cmp_lt_i32 s9, s10
	v_lshl_add_u64 v[80:81], s[12:13], 1, v[0:1]
	s_cselect_b32 s12, s9, s11
	ds_read_b128 v[44:47], v124 offset:32
	ds_read_b128 v[54:57], v124 offset:48
	global_load_ushort v36, v[36:37], off
	s_ashr_i32 s13, s12, 31
	v_lshl_add_u64 v[82:83], s[12:13], 1, v[0:1]
	global_load_ushort v49, v[82:83], off
	global_load_ushort v37, v[18:19], off
	s_add_i32 s9, s0, 0xfffff480
	s_cmp_lt_i32 s9, s10
	s_cselect_b32 s12, s9, s11
	s_ashr_i32 s13, s12, 31
	s_add_i32 s9, s0, 0xfffff500
	s_cmp_lt_i32 s9, s10
	v_lshl_add_u64 v[84:85], s[12:13], 1, v[0:1]
	s_cselect_b32 s12, s9, s11
	s_ashr_i32 s13, s12, 31
	s_add_i32 s9, s0, 0xfffff580
	s_cmp_lt_i32 s9, s10
	v_lshl_add_u64 v[86:87], s[12:13], 1, v[0:1]
	;; [unrolled: 5-line block ×7, first 2 shown]
	s_cselect_b32 s12, s9, s11
	s_ashr_i32 s13, s12, 31
	s_add_i32 s9, s0, 0xfffff880
	s_waitcnt vmcnt(26)
	v_lshlrev_b32_e32 v3, 16, v3
	s_cmp_lt_i32 s9, s10
	s_waitcnt lgkmcnt(3)
	v_fmac_f32_e32 v110, v28, v3
	s_waitcnt vmcnt(24)
	v_lshlrev_b32_e32 v3, 16, v111
	v_lshl_add_u64 v[98:99], s[12:13], 1, v[0:1]
	s_cselect_b32 s12, s9, s11
	v_fmac_f32_e32 v110, v29, v3
	s_waitcnt vmcnt(23)
	v_lshlrev_b32_e32 v3, 16, v112
	s_ashr_i32 s13, s12, 31
	s_add_i32 s9, s0, 0xfffff900
	v_fmac_f32_e32 v110, v30, v3
	s_waitcnt vmcnt(22)
	v_lshlrev_b32_e32 v3, 16, v113
	s_cmp_lt_i32 s9, s10
	v_fmac_f32_e32 v110, v31, v3
	s_waitcnt vmcnt(21)
	v_lshlrev_b32_e32 v3, 16, v114
	v_lshl_add_u64 v[102:103], s[12:13], 1, v[0:1]
	s_cselect_b32 s12, s9, s11
	s_waitcnt lgkmcnt(2)
	v_fmac_f32_e32 v110, v32, v3
	global_load_ushort v3, v[20:21], off
	global_load_ushort v32, v[38:39], off
	s_waitcnt vmcnt(22)
	v_lshlrev_b32_e32 v18, 16, v115
	s_ashr_i32 s13, s12, 31
	s_add_i32 s9, s0, 0xfffff980
	v_fmac_f32_e32 v110, v33, v18
	s_waitcnt vmcnt(21)
	v_lshlrev_b32_e32 v18, 16, v116
	s_cmp_lt_i32 s9, s10
	v_fmac_f32_e32 v110, v34, v18
	s_waitcnt vmcnt(20)
	v_lshlrev_b32_e32 v18, 16, v117
	v_lshl_add_u64 v[104:105], s[12:13], 1, v[0:1]
	s_cselect_b32 s12, s9, s11
	global_load_ushort v33, v[40:41], off
	global_load_ushort v34, v[50:51], off
	v_fmac_f32_e32 v110, v35, v18
	global_load_ushort v35, v[52:53], off
	global_load_ushort v38, v[64:65], off
	;; [unrolled: 1-line block ×3, first 2 shown]
	s_waitcnt vmcnt(24)
	v_lshlrev_b32_e32 v18, 16, v118
	s_ashr_i32 s13, s12, 31
	s_add_i32 s9, s0, 0xfffffa00
	s_waitcnt lgkmcnt(1)
	v_fmac_f32_e32 v110, v44, v18
	global_load_ushort v44, v[74:75], off
	s_waitcnt vmcnt(24)
	v_lshlrev_b32_e32 v18, 16, v119
	s_cmp_lt_i32 s9, s10
	v_fmac_f32_e32 v110, v45, v18
	v_lshlrev_b32_e32 v18, 16, v120
	v_lshl_add_u64 v[106:107], s[12:13], 1, v[0:1]
	s_cselect_b32 s12, s9, s11
	v_fmac_f32_e32 v110, v46, v18
	global_load_ushort v46, v[78:79], off
	s_waitcnt vmcnt(24)
	v_lshlrev_b32_e32 v18, 16, v121
	s_ashr_i32 s13, s12, 31
	s_add_i32 s9, s0, 0xfffffa80
	v_fmac_f32_e32 v110, v47, v18
	s_waitcnt vmcnt(23)
	v_lshlrev_b32_e32 v18, 16, v122
	s_cmp_lt_i32 s9, s10
	s_waitcnt lgkmcnt(0)
	v_fmac_f32_e32 v110, v54, v18
	global_load_ushort v54, v[90:91], off
	global_load_ushort v40, v[70:71], off
	;; [unrolled: 1-line block ×8, first 2 shown]
	v_lshl_add_u64 v[100:101], s[12:13], 1, v[0:1]
	s_cselect_b32 s12, s9, s11
	s_ashr_i32 s13, s12, 31
	s_add_i32 s9, s0, 0xfffffb00
	s_cmp_lt_i32 s9, s10
	s_waitcnt vmcnt(30)
	v_lshlrev_b32_e32 v18, 16, v58
	v_lshl_add_u64 v[42:43], s[12:13], 1, v[0:1]
	s_cselect_b32 s12, s9, s11
	v_fmac_f32_e32 v110, v55, v18
	s_waitcnt vmcnt(29)
	v_lshlrev_b32_e32 v18, 16, v59
	s_ashr_i32 s13, s12, 31
	s_add_i32 s9, s0, 0xfffffb80
	v_fmac_f32_e32 v110, v56, v18
	s_waitcnt vmcnt(28)
	v_lshlrev_b32_e32 v18, 16, v60
	s_cmp_lt_i32 s9, s10
	v_fmac_f32_e32 v110, v57, v18
	ds_read_b128 v[18:21], v124 offset:64
	ds_read_b128 v[28:31], v124 offset:80
	v_lshl_add_u64 v[108:109], s[12:13], 1, v[0:1]
	s_cselect_b32 s12, s9, s11
	s_ashr_i32 s13, s12, 31
	s_add_i32 s9, s0, 0xfffffc00
	s_cmp_lt_i32 s9, s10
	v_lshl_add_u64 v[4:5], s[12:13], 1, v[0:1]
	s_cselect_b32 s12, s9, s11
	s_waitcnt vmcnt(27)
	v_lshlrev_b32_e32 v52, 16, v61
	s_ashr_i32 s13, s12, 31
	s_add_i32 s9, s0, 0xfffffc80
	s_waitcnt lgkmcnt(1)
	v_fmac_f32_e32 v110, v18, v52
	global_load_ushort v52, v[92:93], off
	s_cmp_lt_i32 s9, s10
	global_load_ushort v55, v[94:95], off
	global_load_ushort v56, v[96:97], off
	;; [unrolled: 1-line block ×5, first 2 shown]
	v_lshl_add_u64 v[6:7], s[12:13], 1, v[0:1]
	s_cselect_b32 s12, s9, s11
	s_ashr_i32 s13, s12, 31
	s_add_i32 s9, s0, 0xfffffd00
	s_waitcnt vmcnt(32)
	v_lshlrev_b32_e32 v18, 16, v62
	s_cmp_lt_i32 s9, s10
	v_fmac_f32_e32 v110, v19, v18
	s_waitcnt vmcnt(28)
	v_lshlrev_b32_e32 v18, 16, v63
	v_lshl_add_u64 v[8:9], s[12:13], 1, v[0:1]
	s_cselect_b32 s12, s9, s11
	v_fmac_f32_e32 v110, v20, v18
	v_lshlrev_b32_e32 v18, 16, v66
	s_ashr_i32 s13, s12, 31
	s_add_i32 s9, s0, 0xfffffd80
	v_fmac_f32_e32 v110, v21, v18
	s_waitcnt vmcnt(27)
	v_lshlrev_b32_e32 v18, 16, v67
	s_cmp_lt_i32 s9, s10
	s_waitcnt lgkmcnt(0)
	v_fmac_f32_e32 v110, v28, v18
	global_load_ushort v28, v[106:107], off
	v_lshl_add_u64 v[12:13], s[12:13], 1, v[0:1]
	s_cselect_b32 s12, s9, s11
	global_load_ushort v60, v[100:101], off
	global_load_ushort v61, v[42:43], off
	;; [unrolled: 1-line block ×3, first 2 shown]
	s_ashr_i32 s13, s12, 31
	s_add_i32 s9, s0, 0xfffffe00
	v_lshlrev_b32_e32 v18, 16, v123
	s_cmp_lt_i32 s9, s10
	v_fmac_f32_e32 v110, v29, v18
	v_lshlrev_b32_e32 v18, 16, v125
	v_lshl_add_u64 v[10:11], s[12:13], 1, v[0:1]
	s_cselect_b32 s12, s9, s11
	v_fmac_f32_e32 v110, v30, v18
	global_load_ushort v29, v[4:5], off
	global_load_ushort v30, v[6:7], off
	s_ashr_i32 s13, s12, 31
	s_add_i32 s9, s0, 0xfffffe80
	s_cmp_lt_i32 s9, s10
	s_waitcnt vmcnt(32)
	v_lshlrev_b32_e32 v4, 16, v48
	v_lshl_add_u64 v[22:23], s[12:13], 1, v[0:1]
	s_cselect_b32 s12, s9, s11
	v_fmac_f32_e32 v110, v31, v4
	ds_read_b128 v[4:7], v124 offset:96
	s_ashr_i32 s13, s12, 31
	s_add_i32 s9, s0, 0xffffff00
	s_cmp_lt_i32 s9, s10
	s_waitcnt vmcnt(31)
	v_lshlrev_b32_e32 v31, 16, v36
	global_load_ushort v36, v[8:9], off
	global_load_ushort v42, v[12:13], off
	v_lshl_add_u64 v[14:15], s[12:13], 1, v[0:1]
	s_cselect_b32 s12, s9, s11
	s_ashr_i32 s13, s12, 31
	s_add_i32 s9, s0, 0xffffff80
	s_cmp_lt_i32 s9, s10
	ds_read_b128 v[18:21], v124 offset:112
	s_waitcnt lgkmcnt(1)
	v_fmac_f32_e32 v110, v4, v31
	s_waitcnt vmcnt(31)
	v_lshlrev_b32_e32 v4, 16, v37
	global_load_ushort v31, v[10:11], off
	global_load_ushort v37, v[22:23], off
	v_lshl_add_u64 v[24:25], s[12:13], 1, v[0:1]
	s_cselect_b32 s12, s9, s11
	s_ashr_i32 s13, s12, 31
	s_cmp_lt_i32 s0, s10
	global_load_ushort v22, v[14:15], off
	global_load_ushort v23, v[24:25], off
	v_lshl_add_u64 v[16:17], s[12:13], 1, v[0:1]
	s_cselect_b32 s12, s0, s11
	s_ashr_i32 s13, s12, 31
	v_lshl_add_u64 v[26:27], s[12:13], 1, v[0:1]
	global_load_ushort v14, v[16:17], off
	global_load_ushort v15, v[26:27], off
	v_fmac_f32_e32 v110, v5, v4
	s_waitcnt vmcnt(36)
	v_lshlrev_b32_e32 v3, 16, v3
	v_fmac_f32_e32 v110, v6, v3
	s_waitcnt vmcnt(35)
	v_lshlrev_b32_e32 v3, 16, v32
	;; [unrolled: 3-line block ×3, first 2 shown]
	ds_read_b128 v[4:7], v124 offset:128
	ds_read_b128 v[8:11], v124 offset:144
	s_waitcnt lgkmcnt(2)
	v_fmac_f32_e32 v110, v18, v3
	s_waitcnt vmcnt(33)
	v_lshlrev_b32_e32 v3, 16, v34
	v_fmac_f32_e32 v110, v19, v3
	s_waitcnt vmcnt(32)
	v_lshlrev_b32_e32 v3, 16, v35
	;; [unrolled: 3-line block ×4, first 2 shown]
	s_waitcnt lgkmcnt(1)
	v_fmac_f32_e32 v110, v4, v3
	s_waitcnt vmcnt(26)
	v_lshlrev_b32_e32 v3, 16, v40
	v_fmac_f32_e32 v110, v5, v3
	s_waitcnt vmcnt(25)
	v_lshlrev_b32_e32 v3, 16, v41
	v_fmac_f32_e32 v110, v6, v3
	v_lshlrev_b32_e32 v3, 16, v44
	v_fmac_f32_e32 v110, v7, v3
	s_waitcnt vmcnt(24)
	v_lshlrev_b32_e32 v3, 16, v45
	ds_read_b128 v[4:7], v124 offset:160
	s_waitcnt lgkmcnt(1)
	v_fmac_f32_e32 v110, v8, v3
	v_lshlrev_b32_e32 v3, 16, v46
	v_fmac_f32_e32 v110, v9, v3
	s_waitcnt vmcnt(23)
	v_lshlrev_b32_e32 v3, 16, v47
	v_fmac_f32_e32 v110, v10, v3
	v_lshlrev_b32_e32 v3, 16, v49
	v_fmac_f32_e32 v110, v11, v3
	ds_read_b128 v[8:11], v124 offset:176
	s_waitcnt vmcnt(22)
	v_lshlrev_b32_e32 v3, 16, v50
	s_waitcnt lgkmcnt(1)
	v_fmac_f32_e32 v110, v4, v3
	s_waitcnt vmcnt(21)
	v_lshlrev_b32_e32 v3, 16, v51
	v_fmac_f32_e32 v110, v5, v3
	s_waitcnt vmcnt(20)
	v_lshlrev_b32_e32 v3, 16, v53
	v_fmac_f32_e32 v110, v6, v3
	v_lshlrev_b32_e32 v3, 16, v54
	v_fmac_f32_e32 v110, v7, v3
	s_waitcnt vmcnt(19)
	v_lshlrev_b32_e32 v3, 16, v52
	s_waitcnt lgkmcnt(0)
	v_fmac_f32_e32 v110, v8, v3
	s_waitcnt vmcnt(18)
	v_lshlrev_b32_e32 v3, 16, v55
	ds_read_b128 v[4:7], v124 offset:192
	v_fmac_f32_e32 v110, v9, v3
	s_waitcnt vmcnt(17)
	v_lshlrev_b32_e32 v3, 16, v56
	v_fmac_f32_e32 v110, v10, v3
	s_waitcnt vmcnt(16)
	v_lshlrev_b32_e32 v3, 16, v57
	v_fmac_f32_e32 v110, v11, v3
	ds_read_b128 v[8:11], v124 offset:208
	s_waitcnt vmcnt(15)
	v_lshlrev_b32_e32 v3, 16, v58
	s_waitcnt lgkmcnt(1)
	v_fmac_f32_e32 v110, v4, v3
	s_waitcnt vmcnt(14)
	v_lshlrev_b32_e32 v3, 16, v59
	v_fmac_f32_e32 v110, v5, v3
	s_waitcnt vmcnt(13)
	v_lshlrev_b32_e32 v3, 16, v28
	;; [unrolled: 3-line block ×3, first 2 shown]
	s_waitcnt vmcnt(10)
	v_lshlrev_b32_e32 v5, 16, v62
	v_lshlrev_b32_e32 v4, 16, v61
	v_fmac_f32_e32 v110, v7, v3
	s_waitcnt lgkmcnt(0)
	v_pk_mul_f32 v[4:5], v[8:9], v[4:5]
	s_waitcnt vmcnt(6)
	v_lshlrev_b32_e32 v13, 16, v42
	v_add_f32_e32 v3, v110, v4
	v_add_f32_e32 v3, v3, v5
	v_lshlrev_b32_e32 v5, 16, v30
	v_lshlrev_b32_e32 v4, 16, v29
	v_pk_mul_f32 v[8:9], v[10:11], v[4:5]
	ds_read_b128 v[4:7], v124 offset:224
	v_add_f32_e32 v3, v3, v8
	v_lshlrev_b32_e32 v12, 16, v36
	v_add_f32_e32 v3, v3, v9
	ds_read_b128 v[8:11], v124 offset:240
	s_waitcnt lgkmcnt(1)
	v_pk_mul_f32 v[4:5], v[4:5], v[12:13]
	s_nop 0
	v_add_f32_e32 v3, v3, v4
	v_add_f32_e32 v3, v3, v5
	s_waitcnt vmcnt(4)
	v_lshlrev_b32_e32 v5, 16, v37
	v_lshlrev_b32_e32 v4, 16, v31
	v_pk_mul_f32 v[4:5], v[6:7], v[4:5]
	s_nop 0
	v_add_f32_e32 v3, v3, v4
	v_add_f32_e32 v3, v3, v5
	s_waitcnt vmcnt(2)
	v_lshlrev_b32_e32 v5, 16, v23
	v_lshlrev_b32_e32 v4, 16, v22
	s_waitcnt lgkmcnt(0)
	v_pk_mul_f32 v[4:5], v[8:9], v[4:5]
	s_nop 0
	v_add_f32_e32 v3, v3, v4
	v_add_f32_e32 v3, v3, v5
	s_waitcnt vmcnt(1)
	v_lshlrev_b32_e32 v4, 16, v14
	s_waitcnt vmcnt(0)
	v_lshlrev_b32_e32 v5, 16, v15
	v_pk_mul_f32 v[4:5], v[10:11], v[4:5]
	s_nop 0
	v_add_f32_e32 v3, v3, v4
	v_add_f32_e32 v110, v3, v5
	s_branch .LBB652_16
.LBB652_19:
	v_mov_b32_e32 v0, 0
	ds_read_b32 v0, v0 offset:1280
	s_cmp_lg_u64 s[6:7], 0
	s_cbranch_scc0 .LBB652_28
; %bb.20:
	s_load_dword s6, s[6:7], 0x0
	s_waitcnt lgkmcnt(0)
	v_div_scale_f32 v1, s[0:1], s6, s6, 1.0
	v_rcp_f32_e32 v3, v1
	v_div_scale_f32 v4, vcc, 1.0, s6, 1.0
	v_fma_f32 v5, -v1, v3, 1.0
	v_fmac_f32_e32 v3, v5, v3
	v_mul_f32_e32 v5, v4, v3
	v_fma_f32 v6, -v1, v5, v4
	v_fmac_f32_e32 v5, v6, v3
	v_fma_f32 v1, -v1, v5, v4
	v_div_fmas_f32 v1, v1, v3, v5
	v_div_fixup_f32 v1, v1, s6, 1.0
	s_andn2_b64 vcc, exec, s[26:27]
	s_cbranch_vccnz .LBB652_22
.LBB652_21:
	s_add_u32 s0, s24, s28
	s_addc_u32 s1, s25, s29
	s_load_dword s14, s[0:1], 0x0
	s_mov_b32 s15, 0
.LBB652_22:
	s_waitcnt lgkmcnt(0)
	v_add_f32_e32 v0, 0x358637bd, v0
	v_div_scale_f32 v3, s[0:1], v0, v0, 1.0
	v_rcp_f32_e32 v4, v3
	v_div_scale_f32 v5, vcc, 1.0, v0, 1.0
	s_mov_b32 s0, 0x7f800000
	v_fma_f32 v6, -v3, v4, 1.0
	v_fmac_f32_e32 v4, v6, v4
	v_mul_f32_e32 v6, v5, v4
	v_fma_f32 v7, -v3, v6, v5
	v_fmac_f32_e32 v6, v7, v4
	v_fma_f32 v3, -v3, v6, v5
	v_div_fmas_f32 v3, v3, v4, v6
	v_div_fixup_f32 v0, v3, v0, 1.0
	v_mul_f32_e32 v0, v110, v0
	v_mul_f32_e32 v1, v0, v1
	v_and_b32_e32 v0, 0x7f800000, v1
	v_cmp_ne_u32_e32 vcc, s0, v0
                                        ; implicit-def: $vgpr0
	s_and_saveexec_b64 s[0:1], vcc
	s_xor_b64 s[0:1], exec, s[0:1]
; %bb.23:
	v_bfe_u32 v0, v1, 16, 1
	s_movk_i32 s6, 0x7fff
	v_add3_u32 v0, v1, v0, s6
                                        ; implicit-def: $vgpr1
; %bb.24:
	s_andn2_saveexec_b64 s[0:1], s[0:1]
; %bb.25:
	v_mov_b32_e32 v0, 0
	v_or_b32_e32 v3, 0x10000, v1
	v_cmp_eq_u32_sdwa vcc, v1, v0 src0_sel:WORD_0 src1_sel:DWORD
	s_nop 1
	v_cndmask_b32_e32 v0, v3, v1, vcc
; %bb.26:
	s_or_b64 exec, exec, s[0:1]
	s_mul_i32 s0, s3, s15
	s_mul_hi_u32 s1, s3, s14
	s_add_i32 s1, s1, s0
	s_mul_i32 s0, s3, s14
	s_lshl_b64 s[0:1], s[0:1], 8
	s_add_u32 s4, s4, s0
	s_mov_b32 s3, 0
	s_addc_u32 s5, s5, s1
	s_lshl_b64 s[0:1], s[2:3], 8
	s_add_u32 s0, s4, s0
	s_addc_u32 s1, s5, s1
	global_store_short_d16_hi v2, v0, s[0:1]
	s_endpgm
.LBB652_27:
	s_mov_b64 s[6:7], 0
	s_branch .LBB652_2
.LBB652_28:
	v_mov_b32_e32 v1, 1.0
	s_andn2_b64 vcc, exec, s[26:27]
	s_cbranch_vccz .LBB652_21
	s_branch .LBB652_22
	.section	.rodata,"a",@progbits
	.p2align	6, 0x0
	.amdhsa_kernel _Z35paged_attention_ll4mi_reduce_kernelI14__hip_bfloat16S0_Li128ELi128ELi256ELi5EEvPT0_PKfS4_PKT_PKiS9_iS4_
		.amdhsa_group_segment_fixed_size 1284
		.amdhsa_private_segment_fixed_size 0
		.amdhsa_kernarg_size 320
		.amdhsa_user_sgpr_count 2
		.amdhsa_user_sgpr_dispatch_ptr 0
		.amdhsa_user_sgpr_queue_ptr 0
		.amdhsa_user_sgpr_kernarg_segment_ptr 1
		.amdhsa_user_sgpr_dispatch_id 0
		.amdhsa_user_sgpr_kernarg_preload_length 0
		.amdhsa_user_sgpr_kernarg_preload_offset 0
		.amdhsa_user_sgpr_private_segment_size 0
		.amdhsa_uses_dynamic_stack 0
		.amdhsa_enable_private_segment 0
		.amdhsa_system_sgpr_workgroup_id_x 1
		.amdhsa_system_sgpr_workgroup_id_y 1
		.amdhsa_system_sgpr_workgroup_id_z 0
		.amdhsa_system_sgpr_workgroup_info 0
		.amdhsa_system_vgpr_workitem_id 0
		.amdhsa_next_free_vgpr 126
		.amdhsa_next_free_sgpr 40
		.amdhsa_accum_offset 128
		.amdhsa_reserve_vcc 1
		.amdhsa_float_round_mode_32 0
		.amdhsa_float_round_mode_16_64 0
		.amdhsa_float_denorm_mode_32 3
		.amdhsa_float_denorm_mode_16_64 3
		.amdhsa_dx10_clamp 1
		.amdhsa_ieee_mode 1
		.amdhsa_fp16_overflow 0
		.amdhsa_tg_split 0
		.amdhsa_exception_fp_ieee_invalid_op 0
		.amdhsa_exception_fp_denorm_src 0
		.amdhsa_exception_fp_ieee_div_zero 0
		.amdhsa_exception_fp_ieee_overflow 0
		.amdhsa_exception_fp_ieee_underflow 0
		.amdhsa_exception_fp_ieee_inexact 0
		.amdhsa_exception_int_div_zero 0
	.end_amdhsa_kernel
	.section	.text._Z35paged_attention_ll4mi_reduce_kernelI14__hip_bfloat16S0_Li128ELi128ELi256ELi5EEvPT0_PKfS4_PKT_PKiS9_iS4_,"axG",@progbits,_Z35paged_attention_ll4mi_reduce_kernelI14__hip_bfloat16S0_Li128ELi128ELi256ELi5EEvPT0_PKfS4_PKT_PKiS9_iS4_,comdat
.Lfunc_end652:
	.size	_Z35paged_attention_ll4mi_reduce_kernelI14__hip_bfloat16S0_Li128ELi128ELi256ELi5EEvPT0_PKfS4_PKT_PKiS9_iS4_, .Lfunc_end652-_Z35paged_attention_ll4mi_reduce_kernelI14__hip_bfloat16S0_Li128ELi128ELi256ELi5EEvPT0_PKfS4_PKT_PKiS9_iS4_
                                        ; -- End function
	.section	.AMDGPU.csdata,"",@progbits
; Kernel info:
; codeLenInByte = 8852
; NumSgprs: 46
; NumVgprs: 126
; NumAgprs: 0
; TotalNumVgprs: 126
; ScratchSize: 0
; MemoryBound: 0
; FloatMode: 240
; IeeeMode: 1
; LDSByteSize: 1284 bytes/workgroup (compile time only)
; SGPRBlocks: 5
; VGPRBlocks: 15
; NumSGPRsForWavesPerEU: 46
; NumVGPRsForWavesPerEU: 126
; AccumOffset: 128
; Occupancy: 4
; WaveLimiterHint : 1
; COMPUTE_PGM_RSRC2:SCRATCH_EN: 0
; COMPUTE_PGM_RSRC2:USER_SGPR: 2
; COMPUTE_PGM_RSRC2:TRAP_HANDLER: 0
; COMPUTE_PGM_RSRC2:TGID_X_EN: 1
; COMPUTE_PGM_RSRC2:TGID_Y_EN: 1
; COMPUTE_PGM_RSRC2:TGID_Z_EN: 0
; COMPUTE_PGM_RSRC2:TIDIG_COMP_CNT: 0
; COMPUTE_PGM_RSRC3_GFX90A:ACCUM_OFFSET: 31
; COMPUTE_PGM_RSRC3_GFX90A:TG_SPLIT: 0
	.section	.text._Z35paged_attention_ll4mi_reduce_kernelI14__hip_bfloat16S0_Li128ELi128ELi256ELi6EEvPT0_PKfS4_PKT_PKiS9_iS4_,"axG",@progbits,_Z35paged_attention_ll4mi_reduce_kernelI14__hip_bfloat16S0_Li128ELi128ELi256ELi6EEvPT0_PKfS4_PKT_PKiS9_iS4_,comdat
	.protected	_Z35paged_attention_ll4mi_reduce_kernelI14__hip_bfloat16S0_Li128ELi128ELi256ELi6EEvPT0_PKfS4_PKT_PKiS9_iS4_ ; -- Begin function _Z35paged_attention_ll4mi_reduce_kernelI14__hip_bfloat16S0_Li128ELi128ELi256ELi6EEvPT0_PKfS4_PKT_PKiS9_iS4_
	.globl	_Z35paged_attention_ll4mi_reduce_kernelI14__hip_bfloat16S0_Li128ELi128ELi256ELi6EEvPT0_PKfS4_PKT_PKiS9_iS4_
	.p2align	8
	.type	_Z35paged_attention_ll4mi_reduce_kernelI14__hip_bfloat16S0_Li128ELi128ELi256ELi6EEvPT0_PKfS4_PKT_PKiS9_iS4_,@function
_Z35paged_attention_ll4mi_reduce_kernelI14__hip_bfloat16S0_Li128ELi128ELi256ELi6EEvPT0_PKfS4_PKT_PKiS9_iS4_: ; @_Z35paged_attention_ll4mi_reduce_kernelI14__hip_bfloat16S0_Li128ELi128ELi256ELi6EEvPT0_PKfS4_PKT_PKiS9_iS4_
; %bb.0:
	s_load_dwordx2 s[26:27], s[0:1], 0x28
	s_mov_b32 s24, s3
	s_mov_b64 s[4:5], 0
	s_waitcnt lgkmcnt(0)
	s_cmp_lg_u64 s[26:27], 0
	s_cselect_b64 s[28:29], -1, 0
	s_and_b64 vcc, exec, s[28:29]
	s_cbranch_vccz .LBB653_27
; %bb.1:
	s_add_i32 s6, s24, 1
	s_mov_b32 s7, 0
	s_lshl_b64 s[8:9], s[6:7], 2
	s_add_u32 s8, s26, s8
	s_mov_b32 s25, s7
	s_addc_u32 s9, s27, s9
	s_lshl_b64 s[6:7], s[24:25], 2
	s_add_u32 s6, s26, s6
	s_addc_u32 s7, s27, s7
	s_load_dword s3, s[8:9], 0x0
	s_load_dword s10, s[6:7], 0x0
	s_waitcnt lgkmcnt(0)
	s_sub_i32 s3, s3, s10
	s_cmp_eq_u32 s3, 1
	s_cselect_b64 s[6:7], -1, 0
	s_andn2_b64 vcc, exec, s[4:5]
	s_cbranch_vccnz .LBB653_3
.LBB653_2:
	s_mov_b32 s25, 0
	s_mov_b64 s[6:7], -1
.LBB653_3:
	s_andn2_b64 vcc, exec, s[6:7]
	s_cbranch_vccz .LBB653_5
; %bb.4:
	s_endpgm
.LBB653_5:
	s_load_dwordx4 s[16:19], s[0:1], 0x18
	s_load_dword s8, s[0:1], 0x30
	s_lshl_b64 s[30:31], s[24:25], 2
	v_cmp_lt_u32_e32 vcc, 63, v0
	s_waitcnt lgkmcnt(0)
	s_add_u32 s4, s18, s30
	s_addc_u32 s5, s19, s31
	s_load_dword s38, s[4:5], 0x0
	s_load_dword s3, s[0:1], 0x40
	s_mul_i32 s18, s2, s8
	s_mul_i32 s6, s24, s8
	s_waitcnt lgkmcnt(0)
	s_add_i32 s7, s38, 0xff
	s_ashr_i32 s4, s7, 31
	s_lshr_b32 s4, s4, 24
	s_add_i32 s7, s7, s4
	s_and_saveexec_b64 s[4:5], vcc
	s_xor_b64 s[4:5], exec, s[4:5]
	s_or_saveexec_b64 s[34:35], s[4:5]
	s_ashr_i32 s33, s7, 8
	v_mov_b32_e32 v1, s18
	s_mul_i32 s36, s6, s3
	s_xor_b64 exec, exec, s[34:35]
	s_cbranch_execz .LBB653_9
; %bb.6:
	s_add_i32 s4, s33, -1
	v_or_b32_e32 v3, 64, v0
	v_mov_b32_e32 v1, s4
	v_cmp_gt_u32_e64 s[10:11], s33, v3
	s_load_dwordx4 s[20:23], s[0:1], 0x8
	s_mov_b32 s37, 0
	v_cndmask_b32_e64 v4, v1, v3, s[10:11]
	v_or_b32_e32 v3, 0x80, v0
	v_cmp_gt_u32_e64 s[8:9], s33, v3
	s_lshl_b64 s[14:15], s[36:37], 2
	s_mov_b32 s19, s37
	v_cndmask_b32_e64 v6, v1, v3, s[8:9]
	v_or_b32_e32 v3, 0xc0, v0
	v_cmp_gt_u32_e64 s[6:7], s33, v3
	v_cmp_gt_u32_e64 s[12:13], s33, v0
	s_waitcnt lgkmcnt(0)
	s_add_u32 s37, s22, s14
	v_cndmask_b32_e64 v8, v1, v3, s[6:7]
	v_or_b32_e32 v3, 0x100, v0
	v_cmp_gt_u32_e64 s[4:5], s33, v3
	v_cndmask_b32_e64 v2, v1, v0, s[12:13]
	s_addc_u32 s39, s23, s15
	v_cndmask_b32_e64 v10, v1, v3, s[4:5]
	v_or_b32_e32 v3, 0x140, v0
	v_cmp_gt_u32_e32 vcc, s33, v3
	s_lshl_b64 s[22:23], s[18:19], 2
	s_add_u32 s40, s37, s22
	v_cndmask_b32_e32 v12, v1, v3, vcc
	v_ashrrev_i32_e32 v3, 31, v2
	s_addc_u32 s41, s39, s23
	v_lshlrev_b64 v[2:3], 2, v[2:3]
	v_ashrrev_i32_e32 v5, 31, v4
	v_ashrrev_i32_e32 v7, 31, v6
	;; [unrolled: 1-line block ×5, first 2 shown]
	v_lshl_add_u64 v[14:15], s[40:41], 0, v[2:3]
	v_lshlrev_b64 v[4:5], 2, v[4:5]
	v_lshlrev_b64 v[6:7], 2, v[6:7]
	;; [unrolled: 1-line block ×5, first 2 shown]
	v_lshl_add_u64 v[16:17], s[40:41], 0, v[4:5]
	v_lshl_add_u64 v[18:19], s[40:41], 0, v[6:7]
	;; [unrolled: 1-line block ×5, first 2 shown]
	global_load_dword v1, v[14:15], off
	global_load_dword v26, v[16:17], off
	;; [unrolled: 1-line block ×6, first 2 shown]
	v_mbcnt_lo_u32_b32 v14, -1, 0
	s_add_u32 s14, s20, s14
	v_mbcnt_hi_u32_b32 v14, -1, v14
	s_addc_u32 s15, s21, s15
	v_and_b32_e32 v15, 64, v14
	s_add_u32 s20, s14, s22
	v_xor_b32_e32 v16, 32, v14
	v_add_u32_e32 v15, 64, v15
	s_addc_u32 s21, s15, s23
	v_lshl_add_u64 v[2:3], s[20:21], 0, v[2:3]
	v_cmp_lt_i32_e64 s[14:15], v16, v15
	global_load_dword v20, v[2:3], off
	v_xor_b32_e32 v17, 16, v14
	v_cndmask_b32_e64 v2, v14, v16, s[14:15]
	v_lshlrev_b32_e32 v16, 2, v2
	v_cmp_lt_i32_e64 s[14:15], v17, v15
	v_xor_b32_e32 v18, 8, v14
	v_xor_b32_e32 v19, 4, v14
	s_mov_b32 s19, 0x3fb8aa3b
	s_mov_b32 s37, 0xc2ce8ed0
	s_waitcnt vmcnt(6)
	v_max_f32_e32 v3, v1, v1
	s_waitcnt vmcnt(5)
	v_max_f32_e32 v2, v26, v26
	v_max_f32_e32 v2, v3, v2
	s_waitcnt vmcnt(3)
	v_max3_f32 v2, v2, v27, v28
	s_waitcnt vmcnt(1)
	v_max3_f32 v21, v2, v29, v30
	ds_bpermute_b32 v22, v16, v21
	v_cndmask_b32_e64 v2, v14, v17, s[14:15]
	v_lshlrev_b32_e32 v17, 2, v2
	v_lshl_add_u64 v[2:3], s[20:21], 0, v[4:5]
	global_load_dword v23, v[2:3], off
	s_waitcnt lgkmcnt(0)
	v_max_f32_e32 v2, v22, v22
	v_max_f32_e32 v2, v21, v2
	ds_bpermute_b32 v3, v17, v2
	v_cmp_lt_i32_e64 s[14:15], v18, v15
	v_xor_b32_e32 v4, 2, v14
	s_waitcnt lgkmcnt(0)
	v_max_f32_e32 v3, v3, v3
	v_cndmask_b32_e64 v5, v14, v18, s[14:15]
	v_lshlrev_b32_e32 v18, 2, v5
	v_max_f32_e32 v5, v2, v3
	ds_bpermute_b32 v21, v18, v5
	v_cmp_lt_i32_e64 s[14:15], v19, v15
	s_nop 1
	v_cndmask_b32_e64 v2, v14, v19, s[14:15]
	v_lshlrev_b32_e32 v19, 2, v2
	v_lshl_add_u64 v[2:3], s[20:21], 0, v[6:7]
	global_load_dword v6, v[2:3], off
	s_waitcnt lgkmcnt(0)
	v_max_f32_e32 v2, v21, v21
	v_max_f32_e32 v2, v5, v2
	ds_bpermute_b32 v3, v19, v2
	v_xor_b32_e32 v5, 1, v14
	v_cmp_lt_i32_e64 s[14:15], v4, v15
	s_waitcnt lgkmcnt(0)
	v_max_f32_e32 v3, v3, v3
	v_cndmask_b32_e64 v4, v14, v4, s[14:15]
	v_cmp_lt_i32_e64 s[14:15], v5, v15
	v_max_f32_e32 v21, v2, v3
	v_lshlrev_b32_e32 v7, 2, v4
	v_cndmask_b32_e64 v2, v14, v5, s[14:15]
	v_lshlrev_b32_e32 v14, 2, v2
	v_lshl_add_u64 v[2:3], s[20:21], 0, v[8:9]
	v_lshl_add_u64 v[4:5], s[20:21], 0, v[10:11]
	global_load_dword v10, v[2:3], off
	v_lshl_add_u64 v[2:3], s[20:21], 0, v[12:13]
	global_load_dword v11, v[4:5], off
	global_load_dword v12, v[2:3], off
	ds_bpermute_b32 v22, v7, v21
	s_mov_b32 s20, 0x42b17218
	s_waitcnt lgkmcnt(0)
	v_max_f32_e32 v8, v22, v22
	v_max_f32_e32 v8, v21, v8
	ds_bpermute_b32 v9, v14, v8
	s_waitcnt lgkmcnt(0)
	v_max_f32_e32 v2, v9, v9
	v_max_f32_e32 v2, v8, v2
	v_sub_f32_e32 v1, v1, v2
	v_mul_f32_e32 v4, 0x3fb8aa3b, v1
	v_fma_f32 v8, v1, s19, -v4
	v_rndne_f32_e32 v9, v4
	v_sub_f32_e32 v3, v26, v2
	v_fmac_f32_e32 v8, 0x32a5705f, v1
	v_sub_f32_e32 v4, v4, v9
	v_mul_f32_e32 v5, 0x3fb8aa3b, v3
	v_add_f32_e32 v4, v4, v8
	v_fma_f32 v13, v3, s19, -v5
	v_rndne_f32_e32 v15, v5
	v_cvt_i32_f32_e32 v9, v9
	v_exp_f32_e32 v4, v4
	v_fmac_f32_e32 v13, 0x32a5705f, v3
	v_sub_f32_e32 v5, v5, v15
	v_add_f32_e32 v5, v5, v13
	v_cvt_i32_f32_e32 v15, v15
	v_exp_f32_e32 v5, v5
	v_ldexp_f32 v4, v4, v9
	v_cmp_ngt_f32_e64 s[14:15], s37, v1
	v_mov_b32_e32 v8, 0x7f800000
	v_ldexp_f32 v5, v5, v15
	v_cndmask_b32_e64 v4, 0, v4, s[14:15]
	v_cmp_nlt_f32_e64 s[14:15], s20, v1
	s_nop 1
	v_cndmask_b32_e64 v1, v8, v4, s[14:15]
	v_cndmask_b32_e64 v1, 0, v1, s[12:13]
	v_cmp_ngt_f32_e64 s[12:13], s37, v3
	s_waitcnt vmcnt(5)
	v_mul_f32_e32 v4, v20, v1
	v_cndmask_b32_e64 v1, 0, v5, s[12:13]
	v_sub_f32_e32 v5, v27, v2
	v_mul_f32_e32 v9, 0x3fb8aa3b, v5
	v_fma_f32 v13, v5, s19, -v9
	v_rndne_f32_e32 v15, v9
	v_fmac_f32_e32 v13, 0x32a5705f, v5
	v_sub_f32_e32 v9, v9, v15
	v_add_f32_e32 v9, v9, v13
	v_exp_f32_e32 v9, v9
	v_cvt_i32_f32_e32 v13, v15
	v_cmp_nlt_f32_e64 s[12:13], s20, v3
	s_nop 1
	v_cndmask_b32_e64 v1, v8, v1, s[12:13]
	v_cndmask_b32_e64 v1, 0, v1, s[10:11]
	s_waitcnt vmcnt(4)
	v_mul_f32_e32 v3, v23, v1
	v_ldexp_f32 v1, v9, v13
	v_sub_f32_e32 v9, v28, v2
	v_mul_f32_e32 v13, 0x3fb8aa3b, v9
	v_fma_f32 v15, v9, s19, -v13
	v_rndne_f32_e32 v20, v13
	v_fmac_f32_e32 v15, 0x32a5705f, v9
	v_sub_f32_e32 v13, v13, v20
	v_cmp_ngt_f32_e64 s[10:11], s37, v5
	v_add_f32_e32 v13, v13, v15
	v_exp_f32_e32 v13, v13
	v_cndmask_b32_e64 v1, 0, v1, s[10:11]
	v_cvt_i32_f32_e32 v15, v20
	v_cmp_nlt_f32_e64 s[10:11], s20, v5
	s_nop 1
	v_cndmask_b32_e64 v1, v8, v1, s[10:11]
	v_cndmask_b32_e64 v1, 0, v1, s[8:9]
	s_waitcnt vmcnt(3)
	v_mul_f32_e32 v5, v6, v1
	v_sub_f32_e32 v6, v29, v2
	v_ldexp_f32 v1, v13, v15
	v_mul_f32_e32 v13, 0x3fb8aa3b, v6
	v_fma_f32 v15, v6, s19, -v13
	v_rndne_f32_e32 v20, v13
	v_fmac_f32_e32 v15, 0x32a5705f, v6
	v_sub_f32_e32 v13, v13, v20
	v_cmp_ngt_f32_e64 s[8:9], s37, v9
	v_add_f32_e32 v13, v13, v15
	v_exp_f32_e32 v13, v13
	v_cndmask_b32_e64 v1, 0, v1, s[8:9]
	v_cvt_i32_f32_e32 v15, v20
	v_cmp_nlt_f32_e64 s[8:9], s20, v9
	v_sub_f32_e32 v2, v30, v2
	s_nop 0
	v_cndmask_b32_e64 v1, v8, v1, s[8:9]
	v_cndmask_b32_e64 v1, 0, v1, s[6:7]
	s_waitcnt vmcnt(2)
	v_mul_f32_e32 v9, v10, v1
	v_mul_f32_e32 v10, 0x3fb8aa3b, v2
	v_ldexp_f32 v1, v13, v15
	v_fma_f32 v13, v2, s19, -v10
	v_rndne_f32_e32 v15, v10
	v_fmac_f32_e32 v13, 0x32a5705f, v2
	v_sub_f32_e32 v10, v10, v15
	v_add_f32_e32 v10, v10, v13
	v_cmp_ngt_f32_e64 s[6:7], s37, v6
	v_exp_f32_e32 v10, v10
	v_cvt_i32_f32_e32 v13, v15
	v_cndmask_b32_e64 v1, 0, v1, s[6:7]
	v_cmp_nlt_f32_e64 s[6:7], s20, v6
	s_nop 1
	v_cndmask_b32_e64 v1, v8, v1, s[6:7]
	v_cndmask_b32_e64 v1, 0, v1, s[4:5]
	s_waitcnt vmcnt(1)
	v_mul_f32_e32 v6, v11, v1
	v_ldexp_f32 v1, v10, v13
	v_cmp_ngt_f32_e64 s[4:5], s37, v2
	s_nop 1
	v_cndmask_b32_e64 v1, 0, v1, s[4:5]
	v_cmp_nlt_f32_e64 s[4:5], s20, v2
	s_nop 1
	v_cndmask_b32_e64 v1, v8, v1, s[4:5]
	v_cndmask_b32_e32 v1, 0, v1, vcc
	s_waitcnt vmcnt(0)
	v_mul_f32_e32 v8, v12, v1
	v_add_f32_e32 v1, v4, v3
	v_add_f32_e32 v1, v1, v5
	;; [unrolled: 1-line block ×5, first 2 shown]
	ds_bpermute_b32 v2, v16, v1
	v_cmp_eq_u32_e32 vcc, 0, v0
	s_waitcnt lgkmcnt(0)
	v_add_f32_e32 v1, v1, v2
	ds_bpermute_b32 v2, v17, v1
	s_waitcnt lgkmcnt(0)
	v_add_f32_e32 v1, v1, v2
	ds_bpermute_b32 v2, v18, v1
	;; [unrolled: 3-line block ×4, first 2 shown]
	v_lshlrev_b32_e32 v7, 2, v0
	ds_write2st64_b32 v7, v4, v3 offset1:1
	ds_write2st64_b32 v7, v5, v9 offset0:2 offset1:3
	ds_write2st64_b32 v7, v6, v8 offset0:4 offset1:5
	s_waitcnt lgkmcnt(3)
	v_add_f32_e32 v1, v1, v2
	ds_bpermute_b32 v2, v14, v1
	s_and_saveexec_b64 s[4:5], vcc
	s_cbranch_execz .LBB653_8
; %bb.7:
	s_waitcnt lgkmcnt(0)
	v_add_f32_e32 v1, v1, v2
	v_mov_b32_e32 v2, 0
	ds_write_b32 v2, v1 offset:1536
.LBB653_8:
	s_or_b64 exec, exec, s[4:5]
	v_mov_b32_e32 v1, s18
.LBB653_9:
	s_or_b64 exec, exec, s[34:35]
	s_lshl_b32 s4, s36, 7
	s_mov_b32 s5, 0
	s_lshl_b64 s[4:5], s[4:5], 1
	s_add_u32 s4, s16, s4
	s_addc_u32 s5, s17, s5
	s_lshl_b32 s10, s33, 7
	s_add_i32 s11, s10, 0xffffff80
	s_waitcnt lgkmcnt(0)
	v_lshlrev_b32_e32 v2, 7, v1
	v_mov_b32_e32 v3, 0
	s_cmp_lt_i32 s38, 1
	v_lshl_add_u64 v[4:5], v[2:3], 1, s[4:5]
	s_cselect_b32 s4, s11, 0
	v_lshlrev_b32_e32 v2, 1, v0
	s_ashr_i32 s5, s4, 31
	v_lshl_add_u64 v[0:1], v[4:5], 0, v[2:3]
	s_cmpk_lt_i32 s38, 0x101
	v_lshl_add_u64 v[4:5], s[4:5], 1, v[0:1]
	s_cselect_b32 s4, s11, 0x80
	s_ashr_i32 s5, s4, 31
	s_cmpk_lt_i32 s38, 0x201
	v_lshl_add_u64 v[6:7], s[4:5], 1, v[0:1]
	s_cselect_b32 s4, s11, 0x100
	s_ashr_i32 s5, s4, 31
	;; [unrolled: 4-line block ×8, first 2 shown]
	s_cmpk_lt_i32 s38, 0x901
	global_load_ushort v23, v[4:5], off
	global_load_ushort v22, v[6:7], off
	;; [unrolled: 1-line block ×8, first 2 shown]
	v_lshl_add_u64 v[4:5], s[4:5], 1, v[0:1]
	s_cselect_b32 s4, s11, 0x480
	s_ashr_i32 s5, s4, 31
	s_cmpk_lt_i32 s38, 0xa01
	v_lshl_add_u64 v[6:7], s[4:5], 1, v[0:1]
	s_cselect_b32 s4, s11, 0x500
	s_ashr_i32 s5, s4, 31
	s_cmpk_lt_i32 s38, 0xb01
	v_lshl_add_u64 v[8:9], s[4:5], 1, v[0:1]
	s_cselect_b32 s4, s11, 0x580
	s_ashr_i32 s5, s4, 31
	s_cmpk_lt_i32 s38, 0xc01
	v_lshl_add_u64 v[10:11], s[4:5], 1, v[0:1]
	s_cselect_b32 s4, s11, 0x600
	s_ashr_i32 s5, s4, 31
	s_cmpk_lt_i32 s38, 0xd01
	v_lshl_add_u64 v[12:13], s[4:5], 1, v[0:1]
	s_cselect_b32 s4, s11, 0x680
	s_ashr_i32 s5, s4, 31
	s_cmpk_lt_i32 s38, 0xe01
	v_lshl_add_u64 v[14:15], s[4:5], 1, v[0:1]
	s_cselect_b32 s4, s11, 0x700
	s_ashr_i32 s5, s4, 31
	s_cmpk_lt_i32 s38, 0xf01
	v_lshl_add_u64 v[32:33], s[4:5], 1, v[0:1]
	s_cselect_b32 s4, s11, 0x780
	s_ashr_i32 s5, s4, 31
	v_lshl_add_u64 v[34:35], s[4:5], 1, v[0:1]
	global_load_ushort v30, v[4:5], off
	global_load_ushort v31, v[6:7], off
	;; [unrolled: 1-line block ×8, first 2 shown]
	s_cmpk_gt_i32 s38, 0x1000
	s_cselect_b64 s[8:9], -1, 0
	s_cmpk_lt_i32 s38, 0x1001
	v_mov_b32_e32 v40, 0
	v_mov_b32_e32 v41, 0
	;; [unrolled: 1-line block ×48, first 2 shown]
	s_barrier
	s_cbranch_scc1 .LBB653_12
; %bb.10:
	s_cmpk_lt_u32 s38, 0x1101
	s_cselect_b32 s4, s11, 0x880
	s_ashr_i32 s5, s4, 31
	s_cmpk_lt_u32 s38, 0x1201
	v_lshl_add_u64 v[6:7], s[4:5], 1, v[0:1]
	s_cselect_b32 s4, s11, 0x900
	s_ashr_i32 s5, s4, 31
	s_cmpk_lt_u32 s38, 0x1301
	v_lshl_add_u64 v[8:9], s[4:5], 1, v[0:1]
	;; [unrolled: 4-line block ×7, first 2 shown]
	s_cselect_b32 s4, s11, 0xc00
	v_add_co_u32_e32 v4, vcc, 0x1000, v0
	s_ashr_i32 s5, s4, 31
	s_nop 0
	v_addc_co_u32_e32 v5, vcc, 0, v1, vcc
	s_cmpk_lt_u32 s38, 0x1901
	global_load_ushort v39, v[4:5], off
	global_load_ushort v38, v[6:7], off
	;; [unrolled: 1-line block ×8, first 2 shown]
	v_lshl_add_u64 v[4:5], s[4:5], 1, v[0:1]
	s_cselect_b32 s4, s11, 0xc80
	s_ashr_i32 s5, s4, 31
	s_cmpk_lt_u32 s38, 0x1a01
	v_lshl_add_u64 v[6:7], s[4:5], 1, v[0:1]
	s_cselect_b32 s4, s11, 0xd00
	s_ashr_i32 s5, s4, 31
	s_cmpk_lt_u32 s38, 0x1b01
	;; [unrolled: 4-line block ×6, first 2 shown]
	v_lshl_add_u64 v[48:49], s[4:5], 1, v[0:1]
	s_cselect_b32 s4, s11, 0xf80
	s_ashr_i32 s5, s4, 31
	v_lshl_add_u64 v[50:51], s[4:5], 1, v[0:1]
	global_load_ushort v47, v[4:5], off
	global_load_ushort v46, v[6:7], off
	;; [unrolled: 1-line block ×8, first 2 shown]
	s_cmpk_lt_u32 s38, 0x2001
	v_mov_b32_e32 v67, 0
	v_mov_b32_e32 v65, 0
	;; [unrolled: 1-line block ×32, first 2 shown]
	s_cbranch_scc1 .LBB653_12
; %bb.11:
	s_cmpk_lt_u32 s38, 0x2101
	s_cselect_b32 s4, s11, 0x1080
	s_ashr_i32 s5, s4, 31
	s_cmpk_lt_u32 s38, 0x2201
	v_lshl_add_u64 v[4:5], s[4:5], 1, v[0:1]
	s_cselect_b32 s4, s11, 0x1100
	s_ashr_i32 s5, s4, 31
	s_cmpk_lt_u32 s38, 0x2301
	v_lshl_add_u64 v[6:7], s[4:5], 1, v[0:1]
	;; [unrolled: 4-line block ×29, first 2 shown]
	s_cselect_b32 s4, s11, 0x1f00
	s_ashr_i32 s5, s4, 31
	v_lshl_add_u64 v[94:95], s[4:5], 1, v[0:1]
	s_movk_i32 s4, 0x2000
	s_cmpk_lt_u32 s38, 0x3f01
	v_add_co_u32_e32 v96, vcc, s4, v0
	s_cselect_b32 s4, s11, 0x1f80
	s_nop 0
	v_addc_co_u32_e32 v97, vcc, 0, v1, vcc
	s_ashr_i32 s5, s4, 31
	global_load_ushort v98, v[96:97], off
	global_load_ushort v99, v[4:5], off
	;; [unrolled: 1-line block ×15, first 2 shown]
                                        ; kill: killed $vgpr48_vgpr49
                                        ; kill: killed $vgpr54_vgpr55
                                        ; kill: killed $vgpr6_vgpr7
                                        ; kill: killed $vgpr60_vgpr61
                                        ; kill: killed $vgpr12_vgpr13
                                        ; kill: killed $vgpr50_vgpr51
                                        ; kill: killed $vgpr56_vgpr57
                                        ; kill: killed $vgpr8_vgpr9
                                        ; kill: killed $vgpr62_vgpr63
                                        ; kill: killed $vgpr14_vgpr15
                                        ; kill: killed $vgpr96 killed $vgpr97
                                        ; kill: killed $vgpr52_vgpr53
                                        ; kill: killed $vgpr4_vgpr5
                                        ; kill: killed $vgpr58_vgpr59
                                        ; kill: killed $vgpr10_vgpr11
	global_load_ushort v6, v[64:65], off
	global_load_ushort v7, v[66:67], off
	;; [unrolled: 1-line block ×15, first 2 shown]
                                        ; kill: killed $vgpr80_vgpr81
                                        ; kill: killed $vgpr64_vgpr65
                                        ; kill: killed $vgpr70_vgpr71
                                        ; kill: killed $vgpr92_vgpr93
                                        ; kill: killed $vgpr76_vgpr77
                                        ; kill: killed $vgpr82_vgpr83
                                        ; kill: killed $vgpr66_vgpr67
                                        ; kill: killed $vgpr88_vgpr89
                                        ; kill: killed $vgpr72_vgpr73
                                        ; kill: killed $vgpr94_vgpr95
                                        ; kill: killed $vgpr78_vgpr79
                                        ; kill: killed $vgpr84_vgpr85
                                        ; kill: killed $vgpr68_vgpr69
                                        ; kill: killed $vgpr90_vgpr91
                                        ; kill: killed $vgpr74_vgpr75
	global_load_ushort v68, v[86:87], off
	v_lshl_add_u64 v[4:5], s[4:5], 1, v[0:1]
	global_load_ushort v5, v[4:5], off
	s_waitcnt vmcnt(31)
	v_lshlrev_b32_e32 v67, 16, v98
	s_waitcnt vmcnt(30)
	v_lshlrev_b32_e32 v65, 16, v99
	;; [unrolled: 2-line block ×32, first 2 shown]
.LBB653_12:
	s_load_dwordx2 s[4:5], s[0:1], 0x0
	s_load_dwordx2 s[6:7], s[0:1], 0x38
	ds_read_b128 v[68:71], v3
	s_waitcnt vmcnt(15)
	v_lshlrev_b32_e32 v23, 16, v23
	ds_read_b128 v[72:75], v3 offset:16
	ds_read_b128 v[76:79], v3 offset:32
	;; [unrolled: 1-line block ×3, first 2 shown]
	s_waitcnt vmcnt(14)
	v_lshlrev_b32_e32 v22, 16, v22
	s_waitcnt vmcnt(13)
	v_lshlrev_b32_e32 v21, 16, v21
	s_waitcnt lgkmcnt(0)
	v_fma_f32 v23, v68, v23, 0
	v_fmac_f32_e32 v23, v69, v22
	v_fmac_f32_e32 v23, v70, v21
	s_waitcnt vmcnt(12)
	v_lshlrev_b32_e32 v20, 16, v20
	s_waitcnt vmcnt(10)
	v_lshlrev_b32_e32 v19, 16, v19
	v_lshlrev_b32_e32 v18, 16, v18
	v_fmac_f32_e32 v23, v71, v20
	v_pk_mul_f32 v[18:19], v[72:73], v[18:19]
	s_waitcnt vmcnt(8)
	v_lshlrev_b32_e32 v17, 16, v17
	v_add_f32_e32 v18, v23, v18
	v_lshlrev_b32_e32 v16, 16, v16
	v_add_f32_e32 v18, v18, v19
	v_pk_mul_f32 v[16:17], v[74:75], v[16:17]
	s_and_b64 vcc, exec, s[8:9]
	v_add_f32_e32 v16, v18, v16
	v_add_f32_e32 v18, v16, v17
	s_waitcnt vmcnt(6)
	v_lshlrev_b32_e32 v17, 16, v31
	v_lshlrev_b32_e32 v16, 16, v30
	v_pk_mul_f32 v[16:17], v[76:77], v[16:17]
	s_nop 0
	v_add_f32_e32 v16, v18, v16
	v_add_f32_e32 v18, v16, v17
	s_waitcnt vmcnt(4)
	v_lshlrev_b32_e32 v17, 16, v29
	v_lshlrev_b32_e32 v16, 16, v28
	v_pk_mul_f32 v[16:17], v[78:79], v[16:17]
	s_nop 0
	;; [unrolled: 7-line block ×4, first 2 shown]
	v_add_f32_e32 v16, v18, v16
	v_add_f32_e32 v110, v16, v17
	s_cbranch_vccz .LBB653_15
; %bb.13:
	ds_read_b128 v[16:19], v3 offset:64
	v_lshlrev_b32_e32 v39, 16, v39
	ds_read_b128 v[20:23], v3 offset:80
	ds_read_b128 v[24:27], v3 offset:96
	;; [unrolled: 1-line block ×3, first 2 shown]
	v_lshlrev_b32_e32 v3, 16, v38
	s_cmpk_lt_u32 s38, 0x2001
	s_waitcnt lgkmcnt(3)
	v_fmac_f32_e32 v110, v16, v39
	v_fmac_f32_e32 v110, v17, v3
	v_lshlrev_b32_e32 v3, 16, v37
	v_fmac_f32_e32 v110, v18, v3
	v_lshlrev_b32_e32 v3, 16, v36
	v_fmac_f32_e32 v110, v19, v3
	v_lshlrev_b32_e32 v3, 16, v35
	s_waitcnt lgkmcnt(2)
	v_fmac_f32_e32 v110, v20, v3
	v_lshlrev_b32_e32 v3, 16, v34
	v_fmac_f32_e32 v110, v21, v3
	v_lshlrev_b32_e32 v3, 16, v33
	v_fmac_f32_e32 v110, v22, v3
	v_lshlrev_b32_e32 v3, 16, v32
	v_fmac_f32_e32 v110, v23, v3
	v_lshlrev_b32_e32 v3, 16, v47
	s_waitcnt lgkmcnt(1)
	v_fmac_f32_e32 v110, v24, v3
	v_lshlrev_b32_e32 v3, 16, v46
	;; [unrolled: 9-line block ×3, first 2 shown]
	v_fmac_f32_e32 v110, v29, v3
	v_lshlrev_b32_e32 v3, 16, v41
	v_fmac_f32_e32 v110, v30, v3
	v_lshlrev_b32_e32 v3, 16, v40
	v_fmac_f32_e32 v110, v31, v3
	s_cbranch_scc1 .LBB653_15
; %bb.14:
	v_mov_b32_e32 v3, 0
	ds_read_b128 v[16:19], v3 offset:128
	ds_read_b128 v[20:23], v3 offset:144
	;; [unrolled: 1-line block ×4, first 2 shown]
	s_waitcnt lgkmcnt(3)
	v_fmac_f32_e32 v110, v16, v67
	v_fmac_f32_e32 v110, v17, v65
	v_fmac_f32_e32 v110, v18, v66
	v_fmac_f32_e32 v110, v19, v63
	s_waitcnt lgkmcnt(2)
	v_fmac_f32_e32 v110, v20, v64
	v_fmac_f32_e32 v110, v21, v61
	v_fmac_f32_e32 v110, v22, v62
	v_fmac_f32_e32 v110, v23, v59
	;; [unrolled: 5-line block ×3, first 2 shown]
	ds_read_b128 v[16:19], v3 offset:192
	ds_read_b128 v[20:23], v3 offset:208
	s_waitcnt lgkmcnt(2)
	v_fmac_f32_e32 v110, v28, v56
	v_fmac_f32_e32 v110, v29, v53
	;; [unrolled: 1-line block ×4, first 2 shown]
	s_waitcnt lgkmcnt(1)
	v_fmac_f32_e32 v110, v16, v51
	v_fmac_f32_e32 v110, v17, v49
	;; [unrolled: 1-line block ×4, first 2 shown]
	s_waitcnt lgkmcnt(0)
	v_pk_mul_f32 v[14:15], v[20:21], v[14:15]
	v_pk_mul_f32 v[12:13], v[22:23], v[12:13]
	v_add_f32_e32 v14, v110, v14
	v_add_f32_e32 v18, v14, v15
	ds_read_b128 v[14:17], v3 offset:224
	v_add_f32_e32 v12, v18, v12
	ds_read_b128 v[18:21], v3 offset:240
	v_add_f32_e32 v12, v12, v13
	s_waitcnt lgkmcnt(1)
	v_pk_mul_f32 v[10:11], v[14:15], v[10:11]
	s_nop 0
	v_add_f32_e32 v3, v12, v10
	v_add_f32_e32 v3, v3, v11
	v_pk_mul_f32 v[8:9], v[16:17], v[8:9]
	s_waitcnt lgkmcnt(0)
	v_pk_mul_f32 v[6:7], v[18:19], v[6:7]
	v_add_f32_e32 v3, v3, v8
	v_add_f32_e32 v3, v3, v9
	;; [unrolled: 1-line block ×4, first 2 shown]
	v_pk_mul_f32 v[4:5], v[20:21], v[4:5]
	s_nop 0
	v_add_f32_e32 v3, v3, v4
	v_add_f32_e32 v110, v3, v5
.LBB653_15:
	s_movk_i32 s0, 0x3f80
	s_movk_i32 s1, 0x100
	s_mov_b32 s8, 64
	s_branch .LBB653_17
.LBB653_16:                             ;   in Loop: Header=BB653_17 Depth=1
	s_addk_i32 s0, 0x2000
	s_addk_i32 s1, 0x100
	s_add_i32 s8, s8, 64
	s_cmpk_eq_u32 s0, 0xdf80
	s_cbranch_scc1 .LBB653_19
.LBB653_17:                             ; =>This Inner Loop Header: Depth=1
	s_cmp_le_i32 s33, s8
	s_cbranch_scc1 .LBB653_16
; %bb.18:                               ;   in Loop: Header=BB653_17 Depth=1
	s_add_i32 s9, s0, 0xffffe080
	s_cmp_lt_i32 s9, s10
	s_cselect_b32 s12, s9, s11
	s_ashr_i32 s13, s12, 31
	s_add_i32 s9, s0, 0xffffe100
	s_cmp_lt_i32 s9, s10
	v_lshl_add_u64 v[42:43], s[12:13], 1, v[0:1]
	s_cselect_b32 s12, s9, s11
	s_ashr_i32 s13, s12, 31
	s_add_i32 s9, s0, 0xffffe180
	s_cmp_lt_i32 s9, s10
	v_lshl_add_u64 v[4:5], s[12:13], 1, v[0:1]
	;; [unrolled: 5-line block ×25, first 2 shown]
	s_cselect_b32 s12, s9, s11
	s_ashr_i32 s13, s12, 31
	s_add_i32 s9, s0, 0xffffed80
	s_cmp_lt_i32 s9, s10
	global_load_ushort v3, v[42:43], off
	global_load_ushort v120, v[44:45], off
	v_lshl_add_u64 v[18:19], s[12:13], 1, v[0:1]
	s_cselect_b32 s12, s9, s11
	global_load_ushort v111, v[4:5], off
	global_load_ushort v112, v[6:7], off
	;; [unrolled: 1-line block ×8, first 2 shown]
	s_ashr_i32 s13, s12, 31
	s_add_i32 s9, s0, 0xffffee00
	s_cmp_lt_i32 s9, s10
	v_lshl_add_u64 v[20:21], s[12:13], 1, v[0:1]
	s_cselect_b32 s12, s9, s11
	s_ashr_i32 s13, s12, 31
	s_add_i32 s9, s0, 0xffffee80
	s_cmp_lt_i32 s9, s10
	v_lshl_add_u64 v[38:39], s[12:13], 1, v[0:1]
	s_cselect_b32 s12, s9, s11
	s_ashr_i32 s13, s12, 31
	s_add_i32 s9, s0, 0xffffef00
	s_cmp_lt_i32 s9, s10
	global_load_ushort v119, v[28:29], off
	v_lshl_add_u64 v[40:41], s[12:13], 1, v[0:1]
	s_cselect_b32 s12, s9, s11
	s_ashr_i32 s13, s12, 31
	s_add_i32 s9, s0, 0xffffef80
	global_load_ushort v121, v[54:55], off
	global_load_ushort v122, v[56:57], off
	s_cmp_lt_i32 s9, s10
	global_load_ushort v58, v[58:59], off
	v_lshl_add_u64 v[50:51], s[12:13], 1, v[0:1]
	s_cselect_b32 s12, s9, s11
	s_ashr_i32 s13, s12, 31
	s_add_i32 s9, s0, 0xfffff000
	s_cmp_lt_i32 s9, s10
	v_lshl_add_u64 v[52:53], s[12:13], 1, v[0:1]
	s_cselect_b32 s12, s9, s11
	s_ashr_i32 s13, s12, 31
	s_add_i32 s9, s0, 0xfffff080
	global_load_ushort v59, v[60:61], off
	s_cmp_lt_i32 s9, s10
	global_load_ushort v60, v[66:67], off
	global_load_ushort v61, v[62:63], off
	v_lshl_add_u64 v[64:65], s[12:13], 1, v[0:1]
	s_cselect_b32 s12, s9, s11
	s_ashr_i32 s13, s12, 31
	s_add_i32 s9, s0, 0xfffff100
	s_cmp_lt_i32 s9, s10
	v_lshl_add_u64 v[68:69], s[12:13], 1, v[0:1]
	s_cselect_b32 s12, s9, s11
	s_ashr_i32 s13, s12, 31
	s_add_i32 s9, s0, 0xfffff180
	s_cmp_lt_i32 s9, s10
	;; [unrolled: 5-line block ×3, first 2 shown]
	global_load_ushort v62, v[24:25], off
	v_lshl_add_u64 v[72:73], s[12:13], 1, v[0:1]
	s_cselect_b32 s12, s9, s11
	global_load_ushort v66, v[30:31], off
	global_load_ushort v123, v[32:33], off
	;; [unrolled: 1-line block ×4, first 2 shown]
	s_ashr_i32 s13, s12, 31
	s_add_i32 s9, s0, 0xfffff280
	s_cmp_lt_i32 s9, s10
	global_load_ushort v67, v[46:47], off
	v_lshl_add_u64 v[74:75], s[12:13], 1, v[0:1]
	s_cselect_b32 s12, s9, s11
	s_ashr_i32 s13, s12, 31
	s_add_i32 s9, s0, 0xfffff300
	s_cmp_lt_i32 s9, s10
	v_lshl_add_u64 v[76:77], s[12:13], 1, v[0:1]
	s_cselect_b32 s12, s9, s11
	s_ashr_i32 s13, s12, 31
	s_add_i32 s9, s0, 0xfffff380
	s_cmp_lt_i32 s9, s10
	v_mov_b32_e32 v124, s1
	v_lshl_add_u64 v[78:79], s[12:13], 1, v[0:1]
	s_cselect_b32 s12, s9, s11
	ds_read_b128 v[28:31], v124
	ds_read_b128 v[32:35], v124 offset:16
	global_load_ushort v48, v[48:49], off
	s_ashr_i32 s13, s12, 31
	s_add_i32 s9, s0, 0xfffff400
	s_cmp_lt_i32 s9, s10
	v_lshl_add_u64 v[80:81], s[12:13], 1, v[0:1]
	s_cselect_b32 s12, s9, s11
	ds_read_b128 v[44:47], v124 offset:32
	ds_read_b128 v[54:57], v124 offset:48
	global_load_ushort v36, v[36:37], off
	s_ashr_i32 s13, s12, 31
	v_lshl_add_u64 v[82:83], s[12:13], 1, v[0:1]
	global_load_ushort v49, v[82:83], off
	global_load_ushort v37, v[18:19], off
	s_add_i32 s9, s0, 0xfffff480
	s_cmp_lt_i32 s9, s10
	s_cselect_b32 s12, s9, s11
	s_ashr_i32 s13, s12, 31
	s_add_i32 s9, s0, 0xfffff500
	s_cmp_lt_i32 s9, s10
	v_lshl_add_u64 v[84:85], s[12:13], 1, v[0:1]
	s_cselect_b32 s12, s9, s11
	s_ashr_i32 s13, s12, 31
	s_add_i32 s9, s0, 0xfffff580
	s_cmp_lt_i32 s9, s10
	v_lshl_add_u64 v[86:87], s[12:13], 1, v[0:1]
	;; [unrolled: 5-line block ×7, first 2 shown]
	s_cselect_b32 s12, s9, s11
	s_ashr_i32 s13, s12, 31
	s_add_i32 s9, s0, 0xfffff880
	s_waitcnt vmcnt(26)
	v_lshlrev_b32_e32 v3, 16, v3
	s_cmp_lt_i32 s9, s10
	s_waitcnt lgkmcnt(3)
	v_fmac_f32_e32 v110, v28, v3
	s_waitcnt vmcnt(24)
	v_lshlrev_b32_e32 v3, 16, v111
	v_lshl_add_u64 v[98:99], s[12:13], 1, v[0:1]
	s_cselect_b32 s12, s9, s11
	v_fmac_f32_e32 v110, v29, v3
	s_waitcnt vmcnt(23)
	v_lshlrev_b32_e32 v3, 16, v112
	s_ashr_i32 s13, s12, 31
	s_add_i32 s9, s0, 0xfffff900
	v_fmac_f32_e32 v110, v30, v3
	s_waitcnt vmcnt(22)
	v_lshlrev_b32_e32 v3, 16, v113
	s_cmp_lt_i32 s9, s10
	v_fmac_f32_e32 v110, v31, v3
	s_waitcnt vmcnt(21)
	v_lshlrev_b32_e32 v3, 16, v114
	v_lshl_add_u64 v[102:103], s[12:13], 1, v[0:1]
	s_cselect_b32 s12, s9, s11
	s_waitcnt lgkmcnt(2)
	v_fmac_f32_e32 v110, v32, v3
	global_load_ushort v3, v[20:21], off
	global_load_ushort v32, v[38:39], off
	s_waitcnt vmcnt(22)
	v_lshlrev_b32_e32 v18, 16, v115
	s_ashr_i32 s13, s12, 31
	s_add_i32 s9, s0, 0xfffff980
	v_fmac_f32_e32 v110, v33, v18
	s_waitcnt vmcnt(21)
	v_lshlrev_b32_e32 v18, 16, v116
	s_cmp_lt_i32 s9, s10
	v_fmac_f32_e32 v110, v34, v18
	s_waitcnt vmcnt(20)
	v_lshlrev_b32_e32 v18, 16, v117
	v_lshl_add_u64 v[104:105], s[12:13], 1, v[0:1]
	s_cselect_b32 s12, s9, s11
	global_load_ushort v33, v[40:41], off
	global_load_ushort v34, v[50:51], off
	v_fmac_f32_e32 v110, v35, v18
	global_load_ushort v35, v[52:53], off
	global_load_ushort v38, v[64:65], off
	;; [unrolled: 1-line block ×3, first 2 shown]
	s_waitcnt vmcnt(24)
	v_lshlrev_b32_e32 v18, 16, v118
	s_ashr_i32 s13, s12, 31
	s_add_i32 s9, s0, 0xfffffa00
	s_waitcnt lgkmcnt(1)
	v_fmac_f32_e32 v110, v44, v18
	global_load_ushort v44, v[74:75], off
	s_waitcnt vmcnt(24)
	v_lshlrev_b32_e32 v18, 16, v119
	s_cmp_lt_i32 s9, s10
	v_fmac_f32_e32 v110, v45, v18
	v_lshlrev_b32_e32 v18, 16, v120
	v_lshl_add_u64 v[106:107], s[12:13], 1, v[0:1]
	s_cselect_b32 s12, s9, s11
	v_fmac_f32_e32 v110, v46, v18
	global_load_ushort v46, v[78:79], off
	s_waitcnt vmcnt(24)
	v_lshlrev_b32_e32 v18, 16, v121
	s_ashr_i32 s13, s12, 31
	s_add_i32 s9, s0, 0xfffffa80
	v_fmac_f32_e32 v110, v47, v18
	s_waitcnt vmcnt(23)
	v_lshlrev_b32_e32 v18, 16, v122
	s_cmp_lt_i32 s9, s10
	s_waitcnt lgkmcnt(0)
	v_fmac_f32_e32 v110, v54, v18
	global_load_ushort v54, v[90:91], off
	global_load_ushort v40, v[70:71], off
	;; [unrolled: 1-line block ×8, first 2 shown]
	v_lshl_add_u64 v[100:101], s[12:13], 1, v[0:1]
	s_cselect_b32 s12, s9, s11
	s_ashr_i32 s13, s12, 31
	s_add_i32 s9, s0, 0xfffffb00
	s_cmp_lt_i32 s9, s10
	s_waitcnt vmcnt(30)
	v_lshlrev_b32_e32 v18, 16, v58
	v_lshl_add_u64 v[42:43], s[12:13], 1, v[0:1]
	s_cselect_b32 s12, s9, s11
	v_fmac_f32_e32 v110, v55, v18
	s_waitcnt vmcnt(29)
	v_lshlrev_b32_e32 v18, 16, v59
	s_ashr_i32 s13, s12, 31
	s_add_i32 s9, s0, 0xfffffb80
	v_fmac_f32_e32 v110, v56, v18
	s_waitcnt vmcnt(28)
	v_lshlrev_b32_e32 v18, 16, v60
	s_cmp_lt_i32 s9, s10
	v_fmac_f32_e32 v110, v57, v18
	ds_read_b128 v[18:21], v124 offset:64
	ds_read_b128 v[28:31], v124 offset:80
	v_lshl_add_u64 v[108:109], s[12:13], 1, v[0:1]
	s_cselect_b32 s12, s9, s11
	s_ashr_i32 s13, s12, 31
	s_add_i32 s9, s0, 0xfffffc00
	s_cmp_lt_i32 s9, s10
	v_lshl_add_u64 v[4:5], s[12:13], 1, v[0:1]
	s_cselect_b32 s12, s9, s11
	s_waitcnt vmcnt(27)
	v_lshlrev_b32_e32 v52, 16, v61
	s_ashr_i32 s13, s12, 31
	s_add_i32 s9, s0, 0xfffffc80
	s_waitcnt lgkmcnt(1)
	v_fmac_f32_e32 v110, v18, v52
	global_load_ushort v52, v[92:93], off
	s_cmp_lt_i32 s9, s10
	global_load_ushort v55, v[94:95], off
	global_load_ushort v56, v[96:97], off
	;; [unrolled: 1-line block ×5, first 2 shown]
	v_lshl_add_u64 v[6:7], s[12:13], 1, v[0:1]
	s_cselect_b32 s12, s9, s11
	s_ashr_i32 s13, s12, 31
	s_add_i32 s9, s0, 0xfffffd00
	s_waitcnt vmcnt(32)
	v_lshlrev_b32_e32 v18, 16, v62
	s_cmp_lt_i32 s9, s10
	v_fmac_f32_e32 v110, v19, v18
	s_waitcnt vmcnt(28)
	v_lshlrev_b32_e32 v18, 16, v63
	v_lshl_add_u64 v[8:9], s[12:13], 1, v[0:1]
	s_cselect_b32 s12, s9, s11
	v_fmac_f32_e32 v110, v20, v18
	v_lshlrev_b32_e32 v18, 16, v66
	s_ashr_i32 s13, s12, 31
	s_add_i32 s9, s0, 0xfffffd80
	v_fmac_f32_e32 v110, v21, v18
	s_waitcnt vmcnt(27)
	v_lshlrev_b32_e32 v18, 16, v67
	s_cmp_lt_i32 s9, s10
	s_waitcnt lgkmcnt(0)
	v_fmac_f32_e32 v110, v28, v18
	global_load_ushort v28, v[106:107], off
	v_lshl_add_u64 v[12:13], s[12:13], 1, v[0:1]
	s_cselect_b32 s12, s9, s11
	global_load_ushort v60, v[100:101], off
	global_load_ushort v61, v[42:43], off
	;; [unrolled: 1-line block ×3, first 2 shown]
	s_ashr_i32 s13, s12, 31
	s_add_i32 s9, s0, 0xfffffe00
	v_lshlrev_b32_e32 v18, 16, v123
	s_cmp_lt_i32 s9, s10
	v_fmac_f32_e32 v110, v29, v18
	v_lshlrev_b32_e32 v18, 16, v125
	v_lshl_add_u64 v[10:11], s[12:13], 1, v[0:1]
	s_cselect_b32 s12, s9, s11
	v_fmac_f32_e32 v110, v30, v18
	global_load_ushort v29, v[4:5], off
	global_load_ushort v30, v[6:7], off
	s_ashr_i32 s13, s12, 31
	s_add_i32 s9, s0, 0xfffffe80
	s_cmp_lt_i32 s9, s10
	s_waitcnt vmcnt(32)
	v_lshlrev_b32_e32 v4, 16, v48
	v_lshl_add_u64 v[22:23], s[12:13], 1, v[0:1]
	s_cselect_b32 s12, s9, s11
	v_fmac_f32_e32 v110, v31, v4
	ds_read_b128 v[4:7], v124 offset:96
	s_ashr_i32 s13, s12, 31
	s_add_i32 s9, s0, 0xffffff00
	s_cmp_lt_i32 s9, s10
	s_waitcnt vmcnt(31)
	v_lshlrev_b32_e32 v31, 16, v36
	global_load_ushort v36, v[8:9], off
	global_load_ushort v42, v[12:13], off
	v_lshl_add_u64 v[14:15], s[12:13], 1, v[0:1]
	s_cselect_b32 s12, s9, s11
	s_ashr_i32 s13, s12, 31
	s_add_i32 s9, s0, 0xffffff80
	s_cmp_lt_i32 s9, s10
	ds_read_b128 v[18:21], v124 offset:112
	s_waitcnt lgkmcnt(1)
	v_fmac_f32_e32 v110, v4, v31
	s_waitcnt vmcnt(31)
	v_lshlrev_b32_e32 v4, 16, v37
	global_load_ushort v31, v[10:11], off
	global_load_ushort v37, v[22:23], off
	v_lshl_add_u64 v[24:25], s[12:13], 1, v[0:1]
	s_cselect_b32 s12, s9, s11
	s_ashr_i32 s13, s12, 31
	s_cmp_lt_i32 s0, s10
	global_load_ushort v22, v[14:15], off
	global_load_ushort v23, v[24:25], off
	v_lshl_add_u64 v[16:17], s[12:13], 1, v[0:1]
	s_cselect_b32 s12, s0, s11
	s_ashr_i32 s13, s12, 31
	v_lshl_add_u64 v[26:27], s[12:13], 1, v[0:1]
	global_load_ushort v14, v[16:17], off
	global_load_ushort v15, v[26:27], off
	v_fmac_f32_e32 v110, v5, v4
	s_waitcnt vmcnt(36)
	v_lshlrev_b32_e32 v3, 16, v3
	v_fmac_f32_e32 v110, v6, v3
	s_waitcnt vmcnt(35)
	v_lshlrev_b32_e32 v3, 16, v32
	;; [unrolled: 3-line block ×3, first 2 shown]
	ds_read_b128 v[4:7], v124 offset:128
	ds_read_b128 v[8:11], v124 offset:144
	s_waitcnt lgkmcnt(2)
	v_fmac_f32_e32 v110, v18, v3
	s_waitcnt vmcnt(33)
	v_lshlrev_b32_e32 v3, 16, v34
	v_fmac_f32_e32 v110, v19, v3
	s_waitcnt vmcnt(32)
	v_lshlrev_b32_e32 v3, 16, v35
	;; [unrolled: 3-line block ×4, first 2 shown]
	s_waitcnt lgkmcnt(1)
	v_fmac_f32_e32 v110, v4, v3
	s_waitcnt vmcnt(26)
	v_lshlrev_b32_e32 v3, 16, v40
	v_fmac_f32_e32 v110, v5, v3
	s_waitcnt vmcnt(25)
	v_lshlrev_b32_e32 v3, 16, v41
	v_fmac_f32_e32 v110, v6, v3
	v_lshlrev_b32_e32 v3, 16, v44
	v_fmac_f32_e32 v110, v7, v3
	s_waitcnt vmcnt(24)
	v_lshlrev_b32_e32 v3, 16, v45
	ds_read_b128 v[4:7], v124 offset:160
	s_waitcnt lgkmcnt(1)
	v_fmac_f32_e32 v110, v8, v3
	v_lshlrev_b32_e32 v3, 16, v46
	v_fmac_f32_e32 v110, v9, v3
	s_waitcnt vmcnt(23)
	v_lshlrev_b32_e32 v3, 16, v47
	v_fmac_f32_e32 v110, v10, v3
	v_lshlrev_b32_e32 v3, 16, v49
	v_fmac_f32_e32 v110, v11, v3
	ds_read_b128 v[8:11], v124 offset:176
	s_waitcnt vmcnt(22)
	v_lshlrev_b32_e32 v3, 16, v50
	s_waitcnt lgkmcnt(1)
	v_fmac_f32_e32 v110, v4, v3
	s_waitcnt vmcnt(21)
	v_lshlrev_b32_e32 v3, 16, v51
	v_fmac_f32_e32 v110, v5, v3
	s_waitcnt vmcnt(20)
	v_lshlrev_b32_e32 v3, 16, v53
	v_fmac_f32_e32 v110, v6, v3
	v_lshlrev_b32_e32 v3, 16, v54
	v_fmac_f32_e32 v110, v7, v3
	s_waitcnt vmcnt(19)
	v_lshlrev_b32_e32 v3, 16, v52
	s_waitcnt lgkmcnt(0)
	v_fmac_f32_e32 v110, v8, v3
	s_waitcnt vmcnt(18)
	v_lshlrev_b32_e32 v3, 16, v55
	ds_read_b128 v[4:7], v124 offset:192
	v_fmac_f32_e32 v110, v9, v3
	s_waitcnt vmcnt(17)
	v_lshlrev_b32_e32 v3, 16, v56
	v_fmac_f32_e32 v110, v10, v3
	s_waitcnt vmcnt(16)
	v_lshlrev_b32_e32 v3, 16, v57
	v_fmac_f32_e32 v110, v11, v3
	ds_read_b128 v[8:11], v124 offset:208
	s_waitcnt vmcnt(15)
	v_lshlrev_b32_e32 v3, 16, v58
	s_waitcnt lgkmcnt(1)
	v_fmac_f32_e32 v110, v4, v3
	s_waitcnt vmcnt(14)
	v_lshlrev_b32_e32 v3, 16, v59
	v_fmac_f32_e32 v110, v5, v3
	s_waitcnt vmcnt(13)
	v_lshlrev_b32_e32 v3, 16, v28
	;; [unrolled: 3-line block ×3, first 2 shown]
	s_waitcnt vmcnt(10)
	v_lshlrev_b32_e32 v5, 16, v62
	v_lshlrev_b32_e32 v4, 16, v61
	v_fmac_f32_e32 v110, v7, v3
	s_waitcnt lgkmcnt(0)
	v_pk_mul_f32 v[4:5], v[8:9], v[4:5]
	s_waitcnt vmcnt(6)
	v_lshlrev_b32_e32 v13, 16, v42
	v_add_f32_e32 v3, v110, v4
	v_add_f32_e32 v3, v3, v5
	v_lshlrev_b32_e32 v5, 16, v30
	v_lshlrev_b32_e32 v4, 16, v29
	v_pk_mul_f32 v[8:9], v[10:11], v[4:5]
	ds_read_b128 v[4:7], v124 offset:224
	v_add_f32_e32 v3, v3, v8
	v_lshlrev_b32_e32 v12, 16, v36
	v_add_f32_e32 v3, v3, v9
	ds_read_b128 v[8:11], v124 offset:240
	s_waitcnt lgkmcnt(1)
	v_pk_mul_f32 v[4:5], v[4:5], v[12:13]
	s_nop 0
	v_add_f32_e32 v3, v3, v4
	v_add_f32_e32 v3, v3, v5
	s_waitcnt vmcnt(4)
	v_lshlrev_b32_e32 v5, 16, v37
	v_lshlrev_b32_e32 v4, 16, v31
	v_pk_mul_f32 v[4:5], v[6:7], v[4:5]
	s_nop 0
	v_add_f32_e32 v3, v3, v4
	v_add_f32_e32 v3, v3, v5
	s_waitcnt vmcnt(2)
	v_lshlrev_b32_e32 v5, 16, v23
	v_lshlrev_b32_e32 v4, 16, v22
	s_waitcnt lgkmcnt(0)
	v_pk_mul_f32 v[4:5], v[8:9], v[4:5]
	s_nop 0
	v_add_f32_e32 v3, v3, v4
	v_add_f32_e32 v3, v3, v5
	s_waitcnt vmcnt(1)
	v_lshlrev_b32_e32 v4, 16, v14
	s_waitcnt vmcnt(0)
	v_lshlrev_b32_e32 v5, 16, v15
	v_pk_mul_f32 v[4:5], v[10:11], v[4:5]
	s_nop 0
	v_add_f32_e32 v3, v3, v4
	v_add_f32_e32 v110, v3, v5
	s_branch .LBB653_16
.LBB653_19:
	v_mov_b32_e32 v0, 0
	ds_read_b32 v0, v0 offset:1536
	s_cmp_lg_u64 s[6:7], 0
	s_cbranch_scc0 .LBB653_28
; %bb.20:
	s_load_dword s6, s[6:7], 0x0
	s_waitcnt lgkmcnt(0)
	v_div_scale_f32 v1, s[0:1], s6, s6, 1.0
	v_rcp_f32_e32 v3, v1
	v_div_scale_f32 v4, vcc, 1.0, s6, 1.0
	v_fma_f32 v5, -v1, v3, 1.0
	v_fmac_f32_e32 v3, v5, v3
	v_mul_f32_e32 v5, v4, v3
	v_fma_f32 v6, -v1, v5, v4
	v_fmac_f32_e32 v5, v6, v3
	v_fma_f32 v1, -v1, v5, v4
	v_div_fmas_f32 v1, v1, v3, v5
	v_div_fixup_f32 v1, v1, s6, 1.0
	s_andn2_b64 vcc, exec, s[28:29]
	s_cbranch_vccnz .LBB653_22
.LBB653_21:
	s_add_u32 s0, s26, s30
	s_addc_u32 s1, s27, s31
	s_load_dword s24, s[0:1], 0x0
	s_mov_b32 s25, 0
.LBB653_22:
	s_waitcnt lgkmcnt(0)
	v_add_f32_e32 v0, 0x358637bd, v0
	v_div_scale_f32 v3, s[0:1], v0, v0, 1.0
	v_rcp_f32_e32 v4, v3
	v_div_scale_f32 v5, vcc, 1.0, v0, 1.0
	s_mov_b32 s0, 0x7f800000
	v_fma_f32 v6, -v3, v4, 1.0
	v_fmac_f32_e32 v4, v6, v4
	v_mul_f32_e32 v6, v5, v4
	v_fma_f32 v7, -v3, v6, v5
	v_fmac_f32_e32 v6, v7, v4
	v_fma_f32 v3, -v3, v6, v5
	v_div_fmas_f32 v3, v3, v4, v6
	v_div_fixup_f32 v0, v3, v0, 1.0
	v_mul_f32_e32 v0, v110, v0
	v_mul_f32_e32 v1, v0, v1
	v_and_b32_e32 v0, 0x7f800000, v1
	v_cmp_ne_u32_e32 vcc, s0, v0
                                        ; implicit-def: $vgpr0
	s_and_saveexec_b64 s[0:1], vcc
	s_xor_b64 s[0:1], exec, s[0:1]
; %bb.23:
	v_bfe_u32 v0, v1, 16, 1
	s_movk_i32 s6, 0x7fff
	v_add3_u32 v0, v1, v0, s6
                                        ; implicit-def: $vgpr1
; %bb.24:
	s_andn2_saveexec_b64 s[0:1], s[0:1]
; %bb.25:
	v_mov_b32_e32 v0, 0
	v_or_b32_e32 v3, 0x10000, v1
	v_cmp_eq_u32_sdwa vcc, v1, v0 src0_sel:WORD_0 src1_sel:DWORD
	s_nop 1
	v_cndmask_b32_e32 v0, v3, v1, vcc
; %bb.26:
	s_or_b64 exec, exec, s[0:1]
	s_mul_i32 s0, s3, s25
	s_mul_hi_u32 s1, s3, s24
	s_add_i32 s1, s1, s0
	s_mul_i32 s0, s3, s24
	s_lshl_b64 s[0:1], s[0:1], 8
	s_add_u32 s4, s4, s0
	s_mov_b32 s3, 0
	s_addc_u32 s5, s5, s1
	s_lshl_b64 s[0:1], s[2:3], 8
	s_add_u32 s0, s4, s0
	s_addc_u32 s1, s5, s1
	global_store_short_d16_hi v2, v0, s[0:1]
	s_endpgm
.LBB653_27:
	s_mov_b64 s[6:7], 0
	s_branch .LBB653_2
.LBB653_28:
	v_mov_b32_e32 v1, 1.0
	s_andn2_b64 vcc, exec, s[28:29]
	s_cbranch_vccz .LBB653_21
	s_branch .LBB653_22
	.section	.rodata,"a",@progbits
	.p2align	6, 0x0
	.amdhsa_kernel _Z35paged_attention_ll4mi_reduce_kernelI14__hip_bfloat16S0_Li128ELi128ELi256ELi6EEvPT0_PKfS4_PKT_PKiS9_iS4_
		.amdhsa_group_segment_fixed_size 1540
		.amdhsa_private_segment_fixed_size 0
		.amdhsa_kernarg_size 320
		.amdhsa_user_sgpr_count 2
		.amdhsa_user_sgpr_dispatch_ptr 0
		.amdhsa_user_sgpr_queue_ptr 0
		.amdhsa_user_sgpr_kernarg_segment_ptr 1
		.amdhsa_user_sgpr_dispatch_id 0
		.amdhsa_user_sgpr_kernarg_preload_length 0
		.amdhsa_user_sgpr_kernarg_preload_offset 0
		.amdhsa_user_sgpr_private_segment_size 0
		.amdhsa_uses_dynamic_stack 0
		.amdhsa_enable_private_segment 0
		.amdhsa_system_sgpr_workgroup_id_x 1
		.amdhsa_system_sgpr_workgroup_id_y 1
		.amdhsa_system_sgpr_workgroup_id_z 0
		.amdhsa_system_sgpr_workgroup_info 0
		.amdhsa_system_vgpr_workitem_id 0
		.amdhsa_next_free_vgpr 126
		.amdhsa_next_free_sgpr 42
		.amdhsa_accum_offset 128
		.amdhsa_reserve_vcc 1
		.amdhsa_float_round_mode_32 0
		.amdhsa_float_round_mode_16_64 0
		.amdhsa_float_denorm_mode_32 3
		.amdhsa_float_denorm_mode_16_64 3
		.amdhsa_dx10_clamp 1
		.amdhsa_ieee_mode 1
		.amdhsa_fp16_overflow 0
		.amdhsa_tg_split 0
		.amdhsa_exception_fp_ieee_invalid_op 0
		.amdhsa_exception_fp_denorm_src 0
		.amdhsa_exception_fp_ieee_div_zero 0
		.amdhsa_exception_fp_ieee_overflow 0
		.amdhsa_exception_fp_ieee_underflow 0
		.amdhsa_exception_fp_ieee_inexact 0
		.amdhsa_exception_int_div_zero 0
	.end_amdhsa_kernel
	.section	.text._Z35paged_attention_ll4mi_reduce_kernelI14__hip_bfloat16S0_Li128ELi128ELi256ELi6EEvPT0_PKfS4_PKT_PKiS9_iS4_,"axG",@progbits,_Z35paged_attention_ll4mi_reduce_kernelI14__hip_bfloat16S0_Li128ELi128ELi256ELi6EEvPT0_PKfS4_PKT_PKiS9_iS4_,comdat
.Lfunc_end653:
	.size	_Z35paged_attention_ll4mi_reduce_kernelI14__hip_bfloat16S0_Li128ELi128ELi256ELi6EEvPT0_PKfS4_PKT_PKiS9_iS4_, .Lfunc_end653-_Z35paged_attention_ll4mi_reduce_kernelI14__hip_bfloat16S0_Li128ELi128ELi256ELi6EEvPT0_PKfS4_PKT_PKiS9_iS4_
                                        ; -- End function
	.section	.AMDGPU.csdata,"",@progbits
; Kernel info:
; codeLenInByte = 9064
; NumSgprs: 48
; NumVgprs: 126
; NumAgprs: 0
; TotalNumVgprs: 126
; ScratchSize: 0
; MemoryBound: 0
; FloatMode: 240
; IeeeMode: 1
; LDSByteSize: 1540 bytes/workgroup (compile time only)
; SGPRBlocks: 5
; VGPRBlocks: 15
; NumSGPRsForWavesPerEU: 48
; NumVGPRsForWavesPerEU: 126
; AccumOffset: 128
; Occupancy: 4
; WaveLimiterHint : 1
; COMPUTE_PGM_RSRC2:SCRATCH_EN: 0
; COMPUTE_PGM_RSRC2:USER_SGPR: 2
; COMPUTE_PGM_RSRC2:TRAP_HANDLER: 0
; COMPUTE_PGM_RSRC2:TGID_X_EN: 1
; COMPUTE_PGM_RSRC2:TGID_Y_EN: 1
; COMPUTE_PGM_RSRC2:TGID_Z_EN: 0
; COMPUTE_PGM_RSRC2:TIDIG_COMP_CNT: 0
; COMPUTE_PGM_RSRC3_GFX90A:ACCUM_OFFSET: 31
; COMPUTE_PGM_RSRC3_GFX90A:TG_SPLIT: 0
	.section	.text._Z35paged_attention_ll4mi_reduce_kernelI14__hip_bfloat16S0_Li128ELi128ELi256ELi7EEvPT0_PKfS4_PKT_PKiS9_iS4_,"axG",@progbits,_Z35paged_attention_ll4mi_reduce_kernelI14__hip_bfloat16S0_Li128ELi128ELi256ELi7EEvPT0_PKfS4_PKT_PKiS9_iS4_,comdat
	.protected	_Z35paged_attention_ll4mi_reduce_kernelI14__hip_bfloat16S0_Li128ELi128ELi256ELi7EEvPT0_PKfS4_PKT_PKiS9_iS4_ ; -- Begin function _Z35paged_attention_ll4mi_reduce_kernelI14__hip_bfloat16S0_Li128ELi128ELi256ELi7EEvPT0_PKfS4_PKT_PKiS9_iS4_
	.globl	_Z35paged_attention_ll4mi_reduce_kernelI14__hip_bfloat16S0_Li128ELi128ELi256ELi7EEvPT0_PKfS4_PKT_PKiS9_iS4_
	.p2align	8
	.type	_Z35paged_attention_ll4mi_reduce_kernelI14__hip_bfloat16S0_Li128ELi128ELi256ELi7EEvPT0_PKfS4_PKT_PKiS9_iS4_,@function
_Z35paged_attention_ll4mi_reduce_kernelI14__hip_bfloat16S0_Li128ELi128ELi256ELi7EEvPT0_PKfS4_PKT_PKiS9_iS4_: ; @_Z35paged_attention_ll4mi_reduce_kernelI14__hip_bfloat16S0_Li128ELi128ELi256ELi7EEvPT0_PKfS4_PKT_PKiS9_iS4_
; %bb.0:
	s_load_dwordx2 s[26:27], s[0:1], 0x28
	s_mov_b32 s24, s3
	s_mov_b64 s[4:5], 0
	s_waitcnt lgkmcnt(0)
	s_cmp_lg_u64 s[26:27], 0
	s_cselect_b64 s[28:29], -1, 0
	s_and_b64 vcc, exec, s[28:29]
	s_cbranch_vccz .LBB654_27
; %bb.1:
	s_add_i32 s6, s24, 1
	s_mov_b32 s7, 0
	s_lshl_b64 s[8:9], s[6:7], 2
	s_add_u32 s8, s26, s8
	s_mov_b32 s25, s7
	s_addc_u32 s9, s27, s9
	s_lshl_b64 s[6:7], s[24:25], 2
	s_add_u32 s6, s26, s6
	s_addc_u32 s7, s27, s7
	s_load_dword s3, s[8:9], 0x0
	s_load_dword s10, s[6:7], 0x0
	s_waitcnt lgkmcnt(0)
	s_sub_i32 s3, s3, s10
	s_cmp_eq_u32 s3, 1
	s_cselect_b64 s[6:7], -1, 0
	s_andn2_b64 vcc, exec, s[4:5]
	s_cbranch_vccnz .LBB654_3
.LBB654_2:
	s_mov_b32 s25, 0
	s_mov_b64 s[6:7], -1
.LBB654_3:
	s_andn2_b64 vcc, exec, s[6:7]
	s_cbranch_vccz .LBB654_5
; %bb.4:
	s_endpgm
.LBB654_5:
	s_load_dwordx4 s[20:23], s[0:1], 0x18
	s_load_dword s8, s[0:1], 0x30
	s_lshl_b64 s[30:31], s[24:25], 2
	v_cmp_lt_u32_e32 vcc, 63, v0
	s_waitcnt lgkmcnt(0)
	s_add_u32 s4, s22, s30
	s_addc_u32 s5, s23, s31
	s_load_dword s40, s[4:5], 0x0
	s_load_dword s3, s[0:1], 0x40
	s_mul_i32 s22, s2, s8
	s_mul_i32 s6, s24, s8
	s_waitcnt lgkmcnt(0)
	s_add_i32 s7, s40, 0xff
	s_ashr_i32 s4, s7, 31
	s_lshr_b32 s4, s4, 24
	s_add_i32 s7, s7, s4
	s_and_saveexec_b64 s[4:5], vcc
	s_xor_b64 s[4:5], exec, s[4:5]
	s_or_saveexec_b64 s[34:35], s[4:5]
	s_ashr_i32 s33, s7, 8
	v_mov_b32_e32 v1, s22
	s_mul_i32 s36, s6, s3
	s_xor_b64 exec, exec, s[34:35]
	s_cbranch_execz .LBB654_9
; %bb.6:
	s_add_i32 s4, s33, -1
	v_or_b32_e32 v3, 64, v0
	v_mov_b32_e32 v1, s4
	v_cmp_gt_u32_e64 s[12:13], s33, v3
	s_load_dwordx4 s[16:19], s[0:1], 0x8
	s_mov_b32 s37, 0
	v_cndmask_b32_e64 v4, v1, v3, s[12:13]
	v_or_b32_e32 v3, 0x80, v0
	v_cmp_gt_u32_e64 s[10:11], s33, v3
	s_lshl_b64 s[38:39], s[36:37], 2
	s_mov_b32 s23, s37
	v_cndmask_b32_e64 v6, v1, v3, s[10:11]
	v_or_b32_e32 v3, 0xc0, v0
	v_cmp_gt_u32_e64 s[8:9], s33, v3
	v_cmp_gt_u32_e64 s[14:15], s33, v0
	s_waitcnt lgkmcnt(0)
	s_add_u32 s37, s18, s38
	v_cndmask_b32_e64 v8, v1, v3, s[8:9]
	v_or_b32_e32 v3, 0x100, v0
	v_cmp_gt_u32_e64 s[6:7], s33, v3
	v_cndmask_b32_e64 v2, v1, v0, s[14:15]
	s_addc_u32 s41, s19, s39
	v_cndmask_b32_e64 v10, v1, v3, s[6:7]
	v_or_b32_e32 v3, 0x140, v0
	v_cmp_gt_u32_e64 s[4:5], s33, v3
	s_lshl_b64 s[18:19], s[22:23], 2
	s_add_u32 s42, s37, s18
	v_cndmask_b32_e64 v12, v1, v3, s[4:5]
	v_or_b32_e32 v3, 0x180, v0
	v_cmp_gt_u32_e32 vcc, s33, v3
	s_addc_u32 s43, s41, s19
	v_ashrrev_i32_e32 v5, 31, v4
	v_cndmask_b32_e32 v14, v1, v3, vcc
	v_ashrrev_i32_e32 v3, 31, v2
	v_lshlrev_b64 v[2:3], 2, v[2:3]
	v_ashrrev_i32_e32 v7, 31, v6
	v_ashrrev_i32_e32 v9, 31, v8
	;; [unrolled: 1-line block ×5, first 2 shown]
	v_lshl_add_u64 v[16:17], s[42:43], 0, v[2:3]
	v_lshlrev_b64 v[4:5], 2, v[4:5]
	v_lshlrev_b64 v[6:7], 2, v[6:7]
	;; [unrolled: 1-line block ×6, first 2 shown]
	v_lshl_add_u64 v[18:19], s[42:43], 0, v[4:5]
	v_lshl_add_u64 v[20:21], s[42:43], 0, v[6:7]
	;; [unrolled: 1-line block ×6, first 2 shown]
	global_load_dword v1, v[16:17], off
	global_load_dword v30, v[18:19], off
	;; [unrolled: 1-line block ×7, first 2 shown]
	v_mbcnt_lo_u32_b32 v16, -1, 0
	s_add_u32 s16, s16, s38
	v_mbcnt_hi_u32_b32 v16, -1, v16
	s_addc_u32 s17, s17, s39
	v_and_b32_e32 v18, 64, v16
	s_add_u32 s18, s16, s18
	v_xor_b32_e32 v19, 32, v16
	s_addc_u32 s19, s17, s19
	v_add_u32_e32 v18, 64, v18
	v_lshl_add_u64 v[2:3], s[18:19], 0, v[2:3]
	v_cmp_lt_i32_e64 s[16:17], v19, v18
	global_load_dword v22, v[2:3], off
	v_xor_b32_e32 v20, 16, v16
	v_cndmask_b32_e64 v2, v16, v19, s[16:17]
	v_lshlrev_b32_e32 v19, 2, v2
	v_cmp_lt_i32_e64 s[16:17], v20, v18
	v_xor_b32_e32 v21, 8, v16
	v_xor_b32_e32 v23, 4, v16
	;; [unrolled: 1-line block ×3, first 2 shown]
	s_mov_b32 s41, 0x3fb8aa3b
	s_mov_b32 s23, 0xc2ce8ed0
	;; [unrolled: 1-line block ×3, first 2 shown]
	v_mov_b32_e32 v17, 0x7f800000
	s_waitcnt vmcnt(5)
	v_max3_f32 v2, v1, v30, v31
	s_waitcnt vmcnt(3)
	v_max3_f32 v2, v2, v32, v33
	;; [unrolled: 2-line block ×3, first 2 shown]
	ds_bpermute_b32 v26, v19, v25
	v_cndmask_b32_e64 v2, v16, v20, s[16:17]
	v_lshlrev_b32_e32 v20, 2, v2
	v_lshl_add_u64 v[2:3], s[18:19], 0, v[4:5]
	global_load_dword v27, v[2:3], off
	s_waitcnt lgkmcnt(0)
	v_max_f32_e32 v2, v26, v26
	v_max_f32_e32 v2, v25, v2
	ds_bpermute_b32 v3, v20, v2
	v_cmp_lt_i32_e64 s[16:17], v21, v18
	v_xor_b32_e32 v4, 1, v16
	s_waitcnt lgkmcnt(0)
	v_max_f32_e32 v3, v3, v3
	v_cndmask_b32_e64 v5, v16, v21, s[16:17]
	v_lshlrev_b32_e32 v21, 2, v5
	v_max_f32_e32 v5, v2, v3
	ds_bpermute_b32 v25, v21, v5
	v_cmp_lt_i32_e64 s[16:17], v23, v18
	s_nop 1
	v_cndmask_b32_e64 v2, v16, v23, s[16:17]
	v_lshlrev_b32_e32 v23, 2, v2
	v_lshl_add_u64 v[2:3], s[18:19], 0, v[6:7]
	global_load_dword v26, v[2:3], off
	s_waitcnt lgkmcnt(0)
	v_max_f32_e32 v2, v25, v25
	v_max_f32_e32 v2, v5, v2
	ds_bpermute_b32 v3, v23, v2
	v_cmp_lt_i32_e64 s[16:17], v24, v18
	v_lshl_add_u64 v[6:7], s[18:19], 0, v[12:13]
	s_waitcnt lgkmcnt(0)
	v_max_f32_e32 v3, v3, v3
	v_cndmask_b32_e64 v5, v16, v24, s[16:17]
	v_cmp_lt_i32_e64 s[16:17], v4, v18
	v_max_f32_e32 v18, v2, v3
	v_lshl_add_u64 v[2:3], s[18:19], 0, v[8:9]
	global_load_dword v9, v[2:3], off
	v_cndmask_b32_e64 v4, v16, v4, s[16:17]
	v_lshlrev_b32_e32 v16, 2, v5
	v_lshlrev_b32_e32 v25, 2, v4
	v_lshl_add_u64 v[4:5], s[18:19], 0, v[10:11]
	v_lshl_add_u64 v[2:3], s[18:19], 0, v[14:15]
	global_load_dword v11, v[4:5], off
	global_load_dword v12, v[6:7], off
	;; [unrolled: 1-line block ×3, first 2 shown]
	ds_bpermute_b32 v24, v16, v18
	s_waitcnt lgkmcnt(0)
	v_max_f32_e32 v8, v24, v24
	v_max_f32_e32 v8, v18, v8
	ds_bpermute_b32 v10, v25, v8
	s_waitcnt lgkmcnt(0)
	v_max_f32_e32 v2, v10, v10
	v_max_f32_e32 v2, v8, v2
	v_sub_f32_e32 v1, v1, v2
	v_mul_f32_e32 v4, 0x3fb8aa3b, v1
	v_fma_f32 v5, v1, s41, -v4
	v_rndne_f32_e32 v6, v4
	v_fmac_f32_e32 v5, 0x32a5705f, v1
	v_sub_f32_e32 v4, v4, v6
	v_add_f32_e32 v4, v4, v5
	v_cvt_i32_f32_e32 v6, v6
	v_exp_f32_e32 v4, v4
	v_sub_f32_e32 v3, v30, v2
	v_mul_f32_e32 v5, 0x3fb8aa3b, v3
	v_fma_f32 v7, v3, s41, -v5
	v_ldexp_f32 v4, v4, v6
	v_rndne_f32_e32 v6, v5
	v_fmac_f32_e32 v7, 0x32a5705f, v3
	v_sub_f32_e32 v5, v5, v6
	v_add_f32_e32 v5, v5, v7
	v_exp_f32_e32 v5, v5
	v_cvt_i32_f32_e32 v6, v6
	v_cmp_ngt_f32_e64 s[16:17], s23, v1
	s_nop 1
	v_cndmask_b32_e64 v4, 0, v4, s[16:17]
	v_cmp_nlt_f32_e64 s[16:17], s37, v1
	s_nop 1
	v_cndmask_b32_e64 v1, v17, v4, s[16:17]
	v_ldexp_f32 v4, v5, v6
	v_sub_f32_e32 v5, v31, v2
	v_mul_f32_e32 v6, 0x3fb8aa3b, v5
	v_fma_f32 v7, v5, s41, -v6
	v_rndne_f32_e32 v8, v6
	v_fmac_f32_e32 v7, 0x32a5705f, v5
	v_sub_f32_e32 v6, v6, v8
	v_add_f32_e32 v6, v6, v7
	v_exp_f32_e32 v6, v6
	v_cvt_i32_f32_e32 v7, v8
	v_cndmask_b32_e64 v1, 0, v1, s[14:15]
	v_cmp_ngt_f32_e64 s[14:15], s23, v3
	s_waitcnt vmcnt(6)
	v_mul_f32_e32 v1, v22, v1
	v_cndmask_b32_e64 v4, 0, v4, s[14:15]
	v_cmp_nlt_f32_e64 s[14:15], s37, v3
	s_nop 1
	v_cndmask_b32_e64 v3, v17, v4, s[14:15]
	v_ldexp_f32 v4, v6, v7
	v_sub_f32_e32 v6, v32, v2
	v_mul_f32_e32 v7, 0x3fb8aa3b, v6
	v_fma_f32 v8, v6, s41, -v7
	v_rndne_f32_e32 v10, v7
	v_fmac_f32_e32 v8, 0x32a5705f, v6
	v_sub_f32_e32 v7, v7, v10
	v_add_f32_e32 v7, v7, v8
	v_exp_f32_e32 v7, v7
	v_cvt_i32_f32_e32 v8, v10
	v_cndmask_b32_e64 v3, 0, v3, s[12:13]
	v_cmp_ngt_f32_e64 s[12:13], s23, v5
	s_waitcnt vmcnt(5)
	v_mul_f32_e32 v3, v27, v3
	v_cndmask_b32_e64 v4, 0, v4, s[12:13]
	v_cmp_nlt_f32_e64 s[12:13], s37, v5
	v_ldexp_f32 v5, v7, v8
	v_sub_f32_e32 v7, v33, v2
	v_mul_f32_e32 v8, 0x3fb8aa3b, v7
	v_fma_f32 v10, v7, s41, -v8
	v_rndne_f32_e32 v14, v8
	v_fmac_f32_e32 v10, 0x32a5705f, v7
	v_sub_f32_e32 v8, v8, v14
	v_add_f32_e32 v8, v8, v10
	v_cndmask_b32_e64 v4, v17, v4, s[12:13]
	v_exp_f32_e32 v8, v8
	v_cvt_i32_f32_e32 v10, v14
	v_cndmask_b32_e64 v4, 0, v4, s[10:11]
	v_cmp_ngt_f32_e64 s[10:11], s23, v6
	s_waitcnt vmcnt(4)
	v_mul_f32_e32 v4, v26, v4
	v_cndmask_b32_e64 v5, 0, v5, s[10:11]
	v_cmp_nlt_f32_e64 s[10:11], s37, v6
	v_ldexp_f32 v6, v8, v10
	v_sub_f32_e32 v8, v34, v2
	v_cndmask_b32_e64 v5, v17, v5, s[10:11]
	v_cndmask_b32_e64 v5, 0, v5, s[8:9]
	s_waitcnt vmcnt(3)
	v_mul_f32_e32 v5, v9, v5
	v_mul_f32_e32 v9, 0x3fb8aa3b, v8
	v_fma_f32 v10, v8, s41, -v9
	v_rndne_f32_e32 v14, v9
	v_fmac_f32_e32 v10, 0x32a5705f, v8
	v_sub_f32_e32 v9, v9, v14
	v_add_f32_e32 v9, v9, v10
	v_exp_f32_e32 v9, v9
	v_cvt_i32_f32_e32 v10, v14
	v_cmp_ngt_f32_e64 s[8:9], s23, v7
	v_sub_f32_e32 v2, v35, v2
	s_nop 0
	v_cndmask_b32_e64 v6, 0, v6, s[8:9]
	v_cmp_nlt_f32_e64 s[8:9], s37, v7
	v_ldexp_f32 v7, v9, v10
	v_mul_f32_e32 v9, 0x3fb8aa3b, v2
	v_cndmask_b32_e64 v6, v17, v6, s[8:9]
	v_cndmask_b32_e64 v6, 0, v6, s[6:7]
	s_waitcnt vmcnt(2)
	v_mul_f32_e32 v6, v11, v6
	v_fma_f32 v10, v2, s41, -v9
	v_rndne_f32_e32 v11, v9
	v_fmac_f32_e32 v10, 0x32a5705f, v2
	v_sub_f32_e32 v9, v9, v11
	v_add_f32_e32 v9, v9, v10
	v_exp_f32_e32 v9, v9
	v_cvt_i32_f32_e32 v10, v11
	v_cmp_ngt_f32_e64 s[6:7], s23, v8
	v_lshlrev_b32_e32 v11, 2, v0
	ds_write2st64_b32 v11, v1, v3 offset1:1
	v_cndmask_b32_e64 v7, 0, v7, s[6:7]
	v_cmp_nlt_f32_e64 s[6:7], s37, v8
	v_ldexp_f32 v8, v9, v10
	s_nop 0
	v_cndmask_b32_e64 v7, v17, v7, s[6:7]
	v_cndmask_b32_e64 v7, 0, v7, s[4:5]
	v_cmp_ngt_f32_e64 s[4:5], s23, v2
	s_waitcnt vmcnt(1)
	v_mul_f32_e32 v7, v12, v7
	v_cndmask_b32_e64 v8, 0, v8, s[4:5]
	v_cmp_nlt_f32_e64 s[4:5], s37, v2
	s_nop 1
	v_cndmask_b32_e64 v2, v17, v8, s[4:5]
	v_add_f32_e32 v8, v1, v3
	v_add_f32_e32 v8, v8, v4
	;; [unrolled: 1-line block ×4, first 2 shown]
	v_cndmask_b32_e32 v2, 0, v2, vcc
	v_add_f32_e32 v8, v8, v7
	s_waitcnt vmcnt(0)
	v_fmac_f32_e32 v8, v13, v2
	ds_bpermute_b32 v9, v19, v8
	v_mul_f32_e32 v10, v13, v2
	v_cmp_eq_u32_e32 vcc, 0, v0
	ds_write2st64_b32 v11, v4, v5 offset0:2 offset1:3
	ds_write2st64_b32 v11, v6, v7 offset0:4 offset1:5
	ds_write_b32 v11, v10 offset:1536
	s_waitcnt lgkmcnt(3)
	v_add_f32_e32 v8, v8, v9
	ds_bpermute_b32 v9, v20, v8
	s_waitcnt lgkmcnt(0)
	v_add_f32_e32 v8, v8, v9
	ds_bpermute_b32 v9, v21, v8
	;; [unrolled: 3-line block ×5, first 2 shown]
	s_and_saveexec_b64 s[4:5], vcc
	s_cbranch_execz .LBB654_8
; %bb.7:
	s_waitcnt lgkmcnt(0)
	v_add_f32_e32 v1, v1, v2
	v_mov_b32_e32 v2, 0
	ds_write_b32 v2, v1 offset:1792
.LBB654_8:
	s_or_b64 exec, exec, s[4:5]
	v_mov_b32_e32 v1, s22
.LBB654_9:
	s_or_b64 exec, exec, s[34:35]
	s_lshl_b32 s4, s36, 7
	s_mov_b32 s5, 0
	s_lshl_b64 s[4:5], s[4:5], 1
	s_add_u32 s4, s20, s4
	s_addc_u32 s5, s21, s5
	s_lshl_b32 s10, s33, 7
	s_add_i32 s11, s10, 0xffffff80
	s_waitcnt lgkmcnt(0)
	v_lshlrev_b32_e32 v2, 7, v1
	v_mov_b32_e32 v3, 0
	s_cmp_lt_i32 s40, 1
	v_lshl_add_u64 v[4:5], v[2:3], 1, s[4:5]
	s_cselect_b32 s4, s11, 0
	v_lshlrev_b32_e32 v2, 1, v0
	s_ashr_i32 s5, s4, 31
	v_lshl_add_u64 v[0:1], v[4:5], 0, v[2:3]
	s_cmpk_lt_i32 s40, 0x101
	v_lshl_add_u64 v[4:5], s[4:5], 1, v[0:1]
	s_cselect_b32 s4, s11, 0x80
	s_ashr_i32 s5, s4, 31
	s_cmpk_lt_i32 s40, 0x201
	v_lshl_add_u64 v[6:7], s[4:5], 1, v[0:1]
	s_cselect_b32 s4, s11, 0x100
	s_ashr_i32 s5, s4, 31
	s_cmpk_lt_i32 s40, 0x301
	v_lshl_add_u64 v[8:9], s[4:5], 1, v[0:1]
	s_cselect_b32 s4, s11, 0x180
	s_ashr_i32 s5, s4, 31
	s_cmpk_lt_i32 s40, 0x401
	v_lshl_add_u64 v[10:11], s[4:5], 1, v[0:1]
	s_cselect_b32 s4, s11, 0x200
	s_ashr_i32 s5, s4, 31
	s_cmpk_lt_i32 s40, 0x501
	v_lshl_add_u64 v[12:13], s[4:5], 1, v[0:1]
	s_cselect_b32 s4, s11, 0x280
	s_ashr_i32 s5, s4, 31
	s_cmpk_lt_i32 s40, 0x601
	v_lshl_add_u64 v[14:15], s[4:5], 1, v[0:1]
	s_cselect_b32 s4, s11, 0x300
	s_ashr_i32 s5, s4, 31
	s_cmpk_lt_i32 s40, 0x701
	v_lshl_add_u64 v[24:25], s[4:5], 1, v[0:1]
	s_cselect_b32 s4, s11, 0x380
	s_ashr_i32 s5, s4, 31
	s_cmpk_lt_i32 s40, 0x801
	v_lshl_add_u64 v[26:27], s[4:5], 1, v[0:1]
	s_cselect_b32 s4, s11, 0x400
	s_ashr_i32 s5, s4, 31
	s_cmpk_lt_i32 s40, 0x901
	global_load_ushort v23, v[4:5], off
	global_load_ushort v22, v[6:7], off
	;; [unrolled: 1-line block ×8, first 2 shown]
	v_lshl_add_u64 v[4:5], s[4:5], 1, v[0:1]
	s_cselect_b32 s4, s11, 0x480
	s_ashr_i32 s5, s4, 31
	s_cmpk_lt_i32 s40, 0xa01
	v_lshl_add_u64 v[6:7], s[4:5], 1, v[0:1]
	s_cselect_b32 s4, s11, 0x500
	s_ashr_i32 s5, s4, 31
	s_cmpk_lt_i32 s40, 0xb01
	v_lshl_add_u64 v[8:9], s[4:5], 1, v[0:1]
	s_cselect_b32 s4, s11, 0x580
	s_ashr_i32 s5, s4, 31
	s_cmpk_lt_i32 s40, 0xc01
	v_lshl_add_u64 v[10:11], s[4:5], 1, v[0:1]
	s_cselect_b32 s4, s11, 0x600
	s_ashr_i32 s5, s4, 31
	s_cmpk_lt_i32 s40, 0xd01
	v_lshl_add_u64 v[12:13], s[4:5], 1, v[0:1]
	s_cselect_b32 s4, s11, 0x680
	s_ashr_i32 s5, s4, 31
	s_cmpk_lt_i32 s40, 0xe01
	v_lshl_add_u64 v[14:15], s[4:5], 1, v[0:1]
	s_cselect_b32 s4, s11, 0x700
	s_ashr_i32 s5, s4, 31
	s_cmpk_lt_i32 s40, 0xf01
	v_lshl_add_u64 v[32:33], s[4:5], 1, v[0:1]
	s_cselect_b32 s4, s11, 0x780
	s_ashr_i32 s5, s4, 31
	v_lshl_add_u64 v[34:35], s[4:5], 1, v[0:1]
	global_load_ushort v30, v[4:5], off
	global_load_ushort v31, v[6:7], off
	;; [unrolled: 1-line block ×8, first 2 shown]
	s_cmpk_gt_i32 s40, 0x1000
	s_cselect_b64 s[8:9], -1, 0
	s_cmpk_lt_i32 s40, 0x1001
	v_mov_b32_e32 v40, 0
	v_mov_b32_e32 v41, 0
	;; [unrolled: 1-line block ×48, first 2 shown]
	s_barrier
	s_cbranch_scc1 .LBB654_12
; %bb.10:
	s_cmpk_lt_u32 s40, 0x1101
	s_cselect_b32 s4, s11, 0x880
	s_ashr_i32 s5, s4, 31
	s_cmpk_lt_u32 s40, 0x1201
	v_lshl_add_u64 v[6:7], s[4:5], 1, v[0:1]
	s_cselect_b32 s4, s11, 0x900
	s_ashr_i32 s5, s4, 31
	s_cmpk_lt_u32 s40, 0x1301
	v_lshl_add_u64 v[8:9], s[4:5], 1, v[0:1]
	;; [unrolled: 4-line block ×7, first 2 shown]
	s_cselect_b32 s4, s11, 0xc00
	v_add_co_u32_e32 v4, vcc, 0x1000, v0
	s_ashr_i32 s5, s4, 31
	s_nop 0
	v_addc_co_u32_e32 v5, vcc, 0, v1, vcc
	s_cmpk_lt_u32 s40, 0x1901
	global_load_ushort v39, v[4:5], off
	global_load_ushort v38, v[6:7], off
	;; [unrolled: 1-line block ×8, first 2 shown]
	v_lshl_add_u64 v[4:5], s[4:5], 1, v[0:1]
	s_cselect_b32 s4, s11, 0xc80
	s_ashr_i32 s5, s4, 31
	s_cmpk_lt_u32 s40, 0x1a01
	v_lshl_add_u64 v[6:7], s[4:5], 1, v[0:1]
	s_cselect_b32 s4, s11, 0xd00
	s_ashr_i32 s5, s4, 31
	s_cmpk_lt_u32 s40, 0x1b01
	;; [unrolled: 4-line block ×6, first 2 shown]
	v_lshl_add_u64 v[48:49], s[4:5], 1, v[0:1]
	s_cselect_b32 s4, s11, 0xf80
	s_ashr_i32 s5, s4, 31
	v_lshl_add_u64 v[50:51], s[4:5], 1, v[0:1]
	global_load_ushort v47, v[4:5], off
	global_load_ushort v46, v[6:7], off
	;; [unrolled: 1-line block ×8, first 2 shown]
	s_cmpk_lt_u32 s40, 0x2001
	v_mov_b32_e32 v67, 0
	v_mov_b32_e32 v65, 0
	;; [unrolled: 1-line block ×32, first 2 shown]
	s_cbranch_scc1 .LBB654_12
; %bb.11:
	s_cmpk_lt_u32 s40, 0x2101
	s_cselect_b32 s4, s11, 0x1080
	s_ashr_i32 s5, s4, 31
	s_cmpk_lt_u32 s40, 0x2201
	v_lshl_add_u64 v[4:5], s[4:5], 1, v[0:1]
	s_cselect_b32 s4, s11, 0x1100
	s_ashr_i32 s5, s4, 31
	s_cmpk_lt_u32 s40, 0x2301
	v_lshl_add_u64 v[6:7], s[4:5], 1, v[0:1]
	;; [unrolled: 4-line block ×29, first 2 shown]
	s_cselect_b32 s4, s11, 0x1f00
	s_ashr_i32 s5, s4, 31
	v_lshl_add_u64 v[94:95], s[4:5], 1, v[0:1]
	s_movk_i32 s4, 0x2000
	s_cmpk_lt_u32 s40, 0x3f01
	v_add_co_u32_e32 v96, vcc, s4, v0
	s_cselect_b32 s4, s11, 0x1f80
	s_nop 0
	v_addc_co_u32_e32 v97, vcc, 0, v1, vcc
	s_ashr_i32 s5, s4, 31
	global_load_ushort v98, v[96:97], off
	global_load_ushort v99, v[4:5], off
	;; [unrolled: 1-line block ×15, first 2 shown]
                                        ; kill: killed $vgpr54_vgpr55
                                        ; kill: killed $vgpr6_vgpr7
                                        ; kill: killed $vgpr60_vgpr61
                                        ; kill: killed $vgpr12_vgpr13
                                        ; kill: killed $vgpr50_vgpr51
                                        ; kill: killed $vgpr56_vgpr57
                                        ; kill: killed $vgpr8_vgpr9
                                        ; kill: killed $vgpr62_vgpr63
                                        ; kill: killed $vgpr14_vgpr15
                                        ; kill: killed $vgpr96 killed $vgpr97
                                        ; kill: killed $vgpr52_vgpr53
                                        ; kill: killed $vgpr4_vgpr5
                                        ; kill: killed $vgpr58_vgpr59
                                        ; kill: killed $vgpr10_vgpr11
                                        ; kill: killed $vgpr48_vgpr49
	global_load_ushort v6, v[64:65], off
	global_load_ushort v7, v[66:67], off
	;; [unrolled: 1-line block ×15, first 2 shown]
                                        ; kill: killed $vgpr70_vgpr71
                                        ; kill: killed $vgpr92_vgpr93
                                        ; kill: killed $vgpr76_vgpr77
                                        ; kill: killed $vgpr82_vgpr83
                                        ; kill: killed $vgpr66_vgpr67
                                        ; kill: killed $vgpr88_vgpr89
                                        ; kill: killed $vgpr72_vgpr73
                                        ; kill: killed $vgpr94_vgpr95
                                        ; kill: killed $vgpr78_vgpr79
                                        ; kill: killed $vgpr84_vgpr85
                                        ; kill: killed $vgpr68_vgpr69
                                        ; kill: killed $vgpr90_vgpr91
                                        ; kill: killed $vgpr74_vgpr75
                                        ; kill: killed $vgpr80_vgpr81
                                        ; kill: killed $vgpr64_vgpr65
	global_load_ushort v68, v[86:87], off
	v_lshl_add_u64 v[4:5], s[4:5], 1, v[0:1]
	global_load_ushort v5, v[4:5], off
	s_waitcnt vmcnt(31)
	v_lshlrev_b32_e32 v67, 16, v98
	s_waitcnt vmcnt(30)
	v_lshlrev_b32_e32 v65, 16, v99
	;; [unrolled: 2-line block ×32, first 2 shown]
.LBB654_12:
	s_load_dwordx2 s[4:5], s[0:1], 0x0
	s_load_dwordx2 s[6:7], s[0:1], 0x38
	ds_read_b128 v[68:71], v3
	s_waitcnt vmcnt(15)
	v_lshlrev_b32_e32 v23, 16, v23
	ds_read_b128 v[72:75], v3 offset:16
	ds_read_b128 v[76:79], v3 offset:32
	;; [unrolled: 1-line block ×3, first 2 shown]
	s_waitcnt vmcnt(14)
	v_lshlrev_b32_e32 v22, 16, v22
	s_waitcnt vmcnt(13)
	v_lshlrev_b32_e32 v21, 16, v21
	s_waitcnt lgkmcnt(0)
	v_fma_f32 v23, v68, v23, 0
	v_fmac_f32_e32 v23, v69, v22
	v_fmac_f32_e32 v23, v70, v21
	s_waitcnt vmcnt(12)
	v_lshlrev_b32_e32 v20, 16, v20
	s_waitcnt vmcnt(10)
	v_lshlrev_b32_e32 v19, 16, v19
	v_lshlrev_b32_e32 v18, 16, v18
	v_fmac_f32_e32 v23, v71, v20
	v_pk_mul_f32 v[18:19], v[72:73], v[18:19]
	s_waitcnt vmcnt(8)
	v_lshlrev_b32_e32 v17, 16, v17
	v_add_f32_e32 v18, v23, v18
	v_lshlrev_b32_e32 v16, 16, v16
	v_add_f32_e32 v18, v18, v19
	v_pk_mul_f32 v[16:17], v[74:75], v[16:17]
	s_and_b64 vcc, exec, s[8:9]
	v_add_f32_e32 v16, v18, v16
	v_add_f32_e32 v18, v16, v17
	s_waitcnt vmcnt(6)
	v_lshlrev_b32_e32 v17, 16, v31
	v_lshlrev_b32_e32 v16, 16, v30
	v_pk_mul_f32 v[16:17], v[76:77], v[16:17]
	s_nop 0
	v_add_f32_e32 v16, v18, v16
	v_add_f32_e32 v18, v16, v17
	s_waitcnt vmcnt(4)
	v_lshlrev_b32_e32 v17, 16, v29
	v_lshlrev_b32_e32 v16, 16, v28
	v_pk_mul_f32 v[16:17], v[78:79], v[16:17]
	s_nop 0
	;; [unrolled: 7-line block ×4, first 2 shown]
	v_add_f32_e32 v16, v18, v16
	v_add_f32_e32 v110, v16, v17
	s_cbranch_vccz .LBB654_15
; %bb.13:
	ds_read_b128 v[16:19], v3 offset:64
	v_lshlrev_b32_e32 v39, 16, v39
	ds_read_b128 v[20:23], v3 offset:80
	ds_read_b128 v[24:27], v3 offset:96
	;; [unrolled: 1-line block ×3, first 2 shown]
	v_lshlrev_b32_e32 v3, 16, v38
	s_cmpk_lt_u32 s40, 0x2001
	s_waitcnt lgkmcnt(3)
	v_fmac_f32_e32 v110, v16, v39
	v_fmac_f32_e32 v110, v17, v3
	v_lshlrev_b32_e32 v3, 16, v37
	v_fmac_f32_e32 v110, v18, v3
	v_lshlrev_b32_e32 v3, 16, v36
	v_fmac_f32_e32 v110, v19, v3
	v_lshlrev_b32_e32 v3, 16, v35
	s_waitcnt lgkmcnt(2)
	v_fmac_f32_e32 v110, v20, v3
	v_lshlrev_b32_e32 v3, 16, v34
	v_fmac_f32_e32 v110, v21, v3
	v_lshlrev_b32_e32 v3, 16, v33
	v_fmac_f32_e32 v110, v22, v3
	v_lshlrev_b32_e32 v3, 16, v32
	v_fmac_f32_e32 v110, v23, v3
	v_lshlrev_b32_e32 v3, 16, v47
	s_waitcnt lgkmcnt(1)
	v_fmac_f32_e32 v110, v24, v3
	v_lshlrev_b32_e32 v3, 16, v46
	;; [unrolled: 9-line block ×3, first 2 shown]
	v_fmac_f32_e32 v110, v29, v3
	v_lshlrev_b32_e32 v3, 16, v41
	v_fmac_f32_e32 v110, v30, v3
	v_lshlrev_b32_e32 v3, 16, v40
	v_fmac_f32_e32 v110, v31, v3
	s_cbranch_scc1 .LBB654_15
; %bb.14:
	v_mov_b32_e32 v3, 0
	ds_read_b128 v[16:19], v3 offset:128
	ds_read_b128 v[20:23], v3 offset:144
	;; [unrolled: 1-line block ×4, first 2 shown]
	s_waitcnt lgkmcnt(3)
	v_fmac_f32_e32 v110, v16, v67
	v_fmac_f32_e32 v110, v17, v65
	v_fmac_f32_e32 v110, v18, v66
	v_fmac_f32_e32 v110, v19, v63
	s_waitcnt lgkmcnt(2)
	v_fmac_f32_e32 v110, v20, v64
	v_fmac_f32_e32 v110, v21, v61
	v_fmac_f32_e32 v110, v22, v62
	v_fmac_f32_e32 v110, v23, v59
	s_waitcnt lgkmcnt(1)
	v_fmac_f32_e32 v110, v24, v60
	v_fmac_f32_e32 v110, v25, v57
	v_fmac_f32_e32 v110, v26, v58
	v_fmac_f32_e32 v110, v27, v55
	ds_read_b128 v[16:19], v3 offset:192
	ds_read_b128 v[20:23], v3 offset:208
	s_waitcnt lgkmcnt(2)
	v_fmac_f32_e32 v110, v28, v56
	v_fmac_f32_e32 v110, v29, v53
	;; [unrolled: 1-line block ×4, first 2 shown]
	s_waitcnt lgkmcnt(1)
	v_fmac_f32_e32 v110, v16, v51
	v_fmac_f32_e32 v110, v17, v49
	;; [unrolled: 1-line block ×4, first 2 shown]
	s_waitcnt lgkmcnt(0)
	v_pk_mul_f32 v[14:15], v[20:21], v[14:15]
	v_pk_mul_f32 v[12:13], v[22:23], v[12:13]
	v_add_f32_e32 v14, v110, v14
	v_add_f32_e32 v18, v14, v15
	ds_read_b128 v[14:17], v3 offset:224
	v_add_f32_e32 v12, v18, v12
	ds_read_b128 v[18:21], v3 offset:240
	v_add_f32_e32 v12, v12, v13
	s_waitcnt lgkmcnt(1)
	v_pk_mul_f32 v[10:11], v[14:15], v[10:11]
	s_nop 0
	v_add_f32_e32 v3, v12, v10
	v_add_f32_e32 v3, v3, v11
	v_pk_mul_f32 v[8:9], v[16:17], v[8:9]
	s_waitcnt lgkmcnt(0)
	v_pk_mul_f32 v[6:7], v[18:19], v[6:7]
	v_add_f32_e32 v3, v3, v8
	v_add_f32_e32 v3, v3, v9
	;; [unrolled: 1-line block ×4, first 2 shown]
	v_pk_mul_f32 v[4:5], v[20:21], v[4:5]
	s_nop 0
	v_add_f32_e32 v3, v3, v4
	v_add_f32_e32 v110, v3, v5
.LBB654_15:
	s_movk_i32 s0, 0x3f80
	s_movk_i32 s1, 0x100
	s_mov_b32 s8, 64
	s_branch .LBB654_17
.LBB654_16:                             ;   in Loop: Header=BB654_17 Depth=1
	s_addk_i32 s0, 0x2000
	s_addk_i32 s1, 0x100
	s_add_i32 s8, s8, 64
	s_cmpk_eq_u32 s0, 0xff80
	s_cbranch_scc1 .LBB654_19
.LBB654_17:                             ; =>This Inner Loop Header: Depth=1
	s_cmp_le_i32 s33, s8
	s_cbranch_scc1 .LBB654_16
; %bb.18:                               ;   in Loop: Header=BB654_17 Depth=1
	s_add_i32 s9, s0, 0xffffe080
	s_cmp_lt_i32 s9, s10
	s_cselect_b32 s12, s9, s11
	s_ashr_i32 s13, s12, 31
	s_add_i32 s9, s0, 0xffffe100
	s_cmp_lt_i32 s9, s10
	v_lshl_add_u64 v[42:43], s[12:13], 1, v[0:1]
	s_cselect_b32 s12, s9, s11
	s_ashr_i32 s13, s12, 31
	s_add_i32 s9, s0, 0xffffe180
	s_cmp_lt_i32 s9, s10
	v_lshl_add_u64 v[4:5], s[12:13], 1, v[0:1]
	;; [unrolled: 5-line block ×25, first 2 shown]
	s_cselect_b32 s12, s9, s11
	s_ashr_i32 s13, s12, 31
	s_add_i32 s9, s0, 0xffffed80
	s_cmp_lt_i32 s9, s10
	global_load_ushort v3, v[42:43], off
	global_load_ushort v120, v[44:45], off
	v_lshl_add_u64 v[18:19], s[12:13], 1, v[0:1]
	s_cselect_b32 s12, s9, s11
	global_load_ushort v111, v[4:5], off
	global_load_ushort v112, v[6:7], off
	;; [unrolled: 1-line block ×8, first 2 shown]
	s_ashr_i32 s13, s12, 31
	s_add_i32 s9, s0, 0xffffee00
	s_cmp_lt_i32 s9, s10
	v_lshl_add_u64 v[20:21], s[12:13], 1, v[0:1]
	s_cselect_b32 s12, s9, s11
	s_ashr_i32 s13, s12, 31
	s_add_i32 s9, s0, 0xffffee80
	s_cmp_lt_i32 s9, s10
	v_lshl_add_u64 v[38:39], s[12:13], 1, v[0:1]
	s_cselect_b32 s12, s9, s11
	s_ashr_i32 s13, s12, 31
	s_add_i32 s9, s0, 0xffffef00
	s_cmp_lt_i32 s9, s10
	global_load_ushort v119, v[28:29], off
	v_lshl_add_u64 v[40:41], s[12:13], 1, v[0:1]
	s_cselect_b32 s12, s9, s11
	s_ashr_i32 s13, s12, 31
	s_add_i32 s9, s0, 0xffffef80
	global_load_ushort v121, v[54:55], off
	global_load_ushort v122, v[56:57], off
	s_cmp_lt_i32 s9, s10
	global_load_ushort v58, v[58:59], off
	v_lshl_add_u64 v[50:51], s[12:13], 1, v[0:1]
	s_cselect_b32 s12, s9, s11
	s_ashr_i32 s13, s12, 31
	s_add_i32 s9, s0, 0xfffff000
	s_cmp_lt_i32 s9, s10
	v_lshl_add_u64 v[52:53], s[12:13], 1, v[0:1]
	s_cselect_b32 s12, s9, s11
	s_ashr_i32 s13, s12, 31
	s_add_i32 s9, s0, 0xfffff080
	global_load_ushort v59, v[60:61], off
	s_cmp_lt_i32 s9, s10
	global_load_ushort v60, v[66:67], off
	global_load_ushort v61, v[62:63], off
	v_lshl_add_u64 v[64:65], s[12:13], 1, v[0:1]
	s_cselect_b32 s12, s9, s11
	s_ashr_i32 s13, s12, 31
	s_add_i32 s9, s0, 0xfffff100
	s_cmp_lt_i32 s9, s10
	v_lshl_add_u64 v[68:69], s[12:13], 1, v[0:1]
	s_cselect_b32 s12, s9, s11
	s_ashr_i32 s13, s12, 31
	s_add_i32 s9, s0, 0xfffff180
	s_cmp_lt_i32 s9, s10
	;; [unrolled: 5-line block ×3, first 2 shown]
	global_load_ushort v62, v[24:25], off
	v_lshl_add_u64 v[72:73], s[12:13], 1, v[0:1]
	s_cselect_b32 s12, s9, s11
	global_load_ushort v66, v[30:31], off
	global_load_ushort v123, v[32:33], off
	;; [unrolled: 1-line block ×4, first 2 shown]
	s_ashr_i32 s13, s12, 31
	s_add_i32 s9, s0, 0xfffff280
	s_cmp_lt_i32 s9, s10
	global_load_ushort v67, v[46:47], off
	v_lshl_add_u64 v[74:75], s[12:13], 1, v[0:1]
	s_cselect_b32 s12, s9, s11
	s_ashr_i32 s13, s12, 31
	s_add_i32 s9, s0, 0xfffff300
	s_cmp_lt_i32 s9, s10
	v_lshl_add_u64 v[76:77], s[12:13], 1, v[0:1]
	s_cselect_b32 s12, s9, s11
	s_ashr_i32 s13, s12, 31
	s_add_i32 s9, s0, 0xfffff380
	s_cmp_lt_i32 s9, s10
	v_mov_b32_e32 v124, s1
	v_lshl_add_u64 v[78:79], s[12:13], 1, v[0:1]
	s_cselect_b32 s12, s9, s11
	ds_read_b128 v[28:31], v124
	ds_read_b128 v[32:35], v124 offset:16
	global_load_ushort v48, v[48:49], off
	s_ashr_i32 s13, s12, 31
	s_add_i32 s9, s0, 0xfffff400
	s_cmp_lt_i32 s9, s10
	v_lshl_add_u64 v[80:81], s[12:13], 1, v[0:1]
	s_cselect_b32 s12, s9, s11
	ds_read_b128 v[44:47], v124 offset:32
	ds_read_b128 v[54:57], v124 offset:48
	global_load_ushort v36, v[36:37], off
	s_ashr_i32 s13, s12, 31
	v_lshl_add_u64 v[82:83], s[12:13], 1, v[0:1]
	global_load_ushort v49, v[82:83], off
	global_load_ushort v37, v[18:19], off
	s_add_i32 s9, s0, 0xfffff480
	s_cmp_lt_i32 s9, s10
	s_cselect_b32 s12, s9, s11
	s_ashr_i32 s13, s12, 31
	s_add_i32 s9, s0, 0xfffff500
	s_cmp_lt_i32 s9, s10
	v_lshl_add_u64 v[84:85], s[12:13], 1, v[0:1]
	s_cselect_b32 s12, s9, s11
	s_ashr_i32 s13, s12, 31
	s_add_i32 s9, s0, 0xfffff580
	s_cmp_lt_i32 s9, s10
	v_lshl_add_u64 v[86:87], s[12:13], 1, v[0:1]
	;; [unrolled: 5-line block ×7, first 2 shown]
	s_cselect_b32 s12, s9, s11
	s_ashr_i32 s13, s12, 31
	s_add_i32 s9, s0, 0xfffff880
	s_waitcnt vmcnt(26)
	v_lshlrev_b32_e32 v3, 16, v3
	s_cmp_lt_i32 s9, s10
	s_waitcnt lgkmcnt(3)
	v_fmac_f32_e32 v110, v28, v3
	s_waitcnt vmcnt(24)
	v_lshlrev_b32_e32 v3, 16, v111
	v_lshl_add_u64 v[98:99], s[12:13], 1, v[0:1]
	s_cselect_b32 s12, s9, s11
	v_fmac_f32_e32 v110, v29, v3
	s_waitcnt vmcnt(23)
	v_lshlrev_b32_e32 v3, 16, v112
	s_ashr_i32 s13, s12, 31
	s_add_i32 s9, s0, 0xfffff900
	v_fmac_f32_e32 v110, v30, v3
	s_waitcnt vmcnt(22)
	v_lshlrev_b32_e32 v3, 16, v113
	s_cmp_lt_i32 s9, s10
	v_fmac_f32_e32 v110, v31, v3
	s_waitcnt vmcnt(21)
	v_lshlrev_b32_e32 v3, 16, v114
	v_lshl_add_u64 v[102:103], s[12:13], 1, v[0:1]
	s_cselect_b32 s12, s9, s11
	s_waitcnt lgkmcnt(2)
	v_fmac_f32_e32 v110, v32, v3
	global_load_ushort v3, v[20:21], off
	global_load_ushort v32, v[38:39], off
	s_waitcnt vmcnt(22)
	v_lshlrev_b32_e32 v18, 16, v115
	s_ashr_i32 s13, s12, 31
	s_add_i32 s9, s0, 0xfffff980
	v_fmac_f32_e32 v110, v33, v18
	s_waitcnt vmcnt(21)
	v_lshlrev_b32_e32 v18, 16, v116
	s_cmp_lt_i32 s9, s10
	v_fmac_f32_e32 v110, v34, v18
	s_waitcnt vmcnt(20)
	v_lshlrev_b32_e32 v18, 16, v117
	v_lshl_add_u64 v[104:105], s[12:13], 1, v[0:1]
	s_cselect_b32 s12, s9, s11
	global_load_ushort v33, v[40:41], off
	global_load_ushort v34, v[50:51], off
	v_fmac_f32_e32 v110, v35, v18
	global_load_ushort v35, v[52:53], off
	global_load_ushort v38, v[64:65], off
	;; [unrolled: 1-line block ×3, first 2 shown]
	s_waitcnt vmcnt(24)
	v_lshlrev_b32_e32 v18, 16, v118
	s_ashr_i32 s13, s12, 31
	s_add_i32 s9, s0, 0xfffffa00
	s_waitcnt lgkmcnt(1)
	v_fmac_f32_e32 v110, v44, v18
	global_load_ushort v44, v[74:75], off
	s_waitcnt vmcnt(24)
	v_lshlrev_b32_e32 v18, 16, v119
	s_cmp_lt_i32 s9, s10
	v_fmac_f32_e32 v110, v45, v18
	v_lshlrev_b32_e32 v18, 16, v120
	v_lshl_add_u64 v[106:107], s[12:13], 1, v[0:1]
	s_cselect_b32 s12, s9, s11
	v_fmac_f32_e32 v110, v46, v18
	global_load_ushort v46, v[78:79], off
	s_waitcnt vmcnt(24)
	v_lshlrev_b32_e32 v18, 16, v121
	s_ashr_i32 s13, s12, 31
	s_add_i32 s9, s0, 0xfffffa80
	v_fmac_f32_e32 v110, v47, v18
	s_waitcnt vmcnt(23)
	v_lshlrev_b32_e32 v18, 16, v122
	s_cmp_lt_i32 s9, s10
	s_waitcnt lgkmcnt(0)
	v_fmac_f32_e32 v110, v54, v18
	global_load_ushort v54, v[90:91], off
	global_load_ushort v40, v[70:71], off
	;; [unrolled: 1-line block ×8, first 2 shown]
	v_lshl_add_u64 v[100:101], s[12:13], 1, v[0:1]
	s_cselect_b32 s12, s9, s11
	s_ashr_i32 s13, s12, 31
	s_add_i32 s9, s0, 0xfffffb00
	s_cmp_lt_i32 s9, s10
	s_waitcnt vmcnt(30)
	v_lshlrev_b32_e32 v18, 16, v58
	v_lshl_add_u64 v[42:43], s[12:13], 1, v[0:1]
	s_cselect_b32 s12, s9, s11
	v_fmac_f32_e32 v110, v55, v18
	s_waitcnt vmcnt(29)
	v_lshlrev_b32_e32 v18, 16, v59
	s_ashr_i32 s13, s12, 31
	s_add_i32 s9, s0, 0xfffffb80
	v_fmac_f32_e32 v110, v56, v18
	s_waitcnt vmcnt(28)
	v_lshlrev_b32_e32 v18, 16, v60
	s_cmp_lt_i32 s9, s10
	v_fmac_f32_e32 v110, v57, v18
	ds_read_b128 v[18:21], v124 offset:64
	ds_read_b128 v[28:31], v124 offset:80
	v_lshl_add_u64 v[108:109], s[12:13], 1, v[0:1]
	s_cselect_b32 s12, s9, s11
	s_ashr_i32 s13, s12, 31
	s_add_i32 s9, s0, 0xfffffc00
	s_cmp_lt_i32 s9, s10
	v_lshl_add_u64 v[4:5], s[12:13], 1, v[0:1]
	s_cselect_b32 s12, s9, s11
	s_waitcnt vmcnt(27)
	v_lshlrev_b32_e32 v52, 16, v61
	s_ashr_i32 s13, s12, 31
	s_add_i32 s9, s0, 0xfffffc80
	s_waitcnt lgkmcnt(1)
	v_fmac_f32_e32 v110, v18, v52
	global_load_ushort v52, v[92:93], off
	s_cmp_lt_i32 s9, s10
	global_load_ushort v55, v[94:95], off
	global_load_ushort v56, v[96:97], off
	;; [unrolled: 1-line block ×5, first 2 shown]
	v_lshl_add_u64 v[6:7], s[12:13], 1, v[0:1]
	s_cselect_b32 s12, s9, s11
	s_ashr_i32 s13, s12, 31
	s_add_i32 s9, s0, 0xfffffd00
	s_waitcnt vmcnt(32)
	v_lshlrev_b32_e32 v18, 16, v62
	s_cmp_lt_i32 s9, s10
	v_fmac_f32_e32 v110, v19, v18
	s_waitcnt vmcnt(28)
	v_lshlrev_b32_e32 v18, 16, v63
	v_lshl_add_u64 v[8:9], s[12:13], 1, v[0:1]
	s_cselect_b32 s12, s9, s11
	v_fmac_f32_e32 v110, v20, v18
	v_lshlrev_b32_e32 v18, 16, v66
	s_ashr_i32 s13, s12, 31
	s_add_i32 s9, s0, 0xfffffd80
	v_fmac_f32_e32 v110, v21, v18
	s_waitcnt vmcnt(27)
	v_lshlrev_b32_e32 v18, 16, v67
	s_cmp_lt_i32 s9, s10
	s_waitcnt lgkmcnt(0)
	v_fmac_f32_e32 v110, v28, v18
	global_load_ushort v28, v[106:107], off
	v_lshl_add_u64 v[12:13], s[12:13], 1, v[0:1]
	s_cselect_b32 s12, s9, s11
	global_load_ushort v60, v[100:101], off
	global_load_ushort v61, v[42:43], off
	global_load_ushort v62, v[108:109], off
	s_ashr_i32 s13, s12, 31
	s_add_i32 s9, s0, 0xfffffe00
	v_lshlrev_b32_e32 v18, 16, v123
	s_cmp_lt_i32 s9, s10
	v_fmac_f32_e32 v110, v29, v18
	v_lshlrev_b32_e32 v18, 16, v125
	v_lshl_add_u64 v[10:11], s[12:13], 1, v[0:1]
	s_cselect_b32 s12, s9, s11
	v_fmac_f32_e32 v110, v30, v18
	global_load_ushort v29, v[4:5], off
	global_load_ushort v30, v[6:7], off
	s_ashr_i32 s13, s12, 31
	s_add_i32 s9, s0, 0xfffffe80
	s_cmp_lt_i32 s9, s10
	s_waitcnt vmcnt(32)
	v_lshlrev_b32_e32 v4, 16, v48
	v_lshl_add_u64 v[22:23], s[12:13], 1, v[0:1]
	s_cselect_b32 s12, s9, s11
	v_fmac_f32_e32 v110, v31, v4
	ds_read_b128 v[4:7], v124 offset:96
	s_ashr_i32 s13, s12, 31
	s_add_i32 s9, s0, 0xffffff00
	s_cmp_lt_i32 s9, s10
	s_waitcnt vmcnt(31)
	v_lshlrev_b32_e32 v31, 16, v36
	global_load_ushort v36, v[8:9], off
	global_load_ushort v42, v[12:13], off
	v_lshl_add_u64 v[14:15], s[12:13], 1, v[0:1]
	s_cselect_b32 s12, s9, s11
	s_ashr_i32 s13, s12, 31
	s_add_i32 s9, s0, 0xffffff80
	s_cmp_lt_i32 s9, s10
	ds_read_b128 v[18:21], v124 offset:112
	s_waitcnt lgkmcnt(1)
	v_fmac_f32_e32 v110, v4, v31
	s_waitcnt vmcnt(31)
	v_lshlrev_b32_e32 v4, 16, v37
	global_load_ushort v31, v[10:11], off
	global_load_ushort v37, v[22:23], off
	v_lshl_add_u64 v[24:25], s[12:13], 1, v[0:1]
	s_cselect_b32 s12, s9, s11
	s_ashr_i32 s13, s12, 31
	s_cmp_lt_i32 s0, s10
	global_load_ushort v22, v[14:15], off
	global_load_ushort v23, v[24:25], off
	v_lshl_add_u64 v[16:17], s[12:13], 1, v[0:1]
	s_cselect_b32 s12, s0, s11
	s_ashr_i32 s13, s12, 31
	v_lshl_add_u64 v[26:27], s[12:13], 1, v[0:1]
	global_load_ushort v14, v[16:17], off
	global_load_ushort v15, v[26:27], off
	v_fmac_f32_e32 v110, v5, v4
	s_waitcnt vmcnt(36)
	v_lshlrev_b32_e32 v3, 16, v3
	v_fmac_f32_e32 v110, v6, v3
	s_waitcnt vmcnt(35)
	v_lshlrev_b32_e32 v3, 16, v32
	;; [unrolled: 3-line block ×3, first 2 shown]
	ds_read_b128 v[4:7], v124 offset:128
	ds_read_b128 v[8:11], v124 offset:144
	s_waitcnt lgkmcnt(2)
	v_fmac_f32_e32 v110, v18, v3
	s_waitcnt vmcnt(33)
	v_lshlrev_b32_e32 v3, 16, v34
	v_fmac_f32_e32 v110, v19, v3
	s_waitcnt vmcnt(32)
	v_lshlrev_b32_e32 v3, 16, v35
	;; [unrolled: 3-line block ×4, first 2 shown]
	s_waitcnt lgkmcnt(1)
	v_fmac_f32_e32 v110, v4, v3
	s_waitcnt vmcnt(26)
	v_lshlrev_b32_e32 v3, 16, v40
	v_fmac_f32_e32 v110, v5, v3
	s_waitcnt vmcnt(25)
	v_lshlrev_b32_e32 v3, 16, v41
	v_fmac_f32_e32 v110, v6, v3
	v_lshlrev_b32_e32 v3, 16, v44
	v_fmac_f32_e32 v110, v7, v3
	s_waitcnt vmcnt(24)
	v_lshlrev_b32_e32 v3, 16, v45
	ds_read_b128 v[4:7], v124 offset:160
	s_waitcnt lgkmcnt(1)
	v_fmac_f32_e32 v110, v8, v3
	v_lshlrev_b32_e32 v3, 16, v46
	v_fmac_f32_e32 v110, v9, v3
	s_waitcnt vmcnt(23)
	v_lshlrev_b32_e32 v3, 16, v47
	v_fmac_f32_e32 v110, v10, v3
	v_lshlrev_b32_e32 v3, 16, v49
	v_fmac_f32_e32 v110, v11, v3
	ds_read_b128 v[8:11], v124 offset:176
	s_waitcnt vmcnt(22)
	v_lshlrev_b32_e32 v3, 16, v50
	s_waitcnt lgkmcnt(1)
	v_fmac_f32_e32 v110, v4, v3
	s_waitcnt vmcnt(21)
	v_lshlrev_b32_e32 v3, 16, v51
	v_fmac_f32_e32 v110, v5, v3
	s_waitcnt vmcnt(20)
	v_lshlrev_b32_e32 v3, 16, v53
	v_fmac_f32_e32 v110, v6, v3
	v_lshlrev_b32_e32 v3, 16, v54
	v_fmac_f32_e32 v110, v7, v3
	s_waitcnt vmcnt(19)
	v_lshlrev_b32_e32 v3, 16, v52
	s_waitcnt lgkmcnt(0)
	v_fmac_f32_e32 v110, v8, v3
	s_waitcnt vmcnt(18)
	v_lshlrev_b32_e32 v3, 16, v55
	ds_read_b128 v[4:7], v124 offset:192
	v_fmac_f32_e32 v110, v9, v3
	s_waitcnt vmcnt(17)
	v_lshlrev_b32_e32 v3, 16, v56
	v_fmac_f32_e32 v110, v10, v3
	s_waitcnt vmcnt(16)
	v_lshlrev_b32_e32 v3, 16, v57
	v_fmac_f32_e32 v110, v11, v3
	ds_read_b128 v[8:11], v124 offset:208
	s_waitcnt vmcnt(15)
	v_lshlrev_b32_e32 v3, 16, v58
	s_waitcnt lgkmcnt(1)
	v_fmac_f32_e32 v110, v4, v3
	s_waitcnt vmcnt(14)
	v_lshlrev_b32_e32 v3, 16, v59
	v_fmac_f32_e32 v110, v5, v3
	s_waitcnt vmcnt(13)
	v_lshlrev_b32_e32 v3, 16, v28
	;; [unrolled: 3-line block ×3, first 2 shown]
	s_waitcnt vmcnt(10)
	v_lshlrev_b32_e32 v5, 16, v62
	v_lshlrev_b32_e32 v4, 16, v61
	v_fmac_f32_e32 v110, v7, v3
	s_waitcnt lgkmcnt(0)
	v_pk_mul_f32 v[4:5], v[8:9], v[4:5]
	s_waitcnt vmcnt(6)
	v_lshlrev_b32_e32 v13, 16, v42
	v_add_f32_e32 v3, v110, v4
	v_add_f32_e32 v3, v3, v5
	v_lshlrev_b32_e32 v5, 16, v30
	v_lshlrev_b32_e32 v4, 16, v29
	v_pk_mul_f32 v[8:9], v[10:11], v[4:5]
	ds_read_b128 v[4:7], v124 offset:224
	v_add_f32_e32 v3, v3, v8
	v_lshlrev_b32_e32 v12, 16, v36
	v_add_f32_e32 v3, v3, v9
	ds_read_b128 v[8:11], v124 offset:240
	s_waitcnt lgkmcnt(1)
	v_pk_mul_f32 v[4:5], v[4:5], v[12:13]
	s_nop 0
	v_add_f32_e32 v3, v3, v4
	v_add_f32_e32 v3, v3, v5
	s_waitcnt vmcnt(4)
	v_lshlrev_b32_e32 v5, 16, v37
	v_lshlrev_b32_e32 v4, 16, v31
	v_pk_mul_f32 v[4:5], v[6:7], v[4:5]
	s_nop 0
	v_add_f32_e32 v3, v3, v4
	v_add_f32_e32 v3, v3, v5
	s_waitcnt vmcnt(2)
	v_lshlrev_b32_e32 v5, 16, v23
	v_lshlrev_b32_e32 v4, 16, v22
	s_waitcnt lgkmcnt(0)
	v_pk_mul_f32 v[4:5], v[8:9], v[4:5]
	s_nop 0
	v_add_f32_e32 v3, v3, v4
	v_add_f32_e32 v3, v3, v5
	s_waitcnt vmcnt(1)
	v_lshlrev_b32_e32 v4, 16, v14
	s_waitcnt vmcnt(0)
	v_lshlrev_b32_e32 v5, 16, v15
	v_pk_mul_f32 v[4:5], v[10:11], v[4:5]
	s_nop 0
	v_add_f32_e32 v3, v3, v4
	v_add_f32_e32 v110, v3, v5
	s_branch .LBB654_16
.LBB654_19:
	v_mov_b32_e32 v0, 0
	ds_read_b32 v0, v0 offset:1792
	s_cmp_lg_u64 s[6:7], 0
	s_cbranch_scc0 .LBB654_28
; %bb.20:
	s_load_dword s6, s[6:7], 0x0
	s_waitcnt lgkmcnt(0)
	v_div_scale_f32 v1, s[0:1], s6, s6, 1.0
	v_rcp_f32_e32 v3, v1
	v_div_scale_f32 v4, vcc, 1.0, s6, 1.0
	v_fma_f32 v5, -v1, v3, 1.0
	v_fmac_f32_e32 v3, v5, v3
	v_mul_f32_e32 v5, v4, v3
	v_fma_f32 v6, -v1, v5, v4
	v_fmac_f32_e32 v5, v6, v3
	v_fma_f32 v1, -v1, v5, v4
	v_div_fmas_f32 v1, v1, v3, v5
	v_div_fixup_f32 v1, v1, s6, 1.0
	s_andn2_b64 vcc, exec, s[28:29]
	s_cbranch_vccnz .LBB654_22
.LBB654_21:
	s_add_u32 s0, s26, s30
	s_addc_u32 s1, s27, s31
	s_load_dword s24, s[0:1], 0x0
	s_mov_b32 s25, 0
.LBB654_22:
	s_waitcnt lgkmcnt(0)
	v_add_f32_e32 v0, 0x358637bd, v0
	v_div_scale_f32 v3, s[0:1], v0, v0, 1.0
	v_rcp_f32_e32 v4, v3
	v_div_scale_f32 v5, vcc, 1.0, v0, 1.0
	s_mov_b32 s0, 0x7f800000
	v_fma_f32 v6, -v3, v4, 1.0
	v_fmac_f32_e32 v4, v6, v4
	v_mul_f32_e32 v6, v5, v4
	v_fma_f32 v7, -v3, v6, v5
	v_fmac_f32_e32 v6, v7, v4
	v_fma_f32 v3, -v3, v6, v5
	v_div_fmas_f32 v3, v3, v4, v6
	v_div_fixup_f32 v0, v3, v0, 1.0
	v_mul_f32_e32 v0, v110, v0
	v_mul_f32_e32 v1, v0, v1
	v_and_b32_e32 v0, 0x7f800000, v1
	v_cmp_ne_u32_e32 vcc, s0, v0
                                        ; implicit-def: $vgpr0
	s_and_saveexec_b64 s[0:1], vcc
	s_xor_b64 s[0:1], exec, s[0:1]
; %bb.23:
	v_bfe_u32 v0, v1, 16, 1
	s_movk_i32 s6, 0x7fff
	v_add3_u32 v0, v1, v0, s6
                                        ; implicit-def: $vgpr1
; %bb.24:
	s_andn2_saveexec_b64 s[0:1], s[0:1]
; %bb.25:
	v_mov_b32_e32 v0, 0
	v_or_b32_e32 v3, 0x10000, v1
	v_cmp_eq_u32_sdwa vcc, v1, v0 src0_sel:WORD_0 src1_sel:DWORD
	s_nop 1
	v_cndmask_b32_e32 v0, v3, v1, vcc
; %bb.26:
	s_or_b64 exec, exec, s[0:1]
	s_mul_i32 s0, s3, s25
	s_mul_hi_u32 s1, s3, s24
	s_add_i32 s1, s1, s0
	s_mul_i32 s0, s3, s24
	s_lshl_b64 s[0:1], s[0:1], 8
	s_add_u32 s4, s4, s0
	s_mov_b32 s3, 0
	s_addc_u32 s5, s5, s1
	s_lshl_b64 s[0:1], s[2:3], 8
	s_add_u32 s0, s4, s0
	s_addc_u32 s1, s5, s1
	global_store_short_d16_hi v2, v0, s[0:1]
	s_endpgm
.LBB654_27:
	s_mov_b64 s[6:7], 0
	s_branch .LBB654_2
.LBB654_28:
	v_mov_b32_e32 v1, 1.0
	s_andn2_b64 vcc, exec, s[28:29]
	s_cbranch_vccz .LBB654_21
	s_branch .LBB654_22
	.section	.rodata,"a",@progbits
	.p2align	6, 0x0
	.amdhsa_kernel _Z35paged_attention_ll4mi_reduce_kernelI14__hip_bfloat16S0_Li128ELi128ELi256ELi7EEvPT0_PKfS4_PKT_PKiS9_iS4_
		.amdhsa_group_segment_fixed_size 1796
		.amdhsa_private_segment_fixed_size 0
		.amdhsa_kernarg_size 320
		.amdhsa_user_sgpr_count 2
		.amdhsa_user_sgpr_dispatch_ptr 0
		.amdhsa_user_sgpr_queue_ptr 0
		.amdhsa_user_sgpr_kernarg_segment_ptr 1
		.amdhsa_user_sgpr_dispatch_id 0
		.amdhsa_user_sgpr_kernarg_preload_length 0
		.amdhsa_user_sgpr_kernarg_preload_offset 0
		.amdhsa_user_sgpr_private_segment_size 0
		.amdhsa_uses_dynamic_stack 0
		.amdhsa_enable_private_segment 0
		.amdhsa_system_sgpr_workgroup_id_x 1
		.amdhsa_system_sgpr_workgroup_id_y 1
		.amdhsa_system_sgpr_workgroup_id_z 0
		.amdhsa_system_sgpr_workgroup_info 0
		.amdhsa_system_vgpr_workitem_id 0
		.amdhsa_next_free_vgpr 126
		.amdhsa_next_free_sgpr 44
		.amdhsa_accum_offset 128
		.amdhsa_reserve_vcc 1
		.amdhsa_float_round_mode_32 0
		.amdhsa_float_round_mode_16_64 0
		.amdhsa_float_denorm_mode_32 3
		.amdhsa_float_denorm_mode_16_64 3
		.amdhsa_dx10_clamp 1
		.amdhsa_ieee_mode 1
		.amdhsa_fp16_overflow 0
		.amdhsa_tg_split 0
		.amdhsa_exception_fp_ieee_invalid_op 0
		.amdhsa_exception_fp_denorm_src 0
		.amdhsa_exception_fp_ieee_div_zero 0
		.amdhsa_exception_fp_ieee_overflow 0
		.amdhsa_exception_fp_ieee_underflow 0
		.amdhsa_exception_fp_ieee_inexact 0
		.amdhsa_exception_int_div_zero 0
	.end_amdhsa_kernel
	.section	.text._Z35paged_attention_ll4mi_reduce_kernelI14__hip_bfloat16S0_Li128ELi128ELi256ELi7EEvPT0_PKfS4_PKT_PKiS9_iS4_,"axG",@progbits,_Z35paged_attention_ll4mi_reduce_kernelI14__hip_bfloat16S0_Li128ELi128ELi256ELi7EEvPT0_PKfS4_PKT_PKiS9_iS4_,comdat
.Lfunc_end654:
	.size	_Z35paged_attention_ll4mi_reduce_kernelI14__hip_bfloat16S0_Li128ELi128ELi256ELi7EEvPT0_PKfS4_PKT_PKiS9_iS4_, .Lfunc_end654-_Z35paged_attention_ll4mi_reduce_kernelI14__hip_bfloat16S0_Li128ELi128ELi256ELi7EEvPT0_PKfS4_PKT_PKiS9_iS4_
                                        ; -- End function
	.section	.AMDGPU.csdata,"",@progbits
; Kernel info:
; codeLenInByte = 9236
; NumSgprs: 50
; NumVgprs: 126
; NumAgprs: 0
; TotalNumVgprs: 126
; ScratchSize: 0
; MemoryBound: 0
; FloatMode: 240
; IeeeMode: 1
; LDSByteSize: 1796 bytes/workgroup (compile time only)
; SGPRBlocks: 6
; VGPRBlocks: 15
; NumSGPRsForWavesPerEU: 50
; NumVGPRsForWavesPerEU: 126
; AccumOffset: 128
; Occupancy: 4
; WaveLimiterHint : 1
; COMPUTE_PGM_RSRC2:SCRATCH_EN: 0
; COMPUTE_PGM_RSRC2:USER_SGPR: 2
; COMPUTE_PGM_RSRC2:TRAP_HANDLER: 0
; COMPUTE_PGM_RSRC2:TGID_X_EN: 1
; COMPUTE_PGM_RSRC2:TGID_Y_EN: 1
; COMPUTE_PGM_RSRC2:TGID_Z_EN: 0
; COMPUTE_PGM_RSRC2:TIDIG_COMP_CNT: 0
; COMPUTE_PGM_RSRC3_GFX90A:ACCUM_OFFSET: 31
; COMPUTE_PGM_RSRC3_GFX90A:TG_SPLIT: 0
	.section	.text._Z35paged_attention_ll4mi_reduce_kernelI14__hip_bfloat16S0_Li128ELi128ELi256ELi8EEvPT0_PKfS4_PKT_PKiS9_iS4_,"axG",@progbits,_Z35paged_attention_ll4mi_reduce_kernelI14__hip_bfloat16S0_Li128ELi128ELi256ELi8EEvPT0_PKfS4_PKT_PKiS9_iS4_,comdat
	.protected	_Z35paged_attention_ll4mi_reduce_kernelI14__hip_bfloat16S0_Li128ELi128ELi256ELi8EEvPT0_PKfS4_PKT_PKiS9_iS4_ ; -- Begin function _Z35paged_attention_ll4mi_reduce_kernelI14__hip_bfloat16S0_Li128ELi128ELi256ELi8EEvPT0_PKfS4_PKT_PKiS9_iS4_
	.globl	_Z35paged_attention_ll4mi_reduce_kernelI14__hip_bfloat16S0_Li128ELi128ELi256ELi8EEvPT0_PKfS4_PKT_PKiS9_iS4_
	.p2align	8
	.type	_Z35paged_attention_ll4mi_reduce_kernelI14__hip_bfloat16S0_Li128ELi128ELi256ELi8EEvPT0_PKfS4_PKT_PKiS9_iS4_,@function
_Z35paged_attention_ll4mi_reduce_kernelI14__hip_bfloat16S0_Li128ELi128ELi256ELi8EEvPT0_PKfS4_PKT_PKiS9_iS4_: ; @_Z35paged_attention_ll4mi_reduce_kernelI14__hip_bfloat16S0_Li128ELi128ELi256ELi8EEvPT0_PKfS4_PKT_PKiS9_iS4_
; %bb.0:
	s_load_dwordx2 s[30:31], s[0:1], 0x28
	s_mov_b32 s28, s3
	s_mov_b64 s[4:5], 0
	s_waitcnt lgkmcnt(0)
	s_cmp_lg_u64 s[30:31], 0
	s_cselect_b64 s[34:35], -1, 0
	s_and_b64 vcc, exec, s[34:35]
	s_cbranch_vccz .LBB655_27
; %bb.1:
	s_add_i32 s6, s28, 1
	s_mov_b32 s7, 0
	s_lshl_b64 s[8:9], s[6:7], 2
	s_add_u32 s8, s30, s8
	s_mov_b32 s29, s7
	s_addc_u32 s9, s31, s9
	s_lshl_b64 s[6:7], s[28:29], 2
	s_add_u32 s6, s30, s6
	s_addc_u32 s7, s31, s7
	s_load_dword s3, s[8:9], 0x0
	s_load_dword s10, s[6:7], 0x0
	s_waitcnt lgkmcnt(0)
	s_sub_i32 s3, s3, s10
	s_cmp_eq_u32 s3, 1
	s_cselect_b64 s[6:7], -1, 0
	s_andn2_b64 vcc, exec, s[4:5]
	s_cbranch_vccnz .LBB655_3
.LBB655_2:
	s_mov_b32 s29, 0
	s_mov_b64 s[6:7], -1
.LBB655_3:
	s_andn2_b64 vcc, exec, s[6:7]
	s_cbranch_vccz .LBB655_5
; %bb.4:
	s_endpgm
.LBB655_5:
	s_load_dwordx4 s[20:23], s[0:1], 0x18
	s_load_dword s8, s[0:1], 0x30
	s_lshl_b64 s[36:37], s[28:29], 2
	v_cmp_lt_u32_e32 vcc, 63, v0
	s_waitcnt lgkmcnt(0)
	s_add_u32 s4, s22, s36
	s_addc_u32 s5, s23, s37
	s_load_dword s44, s[4:5], 0x0
	s_load_dword s3, s[0:1], 0x40
	s_mul_i32 s22, s2, s8
	s_mul_i32 s6, s28, s8
	s_waitcnt lgkmcnt(0)
	s_add_i32 s7, s44, 0xff
	s_ashr_i32 s4, s7, 31
	s_lshr_b32 s4, s4, 24
	s_add_i32 s7, s7, s4
	s_and_saveexec_b64 s[4:5], vcc
	s_xor_b64 s[4:5], exec, s[4:5]
	s_or_saveexec_b64 s[38:39], s[4:5]
	s_ashr_i32 s33, s7, 8
	v_mov_b32_e32 v1, s22
	s_mul_i32 s40, s6, s3
	s_xor_b64 exec, exec, s[38:39]
	s_cbranch_execz .LBB655_9
; %bb.6:
	s_add_i32 s4, s33, -1
	v_or_b32_e32 v3, 64, v0
	v_mov_b32_e32 v1, s4
	v_cmp_gt_u32_e64 s[14:15], s33, v3
	s_load_dwordx4 s[24:27], s[0:1], 0x8
	s_mov_b32 s41, 0
	v_cndmask_b32_e64 v4, v1, v3, s[14:15]
	v_or_b32_e32 v3, 0x80, v0
	v_cmp_gt_u32_e64 s[12:13], s33, v3
	s_lshl_b64 s[42:43], s[40:41], 2
	s_mov_b32 s23, s41
	v_cndmask_b32_e64 v6, v1, v3, s[12:13]
	v_or_b32_e32 v3, 0xc0, v0
	v_cmp_gt_u32_e64 s[10:11], s33, v3
	v_cmp_gt_u32_e64 s[16:17], s33, v0
	s_waitcnt lgkmcnt(0)
	s_add_u32 s18, s26, s42
	v_cndmask_b32_e64 v8, v1, v3, s[10:11]
	v_or_b32_e32 v3, 0x100, v0
	v_cmp_gt_u32_e64 s[8:9], s33, v3
	v_cndmask_b32_e64 v2, v1, v0, s[16:17]
	s_addc_u32 s19, s27, s43
	v_cndmask_b32_e64 v10, v1, v3, s[8:9]
	v_or_b32_e32 v3, 0x140, v0
	v_cmp_gt_u32_e64 s[6:7], s33, v3
	s_lshl_b64 s[26:27], s[22:23], 2
	s_add_u32 s18, s18, s26
	v_cndmask_b32_e64 v12, v1, v3, s[6:7]
	v_or_b32_e32 v3, 0x180, v0
	v_cmp_gt_u32_e64 s[4:5], s33, v3
	s_addc_u32 s19, s19, s27
	v_ashrrev_i32_e32 v5, 31, v4
	v_cndmask_b32_e64 v14, v1, v3, s[4:5]
	v_or_b32_e32 v3, 0x1c0, v0
	v_cmp_gt_u32_e32 vcc, s33, v3
	v_ashrrev_i32_e32 v7, 31, v6
	v_ashrrev_i32_e32 v9, 31, v8
	v_cndmask_b32_e32 v16, v1, v3, vcc
	v_ashrrev_i32_e32 v3, 31, v2
	v_lshlrev_b64 v[2:3], 2, v[2:3]
	v_ashrrev_i32_e32 v11, 31, v10
	v_ashrrev_i32_e32 v13, 31, v12
	;; [unrolled: 1-line block ×4, first 2 shown]
	v_lshl_add_u64 v[18:19], s[18:19], 0, v[2:3]
	v_lshlrev_b64 v[4:5], 2, v[4:5]
	v_lshlrev_b64 v[6:7], 2, v[6:7]
	;; [unrolled: 1-line block ×7, first 2 shown]
	v_lshl_add_u64 v[20:21], s[18:19], 0, v[4:5]
	v_lshl_add_u64 v[22:23], s[18:19], 0, v[6:7]
	;; [unrolled: 1-line block ×7, first 2 shown]
	global_load_dword v1, v[18:19], off
	global_load_dword v34, v[20:21], off
	;; [unrolled: 1-line block ×8, first 2 shown]
	v_mbcnt_lo_u32_b32 v18, -1, 0
	v_mbcnt_hi_u32_b32 v18, -1, v18
	v_and_b32_e32 v19, 64, v18
	v_xor_b32_e32 v20, 32, v18
	v_add_u32_e32 v19, 64, v19
	v_cmp_lt_i32_e64 s[18:19], v20, v19
	v_xor_b32_e32 v21, 16, v18
	v_xor_b32_e32 v22, 8, v18
	v_cndmask_b32_e64 v20, v18, v20, s[18:19]
	s_add_u32 s18, s24, s42
	s_addc_u32 s19, s25, s43
	s_add_u32 s24, s18, s26
	s_addc_u32 s25, s19, s27
	v_lshl_add_u64 v[2:3], s[24:25], 0, v[2:3]
	global_load_dword v24, v[2:3], off
	v_lshlrev_b32_e32 v20, 2, v20
	v_cmp_lt_i32_e64 s[18:19], v21, v19
	v_xor_b32_e32 v23, 4, v18
	v_xor_b32_e32 v25, 2, v18
	v_cndmask_b32_e64 v21, v18, v21, s[18:19]
	v_lshlrev_b32_e32 v21, 2, v21
	v_cmp_lt_i32_e64 s[18:19], v22, v19
	s_mov_b32 s23, 0x3fb8aa3b
	s_waitcnt vmcnt(8)
	v_max_f32_e32 v3, v1, v1
	s_waitcnt vmcnt(7)
	v_max_f32_e32 v2, v34, v34
	v_max_f32_e32 v2, v3, v2
	s_waitcnt vmcnt(5)
	v_max3_f32 v2, v2, v35, v36
	s_waitcnt vmcnt(3)
	v_max3_f32 v2, v2, v37, v38
	;; [unrolled: 2-line block ×3, first 2 shown]
	ds_bpermute_b32 v3, v20, v2
	s_waitcnt lgkmcnt(0)
	v_max_f32_e32 v3, v3, v3
	v_max_f32_e32 v26, v2, v3
	ds_bpermute_b32 v27, v21, v26
	v_cndmask_b32_e64 v2, v18, v22, s[18:19]
	v_lshlrev_b32_e32 v22, 2, v2
	v_lshl_add_u64 v[2:3], s[24:25], 0, v[4:5]
	global_load_dword v28, v[2:3], off
	s_waitcnt lgkmcnt(0)
	v_max_f32_e32 v2, v27, v27
	v_max_f32_e32 v2, v26, v2
	ds_bpermute_b32 v3, v22, v2
	v_cmp_lt_i32_e64 s[18:19], v23, v19
	v_xor_b32_e32 v4, 1, v18
	s_waitcnt lgkmcnt(0)
	v_max_f32_e32 v3, v3, v3
	v_cndmask_b32_e64 v5, v18, v23, s[18:19]
	v_lshlrev_b32_e32 v23, 2, v5
	v_max_f32_e32 v5, v2, v3
	ds_bpermute_b32 v26, v23, v5
	v_cmp_lt_i32_e64 s[18:19], v25, v19
	s_nop 1
	v_cndmask_b32_e64 v2, v18, v25, s[18:19]
	v_lshlrev_b32_e32 v25, 2, v2
	v_lshl_add_u64 v[2:3], s[24:25], 0, v[6:7]
	global_load_dword v27, v[2:3], off
	s_waitcnt lgkmcnt(0)
	v_max_f32_e32 v2, v26, v26
	v_max_f32_e32 v5, v5, v2
	ds_bpermute_b32 v6, v25, v5
	v_cmp_lt_i32_e64 s[18:19], v4, v19
	s_nop 1
	v_cndmask_b32_e64 v2, v18, v4, s[18:19]
	s_waitcnt lgkmcnt(0)
	v_max_f32_e32 v4, v6, v6
	v_lshlrev_b32_e32 v18, 2, v2
	v_lshl_add_u64 v[2:3], s[24:25], 0, v[8:9]
	v_max_f32_e32 v19, v5, v4
	ds_bpermute_b32 v26, v18, v19
	global_load_dword v2, v[2:3], off
	v_lshl_add_u64 v[6:7], s[24:25], 0, v[12:13]
	v_lshl_add_u64 v[8:9], s[24:25], 0, v[14:15]
	;; [unrolled: 1-line block ×3, first 2 shown]
	s_waitcnt lgkmcnt(0)
	v_max_f32_e32 v12, v26, v26
	v_max_f32_e32 v12, v19, v12
	v_sub_f32_e32 v1, v1, v12
	v_mul_f32_e32 v3, 0x3fb8aa3b, v1
	v_fma_f32 v13, v1, s23, -v3
	v_rndne_f32_e32 v14, v3
	v_fmac_f32_e32 v13, 0x32a5705f, v1
	v_sub_f32_e32 v3, v3, v14
	v_lshl_add_u64 v[10:11], s[24:25], 0, v[16:17]
	v_add_f32_e32 v3, v3, v13
	v_cvt_i32_f32_e32 v13, v14
	global_load_dword v14, v[4:5], off
	global_load_dword v15, v[6:7], off
	;; [unrolled: 1-line block ×4, first 2 shown]
	v_sub_f32_e32 v5, v34, v12
	v_mul_f32_e32 v6, 0x3fb8aa3b, v5
	v_fma_f32 v7, v5, s23, -v6
	v_rndne_f32_e32 v8, v6
	v_exp_f32_e32 v3, v3
	v_fmac_f32_e32 v7, 0x32a5705f, v5
	v_sub_f32_e32 v6, v6, v8
	v_add_f32_e32 v6, v6, v7
	v_exp_f32_e32 v6, v6
	v_cvt_i32_f32_e32 v7, v8
	s_mov_b32 s24, 0xc2ce8ed0
	v_ldexp_f32 v3, v3, v13
	v_cmp_ngt_f32_e64 s[18:19], s24, v1
	s_mov_b32 s25, 0x42b17218
	v_mov_b32_e32 v4, 0x7f800000
	v_cndmask_b32_e64 v3, 0, v3, s[18:19]
	v_cmp_nlt_f32_e64 s[18:19], s25, v1
	s_nop 1
	v_cndmask_b32_e64 v1, v4, v3, s[18:19]
	v_ldexp_f32 v3, v6, v7
	v_sub_f32_e32 v6, v35, v12
	v_mul_f32_e32 v7, 0x3fb8aa3b, v6
	v_fma_f32 v8, v6, s23, -v7
	v_rndne_f32_e32 v9, v7
	v_fmac_f32_e32 v8, 0x32a5705f, v6
	v_sub_f32_e32 v7, v7, v9
	v_add_f32_e32 v7, v7, v8
	v_exp_f32_e32 v7, v7
	v_cvt_i32_f32_e32 v8, v9
	v_cndmask_b32_e64 v1, 0, v1, s[16:17]
	v_cmp_ngt_f32_e64 s[16:17], s24, v5
	s_waitcnt vmcnt(7)
	v_mul_f32_e32 v1, v24, v1
	v_cndmask_b32_e64 v3, 0, v3, s[16:17]
	v_cmp_nlt_f32_e64 s[16:17], s25, v5
	v_ldexp_f32 v5, v7, v8
	v_sub_f32_e32 v7, v36, v12
	v_mul_f32_e32 v8, 0x3fb8aa3b, v7
	v_fma_f32 v9, v7, s23, -v8
	v_rndne_f32_e32 v10, v8
	v_fmac_f32_e32 v9, 0x32a5705f, v7
	v_sub_f32_e32 v8, v8, v10
	v_add_f32_e32 v8, v8, v9
	v_exp_f32_e32 v8, v8
	v_cvt_i32_f32_e32 v9, v10
	v_cndmask_b32_e64 v3, v4, v3, s[16:17]
	v_cndmask_b32_e64 v3, 0, v3, s[14:15]
	v_cmp_ngt_f32_e64 s[14:15], s24, v6
	s_waitcnt vmcnt(6)
	v_mul_f32_e32 v3, v28, v3
	v_cndmask_b32_e64 v5, 0, v5, s[14:15]
	v_cmp_nlt_f32_e64 s[14:15], s25, v6
	v_ldexp_f32 v6, v8, v9
	v_sub_f32_e32 v8, v37, v12
	v_mul_f32_e32 v9, 0x3fb8aa3b, v8
	v_fma_f32 v10, v8, s23, -v9
	v_rndne_f32_e32 v11, v9
	v_fmac_f32_e32 v10, 0x32a5705f, v8
	v_sub_f32_e32 v9, v9, v11
	v_cndmask_b32_e64 v5, v4, v5, s[14:15]
	v_add_f32_e32 v9, v9, v10
	v_cndmask_b32_e64 v5, 0, v5, s[12:13]
	v_cmp_ngt_f32_e64 s[12:13], s24, v7
	v_exp_f32_e32 v9, v9
	v_cvt_i32_f32_e32 v10, v11
	v_cndmask_b32_e64 v6, 0, v6, s[12:13]
	v_cmp_nlt_f32_e64 s[12:13], s25, v7
	v_sub_f32_e32 v7, v38, v12
	s_waitcnt vmcnt(5)
	v_mul_f32_e32 v5, v27, v5
	v_cndmask_b32_e64 v6, v4, v6, s[12:13]
	v_cndmask_b32_e64 v6, 0, v6, s[10:11]
	s_waitcnt vmcnt(4)
	v_mul_f32_e32 v6, v2, v6
	v_ldexp_f32 v2, v9, v10
	v_mul_f32_e32 v9, 0x3fb8aa3b, v7
	v_fma_f32 v10, v7, s23, -v9
	v_rndne_f32_e32 v11, v9
	v_fmac_f32_e32 v10, 0x32a5705f, v7
	v_sub_f32_e32 v9, v9, v11
	v_add_f32_e32 v9, v9, v10
	v_cmp_ngt_f32_e64 s[10:11], s24, v8
	v_exp_f32_e32 v9, v9
	v_cvt_i32_f32_e32 v10, v11
	v_cndmask_b32_e64 v2, 0, v2, s[10:11]
	v_cmp_nlt_f32_e64 s[10:11], s25, v8
	s_nop 1
	v_cndmask_b32_e64 v2, v4, v2, s[10:11]
	v_cndmask_b32_e64 v2, 0, v2, s[8:9]
	s_waitcnt vmcnt(3)
	v_mul_f32_e32 v8, v14, v2
	v_ldexp_f32 v2, v9, v10
	v_sub_f32_e32 v9, v39, v12
	v_mul_f32_e32 v10, 0x3fb8aa3b, v9
	v_fma_f32 v11, v9, s23, -v10
	v_rndne_f32_e32 v13, v10
	v_fmac_f32_e32 v11, 0x32a5705f, v9
	v_sub_f32_e32 v10, v10, v13
	v_add_f32_e32 v10, v10, v11
	v_cmp_ngt_f32_e64 s[8:9], s24, v7
	v_exp_f32_e32 v10, v10
	v_cvt_i32_f32_e32 v11, v13
	v_cndmask_b32_e64 v2, 0, v2, s[8:9]
	v_cmp_nlt_f32_e64 s[8:9], s25, v7
	s_nop 1
	v_cndmask_b32_e64 v2, v4, v2, s[8:9]
	v_cndmask_b32_e64 v2, 0, v2, s[6:7]
	s_waitcnt vmcnt(2)
	v_mul_f32_e32 v7, v15, v2
	v_ldexp_f32 v2, v10, v11
	v_sub_f32_e32 v10, v40, v12
	v_mul_f32_e32 v11, 0x3fb8aa3b, v10
	v_fma_f32 v12, v10, s23, -v11
	v_rndne_f32_e32 v13, v11
	v_fmac_f32_e32 v12, 0x32a5705f, v10
	v_sub_f32_e32 v11, v11, v13
	v_add_f32_e32 v11, v11, v12
	v_exp_f32_e32 v11, v11
	v_cvt_i32_f32_e32 v12, v13
	v_cmp_ngt_f32_e64 s[6:7], s24, v9
	s_nop 1
	v_cndmask_b32_e64 v2, 0, v2, s[6:7]
	v_cmp_nlt_f32_e64 s[6:7], s25, v9
	v_ldexp_f32 v9, v11, v12
	v_lshlrev_b32_e32 v12, 2, v0
	v_cndmask_b32_e64 v2, v4, v2, s[6:7]
	v_cndmask_b32_e64 v2, 0, v2, s[4:5]
	v_cmp_ngt_f32_e64 s[4:5], s24, v10
	ds_write2st64_b32 v12, v1, v3 offset1:1
	s_waitcnt vmcnt(1)
	v_mul_f32_e32 v11, v16, v2
	v_cndmask_b32_e64 v9, 0, v9, s[4:5]
	v_cmp_nlt_f32_e64 s[4:5], s25, v10
	s_nop 1
	v_cndmask_b32_e64 v4, v4, v9, s[4:5]
	v_add_f32_e32 v9, v1, v3
	v_add_f32_e32 v9, v9, v5
	;; [unrolled: 1-line block ×5, first 2 shown]
	v_cndmask_b32_e32 v4, 0, v4, vcc
	v_fmac_f32_e32 v9, v16, v2
	s_waitcnt vmcnt(0)
	v_fmac_f32_e32 v9, v17, v4
	ds_bpermute_b32 v10, v20, v9
	v_cmp_eq_u32_e32 vcc, 0, v0
	v_mul_f32_e32 v4, v17, v4
	ds_write2st64_b32 v12, v5, v6 offset0:2 offset1:3
	ds_write2st64_b32 v12, v8, v7 offset0:4 offset1:5
	;; [unrolled: 1-line block ×3, first 2 shown]
	s_waitcnt lgkmcnt(3)
	v_add_f32_e32 v9, v9, v10
	ds_bpermute_b32 v10, v21, v9
	s_waitcnt lgkmcnt(0)
	v_add_f32_e32 v9, v9, v10
	ds_bpermute_b32 v10, v22, v9
	s_waitcnt lgkmcnt(0)
	v_add_f32_e32 v9, v9, v10
	ds_bpermute_b32 v10, v23, v9
	s_waitcnt lgkmcnt(0)
	v_add_f32_e32 v9, v9, v10
	ds_bpermute_b32 v10, v25, v9
	s_waitcnt lgkmcnt(0)
	v_add_f32_e32 v1, v9, v10
	ds_bpermute_b32 v2, v18, v1
	s_and_saveexec_b64 s[4:5], vcc
	s_cbranch_execz .LBB655_8
; %bb.7:
	s_waitcnt lgkmcnt(0)
	v_add_f32_e32 v1, v1, v2
	v_mov_b32_e32 v2, 0
	ds_write_b32 v2, v1 offset:2048
.LBB655_8:
	s_or_b64 exec, exec, s[4:5]
	v_mov_b32_e32 v1, s22
.LBB655_9:
	s_or_b64 exec, exec, s[38:39]
	s_lshl_b32 s4, s40, 7
	s_mov_b32 s5, 0
	s_lshl_b64 s[4:5], s[4:5], 1
	s_add_u32 s4, s20, s4
	s_addc_u32 s5, s21, s5
	s_lshl_b32 s10, s33, 7
	s_add_i32 s11, s10, 0xffffff80
	s_waitcnt lgkmcnt(0)
	v_lshlrev_b32_e32 v2, 7, v1
	v_mov_b32_e32 v3, 0
	s_cmp_lt_i32 s44, 1
	v_lshl_add_u64 v[4:5], v[2:3], 1, s[4:5]
	s_cselect_b32 s4, s11, 0
	v_lshlrev_b32_e32 v2, 1, v0
	s_ashr_i32 s5, s4, 31
	v_lshl_add_u64 v[0:1], v[4:5], 0, v[2:3]
	s_cmpk_lt_i32 s44, 0x101
	v_lshl_add_u64 v[4:5], s[4:5], 1, v[0:1]
	s_cselect_b32 s4, s11, 0x80
	s_ashr_i32 s5, s4, 31
	s_cmpk_lt_i32 s44, 0x201
	v_lshl_add_u64 v[6:7], s[4:5], 1, v[0:1]
	s_cselect_b32 s4, s11, 0x100
	s_ashr_i32 s5, s4, 31
	;; [unrolled: 4-line block ×8, first 2 shown]
	s_cmpk_lt_i32 s44, 0x901
	global_load_ushort v23, v[4:5], off
	global_load_ushort v22, v[6:7], off
	;; [unrolled: 1-line block ×8, first 2 shown]
	v_lshl_add_u64 v[4:5], s[4:5], 1, v[0:1]
	s_cselect_b32 s4, s11, 0x480
	s_ashr_i32 s5, s4, 31
	s_cmpk_lt_i32 s44, 0xa01
	v_lshl_add_u64 v[6:7], s[4:5], 1, v[0:1]
	s_cselect_b32 s4, s11, 0x500
	s_ashr_i32 s5, s4, 31
	s_cmpk_lt_i32 s44, 0xb01
	v_lshl_add_u64 v[8:9], s[4:5], 1, v[0:1]
	s_cselect_b32 s4, s11, 0x580
	s_ashr_i32 s5, s4, 31
	s_cmpk_lt_i32 s44, 0xc01
	v_lshl_add_u64 v[10:11], s[4:5], 1, v[0:1]
	s_cselect_b32 s4, s11, 0x600
	s_ashr_i32 s5, s4, 31
	s_cmpk_lt_i32 s44, 0xd01
	v_lshl_add_u64 v[12:13], s[4:5], 1, v[0:1]
	s_cselect_b32 s4, s11, 0x680
	s_ashr_i32 s5, s4, 31
	s_cmpk_lt_i32 s44, 0xe01
	v_lshl_add_u64 v[14:15], s[4:5], 1, v[0:1]
	s_cselect_b32 s4, s11, 0x700
	s_ashr_i32 s5, s4, 31
	s_cmpk_lt_i32 s44, 0xf01
	v_lshl_add_u64 v[32:33], s[4:5], 1, v[0:1]
	s_cselect_b32 s4, s11, 0x780
	s_ashr_i32 s5, s4, 31
	v_lshl_add_u64 v[34:35], s[4:5], 1, v[0:1]
	global_load_ushort v30, v[4:5], off
	global_load_ushort v31, v[6:7], off
	;; [unrolled: 1-line block ×8, first 2 shown]
	s_cmpk_gt_i32 s44, 0x1000
	s_cselect_b64 s[8:9], -1, 0
	s_cmpk_lt_i32 s44, 0x1001
	v_mov_b32_e32 v40, 0
	v_mov_b32_e32 v41, 0
	;; [unrolled: 1-line block ×48, first 2 shown]
	s_barrier
	s_cbranch_scc1 .LBB655_12
; %bb.10:
	s_cmpk_lt_u32 s44, 0x1101
	s_cselect_b32 s4, s11, 0x880
	s_ashr_i32 s5, s4, 31
	s_cmpk_lt_u32 s44, 0x1201
	v_lshl_add_u64 v[6:7], s[4:5], 1, v[0:1]
	s_cselect_b32 s4, s11, 0x900
	s_ashr_i32 s5, s4, 31
	s_cmpk_lt_u32 s44, 0x1301
	v_lshl_add_u64 v[8:9], s[4:5], 1, v[0:1]
	;; [unrolled: 4-line block ×7, first 2 shown]
	s_cselect_b32 s4, s11, 0xc00
	v_add_co_u32_e32 v4, vcc, 0x1000, v0
	s_ashr_i32 s5, s4, 31
	s_nop 0
	v_addc_co_u32_e32 v5, vcc, 0, v1, vcc
	s_cmpk_lt_u32 s44, 0x1901
	global_load_ushort v39, v[4:5], off
	global_load_ushort v38, v[6:7], off
	;; [unrolled: 1-line block ×8, first 2 shown]
	v_lshl_add_u64 v[4:5], s[4:5], 1, v[0:1]
	s_cselect_b32 s4, s11, 0xc80
	s_ashr_i32 s5, s4, 31
	s_cmpk_lt_u32 s44, 0x1a01
	v_lshl_add_u64 v[6:7], s[4:5], 1, v[0:1]
	s_cselect_b32 s4, s11, 0xd00
	s_ashr_i32 s5, s4, 31
	s_cmpk_lt_u32 s44, 0x1b01
	;; [unrolled: 4-line block ×6, first 2 shown]
	v_lshl_add_u64 v[48:49], s[4:5], 1, v[0:1]
	s_cselect_b32 s4, s11, 0xf80
	s_ashr_i32 s5, s4, 31
	v_lshl_add_u64 v[50:51], s[4:5], 1, v[0:1]
	global_load_ushort v47, v[4:5], off
	global_load_ushort v46, v[6:7], off
	;; [unrolled: 1-line block ×8, first 2 shown]
	s_cmpk_lt_u32 s44, 0x2001
	v_mov_b32_e32 v67, 0
	v_mov_b32_e32 v65, 0
	;; [unrolled: 1-line block ×32, first 2 shown]
	s_cbranch_scc1 .LBB655_12
; %bb.11:
	s_cmpk_lt_u32 s44, 0x2101
	s_cselect_b32 s4, s11, 0x1080
	s_ashr_i32 s5, s4, 31
	s_cmpk_lt_u32 s44, 0x2201
	v_lshl_add_u64 v[4:5], s[4:5], 1, v[0:1]
	s_cselect_b32 s4, s11, 0x1100
	s_ashr_i32 s5, s4, 31
	s_cmpk_lt_u32 s44, 0x2301
	v_lshl_add_u64 v[6:7], s[4:5], 1, v[0:1]
	;; [unrolled: 4-line block ×29, first 2 shown]
	s_cselect_b32 s4, s11, 0x1f00
	s_ashr_i32 s5, s4, 31
	v_lshl_add_u64 v[94:95], s[4:5], 1, v[0:1]
	s_movk_i32 s4, 0x2000
	s_cmpk_lt_u32 s44, 0x3f01
	v_add_co_u32_e32 v96, vcc, s4, v0
	s_cselect_b32 s4, s11, 0x1f80
	s_nop 0
	v_addc_co_u32_e32 v97, vcc, 0, v1, vcc
	s_ashr_i32 s5, s4, 31
	global_load_ushort v98, v[96:97], off
	global_load_ushort v99, v[4:5], off
	;; [unrolled: 1-line block ×15, first 2 shown]
                                        ; kill: killed $vgpr48_vgpr49
                                        ; kill: killed $vgpr54_vgpr55
                                        ; kill: killed $vgpr6_vgpr7
                                        ; kill: killed $vgpr60_vgpr61
                                        ; kill: killed $vgpr12_vgpr13
                                        ; kill: killed $vgpr50_vgpr51
                                        ; kill: killed $vgpr56_vgpr57
                                        ; kill: killed $vgpr8_vgpr9
                                        ; kill: killed $vgpr62_vgpr63
                                        ; kill: killed $vgpr14_vgpr15
                                        ; kill: killed $vgpr96 killed $vgpr97
                                        ; kill: killed $vgpr52_vgpr53
                                        ; kill: killed $vgpr4_vgpr5
                                        ; kill: killed $vgpr58_vgpr59
                                        ; kill: killed $vgpr10_vgpr11
	global_load_ushort v6, v[64:65], off
	global_load_ushort v7, v[66:67], off
	;; [unrolled: 1-line block ×15, first 2 shown]
                                        ; kill: killed $vgpr64_vgpr65
                                        ; kill: killed $vgpr70_vgpr71
                                        ; kill: killed $vgpr92_vgpr93
                                        ; kill: killed $vgpr76_vgpr77
                                        ; kill: killed $vgpr82_vgpr83
                                        ; kill: killed $vgpr66_vgpr67
                                        ; kill: killed $vgpr88_vgpr89
                                        ; kill: killed $vgpr72_vgpr73
                                        ; kill: killed $vgpr94_vgpr95
                                        ; kill: killed $vgpr78_vgpr79
                                        ; kill: killed $vgpr84_vgpr85
                                        ; kill: killed $vgpr68_vgpr69
                                        ; kill: killed $vgpr90_vgpr91
                                        ; kill: killed $vgpr74_vgpr75
                                        ; kill: killed $vgpr80_vgpr81
	global_load_ushort v68, v[86:87], off
	v_lshl_add_u64 v[4:5], s[4:5], 1, v[0:1]
	global_load_ushort v5, v[4:5], off
	s_waitcnt vmcnt(31)
	v_lshlrev_b32_e32 v67, 16, v98
	s_waitcnt vmcnt(30)
	v_lshlrev_b32_e32 v65, 16, v99
	;; [unrolled: 2-line block ×32, first 2 shown]
.LBB655_12:
	s_load_dwordx2 s[4:5], s[0:1], 0x0
	s_load_dwordx2 s[6:7], s[0:1], 0x38
	ds_read_b128 v[68:71], v3
	s_waitcnt vmcnt(15)
	v_lshlrev_b32_e32 v23, 16, v23
	ds_read_b128 v[72:75], v3 offset:16
	ds_read_b128 v[76:79], v3 offset:32
	;; [unrolled: 1-line block ×3, first 2 shown]
	s_waitcnt vmcnt(14)
	v_lshlrev_b32_e32 v22, 16, v22
	s_waitcnt vmcnt(13)
	v_lshlrev_b32_e32 v21, 16, v21
	s_waitcnt lgkmcnt(0)
	v_fma_f32 v23, v68, v23, 0
	v_fmac_f32_e32 v23, v69, v22
	v_fmac_f32_e32 v23, v70, v21
	s_waitcnt vmcnt(12)
	v_lshlrev_b32_e32 v20, 16, v20
	s_waitcnt vmcnt(10)
	v_lshlrev_b32_e32 v19, 16, v19
	v_lshlrev_b32_e32 v18, 16, v18
	v_fmac_f32_e32 v23, v71, v20
	v_pk_mul_f32 v[18:19], v[72:73], v[18:19]
	s_waitcnt vmcnt(8)
	v_lshlrev_b32_e32 v17, 16, v17
	v_add_f32_e32 v18, v23, v18
	v_lshlrev_b32_e32 v16, 16, v16
	v_add_f32_e32 v18, v18, v19
	v_pk_mul_f32 v[16:17], v[74:75], v[16:17]
	s_and_b64 vcc, exec, s[8:9]
	v_add_f32_e32 v16, v18, v16
	v_add_f32_e32 v18, v16, v17
	s_waitcnt vmcnt(6)
	v_lshlrev_b32_e32 v17, 16, v31
	v_lshlrev_b32_e32 v16, 16, v30
	v_pk_mul_f32 v[16:17], v[76:77], v[16:17]
	s_nop 0
	v_add_f32_e32 v16, v18, v16
	v_add_f32_e32 v18, v16, v17
	s_waitcnt vmcnt(4)
	v_lshlrev_b32_e32 v17, 16, v29
	v_lshlrev_b32_e32 v16, 16, v28
	v_pk_mul_f32 v[16:17], v[78:79], v[16:17]
	s_nop 0
	;; [unrolled: 7-line block ×4, first 2 shown]
	v_add_f32_e32 v16, v18, v16
	v_add_f32_e32 v110, v16, v17
	s_cbranch_vccz .LBB655_15
; %bb.13:
	ds_read_b128 v[16:19], v3 offset:64
	v_lshlrev_b32_e32 v39, 16, v39
	ds_read_b128 v[20:23], v3 offset:80
	ds_read_b128 v[24:27], v3 offset:96
	;; [unrolled: 1-line block ×3, first 2 shown]
	v_lshlrev_b32_e32 v3, 16, v38
	s_cmpk_lt_u32 s44, 0x2001
	s_waitcnt lgkmcnt(3)
	v_fmac_f32_e32 v110, v16, v39
	v_fmac_f32_e32 v110, v17, v3
	v_lshlrev_b32_e32 v3, 16, v37
	v_fmac_f32_e32 v110, v18, v3
	v_lshlrev_b32_e32 v3, 16, v36
	v_fmac_f32_e32 v110, v19, v3
	v_lshlrev_b32_e32 v3, 16, v35
	s_waitcnt lgkmcnt(2)
	v_fmac_f32_e32 v110, v20, v3
	v_lshlrev_b32_e32 v3, 16, v34
	v_fmac_f32_e32 v110, v21, v3
	v_lshlrev_b32_e32 v3, 16, v33
	v_fmac_f32_e32 v110, v22, v3
	v_lshlrev_b32_e32 v3, 16, v32
	v_fmac_f32_e32 v110, v23, v3
	v_lshlrev_b32_e32 v3, 16, v47
	s_waitcnt lgkmcnt(1)
	v_fmac_f32_e32 v110, v24, v3
	v_lshlrev_b32_e32 v3, 16, v46
	;; [unrolled: 9-line block ×3, first 2 shown]
	v_fmac_f32_e32 v110, v29, v3
	v_lshlrev_b32_e32 v3, 16, v41
	v_fmac_f32_e32 v110, v30, v3
	v_lshlrev_b32_e32 v3, 16, v40
	v_fmac_f32_e32 v110, v31, v3
	s_cbranch_scc1 .LBB655_15
; %bb.14:
	v_mov_b32_e32 v3, 0
	ds_read_b128 v[16:19], v3 offset:128
	ds_read_b128 v[20:23], v3 offset:144
	;; [unrolled: 1-line block ×4, first 2 shown]
	s_waitcnt lgkmcnt(3)
	v_fmac_f32_e32 v110, v16, v67
	v_fmac_f32_e32 v110, v17, v65
	v_fmac_f32_e32 v110, v18, v66
	v_fmac_f32_e32 v110, v19, v63
	s_waitcnt lgkmcnt(2)
	v_fmac_f32_e32 v110, v20, v64
	v_fmac_f32_e32 v110, v21, v61
	v_fmac_f32_e32 v110, v22, v62
	v_fmac_f32_e32 v110, v23, v59
	s_waitcnt lgkmcnt(1)
	v_fmac_f32_e32 v110, v24, v60
	v_fmac_f32_e32 v110, v25, v57
	v_fmac_f32_e32 v110, v26, v58
	v_fmac_f32_e32 v110, v27, v55
	ds_read_b128 v[16:19], v3 offset:192
	ds_read_b128 v[20:23], v3 offset:208
	s_waitcnt lgkmcnt(2)
	v_fmac_f32_e32 v110, v28, v56
	v_fmac_f32_e32 v110, v29, v53
	;; [unrolled: 1-line block ×4, first 2 shown]
	s_waitcnt lgkmcnt(1)
	v_fmac_f32_e32 v110, v16, v51
	v_fmac_f32_e32 v110, v17, v49
	v_fmac_f32_e32 v110, v18, v50
	v_fmac_f32_e32 v110, v19, v48
	s_waitcnt lgkmcnt(0)
	v_pk_mul_f32 v[14:15], v[20:21], v[14:15]
	v_pk_mul_f32 v[12:13], v[22:23], v[12:13]
	v_add_f32_e32 v14, v110, v14
	v_add_f32_e32 v18, v14, v15
	ds_read_b128 v[14:17], v3 offset:224
	v_add_f32_e32 v12, v18, v12
	ds_read_b128 v[18:21], v3 offset:240
	v_add_f32_e32 v12, v12, v13
	s_waitcnt lgkmcnt(1)
	v_pk_mul_f32 v[10:11], v[14:15], v[10:11]
	s_nop 0
	v_add_f32_e32 v3, v12, v10
	v_add_f32_e32 v3, v3, v11
	v_pk_mul_f32 v[8:9], v[16:17], v[8:9]
	s_waitcnt lgkmcnt(0)
	v_pk_mul_f32 v[6:7], v[18:19], v[6:7]
	v_add_f32_e32 v3, v3, v8
	v_add_f32_e32 v3, v3, v9
	;; [unrolled: 1-line block ×4, first 2 shown]
	v_pk_mul_f32 v[4:5], v[20:21], v[4:5]
	s_nop 0
	v_add_f32_e32 v3, v3, v4
	v_add_f32_e32 v110, v3, v5
.LBB655_15:
	s_movk_i32 s0, 0x3f80
	s_movk_i32 s1, 0x100
	s_mov_b32 s8, 64
	s_branch .LBB655_17
.LBB655_16:                             ;   in Loop: Header=BB655_17 Depth=1
	s_addk_i32 s0, 0x2000
	s_addk_i32 s1, 0x100
	s_add_i32 s8, s8, 64
	s_cmp_eq_u32 s0, 0x11f80
	s_cbranch_scc1 .LBB655_19
.LBB655_17:                             ; =>This Inner Loop Header: Depth=1
	s_cmp_le_i32 s33, s8
	s_cbranch_scc1 .LBB655_16
; %bb.18:                               ;   in Loop: Header=BB655_17 Depth=1
	s_add_i32 s9, s0, 0xffffe080
	s_cmp_lt_i32 s9, s10
	s_cselect_b32 s12, s9, s11
	s_ashr_i32 s13, s12, 31
	s_add_i32 s9, s0, 0xffffe100
	s_cmp_lt_i32 s9, s10
	v_lshl_add_u64 v[42:43], s[12:13], 1, v[0:1]
	s_cselect_b32 s12, s9, s11
	s_ashr_i32 s13, s12, 31
	s_add_i32 s9, s0, 0xffffe180
	s_cmp_lt_i32 s9, s10
	v_lshl_add_u64 v[4:5], s[12:13], 1, v[0:1]
	;; [unrolled: 5-line block ×25, first 2 shown]
	s_cselect_b32 s12, s9, s11
	s_ashr_i32 s13, s12, 31
	s_add_i32 s9, s0, 0xffffed80
	s_cmp_lt_i32 s9, s10
	global_load_ushort v3, v[42:43], off
	global_load_ushort v120, v[44:45], off
	v_lshl_add_u64 v[18:19], s[12:13], 1, v[0:1]
	s_cselect_b32 s12, s9, s11
	global_load_ushort v111, v[4:5], off
	global_load_ushort v112, v[6:7], off
	;; [unrolled: 1-line block ×8, first 2 shown]
	s_ashr_i32 s13, s12, 31
	s_add_i32 s9, s0, 0xffffee00
	s_cmp_lt_i32 s9, s10
	v_lshl_add_u64 v[20:21], s[12:13], 1, v[0:1]
	s_cselect_b32 s12, s9, s11
	s_ashr_i32 s13, s12, 31
	s_add_i32 s9, s0, 0xffffee80
	s_cmp_lt_i32 s9, s10
	v_lshl_add_u64 v[38:39], s[12:13], 1, v[0:1]
	s_cselect_b32 s12, s9, s11
	s_ashr_i32 s13, s12, 31
	s_add_i32 s9, s0, 0xffffef00
	s_cmp_lt_i32 s9, s10
	global_load_ushort v119, v[28:29], off
	v_lshl_add_u64 v[40:41], s[12:13], 1, v[0:1]
	s_cselect_b32 s12, s9, s11
	s_ashr_i32 s13, s12, 31
	s_add_i32 s9, s0, 0xffffef80
	global_load_ushort v121, v[54:55], off
	global_load_ushort v122, v[56:57], off
	s_cmp_lt_i32 s9, s10
	global_load_ushort v58, v[58:59], off
	v_lshl_add_u64 v[50:51], s[12:13], 1, v[0:1]
	s_cselect_b32 s12, s9, s11
	s_ashr_i32 s13, s12, 31
	s_add_i32 s9, s0, 0xfffff000
	s_cmp_lt_i32 s9, s10
	v_lshl_add_u64 v[52:53], s[12:13], 1, v[0:1]
	s_cselect_b32 s12, s9, s11
	s_ashr_i32 s13, s12, 31
	s_add_i32 s9, s0, 0xfffff080
	global_load_ushort v59, v[60:61], off
	s_cmp_lt_i32 s9, s10
	global_load_ushort v60, v[66:67], off
	global_load_ushort v61, v[62:63], off
	v_lshl_add_u64 v[64:65], s[12:13], 1, v[0:1]
	s_cselect_b32 s12, s9, s11
	s_ashr_i32 s13, s12, 31
	s_add_i32 s9, s0, 0xfffff100
	s_cmp_lt_i32 s9, s10
	v_lshl_add_u64 v[68:69], s[12:13], 1, v[0:1]
	s_cselect_b32 s12, s9, s11
	s_ashr_i32 s13, s12, 31
	s_add_i32 s9, s0, 0xfffff180
	s_cmp_lt_i32 s9, s10
	;; [unrolled: 5-line block ×3, first 2 shown]
	global_load_ushort v62, v[24:25], off
	v_lshl_add_u64 v[72:73], s[12:13], 1, v[0:1]
	s_cselect_b32 s12, s9, s11
	global_load_ushort v66, v[30:31], off
	global_load_ushort v123, v[32:33], off
	;; [unrolled: 1-line block ×4, first 2 shown]
	s_ashr_i32 s13, s12, 31
	s_add_i32 s9, s0, 0xfffff280
	s_cmp_lt_i32 s9, s10
	global_load_ushort v67, v[46:47], off
	v_lshl_add_u64 v[74:75], s[12:13], 1, v[0:1]
	s_cselect_b32 s12, s9, s11
	s_ashr_i32 s13, s12, 31
	s_add_i32 s9, s0, 0xfffff300
	s_cmp_lt_i32 s9, s10
	v_lshl_add_u64 v[76:77], s[12:13], 1, v[0:1]
	s_cselect_b32 s12, s9, s11
	s_ashr_i32 s13, s12, 31
	s_add_i32 s9, s0, 0xfffff380
	s_cmp_lt_i32 s9, s10
	v_mov_b32_e32 v124, s1
	v_lshl_add_u64 v[78:79], s[12:13], 1, v[0:1]
	s_cselect_b32 s12, s9, s11
	ds_read_b128 v[28:31], v124
	ds_read_b128 v[32:35], v124 offset:16
	global_load_ushort v48, v[48:49], off
	s_ashr_i32 s13, s12, 31
	s_add_i32 s9, s0, 0xfffff400
	s_cmp_lt_i32 s9, s10
	v_lshl_add_u64 v[80:81], s[12:13], 1, v[0:1]
	s_cselect_b32 s12, s9, s11
	ds_read_b128 v[44:47], v124 offset:32
	ds_read_b128 v[54:57], v124 offset:48
	global_load_ushort v36, v[36:37], off
	s_ashr_i32 s13, s12, 31
	v_lshl_add_u64 v[82:83], s[12:13], 1, v[0:1]
	global_load_ushort v49, v[82:83], off
	global_load_ushort v37, v[18:19], off
	s_add_i32 s9, s0, 0xfffff480
	s_cmp_lt_i32 s9, s10
	s_cselect_b32 s12, s9, s11
	s_ashr_i32 s13, s12, 31
	s_add_i32 s9, s0, 0xfffff500
	s_cmp_lt_i32 s9, s10
	v_lshl_add_u64 v[84:85], s[12:13], 1, v[0:1]
	s_cselect_b32 s12, s9, s11
	s_ashr_i32 s13, s12, 31
	s_add_i32 s9, s0, 0xfffff580
	s_cmp_lt_i32 s9, s10
	v_lshl_add_u64 v[86:87], s[12:13], 1, v[0:1]
	;; [unrolled: 5-line block ×7, first 2 shown]
	s_cselect_b32 s12, s9, s11
	s_ashr_i32 s13, s12, 31
	s_add_i32 s9, s0, 0xfffff880
	s_waitcnt vmcnt(26)
	v_lshlrev_b32_e32 v3, 16, v3
	s_cmp_lt_i32 s9, s10
	s_waitcnt lgkmcnt(3)
	v_fmac_f32_e32 v110, v28, v3
	s_waitcnt vmcnt(24)
	v_lshlrev_b32_e32 v3, 16, v111
	v_lshl_add_u64 v[98:99], s[12:13], 1, v[0:1]
	s_cselect_b32 s12, s9, s11
	v_fmac_f32_e32 v110, v29, v3
	s_waitcnt vmcnt(23)
	v_lshlrev_b32_e32 v3, 16, v112
	s_ashr_i32 s13, s12, 31
	s_add_i32 s9, s0, 0xfffff900
	v_fmac_f32_e32 v110, v30, v3
	s_waitcnt vmcnt(22)
	v_lshlrev_b32_e32 v3, 16, v113
	s_cmp_lt_i32 s9, s10
	v_fmac_f32_e32 v110, v31, v3
	s_waitcnt vmcnt(21)
	v_lshlrev_b32_e32 v3, 16, v114
	v_lshl_add_u64 v[102:103], s[12:13], 1, v[0:1]
	s_cselect_b32 s12, s9, s11
	s_waitcnt lgkmcnt(2)
	v_fmac_f32_e32 v110, v32, v3
	global_load_ushort v3, v[20:21], off
	global_load_ushort v32, v[38:39], off
	s_waitcnt vmcnt(22)
	v_lshlrev_b32_e32 v18, 16, v115
	s_ashr_i32 s13, s12, 31
	s_add_i32 s9, s0, 0xfffff980
	v_fmac_f32_e32 v110, v33, v18
	s_waitcnt vmcnt(21)
	v_lshlrev_b32_e32 v18, 16, v116
	s_cmp_lt_i32 s9, s10
	v_fmac_f32_e32 v110, v34, v18
	s_waitcnt vmcnt(20)
	v_lshlrev_b32_e32 v18, 16, v117
	v_lshl_add_u64 v[104:105], s[12:13], 1, v[0:1]
	s_cselect_b32 s12, s9, s11
	global_load_ushort v33, v[40:41], off
	global_load_ushort v34, v[50:51], off
	v_fmac_f32_e32 v110, v35, v18
	global_load_ushort v35, v[52:53], off
	global_load_ushort v38, v[64:65], off
	;; [unrolled: 1-line block ×3, first 2 shown]
	s_waitcnt vmcnt(24)
	v_lshlrev_b32_e32 v18, 16, v118
	s_ashr_i32 s13, s12, 31
	s_add_i32 s9, s0, 0xfffffa00
	s_waitcnt lgkmcnt(1)
	v_fmac_f32_e32 v110, v44, v18
	global_load_ushort v44, v[74:75], off
	s_waitcnt vmcnt(24)
	v_lshlrev_b32_e32 v18, 16, v119
	s_cmp_lt_i32 s9, s10
	v_fmac_f32_e32 v110, v45, v18
	v_lshlrev_b32_e32 v18, 16, v120
	v_lshl_add_u64 v[106:107], s[12:13], 1, v[0:1]
	s_cselect_b32 s12, s9, s11
	v_fmac_f32_e32 v110, v46, v18
	global_load_ushort v46, v[78:79], off
	s_waitcnt vmcnt(24)
	v_lshlrev_b32_e32 v18, 16, v121
	s_ashr_i32 s13, s12, 31
	s_add_i32 s9, s0, 0xfffffa80
	v_fmac_f32_e32 v110, v47, v18
	s_waitcnt vmcnt(23)
	v_lshlrev_b32_e32 v18, 16, v122
	s_cmp_lt_i32 s9, s10
	s_waitcnt lgkmcnt(0)
	v_fmac_f32_e32 v110, v54, v18
	global_load_ushort v54, v[90:91], off
	global_load_ushort v40, v[70:71], off
	;; [unrolled: 1-line block ×8, first 2 shown]
	v_lshl_add_u64 v[100:101], s[12:13], 1, v[0:1]
	s_cselect_b32 s12, s9, s11
	s_ashr_i32 s13, s12, 31
	s_add_i32 s9, s0, 0xfffffb00
	s_cmp_lt_i32 s9, s10
	s_waitcnt vmcnt(30)
	v_lshlrev_b32_e32 v18, 16, v58
	v_lshl_add_u64 v[42:43], s[12:13], 1, v[0:1]
	s_cselect_b32 s12, s9, s11
	v_fmac_f32_e32 v110, v55, v18
	s_waitcnt vmcnt(29)
	v_lshlrev_b32_e32 v18, 16, v59
	s_ashr_i32 s13, s12, 31
	s_add_i32 s9, s0, 0xfffffb80
	v_fmac_f32_e32 v110, v56, v18
	s_waitcnt vmcnt(28)
	v_lshlrev_b32_e32 v18, 16, v60
	s_cmp_lt_i32 s9, s10
	v_fmac_f32_e32 v110, v57, v18
	ds_read_b128 v[18:21], v124 offset:64
	ds_read_b128 v[28:31], v124 offset:80
	v_lshl_add_u64 v[108:109], s[12:13], 1, v[0:1]
	s_cselect_b32 s12, s9, s11
	s_ashr_i32 s13, s12, 31
	s_add_i32 s9, s0, 0xfffffc00
	s_cmp_lt_i32 s9, s10
	v_lshl_add_u64 v[4:5], s[12:13], 1, v[0:1]
	s_cselect_b32 s12, s9, s11
	s_waitcnt vmcnt(27)
	v_lshlrev_b32_e32 v52, 16, v61
	s_ashr_i32 s13, s12, 31
	s_add_i32 s9, s0, 0xfffffc80
	s_waitcnt lgkmcnt(1)
	v_fmac_f32_e32 v110, v18, v52
	global_load_ushort v52, v[92:93], off
	s_cmp_lt_i32 s9, s10
	global_load_ushort v55, v[94:95], off
	global_load_ushort v56, v[96:97], off
	global_load_ushort v57, v[98:99], off
	global_load_ushort v58, v[102:103], off
	global_load_ushort v59, v[104:105], off
	v_lshl_add_u64 v[6:7], s[12:13], 1, v[0:1]
	s_cselect_b32 s12, s9, s11
	s_ashr_i32 s13, s12, 31
	s_add_i32 s9, s0, 0xfffffd00
	s_waitcnt vmcnt(32)
	v_lshlrev_b32_e32 v18, 16, v62
	s_cmp_lt_i32 s9, s10
	v_fmac_f32_e32 v110, v19, v18
	s_waitcnt vmcnt(28)
	v_lshlrev_b32_e32 v18, 16, v63
	v_lshl_add_u64 v[8:9], s[12:13], 1, v[0:1]
	s_cselect_b32 s12, s9, s11
	v_fmac_f32_e32 v110, v20, v18
	v_lshlrev_b32_e32 v18, 16, v66
	s_ashr_i32 s13, s12, 31
	s_add_i32 s9, s0, 0xfffffd80
	v_fmac_f32_e32 v110, v21, v18
	s_waitcnt vmcnt(27)
	v_lshlrev_b32_e32 v18, 16, v67
	s_cmp_lt_i32 s9, s10
	s_waitcnt lgkmcnt(0)
	v_fmac_f32_e32 v110, v28, v18
	global_load_ushort v28, v[106:107], off
	v_lshl_add_u64 v[12:13], s[12:13], 1, v[0:1]
	s_cselect_b32 s12, s9, s11
	global_load_ushort v60, v[100:101], off
	global_load_ushort v61, v[42:43], off
	;; [unrolled: 1-line block ×3, first 2 shown]
	s_ashr_i32 s13, s12, 31
	s_add_i32 s9, s0, 0xfffffe00
	v_lshlrev_b32_e32 v18, 16, v123
	s_cmp_lt_i32 s9, s10
	v_fmac_f32_e32 v110, v29, v18
	v_lshlrev_b32_e32 v18, 16, v125
	v_lshl_add_u64 v[10:11], s[12:13], 1, v[0:1]
	s_cselect_b32 s12, s9, s11
	v_fmac_f32_e32 v110, v30, v18
	global_load_ushort v29, v[4:5], off
	global_load_ushort v30, v[6:7], off
	s_ashr_i32 s13, s12, 31
	s_add_i32 s9, s0, 0xfffffe80
	s_cmp_lt_i32 s9, s10
	s_waitcnt vmcnt(32)
	v_lshlrev_b32_e32 v4, 16, v48
	v_lshl_add_u64 v[22:23], s[12:13], 1, v[0:1]
	s_cselect_b32 s12, s9, s11
	v_fmac_f32_e32 v110, v31, v4
	ds_read_b128 v[4:7], v124 offset:96
	s_ashr_i32 s13, s12, 31
	s_add_i32 s9, s0, 0xffffff00
	s_cmp_lt_i32 s9, s10
	s_waitcnt vmcnt(31)
	v_lshlrev_b32_e32 v31, 16, v36
	global_load_ushort v36, v[8:9], off
	global_load_ushort v42, v[12:13], off
	v_lshl_add_u64 v[14:15], s[12:13], 1, v[0:1]
	s_cselect_b32 s12, s9, s11
	s_ashr_i32 s13, s12, 31
	s_add_i32 s9, s0, 0xffffff80
	s_cmp_lt_i32 s9, s10
	ds_read_b128 v[18:21], v124 offset:112
	s_waitcnt lgkmcnt(1)
	v_fmac_f32_e32 v110, v4, v31
	s_waitcnt vmcnt(31)
	v_lshlrev_b32_e32 v4, 16, v37
	global_load_ushort v31, v[10:11], off
	global_load_ushort v37, v[22:23], off
	v_lshl_add_u64 v[24:25], s[12:13], 1, v[0:1]
	s_cselect_b32 s12, s9, s11
	s_ashr_i32 s13, s12, 31
	s_cmp_lt_i32 s0, s10
	global_load_ushort v22, v[14:15], off
	global_load_ushort v23, v[24:25], off
	v_lshl_add_u64 v[16:17], s[12:13], 1, v[0:1]
	s_cselect_b32 s12, s0, s11
	s_ashr_i32 s13, s12, 31
	v_lshl_add_u64 v[26:27], s[12:13], 1, v[0:1]
	global_load_ushort v14, v[16:17], off
	global_load_ushort v15, v[26:27], off
	v_fmac_f32_e32 v110, v5, v4
	s_waitcnt vmcnt(36)
	v_lshlrev_b32_e32 v3, 16, v3
	v_fmac_f32_e32 v110, v6, v3
	s_waitcnt vmcnt(35)
	v_lshlrev_b32_e32 v3, 16, v32
	;; [unrolled: 3-line block ×3, first 2 shown]
	ds_read_b128 v[4:7], v124 offset:128
	ds_read_b128 v[8:11], v124 offset:144
	s_waitcnt lgkmcnt(2)
	v_fmac_f32_e32 v110, v18, v3
	s_waitcnt vmcnt(33)
	v_lshlrev_b32_e32 v3, 16, v34
	v_fmac_f32_e32 v110, v19, v3
	s_waitcnt vmcnt(32)
	v_lshlrev_b32_e32 v3, 16, v35
	;; [unrolled: 3-line block ×4, first 2 shown]
	s_waitcnt lgkmcnt(1)
	v_fmac_f32_e32 v110, v4, v3
	s_waitcnt vmcnt(26)
	v_lshlrev_b32_e32 v3, 16, v40
	v_fmac_f32_e32 v110, v5, v3
	s_waitcnt vmcnt(25)
	v_lshlrev_b32_e32 v3, 16, v41
	v_fmac_f32_e32 v110, v6, v3
	v_lshlrev_b32_e32 v3, 16, v44
	v_fmac_f32_e32 v110, v7, v3
	s_waitcnt vmcnt(24)
	v_lshlrev_b32_e32 v3, 16, v45
	ds_read_b128 v[4:7], v124 offset:160
	s_waitcnt lgkmcnt(1)
	v_fmac_f32_e32 v110, v8, v3
	v_lshlrev_b32_e32 v3, 16, v46
	v_fmac_f32_e32 v110, v9, v3
	s_waitcnt vmcnt(23)
	v_lshlrev_b32_e32 v3, 16, v47
	v_fmac_f32_e32 v110, v10, v3
	v_lshlrev_b32_e32 v3, 16, v49
	v_fmac_f32_e32 v110, v11, v3
	ds_read_b128 v[8:11], v124 offset:176
	s_waitcnt vmcnt(22)
	v_lshlrev_b32_e32 v3, 16, v50
	s_waitcnt lgkmcnt(1)
	v_fmac_f32_e32 v110, v4, v3
	s_waitcnt vmcnt(21)
	v_lshlrev_b32_e32 v3, 16, v51
	v_fmac_f32_e32 v110, v5, v3
	s_waitcnt vmcnt(20)
	v_lshlrev_b32_e32 v3, 16, v53
	v_fmac_f32_e32 v110, v6, v3
	v_lshlrev_b32_e32 v3, 16, v54
	v_fmac_f32_e32 v110, v7, v3
	s_waitcnt vmcnt(19)
	v_lshlrev_b32_e32 v3, 16, v52
	s_waitcnt lgkmcnt(0)
	v_fmac_f32_e32 v110, v8, v3
	s_waitcnt vmcnt(18)
	v_lshlrev_b32_e32 v3, 16, v55
	ds_read_b128 v[4:7], v124 offset:192
	v_fmac_f32_e32 v110, v9, v3
	s_waitcnt vmcnt(17)
	v_lshlrev_b32_e32 v3, 16, v56
	v_fmac_f32_e32 v110, v10, v3
	s_waitcnt vmcnt(16)
	v_lshlrev_b32_e32 v3, 16, v57
	v_fmac_f32_e32 v110, v11, v3
	ds_read_b128 v[8:11], v124 offset:208
	s_waitcnt vmcnt(15)
	v_lshlrev_b32_e32 v3, 16, v58
	s_waitcnt lgkmcnt(1)
	v_fmac_f32_e32 v110, v4, v3
	s_waitcnt vmcnt(14)
	v_lshlrev_b32_e32 v3, 16, v59
	v_fmac_f32_e32 v110, v5, v3
	s_waitcnt vmcnt(13)
	v_lshlrev_b32_e32 v3, 16, v28
	;; [unrolled: 3-line block ×3, first 2 shown]
	s_waitcnt vmcnt(10)
	v_lshlrev_b32_e32 v5, 16, v62
	v_lshlrev_b32_e32 v4, 16, v61
	v_fmac_f32_e32 v110, v7, v3
	s_waitcnt lgkmcnt(0)
	v_pk_mul_f32 v[4:5], v[8:9], v[4:5]
	s_waitcnt vmcnt(6)
	v_lshlrev_b32_e32 v13, 16, v42
	v_add_f32_e32 v3, v110, v4
	v_add_f32_e32 v3, v3, v5
	v_lshlrev_b32_e32 v5, 16, v30
	v_lshlrev_b32_e32 v4, 16, v29
	v_pk_mul_f32 v[8:9], v[10:11], v[4:5]
	ds_read_b128 v[4:7], v124 offset:224
	v_add_f32_e32 v3, v3, v8
	v_lshlrev_b32_e32 v12, 16, v36
	v_add_f32_e32 v3, v3, v9
	ds_read_b128 v[8:11], v124 offset:240
	s_waitcnt lgkmcnt(1)
	v_pk_mul_f32 v[4:5], v[4:5], v[12:13]
	s_nop 0
	v_add_f32_e32 v3, v3, v4
	v_add_f32_e32 v3, v3, v5
	s_waitcnt vmcnt(4)
	v_lshlrev_b32_e32 v5, 16, v37
	v_lshlrev_b32_e32 v4, 16, v31
	v_pk_mul_f32 v[4:5], v[6:7], v[4:5]
	s_nop 0
	v_add_f32_e32 v3, v3, v4
	v_add_f32_e32 v3, v3, v5
	s_waitcnt vmcnt(2)
	v_lshlrev_b32_e32 v5, 16, v23
	v_lshlrev_b32_e32 v4, 16, v22
	s_waitcnt lgkmcnt(0)
	v_pk_mul_f32 v[4:5], v[8:9], v[4:5]
	s_nop 0
	v_add_f32_e32 v3, v3, v4
	v_add_f32_e32 v3, v3, v5
	s_waitcnt vmcnt(1)
	v_lshlrev_b32_e32 v4, 16, v14
	s_waitcnt vmcnt(0)
	v_lshlrev_b32_e32 v5, 16, v15
	v_pk_mul_f32 v[4:5], v[10:11], v[4:5]
	s_nop 0
	v_add_f32_e32 v3, v3, v4
	v_add_f32_e32 v110, v3, v5
	s_branch .LBB655_16
.LBB655_19:
	v_mov_b32_e32 v0, 0
	ds_read_b32 v0, v0 offset:2048
	s_cmp_lg_u64 s[6:7], 0
	s_cbranch_scc0 .LBB655_28
; %bb.20:
	s_load_dword s6, s[6:7], 0x0
	s_waitcnt lgkmcnt(0)
	v_div_scale_f32 v1, s[0:1], s6, s6, 1.0
	v_rcp_f32_e32 v3, v1
	v_div_scale_f32 v4, vcc, 1.0, s6, 1.0
	v_fma_f32 v5, -v1, v3, 1.0
	v_fmac_f32_e32 v3, v5, v3
	v_mul_f32_e32 v5, v4, v3
	v_fma_f32 v6, -v1, v5, v4
	v_fmac_f32_e32 v5, v6, v3
	v_fma_f32 v1, -v1, v5, v4
	v_div_fmas_f32 v1, v1, v3, v5
	v_div_fixup_f32 v1, v1, s6, 1.0
	s_andn2_b64 vcc, exec, s[34:35]
	s_cbranch_vccnz .LBB655_22
.LBB655_21:
	s_add_u32 s0, s30, s36
	s_addc_u32 s1, s31, s37
	s_load_dword s28, s[0:1], 0x0
	s_mov_b32 s29, 0
.LBB655_22:
	s_waitcnt lgkmcnt(0)
	v_add_f32_e32 v0, 0x358637bd, v0
	v_div_scale_f32 v3, s[0:1], v0, v0, 1.0
	v_rcp_f32_e32 v4, v3
	v_div_scale_f32 v5, vcc, 1.0, v0, 1.0
	s_mov_b32 s0, 0x7f800000
	v_fma_f32 v6, -v3, v4, 1.0
	v_fmac_f32_e32 v4, v6, v4
	v_mul_f32_e32 v6, v5, v4
	v_fma_f32 v7, -v3, v6, v5
	v_fmac_f32_e32 v6, v7, v4
	v_fma_f32 v3, -v3, v6, v5
	v_div_fmas_f32 v3, v3, v4, v6
	v_div_fixup_f32 v0, v3, v0, 1.0
	v_mul_f32_e32 v0, v110, v0
	v_mul_f32_e32 v1, v0, v1
	v_and_b32_e32 v0, 0x7f800000, v1
	v_cmp_ne_u32_e32 vcc, s0, v0
                                        ; implicit-def: $vgpr0
	s_and_saveexec_b64 s[0:1], vcc
	s_xor_b64 s[0:1], exec, s[0:1]
; %bb.23:
	v_bfe_u32 v0, v1, 16, 1
	s_movk_i32 s6, 0x7fff
	v_add3_u32 v0, v1, v0, s6
                                        ; implicit-def: $vgpr1
; %bb.24:
	s_andn2_saveexec_b64 s[0:1], s[0:1]
; %bb.25:
	v_mov_b32_e32 v0, 0
	v_or_b32_e32 v3, 0x10000, v1
	v_cmp_eq_u32_sdwa vcc, v1, v0 src0_sel:WORD_0 src1_sel:DWORD
	s_nop 1
	v_cndmask_b32_e32 v0, v3, v1, vcc
; %bb.26:
	s_or_b64 exec, exec, s[0:1]
	s_mul_i32 s0, s3, s29
	s_mul_hi_u32 s1, s3, s28
	s_add_i32 s1, s1, s0
	s_mul_i32 s0, s3, s28
	s_lshl_b64 s[0:1], s[0:1], 8
	s_add_u32 s4, s4, s0
	s_mov_b32 s3, 0
	s_addc_u32 s5, s5, s1
	s_lshl_b64 s[0:1], s[2:3], 8
	s_add_u32 s0, s4, s0
	s_addc_u32 s1, s5, s1
	global_store_short_d16_hi v2, v0, s[0:1]
	s_endpgm
.LBB655_27:
	s_mov_b64 s[6:7], 0
	s_branch .LBB655_2
.LBB655_28:
	v_mov_b32_e32 v1, 1.0
	s_andn2_b64 vcc, exec, s[34:35]
	s_cbranch_vccz .LBB655_21
	s_branch .LBB655_22
	.section	.rodata,"a",@progbits
	.p2align	6, 0x0
	.amdhsa_kernel _Z35paged_attention_ll4mi_reduce_kernelI14__hip_bfloat16S0_Li128ELi128ELi256ELi8EEvPT0_PKfS4_PKT_PKiS9_iS4_
		.amdhsa_group_segment_fixed_size 2052
		.amdhsa_private_segment_fixed_size 0
		.amdhsa_kernarg_size 320
		.amdhsa_user_sgpr_count 2
		.amdhsa_user_sgpr_dispatch_ptr 0
		.amdhsa_user_sgpr_queue_ptr 0
		.amdhsa_user_sgpr_kernarg_segment_ptr 1
		.amdhsa_user_sgpr_dispatch_id 0
		.amdhsa_user_sgpr_kernarg_preload_length 0
		.amdhsa_user_sgpr_kernarg_preload_offset 0
		.amdhsa_user_sgpr_private_segment_size 0
		.amdhsa_uses_dynamic_stack 0
		.amdhsa_enable_private_segment 0
		.amdhsa_system_sgpr_workgroup_id_x 1
		.amdhsa_system_sgpr_workgroup_id_y 1
		.amdhsa_system_sgpr_workgroup_id_z 0
		.amdhsa_system_sgpr_workgroup_info 0
		.amdhsa_system_vgpr_workitem_id 0
		.amdhsa_next_free_vgpr 126
		.amdhsa_next_free_sgpr 45
		.amdhsa_accum_offset 128
		.amdhsa_reserve_vcc 1
		.amdhsa_float_round_mode_32 0
		.amdhsa_float_round_mode_16_64 0
		.amdhsa_float_denorm_mode_32 3
		.amdhsa_float_denorm_mode_16_64 3
		.amdhsa_dx10_clamp 1
		.amdhsa_ieee_mode 1
		.amdhsa_fp16_overflow 0
		.amdhsa_tg_split 0
		.amdhsa_exception_fp_ieee_invalid_op 0
		.amdhsa_exception_fp_denorm_src 0
		.amdhsa_exception_fp_ieee_div_zero 0
		.amdhsa_exception_fp_ieee_overflow 0
		.amdhsa_exception_fp_ieee_underflow 0
		.amdhsa_exception_fp_ieee_inexact 0
		.amdhsa_exception_int_div_zero 0
	.end_amdhsa_kernel
	.section	.text._Z35paged_attention_ll4mi_reduce_kernelI14__hip_bfloat16S0_Li128ELi128ELi256ELi8EEvPT0_PKfS4_PKT_PKiS9_iS4_,"axG",@progbits,_Z35paged_attention_ll4mi_reduce_kernelI14__hip_bfloat16S0_Li128ELi128ELi256ELi8EEvPT0_PKfS4_PKT_PKiS9_iS4_,comdat
.Lfunc_end655:
	.size	_Z35paged_attention_ll4mi_reduce_kernelI14__hip_bfloat16S0_Li128ELi128ELi256ELi8EEvPT0_PKfS4_PKT_PKiS9_iS4_, .Lfunc_end655-_Z35paged_attention_ll4mi_reduce_kernelI14__hip_bfloat16S0_Li128ELi128ELi256ELi8EEvPT0_PKfS4_PKT_PKiS9_iS4_
                                        ; -- End function
	.section	.AMDGPU.csdata,"",@progbits
; Kernel info:
; codeLenInByte = 9436
; NumSgprs: 51
; NumVgprs: 126
; NumAgprs: 0
; TotalNumVgprs: 126
; ScratchSize: 0
; MemoryBound: 0
; FloatMode: 240
; IeeeMode: 1
; LDSByteSize: 2052 bytes/workgroup (compile time only)
; SGPRBlocks: 6
; VGPRBlocks: 15
; NumSGPRsForWavesPerEU: 51
; NumVGPRsForWavesPerEU: 126
; AccumOffset: 128
; Occupancy: 4
; WaveLimiterHint : 1
; COMPUTE_PGM_RSRC2:SCRATCH_EN: 0
; COMPUTE_PGM_RSRC2:USER_SGPR: 2
; COMPUTE_PGM_RSRC2:TRAP_HANDLER: 0
; COMPUTE_PGM_RSRC2:TGID_X_EN: 1
; COMPUTE_PGM_RSRC2:TGID_Y_EN: 1
; COMPUTE_PGM_RSRC2:TGID_Z_EN: 0
; COMPUTE_PGM_RSRC2:TIDIG_COMP_CNT: 0
; COMPUTE_PGM_RSRC3_GFX90A:ACCUM_OFFSET: 31
; COMPUTE_PGM_RSRC3_GFX90A:TG_SPLIT: 0
	.section	.text._Z39paged_attention_ll4mi_QKV_mfma16_kernelI14__hip_bfloat16S0_LN4vllm18Fp8KVCacheDataTypeE0ES0_Li16ELi128ELi256ELb1ELi1EEvPKT_PKT0_S8_ifPKiSA_SA_iPKfiiiPfSD_PS3_PT2_iSC_SC_,"axG",@progbits,_Z39paged_attention_ll4mi_QKV_mfma16_kernelI14__hip_bfloat16S0_LN4vllm18Fp8KVCacheDataTypeE0ES0_Li16ELi128ELi256ELb1ELi1EEvPKT_PKT0_S8_ifPKiSA_SA_iPKfiiiPfSD_PS3_PT2_iSC_SC_,comdat
	.protected	_Z39paged_attention_ll4mi_QKV_mfma16_kernelI14__hip_bfloat16S0_LN4vllm18Fp8KVCacheDataTypeE0ES0_Li16ELi128ELi256ELb1ELi1EEvPKT_PKT0_S8_ifPKiSA_SA_iPKfiiiPfSD_PS3_PT2_iSC_SC_ ; -- Begin function _Z39paged_attention_ll4mi_QKV_mfma16_kernelI14__hip_bfloat16S0_LN4vllm18Fp8KVCacheDataTypeE0ES0_Li16ELi128ELi256ELb1ELi1EEvPKT_PKT0_S8_ifPKiSA_SA_iPKfiiiPfSD_PS3_PT2_iSC_SC_
	.globl	_Z39paged_attention_ll4mi_QKV_mfma16_kernelI14__hip_bfloat16S0_LN4vllm18Fp8KVCacheDataTypeE0ES0_Li16ELi128ELi256ELb1ELi1EEvPKT_PKT0_S8_ifPKiSA_SA_iPKfiiiPfSD_PS3_PT2_iSC_SC_
	.p2align	8
	.type	_Z39paged_attention_ll4mi_QKV_mfma16_kernelI14__hip_bfloat16S0_LN4vllm18Fp8KVCacheDataTypeE0ES0_Li16ELi128ELi256ELb1ELi1EEvPKT_PKT0_S8_ifPKiSA_SA_iPKfiiiPfSD_PS3_PT2_iSC_SC_,@function
_Z39paged_attention_ll4mi_QKV_mfma16_kernelI14__hip_bfloat16S0_LN4vllm18Fp8KVCacheDataTypeE0ES0_Li16ELi128ELi256ELb1ELi1EEvPKT_PKT0_S8_ifPKiSA_SA_iPKfiiiPfSD_PS3_PT2_iSC_SC_: ; @_Z39paged_attention_ll4mi_QKV_mfma16_kernelI14__hip_bfloat16S0_LN4vllm18Fp8KVCacheDataTypeE0ES0_Li16ELi128ELi256ELb1ELi1EEvPKT_PKT0_S8_ifPKiSA_SA_iPKfiiiPfSD_PS3_PT2_iSC_SC_
; %bb.0:
	s_load_dwordx2 s[8:9], s[0:1], 0x30
	s_mov_b32 s28, s3
	s_mov_b64 s[6:7], 0
	s_waitcnt lgkmcnt(0)
	s_cmp_lg_u64 s[8:9], 0
	s_cselect_b64 s[10:11], -1, 0
	s_and_b64 vcc, exec, s[10:11]
	s_cbranch_vccz .LBB656_7
; %bb.1:
	s_add_i32 s12, s2, 1
	s_mov_b32 s13, 0
	s_lshl_b64 s[14:15], s[12:13], 2
	s_add_u32 s14, s8, s14
	s_mov_b32 s3, s13
	s_addc_u32 s15, s9, s15
	s_lshl_b64 s[12:13], s[2:3], 2
	s_add_u32 s12, s8, s12
	s_addc_u32 s13, s9, s13
	s_load_dword s5, s[14:15], 0x0
	s_load_dword s16, s[12:13], 0x0
	s_waitcnt lgkmcnt(0)
	s_sub_i32 s5, s5, s16
	s_cmp_eq_u32 s5, 1
	s_cselect_b64 s[12:13], -1, 0
	s_andn2_b64 vcc, exec, s[6:7]
	s_cbranch_vccnz .LBB656_3
.LBB656_2:
	s_mov_b32 s3, 0
	s_mov_b64 s[12:13], -1
.LBB656_3:
	s_andn2_b64 vcc, exec, s[12:13]
	s_cbranch_vccnz .LBB656_19
; %bb.4:
	s_load_dwordx2 s[6:7], s[0:1], 0x28
	s_lshl_b64 s[12:13], s[2:3], 2
	s_waitcnt lgkmcnt(0)
	s_add_u32 s6, s6, s12
	s_addc_u32 s7, s7, s13
	s_load_dword s29, s[6:7], 0x0
	s_lshl_b32 s18, s28, 8
	s_waitcnt lgkmcnt(0)
	s_cmp_ge_i32 s18, s29
	s_cbranch_scc1 .LBB656_19
; %bb.5:
	s_load_dwordx2 s[6:7], s[0:1], 0x20
	s_load_dword s5, s[0:1], 0x38
	s_add_i32 s14, s29, 15
	s_ashr_i32 s15, s14, 31
	v_and_b32_e32 v1, 0xcf, v0
	s_lshr_b32 s15, s15, 28
	v_add_u32_e32 v1, s18, v1
	s_add_i32 s14, s14, s15
	v_ashrrev_i32_e32 v2, 31, v1
	s_ashr_i32 s19, s14, 4
	v_lshrrev_b32_e32 v4, 28, v2
	s_add_i32 s19, s19, -1
	s_waitcnt lgkmcnt(0)
	s_mul_i32 s14, s2, s5
	s_mov_b32 s15, 0
	v_add_u32_e32 v2, v1, v4
	s_lshl_b64 s[14:15], s[14:15], 2
	v_ashrrev_i32_e32 v2, 4, v2
	v_mov_b32_e32 v5, s19
	v_cmp_gt_i32_e32 vcc, s29, v1
	s_add_u32 s6, s6, s14
	s_addc_u32 s7, s7, s15
	v_cndmask_b32_e32 v2, v5, v2, vcc
	v_ashrrev_i32_e32 v3, 31, v2
	v_lshl_add_u64 v[6:7], v[2:3], 2, s[6:7]
	v_or_b32_e32 v2, 16, v1
	v_add_u32_e32 v3, v2, v4
	v_ashrrev_i32_e32 v3, 4, v3
	v_cmp_gt_i32_e32 vcc, s29, v2
	s_load_dwordx2 s[14:15], s[0:1], 0x8
	s_nop 0
	v_cndmask_b32_e32 v2, v5, v3, vcc
	v_ashrrev_i32_e32 v3, 31, v2
	v_lshl_add_u64 v[8:9], v[2:3], 2, s[6:7]
	v_or_b32_e32 v2, 32, v1
	v_add_u32_e32 v3, v2, v4
	v_ashrrev_i32_e32 v3, 4, v3
	v_cmp_gt_i32_e32 vcc, s29, v2
	v_or_b32_e32 v1, 48, v1
	s_nop 0
	v_cndmask_b32_e32 v2, v5, v3, vcc
	v_ashrrev_i32_e32 v3, 31, v2
	v_lshl_add_u64 v[10:11], v[2:3], 2, s[6:7]
	v_add_u32_e32 v2, v1, v4
	v_ashrrev_i32_e32 v2, 4, v2
	v_cmp_gt_i32_e32 vcc, s29, v1
	s_nop 1
	v_cndmask_b32_e32 v2, v5, v2, vcc
	v_ashrrev_i32_e32 v3, 31, v2
	v_lshl_add_u64 v[12:13], v[2:3], 2, s[6:7]
	global_load_dword v5, v[6:7], off
	global_load_dword v4, v[8:9], off
	;; [unrolled: 1-line block ×4, first 2 shown]
	s_andn2_b64 vcc, exec, s[10:11]
	s_cbranch_vccnz .LBB656_8
; %bb.6:
	s_add_u32 s8, s8, s12
	s_addc_u32 s9, s9, s13
	s_load_dword s5, s[8:9], 0x0
	s_branch .LBB656_9
.LBB656_7:
	s_mov_b64 s[12:13], 0
	s_branch .LBB656_2
.LBB656_8:
	s_mov_b32 s5, s2
.LBB656_9:
	s_load_dwordx2 s[12:13], s[0:1], 0x10
	s_load_dwordx4 s[8:11], s[0:1], 0x48
	v_lshrrev_b32_e32 v87, 6, v0
	v_bfe_u32 v84, v0, 4, 2
	v_and_b32_e32 v85, 15, v0
	v_lshl_or_b32 v1, v87, 2, v84
	v_lshlrev_b32_e32 v6, 3, v85
	v_cmp_eq_u32_e32 vcc, 0, v1
	v_lshlrev_b32_e32 v1, 1, v6
	scratch_store_dword off, v1, off        ; 4-byte Folded Spill
	s_and_saveexec_b64 s[16:17], vcc
	s_cbranch_execz .LBB656_11
; %bb.10:
	scratch_load_dword v1, off, off         ; 4-byte Folded Reload
	s_load_dwordx2 s[20:21], s[0:1], 0x0
	s_waitcnt lgkmcnt(0)
	s_ashr_i32 s11, s8, 31
	s_mul_hi_u32 s22, s5, s8
	s_mul_i32 s11, s5, s11
	s_add_i32 s23, s22, s11
	s_mul_i32 s22, s5, s8
	s_lshl_b64 s[22:23], s[22:23], 1
	s_add_u32 s5, s20, s22
	s_addc_u32 s8, s21, s23
	s_lshl_b32 s20, s4, 7
	s_ashr_i32 s21, s20, 31
	s_lshl_b64 s[20:21], s[20:21], 1
	s_add_u32 s20, s5, s20
	s_addc_u32 s21, s8, s21
	v_and_b32_e32 v10, 3, v0
	v_lshlrev_b32_e32 v11, 9, v85
	v_lshlrev_b32_e32 v10, 9, v10
	s_movk_i32 s5, 0x1800
	v_and_or_b32 v10, v11, s5, v10
	s_waitcnt vmcnt(0)
	global_load_dwordx4 v[6:9], v1, s[20:21]
	s_waitcnt vmcnt(0)
	ds_write_b128 v10, v[6:9]
.LBB656_11:
	s_or_b64 exec, exec, s[16:17]
	s_waitcnt lgkmcnt(0)
	s_mul_i32 s10, s4, s10
	s_mov_b32 s11, 0
	s_lshl_b64 s[10:11], s[10:11], 1
	s_add_u32 s14, s14, s10
	v_lshlrev_b32_e32 v1, 4, v0
	s_addc_u32 s15, s15, s11
	v_and_b32_e32 v82, 0xf0, v1
	v_mov_b32_e32 v83, 0
	v_lshl_add_u64 v[6:7], s[14:15], 0, v[82:83]
	s_waitcnt vmcnt(4)
	v_mad_i64_i32 v[8:9], s[14:15], v5, s9, 0
	s_waitcnt vmcnt(3)
	v_mad_i64_i32 v[4:5], s[14:15], v4, s9, 0
	v_lshl_add_u64 v[8:9], v[8:9], 1, v[6:7]
	v_and_b32_e32 v82, 0x300, v1
	v_lshl_add_u64 v[4:5], v[4:5], 1, v[6:7]
	v_lshl_add_u64 v[8:9], v[8:9], 0, v[82:83]
	;; [unrolled: 1-line block ×3, first 2 shown]
	s_barrier
	global_load_dwordx4 v[78:81], v[8:9], off
	global_load_dwordx4 v[74:77], v[8:9], off offset:1024
	global_load_dwordx4 v[70:73], v[8:9], off offset:2048
	;; [unrolled: 1-line block ×3, first 2 shown]
	global_load_dwordx4 v[66:69], v[4:5], off
	global_load_dwordx4 v[62:65], v[4:5], off offset:1024
	global_load_dwordx4 v[58:61], v[4:5], off offset:2048
	global_load_dwordx4 v[18:21], v[4:5], off offset:3072
	s_waitcnt vmcnt(10)
	v_mad_i64_i32 v[4:5], s[14:15], v3, s9, 0
	s_waitcnt vmcnt(9)
	v_mad_i64_i32 v[2:3], s[14:15], v2, s9, 0
	v_lshl_add_u64 v[4:5], v[4:5], 1, v[6:7]
	v_lshl_add_u64 v[2:3], v[2:3], 1, v[6:7]
	v_lshl_add_u64 v[4:5], v[4:5], 0, v[82:83]
	v_lshl_add_u64 v[6:7], v[2:3], 0, v[82:83]
	global_load_dwordx4 v[54:57], v[4:5], off
	global_load_dwordx4 v[30:33], v[4:5], off offset:1024
	global_load_dwordx4 v[26:29], v[4:5], off offset:2048
	;; [unrolled: 1-line block ×3, first 2 shown]
	global_load_dwordx4 v[10:13], v[6:7], off
	s_nop 0
	global_load_dwordx4 v[2:5], v[6:7], off offset:1024
	global_load_dwordx4 v[42:45], v[6:7], off offset:2048
	global_load_dwordx4 v[34:37], v[6:7], off offset:3072
	v_lshlrev_b32_e32 v38, 9, v84
	ds_read_b128 v[50:53], v38
	ds_read_b128 v[6:9], v38 offset:2048
	ds_read_b128 v[46:49], v38 offset:4096
	;; [unrolled: 1-line block ×3, first 2 shown]
	v_and_b32_e32 v88, 63, v0
	v_cmp_eq_u32_e32 vcc, 0, v85
	v_mov_b32_e32 v89, 0
	s_and_saveexec_b64 s[14:15], vcc
	s_cbranch_execz .LBB656_13
; %bb.12:
	s_load_dwordx2 s[16:17], s[0:1], 0x40
	s_ashr_i32 s5, s4, 31
	s_lshl_b64 s[20:21], s[4:5], 2
	s_waitcnt lgkmcnt(0)
	s_add_u32 s16, s16, s20
	s_addc_u32 s17, s17, s21
	s_load_dword s5, s[16:17], 0x0
	s_waitcnt lgkmcnt(0)
	v_mov_b32_e32 v89, s5
.LBB656_13:
	s_or_b64 exec, exec, s[14:15]
	s_waitcnt vmcnt(15) lgkmcnt(3)
	v_mfma_f32_16x16x16_bf16 v[90:93], v[78:79], v[50:51], 0
	s_add_u32 s10, s12, s10
	s_addc_u32 s11, s13, s11
	s_mov_b32 s5, 0xff7fffff
	v_mfma_f32_16x16x16_bf16 v[78:81], v[80:81], v[52:53], v[90:93]
	s_waitcnt vmcnt(14) lgkmcnt(2)
	v_mfma_f32_16x16x16_bf16 v[78:81], v[74:75], v[6:7], v[78:81]
	s_nop 0
	v_lshl_or_b32 v90, v87, 4, v85
	v_lshlrev_b32_e32 v82, 5, v90
	v_mfma_f32_16x16x16_bf16 v[74:77], v[76:77], v[8:9], v[78:81]
	s_waitcnt vmcnt(13) lgkmcnt(1)
	v_mfma_f32_16x16x16_bf16 v[74:77], v[70:71], v[46:47], v[74:77]
	v_mfma_f32_16x16x16_bf16 v[70:73], v[72:73], v[48:49], v[74:77]
	s_waitcnt vmcnt(11)
	v_mfma_f32_16x16x16_bf16 v[74:77], v[66:67], v[50:51], 0
	v_mfma_f32_16x16x16_bf16 v[66:69], v[68:69], v[52:53], v[74:77]
	s_nop 5
	v_and_or_b32 v74, v0, 48, s18
	s_waitcnt lgkmcnt(0)
	v_mfma_f32_16x16x16_bf16 v[70:73], v[14:15], v[38:39], v[70:73]
	v_ashrrev_i32_e32 v14, 4, v74
	v_mov_b32_e32 v75, s19
	v_cmp_gt_i32_e32 vcc, s29, v74
	s_waitcnt vmcnt(10)
	v_mfma_f32_16x16x16_bf16 v[66:69], v[62:63], v[6:7], v[66:69]
	v_cndmask_b32_e32 v14, v75, v14, vcc
	v_ashrrev_i32_e32 v15, 31, v14
	v_lshl_add_u64 v[14:15], v[14:15], 2, s[6:7]
	global_load_dword v76, v[14:15], off
	v_mfma_f32_16x16x16_bf16 v[62:65], v[64:65], v[8:9], v[66:69]
	v_or_b32_e32 v14, 64, v74
	v_ashrrev_i32_e32 v15, 4, v14
	v_cmp_gt_i32_e32 vcc, s29, v14
	s_waitcnt vmcnt(10)
	v_mfma_f32_16x16x16_bf16 v[62:65], v[58:59], v[46:47], v[62:65]
	v_cndmask_b32_e32 v14, v75, v15, vcc
	v_ashrrev_i32_e32 v15, 31, v14
	v_lshl_add_u64 v[14:15], v[14:15], 2, s[6:7]
	global_load_dword v77, v[14:15], off
	v_or_b32_e32 v14, 0x80, v74
	v_mfma_f32_16x16x16_bf16 v[58:61], v[60:61], v[48:49], v[62:65]
	v_ashrrev_i32_e32 v15, 4, v14
	v_cmp_gt_i32_e32 vcc, s29, v14
	s_waitcnt vmcnt(9)
	v_mfma_f32_16x16x16_bf16 v[62:65], v[54:55], v[50:51], 0
	v_cndmask_b32_e32 v14, v75, v15, vcc
	v_ashrrev_i32_e32 v15, 31, v14
	v_lshl_add_u64 v[14:15], v[14:15], 2, s[6:7]
	v_mfma_f32_16x16x16_bf16 v[54:57], v[56:57], v[52:53], v[62:65]
	s_nop 2
	global_load_dword v62, v[14:15], off
	v_or_b32_e32 v14, 0xc0, v74
	v_ashrrev_i32_e32 v15, 4, v14
	v_cmp_gt_i32_e32 vcc, s29, v14
	s_waitcnt vmcnt(9)
	v_mfma_f32_16x16x16_bf16 v[54:57], v[30:31], v[6:7], v[54:57]
	v_cndmask_b32_e32 v14, v75, v15, vcc
	v_ashrrev_i32_e32 v15, 31, v14
	v_lshl_add_u64 v[14:15], v[14:15], 2, s[6:7]
	global_load_dword v74, v[14:15], off
	v_mfma_f32_16x16x16_bf16 v[30:33], v[32:33], v[8:9], v[54:57]
	s_load_dword s6, s[0:1], 0x1c
	s_waitcnt vmcnt(3)
	v_mad_i64_i32 v[14:15], s[12:13], v76, s9, 0
	v_mfma_f32_16x16x16_bf16 v[30:33], v[26:27], v[46:47], v[30:33]
	v_mfma_f32_16x16x16_bf16 v[54:57], v[18:19], v[38:39], v[58:61]
	;; [unrolled: 1-line block ×4, first 2 shown]
	s_nop 1
	v_lshl_add_u64 v[70:71], s[10:11], 0, v[82:83]
	s_waitcnt lgkmcnt(0)
	s_nop 1
	v_pk_mul_f32 v[78:79], s[6:7], v[60:61] op_sel_hi:[0,1]
	v_or_b32_e32 v82, 0x800, v82
	v_lshlrev_b64 v[56:57], 1, v[14:15]
	v_mfma_f32_16x16x16_bf16 v[14:17], v[28:29], v[48:49], v[30:33]
	v_lshl_add_u64 v[18:19], v[70:71], 0, v[56:57]
	s_nop 1
	global_load_dwordx4 v[30:33], v[18:19], off
	global_load_dwordx4 v[26:29], v[18:19], off offset:16
	s_waitcnt vmcnt(4)
	v_mad_i64_i32 v[18:19], s[12:13], v77, s9, 0
	v_mfma_f32_16x16x16_bf16 v[14:17], v[22:23], v[38:39], v[14:17]
	v_lshlrev_b64 v[54:55], 1, v[18:19]
	v_pk_mul_f32 v[76:77], s[6:7], v[66:67] op_sel_hi:[0,1]
	v_mfma_f32_16x16x16_bf16 v[92:95], v[24:25], v[40:41], v[14:17]
	s_nop 3
	v_lshl_add_u64 v[14:15], v[70:71], 0, v[54:55]
	global_load_dwordx4 v[22:25], v[14:15], off
	global_load_dwordx4 v[18:21], v[14:15], off offset:16
	v_mfma_f32_16x16x16_bf16 v[14:17], v[10:11], v[50:51], 0
	s_waitcnt vmcnt(5)
	v_mad_i64_i32 v[10:11], s[12:13], v62, s9, 0
	v_lshlrev_b64 v[50:51], 1, v[10:11]
	v_mfma_f32_16x16x16_bf16 v[62:65], v[12:13], v[52:53], v[14:17]
	v_lshl_add_u64 v[10:11], v[70:71], 0, v[50:51]
	s_nop 1
	global_load_dwordx4 v[14:17], v[10:11], off
	s_nop 0
	global_load_dwordx4 v[10:13], v[10:11], off offset:16
	v_mfma_f32_16x16x16_bf16 v[62:65], v[2:3], v[6:7], v[62:65]
	s_waitcnt vmcnt(6)
	v_mad_i64_i32 v[2:3], s[8:9], v74, s9, 0
	v_lshlrev_b64 v[52:53], 1, v[2:3]
	v_mfma_f32_16x16x16_bf16 v[62:65], v[4:5], v[8:9], v[62:65]
	v_lshl_add_u64 v[2:3], v[70:71], 0, v[52:53]
	v_pk_mul_f32 v[74:75], s[6:7], v[68:69] op_sel_hi:[0,1]
	global_load_dwordx4 v[6:9], v[2:3], off
	s_nop 0
	global_load_dwordx4 v[2:5], v[2:3], off offset:16
	v_mfma_f32_16x16x16_bf16 v[70:73], v[42:43], v[46:47], v[62:65]
	v_mfma_f32_16x16x16_bf16 v[44:47], v[44:45], v[48:49], v[70:73]
	s_nop 1
	v_pk_mul_f32 v[62:63], s[6:7], v[58:59] op_sel_hi:[0,1]
	v_lshl_add_u64 v[64:65], s[10:11], 0, v[82:83]
	v_lshl_add_u64 v[42:43], v[64:65], 0, v[56:57]
	v_mfma_f32_16x16x16_bf16 v[44:47], v[34:35], v[38:39], v[44:47]
	v_pk_mul_f32 v[70:71], s[6:7], v[94:95] op_sel_hi:[0,1]
	v_pk_mul_f32 v[72:73], s[6:7], v[92:93] op_sel_hi:[0,1]
	v_lshl_add_u64 v[50:51], v[64:65], 0, v[50:51]
	v_mfma_f32_16x16x16_bf16 v[34:37], v[36:37], v[40:41], v[44:47]
	s_nop 6
	v_pk_mul_f32 v[68:69], s[6:7], v[34:35] op_sel_hi:[0,1]
	v_and_b32_e32 v34, 0xc0, v0
	v_add_u32_e32 v34, s18, v34
	v_lshl_or_b32 v34, v84, 2, v34
	v_or_b32_e32 v35, 1, v34
	v_pk_mul_f32 v[66:67], s[6:7], v[36:37] op_sel_hi:[0,1]
	v_subrev_u32_e32 v36, s29, v35
	v_add_u32_e32 v38, 1, v36
	v_add_u32_e32 v39, 2, v36
	v_cvt_f32_i32_e32 v37, v36
	v_cvt_f32_i32_e32 v38, v38
	;; [unrolled: 1-line block ×3, first 2 shown]
	v_add_u32_e32 v40, 3, v36
	v_fma_f32 v62, v89, v37, v62
	v_fmac_f32_e32 v63, v89, v38
	v_fma_f32 v78, v89, v39, v78
	v_add_u32_e32 v37, 16, v36
	v_add_u32_e32 v38, 17, v36
	;; [unrolled: 1-line block ×3, first 2 shown]
	v_cvt_f32_i32_e32 v40, v40
	v_cvt_f32_i32_e32 v37, v37
	;; [unrolled: 1-line block ×4, first 2 shown]
	v_fmac_f32_e32 v79, v89, v40
	v_add_u32_e32 v40, 19, v36
	v_fma_f32 v76, v89, v37, v76
	v_fmac_f32_e32 v77, v89, v38
	v_fma_f32 v74, v89, v39, v74
	v_add_u32_e32 v37, 32, v36
	v_add_u32_e32 v38, 33, v36
	;; [unrolled: 1-line block ×3, first 2 shown]
	v_cvt_f32_i32_e32 v40, v40
	v_cvt_f32_i32_e32 v37, v37
	;; [unrolled: 1-line block ×4, first 2 shown]
	v_fmac_f32_e32 v75, v89, v40
	v_add_u32_e32 v40, 35, v36
	v_fma_f32 v72, v89, v37, v72
	v_fmac_f32_e32 v73, v89, v38
	v_fma_f32 v70, v89, v39, v70
	v_add_u32_e32 v37, 48, v36
	v_add_u32_e32 v38, 49, v36
	;; [unrolled: 1-line block ×4, first 2 shown]
	v_cvt_f32_i32_e32 v36, v36
	v_cvt_f32_i32_e32 v37, v37
	;; [unrolled: 1-line block ×3, first 2 shown]
	v_cmp_gt_i32_e64 s[30:31], s29, v34
	v_fmac_f32_e32 v67, v89, v36
	v_mov_b32_e32 v36, 0xff7fffff
	v_cmp_gt_i32_e64 s[34:35], s29, v35
	v_fma_f32 v68, v89, v37, v68
	v_cndmask_b32_e64 v37, v36, v62, s[30:31]
	v_cndmask_b32_e64 v35, v36, v63, s[34:35]
	v_fmac_f32_e32 v69, v89, v38
	v_max3_f32 v35, v37, s5, v35
	v_or_b32_e32 v37, 2, v34
	v_or_b32_e32 v38, 3, v34
	v_cmp_gt_i32_e64 s[36:37], s29, v37
	v_cmp_gt_i32_e64 s[38:39], s29, v38
	v_cvt_f32_i32_e32 v40, v40
	v_cndmask_b32_e64 v37, v36, v78, s[36:37]
	v_cndmask_b32_e64 v38, v36, v79, s[38:39]
	v_max3_f32 v35, v35, v37, v38
	v_or_b32_e32 v37, 16, v34
	v_or_b32_e32 v38, 17, v34
	v_cmp_gt_i32_e64 s[24:25], s29, v37
	v_cmp_gt_i32_e64 s[26:27], s29, v38
	v_fmac_f32_e32 v71, v89, v40
	v_cndmask_b32_e64 v37, v36, v76, s[24:25]
	v_cndmask_b32_e64 v38, v36, v77, s[26:27]
	v_max3_f32 v35, v35, v37, v38
	v_or_b32_e32 v37, 18, v34
	v_or_b32_e32 v38, 19, v34
	v_cmp_gt_i32_e64 s[20:21], s29, v37
	v_cmp_gt_i32_e64 s[22:23], s29, v38
	v_cvt_f32_i32_e32 v39, v39
	v_cndmask_b32_e64 v37, v36, v74, s[20:21]
	v_cndmask_b32_e64 v38, v36, v75, s[22:23]
	v_max3_f32 v35, v35, v37, v38
	v_or_b32_e32 v37, 32, v34
	v_or_b32_e32 v38, 33, v34
	v_cmp_gt_i32_e64 s[16:17], s29, v37
	v_cmp_gt_i32_e64 s[18:19], s29, v38
	v_fma_f32 v66, v89, v39, v66
	v_cndmask_b32_e64 v37, v36, v72, s[16:17]
	v_cndmask_b32_e64 v38, v36, v73, s[18:19]
	v_max3_f32 v35, v35, v37, v38
	v_or_b32_e32 v37, 34, v34
	v_or_b32_e32 v38, 35, v34
	v_cmp_gt_i32_e64 s[12:13], s29, v37
	v_cmp_gt_i32_e64 s[14:15], s29, v38
	s_nop 0
	v_cndmask_b32_e64 v37, v36, v70, s[12:13]
	v_cndmask_b32_e64 v38, v36, v71, s[14:15]
	v_max3_f32 v35, v35, v37, v38
	v_or_b32_e32 v37, 48, v34
	v_or_b32_e32 v38, 49, v34
	v_cmp_gt_i32_e64 s[8:9], s29, v37
	v_cmp_gt_i32_e64 s[10:11], s29, v38
	s_nop 0
	v_cndmask_b32_e64 v37, v36, v68, s[8:9]
	v_cndmask_b32_e64 v38, v36, v69, s[10:11]
	v_max3_f32 v35, v35, v37, v38
	v_or_b32_e32 v37, 50, v34
	v_or_b32_e32 v34, 51, v34
	v_cmp_gt_i32_e32 vcc, s29, v37
	v_cmp_gt_i32_e64 s[6:7], s29, v34
	global_load_dwordx4 v[46:49], v[42:43], off
	global_load_dwordx4 v[38:41], v[42:43], off offset:16
	v_cndmask_b32_e32 v37, v36, v66, vcc
	v_cndmask_b32_e64 v34, v36, v67, s[6:7]
	v_max3_f32 v56, v35, v37, v34
	v_mbcnt_lo_u32_b32 v34, -1, 0
	v_mbcnt_hi_u32_b32 v57, -1, v34
	v_and_b32_e32 v34, 64, v57
	v_add_u32_e32 v58, 64, v34
	v_xor_b32_e32 v34, 32, v57
	v_cmp_lt_i32_e64 s[40:41], v34, v58
	s_nop 1
	v_cndmask_b32_e64 v34, v57, v34, s[40:41]
	v_lshlrev_b32_e32 v83, 2, v34
	ds_bpermute_b32 v59, v83, v56
	v_lshl_add_u64 v[34:35], v[64:65], 0, v[54:55]
	global_load_dwordx4 v[42:45], v[34:35], off
	s_nop 0
	global_load_dwordx4 v[34:37], v[34:35], off offset:16
	s_waitcnt lgkmcnt(0)
	v_max_f32_e32 v54, v59, v59
	v_max_f32_e32 v80, v56, v54
	v_xor_b32_e32 v54, 16, v57
	v_cmp_lt_i32_e64 s[40:41], v54, v58
	s_nop 1
	v_cndmask_b32_e64 v54, v57, v54, s[40:41]
	v_lshlrev_b32_e32 v89, 2, v54
	ds_bpermute_b32 v81, v89, v80
	global_load_dwordx4 v[58:61], v[50:51], off
	global_load_dwordx4 v[54:57], v[50:51], off offset:16
	v_lshl_add_u64 v[50:51], v[64:65], 0, v[52:53]
	s_waitcnt lgkmcnt(0)
	v_max_f32_e32 v52, v81, v81
	v_max_f32_e32 v82, v80, v52
	v_sub_f32_e32 v52, v62, v82
	v_mul_f32_e32 v52, 0x3fb8aa3b, v52
	v_exp_f32_e32 v80, v52
	v_sub_f32_e32 v52, v63, v82
	v_mul_f32_e32 v52, 0x3fb8aa3b, v52
	v_exp_f32_e32 v81, v52
	global_load_dwordx4 v[62:65], v[50:51], off
	s_nop 0
	global_load_dwordx4 v[50:53], v[50:51], off offset:16
	v_sub_f32_e32 v78, v78, v82
	v_mul_f32_e32 v78, 0x3fb8aa3b, v78
	v_sub_f32_e32 v79, v79, v82
	v_exp_f32_e32 v78, v78
	v_mul_f32_e32 v79, 0x3fb8aa3b, v79
	v_sub_f32_e32 v76, v76, v82
	v_exp_f32_e32 v79, v79
	v_mul_f32_e32 v76, 0x3fb8aa3b, v76
	v_sub_f32_e32 v77, v77, v82
	v_cndmask_b32_e64 v80, 0, v80, s[30:31]
	v_exp_f32_e32 v76, v76
	v_mul_f32_e32 v77, 0x3fb8aa3b, v77
	v_sub_f32_e32 v74, v74, v82
	v_add_f32_e32 v91, 0, v80
	v_cndmask_b32_e64 v81, 0, v81, s[34:35]
	v_exp_f32_e32 v77, v77
	v_mul_f32_e32 v74, 0x3fb8aa3b, v74
	v_sub_f32_e32 v75, v75, v82
	v_add_f32_e32 v91, v91, v81
	;; [unrolled: 5-line block ×10, first 2 shown]
	v_cndmask_b32_e64 v70, 0, v70, s[12:13]
	v_exp_f32_e32 v66, v66
	v_mul_f32_e32 v67, 0x3fb8aa3b, v67
	v_add_f32_e32 v91, v91, v70
	v_cndmask_b32_e64 v71, 0, v71, s[14:15]
	v_exp_f32_e32 v67, v67
	v_add_f32_e32 v91, v91, v71
	v_cndmask_b32_e64 v68, 0, v68, s[8:9]
	v_add_f32_e32 v91, v91, v68
	v_cndmask_b32_e64 v69, 0, v69, s[10:11]
	v_add_f32_e32 v91, v91, v69
	v_cndmask_b32_e32 v66, 0, v66, vcc
	v_add_f32_e32 v91, v91, v66
	v_cndmask_b32_e64 v67, 0, v67, s[6:7]
	v_add_f32_e32 v91, v91, v67
	ds_bpermute_b32 v83, v83, v91
	v_cmp_lt_u32_e64 s[6:7], 15, v88
	v_cmp_gt_u32_e32 vcc, 16, v88
	s_waitcnt lgkmcnt(0)
	s_barrier
	v_add_f32_e32 v83, v91, v83
	ds_bpermute_b32 v89, v89, v83
	s_waitcnt lgkmcnt(0)
	s_and_saveexec_b64 s[8:9], vcc
	s_cbranch_execz .LBB656_15
; %bb.14:
	v_add_f32_e32 v83, v83, v89
	v_lshlrev_b32_e32 v88, 2, v90
	ds_write2st64_b32 v88, v82, v83 offset1:1
.LBB656_15:
	s_or_b64 exec, exec, s[8:9]
	v_lshlrev_b32_e32 v83, 2, v85
	s_load_dwordx2 s[8:9], s[0:1], 0x94
	s_waitcnt lgkmcnt(0)
	s_barrier
	ds_read2_b32 v[88:89], v83 offset1:16
	ds_read2_b32 v[90:91], v83 offset0:32 offset1:48
	ds_read2_b32 v[92:93], v83 offset0:64 offset1:80
	s_mov_b32 s12, 0x7060302
	s_waitcnt lgkmcnt(2)
	v_max3_f32 v82, v88, s5, v89
	s_waitcnt lgkmcnt(1)
	v_max3_f32 v82, v82, v90, v91
	v_sub_f32_e32 v88, v88, v82
	v_mul_f32_e32 v88, 0x3fb8aa3b, v88
	v_exp_f32_e32 v94, v88
	v_sub_f32_e32 v88, v89, v82
	v_mul_f32_e32 v88, 0x3fb8aa3b, v88
	v_exp_f32_e32 v95, v88
	;; [unrolled: 3-line block ×3, first 2 shown]
	ds_read2_b32 v[88:89], v83 offset0:96 offset1:112
	v_sub_f32_e32 v83, v91, v82
	v_mul_f32_e32 v83, 0x3fb8aa3b, v83
	v_exp_f32_e32 v91, v83
	s_waitcnt lgkmcnt(1)
	v_fma_f32 v83, v94, v92, 0
	v_fmac_f32_e32 v83, v95, v93
	s_waitcnt lgkmcnt(0)
	v_fmac_f32_e32 v83, v90, v88
	v_fmac_f32_e32 v83, v91, v89
	v_add_f32_e32 v89, 0x358637bd, v83
	v_div_scale_f32 v92, s[10:11], v89, v89, 1.0
	v_rcp_f32_e32 v93, v92
	s_movk_i32 s5, 0x7fff
	v_mov_b32_e32 v88, 0
	v_fma_f32 v1, -v92, v93, 1.0
	v_fmac_f32_e32 v93, v1, v93
	v_div_scale_f32 v1, vcc, 1.0, v89, 1.0
	v_mul_f32_e32 v86, v1, v93
	v_fma_f32 v84, -v92, v86, v1
	v_fmac_f32_e32 v86, v84, v93
	v_fma_f32 v1, -v92, v86, v1
	v_div_fmas_f32 v1, v1, v93, v86
	v_cmp_eq_u32_e32 vcc, 1, v87
	v_div_fixup_f32 v1, v1, v89, 1.0
	v_bfe_u32 v86, v0, 4, 2
	v_cndmask_b32_e32 v84, v94, v95, vcc
	v_cmp_eq_u32_e32 vcc, 2, v87
	s_barrier
	s_nop 0
	v_cndmask_b32_e32 v84, v84, v90, vcc
	v_cmp_eq_u32_e32 vcc, 3, v87
	s_nop 1
	v_cndmask_b32_e32 v84, v84, v91, vcc
	v_mul_f32_e32 v90, v84, v1
	v_pk_mul_f32 v[80:81], v[90:91], v[80:81] op_sel_hi:[0,1]
	v_bfe_u32 v1, v81, 16, 1
	v_bfe_u32 v84, v80, 16, 1
	v_pk_mul_f32 v[78:79], v[90:91], v[78:79] op_sel_hi:[0,1]
	v_add3_u32 v80, v80, v84, s5
	v_add3_u32 v1, v81, v1, s5
	v_perm_b32 v80, v1, v80, s12
	v_bfe_u32 v1, v79, 16, 1
	v_bfe_u32 v81, v78, 16, 1
	v_add3_u32 v78, v78, v81, s5
	v_add3_u32 v1, v79, v1, s5
	v_perm_b32 v81, v1, v78, s12
	v_lshlrev_b32_e32 v1, 3, v86
	v_lshlrev_b32_e32 v79, 5, v85
	;; [unrolled: 1-line block ×3, first 2 shown]
	v_pk_mul_f32 v[76:77], v[90:91], v[76:77] op_sel_hi:[0,1]
	v_or3_b32 v78, v78, v79, v1
	v_bfe_u32 v1, v77, 16, 1
	v_bfe_u32 v84, v76, 16, 1
	v_pk_mul_f32 v[74:75], v[90:91], v[74:75] op_sel_hi:[0,1]
	v_add3_u32 v76, v76, v84, s5
	v_add3_u32 v1, v77, v1, s5
	v_perm_b32 v76, v1, v76, s12
	v_bfe_u32 v1, v75, 16, 1
	v_bfe_u32 v77, v74, 16, 1
	v_add3_u32 v74, v74, v77, s5
	v_add3_u32 v1, v75, v1, s5
	v_pk_mul_f32 v[72:73], v[90:91], v[72:73] op_sel_hi:[0,1]
	v_perm_b32 v77, v1, v74, s12
	v_bfe_u32 v1, v73, 16, 1
	v_bfe_u32 v74, v72, 16, 1
	v_pk_mul_f32 v[70:71], v[90:91], v[70:71] op_sel_hi:[0,1]
	v_add3_u32 v72, v72, v74, s5
	v_add3_u32 v1, v73, v1, s5
	v_perm_b32 v72, v1, v72, s12
	v_bfe_u32 v1, v71, 16, 1
	v_bfe_u32 v73, v70, 16, 1
	v_add3_u32 v70, v70, v73, s5
	v_add3_u32 v1, v71, v1, s5
	v_pk_mul_f32 v[68:69], v[90:91], v[68:69] op_sel_hi:[0,1]
	v_perm_b32 v73, v1, v70, s12
	v_bfe_u32 v1, v69, 16, 1
	v_bfe_u32 v70, v68, 16, 1
	v_pk_mul_f32 v[66:67], v[90:91], v[66:67] op_sel_hi:[0,1]
	v_add3_u32 v68, v68, v70, s5
	v_add3_u32 v1, v69, v1, s5
	v_perm_b32 v68, v1, v68, s12
	v_bfe_u32 v1, v67, 16, 1
	v_bfe_u32 v69, v66, 16, 1
	v_add3_u32 v66, v66, v69, s5
	v_add3_u32 v1, v67, v1, s5
	v_perm_b32 v69, v1, v66, s12
	v_cmp_eq_u32_e32 vcc, 0, v0
	ds_write2st64_b64 v78, v[80:81], v[76:77] offset1:1
	ds_write2st64_b64 v78, v[72:73], v[68:69] offset0:2 offset1:3
	s_and_saveexec_b64 s[10:11], vcc
	s_cbranch_execz .LBB656_17
; %bb.16:
	s_mul_i32 s3, s3, s9
	s_mul_hi_u32 s13, s2, s9
	s_add_i32 s13, s13, s3
	s_mul_i32 s3, s2, s9
	s_add_u32 s3, s3, s4
	s_addc_u32 s13, s13, 0
	s_load_dwordx4 s[16:19], s[0:1], 0x58
	s_mul_i32 s13, s13, s8
	s_mul_hi_u32 s14, s3, s8
	s_add_i32 s13, s14, s13
	s_mul_i32 s3, s3, s8
	s_add_u32 s14, s3, s28
	s_addc_u32 s15, s13, 0
	s_lshl_b64 s[14:15], s[14:15], 2
	s_waitcnt lgkmcnt(0)
	s_add_u32 s18, s18, s14
	s_addc_u32 s19, s19, s15
	s_add_u32 s14, s16, s14
	s_addc_u32 s15, s17, s15
	global_store_dword v88, v82, s[18:19]
	global_store_dword v88, v83, s[14:15]
.LBB656_17:
	s_or_b64 exec, exec, s[10:11]
	v_lshl_or_b32 v1, v86, 9, v79
	s_waitcnt lgkmcnt(0)
	s_barrier
	ds_read_b128 v[70:73], v1
	ds_read_b128 v[66:69], v1 offset:16
	s_waitcnt vmcnt(15) lgkmcnt(1)
	v_mfma_f32_16x16x16_bf16 v[74:77], v[30:31], v[70:71], 0
	v_cmp_gt_u32_e32 vcc, 64, v0
	s_xor_b64 s[6:7], s[6:7], -1
	s_mov_b32 s3, 0
	v_mfma_f32_16x16x16_bf16 v[30:33], v[32:33], v[72:73], v[74:77]
	s_and_b64 s[6:7], vcc, s[6:7]
	s_waitcnt vmcnt(14) lgkmcnt(0)
	v_mfma_f32_16x16x16_bf16 v[30:33], v[26:27], v[66:67], v[30:33]
	v_mfma_f32_16x16x16_bf16 v[26:29], v[28:29], v[68:69], v[30:33]
	s_nop 5
	ds_read_b128 v[30:33], v1 offset:2048
	ds_read_b128 v[74:77], v1 offset:2064
	s_waitcnt vmcnt(13) lgkmcnt(1)
	v_mfma_f32_16x16x16_bf16 v[26:29], v[22:23], v[30:31], v[26:29]
	v_mfma_f32_16x16x16_bf16 v[22:25], v[24:25], v[32:33], v[26:29]
	s_waitcnt vmcnt(12) lgkmcnt(0)
	v_mfma_f32_16x16x16_bf16 v[22:25], v[18:19], v[74:75], v[22:25]
	v_mfma_f32_16x16x16_bf16 v[18:21], v[20:21], v[76:77], v[22:25]
	s_nop 5
	ds_read_b128 v[22:25], v1 offset:4096
	ds_read_b128 v[26:29], v1 offset:4112
	s_waitcnt vmcnt(11) lgkmcnt(1)
	v_mfma_f32_16x16x16_bf16 v[18:21], v[14:15], v[22:23], v[18:21]
	v_mfma_f32_16x16x16_bf16 v[14:17], v[16:17], v[24:25], v[18:21]
	s_waitcnt vmcnt(10) lgkmcnt(0)
	v_mfma_f32_16x16x16_bf16 v[14:17], v[10:11], v[26:27], v[14:17]
	v_mfma_f32_16x16x16_bf16 v[10:13], v[12:13], v[28:29], v[14:17]
	s_nop 5
	ds_read_b128 v[14:17], v1 offset:6144
	ds_read_b128 v[18:21], v1 offset:6160
	s_waitcnt lgkmcnt(0)
	s_barrier
	s_waitcnt vmcnt(9)
	v_mfma_f32_16x16x16_bf16 v[10:13], v[6:7], v[14:15], v[10:13]
	v_mfma_f32_16x16x16_bf16 v[6:9], v[8:9], v[16:17], v[10:13]
	s_waitcnt vmcnt(8)
	v_mfma_f32_16x16x16_bf16 v[6:9], v[2:3], v[18:19], v[6:9]
	v_mfma_f32_16x16x16_bf16 v[2:5], v[4:5], v[20:21], v[6:9]
	;; [unrolled: 3-line block ×3, first 2 shown]
	s_nop 3
	v_bfe_u32 v1, v3, 16, 1
	v_bfe_u32 v10, v2, 16, 1
	v_add3_u32 v2, v2, v10, s5
	s_waitcnt vmcnt(6)
	v_mfma_f32_16x16x16_bf16 v[6:9], v[38:39], v[66:67], v[6:9]
	v_add3_u32 v1, v3, v1, s5
	v_perm_b32 v10, v1, v2, s12
	v_bfe_u32 v1, v5, 16, 1
	v_mfma_f32_16x16x16_bf16 v[6:9], v[40:41], v[68:69], v[6:9]
	v_bfe_u32 v2, v4, 16, 1
	v_add3_u32 v2, v4, v2, s5
	v_add3_u32 v1, v5, v1, s5
	s_waitcnt vmcnt(5)
	v_mfma_f32_16x16x16_bf16 v[6:9], v[42:43], v[30:31], v[6:9]
	v_perm_b32 v11, v1, v2, s12
	v_mfma_f32_16x16x16_bf16 v[6:9], v[44:45], v[32:33], v[6:9]
	s_waitcnt vmcnt(4)
	v_mfma_f32_16x16x16_bf16 v[6:9], v[34:35], v[74:75], v[6:9]
	v_mfma_f32_16x16x16_bf16 v[6:9], v[36:37], v[76:77], v[6:9]
	s_waitcnt vmcnt(3)
	v_mfma_f32_16x16x16_bf16 v[6:9], v[58:59], v[22:23], v[6:9]
	;; [unrolled: 3-line block ×5, first 2 shown]
	v_mfma_f32_16x16x16_bf16 v[2:5], v[52:53], v[20:21], v[6:9]
	s_nop 6
	v_bfe_u32 v1, v3, 16, 1
	v_bfe_u32 v6, v2, 16, 1
	v_add3_u32 v2, v2, v6, s5
	v_add3_u32 v1, v3, v1, s5
	v_perm_b32 v2, v1, v2, s12
	v_bfe_u32 v1, v5, 16, 1
	v_bfe_u32 v3, v4, 16, 1
	v_add3_u32 v3, v4, v3, s5
	v_add3_u32 v1, v5, v1, s5
	v_perm_b32 v3, v1, v3, s12
	ds_write2st64_b64 v78, v[10:11], v[2:3] offset1:1
	s_waitcnt lgkmcnt(0)
	s_barrier
	s_and_saveexec_b64 s[10:11], s[6:7]
	s_cbranch_execz .LBB656_19
; %bb.18:
	v_lshlrev_b32_e32 v3, 6, v85
	v_lshlrev_b32_e32 v2, 4, v0
	v_lshl_or_b32 v0, v0, 10, v3
	v_lshlrev_b32_e32 v1, 5, v86
	v_and_b32_e32 v2, 16, v2
	v_and_b32_e32 v0, 0x1a00, v0
	v_or3_b32 v0, v0, v1, v2
	ds_read_b128 v[2:5], v0
	scratch_load_dword v0, off, off         ; 4-byte Folded Reload
	s_load_dwordx2 s[0:1], s[0:1], 0x68
	s_mul_i32 s2, s9, s2
	s_lshl_b32 s5, s8, 7
	s_mul_hi_u32 s7, s2, s5
	s_mul_i32 s6, s2, s5
	s_lshl_b64 s[6:7], s[6:7], 1
	s_waitcnt lgkmcnt(0)
	s_add_u32 s6, s0, s6
	s_addc_u32 s7, s1, s7
	s_lshl_b32 s2, s28, 7
	s_lshl_b64 s[0:1], s[2:3], 1
	s_add_u32 s2, s6, s0
	s_addc_u32 s3, s7, s1
	s_mul_hi_u32 s1, s5, s4
	s_mul_i32 s0, s5, s4
	s_lshl_b64 s[0:1], s[0:1], 1
	s_add_u32 s0, s2, s0
	s_addc_u32 s1, s3, s1
	s_waitcnt vmcnt(0)
	global_store_dwordx4 v0, v[2:5], s[0:1]
.LBB656_19:
	s_endpgm
	.section	.rodata,"a",@progbits
	.p2align	6, 0x0
	.amdhsa_kernel _Z39paged_attention_ll4mi_QKV_mfma16_kernelI14__hip_bfloat16S0_LN4vllm18Fp8KVCacheDataTypeE0ES0_Li16ELi128ELi256ELb1ELi1EEvPKT_PKT0_S8_ifPKiSA_SA_iPKfiiiPfSD_PS3_PT2_iSC_SC_
		.amdhsa_group_segment_fixed_size 8192
		.amdhsa_private_segment_fixed_size 8
		.amdhsa_kernarg_size 400
		.amdhsa_user_sgpr_count 2
		.amdhsa_user_sgpr_dispatch_ptr 0
		.amdhsa_user_sgpr_queue_ptr 0
		.amdhsa_user_sgpr_kernarg_segment_ptr 1
		.amdhsa_user_sgpr_dispatch_id 0
		.amdhsa_user_sgpr_kernarg_preload_length 0
		.amdhsa_user_sgpr_kernarg_preload_offset 0
		.amdhsa_user_sgpr_private_segment_size 0
		.amdhsa_uses_dynamic_stack 0
		.amdhsa_enable_private_segment 1
		.amdhsa_system_sgpr_workgroup_id_x 1
		.amdhsa_system_sgpr_workgroup_id_y 1
		.amdhsa_system_sgpr_workgroup_id_z 1
		.amdhsa_system_sgpr_workgroup_info 0
		.amdhsa_system_vgpr_workitem_id 0
		.amdhsa_next_free_vgpr 96
		.amdhsa_next_free_sgpr 42
		.amdhsa_accum_offset 96
		.amdhsa_reserve_vcc 1
		.amdhsa_float_round_mode_32 0
		.amdhsa_float_round_mode_16_64 0
		.amdhsa_float_denorm_mode_32 3
		.amdhsa_float_denorm_mode_16_64 3
		.amdhsa_dx10_clamp 1
		.amdhsa_ieee_mode 1
		.amdhsa_fp16_overflow 0
		.amdhsa_tg_split 0
		.amdhsa_exception_fp_ieee_invalid_op 0
		.amdhsa_exception_fp_denorm_src 0
		.amdhsa_exception_fp_ieee_div_zero 0
		.amdhsa_exception_fp_ieee_overflow 0
		.amdhsa_exception_fp_ieee_underflow 0
		.amdhsa_exception_fp_ieee_inexact 0
		.amdhsa_exception_int_div_zero 0
	.end_amdhsa_kernel
	.section	.text._Z39paged_attention_ll4mi_QKV_mfma16_kernelI14__hip_bfloat16S0_LN4vllm18Fp8KVCacheDataTypeE0ES0_Li16ELi128ELi256ELb1ELi1EEvPKT_PKT0_S8_ifPKiSA_SA_iPKfiiiPfSD_PS3_PT2_iSC_SC_,"axG",@progbits,_Z39paged_attention_ll4mi_QKV_mfma16_kernelI14__hip_bfloat16S0_LN4vllm18Fp8KVCacheDataTypeE0ES0_Li16ELi128ELi256ELb1ELi1EEvPKT_PKT0_S8_ifPKiSA_SA_iPKfiiiPfSD_PS3_PT2_iSC_SC_,comdat
.Lfunc_end656:
	.size	_Z39paged_attention_ll4mi_QKV_mfma16_kernelI14__hip_bfloat16S0_LN4vllm18Fp8KVCacheDataTypeE0ES0_Li16ELi128ELi256ELb1ELi1EEvPKT_PKT0_S8_ifPKiSA_SA_iPKfiiiPfSD_PS3_PT2_iSC_SC_, .Lfunc_end656-_Z39paged_attention_ll4mi_QKV_mfma16_kernelI14__hip_bfloat16S0_LN4vllm18Fp8KVCacheDataTypeE0ES0_Li16ELi128ELi256ELb1ELi1EEvPKT_PKT0_S8_ifPKiSA_SA_iPKfiiiPfSD_PS3_PT2_iSC_SC_
                                        ; -- End function
	.section	.AMDGPU.csdata,"",@progbits
; Kernel info:
; codeLenInByte = 4876
; NumSgprs: 48
; NumVgprs: 96
; NumAgprs: 0
; TotalNumVgprs: 96
; ScratchSize: 8
; MemoryBound: 0
; FloatMode: 240
; IeeeMode: 1
; LDSByteSize: 8192 bytes/workgroup (compile time only)
; SGPRBlocks: 5
; VGPRBlocks: 11
; NumSGPRsForWavesPerEU: 48
; NumVGPRsForWavesPerEU: 96
; AccumOffset: 96
; Occupancy: 5
; WaveLimiterHint : 1
; COMPUTE_PGM_RSRC2:SCRATCH_EN: 1
; COMPUTE_PGM_RSRC2:USER_SGPR: 2
; COMPUTE_PGM_RSRC2:TRAP_HANDLER: 0
; COMPUTE_PGM_RSRC2:TGID_X_EN: 1
; COMPUTE_PGM_RSRC2:TGID_Y_EN: 1
; COMPUTE_PGM_RSRC2:TGID_Z_EN: 1
; COMPUTE_PGM_RSRC2:TIDIG_COMP_CNT: 0
; COMPUTE_PGM_RSRC3_GFX90A:ACCUM_OFFSET: 23
; COMPUTE_PGM_RSRC3_GFX90A:TG_SPLIT: 0
	.section	.text._Z39paged_attention_ll4mi_QKV_mfma16_kernelI14__hip_bfloat16S0_LN4vllm18Fp8KVCacheDataTypeE0ES0_Li16ELi128ELi256ELb1ELi2EEvPKT_PKT0_S8_ifPKiSA_SA_iPKfiiiPfSD_PS3_PT2_iSC_SC_,"axG",@progbits,_Z39paged_attention_ll4mi_QKV_mfma16_kernelI14__hip_bfloat16S0_LN4vllm18Fp8KVCacheDataTypeE0ES0_Li16ELi128ELi256ELb1ELi2EEvPKT_PKT0_S8_ifPKiSA_SA_iPKfiiiPfSD_PS3_PT2_iSC_SC_,comdat
	.protected	_Z39paged_attention_ll4mi_QKV_mfma16_kernelI14__hip_bfloat16S0_LN4vllm18Fp8KVCacheDataTypeE0ES0_Li16ELi128ELi256ELb1ELi2EEvPKT_PKT0_S8_ifPKiSA_SA_iPKfiiiPfSD_PS3_PT2_iSC_SC_ ; -- Begin function _Z39paged_attention_ll4mi_QKV_mfma16_kernelI14__hip_bfloat16S0_LN4vllm18Fp8KVCacheDataTypeE0ES0_Li16ELi128ELi256ELb1ELi2EEvPKT_PKT0_S8_ifPKiSA_SA_iPKfiiiPfSD_PS3_PT2_iSC_SC_
	.globl	_Z39paged_attention_ll4mi_QKV_mfma16_kernelI14__hip_bfloat16S0_LN4vllm18Fp8KVCacheDataTypeE0ES0_Li16ELi128ELi256ELb1ELi2EEvPKT_PKT0_S8_ifPKiSA_SA_iPKfiiiPfSD_PS3_PT2_iSC_SC_
	.p2align	8
	.type	_Z39paged_attention_ll4mi_QKV_mfma16_kernelI14__hip_bfloat16S0_LN4vllm18Fp8KVCacheDataTypeE0ES0_Li16ELi128ELi256ELb1ELi2EEvPKT_PKT0_S8_ifPKiSA_SA_iPKfiiiPfSD_PS3_PT2_iSC_SC_,@function
_Z39paged_attention_ll4mi_QKV_mfma16_kernelI14__hip_bfloat16S0_LN4vllm18Fp8KVCacheDataTypeE0ES0_Li16ELi128ELi256ELb1ELi2EEvPKT_PKT0_S8_ifPKiSA_SA_iPKfiiiPfSD_PS3_PT2_iSC_SC_: ; @_Z39paged_attention_ll4mi_QKV_mfma16_kernelI14__hip_bfloat16S0_LN4vllm18Fp8KVCacheDataTypeE0ES0_Li16ELi128ELi256ELb1ELi2EEvPKT_PKT0_S8_ifPKiSA_SA_iPKfiiiPfSD_PS3_PT2_iSC_SC_
; %bb.0:
	s_load_dwordx2 s[8:9], s[0:1], 0x30
	s_mov_b32 s26, s3
	s_mov_b64 s[6:7], 0
	s_waitcnt lgkmcnt(0)
	s_cmp_lg_u64 s[8:9], 0
	s_cselect_b64 s[10:11], -1, 0
	s_and_b64 vcc, exec, s[10:11]
	s_cbranch_vccz .LBB657_7
; %bb.1:
	s_add_i32 s12, s2, 1
	s_mov_b32 s13, 0
	s_lshl_b64 s[14:15], s[12:13], 2
	s_add_u32 s14, s8, s14
	s_mov_b32 s3, s13
	s_addc_u32 s15, s9, s15
	s_lshl_b64 s[12:13], s[2:3], 2
	s_add_u32 s12, s8, s12
	s_addc_u32 s13, s9, s13
	s_load_dword s5, s[14:15], 0x0
	s_load_dword s16, s[12:13], 0x0
	s_waitcnt lgkmcnt(0)
	s_sub_i32 s5, s5, s16
	s_cmp_eq_u32 s5, 1
	s_cselect_b64 s[12:13], -1, 0
	s_andn2_b64 vcc, exec, s[6:7]
	s_cbranch_vccnz .LBB657_3
.LBB657_2:
	s_mov_b32 s3, 0
	s_mov_b64 s[12:13], -1
.LBB657_3:
	s_andn2_b64 vcc, exec, s[12:13]
	s_cbranch_vccnz .LBB657_19
; %bb.4:
	s_load_dwordx2 s[6:7], s[0:1], 0x28
	s_lshl_b64 s[12:13], s[2:3], 2
	s_waitcnt lgkmcnt(0)
	s_add_u32 s6, s6, s12
	s_addc_u32 s7, s7, s13
	s_load_dword s33, s[6:7], 0x0
	s_lshl_b32 s18, s26, 8
	s_waitcnt lgkmcnt(0)
	s_cmp_ge_i32 s18, s33
	s_cbranch_scc1 .LBB657_19
; %bb.5:
	s_load_dwordx2 s[6:7], s[0:1], 0x20
	s_load_dword s5, s[0:1], 0x38
	s_add_i32 s14, s33, 15
	s_ashr_i32 s15, s14, 31
	v_and_b32_e32 v1, 0xcf, v0
	s_lshr_b32 s15, s15, 28
	v_add_u32_e32 v1, s18, v1
	s_add_i32 s14, s14, s15
	v_ashrrev_i32_e32 v2, 31, v1
	s_ashr_i32 s19, s14, 4
	v_lshrrev_b32_e32 v4, 28, v2
	s_add_i32 s19, s19, -1
	s_waitcnt lgkmcnt(0)
	s_mul_i32 s14, s2, s5
	s_mov_b32 s15, 0
	v_add_u32_e32 v2, v1, v4
	s_lshl_b64 s[14:15], s[14:15], 2
	v_ashrrev_i32_e32 v2, 4, v2
	v_mov_b32_e32 v5, s19
	v_cmp_gt_i32_e32 vcc, s33, v1
	s_add_u32 s6, s6, s14
	s_addc_u32 s7, s7, s15
	v_cndmask_b32_e32 v2, v5, v2, vcc
	v_ashrrev_i32_e32 v3, 31, v2
	v_lshl_add_u64 v[6:7], v[2:3], 2, s[6:7]
	v_or_b32_e32 v2, 16, v1
	v_add_u32_e32 v3, v2, v4
	v_ashrrev_i32_e32 v3, 4, v3
	v_cmp_gt_i32_e32 vcc, s33, v2
	s_load_dwordx2 s[14:15], s[0:1], 0x8
	s_nop 0
	v_cndmask_b32_e32 v2, v5, v3, vcc
	v_ashrrev_i32_e32 v3, 31, v2
	v_lshl_add_u64 v[8:9], v[2:3], 2, s[6:7]
	v_or_b32_e32 v2, 32, v1
	v_add_u32_e32 v3, v2, v4
	v_ashrrev_i32_e32 v3, 4, v3
	v_cmp_gt_i32_e32 vcc, s33, v2
	v_or_b32_e32 v1, 48, v1
	s_nop 0
	v_cndmask_b32_e32 v2, v5, v3, vcc
	v_ashrrev_i32_e32 v3, 31, v2
	v_lshl_add_u64 v[10:11], v[2:3], 2, s[6:7]
	v_add_u32_e32 v2, v1, v4
	v_ashrrev_i32_e32 v2, 4, v2
	v_cmp_gt_i32_e32 vcc, s33, v1
	s_nop 1
	v_cndmask_b32_e32 v2, v5, v2, vcc
	v_ashrrev_i32_e32 v3, 31, v2
	v_lshl_add_u64 v[12:13], v[2:3], 2, s[6:7]
	global_load_dword v5, v[6:7], off
	global_load_dword v4, v[8:9], off
	;; [unrolled: 1-line block ×4, first 2 shown]
	s_andn2_b64 vcc, exec, s[10:11]
	s_cbranch_vccnz .LBB657_8
; %bb.6:
	s_add_u32 s8, s8, s12
	s_addc_u32 s9, s9, s13
	s_load_dword s5, s[8:9], 0x0
	s_branch .LBB657_9
.LBB657_7:
	s_mov_b64 s[12:13], 0
	s_branch .LBB657_2
.LBB657_8:
	s_mov_b32 s5, s2
.LBB657_9:
	s_load_dwordx2 s[12:13], s[0:1], 0x10
	s_load_dwordx4 s[8:11], s[0:1], 0x48
	v_lshrrev_b32_e32 v88, 6, v0
	v_bfe_u32 v1, v0, 4, 2
	v_and_b32_e32 v86, 15, v0
	v_lshl_or_b32 v6, v88, 2, v1
	v_lshlrev_b32_e32 v7, 3, v86
	s_lshl_b32 s27, s4, 1
	v_cmp_gt_u32_e32 vcc, 2, v6
	v_lshlrev_b32_e32 v82, 1, v7
	s_and_saveexec_b64 s[16:17], vcc
	s_cbranch_execz .LBB657_11
; %bb.10:
	s_load_dwordx2 s[20:21], s[0:1], 0x0
	s_waitcnt lgkmcnt(0)
	s_ashr_i32 s11, s8, 31
	s_mul_hi_u32 s22, s5, s8
	s_mul_i32 s11, s5, s11
	s_add_i32 s23, s22, s11
	s_mul_i32 s22, s5, s8
	s_lshl_b64 s[22:23], s[22:23], 1
	s_add_u32 s20, s20, s22
	v_add_lshl_u32 v8, v1, s27, 7
	s_addc_u32 s21, s21, s23
	v_ashrrev_i32_e32 v9, 31, v8
	v_lshl_add_u64 v[8:9], v[8:9], 1, s[20:21]
	v_mov_b32_e32 v83, 0
	v_lshl_add_u64 v[8:9], v[8:9], 0, v[82:83]
	global_load_dwordx4 v[8:11], v[8:9], off
	v_and_b32_e32 v7, 3, v0
	v_lshlrev_b32_e32 v12, 9, v86
	v_lshlrev_b32_e32 v6, 5, v6
	;; [unrolled: 1-line block ×3, first 2 shown]
	v_and_b32_e32 v12, 0x1800, v12
	v_or3_b32 v6, v12, v7, v6
	s_waitcnt vmcnt(0)
	ds_write_b128 v6, v[8:11]
.LBB657_11:
	s_or_b64 exec, exec, s[16:17]
	s_waitcnt lgkmcnt(0)
	s_mul_i32 s4, s4, s10
	s_mov_b32 s5, 0
	s_lshl_b64 s[4:5], s[4:5], 1
	s_add_u32 s10, s14, s4
	v_lshlrev_b32_e32 v10, 4, v0
	s_addc_u32 s11, s15, s5
	v_and_b32_e32 v84, 0xf0, v10
	v_mov_b32_e32 v85, 0
	v_lshl_add_u64 v[6:7], s[10:11], 0, v[84:85]
	s_waitcnt vmcnt(3)
	v_mad_i64_i32 v[8:9], s[10:11], v5, s9, 0
	s_waitcnt vmcnt(2)
	v_mad_i64_i32 v[4:5], s[10:11], v4, s9, 0
	v_lshl_add_u64 v[8:9], v[8:9], 1, v[6:7]
	v_and_b32_e32 v84, 0x300, v10
	v_lshl_add_u64 v[4:5], v[4:5], 1, v[6:7]
	v_lshl_add_u64 v[8:9], v[8:9], 0, v[84:85]
	;; [unrolled: 1-line block ×3, first 2 shown]
	s_barrier
	global_load_dwordx4 v[78:81], v[8:9], off
	global_load_dwordx4 v[74:77], v[8:9], off offset:1024
	global_load_dwordx4 v[70:73], v[8:9], off offset:2048
	;; [unrolled: 1-line block ×3, first 2 shown]
	global_load_dwordx4 v[66:69], v[4:5], off
	global_load_dwordx4 v[62:65], v[4:5], off offset:1024
	global_load_dwordx4 v[58:61], v[4:5], off offset:2048
	;; [unrolled: 1-line block ×3, first 2 shown]
	s_waitcnt vmcnt(9)
	v_mad_i64_i32 v[4:5], s[10:11], v3, s9, 0
	s_waitcnt vmcnt(8)
	v_mad_i64_i32 v[2:3], s[10:11], v2, s9, 0
	v_lshl_add_u64 v[4:5], v[4:5], 1, v[6:7]
	v_lshl_add_u64 v[2:3], v[2:3], 1, v[6:7]
	;; [unrolled: 1-line block ×4, first 2 shown]
	global_load_dwordx4 v[54:57], v[4:5], off
	global_load_dwordx4 v[30:33], v[4:5], off offset:1024
	global_load_dwordx4 v[26:29], v[4:5], off offset:2048
	;; [unrolled: 1-line block ×3, first 2 shown]
	global_load_dwordx4 v[6:9], v[14:15], off
	s_nop 0
	global_load_dwordx4 v[2:5], v[14:15], off offset:1024
	global_load_dwordx4 v[42:45], v[14:15], off offset:2048
	;; [unrolled: 1-line block ×3, first 2 shown]
	v_and_b32_e32 v14, 1, v0
	v_lshlrev_b32_e32 v14, 5, v14
	v_lshl_or_b32 v38, v1, 9, v14
	ds_read_b128 v[14:17], v38
	ds_read_b128 v[50:53], v38 offset:2048
	ds_read_b128 v[46:49], v38 offset:4096
	;; [unrolled: 1-line block ×3, first 2 shown]
	v_cmp_gt_u32_e32 vcc, 2, v86
	v_mov_b32_e32 v89, 0
	s_and_saveexec_b64 s[10:11], vcc
	s_cbranch_execz .LBB657_13
; %bb.12:
	s_load_dwordx2 s[14:15], s[0:1], 0x40
	v_or_b32_e32 v90, s27, v86
	v_ashrrev_i32_e32 v91, 31, v90
	s_waitcnt lgkmcnt(0)
	v_lshl_add_u64 v[90:91], v[90:91], 2, s[14:15]
	global_load_dword v89, v[90:91], off
.LBB657_13:
	s_or_b64 exec, exec, s[10:11]
	s_waitcnt vmcnt(15) lgkmcnt(3)
	v_mfma_f32_16x16x16_bf16 v[90:93], v[78:79], v[14:15], 0
	s_add_u32 s4, s12, s4
	s_addc_u32 s5, s13, s5
	s_mov_b32 s40, 0xff7fffff
	v_mfma_f32_16x16x16_bf16 v[78:81], v[80:81], v[16:17], v[90:93]
	s_waitcnt vmcnt(14) lgkmcnt(2)
	v_mfma_f32_16x16x16_bf16 v[78:81], v[74:75], v[50:51], v[78:81]
	s_nop 0
	v_lshl_or_b32 v90, v88, 4, v86
	v_lshlrev_b32_e32 v84, 5, v90
	v_mfma_f32_16x16x16_bf16 v[74:77], v[76:77], v[52:53], v[78:81]
	s_waitcnt vmcnt(13) lgkmcnt(1)
	v_mfma_f32_16x16x16_bf16 v[74:77], v[70:71], v[46:47], v[74:77]
	v_mfma_f32_16x16x16_bf16 v[70:73], v[72:73], v[48:49], v[74:77]
	s_waitcnt vmcnt(11)
	v_mfma_f32_16x16x16_bf16 v[74:77], v[66:67], v[14:15], 0
	v_mfma_f32_16x16x16_bf16 v[66:69], v[68:69], v[16:17], v[74:77]
	s_nop 5
	v_and_or_b32 v74, v0, 48, s18
	s_waitcnt lgkmcnt(0)
	v_mfma_f32_16x16x16_bf16 v[70:73], v[10:11], v[38:39], v[70:73]
	v_ashrrev_i32_e32 v10, 4, v74
	v_mov_b32_e32 v75, s19
	v_cmp_gt_i32_e32 vcc, s33, v74
	s_waitcnt vmcnt(10)
	v_mfma_f32_16x16x16_bf16 v[66:69], v[62:63], v[50:51], v[66:69]
	v_cndmask_b32_e32 v10, v75, v10, vcc
	v_ashrrev_i32_e32 v11, 31, v10
	v_lshl_add_u64 v[10:11], v[10:11], 2, s[6:7]
	v_mfma_f32_16x16x16_bf16 v[62:65], v[64:65], v[52:53], v[66:69]
	s_nop 2
	global_load_dword v68, v[10:11], off
	v_or_b32_e32 v10, 64, v74
	v_ashrrev_i32_e32 v11, 4, v10
	v_cmp_gt_i32_e32 vcc, s33, v10
	s_waitcnt vmcnt(10)
	v_mfma_f32_16x16x16_bf16 v[62:65], v[58:59], v[46:47], v[62:65]
	v_cndmask_b32_e32 v10, v75, v11, vcc
	v_ashrrev_i32_e32 v11, 31, v10
	v_lshl_add_u64 v[10:11], v[10:11], 2, s[6:7]
	global_load_dword v69, v[10:11], off
	v_or_b32_e32 v10, 0x80, v74
	v_ashrrev_i32_e32 v11, 4, v10
	v_cmp_gt_i32_e32 vcc, s33, v10
	v_mfma_f32_16x16x16_bf16 v[58:61], v[60:61], v[48:49], v[62:65]
	s_nop 0
	v_cndmask_b32_e32 v10, v75, v11, vcc
	v_ashrrev_i32_e32 v11, 31, v10
	v_lshl_add_u64 v[10:11], v[10:11], 2, s[6:7]
	global_load_dword v78, v[10:11], off
	v_or_b32_e32 v10, 0xc0, v74
	v_ashrrev_i32_e32 v11, 4, v10
	v_cmp_gt_i32_e32 vcc, s33, v10
	s_waitcnt vmcnt(10)
	v_mfma_f32_16x16x16_bf16 v[62:65], v[54:55], v[14:15], 0
	v_cndmask_b32_e32 v10, v75, v11, vcc
	v_ashrrev_i32_e32 v11, 31, v10
	v_lshl_add_u64 v[10:11], v[10:11], 2, s[6:7]
	global_load_dword v74, v[10:11], off
	v_mfma_f32_16x16x16_bf16 v[54:57], v[56:57], v[16:17], v[62:65]
	s_load_dword s6, s[0:1], 0x1c
	s_waitcnt vmcnt(3)
	v_mad_i64_i32 v[10:11], s[10:11], v68, s9, 0
	v_mfma_f32_16x16x16_bf16 v[54:57], v[30:31], v[50:51], v[54:57]
	v_lshlrev_b64 v[76:77], 1, v[10:11]
	v_lshl_add_u64 v[62:63], s[4:5], 0, v[84:85]
	v_or_b32_e32 v84, 0x800, v84
	v_mfma_f32_16x16x16_bf16 v[30:33], v[32:33], v[52:53], v[54:57]
	v_mfma_f32_16x16x16_bf16 v[30:33], v[26:27], v[46:47], v[30:33]
	;; [unrolled: 1-line block ×3, first 2 shown]
	v_lshl_add_u64 v[18:19], v[62:63], 0, v[76:77]
	v_mfma_f32_16x16x16_bf16 v[58:61], v[12:13], v[40:41], v[70:73]
	v_mfma_f32_16x16x16_bf16 v[10:13], v[28:29], v[48:49], v[30:33]
	s_nop 2
	global_load_dwordx4 v[30:33], v[18:19], off
	global_load_dwordx4 v[26:29], v[18:19], off offset:16
	s_waitcnt vmcnt(4)
	v_mad_i64_i32 v[18:19], s[10:11], v69, s9, 0
	v_mfma_f32_16x16x16_bf16 v[10:13], v[22:23], v[38:39], v[10:13]
	v_mfma_f32_16x16x16_bf16 v[64:67], v[20:21], v[40:41], v[54:57]
	s_nop 2
	v_lshlrev_b64 v[54:55], 1, v[18:19]
	v_mfma_f32_16x16x16_bf16 v[68:71], v[24:25], v[40:41], v[10:13]
	s_nop 2
	v_lshl_add_u64 v[10:11], v[62:63], 0, v[54:55]
	global_load_dwordx4 v[22:25], v[10:11], off
	global_load_dwordx4 v[18:21], v[10:11], off offset:16
	v_mfma_f32_16x16x16_bf16 v[10:13], v[6:7], v[14:15], 0
	s_waitcnt vmcnt(5)
	v_mad_i64_i32 v[6:7], s[10:11], v78, s9, 0
	v_lshlrev_b64 v[56:57], 1, v[6:7]
	v_mfma_f32_16x16x16_bf16 v[6:9], v[8:9], v[16:17], v[10:13]
	s_waitcnt lgkmcnt(0)
	v_pk_mul_f32 v[78:79], s[6:7], v[60:61] op_sel_hi:[0,1]
	v_pk_mul_f32 v[70:71], s[6:7], v[70:71] op_sel_hi:[0,1]
	v_mfma_f32_16x16x16_bf16 v[6:9], v[2:3], v[50:51], v[6:9]
	s_waitcnt vmcnt(4)
	v_mad_i64_i32 v[2:3], s[8:9], v74, s9, 0
	v_lshlrev_b64 v[50:51], 1, v[2:3]
	v_mfma_f32_16x16x16_bf16 v[72:75], v[4:5], v[52:53], v[6:9]
	v_pk_mul_f32 v[52:53], s[6:7], v[58:59] op_sel_hi:[0,1]
	v_lshl_add_u64 v[10:11], v[62:63], 0, v[56:57]
	v_lshl_add_u64 v[2:3], v[62:63], 0, v[50:51]
	v_mfma_f32_16x16x16_bf16 v[72:75], v[42:43], v[46:47], v[72:75]
	v_lshl_add_u64 v[62:63], s[4:5], 0, v[84:85]
	v_lshl_add_u64 v[42:43], v[62:63], 0, v[76:77]
	v_pk_mul_f32 v[76:77], s[6:7], v[64:65] op_sel_hi:[0,1]
	v_mfma_f32_16x16x16_bf16 v[44:47], v[44:45], v[48:49], v[72:75]
	v_lshl_add_u64 v[50:51], v[62:63], 0, v[50:51]
	global_load_dwordx4 v[14:17], v[10:11], off
	s_nop 0
	global_load_dwordx4 v[10:13], v[10:11], off offset:16
	v_pk_mul_f32 v[72:73], s[6:7], v[68:69] op_sel_hi:[0,1]
	v_mfma_f32_16x16x16_bf16 v[44:47], v[34:35], v[38:39], v[44:47]
	v_pk_mul_f32 v[74:75], s[6:7], v[66:67] op_sel_hi:[0,1]
	global_load_dwordx4 v[6:9], v[2:3], off
	s_nop 0
	global_load_dwordx4 v[2:5], v[2:3], off offset:16
	v_mfma_f32_16x16x16_bf16 v[34:37], v[36:37], v[40:41], v[44:47]
	s_nop 6
	v_pk_mul_f32 v[68:69], s[6:7], v[34:35] op_sel_hi:[0,1]
	v_and_b32_e32 v34, 0xc0, v0
	v_add_u32_e32 v34, s18, v34
	v_lshl_or_b32 v34, v1, 2, v34
	v_or_b32_e32 v35, 1, v34
	v_pk_mul_f32 v[66:67], s[6:7], v[36:37] op_sel_hi:[0,1]
	v_subrev_u32_e32 v36, s33, v35
	v_add_u32_e32 v38, 1, v36
	v_add_u32_e32 v39, 2, v36
	v_cvt_f32_i32_e32 v37, v36
	v_cvt_f32_i32_e32 v38, v38
	;; [unrolled: 1-line block ×3, first 2 shown]
	v_add_u32_e32 v40, 3, v36
	v_fma_f32 v52, v89, v37, v52
	v_fmac_f32_e32 v53, v89, v38
	v_fma_f32 v78, v89, v39, v78
	v_add_u32_e32 v37, 16, v36
	v_add_u32_e32 v38, 17, v36
	;; [unrolled: 1-line block ×3, first 2 shown]
	v_cvt_f32_i32_e32 v40, v40
	v_cvt_f32_i32_e32 v37, v37
	;; [unrolled: 1-line block ×4, first 2 shown]
	v_fmac_f32_e32 v79, v89, v40
	v_add_u32_e32 v40, 19, v36
	v_fma_f32 v76, v89, v37, v76
	v_fmac_f32_e32 v77, v89, v38
	v_fma_f32 v74, v89, v39, v74
	v_add_u32_e32 v37, 32, v36
	v_add_u32_e32 v38, 33, v36
	;; [unrolled: 1-line block ×3, first 2 shown]
	v_cvt_f32_i32_e32 v40, v40
	v_cvt_f32_i32_e32 v37, v37
	;; [unrolled: 1-line block ×4, first 2 shown]
	v_fmac_f32_e32 v75, v89, v40
	v_add_u32_e32 v40, 35, v36
	v_fma_f32 v72, v89, v37, v72
	v_fmac_f32_e32 v73, v89, v38
	v_fma_f32 v70, v89, v39, v70
	v_add_u32_e32 v37, 48, v36
	v_add_u32_e32 v38, 49, v36
	;; [unrolled: 1-line block ×4, first 2 shown]
	v_cvt_f32_i32_e32 v36, v36
	v_cvt_f32_i32_e32 v37, v37
	;; [unrolled: 1-line block ×3, first 2 shown]
	v_cmp_gt_i32_e64 s[28:29], s33, v34
	v_fmac_f32_e32 v67, v89, v36
	v_mov_b32_e32 v36, 0xff7fffff
	v_cmp_gt_i32_e64 s[30:31], s33, v35
	v_fma_f32 v68, v89, v37, v68
	v_cndmask_b32_e64 v37, v36, v52, s[28:29]
	v_cndmask_b32_e64 v35, v36, v53, s[30:31]
	v_fmac_f32_e32 v69, v89, v38
	v_max3_f32 v35, v37, s40, v35
	v_or_b32_e32 v37, 2, v34
	v_or_b32_e32 v38, 3, v34
	v_cmp_gt_i32_e64 s[34:35], s33, v37
	v_cmp_gt_i32_e64 s[36:37], s33, v38
	v_cvt_f32_i32_e32 v40, v40
	v_cndmask_b32_e64 v37, v36, v78, s[34:35]
	v_cndmask_b32_e64 v38, v36, v79, s[36:37]
	v_max3_f32 v35, v35, v37, v38
	v_or_b32_e32 v37, 16, v34
	v_or_b32_e32 v38, 17, v34
	v_cmp_gt_i32_e64 s[22:23], s33, v37
	v_cmp_gt_i32_e64 s[24:25], s33, v38
	v_fmac_f32_e32 v71, v89, v40
	v_cndmask_b32_e64 v37, v36, v76, s[22:23]
	v_cndmask_b32_e64 v38, v36, v77, s[24:25]
	v_max3_f32 v35, v35, v37, v38
	v_or_b32_e32 v37, 18, v34
	v_or_b32_e32 v38, 19, v34
	v_cmp_gt_i32_e64 s[18:19], s33, v37
	v_cmp_gt_i32_e64 s[20:21], s33, v38
	v_cvt_f32_i32_e32 v39, v39
	v_cndmask_b32_e64 v37, v36, v74, s[18:19]
	v_cndmask_b32_e64 v38, v36, v75, s[20:21]
	v_max3_f32 v35, v35, v37, v38
	v_or_b32_e32 v37, 32, v34
	v_or_b32_e32 v38, 33, v34
	v_cmp_gt_i32_e64 s[14:15], s33, v37
	v_cmp_gt_i32_e64 s[16:17], s33, v38
	v_fma_f32 v66, v89, v39, v66
	v_cndmask_b32_e64 v37, v36, v72, s[14:15]
	v_cndmask_b32_e64 v38, v36, v73, s[16:17]
	v_max3_f32 v35, v35, v37, v38
	v_or_b32_e32 v37, 34, v34
	v_or_b32_e32 v38, 35, v34
	v_cmp_gt_i32_e64 s[10:11], s33, v37
	v_cmp_gt_i32_e64 s[12:13], s33, v38
	v_and_b32_e32 v1, 63, v0
	v_cndmask_b32_e64 v37, v36, v70, s[10:11]
	v_cndmask_b32_e64 v38, v36, v71, s[12:13]
	v_max3_f32 v35, v35, v37, v38
	v_or_b32_e32 v37, 48, v34
	v_or_b32_e32 v38, 49, v34
	v_cmp_gt_i32_e64 s[6:7], s33, v37
	v_cmp_gt_i32_e64 s[8:9], s33, v38
	s_nop 0
	v_cndmask_b32_e64 v37, v36, v68, s[6:7]
	v_cndmask_b32_e64 v38, v36, v69, s[8:9]
	v_max3_f32 v35, v35, v37, v38
	v_or_b32_e32 v37, 50, v34
	v_or_b32_e32 v34, 51, v34
	v_cmp_gt_i32_e32 vcc, s33, v37
	v_cmp_gt_i32_e64 s[4:5], s33, v34
	global_load_dwordx4 v[46:49], v[42:43], off
	global_load_dwordx4 v[38:41], v[42:43], off offset:16
	v_cndmask_b32_e32 v37, v36, v66, vcc
	v_cndmask_b32_e64 v34, v36, v67, s[4:5]
	v_max3_f32 v58, v35, v37, v34
	v_mbcnt_lo_u32_b32 v34, -1, 0
	v_mbcnt_hi_u32_b32 v59, -1, v34
	v_and_b32_e32 v34, 64, v59
	v_add_u32_e32 v60, 64, v34
	v_xor_b32_e32 v34, 32, v59
	v_cmp_lt_i32_e64 s[38:39], v34, v60
	s_nop 1
	v_cndmask_b32_e64 v34, v59, v34, s[38:39]
	v_lshlrev_b32_e32 v85, 2, v34
	ds_bpermute_b32 v61, v85, v58
	v_lshl_add_u64 v[34:35], v[62:63], 0, v[54:55]
	global_load_dwordx4 v[42:45], v[34:35], off
	s_nop 0
	global_load_dwordx4 v[34:37], v[34:35], off offset:16
	s_waitcnt lgkmcnt(0)
	v_max_f32_e32 v54, v61, v61
	v_max_f32_e32 v64, v58, v54
	v_xor_b32_e32 v54, 16, v59
	v_cmp_lt_i32_e64 s[38:39], v54, v60
	s_nop 1
	v_cndmask_b32_e64 v54, v59, v54, s[38:39]
	v_lshlrev_b32_e32 v89, 2, v54
	ds_bpermute_b32 v65, v89, v64
	v_lshl_add_u64 v[54:55], v[62:63], 0, v[56:57]
	global_load_dwordx4 v[58:61], v[54:55], off
	s_nop 0
	global_load_dwordx4 v[54:57], v[54:55], off offset:16
	s_waitcnt lgkmcnt(0)
	v_max_f32_e32 v62, v65, v65
	v_max_f32_e32 v84, v64, v62
	v_sub_f32_e32 v52, v52, v84
	v_mul_f32_e32 v52, 0x3fb8aa3b, v52
	v_exp_f32_e32 v80, v52
	v_sub_f32_e32 v52, v53, v84
	v_mul_f32_e32 v52, 0x3fb8aa3b, v52
	v_exp_f32_e32 v81, v52
	global_load_dwordx4 v[62:65], v[50:51], off
	s_nop 0
	global_load_dwordx4 v[50:53], v[50:51], off offset:16
	v_sub_f32_e32 v78, v78, v84
	v_mul_f32_e32 v78, 0x3fb8aa3b, v78
	v_sub_f32_e32 v79, v79, v84
	v_exp_f32_e32 v78, v78
	v_mul_f32_e32 v79, 0x3fb8aa3b, v79
	v_sub_f32_e32 v76, v76, v84
	v_exp_f32_e32 v79, v79
	v_mul_f32_e32 v76, 0x3fb8aa3b, v76
	v_sub_f32_e32 v77, v77, v84
	v_cndmask_b32_e64 v80, 0, v80, s[28:29]
	v_exp_f32_e32 v76, v76
	v_mul_f32_e32 v77, 0x3fb8aa3b, v77
	v_sub_f32_e32 v74, v74, v84
	v_add_f32_e32 v91, 0, v80
	v_cndmask_b32_e64 v81, 0, v81, s[30:31]
	v_exp_f32_e32 v77, v77
	v_mul_f32_e32 v74, 0x3fb8aa3b, v74
	v_sub_f32_e32 v75, v75, v84
	v_add_f32_e32 v91, v91, v81
	;; [unrolled: 5-line block ×10, first 2 shown]
	v_cndmask_b32_e64 v70, 0, v70, s[10:11]
	v_exp_f32_e32 v66, v66
	v_mul_f32_e32 v67, 0x3fb8aa3b, v67
	v_add_f32_e32 v91, v91, v70
	v_cndmask_b32_e64 v71, 0, v71, s[12:13]
	v_exp_f32_e32 v67, v67
	v_add_f32_e32 v91, v91, v71
	v_cndmask_b32_e64 v68, 0, v68, s[6:7]
	v_add_f32_e32 v91, v91, v68
	v_cndmask_b32_e64 v69, 0, v69, s[8:9]
	v_add_f32_e32 v91, v91, v69
	v_cndmask_b32_e32 v66, 0, v66, vcc
	v_add_f32_e32 v91, v91, v66
	v_cndmask_b32_e64 v67, 0, v67, s[4:5]
	v_add_f32_e32 v91, v91, v67
	ds_bpermute_b32 v85, v85, v91
	s_load_dword s7, s[0:1], 0x98
	v_cmp_gt_u32_e32 vcc, 16, v1
	s_waitcnt lgkmcnt(0)
	s_barrier
	v_add_f32_e32 v85, v91, v85
	ds_bpermute_b32 v89, v89, v85
	s_waitcnt lgkmcnt(0)
	s_and_saveexec_b64 s[4:5], vcc
	s_cbranch_execz .LBB657_15
; %bb.14:
	v_add_f32_e32 v85, v85, v89
	v_lshlrev_b32_e32 v89, 2, v90
	ds_write2st64_b32 v89, v84, v85 offset1:1
.LBB657_15:
	s_or_b64 exec, exec, s[4:5]
	v_lshlrev_b32_e32 v85, 2, v86
	s_load_dword s6, s[0:1], 0x94
	s_waitcnt lgkmcnt(0)
	s_barrier
	ds_read2_b32 v[90:91], v85 offset1:16
	ds_read2_b32 v[92:93], v85 offset0:32 offset1:48
	ds_read2_b32 v[94:95], v85 offset0:64 offset1:80
	s_movk_i32 s8, 0x7fff
	s_mov_b32 s9, 0x7060302
	s_waitcnt lgkmcnt(2)
	v_max3_f32 v84, v90, s40, v91
	s_waitcnt lgkmcnt(1)
	v_max3_f32 v84, v84, v92, v93
	v_sub_f32_e32 v89, v90, v84
	v_sub_f32_e32 v90, v91, v84
	v_mul_f32_e32 v90, 0x3fb8aa3b, v90
	v_mul_f32_e32 v89, 0x3fb8aa3b, v89
	v_exp_f32_e32 v87, v90
	v_sub_f32_e32 v90, v92, v84
	v_exp_f32_e32 v89, v89
	v_mul_f32_e32 v90, 0x3fb8aa3b, v90
	v_exp_f32_e32 v92, v90
	ds_read2_b32 v[90:91], v85 offset0:96 offset1:112
	v_sub_f32_e32 v85, v93, v84
	v_mul_f32_e32 v85, 0x3fb8aa3b, v85
	v_exp_f32_e32 v93, v85
	s_waitcnt lgkmcnt(1)
	v_fma_f32 v85, v89, v94, 0
	v_fmac_f32_e32 v85, v87, v95
	s_waitcnt lgkmcnt(0)
	v_fmac_f32_e32 v85, v92, v90
	v_fmac_f32_e32 v85, v93, v91
	v_add_f32_e32 v90, 0x358637bd, v85
	v_div_scale_f32 v91, s[4:5], v90, v90, 1.0
	v_rcp_f32_e32 v94, v91
	s_lshl_b32 s7, s7, 1
	s_barrier
	v_fma_f32 v95, -v91, v94, 1.0
	v_fmac_f32_e32 v94, v95, v94
	v_div_scale_f32 v95, vcc, 1.0, v90, 1.0
	v_mul_f32_e32 v83, v95, v94
	v_fma_f32 v1, -v91, v83, v95
	v_fmac_f32_e32 v83, v1, v94
	v_fma_f32 v1, -v91, v83, v95
	v_div_fmas_f32 v1, v1, v94, v83
	v_cmp_eq_u32_e32 vcc, 1, v88
	v_div_fixup_f32 v1, v1, v90, 1.0
	s_nop 0
	v_cndmask_b32_e32 v83, v89, v87, vcc
	v_cmp_eq_u32_e32 vcc, 2, v88
	v_bfe_u32 v87, v0, 4, 2
	s_nop 0
	v_cndmask_b32_e32 v83, v83, v92, vcc
	v_cmp_eq_u32_e32 vcc, 3, v88
	s_nop 1
	v_cndmask_b32_e32 v83, v83, v93, vcc
	v_mul_f32_e32 v90, v83, v1
	v_pk_mul_f32 v[80:81], v[90:91], v[80:81] op_sel_hi:[0,1]
	v_bfe_u32 v1, v81, 16, 1
	v_bfe_u32 v83, v80, 16, 1
	v_pk_mul_f32 v[78:79], v[90:91], v[78:79] op_sel_hi:[0,1]
	v_add3_u32 v80, v80, v83, s8
	v_add3_u32 v1, v81, v1, s8
	v_perm_b32 v80, v1, v80, s9
	v_bfe_u32 v1, v79, 16, 1
	v_bfe_u32 v81, v78, 16, 1
	v_add3_u32 v78, v78, v81, s8
	v_add3_u32 v1, v79, v1, s8
	v_perm_b32 v81, v1, v78, s9
	v_lshlrev_b32_e32 v1, 3, v87
	v_lshlrev_b32_e32 v79, 5, v86
	;; [unrolled: 1-line block ×3, first 2 shown]
	v_pk_mul_f32 v[76:77], v[90:91], v[76:77] op_sel_hi:[0,1]
	v_or3_b32 v78, v78, v79, v1
	v_bfe_u32 v1, v77, 16, 1
	v_bfe_u32 v83, v76, 16, 1
	v_pk_mul_f32 v[74:75], v[90:91], v[74:75] op_sel_hi:[0,1]
	v_add3_u32 v76, v76, v83, s8
	v_add3_u32 v1, v77, v1, s8
	v_perm_b32 v76, v1, v76, s9
	v_bfe_u32 v1, v75, 16, 1
	v_bfe_u32 v77, v74, 16, 1
	v_add3_u32 v74, v74, v77, s8
	v_add3_u32 v1, v75, v1, s8
	v_pk_mul_f32 v[72:73], v[90:91], v[72:73] op_sel_hi:[0,1]
	v_perm_b32 v77, v1, v74, s9
	v_bfe_u32 v1, v73, 16, 1
	v_bfe_u32 v74, v72, 16, 1
	v_pk_mul_f32 v[70:71], v[90:91], v[70:71] op_sel_hi:[0,1]
	v_add3_u32 v72, v72, v74, s8
	v_add3_u32 v1, v73, v1, s8
	v_perm_b32 v72, v1, v72, s9
	v_bfe_u32 v1, v71, 16, 1
	v_bfe_u32 v73, v70, 16, 1
	v_add3_u32 v70, v70, v73, s8
	v_add3_u32 v1, v71, v1, s8
	v_pk_mul_f32 v[68:69], v[90:91], v[68:69] op_sel_hi:[0,1]
	v_perm_b32 v73, v1, v70, s9
	v_bfe_u32 v1, v69, 16, 1
	v_bfe_u32 v70, v68, 16, 1
	v_pk_mul_f32 v[66:67], v[90:91], v[66:67] op_sel_hi:[0,1]
	v_add3_u32 v68, v68, v70, s8
	v_add3_u32 v1, v69, v1, s8
	v_perm_b32 v68, v1, v68, s9
	v_bfe_u32 v1, v67, 16, 1
	v_bfe_u32 v69, v66, 16, 1
	v_add3_u32 v66, v66, v69, s8
	v_add3_u32 v1, v67, v1, s8
	v_perm_b32 v69, v1, v66, s9
	v_cmp_gt_u32_e32 vcc, 2, v0
	ds_write2st64_b64 v78, v[80:81], v[76:77] offset1:1
	ds_write2st64_b64 v78, v[72:73], v[68:69] offset0:2 offset1:3
	s_and_saveexec_b64 s[4:5], vcc
	s_cbranch_execz .LBB657_17
; %bb.16:
	v_or_b32_e32 v66, s27, v0
	v_mov_b32_e32 v67, 0
	v_mov_b32_e32 v1, s7
	v_mad_u64_u32 v[68:69], s[10:11], s2, v1, v[66:67]
	v_mov_b32_e32 v66, s26
	s_load_dwordx4 s[12:15], s[0:1], 0x58
	s_mul_i32 s3, s3, s7
	v_mad_u64_u32 v[66:67], s[10:11], v68, s6, v[66:67]
	v_add_u32_e32 v1, s3, v69
	v_mov_b32_e32 v68, v67
	v_mad_u64_u32 v[68:69], s[10:11], v1, s6, v[68:69]
	v_mov_b32_e32 v67, v68
	v_lshlrev_b64 v[66:67], 2, v[66:67]
	s_waitcnt lgkmcnt(0)
	v_lshl_add_u64 v[68:69], s[14:15], 0, v[66:67]
	v_lshl_add_u64 v[66:67], s[12:13], 0, v[66:67]
	global_store_dword v[68:69], v84, off
	global_store_dword v[66:67], v85, off
.LBB657_17:
	s_or_b64 exec, exec, s[4:5]
	v_lshl_or_b32 v1, v87, 9, v79
	s_waitcnt lgkmcnt(0)
	s_barrier
	ds_read_b128 v[70:73], v1
	ds_read_b128 v[66:69], v1 offset:16
	s_waitcnt vmcnt(15) lgkmcnt(1)
	v_mfma_f32_16x16x16_bf16 v[74:77], v[30:31], v[70:71], 0
	v_cmp_gt_u32_e32 vcc, 64, v0
	s_mov_b32 s3, 0
	v_mfma_f32_16x16x16_bf16 v[30:33], v[32:33], v[72:73], v[74:77]
	s_waitcnt vmcnt(14) lgkmcnt(0)
	v_mfma_f32_16x16x16_bf16 v[30:33], v[26:27], v[66:67], v[30:33]
	v_mfma_f32_16x16x16_bf16 v[26:29], v[28:29], v[68:69], v[30:33]
	s_nop 5
	ds_read_b128 v[30:33], v1 offset:2048
	ds_read_b128 v[74:77], v1 offset:2064
	s_waitcnt vmcnt(13) lgkmcnt(1)
	v_mfma_f32_16x16x16_bf16 v[26:29], v[22:23], v[30:31], v[26:29]
	v_mfma_f32_16x16x16_bf16 v[22:25], v[24:25], v[32:33], v[26:29]
	s_waitcnt vmcnt(12) lgkmcnt(0)
	v_mfma_f32_16x16x16_bf16 v[22:25], v[18:19], v[74:75], v[22:25]
	v_mfma_f32_16x16x16_bf16 v[18:21], v[20:21], v[76:77], v[22:25]
	s_nop 5
	ds_read_b128 v[22:25], v1 offset:4096
	ds_read_b128 v[26:29], v1 offset:4112
	s_waitcnt vmcnt(11) lgkmcnt(1)
	v_mfma_f32_16x16x16_bf16 v[18:21], v[14:15], v[22:23], v[18:21]
	v_mfma_f32_16x16x16_bf16 v[14:17], v[16:17], v[24:25], v[18:21]
	s_waitcnt vmcnt(10) lgkmcnt(0)
	v_mfma_f32_16x16x16_bf16 v[14:17], v[10:11], v[26:27], v[14:17]
	v_mfma_f32_16x16x16_bf16 v[10:13], v[12:13], v[28:29], v[14:17]
	s_nop 5
	ds_read_b128 v[14:17], v1 offset:6144
	ds_read_b128 v[18:21], v1 offset:6160
	s_waitcnt lgkmcnt(0)
	s_barrier
	s_waitcnt vmcnt(9)
	v_mfma_f32_16x16x16_bf16 v[10:13], v[6:7], v[14:15], v[10:13]
	v_mfma_f32_16x16x16_bf16 v[6:9], v[8:9], v[16:17], v[10:13]
	s_waitcnt vmcnt(8)
	v_mfma_f32_16x16x16_bf16 v[6:9], v[2:3], v[18:19], v[6:9]
	v_mfma_f32_16x16x16_bf16 v[2:5], v[4:5], v[20:21], v[6:9]
	;; [unrolled: 3-line block ×3, first 2 shown]
	s_nop 3
	v_bfe_u32 v1, v3, 16, 1
	v_bfe_u32 v10, v2, 16, 1
	v_add3_u32 v2, v2, v10, s8
	s_waitcnt vmcnt(6)
	v_mfma_f32_16x16x16_bf16 v[6:9], v[38:39], v[66:67], v[6:9]
	v_add3_u32 v1, v3, v1, s8
	v_perm_b32 v10, v1, v2, s9
	v_bfe_u32 v1, v5, 16, 1
	v_mfma_f32_16x16x16_bf16 v[6:9], v[40:41], v[68:69], v[6:9]
	v_bfe_u32 v2, v4, 16, 1
	v_add3_u32 v2, v4, v2, s8
	v_add3_u32 v1, v5, v1, s8
	s_waitcnt vmcnt(5)
	v_mfma_f32_16x16x16_bf16 v[6:9], v[42:43], v[30:31], v[6:9]
	v_perm_b32 v11, v1, v2, s9
	v_mfma_f32_16x16x16_bf16 v[6:9], v[44:45], v[32:33], v[6:9]
	s_waitcnt vmcnt(4)
	v_mfma_f32_16x16x16_bf16 v[6:9], v[34:35], v[74:75], v[6:9]
	v_mfma_f32_16x16x16_bf16 v[6:9], v[36:37], v[76:77], v[6:9]
	s_waitcnt vmcnt(3)
	v_mfma_f32_16x16x16_bf16 v[6:9], v[58:59], v[22:23], v[6:9]
	;; [unrolled: 3-line block ×5, first 2 shown]
	v_mfma_f32_16x16x16_bf16 v[2:5], v[52:53], v[20:21], v[6:9]
	s_nop 6
	v_bfe_u32 v1, v3, 16, 1
	v_bfe_u32 v6, v2, 16, 1
	v_add3_u32 v2, v2, v6, s8
	v_add3_u32 v1, v3, v1, s8
	v_perm_b32 v2, v1, v2, s9
	v_bfe_u32 v1, v5, 16, 1
	v_bfe_u32 v3, v4, 16, 1
	v_add3_u32 v3, v4, v3, s8
	v_add3_u32 v1, v5, v1, s8
	v_perm_b32 v3, v1, v3, s9
	v_and_b32_e32 v1, 63, v0
	v_cmp_gt_u32_e64 s[4:5], 32, v1
	s_and_b64 s[4:5], vcc, s[4:5]
	ds_write2st64_b64 v78, v[10:11], v[2:3] offset1:1
	s_waitcnt lgkmcnt(0)
	s_barrier
	s_and_saveexec_b64 s[8:9], s[4:5]
	s_cbranch_execz .LBB657_19
; %bb.18:
	s_load_dwordx2 s[0:1], s[0:1], 0x68
	s_mul_i32 s2, s7, s2
	s_lshl_b32 s6, s6, 7
	v_lshlrev_b32_e32 v3, 6, v86
	s_mul_hi_u32 s5, s2, s6
	s_mul_i32 s4, s2, s6
	v_lshlrev_b32_e32 v2, 4, v0
	v_lshl_or_b32 v0, v0, 10, v3
	s_lshl_b64 s[4:5], s[4:5], 1
	v_lshlrev_b32_e32 v1, 5, v87
	v_and_b32_e32 v2, 16, v2
	v_and_b32_e32 v0, 0x1a00, v0
	s_waitcnt lgkmcnt(0)
	s_add_u32 s4, s0, s4
	v_or3_b32 v0, v0, v1, v2
	s_addc_u32 s5, s1, s5
	s_lshl_b32 s2, s26, 7
	ds_read_b128 v[2:5], v0
	s_lshl_b64 s[0:1], s[2:3], 1
	s_add_u32 s0, s4, s0
	v_or_b32_e32 v0, s27, v87
	s_addc_u32 s1, s5, s1
	v_mad_u64_u32 v[0:1], s[2:3], s6, v0, 0
	v_lshl_add_u64 v[0:1], v[0:1], 1, s[0:1]
	v_mov_b32_e32 v83, 0
	v_lshl_add_u64 v[0:1], v[0:1], 0, v[82:83]
	s_waitcnt lgkmcnt(0)
	global_store_dwordx4 v[0:1], v[2:5], off
.LBB657_19:
	s_endpgm
	.section	.rodata,"a",@progbits
	.p2align	6, 0x0
	.amdhsa_kernel _Z39paged_attention_ll4mi_QKV_mfma16_kernelI14__hip_bfloat16S0_LN4vllm18Fp8KVCacheDataTypeE0ES0_Li16ELi128ELi256ELb1ELi2EEvPKT_PKT0_S8_ifPKiSA_SA_iPKfiiiPfSD_PS3_PT2_iSC_SC_
		.amdhsa_group_segment_fixed_size 8192
		.amdhsa_private_segment_fixed_size 0
		.amdhsa_kernarg_size 400
		.amdhsa_user_sgpr_count 2
		.amdhsa_user_sgpr_dispatch_ptr 0
		.amdhsa_user_sgpr_queue_ptr 0
		.amdhsa_user_sgpr_kernarg_segment_ptr 1
		.amdhsa_user_sgpr_dispatch_id 0
		.amdhsa_user_sgpr_kernarg_preload_length 0
		.amdhsa_user_sgpr_kernarg_preload_offset 0
		.amdhsa_user_sgpr_private_segment_size 0
		.amdhsa_uses_dynamic_stack 0
		.amdhsa_enable_private_segment 0
		.amdhsa_system_sgpr_workgroup_id_x 1
		.amdhsa_system_sgpr_workgroup_id_y 1
		.amdhsa_system_sgpr_workgroup_id_z 1
		.amdhsa_system_sgpr_workgroup_info 0
		.amdhsa_system_vgpr_workitem_id 0
		.amdhsa_next_free_vgpr 96
		.amdhsa_next_free_sgpr 41
		.amdhsa_accum_offset 96
		.amdhsa_reserve_vcc 1
		.amdhsa_float_round_mode_32 0
		.amdhsa_float_round_mode_16_64 0
		.amdhsa_float_denorm_mode_32 3
		.amdhsa_float_denorm_mode_16_64 3
		.amdhsa_dx10_clamp 1
		.amdhsa_ieee_mode 1
		.amdhsa_fp16_overflow 0
		.amdhsa_tg_split 0
		.amdhsa_exception_fp_ieee_invalid_op 0
		.amdhsa_exception_fp_denorm_src 0
		.amdhsa_exception_fp_ieee_div_zero 0
		.amdhsa_exception_fp_ieee_overflow 0
		.amdhsa_exception_fp_ieee_underflow 0
		.amdhsa_exception_fp_ieee_inexact 0
		.amdhsa_exception_int_div_zero 0
	.end_amdhsa_kernel
	.section	.text._Z39paged_attention_ll4mi_QKV_mfma16_kernelI14__hip_bfloat16S0_LN4vllm18Fp8KVCacheDataTypeE0ES0_Li16ELi128ELi256ELb1ELi2EEvPKT_PKT0_S8_ifPKiSA_SA_iPKfiiiPfSD_PS3_PT2_iSC_SC_,"axG",@progbits,_Z39paged_attention_ll4mi_QKV_mfma16_kernelI14__hip_bfloat16S0_LN4vllm18Fp8KVCacheDataTypeE0ES0_Li16ELi128ELi256ELb1ELi2EEvPKT_PKT0_S8_ifPKiSA_SA_iPKfiiiPfSD_PS3_PT2_iSC_SC_,comdat
.Lfunc_end657:
	.size	_Z39paged_attention_ll4mi_QKV_mfma16_kernelI14__hip_bfloat16S0_LN4vllm18Fp8KVCacheDataTypeE0ES0_Li16ELi128ELi256ELb1ELi2EEvPKT_PKT0_S8_ifPKiSA_SA_iPKfiiiPfSD_PS3_PT2_iSC_SC_, .Lfunc_end657-_Z39paged_attention_ll4mi_QKV_mfma16_kernelI14__hip_bfloat16S0_LN4vllm18Fp8KVCacheDataTypeE0ES0_Li16ELi128ELi256ELb1ELi2EEvPKT_PKT0_S8_ifPKiSA_SA_iPKfiiiPfSD_PS3_PT2_iSC_SC_
                                        ; -- End function
	.section	.AMDGPU.csdata,"",@progbits
; Kernel info:
; codeLenInByte = 4900
; NumSgprs: 47
; NumVgprs: 96
; NumAgprs: 0
; TotalNumVgprs: 96
; ScratchSize: 0
; MemoryBound: 0
; FloatMode: 240
; IeeeMode: 1
; LDSByteSize: 8192 bytes/workgroup (compile time only)
; SGPRBlocks: 5
; VGPRBlocks: 11
; NumSGPRsForWavesPerEU: 47
; NumVGPRsForWavesPerEU: 96
; AccumOffset: 96
; Occupancy: 5
; WaveLimiterHint : 1
; COMPUTE_PGM_RSRC2:SCRATCH_EN: 0
; COMPUTE_PGM_RSRC2:USER_SGPR: 2
; COMPUTE_PGM_RSRC2:TRAP_HANDLER: 0
; COMPUTE_PGM_RSRC2:TGID_X_EN: 1
; COMPUTE_PGM_RSRC2:TGID_Y_EN: 1
; COMPUTE_PGM_RSRC2:TGID_Z_EN: 1
; COMPUTE_PGM_RSRC2:TIDIG_COMP_CNT: 0
; COMPUTE_PGM_RSRC3_GFX90A:ACCUM_OFFSET: 23
; COMPUTE_PGM_RSRC3_GFX90A:TG_SPLIT: 0
	.section	.text._Z39paged_attention_ll4mi_QKV_mfma16_kernelI14__hip_bfloat16S0_LN4vllm18Fp8KVCacheDataTypeE0ES0_Li16ELi128ELi256ELb1ELi3EEvPKT_PKT0_S8_ifPKiSA_SA_iPKfiiiPfSD_PS3_PT2_iSC_SC_,"axG",@progbits,_Z39paged_attention_ll4mi_QKV_mfma16_kernelI14__hip_bfloat16S0_LN4vllm18Fp8KVCacheDataTypeE0ES0_Li16ELi128ELi256ELb1ELi3EEvPKT_PKT0_S8_ifPKiSA_SA_iPKfiiiPfSD_PS3_PT2_iSC_SC_,comdat
	.protected	_Z39paged_attention_ll4mi_QKV_mfma16_kernelI14__hip_bfloat16S0_LN4vllm18Fp8KVCacheDataTypeE0ES0_Li16ELi128ELi256ELb1ELi3EEvPKT_PKT0_S8_ifPKiSA_SA_iPKfiiiPfSD_PS3_PT2_iSC_SC_ ; -- Begin function _Z39paged_attention_ll4mi_QKV_mfma16_kernelI14__hip_bfloat16S0_LN4vllm18Fp8KVCacheDataTypeE0ES0_Li16ELi128ELi256ELb1ELi3EEvPKT_PKT0_S8_ifPKiSA_SA_iPKfiiiPfSD_PS3_PT2_iSC_SC_
	.globl	_Z39paged_attention_ll4mi_QKV_mfma16_kernelI14__hip_bfloat16S0_LN4vllm18Fp8KVCacheDataTypeE0ES0_Li16ELi128ELi256ELb1ELi3EEvPKT_PKT0_S8_ifPKiSA_SA_iPKfiiiPfSD_PS3_PT2_iSC_SC_
	.p2align	8
	.type	_Z39paged_attention_ll4mi_QKV_mfma16_kernelI14__hip_bfloat16S0_LN4vllm18Fp8KVCacheDataTypeE0ES0_Li16ELi128ELi256ELb1ELi3EEvPKT_PKT0_S8_ifPKiSA_SA_iPKfiiiPfSD_PS3_PT2_iSC_SC_,@function
_Z39paged_attention_ll4mi_QKV_mfma16_kernelI14__hip_bfloat16S0_LN4vllm18Fp8KVCacheDataTypeE0ES0_Li16ELi128ELi256ELb1ELi3EEvPKT_PKT0_S8_ifPKiSA_SA_iPKfiiiPfSD_PS3_PT2_iSC_SC_: ; @_Z39paged_attention_ll4mi_QKV_mfma16_kernelI14__hip_bfloat16S0_LN4vllm18Fp8KVCacheDataTypeE0ES0_Li16ELi128ELi256ELb1ELi3EEvPKT_PKT0_S8_ifPKiSA_SA_iPKfiiiPfSD_PS3_PT2_iSC_SC_
; %bb.0:
	s_load_dwordx2 s[8:9], s[0:1], 0x30
	s_mov_b32 s26, s3
	s_mov_b64 s[6:7], 0
	s_waitcnt lgkmcnt(0)
	s_cmp_lg_u64 s[8:9], 0
	s_cselect_b64 s[10:11], -1, 0
	s_and_b64 vcc, exec, s[10:11]
	s_cbranch_vccz .LBB658_7
; %bb.1:
	s_add_i32 s12, s2, 1
	s_mov_b32 s13, 0
	s_lshl_b64 s[14:15], s[12:13], 2
	s_add_u32 s14, s8, s14
	s_mov_b32 s3, s13
	s_addc_u32 s15, s9, s15
	s_lshl_b64 s[12:13], s[2:3], 2
	s_add_u32 s12, s8, s12
	s_addc_u32 s13, s9, s13
	s_load_dword s5, s[14:15], 0x0
	s_load_dword s16, s[12:13], 0x0
	s_waitcnt lgkmcnt(0)
	s_sub_i32 s5, s5, s16
	s_cmp_eq_u32 s5, 1
	s_cselect_b64 s[12:13], -1, 0
	s_andn2_b64 vcc, exec, s[6:7]
	s_cbranch_vccnz .LBB658_3
.LBB658_2:
	s_mov_b32 s3, 0
	s_mov_b64 s[12:13], -1
.LBB658_3:
	s_andn2_b64 vcc, exec, s[12:13]
	s_cbranch_vccnz .LBB658_19
; %bb.4:
	s_load_dwordx2 s[6:7], s[0:1], 0x28
	s_lshl_b64 s[12:13], s[2:3], 2
	s_waitcnt lgkmcnt(0)
	s_add_u32 s6, s6, s12
	s_addc_u32 s7, s7, s13
	s_load_dword s27, s[6:7], 0x0
	s_lshl_b32 s18, s26, 8
	s_waitcnt lgkmcnt(0)
	s_cmp_ge_i32 s18, s27
	s_cbranch_scc1 .LBB658_19
; %bb.5:
	s_load_dwordx2 s[6:7], s[0:1], 0x20
	s_load_dword s5, s[0:1], 0x38
	s_add_i32 s14, s27, 15
	s_ashr_i32 s15, s14, 31
	v_and_b32_e32 v1, 0xcf, v0
	s_lshr_b32 s15, s15, 28
	v_add_u32_e32 v1, s18, v1
	s_add_i32 s14, s14, s15
	v_ashrrev_i32_e32 v2, 31, v1
	s_ashr_i32 s19, s14, 4
	v_lshrrev_b32_e32 v4, 28, v2
	s_add_i32 s19, s19, -1
	s_waitcnt lgkmcnt(0)
	s_mul_i32 s14, s2, s5
	s_mov_b32 s15, 0
	v_add_u32_e32 v2, v1, v4
	s_lshl_b64 s[14:15], s[14:15], 2
	v_ashrrev_i32_e32 v2, 4, v2
	v_mov_b32_e32 v5, s19
	v_cmp_gt_i32_e32 vcc, s27, v1
	s_add_u32 s6, s6, s14
	s_addc_u32 s7, s7, s15
	v_cndmask_b32_e32 v2, v5, v2, vcc
	v_ashrrev_i32_e32 v3, 31, v2
	v_lshl_add_u64 v[6:7], v[2:3], 2, s[6:7]
	v_or_b32_e32 v2, 16, v1
	v_add_u32_e32 v3, v2, v4
	v_ashrrev_i32_e32 v3, 4, v3
	v_cmp_gt_i32_e32 vcc, s27, v2
	s_load_dwordx2 s[14:15], s[0:1], 0x8
	s_nop 0
	v_cndmask_b32_e32 v2, v5, v3, vcc
	v_ashrrev_i32_e32 v3, 31, v2
	v_lshl_add_u64 v[8:9], v[2:3], 2, s[6:7]
	v_or_b32_e32 v2, 32, v1
	v_add_u32_e32 v3, v2, v4
	v_ashrrev_i32_e32 v3, 4, v3
	v_cmp_gt_i32_e32 vcc, s27, v2
	v_or_b32_e32 v1, 48, v1
	s_nop 0
	v_cndmask_b32_e32 v2, v5, v3, vcc
	v_ashrrev_i32_e32 v3, 31, v2
	v_lshl_add_u64 v[10:11], v[2:3], 2, s[6:7]
	v_add_u32_e32 v2, v1, v4
	v_ashrrev_i32_e32 v2, 4, v2
	v_cmp_gt_i32_e32 vcc, s27, v1
	s_nop 1
	v_cndmask_b32_e32 v2, v5, v2, vcc
	v_ashrrev_i32_e32 v3, 31, v2
	v_lshl_add_u64 v[12:13], v[2:3], 2, s[6:7]
	global_load_dword v5, v[6:7], off
	global_load_dword v4, v[8:9], off
	;; [unrolled: 1-line block ×4, first 2 shown]
	s_andn2_b64 vcc, exec, s[10:11]
	s_cbranch_vccnz .LBB658_8
; %bb.6:
	s_add_u32 s8, s8, s12
	s_addc_u32 s9, s9, s13
	s_load_dword s5, s[8:9], 0x0
	s_branch .LBB658_9
.LBB658_7:
	s_mov_b64 s[12:13], 0
	s_branch .LBB658_2
.LBB658_8:
	s_mov_b32 s5, s2
.LBB658_9:
	v_bfe_u32 v88, v0, 4, 2
	s_mul_i32 s40, s4, 3
	v_add_u32_e32 v1, s40, v88
	scratch_store_dword off, v1, off offset:8 ; 4-byte Folded Spill
	s_load_dwordx2 s[12:13], s[0:1], 0x10
	s_load_dwordx4 s[8:11], s[0:1], 0x48
	v_lshrrev_b32_e32 v85, 6, v0
	v_and_b32_e32 v84, 15, v0
	v_lshl_or_b32 v6, v85, 2, v88
	v_lshlrev_b32_e32 v7, 3, v84
	v_cmp_gt_u32_e32 vcc, 3, v6
	v_lshlrev_b32_e32 v8, 1, v7
	scratch_store_dwordx2 off, v[8:9], off  ; 8-byte Folded Spill
	s_and_saveexec_b64 s[16:17], vcc
	s_cbranch_execz .LBB658_11
; %bb.10:
	scratch_load_dword v1, off, off offset:8 ; 4-byte Folded Reload
	scratch_load_dwordx2 v[10:11], off, off ; 8-byte Folded Reload
	s_load_dwordx2 s[20:21], s[0:1], 0x0
	s_waitcnt lgkmcnt(0)
	s_ashr_i32 s11, s8, 31
	s_mul_hi_u32 s22, s5, s8
	s_mul_i32 s11, s5, s11
	s_add_i32 s23, s22, s11
	s_mul_i32 s22, s5, s8
	s_lshl_b64 s[22:23], s[22:23], 1
	s_add_u32 s20, s20, s22
	s_addc_u32 s21, s21, s23
	v_mov_b32_e32 v13, 0
	v_and_b32_e32 v7, 3, v0
	v_lshlrev_b32_e32 v6, 5, v6
	v_lshlrev_b32_e32 v7, 9, v7
	s_waitcnt vmcnt(1)
	v_lshlrev_b32_e32 v8, 7, v1
	v_ashrrev_i32_e32 v9, 31, v8
	v_lshl_add_u64 v[8:9], v[8:9], 1, s[20:21]
	s_waitcnt vmcnt(0)
	v_mov_b32_e32 v12, v10
	v_lshl_add_u64 v[8:9], v[8:9], 0, v[12:13]
	scratch_store_dwordx2 off, v[10:11], off ; 8-byte Folded Spill
	global_load_dwordx4 v[8:11], v[8:9], off
	v_lshlrev_b32_e32 v12, 9, v84
	v_and_b32_e32 v12, 0x1800, v12
	v_or3_b32 v6, v12, v7, v6
	s_waitcnt vmcnt(0)
	ds_write_b128 v6, v[8:11]
.LBB658_11:
	s_or_b64 exec, exec, s[16:17]
	s_waitcnt lgkmcnt(0)
	s_mul_i32 s4, s4, s10
	s_mov_b32 s5, 0
	s_lshl_b64 s[4:5], s[4:5], 1
	s_add_u32 s10, s14, s4
	v_lshlrev_b32_e32 v1, 4, v0
	s_addc_u32 s11, s15, s5
	v_and_b32_e32 v86, 0xf0, v1
	v_mov_b32_e32 v87, 0
	v_lshl_add_u64 v[6:7], s[10:11], 0, v[86:87]
	s_waitcnt vmcnt(5)
	v_mad_i64_i32 v[8:9], s[10:11], v5, s9, 0
	s_waitcnt vmcnt(4)
	v_mad_i64_i32 v[4:5], s[10:11], v4, s9, 0
	v_lshl_add_u64 v[8:9], v[8:9], 1, v[6:7]
	v_and_b32_e32 v86, 0x300, v1
	v_lshl_add_u64 v[4:5], v[4:5], 1, v[6:7]
	v_lshl_add_u64 v[8:9], v[8:9], 0, v[86:87]
	;; [unrolled: 1-line block ×3, first 2 shown]
	s_barrier
	global_load_dwordx4 v[78:81], v[8:9], off
	global_load_dwordx4 v[74:77], v[8:9], off offset:1024
	global_load_dwordx4 v[70:73], v[8:9], off offset:2048
	;; [unrolled: 1-line block ×3, first 2 shown]
	global_load_dwordx4 v[66:69], v[4:5], off
	global_load_dwordx4 v[62:65], v[4:5], off offset:1024
	global_load_dwordx4 v[58:61], v[4:5], off offset:2048
	;; [unrolled: 1-line block ×3, first 2 shown]
	s_waitcnt vmcnt(11)
	v_mad_i64_i32 v[4:5], s[10:11], v3, s9, 0
	s_waitcnt vmcnt(10)
	v_mad_i64_i32 v[2:3], s[10:11], v2, s9, 0
	v_lshl_add_u64 v[4:5], v[4:5], 1, v[6:7]
	v_lshl_add_u64 v[2:3], v[2:3], 1, v[6:7]
	;; [unrolled: 1-line block ×4, first 2 shown]
	global_load_dwordx4 v[30:33], v[4:5], off
	global_load_dwordx4 v[26:29], v[4:5], off offset:1024
	global_load_dwordx4 v[22:25], v[4:5], off offset:2048
	;; [unrolled: 1-line block ×3, first 2 shown]
	global_load_dwordx4 v[6:9], v[34:35], off
	s_nop 0
	global_load_dwordx4 v[2:5], v[34:35], off offset:1024
	global_load_dwordx4 v[38:41], v[34:35], off offset:2048
	s_nop 0
	global_load_dwordx4 v[34:37], v[34:35], off offset:3072
	v_mul_lo_u16_e32 v42, 0x56, v84
	v_mov_b32_e32 v43, 3
	v_mul_lo_u16_sdwa v42, v42, v43 dst_sel:DWORD dst_unused:UNUSED_PAD src0_sel:BYTE_1 src1_sel:DWORD
	v_sub_u16_e32 v42, v84, v42
	v_mov_b32_e32 v43, 5
	v_lshlrev_b32_sdwa v42, v43, v42 dst_sel:DWORD dst_unused:UNUSED_PAD src0_sel:DWORD src1_sel:BYTE_0
	v_lshl_add_u32 v42, v88, 9, v42
	ds_read_b128 v[54:57], v42
	ds_read_b128 v[50:53], v42 offset:2048
	ds_read_b128 v[46:49], v42 offset:4096
	;; [unrolled: 1-line block ×3, first 2 shown]
	v_and_b32_e32 v89, 63, v0
	v_cmp_gt_u32_e32 vcc, 3, v84
	v_mov_b32_e32 v90, 0
	s_and_saveexec_b64 s[10:11], vcc
	s_cbranch_execz .LBB658_13
; %bb.12:
	s_load_dwordx2 s[14:15], s[0:1], 0x40
	v_add_u32_e32 v90, s40, v84
	v_ashrrev_i32_e32 v91, 31, v90
	s_waitcnt lgkmcnt(0)
	v_lshl_add_u64 v[90:91], v[90:91], 2, s[14:15]
	global_load_dword v90, v[90:91], off
.LBB658_13:
	s_or_b64 exec, exec, s[10:11]
	s_waitcnt vmcnt(15) lgkmcnt(3)
	v_mfma_f32_16x16x16_bf16 v[92:95], v[78:79], v[54:55], 0
	s_add_u32 s4, s12, s4
	v_lshl_or_b32 v91, v85, 4, v84
	s_addc_u32 s5, s13, s5
	v_mfma_f32_16x16x16_bf16 v[78:81], v[80:81], v[56:57], v[92:95]
	v_lshlrev_b32_e32 v86, 5, v91
	s_mov_b32 s33, 0xff7fffff
	s_waitcnt vmcnt(14) lgkmcnt(2)
	v_mfma_f32_16x16x16_bf16 v[78:81], v[74:75], v[50:51], v[78:81]
	v_mfma_f32_16x16x16_bf16 v[74:77], v[76:77], v[52:53], v[78:81]
	s_waitcnt vmcnt(13) lgkmcnt(1)
	v_mfma_f32_16x16x16_bf16 v[74:77], v[70:71], v[46:47], v[74:77]
	v_mfma_f32_16x16x16_bf16 v[70:73], v[72:73], v[48:49], v[74:77]
	s_waitcnt vmcnt(11)
	v_mfma_f32_16x16x16_bf16 v[74:77], v[66:67], v[54:55], 0
	v_mfma_f32_16x16x16_bf16 v[66:69], v[68:69], v[56:57], v[74:77]
	s_nop 5
	v_and_or_b32 v74, v0, 48, s18
	s_waitcnt lgkmcnt(0)
	v_mfma_f32_16x16x16_bf16 v[70:73], v[10:11], v[42:43], v[70:73]
	v_ashrrev_i32_e32 v10, 4, v74
	v_mov_b32_e32 v75, s19
	v_cmp_gt_i32_e32 vcc, s27, v74
	s_waitcnt vmcnt(10)
	v_mfma_f32_16x16x16_bf16 v[66:69], v[62:63], v[50:51], v[66:69]
	v_cndmask_b32_e32 v10, v75, v10, vcc
	v_ashrrev_i32_e32 v11, 31, v10
	v_lshl_add_u64 v[10:11], v[10:11], 2, s[6:7]
	global_load_dword v76, v[10:11], off
	v_mfma_f32_16x16x16_bf16 v[62:65], v[64:65], v[52:53], v[66:69]
	v_or_b32_e32 v10, 64, v74
	v_ashrrev_i32_e32 v11, 4, v10
	v_cmp_gt_i32_e32 vcc, s27, v10
	s_waitcnt vmcnt(10)
	v_mfma_f32_16x16x16_bf16 v[62:65], v[58:59], v[46:47], v[62:65]
	v_cndmask_b32_e32 v10, v75, v11, vcc
	v_ashrrev_i32_e32 v11, 31, v10
	v_lshl_add_u64 v[10:11], v[10:11], 2, s[6:7]
	global_load_dword v78, v[10:11], off
	v_or_b32_e32 v10, 0x80, v74
	v_mfma_f32_16x16x16_bf16 v[58:61], v[60:61], v[48:49], v[62:65]
	v_ashrrev_i32_e32 v11, 4, v10
	v_cmp_gt_i32_e32 vcc, s27, v10
	s_waitcnt vmcnt(9)
	v_mfma_f32_16x16x16_bf16 v[62:65], v[30:31], v[54:55], 0
	v_cndmask_b32_e32 v10, v75, v11, vcc
	v_ashrrev_i32_e32 v11, 31, v10
	v_lshl_add_u64 v[10:11], v[10:11], 2, s[6:7]
	v_mfma_f32_16x16x16_bf16 v[30:33], v[32:33], v[56:57], v[62:65]
	s_nop 2
	global_load_dword v62, v[10:11], off
	v_or_b32_e32 v10, 0xc0, v74
	v_ashrrev_i32_e32 v11, 4, v10
	v_cmp_gt_i32_e32 vcc, s27, v10
	s_waitcnt vmcnt(9)
	v_mfma_f32_16x16x16_bf16 v[30:33], v[26:27], v[50:51], v[30:33]
	v_cndmask_b32_e32 v10, v75, v11, vcc
	v_ashrrev_i32_e32 v11, 31, v10
	v_lshl_add_u64 v[10:11], v[10:11], 2, s[6:7]
	global_load_dword v63, v[10:11], off
	v_mfma_f32_16x16x16_bf16 v[26:29], v[28:29], v[52:53], v[30:33]
	s_load_dword s6, s[0:1], 0x1c
	s_waitcnt vmcnt(3)
	v_mad_i64_i32 v[10:11], s[10:11], v76, s9, 0
	v_mfma_f32_16x16x16_bf16 v[26:29], v[22:23], v[46:47], v[26:29]
	v_lshlrev_b64 v[76:77], 1, v[10:11]
	v_mfma_f32_16x16x16_bf16 v[64:67], v[12:13], v[44:45], v[70:73]
	v_mfma_f32_16x16x16_bf16 v[10:13], v[24:25], v[48:49], v[26:29]
	s_nop 1
	v_lshl_add_u64 v[72:73], s[4:5], 0, v[86:87]
	v_or_b32_e32 v86, 0x800, v86
	v_mfma_f32_16x16x16_bf16 v[30:33], v[14:15], v[42:43], v[58:61]
	v_lshl_add_u64 v[14:15], v[72:73], 0, v[76:77]
	v_mfma_f32_16x16x16_bf16 v[10:13], v[18:19], v[42:43], v[10:13]
	v_mfma_f32_16x16x16_bf16 v[68:71], v[16:17], v[44:45], v[30:33]
	s_nop 3
	global_load_dwordx4 v[30:33], v[14:15], off
	global_load_dwordx4 v[26:29], v[14:15], off offset:16
	s_waitcnt vmcnt(4)
	v_mad_i64_i32 v[14:15], s[10:11], v78, s9, 0
	v_lshlrev_b64 v[58:59], 1, v[14:15]
	v_mfma_f32_16x16x16_bf16 v[92:95], v[20:21], v[44:45], v[10:13]
	s_waitcnt lgkmcnt(0)
	v_pk_mul_f32 v[78:79], s[6:7], v[66:67] op_sel_hi:[0,1]
	s_nop 0
	v_lshl_add_u64 v[10:11], v[72:73], 0, v[58:59]
	global_load_dwordx4 v[22:25], v[10:11], off
	global_load_dwordx4 v[18:21], v[10:11], off offset:16
	v_mfma_f32_16x16x16_bf16 v[10:13], v[6:7], v[54:55], 0
	s_waitcnt vmcnt(5)
	v_mad_i64_i32 v[6:7], s[10:11], v62, s9, 0
	v_lshlrev_b64 v[54:55], 1, v[6:7]
	v_mfma_f32_16x16x16_bf16 v[6:9], v[8:9], v[56:57], v[10:13]
	v_mfma_f32_16x16x16_bf16 v[6:9], v[2:3], v[50:51], v[6:9]
	s_waitcnt vmcnt(4)
	v_mad_i64_i32 v[2:3], s[8:9], v63, s9, 0
	v_lshlrev_b64 v[50:51], 1, v[2:3]
	v_mfma_f32_16x16x16_bf16 v[60:63], v[4:5], v[52:53], v[6:9]
	v_lshl_add_u64 v[10:11], v[72:73], 0, v[54:55]
	v_lshl_add_u64 v[2:3], v[72:73], 0, v[50:51]
	v_pk_mul_f32 v[52:53], s[6:7], v[64:65] op_sel_hi:[0,1]
	v_mfma_f32_16x16x16_bf16 v[72:75], v[38:39], v[46:47], v[60:63]
	global_load_dwordx4 v[14:17], v[10:11], off
	s_nop 0
	global_load_dwordx4 v[10:13], v[10:11], off offset:16
	v_lshl_add_u64 v[62:63], s[4:5], 0, v[86:87]
	v_lshl_add_u64 v[38:39], v[62:63], 0, v[76:77]
	v_mfma_f32_16x16x16_bf16 v[46:49], v[40:41], v[48:49], v[72:75]
	v_pk_mul_f32 v[76:77], s[6:7], v[68:69] op_sel_hi:[0,1]
	v_lshl_add_u64 v[54:55], v[62:63], 0, v[54:55]
	v_lshl_add_u64 v[50:51], v[62:63], 0, v[50:51]
	v_mfma_f32_16x16x16_bf16 v[40:43], v[34:35], v[42:43], v[46:49]
	v_pk_mul_f32 v[74:75], s[6:7], v[70:71] op_sel_hi:[0,1]
	v_pk_mul_f32 v[70:71], s[6:7], v[94:95] op_sel_hi:[0,1]
	v_pk_mul_f32 v[72:73], s[6:7], v[92:93] op_sel_hi:[0,1]
	v_mfma_f32_16x16x16_bf16 v[34:37], v[36:37], v[44:45], v[40:43]
	global_load_dwordx4 v[6:9], v[2:3], off
	s_nop 0
	global_load_dwordx4 v[2:5], v[2:3], off offset:16
	s_nop 3
	v_pk_mul_f32 v[68:69], s[6:7], v[34:35] op_sel_hi:[0,1]
	v_and_b32_e32 v34, 0xc0, v0
	v_add_u32_e32 v34, s18, v34
	v_lshl_or_b32 v34, v88, 2, v34
	v_or_b32_e32 v35, 1, v34
	v_pk_mul_f32 v[66:67], s[6:7], v[36:37] op_sel_hi:[0,1]
	v_subrev_u32_e32 v36, s27, v35
	v_add_u32_e32 v40, 1, v36
	v_add_u32_e32 v41, 2, v36
	v_cvt_f32_i32_e32 v37, v36
	v_cvt_f32_i32_e32 v40, v40
	v_cvt_f32_i32_e32 v41, v41
	v_add_u32_e32 v42, 3, v36
	v_fma_f32 v52, v90, v37, v52
	v_fmac_f32_e32 v53, v90, v40
	v_fma_f32 v78, v90, v41, v78
	v_add_u32_e32 v37, 16, v36
	v_add_u32_e32 v40, 17, v36
	;; [unrolled: 1-line block ×3, first 2 shown]
	v_cvt_f32_i32_e32 v42, v42
	v_cvt_f32_i32_e32 v37, v37
	;; [unrolled: 1-line block ×4, first 2 shown]
	v_fmac_f32_e32 v79, v90, v42
	v_add_u32_e32 v42, 19, v36
	v_fma_f32 v76, v90, v37, v76
	v_fmac_f32_e32 v77, v90, v40
	v_fma_f32 v74, v90, v41, v74
	v_add_u32_e32 v37, 32, v36
	v_add_u32_e32 v40, 33, v36
	;; [unrolled: 1-line block ×3, first 2 shown]
	v_cvt_f32_i32_e32 v42, v42
	v_cvt_f32_i32_e32 v37, v37
	;; [unrolled: 1-line block ×4, first 2 shown]
	v_fmac_f32_e32 v75, v90, v42
	v_add_u32_e32 v42, 35, v36
	v_fma_f32 v72, v90, v37, v72
	v_fmac_f32_e32 v73, v90, v40
	v_fma_f32 v70, v90, v41, v70
	v_add_u32_e32 v37, 48, v36
	v_add_u32_e32 v40, 49, v36
	;; [unrolled: 1-line block ×4, first 2 shown]
	v_cvt_f32_i32_e32 v36, v36
	v_cvt_f32_i32_e32 v37, v37
	v_cvt_f32_i32_e32 v40, v40
	v_cmp_gt_i32_e64 s[28:29], s27, v34
	v_fmac_f32_e32 v67, v90, v36
	v_mov_b32_e32 v36, 0xff7fffff
	v_cmp_gt_i32_e64 s[30:31], s27, v35
	v_fma_f32 v68, v90, v37, v68
	v_cndmask_b32_e64 v37, v36, v52, s[28:29]
	v_cndmask_b32_e64 v35, v36, v53, s[30:31]
	v_fmac_f32_e32 v69, v90, v40
	v_max3_f32 v35, v37, s33, v35
	v_or_b32_e32 v37, 2, v34
	v_or_b32_e32 v40, 3, v34
	v_cmp_gt_i32_e64 s[34:35], s27, v37
	v_cmp_gt_i32_e64 s[36:37], s27, v40
	v_cvt_f32_i32_e32 v42, v42
	v_cndmask_b32_e64 v37, v36, v78, s[34:35]
	v_cndmask_b32_e64 v40, v36, v79, s[36:37]
	v_max3_f32 v35, v35, v37, v40
	v_or_b32_e32 v37, 16, v34
	v_or_b32_e32 v40, 17, v34
	v_cmp_gt_i32_e64 s[22:23], s27, v37
	v_cmp_gt_i32_e64 s[24:25], s27, v40
	v_fmac_f32_e32 v71, v90, v42
	v_cndmask_b32_e64 v37, v36, v76, s[22:23]
	v_cndmask_b32_e64 v40, v36, v77, s[24:25]
	v_max3_f32 v35, v35, v37, v40
	v_or_b32_e32 v37, 18, v34
	v_or_b32_e32 v40, 19, v34
	v_cmp_gt_i32_e64 s[18:19], s27, v37
	v_cmp_gt_i32_e64 s[20:21], s27, v40
	v_cvt_f32_i32_e32 v41, v41
	v_cndmask_b32_e64 v37, v36, v74, s[18:19]
	v_cndmask_b32_e64 v40, v36, v75, s[20:21]
	v_max3_f32 v35, v35, v37, v40
	v_or_b32_e32 v37, 32, v34
	v_or_b32_e32 v40, 33, v34
	v_cmp_gt_i32_e64 s[14:15], s27, v37
	v_cmp_gt_i32_e64 s[16:17], s27, v40
	v_fma_f32 v66, v90, v41, v66
	v_cndmask_b32_e64 v37, v36, v72, s[14:15]
	v_cndmask_b32_e64 v40, v36, v73, s[16:17]
	v_max3_f32 v35, v35, v37, v40
	v_or_b32_e32 v37, 34, v34
	v_or_b32_e32 v40, 35, v34
	v_cmp_gt_i32_e64 s[10:11], s27, v37
	v_cmp_gt_i32_e64 s[12:13], s27, v40
	s_nop 0
	v_cndmask_b32_e64 v37, v36, v70, s[10:11]
	v_cndmask_b32_e64 v40, v36, v71, s[12:13]
	v_max3_f32 v35, v35, v37, v40
	v_or_b32_e32 v37, 48, v34
	v_or_b32_e32 v40, 49, v34
	v_cmp_gt_i32_e64 s[6:7], s27, v37
	v_cmp_gt_i32_e64 s[8:9], s27, v40
	s_nop 0
	v_cndmask_b32_e64 v37, v36, v68, s[6:7]
	v_cndmask_b32_e64 v40, v36, v69, s[8:9]
	v_max3_f32 v35, v35, v37, v40
	v_or_b32_e32 v37, 50, v34
	v_or_b32_e32 v34, 51, v34
	v_cmp_gt_i32_e32 vcc, s27, v37
	v_cmp_gt_i32_e64 s[4:5], s27, v34
	global_load_dwordx4 v[46:49], v[38:39], off
	s_nop 0
	global_load_dwordx4 v[38:41], v[38:39], off offset:16
	v_cndmask_b32_e32 v37, v36, v66, vcc
	v_cndmask_b32_e64 v34, v36, v67, s[4:5]
	v_max3_f32 v56, v35, v37, v34
	v_mbcnt_lo_u32_b32 v34, -1, 0
	v_mbcnt_hi_u32_b32 v57, -1, v34
	v_and_b32_e32 v34, 64, v57
	v_add_u32_e32 v60, 64, v34
	v_xor_b32_e32 v34, 32, v57
	v_cmp_lt_i32_e64 s[38:39], v34, v60
	s_nop 1
	v_cndmask_b32_e64 v34, v57, v34, s[38:39]
	v_lshlrev_b32_e32 v87, 2, v34
	ds_bpermute_b32 v61, v87, v56
	v_lshl_add_u64 v[34:35], v[62:63], 0, v[58:59]
	global_load_dwordx4 v[42:45], v[34:35], off
	s_nop 0
	global_load_dwordx4 v[34:37], v[34:35], off offset:16
	s_waitcnt lgkmcnt(0)
	v_max_f32_e32 v58, v61, v61
	v_max_f32_e32 v64, v56, v58
	v_xor_b32_e32 v56, 16, v57
	v_cmp_lt_i32_e64 s[38:39], v56, v60
	s_nop 1
	v_cndmask_b32_e64 v56, v57, v56, s[38:39]
	v_lshlrev_b32_e32 v90, 2, v56
	ds_bpermute_b32 v65, v90, v64
	global_load_dwordx4 v[58:61], v[54:55], off
	s_nop 0
	global_load_dwordx4 v[54:57], v[54:55], off offset:16
	s_waitcnt lgkmcnt(0)
	v_max_f32_e32 v62, v65, v65
	v_max_f32_e32 v86, v64, v62
	v_sub_f32_e32 v52, v52, v86
	v_mul_f32_e32 v52, 0x3fb8aa3b, v52
	v_exp_f32_e32 v80, v52
	v_sub_f32_e32 v52, v53, v86
	v_mul_f32_e32 v52, 0x3fb8aa3b, v52
	v_exp_f32_e32 v81, v52
	global_load_dwordx4 v[62:65], v[50:51], off
	s_nop 0
	global_load_dwordx4 v[50:53], v[50:51], off offset:16
	v_sub_f32_e32 v78, v78, v86
	v_mul_f32_e32 v78, 0x3fb8aa3b, v78
	v_sub_f32_e32 v79, v79, v86
	v_exp_f32_e32 v78, v78
	v_mul_f32_e32 v79, 0x3fb8aa3b, v79
	v_sub_f32_e32 v76, v76, v86
	v_exp_f32_e32 v79, v79
	v_mul_f32_e32 v76, 0x3fb8aa3b, v76
	v_sub_f32_e32 v77, v77, v86
	v_cndmask_b32_e64 v80, 0, v80, s[28:29]
	v_exp_f32_e32 v76, v76
	v_mul_f32_e32 v77, 0x3fb8aa3b, v77
	v_sub_f32_e32 v74, v74, v86
	v_add_f32_e32 v92, 0, v80
	v_cndmask_b32_e64 v81, 0, v81, s[30:31]
	v_exp_f32_e32 v77, v77
	v_mul_f32_e32 v74, 0x3fb8aa3b, v74
	v_sub_f32_e32 v75, v75, v86
	v_add_f32_e32 v92, v92, v81
	;; [unrolled: 5-line block ×10, first 2 shown]
	v_cndmask_b32_e64 v70, 0, v70, s[10:11]
	v_exp_f32_e32 v66, v66
	v_mul_f32_e32 v67, 0x3fb8aa3b, v67
	v_add_f32_e32 v92, v92, v70
	v_cndmask_b32_e64 v71, 0, v71, s[12:13]
	v_exp_f32_e32 v67, v67
	v_add_f32_e32 v92, v92, v71
	v_cndmask_b32_e64 v68, 0, v68, s[6:7]
	v_add_f32_e32 v92, v92, v68
	v_cndmask_b32_e64 v69, 0, v69, s[8:9]
	v_add_f32_e32 v92, v92, v69
	v_cndmask_b32_e32 v66, 0, v66, vcc
	v_add_f32_e32 v92, v92, v66
	v_cndmask_b32_e64 v67, 0, v67, s[4:5]
	v_add_f32_e32 v92, v92, v67
	ds_bpermute_b32 v87, v87, v92
	s_load_dword s7, s[0:1], 0x98
	v_cmp_gt_u32_e32 vcc, 16, v89
	s_waitcnt lgkmcnt(0)
	s_barrier
	v_add_f32_e32 v87, v92, v87
	ds_bpermute_b32 v90, v90, v87
	s_waitcnt lgkmcnt(0)
	s_and_saveexec_b64 s[4:5], vcc
	s_cbranch_execz .LBB658_15
; %bb.14:
	v_add_f32_e32 v87, v87, v90
	v_lshlrev_b32_e32 v89, 2, v91
	ds_write2st64_b32 v89, v86, v87 offset1:1
.LBB658_15:
	s_or_b64 exec, exec, s[4:5]
	v_lshlrev_b32_e32 v87, 2, v84
	s_load_dword s6, s[0:1], 0x94
	s_waitcnt lgkmcnt(0)
	s_barrier
	ds_read2_b32 v[90:91], v87 offset1:16
	ds_read2_b32 v[92:93], v87 offset0:32 offset1:48
	ds_read2_b32 v[94:95], v87 offset0:64 offset1:80
	s_movk_i32 s8, 0x7fff
	s_mov_b32 s9, 0x7060302
	s_waitcnt lgkmcnt(2)
	v_max3_f32 v86, v90, s33, v91
	s_waitcnt lgkmcnt(1)
	v_max3_f32 v86, v86, v92, v93
	v_sub_f32_e32 v89, v90, v86
	v_sub_f32_e32 v90, v91, v86
	v_mul_f32_e32 v90, 0x3fb8aa3b, v90
	v_mul_f32_e32 v89, 0x3fb8aa3b, v89
	v_exp_f32_e32 v1, v90
	v_sub_f32_e32 v90, v92, v86
	v_exp_f32_e32 v89, v89
	v_mul_f32_e32 v90, 0x3fb8aa3b, v90
	v_exp_f32_e32 v92, v90
	ds_read2_b32 v[90:91], v87 offset0:96 offset1:112
	v_sub_f32_e32 v87, v93, v86
	v_mul_f32_e32 v87, 0x3fb8aa3b, v87
	v_exp_f32_e32 v93, v87
	s_waitcnt lgkmcnt(1)
	v_fma_f32 v87, v89, v94, 0
	v_fmac_f32_e32 v87, v1, v95
	s_waitcnt lgkmcnt(0)
	v_fmac_f32_e32 v87, v92, v90
	v_fmac_f32_e32 v87, v93, v91
	v_add_f32_e32 v90, 0x358637bd, v87
	v_div_scale_f32 v91, s[4:5], v90, v90, 1.0
	v_rcp_f32_e32 v94, v91
	s_mul_i32 s7, s7, 3
	s_barrier
	v_fma_f32 v95, -v91, v94, 1.0
	v_fmac_f32_e32 v94, v95, v94
	v_div_scale_f32 v95, vcc, 1.0, v90, 1.0
	v_mul_f32_e32 v83, v95, v94
	v_fma_f32 v82, -v91, v83, v95
	v_fmac_f32_e32 v83, v82, v94
	v_fma_f32 v82, -v91, v83, v95
	v_div_fmas_f32 v82, v82, v94, v83
	v_cmp_eq_u32_e32 vcc, 1, v85
	v_div_fixup_f32 v82, v82, v90, 1.0
	s_nop 0
	v_cndmask_b32_e32 v1, v89, v1, vcc
	v_cmp_eq_u32_e32 vcc, 2, v85
	s_nop 1
	v_cndmask_b32_e32 v1, v1, v92, vcc
	v_cmp_eq_u32_e32 vcc, 3, v85
	s_nop 1
	v_cndmask_b32_e32 v1, v1, v93, vcc
	v_mul_f32_e32 v90, v1, v82
	v_pk_mul_f32 v[80:81], v[90:91], v[80:81] op_sel_hi:[0,1]
	v_bfe_u32 v1, v81, 16, 1
	v_bfe_u32 v82, v80, 16, 1
	v_pk_mul_f32 v[78:79], v[90:91], v[78:79] op_sel_hi:[0,1]
	v_add3_u32 v80, v80, v82, s8
	v_add3_u32 v1, v81, v1, s8
	v_perm_b32 v80, v1, v80, s9
	v_bfe_u32 v1, v79, 16, 1
	v_bfe_u32 v81, v78, 16, 1
	v_add3_u32 v78, v78, v81, s8
	v_add3_u32 v1, v79, v1, s8
	v_perm_b32 v81, v1, v78, s9
	v_lshlrev_b32_e32 v1, 3, v88
	v_lshlrev_b32_e32 v79, 5, v84
	;; [unrolled: 1-line block ×3, first 2 shown]
	v_pk_mul_f32 v[76:77], v[90:91], v[76:77] op_sel_hi:[0,1]
	v_or3_b32 v78, v78, v79, v1
	v_bfe_u32 v1, v77, 16, 1
	v_bfe_u32 v82, v76, 16, 1
	v_pk_mul_f32 v[74:75], v[90:91], v[74:75] op_sel_hi:[0,1]
	v_add3_u32 v76, v76, v82, s8
	v_add3_u32 v1, v77, v1, s8
	v_perm_b32 v76, v1, v76, s9
	v_bfe_u32 v1, v75, 16, 1
	v_bfe_u32 v77, v74, 16, 1
	v_add3_u32 v74, v74, v77, s8
	v_add3_u32 v1, v75, v1, s8
	v_pk_mul_f32 v[72:73], v[90:91], v[72:73] op_sel_hi:[0,1]
	v_perm_b32 v77, v1, v74, s9
	v_bfe_u32 v1, v73, 16, 1
	v_bfe_u32 v74, v72, 16, 1
	v_pk_mul_f32 v[70:71], v[90:91], v[70:71] op_sel_hi:[0,1]
	v_add3_u32 v72, v72, v74, s8
	v_add3_u32 v1, v73, v1, s8
	v_perm_b32 v72, v1, v72, s9
	v_bfe_u32 v1, v71, 16, 1
	v_bfe_u32 v73, v70, 16, 1
	v_add3_u32 v70, v70, v73, s8
	v_add3_u32 v1, v71, v1, s8
	v_pk_mul_f32 v[68:69], v[90:91], v[68:69] op_sel_hi:[0,1]
	v_perm_b32 v73, v1, v70, s9
	v_bfe_u32 v1, v69, 16, 1
	v_bfe_u32 v70, v68, 16, 1
	v_pk_mul_f32 v[66:67], v[90:91], v[66:67] op_sel_hi:[0,1]
	v_add3_u32 v68, v68, v70, s8
	v_add3_u32 v1, v69, v1, s8
	v_perm_b32 v68, v1, v68, s9
	v_bfe_u32 v1, v67, 16, 1
	v_bfe_u32 v69, v66, 16, 1
	v_add3_u32 v66, v66, v69, s8
	v_add3_u32 v1, v67, v1, s8
	v_perm_b32 v69, v1, v66, s9
	v_cmp_gt_u32_e32 vcc, 3, v0
	ds_write2st64_b64 v78, v[80:81], v[76:77] offset1:1
	ds_write2st64_b64 v78, v[72:73], v[68:69] offset0:2 offset1:3
	s_and_saveexec_b64 s[4:5], vcc
	s_cbranch_execz .LBB658_17
; %bb.16:
	s_mov_b32 s41, 0
	v_mov_b32_e32 v85, 0
	v_lshl_add_u64 v[66:67], s[40:41], 0, v[84:85]
	v_mov_b32_e32 v1, s7
	v_mad_u64_u32 v[66:67], s[10:11], s2, v1, v[66:67]
	s_mul_i32 s3, s3, s7
	v_mov_b32_e32 v68, s26
	v_mov_b32_e32 v69, v85
	s_load_dwordx4 s[12:15], s[0:1], 0x58
	v_add_u32_e32 v1, s3, v67
	v_mad_u64_u32 v[66:67], s[10:11], v66, s6, v[68:69]
	v_mov_b32_e32 v68, v67
	v_mad_u64_u32 v[68:69], s[10:11], v1, s6, v[68:69]
	v_mov_b32_e32 v67, v68
	v_lshlrev_b64 v[66:67], 2, v[66:67]
	s_waitcnt lgkmcnt(0)
	v_lshl_add_u64 v[68:69], s[14:15], 0, v[66:67]
	v_lshl_add_u64 v[66:67], s[12:13], 0, v[66:67]
	global_store_dword v[68:69], v86, off
	global_store_dword v[66:67], v87, off
.LBB658_17:
	s_or_b64 exec, exec, s[4:5]
	v_lshl_or_b32 v1, v88, 9, v79
	s_waitcnt lgkmcnt(0)
	s_barrier
	ds_read_b128 v[70:73], v1
	ds_read_b128 v[66:69], v1 offset:16
	s_waitcnt vmcnt(15) lgkmcnt(1)
	v_mfma_f32_16x16x16_bf16 v[74:77], v[30:31], v[70:71], 0
	v_cmp_gt_u32_e32 vcc, 64, v0
	v_cmp_ne_u32_e64 s[4:5], 3, v88
	s_mov_b32 s3, 0
	v_mfma_f32_16x16x16_bf16 v[30:33], v[32:33], v[72:73], v[74:77]
	s_and_b64 s[4:5], vcc, s[4:5]
	s_waitcnt vmcnt(14) lgkmcnt(0)
	v_mfma_f32_16x16x16_bf16 v[30:33], v[26:27], v[66:67], v[30:33]
	v_mfma_f32_16x16x16_bf16 v[26:29], v[28:29], v[68:69], v[30:33]
	s_nop 5
	ds_read_b128 v[30:33], v1 offset:2048
	ds_read_b128 v[74:77], v1 offset:2064
	s_waitcnt vmcnt(13) lgkmcnt(1)
	v_mfma_f32_16x16x16_bf16 v[26:29], v[22:23], v[30:31], v[26:29]
	v_mfma_f32_16x16x16_bf16 v[22:25], v[24:25], v[32:33], v[26:29]
	s_waitcnt vmcnt(12) lgkmcnt(0)
	v_mfma_f32_16x16x16_bf16 v[22:25], v[18:19], v[74:75], v[22:25]
	v_mfma_f32_16x16x16_bf16 v[18:21], v[20:21], v[76:77], v[22:25]
	s_nop 5
	ds_read_b128 v[22:25], v1 offset:4096
	ds_read_b128 v[26:29], v1 offset:4112
	s_waitcnt vmcnt(11) lgkmcnt(1)
	v_mfma_f32_16x16x16_bf16 v[18:21], v[14:15], v[22:23], v[18:21]
	v_mfma_f32_16x16x16_bf16 v[14:17], v[16:17], v[24:25], v[18:21]
	s_waitcnt vmcnt(10) lgkmcnt(0)
	v_mfma_f32_16x16x16_bf16 v[14:17], v[10:11], v[26:27], v[14:17]
	v_mfma_f32_16x16x16_bf16 v[10:13], v[12:13], v[28:29], v[14:17]
	s_nop 5
	ds_read_b128 v[14:17], v1 offset:6144
	ds_read_b128 v[18:21], v1 offset:6160
	s_waitcnt lgkmcnt(0)
	s_barrier
	s_waitcnt vmcnt(9)
	v_mfma_f32_16x16x16_bf16 v[10:13], v[6:7], v[14:15], v[10:13]
	v_mfma_f32_16x16x16_bf16 v[6:9], v[8:9], v[16:17], v[10:13]
	s_waitcnt vmcnt(8)
	v_mfma_f32_16x16x16_bf16 v[6:9], v[2:3], v[18:19], v[6:9]
	v_mfma_f32_16x16x16_bf16 v[2:5], v[4:5], v[20:21], v[6:9]
	;; [unrolled: 3-line block ×3, first 2 shown]
	s_nop 3
	v_bfe_u32 v1, v3, 16, 1
	v_bfe_u32 v10, v2, 16, 1
	v_add3_u32 v2, v2, v10, s8
	s_waitcnt vmcnt(6)
	v_mfma_f32_16x16x16_bf16 v[6:9], v[38:39], v[66:67], v[6:9]
	v_add3_u32 v1, v3, v1, s8
	v_perm_b32 v10, v1, v2, s9
	v_bfe_u32 v1, v5, 16, 1
	v_mfma_f32_16x16x16_bf16 v[6:9], v[40:41], v[68:69], v[6:9]
	v_bfe_u32 v2, v4, 16, 1
	v_add3_u32 v2, v4, v2, s8
	v_add3_u32 v1, v5, v1, s8
	s_waitcnt vmcnt(5)
	v_mfma_f32_16x16x16_bf16 v[6:9], v[42:43], v[30:31], v[6:9]
	v_perm_b32 v11, v1, v2, s9
	v_mfma_f32_16x16x16_bf16 v[6:9], v[44:45], v[32:33], v[6:9]
	s_waitcnt vmcnt(4)
	v_mfma_f32_16x16x16_bf16 v[6:9], v[34:35], v[74:75], v[6:9]
	v_mfma_f32_16x16x16_bf16 v[6:9], v[36:37], v[76:77], v[6:9]
	s_waitcnt vmcnt(3)
	v_mfma_f32_16x16x16_bf16 v[6:9], v[58:59], v[22:23], v[6:9]
	;; [unrolled: 3-line block ×5, first 2 shown]
	v_mfma_f32_16x16x16_bf16 v[2:5], v[52:53], v[20:21], v[6:9]
	s_nop 6
	v_bfe_u32 v1, v3, 16, 1
	v_bfe_u32 v6, v2, 16, 1
	v_add3_u32 v2, v2, v6, s8
	v_add3_u32 v1, v3, v1, s8
	v_perm_b32 v2, v1, v2, s9
	v_bfe_u32 v1, v5, 16, 1
	v_bfe_u32 v3, v4, 16, 1
	v_add3_u32 v3, v4, v3, s8
	v_add3_u32 v1, v5, v1, s8
	v_perm_b32 v3, v1, v3, s9
	ds_write2st64_b64 v78, v[10:11], v[2:3] offset1:1
	s_waitcnt lgkmcnt(0)
	s_barrier
	s_and_saveexec_b64 s[8:9], s[4:5]
	s_cbranch_execz .LBB658_19
; %bb.18:
	v_lshlrev_b32_e32 v3, 6, v84
	v_lshlrev_b32_e32 v2, 4, v0
	v_lshl_or_b32 v0, v0, 10, v3
	v_lshlrev_b32_e32 v1, 5, v88
	v_and_b32_e32 v2, 16, v2
	v_and_b32_e32 v0, 0x1a00, v0
	v_or3_b32 v0, v0, v1, v2
	ds_read_b128 v[2:5], v0
	scratch_load_dword v0, off, off offset:8 ; 4-byte Folded Reload
	scratch_load_dwordx2 v[6:7], off, off   ; 8-byte Folded Reload
	s_load_dwordx2 s[0:1], s[0:1], 0x68
	s_mul_i32 s2, s7, s2
	s_lshl_b32 s6, s6, 7
	s_mul_hi_u32 s5, s2, s6
	s_mul_i32 s4, s2, s6
	s_lshl_b64 s[4:5], s[4:5], 1
	s_waitcnt lgkmcnt(0)
	s_add_u32 s4, s0, s4
	s_addc_u32 s5, s1, s5
	s_lshl_b32 s2, s26, 7
	s_lshl_b64 s[0:1], s[2:3], 1
	s_add_u32 s0, s4, s0
	s_addc_u32 s1, s5, s1
	s_waitcnt vmcnt(0)
	v_mov_b32_e32 v7, 0
	v_mad_u64_u32 v[0:1], s[2:3], s6, v0, 0
	v_lshl_add_u64 v[0:1], v[0:1], 1, s[0:1]
	v_lshl_add_u64 v[0:1], v[0:1], 0, v[6:7]
	global_store_dwordx4 v[0:1], v[2:5], off
.LBB658_19:
	s_endpgm
	.section	.rodata,"a",@progbits
	.p2align	6, 0x0
	.amdhsa_kernel _Z39paged_attention_ll4mi_QKV_mfma16_kernelI14__hip_bfloat16S0_LN4vllm18Fp8KVCacheDataTypeE0ES0_Li16ELi128ELi256ELb1ELi3EEvPKT_PKT0_S8_ifPKiSA_SA_iPKfiiiPfSD_PS3_PT2_iSC_SC_
		.amdhsa_group_segment_fixed_size 8192
		.amdhsa_private_segment_fixed_size 16
		.amdhsa_kernarg_size 400
		.amdhsa_user_sgpr_count 2
		.amdhsa_user_sgpr_dispatch_ptr 0
		.amdhsa_user_sgpr_queue_ptr 0
		.amdhsa_user_sgpr_kernarg_segment_ptr 1
		.amdhsa_user_sgpr_dispatch_id 0
		.amdhsa_user_sgpr_kernarg_preload_length 0
		.amdhsa_user_sgpr_kernarg_preload_offset 0
		.amdhsa_user_sgpr_private_segment_size 0
		.amdhsa_uses_dynamic_stack 0
		.amdhsa_enable_private_segment 1
		.amdhsa_system_sgpr_workgroup_id_x 1
		.amdhsa_system_sgpr_workgroup_id_y 1
		.amdhsa_system_sgpr_workgroup_id_z 1
		.amdhsa_system_sgpr_workgroup_info 0
		.amdhsa_system_vgpr_workitem_id 0
		.amdhsa_next_free_vgpr 96
		.amdhsa_next_free_sgpr 42
		.amdhsa_accum_offset 96
		.amdhsa_reserve_vcc 1
		.amdhsa_float_round_mode_32 0
		.amdhsa_float_round_mode_16_64 0
		.amdhsa_float_denorm_mode_32 3
		.amdhsa_float_denorm_mode_16_64 3
		.amdhsa_dx10_clamp 1
		.amdhsa_ieee_mode 1
		.amdhsa_fp16_overflow 0
		.amdhsa_tg_split 0
		.amdhsa_exception_fp_ieee_invalid_op 0
		.amdhsa_exception_fp_denorm_src 0
		.amdhsa_exception_fp_ieee_div_zero 0
		.amdhsa_exception_fp_ieee_overflow 0
		.amdhsa_exception_fp_ieee_underflow 0
		.amdhsa_exception_fp_ieee_inexact 0
		.amdhsa_exception_int_div_zero 0
	.end_amdhsa_kernel
	.section	.text._Z39paged_attention_ll4mi_QKV_mfma16_kernelI14__hip_bfloat16S0_LN4vllm18Fp8KVCacheDataTypeE0ES0_Li16ELi128ELi256ELb1ELi3EEvPKT_PKT0_S8_ifPKiSA_SA_iPKfiiiPfSD_PS3_PT2_iSC_SC_,"axG",@progbits,_Z39paged_attention_ll4mi_QKV_mfma16_kernelI14__hip_bfloat16S0_LN4vllm18Fp8KVCacheDataTypeE0ES0_Li16ELi128ELi256ELb1ELi3EEvPKT_PKT0_S8_ifPKiSA_SA_iPKfiiiPfSD_PS3_PT2_iSC_SC_,comdat
.Lfunc_end658:
	.size	_Z39paged_attention_ll4mi_QKV_mfma16_kernelI14__hip_bfloat16S0_LN4vllm18Fp8KVCacheDataTypeE0ES0_Li16ELi128ELi256ELb1ELi3EEvPKT_PKT0_S8_ifPKiSA_SA_iPKfiiiPfSD_PS3_PT2_iSC_SC_, .Lfunc_end658-_Z39paged_attention_ll4mi_QKV_mfma16_kernelI14__hip_bfloat16S0_LN4vllm18Fp8KVCacheDataTypeE0ES0_Li16ELi128ELi256ELb1ELi3EEvPKT_PKT0_S8_ifPKiSA_SA_iPKfiiiPfSD_PS3_PT2_iSC_SC_
                                        ; -- End function
	.section	.AMDGPU.csdata,"",@progbits
; Kernel info:
; codeLenInByte = 5000
; NumSgprs: 48
; NumVgprs: 96
; NumAgprs: 0
; TotalNumVgprs: 96
; ScratchSize: 16
; MemoryBound: 0
; FloatMode: 240
; IeeeMode: 1
; LDSByteSize: 8192 bytes/workgroup (compile time only)
; SGPRBlocks: 5
; VGPRBlocks: 11
; NumSGPRsForWavesPerEU: 48
; NumVGPRsForWavesPerEU: 96
; AccumOffset: 96
; Occupancy: 5
; WaveLimiterHint : 1
; COMPUTE_PGM_RSRC2:SCRATCH_EN: 1
; COMPUTE_PGM_RSRC2:USER_SGPR: 2
; COMPUTE_PGM_RSRC2:TRAP_HANDLER: 0
; COMPUTE_PGM_RSRC2:TGID_X_EN: 1
; COMPUTE_PGM_RSRC2:TGID_Y_EN: 1
; COMPUTE_PGM_RSRC2:TGID_Z_EN: 1
; COMPUTE_PGM_RSRC2:TIDIG_COMP_CNT: 0
; COMPUTE_PGM_RSRC3_GFX90A:ACCUM_OFFSET: 23
; COMPUTE_PGM_RSRC3_GFX90A:TG_SPLIT: 0
	.section	.text._Z39paged_attention_ll4mi_QKV_mfma16_kernelI14__hip_bfloat16S0_LN4vllm18Fp8KVCacheDataTypeE0ES0_Li16ELi128ELi256ELb1ELi4EEvPKT_PKT0_S8_ifPKiSA_SA_iPKfiiiPfSD_PS3_PT2_iSC_SC_,"axG",@progbits,_Z39paged_attention_ll4mi_QKV_mfma16_kernelI14__hip_bfloat16S0_LN4vllm18Fp8KVCacheDataTypeE0ES0_Li16ELi128ELi256ELb1ELi4EEvPKT_PKT0_S8_ifPKiSA_SA_iPKfiiiPfSD_PS3_PT2_iSC_SC_,comdat
	.protected	_Z39paged_attention_ll4mi_QKV_mfma16_kernelI14__hip_bfloat16S0_LN4vllm18Fp8KVCacheDataTypeE0ES0_Li16ELi128ELi256ELb1ELi4EEvPKT_PKT0_S8_ifPKiSA_SA_iPKfiiiPfSD_PS3_PT2_iSC_SC_ ; -- Begin function _Z39paged_attention_ll4mi_QKV_mfma16_kernelI14__hip_bfloat16S0_LN4vllm18Fp8KVCacheDataTypeE0ES0_Li16ELi128ELi256ELb1ELi4EEvPKT_PKT0_S8_ifPKiSA_SA_iPKfiiiPfSD_PS3_PT2_iSC_SC_
	.globl	_Z39paged_attention_ll4mi_QKV_mfma16_kernelI14__hip_bfloat16S0_LN4vllm18Fp8KVCacheDataTypeE0ES0_Li16ELi128ELi256ELb1ELi4EEvPKT_PKT0_S8_ifPKiSA_SA_iPKfiiiPfSD_PS3_PT2_iSC_SC_
	.p2align	8
	.type	_Z39paged_attention_ll4mi_QKV_mfma16_kernelI14__hip_bfloat16S0_LN4vllm18Fp8KVCacheDataTypeE0ES0_Li16ELi128ELi256ELb1ELi4EEvPKT_PKT0_S8_ifPKiSA_SA_iPKfiiiPfSD_PS3_PT2_iSC_SC_,@function
_Z39paged_attention_ll4mi_QKV_mfma16_kernelI14__hip_bfloat16S0_LN4vllm18Fp8KVCacheDataTypeE0ES0_Li16ELi128ELi256ELb1ELi4EEvPKT_PKT0_S8_ifPKiSA_SA_iPKfiiiPfSD_PS3_PT2_iSC_SC_: ; @_Z39paged_attention_ll4mi_QKV_mfma16_kernelI14__hip_bfloat16S0_LN4vllm18Fp8KVCacheDataTypeE0ES0_Li16ELi128ELi256ELb1ELi4EEvPKT_PKT0_S8_ifPKiSA_SA_iPKfiiiPfSD_PS3_PT2_iSC_SC_
; %bb.0:
	s_load_dwordx2 s[8:9], s[0:1], 0x30
	s_mov_b32 s20, s3
	s_mov_b64 s[6:7], 0
	s_waitcnt lgkmcnt(0)
	s_cmp_lg_u64 s[8:9], 0
	s_cselect_b64 s[10:11], -1, 0
	s_and_b64 vcc, exec, s[10:11]
	s_cbranch_vccz .LBB659_7
; %bb.1:
	s_add_i32 s12, s2, 1
	s_mov_b32 s13, 0
	s_lshl_b64 s[14:15], s[12:13], 2
	s_add_u32 s14, s8, s14
	s_mov_b32 s3, s13
	s_addc_u32 s15, s9, s15
	s_lshl_b64 s[12:13], s[2:3], 2
	s_add_u32 s12, s8, s12
	s_addc_u32 s13, s9, s13
	s_load_dword s5, s[14:15], 0x0
	s_load_dword s16, s[12:13], 0x0
	s_waitcnt lgkmcnt(0)
	s_sub_i32 s5, s5, s16
	s_cmp_eq_u32 s5, 1
	s_cselect_b64 s[12:13], -1, 0
	s_andn2_b64 vcc, exec, s[6:7]
	s_cbranch_vccnz .LBB659_3
.LBB659_2:
	s_mov_b32 s3, 0
	s_mov_b64 s[12:13], -1
.LBB659_3:
	s_andn2_b64 vcc, exec, s[12:13]
	s_cbranch_vccnz .LBB659_19
; %bb.4:
	s_load_dwordx2 s[6:7], s[0:1], 0x28
	s_lshl_b64 s[12:13], s[2:3], 2
	s_waitcnt lgkmcnt(0)
	s_add_u32 s6, s6, s12
	s_addc_u32 s7, s7, s13
	s_load_dword s33, s[6:7], 0x0
	s_lshl_b32 s18, s20, 8
	s_waitcnt lgkmcnt(0)
	s_cmp_ge_i32 s18, s33
	s_cbranch_scc1 .LBB659_19
; %bb.5:
	s_load_dwordx2 s[6:7], s[0:1], 0x20
	s_load_dword s5, s[0:1], 0x38
	s_add_i32 s14, s33, 15
	s_ashr_i32 s15, s14, 31
	v_and_b32_e32 v1, 0xcf, v0
	s_lshr_b32 s15, s15, 28
	v_add_u32_e32 v1, s18, v1
	s_add_i32 s14, s14, s15
	v_ashrrev_i32_e32 v2, 31, v1
	s_ashr_i32 s19, s14, 4
	v_lshrrev_b32_e32 v4, 28, v2
	s_add_i32 s19, s19, -1
	s_waitcnt lgkmcnt(0)
	s_mul_i32 s14, s2, s5
	s_mov_b32 s15, 0
	v_add_u32_e32 v2, v1, v4
	s_lshl_b64 s[14:15], s[14:15], 2
	v_ashrrev_i32_e32 v2, 4, v2
	v_mov_b32_e32 v5, s19
	v_cmp_gt_i32_e32 vcc, s33, v1
	s_add_u32 s6, s6, s14
	s_addc_u32 s7, s7, s15
	v_cndmask_b32_e32 v2, v5, v2, vcc
	v_ashrrev_i32_e32 v3, 31, v2
	v_lshl_add_u64 v[6:7], v[2:3], 2, s[6:7]
	v_or_b32_e32 v2, 16, v1
	v_add_u32_e32 v3, v2, v4
	v_ashrrev_i32_e32 v3, 4, v3
	v_cmp_gt_i32_e32 vcc, s33, v2
	s_load_dwordx2 s[14:15], s[0:1], 0x8
	s_nop 0
	v_cndmask_b32_e32 v2, v5, v3, vcc
	v_ashrrev_i32_e32 v3, 31, v2
	v_lshl_add_u64 v[8:9], v[2:3], 2, s[6:7]
	v_or_b32_e32 v2, 32, v1
	v_add_u32_e32 v3, v2, v4
	v_ashrrev_i32_e32 v3, 4, v3
	v_cmp_gt_i32_e32 vcc, s33, v2
	v_or_b32_e32 v1, 48, v1
	s_nop 0
	v_cndmask_b32_e32 v2, v5, v3, vcc
	v_ashrrev_i32_e32 v3, 31, v2
	v_lshl_add_u64 v[10:11], v[2:3], 2, s[6:7]
	v_add_u32_e32 v2, v1, v4
	v_ashrrev_i32_e32 v2, 4, v2
	v_cmp_gt_i32_e32 vcc, s33, v1
	s_nop 1
	v_cndmask_b32_e32 v2, v5, v2, vcc
	v_ashrrev_i32_e32 v3, 31, v2
	v_lshl_add_u64 v[12:13], v[2:3], 2, s[6:7]
	global_load_dword v5, v[6:7], off
	global_load_dword v4, v[8:9], off
	;; [unrolled: 1-line block ×4, first 2 shown]
	s_andn2_b64 vcc, exec, s[10:11]
	s_cbranch_vccnz .LBB659_8
; %bb.6:
	s_add_u32 s8, s8, s12
	s_addc_u32 s9, s9, s13
	s_load_dword s5, s[8:9], 0x0
	s_branch .LBB659_9
.LBB659_7:
	s_mov_b64 s[12:13], 0
	s_branch .LBB659_2
.LBB659_8:
	s_mov_b32 s5, s2
.LBB659_9:
	v_bfe_u32 v93, v0, 4, 2
	s_lshl_b32 s21, s4, 2
	v_or_b32_e32 v6, s21, v93
	scratch_store_dword off, v6, off        ; 4-byte Folded Spill
	s_load_dwordx2 s[12:13], s[0:1], 0x10
	s_load_dwordx4 s[8:11], s[0:1], 0x48
	v_and_b32_e32 v94, 15, v0
	v_lshlrev_b32_e32 v7, 3, v94
	v_lshrrev_b32_e32 v90, 6, v0
	v_and_b32_e32 v6, 3, v0
	v_cmp_gt_u32_e64 s[22:23], 64, v0
	v_lshlrev_b32_e32 v82, 1, v7
	v_lshlrev_b32_e32 v1, 5, v93
	scratch_store_dword off, v1, off offset:4 ; 4-byte Folded Spill
	s_and_saveexec_b64 s[16:17], s[22:23]
	s_cbranch_execz .LBB659_11
; %bb.10:
	scratch_load_dword v7, off, off         ; 4-byte Folded Reload
	s_load_dwordx2 s[24:25], s[0:1], 0x0
	s_waitcnt lgkmcnt(0)
	s_ashr_i32 s11, s8, 31
	s_mul_hi_u32 s26, s5, s8
	s_mul_i32 s11, s5, s11
	s_add_i32 s27, s26, s11
	s_mul_i32 s26, s5, s8
	s_lshl_b64 s[26:27], s[26:27], 1
	s_add_u32 s24, s24, s26
	s_addc_u32 s25, s25, s27
	v_mov_b32_e32 v83, 0
	v_lshlrev_b32_e32 v1, 5, v93
	v_lshlrev_b32_e32 v13, 9, v94
	;; [unrolled: 1-line block ×3, first 2 shown]
	v_and_b32_e32 v13, 0x1800, v13
	s_waitcnt vmcnt(0)
	v_lshlrev_b32_e32 v8, 7, v7
	v_ashrrev_i32_e32 v9, 31, v8
	v_lshl_add_u64 v[8:9], v[8:9], 1, s[24:25]
	v_lshl_add_u64 v[8:9], v[8:9], 0, v[82:83]
	global_load_dwordx4 v[8:11], v[8:9], off
	v_lshl_or_b32 v7, v90, 7, v1
	v_or3_b32 v7, v13, v12, v7
	s_waitcnt vmcnt(0)
	ds_write_b128 v7, v[8:11]
.LBB659_11:
	s_or_b64 exec, exec, s[16:17]
	s_waitcnt lgkmcnt(0)
	s_mul_i32 s4, s4, s10
	s_mov_b32 s5, 0
	s_lshl_b64 s[4:5], s[4:5], 1
	s_add_u32 s10, s14, s4
	v_lshlrev_b32_e32 v1, 4, v0
	s_addc_u32 s11, s15, s5
	v_and_b32_e32 v84, 0xf0, v1
	v_mov_b32_e32 v85, 0
	v_lshl_add_u64 v[8:9], s[10:11], 0, v[84:85]
	s_waitcnt vmcnt(5)
	v_mad_i64_i32 v[10:11], s[10:11], v5, s9, 0
	s_waitcnt vmcnt(4)
	v_mad_i64_i32 v[4:5], s[10:11], v4, s9, 0
	v_lshl_add_u64 v[10:11], v[10:11], 1, v[8:9]
	v_and_b32_e32 v84, 0x300, v1
	v_lshl_add_u64 v[4:5], v[4:5], 1, v[8:9]
	v_lshl_add_u64 v[10:11], v[10:11], 0, v[84:85]
	;; [unrolled: 1-line block ×3, first 2 shown]
	s_barrier
	global_load_dwordx4 v[78:81], v[10:11], off
	global_load_dwordx4 v[74:77], v[10:11], off offset:1024
	global_load_dwordx4 v[70:73], v[10:11], off offset:2048
	;; [unrolled: 1-line block ×3, first 2 shown]
	global_load_dwordx4 v[66:69], v[4:5], off
	global_load_dwordx4 v[62:65], v[4:5], off offset:1024
	global_load_dwordx4 v[58:61], v[4:5], off offset:2048
	;; [unrolled: 1-line block ×3, first 2 shown]
	s_waitcnt vmcnt(11)
	v_mad_i64_i32 v[4:5], s[10:11], v3, s9, 0
	s_waitcnt vmcnt(10)
	v_mad_i64_i32 v[2:3], s[10:11], v2, s9, 0
	v_lshl_add_u64 v[4:5], v[4:5], 1, v[8:9]
	v_lshl_add_u64 v[2:3], v[2:3], 1, v[8:9]
	v_lshl_add_u64 v[4:5], v[4:5], 0, v[84:85]
	v_lshl_add_u64 v[8:9], v[2:3], 0, v[84:85]
	global_load_dwordx4 v[54:57], v[4:5], off
	global_load_dwordx4 v[30:33], v[4:5], off offset:1024
	global_load_dwordx4 v[26:29], v[4:5], off offset:2048
	;; [unrolled: 1-line block ×3, first 2 shown]
	global_load_dwordx4 v[10:13], v[8:9], off
	s_nop 0
	global_load_dwordx4 v[2:5], v[8:9], off offset:1024
	global_load_dwordx4 v[42:45], v[8:9], off offset:2048
	global_load_dwordx4 v[34:37], v[8:9], off offset:3072
	v_lshlrev_b32_e32 v6, 5, v6
	v_lshl_or_b32 v38, v93, 9, v6
	ds_read_b128 v[50:53], v38
	ds_read_b128 v[6:9], v38 offset:2048
	ds_read_b128 v[46:49], v38 offset:4096
	ds_read_b128 v[38:41], v38 offset:6144
	v_and_b32_e32 v1, 63, v0
	v_cmp_gt_u32_e32 vcc, 4, v94
	v_mov_b32_e32 v92, 0
	s_and_saveexec_b64 s[10:11], vcc
	s_cbranch_execz .LBB659_13
; %bb.12:
	s_load_dwordx2 s[14:15], s[0:1], 0x40
	v_or_b32_e32 v86, s21, v94
	v_ashrrev_i32_e32 v87, 31, v86
	s_waitcnt lgkmcnt(0)
	v_lshl_add_u64 v[86:87], v[86:87], 2, s[14:15]
	global_load_dword v92, v[86:87], off
.LBB659_13:
	s_or_b64 exec, exec, s[10:11]
	s_waitcnt vmcnt(15) lgkmcnt(3)
	v_mfma_f32_16x16x16_bf16 v[86:89], v[78:79], v[50:51], 0
	s_add_u32 s4, s12, s4
	v_lshl_or_b32 v91, v90, 4, v94
	s_addc_u32 s5, s13, s5
	v_mfma_f32_16x16x16_bf16 v[78:81], v[80:81], v[52:53], v[86:89]
	v_lshlrev_b32_e32 v84, 5, v91
	s_mov_b32 s42, 0xff7fffff
	s_waitcnt vmcnt(14) lgkmcnt(2)
	v_mfma_f32_16x16x16_bf16 v[78:81], v[74:75], v[6:7], v[78:81]
	v_mfma_f32_16x16x16_bf16 v[74:77], v[76:77], v[8:9], v[78:81]
	s_waitcnt vmcnt(13) lgkmcnt(1)
	v_mfma_f32_16x16x16_bf16 v[74:77], v[70:71], v[46:47], v[74:77]
	v_mfma_f32_16x16x16_bf16 v[70:73], v[72:73], v[48:49], v[74:77]
	s_waitcnt vmcnt(11)
	v_mfma_f32_16x16x16_bf16 v[74:77], v[66:67], v[50:51], 0
	v_mfma_f32_16x16x16_bf16 v[66:69], v[68:69], v[52:53], v[74:77]
	s_nop 5
	v_and_or_b32 v74, v0, 48, s18
	s_waitcnt lgkmcnt(0)
	v_mfma_f32_16x16x16_bf16 v[70:73], v[14:15], v[38:39], v[70:73]
	v_ashrrev_i32_e32 v14, 4, v74
	v_mov_b32_e32 v75, s19
	v_cmp_gt_i32_e32 vcc, s33, v74
	s_waitcnt vmcnt(10)
	v_mfma_f32_16x16x16_bf16 v[66:69], v[62:63], v[6:7], v[66:69]
	v_cndmask_b32_e32 v14, v75, v14, vcc
	v_ashrrev_i32_e32 v15, 31, v14
	v_lshl_add_u64 v[14:15], v[14:15], 2, s[6:7]
	global_load_dword v76, v[14:15], off
	v_mfma_f32_16x16x16_bf16 v[62:65], v[64:65], v[8:9], v[66:69]
	v_or_b32_e32 v14, 64, v74
	v_ashrrev_i32_e32 v15, 4, v14
	v_cmp_gt_i32_e32 vcc, s33, v14
	s_waitcnt vmcnt(10)
	v_mfma_f32_16x16x16_bf16 v[62:65], v[58:59], v[46:47], v[62:65]
	v_cndmask_b32_e32 v14, v75, v15, vcc
	v_ashrrev_i32_e32 v15, 31, v14
	v_lshl_add_u64 v[14:15], v[14:15], 2, s[6:7]
	global_load_dword v77, v[14:15], off
	v_or_b32_e32 v14, 0x80, v74
	v_mfma_f32_16x16x16_bf16 v[58:61], v[60:61], v[48:49], v[62:65]
	v_ashrrev_i32_e32 v15, 4, v14
	v_cmp_gt_i32_e32 vcc, s33, v14
	s_waitcnt vmcnt(9)
	v_mfma_f32_16x16x16_bf16 v[62:65], v[54:55], v[50:51], 0
	v_cndmask_b32_e32 v14, v75, v15, vcc
	v_ashrrev_i32_e32 v15, 31, v14
	v_lshl_add_u64 v[14:15], v[14:15], 2, s[6:7]
	v_mfma_f32_16x16x16_bf16 v[54:57], v[56:57], v[52:53], v[62:65]
	s_nop 2
	global_load_dword v62, v[14:15], off
	v_or_b32_e32 v14, 0xc0, v74
	v_ashrrev_i32_e32 v15, 4, v14
	v_cmp_gt_i32_e32 vcc, s33, v14
	s_waitcnt vmcnt(9)
	v_mfma_f32_16x16x16_bf16 v[54:57], v[30:31], v[6:7], v[54:57]
	v_cndmask_b32_e32 v14, v75, v15, vcc
	v_ashrrev_i32_e32 v15, 31, v14
	v_lshl_add_u64 v[14:15], v[14:15], 2, s[6:7]
	global_load_dword v78, v[14:15], off
	v_mfma_f32_16x16x16_bf16 v[30:33], v[32:33], v[8:9], v[54:57]
	v_lshl_add_u64 v[74:75], s[4:5], 0, v[84:85]
	s_load_dword s6, s[0:1], 0x1c
	v_or_b32_e32 v84, 0x800, v84
	s_waitcnt vmcnt(9)
	v_mfma_f32_16x16x16_bf16 v[30:33], v[26:27], v[46:47], v[30:33]
	s_waitcnt vmcnt(3)
	v_mad_i64_i32 v[14:15], s[10:11], v76, s9, 0
	v_mfma_f32_16x16x16_bf16 v[54:57], v[22:23], v[38:39], v[58:61]
	v_mfma_f32_16x16x16_bf16 v[58:61], v[16:17], v[40:41], v[70:73]
	;; [unrolled: 1-line block ×3, first 2 shown]
	s_nop 4
	v_lshlrev_b64 v[56:57], 1, v[14:15]
	v_mfma_f32_16x16x16_bf16 v[14:17], v[28:29], v[48:49], v[30:33]
	v_lshl_add_u64 v[22:23], v[74:75], 0, v[56:57]
	s_nop 1
	global_load_dwordx4 v[30:33], v[22:23], off
	global_load_dwordx4 v[26:29], v[22:23], off offset:16
	s_waitcnt lgkmcnt(0)
	v_pk_mul_f32 v[80:81], s[6:7], v[60:61] op_sel_hi:[0,1]
	v_mfma_f32_16x16x16_bf16 v[14:17], v[18:19], v[38:39], v[14:17]
	s_waitcnt vmcnt(4)
	v_mad_i64_i32 v[18:19], s[10:11], v77, s9, 0
	v_lshlrev_b64 v[54:55], 1, v[18:19]
	v_mfma_f32_16x16x16_bf16 v[70:73], v[20:21], v[40:41], v[14:17]
	v_pk_mul_f32 v[66:67], s[6:7], v[66:67] op_sel_hi:[0,1]
	s_nop 1
	v_lshl_add_u64 v[14:15], v[74:75], 0, v[54:55]
	global_load_dwordx4 v[22:25], v[14:15], off
	global_load_dwordx4 v[18:21], v[14:15], off offset:16
	v_mfma_f32_16x16x16_bf16 v[14:17], v[10:11], v[50:51], 0
	s_waitcnt vmcnt(5)
	v_mad_i64_i32 v[10:11], s[10:11], v62, s9, 0
	v_lshlrev_b64 v[50:51], 1, v[10:11]
	v_mfma_f32_16x16x16_bf16 v[62:65], v[12:13], v[52:53], v[14:17]
	v_lshl_add_u64 v[10:11], v[74:75], 0, v[50:51]
	s_nop 1
	global_load_dwordx4 v[14:17], v[10:11], off
	s_nop 0
	global_load_dwordx4 v[10:13], v[10:11], off offset:16
	v_mfma_f32_16x16x16_bf16 v[62:65], v[2:3], v[6:7], v[62:65]
	s_waitcnt vmcnt(6)
	v_mad_i64_i32 v[2:3], s[8:9], v78, s9, 0
	v_lshlrev_b64 v[52:53], 1, v[2:3]
	v_mfma_f32_16x16x16_bf16 v[62:65], v[4:5], v[8:9], v[62:65]
	v_lshl_add_u64 v[2:3], v[74:75], 0, v[52:53]
	global_load_dwordx4 v[6:9], v[2:3], off
	s_nop 0
	global_load_dwordx4 v[2:5], v[2:3], off offset:16
	v_mfma_f32_16x16x16_bf16 v[74:77], v[42:43], v[46:47], v[62:65]
	v_mfma_f32_16x16x16_bf16 v[44:47], v[44:45], v[48:49], v[74:77]
	s_nop 1
	v_pk_mul_f32 v[62:63], s[6:7], v[58:59] op_sel_hi:[0,1]
	v_lshl_add_u64 v[64:65], s[4:5], 0, v[84:85]
	v_lshl_add_u64 v[42:43], v[64:65], 0, v[56:57]
	v_mfma_f32_16x16x16_bf16 v[44:47], v[34:35], v[38:39], v[44:47]
	v_pk_mul_f32 v[74:75], s[6:7], v[68:69] op_sel_hi:[0,1]
	v_pk_mul_f32 v[68:69], s[6:7], v[70:71] op_sel_hi:[0,1]
	v_pk_mul_f32 v[76:77], s[6:7], v[72:73] op_sel_hi:[0,1]
	v_mfma_f32_16x16x16_bf16 v[34:37], v[36:37], v[40:41], v[44:47]
	v_lshl_add_u64 v[50:51], v[64:65], 0, v[50:51]
	s_nop 5
	v_pk_mul_f32 v[70:71], s[6:7], v[34:35] op_sel_hi:[0,1]
	v_and_b32_e32 v34, 0xc0, v0
	v_add_u32_e32 v34, s18, v34
	v_lshl_or_b32 v34, v93, 2, v34
	v_or_b32_e32 v35, 1, v34
	v_pk_mul_f32 v[78:79], s[6:7], v[36:37] op_sel_hi:[0,1]
	v_subrev_u32_e32 v36, s33, v35
	v_add_u32_e32 v38, 1, v36
	v_add_u32_e32 v39, 2, v36
	v_cvt_f32_i32_e32 v37, v36
	v_cvt_f32_i32_e32 v38, v38
	;; [unrolled: 1-line block ×3, first 2 shown]
	v_add_u32_e32 v40, 3, v36
	v_fma_f32 v62, v92, v37, v62
	v_fmac_f32_e32 v63, v92, v38
	v_fma_f32 v80, v92, v39, v80
	v_add_u32_e32 v37, 16, v36
	v_add_u32_e32 v38, 17, v36
	v_add_u32_e32 v39, 18, v36
	v_cvt_f32_i32_e32 v40, v40
	v_cvt_f32_i32_e32 v37, v37
	v_cvt_f32_i32_e32 v38, v38
	v_cvt_f32_i32_e32 v39, v39
	v_fmac_f32_e32 v81, v92, v40
	v_add_u32_e32 v40, 19, v36
	v_fma_f32 v66, v92, v37, v66
	v_fmac_f32_e32 v67, v92, v38
	v_fma_f32 v74, v92, v39, v74
	v_add_u32_e32 v37, 32, v36
	v_add_u32_e32 v38, 33, v36
	;; [unrolled: 1-line block ×3, first 2 shown]
	v_cvt_f32_i32_e32 v40, v40
	v_cvt_f32_i32_e32 v37, v37
	;; [unrolled: 1-line block ×4, first 2 shown]
	v_fmac_f32_e32 v75, v92, v40
	v_add_u32_e32 v40, 35, v36
	v_fma_f32 v68, v92, v37, v68
	v_fmac_f32_e32 v69, v92, v38
	v_fma_f32 v76, v92, v39, v76
	v_add_u32_e32 v37, 48, v36
	v_add_u32_e32 v38, 49, v36
	;; [unrolled: 1-line block ×4, first 2 shown]
	v_cvt_f32_i32_e32 v36, v36
	v_cvt_f32_i32_e32 v37, v37
	;; [unrolled: 1-line block ×3, first 2 shown]
	v_cmp_gt_i32_e64 s[4:5], s33, v34
	v_fmac_f32_e32 v79, v92, v36
	v_mov_b32_e32 v36, 0xff7fffff
	v_cmp_gt_i32_e64 s[24:25], s33, v35
	v_fma_f32 v70, v92, v37, v70
	v_cndmask_b32_e64 v37, v36, v62, s[4:5]
	v_cndmask_b32_e64 v35, v36, v63, s[24:25]
	v_fmac_f32_e32 v71, v92, v38
	v_max3_f32 v35, v37, s42, v35
	v_or_b32_e32 v37, 2, v34
	v_or_b32_e32 v38, 3, v34
	v_cmp_gt_i32_e64 s[26:27], s33, v37
	v_cmp_gt_i32_e64 s[28:29], s33, v38
	v_cvt_f32_i32_e32 v40, v40
	v_cndmask_b32_e64 v37, v36, v80, s[26:27]
	v_cndmask_b32_e64 v38, v36, v81, s[28:29]
	v_max3_f32 v35, v35, v37, v38
	v_or_b32_e32 v37, 16, v34
	v_or_b32_e32 v38, 17, v34
	v_cmp_gt_i32_e64 s[30:31], s33, v37
	v_cmp_gt_i32_e64 s[34:35], s33, v38
	v_fmac_f32_e32 v77, v92, v40
	v_cndmask_b32_e64 v37, v36, v66, s[30:31]
	v_cndmask_b32_e64 v38, v36, v67, s[34:35]
	v_max3_f32 v35, v35, v37, v38
	v_or_b32_e32 v37, 18, v34
	v_or_b32_e32 v38, 19, v34
	v_cmp_gt_i32_e64 s[36:37], s33, v37
	v_cmp_gt_i32_e64 s[38:39], s33, v38
	v_cvt_f32_i32_e32 v39, v39
	v_cndmask_b32_e64 v37, v36, v74, s[36:37]
	v_cndmask_b32_e64 v38, v36, v75, s[38:39]
	v_max3_f32 v35, v35, v37, v38
	v_or_b32_e32 v37, 32, v34
	v_or_b32_e32 v38, 33, v34
	v_cmp_gt_i32_e64 s[16:17], s33, v37
	v_cmp_gt_i32_e64 s[18:19], s33, v38
	v_fma_f32 v78, v92, v39, v78
	v_cndmask_b32_e64 v37, v36, v68, s[16:17]
	v_cndmask_b32_e64 v38, v36, v69, s[18:19]
	v_max3_f32 v35, v35, v37, v38
	v_or_b32_e32 v37, 34, v34
	v_or_b32_e32 v38, 35, v34
	v_cmp_gt_i32_e64 s[12:13], s33, v37
	v_cmp_gt_i32_e64 s[14:15], s33, v38
	s_nop 0
	v_cndmask_b32_e64 v37, v36, v76, s[12:13]
	v_cndmask_b32_e64 v38, v36, v77, s[14:15]
	v_max3_f32 v35, v35, v37, v38
	v_or_b32_e32 v37, 48, v34
	v_or_b32_e32 v38, 49, v34
	v_cmp_gt_i32_e64 s[8:9], s33, v37
	v_cmp_gt_i32_e64 s[10:11], s33, v38
	s_nop 0
	v_cndmask_b32_e64 v37, v36, v70, s[8:9]
	v_cndmask_b32_e64 v38, v36, v71, s[10:11]
	v_max3_f32 v35, v35, v37, v38
	v_or_b32_e32 v37, 50, v34
	v_or_b32_e32 v34, 51, v34
	v_cmp_gt_i32_e32 vcc, s33, v37
	v_cmp_gt_i32_e64 s[6:7], s33, v34
	global_load_dwordx4 v[46:49], v[42:43], off
	global_load_dwordx4 v[38:41], v[42:43], off offset:16
	v_cndmask_b32_e32 v37, v36, v78, vcc
	v_cndmask_b32_e64 v34, v36, v79, s[6:7]
	v_max3_f32 v56, v35, v37, v34
	v_mbcnt_lo_u32_b32 v34, -1, 0
	v_mbcnt_hi_u32_b32 v57, -1, v34
	v_and_b32_e32 v34, 64, v57
	v_add_u32_e32 v58, 64, v34
	v_xor_b32_e32 v34, 32, v57
	v_cmp_lt_i32_e64 s[40:41], v34, v58
	s_nop 1
	v_cndmask_b32_e64 v34, v57, v34, s[40:41]
	v_lshlrev_b32_e32 v86, 2, v34
	ds_bpermute_b32 v59, v86, v56
	v_lshl_add_u64 v[34:35], v[64:65], 0, v[54:55]
	global_load_dwordx4 v[42:45], v[34:35], off
	s_nop 0
	global_load_dwordx4 v[34:37], v[34:35], off offset:16
	s_waitcnt lgkmcnt(0)
	v_max_f32_e32 v54, v59, v59
	v_max_f32_e32 v72, v56, v54
	v_xor_b32_e32 v54, 16, v57
	v_cmp_lt_i32_e64 s[40:41], v54, v58
	s_nop 1
	v_cndmask_b32_e64 v54, v57, v54, s[40:41]
	v_lshlrev_b32_e32 v85, 2, v54
	ds_bpermute_b32 v73, v85, v72
	global_load_dwordx4 v[58:61], v[50:51], off
	global_load_dwordx4 v[54:57], v[50:51], off offset:16
	v_lshl_add_u64 v[50:51], v[64:65], 0, v[52:53]
	s_waitcnt lgkmcnt(0)
	v_max_f32_e32 v52, v73, v73
	v_max_f32_e32 v84, v72, v52
	v_sub_f32_e32 v52, v62, v84
	v_mul_f32_e32 v52, 0x3fb8aa3b, v52
	v_exp_f32_e32 v72, v52
	v_sub_f32_e32 v52, v63, v84
	v_mul_f32_e32 v52, 0x3fb8aa3b, v52
	v_exp_f32_e32 v73, v52
	global_load_dwordx4 v[62:65], v[50:51], off
	s_nop 0
	global_load_dwordx4 v[50:53], v[50:51], off offset:16
	v_sub_f32_e32 v80, v80, v84
	v_mul_f32_e32 v80, 0x3fb8aa3b, v80
	v_sub_f32_e32 v81, v81, v84
	v_exp_f32_e32 v80, v80
	v_mul_f32_e32 v81, 0x3fb8aa3b, v81
	v_sub_f32_e32 v66, v66, v84
	v_exp_f32_e32 v81, v81
	v_mul_f32_e32 v66, 0x3fb8aa3b, v66
	v_sub_f32_e32 v67, v67, v84
	v_cndmask_b32_e64 v72, 0, v72, s[4:5]
	v_exp_f32_e32 v66, v66
	v_mul_f32_e32 v67, 0x3fb8aa3b, v67
	v_sub_f32_e32 v74, v74, v84
	v_add_f32_e32 v87, 0, v72
	v_cndmask_b32_e64 v73, 0, v73, s[24:25]
	v_exp_f32_e32 v67, v67
	v_mul_f32_e32 v74, 0x3fb8aa3b, v74
	v_sub_f32_e32 v75, v75, v84
	v_add_f32_e32 v87, v87, v73
	v_cndmask_b32_e64 v80, 0, v80, s[26:27]
	v_exp_f32_e32 v74, v74
	v_mul_f32_e32 v75, 0x3fb8aa3b, v75
	v_sub_f32_e32 v68, v68, v84
	v_add_f32_e32 v87, v87, v80
	v_cndmask_b32_e64 v81, 0, v81, s[28:29]
	v_exp_f32_e32 v75, v75
	v_mul_f32_e32 v68, 0x3fb8aa3b, v68
	v_sub_f32_e32 v69, v69, v84
	v_add_f32_e32 v87, v87, v81
	v_cndmask_b32_e64 v66, 0, v66, s[30:31]
	v_exp_f32_e32 v68, v68
	v_mul_f32_e32 v69, 0x3fb8aa3b, v69
	v_sub_f32_e32 v76, v76, v84
	v_add_f32_e32 v87, v87, v66
	v_cndmask_b32_e64 v67, 0, v67, s[34:35]
	v_exp_f32_e32 v69, v69
	v_mul_f32_e32 v76, 0x3fb8aa3b, v76
	v_sub_f32_e32 v77, v77, v84
	v_add_f32_e32 v87, v87, v67
	v_cndmask_b32_e64 v74, 0, v74, s[36:37]
	v_exp_f32_e32 v76, v76
	v_mul_f32_e32 v77, 0x3fb8aa3b, v77
	v_sub_f32_e32 v70, v70, v84
	v_add_f32_e32 v87, v87, v74
	v_cndmask_b32_e64 v75, 0, v75, s[38:39]
	v_exp_f32_e32 v77, v77
	v_mul_f32_e32 v70, 0x3fb8aa3b, v70
	v_sub_f32_e32 v71, v71, v84
	v_add_f32_e32 v87, v87, v75
	v_cndmask_b32_e64 v68, 0, v68, s[16:17]
	v_exp_f32_e32 v70, v70
	v_mul_f32_e32 v71, 0x3fb8aa3b, v71
	v_sub_f32_e32 v78, v78, v84
	v_add_f32_e32 v87, v87, v68
	v_cndmask_b32_e64 v69, 0, v69, s[18:19]
	v_exp_f32_e32 v71, v71
	v_mul_f32_e32 v78, 0x3fb8aa3b, v78
	v_sub_f32_e32 v79, v79, v84
	v_add_f32_e32 v87, v87, v69
	v_cndmask_b32_e64 v76, 0, v76, s[12:13]
	v_exp_f32_e32 v78, v78
	v_mul_f32_e32 v79, 0x3fb8aa3b, v79
	v_add_f32_e32 v87, v87, v76
	v_cndmask_b32_e64 v77, 0, v77, s[14:15]
	v_exp_f32_e32 v79, v79
	v_add_f32_e32 v87, v87, v77
	v_cndmask_b32_e64 v70, 0, v70, s[8:9]
	v_add_f32_e32 v87, v87, v70
	v_cndmask_b32_e64 v71, 0, v71, s[10:11]
	v_add_f32_e32 v87, v87, v71
	v_cndmask_b32_e32 v78, 0, v78, vcc
	v_add_f32_e32 v87, v87, v78
	v_cndmask_b32_e64 v79, 0, v79, s[6:7]
	v_add_f32_e32 v92, v87, v79
	ds_bpermute_b32 v93, v86, v92
	s_load_dword s7, s[0:1], 0x98
	v_cmp_gt_u32_e32 vcc, 16, v1
	s_waitcnt lgkmcnt(0)
	s_barrier
	v_add_f32_e32 v92, v92, v93
	ds_bpermute_b32 v85, v85, v92
	s_waitcnt lgkmcnt(0)
	s_and_saveexec_b64 s[4:5], vcc
	s_cbranch_execz .LBB659_15
; %bb.14:
	v_add_f32_e32 v85, v92, v85
	v_lshlrev_b32_e32 v86, 2, v91
	ds_write2st64_b32 v86, v84, v85 offset1:1
.LBB659_15:
	s_or_b64 exec, exec, s[4:5]
	v_lshlrev_b32_e32 v85, 2, v94
	s_load_dword s6, s[0:1], 0x94
	s_waitcnt lgkmcnt(0)
	s_barrier
	ds_read2_b32 v[86:87], v85 offset1:16
	ds_read2_b32 v[88:89], v85 offset0:32 offset1:48
	ds_read2_b32 v[92:93], v85 offset0:64 offset1:80
	v_mov_b32_e32 v1, v94
	s_movk_i32 s8, 0x7fff
	s_waitcnt lgkmcnt(2)
	v_max3_f32 v84, v86, s42, v87
	s_waitcnt lgkmcnt(1)
	v_max3_f32 v84, v84, v88, v89
	v_sub_f32_e32 v86, v86, v84
	v_mul_f32_e32 v86, 0x3fb8aa3b, v86
	v_exp_f32_e32 v91, v86
	v_sub_f32_e32 v86, v87, v84
	v_mul_f32_e32 v86, 0x3fb8aa3b, v86
	v_exp_f32_e32 v95, v86
	;; [unrolled: 3-line block ×3, first 2 shown]
	ds_read2_b32 v[86:87], v85 offset0:96 offset1:112
	v_sub_f32_e32 v85, v89, v84
	v_mul_f32_e32 v85, 0x3fb8aa3b, v85
	v_exp_f32_e32 v89, v85
	s_waitcnt lgkmcnt(1)
	v_fma_f32 v85, v91, v92, 0
	v_fmac_f32_e32 v85, v95, v93
	s_waitcnt lgkmcnt(0)
	v_fmac_f32_e32 v85, v88, v86
	v_fmac_f32_e32 v85, v89, v87
	v_add_f32_e32 v86, 0x358637bd, v85
	v_div_scale_f32 v87, s[4:5], v86, v86, 1.0
	v_rcp_f32_e32 v92, v87
	s_mov_b32 s9, 0x7060302
	s_barrier
	v_fma_f32 v93, -v87, v92, 1.0
	v_fmac_f32_e32 v92, v93, v92
	v_div_scale_f32 v93, vcc, 1.0, v86, 1.0
	v_mul_f32_e32 v83, v93, v92
	v_fma_f32 v94, -v87, v83, v93
	v_fmac_f32_e32 v83, v94, v92
	v_fma_f32 v87, -v87, v83, v93
	v_div_fmas_f32 v83, v87, v92, v83
	v_cmp_eq_u32_e32 vcc, 1, v90
	v_div_fixup_f32 v83, v83, v86, 1.0
	v_mov_b32_e32 v94, v1
	v_cndmask_b32_e32 v86, v91, v95, vcc
	v_cmp_eq_u32_e32 vcc, 2, v90
	v_bfe_u32 v1, v0, 4, 2
	s_nop 0
	v_cndmask_b32_e32 v86, v86, v88, vcc
	v_cmp_eq_u32_e32 vcc, 3, v90
	s_lshl_b32 s7, s7, 2
	s_nop 0
	v_cndmask_b32_e32 v86, v86, v89, vcc
	v_mul_f32_e32 v86, v86, v83
	v_pk_mul_f32 v[72:73], v[86:87], v[72:73] op_sel_hi:[0,1]
	v_pk_mul_f32 v[80:81], v[86:87], v[80:81] op_sel_hi:[0,1]
	v_bfe_u32 v83, v73, 16, 1
	v_bfe_u32 v87, v72, 16, 1
	v_add3_u32 v72, v72, v87, s8
	v_add3_u32 v73, v73, v83, s8
	v_perm_b32 v88, v73, v72, s9
	v_bfe_u32 v72, v81, 16, 1
	v_bfe_u32 v73, v80, 16, 1
	v_add3_u32 v73, v80, v73, s8
	v_add3_u32 v72, v81, v72, s8
	v_perm_b32 v89, v72, v73, s9
	v_lshlrev_b32_e32 v73, 3, v1
	v_lshlrev_b32_e32 v72, 5, v94
	;; [unrolled: 1-line block ×3, first 2 shown]
	v_pk_mul_f32 v[66:67], v[86:87], v[66:67] op_sel_hi:[0,1]
	v_or3_b32 v80, v80, v72, v73
	v_bfe_u32 v73, v67, 16, 1
	v_bfe_u32 v81, v66, 16, 1
	v_pk_mul_f32 v[74:75], v[86:87], v[74:75] op_sel_hi:[0,1]
	v_add3_u32 v66, v66, v81, s8
	v_add3_u32 v67, v67, v73, s8
	v_perm_b32 v66, v67, v66, s9
	v_bfe_u32 v67, v75, 16, 1
	v_bfe_u32 v73, v74, 16, 1
	v_add3_u32 v73, v74, v73, s8
	v_add3_u32 v67, v75, v67, s8
	v_pk_mul_f32 v[68:69], v[86:87], v[68:69] op_sel_hi:[0,1]
	v_perm_b32 v67, v67, v73, s9
	v_bfe_u32 v73, v69, 16, 1
	v_bfe_u32 v74, v68, 16, 1
	ds_write2st64_b64 v80, v[88:89], v[66:67] offset1:1
	v_pk_mul_f32 v[66:67], v[86:87], v[76:77] op_sel_hi:[0,1]
	v_add3_u32 v68, v68, v74, s8
	v_add3_u32 v69, v69, v73, s8
	v_perm_b32 v68, v69, v68, s9
	v_bfe_u32 v69, v67, 16, 1
	v_bfe_u32 v73, v66, 16, 1
	v_pk_mul_f32 v[70:71], v[86:87], v[70:71] op_sel_hi:[0,1]
	v_add3_u32 v66, v66, v73, s8
	v_add3_u32 v67, v67, v69, s8
	v_bfe_u32 v73, v71, 16, 1
	v_bfe_u32 v74, v70, 16, 1
	v_perm_b32 v69, v67, v66, s9
	v_pk_mul_f32 v[66:67], v[86:87], v[78:79] op_sel_hi:[0,1]
	v_add3_u32 v70, v70, v74, s8
	v_add3_u32 v71, v71, v73, s8
	v_perm_b32 v70, v71, v70, s9
	v_bfe_u32 v71, v67, 16, 1
	v_bfe_u32 v73, v66, 16, 1
	v_add3_u32 v66, v66, v73, s8
	v_add3_u32 v67, v67, v71, s8
	v_perm_b32 v71, v67, v66, s9
	v_cmp_gt_u32_e32 vcc, 4, v0
	ds_write2st64_b64 v80, v[68:69], v[70:71] offset0:2 offset1:3
	s_and_saveexec_b64 s[4:5], vcc
	s_cbranch_execz .LBB659_17
; %bb.16:
	v_or_b32_e32 v66, s21, v0
	v_mov_b32_e32 v67, 0
	v_mov_b32_e32 v68, s7
	v_mad_u64_u32 v[68:69], s[10:11], s2, v68, v[66:67]
	v_mov_b32_e32 v66, s20
	s_load_dwordx4 s[12:15], s[0:1], 0x58
	s_mul_i32 s3, s3, s7
	v_mad_u64_u32 v[66:67], s[10:11], v68, s6, v[66:67]
	v_add_u32_e32 v69, s3, v69
	v_mov_b32_e32 v68, v67
	v_mad_u64_u32 v[68:69], s[10:11], v69, s6, v[68:69]
	v_mov_b32_e32 v67, v68
	v_lshlrev_b64 v[66:67], 2, v[66:67]
	s_waitcnt lgkmcnt(0)
	v_lshl_add_u64 v[68:69], s[14:15], 0, v[66:67]
	v_lshl_add_u64 v[66:67], s[12:13], 0, v[66:67]
	global_store_dword v[68:69], v84, off
	global_store_dword v[66:67], v85, off
.LBB659_17:
	s_or_b64 exec, exec, s[4:5]
	v_lshl_or_b32 v1, v1, 9, v72
	s_waitcnt lgkmcnt(0)
	s_barrier
	ds_read_b128 v[70:73], v1
	ds_read_b128 v[66:69], v1 offset:16
	s_waitcnt vmcnt(15) lgkmcnt(1)
	v_mfma_f32_16x16x16_bf16 v[74:77], v[30:31], v[70:71], 0
	s_mov_b32 s3, 0
	v_mfma_f32_16x16x16_bf16 v[30:33], v[32:33], v[72:73], v[74:77]
	s_waitcnt vmcnt(14) lgkmcnt(0)
	v_mfma_f32_16x16x16_bf16 v[30:33], v[26:27], v[66:67], v[30:33]
	v_mfma_f32_16x16x16_bf16 v[26:29], v[28:29], v[68:69], v[30:33]
	s_nop 5
	ds_read_b128 v[30:33], v1 offset:2048
	ds_read_b128 v[74:77], v1 offset:2064
	s_waitcnt vmcnt(13) lgkmcnt(1)
	v_mfma_f32_16x16x16_bf16 v[26:29], v[22:23], v[30:31], v[26:29]
	v_mfma_f32_16x16x16_bf16 v[22:25], v[24:25], v[32:33], v[26:29]
	s_waitcnt vmcnt(12) lgkmcnt(0)
	v_mfma_f32_16x16x16_bf16 v[22:25], v[18:19], v[74:75], v[22:25]
	v_mfma_f32_16x16x16_bf16 v[18:21], v[20:21], v[76:77], v[22:25]
	s_nop 5
	ds_read_b128 v[22:25], v1 offset:4096
	ds_read_b128 v[26:29], v1 offset:4112
	s_waitcnt vmcnt(11) lgkmcnt(1)
	v_mfma_f32_16x16x16_bf16 v[18:21], v[14:15], v[22:23], v[18:21]
	v_mfma_f32_16x16x16_bf16 v[14:17], v[16:17], v[24:25], v[18:21]
	s_waitcnt vmcnt(10) lgkmcnt(0)
	v_mfma_f32_16x16x16_bf16 v[14:17], v[10:11], v[26:27], v[14:17]
	v_mfma_f32_16x16x16_bf16 v[10:13], v[12:13], v[28:29], v[14:17]
	s_nop 5
	ds_read_b128 v[14:17], v1 offset:6144
	ds_read_b128 v[18:21], v1 offset:6160
	s_waitcnt lgkmcnt(0)
	s_barrier
	s_waitcnt vmcnt(9)
	v_mfma_f32_16x16x16_bf16 v[10:13], v[6:7], v[14:15], v[10:13]
	v_mfma_f32_16x16x16_bf16 v[6:9], v[8:9], v[16:17], v[10:13]
	s_waitcnt vmcnt(8)
	v_mfma_f32_16x16x16_bf16 v[6:9], v[2:3], v[18:19], v[6:9]
	v_mfma_f32_16x16x16_bf16 v[2:5], v[4:5], v[20:21], v[6:9]
	;; [unrolled: 3-line block ×3, first 2 shown]
	s_nop 3
	v_bfe_u32 v1, v3, 16, 1
	v_bfe_u32 v10, v2, 16, 1
	v_add3_u32 v2, v2, v10, s8
	s_waitcnt vmcnt(6)
	v_mfma_f32_16x16x16_bf16 v[6:9], v[38:39], v[66:67], v[6:9]
	v_add3_u32 v1, v3, v1, s8
	v_perm_b32 v10, v1, v2, s9
	v_bfe_u32 v1, v5, 16, 1
	v_mfma_f32_16x16x16_bf16 v[6:9], v[40:41], v[68:69], v[6:9]
	v_bfe_u32 v2, v4, 16, 1
	v_add3_u32 v2, v4, v2, s8
	v_add3_u32 v1, v5, v1, s8
	s_waitcnt vmcnt(5)
	v_mfma_f32_16x16x16_bf16 v[6:9], v[42:43], v[30:31], v[6:9]
	v_perm_b32 v11, v1, v2, s9
	v_mfma_f32_16x16x16_bf16 v[6:9], v[44:45], v[32:33], v[6:9]
	s_waitcnt vmcnt(4)
	v_mfma_f32_16x16x16_bf16 v[6:9], v[34:35], v[74:75], v[6:9]
	v_mfma_f32_16x16x16_bf16 v[6:9], v[36:37], v[76:77], v[6:9]
	s_waitcnt vmcnt(3)
	v_mfma_f32_16x16x16_bf16 v[6:9], v[58:59], v[22:23], v[6:9]
	;; [unrolled: 3-line block ×5, first 2 shown]
	v_mfma_f32_16x16x16_bf16 v[2:5], v[52:53], v[20:21], v[6:9]
	s_nop 6
	v_bfe_u32 v1, v3, 16, 1
	v_bfe_u32 v6, v2, 16, 1
	v_add3_u32 v2, v2, v6, s8
	v_add3_u32 v1, v3, v1, s8
	v_perm_b32 v2, v1, v2, s9
	v_bfe_u32 v1, v5, 16, 1
	v_bfe_u32 v3, v4, 16, 1
	v_add3_u32 v3, v4, v3, s8
	v_add3_u32 v1, v5, v1, s8
	v_perm_b32 v3, v1, v3, s9
	ds_write2st64_b64 v80, v[10:11], v[2:3] offset1:1
	s_waitcnt lgkmcnt(0)
	s_barrier
	s_and_saveexec_b64 s[4:5], s[22:23]
	s_cbranch_execz .LBB659_19
; %bb.18:
	v_lshlrev_b32_e32 v2, 6, v94
	v_lshlrev_b32_e32 v1, 4, v0
	v_lshl_or_b32 v0, v0, 10, v2
	scratch_load_dword v2, off, off offset:4 ; 4-byte Folded Reload
	scratch_load_dword v4, off, off         ; 4-byte Folded Reload
	s_load_dwordx2 s[0:1], s[0:1], 0x68
	s_lshl_b32 s6, s6, 7
	s_mul_i32 s2, s7, s2
	s_mul_hi_u32 s5, s2, s6
	s_mul_i32 s4, s2, s6
	s_lshl_b64 s[4:5], s[4:5], 1
	v_and_b32_e32 v1, 16, v1
	v_and_b32_e32 v0, 0x1a00, v0
	s_waitcnt lgkmcnt(0)
	s_add_u32 s4, s0, s4
	s_addc_u32 s5, s1, s5
	s_lshl_b32 s2, s20, 7
	s_lshl_b64 s[0:1], s[2:3], 1
	s_add_u32 s0, s4, s0
	s_addc_u32 s1, s5, s1
	v_mov_b32_e32 v83, 0
	s_waitcnt vmcnt(1)
	v_or3_b32 v0, v0, v2, v1
	ds_read_b128 v[0:3], v0
	s_waitcnt vmcnt(0)
	v_mad_u64_u32 v[4:5], s[2:3], s6, v4, 0
	v_lshl_add_u64 v[4:5], v[4:5], 1, s[0:1]
	v_lshl_add_u64 v[4:5], v[4:5], 0, v[82:83]
	s_waitcnt lgkmcnt(0)
	global_store_dwordx4 v[4:5], v[0:3], off
.LBB659_19:
	s_endpgm
	.section	.rodata,"a",@progbits
	.p2align	6, 0x0
	.amdhsa_kernel _Z39paged_attention_ll4mi_QKV_mfma16_kernelI14__hip_bfloat16S0_LN4vllm18Fp8KVCacheDataTypeE0ES0_Li16ELi128ELi256ELb1ELi4EEvPKT_PKT0_S8_ifPKiSA_SA_iPKfiiiPfSD_PS3_PT2_iSC_SC_
		.amdhsa_group_segment_fixed_size 8192
		.amdhsa_private_segment_fixed_size 12
		.amdhsa_kernarg_size 400
		.amdhsa_user_sgpr_count 2
		.amdhsa_user_sgpr_dispatch_ptr 0
		.amdhsa_user_sgpr_queue_ptr 0
		.amdhsa_user_sgpr_kernarg_segment_ptr 1
		.amdhsa_user_sgpr_dispatch_id 0
		.amdhsa_user_sgpr_kernarg_preload_length 0
		.amdhsa_user_sgpr_kernarg_preload_offset 0
		.amdhsa_user_sgpr_private_segment_size 0
		.amdhsa_uses_dynamic_stack 0
		.amdhsa_enable_private_segment 1
		.amdhsa_system_sgpr_workgroup_id_x 1
		.amdhsa_system_sgpr_workgroup_id_y 1
		.amdhsa_system_sgpr_workgroup_id_z 1
		.amdhsa_system_sgpr_workgroup_info 0
		.amdhsa_system_vgpr_workitem_id 0
		.amdhsa_next_free_vgpr 96
		.amdhsa_next_free_sgpr 43
		.amdhsa_accum_offset 96
		.amdhsa_reserve_vcc 1
		.amdhsa_float_round_mode_32 0
		.amdhsa_float_round_mode_16_64 0
		.amdhsa_float_denorm_mode_32 3
		.amdhsa_float_denorm_mode_16_64 3
		.amdhsa_dx10_clamp 1
		.amdhsa_ieee_mode 1
		.amdhsa_fp16_overflow 0
		.amdhsa_tg_split 0
		.amdhsa_exception_fp_ieee_invalid_op 0
		.amdhsa_exception_fp_denorm_src 0
		.amdhsa_exception_fp_ieee_div_zero 0
		.amdhsa_exception_fp_ieee_overflow 0
		.amdhsa_exception_fp_ieee_underflow 0
		.amdhsa_exception_fp_ieee_inexact 0
		.amdhsa_exception_int_div_zero 0
	.end_amdhsa_kernel
	.section	.text._Z39paged_attention_ll4mi_QKV_mfma16_kernelI14__hip_bfloat16S0_LN4vllm18Fp8KVCacheDataTypeE0ES0_Li16ELi128ELi256ELb1ELi4EEvPKT_PKT0_S8_ifPKiSA_SA_iPKfiiiPfSD_PS3_PT2_iSC_SC_,"axG",@progbits,_Z39paged_attention_ll4mi_QKV_mfma16_kernelI14__hip_bfloat16S0_LN4vllm18Fp8KVCacheDataTypeE0ES0_Li16ELi128ELi256ELb1ELi4EEvPKT_PKT0_S8_ifPKiSA_SA_iPKfiiiPfSD_PS3_PT2_iSC_SC_,comdat
.Lfunc_end659:
	.size	_Z39paged_attention_ll4mi_QKV_mfma16_kernelI14__hip_bfloat16S0_LN4vllm18Fp8KVCacheDataTypeE0ES0_Li16ELi128ELi256ELb1ELi4EEvPKT_PKT0_S8_ifPKiSA_SA_iPKfiiiPfSD_PS3_PT2_iSC_SC_, .Lfunc_end659-_Z39paged_attention_ll4mi_QKV_mfma16_kernelI14__hip_bfloat16S0_LN4vllm18Fp8KVCacheDataTypeE0ES0_Li16ELi128ELi256ELb1ELi4EEvPKT_PKT0_S8_ifPKiSA_SA_iPKfiiiPfSD_PS3_PT2_iSC_SC_
                                        ; -- End function
	.section	.AMDGPU.csdata,"",@progbits
; Kernel info:
; codeLenInByte = 4940
; NumSgprs: 49
; NumVgprs: 96
; NumAgprs: 0
; TotalNumVgprs: 96
; ScratchSize: 12
; MemoryBound: 0
; FloatMode: 240
; IeeeMode: 1
; LDSByteSize: 8192 bytes/workgroup (compile time only)
; SGPRBlocks: 6
; VGPRBlocks: 11
; NumSGPRsForWavesPerEU: 49
; NumVGPRsForWavesPerEU: 96
; AccumOffset: 96
; Occupancy: 5
; WaveLimiterHint : 1
; COMPUTE_PGM_RSRC2:SCRATCH_EN: 1
; COMPUTE_PGM_RSRC2:USER_SGPR: 2
; COMPUTE_PGM_RSRC2:TRAP_HANDLER: 0
; COMPUTE_PGM_RSRC2:TGID_X_EN: 1
; COMPUTE_PGM_RSRC2:TGID_Y_EN: 1
; COMPUTE_PGM_RSRC2:TGID_Z_EN: 1
; COMPUTE_PGM_RSRC2:TIDIG_COMP_CNT: 0
; COMPUTE_PGM_RSRC3_GFX90A:ACCUM_OFFSET: 23
; COMPUTE_PGM_RSRC3_GFX90A:TG_SPLIT: 0
	.section	.text._Z35paged_attention_ll4mi_reduce_kernelI14__hip_bfloat16S0_Li128ELi128ELi256ELi9EEvPT0_PKfS4_PKT_PKiS9_iS4_,"axG",@progbits,_Z35paged_attention_ll4mi_reduce_kernelI14__hip_bfloat16S0_Li128ELi128ELi256ELi9EEvPT0_PKfS4_PKT_PKiS9_iS4_,comdat
	.protected	_Z35paged_attention_ll4mi_reduce_kernelI14__hip_bfloat16S0_Li128ELi128ELi256ELi9EEvPT0_PKfS4_PKT_PKiS9_iS4_ ; -- Begin function _Z35paged_attention_ll4mi_reduce_kernelI14__hip_bfloat16S0_Li128ELi128ELi256ELi9EEvPT0_PKfS4_PKT_PKiS9_iS4_
	.globl	_Z35paged_attention_ll4mi_reduce_kernelI14__hip_bfloat16S0_Li128ELi128ELi256ELi9EEvPT0_PKfS4_PKT_PKiS9_iS4_
	.p2align	8
	.type	_Z35paged_attention_ll4mi_reduce_kernelI14__hip_bfloat16S0_Li128ELi128ELi256ELi9EEvPT0_PKfS4_PKT_PKiS9_iS4_,@function
_Z35paged_attention_ll4mi_reduce_kernelI14__hip_bfloat16S0_Li128ELi128ELi256ELi9EEvPT0_PKfS4_PKT_PKiS9_iS4_: ; @_Z35paged_attention_ll4mi_reduce_kernelI14__hip_bfloat16S0_Li128ELi128ELi256ELi9EEvPT0_PKfS4_PKT_PKiS9_iS4_
; %bb.0:
	s_load_dwordx2 s[34:35], s[0:1], 0x28
	s_mov_b32 s22, s3
	s_mov_b64 s[4:5], 0
	s_waitcnt lgkmcnt(0)
	s_cmp_lg_u64 s[34:35], 0
	s_cselect_b64 s[36:37], -1, 0
	s_and_b64 vcc, exec, s[36:37]
	s_cbranch_vccz .LBB660_27
; %bb.1:
	s_add_i32 s6, s22, 1
	s_mov_b32 s7, 0
	s_lshl_b64 s[8:9], s[6:7], 2
	s_add_u32 s8, s34, s8
	s_mov_b32 s23, s7
	s_addc_u32 s9, s35, s9
	s_lshl_b64 s[6:7], s[22:23], 2
	s_add_u32 s6, s34, s6
	s_addc_u32 s7, s35, s7
	s_load_dword s3, s[8:9], 0x0
	s_load_dword s10, s[6:7], 0x0
	s_waitcnt lgkmcnt(0)
	s_sub_i32 s3, s3, s10
	s_cmp_eq_u32 s3, 1
	s_cselect_b64 s[6:7], -1, 0
	s_andn2_b64 vcc, exec, s[4:5]
	s_cbranch_vccnz .LBB660_3
.LBB660_2:
	s_mov_b32 s23, 0
	s_mov_b64 s[6:7], -1
.LBB660_3:
	s_andn2_b64 vcc, exec, s[6:7]
	s_cbranch_vccz .LBB660_5
; %bb.4:
	s_endpgm
.LBB660_5:
	s_load_dwordx4 s[24:27], s[0:1], 0x18
	s_load_dword s8, s[0:1], 0x30
	s_lshl_b64 s[38:39], s[22:23], 2
	v_cmp_lt_u32_e32 vcc, 63, v0
	s_waitcnt lgkmcnt(0)
	s_add_u32 s4, s26, s38
	s_addc_u32 s5, s27, s39
	s_load_dword s46, s[4:5], 0x0
	s_load_dword s3, s[0:1], 0x40
	s_mul_i32 s26, s2, s8
	s_mul_i32 s6, s22, s8
	s_waitcnt lgkmcnt(0)
	s_add_i32 s7, s46, 0xff
	s_ashr_i32 s4, s7, 31
	s_lshr_b32 s4, s4, 24
	s_add_i32 s7, s7, s4
	s_and_saveexec_b64 s[4:5], vcc
	s_xor_b64 s[4:5], exec, s[4:5]
	s_or_saveexec_b64 s[40:41], s[4:5]
	s_ashr_i32 s33, s7, 8
	v_mov_b32_e32 v1, s26
	s_mul_i32 s42, s6, s3
	s_xor_b64 exec, exec, s[40:41]
	s_cbranch_execz .LBB660_9
; %bb.6:
	s_add_i32 s4, s33, -1
	v_or_b32_e32 v3, 64, v0
	v_mov_b32_e32 v1, s4
	v_cmp_gt_u32_e64 s[16:17], s33, v3
	s_load_dwordx4 s[28:31], s[0:1], 0x8
	s_mov_b32 s43, 0
	v_cndmask_b32_e64 v4, v1, v3, s[16:17]
	v_or_b32_e32 v3, 0x80, v0
	v_cmp_gt_u32_e64 s[14:15], s33, v3
	s_lshl_b64 s[44:45], s[42:43], 2
	s_mov_b32 s27, s43
	v_cndmask_b32_e64 v6, v1, v3, s[14:15]
	v_or_b32_e32 v3, 0xc0, v0
	v_cmp_gt_u32_e64 s[12:13], s33, v3
	v_cmp_gt_u32_e64 s[18:19], s33, v0
	s_waitcnt lgkmcnt(0)
	s_add_u32 s20, s30, s44
	v_cndmask_b32_e64 v8, v1, v3, s[12:13]
	v_or_b32_e32 v3, 0x100, v0
	v_cmp_gt_u32_e64 s[10:11], s33, v3
	v_cndmask_b32_e64 v2, v1, v0, s[18:19]
	s_addc_u32 s21, s31, s45
	v_cndmask_b32_e64 v10, v1, v3, s[10:11]
	v_or_b32_e32 v3, 0x140, v0
	v_cmp_gt_u32_e64 s[8:9], s33, v3
	s_lshl_b64 s[30:31], s[26:27], 2
	s_add_u32 s20, s20, s30
	v_cndmask_b32_e64 v12, v1, v3, s[8:9]
	v_or_b32_e32 v3, 0x180, v0
	v_cmp_gt_u32_e64 s[6:7], s33, v3
	s_addc_u32 s21, s21, s31
	v_ashrrev_i32_e32 v5, 31, v4
	v_cndmask_b32_e64 v14, v1, v3, s[6:7]
	v_or_b32_e32 v3, 0x1c0, v0
	v_cmp_gt_u32_e64 s[4:5], s33, v3
	v_ashrrev_i32_e32 v7, 31, v6
	v_ashrrev_i32_e32 v9, 31, v8
	v_cndmask_b32_e64 v16, v1, v3, s[4:5]
	v_or_b32_e32 v3, 0x200, v0
	v_cmp_gt_u32_e32 vcc, s33, v3
	v_ashrrev_i32_e32 v11, 31, v10
	v_ashrrev_i32_e32 v13, 31, v12
	v_cndmask_b32_e32 v18, v1, v3, vcc
	v_ashrrev_i32_e32 v3, 31, v2
	v_lshlrev_b64 v[2:3], 2, v[2:3]
	v_ashrrev_i32_e32 v15, 31, v14
	v_ashrrev_i32_e32 v17, 31, v16
	;; [unrolled: 1-line block ×3, first 2 shown]
	v_lshl_add_u64 v[20:21], s[20:21], 0, v[2:3]
	v_lshlrev_b64 v[4:5], 2, v[4:5]
	v_lshlrev_b64 v[6:7], 2, v[6:7]
	;; [unrolled: 1-line block ×8, first 2 shown]
	v_lshl_add_u64 v[22:23], s[20:21], 0, v[4:5]
	v_lshl_add_u64 v[24:25], s[20:21], 0, v[6:7]
	;; [unrolled: 1-line block ×7, first 2 shown]
	global_load_dword v1, v[20:21], off
	global_load_dword v36, v[22:23], off
	;; [unrolled: 1-line block ×8, first 2 shown]
	v_lshl_add_u64 v[20:21], s[20:21], 0, v[18:19]
	global_load_dword v20, v[20:21], off
	v_mbcnt_lo_u32_b32 v21, -1, 0
	v_mbcnt_hi_u32_b32 v21, -1, v21
	v_and_b32_e32 v22, 64, v21
	v_xor_b32_e32 v23, 32, v21
	v_add_u32_e32 v22, 64, v22
	v_cmp_lt_i32_e64 s[20:21], v23, v22
	v_xor_b32_e32 v24, 16, v21
	v_xor_b32_e32 v25, 8, v21
	v_cndmask_b32_e64 v23, v21, v23, s[20:21]
	s_add_u32 s20, s28, s44
	s_addc_u32 s21, s29, s45
	s_add_u32 s28, s20, s30
	s_addc_u32 s29, s21, s31
	v_lshl_add_u64 v[2:3], s[28:29], 0, v[2:3]
	global_load_dword v27, v[2:3], off
	v_lshlrev_b32_e32 v23, 2, v23
	v_cmp_lt_i32_e64 s[20:21], v24, v22
	v_xor_b32_e32 v26, 4, v21
	v_xor_b32_e32 v28, 2, v21
	v_cndmask_b32_e64 v24, v21, v24, s[20:21]
	v_lshlrev_b32_e32 v24, 2, v24
	v_cmp_lt_i32_e64 s[20:21], v25, v22
	s_mov_b32 s27, 0x3fb8aa3b
	s_waitcnt vmcnt(7)
	v_max3_f32 v2, v1, v36, v37
	s_waitcnt vmcnt(5)
	v_max3_f32 v2, v2, v38, v39
	;; [unrolled: 2-line block ×4, first 2 shown]
	ds_bpermute_b32 v3, v23, v2
	s_waitcnt lgkmcnt(0)
	v_max_f32_e32 v3, v3, v3
	v_max_f32_e32 v29, v2, v3
	ds_bpermute_b32 v30, v24, v29
	v_cndmask_b32_e64 v2, v21, v25, s[20:21]
	v_lshlrev_b32_e32 v25, 2, v2
	v_lshl_add_u64 v[2:3], s[28:29], 0, v[4:5]
	v_cmp_lt_i32_e64 s[20:21], v26, v22
	s_waitcnt lgkmcnt(0)
	v_max_f32_e32 v4, v30, v30
	v_max_f32_e32 v4, v29, v4
	ds_bpermute_b32 v5, v25, v4
	global_load_dword v29, v[2:3], off
	v_cndmask_b32_e64 v2, v21, v26, s[20:21]
	v_lshlrev_b32_e32 v26, 2, v2
	v_cmp_lt_i32_e64 s[20:21], v28, v22
	s_waitcnt lgkmcnt(0)
	v_max_f32_e32 v2, v5, v5
	v_max_f32_e32 v2, v4, v2
	ds_bpermute_b32 v3, v26, v2
	v_cndmask_b32_e64 v5, v21, v28, s[20:21]
	v_lshlrev_b32_e32 v28, 2, v5
	v_xor_b32_e32 v4, 1, v21
	v_cmp_lt_i32_e64 s[20:21], v4, v22
	s_waitcnt lgkmcnt(0)
	v_max_f32_e32 v3, v3, v3
	v_max_f32_e32 v5, v2, v3
	ds_bpermute_b32 v30, v28, v5
	v_lshl_add_u64 v[2:3], s[28:29], 0, v[6:7]
	global_load_dword v31, v[2:3], off
	v_cndmask_b32_e64 v2, v21, v4, s[20:21]
	v_lshlrev_b32_e32 v22, 2, v2
	s_waitcnt lgkmcnt(0)
	v_max_f32_e32 v3, v30, v30
	v_max_f32_e32 v21, v5, v3
	v_lshl_add_u64 v[2:3], s[28:29], 0, v[8:9]
	v_lshl_add_u64 v[8:9], s[28:29], 0, v[14:15]
	global_load_dword v14, v[2:3], off
	ds_bpermute_b32 v30, v22, v21
	v_lshl_add_u64 v[6:7], s[28:29], 0, v[12:13]
	v_lshl_add_u64 v[4:5], s[28:29], 0, v[10:11]
	;; [unrolled: 1-line block ×3, first 2 shown]
	s_waitcnt lgkmcnt(0)
	v_max_f32_e32 v12, v30, v30
	v_max_f32_e32 v12, v21, v12
	v_sub_f32_e32 v1, v1, v12
	v_mul_f32_e32 v13, 0x3fb8aa3b, v1
	v_fma_f32 v2, v1, s27, -v13
	v_rndne_f32_e32 v3, v13
	v_fmac_f32_e32 v2, 0x32a5705f, v1
	v_sub_f32_e32 v13, v13, v3
	v_add_f32_e32 v2, v13, v2
	global_load_dword v16, v[4:5], off
	global_load_dword v17, v[6:7], off
	;; [unrolled: 1-line block ×4, first 2 shown]
	v_exp_f32_e32 v13, v2
	v_cvt_i32_f32_e32 v15, v3
	v_lshl_add_u64 v[2:3], s[28:29], 0, v[18:19]
	global_load_dword v2, v[2:3], off
	v_sub_f32_e32 v5, v36, v12
	v_mul_f32_e32 v6, 0x3fb8aa3b, v5
	v_fma_f32 v7, v5, s27, -v6
	v_rndne_f32_e32 v8, v6
	v_fmac_f32_e32 v7, 0x32a5705f, v5
	v_sub_f32_e32 v6, v6, v8
	v_add_f32_e32 v6, v6, v7
	v_exp_f32_e32 v6, v6
	v_cvt_i32_f32_e32 v7, v8
	s_mov_b32 s28, 0xc2ce8ed0
	v_ldexp_f32 v3, v13, v15
	v_cmp_ngt_f32_e64 s[20:21], s28, v1
	s_mov_b32 s29, 0x42b17218
	v_mov_b32_e32 v4, 0x7f800000
	v_cndmask_b32_e64 v3, 0, v3, s[20:21]
	v_cmp_nlt_f32_e64 s[20:21], s29, v1
	s_nop 1
	v_cndmask_b32_e64 v1, v4, v3, s[20:21]
	v_ldexp_f32 v3, v6, v7
	v_sub_f32_e32 v6, v37, v12
	v_mul_f32_e32 v7, 0x3fb8aa3b, v6
	v_fma_f32 v8, v6, s27, -v7
	v_rndne_f32_e32 v9, v7
	v_fmac_f32_e32 v8, 0x32a5705f, v6
	v_sub_f32_e32 v7, v7, v9
	v_add_f32_e32 v7, v7, v8
	v_exp_f32_e32 v7, v7
	v_cvt_i32_f32_e32 v8, v9
	v_cndmask_b32_e64 v1, 0, v1, s[18:19]
	v_cmp_ngt_f32_e64 s[18:19], s28, v5
	s_waitcnt vmcnt(8)
	v_mul_f32_e32 v1, v27, v1
	v_cndmask_b32_e64 v3, 0, v3, s[18:19]
	v_cmp_nlt_f32_e64 s[18:19], s29, v5
	v_ldexp_f32 v5, v7, v8
	v_sub_f32_e32 v7, v38, v12
	v_mul_f32_e32 v8, 0x3fb8aa3b, v7
	v_fma_f32 v9, v7, s27, -v8
	v_rndne_f32_e32 v10, v8
	v_fmac_f32_e32 v9, 0x32a5705f, v7
	v_sub_f32_e32 v8, v8, v10
	v_add_f32_e32 v8, v8, v9
	v_exp_f32_e32 v8, v8
	v_cvt_i32_f32_e32 v9, v10
	v_cndmask_b32_e64 v3, v4, v3, s[18:19]
	v_cndmask_b32_e64 v3, 0, v3, s[16:17]
	v_cmp_ngt_f32_e64 s[16:17], s28, v6
	s_waitcnt vmcnt(7)
	v_mul_f32_e32 v3, v29, v3
	v_cndmask_b32_e64 v5, 0, v5, s[16:17]
	v_cmp_nlt_f32_e64 s[16:17], s29, v6
	v_ldexp_f32 v6, v8, v9
	v_sub_f32_e32 v8, v39, v12
	v_mul_f32_e32 v9, 0x3fb8aa3b, v8
	v_fma_f32 v10, v8, s27, -v9
	v_rndne_f32_e32 v11, v9
	v_fmac_f32_e32 v10, 0x32a5705f, v8
	v_sub_f32_e32 v9, v9, v11
	v_add_f32_e32 v9, v9, v10
	v_exp_f32_e32 v9, v9
	v_cvt_i32_f32_e32 v10, v11
	v_cndmask_b32_e64 v5, v4, v5, s[16:17]
	;; [unrolled: 17-line block ×5, first 2 shown]
	v_cndmask_b32_e64 v8, 0, v8, s[8:9]
	v_cmp_ngt_f32_e64 s[8:9], s28, v10
	v_sub_f32_e32 v12, v20, v12
	s_waitcnt vmcnt(3)
	v_mul_f32_e32 v8, v17, v8
	v_cndmask_b32_e64 v9, 0, v9, s[8:9]
	v_cmp_nlt_f32_e64 s[8:9], s29, v10
	v_ldexp_f32 v10, v13, v14
	v_mul_f32_e32 v13, 0x3fb8aa3b, v12
	v_fma_f32 v14, v12, s27, -v13
	v_rndne_f32_e32 v15, v13
	v_fmac_f32_e32 v14, 0x32a5705f, v12
	v_sub_f32_e32 v13, v13, v15
	v_add_f32_e32 v13, v13, v14
	v_cndmask_b32_e64 v9, v4, v9, s[8:9]
	v_exp_f32_e32 v13, v13
	v_cvt_i32_f32_e32 v14, v15
	v_cndmask_b32_e64 v9, 0, v9, s[6:7]
	v_cmp_ngt_f32_e64 s[6:7], s28, v11
	s_nop 1
	v_cndmask_b32_e64 v10, 0, v10, s[6:7]
	v_cmp_nlt_f32_e64 s[6:7], s29, v11
	v_ldexp_f32 v11, v13, v14
	v_lshlrev_b32_e32 v13, 2, v0
	v_cndmask_b32_e64 v10, v4, v10, s[6:7]
	v_cndmask_b32_e64 v10, 0, v10, s[4:5]
	v_cmp_ngt_f32_e64 s[4:5], s28, v12
	ds_write2st64_b32 v13, v1, v3 offset1:1
	ds_write2st64_b32 v13, v5, v6 offset0:2 offset1:3
	v_cndmask_b32_e64 v11, 0, v11, s[4:5]
	v_cmp_nlt_f32_e64 s[4:5], s29, v12
	s_nop 1
	v_cndmask_b32_e64 v4, v4, v11, s[4:5]
	v_add_f32_e32 v11, v1, v3
	v_add_f32_e32 v11, v11, v5
	;; [unrolled: 1-line block ×5, first 2 shown]
	s_waitcnt vmcnt(2)
	v_fmac_f32_e32 v11, v21, v9
	v_cndmask_b32_e32 v4, 0, v4, vcc
	s_waitcnt vmcnt(1)
	v_fmac_f32_e32 v11, v30, v10
	s_waitcnt vmcnt(0)
	v_fmac_f32_e32 v11, v2, v4
	ds_bpermute_b32 v12, v23, v11
	v_mul_f32_e32 v4, v2, v4
	v_cmp_eq_u32_e32 vcc, 0, v0
	v_mul_f32_e32 v9, v21, v9
	v_mul_f32_e32 v10, v30, v10
	s_waitcnt lgkmcnt(0)
	v_add_f32_e32 v11, v11, v12
	ds_bpermute_b32 v12, v24, v11
	ds_write2st64_b32 v13, v7, v8 offset0:4 offset1:5
	ds_write2st64_b32 v13, v9, v10 offset0:6 offset1:7
	ds_write_b32 v13, v4 offset:2048
	s_waitcnt lgkmcnt(3)
	v_add_f32_e32 v11, v11, v12
	ds_bpermute_b32 v12, v25, v11
	s_waitcnt lgkmcnt(0)
	v_add_f32_e32 v11, v11, v12
	ds_bpermute_b32 v12, v26, v11
	s_waitcnt lgkmcnt(0)
	v_add_f32_e32 v11, v11, v12
	ds_bpermute_b32 v12, v28, v11
	s_waitcnt lgkmcnt(0)
	v_add_f32_e32 v1, v11, v12
	ds_bpermute_b32 v2, v22, v1
	s_and_saveexec_b64 s[4:5], vcc
	s_cbranch_execz .LBB660_8
; %bb.7:
	s_waitcnt lgkmcnt(0)
	v_add_f32_e32 v1, v1, v2
	v_mov_b32_e32 v2, 0
	ds_write_b32 v2, v1 offset:2304
.LBB660_8:
	s_or_b64 exec, exec, s[4:5]
	v_mov_b32_e32 v1, s26
.LBB660_9:
	s_or_b64 exec, exec, s[40:41]
	s_lshl_b32 s4, s42, 7
	s_mov_b32 s5, 0
	s_lshl_b64 s[4:5], s[4:5], 1
	s_add_u32 s4, s24, s4
	s_addc_u32 s5, s25, s5
	s_lshl_b32 s10, s33, 7
	s_add_i32 s11, s10, 0xffffff80
	s_waitcnt lgkmcnt(0)
	v_lshlrev_b32_e32 v2, 7, v1
	v_mov_b32_e32 v3, 0
	s_cmp_lt_i32 s46, 1
	v_lshl_add_u64 v[4:5], v[2:3], 1, s[4:5]
	s_cselect_b32 s4, s11, 0
	v_lshlrev_b32_e32 v2, 1, v0
	s_ashr_i32 s5, s4, 31
	v_lshl_add_u64 v[0:1], v[4:5], 0, v[2:3]
	s_cmpk_lt_i32 s46, 0x101
	v_lshl_add_u64 v[4:5], s[4:5], 1, v[0:1]
	s_cselect_b32 s4, s11, 0x80
	s_ashr_i32 s5, s4, 31
	s_cmpk_lt_i32 s46, 0x201
	v_lshl_add_u64 v[6:7], s[4:5], 1, v[0:1]
	s_cselect_b32 s4, s11, 0x100
	s_ashr_i32 s5, s4, 31
	;; [unrolled: 4-line block ×8, first 2 shown]
	s_cmpk_lt_i32 s46, 0x901
	global_load_ushort v23, v[4:5], off
	global_load_ushort v22, v[6:7], off
	;; [unrolled: 1-line block ×8, first 2 shown]
	v_lshl_add_u64 v[4:5], s[4:5], 1, v[0:1]
	s_cselect_b32 s4, s11, 0x480
	s_ashr_i32 s5, s4, 31
	s_cmpk_lt_i32 s46, 0xa01
	v_lshl_add_u64 v[6:7], s[4:5], 1, v[0:1]
	s_cselect_b32 s4, s11, 0x500
	s_ashr_i32 s5, s4, 31
	s_cmpk_lt_i32 s46, 0xb01
	;; [unrolled: 4-line block ×6, first 2 shown]
	v_lshl_add_u64 v[32:33], s[4:5], 1, v[0:1]
	s_cselect_b32 s4, s11, 0x780
	s_ashr_i32 s5, s4, 31
	v_lshl_add_u64 v[34:35], s[4:5], 1, v[0:1]
	global_load_ushort v30, v[4:5], off
	global_load_ushort v31, v[6:7], off
	;; [unrolled: 1-line block ×8, first 2 shown]
	s_cmpk_gt_i32 s46, 0x1000
	s_cselect_b64 s[8:9], -1, 0
	s_cmpk_lt_i32 s46, 0x1001
	v_mov_b32_e32 v40, 0
	v_mov_b32_e32 v41, 0
	;; [unrolled: 1-line block ×48, first 2 shown]
	s_barrier
	s_cbranch_scc1 .LBB660_12
; %bb.10:
	s_cmpk_lt_u32 s46, 0x1101
	s_cselect_b32 s4, s11, 0x880
	s_ashr_i32 s5, s4, 31
	s_cmpk_lt_u32 s46, 0x1201
	v_lshl_add_u64 v[6:7], s[4:5], 1, v[0:1]
	s_cselect_b32 s4, s11, 0x900
	s_ashr_i32 s5, s4, 31
	s_cmpk_lt_u32 s46, 0x1301
	v_lshl_add_u64 v[8:9], s[4:5], 1, v[0:1]
	;; [unrolled: 4-line block ×7, first 2 shown]
	s_cselect_b32 s4, s11, 0xc00
	v_add_co_u32_e32 v4, vcc, 0x1000, v0
	s_ashr_i32 s5, s4, 31
	s_nop 0
	v_addc_co_u32_e32 v5, vcc, 0, v1, vcc
	s_cmpk_lt_u32 s46, 0x1901
	global_load_ushort v39, v[4:5], off
	global_load_ushort v38, v[6:7], off
	;; [unrolled: 1-line block ×8, first 2 shown]
	v_lshl_add_u64 v[4:5], s[4:5], 1, v[0:1]
	s_cselect_b32 s4, s11, 0xc80
	s_ashr_i32 s5, s4, 31
	s_cmpk_lt_u32 s46, 0x1a01
	v_lshl_add_u64 v[6:7], s[4:5], 1, v[0:1]
	s_cselect_b32 s4, s11, 0xd00
	s_ashr_i32 s5, s4, 31
	s_cmpk_lt_u32 s46, 0x1b01
	;; [unrolled: 4-line block ×6, first 2 shown]
	v_lshl_add_u64 v[48:49], s[4:5], 1, v[0:1]
	s_cselect_b32 s4, s11, 0xf80
	s_ashr_i32 s5, s4, 31
	v_lshl_add_u64 v[50:51], s[4:5], 1, v[0:1]
	global_load_ushort v47, v[4:5], off
	global_load_ushort v46, v[6:7], off
	global_load_ushort v45, v[8:9], off
	global_load_ushort v44, v[10:11], off
	global_load_ushort v43, v[12:13], off
	global_load_ushort v42, v[14:15], off
	global_load_ushort v41, v[48:49], off
	global_load_ushort v40, v[50:51], off
	s_cmpk_lt_u32 s46, 0x2001
	v_mov_b32_e32 v67, 0
	v_mov_b32_e32 v65, 0
	v_mov_b32_e32 v66, 0
	v_mov_b32_e32 v63, 0
	v_mov_b32_e32 v64, 0
	v_mov_b32_e32 v61, 0
	v_mov_b32_e32 v62, 0
	v_mov_b32_e32 v59, 0
	v_mov_b32_e32 v60, 0
	v_mov_b32_e32 v57, 0
	v_mov_b32_e32 v58, 0
	v_mov_b32_e32 v55, 0
	v_mov_b32_e32 v56, 0
	v_mov_b32_e32 v53, 0
	v_mov_b32_e32 v54, 0
	v_mov_b32_e32 v52, 0
	v_mov_b32_e32 v51, 0
	v_mov_b32_e32 v49, 0
	v_mov_b32_e32 v50, 0
	v_mov_b32_e32 v48, 0
	v_mov_b32_e32 v15, 0
	v_mov_b32_e32 v14, 0
	v_mov_b32_e32 v13, 0
	v_mov_b32_e32 v12, 0
	v_mov_b32_e32 v11, 0
	v_mov_b32_e32 v10, 0
	v_mov_b32_e32 v9, 0
	v_mov_b32_e32 v8, 0
	v_mov_b32_e32 v7, 0
	v_mov_b32_e32 v6, 0
	v_mov_b32_e32 v5, 0
	v_mov_b32_e32 v4, 0
	s_cbranch_scc1 .LBB660_12
; %bb.11:
	s_cmpk_lt_u32 s46, 0x2101
	s_cselect_b32 s4, s11, 0x1080
	s_ashr_i32 s5, s4, 31
	s_cmpk_lt_u32 s46, 0x2201
	v_lshl_add_u64 v[4:5], s[4:5], 1, v[0:1]
	s_cselect_b32 s4, s11, 0x1100
	s_ashr_i32 s5, s4, 31
	s_cmpk_lt_u32 s46, 0x2301
	v_lshl_add_u64 v[6:7], s[4:5], 1, v[0:1]
	;; [unrolled: 4-line block ×29, first 2 shown]
	s_cselect_b32 s4, s11, 0x1f00
	s_ashr_i32 s5, s4, 31
	v_lshl_add_u64 v[94:95], s[4:5], 1, v[0:1]
	s_movk_i32 s4, 0x2000
	s_cmpk_lt_u32 s46, 0x3f01
	v_add_co_u32_e32 v96, vcc, s4, v0
	s_cselect_b32 s4, s11, 0x1f80
	s_nop 0
	v_addc_co_u32_e32 v97, vcc, 0, v1, vcc
	s_ashr_i32 s5, s4, 31
	global_load_ushort v98, v[96:97], off
	global_load_ushort v99, v[4:5], off
	;; [unrolled: 1-line block ×15, first 2 shown]
                                        ; kill: killed $vgpr54_vgpr55
                                        ; kill: killed $vgpr6_vgpr7
                                        ; kill: killed $vgpr60_vgpr61
                                        ; kill: killed $vgpr12_vgpr13
                                        ; kill: killed $vgpr50_vgpr51
                                        ; kill: killed $vgpr56_vgpr57
                                        ; kill: killed $vgpr8_vgpr9
                                        ; kill: killed $vgpr62_vgpr63
                                        ; kill: killed $vgpr14_vgpr15
                                        ; kill: killed $vgpr96 killed $vgpr97
                                        ; kill: killed $vgpr52_vgpr53
                                        ; kill: killed $vgpr4_vgpr5
                                        ; kill: killed $vgpr58_vgpr59
                                        ; kill: killed $vgpr10_vgpr11
                                        ; kill: killed $vgpr48_vgpr49
	global_load_ushort v6, v[64:65], off
	global_load_ushort v7, v[66:67], off
	;; [unrolled: 1-line block ×15, first 2 shown]
                                        ; kill: killed $vgpr70_vgpr71
                                        ; kill: killed $vgpr92_vgpr93
                                        ; kill: killed $vgpr76_vgpr77
                                        ; kill: killed $vgpr82_vgpr83
                                        ; kill: killed $vgpr66_vgpr67
                                        ; kill: killed $vgpr88_vgpr89
                                        ; kill: killed $vgpr72_vgpr73
                                        ; kill: killed $vgpr94_vgpr95
                                        ; kill: killed $vgpr78_vgpr79
                                        ; kill: killed $vgpr84_vgpr85
                                        ; kill: killed $vgpr68_vgpr69
                                        ; kill: killed $vgpr90_vgpr91
                                        ; kill: killed $vgpr74_vgpr75
                                        ; kill: killed $vgpr80_vgpr81
                                        ; kill: killed $vgpr64_vgpr65
	global_load_ushort v68, v[86:87], off
	v_lshl_add_u64 v[4:5], s[4:5], 1, v[0:1]
	global_load_ushort v5, v[4:5], off
	s_waitcnt vmcnt(31)
	v_lshlrev_b32_e32 v67, 16, v98
	s_waitcnt vmcnt(30)
	v_lshlrev_b32_e32 v65, 16, v99
	;; [unrolled: 2-line block ×32, first 2 shown]
.LBB660_12:
	s_load_dwordx2 s[4:5], s[0:1], 0x0
	s_load_dwordx2 s[6:7], s[0:1], 0x38
	ds_read_b128 v[68:71], v3
	s_waitcnt vmcnt(15)
	v_lshlrev_b32_e32 v23, 16, v23
	ds_read_b128 v[72:75], v3 offset:16
	ds_read_b128 v[76:79], v3 offset:32
	;; [unrolled: 1-line block ×3, first 2 shown]
	s_waitcnt vmcnt(14)
	v_lshlrev_b32_e32 v22, 16, v22
	s_waitcnt vmcnt(13)
	v_lshlrev_b32_e32 v21, 16, v21
	s_waitcnt lgkmcnt(0)
	v_fma_f32 v23, v68, v23, 0
	v_fmac_f32_e32 v23, v69, v22
	v_fmac_f32_e32 v23, v70, v21
	s_waitcnt vmcnt(12)
	v_lshlrev_b32_e32 v20, 16, v20
	s_waitcnt vmcnt(10)
	v_lshlrev_b32_e32 v19, 16, v19
	v_lshlrev_b32_e32 v18, 16, v18
	v_fmac_f32_e32 v23, v71, v20
	v_pk_mul_f32 v[18:19], v[72:73], v[18:19]
	s_waitcnt vmcnt(8)
	v_lshlrev_b32_e32 v17, 16, v17
	v_add_f32_e32 v18, v23, v18
	v_lshlrev_b32_e32 v16, 16, v16
	v_add_f32_e32 v18, v18, v19
	v_pk_mul_f32 v[16:17], v[74:75], v[16:17]
	s_and_b64 vcc, exec, s[8:9]
	v_add_f32_e32 v16, v18, v16
	v_add_f32_e32 v18, v16, v17
	s_waitcnt vmcnt(6)
	v_lshlrev_b32_e32 v17, 16, v31
	v_lshlrev_b32_e32 v16, 16, v30
	v_pk_mul_f32 v[16:17], v[76:77], v[16:17]
	s_nop 0
	v_add_f32_e32 v16, v18, v16
	v_add_f32_e32 v18, v16, v17
	s_waitcnt vmcnt(4)
	v_lshlrev_b32_e32 v17, 16, v29
	v_lshlrev_b32_e32 v16, 16, v28
	v_pk_mul_f32 v[16:17], v[78:79], v[16:17]
	s_nop 0
	;; [unrolled: 7-line block ×4, first 2 shown]
	v_add_f32_e32 v16, v18, v16
	v_add_f32_e32 v110, v16, v17
	s_cbranch_vccz .LBB660_15
; %bb.13:
	ds_read_b128 v[16:19], v3 offset:64
	v_lshlrev_b32_e32 v39, 16, v39
	ds_read_b128 v[20:23], v3 offset:80
	ds_read_b128 v[24:27], v3 offset:96
	;; [unrolled: 1-line block ×3, first 2 shown]
	v_lshlrev_b32_e32 v3, 16, v38
	s_cmpk_lt_u32 s46, 0x2001
	s_waitcnt lgkmcnt(3)
	v_fmac_f32_e32 v110, v16, v39
	v_fmac_f32_e32 v110, v17, v3
	v_lshlrev_b32_e32 v3, 16, v37
	v_fmac_f32_e32 v110, v18, v3
	v_lshlrev_b32_e32 v3, 16, v36
	v_fmac_f32_e32 v110, v19, v3
	v_lshlrev_b32_e32 v3, 16, v35
	s_waitcnt lgkmcnt(2)
	v_fmac_f32_e32 v110, v20, v3
	v_lshlrev_b32_e32 v3, 16, v34
	v_fmac_f32_e32 v110, v21, v3
	v_lshlrev_b32_e32 v3, 16, v33
	v_fmac_f32_e32 v110, v22, v3
	v_lshlrev_b32_e32 v3, 16, v32
	v_fmac_f32_e32 v110, v23, v3
	v_lshlrev_b32_e32 v3, 16, v47
	s_waitcnt lgkmcnt(1)
	v_fmac_f32_e32 v110, v24, v3
	v_lshlrev_b32_e32 v3, 16, v46
	;; [unrolled: 9-line block ×3, first 2 shown]
	v_fmac_f32_e32 v110, v29, v3
	v_lshlrev_b32_e32 v3, 16, v41
	v_fmac_f32_e32 v110, v30, v3
	v_lshlrev_b32_e32 v3, 16, v40
	v_fmac_f32_e32 v110, v31, v3
	s_cbranch_scc1 .LBB660_15
; %bb.14:
	v_mov_b32_e32 v3, 0
	ds_read_b128 v[16:19], v3 offset:128
	ds_read_b128 v[20:23], v3 offset:144
	;; [unrolled: 1-line block ×4, first 2 shown]
	s_waitcnt lgkmcnt(3)
	v_fmac_f32_e32 v110, v16, v67
	v_fmac_f32_e32 v110, v17, v65
	v_fmac_f32_e32 v110, v18, v66
	v_fmac_f32_e32 v110, v19, v63
	s_waitcnt lgkmcnt(2)
	v_fmac_f32_e32 v110, v20, v64
	v_fmac_f32_e32 v110, v21, v61
	v_fmac_f32_e32 v110, v22, v62
	v_fmac_f32_e32 v110, v23, v59
	;; [unrolled: 5-line block ×3, first 2 shown]
	ds_read_b128 v[16:19], v3 offset:192
	ds_read_b128 v[20:23], v3 offset:208
	s_waitcnt lgkmcnt(2)
	v_fmac_f32_e32 v110, v28, v56
	v_fmac_f32_e32 v110, v29, v53
	;; [unrolled: 1-line block ×4, first 2 shown]
	s_waitcnt lgkmcnt(1)
	v_fmac_f32_e32 v110, v16, v51
	v_fmac_f32_e32 v110, v17, v49
	;; [unrolled: 1-line block ×4, first 2 shown]
	s_waitcnt lgkmcnt(0)
	v_pk_mul_f32 v[14:15], v[20:21], v[14:15]
	v_pk_mul_f32 v[12:13], v[22:23], v[12:13]
	v_add_f32_e32 v14, v110, v14
	v_add_f32_e32 v18, v14, v15
	ds_read_b128 v[14:17], v3 offset:224
	v_add_f32_e32 v12, v18, v12
	ds_read_b128 v[18:21], v3 offset:240
	v_add_f32_e32 v12, v12, v13
	s_waitcnt lgkmcnt(1)
	v_pk_mul_f32 v[10:11], v[14:15], v[10:11]
	s_nop 0
	v_add_f32_e32 v3, v12, v10
	v_add_f32_e32 v3, v3, v11
	v_pk_mul_f32 v[8:9], v[16:17], v[8:9]
	s_waitcnt lgkmcnt(0)
	v_pk_mul_f32 v[6:7], v[18:19], v[6:7]
	v_add_f32_e32 v3, v3, v8
	v_add_f32_e32 v3, v3, v9
	;; [unrolled: 1-line block ×4, first 2 shown]
	v_pk_mul_f32 v[4:5], v[20:21], v[4:5]
	s_nop 0
	v_add_f32_e32 v3, v3, v4
	v_add_f32_e32 v110, v3, v5
.LBB660_15:
	s_movk_i32 s0, 0x3f80
	s_movk_i32 s1, 0x100
	s_mov_b32 s8, 64
	s_branch .LBB660_17
.LBB660_16:                             ;   in Loop: Header=BB660_17 Depth=1
	s_addk_i32 s0, 0x2000
	s_addk_i32 s1, 0x100
	s_add_i32 s8, s8, 64
	s_cmp_eq_u32 s0, 0x13f80
	s_cbranch_scc1 .LBB660_19
.LBB660_17:                             ; =>This Inner Loop Header: Depth=1
	s_cmp_le_i32 s33, s8
	s_cbranch_scc1 .LBB660_16
; %bb.18:                               ;   in Loop: Header=BB660_17 Depth=1
	s_add_i32 s9, s0, 0xffffe080
	s_cmp_lt_i32 s9, s10
	s_cselect_b32 s12, s9, s11
	s_ashr_i32 s13, s12, 31
	s_add_i32 s9, s0, 0xffffe100
	s_cmp_lt_i32 s9, s10
	v_lshl_add_u64 v[42:43], s[12:13], 1, v[0:1]
	s_cselect_b32 s12, s9, s11
	s_ashr_i32 s13, s12, 31
	s_add_i32 s9, s0, 0xffffe180
	s_cmp_lt_i32 s9, s10
	v_lshl_add_u64 v[4:5], s[12:13], 1, v[0:1]
	;; [unrolled: 5-line block ×25, first 2 shown]
	s_cselect_b32 s12, s9, s11
	s_ashr_i32 s13, s12, 31
	s_add_i32 s9, s0, 0xffffed80
	s_cmp_lt_i32 s9, s10
	global_load_ushort v3, v[42:43], off
	global_load_ushort v120, v[44:45], off
	v_lshl_add_u64 v[18:19], s[12:13], 1, v[0:1]
	s_cselect_b32 s12, s9, s11
	global_load_ushort v111, v[4:5], off
	global_load_ushort v112, v[6:7], off
	;; [unrolled: 1-line block ×8, first 2 shown]
	s_ashr_i32 s13, s12, 31
	s_add_i32 s9, s0, 0xffffee00
	s_cmp_lt_i32 s9, s10
	v_lshl_add_u64 v[20:21], s[12:13], 1, v[0:1]
	s_cselect_b32 s12, s9, s11
	s_ashr_i32 s13, s12, 31
	s_add_i32 s9, s0, 0xffffee80
	s_cmp_lt_i32 s9, s10
	v_lshl_add_u64 v[38:39], s[12:13], 1, v[0:1]
	s_cselect_b32 s12, s9, s11
	s_ashr_i32 s13, s12, 31
	s_add_i32 s9, s0, 0xffffef00
	s_cmp_lt_i32 s9, s10
	global_load_ushort v119, v[28:29], off
	v_lshl_add_u64 v[40:41], s[12:13], 1, v[0:1]
	s_cselect_b32 s12, s9, s11
	s_ashr_i32 s13, s12, 31
	s_add_i32 s9, s0, 0xffffef80
	global_load_ushort v121, v[54:55], off
	global_load_ushort v122, v[56:57], off
	s_cmp_lt_i32 s9, s10
	global_load_ushort v58, v[58:59], off
	v_lshl_add_u64 v[50:51], s[12:13], 1, v[0:1]
	s_cselect_b32 s12, s9, s11
	s_ashr_i32 s13, s12, 31
	s_add_i32 s9, s0, 0xfffff000
	s_cmp_lt_i32 s9, s10
	v_lshl_add_u64 v[52:53], s[12:13], 1, v[0:1]
	s_cselect_b32 s12, s9, s11
	s_ashr_i32 s13, s12, 31
	s_add_i32 s9, s0, 0xfffff080
	global_load_ushort v59, v[60:61], off
	s_cmp_lt_i32 s9, s10
	global_load_ushort v60, v[66:67], off
	global_load_ushort v61, v[62:63], off
	v_lshl_add_u64 v[64:65], s[12:13], 1, v[0:1]
	s_cselect_b32 s12, s9, s11
	s_ashr_i32 s13, s12, 31
	s_add_i32 s9, s0, 0xfffff100
	s_cmp_lt_i32 s9, s10
	v_lshl_add_u64 v[68:69], s[12:13], 1, v[0:1]
	s_cselect_b32 s12, s9, s11
	s_ashr_i32 s13, s12, 31
	s_add_i32 s9, s0, 0xfffff180
	s_cmp_lt_i32 s9, s10
	v_lshl_add_u64 v[70:71], s[12:13], 1, v[0:1]
	s_cselect_b32 s12, s9, s11
	s_ashr_i32 s13, s12, 31
	s_add_i32 s9, s0, 0xfffff200
	s_cmp_lt_i32 s9, s10
	global_load_ushort v62, v[24:25], off
	v_lshl_add_u64 v[72:73], s[12:13], 1, v[0:1]
	s_cselect_b32 s12, s9, s11
	global_load_ushort v66, v[30:31], off
	global_load_ushort v123, v[32:33], off
	;; [unrolled: 1-line block ×4, first 2 shown]
	s_ashr_i32 s13, s12, 31
	s_add_i32 s9, s0, 0xfffff280
	s_cmp_lt_i32 s9, s10
	global_load_ushort v67, v[46:47], off
	v_lshl_add_u64 v[74:75], s[12:13], 1, v[0:1]
	s_cselect_b32 s12, s9, s11
	s_ashr_i32 s13, s12, 31
	s_add_i32 s9, s0, 0xfffff300
	s_cmp_lt_i32 s9, s10
	v_lshl_add_u64 v[76:77], s[12:13], 1, v[0:1]
	s_cselect_b32 s12, s9, s11
	s_ashr_i32 s13, s12, 31
	s_add_i32 s9, s0, 0xfffff380
	s_cmp_lt_i32 s9, s10
	v_mov_b32_e32 v124, s1
	v_lshl_add_u64 v[78:79], s[12:13], 1, v[0:1]
	s_cselect_b32 s12, s9, s11
	ds_read_b128 v[28:31], v124
	ds_read_b128 v[32:35], v124 offset:16
	global_load_ushort v48, v[48:49], off
	s_ashr_i32 s13, s12, 31
	s_add_i32 s9, s0, 0xfffff400
	s_cmp_lt_i32 s9, s10
	v_lshl_add_u64 v[80:81], s[12:13], 1, v[0:1]
	s_cselect_b32 s12, s9, s11
	ds_read_b128 v[44:47], v124 offset:32
	ds_read_b128 v[54:57], v124 offset:48
	global_load_ushort v36, v[36:37], off
	s_ashr_i32 s13, s12, 31
	v_lshl_add_u64 v[82:83], s[12:13], 1, v[0:1]
	global_load_ushort v49, v[82:83], off
	global_load_ushort v37, v[18:19], off
	s_add_i32 s9, s0, 0xfffff480
	s_cmp_lt_i32 s9, s10
	s_cselect_b32 s12, s9, s11
	s_ashr_i32 s13, s12, 31
	s_add_i32 s9, s0, 0xfffff500
	s_cmp_lt_i32 s9, s10
	v_lshl_add_u64 v[84:85], s[12:13], 1, v[0:1]
	s_cselect_b32 s12, s9, s11
	s_ashr_i32 s13, s12, 31
	s_add_i32 s9, s0, 0xfffff580
	s_cmp_lt_i32 s9, s10
	v_lshl_add_u64 v[86:87], s[12:13], 1, v[0:1]
	;; [unrolled: 5-line block ×7, first 2 shown]
	s_cselect_b32 s12, s9, s11
	s_ashr_i32 s13, s12, 31
	s_add_i32 s9, s0, 0xfffff880
	s_waitcnt vmcnt(26)
	v_lshlrev_b32_e32 v3, 16, v3
	s_cmp_lt_i32 s9, s10
	s_waitcnt lgkmcnt(3)
	v_fmac_f32_e32 v110, v28, v3
	s_waitcnt vmcnt(24)
	v_lshlrev_b32_e32 v3, 16, v111
	v_lshl_add_u64 v[98:99], s[12:13], 1, v[0:1]
	s_cselect_b32 s12, s9, s11
	v_fmac_f32_e32 v110, v29, v3
	s_waitcnt vmcnt(23)
	v_lshlrev_b32_e32 v3, 16, v112
	s_ashr_i32 s13, s12, 31
	s_add_i32 s9, s0, 0xfffff900
	v_fmac_f32_e32 v110, v30, v3
	s_waitcnt vmcnt(22)
	v_lshlrev_b32_e32 v3, 16, v113
	s_cmp_lt_i32 s9, s10
	v_fmac_f32_e32 v110, v31, v3
	s_waitcnt vmcnt(21)
	v_lshlrev_b32_e32 v3, 16, v114
	v_lshl_add_u64 v[102:103], s[12:13], 1, v[0:1]
	s_cselect_b32 s12, s9, s11
	s_waitcnt lgkmcnt(2)
	v_fmac_f32_e32 v110, v32, v3
	global_load_ushort v3, v[20:21], off
	global_load_ushort v32, v[38:39], off
	s_waitcnt vmcnt(22)
	v_lshlrev_b32_e32 v18, 16, v115
	s_ashr_i32 s13, s12, 31
	s_add_i32 s9, s0, 0xfffff980
	v_fmac_f32_e32 v110, v33, v18
	s_waitcnt vmcnt(21)
	v_lshlrev_b32_e32 v18, 16, v116
	s_cmp_lt_i32 s9, s10
	v_fmac_f32_e32 v110, v34, v18
	s_waitcnt vmcnt(20)
	v_lshlrev_b32_e32 v18, 16, v117
	v_lshl_add_u64 v[104:105], s[12:13], 1, v[0:1]
	s_cselect_b32 s12, s9, s11
	global_load_ushort v33, v[40:41], off
	global_load_ushort v34, v[50:51], off
	v_fmac_f32_e32 v110, v35, v18
	global_load_ushort v35, v[52:53], off
	global_load_ushort v38, v[64:65], off
	;; [unrolled: 1-line block ×3, first 2 shown]
	s_waitcnt vmcnt(24)
	v_lshlrev_b32_e32 v18, 16, v118
	s_ashr_i32 s13, s12, 31
	s_add_i32 s9, s0, 0xfffffa00
	s_waitcnt lgkmcnt(1)
	v_fmac_f32_e32 v110, v44, v18
	global_load_ushort v44, v[74:75], off
	s_waitcnt vmcnt(24)
	v_lshlrev_b32_e32 v18, 16, v119
	s_cmp_lt_i32 s9, s10
	v_fmac_f32_e32 v110, v45, v18
	v_lshlrev_b32_e32 v18, 16, v120
	v_lshl_add_u64 v[106:107], s[12:13], 1, v[0:1]
	s_cselect_b32 s12, s9, s11
	v_fmac_f32_e32 v110, v46, v18
	global_load_ushort v46, v[78:79], off
	s_waitcnt vmcnt(24)
	v_lshlrev_b32_e32 v18, 16, v121
	s_ashr_i32 s13, s12, 31
	s_add_i32 s9, s0, 0xfffffa80
	v_fmac_f32_e32 v110, v47, v18
	s_waitcnt vmcnt(23)
	v_lshlrev_b32_e32 v18, 16, v122
	s_cmp_lt_i32 s9, s10
	s_waitcnt lgkmcnt(0)
	v_fmac_f32_e32 v110, v54, v18
	global_load_ushort v54, v[90:91], off
	global_load_ushort v40, v[70:71], off
	;; [unrolled: 1-line block ×8, first 2 shown]
	v_lshl_add_u64 v[100:101], s[12:13], 1, v[0:1]
	s_cselect_b32 s12, s9, s11
	s_ashr_i32 s13, s12, 31
	s_add_i32 s9, s0, 0xfffffb00
	s_cmp_lt_i32 s9, s10
	s_waitcnt vmcnt(30)
	v_lshlrev_b32_e32 v18, 16, v58
	v_lshl_add_u64 v[42:43], s[12:13], 1, v[0:1]
	s_cselect_b32 s12, s9, s11
	v_fmac_f32_e32 v110, v55, v18
	s_waitcnt vmcnt(29)
	v_lshlrev_b32_e32 v18, 16, v59
	s_ashr_i32 s13, s12, 31
	s_add_i32 s9, s0, 0xfffffb80
	v_fmac_f32_e32 v110, v56, v18
	s_waitcnt vmcnt(28)
	v_lshlrev_b32_e32 v18, 16, v60
	s_cmp_lt_i32 s9, s10
	v_fmac_f32_e32 v110, v57, v18
	ds_read_b128 v[18:21], v124 offset:64
	ds_read_b128 v[28:31], v124 offset:80
	v_lshl_add_u64 v[108:109], s[12:13], 1, v[0:1]
	s_cselect_b32 s12, s9, s11
	s_ashr_i32 s13, s12, 31
	s_add_i32 s9, s0, 0xfffffc00
	s_cmp_lt_i32 s9, s10
	v_lshl_add_u64 v[4:5], s[12:13], 1, v[0:1]
	s_cselect_b32 s12, s9, s11
	s_waitcnt vmcnt(27)
	v_lshlrev_b32_e32 v52, 16, v61
	s_ashr_i32 s13, s12, 31
	s_add_i32 s9, s0, 0xfffffc80
	s_waitcnt lgkmcnt(1)
	v_fmac_f32_e32 v110, v18, v52
	global_load_ushort v52, v[92:93], off
	s_cmp_lt_i32 s9, s10
	global_load_ushort v55, v[94:95], off
	global_load_ushort v56, v[96:97], off
	;; [unrolled: 1-line block ×5, first 2 shown]
	v_lshl_add_u64 v[6:7], s[12:13], 1, v[0:1]
	s_cselect_b32 s12, s9, s11
	s_ashr_i32 s13, s12, 31
	s_add_i32 s9, s0, 0xfffffd00
	s_waitcnt vmcnt(32)
	v_lshlrev_b32_e32 v18, 16, v62
	s_cmp_lt_i32 s9, s10
	v_fmac_f32_e32 v110, v19, v18
	s_waitcnt vmcnt(28)
	v_lshlrev_b32_e32 v18, 16, v63
	v_lshl_add_u64 v[8:9], s[12:13], 1, v[0:1]
	s_cselect_b32 s12, s9, s11
	v_fmac_f32_e32 v110, v20, v18
	v_lshlrev_b32_e32 v18, 16, v66
	s_ashr_i32 s13, s12, 31
	s_add_i32 s9, s0, 0xfffffd80
	v_fmac_f32_e32 v110, v21, v18
	s_waitcnt vmcnt(27)
	v_lshlrev_b32_e32 v18, 16, v67
	s_cmp_lt_i32 s9, s10
	s_waitcnt lgkmcnt(0)
	v_fmac_f32_e32 v110, v28, v18
	global_load_ushort v28, v[106:107], off
	v_lshl_add_u64 v[12:13], s[12:13], 1, v[0:1]
	s_cselect_b32 s12, s9, s11
	global_load_ushort v60, v[100:101], off
	global_load_ushort v61, v[42:43], off
	;; [unrolled: 1-line block ×3, first 2 shown]
	s_ashr_i32 s13, s12, 31
	s_add_i32 s9, s0, 0xfffffe00
	v_lshlrev_b32_e32 v18, 16, v123
	s_cmp_lt_i32 s9, s10
	v_fmac_f32_e32 v110, v29, v18
	v_lshlrev_b32_e32 v18, 16, v125
	v_lshl_add_u64 v[10:11], s[12:13], 1, v[0:1]
	s_cselect_b32 s12, s9, s11
	v_fmac_f32_e32 v110, v30, v18
	global_load_ushort v29, v[4:5], off
	global_load_ushort v30, v[6:7], off
	s_ashr_i32 s13, s12, 31
	s_add_i32 s9, s0, 0xfffffe80
	s_cmp_lt_i32 s9, s10
	s_waitcnt vmcnt(32)
	v_lshlrev_b32_e32 v4, 16, v48
	v_lshl_add_u64 v[22:23], s[12:13], 1, v[0:1]
	s_cselect_b32 s12, s9, s11
	v_fmac_f32_e32 v110, v31, v4
	ds_read_b128 v[4:7], v124 offset:96
	s_ashr_i32 s13, s12, 31
	s_add_i32 s9, s0, 0xffffff00
	s_cmp_lt_i32 s9, s10
	s_waitcnt vmcnt(31)
	v_lshlrev_b32_e32 v31, 16, v36
	global_load_ushort v36, v[8:9], off
	global_load_ushort v42, v[12:13], off
	v_lshl_add_u64 v[14:15], s[12:13], 1, v[0:1]
	s_cselect_b32 s12, s9, s11
	s_ashr_i32 s13, s12, 31
	s_add_i32 s9, s0, 0xffffff80
	s_cmp_lt_i32 s9, s10
	ds_read_b128 v[18:21], v124 offset:112
	s_waitcnt lgkmcnt(1)
	v_fmac_f32_e32 v110, v4, v31
	s_waitcnt vmcnt(31)
	v_lshlrev_b32_e32 v4, 16, v37
	global_load_ushort v31, v[10:11], off
	global_load_ushort v37, v[22:23], off
	v_lshl_add_u64 v[24:25], s[12:13], 1, v[0:1]
	s_cselect_b32 s12, s9, s11
	s_ashr_i32 s13, s12, 31
	s_cmp_lt_i32 s0, s10
	global_load_ushort v22, v[14:15], off
	global_load_ushort v23, v[24:25], off
	v_lshl_add_u64 v[16:17], s[12:13], 1, v[0:1]
	s_cselect_b32 s12, s0, s11
	s_ashr_i32 s13, s12, 31
	v_lshl_add_u64 v[26:27], s[12:13], 1, v[0:1]
	global_load_ushort v14, v[16:17], off
	global_load_ushort v15, v[26:27], off
	v_fmac_f32_e32 v110, v5, v4
	s_waitcnt vmcnt(36)
	v_lshlrev_b32_e32 v3, 16, v3
	v_fmac_f32_e32 v110, v6, v3
	s_waitcnt vmcnt(35)
	v_lshlrev_b32_e32 v3, 16, v32
	;; [unrolled: 3-line block ×3, first 2 shown]
	ds_read_b128 v[4:7], v124 offset:128
	ds_read_b128 v[8:11], v124 offset:144
	s_waitcnt lgkmcnt(2)
	v_fmac_f32_e32 v110, v18, v3
	s_waitcnt vmcnt(33)
	v_lshlrev_b32_e32 v3, 16, v34
	v_fmac_f32_e32 v110, v19, v3
	s_waitcnt vmcnt(32)
	v_lshlrev_b32_e32 v3, 16, v35
	;; [unrolled: 3-line block ×4, first 2 shown]
	s_waitcnt lgkmcnt(1)
	v_fmac_f32_e32 v110, v4, v3
	s_waitcnt vmcnt(26)
	v_lshlrev_b32_e32 v3, 16, v40
	v_fmac_f32_e32 v110, v5, v3
	s_waitcnt vmcnt(25)
	v_lshlrev_b32_e32 v3, 16, v41
	v_fmac_f32_e32 v110, v6, v3
	v_lshlrev_b32_e32 v3, 16, v44
	v_fmac_f32_e32 v110, v7, v3
	s_waitcnt vmcnt(24)
	v_lshlrev_b32_e32 v3, 16, v45
	ds_read_b128 v[4:7], v124 offset:160
	s_waitcnt lgkmcnt(1)
	v_fmac_f32_e32 v110, v8, v3
	v_lshlrev_b32_e32 v3, 16, v46
	v_fmac_f32_e32 v110, v9, v3
	s_waitcnt vmcnt(23)
	v_lshlrev_b32_e32 v3, 16, v47
	v_fmac_f32_e32 v110, v10, v3
	v_lshlrev_b32_e32 v3, 16, v49
	v_fmac_f32_e32 v110, v11, v3
	ds_read_b128 v[8:11], v124 offset:176
	s_waitcnt vmcnt(22)
	v_lshlrev_b32_e32 v3, 16, v50
	s_waitcnt lgkmcnt(1)
	v_fmac_f32_e32 v110, v4, v3
	s_waitcnt vmcnt(21)
	v_lshlrev_b32_e32 v3, 16, v51
	v_fmac_f32_e32 v110, v5, v3
	s_waitcnt vmcnt(20)
	v_lshlrev_b32_e32 v3, 16, v53
	v_fmac_f32_e32 v110, v6, v3
	v_lshlrev_b32_e32 v3, 16, v54
	v_fmac_f32_e32 v110, v7, v3
	s_waitcnt vmcnt(19)
	v_lshlrev_b32_e32 v3, 16, v52
	s_waitcnt lgkmcnt(0)
	v_fmac_f32_e32 v110, v8, v3
	s_waitcnt vmcnt(18)
	v_lshlrev_b32_e32 v3, 16, v55
	ds_read_b128 v[4:7], v124 offset:192
	v_fmac_f32_e32 v110, v9, v3
	s_waitcnt vmcnt(17)
	v_lshlrev_b32_e32 v3, 16, v56
	v_fmac_f32_e32 v110, v10, v3
	s_waitcnt vmcnt(16)
	v_lshlrev_b32_e32 v3, 16, v57
	v_fmac_f32_e32 v110, v11, v3
	ds_read_b128 v[8:11], v124 offset:208
	s_waitcnt vmcnt(15)
	v_lshlrev_b32_e32 v3, 16, v58
	s_waitcnt lgkmcnt(1)
	v_fmac_f32_e32 v110, v4, v3
	s_waitcnt vmcnt(14)
	v_lshlrev_b32_e32 v3, 16, v59
	v_fmac_f32_e32 v110, v5, v3
	s_waitcnt vmcnt(13)
	v_lshlrev_b32_e32 v3, 16, v28
	;; [unrolled: 3-line block ×3, first 2 shown]
	s_waitcnt vmcnt(10)
	v_lshlrev_b32_e32 v5, 16, v62
	v_lshlrev_b32_e32 v4, 16, v61
	v_fmac_f32_e32 v110, v7, v3
	s_waitcnt lgkmcnt(0)
	v_pk_mul_f32 v[4:5], v[8:9], v[4:5]
	s_waitcnt vmcnt(6)
	v_lshlrev_b32_e32 v13, 16, v42
	v_add_f32_e32 v3, v110, v4
	v_add_f32_e32 v3, v3, v5
	v_lshlrev_b32_e32 v5, 16, v30
	v_lshlrev_b32_e32 v4, 16, v29
	v_pk_mul_f32 v[8:9], v[10:11], v[4:5]
	ds_read_b128 v[4:7], v124 offset:224
	v_add_f32_e32 v3, v3, v8
	v_lshlrev_b32_e32 v12, 16, v36
	v_add_f32_e32 v3, v3, v9
	ds_read_b128 v[8:11], v124 offset:240
	s_waitcnt lgkmcnt(1)
	v_pk_mul_f32 v[4:5], v[4:5], v[12:13]
	s_nop 0
	v_add_f32_e32 v3, v3, v4
	v_add_f32_e32 v3, v3, v5
	s_waitcnt vmcnt(4)
	v_lshlrev_b32_e32 v5, 16, v37
	v_lshlrev_b32_e32 v4, 16, v31
	v_pk_mul_f32 v[4:5], v[6:7], v[4:5]
	s_nop 0
	v_add_f32_e32 v3, v3, v4
	v_add_f32_e32 v3, v3, v5
	s_waitcnt vmcnt(2)
	v_lshlrev_b32_e32 v5, 16, v23
	v_lshlrev_b32_e32 v4, 16, v22
	s_waitcnt lgkmcnt(0)
	v_pk_mul_f32 v[4:5], v[8:9], v[4:5]
	s_nop 0
	v_add_f32_e32 v3, v3, v4
	v_add_f32_e32 v3, v3, v5
	s_waitcnt vmcnt(1)
	v_lshlrev_b32_e32 v4, 16, v14
	s_waitcnt vmcnt(0)
	v_lshlrev_b32_e32 v5, 16, v15
	v_pk_mul_f32 v[4:5], v[10:11], v[4:5]
	s_nop 0
	v_add_f32_e32 v3, v3, v4
	v_add_f32_e32 v110, v3, v5
	s_branch .LBB660_16
.LBB660_19:
	v_mov_b32_e32 v0, 0
	ds_read_b32 v0, v0 offset:2304
	s_cmp_lg_u64 s[6:7], 0
	s_cbranch_scc0 .LBB660_28
; %bb.20:
	s_load_dword s6, s[6:7], 0x0
	s_waitcnt lgkmcnt(0)
	v_div_scale_f32 v1, s[0:1], s6, s6, 1.0
	v_rcp_f32_e32 v3, v1
	v_div_scale_f32 v4, vcc, 1.0, s6, 1.0
	v_fma_f32 v5, -v1, v3, 1.0
	v_fmac_f32_e32 v3, v5, v3
	v_mul_f32_e32 v5, v4, v3
	v_fma_f32 v6, -v1, v5, v4
	v_fmac_f32_e32 v5, v6, v3
	v_fma_f32 v1, -v1, v5, v4
	v_div_fmas_f32 v1, v1, v3, v5
	v_div_fixup_f32 v1, v1, s6, 1.0
	s_andn2_b64 vcc, exec, s[36:37]
	s_cbranch_vccnz .LBB660_22
.LBB660_21:
	s_add_u32 s0, s34, s38
	s_addc_u32 s1, s35, s39
	s_load_dword s22, s[0:1], 0x0
	s_mov_b32 s23, 0
.LBB660_22:
	s_waitcnt lgkmcnt(0)
	v_add_f32_e32 v0, 0x358637bd, v0
	v_div_scale_f32 v3, s[0:1], v0, v0, 1.0
	v_rcp_f32_e32 v4, v3
	v_div_scale_f32 v5, vcc, 1.0, v0, 1.0
	s_mov_b32 s0, 0x7f800000
	v_fma_f32 v6, -v3, v4, 1.0
	v_fmac_f32_e32 v4, v6, v4
	v_mul_f32_e32 v6, v5, v4
	v_fma_f32 v7, -v3, v6, v5
	v_fmac_f32_e32 v6, v7, v4
	v_fma_f32 v3, -v3, v6, v5
	v_div_fmas_f32 v3, v3, v4, v6
	v_div_fixup_f32 v0, v3, v0, 1.0
	v_mul_f32_e32 v0, v110, v0
	v_mul_f32_e32 v1, v0, v1
	v_and_b32_e32 v0, 0x7f800000, v1
	v_cmp_ne_u32_e32 vcc, s0, v0
                                        ; implicit-def: $vgpr0
	s_and_saveexec_b64 s[0:1], vcc
	s_xor_b64 s[0:1], exec, s[0:1]
; %bb.23:
	v_bfe_u32 v0, v1, 16, 1
	s_movk_i32 s6, 0x7fff
	v_add3_u32 v0, v1, v0, s6
                                        ; implicit-def: $vgpr1
; %bb.24:
	s_andn2_saveexec_b64 s[0:1], s[0:1]
; %bb.25:
	v_mov_b32_e32 v0, 0
	v_or_b32_e32 v3, 0x10000, v1
	v_cmp_eq_u32_sdwa vcc, v1, v0 src0_sel:WORD_0 src1_sel:DWORD
	s_nop 1
	v_cndmask_b32_e32 v0, v3, v1, vcc
; %bb.26:
	s_or_b64 exec, exec, s[0:1]
	s_mul_i32 s0, s3, s23
	s_mul_hi_u32 s1, s3, s22
	s_add_i32 s1, s1, s0
	s_mul_i32 s0, s3, s22
	s_lshl_b64 s[0:1], s[0:1], 8
	s_add_u32 s4, s4, s0
	s_mov_b32 s3, 0
	s_addc_u32 s5, s5, s1
	s_lshl_b64 s[0:1], s[2:3], 8
	s_add_u32 s0, s4, s0
	s_addc_u32 s1, s5, s1
	global_store_short_d16_hi v2, v0, s[0:1]
	s_endpgm
.LBB660_27:
	s_mov_b64 s[6:7], 0
	s_branch .LBB660_2
.LBB660_28:
	v_mov_b32_e32 v1, 1.0
	s_andn2_b64 vcc, exec, s[36:37]
	s_cbranch_vccz .LBB660_21
	s_branch .LBB660_22
	.section	.rodata,"a",@progbits
	.p2align	6, 0x0
	.amdhsa_kernel _Z35paged_attention_ll4mi_reduce_kernelI14__hip_bfloat16S0_Li128ELi128ELi256ELi9EEvPT0_PKfS4_PKT_PKiS9_iS4_
		.amdhsa_group_segment_fixed_size 2308
		.amdhsa_private_segment_fixed_size 0
		.amdhsa_kernarg_size 320
		.amdhsa_user_sgpr_count 2
		.amdhsa_user_sgpr_dispatch_ptr 0
		.amdhsa_user_sgpr_queue_ptr 0
		.amdhsa_user_sgpr_kernarg_segment_ptr 1
		.amdhsa_user_sgpr_dispatch_id 0
		.amdhsa_user_sgpr_kernarg_preload_length 0
		.amdhsa_user_sgpr_kernarg_preload_offset 0
		.amdhsa_user_sgpr_private_segment_size 0
		.amdhsa_uses_dynamic_stack 0
		.amdhsa_enable_private_segment 0
		.amdhsa_system_sgpr_workgroup_id_x 1
		.amdhsa_system_sgpr_workgroup_id_y 1
		.amdhsa_system_sgpr_workgroup_id_z 0
		.amdhsa_system_sgpr_workgroup_info 0
		.amdhsa_system_vgpr_workitem_id 0
		.amdhsa_next_free_vgpr 126
		.amdhsa_next_free_sgpr 47
		.amdhsa_accum_offset 128
		.amdhsa_reserve_vcc 1
		.amdhsa_float_round_mode_32 0
		.amdhsa_float_round_mode_16_64 0
		.amdhsa_float_denorm_mode_32 3
		.amdhsa_float_denorm_mode_16_64 3
		.amdhsa_dx10_clamp 1
		.amdhsa_ieee_mode 1
		.amdhsa_fp16_overflow 0
		.amdhsa_tg_split 0
		.amdhsa_exception_fp_ieee_invalid_op 0
		.amdhsa_exception_fp_denorm_src 0
		.amdhsa_exception_fp_ieee_div_zero 0
		.amdhsa_exception_fp_ieee_overflow 0
		.amdhsa_exception_fp_ieee_underflow 0
		.amdhsa_exception_fp_ieee_inexact 0
		.amdhsa_exception_int_div_zero 0
	.end_amdhsa_kernel
	.section	.text._Z35paged_attention_ll4mi_reduce_kernelI14__hip_bfloat16S0_Li128ELi128ELi256ELi9EEvPT0_PKfS4_PKT_PKiS9_iS4_,"axG",@progbits,_Z35paged_attention_ll4mi_reduce_kernelI14__hip_bfloat16S0_Li128ELi128ELi256ELi9EEvPT0_PKfS4_PKT_PKiS9_iS4_,comdat
.Lfunc_end660:
	.size	_Z35paged_attention_ll4mi_reduce_kernelI14__hip_bfloat16S0_Li128ELi128ELi256ELi9EEvPT0_PKfS4_PKT_PKiS9_iS4_, .Lfunc_end660-_Z35paged_attention_ll4mi_reduce_kernelI14__hip_bfloat16S0_Li128ELi128ELi256ELi9EEvPT0_PKfS4_PKT_PKiS9_iS4_
                                        ; -- End function
	.section	.AMDGPU.csdata,"",@progbits
; Kernel info:
; codeLenInByte = 9596
; NumSgprs: 53
; NumVgprs: 126
; NumAgprs: 0
; TotalNumVgprs: 126
; ScratchSize: 0
; MemoryBound: 0
; FloatMode: 240
; IeeeMode: 1
; LDSByteSize: 2308 bytes/workgroup (compile time only)
; SGPRBlocks: 6
; VGPRBlocks: 15
; NumSGPRsForWavesPerEU: 53
; NumVGPRsForWavesPerEU: 126
; AccumOffset: 128
; Occupancy: 4
; WaveLimiterHint : 1
; COMPUTE_PGM_RSRC2:SCRATCH_EN: 0
; COMPUTE_PGM_RSRC2:USER_SGPR: 2
; COMPUTE_PGM_RSRC2:TRAP_HANDLER: 0
; COMPUTE_PGM_RSRC2:TGID_X_EN: 1
; COMPUTE_PGM_RSRC2:TGID_Y_EN: 1
; COMPUTE_PGM_RSRC2:TGID_Z_EN: 0
; COMPUTE_PGM_RSRC2:TIDIG_COMP_CNT: 0
; COMPUTE_PGM_RSRC3_GFX90A:ACCUM_OFFSET: 31
; COMPUTE_PGM_RSRC3_GFX90A:TG_SPLIT: 0
	.section	.text._Z35paged_attention_ll4mi_reduce_kernelI14__hip_bfloat16S0_Li128ELi128ELi256ELi10EEvPT0_PKfS4_PKT_PKiS9_iS4_,"axG",@progbits,_Z35paged_attention_ll4mi_reduce_kernelI14__hip_bfloat16S0_Li128ELi128ELi256ELi10EEvPT0_PKfS4_PKT_PKiS9_iS4_,comdat
	.protected	_Z35paged_attention_ll4mi_reduce_kernelI14__hip_bfloat16S0_Li128ELi128ELi256ELi10EEvPT0_PKfS4_PKT_PKiS9_iS4_ ; -- Begin function _Z35paged_attention_ll4mi_reduce_kernelI14__hip_bfloat16S0_Li128ELi128ELi256ELi10EEvPT0_PKfS4_PKT_PKiS9_iS4_
	.globl	_Z35paged_attention_ll4mi_reduce_kernelI14__hip_bfloat16S0_Li128ELi128ELi256ELi10EEvPT0_PKfS4_PKT_PKiS9_iS4_
	.p2align	8
	.type	_Z35paged_attention_ll4mi_reduce_kernelI14__hip_bfloat16S0_Li128ELi128ELi256ELi10EEvPT0_PKfS4_PKT_PKiS9_iS4_,@function
_Z35paged_attention_ll4mi_reduce_kernelI14__hip_bfloat16S0_Li128ELi128ELi256ELi10EEvPT0_PKfS4_PKT_PKiS9_iS4_: ; @_Z35paged_attention_ll4mi_reduce_kernelI14__hip_bfloat16S0_Li128ELi128ELi256ELi10EEvPT0_PKfS4_PKT_PKiS9_iS4_
; %bb.0:
	s_load_dwordx2 s[36:37], s[0:1], 0x28
	s_mov_b32 s34, s3
	s_mov_b64 s[4:5], 0
	s_waitcnt lgkmcnt(0)
	s_cmp_lg_u64 s[36:37], 0
	s_cselect_b64 s[38:39], -1, 0
	s_and_b64 vcc, exec, s[38:39]
	s_cbranch_vccz .LBB661_27
; %bb.1:
	s_add_i32 s6, s34, 1
	s_mov_b32 s7, 0
	s_lshl_b64 s[8:9], s[6:7], 2
	s_add_u32 s8, s36, s8
	s_mov_b32 s35, s7
	s_addc_u32 s9, s37, s9
	s_lshl_b64 s[6:7], s[34:35], 2
	s_add_u32 s6, s36, s6
	s_addc_u32 s7, s37, s7
	s_load_dword s3, s[8:9], 0x0
	s_load_dword s10, s[6:7], 0x0
	s_waitcnt lgkmcnt(0)
	s_sub_i32 s3, s3, s10
	s_cmp_eq_u32 s3, 1
	s_cselect_b64 s[6:7], -1, 0
	s_andn2_b64 vcc, exec, s[4:5]
	s_cbranch_vccnz .LBB661_3
.LBB661_2:
	s_mov_b32 s35, 0
	s_mov_b64 s[6:7], -1
.LBB661_3:
	s_andn2_b64 vcc, exec, s[6:7]
	s_cbranch_vccz .LBB661_5
; %bb.4:
	s_endpgm
.LBB661_5:
	s_load_dwordx4 s[24:27], s[0:1], 0x18
	s_load_dword s8, s[0:1], 0x30
	s_lshl_b64 s[40:41], s[34:35], 2
	v_cmp_lt_u32_e32 vcc, 63, v0
	s_waitcnt lgkmcnt(0)
	s_add_u32 s4, s26, s40
	s_addc_u32 s5, s27, s41
	s_load_dword s48, s[4:5], 0x0
	s_load_dword s3, s[0:1], 0x40
	s_mul_i32 s26, s2, s8
	s_mul_i32 s6, s34, s8
	s_waitcnt lgkmcnt(0)
	s_add_i32 s7, s48, 0xff
	s_ashr_i32 s4, s7, 31
	s_lshr_b32 s4, s4, 24
	s_add_i32 s7, s7, s4
	s_and_saveexec_b64 s[4:5], vcc
	s_xor_b64 s[4:5], exec, s[4:5]
	s_or_saveexec_b64 s[42:43], s[4:5]
	s_ashr_i32 s33, s7, 8
	v_mov_b32_e32 v1, s26
	s_mul_i32 s44, s6, s3
	s_xor_b64 exec, exec, s[42:43]
	s_cbranch_execz .LBB661_9
; %bb.6:
	s_add_i32 s4, s33, -1
	v_or_b32_e32 v3, 64, v0
	v_mov_b32_e32 v1, s4
	v_cmp_gt_u32_e64 s[18:19], s33, v3
	s_load_dwordx4 s[28:31], s[0:1], 0x8
	s_mov_b32 s45, 0
	v_cndmask_b32_e64 v4, v1, v3, s[18:19]
	v_or_b32_e32 v3, 0x80, v0
	v_cmp_gt_u32_e64 s[16:17], s33, v3
	s_lshl_b64 s[46:47], s[44:45], 2
	s_mov_b32 s27, s45
	v_cndmask_b32_e64 v6, v1, v3, s[16:17]
	v_or_b32_e32 v3, 0xc0, v0
	v_cmp_gt_u32_e64 s[14:15], s33, v3
	v_cmp_gt_u32_e64 s[20:21], s33, v0
	s_waitcnt lgkmcnt(0)
	s_add_u32 s22, s30, s46
	v_cndmask_b32_e64 v8, v1, v3, s[14:15]
	v_or_b32_e32 v3, 0x100, v0
	v_cmp_gt_u32_e64 s[12:13], s33, v3
	v_cndmask_b32_e64 v2, v1, v0, s[20:21]
	s_addc_u32 s23, s31, s47
	v_cndmask_b32_e64 v10, v1, v3, s[12:13]
	v_or_b32_e32 v3, 0x140, v0
	v_cmp_gt_u32_e64 s[10:11], s33, v3
	s_lshl_b64 s[30:31], s[26:27], 2
	s_add_u32 s22, s22, s30
	v_cndmask_b32_e64 v12, v1, v3, s[10:11]
	v_or_b32_e32 v3, 0x180, v0
	v_cmp_gt_u32_e64 s[8:9], s33, v3
	s_addc_u32 s23, s23, s31
	v_ashrrev_i32_e32 v5, 31, v4
	v_cndmask_b32_e64 v14, v1, v3, s[8:9]
	v_or_b32_e32 v3, 0x1c0, v0
	v_cmp_gt_u32_e64 s[6:7], s33, v3
	v_ashrrev_i32_e32 v7, 31, v6
	v_ashrrev_i32_e32 v9, 31, v8
	v_cndmask_b32_e64 v16, v1, v3, s[6:7]
	v_or_b32_e32 v3, 0x200, v0
	v_cmp_gt_u32_e64 s[4:5], s33, v3
	v_ashrrev_i32_e32 v11, 31, v10
	v_ashrrev_i32_e32 v13, 31, v12
	v_cndmask_b32_e64 v18, v1, v3, s[4:5]
	v_or_b32_e32 v3, 0x240, v0
	v_cmp_gt_u32_e32 vcc, s33, v3
	v_ashrrev_i32_e32 v15, 31, v14
	v_ashrrev_i32_e32 v17, 31, v16
	v_cndmask_b32_e32 v20, v1, v3, vcc
	v_ashrrev_i32_e32 v3, 31, v2
	v_lshlrev_b64 v[2:3], 2, v[2:3]
	v_ashrrev_i32_e32 v19, 31, v18
	v_lshl_add_u64 v[22:23], s[22:23], 0, v[2:3]
	v_lshlrev_b64 v[4:5], 2, v[4:5]
	v_lshlrev_b64 v[6:7], 2, v[6:7]
	;; [unrolled: 1-line block ×8, first 2 shown]
	v_ashrrev_i32_e32 v21, 31, v20
	v_lshl_add_u64 v[24:25], s[22:23], 0, v[4:5]
	v_lshl_add_u64 v[26:27], s[22:23], 0, v[6:7]
	;; [unrolled: 1-line block ×7, first 2 shown]
	global_load_dword v1, v[22:23], off
	global_load_dword v38, v[24:25], off
	;; [unrolled: 1-line block ×8, first 2 shown]
	v_lshl_add_u64 v[22:23], s[22:23], 0, v[18:19]
	v_lshlrev_b64 v[20:21], 2, v[20:21]
	v_lshl_add_u64 v[24:25], s[22:23], 0, v[20:21]
	global_load_dword v26, v[22:23], off
	global_load_dword v27, v[24:25], off
	v_mbcnt_lo_u32_b32 v22, -1, 0
	v_mbcnt_hi_u32_b32 v22, -1, v22
	v_and_b32_e32 v23, 64, v22
	v_xor_b32_e32 v24, 32, v22
	v_add_u32_e32 v23, 64, v23
	v_cmp_lt_i32_e64 s[22:23], v24, v23
	v_xor_b32_e32 v25, 16, v22
	v_xor_b32_e32 v30, 8, v22
	v_cndmask_b32_e64 v24, v22, v24, s[22:23]
	v_lshlrev_b32_e32 v24, 2, v24
	v_cmp_lt_i32_e64 s[22:23], v25, v23
	s_mov_b32 s27, 0x3fb8aa3b
	s_waitcnt vmcnt(9)
	v_max_f32_e32 v29, v1, v1
	s_waitcnt vmcnt(8)
	v_max_f32_e32 v28, v38, v38
	v_max_f32_e32 v28, v29, v28
	s_waitcnt vmcnt(6)
	v_max3_f32 v28, v28, v39, v40
	v_cndmask_b32_e64 v25, v22, v25, s[22:23]
	s_waitcnt vmcnt(4)
	v_max3_f32 v28, v28, v41, v42
	v_lshlrev_b32_e32 v25, 2, v25
	s_waitcnt vmcnt(2)
	v_max3_f32 v28, v28, v43, v44
	v_cmp_lt_i32_e64 s[22:23], v30, v23
	s_waitcnt vmcnt(0)
	v_max3_f32 v28, v28, v26, v27
	ds_bpermute_b32 v29, v24, v28
	v_cndmask_b32_e64 v30, v22, v30, s[22:23]
	v_lshlrev_b32_e32 v30, 2, v30
	s_add_u32 s22, s28, s46
	s_addc_u32 s23, s29, s47
	s_waitcnt lgkmcnt(0)
	v_max_f32_e32 v29, v29, v29
	v_max_f32_e32 v28, v28, v29
	ds_bpermute_b32 v29, v25, v28
	s_add_u32 s28, s22, s30
	s_addc_u32 s29, s23, s31
	v_lshl_add_u64 v[2:3], s[28:29], 0, v[2:3]
	global_load_dword v31, v[2:3], off
	s_waitcnt lgkmcnt(0)
	v_max_f32_e32 v29, v29, v29
	v_max_f32_e32 v28, v28, v29
	ds_bpermute_b32 v29, v30, v28
	s_waitcnt lgkmcnt(0)
	v_max_f32_e32 v2, v29, v29
	v_max_f32_e32 v28, v28, v2
	v_xor_b32_e32 v2, 4, v22
	v_cmp_lt_i32_e64 s[22:23], v2, v23
	s_nop 1
	v_cndmask_b32_e64 v2, v22, v2, s[22:23]
	v_lshlrev_b32_e32 v29, 2, v2
	ds_bpermute_b32 v2, v29, v28
	s_waitcnt lgkmcnt(0)
	v_max_f32_e32 v32, v2, v2
	v_lshl_add_u64 v[2:3], s[28:29], 0, v[4:5]
	global_load_dword v33, v[2:3], off
	v_xor_b32_e32 v3, 2, v22
	v_cmp_lt_i32_e64 s[22:23], v3, v23
	v_max_f32_e32 v2, v28, v32
	v_xor_b32_e32 v4, 1, v22
	v_cndmask_b32_e64 v3, v22, v3, s[22:23]
	v_lshlrev_b32_e32 v28, 2, v3
	ds_bpermute_b32 v3, v28, v2
	v_cmp_lt_i32_e64 s[22:23], v4, v23
	s_waitcnt lgkmcnt(0)
	v_max_f32_e32 v3, v3, v3
	v_max_f32_e32 v32, v2, v3
	v_lshl_add_u64 v[2:3], s[28:29], 0, v[6:7]
	global_load_dword v34, v[2:3], off
	v_cndmask_b32_e64 v2, v22, v4, s[22:23]
	v_lshlrev_b32_e32 v22, 2, v2
	v_lshl_add_u64 v[2:3], s[28:29], 0, v[8:9]
	v_lshl_add_u64 v[4:5], s[28:29], 0, v[10:11]
	;; [unrolled: 1-line block ×5, first 2 shown]
	global_load_dword v12, v[2:3], off
	global_load_dword v13, v[4:5], off
	;; [unrolled: 1-line block ×5, first 2 shown]
	ds_bpermute_b32 v23, v22, v32
	v_lshl_add_u64 v[2:3], s[28:29], 0, v[18:19]
	s_waitcnt lgkmcnt(0)
	v_max_f32_e32 v4, v23, v23
	v_max_f32_e32 v6, v32, v4
	v_sub_f32_e32 v1, v1, v6
	v_mul_f32_e32 v4, 0x3fb8aa3b, v1
	v_fma_f32 v5, v1, s27, -v4
	v_rndne_f32_e32 v7, v4
	v_fmac_f32_e32 v5, 0x32a5705f, v1
	v_sub_f32_e32 v4, v4, v7
	v_add_f32_e32 v4, v4, v5
	v_exp_f32_e32 v8, v4
	v_cvt_i32_f32_e32 v7, v7
	v_lshl_add_u64 v[4:5], s[28:29], 0, v[20:21]
	global_load_dword v9, v[2:3], off
	global_load_dword v10, v[4:5], off
	v_sub_f32_e32 v4, v38, v6
	v_mul_f32_e32 v5, 0x3fb8aa3b, v4
	v_ldexp_f32 v2, v8, v7
	v_fma_f32 v7, v4, s27, -v5
	v_rndne_f32_e32 v8, v5
	v_fmac_f32_e32 v7, 0x32a5705f, v4
	v_sub_f32_e32 v5, v5, v8
	v_add_f32_e32 v5, v5, v7
	v_exp_f32_e32 v5, v5
	v_cvt_i32_f32_e32 v7, v8
	s_mov_b32 s28, 0xc2ce8ed0
	v_cmp_ngt_f32_e64 s[22:23], s28, v1
	s_mov_b32 s29, 0x42b17218
	v_mov_b32_e32 v3, 0x7f800000
	v_cndmask_b32_e64 v2, 0, v2, s[22:23]
	v_cmp_nlt_f32_e64 s[22:23], s29, v1
	s_nop 1
	v_cndmask_b32_e64 v1, v3, v2, s[22:23]
	v_ldexp_f32 v2, v5, v7
	v_sub_f32_e32 v5, v39, v6
	v_mul_f32_e32 v7, 0x3fb8aa3b, v5
	v_fma_f32 v8, v5, s27, -v7
	v_rndne_f32_e32 v11, v7
	v_fmac_f32_e32 v8, 0x32a5705f, v5
	v_sub_f32_e32 v7, v7, v11
	v_add_f32_e32 v7, v7, v8
	v_exp_f32_e32 v7, v7
	v_cvt_i32_f32_e32 v8, v11
	v_cndmask_b32_e64 v1, 0, v1, s[20:21]
	v_cmp_ngt_f32_e64 s[20:21], s28, v4
	s_waitcnt vmcnt(9)
	v_mul_f32_e32 v1, v31, v1
	v_cndmask_b32_e64 v2, 0, v2, s[20:21]
	v_cmp_nlt_f32_e64 s[20:21], s29, v4
	v_ldexp_f32 v4, v7, v8
	v_sub_f32_e32 v7, v40, v6
	v_mul_f32_e32 v8, 0x3fb8aa3b, v7
	v_fma_f32 v11, v7, s27, -v8
	v_rndne_f32_e32 v17, v8
	v_fmac_f32_e32 v11, 0x32a5705f, v7
	v_sub_f32_e32 v8, v8, v17
	v_add_f32_e32 v8, v8, v11
	v_exp_f32_e32 v8, v8
	v_cvt_i32_f32_e32 v11, v17
	v_cndmask_b32_e64 v2, v3, v2, s[20:21]
	v_cndmask_b32_e64 v2, 0, v2, s[18:19]
	v_cmp_ngt_f32_e64 s[18:19], s28, v5
	s_waitcnt vmcnt(8)
	v_mul_f32_e32 v2, v33, v2
	v_cndmask_b32_e64 v4, 0, v4, s[18:19]
	v_cmp_nlt_f32_e64 s[18:19], s29, v5
	v_ldexp_f32 v5, v8, v11
	v_sub_f32_e32 v8, v41, v6
	v_mul_f32_e32 v11, 0x3fb8aa3b, v8
	v_fma_f32 v17, v8, s27, -v11
	v_rndne_f32_e32 v18, v11
	v_fmac_f32_e32 v17, 0x32a5705f, v8
	v_sub_f32_e32 v11, v11, v18
	v_add_f32_e32 v11, v11, v17
	v_cndmask_b32_e64 v4, v3, v4, s[18:19]
	v_exp_f32_e32 v11, v11
	v_cvt_i32_f32_e32 v17, v18
	v_cndmask_b32_e64 v4, 0, v4, s[16:17]
	v_cmp_ngt_f32_e64 s[16:17], s28, v7
	s_waitcnt vmcnt(7)
	v_mul_f32_e32 v4, v34, v4
	v_cndmask_b32_e64 v5, 0, v5, s[16:17]
	v_cmp_nlt_f32_e64 s[16:17], s29, v7
	v_ldexp_f32 v7, v11, v17
	v_sub_f32_e32 v11, v42, v6
	v_cndmask_b32_e64 v5, v3, v5, s[16:17]
	v_cndmask_b32_e64 v5, 0, v5, s[14:15]
	s_waitcnt vmcnt(6)
	v_mul_f32_e32 v5, v12, v5
	v_mul_f32_e32 v12, 0x3fb8aa3b, v11
	v_fma_f32 v17, v11, s27, -v12
	v_rndne_f32_e32 v18, v12
	v_fmac_f32_e32 v17, 0x32a5705f, v11
	v_sub_f32_e32 v12, v12, v18
	v_add_f32_e32 v12, v12, v17
	v_exp_f32_e32 v12, v12
	v_cvt_i32_f32_e32 v17, v18
	v_cmp_ngt_f32_e64 s[14:15], s28, v8
	s_nop 1
	v_cndmask_b32_e64 v7, 0, v7, s[14:15]
	v_cmp_nlt_f32_e64 s[14:15], s29, v8
	v_ldexp_f32 v8, v12, v17
	v_sub_f32_e32 v12, v43, v6
	v_cndmask_b32_e64 v7, v3, v7, s[14:15]
	v_cndmask_b32_e64 v7, 0, v7, s[12:13]
	s_waitcnt vmcnt(5)
	v_mul_f32_e32 v7, v13, v7
	v_mul_f32_e32 v13, 0x3fb8aa3b, v12
	v_fma_f32 v17, v12, s27, -v13
	v_rndne_f32_e32 v18, v13
	v_fmac_f32_e32 v17, 0x32a5705f, v12
	v_sub_f32_e32 v13, v13, v18
	v_add_f32_e32 v13, v13, v17
	v_exp_f32_e32 v13, v13
	v_cvt_i32_f32_e32 v17, v18
	v_cmp_ngt_f32_e64 s[12:13], s28, v11
	s_nop 1
	;; [unrolled: 18-line block ×3, first 2 shown]
	v_cndmask_b32_e64 v11, 0, v11, s[10:11]
	v_cmp_nlt_f32_e64 s[10:11], s29, v12
	v_ldexp_f32 v12, v14, v17
	v_sub_f32_e32 v14, v26, v6
	v_mul_f32_e32 v17, 0x3fb8aa3b, v14
	v_fma_f32 v18, v14, s27, -v17
	v_rndne_f32_e32 v19, v17
	v_fmac_f32_e32 v18, 0x32a5705f, v14
	v_sub_f32_e32 v17, v17, v19
	v_add_f32_e32 v17, v17, v18
	v_exp_f32_e32 v17, v17
	v_cvt_i32_f32_e32 v18, v19
	v_cndmask_b32_e64 v11, v3, v11, s[10:11]
	v_cndmask_b32_e64 v11, 0, v11, s[8:9]
	v_cmp_ngt_f32_e64 s[8:9], s28, v13
	v_sub_f32_e32 v6, v27, v6
	s_nop 0
	v_cndmask_b32_e64 v12, 0, v12, s[8:9]
	v_cmp_nlt_f32_e64 s[8:9], s29, v13
	v_ldexp_f32 v13, v17, v18
	v_mul_f32_e32 v17, 0x3fb8aa3b, v6
	v_fma_f32 v18, v6, s27, -v17
	v_rndne_f32_e32 v19, v17
	v_fmac_f32_e32 v18, 0x32a5705f, v6
	v_sub_f32_e32 v17, v17, v19
	v_add_f32_e32 v17, v17, v18
	v_cndmask_b32_e64 v12, v3, v12, s[8:9]
	v_exp_f32_e32 v17, v17
	v_cvt_i32_f32_e32 v18, v19
	v_cndmask_b32_e64 v12, 0, v12, s[6:7]
	v_cmp_ngt_f32_e64 s[6:7], s28, v14
	s_nop 1
	v_cndmask_b32_e64 v13, 0, v13, s[6:7]
	v_cmp_nlt_f32_e64 s[6:7], s29, v14
	v_ldexp_f32 v14, v17, v18
	s_nop 0
	v_cndmask_b32_e64 v13, v3, v13, s[6:7]
	v_cndmask_b32_e64 v13, 0, v13, s[4:5]
	v_cmp_ngt_f32_e64 s[4:5], s28, v6
	s_nop 1
	v_cndmask_b32_e64 v14, 0, v14, s[4:5]
	v_cmp_nlt_f32_e64 s[4:5], s29, v6
	v_add_f32_e32 v6, v1, v2
	v_add_f32_e32 v6, v6, v4
	;; [unrolled: 1-line block ×5, first 2 shown]
	s_waitcnt vmcnt(3)
	v_fmac_f32_e32 v6, v15, v11
	v_cndmask_b32_e64 v3, v3, v14, s[4:5]
	s_waitcnt vmcnt(2)
	v_fmac_f32_e32 v6, v16, v12
	v_cndmask_b32_e32 v3, 0, v3, vcc
	s_waitcnt vmcnt(1)
	v_fmac_f32_e32 v6, v9, v13
	s_waitcnt vmcnt(0)
	v_fmac_f32_e32 v6, v10, v3
	ds_bpermute_b32 v14, v24, v6
	v_mul_f32_e32 v9, v9, v13
	v_mul_f32_e32 v3, v10, v3
	v_lshlrev_b32_e32 v10, 2, v0
	ds_write2st64_b32 v10, v1, v2 offset1:1
	ds_write2st64_b32 v10, v4, v5 offset0:2 offset1:3
	s_waitcnt lgkmcnt(2)
	v_add_f32_e32 v6, v6, v14
	ds_bpermute_b32 v14, v25, v6
	v_cmp_eq_u32_e32 vcc, 0, v0
	v_mul_f32_e32 v11, v15, v11
	v_mul_f32_e32 v12, v16, v12
	ds_write2st64_b32 v10, v7, v8 offset0:4 offset1:5
	ds_write2st64_b32 v10, v11, v12 offset0:6 offset1:7
	;; [unrolled: 1-line block ×3, first 2 shown]
	s_waitcnt lgkmcnt(3)
	v_add_f32_e32 v6, v6, v14
	ds_bpermute_b32 v14, v30, v6
	s_waitcnt lgkmcnt(0)
	v_add_f32_e32 v6, v6, v14
	ds_bpermute_b32 v14, v29, v6
	;; [unrolled: 3-line block ×4, first 2 shown]
	s_and_saveexec_b64 s[4:5], vcc
	s_cbranch_execz .LBB661_8
; %bb.7:
	s_waitcnt lgkmcnt(0)
	v_add_f32_e32 v1, v1, v2
	v_mov_b32_e32 v2, 0
	ds_write_b32 v2, v1 offset:2560
.LBB661_8:
	s_or_b64 exec, exec, s[4:5]
	v_mov_b32_e32 v1, s26
.LBB661_9:
	s_or_b64 exec, exec, s[42:43]
	s_lshl_b32 s4, s44, 7
	s_mov_b32 s5, 0
	s_lshl_b64 s[4:5], s[4:5], 1
	s_add_u32 s4, s24, s4
	s_addc_u32 s5, s25, s5
	s_lshl_b32 s10, s33, 7
	s_add_i32 s11, s10, 0xffffff80
	s_waitcnt lgkmcnt(0)
	v_lshlrev_b32_e32 v2, 7, v1
	v_mov_b32_e32 v3, 0
	s_cmp_lt_i32 s48, 1
	v_lshl_add_u64 v[4:5], v[2:3], 1, s[4:5]
	s_cselect_b32 s4, s11, 0
	v_lshlrev_b32_e32 v2, 1, v0
	s_ashr_i32 s5, s4, 31
	v_lshl_add_u64 v[0:1], v[4:5], 0, v[2:3]
	s_cmpk_lt_i32 s48, 0x101
	v_lshl_add_u64 v[4:5], s[4:5], 1, v[0:1]
	s_cselect_b32 s4, s11, 0x80
	s_ashr_i32 s5, s4, 31
	s_cmpk_lt_i32 s48, 0x201
	v_lshl_add_u64 v[6:7], s[4:5], 1, v[0:1]
	s_cselect_b32 s4, s11, 0x100
	s_ashr_i32 s5, s4, 31
	s_cmpk_lt_i32 s48, 0x301
	v_lshl_add_u64 v[8:9], s[4:5], 1, v[0:1]
	s_cselect_b32 s4, s11, 0x180
	s_ashr_i32 s5, s4, 31
	s_cmpk_lt_i32 s48, 0x401
	v_lshl_add_u64 v[10:11], s[4:5], 1, v[0:1]
	s_cselect_b32 s4, s11, 0x200
	s_ashr_i32 s5, s4, 31
	s_cmpk_lt_i32 s48, 0x501
	v_lshl_add_u64 v[12:13], s[4:5], 1, v[0:1]
	s_cselect_b32 s4, s11, 0x280
	s_ashr_i32 s5, s4, 31
	s_cmpk_lt_i32 s48, 0x601
	v_lshl_add_u64 v[14:15], s[4:5], 1, v[0:1]
	s_cselect_b32 s4, s11, 0x300
	s_ashr_i32 s5, s4, 31
	s_cmpk_lt_i32 s48, 0x701
	v_lshl_add_u64 v[24:25], s[4:5], 1, v[0:1]
	s_cselect_b32 s4, s11, 0x380
	s_ashr_i32 s5, s4, 31
	s_cmpk_lt_i32 s48, 0x801
	v_lshl_add_u64 v[26:27], s[4:5], 1, v[0:1]
	s_cselect_b32 s4, s11, 0x400
	s_ashr_i32 s5, s4, 31
	s_cmpk_lt_i32 s48, 0x901
	global_load_ushort v23, v[4:5], off
	global_load_ushort v22, v[6:7], off
	;; [unrolled: 1-line block ×8, first 2 shown]
	v_lshl_add_u64 v[4:5], s[4:5], 1, v[0:1]
	s_cselect_b32 s4, s11, 0x480
	s_ashr_i32 s5, s4, 31
	s_cmpk_lt_i32 s48, 0xa01
	v_lshl_add_u64 v[6:7], s[4:5], 1, v[0:1]
	s_cselect_b32 s4, s11, 0x500
	s_ashr_i32 s5, s4, 31
	s_cmpk_lt_i32 s48, 0xb01
	;; [unrolled: 4-line block ×6, first 2 shown]
	v_lshl_add_u64 v[32:33], s[4:5], 1, v[0:1]
	s_cselect_b32 s4, s11, 0x780
	s_ashr_i32 s5, s4, 31
	v_lshl_add_u64 v[34:35], s[4:5], 1, v[0:1]
	global_load_ushort v30, v[4:5], off
	global_load_ushort v31, v[6:7], off
	;; [unrolled: 1-line block ×8, first 2 shown]
	s_cmpk_gt_i32 s48, 0x1000
	s_cselect_b64 s[8:9], -1, 0
	s_cmpk_lt_i32 s48, 0x1001
	v_mov_b32_e32 v40, 0
	v_mov_b32_e32 v41, 0
	;; [unrolled: 1-line block ×48, first 2 shown]
	s_barrier
	s_cbranch_scc1 .LBB661_12
; %bb.10:
	s_cmpk_lt_u32 s48, 0x1101
	s_cselect_b32 s4, s11, 0x880
	s_ashr_i32 s5, s4, 31
	s_cmpk_lt_u32 s48, 0x1201
	v_lshl_add_u64 v[6:7], s[4:5], 1, v[0:1]
	s_cselect_b32 s4, s11, 0x900
	s_ashr_i32 s5, s4, 31
	s_cmpk_lt_u32 s48, 0x1301
	v_lshl_add_u64 v[8:9], s[4:5], 1, v[0:1]
	;; [unrolled: 4-line block ×7, first 2 shown]
	s_cselect_b32 s4, s11, 0xc00
	v_add_co_u32_e32 v4, vcc, 0x1000, v0
	s_ashr_i32 s5, s4, 31
	s_nop 0
	v_addc_co_u32_e32 v5, vcc, 0, v1, vcc
	s_cmpk_lt_u32 s48, 0x1901
	global_load_ushort v39, v[4:5], off
	global_load_ushort v38, v[6:7], off
	;; [unrolled: 1-line block ×8, first 2 shown]
	v_lshl_add_u64 v[4:5], s[4:5], 1, v[0:1]
	s_cselect_b32 s4, s11, 0xc80
	s_ashr_i32 s5, s4, 31
	s_cmpk_lt_u32 s48, 0x1a01
	v_lshl_add_u64 v[6:7], s[4:5], 1, v[0:1]
	s_cselect_b32 s4, s11, 0xd00
	s_ashr_i32 s5, s4, 31
	s_cmpk_lt_u32 s48, 0x1b01
	;; [unrolled: 4-line block ×6, first 2 shown]
	v_lshl_add_u64 v[48:49], s[4:5], 1, v[0:1]
	s_cselect_b32 s4, s11, 0xf80
	s_ashr_i32 s5, s4, 31
	v_lshl_add_u64 v[50:51], s[4:5], 1, v[0:1]
	global_load_ushort v47, v[4:5], off
	global_load_ushort v46, v[6:7], off
	;; [unrolled: 1-line block ×8, first 2 shown]
	s_cmpk_lt_u32 s48, 0x2001
	v_mov_b32_e32 v67, 0
	v_mov_b32_e32 v65, 0
	;; [unrolled: 1-line block ×32, first 2 shown]
	s_cbranch_scc1 .LBB661_12
; %bb.11:
	s_cmpk_lt_u32 s48, 0x2101
	s_cselect_b32 s4, s11, 0x1080
	s_ashr_i32 s5, s4, 31
	s_cmpk_lt_u32 s48, 0x2201
	v_lshl_add_u64 v[4:5], s[4:5], 1, v[0:1]
	s_cselect_b32 s4, s11, 0x1100
	s_ashr_i32 s5, s4, 31
	s_cmpk_lt_u32 s48, 0x2301
	v_lshl_add_u64 v[6:7], s[4:5], 1, v[0:1]
	;; [unrolled: 4-line block ×29, first 2 shown]
	s_cselect_b32 s4, s11, 0x1f00
	s_ashr_i32 s5, s4, 31
	v_lshl_add_u64 v[94:95], s[4:5], 1, v[0:1]
	s_movk_i32 s4, 0x2000
	s_cmpk_lt_u32 s48, 0x3f01
	v_add_co_u32_e32 v96, vcc, s4, v0
	s_cselect_b32 s4, s11, 0x1f80
	s_nop 0
	v_addc_co_u32_e32 v97, vcc, 0, v1, vcc
	s_ashr_i32 s5, s4, 31
	global_load_ushort v98, v[96:97], off
	global_load_ushort v99, v[4:5], off
	;; [unrolled: 1-line block ×15, first 2 shown]
                                        ; kill: killed $vgpr54_vgpr55
                                        ; kill: killed $vgpr6_vgpr7
                                        ; kill: killed $vgpr60_vgpr61
                                        ; kill: killed $vgpr12_vgpr13
                                        ; kill: killed $vgpr50_vgpr51
                                        ; kill: killed $vgpr56_vgpr57
                                        ; kill: killed $vgpr8_vgpr9
                                        ; kill: killed $vgpr62_vgpr63
                                        ; kill: killed $vgpr14_vgpr15
                                        ; kill: killed $vgpr96 killed $vgpr97
                                        ; kill: killed $vgpr52_vgpr53
                                        ; kill: killed $vgpr4_vgpr5
                                        ; kill: killed $vgpr58_vgpr59
                                        ; kill: killed $vgpr10_vgpr11
                                        ; kill: killed $vgpr48_vgpr49
	global_load_ushort v6, v[64:65], off
	global_load_ushort v7, v[66:67], off
	global_load_ushort v8, v[68:69], off
	global_load_ushort v9, v[70:71], off
	global_load_ushort v10, v[72:73], off
	global_load_ushort v11, v[82:83], off
	global_load_ushort v13, v[80:81], off
	global_load_ushort v12, v[78:79], off
	global_load_ushort v15, v[76:77], off
	global_load_ushort v14, v[74:75], off
	global_load_ushort v96, v[84:85], off
	global_load_ushort v97, v[94:95], off
	global_load_ushort v113, v[92:93], off
	global_load_ushort v114, v[90:91], off
	global_load_ushort v115, v[88:89], off
                                        ; kill: killed $vgpr70_vgpr71
                                        ; kill: killed $vgpr92_vgpr93
                                        ; kill: killed $vgpr76_vgpr77
                                        ; kill: killed $vgpr82_vgpr83
                                        ; kill: killed $vgpr66_vgpr67
                                        ; kill: killed $vgpr88_vgpr89
                                        ; kill: killed $vgpr72_vgpr73
                                        ; kill: killed $vgpr94_vgpr95
                                        ; kill: killed $vgpr78_vgpr79
                                        ; kill: killed $vgpr84_vgpr85
                                        ; kill: killed $vgpr68_vgpr69
                                        ; kill: killed $vgpr90_vgpr91
                                        ; kill: killed $vgpr74_vgpr75
                                        ; kill: killed $vgpr80_vgpr81
                                        ; kill: killed $vgpr64_vgpr65
	global_load_ushort v68, v[86:87], off
	v_lshl_add_u64 v[4:5], s[4:5], 1, v[0:1]
	global_load_ushort v5, v[4:5], off
	s_waitcnt vmcnt(31)
	v_lshlrev_b32_e32 v67, 16, v98
	s_waitcnt vmcnt(30)
	v_lshlrev_b32_e32 v65, 16, v99
	;; [unrolled: 2-line block ×32, first 2 shown]
.LBB661_12:
	s_load_dwordx2 s[4:5], s[0:1], 0x0
	s_load_dwordx2 s[6:7], s[0:1], 0x38
	ds_read_b128 v[68:71], v3
	s_waitcnt vmcnt(15)
	v_lshlrev_b32_e32 v23, 16, v23
	ds_read_b128 v[72:75], v3 offset:16
	ds_read_b128 v[76:79], v3 offset:32
	;; [unrolled: 1-line block ×3, first 2 shown]
	s_waitcnt vmcnt(14)
	v_lshlrev_b32_e32 v22, 16, v22
	s_waitcnt vmcnt(13)
	v_lshlrev_b32_e32 v21, 16, v21
	s_waitcnt lgkmcnt(0)
	v_fma_f32 v23, v68, v23, 0
	v_fmac_f32_e32 v23, v69, v22
	v_fmac_f32_e32 v23, v70, v21
	s_waitcnt vmcnt(12)
	v_lshlrev_b32_e32 v20, 16, v20
	s_waitcnt vmcnt(10)
	v_lshlrev_b32_e32 v19, 16, v19
	v_lshlrev_b32_e32 v18, 16, v18
	v_fmac_f32_e32 v23, v71, v20
	v_pk_mul_f32 v[18:19], v[72:73], v[18:19]
	s_waitcnt vmcnt(8)
	v_lshlrev_b32_e32 v17, 16, v17
	v_add_f32_e32 v18, v23, v18
	v_lshlrev_b32_e32 v16, 16, v16
	v_add_f32_e32 v18, v18, v19
	v_pk_mul_f32 v[16:17], v[74:75], v[16:17]
	s_and_b64 vcc, exec, s[8:9]
	v_add_f32_e32 v16, v18, v16
	v_add_f32_e32 v18, v16, v17
	s_waitcnt vmcnt(6)
	v_lshlrev_b32_e32 v17, 16, v31
	v_lshlrev_b32_e32 v16, 16, v30
	v_pk_mul_f32 v[16:17], v[76:77], v[16:17]
	s_nop 0
	v_add_f32_e32 v16, v18, v16
	v_add_f32_e32 v18, v16, v17
	s_waitcnt vmcnt(4)
	v_lshlrev_b32_e32 v17, 16, v29
	v_lshlrev_b32_e32 v16, 16, v28
	v_pk_mul_f32 v[16:17], v[78:79], v[16:17]
	s_nop 0
	;; [unrolled: 7-line block ×4, first 2 shown]
	v_add_f32_e32 v16, v18, v16
	v_add_f32_e32 v110, v16, v17
	s_cbranch_vccz .LBB661_15
; %bb.13:
	ds_read_b128 v[16:19], v3 offset:64
	v_lshlrev_b32_e32 v39, 16, v39
	ds_read_b128 v[20:23], v3 offset:80
	ds_read_b128 v[24:27], v3 offset:96
	;; [unrolled: 1-line block ×3, first 2 shown]
	v_lshlrev_b32_e32 v3, 16, v38
	s_cmpk_lt_u32 s48, 0x2001
	s_waitcnt lgkmcnt(3)
	v_fmac_f32_e32 v110, v16, v39
	v_fmac_f32_e32 v110, v17, v3
	v_lshlrev_b32_e32 v3, 16, v37
	v_fmac_f32_e32 v110, v18, v3
	v_lshlrev_b32_e32 v3, 16, v36
	v_fmac_f32_e32 v110, v19, v3
	v_lshlrev_b32_e32 v3, 16, v35
	s_waitcnt lgkmcnt(2)
	v_fmac_f32_e32 v110, v20, v3
	v_lshlrev_b32_e32 v3, 16, v34
	v_fmac_f32_e32 v110, v21, v3
	v_lshlrev_b32_e32 v3, 16, v33
	v_fmac_f32_e32 v110, v22, v3
	v_lshlrev_b32_e32 v3, 16, v32
	v_fmac_f32_e32 v110, v23, v3
	v_lshlrev_b32_e32 v3, 16, v47
	s_waitcnt lgkmcnt(1)
	v_fmac_f32_e32 v110, v24, v3
	v_lshlrev_b32_e32 v3, 16, v46
	;; [unrolled: 9-line block ×3, first 2 shown]
	v_fmac_f32_e32 v110, v29, v3
	v_lshlrev_b32_e32 v3, 16, v41
	v_fmac_f32_e32 v110, v30, v3
	v_lshlrev_b32_e32 v3, 16, v40
	v_fmac_f32_e32 v110, v31, v3
	s_cbranch_scc1 .LBB661_15
; %bb.14:
	v_mov_b32_e32 v3, 0
	ds_read_b128 v[16:19], v3 offset:128
	ds_read_b128 v[20:23], v3 offset:144
	;; [unrolled: 1-line block ×4, first 2 shown]
	s_waitcnt lgkmcnt(3)
	v_fmac_f32_e32 v110, v16, v67
	v_fmac_f32_e32 v110, v17, v65
	v_fmac_f32_e32 v110, v18, v66
	v_fmac_f32_e32 v110, v19, v63
	s_waitcnt lgkmcnt(2)
	v_fmac_f32_e32 v110, v20, v64
	v_fmac_f32_e32 v110, v21, v61
	v_fmac_f32_e32 v110, v22, v62
	v_fmac_f32_e32 v110, v23, v59
	;; [unrolled: 5-line block ×3, first 2 shown]
	ds_read_b128 v[16:19], v3 offset:192
	ds_read_b128 v[20:23], v3 offset:208
	s_waitcnt lgkmcnt(2)
	v_fmac_f32_e32 v110, v28, v56
	v_fmac_f32_e32 v110, v29, v53
	v_fmac_f32_e32 v110, v30, v54
	v_fmac_f32_e32 v110, v31, v52
	s_waitcnt lgkmcnt(1)
	v_fmac_f32_e32 v110, v16, v51
	v_fmac_f32_e32 v110, v17, v49
	;; [unrolled: 1-line block ×4, first 2 shown]
	s_waitcnt lgkmcnt(0)
	v_pk_mul_f32 v[14:15], v[20:21], v[14:15]
	v_pk_mul_f32 v[12:13], v[22:23], v[12:13]
	v_add_f32_e32 v14, v110, v14
	v_add_f32_e32 v18, v14, v15
	ds_read_b128 v[14:17], v3 offset:224
	v_add_f32_e32 v12, v18, v12
	ds_read_b128 v[18:21], v3 offset:240
	v_add_f32_e32 v12, v12, v13
	s_waitcnt lgkmcnt(1)
	v_pk_mul_f32 v[10:11], v[14:15], v[10:11]
	s_nop 0
	v_add_f32_e32 v3, v12, v10
	v_add_f32_e32 v3, v3, v11
	v_pk_mul_f32 v[8:9], v[16:17], v[8:9]
	s_waitcnt lgkmcnt(0)
	v_pk_mul_f32 v[6:7], v[18:19], v[6:7]
	v_add_f32_e32 v3, v3, v8
	v_add_f32_e32 v3, v3, v9
	;; [unrolled: 1-line block ×4, first 2 shown]
	v_pk_mul_f32 v[4:5], v[20:21], v[4:5]
	s_nop 0
	v_add_f32_e32 v3, v3, v4
	v_add_f32_e32 v110, v3, v5
.LBB661_15:
	s_movk_i32 s0, 0x3f80
	s_movk_i32 s1, 0x100
	s_mov_b32 s8, 64
	s_branch .LBB661_17
.LBB661_16:                             ;   in Loop: Header=BB661_17 Depth=1
	s_addk_i32 s0, 0x2000
	s_addk_i32 s1, 0x100
	s_add_i32 s8, s8, 64
	s_cmp_eq_u32 s0, 0x15f80
	s_cbranch_scc1 .LBB661_19
.LBB661_17:                             ; =>This Inner Loop Header: Depth=1
	s_cmp_le_i32 s33, s8
	s_cbranch_scc1 .LBB661_16
; %bb.18:                               ;   in Loop: Header=BB661_17 Depth=1
	s_add_i32 s9, s0, 0xffffe080
	s_cmp_lt_i32 s9, s10
	s_cselect_b32 s12, s9, s11
	s_ashr_i32 s13, s12, 31
	s_add_i32 s9, s0, 0xffffe100
	s_cmp_lt_i32 s9, s10
	v_lshl_add_u64 v[42:43], s[12:13], 1, v[0:1]
	s_cselect_b32 s12, s9, s11
	s_ashr_i32 s13, s12, 31
	s_add_i32 s9, s0, 0xffffe180
	s_cmp_lt_i32 s9, s10
	v_lshl_add_u64 v[4:5], s[12:13], 1, v[0:1]
	;; [unrolled: 5-line block ×25, first 2 shown]
	s_cselect_b32 s12, s9, s11
	s_ashr_i32 s13, s12, 31
	s_add_i32 s9, s0, 0xffffed80
	s_cmp_lt_i32 s9, s10
	global_load_ushort v3, v[42:43], off
	global_load_ushort v120, v[44:45], off
	v_lshl_add_u64 v[18:19], s[12:13], 1, v[0:1]
	s_cselect_b32 s12, s9, s11
	global_load_ushort v111, v[4:5], off
	global_load_ushort v112, v[6:7], off
	;; [unrolled: 1-line block ×8, first 2 shown]
	s_ashr_i32 s13, s12, 31
	s_add_i32 s9, s0, 0xffffee00
	s_cmp_lt_i32 s9, s10
	v_lshl_add_u64 v[20:21], s[12:13], 1, v[0:1]
	s_cselect_b32 s12, s9, s11
	s_ashr_i32 s13, s12, 31
	s_add_i32 s9, s0, 0xffffee80
	s_cmp_lt_i32 s9, s10
	v_lshl_add_u64 v[38:39], s[12:13], 1, v[0:1]
	s_cselect_b32 s12, s9, s11
	s_ashr_i32 s13, s12, 31
	s_add_i32 s9, s0, 0xffffef00
	s_cmp_lt_i32 s9, s10
	global_load_ushort v119, v[28:29], off
	v_lshl_add_u64 v[40:41], s[12:13], 1, v[0:1]
	s_cselect_b32 s12, s9, s11
	s_ashr_i32 s13, s12, 31
	s_add_i32 s9, s0, 0xffffef80
	global_load_ushort v121, v[54:55], off
	global_load_ushort v122, v[56:57], off
	s_cmp_lt_i32 s9, s10
	global_load_ushort v58, v[58:59], off
	v_lshl_add_u64 v[50:51], s[12:13], 1, v[0:1]
	s_cselect_b32 s12, s9, s11
	s_ashr_i32 s13, s12, 31
	s_add_i32 s9, s0, 0xfffff000
	s_cmp_lt_i32 s9, s10
	v_lshl_add_u64 v[52:53], s[12:13], 1, v[0:1]
	s_cselect_b32 s12, s9, s11
	s_ashr_i32 s13, s12, 31
	s_add_i32 s9, s0, 0xfffff080
	global_load_ushort v59, v[60:61], off
	s_cmp_lt_i32 s9, s10
	global_load_ushort v60, v[66:67], off
	global_load_ushort v61, v[62:63], off
	v_lshl_add_u64 v[64:65], s[12:13], 1, v[0:1]
	s_cselect_b32 s12, s9, s11
	s_ashr_i32 s13, s12, 31
	s_add_i32 s9, s0, 0xfffff100
	s_cmp_lt_i32 s9, s10
	v_lshl_add_u64 v[68:69], s[12:13], 1, v[0:1]
	s_cselect_b32 s12, s9, s11
	s_ashr_i32 s13, s12, 31
	s_add_i32 s9, s0, 0xfffff180
	s_cmp_lt_i32 s9, s10
	;; [unrolled: 5-line block ×3, first 2 shown]
	global_load_ushort v62, v[24:25], off
	v_lshl_add_u64 v[72:73], s[12:13], 1, v[0:1]
	s_cselect_b32 s12, s9, s11
	global_load_ushort v66, v[30:31], off
	global_load_ushort v123, v[32:33], off
	;; [unrolled: 1-line block ×4, first 2 shown]
	s_ashr_i32 s13, s12, 31
	s_add_i32 s9, s0, 0xfffff280
	s_cmp_lt_i32 s9, s10
	global_load_ushort v67, v[46:47], off
	v_lshl_add_u64 v[74:75], s[12:13], 1, v[0:1]
	s_cselect_b32 s12, s9, s11
	s_ashr_i32 s13, s12, 31
	s_add_i32 s9, s0, 0xfffff300
	s_cmp_lt_i32 s9, s10
	v_lshl_add_u64 v[76:77], s[12:13], 1, v[0:1]
	s_cselect_b32 s12, s9, s11
	s_ashr_i32 s13, s12, 31
	s_add_i32 s9, s0, 0xfffff380
	s_cmp_lt_i32 s9, s10
	v_mov_b32_e32 v124, s1
	v_lshl_add_u64 v[78:79], s[12:13], 1, v[0:1]
	s_cselect_b32 s12, s9, s11
	ds_read_b128 v[28:31], v124
	ds_read_b128 v[32:35], v124 offset:16
	global_load_ushort v48, v[48:49], off
	s_ashr_i32 s13, s12, 31
	s_add_i32 s9, s0, 0xfffff400
	s_cmp_lt_i32 s9, s10
	v_lshl_add_u64 v[80:81], s[12:13], 1, v[0:1]
	s_cselect_b32 s12, s9, s11
	ds_read_b128 v[44:47], v124 offset:32
	ds_read_b128 v[54:57], v124 offset:48
	global_load_ushort v36, v[36:37], off
	s_ashr_i32 s13, s12, 31
	v_lshl_add_u64 v[82:83], s[12:13], 1, v[0:1]
	global_load_ushort v49, v[82:83], off
	global_load_ushort v37, v[18:19], off
	s_add_i32 s9, s0, 0xfffff480
	s_cmp_lt_i32 s9, s10
	s_cselect_b32 s12, s9, s11
	s_ashr_i32 s13, s12, 31
	s_add_i32 s9, s0, 0xfffff500
	s_cmp_lt_i32 s9, s10
	v_lshl_add_u64 v[84:85], s[12:13], 1, v[0:1]
	s_cselect_b32 s12, s9, s11
	s_ashr_i32 s13, s12, 31
	s_add_i32 s9, s0, 0xfffff580
	s_cmp_lt_i32 s9, s10
	v_lshl_add_u64 v[86:87], s[12:13], 1, v[0:1]
	;; [unrolled: 5-line block ×7, first 2 shown]
	s_cselect_b32 s12, s9, s11
	s_ashr_i32 s13, s12, 31
	s_add_i32 s9, s0, 0xfffff880
	s_waitcnt vmcnt(26)
	v_lshlrev_b32_e32 v3, 16, v3
	s_cmp_lt_i32 s9, s10
	s_waitcnt lgkmcnt(3)
	v_fmac_f32_e32 v110, v28, v3
	s_waitcnt vmcnt(24)
	v_lshlrev_b32_e32 v3, 16, v111
	v_lshl_add_u64 v[98:99], s[12:13], 1, v[0:1]
	s_cselect_b32 s12, s9, s11
	v_fmac_f32_e32 v110, v29, v3
	s_waitcnt vmcnt(23)
	v_lshlrev_b32_e32 v3, 16, v112
	s_ashr_i32 s13, s12, 31
	s_add_i32 s9, s0, 0xfffff900
	v_fmac_f32_e32 v110, v30, v3
	s_waitcnt vmcnt(22)
	v_lshlrev_b32_e32 v3, 16, v113
	s_cmp_lt_i32 s9, s10
	v_fmac_f32_e32 v110, v31, v3
	s_waitcnt vmcnt(21)
	v_lshlrev_b32_e32 v3, 16, v114
	v_lshl_add_u64 v[102:103], s[12:13], 1, v[0:1]
	s_cselect_b32 s12, s9, s11
	s_waitcnt lgkmcnt(2)
	v_fmac_f32_e32 v110, v32, v3
	global_load_ushort v3, v[20:21], off
	global_load_ushort v32, v[38:39], off
	s_waitcnt vmcnt(22)
	v_lshlrev_b32_e32 v18, 16, v115
	s_ashr_i32 s13, s12, 31
	s_add_i32 s9, s0, 0xfffff980
	v_fmac_f32_e32 v110, v33, v18
	s_waitcnt vmcnt(21)
	v_lshlrev_b32_e32 v18, 16, v116
	s_cmp_lt_i32 s9, s10
	v_fmac_f32_e32 v110, v34, v18
	s_waitcnt vmcnt(20)
	v_lshlrev_b32_e32 v18, 16, v117
	v_lshl_add_u64 v[104:105], s[12:13], 1, v[0:1]
	s_cselect_b32 s12, s9, s11
	global_load_ushort v33, v[40:41], off
	global_load_ushort v34, v[50:51], off
	v_fmac_f32_e32 v110, v35, v18
	global_load_ushort v35, v[52:53], off
	global_load_ushort v38, v[64:65], off
	;; [unrolled: 1-line block ×3, first 2 shown]
	s_waitcnt vmcnt(24)
	v_lshlrev_b32_e32 v18, 16, v118
	s_ashr_i32 s13, s12, 31
	s_add_i32 s9, s0, 0xfffffa00
	s_waitcnt lgkmcnt(1)
	v_fmac_f32_e32 v110, v44, v18
	global_load_ushort v44, v[74:75], off
	s_waitcnt vmcnt(24)
	v_lshlrev_b32_e32 v18, 16, v119
	s_cmp_lt_i32 s9, s10
	v_fmac_f32_e32 v110, v45, v18
	v_lshlrev_b32_e32 v18, 16, v120
	v_lshl_add_u64 v[106:107], s[12:13], 1, v[0:1]
	s_cselect_b32 s12, s9, s11
	v_fmac_f32_e32 v110, v46, v18
	global_load_ushort v46, v[78:79], off
	s_waitcnt vmcnt(24)
	v_lshlrev_b32_e32 v18, 16, v121
	s_ashr_i32 s13, s12, 31
	s_add_i32 s9, s0, 0xfffffa80
	v_fmac_f32_e32 v110, v47, v18
	s_waitcnt vmcnt(23)
	v_lshlrev_b32_e32 v18, 16, v122
	s_cmp_lt_i32 s9, s10
	s_waitcnt lgkmcnt(0)
	v_fmac_f32_e32 v110, v54, v18
	global_load_ushort v54, v[90:91], off
	global_load_ushort v40, v[70:71], off
	;; [unrolled: 1-line block ×8, first 2 shown]
	v_lshl_add_u64 v[100:101], s[12:13], 1, v[0:1]
	s_cselect_b32 s12, s9, s11
	s_ashr_i32 s13, s12, 31
	s_add_i32 s9, s0, 0xfffffb00
	s_cmp_lt_i32 s9, s10
	s_waitcnt vmcnt(30)
	v_lshlrev_b32_e32 v18, 16, v58
	v_lshl_add_u64 v[42:43], s[12:13], 1, v[0:1]
	s_cselect_b32 s12, s9, s11
	v_fmac_f32_e32 v110, v55, v18
	s_waitcnt vmcnt(29)
	v_lshlrev_b32_e32 v18, 16, v59
	s_ashr_i32 s13, s12, 31
	s_add_i32 s9, s0, 0xfffffb80
	v_fmac_f32_e32 v110, v56, v18
	s_waitcnt vmcnt(28)
	v_lshlrev_b32_e32 v18, 16, v60
	s_cmp_lt_i32 s9, s10
	v_fmac_f32_e32 v110, v57, v18
	ds_read_b128 v[18:21], v124 offset:64
	ds_read_b128 v[28:31], v124 offset:80
	v_lshl_add_u64 v[108:109], s[12:13], 1, v[0:1]
	s_cselect_b32 s12, s9, s11
	s_ashr_i32 s13, s12, 31
	s_add_i32 s9, s0, 0xfffffc00
	s_cmp_lt_i32 s9, s10
	v_lshl_add_u64 v[4:5], s[12:13], 1, v[0:1]
	s_cselect_b32 s12, s9, s11
	s_waitcnt vmcnt(27)
	v_lshlrev_b32_e32 v52, 16, v61
	s_ashr_i32 s13, s12, 31
	s_add_i32 s9, s0, 0xfffffc80
	s_waitcnt lgkmcnt(1)
	v_fmac_f32_e32 v110, v18, v52
	global_load_ushort v52, v[92:93], off
	s_cmp_lt_i32 s9, s10
	global_load_ushort v55, v[94:95], off
	global_load_ushort v56, v[96:97], off
	;; [unrolled: 1-line block ×5, first 2 shown]
	v_lshl_add_u64 v[6:7], s[12:13], 1, v[0:1]
	s_cselect_b32 s12, s9, s11
	s_ashr_i32 s13, s12, 31
	s_add_i32 s9, s0, 0xfffffd00
	s_waitcnt vmcnt(32)
	v_lshlrev_b32_e32 v18, 16, v62
	s_cmp_lt_i32 s9, s10
	v_fmac_f32_e32 v110, v19, v18
	s_waitcnt vmcnt(28)
	v_lshlrev_b32_e32 v18, 16, v63
	v_lshl_add_u64 v[8:9], s[12:13], 1, v[0:1]
	s_cselect_b32 s12, s9, s11
	v_fmac_f32_e32 v110, v20, v18
	v_lshlrev_b32_e32 v18, 16, v66
	s_ashr_i32 s13, s12, 31
	s_add_i32 s9, s0, 0xfffffd80
	v_fmac_f32_e32 v110, v21, v18
	s_waitcnt vmcnt(27)
	v_lshlrev_b32_e32 v18, 16, v67
	s_cmp_lt_i32 s9, s10
	s_waitcnt lgkmcnt(0)
	v_fmac_f32_e32 v110, v28, v18
	global_load_ushort v28, v[106:107], off
	v_lshl_add_u64 v[12:13], s[12:13], 1, v[0:1]
	s_cselect_b32 s12, s9, s11
	global_load_ushort v60, v[100:101], off
	global_load_ushort v61, v[42:43], off
	;; [unrolled: 1-line block ×3, first 2 shown]
	s_ashr_i32 s13, s12, 31
	s_add_i32 s9, s0, 0xfffffe00
	v_lshlrev_b32_e32 v18, 16, v123
	s_cmp_lt_i32 s9, s10
	v_fmac_f32_e32 v110, v29, v18
	v_lshlrev_b32_e32 v18, 16, v125
	v_lshl_add_u64 v[10:11], s[12:13], 1, v[0:1]
	s_cselect_b32 s12, s9, s11
	v_fmac_f32_e32 v110, v30, v18
	global_load_ushort v29, v[4:5], off
	global_load_ushort v30, v[6:7], off
	s_ashr_i32 s13, s12, 31
	s_add_i32 s9, s0, 0xfffffe80
	s_cmp_lt_i32 s9, s10
	s_waitcnt vmcnt(32)
	v_lshlrev_b32_e32 v4, 16, v48
	v_lshl_add_u64 v[22:23], s[12:13], 1, v[0:1]
	s_cselect_b32 s12, s9, s11
	v_fmac_f32_e32 v110, v31, v4
	ds_read_b128 v[4:7], v124 offset:96
	s_ashr_i32 s13, s12, 31
	s_add_i32 s9, s0, 0xffffff00
	s_cmp_lt_i32 s9, s10
	s_waitcnt vmcnt(31)
	v_lshlrev_b32_e32 v31, 16, v36
	global_load_ushort v36, v[8:9], off
	global_load_ushort v42, v[12:13], off
	v_lshl_add_u64 v[14:15], s[12:13], 1, v[0:1]
	s_cselect_b32 s12, s9, s11
	s_ashr_i32 s13, s12, 31
	s_add_i32 s9, s0, 0xffffff80
	s_cmp_lt_i32 s9, s10
	ds_read_b128 v[18:21], v124 offset:112
	s_waitcnt lgkmcnt(1)
	v_fmac_f32_e32 v110, v4, v31
	s_waitcnt vmcnt(31)
	v_lshlrev_b32_e32 v4, 16, v37
	global_load_ushort v31, v[10:11], off
	global_load_ushort v37, v[22:23], off
	v_lshl_add_u64 v[24:25], s[12:13], 1, v[0:1]
	s_cselect_b32 s12, s9, s11
	s_ashr_i32 s13, s12, 31
	s_cmp_lt_i32 s0, s10
	global_load_ushort v22, v[14:15], off
	global_load_ushort v23, v[24:25], off
	v_lshl_add_u64 v[16:17], s[12:13], 1, v[0:1]
	s_cselect_b32 s12, s0, s11
	s_ashr_i32 s13, s12, 31
	v_lshl_add_u64 v[26:27], s[12:13], 1, v[0:1]
	global_load_ushort v14, v[16:17], off
	global_load_ushort v15, v[26:27], off
	v_fmac_f32_e32 v110, v5, v4
	s_waitcnt vmcnt(36)
	v_lshlrev_b32_e32 v3, 16, v3
	v_fmac_f32_e32 v110, v6, v3
	s_waitcnt vmcnt(35)
	v_lshlrev_b32_e32 v3, 16, v32
	v_fmac_f32_e32 v110, v7, v3
	s_waitcnt vmcnt(34)
	v_lshlrev_b32_e32 v3, 16, v33
	ds_read_b128 v[4:7], v124 offset:128
	ds_read_b128 v[8:11], v124 offset:144
	s_waitcnt lgkmcnt(2)
	v_fmac_f32_e32 v110, v18, v3
	s_waitcnt vmcnt(33)
	v_lshlrev_b32_e32 v3, 16, v34
	v_fmac_f32_e32 v110, v19, v3
	s_waitcnt vmcnt(32)
	v_lshlrev_b32_e32 v3, 16, v35
	v_fmac_f32_e32 v110, v20, v3
	s_waitcnt vmcnt(31)
	v_lshlrev_b32_e32 v3, 16, v38
	v_fmac_f32_e32 v110, v21, v3
	s_waitcnt vmcnt(30)
	v_lshlrev_b32_e32 v3, 16, v39
	s_waitcnt lgkmcnt(1)
	v_fmac_f32_e32 v110, v4, v3
	s_waitcnt vmcnt(26)
	v_lshlrev_b32_e32 v3, 16, v40
	v_fmac_f32_e32 v110, v5, v3
	s_waitcnt vmcnt(25)
	v_lshlrev_b32_e32 v3, 16, v41
	v_fmac_f32_e32 v110, v6, v3
	v_lshlrev_b32_e32 v3, 16, v44
	v_fmac_f32_e32 v110, v7, v3
	s_waitcnt vmcnt(24)
	v_lshlrev_b32_e32 v3, 16, v45
	ds_read_b128 v[4:7], v124 offset:160
	s_waitcnt lgkmcnt(1)
	v_fmac_f32_e32 v110, v8, v3
	v_lshlrev_b32_e32 v3, 16, v46
	v_fmac_f32_e32 v110, v9, v3
	s_waitcnt vmcnt(23)
	v_lshlrev_b32_e32 v3, 16, v47
	v_fmac_f32_e32 v110, v10, v3
	v_lshlrev_b32_e32 v3, 16, v49
	v_fmac_f32_e32 v110, v11, v3
	ds_read_b128 v[8:11], v124 offset:176
	s_waitcnt vmcnt(22)
	v_lshlrev_b32_e32 v3, 16, v50
	s_waitcnt lgkmcnt(1)
	v_fmac_f32_e32 v110, v4, v3
	s_waitcnt vmcnt(21)
	v_lshlrev_b32_e32 v3, 16, v51
	v_fmac_f32_e32 v110, v5, v3
	s_waitcnt vmcnt(20)
	v_lshlrev_b32_e32 v3, 16, v53
	v_fmac_f32_e32 v110, v6, v3
	v_lshlrev_b32_e32 v3, 16, v54
	v_fmac_f32_e32 v110, v7, v3
	s_waitcnt vmcnt(19)
	v_lshlrev_b32_e32 v3, 16, v52
	s_waitcnt lgkmcnt(0)
	v_fmac_f32_e32 v110, v8, v3
	s_waitcnt vmcnt(18)
	v_lshlrev_b32_e32 v3, 16, v55
	ds_read_b128 v[4:7], v124 offset:192
	v_fmac_f32_e32 v110, v9, v3
	s_waitcnt vmcnt(17)
	v_lshlrev_b32_e32 v3, 16, v56
	v_fmac_f32_e32 v110, v10, v3
	s_waitcnt vmcnt(16)
	v_lshlrev_b32_e32 v3, 16, v57
	v_fmac_f32_e32 v110, v11, v3
	ds_read_b128 v[8:11], v124 offset:208
	s_waitcnt vmcnt(15)
	v_lshlrev_b32_e32 v3, 16, v58
	s_waitcnt lgkmcnt(1)
	v_fmac_f32_e32 v110, v4, v3
	s_waitcnt vmcnt(14)
	v_lshlrev_b32_e32 v3, 16, v59
	v_fmac_f32_e32 v110, v5, v3
	s_waitcnt vmcnt(13)
	v_lshlrev_b32_e32 v3, 16, v28
	v_fmac_f32_e32 v110, v6, v3
	s_waitcnt vmcnt(12)
	v_lshlrev_b32_e32 v3, 16, v60
	s_waitcnt vmcnt(10)
	v_lshlrev_b32_e32 v5, 16, v62
	v_lshlrev_b32_e32 v4, 16, v61
	v_fmac_f32_e32 v110, v7, v3
	s_waitcnt lgkmcnt(0)
	v_pk_mul_f32 v[4:5], v[8:9], v[4:5]
	s_waitcnt vmcnt(6)
	v_lshlrev_b32_e32 v13, 16, v42
	v_add_f32_e32 v3, v110, v4
	v_add_f32_e32 v3, v3, v5
	v_lshlrev_b32_e32 v5, 16, v30
	v_lshlrev_b32_e32 v4, 16, v29
	v_pk_mul_f32 v[8:9], v[10:11], v[4:5]
	ds_read_b128 v[4:7], v124 offset:224
	v_add_f32_e32 v3, v3, v8
	v_lshlrev_b32_e32 v12, 16, v36
	v_add_f32_e32 v3, v3, v9
	ds_read_b128 v[8:11], v124 offset:240
	s_waitcnt lgkmcnt(1)
	v_pk_mul_f32 v[4:5], v[4:5], v[12:13]
	s_nop 0
	v_add_f32_e32 v3, v3, v4
	v_add_f32_e32 v3, v3, v5
	s_waitcnt vmcnt(4)
	v_lshlrev_b32_e32 v5, 16, v37
	v_lshlrev_b32_e32 v4, 16, v31
	v_pk_mul_f32 v[4:5], v[6:7], v[4:5]
	s_nop 0
	v_add_f32_e32 v3, v3, v4
	v_add_f32_e32 v3, v3, v5
	s_waitcnt vmcnt(2)
	v_lshlrev_b32_e32 v5, 16, v23
	v_lshlrev_b32_e32 v4, 16, v22
	s_waitcnt lgkmcnt(0)
	v_pk_mul_f32 v[4:5], v[8:9], v[4:5]
	s_nop 0
	v_add_f32_e32 v3, v3, v4
	v_add_f32_e32 v3, v3, v5
	s_waitcnt vmcnt(1)
	v_lshlrev_b32_e32 v4, 16, v14
	s_waitcnt vmcnt(0)
	v_lshlrev_b32_e32 v5, 16, v15
	v_pk_mul_f32 v[4:5], v[10:11], v[4:5]
	s_nop 0
	v_add_f32_e32 v3, v3, v4
	v_add_f32_e32 v110, v3, v5
	s_branch .LBB661_16
.LBB661_19:
	v_mov_b32_e32 v0, 0
	ds_read_b32 v0, v0 offset:2560
	s_cmp_lg_u64 s[6:7], 0
	s_cbranch_scc0 .LBB661_28
; %bb.20:
	s_load_dword s6, s[6:7], 0x0
	s_waitcnt lgkmcnt(0)
	v_div_scale_f32 v1, s[0:1], s6, s6, 1.0
	v_rcp_f32_e32 v3, v1
	v_div_scale_f32 v4, vcc, 1.0, s6, 1.0
	v_fma_f32 v5, -v1, v3, 1.0
	v_fmac_f32_e32 v3, v5, v3
	v_mul_f32_e32 v5, v4, v3
	v_fma_f32 v6, -v1, v5, v4
	v_fmac_f32_e32 v5, v6, v3
	v_fma_f32 v1, -v1, v5, v4
	v_div_fmas_f32 v1, v1, v3, v5
	v_div_fixup_f32 v1, v1, s6, 1.0
	s_andn2_b64 vcc, exec, s[38:39]
	s_cbranch_vccnz .LBB661_22
.LBB661_21:
	s_add_u32 s0, s36, s40
	s_addc_u32 s1, s37, s41
	s_load_dword s34, s[0:1], 0x0
	s_mov_b32 s35, 0
.LBB661_22:
	s_waitcnt lgkmcnt(0)
	v_add_f32_e32 v0, 0x358637bd, v0
	v_div_scale_f32 v3, s[0:1], v0, v0, 1.0
	v_rcp_f32_e32 v4, v3
	v_div_scale_f32 v5, vcc, 1.0, v0, 1.0
	s_mov_b32 s0, 0x7f800000
	v_fma_f32 v6, -v3, v4, 1.0
	v_fmac_f32_e32 v4, v6, v4
	v_mul_f32_e32 v6, v5, v4
	v_fma_f32 v7, -v3, v6, v5
	v_fmac_f32_e32 v6, v7, v4
	v_fma_f32 v3, -v3, v6, v5
	v_div_fmas_f32 v3, v3, v4, v6
	v_div_fixup_f32 v0, v3, v0, 1.0
	v_mul_f32_e32 v0, v110, v0
	v_mul_f32_e32 v1, v0, v1
	v_and_b32_e32 v0, 0x7f800000, v1
	v_cmp_ne_u32_e32 vcc, s0, v0
                                        ; implicit-def: $vgpr0
	s_and_saveexec_b64 s[0:1], vcc
	s_xor_b64 s[0:1], exec, s[0:1]
; %bb.23:
	v_bfe_u32 v0, v1, 16, 1
	s_movk_i32 s6, 0x7fff
	v_add3_u32 v0, v1, v0, s6
                                        ; implicit-def: $vgpr1
; %bb.24:
	s_andn2_saveexec_b64 s[0:1], s[0:1]
; %bb.25:
	v_mov_b32_e32 v0, 0
	v_or_b32_e32 v3, 0x10000, v1
	v_cmp_eq_u32_sdwa vcc, v1, v0 src0_sel:WORD_0 src1_sel:DWORD
	s_nop 1
	v_cndmask_b32_e32 v0, v3, v1, vcc
; %bb.26:
	s_or_b64 exec, exec, s[0:1]
	s_mul_i32 s0, s3, s35
	s_mul_hi_u32 s1, s3, s34
	s_add_i32 s1, s1, s0
	s_mul_i32 s0, s3, s34
	s_lshl_b64 s[0:1], s[0:1], 8
	s_add_u32 s4, s4, s0
	s_mov_b32 s3, 0
	s_addc_u32 s5, s5, s1
	s_lshl_b64 s[0:1], s[2:3], 8
	s_add_u32 s0, s4, s0
	s_addc_u32 s1, s5, s1
	global_store_short_d16_hi v2, v0, s[0:1]
	s_endpgm
.LBB661_27:
	s_mov_b64 s[6:7], 0
	s_branch .LBB661_2
.LBB661_28:
	v_mov_b32_e32 v1, 1.0
	s_andn2_b64 vcc, exec, s[38:39]
	s_cbranch_vccz .LBB661_21
	s_branch .LBB661_22
	.section	.rodata,"a",@progbits
	.p2align	6, 0x0
	.amdhsa_kernel _Z35paged_attention_ll4mi_reduce_kernelI14__hip_bfloat16S0_Li128ELi128ELi256ELi10EEvPT0_PKfS4_PKT_PKiS9_iS4_
		.amdhsa_group_segment_fixed_size 2564
		.amdhsa_private_segment_fixed_size 0
		.amdhsa_kernarg_size 320
		.amdhsa_user_sgpr_count 2
		.amdhsa_user_sgpr_dispatch_ptr 0
		.amdhsa_user_sgpr_queue_ptr 0
		.amdhsa_user_sgpr_kernarg_segment_ptr 1
		.amdhsa_user_sgpr_dispatch_id 0
		.amdhsa_user_sgpr_kernarg_preload_length 0
		.amdhsa_user_sgpr_kernarg_preload_offset 0
		.amdhsa_user_sgpr_private_segment_size 0
		.amdhsa_uses_dynamic_stack 0
		.amdhsa_enable_private_segment 0
		.amdhsa_system_sgpr_workgroup_id_x 1
		.amdhsa_system_sgpr_workgroup_id_y 1
		.amdhsa_system_sgpr_workgroup_id_z 0
		.amdhsa_system_sgpr_workgroup_info 0
		.amdhsa_system_vgpr_workitem_id 0
		.amdhsa_next_free_vgpr 126
		.amdhsa_next_free_sgpr 49
		.amdhsa_accum_offset 128
		.amdhsa_reserve_vcc 1
		.amdhsa_float_round_mode_32 0
		.amdhsa_float_round_mode_16_64 0
		.amdhsa_float_denorm_mode_32 3
		.amdhsa_float_denorm_mode_16_64 3
		.amdhsa_dx10_clamp 1
		.amdhsa_ieee_mode 1
		.amdhsa_fp16_overflow 0
		.amdhsa_tg_split 0
		.amdhsa_exception_fp_ieee_invalid_op 0
		.amdhsa_exception_fp_denorm_src 0
		.amdhsa_exception_fp_ieee_div_zero 0
		.amdhsa_exception_fp_ieee_overflow 0
		.amdhsa_exception_fp_ieee_underflow 0
		.amdhsa_exception_fp_ieee_inexact 0
		.amdhsa_exception_int_div_zero 0
	.end_amdhsa_kernel
	.section	.text._Z35paged_attention_ll4mi_reduce_kernelI14__hip_bfloat16S0_Li128ELi128ELi256ELi10EEvPT0_PKfS4_PKT_PKiS9_iS4_,"axG",@progbits,_Z35paged_attention_ll4mi_reduce_kernelI14__hip_bfloat16S0_Li128ELi128ELi256ELi10EEvPT0_PKfS4_PKT_PKiS9_iS4_,comdat
.Lfunc_end661:
	.size	_Z35paged_attention_ll4mi_reduce_kernelI14__hip_bfloat16S0_Li128ELi128ELi256ELi10EEvPT0_PKfS4_PKT_PKiS9_iS4_, .Lfunc_end661-_Z35paged_attention_ll4mi_reduce_kernelI14__hip_bfloat16S0_Li128ELi128ELi256ELi10EEvPT0_PKfS4_PKT_PKiS9_iS4_
                                        ; -- End function
	.section	.AMDGPU.csdata,"",@progbits
; Kernel info:
; codeLenInByte = 9816
; NumSgprs: 55
; NumVgprs: 126
; NumAgprs: 0
; TotalNumVgprs: 126
; ScratchSize: 0
; MemoryBound: 0
; FloatMode: 240
; IeeeMode: 1
; LDSByteSize: 2564 bytes/workgroup (compile time only)
; SGPRBlocks: 6
; VGPRBlocks: 15
; NumSGPRsForWavesPerEU: 55
; NumVGPRsForWavesPerEU: 126
; AccumOffset: 128
; Occupancy: 4
; WaveLimiterHint : 1
; COMPUTE_PGM_RSRC2:SCRATCH_EN: 0
; COMPUTE_PGM_RSRC2:USER_SGPR: 2
; COMPUTE_PGM_RSRC2:TRAP_HANDLER: 0
; COMPUTE_PGM_RSRC2:TGID_X_EN: 1
; COMPUTE_PGM_RSRC2:TGID_Y_EN: 1
; COMPUTE_PGM_RSRC2:TGID_Z_EN: 0
; COMPUTE_PGM_RSRC2:TIDIG_COMP_CNT: 0
; COMPUTE_PGM_RSRC3_GFX90A:ACCUM_OFFSET: 31
; COMPUTE_PGM_RSRC3_GFX90A:TG_SPLIT: 0
	.section	.text._Z35paged_attention_ll4mi_reduce_kernelI14__hip_bfloat16S0_Li128ELi128ELi256ELi11EEvPT0_PKfS4_PKT_PKiS9_iS4_,"axG",@progbits,_Z35paged_attention_ll4mi_reduce_kernelI14__hip_bfloat16S0_Li128ELi128ELi256ELi11EEvPT0_PKfS4_PKT_PKiS9_iS4_,comdat
	.protected	_Z35paged_attention_ll4mi_reduce_kernelI14__hip_bfloat16S0_Li128ELi128ELi256ELi11EEvPT0_PKfS4_PKT_PKiS9_iS4_ ; -- Begin function _Z35paged_attention_ll4mi_reduce_kernelI14__hip_bfloat16S0_Li128ELi128ELi256ELi11EEvPT0_PKfS4_PKT_PKiS9_iS4_
	.globl	_Z35paged_attention_ll4mi_reduce_kernelI14__hip_bfloat16S0_Li128ELi128ELi256ELi11EEvPT0_PKfS4_PKT_PKiS9_iS4_
	.p2align	8
	.type	_Z35paged_attention_ll4mi_reduce_kernelI14__hip_bfloat16S0_Li128ELi128ELi256ELi11EEvPT0_PKfS4_PKT_PKiS9_iS4_,@function
_Z35paged_attention_ll4mi_reduce_kernelI14__hip_bfloat16S0_Li128ELi128ELi256ELi11EEvPT0_PKfS4_PKT_PKiS9_iS4_: ; @_Z35paged_attention_ll4mi_reduce_kernelI14__hip_bfloat16S0_Li128ELi128ELi256ELi11EEvPT0_PKfS4_PKT_PKiS9_iS4_
; %bb.0:
	s_load_dwordx2 s[34:35], s[0:1], 0x28
	s_mov_b32 s26, s3
	s_mov_b64 s[4:5], 0
	s_waitcnt lgkmcnt(0)
	s_cmp_lg_u64 s[34:35], 0
	s_cselect_b64 s[40:41], -1, 0
	s_and_b64 vcc, exec, s[40:41]
	s_cbranch_vccz .LBB662_27
; %bb.1:
	s_add_i32 s6, s26, 1
	s_mov_b32 s7, 0
	s_lshl_b64 s[8:9], s[6:7], 2
	s_add_u32 s8, s34, s8
	s_mov_b32 s27, s7
	s_addc_u32 s9, s35, s9
	s_lshl_b64 s[6:7], s[26:27], 2
	s_add_u32 s6, s34, s6
	s_addc_u32 s7, s35, s7
	s_load_dword s3, s[8:9], 0x0
	s_load_dword s10, s[6:7], 0x0
	s_waitcnt lgkmcnt(0)
	s_sub_i32 s3, s3, s10
	s_cmp_eq_u32 s3, 1
	s_cselect_b64 s[6:7], -1, 0
	s_andn2_b64 vcc, exec, s[4:5]
	s_cbranch_vccnz .LBB662_3
.LBB662_2:
	s_mov_b32 s27, 0
	s_mov_b64 s[6:7], -1
.LBB662_3:
	s_andn2_b64 vcc, exec, s[6:7]
	s_cbranch_vccz .LBB662_5
; %bb.4:
	s_endpgm
.LBB662_5:
	s_load_dwordx4 s[28:31], s[0:1], 0x18
	s_load_dword s8, s[0:1], 0x30
	s_lshl_b64 s[42:43], s[26:27], 2
	v_cmp_lt_u32_e32 vcc, 63, v0
	s_waitcnt lgkmcnt(0)
	s_add_u32 s4, s30, s42
	s_addc_u32 s5, s31, s43
	s_load_dword s50, s[4:5], 0x0
	s_load_dword s3, s[0:1], 0x40
	s_mul_i32 s30, s2, s8
	s_mul_i32 s6, s26, s8
	s_waitcnt lgkmcnt(0)
	s_add_i32 s7, s50, 0xff
	s_ashr_i32 s4, s7, 31
	s_lshr_b32 s4, s4, 24
	s_add_i32 s7, s7, s4
	s_and_saveexec_b64 s[4:5], vcc
	s_xor_b64 s[4:5], exec, s[4:5]
	s_or_saveexec_b64 s[44:45], s[4:5]
	s_ashr_i32 s33, s7, 8
	v_mov_b32_e32 v1, s30
	s_mul_i32 s46, s6, s3
	s_xor_b64 exec, exec, s[44:45]
	s_cbranch_execz .LBB662_9
; %bb.6:
	s_add_i32 s4, s33, -1
	v_or_b32_e32 v3, 64, v0
	v_mov_b32_e32 v1, s4
	v_cmp_gt_u32_e64 s[20:21], s33, v3
	s_load_dwordx4 s[36:39], s[0:1], 0x8
	s_mov_b32 s47, 0
	v_cndmask_b32_e64 v4, v1, v3, s[20:21]
	v_or_b32_e32 v3, 0x80, v0
	v_cmp_gt_u32_e64 s[18:19], s33, v3
	s_lshl_b64 s[48:49], s[46:47], 2
	s_mov_b32 s31, s47
	v_cndmask_b32_e64 v6, v1, v3, s[18:19]
	v_or_b32_e32 v3, 0xc0, v0
	v_cmp_gt_u32_e64 s[16:17], s33, v3
	v_cmp_gt_u32_e64 s[22:23], s33, v0
	s_waitcnt lgkmcnt(0)
	s_add_u32 s24, s38, s48
	v_cndmask_b32_e64 v8, v1, v3, s[16:17]
	v_or_b32_e32 v3, 0x100, v0
	v_cmp_gt_u32_e64 s[14:15], s33, v3
	v_cndmask_b32_e64 v2, v1, v0, s[22:23]
	s_addc_u32 s25, s39, s49
	v_cndmask_b32_e64 v10, v1, v3, s[14:15]
	v_or_b32_e32 v3, 0x140, v0
	v_cmp_gt_u32_e64 s[12:13], s33, v3
	s_lshl_b64 s[38:39], s[30:31], 2
	s_add_u32 s24, s24, s38
	v_cndmask_b32_e64 v12, v1, v3, s[12:13]
	v_or_b32_e32 v3, 0x180, v0
	v_cmp_gt_u32_e64 s[10:11], s33, v3
	v_ashrrev_i32_e32 v9, 31, v8
	v_ashrrev_i32_e32 v11, 31, v10
	v_cndmask_b32_e64 v14, v1, v3, s[10:11]
	v_or_b32_e32 v3, 0x1c0, v0
	v_cmp_gt_u32_e64 s[8:9], s33, v3
	v_ashrrev_i32_e32 v13, 31, v12
	s_addc_u32 s25, s25, s39
	v_cndmask_b32_e64 v16, v1, v3, s[8:9]
	v_or_b32_e32 v3, 0x200, v0
	v_cmp_gt_u32_e64 s[6:7], s33, v3
	v_ashrrev_i32_e32 v5, 31, v4
	v_ashrrev_i32_e32 v7, 31, v6
	v_cndmask_b32_e64 v18, v1, v3, s[6:7]
	v_or_b32_e32 v3, 0x240, v0
	v_cmp_gt_u32_e64 s[4:5], s33, v3
	v_lshlrev_b64 v[8:9], 2, v[8:9]
	v_lshlrev_b64 v[10:11], 2, v[10:11]
	v_cndmask_b32_e64 v20, v1, v3, s[4:5]
	v_or_b32_e32 v3, 0x280, v0
	v_cmp_gt_u32_e32 vcc, s33, v3
	v_lshlrev_b64 v[12:13], 2, v[12:13]
	v_ashrrev_i32_e32 v15, 31, v14
	v_cndmask_b32_e32 v22, v1, v3, vcc
	v_ashrrev_i32_e32 v3, 31, v2
	v_lshlrev_b64 v[2:3], 2, v[2:3]
	v_ashrrev_i32_e32 v17, 31, v16
	v_ashrrev_i32_e32 v19, 31, v18
	v_lshl_add_u64 v[24:25], s[24:25], 0, v[2:3]
	v_lshlrev_b64 v[4:5], 2, v[4:5]
	v_lshlrev_b64 v[6:7], 2, v[6:7]
	v_lshl_add_u64 v[30:31], s[24:25], 0, v[8:9]
	v_lshl_add_u64 v[32:33], s[24:25], 0, v[10:11]
	;; [unrolled: 1-line block ×3, first 2 shown]
	v_lshlrev_b64 v[14:15], 2, v[14:15]
	v_lshlrev_b64 v[16:17], 2, v[16:17]
	;; [unrolled: 1-line block ×3, first 2 shown]
	v_ashrrev_i32_e32 v21, 31, v20
	v_ashrrev_i32_e32 v23, 31, v22
	v_lshl_add_u64 v[26:27], s[24:25], 0, v[4:5]
	v_lshl_add_u64 v[28:29], s[24:25], 0, v[6:7]
	;; [unrolled: 1-line block ×4, first 2 shown]
	global_load_dword v1, v[24:25], off
	global_load_dword v40, v[26:27], off
	;; [unrolled: 1-line block ×3, first 2 shown]
	s_nop 0
	global_load_dword v30, v[30:31], off
	s_nop 0
	global_load_dword v31, v[32:33], off
	;; [unrolled: 2-line block ×3, first 2 shown]
	global_load_dword v33, v[36:37], off
	s_nop 0
	global_load_dword v34, v[38:39], off
	v_lshl_add_u64 v[24:25], s[24:25], 0, v[18:19]
	v_lshlrev_b64 v[20:21], 2, v[20:21]
	v_lshlrev_b64 v[22:23], 2, v[22:23]
	v_lshl_add_u64 v[26:27], s[24:25], 0, v[20:21]
	v_lshl_add_u64 v[28:29], s[24:25], 0, v[22:23]
	global_load_dword v24, v[24:25], off
	s_nop 0
	global_load_dword v25, v[26:27], off
	global_load_dword v35, v[28:29], off
	v_mbcnt_lo_u32_b32 v26, -1, 0
	v_mbcnt_hi_u32_b32 v26, -1, v26
	v_and_b32_e32 v27, 64, v26
	v_add_u32_e32 v27, 64, v27
	v_xor_b32_e32 v29, 32, v26
	v_cmp_lt_i32_e64 s[24:25], v29, v27
	v_xor_b32_e32 v42, 2, v26
	s_mov_b32 s31, 0x3fb8aa3b
	v_cndmask_b32_e64 v29, v26, v29, s[24:25]
	v_lshlrev_b32_e32 v29, 2, v29
	s_waitcnt vmcnt(8)
	v_max3_f32 v28, v1, v40, v41
	s_waitcnt vmcnt(6)
	v_max3_f32 v28, v28, v30, v31
	;; [unrolled: 2-line block ×5, first 2 shown]
	ds_bpermute_b32 v36, v29, v28
	s_waitcnt lgkmcnt(0)
	v_max_f32_e32 v36, v36, v36
	v_max_f32_e32 v28, v28, v36
	v_xor_b32_e32 v36, 16, v26
	v_cmp_lt_i32_e64 s[24:25], v36, v27
	s_nop 1
	v_cndmask_b32_e64 v36, v26, v36, s[24:25]
	v_lshlrev_b32_e32 v36, 2, v36
	ds_bpermute_b32 v37, v36, v28
	s_waitcnt lgkmcnt(0)
	v_max_f32_e32 v37, v37, v37
	v_max_f32_e32 v28, v28, v37
	v_xor_b32_e32 v37, 8, v26
	v_cmp_lt_i32_e64 s[24:25], v37, v27
	s_nop 1
	v_cndmask_b32_e64 v37, v26, v37, s[24:25]
	s_add_u32 s24, s36, s48
	v_lshlrev_b32_e32 v37, 2, v37
	s_addc_u32 s25, s37, s49
	ds_bpermute_b32 v38, v37, v28
	s_add_u32 s36, s24, s38
	s_addc_u32 s37, s25, s39
	v_lshl_add_u64 v[2:3], s[36:37], 0, v[2:3]
	global_load_dword v39, v[2:3], off
	v_xor_b32_e32 v3, 4, v26
	v_cmp_lt_i32_e64 s[24:25], v3, v27
	s_waitcnt lgkmcnt(0)
	v_max_f32_e32 v2, v38, v38
	v_max_f32_e32 v2, v28, v2
	v_cndmask_b32_e64 v3, v26, v3, s[24:25]
	v_lshlrev_b32_e32 v28, 2, v3
	ds_bpermute_b32 v3, v28, v2
	v_cmp_lt_i32_e64 s[24:25], v42, v27
	s_waitcnt lgkmcnt(0)
	v_max_f32_e32 v3, v3, v3
	v_max_f32_e32 v38, v2, v3
	v_lshl_add_u64 v[2:3], s[36:37], 0, v[4:5]
	global_load_dword v43, v[2:3], off
	v_cndmask_b32_e64 v2, v26, v42, s[24:25]
	v_lshlrev_b32_e32 v42, 2, v2
	ds_bpermute_b32 v2, v42, v38
	v_lshl_add_u64 v[4:5], s[36:37], 0, v[10:11]
	v_lshl_add_u64 v[10:11], s[36:37], 0, v[16:17]
	s_waitcnt lgkmcnt(0)
	v_max_f32_e32 v2, v2, v2
	v_max_f32_e32 v38, v38, v2
	v_xor_b32_e32 v2, 1, v26
	v_cmp_lt_i32_e64 s[24:25], v2, v27
	s_nop 1
	v_cndmask_b32_e64 v2, v26, v2, s[24:25]
	v_lshlrev_b32_e32 v26, 2, v2
	v_lshl_add_u64 v[2:3], s[36:37], 0, v[6:7]
	global_load_dword v27, v[2:3], off
	v_lshl_add_u64 v[2:3], s[36:37], 0, v[8:9]
	v_lshl_add_u64 v[6:7], s[36:37], 0, v[12:13]
	;; [unrolled: 1-line block ×3, first 2 shown]
	global_load_dword v12, v[2:3], off
	global_load_dword v13, v[4:5], off
	;; [unrolled: 1-line block ×5, first 2 shown]
	ds_bpermute_b32 v44, v26, v38
	v_lshl_add_u64 v[2:3], s[36:37], 0, v[18:19]
	v_lshl_add_u64 v[4:5], s[36:37], 0, v[20:21]
	;; [unrolled: 1-line block ×3, first 2 shown]
	s_mov_b32 s36, 0xc2ce8ed0
	s_waitcnt lgkmcnt(0)
	v_max_f32_e32 v8, v44, v44
	v_max_f32_e32 v8, v38, v8
	v_sub_f32_e32 v1, v1, v8
	v_mul_f32_e32 v9, 0x3fb8aa3b, v1
	v_fma_f32 v10, v1, s31, -v9
	v_rndne_f32_e32 v11, v9
	v_fmac_f32_e32 v10, 0x32a5705f, v1
	v_sub_f32_e32 v9, v9, v11
	v_add_f32_e32 v9, v9, v10
	v_cvt_i32_f32_e32 v10, v11
	global_load_dword v11, v[2:3], off
	global_load_dword v17, v[4:5], off
	;; [unrolled: 1-line block ×3, first 2 shown]
	v_sub_f32_e32 v4, v40, v8
	v_mul_f32_e32 v5, 0x3fb8aa3b, v4
	v_fma_f32 v6, v4, s31, -v5
	v_rndne_f32_e32 v7, v5
	v_exp_f32_e32 v9, v9
	v_fmac_f32_e32 v6, 0x32a5705f, v4
	v_sub_f32_e32 v5, v5, v7
	v_add_f32_e32 v5, v5, v6
	v_exp_f32_e32 v5, v5
	v_cvt_i32_f32_e32 v6, v7
	v_ldexp_f32 v2, v9, v10
	v_cmp_ngt_f32_e64 s[24:25], s36, v1
	s_mov_b32 s37, 0x42b17218
	v_mov_b32_e32 v3, 0x7f800000
	v_cndmask_b32_e64 v2, 0, v2, s[24:25]
	v_cmp_nlt_f32_e64 s[24:25], s37, v1
	s_nop 1
	v_cndmask_b32_e64 v1, v3, v2, s[24:25]
	v_ldexp_f32 v2, v5, v6
	v_sub_f32_e32 v5, v41, v8
	v_mul_f32_e32 v6, 0x3fb8aa3b, v5
	v_fma_f32 v7, v5, s31, -v6
	v_rndne_f32_e32 v9, v6
	v_fmac_f32_e32 v7, 0x32a5705f, v5
	v_sub_f32_e32 v6, v6, v9
	v_add_f32_e32 v6, v6, v7
	v_exp_f32_e32 v6, v6
	v_cvt_i32_f32_e32 v7, v9
	v_cndmask_b32_e64 v1, 0, v1, s[22:23]
	v_cmp_ngt_f32_e64 s[22:23], s36, v4
	s_waitcnt vmcnt(10)
	v_mul_f32_e32 v1, v39, v1
	v_cndmask_b32_e64 v2, 0, v2, s[22:23]
	v_cmp_nlt_f32_e64 s[22:23], s37, v4
	v_ldexp_f32 v4, v6, v7
	v_sub_f32_e32 v6, v30, v8
	v_mul_f32_e32 v7, 0x3fb8aa3b, v6
	v_fma_f32 v9, v6, s31, -v7
	v_rndne_f32_e32 v10, v7
	v_fmac_f32_e32 v9, 0x32a5705f, v6
	v_sub_f32_e32 v7, v7, v10
	v_add_f32_e32 v7, v7, v9
	v_exp_f32_e32 v7, v7
	v_cvt_i32_f32_e32 v9, v10
	v_cndmask_b32_e64 v2, v3, v2, s[22:23]
	v_cndmask_b32_e64 v2, 0, v2, s[20:21]
	v_cmp_ngt_f32_e64 s[20:21], s36, v5
	s_waitcnt vmcnt(9)
	v_mul_f32_e32 v2, v43, v2
	v_cndmask_b32_e64 v4, 0, v4, s[20:21]
	v_cmp_nlt_f32_e64 s[20:21], s37, v5
	v_ldexp_f32 v5, v7, v9
	v_sub_f32_e32 v7, v31, v8
	v_mul_f32_e32 v9, 0x3fb8aa3b, v7
	v_fma_f32 v10, v7, s31, -v9
	v_rndne_f32_e32 v19, v9
	v_fmac_f32_e32 v10, 0x32a5705f, v7
	v_sub_f32_e32 v9, v9, v19
	v_add_f32_e32 v9, v9, v10
	v_exp_f32_e32 v9, v9
	v_cvt_i32_f32_e32 v10, v19
	v_cndmask_b32_e64 v4, v3, v4, s[20:21]
	v_cndmask_b32_e64 v4, 0, v4, s[18:19]
	v_cmp_ngt_f32_e64 s[18:19], s36, v6
	s_waitcnt vmcnt(8)
	v_mul_f32_e32 v4, v27, v4
	v_cndmask_b32_e64 v5, 0, v5, s[18:19]
	v_cmp_nlt_f32_e64 s[18:19], s37, v6
	v_ldexp_f32 v6, v9, v10
	v_sub_f32_e32 v9, v32, v8
	v_cndmask_b32_e64 v5, v3, v5, s[18:19]
	v_cndmask_b32_e64 v5, 0, v5, s[16:17]
	v_mul_f32_e32 v10, 0x3fb8aa3b, v9
	s_waitcnt vmcnt(7)
	v_mul_f32_e32 v5, v12, v5
	v_fma_f32 v12, v9, s31, -v10
	v_rndne_f32_e32 v19, v10
	v_fmac_f32_e32 v12, 0x32a5705f, v9
	v_sub_f32_e32 v10, v10, v19
	v_add_f32_e32 v10, v10, v12
	v_exp_f32_e32 v10, v10
	v_cvt_i32_f32_e32 v12, v19
	v_cmp_ngt_f32_e64 s[16:17], s36, v7
	s_nop 1
	v_cndmask_b32_e64 v6, 0, v6, s[16:17]
	v_cmp_nlt_f32_e64 s[16:17], s37, v7
	v_ldexp_f32 v7, v10, v12
	v_sub_f32_e32 v10, v33, v8
	v_cndmask_b32_e64 v6, v3, v6, s[16:17]
	v_cndmask_b32_e64 v6, 0, v6, s[14:15]
	v_mul_f32_e32 v12, 0x3fb8aa3b, v10
	s_waitcnt vmcnt(6)
	v_mul_f32_e32 v6, v13, v6
	v_fma_f32 v13, v10, s31, -v12
	v_rndne_f32_e32 v19, v12
	v_fmac_f32_e32 v13, 0x32a5705f, v10
	v_sub_f32_e32 v12, v12, v19
	v_add_f32_e32 v12, v12, v13
	v_exp_f32_e32 v12, v12
	v_cvt_i32_f32_e32 v13, v19
	v_cmp_ngt_f32_e64 s[14:15], s36, v9
	s_nop 1
	v_cndmask_b32_e64 v7, 0, v7, s[14:15]
	v_cmp_nlt_f32_e64 s[14:15], s37, v9
	v_ldexp_f32 v9, v12, v13
	v_sub_f32_e32 v12, v34, v8
	v_cndmask_b32_e64 v7, v3, v7, s[14:15]
	v_cndmask_b32_e64 v7, 0, v7, s[12:13]
	v_mul_f32_e32 v13, 0x3fb8aa3b, v12
	s_waitcnt vmcnt(5)
	v_mul_f32_e32 v7, v14, v7
	v_fma_f32 v14, v12, s31, -v13
	v_rndne_f32_e32 v19, v13
	v_fmac_f32_e32 v14, 0x32a5705f, v12
	v_sub_f32_e32 v13, v13, v19
	v_add_f32_e32 v13, v13, v14
	v_exp_f32_e32 v13, v13
	v_cvt_i32_f32_e32 v14, v19
	v_cmp_ngt_f32_e64 s[12:13], s36, v10
	s_nop 1
	v_cndmask_b32_e64 v9, 0, v9, s[12:13]
	v_cmp_nlt_f32_e64 s[12:13], s37, v10
	v_ldexp_f32 v10, v13, v14
	v_sub_f32_e32 v13, v24, v8
	v_cndmask_b32_e64 v9, v3, v9, s[12:13]
	v_cndmask_b32_e64 v9, 0, v9, s[10:11]
	v_mul_f32_e32 v14, 0x3fb8aa3b, v13
	s_waitcnt vmcnt(4)
	v_mul_f32_e32 v9, v15, v9
	v_fma_f32 v15, v13, s31, -v14
	v_rndne_f32_e32 v19, v14
	v_fmac_f32_e32 v15, 0x32a5705f, v13
	v_sub_f32_e32 v14, v14, v19
	v_add_f32_e32 v14, v14, v15
	v_exp_f32_e32 v14, v14
	v_cvt_i32_f32_e32 v15, v19
	v_cmp_ngt_f32_e64 s[10:11], s36, v12
	s_nop 1
	v_cndmask_b32_e64 v10, 0, v10, s[10:11]
	v_cmp_nlt_f32_e64 s[10:11], s37, v12
	v_ldexp_f32 v12, v14, v15
	v_sub_f32_e32 v14, v25, v8
	v_cndmask_b32_e64 v10, v3, v10, s[10:11]
	v_cndmask_b32_e64 v10, 0, v10, s[8:9]
	v_mul_f32_e32 v15, 0x3fb8aa3b, v14
	s_waitcnt vmcnt(3)
	v_mul_f32_e32 v10, v16, v10
	v_fma_f32 v16, v14, s31, -v15
	v_rndne_f32_e32 v19, v15
	v_fmac_f32_e32 v16, 0x32a5705f, v14
	v_sub_f32_e32 v15, v15, v19
	v_add_f32_e32 v15, v15, v16
	v_cmp_ngt_f32_e64 s[8:9], s36, v13
	v_exp_f32_e32 v15, v15
	v_cvt_i32_f32_e32 v16, v19
	v_cndmask_b32_e64 v12, 0, v12, s[8:9]
	v_cmp_nlt_f32_e64 s[8:9], s37, v13
	v_sub_f32_e32 v8, v35, v8
	v_mul_f32_e32 v13, 0x3fb8aa3b, v8
	v_cndmask_b32_e64 v12, v3, v12, s[8:9]
	v_cndmask_b32_e64 v12, 0, v12, s[6:7]
	s_waitcnt vmcnt(2)
	v_mul_f32_e32 v11, v11, v12
	v_ldexp_f32 v12, v15, v16
	v_fma_f32 v15, v8, s31, -v13
	v_rndne_f32_e32 v16, v13
	v_fmac_f32_e32 v15, 0x32a5705f, v8
	v_sub_f32_e32 v13, v13, v16
	v_add_f32_e32 v13, v13, v15
	v_exp_f32_e32 v13, v13
	v_cvt_i32_f32_e32 v15, v16
	v_cmp_ngt_f32_e64 s[6:7], s36, v14
	v_ldexp_f32 v13, v13, v15
	s_nop 0
	v_cndmask_b32_e64 v12, 0, v12, s[6:7]
	v_cmp_nlt_f32_e64 s[6:7], s37, v14
	v_lshlrev_b32_e32 v14, 2, v0
	ds_write2st64_b32 v14, v1, v2 offset1:1
	ds_write2st64_b32 v14, v4, v5 offset0:2 offset1:3
	ds_write2st64_b32 v14, v6, v7 offset0:4 offset1:5
	v_cndmask_b32_e64 v12, v3, v12, s[6:7]
	v_cndmask_b32_e64 v12, 0, v12, s[4:5]
	v_cmp_ngt_f32_e64 s[4:5], s36, v8
	s_waitcnt vmcnt(1)
	v_mul_f32_e32 v12, v17, v12
	v_cndmask_b32_e64 v13, 0, v13, s[4:5]
	v_cmp_nlt_f32_e64 s[4:5], s37, v8
	v_add_f32_e32 v8, v1, v2
	v_add_f32_e32 v8, v8, v4
	;; [unrolled: 1-line block ×6, first 2 shown]
	v_cndmask_b32_e64 v3, v3, v13, s[4:5]
	v_add_f32_e32 v8, v8, v10
	v_cndmask_b32_e32 v3, 0, v3, vcc
	v_add_f32_e32 v8, v8, v11
	s_waitcnt vmcnt(0)
	v_mul_f32_e32 v3, v18, v3
	v_add_f32_e32 v8, v8, v12
	v_add_f32_e32 v8, v8, v3
	ds_bpermute_b32 v13, v29, v8
	v_cmp_eq_u32_e32 vcc, 0, v0
	ds_write2st64_b32 v14, v9, v10 offset0:6 offset1:7
	ds_write2st64_b32 v14, v11, v12 offset0:8 offset1:9
	ds_write_b32 v14, v3 offset:2560
	s_waitcnt lgkmcnt(3)
	v_add_f32_e32 v8, v8, v13
	ds_bpermute_b32 v13, v36, v8
	s_waitcnt lgkmcnt(0)
	v_add_f32_e32 v8, v8, v13
	ds_bpermute_b32 v13, v37, v8
	;; [unrolled: 3-line block ×5, first 2 shown]
	s_and_saveexec_b64 s[4:5], vcc
	s_cbranch_execz .LBB662_8
; %bb.7:
	s_waitcnt lgkmcnt(0)
	v_add_f32_e32 v1, v1, v2
	v_mov_b32_e32 v2, 0
	ds_write_b32 v2, v1 offset:2816
.LBB662_8:
	s_or_b64 exec, exec, s[4:5]
	v_mov_b32_e32 v1, s30
.LBB662_9:
	s_or_b64 exec, exec, s[44:45]
	s_lshl_b32 s4, s46, 7
	s_mov_b32 s5, 0
	s_lshl_b64 s[4:5], s[4:5], 1
	s_add_u32 s4, s28, s4
	s_addc_u32 s5, s29, s5
	s_lshl_b32 s10, s33, 7
	s_add_i32 s11, s10, 0xffffff80
	s_waitcnt lgkmcnt(0)
	v_lshlrev_b32_e32 v2, 7, v1
	v_mov_b32_e32 v3, 0
	s_cmp_lt_i32 s50, 1
	v_lshl_add_u64 v[4:5], v[2:3], 1, s[4:5]
	s_cselect_b32 s4, s11, 0
	v_lshlrev_b32_e32 v2, 1, v0
	s_ashr_i32 s5, s4, 31
	v_lshl_add_u64 v[0:1], v[4:5], 0, v[2:3]
	s_cmpk_lt_i32 s50, 0x101
	v_lshl_add_u64 v[4:5], s[4:5], 1, v[0:1]
	s_cselect_b32 s4, s11, 0x80
	s_ashr_i32 s5, s4, 31
	s_cmpk_lt_i32 s50, 0x201
	v_lshl_add_u64 v[6:7], s[4:5], 1, v[0:1]
	s_cselect_b32 s4, s11, 0x100
	s_ashr_i32 s5, s4, 31
	;; [unrolled: 4-line block ×8, first 2 shown]
	s_cmpk_lt_i32 s50, 0x901
	global_load_ushort v23, v[4:5], off
	global_load_ushort v22, v[6:7], off
	;; [unrolled: 1-line block ×8, first 2 shown]
	v_lshl_add_u64 v[4:5], s[4:5], 1, v[0:1]
	s_cselect_b32 s4, s11, 0x480
	s_ashr_i32 s5, s4, 31
	s_cmpk_lt_i32 s50, 0xa01
	v_lshl_add_u64 v[6:7], s[4:5], 1, v[0:1]
	s_cselect_b32 s4, s11, 0x500
	s_ashr_i32 s5, s4, 31
	s_cmpk_lt_i32 s50, 0xb01
	;; [unrolled: 4-line block ×6, first 2 shown]
	v_lshl_add_u64 v[32:33], s[4:5], 1, v[0:1]
	s_cselect_b32 s4, s11, 0x780
	s_ashr_i32 s5, s4, 31
	v_lshl_add_u64 v[34:35], s[4:5], 1, v[0:1]
	global_load_ushort v30, v[4:5], off
	global_load_ushort v31, v[6:7], off
	global_load_ushort v28, v[8:9], off
	global_load_ushort v29, v[10:11], off
	global_load_ushort v26, v[12:13], off
	global_load_ushort v27, v[14:15], off
	global_load_ushort v24, v[32:33], off
	global_load_ushort v25, v[34:35], off
	s_cmpk_gt_i32 s50, 0x1000
	s_cselect_b64 s[8:9], -1, 0
	s_cmpk_lt_i32 s50, 0x1001
	v_mov_b32_e32 v40, 0
	v_mov_b32_e32 v41, 0
	;; [unrolled: 1-line block ×48, first 2 shown]
	s_barrier
	s_cbranch_scc1 .LBB662_12
; %bb.10:
	s_cmpk_lt_u32 s50, 0x1101
	s_cselect_b32 s4, s11, 0x880
	s_ashr_i32 s5, s4, 31
	s_cmpk_lt_u32 s50, 0x1201
	v_lshl_add_u64 v[6:7], s[4:5], 1, v[0:1]
	s_cselect_b32 s4, s11, 0x900
	s_ashr_i32 s5, s4, 31
	s_cmpk_lt_u32 s50, 0x1301
	v_lshl_add_u64 v[8:9], s[4:5], 1, v[0:1]
	;; [unrolled: 4-line block ×7, first 2 shown]
	s_cselect_b32 s4, s11, 0xc00
	v_add_co_u32_e32 v4, vcc, 0x1000, v0
	s_ashr_i32 s5, s4, 31
	s_nop 0
	v_addc_co_u32_e32 v5, vcc, 0, v1, vcc
	s_cmpk_lt_u32 s50, 0x1901
	global_load_ushort v39, v[4:5], off
	global_load_ushort v38, v[6:7], off
	;; [unrolled: 1-line block ×8, first 2 shown]
	v_lshl_add_u64 v[4:5], s[4:5], 1, v[0:1]
	s_cselect_b32 s4, s11, 0xc80
	s_ashr_i32 s5, s4, 31
	s_cmpk_lt_u32 s50, 0x1a01
	v_lshl_add_u64 v[6:7], s[4:5], 1, v[0:1]
	s_cselect_b32 s4, s11, 0xd00
	s_ashr_i32 s5, s4, 31
	s_cmpk_lt_u32 s50, 0x1b01
	;; [unrolled: 4-line block ×6, first 2 shown]
	v_lshl_add_u64 v[48:49], s[4:5], 1, v[0:1]
	s_cselect_b32 s4, s11, 0xf80
	s_ashr_i32 s5, s4, 31
	v_lshl_add_u64 v[50:51], s[4:5], 1, v[0:1]
	global_load_ushort v47, v[4:5], off
	global_load_ushort v46, v[6:7], off
	;; [unrolled: 1-line block ×8, first 2 shown]
	s_cmpk_lt_u32 s50, 0x2001
	v_mov_b32_e32 v67, 0
	v_mov_b32_e32 v65, 0
	;; [unrolled: 1-line block ×32, first 2 shown]
	s_cbranch_scc1 .LBB662_12
; %bb.11:
	s_cmpk_lt_u32 s50, 0x2101
	s_cselect_b32 s4, s11, 0x1080
	s_ashr_i32 s5, s4, 31
	s_cmpk_lt_u32 s50, 0x2201
	v_lshl_add_u64 v[4:5], s[4:5], 1, v[0:1]
	s_cselect_b32 s4, s11, 0x1100
	s_ashr_i32 s5, s4, 31
	s_cmpk_lt_u32 s50, 0x2301
	v_lshl_add_u64 v[6:7], s[4:5], 1, v[0:1]
	;; [unrolled: 4-line block ×29, first 2 shown]
	s_cselect_b32 s4, s11, 0x1f00
	s_ashr_i32 s5, s4, 31
	v_lshl_add_u64 v[94:95], s[4:5], 1, v[0:1]
	s_movk_i32 s4, 0x2000
	s_cmpk_lt_u32 s50, 0x3f01
	v_add_co_u32_e32 v96, vcc, s4, v0
	s_cselect_b32 s4, s11, 0x1f80
	s_nop 0
	v_addc_co_u32_e32 v97, vcc, 0, v1, vcc
	s_ashr_i32 s5, s4, 31
	global_load_ushort v98, v[96:97], off
	global_load_ushort v99, v[4:5], off
	;; [unrolled: 1-line block ×15, first 2 shown]
                                        ; kill: killed $vgpr62_vgpr63
                                        ; kill: killed $vgpr14_vgpr15
                                        ; kill: killed $vgpr96 killed $vgpr97
                                        ; kill: killed $vgpr52_vgpr53
                                        ; kill: killed $vgpr4_vgpr5
                                        ; kill: killed $vgpr58_vgpr59
                                        ; kill: killed $vgpr10_vgpr11
                                        ; kill: killed $vgpr48_vgpr49
                                        ; kill: killed $vgpr54_vgpr55
                                        ; kill: killed $vgpr6_vgpr7
                                        ; kill: killed $vgpr60_vgpr61
                                        ; kill: killed $vgpr12_vgpr13
                                        ; kill: killed $vgpr50_vgpr51
                                        ; kill: killed $vgpr56_vgpr57
                                        ; kill: killed $vgpr8_vgpr9
	global_load_ushort v6, v[64:65], off
	global_load_ushort v7, v[66:67], off
	;; [unrolled: 1-line block ×15, first 2 shown]
                                        ; kill: killed $vgpr94_vgpr95
                                        ; kill: killed $vgpr78_vgpr79
                                        ; kill: killed $vgpr84_vgpr85
                                        ; kill: killed $vgpr68_vgpr69
                                        ; kill: killed $vgpr90_vgpr91
                                        ; kill: killed $vgpr74_vgpr75
                                        ; kill: killed $vgpr80_vgpr81
                                        ; kill: killed $vgpr64_vgpr65
                                        ; kill: killed $vgpr70_vgpr71
                                        ; kill: killed $vgpr92_vgpr93
                                        ; kill: killed $vgpr76_vgpr77
                                        ; kill: killed $vgpr82_vgpr83
                                        ; kill: killed $vgpr66_vgpr67
                                        ; kill: killed $vgpr88_vgpr89
                                        ; kill: killed $vgpr72_vgpr73
	global_load_ushort v68, v[86:87], off
	v_lshl_add_u64 v[4:5], s[4:5], 1, v[0:1]
	global_load_ushort v5, v[4:5], off
	s_waitcnt vmcnt(31)
	v_lshlrev_b32_e32 v67, 16, v98
	s_waitcnt vmcnt(30)
	v_lshlrev_b32_e32 v65, 16, v99
	;; [unrolled: 2-line block ×32, first 2 shown]
.LBB662_12:
	s_load_dwordx2 s[4:5], s[0:1], 0x0
	s_load_dwordx2 s[6:7], s[0:1], 0x38
	ds_read_b128 v[68:71], v3
	s_waitcnt vmcnt(15)
	v_lshlrev_b32_e32 v23, 16, v23
	ds_read_b128 v[72:75], v3 offset:16
	ds_read_b128 v[76:79], v3 offset:32
	;; [unrolled: 1-line block ×3, first 2 shown]
	s_waitcnt vmcnt(14)
	v_lshlrev_b32_e32 v22, 16, v22
	s_waitcnt vmcnt(13)
	v_lshlrev_b32_e32 v21, 16, v21
	s_waitcnt lgkmcnt(0)
	v_fma_f32 v23, v68, v23, 0
	v_fmac_f32_e32 v23, v69, v22
	v_fmac_f32_e32 v23, v70, v21
	s_waitcnt vmcnt(12)
	v_lshlrev_b32_e32 v20, 16, v20
	s_waitcnt vmcnt(10)
	v_lshlrev_b32_e32 v19, 16, v19
	v_lshlrev_b32_e32 v18, 16, v18
	v_fmac_f32_e32 v23, v71, v20
	v_pk_mul_f32 v[18:19], v[72:73], v[18:19]
	s_waitcnt vmcnt(8)
	v_lshlrev_b32_e32 v17, 16, v17
	v_add_f32_e32 v18, v23, v18
	v_lshlrev_b32_e32 v16, 16, v16
	v_add_f32_e32 v18, v18, v19
	v_pk_mul_f32 v[16:17], v[74:75], v[16:17]
	s_and_b64 vcc, exec, s[8:9]
	v_add_f32_e32 v16, v18, v16
	v_add_f32_e32 v18, v16, v17
	s_waitcnt vmcnt(6)
	v_lshlrev_b32_e32 v17, 16, v31
	v_lshlrev_b32_e32 v16, 16, v30
	v_pk_mul_f32 v[16:17], v[76:77], v[16:17]
	s_nop 0
	v_add_f32_e32 v16, v18, v16
	v_add_f32_e32 v18, v16, v17
	s_waitcnt vmcnt(4)
	v_lshlrev_b32_e32 v17, 16, v29
	v_lshlrev_b32_e32 v16, 16, v28
	v_pk_mul_f32 v[16:17], v[78:79], v[16:17]
	s_nop 0
	;; [unrolled: 7-line block ×4, first 2 shown]
	v_add_f32_e32 v16, v18, v16
	v_add_f32_e32 v110, v16, v17
	s_cbranch_vccz .LBB662_15
; %bb.13:
	ds_read_b128 v[16:19], v3 offset:64
	v_lshlrev_b32_e32 v39, 16, v39
	ds_read_b128 v[20:23], v3 offset:80
	ds_read_b128 v[24:27], v3 offset:96
	;; [unrolled: 1-line block ×3, first 2 shown]
	v_lshlrev_b32_e32 v3, 16, v38
	s_cmpk_lt_u32 s50, 0x2001
	s_waitcnt lgkmcnt(3)
	v_fmac_f32_e32 v110, v16, v39
	v_fmac_f32_e32 v110, v17, v3
	v_lshlrev_b32_e32 v3, 16, v37
	v_fmac_f32_e32 v110, v18, v3
	v_lshlrev_b32_e32 v3, 16, v36
	v_fmac_f32_e32 v110, v19, v3
	v_lshlrev_b32_e32 v3, 16, v35
	s_waitcnt lgkmcnt(2)
	v_fmac_f32_e32 v110, v20, v3
	v_lshlrev_b32_e32 v3, 16, v34
	v_fmac_f32_e32 v110, v21, v3
	v_lshlrev_b32_e32 v3, 16, v33
	v_fmac_f32_e32 v110, v22, v3
	v_lshlrev_b32_e32 v3, 16, v32
	v_fmac_f32_e32 v110, v23, v3
	v_lshlrev_b32_e32 v3, 16, v47
	s_waitcnt lgkmcnt(1)
	v_fmac_f32_e32 v110, v24, v3
	v_lshlrev_b32_e32 v3, 16, v46
	v_fmac_f32_e32 v110, v25, v3
	v_lshlrev_b32_e32 v3, 16, v45
	v_fmac_f32_e32 v110, v26, v3
	v_lshlrev_b32_e32 v3, 16, v44
	v_fmac_f32_e32 v110, v27, v3
	v_lshlrev_b32_e32 v3, 16, v43
	s_waitcnt lgkmcnt(0)
	v_fmac_f32_e32 v110, v28, v3
	v_lshlrev_b32_e32 v3, 16, v42
	v_fmac_f32_e32 v110, v29, v3
	v_lshlrev_b32_e32 v3, 16, v41
	v_fmac_f32_e32 v110, v30, v3
	v_lshlrev_b32_e32 v3, 16, v40
	v_fmac_f32_e32 v110, v31, v3
	s_cbranch_scc1 .LBB662_15
; %bb.14:
	v_mov_b32_e32 v3, 0
	ds_read_b128 v[16:19], v3 offset:128
	ds_read_b128 v[20:23], v3 offset:144
	;; [unrolled: 1-line block ×4, first 2 shown]
	s_waitcnt lgkmcnt(3)
	v_fmac_f32_e32 v110, v16, v67
	v_fmac_f32_e32 v110, v17, v65
	v_fmac_f32_e32 v110, v18, v66
	v_fmac_f32_e32 v110, v19, v63
	s_waitcnt lgkmcnt(2)
	v_fmac_f32_e32 v110, v20, v64
	v_fmac_f32_e32 v110, v21, v61
	v_fmac_f32_e32 v110, v22, v62
	v_fmac_f32_e32 v110, v23, v59
	;; [unrolled: 5-line block ×3, first 2 shown]
	ds_read_b128 v[16:19], v3 offset:192
	ds_read_b128 v[20:23], v3 offset:208
	s_waitcnt lgkmcnt(2)
	v_fmac_f32_e32 v110, v28, v56
	v_fmac_f32_e32 v110, v29, v53
	;; [unrolled: 1-line block ×4, first 2 shown]
	s_waitcnt lgkmcnt(1)
	v_fmac_f32_e32 v110, v16, v51
	v_fmac_f32_e32 v110, v17, v49
	;; [unrolled: 1-line block ×4, first 2 shown]
	s_waitcnt lgkmcnt(0)
	v_pk_mul_f32 v[14:15], v[20:21], v[14:15]
	v_pk_mul_f32 v[12:13], v[22:23], v[12:13]
	v_add_f32_e32 v14, v110, v14
	v_add_f32_e32 v18, v14, v15
	ds_read_b128 v[14:17], v3 offset:224
	v_add_f32_e32 v12, v18, v12
	ds_read_b128 v[18:21], v3 offset:240
	v_add_f32_e32 v12, v12, v13
	s_waitcnt lgkmcnt(1)
	v_pk_mul_f32 v[10:11], v[14:15], v[10:11]
	s_nop 0
	v_add_f32_e32 v3, v12, v10
	v_add_f32_e32 v3, v3, v11
	v_pk_mul_f32 v[8:9], v[16:17], v[8:9]
	s_waitcnt lgkmcnt(0)
	v_pk_mul_f32 v[6:7], v[18:19], v[6:7]
	v_add_f32_e32 v3, v3, v8
	v_add_f32_e32 v3, v3, v9
	;; [unrolled: 1-line block ×4, first 2 shown]
	v_pk_mul_f32 v[4:5], v[20:21], v[4:5]
	s_nop 0
	v_add_f32_e32 v3, v3, v4
	v_add_f32_e32 v110, v3, v5
.LBB662_15:
	s_movk_i32 s0, 0x3f80
	s_movk_i32 s1, 0x100
	s_mov_b32 s8, 64
	s_branch .LBB662_17
.LBB662_16:                             ;   in Loop: Header=BB662_17 Depth=1
	s_addk_i32 s0, 0x2000
	s_addk_i32 s1, 0x100
	s_add_i32 s8, s8, 64
	s_cmp_eq_u32 s0, 0x17f80
	s_cbranch_scc1 .LBB662_19
.LBB662_17:                             ; =>This Inner Loop Header: Depth=1
	s_cmp_le_i32 s33, s8
	s_cbranch_scc1 .LBB662_16
; %bb.18:                               ;   in Loop: Header=BB662_17 Depth=1
	s_add_i32 s9, s0, 0xffffe080
	s_cmp_lt_i32 s9, s10
	s_cselect_b32 s12, s9, s11
	s_ashr_i32 s13, s12, 31
	s_add_i32 s9, s0, 0xffffe100
	s_cmp_lt_i32 s9, s10
	v_lshl_add_u64 v[42:43], s[12:13], 1, v[0:1]
	s_cselect_b32 s12, s9, s11
	s_ashr_i32 s13, s12, 31
	s_add_i32 s9, s0, 0xffffe180
	s_cmp_lt_i32 s9, s10
	v_lshl_add_u64 v[4:5], s[12:13], 1, v[0:1]
	;; [unrolled: 5-line block ×25, first 2 shown]
	s_cselect_b32 s12, s9, s11
	s_ashr_i32 s13, s12, 31
	s_add_i32 s9, s0, 0xffffed80
	s_cmp_lt_i32 s9, s10
	global_load_ushort v3, v[42:43], off
	global_load_ushort v120, v[44:45], off
	v_lshl_add_u64 v[18:19], s[12:13], 1, v[0:1]
	s_cselect_b32 s12, s9, s11
	global_load_ushort v111, v[4:5], off
	global_load_ushort v112, v[6:7], off
	;; [unrolled: 1-line block ×8, first 2 shown]
	s_ashr_i32 s13, s12, 31
	s_add_i32 s9, s0, 0xffffee00
	s_cmp_lt_i32 s9, s10
	v_lshl_add_u64 v[20:21], s[12:13], 1, v[0:1]
	s_cselect_b32 s12, s9, s11
	s_ashr_i32 s13, s12, 31
	s_add_i32 s9, s0, 0xffffee80
	s_cmp_lt_i32 s9, s10
	v_lshl_add_u64 v[38:39], s[12:13], 1, v[0:1]
	s_cselect_b32 s12, s9, s11
	s_ashr_i32 s13, s12, 31
	s_add_i32 s9, s0, 0xffffef00
	s_cmp_lt_i32 s9, s10
	global_load_ushort v119, v[28:29], off
	v_lshl_add_u64 v[40:41], s[12:13], 1, v[0:1]
	s_cselect_b32 s12, s9, s11
	s_ashr_i32 s13, s12, 31
	s_add_i32 s9, s0, 0xffffef80
	global_load_ushort v121, v[54:55], off
	global_load_ushort v122, v[56:57], off
	s_cmp_lt_i32 s9, s10
	global_load_ushort v58, v[58:59], off
	v_lshl_add_u64 v[50:51], s[12:13], 1, v[0:1]
	s_cselect_b32 s12, s9, s11
	s_ashr_i32 s13, s12, 31
	s_add_i32 s9, s0, 0xfffff000
	s_cmp_lt_i32 s9, s10
	v_lshl_add_u64 v[52:53], s[12:13], 1, v[0:1]
	s_cselect_b32 s12, s9, s11
	s_ashr_i32 s13, s12, 31
	s_add_i32 s9, s0, 0xfffff080
	global_load_ushort v59, v[60:61], off
	s_cmp_lt_i32 s9, s10
	global_load_ushort v60, v[66:67], off
	global_load_ushort v61, v[62:63], off
	v_lshl_add_u64 v[64:65], s[12:13], 1, v[0:1]
	s_cselect_b32 s12, s9, s11
	s_ashr_i32 s13, s12, 31
	s_add_i32 s9, s0, 0xfffff100
	s_cmp_lt_i32 s9, s10
	v_lshl_add_u64 v[68:69], s[12:13], 1, v[0:1]
	s_cselect_b32 s12, s9, s11
	s_ashr_i32 s13, s12, 31
	s_add_i32 s9, s0, 0xfffff180
	s_cmp_lt_i32 s9, s10
	;; [unrolled: 5-line block ×3, first 2 shown]
	global_load_ushort v62, v[24:25], off
	v_lshl_add_u64 v[72:73], s[12:13], 1, v[0:1]
	s_cselect_b32 s12, s9, s11
	global_load_ushort v66, v[30:31], off
	global_load_ushort v123, v[32:33], off
	;; [unrolled: 1-line block ×4, first 2 shown]
	s_ashr_i32 s13, s12, 31
	s_add_i32 s9, s0, 0xfffff280
	s_cmp_lt_i32 s9, s10
	global_load_ushort v67, v[46:47], off
	v_lshl_add_u64 v[74:75], s[12:13], 1, v[0:1]
	s_cselect_b32 s12, s9, s11
	s_ashr_i32 s13, s12, 31
	s_add_i32 s9, s0, 0xfffff300
	s_cmp_lt_i32 s9, s10
	v_lshl_add_u64 v[76:77], s[12:13], 1, v[0:1]
	s_cselect_b32 s12, s9, s11
	s_ashr_i32 s13, s12, 31
	s_add_i32 s9, s0, 0xfffff380
	s_cmp_lt_i32 s9, s10
	v_mov_b32_e32 v124, s1
	v_lshl_add_u64 v[78:79], s[12:13], 1, v[0:1]
	s_cselect_b32 s12, s9, s11
	ds_read_b128 v[28:31], v124
	ds_read_b128 v[32:35], v124 offset:16
	global_load_ushort v48, v[48:49], off
	s_ashr_i32 s13, s12, 31
	s_add_i32 s9, s0, 0xfffff400
	s_cmp_lt_i32 s9, s10
	v_lshl_add_u64 v[80:81], s[12:13], 1, v[0:1]
	s_cselect_b32 s12, s9, s11
	ds_read_b128 v[44:47], v124 offset:32
	ds_read_b128 v[54:57], v124 offset:48
	global_load_ushort v36, v[36:37], off
	s_ashr_i32 s13, s12, 31
	v_lshl_add_u64 v[82:83], s[12:13], 1, v[0:1]
	global_load_ushort v49, v[82:83], off
	global_load_ushort v37, v[18:19], off
	s_add_i32 s9, s0, 0xfffff480
	s_cmp_lt_i32 s9, s10
	s_cselect_b32 s12, s9, s11
	s_ashr_i32 s13, s12, 31
	s_add_i32 s9, s0, 0xfffff500
	s_cmp_lt_i32 s9, s10
	v_lshl_add_u64 v[84:85], s[12:13], 1, v[0:1]
	s_cselect_b32 s12, s9, s11
	s_ashr_i32 s13, s12, 31
	s_add_i32 s9, s0, 0xfffff580
	s_cmp_lt_i32 s9, s10
	v_lshl_add_u64 v[86:87], s[12:13], 1, v[0:1]
	;; [unrolled: 5-line block ×7, first 2 shown]
	s_cselect_b32 s12, s9, s11
	s_ashr_i32 s13, s12, 31
	s_add_i32 s9, s0, 0xfffff880
	s_waitcnt vmcnt(26)
	v_lshlrev_b32_e32 v3, 16, v3
	s_cmp_lt_i32 s9, s10
	s_waitcnt lgkmcnt(3)
	v_fmac_f32_e32 v110, v28, v3
	s_waitcnt vmcnt(24)
	v_lshlrev_b32_e32 v3, 16, v111
	v_lshl_add_u64 v[100:101], s[12:13], 1, v[0:1]
	s_cselect_b32 s12, s9, s11
	v_fmac_f32_e32 v110, v29, v3
	s_waitcnt vmcnt(23)
	v_lshlrev_b32_e32 v3, 16, v112
	s_ashr_i32 s13, s12, 31
	s_add_i32 s9, s0, 0xfffff900
	v_fmac_f32_e32 v110, v30, v3
	s_waitcnt vmcnt(22)
	v_lshlrev_b32_e32 v3, 16, v113
	s_cmp_lt_i32 s9, s10
	v_fmac_f32_e32 v110, v31, v3
	s_waitcnt vmcnt(21)
	v_lshlrev_b32_e32 v3, 16, v114
	v_lshl_add_u64 v[102:103], s[12:13], 1, v[0:1]
	s_cselect_b32 s12, s9, s11
	s_waitcnt lgkmcnt(2)
	v_fmac_f32_e32 v110, v32, v3
	global_load_ushort v3, v[20:21], off
	global_load_ushort v32, v[38:39], off
	s_waitcnt vmcnt(22)
	v_lshlrev_b32_e32 v18, 16, v115
	s_ashr_i32 s13, s12, 31
	s_add_i32 s9, s0, 0xfffff980
	v_fmac_f32_e32 v110, v33, v18
	s_waitcnt vmcnt(21)
	v_lshlrev_b32_e32 v18, 16, v116
	s_cmp_lt_i32 s9, s10
	v_fmac_f32_e32 v110, v34, v18
	s_waitcnt vmcnt(20)
	v_lshlrev_b32_e32 v18, 16, v117
	v_lshl_add_u64 v[104:105], s[12:13], 1, v[0:1]
	s_cselect_b32 s12, s9, s11
	global_load_ushort v33, v[40:41], off
	global_load_ushort v34, v[50:51], off
	v_fmac_f32_e32 v110, v35, v18
	global_load_ushort v35, v[52:53], off
	global_load_ushort v38, v[64:65], off
	;; [unrolled: 1-line block ×3, first 2 shown]
	s_waitcnt vmcnt(24)
	v_lshlrev_b32_e32 v18, 16, v118
	s_ashr_i32 s13, s12, 31
	s_add_i32 s9, s0, 0xfffffa00
	s_waitcnt lgkmcnt(1)
	v_fmac_f32_e32 v110, v44, v18
	global_load_ushort v44, v[74:75], off
	s_waitcnt vmcnt(24)
	v_lshlrev_b32_e32 v18, 16, v119
	s_cmp_lt_i32 s9, s10
	v_fmac_f32_e32 v110, v45, v18
	v_lshlrev_b32_e32 v18, 16, v120
	v_lshl_add_u64 v[106:107], s[12:13], 1, v[0:1]
	s_cselect_b32 s12, s9, s11
	v_fmac_f32_e32 v110, v46, v18
	global_load_ushort v46, v[78:79], off
	s_waitcnt vmcnt(24)
	v_lshlrev_b32_e32 v18, 16, v121
	s_ashr_i32 s13, s12, 31
	s_add_i32 s9, s0, 0xfffffa80
	v_fmac_f32_e32 v110, v47, v18
	s_waitcnt vmcnt(23)
	v_lshlrev_b32_e32 v18, 16, v122
	s_cmp_lt_i32 s9, s10
	s_waitcnt lgkmcnt(0)
	v_fmac_f32_e32 v110, v54, v18
	global_load_ushort v54, v[90:91], off
	global_load_ushort v40, v[70:71], off
	;; [unrolled: 1-line block ×8, first 2 shown]
	v_lshl_add_u64 v[96:97], s[12:13], 1, v[0:1]
	s_cselect_b32 s12, s9, s11
	s_ashr_i32 s13, s12, 31
	s_add_i32 s9, s0, 0xfffffb00
	s_cmp_lt_i32 s9, s10
	s_waitcnt vmcnt(30)
	v_lshlrev_b32_e32 v18, 16, v58
	v_lshl_add_u64 v[42:43], s[12:13], 1, v[0:1]
	s_cselect_b32 s12, s9, s11
	v_fmac_f32_e32 v110, v55, v18
	s_waitcnt vmcnt(29)
	v_lshlrev_b32_e32 v18, 16, v59
	s_ashr_i32 s13, s12, 31
	s_add_i32 s9, s0, 0xfffffb80
	v_fmac_f32_e32 v110, v56, v18
	s_waitcnt vmcnt(28)
	v_lshlrev_b32_e32 v18, 16, v60
	s_cmp_lt_i32 s9, s10
	v_fmac_f32_e32 v110, v57, v18
	ds_read_b128 v[18:21], v124 offset:64
	ds_read_b128 v[28:31], v124 offset:80
	v_lshl_add_u64 v[108:109], s[12:13], 1, v[0:1]
	s_cselect_b32 s12, s9, s11
	s_ashr_i32 s13, s12, 31
	s_add_i32 s9, s0, 0xfffffc00
	s_cmp_lt_i32 s9, s10
	v_lshl_add_u64 v[4:5], s[12:13], 1, v[0:1]
	s_cselect_b32 s12, s9, s11
	s_waitcnt vmcnt(27)
	v_lshlrev_b32_e32 v52, 16, v61
	s_ashr_i32 s13, s12, 31
	s_add_i32 s9, s0, 0xfffffc80
	s_waitcnt lgkmcnt(1)
	v_fmac_f32_e32 v110, v18, v52
	global_load_ushort v52, v[92:93], off
	s_cmp_lt_i32 s9, s10
	global_load_ushort v55, v[94:95], off
	global_load_ushort v56, v[98:99], off
	;; [unrolled: 1-line block ×5, first 2 shown]
	v_lshl_add_u64 v[6:7], s[12:13], 1, v[0:1]
	s_cselect_b32 s12, s9, s11
	s_ashr_i32 s13, s12, 31
	s_add_i32 s9, s0, 0xfffffd00
	s_waitcnt vmcnt(32)
	v_lshlrev_b32_e32 v18, 16, v62
	s_cmp_lt_i32 s9, s10
	v_fmac_f32_e32 v110, v19, v18
	s_waitcnt vmcnt(28)
	v_lshlrev_b32_e32 v18, 16, v63
	v_lshl_add_u64 v[8:9], s[12:13], 1, v[0:1]
	s_cselect_b32 s12, s9, s11
	v_fmac_f32_e32 v110, v20, v18
	v_lshlrev_b32_e32 v18, 16, v66
	s_ashr_i32 s13, s12, 31
	s_add_i32 s9, s0, 0xfffffd80
	v_fmac_f32_e32 v110, v21, v18
	s_waitcnt vmcnt(27)
	v_lshlrev_b32_e32 v18, 16, v67
	s_cmp_lt_i32 s9, s10
	s_waitcnt lgkmcnt(0)
	v_fmac_f32_e32 v110, v28, v18
	global_load_ushort v28, v[106:107], off
	v_lshl_add_u64 v[12:13], s[12:13], 1, v[0:1]
	s_cselect_b32 s12, s9, s11
	global_load_ushort v60, v[96:97], off
	global_load_ushort v61, v[42:43], off
	;; [unrolled: 1-line block ×3, first 2 shown]
	s_ashr_i32 s13, s12, 31
	s_add_i32 s9, s0, 0xfffffe00
	v_lshlrev_b32_e32 v18, 16, v123
	s_cmp_lt_i32 s9, s10
	v_fmac_f32_e32 v110, v29, v18
	v_lshlrev_b32_e32 v18, 16, v125
	v_lshl_add_u64 v[10:11], s[12:13], 1, v[0:1]
	s_cselect_b32 s12, s9, s11
	v_fmac_f32_e32 v110, v30, v18
	global_load_ushort v29, v[4:5], off
	global_load_ushort v30, v[6:7], off
	s_ashr_i32 s13, s12, 31
	s_add_i32 s9, s0, 0xfffffe80
	s_cmp_lt_i32 s9, s10
	s_waitcnt vmcnt(32)
	v_lshlrev_b32_e32 v4, 16, v48
	v_lshl_add_u64 v[22:23], s[12:13], 1, v[0:1]
	s_cselect_b32 s12, s9, s11
	v_fmac_f32_e32 v110, v31, v4
	ds_read_b128 v[4:7], v124 offset:96
	s_ashr_i32 s13, s12, 31
	s_add_i32 s9, s0, 0xffffff00
	s_cmp_lt_i32 s9, s10
	s_waitcnt vmcnt(31)
	v_lshlrev_b32_e32 v31, 16, v36
	global_load_ushort v36, v[8:9], off
	global_load_ushort v42, v[12:13], off
	v_lshl_add_u64 v[14:15], s[12:13], 1, v[0:1]
	s_cselect_b32 s12, s9, s11
	s_ashr_i32 s13, s12, 31
	s_add_i32 s9, s0, 0xffffff80
	s_cmp_lt_i32 s9, s10
	ds_read_b128 v[18:21], v124 offset:112
	s_waitcnt lgkmcnt(1)
	v_fmac_f32_e32 v110, v4, v31
	s_waitcnt vmcnt(31)
	v_lshlrev_b32_e32 v4, 16, v37
	global_load_ushort v31, v[10:11], off
	global_load_ushort v37, v[22:23], off
	v_lshl_add_u64 v[24:25], s[12:13], 1, v[0:1]
	s_cselect_b32 s12, s9, s11
	s_ashr_i32 s13, s12, 31
	s_cmp_lt_i32 s0, s10
	global_load_ushort v22, v[14:15], off
	global_load_ushort v23, v[24:25], off
	v_lshl_add_u64 v[16:17], s[12:13], 1, v[0:1]
	s_cselect_b32 s12, s0, s11
	s_ashr_i32 s13, s12, 31
	v_lshl_add_u64 v[26:27], s[12:13], 1, v[0:1]
	global_load_ushort v14, v[16:17], off
	global_load_ushort v15, v[26:27], off
	v_fmac_f32_e32 v110, v5, v4
	s_waitcnt vmcnt(36)
	v_lshlrev_b32_e32 v3, 16, v3
	v_fmac_f32_e32 v110, v6, v3
	s_waitcnt vmcnt(35)
	v_lshlrev_b32_e32 v3, 16, v32
	;; [unrolled: 3-line block ×3, first 2 shown]
	ds_read_b128 v[4:7], v124 offset:128
	ds_read_b128 v[8:11], v124 offset:144
	s_waitcnt lgkmcnt(2)
	v_fmac_f32_e32 v110, v18, v3
	s_waitcnt vmcnt(33)
	v_lshlrev_b32_e32 v3, 16, v34
	v_fmac_f32_e32 v110, v19, v3
	s_waitcnt vmcnt(32)
	v_lshlrev_b32_e32 v3, 16, v35
	;; [unrolled: 3-line block ×4, first 2 shown]
	s_waitcnt lgkmcnt(1)
	v_fmac_f32_e32 v110, v4, v3
	s_waitcnt vmcnt(26)
	v_lshlrev_b32_e32 v3, 16, v40
	v_fmac_f32_e32 v110, v5, v3
	s_waitcnt vmcnt(25)
	v_lshlrev_b32_e32 v3, 16, v41
	v_fmac_f32_e32 v110, v6, v3
	v_lshlrev_b32_e32 v3, 16, v44
	v_fmac_f32_e32 v110, v7, v3
	s_waitcnt vmcnt(24)
	v_lshlrev_b32_e32 v3, 16, v45
	ds_read_b128 v[4:7], v124 offset:160
	s_waitcnt lgkmcnt(1)
	v_fmac_f32_e32 v110, v8, v3
	v_lshlrev_b32_e32 v3, 16, v46
	v_fmac_f32_e32 v110, v9, v3
	s_waitcnt vmcnt(23)
	v_lshlrev_b32_e32 v3, 16, v47
	v_fmac_f32_e32 v110, v10, v3
	v_lshlrev_b32_e32 v3, 16, v49
	v_fmac_f32_e32 v110, v11, v3
	ds_read_b128 v[8:11], v124 offset:176
	s_waitcnt vmcnt(22)
	v_lshlrev_b32_e32 v3, 16, v50
	s_waitcnt lgkmcnt(1)
	v_fmac_f32_e32 v110, v4, v3
	s_waitcnt vmcnt(21)
	v_lshlrev_b32_e32 v3, 16, v51
	v_fmac_f32_e32 v110, v5, v3
	s_waitcnt vmcnt(20)
	v_lshlrev_b32_e32 v3, 16, v53
	v_fmac_f32_e32 v110, v6, v3
	v_lshlrev_b32_e32 v3, 16, v54
	v_fmac_f32_e32 v110, v7, v3
	s_waitcnt vmcnt(19)
	v_lshlrev_b32_e32 v3, 16, v52
	s_waitcnt lgkmcnt(0)
	v_fmac_f32_e32 v110, v8, v3
	s_waitcnt vmcnt(18)
	v_lshlrev_b32_e32 v3, 16, v55
	ds_read_b128 v[4:7], v124 offset:192
	v_fmac_f32_e32 v110, v9, v3
	s_waitcnt vmcnt(17)
	v_lshlrev_b32_e32 v3, 16, v56
	v_fmac_f32_e32 v110, v10, v3
	s_waitcnt vmcnt(16)
	v_lshlrev_b32_e32 v3, 16, v57
	v_fmac_f32_e32 v110, v11, v3
	ds_read_b128 v[8:11], v124 offset:208
	s_waitcnt vmcnt(15)
	v_lshlrev_b32_e32 v3, 16, v58
	s_waitcnt lgkmcnt(1)
	v_fmac_f32_e32 v110, v4, v3
	s_waitcnt vmcnt(14)
	v_lshlrev_b32_e32 v3, 16, v59
	v_fmac_f32_e32 v110, v5, v3
	s_waitcnt vmcnt(13)
	v_lshlrev_b32_e32 v3, 16, v28
	;; [unrolled: 3-line block ×3, first 2 shown]
	s_waitcnt vmcnt(10)
	v_lshlrev_b32_e32 v5, 16, v62
	v_lshlrev_b32_e32 v4, 16, v61
	v_fmac_f32_e32 v110, v7, v3
	s_waitcnt lgkmcnt(0)
	v_pk_mul_f32 v[4:5], v[8:9], v[4:5]
	s_waitcnt vmcnt(6)
	v_lshlrev_b32_e32 v13, 16, v42
	v_add_f32_e32 v3, v110, v4
	v_add_f32_e32 v3, v3, v5
	v_lshlrev_b32_e32 v5, 16, v30
	v_lshlrev_b32_e32 v4, 16, v29
	v_pk_mul_f32 v[8:9], v[10:11], v[4:5]
	ds_read_b128 v[4:7], v124 offset:224
	v_add_f32_e32 v3, v3, v8
	v_lshlrev_b32_e32 v12, 16, v36
	v_add_f32_e32 v3, v3, v9
	ds_read_b128 v[8:11], v124 offset:240
	s_waitcnt lgkmcnt(1)
	v_pk_mul_f32 v[4:5], v[4:5], v[12:13]
	s_nop 0
	v_add_f32_e32 v3, v3, v4
	v_add_f32_e32 v3, v3, v5
	s_waitcnt vmcnt(4)
	v_lshlrev_b32_e32 v5, 16, v37
	v_lshlrev_b32_e32 v4, 16, v31
	v_pk_mul_f32 v[4:5], v[6:7], v[4:5]
	s_nop 0
	v_add_f32_e32 v3, v3, v4
	v_add_f32_e32 v3, v3, v5
	s_waitcnt vmcnt(2)
	v_lshlrev_b32_e32 v5, 16, v23
	v_lshlrev_b32_e32 v4, 16, v22
	s_waitcnt lgkmcnt(0)
	v_pk_mul_f32 v[4:5], v[8:9], v[4:5]
	s_nop 0
	v_add_f32_e32 v3, v3, v4
	v_add_f32_e32 v3, v3, v5
	s_waitcnt vmcnt(1)
	v_lshlrev_b32_e32 v4, 16, v14
	s_waitcnt vmcnt(0)
	v_lshlrev_b32_e32 v5, 16, v15
	v_pk_mul_f32 v[4:5], v[10:11], v[4:5]
	s_nop 0
	v_add_f32_e32 v3, v3, v4
	v_add_f32_e32 v110, v3, v5
	s_branch .LBB662_16
.LBB662_19:
	v_mov_b32_e32 v0, 0
	ds_read_b32 v0, v0 offset:2816
	s_cmp_lg_u64 s[6:7], 0
	s_cbranch_scc0 .LBB662_28
; %bb.20:
	s_load_dword s6, s[6:7], 0x0
	s_waitcnt lgkmcnt(0)
	v_div_scale_f32 v1, s[0:1], s6, s6, 1.0
	v_rcp_f32_e32 v3, v1
	v_div_scale_f32 v4, vcc, 1.0, s6, 1.0
	v_fma_f32 v5, -v1, v3, 1.0
	v_fmac_f32_e32 v3, v5, v3
	v_mul_f32_e32 v5, v4, v3
	v_fma_f32 v6, -v1, v5, v4
	v_fmac_f32_e32 v5, v6, v3
	v_fma_f32 v1, -v1, v5, v4
	v_div_fmas_f32 v1, v1, v3, v5
	v_div_fixup_f32 v1, v1, s6, 1.0
	s_andn2_b64 vcc, exec, s[40:41]
	s_cbranch_vccnz .LBB662_22
.LBB662_21:
	s_add_u32 s0, s34, s42
	s_addc_u32 s1, s35, s43
	s_load_dword s26, s[0:1], 0x0
	s_mov_b32 s27, 0
.LBB662_22:
	s_waitcnt lgkmcnt(0)
	v_add_f32_e32 v0, 0x358637bd, v0
	v_div_scale_f32 v3, s[0:1], v0, v0, 1.0
	v_rcp_f32_e32 v4, v3
	v_div_scale_f32 v5, vcc, 1.0, v0, 1.0
	s_mov_b32 s0, 0x7f800000
	v_fma_f32 v6, -v3, v4, 1.0
	v_fmac_f32_e32 v4, v6, v4
	v_mul_f32_e32 v6, v5, v4
	v_fma_f32 v7, -v3, v6, v5
	v_fmac_f32_e32 v6, v7, v4
	v_fma_f32 v3, -v3, v6, v5
	v_div_fmas_f32 v3, v3, v4, v6
	v_div_fixup_f32 v0, v3, v0, 1.0
	v_mul_f32_e32 v0, v110, v0
	v_mul_f32_e32 v1, v0, v1
	v_and_b32_e32 v0, 0x7f800000, v1
	v_cmp_ne_u32_e32 vcc, s0, v0
                                        ; implicit-def: $vgpr0
	s_and_saveexec_b64 s[0:1], vcc
	s_xor_b64 s[0:1], exec, s[0:1]
; %bb.23:
	v_bfe_u32 v0, v1, 16, 1
	s_movk_i32 s6, 0x7fff
	v_add3_u32 v0, v1, v0, s6
                                        ; implicit-def: $vgpr1
; %bb.24:
	s_andn2_saveexec_b64 s[0:1], s[0:1]
; %bb.25:
	v_mov_b32_e32 v0, 0
	v_or_b32_e32 v3, 0x10000, v1
	v_cmp_eq_u32_sdwa vcc, v1, v0 src0_sel:WORD_0 src1_sel:DWORD
	s_nop 1
	v_cndmask_b32_e32 v0, v3, v1, vcc
; %bb.26:
	s_or_b64 exec, exec, s[0:1]
	s_mul_i32 s0, s3, s27
	s_mul_hi_u32 s1, s3, s26
	s_add_i32 s1, s1, s0
	s_mul_i32 s0, s3, s26
	s_lshl_b64 s[0:1], s[0:1], 8
	s_add_u32 s4, s4, s0
	s_mov_b32 s3, 0
	s_addc_u32 s5, s5, s1
	s_lshl_b64 s[0:1], s[2:3], 8
	s_add_u32 s0, s4, s0
	s_addc_u32 s1, s5, s1
	global_store_short_d16_hi v2, v0, s[0:1]
	s_endpgm
.LBB662_27:
	s_mov_b64 s[6:7], 0
	s_branch .LBB662_2
.LBB662_28:
	v_mov_b32_e32 v1, 1.0
	s_andn2_b64 vcc, exec, s[40:41]
	s_cbranch_vccz .LBB662_21
	s_branch .LBB662_22
	.section	.rodata,"a",@progbits
	.p2align	6, 0x0
	.amdhsa_kernel _Z35paged_attention_ll4mi_reduce_kernelI14__hip_bfloat16S0_Li128ELi128ELi256ELi11EEvPT0_PKfS4_PKT_PKiS9_iS4_
		.amdhsa_group_segment_fixed_size 2820
		.amdhsa_private_segment_fixed_size 0
		.amdhsa_kernarg_size 320
		.amdhsa_user_sgpr_count 2
		.amdhsa_user_sgpr_dispatch_ptr 0
		.amdhsa_user_sgpr_queue_ptr 0
		.amdhsa_user_sgpr_kernarg_segment_ptr 1
		.amdhsa_user_sgpr_dispatch_id 0
		.amdhsa_user_sgpr_kernarg_preload_length 0
		.amdhsa_user_sgpr_kernarg_preload_offset 0
		.amdhsa_user_sgpr_private_segment_size 0
		.amdhsa_uses_dynamic_stack 0
		.amdhsa_enable_private_segment 0
		.amdhsa_system_sgpr_workgroup_id_x 1
		.amdhsa_system_sgpr_workgroup_id_y 1
		.amdhsa_system_sgpr_workgroup_id_z 0
		.amdhsa_system_sgpr_workgroup_info 0
		.amdhsa_system_vgpr_workitem_id 0
		.amdhsa_next_free_vgpr 126
		.amdhsa_next_free_sgpr 51
		.amdhsa_accum_offset 128
		.amdhsa_reserve_vcc 1
		.amdhsa_float_round_mode_32 0
		.amdhsa_float_round_mode_16_64 0
		.amdhsa_float_denorm_mode_32 3
		.amdhsa_float_denorm_mode_16_64 3
		.amdhsa_dx10_clamp 1
		.amdhsa_ieee_mode 1
		.amdhsa_fp16_overflow 0
		.amdhsa_tg_split 0
		.amdhsa_exception_fp_ieee_invalid_op 0
		.amdhsa_exception_fp_denorm_src 0
		.amdhsa_exception_fp_ieee_div_zero 0
		.amdhsa_exception_fp_ieee_overflow 0
		.amdhsa_exception_fp_ieee_underflow 0
		.amdhsa_exception_fp_ieee_inexact 0
		.amdhsa_exception_int_div_zero 0
	.end_amdhsa_kernel
	.section	.text._Z35paged_attention_ll4mi_reduce_kernelI14__hip_bfloat16S0_Li128ELi128ELi256ELi11EEvPT0_PKfS4_PKT_PKiS9_iS4_,"axG",@progbits,_Z35paged_attention_ll4mi_reduce_kernelI14__hip_bfloat16S0_Li128ELi128ELi256ELi11EEvPT0_PKfS4_PKT_PKiS9_iS4_,comdat
.Lfunc_end662:
	.size	_Z35paged_attention_ll4mi_reduce_kernelI14__hip_bfloat16S0_Li128ELi128ELi256ELi11EEvPT0_PKfS4_PKT_PKiS9_iS4_, .Lfunc_end662-_Z35paged_attention_ll4mi_reduce_kernelI14__hip_bfloat16S0_Li128ELi128ELi256ELi11EEvPT0_PKfS4_PKT_PKiS9_iS4_
                                        ; -- End function
	.section	.AMDGPU.csdata,"",@progbits
; Kernel info:
; codeLenInByte = 10012
; NumSgprs: 57
; NumVgprs: 126
; NumAgprs: 0
; TotalNumVgprs: 126
; ScratchSize: 0
; MemoryBound: 0
; FloatMode: 240
; IeeeMode: 1
; LDSByteSize: 2820 bytes/workgroup (compile time only)
; SGPRBlocks: 7
; VGPRBlocks: 15
; NumSGPRsForWavesPerEU: 57
; NumVGPRsForWavesPerEU: 126
; AccumOffset: 128
; Occupancy: 4
; WaveLimiterHint : 1
; COMPUTE_PGM_RSRC2:SCRATCH_EN: 0
; COMPUTE_PGM_RSRC2:USER_SGPR: 2
; COMPUTE_PGM_RSRC2:TRAP_HANDLER: 0
; COMPUTE_PGM_RSRC2:TGID_X_EN: 1
; COMPUTE_PGM_RSRC2:TGID_Y_EN: 1
; COMPUTE_PGM_RSRC2:TGID_Z_EN: 0
; COMPUTE_PGM_RSRC2:TIDIG_COMP_CNT: 0
; COMPUTE_PGM_RSRC3_GFX90A:ACCUM_OFFSET: 31
; COMPUTE_PGM_RSRC3_GFX90A:TG_SPLIT: 0
	.section	.text._Z35paged_attention_ll4mi_reduce_kernelI14__hip_bfloat16S0_Li128ELi128ELi256ELi12EEvPT0_PKfS4_PKT_PKiS9_iS4_,"axG",@progbits,_Z35paged_attention_ll4mi_reduce_kernelI14__hip_bfloat16S0_Li128ELi128ELi256ELi12EEvPT0_PKfS4_PKT_PKiS9_iS4_,comdat
	.protected	_Z35paged_attention_ll4mi_reduce_kernelI14__hip_bfloat16S0_Li128ELi128ELi256ELi12EEvPT0_PKfS4_PKT_PKiS9_iS4_ ; -- Begin function _Z35paged_attention_ll4mi_reduce_kernelI14__hip_bfloat16S0_Li128ELi128ELi256ELi12EEvPT0_PKfS4_PKT_PKiS9_iS4_
	.globl	_Z35paged_attention_ll4mi_reduce_kernelI14__hip_bfloat16S0_Li128ELi128ELi256ELi12EEvPT0_PKfS4_PKT_PKiS9_iS4_
	.p2align	8
	.type	_Z35paged_attention_ll4mi_reduce_kernelI14__hip_bfloat16S0_Li128ELi128ELi256ELi12EEvPT0_PKfS4_PKT_PKiS9_iS4_,@function
_Z35paged_attention_ll4mi_reduce_kernelI14__hip_bfloat16S0_Li128ELi128ELi256ELi12EEvPT0_PKfS4_PKT_PKiS9_iS4_: ; @_Z35paged_attention_ll4mi_reduce_kernelI14__hip_bfloat16S0_Li128ELi128ELi256ELi12EEvPT0_PKfS4_PKT_PKiS9_iS4_
; %bb.0:
	s_load_dwordx2 s[40:41], s[0:1], 0x28
	s_mov_b32 s34, s3
	s_mov_b64 s[4:5], 0
	s_waitcnt lgkmcnt(0)
	s_cmp_lg_u64 s[40:41], 0
	s_cselect_b64 s[42:43], -1, 0
	s_and_b64 vcc, exec, s[42:43]
	s_cbranch_vccz .LBB663_27
; %bb.1:
	s_add_i32 s6, s34, 1
	s_mov_b32 s7, 0
	s_lshl_b64 s[8:9], s[6:7], 2
	s_add_u32 s8, s40, s8
	s_mov_b32 s35, s7
	s_addc_u32 s9, s41, s9
	s_lshl_b64 s[6:7], s[34:35], 2
	s_add_u32 s6, s40, s6
	s_addc_u32 s7, s41, s7
	s_load_dword s3, s[8:9], 0x0
	s_load_dword s10, s[6:7], 0x0
	s_waitcnt lgkmcnt(0)
	s_sub_i32 s3, s3, s10
	s_cmp_eq_u32 s3, 1
	s_cselect_b64 s[6:7], -1, 0
	s_andn2_b64 vcc, exec, s[4:5]
	s_cbranch_vccnz .LBB663_3
.LBB663_2:
	s_mov_b32 s35, 0
	s_mov_b64 s[6:7], -1
.LBB663_3:
	s_andn2_b64 vcc, exec, s[6:7]
	s_cbranch_vccz .LBB663_5
; %bb.4:
	s_endpgm
.LBB663_5:
	s_load_dwordx4 s[28:31], s[0:1], 0x18
	s_load_dword s8, s[0:1], 0x30
	s_lshl_b64 s[44:45], s[34:35], 2
	v_cmp_lt_u32_e32 vcc, 63, v0
	s_waitcnt lgkmcnt(0)
	s_add_u32 s4, s30, s44
	s_addc_u32 s5, s31, s45
	s_load_dword s52, s[4:5], 0x0
	s_load_dword s3, s[0:1], 0x40
	s_mul_i32 s30, s2, s8
	s_mul_i32 s6, s34, s8
	s_waitcnt lgkmcnt(0)
	s_add_i32 s7, s52, 0xff
	s_ashr_i32 s4, s7, 31
	s_lshr_b32 s4, s4, 24
	s_add_i32 s7, s7, s4
	s_and_saveexec_b64 s[4:5], vcc
	s_xor_b64 s[4:5], exec, s[4:5]
	s_or_saveexec_b64 s[46:47], s[4:5]
	s_ashr_i32 s33, s7, 8
	v_mov_b32_e32 v1, s30
	s_mul_i32 s48, s6, s3
	s_xor_b64 exec, exec, s[46:47]
	s_cbranch_execz .LBB663_9
; %bb.6:
	s_add_i32 s4, s33, -1
	v_or_b32_e32 v3, 64, v0
	v_mov_b32_e32 v1, s4
	v_cmp_gt_u32_e64 s[22:23], s33, v3
	s_load_dwordx4 s[36:39], s[0:1], 0x8
	s_mov_b32 s49, 0
	v_cndmask_b32_e64 v4, v1, v3, s[22:23]
	v_or_b32_e32 v3, 0x80, v0
	v_cmp_gt_u32_e64 s[20:21], s33, v3
	s_lshl_b64 s[50:51], s[48:49], 2
	s_mov_b32 s31, s49
	v_cndmask_b32_e64 v6, v1, v3, s[20:21]
	v_or_b32_e32 v3, 0xc0, v0
	v_cmp_gt_u32_e64 s[18:19], s33, v3
	v_cmp_gt_u32_e64 s[24:25], s33, v0
	s_waitcnt lgkmcnt(0)
	s_add_u32 s26, s38, s50
	v_cndmask_b32_e64 v8, v1, v3, s[18:19]
	v_or_b32_e32 v3, 0x100, v0
	v_cmp_gt_u32_e64 s[16:17], s33, v3
	v_cndmask_b32_e64 v2, v1, v0, s[24:25]
	s_addc_u32 s27, s39, s51
	v_cndmask_b32_e64 v10, v1, v3, s[16:17]
	v_or_b32_e32 v3, 0x140, v0
	v_cmp_gt_u32_e64 s[14:15], s33, v3
	s_lshl_b64 s[38:39], s[30:31], 2
	s_add_u32 s26, s26, s38
	v_cndmask_b32_e64 v12, v1, v3, s[14:15]
	v_or_b32_e32 v3, 0x180, v0
	v_cmp_gt_u32_e64 s[12:13], s33, v3
	v_ashrrev_i32_e32 v11, 31, v10
	v_ashrrev_i32_e32 v13, 31, v12
	v_cndmask_b32_e64 v14, v1, v3, s[12:13]
	v_or_b32_e32 v3, 0x1c0, v0
	v_cmp_gt_u32_e64 s[10:11], s33, v3
	s_addc_u32 s27, s27, s39
	v_ashrrev_i32_e32 v5, 31, v4
	v_cndmask_b32_e64 v16, v1, v3, s[10:11]
	v_or_b32_e32 v3, 0x200, v0
	v_cmp_gt_u32_e64 s[8:9], s33, v3
	v_ashrrev_i32_e32 v7, 31, v6
	v_ashrrev_i32_e32 v9, 31, v8
	v_cndmask_b32_e64 v18, v1, v3, s[8:9]
	v_or_b32_e32 v3, 0x240, v0
	v_cmp_gt_u32_e64 s[6:7], s33, v3
	v_lshlrev_b64 v[10:11], 2, v[10:11]
	v_lshlrev_b64 v[12:13], 2, v[12:13]
	v_cndmask_b32_e64 v20, v1, v3, s[6:7]
	v_or_b32_e32 v3, 0x280, v0
	v_cmp_gt_u32_e64 s[4:5], s33, v3
	v_ashrrev_i32_e32 v15, 31, v14
	v_ashrrev_i32_e32 v17, 31, v16
	v_cndmask_b32_e64 v22, v1, v3, s[4:5]
	v_or_b32_e32 v3, 0x2c0, v0
	v_cmp_gt_u32_e32 vcc, s33, v3
	v_lshlrev_b64 v[4:5], 2, v[4:5]
	v_lshlrev_b64 v[6:7], 2, v[6:7]
	v_cndmask_b32_e32 v24, v1, v3, vcc
	v_ashrrev_i32_e32 v3, 31, v2
	v_lshlrev_b64 v[2:3], 2, v[2:3]
	v_lshl_add_u64 v[26:27], s[26:27], 0, v[2:3]
	v_lshlrev_b64 v[8:9], 2, v[8:9]
	v_lshl_add_u64 v[34:35], s[26:27], 0, v[10:11]
	v_lshl_add_u64 v[36:37], s[26:27], 0, v[12:13]
	v_lshlrev_b64 v[14:15], 2, v[14:15]
	v_lshlrev_b64 v[16:17], 2, v[16:17]
	v_ashrrev_i32_e32 v19, 31, v18
	v_ashrrev_i32_e32 v21, 31, v20
	v_lshl_add_u64 v[28:29], s[26:27], 0, v[4:5]
	v_lshl_add_u64 v[30:31], s[26:27], 0, v[6:7]
	v_lshl_add_u64 v[32:33], s[26:27], 0, v[8:9]
	v_lshl_add_u64 v[38:39], s[26:27], 0, v[14:15]
	v_lshl_add_u64 v[40:41], s[26:27], 0, v[16:17]
	global_load_dword v1, v[26:27], off
	global_load_dword v42, v[28:29], off
	;; [unrolled: 1-line block ×4, first 2 shown]
	s_nop 0
	global_load_dword v34, v[34:35], off
	s_nop 0
	global_load_dword v35, v[36:37], off
	;; [unrolled: 2-line block ×3, first 2 shown]
	global_load_dword v37, v[40:41], off
	v_lshlrev_b64 v[18:19], 2, v[18:19]
	v_lshlrev_b64 v[20:21], 2, v[20:21]
	v_ashrrev_i32_e32 v23, 31, v22
	v_ashrrev_i32_e32 v25, 31, v24
	v_lshl_add_u64 v[26:27], s[26:27], 0, v[18:19]
	v_lshl_add_u64 v[28:29], s[26:27], 0, v[20:21]
	v_lshlrev_b64 v[22:23], 2, v[22:23]
	v_lshlrev_b64 v[24:25], 2, v[24:25]
	v_lshl_add_u64 v[30:31], s[26:27], 0, v[22:23]
	v_lshl_add_u64 v[32:33], s[26:27], 0, v[24:25]
	global_load_dword v26, v[26:27], off
	s_nop 0
	global_load_dword v27, v[28:29], off
	s_nop 0
	global_load_dword v28, v[30:31], off
	global_load_dword v29, v[32:33], off
	s_mov_b32 s31, 0x3fb8aa3b
	s_waitcnt vmcnt(11)
	v_max_f32_e32 v31, v1, v1
	s_waitcnt vmcnt(10)
	v_max_f32_e32 v30, v42, v42
	v_max_f32_e32 v30, v31, v30
	v_mbcnt_lo_u32_b32 v31, -1, 0
	v_mbcnt_hi_u32_b32 v31, -1, v31
	s_waitcnt vmcnt(8)
	v_max3_f32 v30, v30, v43, v44
	v_and_b32_e32 v32, 64, v31
	s_waitcnt vmcnt(6)
	v_max3_f32 v30, v30, v34, v35
	v_add_u32_e32 v32, 64, v32
	v_xor_b32_e32 v33, 32, v31
	s_waitcnt vmcnt(4)
	v_max3_f32 v30, v30, v36, v37
	v_cmp_lt_i32_e64 s[26:27], v33, v32
	s_waitcnt vmcnt(2)
	v_max3_f32 v30, v30, v26, v27
	v_cndmask_b32_e64 v33, v31, v33, s[26:27]
	s_waitcnt vmcnt(0)
	v_max3_f32 v30, v30, v28, v29
	v_lshlrev_b32_e32 v33, 2, v33
	ds_bpermute_b32 v38, v33, v30
	s_waitcnt lgkmcnt(0)
	v_max_f32_e32 v38, v38, v38
	v_max_f32_e32 v30, v30, v38
	v_xor_b32_e32 v38, 16, v31
	v_cmp_lt_i32_e64 s[26:27], v38, v32
	s_nop 1
	v_cndmask_b32_e64 v38, v31, v38, s[26:27]
	v_lshlrev_b32_e32 v38, 2, v38
	ds_bpermute_b32 v39, v38, v30
	s_waitcnt lgkmcnt(0)
	v_max_f32_e32 v39, v39, v39
	v_max_f32_e32 v30, v30, v39
	v_xor_b32_e32 v39, 8, v31
	v_cmp_lt_i32_e64 s[26:27], v39, v32
	s_nop 1
	v_cndmask_b32_e64 v39, v31, v39, s[26:27]
	v_lshlrev_b32_e32 v39, 2, v39
	ds_bpermute_b32 v40, v39, v30
	s_add_u32 s26, s36, s50
	s_addc_u32 s27, s37, s51
	s_add_u32 s36, s26, s38
	s_addc_u32 s37, s27, s39
	s_waitcnt lgkmcnt(0)
	v_max_f32_e32 v40, v40, v40
	v_lshl_add_u64 v[2:3], s[36:37], 0, v[2:3]
	v_max_f32_e32 v30, v30, v40
	global_load_dword v40, v[2:3], off
	v_xor_b32_e32 v2, 4, v31
	v_cmp_lt_i32_e64 s[26:27], v2, v32
	s_nop 1
	v_cndmask_b32_e64 v2, v31, v2, s[26:27]
	v_lshlrev_b32_e32 v41, 2, v2
	ds_bpermute_b32 v2, v41, v30
	s_waitcnt lgkmcnt(0)
	v_max_f32_e32 v2, v2, v2
	v_max_f32_e32 v30, v30, v2
	v_xor_b32_e32 v2, 2, v31
	v_cmp_lt_i32_e64 s[26:27], v2, v32
	s_nop 1
	v_cndmask_b32_e64 v45, v31, v2, s[26:27]
	v_lshl_add_u64 v[2:3], s[36:37], 0, v[4:5]
	v_lshlrev_b32_e32 v45, 2, v45
	global_load_dword v46, v[2:3], off
	ds_bpermute_b32 v2, v45, v30
	v_lshl_add_u64 v[4:5], s[36:37], 0, v[8:9]
	v_lshl_add_u64 v[8:9], s[36:37], 0, v[14:15]
	s_waitcnt lgkmcnt(0)
	v_max_f32_e32 v2, v2, v2
	v_max_f32_e32 v30, v30, v2
	v_xor_b32_e32 v2, 1, v31
	v_cmp_lt_i32_e64 s[26:27], v2, v32
	s_nop 1
	v_cndmask_b32_e64 v2, v31, v2, s[26:27]
	v_lshlrev_b32_e32 v31, 2, v2
	v_lshl_add_u64 v[2:3], s[36:37], 0, v[6:7]
	global_load_dword v47, v[2:3], off
	v_lshl_add_u64 v[2:3], s[36:37], 0, v[10:11]
	v_lshl_add_u64 v[6:7], s[36:37], 0, v[12:13]
	;; [unrolled: 1-line block ×3, first 2 shown]
	global_load_dword v12, v[4:5], off
	global_load_dword v13, v[2:3], off
	;; [unrolled: 1-line block ×5, first 2 shown]
	ds_bpermute_b32 v32, v31, v30
	v_lshl_add_u64 v[2:3], s[36:37], 0, v[18:19]
	v_lshl_add_u64 v[4:5], s[36:37], 0, v[20:21]
	v_lshl_add_u64 v[6:7], s[36:37], 0, v[22:23]
	v_lshl_add_u64 v[8:9], s[36:37], 0, v[24:25]
	s_waitcnt lgkmcnt(0)
	v_max_f32_e32 v10, v32, v32
	v_max_f32_e32 v10, v30, v10
	v_sub_f32_e32 v1, v1, v10
	v_mul_f32_e32 v11, 0x3fb8aa3b, v1
	v_fma_f32 v17, v1, s31, -v11
	v_rndne_f32_e32 v18, v11
	v_fmac_f32_e32 v17, 0x32a5705f, v1
	v_sub_f32_e32 v11, v11, v18
	v_add_f32_e32 v11, v11, v17
	v_cvt_i32_f32_e32 v17, v18
	global_load_dword v18, v[2:3], off
	global_load_dword v19, v[4:5], off
	;; [unrolled: 1-line block ×4, first 2 shown]
	v_sub_f32_e32 v4, v42, v10
	v_mul_f32_e32 v5, 0x3fb8aa3b, v4
	v_fma_f32 v6, v4, s31, -v5
	v_rndne_f32_e32 v7, v5
	v_exp_f32_e32 v11, v11
	v_fmac_f32_e32 v6, 0x32a5705f, v4
	v_sub_f32_e32 v5, v5, v7
	v_add_f32_e32 v5, v5, v6
	v_exp_f32_e32 v5, v5
	v_cvt_i32_f32_e32 v6, v7
	s_mov_b32 s36, 0xc2ce8ed0
	v_ldexp_f32 v2, v11, v17
	v_cmp_ngt_f32_e64 s[26:27], s36, v1
	s_mov_b32 s37, 0x42b17218
	v_mov_b32_e32 v3, 0x7f800000
	v_cndmask_b32_e64 v2, 0, v2, s[26:27]
	v_cmp_nlt_f32_e64 s[26:27], s37, v1
	s_nop 1
	v_cndmask_b32_e64 v1, v3, v2, s[26:27]
	v_ldexp_f32 v2, v5, v6
	v_sub_f32_e32 v5, v43, v10
	v_mul_f32_e32 v6, 0x3fb8aa3b, v5
	v_fma_f32 v7, v5, s31, -v6
	v_rndne_f32_e32 v8, v6
	v_fmac_f32_e32 v7, 0x32a5705f, v5
	v_sub_f32_e32 v6, v6, v8
	v_add_f32_e32 v6, v6, v7
	v_exp_f32_e32 v6, v6
	v_cvt_i32_f32_e32 v7, v8
	v_cndmask_b32_e64 v1, 0, v1, s[24:25]
	v_cmp_ngt_f32_e64 s[24:25], s36, v4
	s_waitcnt vmcnt(11)
	v_mul_f32_e32 v1, v40, v1
	v_cndmask_b32_e64 v2, 0, v2, s[24:25]
	v_cmp_nlt_f32_e64 s[24:25], s37, v4
	v_ldexp_f32 v4, v6, v7
	v_sub_f32_e32 v6, v44, v10
	v_mul_f32_e32 v7, 0x3fb8aa3b, v6
	v_fma_f32 v8, v6, s31, -v7
	v_rndne_f32_e32 v9, v7
	v_fmac_f32_e32 v8, 0x32a5705f, v6
	v_sub_f32_e32 v7, v7, v9
	v_add_f32_e32 v7, v7, v8
	v_exp_f32_e32 v7, v7
	v_cvt_i32_f32_e32 v8, v9
	v_cndmask_b32_e64 v2, v3, v2, s[24:25]
	v_cndmask_b32_e64 v2, 0, v2, s[22:23]
	v_cmp_ngt_f32_e64 s[22:23], s36, v5
	s_waitcnt vmcnt(10)
	v_mul_f32_e32 v2, v46, v2
	v_cndmask_b32_e64 v4, 0, v4, s[22:23]
	v_cmp_nlt_f32_e64 s[22:23], s37, v5
	v_ldexp_f32 v5, v7, v8
	v_sub_f32_e32 v7, v34, v10
	v_mul_f32_e32 v8, 0x3fb8aa3b, v7
	v_fma_f32 v9, v7, s31, -v8
	v_rndne_f32_e32 v11, v8
	v_fmac_f32_e32 v9, 0x32a5705f, v7
	v_sub_f32_e32 v8, v8, v11
	v_add_f32_e32 v8, v8, v9
	v_exp_f32_e32 v8, v8
	v_cvt_i32_f32_e32 v9, v11
	v_cndmask_b32_e64 v4, v3, v4, s[22:23]
	v_cndmask_b32_e64 v4, 0, v4, s[20:21]
	v_cmp_ngt_f32_e64 s[20:21], s36, v6
	s_waitcnt vmcnt(9)
	v_mul_f32_e32 v4, v47, v4
	v_cndmask_b32_e64 v5, 0, v5, s[20:21]
	v_cmp_nlt_f32_e64 s[20:21], s37, v6
	v_ldexp_f32 v6, v8, v9
	v_sub_f32_e32 v8, v35, v10
	v_cndmask_b32_e64 v5, v3, v5, s[20:21]
	v_cndmask_b32_e64 v5, 0, v5, s[18:19]
	v_mul_f32_e32 v9, 0x3fb8aa3b, v8
	s_waitcnt vmcnt(8)
	v_mul_f32_e32 v5, v12, v5
	v_fma_f32 v11, v8, s31, -v9
	v_rndne_f32_e32 v12, v9
	v_fmac_f32_e32 v11, 0x32a5705f, v8
	v_sub_f32_e32 v9, v9, v12
	v_add_f32_e32 v9, v9, v11
	v_exp_f32_e32 v9, v9
	v_cvt_i32_f32_e32 v11, v12
	v_cmp_ngt_f32_e64 s[18:19], s36, v7
	s_nop 1
	v_cndmask_b32_e64 v6, 0, v6, s[18:19]
	v_cmp_nlt_f32_e64 s[18:19], s37, v7
	v_ldexp_f32 v7, v9, v11
	v_sub_f32_e32 v9, v36, v10
	v_cndmask_b32_e64 v6, v3, v6, s[18:19]
	v_cndmask_b32_e64 v6, 0, v6, s[16:17]
	v_mul_f32_e32 v11, 0x3fb8aa3b, v9
	s_waitcnt vmcnt(7)
	v_mul_f32_e32 v6, v13, v6
	v_fma_f32 v12, v9, s31, -v11
	v_rndne_f32_e32 v13, v11
	v_fmac_f32_e32 v12, 0x32a5705f, v9
	v_sub_f32_e32 v11, v11, v13
	v_add_f32_e32 v11, v11, v12
	v_exp_f32_e32 v11, v11
	v_cvt_i32_f32_e32 v12, v13
	v_cmp_ngt_f32_e64 s[16:17], s36, v8
	s_nop 1
	;; [unrolled: 18-line block ×5, first 2 shown]
	v_cndmask_b32_e64 v11, 0, v11, s[10:11]
	v_cmp_nlt_f32_e64 s[10:11], s37, v12
	v_ldexp_f32 v12, v14, v15
	v_sub_f32_e32 v14, v28, v10
	v_mul_f32_e32 v15, 0x3fb8aa3b, v14
	v_fma_f32 v16, v14, s31, -v15
	v_rndne_f32_e32 v17, v15
	v_fmac_f32_e32 v16, 0x32a5705f, v14
	v_sub_f32_e32 v15, v15, v17
	v_add_f32_e32 v15, v15, v16
	v_exp_f32_e32 v15, v15
	v_cvt_i32_f32_e32 v16, v17
	v_cndmask_b32_e64 v11, v3, v11, s[10:11]
	v_cndmask_b32_e64 v11, 0, v11, s[8:9]
	v_cmp_ngt_f32_e64 s[8:9], s36, v13
	v_sub_f32_e32 v10, v29, v10
	s_waitcnt vmcnt(3)
	v_mul_f32_e32 v11, v18, v11
	v_cndmask_b32_e64 v12, 0, v12, s[8:9]
	v_cmp_nlt_f32_e64 s[8:9], s37, v13
	v_ldexp_f32 v13, v15, v16
	v_mul_f32_e32 v15, 0x3fb8aa3b, v10
	v_fma_f32 v16, v10, s31, -v15
	v_rndne_f32_e32 v17, v15
	v_fmac_f32_e32 v16, 0x32a5705f, v10
	v_sub_f32_e32 v15, v15, v17
	v_add_f32_e32 v15, v15, v16
	v_cndmask_b32_e64 v12, v3, v12, s[8:9]
	v_exp_f32_e32 v15, v15
	v_cvt_i32_f32_e32 v16, v17
	v_cndmask_b32_e64 v12, 0, v12, s[6:7]
	v_cmp_ngt_f32_e64 s[6:7], s36, v14
	s_waitcnt vmcnt(2)
	v_mul_f32_e32 v12, v19, v12
	v_cndmask_b32_e64 v13, 0, v13, s[6:7]
	v_cmp_nlt_f32_e64 s[6:7], s37, v14
	v_ldexp_f32 v14, v15, v16
	v_lshlrev_b32_e32 v15, 2, v0
	v_cndmask_b32_e64 v13, v3, v13, s[6:7]
	v_cndmask_b32_e64 v13, 0, v13, s[4:5]
	v_cmp_ngt_f32_e64 s[4:5], s36, v10
	s_waitcnt vmcnt(1)
	v_mul_f32_e32 v13, v20, v13
	ds_write2st64_b32 v15, v1, v2 offset1:1
	ds_write2st64_b32 v15, v4, v5 offset0:2 offset1:3
	ds_write2st64_b32 v15, v6, v7 offset0:4 offset1:5
	v_cndmask_b32_e64 v14, 0, v14, s[4:5]
	v_cmp_nlt_f32_e64 s[4:5], s37, v10
	v_add_f32_e32 v10, v1, v2
	v_add_f32_e32 v10, v10, v4
	;; [unrolled: 1-line block ×8, first 2 shown]
	v_cndmask_b32_e64 v3, v3, v14, s[4:5]
	v_add_f32_e32 v10, v10, v12
	v_cndmask_b32_e32 v3, 0, v3, vcc
	v_add_f32_e32 v10, v10, v13
	s_waitcnt vmcnt(0)
	v_fmac_f32_e32 v10, v21, v3
	ds_bpermute_b32 v14, v33, v10
	v_cmp_eq_u32_e32 vcc, 0, v0
	v_mul_f32_e32 v3, v21, v3
	ds_write2st64_b32 v15, v8, v9 offset0:6 offset1:7
	ds_write2st64_b32 v15, v11, v12 offset0:8 offset1:9
	;; [unrolled: 1-line block ×3, first 2 shown]
	s_waitcnt lgkmcnt(3)
	v_add_f32_e32 v10, v10, v14
	ds_bpermute_b32 v14, v38, v10
	s_waitcnt lgkmcnt(0)
	v_add_f32_e32 v10, v10, v14
	ds_bpermute_b32 v14, v39, v10
	;; [unrolled: 3-line block ×5, first 2 shown]
	s_and_saveexec_b64 s[4:5], vcc
	s_cbranch_execz .LBB663_8
; %bb.7:
	s_waitcnt lgkmcnt(0)
	v_add_f32_e32 v1, v1, v2
	v_mov_b32_e32 v2, 0
	ds_write_b32 v2, v1 offset:3072
.LBB663_8:
	s_or_b64 exec, exec, s[4:5]
	v_mov_b32_e32 v1, s30
.LBB663_9:
	s_or_b64 exec, exec, s[46:47]
	s_lshl_b32 s4, s48, 7
	s_mov_b32 s5, 0
	s_lshl_b64 s[4:5], s[4:5], 1
	s_add_u32 s4, s28, s4
	s_addc_u32 s5, s29, s5
	s_lshl_b32 s10, s33, 7
	s_add_i32 s11, s10, 0xffffff80
	s_waitcnt lgkmcnt(0)
	v_lshlrev_b32_e32 v2, 7, v1
	v_mov_b32_e32 v3, 0
	s_cmp_lt_i32 s52, 1
	v_lshl_add_u64 v[4:5], v[2:3], 1, s[4:5]
	s_cselect_b32 s4, s11, 0
	v_lshlrev_b32_e32 v2, 1, v0
	s_ashr_i32 s5, s4, 31
	v_lshl_add_u64 v[0:1], v[4:5], 0, v[2:3]
	s_cmpk_lt_i32 s52, 0x101
	v_lshl_add_u64 v[4:5], s[4:5], 1, v[0:1]
	s_cselect_b32 s4, s11, 0x80
	s_ashr_i32 s5, s4, 31
	s_cmpk_lt_i32 s52, 0x201
	v_lshl_add_u64 v[6:7], s[4:5], 1, v[0:1]
	s_cselect_b32 s4, s11, 0x100
	s_ashr_i32 s5, s4, 31
	;; [unrolled: 4-line block ×8, first 2 shown]
	s_cmpk_lt_i32 s52, 0x901
	global_load_ushort v23, v[4:5], off
	global_load_ushort v22, v[6:7], off
	;; [unrolled: 1-line block ×8, first 2 shown]
	v_lshl_add_u64 v[4:5], s[4:5], 1, v[0:1]
	s_cselect_b32 s4, s11, 0x480
	s_ashr_i32 s5, s4, 31
	s_cmpk_lt_i32 s52, 0xa01
	v_lshl_add_u64 v[6:7], s[4:5], 1, v[0:1]
	s_cselect_b32 s4, s11, 0x500
	s_ashr_i32 s5, s4, 31
	s_cmpk_lt_i32 s52, 0xb01
	;; [unrolled: 4-line block ×6, first 2 shown]
	v_lshl_add_u64 v[32:33], s[4:5], 1, v[0:1]
	s_cselect_b32 s4, s11, 0x780
	s_ashr_i32 s5, s4, 31
	v_lshl_add_u64 v[34:35], s[4:5], 1, v[0:1]
	global_load_ushort v30, v[4:5], off
	global_load_ushort v31, v[6:7], off
	;; [unrolled: 1-line block ×8, first 2 shown]
	s_cmpk_gt_i32 s52, 0x1000
	s_cselect_b64 s[8:9], -1, 0
	s_cmpk_lt_i32 s52, 0x1001
	v_mov_b32_e32 v40, 0
	v_mov_b32_e32 v41, 0
	;; [unrolled: 1-line block ×48, first 2 shown]
	s_barrier
	s_cbranch_scc1 .LBB663_12
; %bb.10:
	s_cmpk_lt_u32 s52, 0x1101
	s_cselect_b32 s4, s11, 0x880
	s_ashr_i32 s5, s4, 31
	s_cmpk_lt_u32 s52, 0x1201
	v_lshl_add_u64 v[6:7], s[4:5], 1, v[0:1]
	s_cselect_b32 s4, s11, 0x900
	s_ashr_i32 s5, s4, 31
	s_cmpk_lt_u32 s52, 0x1301
	v_lshl_add_u64 v[8:9], s[4:5], 1, v[0:1]
	;; [unrolled: 4-line block ×7, first 2 shown]
	s_cselect_b32 s4, s11, 0xc00
	v_add_co_u32_e32 v4, vcc, 0x1000, v0
	s_ashr_i32 s5, s4, 31
	s_nop 0
	v_addc_co_u32_e32 v5, vcc, 0, v1, vcc
	s_cmpk_lt_u32 s52, 0x1901
	global_load_ushort v39, v[4:5], off
	global_load_ushort v38, v[6:7], off
	;; [unrolled: 1-line block ×8, first 2 shown]
	v_lshl_add_u64 v[4:5], s[4:5], 1, v[0:1]
	s_cselect_b32 s4, s11, 0xc80
	s_ashr_i32 s5, s4, 31
	s_cmpk_lt_u32 s52, 0x1a01
	v_lshl_add_u64 v[6:7], s[4:5], 1, v[0:1]
	s_cselect_b32 s4, s11, 0xd00
	s_ashr_i32 s5, s4, 31
	s_cmpk_lt_u32 s52, 0x1b01
	;; [unrolled: 4-line block ×6, first 2 shown]
	v_lshl_add_u64 v[48:49], s[4:5], 1, v[0:1]
	s_cselect_b32 s4, s11, 0xf80
	s_ashr_i32 s5, s4, 31
	v_lshl_add_u64 v[50:51], s[4:5], 1, v[0:1]
	global_load_ushort v47, v[4:5], off
	global_load_ushort v46, v[6:7], off
	;; [unrolled: 1-line block ×8, first 2 shown]
	s_cmpk_lt_u32 s52, 0x2001
	v_mov_b32_e32 v67, 0
	v_mov_b32_e32 v65, 0
	;; [unrolled: 1-line block ×32, first 2 shown]
	s_cbranch_scc1 .LBB663_12
; %bb.11:
	s_cmpk_lt_u32 s52, 0x2101
	s_cselect_b32 s4, s11, 0x1080
	s_ashr_i32 s5, s4, 31
	s_cmpk_lt_u32 s52, 0x2201
	v_lshl_add_u64 v[4:5], s[4:5], 1, v[0:1]
	s_cselect_b32 s4, s11, 0x1100
	s_ashr_i32 s5, s4, 31
	s_cmpk_lt_u32 s52, 0x2301
	v_lshl_add_u64 v[6:7], s[4:5], 1, v[0:1]
	;; [unrolled: 4-line block ×29, first 2 shown]
	s_cselect_b32 s4, s11, 0x1f00
	s_ashr_i32 s5, s4, 31
	v_lshl_add_u64 v[94:95], s[4:5], 1, v[0:1]
	s_movk_i32 s4, 0x2000
	s_cmpk_lt_u32 s52, 0x3f01
	v_add_co_u32_e32 v96, vcc, s4, v0
	s_cselect_b32 s4, s11, 0x1f80
	s_nop 0
	v_addc_co_u32_e32 v97, vcc, 0, v1, vcc
	s_ashr_i32 s5, s4, 31
	global_load_ushort v98, v[96:97], off
	global_load_ushort v99, v[4:5], off
	;; [unrolled: 1-line block ×15, first 2 shown]
                                        ; kill: killed $vgpr54_vgpr55
                                        ; kill: killed $vgpr6_vgpr7
                                        ; kill: killed $vgpr60_vgpr61
                                        ; kill: killed $vgpr12_vgpr13
                                        ; kill: killed $vgpr50_vgpr51
                                        ; kill: killed $vgpr56_vgpr57
                                        ; kill: killed $vgpr8_vgpr9
                                        ; kill: killed $vgpr62_vgpr63
                                        ; kill: killed $vgpr14_vgpr15
                                        ; kill: killed $vgpr96 killed $vgpr97
                                        ; kill: killed $vgpr52_vgpr53
                                        ; kill: killed $vgpr4_vgpr5
                                        ; kill: killed $vgpr58_vgpr59
                                        ; kill: killed $vgpr10_vgpr11
                                        ; kill: killed $vgpr48_vgpr49
	global_load_ushort v6, v[64:65], off
	global_load_ushort v7, v[66:67], off
	;; [unrolled: 1-line block ×15, first 2 shown]
                                        ; kill: killed $vgpr70_vgpr71
                                        ; kill: killed $vgpr92_vgpr93
                                        ; kill: killed $vgpr76_vgpr77
                                        ; kill: killed $vgpr82_vgpr83
                                        ; kill: killed $vgpr66_vgpr67
                                        ; kill: killed $vgpr88_vgpr89
                                        ; kill: killed $vgpr72_vgpr73
                                        ; kill: killed $vgpr94_vgpr95
                                        ; kill: killed $vgpr78_vgpr79
                                        ; kill: killed $vgpr84_vgpr85
                                        ; kill: killed $vgpr68_vgpr69
                                        ; kill: killed $vgpr90_vgpr91
                                        ; kill: killed $vgpr74_vgpr75
                                        ; kill: killed $vgpr80_vgpr81
                                        ; kill: killed $vgpr64_vgpr65
	global_load_ushort v68, v[86:87], off
	v_lshl_add_u64 v[4:5], s[4:5], 1, v[0:1]
	global_load_ushort v5, v[4:5], off
	s_waitcnt vmcnt(31)
	v_lshlrev_b32_e32 v67, 16, v98
	s_waitcnt vmcnt(30)
	v_lshlrev_b32_e32 v65, 16, v99
	;; [unrolled: 2-line block ×32, first 2 shown]
.LBB663_12:
	s_load_dwordx2 s[4:5], s[0:1], 0x0
	s_load_dwordx2 s[6:7], s[0:1], 0x38
	ds_read_b128 v[68:71], v3
	s_waitcnt vmcnt(15)
	v_lshlrev_b32_e32 v23, 16, v23
	ds_read_b128 v[72:75], v3 offset:16
	ds_read_b128 v[76:79], v3 offset:32
	ds_read_b128 v[80:83], v3 offset:48
	s_waitcnt vmcnt(14)
	v_lshlrev_b32_e32 v22, 16, v22
	s_waitcnt vmcnt(13)
	v_lshlrev_b32_e32 v21, 16, v21
	s_waitcnt lgkmcnt(0)
	v_fma_f32 v23, v68, v23, 0
	v_fmac_f32_e32 v23, v69, v22
	v_fmac_f32_e32 v23, v70, v21
	s_waitcnt vmcnt(12)
	v_lshlrev_b32_e32 v20, 16, v20
	s_waitcnt vmcnt(10)
	v_lshlrev_b32_e32 v19, 16, v19
	v_lshlrev_b32_e32 v18, 16, v18
	v_fmac_f32_e32 v23, v71, v20
	v_pk_mul_f32 v[18:19], v[72:73], v[18:19]
	s_waitcnt vmcnt(8)
	v_lshlrev_b32_e32 v17, 16, v17
	v_add_f32_e32 v18, v23, v18
	v_lshlrev_b32_e32 v16, 16, v16
	v_add_f32_e32 v18, v18, v19
	v_pk_mul_f32 v[16:17], v[74:75], v[16:17]
	s_and_b64 vcc, exec, s[8:9]
	v_add_f32_e32 v16, v18, v16
	v_add_f32_e32 v18, v16, v17
	s_waitcnt vmcnt(6)
	v_lshlrev_b32_e32 v17, 16, v31
	v_lshlrev_b32_e32 v16, 16, v30
	v_pk_mul_f32 v[16:17], v[76:77], v[16:17]
	s_nop 0
	v_add_f32_e32 v16, v18, v16
	v_add_f32_e32 v18, v16, v17
	s_waitcnt vmcnt(4)
	v_lshlrev_b32_e32 v17, 16, v29
	v_lshlrev_b32_e32 v16, 16, v28
	v_pk_mul_f32 v[16:17], v[78:79], v[16:17]
	s_nop 0
	;; [unrolled: 7-line block ×4, first 2 shown]
	v_add_f32_e32 v16, v18, v16
	v_add_f32_e32 v110, v16, v17
	s_cbranch_vccz .LBB663_15
; %bb.13:
	ds_read_b128 v[16:19], v3 offset:64
	v_lshlrev_b32_e32 v39, 16, v39
	ds_read_b128 v[20:23], v3 offset:80
	ds_read_b128 v[24:27], v3 offset:96
	;; [unrolled: 1-line block ×3, first 2 shown]
	v_lshlrev_b32_e32 v3, 16, v38
	s_cmpk_lt_u32 s52, 0x2001
	s_waitcnt lgkmcnt(3)
	v_fmac_f32_e32 v110, v16, v39
	v_fmac_f32_e32 v110, v17, v3
	v_lshlrev_b32_e32 v3, 16, v37
	v_fmac_f32_e32 v110, v18, v3
	v_lshlrev_b32_e32 v3, 16, v36
	v_fmac_f32_e32 v110, v19, v3
	v_lshlrev_b32_e32 v3, 16, v35
	s_waitcnt lgkmcnt(2)
	v_fmac_f32_e32 v110, v20, v3
	v_lshlrev_b32_e32 v3, 16, v34
	v_fmac_f32_e32 v110, v21, v3
	v_lshlrev_b32_e32 v3, 16, v33
	v_fmac_f32_e32 v110, v22, v3
	v_lshlrev_b32_e32 v3, 16, v32
	v_fmac_f32_e32 v110, v23, v3
	v_lshlrev_b32_e32 v3, 16, v47
	s_waitcnt lgkmcnt(1)
	v_fmac_f32_e32 v110, v24, v3
	v_lshlrev_b32_e32 v3, 16, v46
	v_fmac_f32_e32 v110, v25, v3
	v_lshlrev_b32_e32 v3, 16, v45
	v_fmac_f32_e32 v110, v26, v3
	v_lshlrev_b32_e32 v3, 16, v44
	v_fmac_f32_e32 v110, v27, v3
	v_lshlrev_b32_e32 v3, 16, v43
	s_waitcnt lgkmcnt(0)
	v_fmac_f32_e32 v110, v28, v3
	v_lshlrev_b32_e32 v3, 16, v42
	v_fmac_f32_e32 v110, v29, v3
	v_lshlrev_b32_e32 v3, 16, v41
	v_fmac_f32_e32 v110, v30, v3
	v_lshlrev_b32_e32 v3, 16, v40
	v_fmac_f32_e32 v110, v31, v3
	s_cbranch_scc1 .LBB663_15
; %bb.14:
	v_mov_b32_e32 v3, 0
	ds_read_b128 v[16:19], v3 offset:128
	ds_read_b128 v[20:23], v3 offset:144
	;; [unrolled: 1-line block ×4, first 2 shown]
	s_waitcnt lgkmcnt(3)
	v_fmac_f32_e32 v110, v16, v67
	v_fmac_f32_e32 v110, v17, v65
	v_fmac_f32_e32 v110, v18, v66
	v_fmac_f32_e32 v110, v19, v63
	s_waitcnt lgkmcnt(2)
	v_fmac_f32_e32 v110, v20, v64
	v_fmac_f32_e32 v110, v21, v61
	v_fmac_f32_e32 v110, v22, v62
	v_fmac_f32_e32 v110, v23, v59
	s_waitcnt lgkmcnt(1)
	v_fmac_f32_e32 v110, v24, v60
	v_fmac_f32_e32 v110, v25, v57
	v_fmac_f32_e32 v110, v26, v58
	v_fmac_f32_e32 v110, v27, v55
	ds_read_b128 v[16:19], v3 offset:192
	ds_read_b128 v[20:23], v3 offset:208
	s_waitcnt lgkmcnt(2)
	v_fmac_f32_e32 v110, v28, v56
	v_fmac_f32_e32 v110, v29, v53
	;; [unrolled: 1-line block ×4, first 2 shown]
	s_waitcnt lgkmcnt(1)
	v_fmac_f32_e32 v110, v16, v51
	v_fmac_f32_e32 v110, v17, v49
	;; [unrolled: 1-line block ×4, first 2 shown]
	s_waitcnt lgkmcnt(0)
	v_pk_mul_f32 v[14:15], v[20:21], v[14:15]
	v_pk_mul_f32 v[12:13], v[22:23], v[12:13]
	v_add_f32_e32 v14, v110, v14
	v_add_f32_e32 v18, v14, v15
	ds_read_b128 v[14:17], v3 offset:224
	v_add_f32_e32 v12, v18, v12
	ds_read_b128 v[18:21], v3 offset:240
	v_add_f32_e32 v12, v12, v13
	s_waitcnt lgkmcnt(1)
	v_pk_mul_f32 v[10:11], v[14:15], v[10:11]
	s_nop 0
	v_add_f32_e32 v3, v12, v10
	v_add_f32_e32 v3, v3, v11
	v_pk_mul_f32 v[8:9], v[16:17], v[8:9]
	s_waitcnt lgkmcnt(0)
	v_pk_mul_f32 v[6:7], v[18:19], v[6:7]
	v_add_f32_e32 v3, v3, v8
	v_add_f32_e32 v3, v3, v9
	v_add_f32_e32 v3, v3, v6
	v_add_f32_e32 v3, v3, v7
	v_pk_mul_f32 v[4:5], v[20:21], v[4:5]
	s_nop 0
	v_add_f32_e32 v3, v3, v4
	v_add_f32_e32 v110, v3, v5
.LBB663_15:
	s_movk_i32 s0, 0x3f80
	s_movk_i32 s1, 0x100
	s_mov_b32 s8, 64
	s_branch .LBB663_17
.LBB663_16:                             ;   in Loop: Header=BB663_17 Depth=1
	s_addk_i32 s0, 0x2000
	s_addk_i32 s1, 0x100
	s_add_i32 s8, s8, 64
	s_cmp_eq_u32 s0, 0x19f80
	s_cbranch_scc1 .LBB663_19
.LBB663_17:                             ; =>This Inner Loop Header: Depth=1
	s_cmp_le_i32 s33, s8
	s_cbranch_scc1 .LBB663_16
; %bb.18:                               ;   in Loop: Header=BB663_17 Depth=1
	s_add_i32 s9, s0, 0xffffe080
	s_cmp_lt_i32 s9, s10
	s_cselect_b32 s12, s9, s11
	s_ashr_i32 s13, s12, 31
	s_add_i32 s9, s0, 0xffffe100
	s_cmp_lt_i32 s9, s10
	v_lshl_add_u64 v[42:43], s[12:13], 1, v[0:1]
	s_cselect_b32 s12, s9, s11
	s_ashr_i32 s13, s12, 31
	s_add_i32 s9, s0, 0xffffe180
	s_cmp_lt_i32 s9, s10
	v_lshl_add_u64 v[4:5], s[12:13], 1, v[0:1]
	;; [unrolled: 5-line block ×25, first 2 shown]
	s_cselect_b32 s12, s9, s11
	s_ashr_i32 s13, s12, 31
	s_add_i32 s9, s0, 0xffffed80
	s_cmp_lt_i32 s9, s10
	global_load_ushort v3, v[42:43], off
	global_load_ushort v120, v[44:45], off
	v_lshl_add_u64 v[18:19], s[12:13], 1, v[0:1]
	s_cselect_b32 s12, s9, s11
	global_load_ushort v111, v[4:5], off
	global_load_ushort v112, v[6:7], off
	global_load_ushort v113, v[8:9], off
	global_load_ushort v114, v[10:11], off
	global_load_ushort v115, v[12:13], off
	global_load_ushort v116, v[14:15], off
	global_load_ushort v117, v[16:17], off
	global_load_ushort v118, v[22:23], off
	s_ashr_i32 s13, s12, 31
	s_add_i32 s9, s0, 0xffffee00
	s_cmp_lt_i32 s9, s10
	v_lshl_add_u64 v[20:21], s[12:13], 1, v[0:1]
	s_cselect_b32 s12, s9, s11
	s_ashr_i32 s13, s12, 31
	s_add_i32 s9, s0, 0xffffee80
	s_cmp_lt_i32 s9, s10
	v_lshl_add_u64 v[38:39], s[12:13], 1, v[0:1]
	s_cselect_b32 s12, s9, s11
	s_ashr_i32 s13, s12, 31
	s_add_i32 s9, s0, 0xffffef00
	s_cmp_lt_i32 s9, s10
	global_load_ushort v119, v[28:29], off
	v_lshl_add_u64 v[40:41], s[12:13], 1, v[0:1]
	s_cselect_b32 s12, s9, s11
	s_ashr_i32 s13, s12, 31
	s_add_i32 s9, s0, 0xffffef80
	global_load_ushort v121, v[54:55], off
	global_load_ushort v122, v[56:57], off
	s_cmp_lt_i32 s9, s10
	global_load_ushort v58, v[58:59], off
	v_lshl_add_u64 v[50:51], s[12:13], 1, v[0:1]
	s_cselect_b32 s12, s9, s11
	s_ashr_i32 s13, s12, 31
	s_add_i32 s9, s0, 0xfffff000
	s_cmp_lt_i32 s9, s10
	v_lshl_add_u64 v[52:53], s[12:13], 1, v[0:1]
	s_cselect_b32 s12, s9, s11
	s_ashr_i32 s13, s12, 31
	s_add_i32 s9, s0, 0xfffff080
	global_load_ushort v59, v[60:61], off
	s_cmp_lt_i32 s9, s10
	global_load_ushort v60, v[66:67], off
	global_load_ushort v61, v[62:63], off
	v_lshl_add_u64 v[64:65], s[12:13], 1, v[0:1]
	s_cselect_b32 s12, s9, s11
	s_ashr_i32 s13, s12, 31
	s_add_i32 s9, s0, 0xfffff100
	s_cmp_lt_i32 s9, s10
	v_lshl_add_u64 v[68:69], s[12:13], 1, v[0:1]
	s_cselect_b32 s12, s9, s11
	s_ashr_i32 s13, s12, 31
	s_add_i32 s9, s0, 0xfffff180
	s_cmp_lt_i32 s9, s10
	;; [unrolled: 5-line block ×3, first 2 shown]
	global_load_ushort v62, v[24:25], off
	v_lshl_add_u64 v[72:73], s[12:13], 1, v[0:1]
	s_cselect_b32 s12, s9, s11
	global_load_ushort v66, v[30:31], off
	global_load_ushort v123, v[32:33], off
	;; [unrolled: 1-line block ×4, first 2 shown]
	s_ashr_i32 s13, s12, 31
	s_add_i32 s9, s0, 0xfffff280
	s_cmp_lt_i32 s9, s10
	global_load_ushort v67, v[46:47], off
	v_lshl_add_u64 v[74:75], s[12:13], 1, v[0:1]
	s_cselect_b32 s12, s9, s11
	s_ashr_i32 s13, s12, 31
	s_add_i32 s9, s0, 0xfffff300
	s_cmp_lt_i32 s9, s10
	v_lshl_add_u64 v[76:77], s[12:13], 1, v[0:1]
	s_cselect_b32 s12, s9, s11
	s_ashr_i32 s13, s12, 31
	s_add_i32 s9, s0, 0xfffff380
	s_cmp_lt_i32 s9, s10
	v_mov_b32_e32 v124, s1
	v_lshl_add_u64 v[78:79], s[12:13], 1, v[0:1]
	s_cselect_b32 s12, s9, s11
	ds_read_b128 v[28:31], v124
	ds_read_b128 v[32:35], v124 offset:16
	global_load_ushort v48, v[48:49], off
	s_ashr_i32 s13, s12, 31
	s_add_i32 s9, s0, 0xfffff400
	s_cmp_lt_i32 s9, s10
	v_lshl_add_u64 v[80:81], s[12:13], 1, v[0:1]
	s_cselect_b32 s12, s9, s11
	ds_read_b128 v[44:47], v124 offset:32
	ds_read_b128 v[54:57], v124 offset:48
	global_load_ushort v36, v[36:37], off
	s_ashr_i32 s13, s12, 31
	v_lshl_add_u64 v[82:83], s[12:13], 1, v[0:1]
	global_load_ushort v49, v[82:83], off
	global_load_ushort v37, v[18:19], off
	s_add_i32 s9, s0, 0xfffff480
	s_cmp_lt_i32 s9, s10
	s_cselect_b32 s12, s9, s11
	s_ashr_i32 s13, s12, 31
	s_add_i32 s9, s0, 0xfffff500
	s_cmp_lt_i32 s9, s10
	v_lshl_add_u64 v[84:85], s[12:13], 1, v[0:1]
	s_cselect_b32 s12, s9, s11
	s_ashr_i32 s13, s12, 31
	s_add_i32 s9, s0, 0xfffff580
	s_cmp_lt_i32 s9, s10
	v_lshl_add_u64 v[86:87], s[12:13], 1, v[0:1]
	;; [unrolled: 5-line block ×7, first 2 shown]
	s_cselect_b32 s12, s9, s11
	s_ashr_i32 s13, s12, 31
	s_add_i32 s9, s0, 0xfffff880
	s_waitcnt vmcnt(26)
	v_lshlrev_b32_e32 v3, 16, v3
	s_cmp_lt_i32 s9, s10
	s_waitcnt lgkmcnt(3)
	v_fmac_f32_e32 v110, v28, v3
	s_waitcnt vmcnt(24)
	v_lshlrev_b32_e32 v3, 16, v111
	v_lshl_add_u64 v[98:99], s[12:13], 1, v[0:1]
	s_cselect_b32 s12, s9, s11
	v_fmac_f32_e32 v110, v29, v3
	s_waitcnt vmcnt(23)
	v_lshlrev_b32_e32 v3, 16, v112
	s_ashr_i32 s13, s12, 31
	s_add_i32 s9, s0, 0xfffff900
	v_fmac_f32_e32 v110, v30, v3
	s_waitcnt vmcnt(22)
	v_lshlrev_b32_e32 v3, 16, v113
	s_cmp_lt_i32 s9, s10
	v_fmac_f32_e32 v110, v31, v3
	s_waitcnt vmcnt(21)
	v_lshlrev_b32_e32 v3, 16, v114
	v_lshl_add_u64 v[102:103], s[12:13], 1, v[0:1]
	s_cselect_b32 s12, s9, s11
	s_waitcnt lgkmcnt(2)
	v_fmac_f32_e32 v110, v32, v3
	global_load_ushort v3, v[20:21], off
	global_load_ushort v32, v[38:39], off
	s_waitcnt vmcnt(22)
	v_lshlrev_b32_e32 v18, 16, v115
	s_ashr_i32 s13, s12, 31
	s_add_i32 s9, s0, 0xfffff980
	v_fmac_f32_e32 v110, v33, v18
	s_waitcnt vmcnt(21)
	v_lshlrev_b32_e32 v18, 16, v116
	s_cmp_lt_i32 s9, s10
	v_fmac_f32_e32 v110, v34, v18
	s_waitcnt vmcnt(20)
	v_lshlrev_b32_e32 v18, 16, v117
	v_lshl_add_u64 v[104:105], s[12:13], 1, v[0:1]
	s_cselect_b32 s12, s9, s11
	global_load_ushort v33, v[40:41], off
	global_load_ushort v34, v[50:51], off
	v_fmac_f32_e32 v110, v35, v18
	global_load_ushort v35, v[52:53], off
	global_load_ushort v38, v[64:65], off
	;; [unrolled: 1-line block ×3, first 2 shown]
	s_waitcnt vmcnt(24)
	v_lshlrev_b32_e32 v18, 16, v118
	s_ashr_i32 s13, s12, 31
	s_add_i32 s9, s0, 0xfffffa00
	s_waitcnt lgkmcnt(1)
	v_fmac_f32_e32 v110, v44, v18
	global_load_ushort v44, v[74:75], off
	s_waitcnt vmcnt(24)
	v_lshlrev_b32_e32 v18, 16, v119
	s_cmp_lt_i32 s9, s10
	v_fmac_f32_e32 v110, v45, v18
	v_lshlrev_b32_e32 v18, 16, v120
	v_lshl_add_u64 v[106:107], s[12:13], 1, v[0:1]
	s_cselect_b32 s12, s9, s11
	v_fmac_f32_e32 v110, v46, v18
	global_load_ushort v46, v[78:79], off
	s_waitcnt vmcnt(24)
	v_lshlrev_b32_e32 v18, 16, v121
	s_ashr_i32 s13, s12, 31
	s_add_i32 s9, s0, 0xfffffa80
	v_fmac_f32_e32 v110, v47, v18
	s_waitcnt vmcnt(23)
	v_lshlrev_b32_e32 v18, 16, v122
	s_cmp_lt_i32 s9, s10
	s_waitcnt lgkmcnt(0)
	v_fmac_f32_e32 v110, v54, v18
	global_load_ushort v54, v[90:91], off
	global_load_ushort v40, v[70:71], off
	;; [unrolled: 1-line block ×8, first 2 shown]
	v_lshl_add_u64 v[100:101], s[12:13], 1, v[0:1]
	s_cselect_b32 s12, s9, s11
	s_ashr_i32 s13, s12, 31
	s_add_i32 s9, s0, 0xfffffb00
	s_cmp_lt_i32 s9, s10
	s_waitcnt vmcnt(30)
	v_lshlrev_b32_e32 v18, 16, v58
	v_lshl_add_u64 v[42:43], s[12:13], 1, v[0:1]
	s_cselect_b32 s12, s9, s11
	v_fmac_f32_e32 v110, v55, v18
	s_waitcnt vmcnt(29)
	v_lshlrev_b32_e32 v18, 16, v59
	s_ashr_i32 s13, s12, 31
	s_add_i32 s9, s0, 0xfffffb80
	v_fmac_f32_e32 v110, v56, v18
	s_waitcnt vmcnt(28)
	v_lshlrev_b32_e32 v18, 16, v60
	s_cmp_lt_i32 s9, s10
	v_fmac_f32_e32 v110, v57, v18
	ds_read_b128 v[18:21], v124 offset:64
	ds_read_b128 v[28:31], v124 offset:80
	v_lshl_add_u64 v[108:109], s[12:13], 1, v[0:1]
	s_cselect_b32 s12, s9, s11
	s_ashr_i32 s13, s12, 31
	s_add_i32 s9, s0, 0xfffffc00
	s_cmp_lt_i32 s9, s10
	v_lshl_add_u64 v[4:5], s[12:13], 1, v[0:1]
	s_cselect_b32 s12, s9, s11
	s_waitcnt vmcnt(27)
	v_lshlrev_b32_e32 v52, 16, v61
	s_ashr_i32 s13, s12, 31
	s_add_i32 s9, s0, 0xfffffc80
	s_waitcnt lgkmcnt(1)
	v_fmac_f32_e32 v110, v18, v52
	global_load_ushort v52, v[92:93], off
	s_cmp_lt_i32 s9, s10
	global_load_ushort v55, v[94:95], off
	global_load_ushort v56, v[96:97], off
	global_load_ushort v57, v[98:99], off
	global_load_ushort v58, v[102:103], off
	global_load_ushort v59, v[104:105], off
	v_lshl_add_u64 v[6:7], s[12:13], 1, v[0:1]
	s_cselect_b32 s12, s9, s11
	s_ashr_i32 s13, s12, 31
	s_add_i32 s9, s0, 0xfffffd00
	s_waitcnt vmcnt(32)
	v_lshlrev_b32_e32 v18, 16, v62
	s_cmp_lt_i32 s9, s10
	v_fmac_f32_e32 v110, v19, v18
	s_waitcnt vmcnt(28)
	v_lshlrev_b32_e32 v18, 16, v63
	v_lshl_add_u64 v[8:9], s[12:13], 1, v[0:1]
	s_cselect_b32 s12, s9, s11
	v_fmac_f32_e32 v110, v20, v18
	v_lshlrev_b32_e32 v18, 16, v66
	s_ashr_i32 s13, s12, 31
	s_add_i32 s9, s0, 0xfffffd80
	v_fmac_f32_e32 v110, v21, v18
	s_waitcnt vmcnt(27)
	v_lshlrev_b32_e32 v18, 16, v67
	s_cmp_lt_i32 s9, s10
	s_waitcnt lgkmcnt(0)
	v_fmac_f32_e32 v110, v28, v18
	global_load_ushort v28, v[106:107], off
	v_lshl_add_u64 v[12:13], s[12:13], 1, v[0:1]
	s_cselect_b32 s12, s9, s11
	global_load_ushort v60, v[100:101], off
	global_load_ushort v61, v[42:43], off
	;; [unrolled: 1-line block ×3, first 2 shown]
	s_ashr_i32 s13, s12, 31
	s_add_i32 s9, s0, 0xfffffe00
	v_lshlrev_b32_e32 v18, 16, v123
	s_cmp_lt_i32 s9, s10
	v_fmac_f32_e32 v110, v29, v18
	v_lshlrev_b32_e32 v18, 16, v125
	v_lshl_add_u64 v[10:11], s[12:13], 1, v[0:1]
	s_cselect_b32 s12, s9, s11
	v_fmac_f32_e32 v110, v30, v18
	global_load_ushort v29, v[4:5], off
	global_load_ushort v30, v[6:7], off
	s_ashr_i32 s13, s12, 31
	s_add_i32 s9, s0, 0xfffffe80
	s_cmp_lt_i32 s9, s10
	s_waitcnt vmcnt(32)
	v_lshlrev_b32_e32 v4, 16, v48
	v_lshl_add_u64 v[22:23], s[12:13], 1, v[0:1]
	s_cselect_b32 s12, s9, s11
	v_fmac_f32_e32 v110, v31, v4
	ds_read_b128 v[4:7], v124 offset:96
	s_ashr_i32 s13, s12, 31
	s_add_i32 s9, s0, 0xffffff00
	s_cmp_lt_i32 s9, s10
	s_waitcnt vmcnt(31)
	v_lshlrev_b32_e32 v31, 16, v36
	global_load_ushort v36, v[8:9], off
	global_load_ushort v42, v[12:13], off
	v_lshl_add_u64 v[14:15], s[12:13], 1, v[0:1]
	s_cselect_b32 s12, s9, s11
	s_ashr_i32 s13, s12, 31
	s_add_i32 s9, s0, 0xffffff80
	s_cmp_lt_i32 s9, s10
	ds_read_b128 v[18:21], v124 offset:112
	s_waitcnt lgkmcnt(1)
	v_fmac_f32_e32 v110, v4, v31
	s_waitcnt vmcnt(31)
	v_lshlrev_b32_e32 v4, 16, v37
	global_load_ushort v31, v[10:11], off
	global_load_ushort v37, v[22:23], off
	v_lshl_add_u64 v[24:25], s[12:13], 1, v[0:1]
	s_cselect_b32 s12, s9, s11
	s_ashr_i32 s13, s12, 31
	s_cmp_lt_i32 s0, s10
	global_load_ushort v22, v[14:15], off
	global_load_ushort v23, v[24:25], off
	v_lshl_add_u64 v[16:17], s[12:13], 1, v[0:1]
	s_cselect_b32 s12, s0, s11
	s_ashr_i32 s13, s12, 31
	v_lshl_add_u64 v[26:27], s[12:13], 1, v[0:1]
	global_load_ushort v14, v[16:17], off
	global_load_ushort v15, v[26:27], off
	v_fmac_f32_e32 v110, v5, v4
	s_waitcnt vmcnt(36)
	v_lshlrev_b32_e32 v3, 16, v3
	v_fmac_f32_e32 v110, v6, v3
	s_waitcnt vmcnt(35)
	v_lshlrev_b32_e32 v3, 16, v32
	;; [unrolled: 3-line block ×3, first 2 shown]
	ds_read_b128 v[4:7], v124 offset:128
	ds_read_b128 v[8:11], v124 offset:144
	s_waitcnt lgkmcnt(2)
	v_fmac_f32_e32 v110, v18, v3
	s_waitcnt vmcnt(33)
	v_lshlrev_b32_e32 v3, 16, v34
	v_fmac_f32_e32 v110, v19, v3
	s_waitcnt vmcnt(32)
	v_lshlrev_b32_e32 v3, 16, v35
	;; [unrolled: 3-line block ×4, first 2 shown]
	s_waitcnt lgkmcnt(1)
	v_fmac_f32_e32 v110, v4, v3
	s_waitcnt vmcnt(26)
	v_lshlrev_b32_e32 v3, 16, v40
	v_fmac_f32_e32 v110, v5, v3
	s_waitcnt vmcnt(25)
	v_lshlrev_b32_e32 v3, 16, v41
	v_fmac_f32_e32 v110, v6, v3
	v_lshlrev_b32_e32 v3, 16, v44
	v_fmac_f32_e32 v110, v7, v3
	s_waitcnt vmcnt(24)
	v_lshlrev_b32_e32 v3, 16, v45
	ds_read_b128 v[4:7], v124 offset:160
	s_waitcnt lgkmcnt(1)
	v_fmac_f32_e32 v110, v8, v3
	v_lshlrev_b32_e32 v3, 16, v46
	v_fmac_f32_e32 v110, v9, v3
	s_waitcnt vmcnt(23)
	v_lshlrev_b32_e32 v3, 16, v47
	v_fmac_f32_e32 v110, v10, v3
	v_lshlrev_b32_e32 v3, 16, v49
	v_fmac_f32_e32 v110, v11, v3
	ds_read_b128 v[8:11], v124 offset:176
	s_waitcnt vmcnt(22)
	v_lshlrev_b32_e32 v3, 16, v50
	s_waitcnt lgkmcnt(1)
	v_fmac_f32_e32 v110, v4, v3
	s_waitcnt vmcnt(21)
	v_lshlrev_b32_e32 v3, 16, v51
	v_fmac_f32_e32 v110, v5, v3
	s_waitcnt vmcnt(20)
	v_lshlrev_b32_e32 v3, 16, v53
	v_fmac_f32_e32 v110, v6, v3
	v_lshlrev_b32_e32 v3, 16, v54
	v_fmac_f32_e32 v110, v7, v3
	s_waitcnt vmcnt(19)
	v_lshlrev_b32_e32 v3, 16, v52
	s_waitcnt lgkmcnt(0)
	v_fmac_f32_e32 v110, v8, v3
	s_waitcnt vmcnt(18)
	v_lshlrev_b32_e32 v3, 16, v55
	ds_read_b128 v[4:7], v124 offset:192
	v_fmac_f32_e32 v110, v9, v3
	s_waitcnt vmcnt(17)
	v_lshlrev_b32_e32 v3, 16, v56
	v_fmac_f32_e32 v110, v10, v3
	s_waitcnt vmcnt(16)
	v_lshlrev_b32_e32 v3, 16, v57
	v_fmac_f32_e32 v110, v11, v3
	ds_read_b128 v[8:11], v124 offset:208
	s_waitcnt vmcnt(15)
	v_lshlrev_b32_e32 v3, 16, v58
	s_waitcnt lgkmcnt(1)
	v_fmac_f32_e32 v110, v4, v3
	s_waitcnt vmcnt(14)
	v_lshlrev_b32_e32 v3, 16, v59
	v_fmac_f32_e32 v110, v5, v3
	s_waitcnt vmcnt(13)
	v_lshlrev_b32_e32 v3, 16, v28
	;; [unrolled: 3-line block ×3, first 2 shown]
	s_waitcnt vmcnt(10)
	v_lshlrev_b32_e32 v5, 16, v62
	v_lshlrev_b32_e32 v4, 16, v61
	v_fmac_f32_e32 v110, v7, v3
	s_waitcnt lgkmcnt(0)
	v_pk_mul_f32 v[4:5], v[8:9], v[4:5]
	s_waitcnt vmcnt(6)
	v_lshlrev_b32_e32 v13, 16, v42
	v_add_f32_e32 v3, v110, v4
	v_add_f32_e32 v3, v3, v5
	v_lshlrev_b32_e32 v5, 16, v30
	v_lshlrev_b32_e32 v4, 16, v29
	v_pk_mul_f32 v[8:9], v[10:11], v[4:5]
	ds_read_b128 v[4:7], v124 offset:224
	v_add_f32_e32 v3, v3, v8
	v_lshlrev_b32_e32 v12, 16, v36
	v_add_f32_e32 v3, v3, v9
	ds_read_b128 v[8:11], v124 offset:240
	s_waitcnt lgkmcnt(1)
	v_pk_mul_f32 v[4:5], v[4:5], v[12:13]
	s_nop 0
	v_add_f32_e32 v3, v3, v4
	v_add_f32_e32 v3, v3, v5
	s_waitcnt vmcnt(4)
	v_lshlrev_b32_e32 v5, 16, v37
	v_lshlrev_b32_e32 v4, 16, v31
	v_pk_mul_f32 v[4:5], v[6:7], v[4:5]
	s_nop 0
	v_add_f32_e32 v3, v3, v4
	v_add_f32_e32 v3, v3, v5
	s_waitcnt vmcnt(2)
	v_lshlrev_b32_e32 v5, 16, v23
	v_lshlrev_b32_e32 v4, 16, v22
	s_waitcnt lgkmcnt(0)
	v_pk_mul_f32 v[4:5], v[8:9], v[4:5]
	s_nop 0
	v_add_f32_e32 v3, v3, v4
	v_add_f32_e32 v3, v3, v5
	s_waitcnt vmcnt(1)
	v_lshlrev_b32_e32 v4, 16, v14
	s_waitcnt vmcnt(0)
	v_lshlrev_b32_e32 v5, 16, v15
	v_pk_mul_f32 v[4:5], v[10:11], v[4:5]
	s_nop 0
	v_add_f32_e32 v3, v3, v4
	v_add_f32_e32 v110, v3, v5
	s_branch .LBB663_16
.LBB663_19:
	v_mov_b32_e32 v0, 0
	ds_read_b32 v0, v0 offset:3072
	s_cmp_lg_u64 s[6:7], 0
	s_cbranch_scc0 .LBB663_28
; %bb.20:
	s_load_dword s6, s[6:7], 0x0
	s_waitcnt lgkmcnt(0)
	v_div_scale_f32 v1, s[0:1], s6, s6, 1.0
	v_rcp_f32_e32 v3, v1
	v_div_scale_f32 v4, vcc, 1.0, s6, 1.0
	v_fma_f32 v5, -v1, v3, 1.0
	v_fmac_f32_e32 v3, v5, v3
	v_mul_f32_e32 v5, v4, v3
	v_fma_f32 v6, -v1, v5, v4
	v_fmac_f32_e32 v5, v6, v3
	v_fma_f32 v1, -v1, v5, v4
	v_div_fmas_f32 v1, v1, v3, v5
	v_div_fixup_f32 v1, v1, s6, 1.0
	s_andn2_b64 vcc, exec, s[42:43]
	s_cbranch_vccnz .LBB663_22
.LBB663_21:
	s_add_u32 s0, s40, s44
	s_addc_u32 s1, s41, s45
	s_load_dword s34, s[0:1], 0x0
	s_mov_b32 s35, 0
.LBB663_22:
	s_waitcnt lgkmcnt(0)
	v_add_f32_e32 v0, 0x358637bd, v0
	v_div_scale_f32 v3, s[0:1], v0, v0, 1.0
	v_rcp_f32_e32 v4, v3
	v_div_scale_f32 v5, vcc, 1.0, v0, 1.0
	s_mov_b32 s0, 0x7f800000
	v_fma_f32 v6, -v3, v4, 1.0
	v_fmac_f32_e32 v4, v6, v4
	v_mul_f32_e32 v6, v5, v4
	v_fma_f32 v7, -v3, v6, v5
	v_fmac_f32_e32 v6, v7, v4
	v_fma_f32 v3, -v3, v6, v5
	v_div_fmas_f32 v3, v3, v4, v6
	v_div_fixup_f32 v0, v3, v0, 1.0
	v_mul_f32_e32 v0, v110, v0
	v_mul_f32_e32 v1, v0, v1
	v_and_b32_e32 v0, 0x7f800000, v1
	v_cmp_ne_u32_e32 vcc, s0, v0
                                        ; implicit-def: $vgpr0
	s_and_saveexec_b64 s[0:1], vcc
	s_xor_b64 s[0:1], exec, s[0:1]
; %bb.23:
	v_bfe_u32 v0, v1, 16, 1
	s_movk_i32 s6, 0x7fff
	v_add3_u32 v0, v1, v0, s6
                                        ; implicit-def: $vgpr1
; %bb.24:
	s_andn2_saveexec_b64 s[0:1], s[0:1]
; %bb.25:
	v_mov_b32_e32 v0, 0
	v_or_b32_e32 v3, 0x10000, v1
	v_cmp_eq_u32_sdwa vcc, v1, v0 src0_sel:WORD_0 src1_sel:DWORD
	s_nop 1
	v_cndmask_b32_e32 v0, v3, v1, vcc
; %bb.26:
	s_or_b64 exec, exec, s[0:1]
	s_mul_i32 s0, s3, s35
	s_mul_hi_u32 s1, s3, s34
	s_add_i32 s1, s1, s0
	s_mul_i32 s0, s3, s34
	s_lshl_b64 s[0:1], s[0:1], 8
	s_add_u32 s4, s4, s0
	s_mov_b32 s3, 0
	s_addc_u32 s5, s5, s1
	s_lshl_b64 s[0:1], s[2:3], 8
	s_add_u32 s0, s4, s0
	s_addc_u32 s1, s5, s1
	global_store_short_d16_hi v2, v0, s[0:1]
	s_endpgm
.LBB663_27:
	s_mov_b64 s[6:7], 0
	s_branch .LBB663_2
.LBB663_28:
	v_mov_b32_e32 v1, 1.0
	s_andn2_b64 vcc, exec, s[42:43]
	s_cbranch_vccz .LBB663_21
	s_branch .LBB663_22
	.section	.rodata,"a",@progbits
	.p2align	6, 0x0
	.amdhsa_kernel _Z35paged_attention_ll4mi_reduce_kernelI14__hip_bfloat16S0_Li128ELi128ELi256ELi12EEvPT0_PKfS4_PKT_PKiS9_iS4_
		.amdhsa_group_segment_fixed_size 3076
		.amdhsa_private_segment_fixed_size 0
		.amdhsa_kernarg_size 320
		.amdhsa_user_sgpr_count 2
		.amdhsa_user_sgpr_dispatch_ptr 0
		.amdhsa_user_sgpr_queue_ptr 0
		.amdhsa_user_sgpr_kernarg_segment_ptr 1
		.amdhsa_user_sgpr_dispatch_id 0
		.amdhsa_user_sgpr_kernarg_preload_length 0
		.amdhsa_user_sgpr_kernarg_preload_offset 0
		.amdhsa_user_sgpr_private_segment_size 0
		.amdhsa_uses_dynamic_stack 0
		.amdhsa_enable_private_segment 0
		.amdhsa_system_sgpr_workgroup_id_x 1
		.amdhsa_system_sgpr_workgroup_id_y 1
		.amdhsa_system_sgpr_workgroup_id_z 0
		.amdhsa_system_sgpr_workgroup_info 0
		.amdhsa_system_vgpr_workitem_id 0
		.amdhsa_next_free_vgpr 126
		.amdhsa_next_free_sgpr 53
		.amdhsa_accum_offset 128
		.amdhsa_reserve_vcc 1
		.amdhsa_float_round_mode_32 0
		.amdhsa_float_round_mode_16_64 0
		.amdhsa_float_denorm_mode_32 3
		.amdhsa_float_denorm_mode_16_64 3
		.amdhsa_dx10_clamp 1
		.amdhsa_ieee_mode 1
		.amdhsa_fp16_overflow 0
		.amdhsa_tg_split 0
		.amdhsa_exception_fp_ieee_invalid_op 0
		.amdhsa_exception_fp_denorm_src 0
		.amdhsa_exception_fp_ieee_div_zero 0
		.amdhsa_exception_fp_ieee_overflow 0
		.amdhsa_exception_fp_ieee_underflow 0
		.amdhsa_exception_fp_ieee_inexact 0
		.amdhsa_exception_int_div_zero 0
	.end_amdhsa_kernel
	.section	.text._Z35paged_attention_ll4mi_reduce_kernelI14__hip_bfloat16S0_Li128ELi128ELi256ELi12EEvPT0_PKfS4_PKT_PKiS9_iS4_,"axG",@progbits,_Z35paged_attention_ll4mi_reduce_kernelI14__hip_bfloat16S0_Li128ELi128ELi256ELi12EEvPT0_PKfS4_PKT_PKiS9_iS4_,comdat
.Lfunc_end663:
	.size	_Z35paged_attention_ll4mi_reduce_kernelI14__hip_bfloat16S0_Li128ELi128ELi256ELi12EEvPT0_PKfS4_PKT_PKiS9_iS4_, .Lfunc_end663-_Z35paged_attention_ll4mi_reduce_kernelI14__hip_bfloat16S0_Li128ELi128ELi256ELi12EEvPT0_PKfS4_PKT_PKiS9_iS4_
                                        ; -- End function
	.section	.AMDGPU.csdata,"",@progbits
; Kernel info:
; codeLenInByte = 10216
; NumSgprs: 59
; NumVgprs: 126
; NumAgprs: 0
; TotalNumVgprs: 126
; ScratchSize: 0
; MemoryBound: 0
; FloatMode: 240
; IeeeMode: 1
; LDSByteSize: 3076 bytes/workgroup (compile time only)
; SGPRBlocks: 7
; VGPRBlocks: 15
; NumSGPRsForWavesPerEU: 59
; NumVGPRsForWavesPerEU: 126
; AccumOffset: 128
; Occupancy: 4
; WaveLimiterHint : 1
; COMPUTE_PGM_RSRC2:SCRATCH_EN: 0
; COMPUTE_PGM_RSRC2:USER_SGPR: 2
; COMPUTE_PGM_RSRC2:TRAP_HANDLER: 0
; COMPUTE_PGM_RSRC2:TGID_X_EN: 1
; COMPUTE_PGM_RSRC2:TGID_Y_EN: 1
; COMPUTE_PGM_RSRC2:TGID_Z_EN: 0
; COMPUTE_PGM_RSRC2:TIDIG_COMP_CNT: 0
; COMPUTE_PGM_RSRC3_GFX90A:ACCUM_OFFSET: 31
; COMPUTE_PGM_RSRC3_GFX90A:TG_SPLIT: 0
	.section	.text._Z35paged_attention_ll4mi_reduce_kernelI14__hip_bfloat16S0_Li128ELi128ELi256ELi13EEvPT0_PKfS4_PKT_PKiS9_iS4_,"axG",@progbits,_Z35paged_attention_ll4mi_reduce_kernelI14__hip_bfloat16S0_Li128ELi128ELi256ELi13EEvPT0_PKfS4_PKT_PKiS9_iS4_,comdat
	.protected	_Z35paged_attention_ll4mi_reduce_kernelI14__hip_bfloat16S0_Li128ELi128ELi256ELi13EEvPT0_PKfS4_PKT_PKiS9_iS4_ ; -- Begin function _Z35paged_attention_ll4mi_reduce_kernelI14__hip_bfloat16S0_Li128ELi128ELi256ELi13EEvPT0_PKfS4_PKT_PKiS9_iS4_
	.globl	_Z35paged_attention_ll4mi_reduce_kernelI14__hip_bfloat16S0_Li128ELi128ELi256ELi13EEvPT0_PKfS4_PKT_PKiS9_iS4_
	.p2align	8
	.type	_Z35paged_attention_ll4mi_reduce_kernelI14__hip_bfloat16S0_Li128ELi128ELi256ELi13EEvPT0_PKfS4_PKT_PKiS9_iS4_,@function
_Z35paged_attention_ll4mi_reduce_kernelI14__hip_bfloat16S0_Li128ELi128ELi256ELi13EEvPT0_PKfS4_PKT_PKiS9_iS4_: ; @_Z35paged_attention_ll4mi_reduce_kernelI14__hip_bfloat16S0_Li128ELi128ELi256ELi13EEvPT0_PKfS4_PKT_PKiS9_iS4_
; %bb.0:
	s_load_dwordx2 s[34:35], s[0:1], 0x28
	s_mov_b32 s30, s3
	s_mov_b64 s[4:5], 0
	s_waitcnt lgkmcnt(0)
	s_cmp_lg_u64 s[34:35], 0
	s_cselect_b64 s[44:45], -1, 0
	s_and_b64 vcc, exec, s[44:45]
	s_cbranch_vccz .LBB664_27
; %bb.1:
	s_add_i32 s6, s30, 1
	s_mov_b32 s7, 0
	s_lshl_b64 s[8:9], s[6:7], 2
	s_add_u32 s8, s34, s8
	s_mov_b32 s31, s7
	s_addc_u32 s9, s35, s9
	s_lshl_b64 s[6:7], s[30:31], 2
	s_add_u32 s6, s34, s6
	s_addc_u32 s7, s35, s7
	s_load_dword s3, s[8:9], 0x0
	s_load_dword s10, s[6:7], 0x0
	s_waitcnt lgkmcnt(0)
	s_sub_i32 s3, s3, s10
	s_cmp_eq_u32 s3, 1
	s_cselect_b64 s[6:7], -1, 0
	s_andn2_b64 vcc, exec, s[4:5]
	s_cbranch_vccnz .LBB664_3
.LBB664_2:
	s_mov_b32 s31, 0
	s_mov_b64 s[6:7], -1
.LBB664_3:
	s_andn2_b64 vcc, exec, s[6:7]
	s_cbranch_vccz .LBB664_5
; %bb.4:
	s_endpgm
.LBB664_5:
	s_load_dwordx4 s[36:39], s[0:1], 0x18
	s_load_dword s8, s[0:1], 0x30
	s_lshl_b64 s[46:47], s[30:31], 2
	v_cmp_lt_u32_e32 vcc, 63, v0
	s_waitcnt lgkmcnt(0)
	s_add_u32 s4, s38, s46
	s_addc_u32 s5, s39, s47
	s_load_dword s54, s[4:5], 0x0
	s_load_dword s3, s[0:1], 0x40
	s_mul_i32 s38, s2, s8
	s_mul_i32 s6, s30, s8
	s_waitcnt lgkmcnt(0)
	s_add_i32 s7, s54, 0xff
	s_ashr_i32 s4, s7, 31
	s_lshr_b32 s4, s4, 24
	s_add_i32 s7, s7, s4
	s_and_saveexec_b64 s[4:5], vcc
	s_xor_b64 s[4:5], exec, s[4:5]
	s_or_saveexec_b64 s[48:49], s[4:5]
	s_ashr_i32 s33, s7, 8
	v_mov_b32_e32 v1, s38
	s_mul_i32 s50, s6, s3
	s_xor_b64 exec, exec, s[48:49]
	s_cbranch_execz .LBB664_9
; %bb.6:
	s_add_i32 s4, s33, -1
	v_or_b32_e32 v3, 64, v0
	v_mov_b32_e32 v1, s4
	v_cmp_gt_u32_e64 s[24:25], s33, v3
	s_load_dwordx4 s[40:43], s[0:1], 0x8
	s_mov_b32 s51, 0
	v_cndmask_b32_e64 v4, v1, v3, s[24:25]
	v_or_b32_e32 v3, 0x80, v0
	v_cmp_gt_u32_e64 s[22:23], s33, v3
	s_lshl_b64 s[52:53], s[50:51], 2
	s_mov_b32 s39, s51
	v_cndmask_b32_e64 v6, v1, v3, s[22:23]
	v_or_b32_e32 v3, 0xc0, v0
	v_cmp_gt_u32_e64 s[20:21], s33, v3
	v_cmp_gt_u32_e64 s[26:27], s33, v0
	s_waitcnt lgkmcnt(0)
	s_add_u32 s28, s42, s52
	v_cndmask_b32_e64 v8, v1, v3, s[20:21]
	v_or_b32_e32 v3, 0x100, v0
	v_cmp_gt_u32_e64 s[18:19], s33, v3
	v_cndmask_b32_e64 v2, v1, v0, s[26:27]
	s_addc_u32 s29, s43, s53
	v_cndmask_b32_e64 v10, v1, v3, s[18:19]
	v_or_b32_e32 v3, 0x140, v0
	v_cmp_gt_u32_e64 s[16:17], s33, v3
	s_lshl_b64 s[42:43], s[38:39], 2
	s_add_u32 s28, s28, s42
	v_cndmask_b32_e64 v12, v1, v3, s[16:17]
	v_or_b32_e32 v3, 0x180, v0
	v_cmp_gt_u32_e64 s[14:15], s33, v3
	v_ashrrev_i32_e32 v13, 31, v12
	s_addc_u32 s29, s29, s43
	v_cndmask_b32_e64 v14, v1, v3, s[14:15]
	v_or_b32_e32 v3, 0x1c0, v0
	v_cmp_gt_u32_e64 s[12:13], s33, v3
	v_ashrrev_i32_e32 v15, 31, v14
	v_ashrrev_i32_e32 v5, 31, v4
	v_cndmask_b32_e64 v16, v1, v3, s[12:13]
	v_or_b32_e32 v3, 0x200, v0
	v_cmp_gt_u32_e64 s[10:11], s33, v3
	v_ashrrev_i32_e32 v7, 31, v6
	v_ashrrev_i32_e32 v9, 31, v8
	v_cndmask_b32_e64 v18, v1, v3, s[10:11]
	v_or_b32_e32 v3, 0x240, v0
	v_cmp_gt_u32_e64 s[8:9], s33, v3
	v_ashrrev_i32_e32 v11, 31, v10
	v_lshlrev_b64 v[12:13], 2, v[12:13]
	v_cndmask_b32_e64 v20, v1, v3, s[8:9]
	v_or_b32_e32 v3, 0x280, v0
	v_cmp_gt_u32_e64 s[6:7], s33, v3
	v_lshlrev_b64 v[14:15], 2, v[14:15]
	v_ashrrev_i32_e32 v17, 31, v16
	v_cndmask_b32_e64 v22, v1, v3, s[6:7]
	v_or_b32_e32 v3, 0x2c0, v0
	v_cmp_gt_u32_e64 s[4:5], s33, v3
	v_lshlrev_b64 v[4:5], 2, v[4:5]
	v_lshlrev_b64 v[6:7], 2, v[6:7]
	v_cndmask_b32_e64 v24, v1, v3, s[4:5]
	v_or_b32_e32 v3, 0x300, v0
	v_cmp_gt_u32_e32 vcc, s33, v3
	v_lshlrev_b64 v[8:9], 2, v[8:9]
	v_lshlrev_b64 v[10:11], 2, v[10:11]
	v_cndmask_b32_e32 v26, v1, v3, vcc
	v_ashrrev_i32_e32 v3, 31, v2
	v_lshlrev_b64 v[2:3], 2, v[2:3]
	v_lshl_add_u64 v[28:29], s[28:29], 0, v[2:3]
	v_lshl_add_u64 v[38:39], s[28:29], 0, v[12:13]
	;; [unrolled: 1-line block ×3, first 2 shown]
	v_lshlrev_b64 v[16:17], 2, v[16:17]
	v_ashrrev_i32_e32 v19, 31, v18
	v_ashrrev_i32_e32 v21, 31, v20
	;; [unrolled: 1-line block ×3, first 2 shown]
	v_lshl_add_u64 v[30:31], s[28:29], 0, v[4:5]
	v_lshl_add_u64 v[32:33], s[28:29], 0, v[6:7]
	v_lshl_add_u64 v[34:35], s[28:29], 0, v[8:9]
	v_lshl_add_u64 v[36:37], s[28:29], 0, v[10:11]
	v_lshl_add_u64 v[42:43], s[28:29], 0, v[16:17]
	global_load_dword v1, v[28:29], off
	global_load_dword v44, v[30:31], off
	;; [unrolled: 1-line block ×5, first 2 shown]
	s_nop 0
	global_load_dword v38, v[38:39], off
	s_nop 0
	global_load_dword v39, v[40:41], off
	s_nop 0
	global_load_dword v40, v[42:43], off
	v_lshlrev_b64 v[18:19], 2, v[18:19]
	v_lshlrev_b64 v[20:21], 2, v[20:21]
	;; [unrolled: 1-line block ×3, first 2 shown]
	v_ashrrev_i32_e32 v25, 31, v24
	v_ashrrev_i32_e32 v27, 31, v26
	v_lshl_add_u64 v[28:29], s[28:29], 0, v[18:19]
	v_lshl_add_u64 v[30:31], s[28:29], 0, v[20:21]
	;; [unrolled: 1-line block ×3, first 2 shown]
	v_lshlrev_b64 v[24:25], 2, v[24:25]
	v_lshlrev_b64 v[26:27], 2, v[26:27]
	v_lshl_add_u64 v[34:35], s[28:29], 0, v[24:25]
	v_lshl_add_u64 v[36:37], s[28:29], 0, v[26:27]
	global_load_dword v28, v[28:29], off
	s_nop 0
	global_load_dword v29, v[30:31], off
	s_nop 0
	global_load_dword v30, v[32:33], off
	global_load_dword v31, v[34:35], off
	s_nop 0
	global_load_dword v32, v[36:37], off
	v_mbcnt_lo_u32_b32 v34, -1, 0
	v_mbcnt_hi_u32_b32 v34, -1, v34
	v_and_b32_e32 v35, 64, v34
	v_add_u32_e32 v35, 64, v35
	v_xor_b32_e32 v36, 32, v34
	v_cmp_lt_i32_e64 s[28:29], v36, v35
	s_mov_b32 s39, 0x3fb8aa3b
	s_waitcnt vmcnt(10)
	v_max3_f32 v33, v1, v44, v45
	v_cndmask_b32_e64 v36, v34, v36, s[28:29]
	s_waitcnt vmcnt(8)
	v_max3_f32 v33, v33, v46, v47
	v_lshlrev_b32_e32 v36, 2, v36
	s_waitcnt vmcnt(6)
	v_max3_f32 v33, v33, v38, v39
	s_waitcnt vmcnt(4)
	v_max3_f32 v33, v33, v40, v28
	;; [unrolled: 2-line block ×4, first 2 shown]
	ds_bpermute_b32 v37, v36, v33
	s_waitcnt lgkmcnt(0)
	v_max_f32_e32 v37, v37, v37
	v_max_f32_e32 v33, v33, v37
	v_xor_b32_e32 v37, 16, v34
	v_cmp_lt_i32_e64 s[28:29], v37, v35
	s_nop 1
	v_cndmask_b32_e64 v37, v34, v37, s[28:29]
	v_lshlrev_b32_e32 v37, 2, v37
	ds_bpermute_b32 v41, v37, v33
	s_waitcnt lgkmcnt(0)
	v_max_f32_e32 v41, v41, v41
	v_max_f32_e32 v33, v33, v41
	v_xor_b32_e32 v41, 8, v34
	v_cmp_lt_i32_e64 s[28:29], v41, v35
	s_nop 1
	v_cndmask_b32_e64 v41, v34, v41, s[28:29]
	v_lshlrev_b32_e32 v41, 2, v41
	ds_bpermute_b32 v42, v41, v33
	s_add_u32 s28, s40, s52
	s_addc_u32 s29, s41, s53
	s_add_u32 s40, s28, s42
	s_addc_u32 s41, s29, s43
	s_waitcnt lgkmcnt(0)
	v_max_f32_e32 v42, v42, v42
	v_max_f32_e32 v33, v33, v42
	v_xor_b32_e32 v42, 4, v34
	v_lshl_add_u64 v[2:3], s[40:41], 0, v[2:3]
	v_cmp_lt_i32_e64 s[28:29], v42, v35
	global_load_dword v43, v[2:3], off
	s_nop 0
	v_cndmask_b32_e64 v2, v34, v42, s[28:29]
	v_lshlrev_b32_e32 v42, 2, v2
	ds_bpermute_b32 v2, v42, v33
	s_waitcnt lgkmcnt(0)
	v_max_f32_e32 v2, v2, v2
	v_max_f32_e32 v33, v33, v2
	v_xor_b32_e32 v2, 2, v34
	v_cmp_lt_i32_e64 s[28:29], v2, v35
	s_nop 1
	v_cndmask_b32_e64 v2, v34, v2, s[28:29]
	v_lshlrev_b32_e32 v48, 2, v2
	ds_bpermute_b32 v49, v48, v33
	v_lshl_add_u64 v[2:3], s[40:41], 0, v[4:5]
	global_load_dword v50, v[2:3], off
	v_lshl_add_u64 v[4:5], s[40:41], 0, v[8:9]
	v_lshl_add_u64 v[8:9], s[40:41], 0, v[12:13]
	s_waitcnt lgkmcnt(0)
	v_max_f32_e32 v2, v49, v49
	v_max_f32_e32 v33, v33, v2
	v_xor_b32_e32 v2, 1, v34
	v_cmp_lt_i32_e64 s[28:29], v2, v35
	s_nop 1
	v_cndmask_b32_e64 v2, v34, v2, s[28:29]
	v_lshlrev_b32_e32 v34, 2, v2
	v_lshl_add_u64 v[2:3], s[40:41], 0, v[6:7]
	global_load_dword v12, v[2:3], off
	v_lshl_add_u64 v[6:7], s[40:41], 0, v[10:11]
	v_lshl_add_u64 v[2:3], s[40:41], 0, v[14:15]
	;; [unrolled: 1-line block ×3, first 2 shown]
	global_load_dword v13, v[4:5], off
	global_load_dword v14, v[6:7], off
	;; [unrolled: 1-line block ×5, first 2 shown]
	ds_bpermute_b32 v35, v34, v33
	v_lshl_add_u64 v[2:3], s[40:41], 0, v[18:19]
	v_lshl_add_u64 v[4:5], s[40:41], 0, v[20:21]
	;; [unrolled: 1-line block ×4, first 2 shown]
	s_waitcnt lgkmcnt(0)
	v_max_f32_e32 v18, v35, v35
	v_max_f32_e32 v18, v33, v18
	v_sub_f32_e32 v1, v1, v18
	v_mul_f32_e32 v19, 0x3fb8aa3b, v1
	v_fma_f32 v20, v1, s39, -v19
	v_rndne_f32_e32 v21, v19
	v_fmac_f32_e32 v20, 0x32a5705f, v1
	v_sub_f32_e32 v19, v19, v21
	v_lshl_add_u64 v[10:11], s[40:41], 0, v[26:27]
	v_add_f32_e32 v19, v19, v20
	v_cvt_i32_f32_e32 v20, v21
	global_load_dword v21, v[2:3], off
	global_load_dword v22, v[4:5], off
	;; [unrolled: 1-line block ×5, first 2 shown]
	v_sub_f32_e32 v4, v44, v18
	v_mul_f32_e32 v5, 0x3fb8aa3b, v4
	v_fma_f32 v6, v4, s39, -v5
	v_rndne_f32_e32 v7, v5
	v_exp_f32_e32 v19, v19
	v_fmac_f32_e32 v6, 0x32a5705f, v4
	v_sub_f32_e32 v5, v5, v7
	v_add_f32_e32 v5, v5, v6
	v_exp_f32_e32 v5, v5
	v_cvt_i32_f32_e32 v6, v7
	s_mov_b32 s40, 0xc2ce8ed0
	v_ldexp_f32 v2, v19, v20
	v_cmp_ngt_f32_e64 s[28:29], s40, v1
	s_mov_b32 s41, 0x42b17218
	v_mov_b32_e32 v3, 0x7f800000
	v_cndmask_b32_e64 v2, 0, v2, s[28:29]
	v_cmp_nlt_f32_e64 s[28:29], s41, v1
	s_nop 1
	v_cndmask_b32_e64 v1, v3, v2, s[28:29]
	v_ldexp_f32 v2, v5, v6
	v_sub_f32_e32 v5, v45, v18
	v_mul_f32_e32 v6, 0x3fb8aa3b, v5
	v_fma_f32 v7, v5, s39, -v6
	v_rndne_f32_e32 v8, v6
	v_fmac_f32_e32 v7, 0x32a5705f, v5
	v_sub_f32_e32 v6, v6, v8
	v_add_f32_e32 v6, v6, v7
	v_exp_f32_e32 v6, v6
	v_cvt_i32_f32_e32 v7, v8
	v_cndmask_b32_e64 v1, 0, v1, s[26:27]
	v_cmp_ngt_f32_e64 s[26:27], s40, v4
	s_waitcnt vmcnt(12)
	v_mul_f32_e32 v1, v43, v1
	v_cndmask_b32_e64 v2, 0, v2, s[26:27]
	v_cmp_nlt_f32_e64 s[26:27], s41, v4
	v_ldexp_f32 v4, v6, v7
	v_sub_f32_e32 v6, v46, v18
	v_mul_f32_e32 v7, 0x3fb8aa3b, v6
	v_fma_f32 v8, v6, s39, -v7
	v_rndne_f32_e32 v9, v7
	v_fmac_f32_e32 v8, 0x32a5705f, v6
	v_sub_f32_e32 v7, v7, v9
	v_add_f32_e32 v7, v7, v8
	v_exp_f32_e32 v7, v7
	v_cvt_i32_f32_e32 v8, v9
	v_cndmask_b32_e64 v2, v3, v2, s[26:27]
	v_cndmask_b32_e64 v2, 0, v2, s[24:25]
	v_cmp_ngt_f32_e64 s[24:25], s40, v5
	s_waitcnt vmcnt(11)
	v_mul_f32_e32 v2, v50, v2
	v_cndmask_b32_e64 v4, 0, v4, s[24:25]
	v_cmp_nlt_f32_e64 s[24:25], s41, v5
	v_ldexp_f32 v5, v7, v8
	v_sub_f32_e32 v7, v47, v18
	v_mul_f32_e32 v8, 0x3fb8aa3b, v7
	v_fma_f32 v9, v7, s39, -v8
	v_rndne_f32_e32 v10, v8
	v_fmac_f32_e32 v9, 0x32a5705f, v7
	v_sub_f32_e32 v8, v8, v10
	v_add_f32_e32 v8, v8, v9
	v_exp_f32_e32 v8, v8
	v_cvt_i32_f32_e32 v9, v10
	v_cndmask_b32_e64 v4, v3, v4, s[24:25]
	;; [unrolled: 17-line block ×9, first 2 shown]
	v_cndmask_b32_e64 v11, 0, v11, s[8:9]
	v_cmp_ngt_f32_e64 s[8:9], s40, v13
	s_waitcnt vmcnt(3)
	v_mul_f32_e32 v11, v22, v11
	v_cndmask_b32_e64 v12, 0, v12, s[8:9]
	v_cmp_nlt_f32_e64 s[8:9], s41, v13
	v_ldexp_f32 v13, v15, v16
	v_sub_f32_e32 v15, v32, v18
	v_mul_f32_e32 v16, 0x3fb8aa3b, v15
	v_fma_f32 v17, v15, s39, -v16
	v_rndne_f32_e32 v18, v16
	v_fmac_f32_e32 v17, 0x32a5705f, v15
	v_sub_f32_e32 v16, v16, v18
	v_add_f32_e32 v16, v16, v17
	v_cndmask_b32_e64 v12, v3, v12, s[8:9]
	v_exp_f32_e32 v16, v16
	v_cvt_i32_f32_e32 v17, v18
	v_cndmask_b32_e64 v12, 0, v12, s[6:7]
	v_cmp_ngt_f32_e64 s[6:7], s40, v14
	s_waitcnt vmcnt(2)
	v_mul_f32_e32 v12, v23, v12
	v_cndmask_b32_e64 v13, 0, v13, s[6:7]
	v_cmp_nlt_f32_e64 s[6:7], s41, v14
	v_ldexp_f32 v14, v16, v17
	v_lshlrev_b32_e32 v16, 2, v0
	v_cndmask_b32_e64 v13, v3, v13, s[6:7]
	v_cndmask_b32_e64 v13, 0, v13, s[4:5]
	v_cmp_ngt_f32_e64 s[4:5], s40, v15
	ds_write2st64_b32 v16, v1, v2 offset1:1
	ds_write2st64_b32 v16, v4, v5 offset0:2 offset1:3
	ds_write2st64_b32 v16, v6, v7 offset0:4 offset1:5
	ds_write2st64_b32 v16, v8, v9 offset0:6 offset1:7
	v_cndmask_b32_e64 v14, 0, v14, s[4:5]
	v_cmp_nlt_f32_e64 s[4:5], s41, v15
	s_nop 1
	v_cndmask_b32_e64 v3, v3, v14, s[4:5]
	v_add_f32_e32 v14, v1, v2
	v_add_f32_e32 v14, v14, v4
	;; [unrolled: 1-line block ×10, first 2 shown]
	v_cndmask_b32_e32 v3, 0, v3, vcc
	s_waitcnt vmcnt(1)
	v_fmac_f32_e32 v14, v24, v13
	s_waitcnt vmcnt(0)
	v_fmac_f32_e32 v14, v25, v3
	ds_bpermute_b32 v15, v36, v14
	v_cmp_eq_u32_e32 vcc, 0, v0
	v_mul_f32_e32 v13, v24, v13
	v_mul_f32_e32 v3, v25, v3
	ds_write2st64_b32 v16, v10, v11 offset0:8 offset1:9
	ds_write2st64_b32 v16, v12, v13 offset0:10 offset1:11
	ds_write_b32 v16, v3 offset:3072
	s_waitcnt lgkmcnt(3)
	v_add_f32_e32 v14, v14, v15
	ds_bpermute_b32 v15, v37, v14
	s_waitcnt lgkmcnt(0)
	v_add_f32_e32 v14, v14, v15
	ds_bpermute_b32 v15, v41, v14
	;; [unrolled: 3-line block ×5, first 2 shown]
	s_and_saveexec_b64 s[4:5], vcc
	s_cbranch_execz .LBB664_8
; %bb.7:
	s_waitcnt lgkmcnt(0)
	v_add_f32_e32 v1, v1, v2
	v_mov_b32_e32 v2, 0
	ds_write_b32 v2, v1 offset:3328
.LBB664_8:
	s_or_b64 exec, exec, s[4:5]
	v_mov_b32_e32 v1, s38
.LBB664_9:
	s_or_b64 exec, exec, s[48:49]
	s_lshl_b32 s4, s50, 7
	s_mov_b32 s5, 0
	s_lshl_b64 s[4:5], s[4:5], 1
	s_add_u32 s4, s36, s4
	s_addc_u32 s5, s37, s5
	s_lshl_b32 s10, s33, 7
	s_add_i32 s11, s10, 0xffffff80
	s_waitcnt lgkmcnt(0)
	v_lshlrev_b32_e32 v2, 7, v1
	v_mov_b32_e32 v3, 0
	s_cmp_lt_i32 s54, 1
	v_lshl_add_u64 v[4:5], v[2:3], 1, s[4:5]
	s_cselect_b32 s4, s11, 0
	v_lshlrev_b32_e32 v2, 1, v0
	s_ashr_i32 s5, s4, 31
	v_lshl_add_u64 v[0:1], v[4:5], 0, v[2:3]
	s_cmpk_lt_i32 s54, 0x101
	v_lshl_add_u64 v[4:5], s[4:5], 1, v[0:1]
	s_cselect_b32 s4, s11, 0x80
	s_ashr_i32 s5, s4, 31
	s_cmpk_lt_i32 s54, 0x201
	v_lshl_add_u64 v[6:7], s[4:5], 1, v[0:1]
	s_cselect_b32 s4, s11, 0x100
	s_ashr_i32 s5, s4, 31
	;; [unrolled: 4-line block ×8, first 2 shown]
	s_cmpk_lt_i32 s54, 0x901
	global_load_ushort v23, v[4:5], off
	global_load_ushort v22, v[6:7], off
	;; [unrolled: 1-line block ×8, first 2 shown]
	v_lshl_add_u64 v[4:5], s[4:5], 1, v[0:1]
	s_cselect_b32 s4, s11, 0x480
	s_ashr_i32 s5, s4, 31
	s_cmpk_lt_i32 s54, 0xa01
	v_lshl_add_u64 v[6:7], s[4:5], 1, v[0:1]
	s_cselect_b32 s4, s11, 0x500
	s_ashr_i32 s5, s4, 31
	s_cmpk_lt_i32 s54, 0xb01
	;; [unrolled: 4-line block ×6, first 2 shown]
	v_lshl_add_u64 v[32:33], s[4:5], 1, v[0:1]
	s_cselect_b32 s4, s11, 0x780
	s_ashr_i32 s5, s4, 31
	v_lshl_add_u64 v[34:35], s[4:5], 1, v[0:1]
	global_load_ushort v30, v[4:5], off
	global_load_ushort v31, v[6:7], off
	;; [unrolled: 1-line block ×8, first 2 shown]
	s_cmpk_gt_i32 s54, 0x1000
	s_cselect_b64 s[8:9], -1, 0
	s_cmpk_lt_i32 s54, 0x1001
	v_mov_b32_e32 v40, 0
	v_mov_b32_e32 v41, 0
	;; [unrolled: 1-line block ×48, first 2 shown]
	s_barrier
	s_cbranch_scc1 .LBB664_12
; %bb.10:
	s_cmpk_lt_u32 s54, 0x1101
	s_cselect_b32 s4, s11, 0x880
	s_ashr_i32 s5, s4, 31
	s_cmpk_lt_u32 s54, 0x1201
	v_lshl_add_u64 v[6:7], s[4:5], 1, v[0:1]
	s_cselect_b32 s4, s11, 0x900
	s_ashr_i32 s5, s4, 31
	s_cmpk_lt_u32 s54, 0x1301
	v_lshl_add_u64 v[8:9], s[4:5], 1, v[0:1]
	;; [unrolled: 4-line block ×7, first 2 shown]
	s_cselect_b32 s4, s11, 0xc00
	v_add_co_u32_e32 v4, vcc, 0x1000, v0
	s_ashr_i32 s5, s4, 31
	s_nop 0
	v_addc_co_u32_e32 v5, vcc, 0, v1, vcc
	s_cmpk_lt_u32 s54, 0x1901
	global_load_ushort v39, v[4:5], off
	global_load_ushort v38, v[6:7], off
	;; [unrolled: 1-line block ×8, first 2 shown]
	v_lshl_add_u64 v[4:5], s[4:5], 1, v[0:1]
	s_cselect_b32 s4, s11, 0xc80
	s_ashr_i32 s5, s4, 31
	s_cmpk_lt_u32 s54, 0x1a01
	v_lshl_add_u64 v[6:7], s[4:5], 1, v[0:1]
	s_cselect_b32 s4, s11, 0xd00
	s_ashr_i32 s5, s4, 31
	s_cmpk_lt_u32 s54, 0x1b01
	;; [unrolled: 4-line block ×6, first 2 shown]
	v_lshl_add_u64 v[48:49], s[4:5], 1, v[0:1]
	s_cselect_b32 s4, s11, 0xf80
	s_ashr_i32 s5, s4, 31
	v_lshl_add_u64 v[50:51], s[4:5], 1, v[0:1]
	global_load_ushort v47, v[4:5], off
	global_load_ushort v46, v[6:7], off
	;; [unrolled: 1-line block ×8, first 2 shown]
	s_cmpk_lt_u32 s54, 0x2001
	v_mov_b32_e32 v67, 0
	v_mov_b32_e32 v65, 0
	;; [unrolled: 1-line block ×32, first 2 shown]
	s_cbranch_scc1 .LBB664_12
; %bb.11:
	s_cmpk_lt_u32 s54, 0x2101
	s_cselect_b32 s4, s11, 0x1080
	s_ashr_i32 s5, s4, 31
	s_cmpk_lt_u32 s54, 0x2201
	v_lshl_add_u64 v[4:5], s[4:5], 1, v[0:1]
	s_cselect_b32 s4, s11, 0x1100
	s_ashr_i32 s5, s4, 31
	s_cmpk_lt_u32 s54, 0x2301
	v_lshl_add_u64 v[6:7], s[4:5], 1, v[0:1]
	;; [unrolled: 4-line block ×29, first 2 shown]
	s_cselect_b32 s4, s11, 0x1f00
	s_ashr_i32 s5, s4, 31
	v_lshl_add_u64 v[94:95], s[4:5], 1, v[0:1]
	s_movk_i32 s4, 0x2000
	s_cmpk_lt_u32 s54, 0x3f01
	v_add_co_u32_e32 v96, vcc, s4, v0
	s_cselect_b32 s4, s11, 0x1f80
	s_nop 0
	v_addc_co_u32_e32 v97, vcc, 0, v1, vcc
	s_ashr_i32 s5, s4, 31
	global_load_ushort v98, v[96:97], off
	global_load_ushort v99, v[4:5], off
	;; [unrolled: 1-line block ×15, first 2 shown]
                                        ; kill: killed $vgpr54_vgpr55
                                        ; kill: killed $vgpr6_vgpr7
                                        ; kill: killed $vgpr60_vgpr61
                                        ; kill: killed $vgpr12_vgpr13
                                        ; kill: killed $vgpr50_vgpr51
                                        ; kill: killed $vgpr56_vgpr57
                                        ; kill: killed $vgpr8_vgpr9
                                        ; kill: killed $vgpr62_vgpr63
                                        ; kill: killed $vgpr14_vgpr15
                                        ; kill: killed $vgpr96 killed $vgpr97
                                        ; kill: killed $vgpr52_vgpr53
                                        ; kill: killed $vgpr4_vgpr5
                                        ; kill: killed $vgpr58_vgpr59
                                        ; kill: killed $vgpr10_vgpr11
                                        ; kill: killed $vgpr48_vgpr49
	global_load_ushort v6, v[64:65], off
	global_load_ushort v7, v[66:67], off
	;; [unrolled: 1-line block ×15, first 2 shown]
                                        ; kill: killed $vgpr70_vgpr71
                                        ; kill: killed $vgpr92_vgpr93
                                        ; kill: killed $vgpr76_vgpr77
                                        ; kill: killed $vgpr82_vgpr83
                                        ; kill: killed $vgpr66_vgpr67
                                        ; kill: killed $vgpr88_vgpr89
                                        ; kill: killed $vgpr72_vgpr73
                                        ; kill: killed $vgpr94_vgpr95
                                        ; kill: killed $vgpr78_vgpr79
                                        ; kill: killed $vgpr84_vgpr85
                                        ; kill: killed $vgpr68_vgpr69
                                        ; kill: killed $vgpr90_vgpr91
                                        ; kill: killed $vgpr74_vgpr75
                                        ; kill: killed $vgpr80_vgpr81
                                        ; kill: killed $vgpr64_vgpr65
	global_load_ushort v68, v[86:87], off
	v_lshl_add_u64 v[4:5], s[4:5], 1, v[0:1]
	global_load_ushort v5, v[4:5], off
	s_waitcnt vmcnt(31)
	v_lshlrev_b32_e32 v67, 16, v98
	s_waitcnt vmcnt(30)
	v_lshlrev_b32_e32 v65, 16, v99
	;; [unrolled: 2-line block ×32, first 2 shown]
.LBB664_12:
	s_load_dwordx2 s[4:5], s[0:1], 0x0
	s_load_dwordx2 s[6:7], s[0:1], 0x38
	ds_read_b128 v[68:71], v3
	s_waitcnt vmcnt(15)
	v_lshlrev_b32_e32 v23, 16, v23
	ds_read_b128 v[72:75], v3 offset:16
	ds_read_b128 v[76:79], v3 offset:32
	;; [unrolled: 1-line block ×3, first 2 shown]
	s_waitcnt vmcnt(14)
	v_lshlrev_b32_e32 v22, 16, v22
	s_waitcnt vmcnt(13)
	v_lshlrev_b32_e32 v21, 16, v21
	s_waitcnt lgkmcnt(0)
	v_fma_f32 v23, v68, v23, 0
	v_fmac_f32_e32 v23, v69, v22
	v_fmac_f32_e32 v23, v70, v21
	s_waitcnt vmcnt(12)
	v_lshlrev_b32_e32 v20, 16, v20
	s_waitcnt vmcnt(10)
	v_lshlrev_b32_e32 v19, 16, v19
	v_lshlrev_b32_e32 v18, 16, v18
	v_fmac_f32_e32 v23, v71, v20
	v_pk_mul_f32 v[18:19], v[72:73], v[18:19]
	s_waitcnt vmcnt(8)
	v_lshlrev_b32_e32 v17, 16, v17
	v_add_f32_e32 v18, v23, v18
	v_lshlrev_b32_e32 v16, 16, v16
	v_add_f32_e32 v18, v18, v19
	v_pk_mul_f32 v[16:17], v[74:75], v[16:17]
	s_and_b64 vcc, exec, s[8:9]
	v_add_f32_e32 v16, v18, v16
	v_add_f32_e32 v18, v16, v17
	s_waitcnt vmcnt(6)
	v_lshlrev_b32_e32 v17, 16, v31
	v_lshlrev_b32_e32 v16, 16, v30
	v_pk_mul_f32 v[16:17], v[76:77], v[16:17]
	s_nop 0
	v_add_f32_e32 v16, v18, v16
	v_add_f32_e32 v18, v16, v17
	s_waitcnt vmcnt(4)
	v_lshlrev_b32_e32 v17, 16, v29
	v_lshlrev_b32_e32 v16, 16, v28
	v_pk_mul_f32 v[16:17], v[78:79], v[16:17]
	s_nop 0
	v_add_f32_e32 v16, v18, v16
	v_add_f32_e32 v18, v16, v17
	s_waitcnt vmcnt(2)
	v_lshlrev_b32_e32 v17, 16, v27
	v_lshlrev_b32_e32 v16, 16, v26
	v_pk_mul_f32 v[16:17], v[80:81], v[16:17]
	s_nop 0
	v_add_f32_e32 v16, v18, v16
	v_add_f32_e32 v18, v16, v17
	s_waitcnt vmcnt(0)
	v_lshlrev_b32_e32 v17, 16, v25
	v_lshlrev_b32_e32 v16, 16, v24
	v_pk_mul_f32 v[16:17], v[82:83], v[16:17]
	s_nop 0
	v_add_f32_e32 v16, v18, v16
	v_add_f32_e32 v110, v16, v17
	s_cbranch_vccz .LBB664_15
; %bb.13:
	ds_read_b128 v[16:19], v3 offset:64
	v_lshlrev_b32_e32 v39, 16, v39
	ds_read_b128 v[20:23], v3 offset:80
	ds_read_b128 v[24:27], v3 offset:96
	;; [unrolled: 1-line block ×3, first 2 shown]
	v_lshlrev_b32_e32 v3, 16, v38
	s_cmpk_lt_u32 s54, 0x2001
	s_waitcnt lgkmcnt(3)
	v_fmac_f32_e32 v110, v16, v39
	v_fmac_f32_e32 v110, v17, v3
	v_lshlrev_b32_e32 v3, 16, v37
	v_fmac_f32_e32 v110, v18, v3
	v_lshlrev_b32_e32 v3, 16, v36
	v_fmac_f32_e32 v110, v19, v3
	v_lshlrev_b32_e32 v3, 16, v35
	s_waitcnt lgkmcnt(2)
	v_fmac_f32_e32 v110, v20, v3
	v_lshlrev_b32_e32 v3, 16, v34
	v_fmac_f32_e32 v110, v21, v3
	v_lshlrev_b32_e32 v3, 16, v33
	v_fmac_f32_e32 v110, v22, v3
	v_lshlrev_b32_e32 v3, 16, v32
	v_fmac_f32_e32 v110, v23, v3
	v_lshlrev_b32_e32 v3, 16, v47
	s_waitcnt lgkmcnt(1)
	v_fmac_f32_e32 v110, v24, v3
	v_lshlrev_b32_e32 v3, 16, v46
	;; [unrolled: 9-line block ×3, first 2 shown]
	v_fmac_f32_e32 v110, v29, v3
	v_lshlrev_b32_e32 v3, 16, v41
	v_fmac_f32_e32 v110, v30, v3
	v_lshlrev_b32_e32 v3, 16, v40
	v_fmac_f32_e32 v110, v31, v3
	s_cbranch_scc1 .LBB664_15
; %bb.14:
	v_mov_b32_e32 v3, 0
	ds_read_b128 v[16:19], v3 offset:128
	ds_read_b128 v[20:23], v3 offset:144
	;; [unrolled: 1-line block ×4, first 2 shown]
	s_waitcnt lgkmcnt(3)
	v_fmac_f32_e32 v110, v16, v67
	v_fmac_f32_e32 v110, v17, v65
	v_fmac_f32_e32 v110, v18, v66
	v_fmac_f32_e32 v110, v19, v63
	s_waitcnt lgkmcnt(2)
	v_fmac_f32_e32 v110, v20, v64
	v_fmac_f32_e32 v110, v21, v61
	v_fmac_f32_e32 v110, v22, v62
	v_fmac_f32_e32 v110, v23, v59
	;; [unrolled: 5-line block ×3, first 2 shown]
	ds_read_b128 v[16:19], v3 offset:192
	ds_read_b128 v[20:23], v3 offset:208
	s_waitcnt lgkmcnt(2)
	v_fmac_f32_e32 v110, v28, v56
	v_fmac_f32_e32 v110, v29, v53
	;; [unrolled: 1-line block ×4, first 2 shown]
	s_waitcnt lgkmcnt(1)
	v_fmac_f32_e32 v110, v16, v51
	v_fmac_f32_e32 v110, v17, v49
	;; [unrolled: 1-line block ×4, first 2 shown]
	s_waitcnt lgkmcnt(0)
	v_pk_mul_f32 v[14:15], v[20:21], v[14:15]
	v_pk_mul_f32 v[12:13], v[22:23], v[12:13]
	v_add_f32_e32 v14, v110, v14
	v_add_f32_e32 v18, v14, v15
	ds_read_b128 v[14:17], v3 offset:224
	v_add_f32_e32 v12, v18, v12
	ds_read_b128 v[18:21], v3 offset:240
	v_add_f32_e32 v12, v12, v13
	s_waitcnt lgkmcnt(1)
	v_pk_mul_f32 v[10:11], v[14:15], v[10:11]
	s_nop 0
	v_add_f32_e32 v3, v12, v10
	v_add_f32_e32 v3, v3, v11
	v_pk_mul_f32 v[8:9], v[16:17], v[8:9]
	s_waitcnt lgkmcnt(0)
	v_pk_mul_f32 v[6:7], v[18:19], v[6:7]
	v_add_f32_e32 v3, v3, v8
	v_add_f32_e32 v3, v3, v9
	;; [unrolled: 1-line block ×4, first 2 shown]
	v_pk_mul_f32 v[4:5], v[20:21], v[4:5]
	s_nop 0
	v_add_f32_e32 v3, v3, v4
	v_add_f32_e32 v110, v3, v5
.LBB664_15:
	s_movk_i32 s0, 0x3f80
	s_movk_i32 s1, 0x100
	s_mov_b32 s8, 64
	s_branch .LBB664_17
.LBB664_16:                             ;   in Loop: Header=BB664_17 Depth=1
	s_addk_i32 s0, 0x2000
	s_addk_i32 s1, 0x100
	s_add_i32 s8, s8, 64
	s_cmp_eq_u32 s0, 0x1bf80
	s_cbranch_scc1 .LBB664_19
.LBB664_17:                             ; =>This Inner Loop Header: Depth=1
	s_cmp_le_i32 s33, s8
	s_cbranch_scc1 .LBB664_16
; %bb.18:                               ;   in Loop: Header=BB664_17 Depth=1
	s_add_i32 s9, s0, 0xffffe080
	s_cmp_lt_i32 s9, s10
	s_cselect_b32 s12, s9, s11
	s_ashr_i32 s13, s12, 31
	s_add_i32 s9, s0, 0xffffe100
	s_cmp_lt_i32 s9, s10
	v_lshl_add_u64 v[42:43], s[12:13], 1, v[0:1]
	s_cselect_b32 s12, s9, s11
	s_ashr_i32 s13, s12, 31
	s_add_i32 s9, s0, 0xffffe180
	s_cmp_lt_i32 s9, s10
	v_lshl_add_u64 v[4:5], s[12:13], 1, v[0:1]
	;; [unrolled: 5-line block ×25, first 2 shown]
	s_cselect_b32 s12, s9, s11
	s_ashr_i32 s13, s12, 31
	s_add_i32 s9, s0, 0xffffed80
	s_cmp_lt_i32 s9, s10
	global_load_ushort v3, v[42:43], off
	global_load_ushort v120, v[44:45], off
	v_lshl_add_u64 v[18:19], s[12:13], 1, v[0:1]
	s_cselect_b32 s12, s9, s11
	global_load_ushort v111, v[4:5], off
	global_load_ushort v112, v[6:7], off
	;; [unrolled: 1-line block ×8, first 2 shown]
	s_ashr_i32 s13, s12, 31
	s_add_i32 s9, s0, 0xffffee00
	s_cmp_lt_i32 s9, s10
	v_lshl_add_u64 v[20:21], s[12:13], 1, v[0:1]
	s_cselect_b32 s12, s9, s11
	s_ashr_i32 s13, s12, 31
	s_add_i32 s9, s0, 0xffffee80
	s_cmp_lt_i32 s9, s10
	v_lshl_add_u64 v[38:39], s[12:13], 1, v[0:1]
	s_cselect_b32 s12, s9, s11
	s_ashr_i32 s13, s12, 31
	s_add_i32 s9, s0, 0xffffef00
	s_cmp_lt_i32 s9, s10
	global_load_ushort v119, v[28:29], off
	v_lshl_add_u64 v[40:41], s[12:13], 1, v[0:1]
	s_cselect_b32 s12, s9, s11
	s_ashr_i32 s13, s12, 31
	s_add_i32 s9, s0, 0xffffef80
	global_load_ushort v121, v[54:55], off
	global_load_ushort v122, v[56:57], off
	s_cmp_lt_i32 s9, s10
	global_load_ushort v58, v[58:59], off
	v_lshl_add_u64 v[50:51], s[12:13], 1, v[0:1]
	s_cselect_b32 s12, s9, s11
	s_ashr_i32 s13, s12, 31
	s_add_i32 s9, s0, 0xfffff000
	s_cmp_lt_i32 s9, s10
	v_lshl_add_u64 v[52:53], s[12:13], 1, v[0:1]
	s_cselect_b32 s12, s9, s11
	s_ashr_i32 s13, s12, 31
	s_add_i32 s9, s0, 0xfffff080
	global_load_ushort v59, v[60:61], off
	s_cmp_lt_i32 s9, s10
	global_load_ushort v60, v[66:67], off
	global_load_ushort v61, v[62:63], off
	v_lshl_add_u64 v[64:65], s[12:13], 1, v[0:1]
	s_cselect_b32 s12, s9, s11
	s_ashr_i32 s13, s12, 31
	s_add_i32 s9, s0, 0xfffff100
	s_cmp_lt_i32 s9, s10
	v_lshl_add_u64 v[68:69], s[12:13], 1, v[0:1]
	s_cselect_b32 s12, s9, s11
	s_ashr_i32 s13, s12, 31
	s_add_i32 s9, s0, 0xfffff180
	s_cmp_lt_i32 s9, s10
	;; [unrolled: 5-line block ×3, first 2 shown]
	global_load_ushort v62, v[24:25], off
	v_lshl_add_u64 v[72:73], s[12:13], 1, v[0:1]
	s_cselect_b32 s12, s9, s11
	global_load_ushort v66, v[30:31], off
	global_load_ushort v123, v[32:33], off
	;; [unrolled: 1-line block ×4, first 2 shown]
	s_ashr_i32 s13, s12, 31
	s_add_i32 s9, s0, 0xfffff280
	s_cmp_lt_i32 s9, s10
	global_load_ushort v67, v[46:47], off
	v_lshl_add_u64 v[74:75], s[12:13], 1, v[0:1]
	s_cselect_b32 s12, s9, s11
	s_ashr_i32 s13, s12, 31
	s_add_i32 s9, s0, 0xfffff300
	s_cmp_lt_i32 s9, s10
	v_lshl_add_u64 v[76:77], s[12:13], 1, v[0:1]
	s_cselect_b32 s12, s9, s11
	s_ashr_i32 s13, s12, 31
	s_add_i32 s9, s0, 0xfffff380
	s_cmp_lt_i32 s9, s10
	v_mov_b32_e32 v124, s1
	v_lshl_add_u64 v[78:79], s[12:13], 1, v[0:1]
	s_cselect_b32 s12, s9, s11
	ds_read_b128 v[28:31], v124
	ds_read_b128 v[32:35], v124 offset:16
	global_load_ushort v48, v[48:49], off
	s_ashr_i32 s13, s12, 31
	s_add_i32 s9, s0, 0xfffff400
	s_cmp_lt_i32 s9, s10
	v_lshl_add_u64 v[80:81], s[12:13], 1, v[0:1]
	s_cselect_b32 s12, s9, s11
	ds_read_b128 v[44:47], v124 offset:32
	ds_read_b128 v[54:57], v124 offset:48
	global_load_ushort v36, v[36:37], off
	s_ashr_i32 s13, s12, 31
	v_lshl_add_u64 v[82:83], s[12:13], 1, v[0:1]
	global_load_ushort v49, v[82:83], off
	global_load_ushort v37, v[18:19], off
	s_add_i32 s9, s0, 0xfffff480
	s_cmp_lt_i32 s9, s10
	s_cselect_b32 s12, s9, s11
	s_ashr_i32 s13, s12, 31
	s_add_i32 s9, s0, 0xfffff500
	s_cmp_lt_i32 s9, s10
	v_lshl_add_u64 v[84:85], s[12:13], 1, v[0:1]
	s_cselect_b32 s12, s9, s11
	s_ashr_i32 s13, s12, 31
	s_add_i32 s9, s0, 0xfffff580
	s_cmp_lt_i32 s9, s10
	v_lshl_add_u64 v[86:87], s[12:13], 1, v[0:1]
	;; [unrolled: 5-line block ×7, first 2 shown]
	s_cselect_b32 s12, s9, s11
	s_ashr_i32 s13, s12, 31
	s_add_i32 s9, s0, 0xfffff880
	s_waitcnt vmcnt(26)
	v_lshlrev_b32_e32 v3, 16, v3
	s_cmp_lt_i32 s9, s10
	s_waitcnt lgkmcnt(3)
	v_fmac_f32_e32 v110, v28, v3
	s_waitcnt vmcnt(24)
	v_lshlrev_b32_e32 v3, 16, v111
	v_lshl_add_u64 v[98:99], s[12:13], 1, v[0:1]
	s_cselect_b32 s12, s9, s11
	v_fmac_f32_e32 v110, v29, v3
	s_waitcnt vmcnt(23)
	v_lshlrev_b32_e32 v3, 16, v112
	s_ashr_i32 s13, s12, 31
	s_add_i32 s9, s0, 0xfffff900
	v_fmac_f32_e32 v110, v30, v3
	s_waitcnt vmcnt(22)
	v_lshlrev_b32_e32 v3, 16, v113
	s_cmp_lt_i32 s9, s10
	v_fmac_f32_e32 v110, v31, v3
	s_waitcnt vmcnt(21)
	v_lshlrev_b32_e32 v3, 16, v114
	v_lshl_add_u64 v[102:103], s[12:13], 1, v[0:1]
	s_cselect_b32 s12, s9, s11
	s_waitcnt lgkmcnt(2)
	v_fmac_f32_e32 v110, v32, v3
	global_load_ushort v3, v[20:21], off
	global_load_ushort v32, v[38:39], off
	s_waitcnt vmcnt(22)
	v_lshlrev_b32_e32 v18, 16, v115
	s_ashr_i32 s13, s12, 31
	s_add_i32 s9, s0, 0xfffff980
	v_fmac_f32_e32 v110, v33, v18
	s_waitcnt vmcnt(21)
	v_lshlrev_b32_e32 v18, 16, v116
	s_cmp_lt_i32 s9, s10
	v_fmac_f32_e32 v110, v34, v18
	s_waitcnt vmcnt(20)
	v_lshlrev_b32_e32 v18, 16, v117
	v_lshl_add_u64 v[104:105], s[12:13], 1, v[0:1]
	s_cselect_b32 s12, s9, s11
	global_load_ushort v33, v[40:41], off
	global_load_ushort v34, v[50:51], off
	v_fmac_f32_e32 v110, v35, v18
	global_load_ushort v35, v[52:53], off
	global_load_ushort v38, v[64:65], off
	;; [unrolled: 1-line block ×3, first 2 shown]
	s_waitcnt vmcnt(24)
	v_lshlrev_b32_e32 v18, 16, v118
	s_ashr_i32 s13, s12, 31
	s_add_i32 s9, s0, 0xfffffa00
	s_waitcnt lgkmcnt(1)
	v_fmac_f32_e32 v110, v44, v18
	global_load_ushort v44, v[74:75], off
	s_waitcnt vmcnt(24)
	v_lshlrev_b32_e32 v18, 16, v119
	s_cmp_lt_i32 s9, s10
	v_fmac_f32_e32 v110, v45, v18
	v_lshlrev_b32_e32 v18, 16, v120
	v_lshl_add_u64 v[106:107], s[12:13], 1, v[0:1]
	s_cselect_b32 s12, s9, s11
	v_fmac_f32_e32 v110, v46, v18
	global_load_ushort v46, v[78:79], off
	s_waitcnt vmcnt(24)
	v_lshlrev_b32_e32 v18, 16, v121
	s_ashr_i32 s13, s12, 31
	s_add_i32 s9, s0, 0xfffffa80
	v_fmac_f32_e32 v110, v47, v18
	s_waitcnt vmcnt(23)
	v_lshlrev_b32_e32 v18, 16, v122
	s_cmp_lt_i32 s9, s10
	s_waitcnt lgkmcnt(0)
	v_fmac_f32_e32 v110, v54, v18
	global_load_ushort v54, v[90:91], off
	global_load_ushort v40, v[70:71], off
	;; [unrolled: 1-line block ×8, first 2 shown]
	v_lshl_add_u64 v[100:101], s[12:13], 1, v[0:1]
	s_cselect_b32 s12, s9, s11
	s_ashr_i32 s13, s12, 31
	s_add_i32 s9, s0, 0xfffffb00
	s_cmp_lt_i32 s9, s10
	s_waitcnt vmcnt(30)
	v_lshlrev_b32_e32 v18, 16, v58
	v_lshl_add_u64 v[42:43], s[12:13], 1, v[0:1]
	s_cselect_b32 s12, s9, s11
	v_fmac_f32_e32 v110, v55, v18
	s_waitcnt vmcnt(29)
	v_lshlrev_b32_e32 v18, 16, v59
	s_ashr_i32 s13, s12, 31
	s_add_i32 s9, s0, 0xfffffb80
	v_fmac_f32_e32 v110, v56, v18
	s_waitcnt vmcnt(28)
	v_lshlrev_b32_e32 v18, 16, v60
	s_cmp_lt_i32 s9, s10
	v_fmac_f32_e32 v110, v57, v18
	ds_read_b128 v[18:21], v124 offset:64
	ds_read_b128 v[28:31], v124 offset:80
	v_lshl_add_u64 v[108:109], s[12:13], 1, v[0:1]
	s_cselect_b32 s12, s9, s11
	s_ashr_i32 s13, s12, 31
	s_add_i32 s9, s0, 0xfffffc00
	s_cmp_lt_i32 s9, s10
	v_lshl_add_u64 v[4:5], s[12:13], 1, v[0:1]
	s_cselect_b32 s12, s9, s11
	s_waitcnt vmcnt(27)
	v_lshlrev_b32_e32 v52, 16, v61
	s_ashr_i32 s13, s12, 31
	s_add_i32 s9, s0, 0xfffffc80
	s_waitcnt lgkmcnt(1)
	v_fmac_f32_e32 v110, v18, v52
	global_load_ushort v52, v[92:93], off
	s_cmp_lt_i32 s9, s10
	global_load_ushort v55, v[94:95], off
	global_load_ushort v56, v[96:97], off
	;; [unrolled: 1-line block ×5, first 2 shown]
	v_lshl_add_u64 v[6:7], s[12:13], 1, v[0:1]
	s_cselect_b32 s12, s9, s11
	s_ashr_i32 s13, s12, 31
	s_add_i32 s9, s0, 0xfffffd00
	s_waitcnt vmcnt(32)
	v_lshlrev_b32_e32 v18, 16, v62
	s_cmp_lt_i32 s9, s10
	v_fmac_f32_e32 v110, v19, v18
	s_waitcnt vmcnt(28)
	v_lshlrev_b32_e32 v18, 16, v63
	v_lshl_add_u64 v[8:9], s[12:13], 1, v[0:1]
	s_cselect_b32 s12, s9, s11
	v_fmac_f32_e32 v110, v20, v18
	v_lshlrev_b32_e32 v18, 16, v66
	s_ashr_i32 s13, s12, 31
	s_add_i32 s9, s0, 0xfffffd80
	v_fmac_f32_e32 v110, v21, v18
	s_waitcnt vmcnt(27)
	v_lshlrev_b32_e32 v18, 16, v67
	s_cmp_lt_i32 s9, s10
	s_waitcnt lgkmcnt(0)
	v_fmac_f32_e32 v110, v28, v18
	global_load_ushort v28, v[106:107], off
	v_lshl_add_u64 v[12:13], s[12:13], 1, v[0:1]
	s_cselect_b32 s12, s9, s11
	global_load_ushort v60, v[100:101], off
	global_load_ushort v61, v[42:43], off
	;; [unrolled: 1-line block ×3, first 2 shown]
	s_ashr_i32 s13, s12, 31
	s_add_i32 s9, s0, 0xfffffe00
	v_lshlrev_b32_e32 v18, 16, v123
	s_cmp_lt_i32 s9, s10
	v_fmac_f32_e32 v110, v29, v18
	v_lshlrev_b32_e32 v18, 16, v125
	v_lshl_add_u64 v[10:11], s[12:13], 1, v[0:1]
	s_cselect_b32 s12, s9, s11
	v_fmac_f32_e32 v110, v30, v18
	global_load_ushort v29, v[4:5], off
	global_load_ushort v30, v[6:7], off
	s_ashr_i32 s13, s12, 31
	s_add_i32 s9, s0, 0xfffffe80
	s_cmp_lt_i32 s9, s10
	s_waitcnt vmcnt(32)
	v_lshlrev_b32_e32 v4, 16, v48
	v_lshl_add_u64 v[22:23], s[12:13], 1, v[0:1]
	s_cselect_b32 s12, s9, s11
	v_fmac_f32_e32 v110, v31, v4
	ds_read_b128 v[4:7], v124 offset:96
	s_ashr_i32 s13, s12, 31
	s_add_i32 s9, s0, 0xffffff00
	s_cmp_lt_i32 s9, s10
	s_waitcnt vmcnt(31)
	v_lshlrev_b32_e32 v31, 16, v36
	global_load_ushort v36, v[8:9], off
	global_load_ushort v42, v[12:13], off
	v_lshl_add_u64 v[14:15], s[12:13], 1, v[0:1]
	s_cselect_b32 s12, s9, s11
	s_ashr_i32 s13, s12, 31
	s_add_i32 s9, s0, 0xffffff80
	s_cmp_lt_i32 s9, s10
	ds_read_b128 v[18:21], v124 offset:112
	s_waitcnt lgkmcnt(1)
	v_fmac_f32_e32 v110, v4, v31
	s_waitcnt vmcnt(31)
	v_lshlrev_b32_e32 v4, 16, v37
	global_load_ushort v31, v[10:11], off
	global_load_ushort v37, v[22:23], off
	v_lshl_add_u64 v[24:25], s[12:13], 1, v[0:1]
	s_cselect_b32 s12, s9, s11
	s_ashr_i32 s13, s12, 31
	s_cmp_lt_i32 s0, s10
	global_load_ushort v22, v[14:15], off
	global_load_ushort v23, v[24:25], off
	v_lshl_add_u64 v[16:17], s[12:13], 1, v[0:1]
	s_cselect_b32 s12, s0, s11
	s_ashr_i32 s13, s12, 31
	v_lshl_add_u64 v[26:27], s[12:13], 1, v[0:1]
	global_load_ushort v14, v[16:17], off
	global_load_ushort v15, v[26:27], off
	v_fmac_f32_e32 v110, v5, v4
	s_waitcnt vmcnt(36)
	v_lshlrev_b32_e32 v3, 16, v3
	v_fmac_f32_e32 v110, v6, v3
	s_waitcnt vmcnt(35)
	v_lshlrev_b32_e32 v3, 16, v32
	;; [unrolled: 3-line block ×3, first 2 shown]
	ds_read_b128 v[4:7], v124 offset:128
	ds_read_b128 v[8:11], v124 offset:144
	s_waitcnt lgkmcnt(2)
	v_fmac_f32_e32 v110, v18, v3
	s_waitcnt vmcnt(33)
	v_lshlrev_b32_e32 v3, 16, v34
	v_fmac_f32_e32 v110, v19, v3
	s_waitcnt vmcnt(32)
	v_lshlrev_b32_e32 v3, 16, v35
	;; [unrolled: 3-line block ×4, first 2 shown]
	s_waitcnt lgkmcnt(1)
	v_fmac_f32_e32 v110, v4, v3
	s_waitcnt vmcnt(26)
	v_lshlrev_b32_e32 v3, 16, v40
	v_fmac_f32_e32 v110, v5, v3
	s_waitcnt vmcnt(25)
	v_lshlrev_b32_e32 v3, 16, v41
	v_fmac_f32_e32 v110, v6, v3
	v_lshlrev_b32_e32 v3, 16, v44
	v_fmac_f32_e32 v110, v7, v3
	s_waitcnt vmcnt(24)
	v_lshlrev_b32_e32 v3, 16, v45
	ds_read_b128 v[4:7], v124 offset:160
	s_waitcnt lgkmcnt(1)
	v_fmac_f32_e32 v110, v8, v3
	v_lshlrev_b32_e32 v3, 16, v46
	v_fmac_f32_e32 v110, v9, v3
	s_waitcnt vmcnt(23)
	v_lshlrev_b32_e32 v3, 16, v47
	v_fmac_f32_e32 v110, v10, v3
	v_lshlrev_b32_e32 v3, 16, v49
	v_fmac_f32_e32 v110, v11, v3
	ds_read_b128 v[8:11], v124 offset:176
	s_waitcnt vmcnt(22)
	v_lshlrev_b32_e32 v3, 16, v50
	s_waitcnt lgkmcnt(1)
	v_fmac_f32_e32 v110, v4, v3
	s_waitcnt vmcnt(21)
	v_lshlrev_b32_e32 v3, 16, v51
	v_fmac_f32_e32 v110, v5, v3
	s_waitcnt vmcnt(20)
	v_lshlrev_b32_e32 v3, 16, v53
	v_fmac_f32_e32 v110, v6, v3
	v_lshlrev_b32_e32 v3, 16, v54
	v_fmac_f32_e32 v110, v7, v3
	s_waitcnt vmcnt(19)
	v_lshlrev_b32_e32 v3, 16, v52
	s_waitcnt lgkmcnt(0)
	v_fmac_f32_e32 v110, v8, v3
	s_waitcnt vmcnt(18)
	v_lshlrev_b32_e32 v3, 16, v55
	ds_read_b128 v[4:7], v124 offset:192
	v_fmac_f32_e32 v110, v9, v3
	s_waitcnt vmcnt(17)
	v_lshlrev_b32_e32 v3, 16, v56
	v_fmac_f32_e32 v110, v10, v3
	s_waitcnt vmcnt(16)
	v_lshlrev_b32_e32 v3, 16, v57
	v_fmac_f32_e32 v110, v11, v3
	ds_read_b128 v[8:11], v124 offset:208
	s_waitcnt vmcnt(15)
	v_lshlrev_b32_e32 v3, 16, v58
	s_waitcnt lgkmcnt(1)
	v_fmac_f32_e32 v110, v4, v3
	s_waitcnt vmcnt(14)
	v_lshlrev_b32_e32 v3, 16, v59
	v_fmac_f32_e32 v110, v5, v3
	s_waitcnt vmcnt(13)
	v_lshlrev_b32_e32 v3, 16, v28
	;; [unrolled: 3-line block ×3, first 2 shown]
	s_waitcnt vmcnt(10)
	v_lshlrev_b32_e32 v5, 16, v62
	v_lshlrev_b32_e32 v4, 16, v61
	v_fmac_f32_e32 v110, v7, v3
	s_waitcnt lgkmcnt(0)
	v_pk_mul_f32 v[4:5], v[8:9], v[4:5]
	s_waitcnt vmcnt(6)
	v_lshlrev_b32_e32 v13, 16, v42
	v_add_f32_e32 v3, v110, v4
	v_add_f32_e32 v3, v3, v5
	v_lshlrev_b32_e32 v5, 16, v30
	v_lshlrev_b32_e32 v4, 16, v29
	v_pk_mul_f32 v[8:9], v[10:11], v[4:5]
	ds_read_b128 v[4:7], v124 offset:224
	v_add_f32_e32 v3, v3, v8
	v_lshlrev_b32_e32 v12, 16, v36
	v_add_f32_e32 v3, v3, v9
	ds_read_b128 v[8:11], v124 offset:240
	s_waitcnt lgkmcnt(1)
	v_pk_mul_f32 v[4:5], v[4:5], v[12:13]
	s_nop 0
	v_add_f32_e32 v3, v3, v4
	v_add_f32_e32 v3, v3, v5
	s_waitcnt vmcnt(4)
	v_lshlrev_b32_e32 v5, 16, v37
	v_lshlrev_b32_e32 v4, 16, v31
	v_pk_mul_f32 v[4:5], v[6:7], v[4:5]
	s_nop 0
	v_add_f32_e32 v3, v3, v4
	v_add_f32_e32 v3, v3, v5
	s_waitcnt vmcnt(2)
	v_lshlrev_b32_e32 v5, 16, v23
	v_lshlrev_b32_e32 v4, 16, v22
	s_waitcnt lgkmcnt(0)
	v_pk_mul_f32 v[4:5], v[8:9], v[4:5]
	s_nop 0
	v_add_f32_e32 v3, v3, v4
	v_add_f32_e32 v3, v3, v5
	s_waitcnt vmcnt(1)
	v_lshlrev_b32_e32 v4, 16, v14
	s_waitcnt vmcnt(0)
	v_lshlrev_b32_e32 v5, 16, v15
	v_pk_mul_f32 v[4:5], v[10:11], v[4:5]
	s_nop 0
	v_add_f32_e32 v3, v3, v4
	v_add_f32_e32 v110, v3, v5
	s_branch .LBB664_16
.LBB664_19:
	v_mov_b32_e32 v0, 0
	ds_read_b32 v0, v0 offset:3328
	s_cmp_lg_u64 s[6:7], 0
	s_cbranch_scc0 .LBB664_28
; %bb.20:
	s_load_dword s6, s[6:7], 0x0
	s_waitcnt lgkmcnt(0)
	v_div_scale_f32 v1, s[0:1], s6, s6, 1.0
	v_rcp_f32_e32 v3, v1
	v_div_scale_f32 v4, vcc, 1.0, s6, 1.0
	v_fma_f32 v5, -v1, v3, 1.0
	v_fmac_f32_e32 v3, v5, v3
	v_mul_f32_e32 v5, v4, v3
	v_fma_f32 v6, -v1, v5, v4
	v_fmac_f32_e32 v5, v6, v3
	v_fma_f32 v1, -v1, v5, v4
	v_div_fmas_f32 v1, v1, v3, v5
	v_div_fixup_f32 v1, v1, s6, 1.0
	s_andn2_b64 vcc, exec, s[44:45]
	s_cbranch_vccnz .LBB664_22
.LBB664_21:
	s_add_u32 s0, s34, s46
	s_addc_u32 s1, s35, s47
	s_load_dword s30, s[0:1], 0x0
	s_mov_b32 s31, 0
.LBB664_22:
	s_waitcnt lgkmcnt(0)
	v_add_f32_e32 v0, 0x358637bd, v0
	v_div_scale_f32 v3, s[0:1], v0, v0, 1.0
	v_rcp_f32_e32 v4, v3
	v_div_scale_f32 v5, vcc, 1.0, v0, 1.0
	s_mov_b32 s0, 0x7f800000
	v_fma_f32 v6, -v3, v4, 1.0
	v_fmac_f32_e32 v4, v6, v4
	v_mul_f32_e32 v6, v5, v4
	v_fma_f32 v7, -v3, v6, v5
	v_fmac_f32_e32 v6, v7, v4
	v_fma_f32 v3, -v3, v6, v5
	v_div_fmas_f32 v3, v3, v4, v6
	v_div_fixup_f32 v0, v3, v0, 1.0
	v_mul_f32_e32 v0, v110, v0
	v_mul_f32_e32 v1, v0, v1
	v_and_b32_e32 v0, 0x7f800000, v1
	v_cmp_ne_u32_e32 vcc, s0, v0
                                        ; implicit-def: $vgpr0
	s_and_saveexec_b64 s[0:1], vcc
	s_xor_b64 s[0:1], exec, s[0:1]
; %bb.23:
	v_bfe_u32 v0, v1, 16, 1
	s_movk_i32 s6, 0x7fff
	v_add3_u32 v0, v1, v0, s6
                                        ; implicit-def: $vgpr1
; %bb.24:
	s_andn2_saveexec_b64 s[0:1], s[0:1]
; %bb.25:
	v_mov_b32_e32 v0, 0
	v_or_b32_e32 v3, 0x10000, v1
	v_cmp_eq_u32_sdwa vcc, v1, v0 src0_sel:WORD_0 src1_sel:DWORD
	s_nop 1
	v_cndmask_b32_e32 v0, v3, v1, vcc
; %bb.26:
	s_or_b64 exec, exec, s[0:1]
	s_mul_i32 s0, s3, s31
	s_mul_hi_u32 s1, s3, s30
	s_add_i32 s1, s1, s0
	s_mul_i32 s0, s3, s30
	s_lshl_b64 s[0:1], s[0:1], 8
	s_add_u32 s4, s4, s0
	s_mov_b32 s3, 0
	s_addc_u32 s5, s5, s1
	s_lshl_b64 s[0:1], s[2:3], 8
	s_add_u32 s0, s4, s0
	s_addc_u32 s1, s5, s1
	global_store_short_d16_hi v2, v0, s[0:1]
	s_endpgm
.LBB664_27:
	s_mov_b64 s[6:7], 0
	s_branch .LBB664_2
.LBB664_28:
	v_mov_b32_e32 v1, 1.0
	s_andn2_b64 vcc, exec, s[44:45]
	s_cbranch_vccz .LBB664_21
	s_branch .LBB664_22
	.section	.rodata,"a",@progbits
	.p2align	6, 0x0
	.amdhsa_kernel _Z35paged_attention_ll4mi_reduce_kernelI14__hip_bfloat16S0_Li128ELi128ELi256ELi13EEvPT0_PKfS4_PKT_PKiS9_iS4_
		.amdhsa_group_segment_fixed_size 3332
		.amdhsa_private_segment_fixed_size 0
		.amdhsa_kernarg_size 320
		.amdhsa_user_sgpr_count 2
		.amdhsa_user_sgpr_dispatch_ptr 0
		.amdhsa_user_sgpr_queue_ptr 0
		.amdhsa_user_sgpr_kernarg_segment_ptr 1
		.amdhsa_user_sgpr_dispatch_id 0
		.amdhsa_user_sgpr_kernarg_preload_length 0
		.amdhsa_user_sgpr_kernarg_preload_offset 0
		.amdhsa_user_sgpr_private_segment_size 0
		.amdhsa_uses_dynamic_stack 0
		.amdhsa_enable_private_segment 0
		.amdhsa_system_sgpr_workgroup_id_x 1
		.amdhsa_system_sgpr_workgroup_id_y 1
		.amdhsa_system_sgpr_workgroup_id_z 0
		.amdhsa_system_sgpr_workgroup_info 0
		.amdhsa_system_vgpr_workitem_id 0
		.amdhsa_next_free_vgpr 126
		.amdhsa_next_free_sgpr 55
		.amdhsa_accum_offset 128
		.amdhsa_reserve_vcc 1
		.amdhsa_float_round_mode_32 0
		.amdhsa_float_round_mode_16_64 0
		.amdhsa_float_denorm_mode_32 3
		.amdhsa_float_denorm_mode_16_64 3
		.amdhsa_dx10_clamp 1
		.amdhsa_ieee_mode 1
		.amdhsa_fp16_overflow 0
		.amdhsa_tg_split 0
		.amdhsa_exception_fp_ieee_invalid_op 0
		.amdhsa_exception_fp_denorm_src 0
		.amdhsa_exception_fp_ieee_div_zero 0
		.amdhsa_exception_fp_ieee_overflow 0
		.amdhsa_exception_fp_ieee_underflow 0
		.amdhsa_exception_fp_ieee_inexact 0
		.amdhsa_exception_int_div_zero 0
	.end_amdhsa_kernel
	.section	.text._Z35paged_attention_ll4mi_reduce_kernelI14__hip_bfloat16S0_Li128ELi128ELi256ELi13EEvPT0_PKfS4_PKT_PKiS9_iS4_,"axG",@progbits,_Z35paged_attention_ll4mi_reduce_kernelI14__hip_bfloat16S0_Li128ELi128ELi256ELi13EEvPT0_PKfS4_PKT_PKiS9_iS4_,comdat
.Lfunc_end664:
	.size	_Z35paged_attention_ll4mi_reduce_kernelI14__hip_bfloat16S0_Li128ELi128ELi256ELi13EEvPT0_PKfS4_PKT_PKiS9_iS4_, .Lfunc_end664-_Z35paged_attention_ll4mi_reduce_kernelI14__hip_bfloat16S0_Li128ELi128ELi256ELi13EEvPT0_PKfS4_PKT_PKiS9_iS4_
                                        ; -- End function
	.section	.AMDGPU.csdata,"",@progbits
; Kernel info:
; codeLenInByte = 10380
; NumSgprs: 61
; NumVgprs: 126
; NumAgprs: 0
; TotalNumVgprs: 126
; ScratchSize: 0
; MemoryBound: 0
; FloatMode: 240
; IeeeMode: 1
; LDSByteSize: 3332 bytes/workgroup (compile time only)
; SGPRBlocks: 7
; VGPRBlocks: 15
; NumSGPRsForWavesPerEU: 61
; NumVGPRsForWavesPerEU: 126
; AccumOffset: 128
; Occupancy: 4
; WaveLimiterHint : 1
; COMPUTE_PGM_RSRC2:SCRATCH_EN: 0
; COMPUTE_PGM_RSRC2:USER_SGPR: 2
; COMPUTE_PGM_RSRC2:TRAP_HANDLER: 0
; COMPUTE_PGM_RSRC2:TGID_X_EN: 1
; COMPUTE_PGM_RSRC2:TGID_Y_EN: 1
; COMPUTE_PGM_RSRC2:TGID_Z_EN: 0
; COMPUTE_PGM_RSRC2:TIDIG_COMP_CNT: 0
; COMPUTE_PGM_RSRC3_GFX90A:ACCUM_OFFSET: 31
; COMPUTE_PGM_RSRC3_GFX90A:TG_SPLIT: 0
	.section	.text._Z35paged_attention_ll4mi_reduce_kernelI14__hip_bfloat16S0_Li128ELi128ELi256ELi14EEvPT0_PKfS4_PKT_PKiS9_iS4_,"axG",@progbits,_Z35paged_attention_ll4mi_reduce_kernelI14__hip_bfloat16S0_Li128ELi128ELi256ELi14EEvPT0_PKfS4_PKT_PKiS9_iS4_,comdat
	.protected	_Z35paged_attention_ll4mi_reduce_kernelI14__hip_bfloat16S0_Li128ELi128ELi256ELi14EEvPT0_PKfS4_PKT_PKiS9_iS4_ ; -- Begin function _Z35paged_attention_ll4mi_reduce_kernelI14__hip_bfloat16S0_Li128ELi128ELi256ELi14EEvPT0_PKfS4_PKT_PKiS9_iS4_
	.globl	_Z35paged_attention_ll4mi_reduce_kernelI14__hip_bfloat16S0_Li128ELi128ELi256ELi14EEvPT0_PKfS4_PKT_PKiS9_iS4_
	.p2align	8
	.type	_Z35paged_attention_ll4mi_reduce_kernelI14__hip_bfloat16S0_Li128ELi128ELi256ELi14EEvPT0_PKfS4_PKT_PKiS9_iS4_,@function
_Z35paged_attention_ll4mi_reduce_kernelI14__hip_bfloat16S0_Li128ELi128ELi256ELi14EEvPT0_PKfS4_PKT_PKiS9_iS4_: ; @_Z35paged_attention_ll4mi_reduce_kernelI14__hip_bfloat16S0_Li128ELi128ELi256ELi14EEvPT0_PKfS4_PKT_PKiS9_iS4_
; %bb.0:
	s_load_dwordx2 s[44:45], s[0:1], 0x28
	s_mov_b32 s34, s3
	s_mov_b64 s[4:5], 0
	s_waitcnt lgkmcnt(0)
	s_cmp_lg_u64 s[44:45], 0
	s_cselect_b64 s[46:47], -1, 0
	s_and_b64 vcc, exec, s[46:47]
	s_cbranch_vccz .LBB665_27
; %bb.1:
	s_add_i32 s6, s34, 1
	s_mov_b32 s7, 0
	s_lshl_b64 s[8:9], s[6:7], 2
	s_add_u32 s8, s44, s8
	s_mov_b32 s35, s7
	s_addc_u32 s9, s45, s9
	s_lshl_b64 s[6:7], s[34:35], 2
	s_add_u32 s6, s44, s6
	s_addc_u32 s7, s45, s7
	s_load_dword s3, s[8:9], 0x0
	s_load_dword s10, s[6:7], 0x0
	s_waitcnt lgkmcnt(0)
	s_sub_i32 s3, s3, s10
	s_cmp_eq_u32 s3, 1
	s_cselect_b64 s[6:7], -1, 0
	s_andn2_b64 vcc, exec, s[4:5]
	s_cbranch_vccnz .LBB665_3
.LBB665_2:
	s_mov_b32 s35, 0
	s_mov_b64 s[6:7], -1
.LBB665_3:
	s_andn2_b64 vcc, exec, s[6:7]
	s_cbranch_vccz .LBB665_5
; %bb.4:
	s_endpgm
.LBB665_5:
	s_load_dwordx4 s[36:39], s[0:1], 0x18
	s_load_dword s8, s[0:1], 0x30
	s_lshl_b64 s[48:49], s[34:35], 2
	v_cmp_lt_u32_e32 vcc, 63, v0
	s_waitcnt lgkmcnt(0)
	s_add_u32 s4, s38, s48
	s_addc_u32 s5, s39, s49
	s_load_dword s56, s[4:5], 0x0
	s_load_dword s3, s[0:1], 0x40
	s_mul_i32 s38, s2, s8
	s_mul_i32 s6, s34, s8
	s_waitcnt lgkmcnt(0)
	s_add_i32 s7, s56, 0xff
	s_ashr_i32 s4, s7, 31
	s_lshr_b32 s4, s4, 24
	s_add_i32 s7, s7, s4
	s_and_saveexec_b64 s[4:5], vcc
	s_xor_b64 s[4:5], exec, s[4:5]
	s_or_saveexec_b64 s[50:51], s[4:5]
	s_ashr_i32 s33, s7, 8
	v_mov_b32_e32 v1, s38
	s_mul_i32 s52, s6, s3
	s_xor_b64 exec, exec, s[50:51]
	s_cbranch_execz .LBB665_9
; %bb.6:
	s_add_i32 s4, s33, -1
	v_or_b32_e32 v3, 64, v0
	v_mov_b32_e32 v1, s4
	v_cmp_gt_u32_e64 s[26:27], s33, v3
	s_load_dwordx4 s[40:43], s[0:1], 0x8
	s_mov_b32 s53, 0
	v_cndmask_b32_e64 v4, v1, v3, s[26:27]
	v_or_b32_e32 v3, 0x80, v0
	v_cmp_gt_u32_e64 s[24:25], s33, v3
	s_lshl_b64 s[54:55], s[52:53], 2
	s_mov_b32 s39, s53
	v_cndmask_b32_e64 v6, v1, v3, s[24:25]
	v_or_b32_e32 v3, 0xc0, v0
	v_cmp_gt_u32_e64 s[22:23], s33, v3
	v_cmp_gt_u32_e64 s[28:29], s33, v0
	s_waitcnt lgkmcnt(0)
	s_add_u32 s30, s42, s54
	v_cndmask_b32_e64 v8, v1, v3, s[22:23]
	v_or_b32_e32 v3, 0x100, v0
	v_cmp_gt_u32_e64 s[20:21], s33, v3
	v_cndmask_b32_e64 v2, v1, v0, s[28:29]
	s_addc_u32 s31, s43, s55
	v_cndmask_b32_e64 v10, v1, v3, s[20:21]
	v_or_b32_e32 v3, 0x140, v0
	v_cmp_gt_u32_e64 s[18:19], s33, v3
	s_lshl_b64 s[42:43], s[38:39], 2
	s_add_u32 s30, s30, s42
	v_cndmask_b32_e64 v12, v1, v3, s[18:19]
	v_or_b32_e32 v3, 0x180, v0
	v_cmp_gt_u32_e64 s[16:17], s33, v3
	s_addc_u32 s31, s31, s43
	v_ashrrev_i32_e32 v5, 31, v4
	v_cndmask_b32_e64 v14, v1, v3, s[16:17]
	v_or_b32_e32 v3, 0x1c0, v0
	v_cmp_gt_u32_e64 s[14:15], s33, v3
	v_ashrrev_i32_e32 v15, 31, v14
	v_ashrrev_i32_e32 v7, 31, v6
	v_cndmask_b32_e64 v16, v1, v3, s[14:15]
	v_or_b32_e32 v3, 0x200, v0
	v_cmp_gt_u32_e64 s[12:13], s33, v3
	v_ashrrev_i32_e32 v9, 31, v8
	;; [unrolled: 5-line block ×3, first 2 shown]
	v_lshlrev_b64 v[14:15], 2, v[14:15]
	v_cndmask_b32_e64 v20, v1, v3, s[10:11]
	v_or_b32_e32 v3, 0x280, v0
	v_cmp_gt_u32_e64 s[8:9], s33, v3
	v_ashrrev_i32_e32 v17, 31, v16
	v_lshlrev_b64 v[4:5], 2, v[4:5]
	v_cndmask_b32_e64 v22, v1, v3, s[8:9]
	v_or_b32_e32 v3, 0x2c0, v0
	v_cmp_gt_u32_e64 s[6:7], s33, v3
	v_lshlrev_b64 v[6:7], 2, v[6:7]
	v_lshlrev_b64 v[8:9], 2, v[8:9]
	v_cndmask_b32_e64 v24, v1, v3, s[6:7]
	v_or_b32_e32 v3, 0x300, v0
	v_cmp_gt_u32_e64 s[4:5], s33, v3
	v_lshlrev_b64 v[10:11], 2, v[10:11]
	v_lshlrev_b64 v[12:13], 2, v[12:13]
	v_cndmask_b32_e64 v26, v1, v3, s[4:5]
	v_or_b32_e32 v3, 0x340, v0
	v_cmp_gt_u32_e32 vcc, s33, v3
	v_lshl_add_u64 v[42:43], s[30:31], 0, v[14:15]
	v_lshlrev_b64 v[16:17], 2, v[16:17]
	v_cndmask_b32_e32 v28, v1, v3, vcc
	v_ashrrev_i32_e32 v3, 31, v2
	v_lshlrev_b64 v[2:3], 2, v[2:3]
	v_lshl_add_u64 v[30:31], s[30:31], 0, v[2:3]
	v_lshl_add_u64 v[32:33], s[30:31], 0, v[4:5]
	;; [unrolled: 1-line block ×7, first 2 shown]
	global_load_dword v1, v[30:31], off
	global_load_dword v46, v[32:33], off
	;; [unrolled: 1-line block ×6, first 2 shown]
	s_nop 0
	global_load_dword v42, v[42:43], off
	s_nop 0
	global_load_dword v43, v[44:45], off
	v_ashrrev_i32_e32 v19, 31, v18
	v_ashrrev_i32_e32 v21, 31, v20
	;; [unrolled: 1-line block ×3, first 2 shown]
	v_lshlrev_b64 v[18:19], 2, v[18:19]
	v_lshlrev_b64 v[20:21], 2, v[20:21]
	;; [unrolled: 1-line block ×3, first 2 shown]
	v_ashrrev_i32_e32 v25, 31, v24
	v_ashrrev_i32_e32 v27, 31, v26
	;; [unrolled: 1-line block ×3, first 2 shown]
	v_lshl_add_u64 v[30:31], s[30:31], 0, v[18:19]
	v_lshl_add_u64 v[32:33], s[30:31], 0, v[20:21]
	;; [unrolled: 1-line block ×3, first 2 shown]
	v_lshlrev_b64 v[24:25], 2, v[24:25]
	v_lshlrev_b64 v[26:27], 2, v[26:27]
	;; [unrolled: 1-line block ×3, first 2 shown]
	v_lshl_add_u64 v[36:37], s[30:31], 0, v[24:25]
	v_lshl_add_u64 v[38:39], s[30:31], 0, v[26:27]
	;; [unrolled: 1-line block ×3, first 2 shown]
	global_load_dword v30, v[30:31], off
	s_nop 0
	global_load_dword v31, v[32:33], off
	s_nop 0
	global_load_dword v32, v[34:35], off
	global_load_dword v33, v[36:37], off
	s_nop 0
	global_load_dword v34, v[38:39], off
	global_load_dword v35, v[40:41], off
	s_mov_b32 s39, 0x3fb8aa3b
	s_waitcnt vmcnt(13)
	v_max_f32_e32 v37, v1, v1
	s_waitcnt vmcnt(12)
	v_max_f32_e32 v36, v46, v46
	v_max_f32_e32 v36, v37, v36
	v_mbcnt_lo_u32_b32 v37, -1, 0
	s_waitcnt vmcnt(10)
	v_max3_f32 v36, v36, v47, v48
	v_mbcnt_hi_u32_b32 v37, -1, v37
	s_waitcnt vmcnt(8)
	v_max3_f32 v36, v36, v49, v50
	v_and_b32_e32 v38, 64, v37
	s_waitcnt vmcnt(6)
	v_max3_f32 v36, v36, v42, v43
	v_add_u32_e32 v38, 64, v38
	v_xor_b32_e32 v39, 32, v37
	v_cmp_lt_i32_e64 s[30:31], v39, v38
	s_waitcnt vmcnt(4)
	v_max3_f32 v36, v36, v30, v31
	v_cndmask_b32_e64 v39, v37, v39, s[30:31]
	s_waitcnt vmcnt(2)
	v_max3_f32 v36, v36, v32, v33
	v_lshlrev_b32_e32 v39, 2, v39
	s_waitcnt vmcnt(0)
	v_max3_f32 v36, v36, v34, v35
	ds_bpermute_b32 v40, v39, v36
	s_waitcnt lgkmcnt(0)
	v_max_f32_e32 v40, v40, v40
	v_max_f32_e32 v36, v36, v40
	v_xor_b32_e32 v40, 16, v37
	v_cmp_lt_i32_e64 s[30:31], v40, v38
	s_nop 1
	v_cndmask_b32_e64 v40, v37, v40, s[30:31]
	v_lshlrev_b32_e32 v40, 2, v40
	ds_bpermute_b32 v41, v40, v36
	s_waitcnt lgkmcnt(0)
	v_max_f32_e32 v41, v41, v41
	v_max_f32_e32 v36, v36, v41
	v_xor_b32_e32 v41, 8, v37
	v_cmp_lt_i32_e64 s[30:31], v41, v38
	s_nop 1
	v_cndmask_b32_e64 v41, v37, v41, s[30:31]
	v_lshlrev_b32_e32 v41, 2, v41
	ds_bpermute_b32 v44, v41, v36
	s_add_u32 s30, s40, s54
	s_addc_u32 s31, s41, s55
	s_add_u32 s40, s30, s42
	s_addc_u32 s41, s31, s43
	s_waitcnt lgkmcnt(0)
	v_max_f32_e32 v44, v44, v44
	v_max_f32_e32 v36, v36, v44
	v_xor_b32_e32 v44, 4, v37
	v_lshl_add_u64 v[2:3], s[40:41], 0, v[2:3]
	v_cmp_lt_i32_e64 s[30:31], v44, v38
	global_load_dword v45, v[2:3], off
	s_nop 0
	v_cndmask_b32_e64 v2, v37, v44, s[30:31]
	v_lshlrev_b32_e32 v44, 2, v2
	ds_bpermute_b32 v2, v44, v36
	s_waitcnt lgkmcnt(0)
	v_max_f32_e32 v2, v2, v2
	v_max_f32_e32 v36, v36, v2
	v_xor_b32_e32 v2, 2, v37
	v_cmp_lt_i32_e64 s[30:31], v2, v38
	s_nop 1
	v_cndmask_b32_e64 v2, v37, v2, s[30:31]
	v_lshlrev_b32_e32 v51, 2, v2
	ds_bpermute_b32 v52, v51, v36
	v_lshl_add_u64 v[2:3], s[40:41], 0, v[4:5]
	global_load_dword v53, v[2:3], off
	v_lshl_add_u64 v[4:5], s[40:41], 0, v[8:9]
	v_lshl_add_u64 v[8:9], s[40:41], 0, v[12:13]
	s_waitcnt lgkmcnt(0)
	v_max_f32_e32 v2, v52, v52
	v_max_f32_e32 v36, v36, v2
	v_xor_b32_e32 v2, 1, v37
	v_cmp_lt_i32_e64 s[30:31], v2, v38
	v_lshl_add_u64 v[12:13], s[40:41], 0, v[16:17]
	s_nop 0
	v_cndmask_b32_e64 v2, v37, v2, s[30:31]
	v_lshlrev_b32_e32 v37, 2, v2
	v_lshl_add_u64 v[2:3], s[40:41], 0, v[6:7]
	v_lshl_add_u64 v[6:7], s[40:41], 0, v[10:11]
	;; [unrolled: 1-line block ×3, first 2 shown]
	global_load_dword v14, v[2:3], off
	global_load_dword v15, v[4:5], off
	;; [unrolled: 1-line block ×6, first 2 shown]
	ds_bpermute_b32 v38, v37, v36
	v_lshl_add_u64 v[2:3], s[40:41], 0, v[18:19]
	v_lshl_add_u64 v[4:5], s[40:41], 0, v[20:21]
	;; [unrolled: 1-line block ×4, first 2 shown]
	s_waitcnt lgkmcnt(0)
	v_max_f32_e32 v18, v38, v38
	v_max_f32_e32 v18, v36, v18
	v_sub_f32_e32 v1, v1, v18
	v_mul_f32_e32 v19, 0x3fb8aa3b, v1
	v_fma_f32 v20, v1, s39, -v19
	v_rndne_f32_e32 v21, v19
	v_fmac_f32_e32 v20, 0x32a5705f, v1
	v_sub_f32_e32 v19, v19, v21
	v_lshl_add_u64 v[10:11], s[40:41], 0, v[26:27]
	v_lshl_add_u64 v[12:13], s[40:41], 0, v[28:29]
	v_add_f32_e32 v19, v19, v20
	v_cvt_i32_f32_e32 v20, v21
	global_load_dword v2, v[2:3], off
	s_nop 0
	global_load_dword v3, v[4:5], off
	global_load_dword v21, v[6:7], off
	;; [unrolled: 1-line block ×5, first 2 shown]
	v_sub_f32_e32 v6, v46, v18
	v_mul_f32_e32 v7, 0x3fb8aa3b, v6
	v_fma_f32 v8, v6, s39, -v7
	v_rndne_f32_e32 v9, v7
	v_exp_f32_e32 v19, v19
	v_fmac_f32_e32 v8, 0x32a5705f, v6
	v_sub_f32_e32 v7, v7, v9
	v_add_f32_e32 v7, v7, v8
	v_exp_f32_e32 v7, v7
	v_cvt_i32_f32_e32 v8, v9
	s_mov_b32 s40, 0xc2ce8ed0
	v_ldexp_f32 v4, v19, v20
	v_cmp_ngt_f32_e64 s[30:31], s40, v1
	s_mov_b32 s41, 0x42b17218
	v_mov_b32_e32 v5, 0x7f800000
	v_cndmask_b32_e64 v4, 0, v4, s[30:31]
	v_cmp_nlt_f32_e64 s[30:31], s41, v1
	s_nop 1
	v_cndmask_b32_e64 v1, v5, v4, s[30:31]
	v_ldexp_f32 v4, v7, v8
	v_sub_f32_e32 v7, v47, v18
	v_mul_f32_e32 v8, 0x3fb8aa3b, v7
	v_fma_f32 v9, v7, s39, -v8
	v_rndne_f32_e32 v10, v8
	v_fmac_f32_e32 v9, 0x32a5705f, v7
	v_sub_f32_e32 v8, v8, v10
	v_add_f32_e32 v8, v8, v9
	v_exp_f32_e32 v8, v8
	v_cvt_i32_f32_e32 v9, v10
	v_cndmask_b32_e64 v1, 0, v1, s[28:29]
	v_cmp_ngt_f32_e64 s[28:29], s40, v6
	s_waitcnt vmcnt(13)
	v_mul_f32_e32 v1, v45, v1
	v_cndmask_b32_e64 v4, 0, v4, s[28:29]
	v_cmp_nlt_f32_e64 s[28:29], s41, v6
	v_ldexp_f32 v6, v8, v9
	v_sub_f32_e32 v8, v48, v18
	v_mul_f32_e32 v9, 0x3fb8aa3b, v8
	v_fma_f32 v10, v8, s39, -v9
	v_rndne_f32_e32 v11, v9
	v_fmac_f32_e32 v10, 0x32a5705f, v8
	v_sub_f32_e32 v9, v9, v11
	v_add_f32_e32 v9, v9, v10
	v_exp_f32_e32 v9, v9
	v_cvt_i32_f32_e32 v10, v11
	v_cndmask_b32_e64 v4, v5, v4, s[28:29]
	v_cndmask_b32_e64 v4, 0, v4, s[26:27]
	v_cmp_ngt_f32_e64 s[26:27], s40, v7
	s_waitcnt vmcnt(12)
	v_mul_f32_e32 v4, v53, v4
	v_cndmask_b32_e64 v6, 0, v6, s[26:27]
	v_cmp_nlt_f32_e64 s[26:27], s41, v7
	v_ldexp_f32 v7, v9, v10
	v_sub_f32_e32 v9, v49, v18
	v_mul_f32_e32 v10, 0x3fb8aa3b, v9
	v_fma_f32 v11, v9, s39, -v10
	v_rndne_f32_e32 v12, v10
	v_fmac_f32_e32 v11, 0x32a5705f, v9
	v_sub_f32_e32 v10, v10, v12
	v_add_f32_e32 v10, v10, v11
	v_exp_f32_e32 v10, v10
	v_cvt_i32_f32_e32 v11, v12
	v_cndmask_b32_e64 v6, v5, v6, s[26:27]
	;; [unrolled: 17-line block ×6, first 2 shown]
	v_cndmask_b32_e64 v10, 0, v10, s[16:17]
	v_cmp_ngt_f32_e64 s[16:17], s40, v12
	s_waitcnt vmcnt(7)
	v_mul_f32_e32 v10, v52, v10
	v_cndmask_b32_e64 v11, 0, v11, s[16:17]
	v_cmp_nlt_f32_e64 s[16:17], s41, v12
	v_ldexp_f32 v12, v14, v15
	v_sub_f32_e32 v14, v31, v18
	v_mul_f32_e32 v15, 0x3fb8aa3b, v14
	v_fma_f32 v16, v14, s39, -v15
	v_rndne_f32_e32 v17, v15
	v_fmac_f32_e32 v16, 0x32a5705f, v14
	v_sub_f32_e32 v15, v15, v17
	v_cndmask_b32_e64 v11, v5, v11, s[16:17]
	v_add_f32_e32 v15, v15, v16
	v_cndmask_b32_e64 v11, 0, v11, s[14:15]
	v_cmp_ngt_f32_e64 s[14:15], s40, v13
	v_exp_f32_e32 v15, v15
	v_cvt_i32_f32_e32 v16, v17
	v_cndmask_b32_e64 v12, 0, v12, s[14:15]
	v_cmp_nlt_f32_e64 s[14:15], s41, v13
	v_sub_f32_e32 v13, v32, v18
	s_waitcnt vmcnt(6)
	v_mul_f32_e32 v11, v54, v11
	v_cndmask_b32_e64 v12, v5, v12, s[14:15]
	v_cndmask_b32_e64 v12, 0, v12, s[12:13]
	s_waitcnt vmcnt(5)
	v_mul_f32_e32 v12, v2, v12
	v_ldexp_f32 v2, v15, v16
	v_mul_f32_e32 v15, 0x3fb8aa3b, v13
	v_fma_f32 v16, v13, s39, -v15
	v_rndne_f32_e32 v17, v15
	v_fmac_f32_e32 v16, 0x32a5705f, v13
	v_sub_f32_e32 v15, v15, v17
	v_add_f32_e32 v15, v15, v16
	v_cmp_ngt_f32_e64 s[12:13], s40, v14
	v_exp_f32_e32 v15, v15
	v_cvt_i32_f32_e32 v16, v17
	v_cndmask_b32_e64 v2, 0, v2, s[12:13]
	v_cmp_nlt_f32_e64 s[12:13], s41, v14
	v_sub_f32_e32 v14, v33, v18
	s_nop 0
	v_cndmask_b32_e64 v2, v5, v2, s[12:13]
	v_cndmask_b32_e64 v2, 0, v2, s[10:11]
	s_waitcnt vmcnt(4)
	v_mul_f32_e32 v3, v3, v2
	v_ldexp_f32 v2, v15, v16
	v_mul_f32_e32 v15, 0x3fb8aa3b, v14
	v_fma_f32 v16, v14, s39, -v15
	v_rndne_f32_e32 v17, v15
	v_fmac_f32_e32 v16, 0x32a5705f, v14
	v_sub_f32_e32 v15, v15, v17
	v_add_f32_e32 v15, v15, v16
	v_cmp_ngt_f32_e64 s[10:11], s40, v13
	v_exp_f32_e32 v15, v15
	v_cvt_i32_f32_e32 v16, v17
	v_cndmask_b32_e64 v2, 0, v2, s[10:11]
	v_cmp_nlt_f32_e64 s[10:11], s41, v13
	s_nop 1
	v_cndmask_b32_e64 v2, v5, v2, s[10:11]
	v_cndmask_b32_e64 v2, 0, v2, s[8:9]
	s_waitcnt vmcnt(3)
	v_mul_f32_e32 v13, v21, v2
	v_ldexp_f32 v2, v15, v16
	v_sub_f32_e32 v15, v34, v18
	v_mul_f32_e32 v16, 0x3fb8aa3b, v15
	v_fma_f32 v17, v15, s39, -v16
	v_rndne_f32_e32 v19, v16
	v_fmac_f32_e32 v17, 0x32a5705f, v15
	v_sub_f32_e32 v16, v16, v19
	v_add_f32_e32 v16, v16, v17
	v_exp_f32_e32 v16, v16
	v_cvt_i32_f32_e32 v17, v19
	v_cmp_ngt_f32_e64 s[8:9], s40, v14
	s_nop 1
	v_cndmask_b32_e64 v2, 0, v2, s[8:9]
	v_cmp_nlt_f32_e64 s[8:9], s41, v14
	v_ldexp_f32 v14, v16, v17
	v_sub_f32_e32 v16, v35, v18
	v_mul_f32_e32 v17, 0x3fb8aa3b, v16
	v_fma_f32 v18, v16, s39, -v17
	v_rndne_f32_e32 v19, v17
	v_fmac_f32_e32 v18, 0x32a5705f, v16
	v_sub_f32_e32 v17, v17, v19
	v_add_f32_e32 v17, v17, v18
	v_cndmask_b32_e64 v2, v5, v2, s[8:9]
	v_exp_f32_e32 v17, v17
	v_cvt_i32_f32_e32 v18, v19
	v_cndmask_b32_e64 v2, 0, v2, s[6:7]
	v_cmp_ngt_f32_e64 s[6:7], s40, v15
	s_nop 1
	v_cndmask_b32_e64 v14, 0, v14, s[6:7]
	v_cmp_nlt_f32_e64 s[6:7], s41, v15
	v_ldexp_f32 v15, v17, v18
	s_waitcnt vmcnt(2)
	v_mul_f32_e32 v17, v22, v2
	v_cndmask_b32_e64 v14, v5, v14, s[6:7]
	v_cndmask_b32_e64 v14, 0, v14, s[4:5]
	v_cmp_ngt_f32_e64 s[4:5], s40, v16
	v_lshlrev_b32_e32 v18, 2, v0
	ds_write2st64_b32 v18, v1, v4 offset1:1
	ds_write2st64_b32 v18, v6, v7 offset0:2 offset1:3
	ds_write2st64_b32 v18, v8, v9 offset0:4 offset1:5
	;; [unrolled: 1-line block ×3, first 2 shown]
	v_cndmask_b32_e64 v15, 0, v15, s[4:5]
	v_cmp_nlt_f32_e64 s[4:5], s41, v16
	s_nop 1
	v_cndmask_b32_e64 v5, v5, v15, s[4:5]
	v_add_f32_e32 v15, v1, v4
	v_add_f32_e32 v15, v15, v6
	v_add_f32_e32 v15, v15, v7
	v_add_f32_e32 v15, v15, v8
	v_add_f32_e32 v15, v15, v9
	v_add_f32_e32 v15, v15, v10
	v_add_f32_e32 v15, v15, v11
	v_add_f32_e32 v15, v15, v12
	v_add_f32_e32 v15, v15, v3
	v_add_f32_e32 v15, v15, v13
	v_fmac_f32_e32 v15, v22, v2
	v_cndmask_b32_e32 v5, 0, v5, vcc
	s_waitcnt vmcnt(1)
	v_fmac_f32_e32 v15, v23, v14
	s_waitcnt vmcnt(0)
	v_fmac_f32_e32 v15, v24, v5
	ds_bpermute_b32 v16, v39, v15
	v_cmp_eq_u32_e32 vcc, 0, v0
	v_mul_f32_e32 v14, v23, v14
	v_mul_f32_e32 v5, v24, v5
	ds_write2st64_b32 v18, v12, v3 offset0:8 offset1:9
	ds_write2st64_b32 v18, v13, v17 offset0:10 offset1:11
	;; [unrolled: 1-line block ×3, first 2 shown]
	s_waitcnt lgkmcnt(3)
	v_add_f32_e32 v15, v15, v16
	ds_bpermute_b32 v16, v40, v15
	s_waitcnt lgkmcnt(0)
	v_add_f32_e32 v15, v15, v16
	ds_bpermute_b32 v16, v41, v15
	;; [unrolled: 3-line block ×5, first 2 shown]
	s_and_saveexec_b64 s[4:5], vcc
	s_cbranch_execz .LBB665_8
; %bb.7:
	s_waitcnt lgkmcnt(0)
	v_add_f32_e32 v1, v1, v2
	v_mov_b32_e32 v2, 0
	ds_write_b32 v2, v1 offset:3584
.LBB665_8:
	s_or_b64 exec, exec, s[4:5]
	v_mov_b32_e32 v1, s38
.LBB665_9:
	s_or_b64 exec, exec, s[50:51]
	s_lshl_b32 s4, s52, 7
	s_mov_b32 s5, 0
	s_lshl_b64 s[4:5], s[4:5], 1
	s_add_u32 s4, s36, s4
	s_addc_u32 s5, s37, s5
	s_lshl_b32 s10, s33, 7
	s_add_i32 s11, s10, 0xffffff80
	s_waitcnt lgkmcnt(0)
	v_lshlrev_b32_e32 v2, 7, v1
	v_mov_b32_e32 v3, 0
	s_cmp_lt_i32 s56, 1
	v_lshl_add_u64 v[4:5], v[2:3], 1, s[4:5]
	s_cselect_b32 s4, s11, 0
	v_lshlrev_b32_e32 v2, 1, v0
	s_ashr_i32 s5, s4, 31
	v_lshl_add_u64 v[0:1], v[4:5], 0, v[2:3]
	s_cmpk_lt_i32 s56, 0x101
	v_lshl_add_u64 v[4:5], s[4:5], 1, v[0:1]
	s_cselect_b32 s4, s11, 0x80
	s_ashr_i32 s5, s4, 31
	s_cmpk_lt_i32 s56, 0x201
	v_lshl_add_u64 v[6:7], s[4:5], 1, v[0:1]
	s_cselect_b32 s4, s11, 0x100
	s_ashr_i32 s5, s4, 31
	;; [unrolled: 4-line block ×8, first 2 shown]
	s_cmpk_lt_i32 s56, 0x901
	global_load_ushort v23, v[4:5], off
	global_load_ushort v22, v[6:7], off
	;; [unrolled: 1-line block ×8, first 2 shown]
	v_lshl_add_u64 v[4:5], s[4:5], 1, v[0:1]
	s_cselect_b32 s4, s11, 0x480
	s_ashr_i32 s5, s4, 31
	s_cmpk_lt_i32 s56, 0xa01
	v_lshl_add_u64 v[6:7], s[4:5], 1, v[0:1]
	s_cselect_b32 s4, s11, 0x500
	s_ashr_i32 s5, s4, 31
	s_cmpk_lt_i32 s56, 0xb01
	;; [unrolled: 4-line block ×6, first 2 shown]
	v_lshl_add_u64 v[32:33], s[4:5], 1, v[0:1]
	s_cselect_b32 s4, s11, 0x780
	s_ashr_i32 s5, s4, 31
	v_lshl_add_u64 v[34:35], s[4:5], 1, v[0:1]
	global_load_ushort v30, v[4:5], off
	global_load_ushort v31, v[6:7], off
	;; [unrolled: 1-line block ×8, first 2 shown]
	s_cmpk_gt_i32 s56, 0x1000
	s_cselect_b64 s[8:9], -1, 0
	s_cmpk_lt_i32 s56, 0x1001
	v_mov_b32_e32 v40, 0
	v_mov_b32_e32 v41, 0
	;; [unrolled: 1-line block ×48, first 2 shown]
	s_barrier
	s_cbranch_scc1 .LBB665_12
; %bb.10:
	s_cmpk_lt_u32 s56, 0x1101
	s_cselect_b32 s4, s11, 0x880
	s_ashr_i32 s5, s4, 31
	s_cmpk_lt_u32 s56, 0x1201
	v_lshl_add_u64 v[6:7], s[4:5], 1, v[0:1]
	s_cselect_b32 s4, s11, 0x900
	s_ashr_i32 s5, s4, 31
	s_cmpk_lt_u32 s56, 0x1301
	v_lshl_add_u64 v[8:9], s[4:5], 1, v[0:1]
	;; [unrolled: 4-line block ×7, first 2 shown]
	s_cselect_b32 s4, s11, 0xc00
	v_add_co_u32_e32 v4, vcc, 0x1000, v0
	s_ashr_i32 s5, s4, 31
	s_nop 0
	v_addc_co_u32_e32 v5, vcc, 0, v1, vcc
	s_cmpk_lt_u32 s56, 0x1901
	global_load_ushort v39, v[4:5], off
	global_load_ushort v38, v[6:7], off
	;; [unrolled: 1-line block ×8, first 2 shown]
	v_lshl_add_u64 v[4:5], s[4:5], 1, v[0:1]
	s_cselect_b32 s4, s11, 0xc80
	s_ashr_i32 s5, s4, 31
	s_cmpk_lt_u32 s56, 0x1a01
	v_lshl_add_u64 v[6:7], s[4:5], 1, v[0:1]
	s_cselect_b32 s4, s11, 0xd00
	s_ashr_i32 s5, s4, 31
	s_cmpk_lt_u32 s56, 0x1b01
	;; [unrolled: 4-line block ×6, first 2 shown]
	v_lshl_add_u64 v[48:49], s[4:5], 1, v[0:1]
	s_cselect_b32 s4, s11, 0xf80
	s_ashr_i32 s5, s4, 31
	v_lshl_add_u64 v[50:51], s[4:5], 1, v[0:1]
	global_load_ushort v47, v[4:5], off
	global_load_ushort v46, v[6:7], off
	;; [unrolled: 1-line block ×8, first 2 shown]
	s_cmpk_lt_u32 s56, 0x2001
	v_mov_b32_e32 v67, 0
	v_mov_b32_e32 v65, 0
	;; [unrolled: 1-line block ×32, first 2 shown]
	s_cbranch_scc1 .LBB665_12
; %bb.11:
	s_cmpk_lt_u32 s56, 0x2101
	s_cselect_b32 s4, s11, 0x1080
	s_ashr_i32 s5, s4, 31
	s_cmpk_lt_u32 s56, 0x2201
	v_lshl_add_u64 v[4:5], s[4:5], 1, v[0:1]
	s_cselect_b32 s4, s11, 0x1100
	s_ashr_i32 s5, s4, 31
	s_cmpk_lt_u32 s56, 0x2301
	v_lshl_add_u64 v[6:7], s[4:5], 1, v[0:1]
	;; [unrolled: 4-line block ×29, first 2 shown]
	s_cselect_b32 s4, s11, 0x1f00
	s_ashr_i32 s5, s4, 31
	v_lshl_add_u64 v[94:95], s[4:5], 1, v[0:1]
	s_movk_i32 s4, 0x2000
	s_cmpk_lt_u32 s56, 0x3f01
	v_add_co_u32_e32 v96, vcc, s4, v0
	s_cselect_b32 s4, s11, 0x1f80
	s_nop 0
	v_addc_co_u32_e32 v97, vcc, 0, v1, vcc
	s_ashr_i32 s5, s4, 31
	global_load_ushort v98, v[96:97], off
	global_load_ushort v99, v[4:5], off
	;; [unrolled: 1-line block ×15, first 2 shown]
                                        ; kill: killed $vgpr54_vgpr55
                                        ; kill: killed $vgpr6_vgpr7
                                        ; kill: killed $vgpr60_vgpr61
                                        ; kill: killed $vgpr12_vgpr13
                                        ; kill: killed $vgpr50_vgpr51
                                        ; kill: killed $vgpr56_vgpr57
                                        ; kill: killed $vgpr8_vgpr9
                                        ; kill: killed $vgpr62_vgpr63
                                        ; kill: killed $vgpr14_vgpr15
                                        ; kill: killed $vgpr96 killed $vgpr97
                                        ; kill: killed $vgpr52_vgpr53
                                        ; kill: killed $vgpr4_vgpr5
                                        ; kill: killed $vgpr58_vgpr59
                                        ; kill: killed $vgpr10_vgpr11
                                        ; kill: killed $vgpr48_vgpr49
	global_load_ushort v6, v[64:65], off
	global_load_ushort v7, v[66:67], off
	;; [unrolled: 1-line block ×15, first 2 shown]
                                        ; kill: killed $vgpr70_vgpr71
                                        ; kill: killed $vgpr92_vgpr93
                                        ; kill: killed $vgpr76_vgpr77
                                        ; kill: killed $vgpr82_vgpr83
                                        ; kill: killed $vgpr66_vgpr67
                                        ; kill: killed $vgpr88_vgpr89
                                        ; kill: killed $vgpr72_vgpr73
                                        ; kill: killed $vgpr94_vgpr95
                                        ; kill: killed $vgpr78_vgpr79
                                        ; kill: killed $vgpr84_vgpr85
                                        ; kill: killed $vgpr68_vgpr69
                                        ; kill: killed $vgpr90_vgpr91
                                        ; kill: killed $vgpr74_vgpr75
                                        ; kill: killed $vgpr80_vgpr81
                                        ; kill: killed $vgpr64_vgpr65
	global_load_ushort v68, v[86:87], off
	v_lshl_add_u64 v[4:5], s[4:5], 1, v[0:1]
	global_load_ushort v5, v[4:5], off
	s_waitcnt vmcnt(31)
	v_lshlrev_b32_e32 v67, 16, v98
	s_waitcnt vmcnt(30)
	v_lshlrev_b32_e32 v65, 16, v99
	;; [unrolled: 2-line block ×32, first 2 shown]
.LBB665_12:
	s_load_dwordx2 s[4:5], s[0:1], 0x0
	s_load_dwordx2 s[6:7], s[0:1], 0x38
	ds_read_b128 v[68:71], v3
	s_waitcnt vmcnt(15)
	v_lshlrev_b32_e32 v23, 16, v23
	ds_read_b128 v[72:75], v3 offset:16
	ds_read_b128 v[76:79], v3 offset:32
	;; [unrolled: 1-line block ×3, first 2 shown]
	s_waitcnt vmcnt(14)
	v_lshlrev_b32_e32 v22, 16, v22
	s_waitcnt vmcnt(13)
	v_lshlrev_b32_e32 v21, 16, v21
	s_waitcnt lgkmcnt(0)
	v_fma_f32 v23, v68, v23, 0
	v_fmac_f32_e32 v23, v69, v22
	v_fmac_f32_e32 v23, v70, v21
	s_waitcnt vmcnt(12)
	v_lshlrev_b32_e32 v20, 16, v20
	s_waitcnt vmcnt(10)
	v_lshlrev_b32_e32 v19, 16, v19
	v_lshlrev_b32_e32 v18, 16, v18
	v_fmac_f32_e32 v23, v71, v20
	v_pk_mul_f32 v[18:19], v[72:73], v[18:19]
	s_waitcnt vmcnt(8)
	v_lshlrev_b32_e32 v17, 16, v17
	v_add_f32_e32 v18, v23, v18
	v_lshlrev_b32_e32 v16, 16, v16
	v_add_f32_e32 v18, v18, v19
	v_pk_mul_f32 v[16:17], v[74:75], v[16:17]
	s_and_b64 vcc, exec, s[8:9]
	v_add_f32_e32 v16, v18, v16
	v_add_f32_e32 v18, v16, v17
	s_waitcnt vmcnt(6)
	v_lshlrev_b32_e32 v17, 16, v31
	v_lshlrev_b32_e32 v16, 16, v30
	v_pk_mul_f32 v[16:17], v[76:77], v[16:17]
	s_nop 0
	v_add_f32_e32 v16, v18, v16
	v_add_f32_e32 v18, v16, v17
	s_waitcnt vmcnt(4)
	v_lshlrev_b32_e32 v17, 16, v29
	v_lshlrev_b32_e32 v16, 16, v28
	v_pk_mul_f32 v[16:17], v[78:79], v[16:17]
	s_nop 0
	;; [unrolled: 7-line block ×4, first 2 shown]
	v_add_f32_e32 v16, v18, v16
	v_add_f32_e32 v110, v16, v17
	s_cbranch_vccz .LBB665_15
; %bb.13:
	ds_read_b128 v[16:19], v3 offset:64
	v_lshlrev_b32_e32 v39, 16, v39
	ds_read_b128 v[20:23], v3 offset:80
	ds_read_b128 v[24:27], v3 offset:96
	;; [unrolled: 1-line block ×3, first 2 shown]
	v_lshlrev_b32_e32 v3, 16, v38
	s_cmpk_lt_u32 s56, 0x2001
	s_waitcnt lgkmcnt(3)
	v_fmac_f32_e32 v110, v16, v39
	v_fmac_f32_e32 v110, v17, v3
	v_lshlrev_b32_e32 v3, 16, v37
	v_fmac_f32_e32 v110, v18, v3
	v_lshlrev_b32_e32 v3, 16, v36
	v_fmac_f32_e32 v110, v19, v3
	v_lshlrev_b32_e32 v3, 16, v35
	s_waitcnt lgkmcnt(2)
	v_fmac_f32_e32 v110, v20, v3
	v_lshlrev_b32_e32 v3, 16, v34
	v_fmac_f32_e32 v110, v21, v3
	v_lshlrev_b32_e32 v3, 16, v33
	v_fmac_f32_e32 v110, v22, v3
	v_lshlrev_b32_e32 v3, 16, v32
	v_fmac_f32_e32 v110, v23, v3
	v_lshlrev_b32_e32 v3, 16, v47
	s_waitcnt lgkmcnt(1)
	v_fmac_f32_e32 v110, v24, v3
	v_lshlrev_b32_e32 v3, 16, v46
	;; [unrolled: 9-line block ×3, first 2 shown]
	v_fmac_f32_e32 v110, v29, v3
	v_lshlrev_b32_e32 v3, 16, v41
	v_fmac_f32_e32 v110, v30, v3
	v_lshlrev_b32_e32 v3, 16, v40
	v_fmac_f32_e32 v110, v31, v3
	s_cbranch_scc1 .LBB665_15
; %bb.14:
	v_mov_b32_e32 v3, 0
	ds_read_b128 v[16:19], v3 offset:128
	ds_read_b128 v[20:23], v3 offset:144
	;; [unrolled: 1-line block ×4, first 2 shown]
	s_waitcnt lgkmcnt(3)
	v_fmac_f32_e32 v110, v16, v67
	v_fmac_f32_e32 v110, v17, v65
	v_fmac_f32_e32 v110, v18, v66
	v_fmac_f32_e32 v110, v19, v63
	s_waitcnt lgkmcnt(2)
	v_fmac_f32_e32 v110, v20, v64
	v_fmac_f32_e32 v110, v21, v61
	v_fmac_f32_e32 v110, v22, v62
	v_fmac_f32_e32 v110, v23, v59
	;; [unrolled: 5-line block ×3, first 2 shown]
	ds_read_b128 v[16:19], v3 offset:192
	ds_read_b128 v[20:23], v3 offset:208
	s_waitcnt lgkmcnt(2)
	v_fmac_f32_e32 v110, v28, v56
	v_fmac_f32_e32 v110, v29, v53
	;; [unrolled: 1-line block ×4, first 2 shown]
	s_waitcnt lgkmcnt(1)
	v_fmac_f32_e32 v110, v16, v51
	v_fmac_f32_e32 v110, v17, v49
	;; [unrolled: 1-line block ×4, first 2 shown]
	s_waitcnt lgkmcnt(0)
	v_pk_mul_f32 v[14:15], v[20:21], v[14:15]
	v_pk_mul_f32 v[12:13], v[22:23], v[12:13]
	v_add_f32_e32 v14, v110, v14
	v_add_f32_e32 v18, v14, v15
	ds_read_b128 v[14:17], v3 offset:224
	v_add_f32_e32 v12, v18, v12
	ds_read_b128 v[18:21], v3 offset:240
	v_add_f32_e32 v12, v12, v13
	s_waitcnt lgkmcnt(1)
	v_pk_mul_f32 v[10:11], v[14:15], v[10:11]
	s_nop 0
	v_add_f32_e32 v3, v12, v10
	v_add_f32_e32 v3, v3, v11
	v_pk_mul_f32 v[8:9], v[16:17], v[8:9]
	s_waitcnt lgkmcnt(0)
	v_pk_mul_f32 v[6:7], v[18:19], v[6:7]
	v_add_f32_e32 v3, v3, v8
	v_add_f32_e32 v3, v3, v9
	;; [unrolled: 1-line block ×4, first 2 shown]
	v_pk_mul_f32 v[4:5], v[20:21], v[4:5]
	s_nop 0
	v_add_f32_e32 v3, v3, v4
	v_add_f32_e32 v110, v3, v5
.LBB665_15:
	s_movk_i32 s0, 0x3f80
	s_movk_i32 s1, 0x100
	s_mov_b32 s8, 64
	s_branch .LBB665_17
.LBB665_16:                             ;   in Loop: Header=BB665_17 Depth=1
	s_addk_i32 s0, 0x2000
	s_addk_i32 s1, 0x100
	s_add_i32 s8, s8, 64
	s_cmp_eq_u32 s0, 0x1df80
	s_cbranch_scc1 .LBB665_19
.LBB665_17:                             ; =>This Inner Loop Header: Depth=1
	s_cmp_le_i32 s33, s8
	s_cbranch_scc1 .LBB665_16
; %bb.18:                               ;   in Loop: Header=BB665_17 Depth=1
	s_add_i32 s9, s0, 0xffffe080
	s_cmp_lt_i32 s9, s10
	s_cselect_b32 s12, s9, s11
	s_ashr_i32 s13, s12, 31
	s_add_i32 s9, s0, 0xffffe100
	s_cmp_lt_i32 s9, s10
	v_lshl_add_u64 v[42:43], s[12:13], 1, v[0:1]
	s_cselect_b32 s12, s9, s11
	s_ashr_i32 s13, s12, 31
	s_add_i32 s9, s0, 0xffffe180
	s_cmp_lt_i32 s9, s10
	v_lshl_add_u64 v[4:5], s[12:13], 1, v[0:1]
	;; [unrolled: 5-line block ×25, first 2 shown]
	s_cselect_b32 s12, s9, s11
	s_ashr_i32 s13, s12, 31
	s_add_i32 s9, s0, 0xffffed80
	s_cmp_lt_i32 s9, s10
	global_load_ushort v3, v[42:43], off
	global_load_ushort v120, v[44:45], off
	v_lshl_add_u64 v[18:19], s[12:13], 1, v[0:1]
	s_cselect_b32 s12, s9, s11
	global_load_ushort v111, v[4:5], off
	global_load_ushort v112, v[6:7], off
	global_load_ushort v113, v[8:9], off
	global_load_ushort v114, v[10:11], off
	global_load_ushort v115, v[12:13], off
	global_load_ushort v116, v[14:15], off
	global_load_ushort v117, v[16:17], off
	global_load_ushort v118, v[22:23], off
	s_ashr_i32 s13, s12, 31
	s_add_i32 s9, s0, 0xffffee00
	s_cmp_lt_i32 s9, s10
	v_lshl_add_u64 v[20:21], s[12:13], 1, v[0:1]
	s_cselect_b32 s12, s9, s11
	s_ashr_i32 s13, s12, 31
	s_add_i32 s9, s0, 0xffffee80
	s_cmp_lt_i32 s9, s10
	v_lshl_add_u64 v[38:39], s[12:13], 1, v[0:1]
	s_cselect_b32 s12, s9, s11
	s_ashr_i32 s13, s12, 31
	s_add_i32 s9, s0, 0xffffef00
	s_cmp_lt_i32 s9, s10
	global_load_ushort v119, v[28:29], off
	v_lshl_add_u64 v[40:41], s[12:13], 1, v[0:1]
	s_cselect_b32 s12, s9, s11
	s_ashr_i32 s13, s12, 31
	s_add_i32 s9, s0, 0xffffef80
	global_load_ushort v121, v[54:55], off
	global_load_ushort v122, v[56:57], off
	s_cmp_lt_i32 s9, s10
	global_load_ushort v58, v[58:59], off
	v_lshl_add_u64 v[50:51], s[12:13], 1, v[0:1]
	s_cselect_b32 s12, s9, s11
	s_ashr_i32 s13, s12, 31
	s_add_i32 s9, s0, 0xfffff000
	s_cmp_lt_i32 s9, s10
	v_lshl_add_u64 v[52:53], s[12:13], 1, v[0:1]
	s_cselect_b32 s12, s9, s11
	s_ashr_i32 s13, s12, 31
	s_add_i32 s9, s0, 0xfffff080
	global_load_ushort v59, v[60:61], off
	s_cmp_lt_i32 s9, s10
	global_load_ushort v60, v[66:67], off
	global_load_ushort v61, v[62:63], off
	v_lshl_add_u64 v[64:65], s[12:13], 1, v[0:1]
	s_cselect_b32 s12, s9, s11
	s_ashr_i32 s13, s12, 31
	s_add_i32 s9, s0, 0xfffff100
	s_cmp_lt_i32 s9, s10
	v_lshl_add_u64 v[68:69], s[12:13], 1, v[0:1]
	s_cselect_b32 s12, s9, s11
	s_ashr_i32 s13, s12, 31
	s_add_i32 s9, s0, 0xfffff180
	s_cmp_lt_i32 s9, s10
	;; [unrolled: 5-line block ×3, first 2 shown]
	global_load_ushort v62, v[24:25], off
	v_lshl_add_u64 v[72:73], s[12:13], 1, v[0:1]
	s_cselect_b32 s12, s9, s11
	global_load_ushort v66, v[30:31], off
	global_load_ushort v123, v[32:33], off
	;; [unrolled: 1-line block ×4, first 2 shown]
	s_ashr_i32 s13, s12, 31
	s_add_i32 s9, s0, 0xfffff280
	s_cmp_lt_i32 s9, s10
	global_load_ushort v67, v[46:47], off
	v_lshl_add_u64 v[74:75], s[12:13], 1, v[0:1]
	s_cselect_b32 s12, s9, s11
	s_ashr_i32 s13, s12, 31
	s_add_i32 s9, s0, 0xfffff300
	s_cmp_lt_i32 s9, s10
	v_lshl_add_u64 v[76:77], s[12:13], 1, v[0:1]
	s_cselect_b32 s12, s9, s11
	s_ashr_i32 s13, s12, 31
	s_add_i32 s9, s0, 0xfffff380
	s_cmp_lt_i32 s9, s10
	v_mov_b32_e32 v124, s1
	v_lshl_add_u64 v[78:79], s[12:13], 1, v[0:1]
	s_cselect_b32 s12, s9, s11
	ds_read_b128 v[28:31], v124
	ds_read_b128 v[32:35], v124 offset:16
	global_load_ushort v48, v[48:49], off
	s_ashr_i32 s13, s12, 31
	s_add_i32 s9, s0, 0xfffff400
	s_cmp_lt_i32 s9, s10
	v_lshl_add_u64 v[80:81], s[12:13], 1, v[0:1]
	s_cselect_b32 s12, s9, s11
	ds_read_b128 v[44:47], v124 offset:32
	ds_read_b128 v[54:57], v124 offset:48
	global_load_ushort v36, v[36:37], off
	s_ashr_i32 s13, s12, 31
	v_lshl_add_u64 v[82:83], s[12:13], 1, v[0:1]
	global_load_ushort v49, v[82:83], off
	global_load_ushort v37, v[18:19], off
	s_add_i32 s9, s0, 0xfffff480
	s_cmp_lt_i32 s9, s10
	s_cselect_b32 s12, s9, s11
	s_ashr_i32 s13, s12, 31
	s_add_i32 s9, s0, 0xfffff500
	s_cmp_lt_i32 s9, s10
	v_lshl_add_u64 v[84:85], s[12:13], 1, v[0:1]
	s_cselect_b32 s12, s9, s11
	s_ashr_i32 s13, s12, 31
	s_add_i32 s9, s0, 0xfffff580
	s_cmp_lt_i32 s9, s10
	v_lshl_add_u64 v[86:87], s[12:13], 1, v[0:1]
	;; [unrolled: 5-line block ×7, first 2 shown]
	s_cselect_b32 s12, s9, s11
	s_ashr_i32 s13, s12, 31
	s_add_i32 s9, s0, 0xfffff880
	s_waitcnt vmcnt(26)
	v_lshlrev_b32_e32 v3, 16, v3
	s_cmp_lt_i32 s9, s10
	s_waitcnt lgkmcnt(3)
	v_fmac_f32_e32 v110, v28, v3
	s_waitcnt vmcnt(24)
	v_lshlrev_b32_e32 v3, 16, v111
	v_lshl_add_u64 v[98:99], s[12:13], 1, v[0:1]
	s_cselect_b32 s12, s9, s11
	v_fmac_f32_e32 v110, v29, v3
	s_waitcnt vmcnt(23)
	v_lshlrev_b32_e32 v3, 16, v112
	s_ashr_i32 s13, s12, 31
	s_add_i32 s9, s0, 0xfffff900
	v_fmac_f32_e32 v110, v30, v3
	s_waitcnt vmcnt(22)
	v_lshlrev_b32_e32 v3, 16, v113
	s_cmp_lt_i32 s9, s10
	v_fmac_f32_e32 v110, v31, v3
	s_waitcnt vmcnt(21)
	v_lshlrev_b32_e32 v3, 16, v114
	v_lshl_add_u64 v[102:103], s[12:13], 1, v[0:1]
	s_cselect_b32 s12, s9, s11
	s_waitcnt lgkmcnt(2)
	v_fmac_f32_e32 v110, v32, v3
	global_load_ushort v3, v[20:21], off
	global_load_ushort v32, v[38:39], off
	s_waitcnt vmcnt(22)
	v_lshlrev_b32_e32 v18, 16, v115
	s_ashr_i32 s13, s12, 31
	s_add_i32 s9, s0, 0xfffff980
	v_fmac_f32_e32 v110, v33, v18
	s_waitcnt vmcnt(21)
	v_lshlrev_b32_e32 v18, 16, v116
	s_cmp_lt_i32 s9, s10
	v_fmac_f32_e32 v110, v34, v18
	s_waitcnt vmcnt(20)
	v_lshlrev_b32_e32 v18, 16, v117
	v_lshl_add_u64 v[104:105], s[12:13], 1, v[0:1]
	s_cselect_b32 s12, s9, s11
	global_load_ushort v33, v[40:41], off
	global_load_ushort v34, v[50:51], off
	v_fmac_f32_e32 v110, v35, v18
	global_load_ushort v35, v[52:53], off
	global_load_ushort v38, v[64:65], off
	;; [unrolled: 1-line block ×3, first 2 shown]
	s_waitcnt vmcnt(24)
	v_lshlrev_b32_e32 v18, 16, v118
	s_ashr_i32 s13, s12, 31
	s_add_i32 s9, s0, 0xfffffa00
	s_waitcnt lgkmcnt(1)
	v_fmac_f32_e32 v110, v44, v18
	global_load_ushort v44, v[74:75], off
	s_waitcnt vmcnt(24)
	v_lshlrev_b32_e32 v18, 16, v119
	s_cmp_lt_i32 s9, s10
	v_fmac_f32_e32 v110, v45, v18
	v_lshlrev_b32_e32 v18, 16, v120
	v_lshl_add_u64 v[106:107], s[12:13], 1, v[0:1]
	s_cselect_b32 s12, s9, s11
	v_fmac_f32_e32 v110, v46, v18
	global_load_ushort v46, v[78:79], off
	s_waitcnt vmcnt(24)
	v_lshlrev_b32_e32 v18, 16, v121
	s_ashr_i32 s13, s12, 31
	s_add_i32 s9, s0, 0xfffffa80
	v_fmac_f32_e32 v110, v47, v18
	s_waitcnt vmcnt(23)
	v_lshlrev_b32_e32 v18, 16, v122
	s_cmp_lt_i32 s9, s10
	s_waitcnt lgkmcnt(0)
	v_fmac_f32_e32 v110, v54, v18
	global_load_ushort v54, v[90:91], off
	global_load_ushort v40, v[70:71], off
	;; [unrolled: 1-line block ×8, first 2 shown]
	v_lshl_add_u64 v[100:101], s[12:13], 1, v[0:1]
	s_cselect_b32 s12, s9, s11
	s_ashr_i32 s13, s12, 31
	s_add_i32 s9, s0, 0xfffffb00
	s_cmp_lt_i32 s9, s10
	s_waitcnt vmcnt(30)
	v_lshlrev_b32_e32 v18, 16, v58
	v_lshl_add_u64 v[42:43], s[12:13], 1, v[0:1]
	s_cselect_b32 s12, s9, s11
	v_fmac_f32_e32 v110, v55, v18
	s_waitcnt vmcnt(29)
	v_lshlrev_b32_e32 v18, 16, v59
	s_ashr_i32 s13, s12, 31
	s_add_i32 s9, s0, 0xfffffb80
	v_fmac_f32_e32 v110, v56, v18
	s_waitcnt vmcnt(28)
	v_lshlrev_b32_e32 v18, 16, v60
	s_cmp_lt_i32 s9, s10
	v_fmac_f32_e32 v110, v57, v18
	ds_read_b128 v[18:21], v124 offset:64
	ds_read_b128 v[28:31], v124 offset:80
	v_lshl_add_u64 v[108:109], s[12:13], 1, v[0:1]
	s_cselect_b32 s12, s9, s11
	s_ashr_i32 s13, s12, 31
	s_add_i32 s9, s0, 0xfffffc00
	s_cmp_lt_i32 s9, s10
	v_lshl_add_u64 v[4:5], s[12:13], 1, v[0:1]
	s_cselect_b32 s12, s9, s11
	s_waitcnt vmcnt(27)
	v_lshlrev_b32_e32 v52, 16, v61
	s_ashr_i32 s13, s12, 31
	s_add_i32 s9, s0, 0xfffffc80
	s_waitcnt lgkmcnt(1)
	v_fmac_f32_e32 v110, v18, v52
	global_load_ushort v52, v[92:93], off
	s_cmp_lt_i32 s9, s10
	global_load_ushort v55, v[94:95], off
	global_load_ushort v56, v[96:97], off
	;; [unrolled: 1-line block ×5, first 2 shown]
	v_lshl_add_u64 v[6:7], s[12:13], 1, v[0:1]
	s_cselect_b32 s12, s9, s11
	s_ashr_i32 s13, s12, 31
	s_add_i32 s9, s0, 0xfffffd00
	s_waitcnt vmcnt(32)
	v_lshlrev_b32_e32 v18, 16, v62
	s_cmp_lt_i32 s9, s10
	v_fmac_f32_e32 v110, v19, v18
	s_waitcnt vmcnt(28)
	v_lshlrev_b32_e32 v18, 16, v63
	v_lshl_add_u64 v[8:9], s[12:13], 1, v[0:1]
	s_cselect_b32 s12, s9, s11
	v_fmac_f32_e32 v110, v20, v18
	v_lshlrev_b32_e32 v18, 16, v66
	s_ashr_i32 s13, s12, 31
	s_add_i32 s9, s0, 0xfffffd80
	v_fmac_f32_e32 v110, v21, v18
	s_waitcnt vmcnt(27)
	v_lshlrev_b32_e32 v18, 16, v67
	s_cmp_lt_i32 s9, s10
	s_waitcnt lgkmcnt(0)
	v_fmac_f32_e32 v110, v28, v18
	global_load_ushort v28, v[106:107], off
	v_lshl_add_u64 v[12:13], s[12:13], 1, v[0:1]
	s_cselect_b32 s12, s9, s11
	global_load_ushort v60, v[100:101], off
	global_load_ushort v61, v[42:43], off
	;; [unrolled: 1-line block ×3, first 2 shown]
	s_ashr_i32 s13, s12, 31
	s_add_i32 s9, s0, 0xfffffe00
	v_lshlrev_b32_e32 v18, 16, v123
	s_cmp_lt_i32 s9, s10
	v_fmac_f32_e32 v110, v29, v18
	v_lshlrev_b32_e32 v18, 16, v125
	v_lshl_add_u64 v[10:11], s[12:13], 1, v[0:1]
	s_cselect_b32 s12, s9, s11
	v_fmac_f32_e32 v110, v30, v18
	global_load_ushort v29, v[4:5], off
	global_load_ushort v30, v[6:7], off
	s_ashr_i32 s13, s12, 31
	s_add_i32 s9, s0, 0xfffffe80
	s_cmp_lt_i32 s9, s10
	s_waitcnt vmcnt(32)
	v_lshlrev_b32_e32 v4, 16, v48
	v_lshl_add_u64 v[22:23], s[12:13], 1, v[0:1]
	s_cselect_b32 s12, s9, s11
	v_fmac_f32_e32 v110, v31, v4
	ds_read_b128 v[4:7], v124 offset:96
	s_ashr_i32 s13, s12, 31
	s_add_i32 s9, s0, 0xffffff00
	s_cmp_lt_i32 s9, s10
	s_waitcnt vmcnt(31)
	v_lshlrev_b32_e32 v31, 16, v36
	global_load_ushort v36, v[8:9], off
	global_load_ushort v42, v[12:13], off
	v_lshl_add_u64 v[14:15], s[12:13], 1, v[0:1]
	s_cselect_b32 s12, s9, s11
	s_ashr_i32 s13, s12, 31
	s_add_i32 s9, s0, 0xffffff80
	s_cmp_lt_i32 s9, s10
	ds_read_b128 v[18:21], v124 offset:112
	s_waitcnt lgkmcnt(1)
	v_fmac_f32_e32 v110, v4, v31
	s_waitcnt vmcnt(31)
	v_lshlrev_b32_e32 v4, 16, v37
	global_load_ushort v31, v[10:11], off
	global_load_ushort v37, v[22:23], off
	v_lshl_add_u64 v[24:25], s[12:13], 1, v[0:1]
	s_cselect_b32 s12, s9, s11
	s_ashr_i32 s13, s12, 31
	s_cmp_lt_i32 s0, s10
	global_load_ushort v22, v[14:15], off
	global_load_ushort v23, v[24:25], off
	v_lshl_add_u64 v[16:17], s[12:13], 1, v[0:1]
	s_cselect_b32 s12, s0, s11
	s_ashr_i32 s13, s12, 31
	v_lshl_add_u64 v[26:27], s[12:13], 1, v[0:1]
	global_load_ushort v14, v[16:17], off
	global_load_ushort v15, v[26:27], off
	v_fmac_f32_e32 v110, v5, v4
	s_waitcnt vmcnt(36)
	v_lshlrev_b32_e32 v3, 16, v3
	v_fmac_f32_e32 v110, v6, v3
	s_waitcnt vmcnt(35)
	v_lshlrev_b32_e32 v3, 16, v32
	;; [unrolled: 3-line block ×3, first 2 shown]
	ds_read_b128 v[4:7], v124 offset:128
	ds_read_b128 v[8:11], v124 offset:144
	s_waitcnt lgkmcnt(2)
	v_fmac_f32_e32 v110, v18, v3
	s_waitcnt vmcnt(33)
	v_lshlrev_b32_e32 v3, 16, v34
	v_fmac_f32_e32 v110, v19, v3
	s_waitcnt vmcnt(32)
	v_lshlrev_b32_e32 v3, 16, v35
	;; [unrolled: 3-line block ×4, first 2 shown]
	s_waitcnt lgkmcnt(1)
	v_fmac_f32_e32 v110, v4, v3
	s_waitcnt vmcnt(26)
	v_lshlrev_b32_e32 v3, 16, v40
	v_fmac_f32_e32 v110, v5, v3
	s_waitcnt vmcnt(25)
	v_lshlrev_b32_e32 v3, 16, v41
	v_fmac_f32_e32 v110, v6, v3
	v_lshlrev_b32_e32 v3, 16, v44
	v_fmac_f32_e32 v110, v7, v3
	s_waitcnt vmcnt(24)
	v_lshlrev_b32_e32 v3, 16, v45
	ds_read_b128 v[4:7], v124 offset:160
	s_waitcnt lgkmcnt(1)
	v_fmac_f32_e32 v110, v8, v3
	v_lshlrev_b32_e32 v3, 16, v46
	v_fmac_f32_e32 v110, v9, v3
	s_waitcnt vmcnt(23)
	v_lshlrev_b32_e32 v3, 16, v47
	v_fmac_f32_e32 v110, v10, v3
	v_lshlrev_b32_e32 v3, 16, v49
	v_fmac_f32_e32 v110, v11, v3
	ds_read_b128 v[8:11], v124 offset:176
	s_waitcnt vmcnt(22)
	v_lshlrev_b32_e32 v3, 16, v50
	s_waitcnt lgkmcnt(1)
	v_fmac_f32_e32 v110, v4, v3
	s_waitcnt vmcnt(21)
	v_lshlrev_b32_e32 v3, 16, v51
	v_fmac_f32_e32 v110, v5, v3
	s_waitcnt vmcnt(20)
	v_lshlrev_b32_e32 v3, 16, v53
	v_fmac_f32_e32 v110, v6, v3
	v_lshlrev_b32_e32 v3, 16, v54
	v_fmac_f32_e32 v110, v7, v3
	s_waitcnt vmcnt(19)
	v_lshlrev_b32_e32 v3, 16, v52
	s_waitcnt lgkmcnt(0)
	v_fmac_f32_e32 v110, v8, v3
	s_waitcnt vmcnt(18)
	v_lshlrev_b32_e32 v3, 16, v55
	ds_read_b128 v[4:7], v124 offset:192
	v_fmac_f32_e32 v110, v9, v3
	s_waitcnt vmcnt(17)
	v_lshlrev_b32_e32 v3, 16, v56
	v_fmac_f32_e32 v110, v10, v3
	s_waitcnt vmcnt(16)
	v_lshlrev_b32_e32 v3, 16, v57
	v_fmac_f32_e32 v110, v11, v3
	ds_read_b128 v[8:11], v124 offset:208
	s_waitcnt vmcnt(15)
	v_lshlrev_b32_e32 v3, 16, v58
	s_waitcnt lgkmcnt(1)
	v_fmac_f32_e32 v110, v4, v3
	s_waitcnt vmcnt(14)
	v_lshlrev_b32_e32 v3, 16, v59
	v_fmac_f32_e32 v110, v5, v3
	s_waitcnt vmcnt(13)
	v_lshlrev_b32_e32 v3, 16, v28
	v_fmac_f32_e32 v110, v6, v3
	s_waitcnt vmcnt(12)
	v_lshlrev_b32_e32 v3, 16, v60
	s_waitcnt vmcnt(10)
	v_lshlrev_b32_e32 v5, 16, v62
	v_lshlrev_b32_e32 v4, 16, v61
	v_fmac_f32_e32 v110, v7, v3
	s_waitcnt lgkmcnt(0)
	v_pk_mul_f32 v[4:5], v[8:9], v[4:5]
	s_waitcnt vmcnt(6)
	v_lshlrev_b32_e32 v13, 16, v42
	v_add_f32_e32 v3, v110, v4
	v_add_f32_e32 v3, v3, v5
	v_lshlrev_b32_e32 v5, 16, v30
	v_lshlrev_b32_e32 v4, 16, v29
	v_pk_mul_f32 v[8:9], v[10:11], v[4:5]
	ds_read_b128 v[4:7], v124 offset:224
	v_add_f32_e32 v3, v3, v8
	v_lshlrev_b32_e32 v12, 16, v36
	v_add_f32_e32 v3, v3, v9
	ds_read_b128 v[8:11], v124 offset:240
	s_waitcnt lgkmcnt(1)
	v_pk_mul_f32 v[4:5], v[4:5], v[12:13]
	s_nop 0
	v_add_f32_e32 v3, v3, v4
	v_add_f32_e32 v3, v3, v5
	s_waitcnt vmcnt(4)
	v_lshlrev_b32_e32 v5, 16, v37
	v_lshlrev_b32_e32 v4, 16, v31
	v_pk_mul_f32 v[4:5], v[6:7], v[4:5]
	s_nop 0
	v_add_f32_e32 v3, v3, v4
	v_add_f32_e32 v3, v3, v5
	s_waitcnt vmcnt(2)
	v_lshlrev_b32_e32 v5, 16, v23
	v_lshlrev_b32_e32 v4, 16, v22
	s_waitcnt lgkmcnt(0)
	v_pk_mul_f32 v[4:5], v[8:9], v[4:5]
	s_nop 0
	v_add_f32_e32 v3, v3, v4
	v_add_f32_e32 v3, v3, v5
	s_waitcnt vmcnt(1)
	v_lshlrev_b32_e32 v4, 16, v14
	s_waitcnt vmcnt(0)
	v_lshlrev_b32_e32 v5, 16, v15
	v_pk_mul_f32 v[4:5], v[10:11], v[4:5]
	s_nop 0
	v_add_f32_e32 v3, v3, v4
	v_add_f32_e32 v110, v3, v5
	s_branch .LBB665_16
.LBB665_19:
	v_mov_b32_e32 v0, 0
	ds_read_b32 v0, v0 offset:3584
	s_cmp_lg_u64 s[6:7], 0
	s_cbranch_scc0 .LBB665_28
; %bb.20:
	s_load_dword s6, s[6:7], 0x0
	s_waitcnt lgkmcnt(0)
	v_div_scale_f32 v1, s[0:1], s6, s6, 1.0
	v_rcp_f32_e32 v3, v1
	v_div_scale_f32 v4, vcc, 1.0, s6, 1.0
	v_fma_f32 v5, -v1, v3, 1.0
	v_fmac_f32_e32 v3, v5, v3
	v_mul_f32_e32 v5, v4, v3
	v_fma_f32 v6, -v1, v5, v4
	v_fmac_f32_e32 v5, v6, v3
	v_fma_f32 v1, -v1, v5, v4
	v_div_fmas_f32 v1, v1, v3, v5
	v_div_fixup_f32 v1, v1, s6, 1.0
	s_andn2_b64 vcc, exec, s[46:47]
	s_cbranch_vccnz .LBB665_22
.LBB665_21:
	s_add_u32 s0, s44, s48
	s_addc_u32 s1, s45, s49
	s_load_dword s34, s[0:1], 0x0
	s_mov_b32 s35, 0
.LBB665_22:
	s_waitcnt lgkmcnt(0)
	v_add_f32_e32 v0, 0x358637bd, v0
	v_div_scale_f32 v3, s[0:1], v0, v0, 1.0
	v_rcp_f32_e32 v4, v3
	v_div_scale_f32 v5, vcc, 1.0, v0, 1.0
	s_mov_b32 s0, 0x7f800000
	v_fma_f32 v6, -v3, v4, 1.0
	v_fmac_f32_e32 v4, v6, v4
	v_mul_f32_e32 v6, v5, v4
	v_fma_f32 v7, -v3, v6, v5
	v_fmac_f32_e32 v6, v7, v4
	v_fma_f32 v3, -v3, v6, v5
	v_div_fmas_f32 v3, v3, v4, v6
	v_div_fixup_f32 v0, v3, v0, 1.0
	v_mul_f32_e32 v0, v110, v0
	v_mul_f32_e32 v1, v0, v1
	v_and_b32_e32 v0, 0x7f800000, v1
	v_cmp_ne_u32_e32 vcc, s0, v0
                                        ; implicit-def: $vgpr0
	s_and_saveexec_b64 s[0:1], vcc
	s_xor_b64 s[0:1], exec, s[0:1]
; %bb.23:
	v_bfe_u32 v0, v1, 16, 1
	s_movk_i32 s6, 0x7fff
	v_add3_u32 v0, v1, v0, s6
                                        ; implicit-def: $vgpr1
; %bb.24:
	s_andn2_saveexec_b64 s[0:1], s[0:1]
; %bb.25:
	v_mov_b32_e32 v0, 0
	v_or_b32_e32 v3, 0x10000, v1
	v_cmp_eq_u32_sdwa vcc, v1, v0 src0_sel:WORD_0 src1_sel:DWORD
	s_nop 1
	v_cndmask_b32_e32 v0, v3, v1, vcc
; %bb.26:
	s_or_b64 exec, exec, s[0:1]
	s_mul_i32 s0, s3, s35
	s_mul_hi_u32 s1, s3, s34
	s_add_i32 s1, s1, s0
	s_mul_i32 s0, s3, s34
	s_lshl_b64 s[0:1], s[0:1], 8
	s_add_u32 s4, s4, s0
	s_mov_b32 s3, 0
	s_addc_u32 s5, s5, s1
	s_lshl_b64 s[0:1], s[2:3], 8
	s_add_u32 s0, s4, s0
	s_addc_u32 s1, s5, s1
	global_store_short_d16_hi v2, v0, s[0:1]
	s_endpgm
.LBB665_27:
	s_mov_b64 s[6:7], 0
	s_branch .LBB665_2
.LBB665_28:
	v_mov_b32_e32 v1, 1.0
	s_andn2_b64 vcc, exec, s[46:47]
	s_cbranch_vccz .LBB665_21
	s_branch .LBB665_22
	.section	.rodata,"a",@progbits
	.p2align	6, 0x0
	.amdhsa_kernel _Z35paged_attention_ll4mi_reduce_kernelI14__hip_bfloat16S0_Li128ELi128ELi256ELi14EEvPT0_PKfS4_PKT_PKiS9_iS4_
		.amdhsa_group_segment_fixed_size 3588
		.amdhsa_private_segment_fixed_size 0
		.amdhsa_kernarg_size 320
		.amdhsa_user_sgpr_count 2
		.amdhsa_user_sgpr_dispatch_ptr 0
		.amdhsa_user_sgpr_queue_ptr 0
		.amdhsa_user_sgpr_kernarg_segment_ptr 1
		.amdhsa_user_sgpr_dispatch_id 0
		.amdhsa_user_sgpr_kernarg_preload_length 0
		.amdhsa_user_sgpr_kernarg_preload_offset 0
		.amdhsa_user_sgpr_private_segment_size 0
		.amdhsa_uses_dynamic_stack 0
		.amdhsa_enable_private_segment 0
		.amdhsa_system_sgpr_workgroup_id_x 1
		.amdhsa_system_sgpr_workgroup_id_y 1
		.amdhsa_system_sgpr_workgroup_id_z 0
		.amdhsa_system_sgpr_workgroup_info 0
		.amdhsa_system_vgpr_workitem_id 0
		.amdhsa_next_free_vgpr 126
		.amdhsa_next_free_sgpr 57
		.amdhsa_accum_offset 128
		.amdhsa_reserve_vcc 1
		.amdhsa_float_round_mode_32 0
		.amdhsa_float_round_mode_16_64 0
		.amdhsa_float_denorm_mode_32 3
		.amdhsa_float_denorm_mode_16_64 3
		.amdhsa_dx10_clamp 1
		.amdhsa_ieee_mode 1
		.amdhsa_fp16_overflow 0
		.amdhsa_tg_split 0
		.amdhsa_exception_fp_ieee_invalid_op 0
		.amdhsa_exception_fp_denorm_src 0
		.amdhsa_exception_fp_ieee_div_zero 0
		.amdhsa_exception_fp_ieee_overflow 0
		.amdhsa_exception_fp_ieee_underflow 0
		.amdhsa_exception_fp_ieee_inexact 0
		.amdhsa_exception_int_div_zero 0
	.end_amdhsa_kernel
	.section	.text._Z35paged_attention_ll4mi_reduce_kernelI14__hip_bfloat16S0_Li128ELi128ELi256ELi14EEvPT0_PKfS4_PKT_PKiS9_iS4_,"axG",@progbits,_Z35paged_attention_ll4mi_reduce_kernelI14__hip_bfloat16S0_Li128ELi128ELi256ELi14EEvPT0_PKfS4_PKT_PKiS9_iS4_,comdat
.Lfunc_end665:
	.size	_Z35paged_attention_ll4mi_reduce_kernelI14__hip_bfloat16S0_Li128ELi128ELi256ELi14EEvPT0_PKfS4_PKT_PKiS9_iS4_, .Lfunc_end665-_Z35paged_attention_ll4mi_reduce_kernelI14__hip_bfloat16S0_Li128ELi128ELi256ELi14EEvPT0_PKfS4_PKT_PKiS9_iS4_
                                        ; -- End function
	.section	.AMDGPU.csdata,"",@progbits
; Kernel info:
; codeLenInByte = 10592
; NumSgprs: 63
; NumVgprs: 126
; NumAgprs: 0
; TotalNumVgprs: 126
; ScratchSize: 0
; MemoryBound: 0
; FloatMode: 240
; IeeeMode: 1
; LDSByteSize: 3588 bytes/workgroup (compile time only)
; SGPRBlocks: 7
; VGPRBlocks: 15
; NumSGPRsForWavesPerEU: 63
; NumVGPRsForWavesPerEU: 126
; AccumOffset: 128
; Occupancy: 4
; WaveLimiterHint : 1
; COMPUTE_PGM_RSRC2:SCRATCH_EN: 0
; COMPUTE_PGM_RSRC2:USER_SGPR: 2
; COMPUTE_PGM_RSRC2:TRAP_HANDLER: 0
; COMPUTE_PGM_RSRC2:TGID_X_EN: 1
; COMPUTE_PGM_RSRC2:TGID_Y_EN: 1
; COMPUTE_PGM_RSRC2:TGID_Z_EN: 0
; COMPUTE_PGM_RSRC2:TIDIG_COMP_CNT: 0
; COMPUTE_PGM_RSRC3_GFX90A:ACCUM_OFFSET: 31
; COMPUTE_PGM_RSRC3_GFX90A:TG_SPLIT: 0
	.section	.text._Z35paged_attention_ll4mi_reduce_kernelI14__hip_bfloat16S0_Li128ELi128ELi256ELi15EEvPT0_PKfS4_PKT_PKiS9_iS4_,"axG",@progbits,_Z35paged_attention_ll4mi_reduce_kernelI14__hip_bfloat16S0_Li128ELi128ELi256ELi15EEvPT0_PKfS4_PKT_PKiS9_iS4_,comdat
	.protected	_Z35paged_attention_ll4mi_reduce_kernelI14__hip_bfloat16S0_Li128ELi128ELi256ELi15EEvPT0_PKfS4_PKT_PKiS9_iS4_ ; -- Begin function _Z35paged_attention_ll4mi_reduce_kernelI14__hip_bfloat16S0_Li128ELi128ELi256ELi15EEvPT0_PKfS4_PKT_PKiS9_iS4_
	.globl	_Z35paged_attention_ll4mi_reduce_kernelI14__hip_bfloat16S0_Li128ELi128ELi256ELi15EEvPT0_PKfS4_PKT_PKiS9_iS4_
	.p2align	8
	.type	_Z35paged_attention_ll4mi_reduce_kernelI14__hip_bfloat16S0_Li128ELi128ELi256ELi15EEvPT0_PKfS4_PKT_PKiS9_iS4_,@function
_Z35paged_attention_ll4mi_reduce_kernelI14__hip_bfloat16S0_Li128ELi128ELi256ELi15EEvPT0_PKfS4_PKT_PKiS9_iS4_: ; @_Z35paged_attention_ll4mi_reduce_kernelI14__hip_bfloat16S0_Li128ELi128ELi256ELi15EEvPT0_PKfS4_PKT_PKiS9_iS4_
; %bb.0:
	s_load_dwordx2 s[46:47], s[0:1], 0x28
	s_mov_b32 s44, s3
	s_mov_b64 s[4:5], 0
	s_waitcnt lgkmcnt(0)
	s_cmp_lg_u64 s[46:47], 0
	s_cselect_b64 s[48:49], -1, 0
	s_and_b64 vcc, exec, s[48:49]
	s_cbranch_vccz .LBB666_27
; %bb.1:
	s_add_i32 s6, s44, 1
	s_mov_b32 s7, 0
	s_lshl_b64 s[8:9], s[6:7], 2
	s_add_u32 s8, s46, s8
	s_mov_b32 s45, s7
	s_addc_u32 s9, s47, s9
	s_lshl_b64 s[6:7], s[44:45], 2
	s_add_u32 s6, s46, s6
	s_addc_u32 s7, s47, s7
	s_load_dword s3, s[8:9], 0x0
	s_load_dword s10, s[6:7], 0x0
	s_waitcnt lgkmcnt(0)
	s_sub_i32 s3, s3, s10
	s_cmp_eq_u32 s3, 1
	s_cselect_b64 s[6:7], -1, 0
	s_andn2_b64 vcc, exec, s[4:5]
	s_cbranch_vccnz .LBB666_3
.LBB666_2:
	s_mov_b32 s45, 0
	s_mov_b64 s[6:7], -1
.LBB666_3:
	s_andn2_b64 vcc, exec, s[6:7]
	s_cbranch_vccz .LBB666_5
; %bb.4:
	s_endpgm
.LBB666_5:
	s_load_dwordx4 s[36:39], s[0:1], 0x18
	s_load_dword s8, s[0:1], 0x30
	s_lshl_b64 s[50:51], s[44:45], 2
	v_cmp_lt_u32_e32 vcc, 63, v0
	s_waitcnt lgkmcnt(0)
	s_add_u32 s4, s38, s50
	s_addc_u32 s5, s39, s51
	s_load_dword s58, s[4:5], 0x0
	s_load_dword s3, s[0:1], 0x40
	s_mul_i32 s38, s2, s8
	s_mul_i32 s6, s44, s8
	s_waitcnt lgkmcnt(0)
	s_add_i32 s7, s58, 0xff
	s_ashr_i32 s4, s7, 31
	s_lshr_b32 s4, s4, 24
	s_add_i32 s7, s7, s4
	s_and_saveexec_b64 s[4:5], vcc
	s_xor_b64 s[4:5], exec, s[4:5]
	s_or_saveexec_b64 s[52:53], s[4:5]
	s_ashr_i32 s33, s7, 8
	v_mov_b32_e32 v1, s38
	s_mul_i32 s54, s6, s3
	s_xor_b64 exec, exec, s[52:53]
	s_cbranch_execz .LBB666_9
; %bb.6:
	s_add_i32 s4, s33, -1
	v_or_b32_e32 v3, 64, v0
	v_mov_b32_e32 v1, s4
	v_cmp_gt_u32_e64 s[28:29], s33, v3
	s_load_dwordx4 s[40:43], s[0:1], 0x8
	s_mov_b32 s55, 0
	v_cndmask_b32_e64 v4, v1, v3, s[28:29]
	v_or_b32_e32 v3, 0x80, v0
	v_cmp_gt_u32_e64 s[26:27], s33, v3
	s_lshl_b64 s[56:57], s[54:55], 2
	s_mov_b32 s39, s55
	v_cndmask_b32_e64 v6, v1, v3, s[26:27]
	v_or_b32_e32 v3, 0xc0, v0
	v_cmp_gt_u32_e64 s[24:25], s33, v3
	v_cmp_gt_u32_e64 s[30:31], s33, v0
	s_waitcnt lgkmcnt(0)
	s_add_u32 s34, s42, s56
	v_cndmask_b32_e64 v8, v1, v3, s[24:25]
	v_or_b32_e32 v3, 0x100, v0
	v_cmp_gt_u32_e64 s[22:23], s33, v3
	v_cndmask_b32_e64 v2, v1, v0, s[30:31]
	s_addc_u32 s35, s43, s57
	v_cndmask_b32_e64 v10, v1, v3, s[22:23]
	v_or_b32_e32 v3, 0x140, v0
	v_cmp_gt_u32_e64 s[20:21], s33, v3
	s_lshl_b64 s[42:43], s[38:39], 2
	s_add_u32 s34, s34, s42
	v_cndmask_b32_e64 v12, v1, v3, s[20:21]
	v_or_b32_e32 v3, 0x180, v0
	v_cmp_gt_u32_e64 s[18:19], s33, v3
	s_addc_u32 s35, s35, s43
	v_ashrrev_i32_e32 v5, 31, v4
	v_cndmask_b32_e64 v14, v1, v3, s[18:19]
	v_or_b32_e32 v3, 0x1c0, v0
	v_cmp_gt_u32_e64 s[16:17], s33, v3
	v_ashrrev_i32_e32 v7, 31, v6
	v_ashrrev_i32_e32 v9, 31, v8
	v_cndmask_b32_e64 v16, v1, v3, s[16:17]
	v_or_b32_e32 v3, 0x200, v0
	v_cmp_gt_u32_e64 s[14:15], s33, v3
	v_ashrrev_i32_e32 v17, 31, v16
	;; [unrolled: 5-line block ×3, first 2 shown]
	v_ashrrev_i32_e32 v15, 31, v14
	v_cndmask_b32_e64 v20, v1, v3, s[12:13]
	v_or_b32_e32 v3, 0x280, v0
	v_cmp_gt_u32_e64 s[10:11], s33, v3
	v_lshlrev_b64 v[16:17], 2, v[16:17]
	v_lshlrev_b64 v[4:5], 2, v[4:5]
	v_cndmask_b32_e64 v22, v1, v3, s[10:11]
	v_or_b32_e32 v3, 0x2c0, v0
	v_cmp_gt_u32_e64 s[8:9], s33, v3
	v_lshlrev_b64 v[6:7], 2, v[6:7]
	v_lshlrev_b64 v[8:9], 2, v[8:9]
	;; [unrolled: 5-line block ×3, first 2 shown]
	v_cndmask_b32_e64 v26, v1, v3, s[6:7]
	v_or_b32_e32 v3, 0x340, v0
	v_cmp_gt_u32_e64 s[4:5], s33, v3
	v_lshlrev_b64 v[14:15], 2, v[14:15]
	v_lshl_add_u64 v[46:47], s[34:35], 0, v[16:17]
	v_cndmask_b32_e64 v28, v1, v3, s[4:5]
	v_or_b32_e32 v3, 0x380, v0
	v_cmp_gt_u32_e32 vcc, s33, v3
	v_lshl_add_u64 v[34:35], s[34:35], 0, v[4:5]
	v_lshl_add_u64 v[36:37], s[34:35], 0, v[6:7]
	v_cndmask_b32_e32 v30, v1, v3, vcc
	v_ashrrev_i32_e32 v3, 31, v2
	v_lshlrev_b64 v[2:3], 2, v[2:3]
	v_lshl_add_u64 v[32:33], s[34:35], 0, v[2:3]
	v_lshl_add_u64 v[38:39], s[34:35], 0, v[8:9]
	;; [unrolled: 1-line block ×5, first 2 shown]
	global_load_dword v1, v[32:33], off
	global_load_dword v48, v[34:35], off
	;; [unrolled: 1-line block ×7, first 2 shown]
	s_nop 0
	global_load_dword v46, v[46:47], off
	v_ashrrev_i32_e32 v19, 31, v18
	v_ashrrev_i32_e32 v21, 31, v20
	;; [unrolled: 1-line block ×4, first 2 shown]
	v_lshlrev_b64 v[18:19], 2, v[18:19]
	v_lshlrev_b64 v[20:21], 2, v[20:21]
	;; [unrolled: 1-line block ×4, first 2 shown]
	v_ashrrev_i32_e32 v27, 31, v26
	v_ashrrev_i32_e32 v29, 31, v28
	;; [unrolled: 1-line block ×3, first 2 shown]
	v_lshl_add_u64 v[32:33], s[34:35], 0, v[18:19]
	v_lshl_add_u64 v[34:35], s[34:35], 0, v[20:21]
	;; [unrolled: 1-line block ×4, first 2 shown]
	v_lshlrev_b64 v[26:27], 2, v[26:27]
	v_lshlrev_b64 v[28:29], 2, v[28:29]
	v_lshlrev_b64 v[30:31], 2, v[30:31]
	v_lshl_add_u64 v[40:41], s[34:35], 0, v[26:27]
	v_lshl_add_u64 v[42:43], s[34:35], 0, v[28:29]
	;; [unrolled: 1-line block ×3, first 2 shown]
	global_load_dword v32, v[32:33], off
	s_nop 0
	global_load_dword v33, v[34:35], off
	s_nop 0
	global_load_dword v34, v[36:37], off
	global_load_dword v35, v[38:39], off
	s_nop 0
	global_load_dword v36, v[40:41], off
	global_load_dword v37, v[42:43], off
	;; [unrolled: 1-line block ×3, first 2 shown]
	v_mbcnt_lo_u32_b32 v40, -1, 0
	v_mbcnt_hi_u32_b32 v40, -1, v40
	v_and_b32_e32 v41, 64, v40
	v_add_u32_e32 v41, 64, v41
	v_xor_b32_e32 v42, 32, v40
	v_cmp_lt_i32_e64 s[34:35], v42, v41
	s_mov_b32 s39, 0x3fb8aa3b
	s_waitcnt vmcnt(12)
	v_max3_f32 v39, v1, v48, v49
	v_cndmask_b32_e64 v42, v40, v42, s[34:35]
	s_waitcnt vmcnt(10)
	v_max3_f32 v39, v39, v50, v51
	v_lshlrev_b32_e32 v42, 2, v42
	s_waitcnt vmcnt(8)
	v_max3_f32 v39, v39, v52, v53
	s_waitcnt vmcnt(6)
	v_max3_f32 v39, v39, v46, v32
	s_waitcnt vmcnt(4)
	v_max3_f32 v39, v39, v33, v34
	s_waitcnt vmcnt(2)
	v_max3_f32 v39, v39, v35, v36
	s_waitcnt vmcnt(0)
	v_max3_f32 v39, v39, v37, v38
	ds_bpermute_b32 v43, v42, v39
	s_waitcnt lgkmcnt(0)
	v_max_f32_e32 v43, v43, v43
	v_max_f32_e32 v39, v39, v43
	v_xor_b32_e32 v43, 16, v40
	v_cmp_lt_i32_e64 s[34:35], v43, v41
	s_nop 1
	v_cndmask_b32_e64 v43, v40, v43, s[34:35]
	v_lshlrev_b32_e32 v43, 2, v43
	ds_bpermute_b32 v44, v43, v39
	s_waitcnt lgkmcnt(0)
	v_max_f32_e32 v44, v44, v44
	v_max_f32_e32 v39, v39, v44
	v_xor_b32_e32 v44, 8, v40
	v_cmp_lt_i32_e64 s[34:35], v44, v41
	s_nop 1
	v_cndmask_b32_e64 v44, v40, v44, s[34:35]
	v_lshlrev_b32_e32 v44, 2, v44
	ds_bpermute_b32 v45, v44, v39
	s_waitcnt lgkmcnt(0)
	v_max_f32_e32 v45, v45, v45
	v_max_f32_e32 v39, v39, v45
	v_xor_b32_e32 v45, 4, v40
	v_cmp_lt_i32_e64 s[34:35], v45, v41
	s_nop 1
	v_cndmask_b32_e64 v45, v40, v45, s[34:35]
	s_add_u32 s34, s40, s56
	s_addc_u32 s35, s41, s57
	s_add_u32 s40, s34, s42
	s_addc_u32 s41, s35, s43
	v_lshlrev_b32_e32 v45, 2, v45
	v_lshl_add_u64 v[2:3], s[40:41], 0, v[2:3]
	global_load_dword v47, v[2:3], off
	ds_bpermute_b32 v2, v45, v39
	s_waitcnt lgkmcnt(0)
	v_max_f32_e32 v2, v2, v2
	v_max_f32_e32 v39, v39, v2
	v_xor_b32_e32 v2, 2, v40
	v_cmp_lt_i32_e64 s[34:35], v2, v41
	s_nop 1
	v_cndmask_b32_e64 v2, v40, v2, s[34:35]
	v_lshlrev_b32_e32 v54, 2, v2
	ds_bpermute_b32 v55, v54, v39
	v_lshl_add_u64 v[2:3], s[40:41], 0, v[4:5]
	global_load_dword v56, v[2:3], off
	v_lshl_add_u64 v[4:5], s[40:41], 0, v[8:9]
	v_lshl_add_u64 v[8:9], s[40:41], 0, v[12:13]
	s_waitcnt lgkmcnt(0)
	v_max_f32_e32 v2, v55, v55
	v_max_f32_e32 v39, v39, v2
	v_xor_b32_e32 v2, 1, v40
	v_cmp_lt_i32_e64 s[34:35], v2, v41
	v_lshl_add_u64 v[12:13], s[40:41], 0, v[16:17]
	s_nop 0
	v_cndmask_b32_e64 v2, v40, v2, s[34:35]
	v_lshlrev_b32_e32 v40, 2, v2
	v_lshl_add_u64 v[2:3], s[40:41], 0, v[6:7]
	v_lshl_add_u64 v[6:7], s[40:41], 0, v[10:11]
	;; [unrolled: 1-line block ×3, first 2 shown]
	global_load_dword v16, v[2:3], off
	global_load_dword v17, v[4:5], off
	;; [unrolled: 1-line block ×6, first 2 shown]
	ds_bpermute_b32 v41, v40, v39
	v_lshl_add_u64 v[2:3], s[40:41], 0, v[18:19]
	v_lshl_add_u64 v[4:5], s[40:41], 0, v[20:21]
	;; [unrolled: 1-line block ×4, first 2 shown]
	s_waitcnt lgkmcnt(0)
	v_max_f32_e32 v18, v41, v41
	v_max_f32_e32 v18, v39, v18
	v_sub_f32_e32 v1, v1, v18
	v_lshl_add_u64 v[10:11], s[40:41], 0, v[26:27]
	v_mul_f32_e32 v19, 0x3fb8aa3b, v1
	v_lshl_add_u64 v[12:13], s[40:41], 0, v[28:29]
	v_lshl_add_u64 v[14:15], s[40:41], 0, v[30:31]
	v_fma_f32 v20, v1, s39, -v19
	v_rndne_f32_e32 v21, v19
	global_load_dword v2, v[2:3], off
	s_nop 0
	global_load_dword v3, v[4:5], off
	s_nop 0
	global_load_dword v4, v[6:7], off
	global_load_dword v5, v[8:9], off
	s_nop 0
	global_load_dword v6, v[10:11], off
	global_load_dword v7, v[12:13], off
	;; [unrolled: 1-line block ×3, first 2 shown]
	v_sub_f32_e32 v11, v48, v18
	v_fmac_f32_e32 v20, 0x32a5705f, v1
	v_sub_f32_e32 v19, v19, v21
	v_mul_f32_e32 v12, 0x3fb8aa3b, v11
	v_add_f32_e32 v19, v19, v20
	v_fma_f32 v13, v11, s39, -v12
	v_rndne_f32_e32 v14, v12
	v_exp_f32_e32 v19, v19
	v_cvt_i32_f32_e32 v20, v21
	v_fmac_f32_e32 v13, 0x32a5705f, v11
	v_sub_f32_e32 v12, v12, v14
	v_add_f32_e32 v12, v12, v13
	v_exp_f32_e32 v12, v12
	v_cvt_i32_f32_e32 v13, v14
	s_mov_b32 s40, 0xc2ce8ed0
	v_ldexp_f32 v9, v19, v20
	v_cmp_ngt_f32_e64 s[34:35], s40, v1
	s_mov_b32 s41, 0x42b17218
	v_mov_b32_e32 v10, 0x7f800000
	v_cndmask_b32_e64 v9, 0, v9, s[34:35]
	v_cmp_nlt_f32_e64 s[34:35], s41, v1
	s_nop 1
	v_cndmask_b32_e64 v1, v10, v9, s[34:35]
	v_ldexp_f32 v9, v12, v13
	v_sub_f32_e32 v12, v49, v18
	v_mul_f32_e32 v13, 0x3fb8aa3b, v12
	v_fma_f32 v14, v12, s39, -v13
	v_rndne_f32_e32 v15, v13
	v_fmac_f32_e32 v14, 0x32a5705f, v12
	v_sub_f32_e32 v13, v13, v15
	v_add_f32_e32 v13, v13, v14
	v_exp_f32_e32 v13, v13
	v_cvt_i32_f32_e32 v14, v15
	v_cndmask_b32_e64 v1, 0, v1, s[30:31]
	v_cmp_ngt_f32_e64 s[30:31], s40, v11
	s_waitcnt vmcnt(14)
	v_mul_f32_e32 v1, v47, v1
	v_cndmask_b32_e64 v9, 0, v9, s[30:31]
	v_cmp_nlt_f32_e64 s[30:31], s41, v11
	v_ldexp_f32 v11, v13, v14
	v_sub_f32_e32 v13, v50, v18
	v_mul_f32_e32 v14, 0x3fb8aa3b, v13
	v_fma_f32 v15, v13, s39, -v14
	v_rndne_f32_e32 v19, v14
	v_fmac_f32_e32 v15, 0x32a5705f, v13
	v_sub_f32_e32 v14, v14, v19
	v_add_f32_e32 v14, v14, v15
	v_exp_f32_e32 v14, v14
	v_cvt_i32_f32_e32 v15, v19
	v_cndmask_b32_e64 v9, v10, v9, s[30:31]
	v_cndmask_b32_e64 v9, 0, v9, s[28:29]
	v_cmp_ngt_f32_e64 s[28:29], s40, v12
	s_waitcnt vmcnt(13)
	v_mul_f32_e32 v9, v56, v9
	v_cndmask_b32_e64 v11, 0, v11, s[28:29]
	v_cmp_nlt_f32_e64 s[28:29], s41, v12
	v_ldexp_f32 v12, v14, v15
	v_sub_f32_e32 v14, v51, v18
	v_cndmask_b32_e64 v11, v10, v11, s[28:29]
	v_cndmask_b32_e64 v11, 0, v11, s[26:27]
	v_mul_f32_e32 v15, 0x3fb8aa3b, v14
	s_waitcnt vmcnt(12)
	v_mul_f32_e32 v11, v16, v11
	v_fma_f32 v16, v14, s39, -v15
	v_rndne_f32_e32 v19, v15
	v_fmac_f32_e32 v16, 0x32a5705f, v14
	v_sub_f32_e32 v15, v15, v19
	v_add_f32_e32 v15, v15, v16
	v_exp_f32_e32 v15, v15
	v_cvt_i32_f32_e32 v16, v19
	v_cmp_ngt_f32_e64 s[26:27], s40, v13
	s_nop 1
	v_cndmask_b32_e64 v12, 0, v12, s[26:27]
	v_cmp_nlt_f32_e64 s[26:27], s41, v13
	v_ldexp_f32 v13, v15, v16
	v_sub_f32_e32 v15, v52, v18
	v_cndmask_b32_e64 v12, v10, v12, s[26:27]
	v_cndmask_b32_e64 v12, 0, v12, s[24:25]
	v_mul_f32_e32 v16, 0x3fb8aa3b, v15
	s_waitcnt vmcnt(11)
	v_mul_f32_e32 v12, v17, v12
	v_fma_f32 v17, v15, s39, -v16
	v_rndne_f32_e32 v19, v16
	v_fmac_f32_e32 v17, 0x32a5705f, v15
	v_sub_f32_e32 v16, v16, v19
	v_add_f32_e32 v16, v16, v17
	v_exp_f32_e32 v16, v16
	v_cvt_i32_f32_e32 v17, v19
	v_cmp_ngt_f32_e64 s[24:25], s40, v14
	s_nop 1
	v_cndmask_b32_e64 v13, 0, v13, s[24:25]
	v_cmp_nlt_f32_e64 s[24:25], s41, v14
	v_ldexp_f32 v14, v16, v17
	v_sub_f32_e32 v16, v53, v18
	v_mul_f32_e32 v17, 0x3fb8aa3b, v16
	v_fma_f32 v19, v16, s39, -v17
	v_rndne_f32_e32 v20, v17
	v_fmac_f32_e32 v19, 0x32a5705f, v16
	v_sub_f32_e32 v17, v17, v20
	v_add_f32_e32 v17, v17, v19
	v_exp_f32_e32 v17, v17
	v_cvt_i32_f32_e32 v19, v20
	v_cndmask_b32_e64 v13, v10, v13, s[24:25]
	v_cndmask_b32_e64 v13, 0, v13, s[22:23]
	v_cmp_ngt_f32_e64 s[22:23], s40, v15
	s_waitcnt vmcnt(10)
	v_mul_f32_e32 v13, v55, v13
	v_cndmask_b32_e64 v14, 0, v14, s[22:23]
	v_cmp_nlt_f32_e64 s[22:23], s41, v15
	v_ldexp_f32 v15, v17, v19
	v_sub_f32_e32 v17, v46, v18
	v_mul_f32_e32 v19, 0x3fb8aa3b, v17
	v_fma_f32 v20, v17, s39, -v19
	v_rndne_f32_e32 v21, v19
	v_fmac_f32_e32 v20, 0x32a5705f, v17
	v_sub_f32_e32 v19, v19, v21
	v_add_f32_e32 v19, v19, v20
	v_exp_f32_e32 v19, v19
	v_cvt_i32_f32_e32 v20, v21
	v_cndmask_b32_e64 v14, v10, v14, s[22:23]
	v_cndmask_b32_e64 v14, 0, v14, s[20:21]
	v_cmp_ngt_f32_e64 s[20:21], s40, v16
	s_waitcnt vmcnt(9)
	v_mul_f32_e32 v14, v57, v14
	;; [unrolled: 17-line block ×3, first 2 shown]
	v_cndmask_b32_e64 v16, 0, v16, s[18:19]
	v_cmp_nlt_f32_e64 s[18:19], s41, v17
	v_ldexp_f32 v17, v20, v21
	v_sub_f32_e32 v20, v33, v18
	v_mul_f32_e32 v21, 0x3fb8aa3b, v20
	v_fma_f32 v22, v20, s39, -v21
	v_rndne_f32_e32 v23, v21
	v_fmac_f32_e32 v22, 0x32a5705f, v20
	v_sub_f32_e32 v21, v21, v23
	v_cndmask_b32_e64 v16, v10, v16, s[18:19]
	v_add_f32_e32 v21, v21, v22
	v_cndmask_b32_e64 v16, 0, v16, s[16:17]
	v_cmp_ngt_f32_e64 s[16:17], s40, v19
	v_exp_f32_e32 v21, v21
	v_cvt_i32_f32_e32 v22, v23
	v_cndmask_b32_e64 v17, 0, v17, s[16:17]
	v_cmp_nlt_f32_e64 s[16:17], s41, v19
	v_sub_f32_e32 v19, v34, v18
	s_waitcnt vmcnt(7)
	v_mul_f32_e32 v16, v59, v16
	v_cndmask_b32_e64 v17, v10, v17, s[16:17]
	v_cndmask_b32_e64 v17, 0, v17, s[14:15]
	s_waitcnt vmcnt(6)
	v_mul_f32_e32 v2, v2, v17
	v_ldexp_f32 v17, v21, v22
	v_mul_f32_e32 v21, 0x3fb8aa3b, v19
	v_fma_f32 v22, v19, s39, -v21
	v_rndne_f32_e32 v23, v21
	v_fmac_f32_e32 v22, 0x32a5705f, v19
	v_sub_f32_e32 v21, v21, v23
	v_add_f32_e32 v21, v21, v22
	v_cmp_ngt_f32_e64 s[14:15], s40, v20
	v_exp_f32_e32 v21, v21
	v_cvt_i32_f32_e32 v22, v23
	v_cndmask_b32_e64 v17, 0, v17, s[14:15]
	v_cmp_nlt_f32_e64 s[14:15], s41, v20
	v_sub_f32_e32 v20, v35, v18
	s_nop 0
	v_cndmask_b32_e64 v17, v10, v17, s[14:15]
	v_cndmask_b32_e64 v17, 0, v17, s[12:13]
	s_waitcnt vmcnt(5)
	v_mul_f32_e32 v3, v3, v17
	v_ldexp_f32 v17, v21, v22
	v_mul_f32_e32 v21, 0x3fb8aa3b, v20
	v_fma_f32 v22, v20, s39, -v21
	v_rndne_f32_e32 v23, v21
	v_fmac_f32_e32 v22, 0x32a5705f, v20
	v_sub_f32_e32 v21, v21, v23
	v_add_f32_e32 v21, v21, v22
	v_cmp_ngt_f32_e64 s[12:13], s40, v19
	v_exp_f32_e32 v21, v21
	v_cvt_i32_f32_e32 v22, v23
	v_cndmask_b32_e64 v17, 0, v17, s[12:13]
	v_cmp_nlt_f32_e64 s[12:13], s41, v19
	v_sub_f32_e32 v19, v36, v18
	s_nop 0
	v_cndmask_b32_e64 v17, v10, v17, s[12:13]
	v_cndmask_b32_e64 v17, 0, v17, s[10:11]
	s_waitcnt vmcnt(4)
	v_mul_f32_e32 v4, v4, v17
	v_ldexp_f32 v17, v21, v22
	v_mul_f32_e32 v21, 0x3fb8aa3b, v19
	v_fma_f32 v22, v19, s39, -v21
	v_rndne_f32_e32 v23, v21
	v_fmac_f32_e32 v22, 0x32a5705f, v19
	v_sub_f32_e32 v21, v21, v23
	v_add_f32_e32 v21, v21, v22
	v_exp_f32_e32 v21, v21
	v_cvt_i32_f32_e32 v22, v23
	v_cmp_ngt_f32_e64 s[10:11], s40, v20
	s_nop 1
	v_cndmask_b32_e64 v17, 0, v17, s[10:11]
	v_cmp_nlt_f32_e64 s[10:11], s41, v20
	v_ldexp_f32 v20, v21, v22
	v_sub_f32_e32 v21, v37, v18
	v_mul_f32_e32 v22, 0x3fb8aa3b, v21
	v_fma_f32 v23, v21, s39, -v22
	v_rndne_f32_e32 v24, v22
	v_fmac_f32_e32 v23, 0x32a5705f, v21
	v_sub_f32_e32 v22, v22, v24
	v_add_f32_e32 v22, v22, v23
	v_exp_f32_e32 v22, v22
	v_cvt_i32_f32_e32 v23, v24
	v_cndmask_b32_e64 v17, v10, v17, s[10:11]
	v_cndmask_b32_e64 v17, 0, v17, s[8:9]
	v_cmp_ngt_f32_e64 s[8:9], s40, v19
	v_sub_f32_e32 v18, v38, v18
	s_nop 0
	v_cndmask_b32_e64 v20, 0, v20, s[8:9]
	v_cmp_nlt_f32_e64 s[8:9], s41, v19
	s_nop 1
	v_cndmask_b32_e64 v19, v10, v20, s[8:9]
	v_ldexp_f32 v20, v22, v23
	v_mul_f32_e32 v22, 0x3fb8aa3b, v18
	v_fma_f32 v23, v18, s39, -v22
	v_rndne_f32_e32 v24, v22
	v_fmac_f32_e32 v23, 0x32a5705f, v18
	v_sub_f32_e32 v22, v22, v24
	v_add_f32_e32 v22, v22, v23
	v_exp_f32_e32 v22, v22
	v_cvt_i32_f32_e32 v23, v24
	v_cndmask_b32_e64 v19, 0, v19, s[6:7]
	v_cmp_ngt_f32_e64 s[6:7], s40, v21
	s_nop 1
	v_cndmask_b32_e64 v20, 0, v20, s[6:7]
	v_cmp_nlt_f32_e64 s[6:7], s41, v21
	v_ldexp_f32 v21, v22, v23
	s_nop 0
	v_cndmask_b32_e64 v20, v10, v20, s[6:7]
	v_cndmask_b32_e64 v20, 0, v20, s[4:5]
	v_cmp_ngt_f32_e64 s[4:5], s40, v18
	s_nop 1
	v_cndmask_b32_e64 v21, 0, v21, s[4:5]
	v_cmp_nlt_f32_e64 s[4:5], s41, v18
	v_add_f32_e32 v18, v1, v9
	v_add_f32_e32 v18, v18, v11
	;; [unrolled: 1-line block ×10, first 2 shown]
	s_waitcnt vmcnt(3)
	v_fmac_f32_e32 v18, v5, v17
	v_cndmask_b32_e64 v10, v10, v21, s[4:5]
	s_waitcnt vmcnt(2)
	v_fmac_f32_e32 v18, v6, v19
	v_cndmask_b32_e32 v10, 0, v10, vcc
	s_waitcnt vmcnt(1)
	v_fmac_f32_e32 v18, v7, v20
	s_waitcnt vmcnt(0)
	v_fmac_f32_e32 v18, v8, v10
	ds_bpermute_b32 v21, v42, v18
	v_mul_f32_e32 v5, v5, v17
	v_mul_f32_e32 v8, v8, v10
	v_lshlrev_b32_e32 v10, 2, v0
	ds_write2st64_b32 v10, v1, v9 offset1:1
	s_waitcnt lgkmcnt(1)
	v_add_f32_e32 v18, v18, v21
	ds_bpermute_b32 v21, v43, v18
	ds_write2st64_b32 v10, v11, v12 offset0:2 offset1:3
	ds_write2st64_b32 v10, v13, v14 offset0:4 offset1:5
	;; [unrolled: 1-line block ×4, first 2 shown]
	v_cmp_eq_u32_e32 vcc, 0, v0
	v_mul_f32_e32 v6, v6, v19
	v_mul_f32_e32 v7, v7, v20
	s_waitcnt lgkmcnt(4)
	v_add_f32_e32 v18, v18, v21
	ds_bpermute_b32 v21, v44, v18
	ds_write2st64_b32 v10, v4, v5 offset0:10 offset1:11
	ds_write2st64_b32 v10, v6, v7 offset0:12 offset1:13
	ds_write_b32 v10, v8 offset:3584
	s_waitcnt lgkmcnt(3)
	v_add_f32_e32 v17, v18, v21
	ds_bpermute_b32 v18, v45, v17
	s_waitcnt lgkmcnt(0)
	v_add_f32_e32 v1, v17, v18
	ds_bpermute_b32 v9, v54, v1
	;; [unrolled: 3-line block ×3, first 2 shown]
	s_and_saveexec_b64 s[4:5], vcc
	s_cbranch_execz .LBB666_8
; %bb.7:
	s_waitcnt lgkmcnt(0)
	v_add_f32_e32 v1, v1, v2
	v_mov_b32_e32 v2, 0
	ds_write_b32 v2, v1 offset:3840
.LBB666_8:
	s_or_b64 exec, exec, s[4:5]
	v_mov_b32_e32 v1, s38
.LBB666_9:
	s_or_b64 exec, exec, s[52:53]
	s_lshl_b32 s4, s54, 7
	s_mov_b32 s5, 0
	s_lshl_b64 s[4:5], s[4:5], 1
	s_add_u32 s4, s36, s4
	s_addc_u32 s5, s37, s5
	s_lshl_b32 s10, s33, 7
	s_add_i32 s11, s10, 0xffffff80
	s_waitcnt lgkmcnt(0)
	v_lshlrev_b32_e32 v2, 7, v1
	v_mov_b32_e32 v3, 0
	s_cmp_lt_i32 s58, 1
	v_lshl_add_u64 v[4:5], v[2:3], 1, s[4:5]
	s_cselect_b32 s4, s11, 0
	v_lshlrev_b32_e32 v2, 1, v0
	s_ashr_i32 s5, s4, 31
	v_lshl_add_u64 v[0:1], v[4:5], 0, v[2:3]
	s_cmpk_lt_i32 s58, 0x101
	v_lshl_add_u64 v[4:5], s[4:5], 1, v[0:1]
	s_cselect_b32 s4, s11, 0x80
	s_ashr_i32 s5, s4, 31
	s_cmpk_lt_i32 s58, 0x201
	v_lshl_add_u64 v[6:7], s[4:5], 1, v[0:1]
	s_cselect_b32 s4, s11, 0x100
	s_ashr_i32 s5, s4, 31
	;; [unrolled: 4-line block ×8, first 2 shown]
	s_cmpk_lt_i32 s58, 0x901
	global_load_ushort v23, v[4:5], off
	global_load_ushort v22, v[6:7], off
	;; [unrolled: 1-line block ×8, first 2 shown]
	v_lshl_add_u64 v[4:5], s[4:5], 1, v[0:1]
	s_cselect_b32 s4, s11, 0x480
	s_ashr_i32 s5, s4, 31
	s_cmpk_lt_i32 s58, 0xa01
	v_lshl_add_u64 v[6:7], s[4:5], 1, v[0:1]
	s_cselect_b32 s4, s11, 0x500
	s_ashr_i32 s5, s4, 31
	s_cmpk_lt_i32 s58, 0xb01
	;; [unrolled: 4-line block ×6, first 2 shown]
	v_lshl_add_u64 v[32:33], s[4:5], 1, v[0:1]
	s_cselect_b32 s4, s11, 0x780
	s_ashr_i32 s5, s4, 31
	v_lshl_add_u64 v[34:35], s[4:5], 1, v[0:1]
	global_load_ushort v30, v[4:5], off
	global_load_ushort v31, v[6:7], off
	;; [unrolled: 1-line block ×8, first 2 shown]
	s_cmpk_gt_i32 s58, 0x1000
	s_cselect_b64 s[8:9], -1, 0
	s_cmpk_lt_i32 s58, 0x1001
	v_mov_b32_e32 v40, 0
	v_mov_b32_e32 v41, 0
	;; [unrolled: 1-line block ×48, first 2 shown]
	s_barrier
	s_cbranch_scc1 .LBB666_12
; %bb.10:
	s_cmpk_lt_u32 s58, 0x1101
	s_cselect_b32 s4, s11, 0x880
	s_ashr_i32 s5, s4, 31
	s_cmpk_lt_u32 s58, 0x1201
	v_lshl_add_u64 v[6:7], s[4:5], 1, v[0:1]
	s_cselect_b32 s4, s11, 0x900
	s_ashr_i32 s5, s4, 31
	s_cmpk_lt_u32 s58, 0x1301
	v_lshl_add_u64 v[8:9], s[4:5], 1, v[0:1]
	;; [unrolled: 4-line block ×7, first 2 shown]
	s_cselect_b32 s4, s11, 0xc00
	v_add_co_u32_e32 v4, vcc, 0x1000, v0
	s_ashr_i32 s5, s4, 31
	s_nop 0
	v_addc_co_u32_e32 v5, vcc, 0, v1, vcc
	s_cmpk_lt_u32 s58, 0x1901
	global_load_ushort v39, v[4:5], off
	global_load_ushort v38, v[6:7], off
	;; [unrolled: 1-line block ×8, first 2 shown]
	v_lshl_add_u64 v[4:5], s[4:5], 1, v[0:1]
	s_cselect_b32 s4, s11, 0xc80
	s_ashr_i32 s5, s4, 31
	s_cmpk_lt_u32 s58, 0x1a01
	v_lshl_add_u64 v[6:7], s[4:5], 1, v[0:1]
	s_cselect_b32 s4, s11, 0xd00
	s_ashr_i32 s5, s4, 31
	s_cmpk_lt_u32 s58, 0x1b01
	;; [unrolled: 4-line block ×6, first 2 shown]
	v_lshl_add_u64 v[48:49], s[4:5], 1, v[0:1]
	s_cselect_b32 s4, s11, 0xf80
	s_ashr_i32 s5, s4, 31
	v_lshl_add_u64 v[50:51], s[4:5], 1, v[0:1]
	global_load_ushort v47, v[4:5], off
	global_load_ushort v46, v[6:7], off
	;; [unrolled: 1-line block ×8, first 2 shown]
	s_cmpk_lt_u32 s58, 0x2001
	v_mov_b32_e32 v67, 0
	v_mov_b32_e32 v65, 0
	;; [unrolled: 1-line block ×32, first 2 shown]
	s_cbranch_scc1 .LBB666_12
; %bb.11:
	s_cmpk_lt_u32 s58, 0x2101
	s_cselect_b32 s4, s11, 0x1080
	s_ashr_i32 s5, s4, 31
	s_cmpk_lt_u32 s58, 0x2201
	v_lshl_add_u64 v[4:5], s[4:5], 1, v[0:1]
	s_cselect_b32 s4, s11, 0x1100
	s_ashr_i32 s5, s4, 31
	s_cmpk_lt_u32 s58, 0x2301
	v_lshl_add_u64 v[6:7], s[4:5], 1, v[0:1]
	;; [unrolled: 4-line block ×29, first 2 shown]
	s_cselect_b32 s4, s11, 0x1f00
	s_ashr_i32 s5, s4, 31
	v_lshl_add_u64 v[94:95], s[4:5], 1, v[0:1]
	s_movk_i32 s4, 0x2000
	s_cmpk_lt_u32 s58, 0x3f01
	v_add_co_u32_e32 v96, vcc, s4, v0
	s_cselect_b32 s4, s11, 0x1f80
	s_nop 0
	v_addc_co_u32_e32 v97, vcc, 0, v1, vcc
	s_ashr_i32 s5, s4, 31
	global_load_ushort v98, v[96:97], off
	global_load_ushort v99, v[4:5], off
	global_load_ushort v100, v[6:7], off
	global_load_ushort v101, v[8:9], off
	global_load_ushort v102, v[10:11], off
	global_load_ushort v103, v[12:13], off
	global_load_ushort v104, v[14:15], off
	global_load_ushort v105, v[48:49], off
	global_load_ushort v106, v[50:51], off
	global_load_ushort v107, v[52:53], off
	global_load_ushort v108, v[54:55], off
	global_load_ushort v109, v[56:57], off
	global_load_ushort v110, v[58:59], off
	global_load_ushort v111, v[60:61], off
	global_load_ushort v112, v[62:63], off
                                        ; kill: killed $vgpr54_vgpr55
                                        ; kill: killed $vgpr6_vgpr7
                                        ; kill: killed $vgpr60_vgpr61
                                        ; kill: killed $vgpr12_vgpr13
                                        ; kill: killed $vgpr50_vgpr51
                                        ; kill: killed $vgpr56_vgpr57
                                        ; kill: killed $vgpr8_vgpr9
                                        ; kill: killed $vgpr62_vgpr63
                                        ; kill: killed $vgpr14_vgpr15
                                        ; kill: killed $vgpr96 killed $vgpr97
                                        ; kill: killed $vgpr52_vgpr53
                                        ; kill: killed $vgpr4_vgpr5
                                        ; kill: killed $vgpr58_vgpr59
                                        ; kill: killed $vgpr10_vgpr11
                                        ; kill: killed $vgpr48_vgpr49
	global_load_ushort v6, v[64:65], off
	global_load_ushort v7, v[66:67], off
	;; [unrolled: 1-line block ×15, first 2 shown]
                                        ; kill: killed $vgpr70_vgpr71
                                        ; kill: killed $vgpr92_vgpr93
                                        ; kill: killed $vgpr76_vgpr77
                                        ; kill: killed $vgpr82_vgpr83
                                        ; kill: killed $vgpr66_vgpr67
                                        ; kill: killed $vgpr88_vgpr89
                                        ; kill: killed $vgpr72_vgpr73
                                        ; kill: killed $vgpr94_vgpr95
                                        ; kill: killed $vgpr78_vgpr79
                                        ; kill: killed $vgpr84_vgpr85
                                        ; kill: killed $vgpr68_vgpr69
                                        ; kill: killed $vgpr90_vgpr91
                                        ; kill: killed $vgpr74_vgpr75
                                        ; kill: killed $vgpr80_vgpr81
                                        ; kill: killed $vgpr64_vgpr65
	global_load_ushort v68, v[86:87], off
	v_lshl_add_u64 v[4:5], s[4:5], 1, v[0:1]
	global_load_ushort v5, v[4:5], off
	s_waitcnt vmcnt(31)
	v_lshlrev_b32_e32 v67, 16, v98
	s_waitcnt vmcnt(30)
	v_lshlrev_b32_e32 v65, 16, v99
	;; [unrolled: 2-line block ×32, first 2 shown]
.LBB666_12:
	s_load_dwordx2 s[4:5], s[0:1], 0x0
	s_load_dwordx2 s[6:7], s[0:1], 0x38
	ds_read_b128 v[68:71], v3
	s_waitcnt vmcnt(15)
	v_lshlrev_b32_e32 v23, 16, v23
	ds_read_b128 v[72:75], v3 offset:16
	ds_read_b128 v[76:79], v3 offset:32
	;; [unrolled: 1-line block ×3, first 2 shown]
	s_waitcnt vmcnt(14)
	v_lshlrev_b32_e32 v22, 16, v22
	s_waitcnt vmcnt(13)
	v_lshlrev_b32_e32 v21, 16, v21
	s_waitcnt lgkmcnt(0)
	v_fma_f32 v23, v68, v23, 0
	v_fmac_f32_e32 v23, v69, v22
	v_fmac_f32_e32 v23, v70, v21
	s_waitcnt vmcnt(12)
	v_lshlrev_b32_e32 v20, 16, v20
	s_waitcnt vmcnt(10)
	v_lshlrev_b32_e32 v19, 16, v19
	v_lshlrev_b32_e32 v18, 16, v18
	v_fmac_f32_e32 v23, v71, v20
	v_pk_mul_f32 v[18:19], v[72:73], v[18:19]
	s_waitcnt vmcnt(8)
	v_lshlrev_b32_e32 v17, 16, v17
	v_add_f32_e32 v18, v23, v18
	v_lshlrev_b32_e32 v16, 16, v16
	v_add_f32_e32 v18, v18, v19
	v_pk_mul_f32 v[16:17], v[74:75], v[16:17]
	s_and_b64 vcc, exec, s[8:9]
	v_add_f32_e32 v16, v18, v16
	v_add_f32_e32 v18, v16, v17
	s_waitcnt vmcnt(6)
	v_lshlrev_b32_e32 v17, 16, v31
	v_lshlrev_b32_e32 v16, 16, v30
	v_pk_mul_f32 v[16:17], v[76:77], v[16:17]
	s_nop 0
	v_add_f32_e32 v16, v18, v16
	v_add_f32_e32 v18, v16, v17
	s_waitcnt vmcnt(4)
	v_lshlrev_b32_e32 v17, 16, v29
	v_lshlrev_b32_e32 v16, 16, v28
	v_pk_mul_f32 v[16:17], v[78:79], v[16:17]
	s_nop 0
	;; [unrolled: 7-line block ×4, first 2 shown]
	v_add_f32_e32 v16, v18, v16
	v_add_f32_e32 v110, v16, v17
	s_cbranch_vccz .LBB666_15
; %bb.13:
	ds_read_b128 v[16:19], v3 offset:64
	v_lshlrev_b32_e32 v39, 16, v39
	ds_read_b128 v[20:23], v3 offset:80
	ds_read_b128 v[24:27], v3 offset:96
	;; [unrolled: 1-line block ×3, first 2 shown]
	v_lshlrev_b32_e32 v3, 16, v38
	s_cmpk_lt_u32 s58, 0x2001
	s_waitcnt lgkmcnt(3)
	v_fmac_f32_e32 v110, v16, v39
	v_fmac_f32_e32 v110, v17, v3
	v_lshlrev_b32_e32 v3, 16, v37
	v_fmac_f32_e32 v110, v18, v3
	v_lshlrev_b32_e32 v3, 16, v36
	v_fmac_f32_e32 v110, v19, v3
	v_lshlrev_b32_e32 v3, 16, v35
	s_waitcnt lgkmcnt(2)
	v_fmac_f32_e32 v110, v20, v3
	v_lshlrev_b32_e32 v3, 16, v34
	v_fmac_f32_e32 v110, v21, v3
	v_lshlrev_b32_e32 v3, 16, v33
	v_fmac_f32_e32 v110, v22, v3
	v_lshlrev_b32_e32 v3, 16, v32
	v_fmac_f32_e32 v110, v23, v3
	v_lshlrev_b32_e32 v3, 16, v47
	s_waitcnt lgkmcnt(1)
	v_fmac_f32_e32 v110, v24, v3
	v_lshlrev_b32_e32 v3, 16, v46
	v_fmac_f32_e32 v110, v25, v3
	v_lshlrev_b32_e32 v3, 16, v45
	v_fmac_f32_e32 v110, v26, v3
	v_lshlrev_b32_e32 v3, 16, v44
	v_fmac_f32_e32 v110, v27, v3
	v_lshlrev_b32_e32 v3, 16, v43
	s_waitcnt lgkmcnt(0)
	v_fmac_f32_e32 v110, v28, v3
	v_lshlrev_b32_e32 v3, 16, v42
	v_fmac_f32_e32 v110, v29, v3
	v_lshlrev_b32_e32 v3, 16, v41
	v_fmac_f32_e32 v110, v30, v3
	v_lshlrev_b32_e32 v3, 16, v40
	v_fmac_f32_e32 v110, v31, v3
	s_cbranch_scc1 .LBB666_15
; %bb.14:
	v_mov_b32_e32 v3, 0
	ds_read_b128 v[16:19], v3 offset:128
	ds_read_b128 v[20:23], v3 offset:144
	;; [unrolled: 1-line block ×4, first 2 shown]
	s_waitcnt lgkmcnt(3)
	v_fmac_f32_e32 v110, v16, v67
	v_fmac_f32_e32 v110, v17, v65
	v_fmac_f32_e32 v110, v18, v66
	v_fmac_f32_e32 v110, v19, v63
	s_waitcnt lgkmcnt(2)
	v_fmac_f32_e32 v110, v20, v64
	v_fmac_f32_e32 v110, v21, v61
	v_fmac_f32_e32 v110, v22, v62
	v_fmac_f32_e32 v110, v23, v59
	;; [unrolled: 5-line block ×3, first 2 shown]
	ds_read_b128 v[16:19], v3 offset:192
	ds_read_b128 v[20:23], v3 offset:208
	s_waitcnt lgkmcnt(2)
	v_fmac_f32_e32 v110, v28, v56
	v_fmac_f32_e32 v110, v29, v53
	;; [unrolled: 1-line block ×4, first 2 shown]
	s_waitcnt lgkmcnt(1)
	v_fmac_f32_e32 v110, v16, v51
	v_fmac_f32_e32 v110, v17, v49
	;; [unrolled: 1-line block ×4, first 2 shown]
	s_waitcnt lgkmcnt(0)
	v_pk_mul_f32 v[14:15], v[20:21], v[14:15]
	v_pk_mul_f32 v[12:13], v[22:23], v[12:13]
	v_add_f32_e32 v14, v110, v14
	v_add_f32_e32 v18, v14, v15
	ds_read_b128 v[14:17], v3 offset:224
	v_add_f32_e32 v12, v18, v12
	ds_read_b128 v[18:21], v3 offset:240
	v_add_f32_e32 v12, v12, v13
	s_waitcnt lgkmcnt(1)
	v_pk_mul_f32 v[10:11], v[14:15], v[10:11]
	s_nop 0
	v_add_f32_e32 v3, v12, v10
	v_add_f32_e32 v3, v3, v11
	v_pk_mul_f32 v[8:9], v[16:17], v[8:9]
	s_waitcnt lgkmcnt(0)
	v_pk_mul_f32 v[6:7], v[18:19], v[6:7]
	v_add_f32_e32 v3, v3, v8
	v_add_f32_e32 v3, v3, v9
	;; [unrolled: 1-line block ×4, first 2 shown]
	v_pk_mul_f32 v[4:5], v[20:21], v[4:5]
	s_nop 0
	v_add_f32_e32 v3, v3, v4
	v_add_f32_e32 v110, v3, v5
.LBB666_15:
	s_movk_i32 s0, 0x3f80
	s_movk_i32 s1, 0x100
	s_mov_b32 s8, 64
	s_branch .LBB666_17
.LBB666_16:                             ;   in Loop: Header=BB666_17 Depth=1
	s_addk_i32 s0, 0x2000
	s_addk_i32 s1, 0x100
	s_add_i32 s8, s8, 64
	s_cmp_eq_u32 s0, 0x1ff80
	s_cbranch_scc1 .LBB666_19
.LBB666_17:                             ; =>This Inner Loop Header: Depth=1
	s_cmp_le_i32 s33, s8
	s_cbranch_scc1 .LBB666_16
; %bb.18:                               ;   in Loop: Header=BB666_17 Depth=1
	s_add_i32 s9, s0, 0xffffe080
	s_cmp_lt_i32 s9, s10
	s_cselect_b32 s12, s9, s11
	s_ashr_i32 s13, s12, 31
	s_add_i32 s9, s0, 0xffffe100
	s_cmp_lt_i32 s9, s10
	v_lshl_add_u64 v[42:43], s[12:13], 1, v[0:1]
	s_cselect_b32 s12, s9, s11
	s_ashr_i32 s13, s12, 31
	s_add_i32 s9, s0, 0xffffe180
	s_cmp_lt_i32 s9, s10
	v_lshl_add_u64 v[4:5], s[12:13], 1, v[0:1]
	;; [unrolled: 5-line block ×25, first 2 shown]
	s_cselect_b32 s12, s9, s11
	s_ashr_i32 s13, s12, 31
	s_add_i32 s9, s0, 0xffffed80
	s_cmp_lt_i32 s9, s10
	global_load_ushort v3, v[42:43], off
	global_load_ushort v120, v[44:45], off
	v_lshl_add_u64 v[18:19], s[12:13], 1, v[0:1]
	s_cselect_b32 s12, s9, s11
	global_load_ushort v111, v[4:5], off
	global_load_ushort v112, v[6:7], off
	;; [unrolled: 1-line block ×8, first 2 shown]
	s_ashr_i32 s13, s12, 31
	s_add_i32 s9, s0, 0xffffee00
	s_cmp_lt_i32 s9, s10
	v_lshl_add_u64 v[20:21], s[12:13], 1, v[0:1]
	s_cselect_b32 s12, s9, s11
	s_ashr_i32 s13, s12, 31
	s_add_i32 s9, s0, 0xffffee80
	s_cmp_lt_i32 s9, s10
	v_lshl_add_u64 v[38:39], s[12:13], 1, v[0:1]
	s_cselect_b32 s12, s9, s11
	s_ashr_i32 s13, s12, 31
	s_add_i32 s9, s0, 0xffffef00
	s_cmp_lt_i32 s9, s10
	global_load_ushort v119, v[28:29], off
	v_lshl_add_u64 v[40:41], s[12:13], 1, v[0:1]
	s_cselect_b32 s12, s9, s11
	s_ashr_i32 s13, s12, 31
	s_add_i32 s9, s0, 0xffffef80
	global_load_ushort v121, v[54:55], off
	global_load_ushort v122, v[56:57], off
	s_cmp_lt_i32 s9, s10
	global_load_ushort v58, v[58:59], off
	v_lshl_add_u64 v[50:51], s[12:13], 1, v[0:1]
	s_cselect_b32 s12, s9, s11
	s_ashr_i32 s13, s12, 31
	s_add_i32 s9, s0, 0xfffff000
	s_cmp_lt_i32 s9, s10
	v_lshl_add_u64 v[52:53], s[12:13], 1, v[0:1]
	s_cselect_b32 s12, s9, s11
	s_ashr_i32 s13, s12, 31
	s_add_i32 s9, s0, 0xfffff080
	global_load_ushort v59, v[60:61], off
	s_cmp_lt_i32 s9, s10
	global_load_ushort v60, v[66:67], off
	global_load_ushort v61, v[62:63], off
	v_lshl_add_u64 v[64:65], s[12:13], 1, v[0:1]
	s_cselect_b32 s12, s9, s11
	s_ashr_i32 s13, s12, 31
	s_add_i32 s9, s0, 0xfffff100
	s_cmp_lt_i32 s9, s10
	v_lshl_add_u64 v[68:69], s[12:13], 1, v[0:1]
	s_cselect_b32 s12, s9, s11
	s_ashr_i32 s13, s12, 31
	s_add_i32 s9, s0, 0xfffff180
	s_cmp_lt_i32 s9, s10
	;; [unrolled: 5-line block ×3, first 2 shown]
	global_load_ushort v62, v[24:25], off
	v_lshl_add_u64 v[72:73], s[12:13], 1, v[0:1]
	s_cselect_b32 s12, s9, s11
	global_load_ushort v66, v[30:31], off
	global_load_ushort v123, v[32:33], off
	;; [unrolled: 1-line block ×4, first 2 shown]
	s_ashr_i32 s13, s12, 31
	s_add_i32 s9, s0, 0xfffff280
	s_cmp_lt_i32 s9, s10
	global_load_ushort v67, v[46:47], off
	v_lshl_add_u64 v[74:75], s[12:13], 1, v[0:1]
	s_cselect_b32 s12, s9, s11
	s_ashr_i32 s13, s12, 31
	s_add_i32 s9, s0, 0xfffff300
	s_cmp_lt_i32 s9, s10
	v_lshl_add_u64 v[76:77], s[12:13], 1, v[0:1]
	s_cselect_b32 s12, s9, s11
	s_ashr_i32 s13, s12, 31
	s_add_i32 s9, s0, 0xfffff380
	s_cmp_lt_i32 s9, s10
	v_mov_b32_e32 v124, s1
	v_lshl_add_u64 v[78:79], s[12:13], 1, v[0:1]
	s_cselect_b32 s12, s9, s11
	ds_read_b128 v[28:31], v124
	ds_read_b128 v[32:35], v124 offset:16
	global_load_ushort v48, v[48:49], off
	s_ashr_i32 s13, s12, 31
	s_add_i32 s9, s0, 0xfffff400
	s_cmp_lt_i32 s9, s10
	v_lshl_add_u64 v[80:81], s[12:13], 1, v[0:1]
	s_cselect_b32 s12, s9, s11
	ds_read_b128 v[44:47], v124 offset:32
	ds_read_b128 v[54:57], v124 offset:48
	global_load_ushort v36, v[36:37], off
	s_ashr_i32 s13, s12, 31
	v_lshl_add_u64 v[82:83], s[12:13], 1, v[0:1]
	global_load_ushort v49, v[82:83], off
	global_load_ushort v37, v[18:19], off
	s_add_i32 s9, s0, 0xfffff480
	s_cmp_lt_i32 s9, s10
	s_cselect_b32 s12, s9, s11
	s_ashr_i32 s13, s12, 31
	s_add_i32 s9, s0, 0xfffff500
	s_cmp_lt_i32 s9, s10
	v_lshl_add_u64 v[84:85], s[12:13], 1, v[0:1]
	s_cselect_b32 s12, s9, s11
	s_ashr_i32 s13, s12, 31
	s_add_i32 s9, s0, 0xfffff580
	s_cmp_lt_i32 s9, s10
	v_lshl_add_u64 v[86:87], s[12:13], 1, v[0:1]
	;; [unrolled: 5-line block ×7, first 2 shown]
	s_cselect_b32 s12, s9, s11
	s_ashr_i32 s13, s12, 31
	s_add_i32 s9, s0, 0xfffff880
	s_waitcnt vmcnt(26)
	v_lshlrev_b32_e32 v3, 16, v3
	s_cmp_lt_i32 s9, s10
	s_waitcnt lgkmcnt(3)
	v_fmac_f32_e32 v110, v28, v3
	s_waitcnt vmcnt(24)
	v_lshlrev_b32_e32 v3, 16, v111
	v_lshl_add_u64 v[98:99], s[12:13], 1, v[0:1]
	s_cselect_b32 s12, s9, s11
	v_fmac_f32_e32 v110, v29, v3
	s_waitcnt vmcnt(23)
	v_lshlrev_b32_e32 v3, 16, v112
	s_ashr_i32 s13, s12, 31
	s_add_i32 s9, s0, 0xfffff900
	v_fmac_f32_e32 v110, v30, v3
	s_waitcnt vmcnt(22)
	v_lshlrev_b32_e32 v3, 16, v113
	s_cmp_lt_i32 s9, s10
	v_fmac_f32_e32 v110, v31, v3
	s_waitcnt vmcnt(21)
	v_lshlrev_b32_e32 v3, 16, v114
	v_lshl_add_u64 v[102:103], s[12:13], 1, v[0:1]
	s_cselect_b32 s12, s9, s11
	s_waitcnt lgkmcnt(2)
	v_fmac_f32_e32 v110, v32, v3
	global_load_ushort v3, v[20:21], off
	global_load_ushort v32, v[38:39], off
	s_waitcnt vmcnt(22)
	v_lshlrev_b32_e32 v18, 16, v115
	s_ashr_i32 s13, s12, 31
	s_add_i32 s9, s0, 0xfffff980
	v_fmac_f32_e32 v110, v33, v18
	s_waitcnt vmcnt(21)
	v_lshlrev_b32_e32 v18, 16, v116
	s_cmp_lt_i32 s9, s10
	v_fmac_f32_e32 v110, v34, v18
	s_waitcnt vmcnt(20)
	v_lshlrev_b32_e32 v18, 16, v117
	v_lshl_add_u64 v[104:105], s[12:13], 1, v[0:1]
	s_cselect_b32 s12, s9, s11
	global_load_ushort v33, v[40:41], off
	global_load_ushort v34, v[50:51], off
	v_fmac_f32_e32 v110, v35, v18
	global_load_ushort v35, v[52:53], off
	global_load_ushort v38, v[64:65], off
	;; [unrolled: 1-line block ×3, first 2 shown]
	s_waitcnt vmcnt(24)
	v_lshlrev_b32_e32 v18, 16, v118
	s_ashr_i32 s13, s12, 31
	s_add_i32 s9, s0, 0xfffffa00
	s_waitcnt lgkmcnt(1)
	v_fmac_f32_e32 v110, v44, v18
	global_load_ushort v44, v[74:75], off
	s_waitcnt vmcnt(24)
	v_lshlrev_b32_e32 v18, 16, v119
	s_cmp_lt_i32 s9, s10
	v_fmac_f32_e32 v110, v45, v18
	v_lshlrev_b32_e32 v18, 16, v120
	v_lshl_add_u64 v[106:107], s[12:13], 1, v[0:1]
	s_cselect_b32 s12, s9, s11
	v_fmac_f32_e32 v110, v46, v18
	global_load_ushort v46, v[78:79], off
	s_waitcnt vmcnt(24)
	v_lshlrev_b32_e32 v18, 16, v121
	s_ashr_i32 s13, s12, 31
	s_add_i32 s9, s0, 0xfffffa80
	v_fmac_f32_e32 v110, v47, v18
	s_waitcnt vmcnt(23)
	v_lshlrev_b32_e32 v18, 16, v122
	s_cmp_lt_i32 s9, s10
	s_waitcnt lgkmcnt(0)
	v_fmac_f32_e32 v110, v54, v18
	global_load_ushort v54, v[90:91], off
	global_load_ushort v40, v[70:71], off
	;; [unrolled: 1-line block ×8, first 2 shown]
	v_lshl_add_u64 v[100:101], s[12:13], 1, v[0:1]
	s_cselect_b32 s12, s9, s11
	s_ashr_i32 s13, s12, 31
	s_add_i32 s9, s0, 0xfffffb00
	s_cmp_lt_i32 s9, s10
	s_waitcnt vmcnt(30)
	v_lshlrev_b32_e32 v18, 16, v58
	v_lshl_add_u64 v[42:43], s[12:13], 1, v[0:1]
	s_cselect_b32 s12, s9, s11
	v_fmac_f32_e32 v110, v55, v18
	s_waitcnt vmcnt(29)
	v_lshlrev_b32_e32 v18, 16, v59
	s_ashr_i32 s13, s12, 31
	s_add_i32 s9, s0, 0xfffffb80
	v_fmac_f32_e32 v110, v56, v18
	s_waitcnt vmcnt(28)
	v_lshlrev_b32_e32 v18, 16, v60
	s_cmp_lt_i32 s9, s10
	v_fmac_f32_e32 v110, v57, v18
	ds_read_b128 v[18:21], v124 offset:64
	ds_read_b128 v[28:31], v124 offset:80
	v_lshl_add_u64 v[108:109], s[12:13], 1, v[0:1]
	s_cselect_b32 s12, s9, s11
	s_ashr_i32 s13, s12, 31
	s_add_i32 s9, s0, 0xfffffc00
	s_cmp_lt_i32 s9, s10
	v_lshl_add_u64 v[4:5], s[12:13], 1, v[0:1]
	s_cselect_b32 s12, s9, s11
	s_waitcnt vmcnt(27)
	v_lshlrev_b32_e32 v52, 16, v61
	s_ashr_i32 s13, s12, 31
	s_add_i32 s9, s0, 0xfffffc80
	s_waitcnt lgkmcnt(1)
	v_fmac_f32_e32 v110, v18, v52
	global_load_ushort v52, v[92:93], off
	s_cmp_lt_i32 s9, s10
	global_load_ushort v55, v[94:95], off
	global_load_ushort v56, v[96:97], off
	;; [unrolled: 1-line block ×5, first 2 shown]
	v_lshl_add_u64 v[6:7], s[12:13], 1, v[0:1]
	s_cselect_b32 s12, s9, s11
	s_ashr_i32 s13, s12, 31
	s_add_i32 s9, s0, 0xfffffd00
	s_waitcnt vmcnt(32)
	v_lshlrev_b32_e32 v18, 16, v62
	s_cmp_lt_i32 s9, s10
	v_fmac_f32_e32 v110, v19, v18
	s_waitcnt vmcnt(28)
	v_lshlrev_b32_e32 v18, 16, v63
	v_lshl_add_u64 v[8:9], s[12:13], 1, v[0:1]
	s_cselect_b32 s12, s9, s11
	v_fmac_f32_e32 v110, v20, v18
	v_lshlrev_b32_e32 v18, 16, v66
	s_ashr_i32 s13, s12, 31
	s_add_i32 s9, s0, 0xfffffd80
	v_fmac_f32_e32 v110, v21, v18
	s_waitcnt vmcnt(27)
	v_lshlrev_b32_e32 v18, 16, v67
	s_cmp_lt_i32 s9, s10
	s_waitcnt lgkmcnt(0)
	v_fmac_f32_e32 v110, v28, v18
	global_load_ushort v28, v[106:107], off
	v_lshl_add_u64 v[12:13], s[12:13], 1, v[0:1]
	s_cselect_b32 s12, s9, s11
	global_load_ushort v60, v[100:101], off
	global_load_ushort v61, v[42:43], off
	;; [unrolled: 1-line block ×3, first 2 shown]
	s_ashr_i32 s13, s12, 31
	s_add_i32 s9, s0, 0xfffffe00
	v_lshlrev_b32_e32 v18, 16, v123
	s_cmp_lt_i32 s9, s10
	v_fmac_f32_e32 v110, v29, v18
	v_lshlrev_b32_e32 v18, 16, v125
	v_lshl_add_u64 v[10:11], s[12:13], 1, v[0:1]
	s_cselect_b32 s12, s9, s11
	v_fmac_f32_e32 v110, v30, v18
	global_load_ushort v29, v[4:5], off
	global_load_ushort v30, v[6:7], off
	s_ashr_i32 s13, s12, 31
	s_add_i32 s9, s0, 0xfffffe80
	s_cmp_lt_i32 s9, s10
	s_waitcnt vmcnt(32)
	v_lshlrev_b32_e32 v4, 16, v48
	v_lshl_add_u64 v[22:23], s[12:13], 1, v[0:1]
	s_cselect_b32 s12, s9, s11
	v_fmac_f32_e32 v110, v31, v4
	ds_read_b128 v[4:7], v124 offset:96
	s_ashr_i32 s13, s12, 31
	s_add_i32 s9, s0, 0xffffff00
	s_cmp_lt_i32 s9, s10
	s_waitcnt vmcnt(31)
	v_lshlrev_b32_e32 v31, 16, v36
	global_load_ushort v36, v[8:9], off
	global_load_ushort v42, v[12:13], off
	v_lshl_add_u64 v[14:15], s[12:13], 1, v[0:1]
	s_cselect_b32 s12, s9, s11
	s_ashr_i32 s13, s12, 31
	s_add_i32 s9, s0, 0xffffff80
	s_cmp_lt_i32 s9, s10
	ds_read_b128 v[18:21], v124 offset:112
	s_waitcnt lgkmcnt(1)
	v_fmac_f32_e32 v110, v4, v31
	s_waitcnt vmcnt(31)
	v_lshlrev_b32_e32 v4, 16, v37
	global_load_ushort v31, v[10:11], off
	global_load_ushort v37, v[22:23], off
	v_lshl_add_u64 v[24:25], s[12:13], 1, v[0:1]
	s_cselect_b32 s12, s9, s11
	s_ashr_i32 s13, s12, 31
	s_cmp_lt_i32 s0, s10
	global_load_ushort v22, v[14:15], off
	global_load_ushort v23, v[24:25], off
	v_lshl_add_u64 v[16:17], s[12:13], 1, v[0:1]
	s_cselect_b32 s12, s0, s11
	s_ashr_i32 s13, s12, 31
	v_lshl_add_u64 v[26:27], s[12:13], 1, v[0:1]
	global_load_ushort v14, v[16:17], off
	global_load_ushort v15, v[26:27], off
	v_fmac_f32_e32 v110, v5, v4
	s_waitcnt vmcnt(36)
	v_lshlrev_b32_e32 v3, 16, v3
	v_fmac_f32_e32 v110, v6, v3
	s_waitcnt vmcnt(35)
	v_lshlrev_b32_e32 v3, 16, v32
	;; [unrolled: 3-line block ×3, first 2 shown]
	ds_read_b128 v[4:7], v124 offset:128
	ds_read_b128 v[8:11], v124 offset:144
	s_waitcnt lgkmcnt(2)
	v_fmac_f32_e32 v110, v18, v3
	s_waitcnt vmcnt(33)
	v_lshlrev_b32_e32 v3, 16, v34
	v_fmac_f32_e32 v110, v19, v3
	s_waitcnt vmcnt(32)
	v_lshlrev_b32_e32 v3, 16, v35
	;; [unrolled: 3-line block ×4, first 2 shown]
	s_waitcnt lgkmcnt(1)
	v_fmac_f32_e32 v110, v4, v3
	s_waitcnt vmcnt(26)
	v_lshlrev_b32_e32 v3, 16, v40
	v_fmac_f32_e32 v110, v5, v3
	s_waitcnt vmcnt(25)
	v_lshlrev_b32_e32 v3, 16, v41
	v_fmac_f32_e32 v110, v6, v3
	v_lshlrev_b32_e32 v3, 16, v44
	v_fmac_f32_e32 v110, v7, v3
	s_waitcnt vmcnt(24)
	v_lshlrev_b32_e32 v3, 16, v45
	ds_read_b128 v[4:7], v124 offset:160
	s_waitcnt lgkmcnt(1)
	v_fmac_f32_e32 v110, v8, v3
	v_lshlrev_b32_e32 v3, 16, v46
	v_fmac_f32_e32 v110, v9, v3
	s_waitcnt vmcnt(23)
	v_lshlrev_b32_e32 v3, 16, v47
	v_fmac_f32_e32 v110, v10, v3
	v_lshlrev_b32_e32 v3, 16, v49
	v_fmac_f32_e32 v110, v11, v3
	ds_read_b128 v[8:11], v124 offset:176
	s_waitcnt vmcnt(22)
	v_lshlrev_b32_e32 v3, 16, v50
	s_waitcnt lgkmcnt(1)
	v_fmac_f32_e32 v110, v4, v3
	s_waitcnt vmcnt(21)
	v_lshlrev_b32_e32 v3, 16, v51
	v_fmac_f32_e32 v110, v5, v3
	s_waitcnt vmcnt(20)
	v_lshlrev_b32_e32 v3, 16, v53
	v_fmac_f32_e32 v110, v6, v3
	v_lshlrev_b32_e32 v3, 16, v54
	v_fmac_f32_e32 v110, v7, v3
	s_waitcnt vmcnt(19)
	v_lshlrev_b32_e32 v3, 16, v52
	s_waitcnt lgkmcnt(0)
	v_fmac_f32_e32 v110, v8, v3
	s_waitcnt vmcnt(18)
	v_lshlrev_b32_e32 v3, 16, v55
	ds_read_b128 v[4:7], v124 offset:192
	v_fmac_f32_e32 v110, v9, v3
	s_waitcnt vmcnt(17)
	v_lshlrev_b32_e32 v3, 16, v56
	v_fmac_f32_e32 v110, v10, v3
	s_waitcnt vmcnt(16)
	v_lshlrev_b32_e32 v3, 16, v57
	v_fmac_f32_e32 v110, v11, v3
	ds_read_b128 v[8:11], v124 offset:208
	s_waitcnt vmcnt(15)
	v_lshlrev_b32_e32 v3, 16, v58
	s_waitcnt lgkmcnt(1)
	v_fmac_f32_e32 v110, v4, v3
	s_waitcnt vmcnt(14)
	v_lshlrev_b32_e32 v3, 16, v59
	v_fmac_f32_e32 v110, v5, v3
	s_waitcnt vmcnt(13)
	v_lshlrev_b32_e32 v3, 16, v28
	;; [unrolled: 3-line block ×3, first 2 shown]
	s_waitcnt vmcnt(10)
	v_lshlrev_b32_e32 v5, 16, v62
	v_lshlrev_b32_e32 v4, 16, v61
	v_fmac_f32_e32 v110, v7, v3
	s_waitcnt lgkmcnt(0)
	v_pk_mul_f32 v[4:5], v[8:9], v[4:5]
	s_waitcnt vmcnt(6)
	v_lshlrev_b32_e32 v13, 16, v42
	v_add_f32_e32 v3, v110, v4
	v_add_f32_e32 v3, v3, v5
	v_lshlrev_b32_e32 v5, 16, v30
	v_lshlrev_b32_e32 v4, 16, v29
	v_pk_mul_f32 v[8:9], v[10:11], v[4:5]
	ds_read_b128 v[4:7], v124 offset:224
	v_add_f32_e32 v3, v3, v8
	v_lshlrev_b32_e32 v12, 16, v36
	v_add_f32_e32 v3, v3, v9
	ds_read_b128 v[8:11], v124 offset:240
	s_waitcnt lgkmcnt(1)
	v_pk_mul_f32 v[4:5], v[4:5], v[12:13]
	s_nop 0
	v_add_f32_e32 v3, v3, v4
	v_add_f32_e32 v3, v3, v5
	s_waitcnt vmcnt(4)
	v_lshlrev_b32_e32 v5, 16, v37
	v_lshlrev_b32_e32 v4, 16, v31
	v_pk_mul_f32 v[4:5], v[6:7], v[4:5]
	s_nop 0
	v_add_f32_e32 v3, v3, v4
	v_add_f32_e32 v3, v3, v5
	s_waitcnt vmcnt(2)
	v_lshlrev_b32_e32 v5, 16, v23
	v_lshlrev_b32_e32 v4, 16, v22
	s_waitcnt lgkmcnt(0)
	v_pk_mul_f32 v[4:5], v[8:9], v[4:5]
	s_nop 0
	v_add_f32_e32 v3, v3, v4
	v_add_f32_e32 v3, v3, v5
	s_waitcnt vmcnt(1)
	v_lshlrev_b32_e32 v4, 16, v14
	s_waitcnt vmcnt(0)
	v_lshlrev_b32_e32 v5, 16, v15
	v_pk_mul_f32 v[4:5], v[10:11], v[4:5]
	s_nop 0
	v_add_f32_e32 v3, v3, v4
	v_add_f32_e32 v110, v3, v5
	s_branch .LBB666_16
.LBB666_19:
	v_mov_b32_e32 v0, 0
	ds_read_b32 v0, v0 offset:3840
	s_cmp_lg_u64 s[6:7], 0
	s_cbranch_scc0 .LBB666_28
; %bb.20:
	s_load_dword s6, s[6:7], 0x0
	s_waitcnt lgkmcnt(0)
	v_div_scale_f32 v1, s[0:1], s6, s6, 1.0
	v_rcp_f32_e32 v3, v1
	v_div_scale_f32 v4, vcc, 1.0, s6, 1.0
	v_fma_f32 v5, -v1, v3, 1.0
	v_fmac_f32_e32 v3, v5, v3
	v_mul_f32_e32 v5, v4, v3
	v_fma_f32 v6, -v1, v5, v4
	v_fmac_f32_e32 v5, v6, v3
	v_fma_f32 v1, -v1, v5, v4
	v_div_fmas_f32 v1, v1, v3, v5
	v_div_fixup_f32 v1, v1, s6, 1.0
	s_andn2_b64 vcc, exec, s[48:49]
	s_cbranch_vccnz .LBB666_22
.LBB666_21:
	s_add_u32 s0, s46, s50
	s_addc_u32 s1, s47, s51
	s_load_dword s44, s[0:1], 0x0
	s_mov_b32 s45, 0
.LBB666_22:
	s_waitcnt lgkmcnt(0)
	v_add_f32_e32 v0, 0x358637bd, v0
	v_div_scale_f32 v3, s[0:1], v0, v0, 1.0
	v_rcp_f32_e32 v4, v3
	v_div_scale_f32 v5, vcc, 1.0, v0, 1.0
	s_mov_b32 s0, 0x7f800000
	v_fma_f32 v6, -v3, v4, 1.0
	v_fmac_f32_e32 v4, v6, v4
	v_mul_f32_e32 v6, v5, v4
	v_fma_f32 v7, -v3, v6, v5
	v_fmac_f32_e32 v6, v7, v4
	v_fma_f32 v3, -v3, v6, v5
	v_div_fmas_f32 v3, v3, v4, v6
	v_div_fixup_f32 v0, v3, v0, 1.0
	v_mul_f32_e32 v0, v110, v0
	v_mul_f32_e32 v1, v0, v1
	v_and_b32_e32 v0, 0x7f800000, v1
	v_cmp_ne_u32_e32 vcc, s0, v0
                                        ; implicit-def: $vgpr0
	s_and_saveexec_b64 s[0:1], vcc
	s_xor_b64 s[0:1], exec, s[0:1]
; %bb.23:
	v_bfe_u32 v0, v1, 16, 1
	s_movk_i32 s6, 0x7fff
	v_add3_u32 v0, v1, v0, s6
                                        ; implicit-def: $vgpr1
; %bb.24:
	s_andn2_saveexec_b64 s[0:1], s[0:1]
; %bb.25:
	v_mov_b32_e32 v0, 0
	v_or_b32_e32 v3, 0x10000, v1
	v_cmp_eq_u32_sdwa vcc, v1, v0 src0_sel:WORD_0 src1_sel:DWORD
	s_nop 1
	v_cndmask_b32_e32 v0, v3, v1, vcc
; %bb.26:
	s_or_b64 exec, exec, s[0:1]
	s_mul_i32 s0, s3, s45
	s_mul_hi_u32 s1, s3, s44
	s_add_i32 s1, s1, s0
	s_mul_i32 s0, s3, s44
	s_lshl_b64 s[0:1], s[0:1], 8
	s_add_u32 s4, s4, s0
	s_mov_b32 s3, 0
	s_addc_u32 s5, s5, s1
	s_lshl_b64 s[0:1], s[2:3], 8
	s_add_u32 s0, s4, s0
	s_addc_u32 s1, s5, s1
	global_store_short_d16_hi v2, v0, s[0:1]
	s_endpgm
.LBB666_27:
	s_mov_b64 s[6:7], 0
	s_branch .LBB666_2
.LBB666_28:
	v_mov_b32_e32 v1, 1.0
	s_andn2_b64 vcc, exec, s[48:49]
	s_cbranch_vccz .LBB666_21
	s_branch .LBB666_22
	.section	.rodata,"a",@progbits
	.p2align	6, 0x0
	.amdhsa_kernel _Z35paged_attention_ll4mi_reduce_kernelI14__hip_bfloat16S0_Li128ELi128ELi256ELi15EEvPT0_PKfS4_PKT_PKiS9_iS4_
		.amdhsa_group_segment_fixed_size 3844
		.amdhsa_private_segment_fixed_size 0
		.amdhsa_kernarg_size 320
		.amdhsa_user_sgpr_count 2
		.amdhsa_user_sgpr_dispatch_ptr 0
		.amdhsa_user_sgpr_queue_ptr 0
		.amdhsa_user_sgpr_kernarg_segment_ptr 1
		.amdhsa_user_sgpr_dispatch_id 0
		.amdhsa_user_sgpr_kernarg_preload_length 0
		.amdhsa_user_sgpr_kernarg_preload_offset 0
		.amdhsa_user_sgpr_private_segment_size 0
		.amdhsa_uses_dynamic_stack 0
		.amdhsa_enable_private_segment 0
		.amdhsa_system_sgpr_workgroup_id_x 1
		.amdhsa_system_sgpr_workgroup_id_y 1
		.amdhsa_system_sgpr_workgroup_id_z 0
		.amdhsa_system_sgpr_workgroup_info 0
		.amdhsa_system_vgpr_workitem_id 0
		.amdhsa_next_free_vgpr 126
		.amdhsa_next_free_sgpr 59
		.amdhsa_accum_offset 128
		.amdhsa_reserve_vcc 1
		.amdhsa_float_round_mode_32 0
		.amdhsa_float_round_mode_16_64 0
		.amdhsa_float_denorm_mode_32 3
		.amdhsa_float_denorm_mode_16_64 3
		.amdhsa_dx10_clamp 1
		.amdhsa_ieee_mode 1
		.amdhsa_fp16_overflow 0
		.amdhsa_tg_split 0
		.amdhsa_exception_fp_ieee_invalid_op 0
		.amdhsa_exception_fp_denorm_src 0
		.amdhsa_exception_fp_ieee_div_zero 0
		.amdhsa_exception_fp_ieee_overflow 0
		.amdhsa_exception_fp_ieee_underflow 0
		.amdhsa_exception_fp_ieee_inexact 0
		.amdhsa_exception_int_div_zero 0
	.end_amdhsa_kernel
	.section	.text._Z35paged_attention_ll4mi_reduce_kernelI14__hip_bfloat16S0_Li128ELi128ELi256ELi15EEvPT0_PKfS4_PKT_PKiS9_iS4_,"axG",@progbits,_Z35paged_attention_ll4mi_reduce_kernelI14__hip_bfloat16S0_Li128ELi128ELi256ELi15EEvPT0_PKfS4_PKT_PKiS9_iS4_,comdat
.Lfunc_end666:
	.size	_Z35paged_attention_ll4mi_reduce_kernelI14__hip_bfloat16S0_Li128ELi128ELi256ELi15EEvPT0_PKfS4_PKT_PKiS9_iS4_, .Lfunc_end666-_Z35paged_attention_ll4mi_reduce_kernelI14__hip_bfloat16S0_Li128ELi128ELi256ELi15EEvPT0_PKfS4_PKT_PKiS9_iS4_
                                        ; -- End function
	.section	.AMDGPU.csdata,"",@progbits
; Kernel info:
; codeLenInByte = 10792
; NumSgprs: 65
; NumVgprs: 126
; NumAgprs: 0
; TotalNumVgprs: 126
; ScratchSize: 0
; MemoryBound: 0
; FloatMode: 240
; IeeeMode: 1
; LDSByteSize: 3844 bytes/workgroup (compile time only)
; SGPRBlocks: 8
; VGPRBlocks: 15
; NumSGPRsForWavesPerEU: 65
; NumVGPRsForWavesPerEU: 126
; AccumOffset: 128
; Occupancy: 4
; WaveLimiterHint : 1
; COMPUTE_PGM_RSRC2:SCRATCH_EN: 0
; COMPUTE_PGM_RSRC2:USER_SGPR: 2
; COMPUTE_PGM_RSRC2:TRAP_HANDLER: 0
; COMPUTE_PGM_RSRC2:TGID_X_EN: 1
; COMPUTE_PGM_RSRC2:TGID_Y_EN: 1
; COMPUTE_PGM_RSRC2:TGID_Z_EN: 0
; COMPUTE_PGM_RSRC2:TIDIG_COMP_CNT: 0
; COMPUTE_PGM_RSRC3_GFX90A:ACCUM_OFFSET: 31
; COMPUTE_PGM_RSRC3_GFX90A:TG_SPLIT: 0
	.section	.text._Z35paged_attention_ll4mi_reduce_kernelI14__hip_bfloat16S0_Li128ELi128ELi256ELi16EEvPT0_PKfS4_PKT_PKiS9_iS4_,"axG",@progbits,_Z35paged_attention_ll4mi_reduce_kernelI14__hip_bfloat16S0_Li128ELi128ELi256ELi16EEvPT0_PKfS4_PKT_PKiS9_iS4_,comdat
	.protected	_Z35paged_attention_ll4mi_reduce_kernelI14__hip_bfloat16S0_Li128ELi128ELi256ELi16EEvPT0_PKfS4_PKT_PKiS9_iS4_ ; -- Begin function _Z35paged_attention_ll4mi_reduce_kernelI14__hip_bfloat16S0_Li128ELi128ELi256ELi16EEvPT0_PKfS4_PKT_PKiS9_iS4_
	.globl	_Z35paged_attention_ll4mi_reduce_kernelI14__hip_bfloat16S0_Li128ELi128ELi256ELi16EEvPT0_PKfS4_PKT_PKiS9_iS4_
	.p2align	8
	.type	_Z35paged_attention_ll4mi_reduce_kernelI14__hip_bfloat16S0_Li128ELi128ELi256ELi16EEvPT0_PKfS4_PKT_PKiS9_iS4_,@function
_Z35paged_attention_ll4mi_reduce_kernelI14__hip_bfloat16S0_Li128ELi128ELi256ELi16EEvPT0_PKfS4_PKT_PKiS9_iS4_: ; @_Z35paged_attention_ll4mi_reduce_kernelI14__hip_bfloat16S0_Li128ELi128ELi256ELi16EEvPT0_PKfS4_PKT_PKiS9_iS4_
; %bb.0:
	s_load_dwordx2 s[48:49], s[0:1], 0x28
	s_mov_b32 s38, s3
	s_mov_b64 s[4:5], 0
	s_waitcnt lgkmcnt(0)
	s_cmp_lg_u64 s[48:49], 0
	s_cselect_b64 s[50:51], -1, 0
	s_and_b64 vcc, exec, s[50:51]
	s_cbranch_vccz .LBB667_27
; %bb.1:
	s_add_i32 s6, s38, 1
	s_mov_b32 s7, 0
	s_lshl_b64 s[8:9], s[6:7], 2
	s_add_u32 s8, s48, s8
	s_mov_b32 s39, s7
	s_addc_u32 s9, s49, s9
	s_lshl_b64 s[6:7], s[38:39], 2
	s_add_u32 s6, s48, s6
	s_addc_u32 s7, s49, s7
	s_load_dword s3, s[8:9], 0x0
	s_load_dword s10, s[6:7], 0x0
	s_waitcnt lgkmcnt(0)
	s_sub_i32 s3, s3, s10
	s_cmp_eq_u32 s3, 1
	s_cselect_b64 s[6:7], -1, 0
	s_andn2_b64 vcc, exec, s[4:5]
	s_cbranch_vccnz .LBB667_3
.LBB667_2:
	s_mov_b32 s39, 0
	s_mov_b64 s[6:7], -1
.LBB667_3:
	s_andn2_b64 vcc, exec, s[6:7]
	s_cbranch_vccz .LBB667_5
; %bb.4:
	s_endpgm
.LBB667_5:
	s_load_dwordx4 s[40:43], s[0:1], 0x18
	s_load_dword s8, s[0:1], 0x30
	s_lshl_b64 s[52:53], s[38:39], 2
	v_cmp_lt_u32_e32 vcc, 63, v0
	s_waitcnt lgkmcnt(0)
	s_add_u32 s4, s42, s52
	s_addc_u32 s5, s43, s53
	s_load_dword s60, s[4:5], 0x0
	s_load_dword s3, s[0:1], 0x40
	s_mul_i32 s42, s2, s8
	s_mul_i32 s6, s38, s8
	s_waitcnt lgkmcnt(0)
	s_add_i32 s7, s60, 0xff
	s_ashr_i32 s4, s7, 31
	s_lshr_b32 s4, s4, 24
	s_add_i32 s7, s7, s4
	s_and_saveexec_b64 s[4:5], vcc
	s_xor_b64 s[4:5], exec, s[4:5]
	s_or_saveexec_b64 s[54:55], s[4:5]
	s_ashr_i32 s33, s7, 8
	v_mov_b32_e32 v1, s42
	s_mul_i32 s56, s6, s3
	s_xor_b64 exec, exec, s[54:55]
	s_cbranch_execz .LBB667_9
; %bb.6:
	s_add_i32 s4, s33, -1
	v_or_b32_e32 v3, 64, v0
	v_mov_b32_e32 v1, s4
	v_cmp_gt_u32_e64 s[22:23], s33, v3
	s_load_dwordx4 s[44:47], s[0:1], 0x8
	s_mov_b32 s57, 0
	v_cndmask_b32_e64 v4, v1, v3, s[22:23]
	v_or_b32_e32 v3, 0x80, v0
	v_cmp_gt_u32_e64 s[20:21], s33, v3
	s_lshl_b64 s[58:59], s[56:57], 2
	s_mov_b32 s43, s57
	v_cndmask_b32_e64 v6, v1, v3, s[20:21]
	v_or_b32_e32 v3, 0xc0, v0
	v_cmp_gt_u32_e64 s[18:19], s33, v3
	v_cmp_gt_u32_e64 s[24:25], s33, v0
	s_waitcnt lgkmcnt(0)
	s_add_u32 s36, s46, s58
	v_cndmask_b32_e64 v8, v1, v3, s[18:19]
	v_or_b32_e32 v3, 0x100, v0
	v_cmp_gt_u32_e64 s[16:17], s33, v3
	v_cndmask_b32_e64 v2, v1, v0, s[24:25]
	s_addc_u32 s37, s47, s59
	v_cndmask_b32_e64 v10, v1, v3, s[16:17]
	v_or_b32_e32 v3, 0x140, v0
	v_cmp_gt_u32_e64 s[14:15], s33, v3
	s_lshl_b64 s[46:47], s[42:43], 2
	s_add_u32 s36, s36, s46
	v_cndmask_b32_e64 v12, v1, v3, s[14:15]
	v_or_b32_e32 v3, 0x180, v0
	v_cmp_gt_u32_e64 s[12:13], s33, v3
	v_ashrrev_i32_e32 v5, 31, v4
	v_ashrrev_i32_e32 v7, 31, v6
	v_cndmask_b32_e64 v14, v1, v3, s[12:13]
	v_or_b32_e32 v3, 0x1c0, v0
	v_cmp_gt_u32_e64 s[8:9], s33, v3
	v_ashrrev_i32_e32 v9, 31, v8
	s_addc_u32 s37, s37, s47
	v_cndmask_b32_e64 v20, v1, v3, s[8:9]
	v_or_b32_e32 v3, 0x200, v0
	v_cmp_gt_u32_e64 s[6:7], s33, v3
	v_lshlrev_b64 v[18:19], 2, v[4:5]
	v_lshlrev_b64 v[6:7], 2, v[6:7]
	v_cndmask_b32_e64 v24, v1, v3, s[6:7]
	v_or_b32_e32 v3, 0x240, v0
	v_cmp_gt_u32_e64 s[4:5], s33, v3
	v_ashrrev_i32_e32 v11, 31, v10
	v_ashrrev_i32_e32 v13, 31, v12
	v_cndmask_b32_e64 v26, v1, v3, s[4:5]
	v_or_b32_e32 v3, 0x280, v0
	v_cmp_gt_u32_e32 vcc, s33, v3
	v_ashrrev_i32_e32 v15, 31, v14
	v_ashrrev_i32_e32 v21, 31, v20
	v_cndmask_b32_e32 v28, v1, v3, vcc
	v_or_b32_e32 v3, 0x2c0, v0
	v_cmp_gt_u32_e64 s[34:35], s33, v3
	v_lshl_add_u64 v[38:39], s[36:37], 0, v[18:19]
	v_lshl_add_u64 v[40:41], s[36:37], 0, v[6:7]
	v_cndmask_b32_e64 v30, v1, v3, s[34:35]
	v_or_b32_e32 v3, 0x300, v0
	v_cmp_gt_u32_e64 s[30:31], s33, v3
	v_lshlrev_b64 v[4:5], 2, v[10:11]
	v_lshlrev_b64 v[16:17], 2, v[14:15]
	v_cndmask_b32_e64 v32, v1, v3, s[30:31]
	v_or_b32_e32 v3, 0x340, v0
	v_cmp_gt_u32_e64 s[28:29], s33, v3
	v_lshlrev_b64 v[20:21], 2, v[20:21]
	v_lshl_add_u64 v[10:11], s[36:37], 0, v[4:5]
	v_cndmask_b32_e64 v34, v1, v3, s[28:29]
	v_or_b32_e32 v3, 0x380, v0
	v_cmp_gt_u32_e64 s[26:27], s33, v3
	v_lshl_add_u64 v[14:15], s[36:37], 0, v[16:17]
	v_lshl_add_u64 v[52:53], s[36:37], 0, v[20:21]
	v_cndmask_b32_e64 v48, v1, v3, s[26:27]
	v_or_b32_e32 v3, 0x3c0, v0
	v_cmp_gt_u32_e64 s[10:11], s33, v3
	v_ashrrev_i32_e32 v25, 31, v24
	v_ashrrev_i32_e32 v31, 31, v30
	v_cndmask_b32_e64 v50, v1, v3, s[10:11]
	v_ashrrev_i32_e32 v3, 31, v2
	v_lshlrev_b64 v[22:23], 2, v[2:3]
	v_lshlrev_b64 v[2:3], 2, v[8:9]
	v_lshl_add_u64 v[36:37], s[36:37], 0, v[22:23]
	v_lshl_add_u64 v[42:43], s[36:37], 0, v[2:3]
	v_lshlrev_b64 v[8:9], 2, v[12:13]
	v_lshl_add_u64 v[12:13], s[36:37], 0, v[8:9]
	global_load_dword v47, v[36:37], off
	global_load_dword v46, v[38:39], off
	;; [unrolled: 1-line block ×3, first 2 shown]
	s_nop 0
	global_load_dword v43, v[42:43], off
	s_nop 0
	global_load_dword v42, v[10:11], off
	global_load_dword v40, v[12:13], off
	;; [unrolled: 1-line block ×4, first 2 shown]
	v_ashrrev_i32_e32 v49, 31, v48
	v_lshlrev_b64 v[24:25], 2, v[24:25]
	v_ashrrev_i32_e32 v27, 31, v26
	v_ashrrev_i32_e32 v29, 31, v28
	v_lshlrev_b64 v[52:53], 2, v[30:31]
	v_ashrrev_i32_e32 v33, 31, v32
	;; [unrolled: 3-line block ×3, first 2 shown]
	v_lshl_add_u64 v[12:13], s[36:37], 0, v[24:25]
	v_lshlrev_b64 v[26:27], 2, v[26:27]
	v_lshlrev_b64 v[10:11], 2, v[28:29]
	v_lshl_add_u64 v[54:55], s[36:37], 0, v[52:53]
	v_lshlrev_b64 v[56:57], 2, v[32:33]
	v_lshlrev_b64 v[58:59], 2, v[34:35]
	v_lshl_add_u64 v[60:61], s[36:37], 0, v[48:49]
	v_lshlrev_b64 v[50:51], 2, v[50:51]
	v_lshl_add_u64 v[14:15], s[36:37], 0, v[26:27]
	v_lshl_add_u64 v[28:29], s[36:37], 0, v[10:11]
	;; [unrolled: 1-line block ×5, first 2 shown]
	global_load_dword v38, v[12:13], off
	global_load_dword v36, v[14:15], off
	;; [unrolled: 1-line block ×3, first 2 shown]
	s_nop 0
	global_load_dword v54, v[54:55], off
	s_nop 0
	global_load_dword v55, v[32:33], off
	global_load_dword v64, v[34:35], off
	s_nop 0
	global_load_dword v60, v[60:61], off
	s_nop 0
	global_load_dword v41, v[62:63], off
	s_mov_b32 s43, 0x3fb8aa3b
	s_waitcnt vmcnt(15)
	v_max_f32_e32 v12, v47, v47
	s_waitcnt vmcnt(14)
	v_max_f32_e32 v1, v46, v46
	v_max_f32_e32 v1, v12, v1
	s_waitcnt vmcnt(12)
	v_max3_f32 v1, v1, v45, v43
	s_waitcnt vmcnt(10)
	v_max3_f32 v1, v1, v42, v40
	s_waitcnt vmcnt(8)
	v_max3_f32 v1, v1, v39, v37
	s_waitcnt vmcnt(6)
	v_max3_f32 v1, v1, v38, v36
	s_waitcnt vmcnt(4)
	v_max3_f32 v1, v1, v31, v54
	s_waitcnt vmcnt(2)
	v_max3_f32 v1, v1, v55, v64
	s_waitcnt vmcnt(0)
	v_max3_f32 v12, v1, v60, v41
	v_mbcnt_lo_u32_b32 v1, -1, 0
	v_mbcnt_hi_u32_b32 v13, -1, v1
	v_and_b32_e32 v1, 64, v13
	v_add_u32_e32 v14, 64, v1
	v_xor_b32_e32 v1, 32, v13
	v_cmp_lt_i32_e64 s[36:37], v1, v14
	s_nop 1
	v_cndmask_b32_e64 v1, v13, v1, s[36:37]
	v_lshlrev_b32_e32 v1, 2, v1
	ds_bpermute_b32 v15, v1, v12
	s_waitcnt lgkmcnt(0)
	v_max_f32_e32 v15, v15, v15
	v_max_f32_e32 v12, v12, v15
	v_xor_b32_e32 v15, 16, v13
	v_cmp_lt_i32_e64 s[36:37], v15, v14
	s_nop 1
	v_cndmask_b32_e64 v15, v13, v15, s[36:37]
	v_lshlrev_b32_e32 v30, 2, v15
	ds_bpermute_b32 v15, v30, v12
	s_waitcnt lgkmcnt(0)
	v_max_f32_e32 v15, v15, v15
	v_max_f32_e32 v12, v12, v15
	;; [unrolled: 9-line block ×5, first 2 shown]
	v_xor_b32_e32 v12, 1, v13
	v_cmp_lt_i32_e64 s[36:37], v12, v14
	s_nop 1
	v_cndmask_b32_e64 v12, v13, v12, s[36:37]
	s_add_u32 s36, s44, s58
	s_addc_u32 s37, s45, s59
	s_add_u32 s44, s36, s46
	s_addc_u32 s45, s37, s47
	v_lshlrev_b32_e32 v35, 2, v12
	v_lshl_add_u64 v[12:13], s[44:45], 0, v[56:57]
	v_lshl_add_u64 v[14:15], s[44:45], 0, v[58:59]
	;; [unrolled: 1-line block ×6, first 2 shown]
	global_load_dword v12, v[12:13], off
	s_nop 0
	global_load_dword v13, v[14:15], off
	s_nop 0
	global_load_dword v14, v[48:49], off
	global_load_dword v15, v[50:51], off
	s_nop 0
	global_load_dword v48, v[10:11], off
	s_nop 0
	global_load_dword v11, v[28:29], off
	ds_bpermute_b32 v61, v35, v44
	s_mov_b32 s47, 0xc2ce8ed0
	s_mov_b32 s46, 0x42b17218
	v_lshl_add_u64 v[6:7], s[44:45], 0, v[6:7]
	v_lshl_add_u64 v[2:3], s[44:45], 0, v[2:3]
	s_waitcnt lgkmcnt(0)
	v_max_f32_e32 v52, v61, v61
	v_max_f32_e32 v44, v44, v52
	v_sub_f32_e32 v52, v54, v44
	v_mul_f32_e32 v53, 0x3fb8aa3b, v52
	v_fma_f32 v54, v52, s43, -v53
	v_rndne_f32_e32 v56, v53
	v_fmac_f32_e32 v54, 0x32a5705f, v52
	v_sub_f32_e32 v53, v53, v56
	v_add_f32_e32 v53, v53, v54
	v_exp_f32_e32 v53, v53
	v_cvt_i32_f32_e32 v54, v56
	v_cmp_ngt_f32_e64 s[36:37], s47, v52
	v_mov_b32_e32 v56, 0x7f800000
	v_sub_f32_e32 v29, v55, v44
	v_ldexp_f32 v53, v53, v54
	v_cndmask_b32_e64 v53, 0, v53, s[36:37]
	v_cmp_nlt_f32_e64 s[36:37], s46, v52
	v_mul_f32_e32 v10, 0x3fb8aa3b, v29
	v_rndne_f32_e32 v49, v10
	v_cndmask_b32_e64 v52, v56, v53, s[36:37]
	v_cndmask_b32_e64 v52, 0, v52, s[34:35]
	v_cmp_ngt_f32_e64 s[34:35], s47, v29
	v_lshl_add_u64 v[4:5], s[44:45], 0, v[4:5]
	s_waitcnt vmcnt(0)
	v_mul_f32_e32 v28, v11, v52
	v_fma_f32 v11, v29, s43, -v10
	v_fmac_f32_e32 v11, 0x32a5705f, v29
	v_sub_f32_e32 v10, v10, v49
	v_add_f32_e32 v10, v10, v11
	v_exp_f32_e32 v50, v10
	v_cvt_i32_f32_e32 v49, v49
	v_lshl_add_u64 v[10:11], s[44:45], 0, v[22:23]
	global_load_dword v51, v[10:11], off
	v_lshl_add_u64 v[10:11], s[44:45], 0, v[24:25]
	v_lshl_add_u64 v[22:23], s[44:45], 0, v[26:27]
	global_load_dword v24, v[10:11], off
	s_nop 0
	global_load_dword v22, v[22:23], off
	v_ldexp_f32 v10, v50, v49
	v_sub_f32_e32 v25, v64, v44
	v_cndmask_b32_e64 v23, 0, v10, s[34:35]
	v_mul_f32_e32 v10, 0x3fb8aa3b, v25
	v_fma_f32 v11, v25, s43, -v10
	v_rndne_f32_e32 v26, v10
	v_fmac_f32_e32 v11, 0x32a5705f, v25
	v_sub_f32_e32 v10, v10, v26
	v_add_f32_e32 v10, v10, v11
	v_exp_f32_e32 v27, v10
	v_cvt_i32_f32_e32 v26, v26
	v_lshl_add_u64 v[10:11], s[44:45], 0, v[18:19]
	v_cmp_nlt_f32_e64 s[34:35], s46, v29
	global_load_dword v10, v[10:11], off
	v_sub_f32_e32 v18, v60, v44
	v_cndmask_b32_e64 v11, v56, v23, s[34:35]
	v_cndmask_b32_e64 v11, 0, v11, s[30:31]
	v_mul_f32_e32 v19, 0x3fb8aa3b, v18
	v_mul_f32_e32 v11, v12, v11
	v_ldexp_f32 v12, v27, v26
	v_fma_f32 v23, v18, s43, -v19
	v_rndne_f32_e32 v26, v19
	v_fmac_f32_e32 v23, 0x32a5705f, v18
	v_sub_f32_e32 v19, v19, v26
	v_add_f32_e32 v19, v19, v23
	global_load_dword v23, v[6:7], off
	v_exp_f32_e32 v6, v19
	v_cvt_i32_f32_e32 v7, v26
	v_cmp_ngt_f32_e64 s[30:31], s47, v25
	v_ldexp_f32 v6, v6, v7
	s_nop 0
	v_cndmask_b32_e64 v12, 0, v12, s[30:31]
	v_cmp_nlt_f32_e64 s[30:31], s46, v25
	s_nop 1
	v_cndmask_b32_e64 v12, v56, v12, s[30:31]
	v_cndmask_b32_e64 v12, 0, v12, s[28:29]
	v_cmp_ngt_f32_e64 s[28:29], s47, v18
	v_mul_f32_e32 v12, v13, v12
	s_nop 0
	v_cndmask_b32_e64 v6, 0, v6, s[28:29]
	v_cmp_nlt_f32_e64 s[28:29], s46, v18
	s_nop 1
	v_cndmask_b32_e64 v6, v56, v6, s[28:29]
	v_cndmask_b32_e64 v6, 0, v6, s[26:27]
	v_mul_f32_e32 v13, v14, v6
	global_load_dword v14, v[2:3], off
	v_lshl_add_u64 v[6:7], s[44:45], 0, v[16:17]
	v_sub_f32_e32 v16, v47, v44
	v_mul_f32_e32 v17, 0x3fb8aa3b, v16
	v_fma_f32 v18, v16, s43, -v17
	v_rndne_f32_e32 v19, v17
	v_fmac_f32_e32 v18, 0x32a5705f, v16
	v_sub_f32_e32 v17, v17, v19
	v_lshl_add_u64 v[2:3], s[44:45], 0, v[8:9]
	v_lshl_add_u64 v[8:9], s[44:45], 0, v[20:21]
	v_add_f32_e32 v17, v17, v18
	v_cvt_i32_f32_e32 v18, v19
	global_load_dword v19, v[4:5], off
	global_load_dword v20, v[2:3], off
	;; [unrolled: 1-line block ×4, first 2 shown]
	v_sub_f32_e32 v3, v46, v44
	v_mul_f32_e32 v4, 0x3fb8aa3b, v3
	v_fma_f32 v5, v3, s43, -v4
	v_rndne_f32_e32 v6, v4
	v_fmac_f32_e32 v5, 0x32a5705f, v3
	v_sub_f32_e32 v4, v4, v6
	v_add_f32_e32 v4, v4, v5
	v_exp_f32_e32 v4, v4
	v_cvt_i32_f32_e32 v5, v6
	v_exp_f32_e32 v17, v17
	v_cmp_ngt_f32_e64 s[26:27], s47, v16
	v_ldexp_f32 v4, v4, v5
	v_sub_f32_e32 v5, v45, v44
	v_mul_f32_e32 v6, 0x3fb8aa3b, v5
	v_fma_f32 v7, v5, s43, -v6
	v_rndne_f32_e32 v8, v6
	v_fmac_f32_e32 v7, 0x32a5705f, v5
	v_sub_f32_e32 v6, v6, v8
	v_ldexp_f32 v2, v17, v18
	v_add_f32_e32 v6, v6, v7
	v_cndmask_b32_e64 v2, 0, v2, s[26:27]
	v_cmp_nlt_f32_e64 s[26:27], s46, v16
	v_exp_f32_e32 v6, v6
	v_cvt_i32_f32_e32 v7, v8
	v_cndmask_b32_e64 v2, v56, v2, s[26:27]
	v_cndmask_b32_e64 v2, 0, v2, s[24:25]
	v_cmp_ngt_f32_e64 s[24:25], s47, v3
	s_waitcnt vmcnt(9)
	v_mul_f32_e32 v2, v51, v2
	v_cndmask_b32_e64 v4, 0, v4, s[24:25]
	v_cmp_nlt_f32_e64 s[24:25], s46, v3
	s_nop 1
	v_cndmask_b32_e64 v3, v56, v4, s[24:25]
	v_ldexp_f32 v4, v6, v7
	v_sub_f32_e32 v6, v43, v44
	v_mul_f32_e32 v7, 0x3fb8aa3b, v6
	v_fma_f32 v8, v6, s43, -v7
	v_rndne_f32_e32 v9, v7
	v_fmac_f32_e32 v8, 0x32a5705f, v6
	v_sub_f32_e32 v7, v7, v9
	v_add_f32_e32 v7, v7, v8
	v_exp_f32_e32 v7, v7
	v_cvt_i32_f32_e32 v8, v9
	v_cndmask_b32_e64 v3, 0, v3, s[22:23]
	v_cmp_ngt_f32_e64 s[22:23], s47, v5
	s_waitcnt vmcnt(6)
	v_mul_f32_e32 v3, v10, v3
	v_cndmask_b32_e64 v4, 0, v4, s[22:23]
	v_cmp_nlt_f32_e64 s[22:23], s46, v5
	v_ldexp_f32 v5, v7, v8
	v_sub_f32_e32 v7, v42, v44
	v_mul_f32_e32 v8, 0x3fb8aa3b, v7
	v_fma_f32 v9, v7, s43, -v8
	v_rndne_f32_e32 v10, v8
	v_fmac_f32_e32 v9, 0x32a5705f, v7
	v_sub_f32_e32 v8, v8, v10
	v_add_f32_e32 v8, v8, v9
	v_exp_f32_e32 v8, v8
	v_cvt_i32_f32_e32 v9, v10
	v_cndmask_b32_e64 v4, v56, v4, s[22:23]
	v_cndmask_b32_e64 v4, 0, v4, s[20:21]
	v_cmp_ngt_f32_e64 s[20:21], s47, v6
	s_waitcnt vmcnt(5)
	v_mul_f32_e32 v4, v23, v4
	v_cndmask_b32_e64 v5, 0, v5, s[20:21]
	v_cmp_nlt_f32_e64 s[20:21], s46, v6
	v_ldexp_f32 v6, v8, v9
	v_sub_f32_e32 v8, v40, v44
	v_cndmask_b32_e64 v5, v56, v5, s[20:21]
	v_cndmask_b32_e64 v5, 0, v5, s[18:19]
	v_mul_f32_e32 v9, 0x3fb8aa3b, v8
	s_waitcnt vmcnt(4)
	v_mul_f32_e32 v5, v14, v5
	v_fma_f32 v10, v8, s43, -v9
	v_rndne_f32_e32 v14, v9
	v_fmac_f32_e32 v10, 0x32a5705f, v8
	v_sub_f32_e32 v9, v9, v14
	v_add_f32_e32 v9, v9, v10
	v_cmp_ngt_f32_e64 s[18:19], s47, v7
	v_exp_f32_e32 v9, v9
	v_cvt_i32_f32_e32 v10, v14
	v_cndmask_b32_e64 v6, 0, v6, s[18:19]
	v_cmp_nlt_f32_e64 s[18:19], s46, v7
	v_sub_f32_e32 v7, v39, v44
	s_nop 0
	v_cndmask_b32_e64 v6, v56, v6, s[18:19]
	v_cndmask_b32_e64 v6, 0, v6, s[16:17]
	s_waitcnt vmcnt(3)
	v_mul_f32_e32 v14, v19, v6
	v_ldexp_f32 v6, v9, v10
	v_mul_f32_e32 v9, 0x3fb8aa3b, v7
	v_fma_f32 v10, v7, s43, -v9
	v_rndne_f32_e32 v16, v9
	v_fmac_f32_e32 v10, 0x32a5705f, v7
	v_sub_f32_e32 v9, v9, v16
	v_add_f32_e32 v9, v9, v10
	v_cmp_ngt_f32_e64 s[16:17], s47, v8
	v_exp_f32_e32 v9, v9
	v_cvt_i32_f32_e32 v10, v16
	v_cndmask_b32_e64 v6, 0, v6, s[16:17]
	v_cmp_nlt_f32_e64 s[16:17], s46, v8
	s_nop 1
	v_cndmask_b32_e64 v6, v56, v6, s[16:17]
	v_cndmask_b32_e64 v6, 0, v6, s[14:15]
	s_waitcnt vmcnt(2)
	v_mul_f32_e32 v16, v20, v6
	v_ldexp_f32 v6, v9, v10
	v_cmp_ngt_f32_e64 s[14:15], s47, v7
	s_nop 1
	v_cndmask_b32_e64 v6, 0, v6, s[14:15]
	v_cmp_nlt_f32_e64 s[14:15], s46, v7
	v_sub_f32_e32 v7, v37, v44
	v_mul_f32_e32 v8, 0x3fb8aa3b, v7
	v_fma_f32 v9, v7, s43, -v8
	v_rndne_f32_e32 v10, v8
	v_fmac_f32_e32 v9, 0x32a5705f, v7
	v_sub_f32_e32 v8, v8, v10
	v_add_f32_e32 v8, v8, v9
	v_cvt_i32_f32_e32 v9, v10
	v_sub_f32_e32 v10, v41, v44
	v_mul_f32_e32 v17, 0x3fb8aa3b, v10
	v_fma_f32 v18, v10, s43, -v17
	v_rndne_f32_e32 v19, v17
	v_fmac_f32_e32 v18, 0x32a5705f, v10
	v_sub_f32_e32 v17, v17, v19
	v_exp_f32_e32 v8, v8
	v_add_f32_e32 v17, v17, v18
	v_exp_f32_e32 v17, v17
	v_cvt_i32_f32_e32 v18, v19
	v_cndmask_b32_e64 v6, v56, v6, s[14:15]
	v_cndmask_b32_e64 v6, 0, v6, s[12:13]
	v_ldexp_f32 v8, v8, v9
	v_cmp_ngt_f32_e64 s[12:13], s47, v7
	v_ldexp_f32 v9, v17, v18
	s_waitcnt vmcnt(1)
	v_mul_f32_e32 v6, v21, v6
	v_cndmask_b32_e64 v8, 0, v8, s[12:13]
	v_cmp_ngt_f32_e64 s[12:13], s47, v10
	s_nop 1
	v_cndmask_b32_e64 v9, 0, v9, s[12:13]
	v_cmp_nlt_f32_e64 s[12:13], s46, v7
	s_nop 1
	v_cndmask_b32_e64 v7, v56, v8, s[12:13]
	v_cndmask_b32_e64 v7, 0, v7, s[8:9]
	v_cmp_nlt_f32_e64 s[8:9], s46, v10
	s_waitcnt vmcnt(0)
	v_mul_f32_e32 v7, v25, v7
	v_cndmask_b32_e64 v8, v56, v9, s[8:9]
	v_cndmask_b32_e64 v8, 0, v8, s[10:11]
	v_mul_f32_e32 v15, v15, v8
	v_sub_f32_e32 v8, v38, v44
	v_mul_f32_e32 v10, 0x3fb8aa3b, v8
	v_fma_f32 v17, v8, s43, -v10
	v_rndne_f32_e32 v18, v10
	v_fmac_f32_e32 v17, 0x32a5705f, v8
	v_sub_f32_e32 v10, v10, v18
	v_add_f32_e32 v10, v10, v17
	v_exp_f32_e32 v10, v10
	v_cvt_i32_f32_e32 v17, v18
	v_cmp_ngt_f32_e64 s[8:9], s47, v8
	v_add_f32_e32 v9, v2, v3
	v_add_f32_e32 v9, v9, v4
	v_ldexp_f32 v10, v10, v17
	v_sub_f32_e32 v17, v36, v44
	v_mul_f32_e32 v18, 0x3fb8aa3b, v17
	v_fma_f32 v19, v17, s43, -v18
	v_rndne_f32_e32 v20, v18
	v_fmac_f32_e32 v19, 0x32a5705f, v17
	v_sub_f32_e32 v18, v18, v20
	v_add_f32_e32 v18, v18, v19
	v_exp_f32_e32 v18, v18
	v_cvt_i32_f32_e32 v19, v20
	v_cndmask_b32_e64 v10, 0, v10, s[8:9]
	v_cmp_nlt_f32_e64 s[8:9], s46, v8
	v_add_f32_e32 v9, v9, v5
	v_add_f32_e32 v9, v9, v14
	v_cndmask_b32_e64 v8, v56, v10, s[8:9]
	v_cndmask_b32_e64 v8, 0, v8, s[6:7]
	v_ldexp_f32 v10, v18, v19
	v_cmp_ngt_f32_e64 s[6:7], s47, v17
	v_add_f32_e32 v9, v9, v16
	v_add_f32_e32 v9, v9, v6
	v_cndmask_b32_e64 v10, 0, v10, s[6:7]
	v_cmp_nlt_f32_e64 s[6:7], s46, v17
	v_sub_f32_e32 v17, v31, v44
	v_mul_f32_e32 v18, 0x3fb8aa3b, v17
	v_fma_f32 v19, v17, s43, -v18
	v_rndne_f32_e32 v20, v18
	v_fmac_f32_e32 v19, 0x32a5705f, v17
	v_sub_f32_e32 v18, v18, v20
	v_add_f32_e32 v18, v18, v19
	v_exp_f32_e32 v18, v18
	v_cvt_i32_f32_e32 v19, v20
	v_cndmask_b32_e64 v10, v56, v10, s[6:7]
	v_cndmask_b32_e64 v10, 0, v10, s[4:5]
	v_add_f32_e32 v20, v9, v7
	v_mul_f32_e32 v9, v22, v10
	v_ldexp_f32 v10, v18, v19
	v_cmp_ngt_f32_e64 s[4:5], s47, v17
	v_mul_f32_e32 v8, v24, v8
	v_lshlrev_b32_e32 v18, 2, v0
	v_cndmask_b32_e64 v10, 0, v10, s[4:5]
	v_cmp_nlt_f32_e64 s[4:5], s46, v17
	v_add_f32_e32 v17, v20, v8
	v_add_f32_e32 v17, v17, v9
	v_cndmask_b32_e64 v10, v56, v10, s[4:5]
	v_cndmask_b32_e32 v10, 0, v10, vcc
	v_mul_f32_e32 v10, v48, v10
	v_add_f32_e32 v17, v17, v10
	v_add_f32_e32 v17, v17, v28
	;; [unrolled: 1-line block ×6, first 2 shown]
	ds_bpermute_b32 v1, v1, v17
	ds_write2st64_b32 v18, v6, v7 offset0:6 offset1:7
	ds_write2st64_b32 v18, v2, v3 offset1:1
	ds_write2st64_b32 v18, v4, v5 offset0:2 offset1:3
	ds_write2st64_b32 v18, v14, v16 offset0:4 offset1:5
	;; [unrolled: 1-line block ×3, first 2 shown]
	v_cmp_eq_u32_e32 vcc, 0, v0
	ds_write2st64_b32 v18, v10, v28 offset0:10 offset1:11
	ds_write2st64_b32 v18, v11, v12 offset0:12 offset1:13
	;; [unrolled: 1-line block ×3, first 2 shown]
	s_waitcnt lgkmcnt(8)
	v_add_f32_e32 v1, v17, v1
	ds_bpermute_b32 v17, v30, v1
	s_waitcnt lgkmcnt(0)
	v_add_f32_e32 v1, v1, v17
	ds_bpermute_b32 v17, v32, v1
	;; [unrolled: 3-line block ×5, first 2 shown]
	s_and_saveexec_b64 s[4:5], vcc
	s_cbranch_execz .LBB667_8
; %bb.7:
	s_waitcnt lgkmcnt(0)
	v_add_f32_e32 v1, v1, v2
	v_mov_b32_e32 v2, 0
	ds_write_b32 v2, v1 offset:4096
.LBB667_8:
	s_or_b64 exec, exec, s[4:5]
	v_mov_b32_e32 v1, s42
.LBB667_9:
	s_or_b64 exec, exec, s[54:55]
	s_lshl_b32 s4, s56, 7
	s_mov_b32 s5, 0
	s_lshl_b64 s[4:5], s[4:5], 1
	s_add_u32 s4, s40, s4
	s_addc_u32 s5, s41, s5
	s_lshl_b32 s10, s33, 7
	s_add_i32 s11, s10, 0xffffff80
	s_waitcnt lgkmcnt(0)
	v_lshlrev_b32_e32 v2, 7, v1
	v_mov_b32_e32 v3, 0
	s_cmp_lt_i32 s60, 1
	v_lshl_add_u64 v[4:5], v[2:3], 1, s[4:5]
	s_cselect_b32 s4, s11, 0
	v_lshlrev_b32_e32 v2, 1, v0
	s_ashr_i32 s5, s4, 31
	v_lshl_add_u64 v[0:1], v[4:5], 0, v[2:3]
	s_cmpk_lt_i32 s60, 0x101
	v_lshl_add_u64 v[4:5], s[4:5], 1, v[0:1]
	s_cselect_b32 s4, s11, 0x80
	s_ashr_i32 s5, s4, 31
	s_cmpk_lt_i32 s60, 0x201
	v_lshl_add_u64 v[6:7], s[4:5], 1, v[0:1]
	s_cselect_b32 s4, s11, 0x100
	s_ashr_i32 s5, s4, 31
	;; [unrolled: 4-line block ×8, first 2 shown]
	s_cmpk_lt_i32 s60, 0x901
	global_load_ushort v23, v[4:5], off
	global_load_ushort v22, v[6:7], off
	;; [unrolled: 1-line block ×8, first 2 shown]
	v_lshl_add_u64 v[4:5], s[4:5], 1, v[0:1]
	s_cselect_b32 s4, s11, 0x480
	s_ashr_i32 s5, s4, 31
	s_cmpk_lt_i32 s60, 0xa01
	v_lshl_add_u64 v[6:7], s[4:5], 1, v[0:1]
	s_cselect_b32 s4, s11, 0x500
	s_ashr_i32 s5, s4, 31
	s_cmpk_lt_i32 s60, 0xb01
	;; [unrolled: 4-line block ×6, first 2 shown]
	v_lshl_add_u64 v[32:33], s[4:5], 1, v[0:1]
	s_cselect_b32 s4, s11, 0x780
	s_ashr_i32 s5, s4, 31
	v_lshl_add_u64 v[34:35], s[4:5], 1, v[0:1]
	global_load_ushort v30, v[4:5], off
	global_load_ushort v31, v[6:7], off
	;; [unrolled: 1-line block ×8, first 2 shown]
	s_cmpk_gt_i32 s60, 0x1000
	s_cselect_b64 s[8:9], -1, 0
	s_cmpk_lt_i32 s60, 0x1001
	v_mov_b32_e32 v40, 0
	v_mov_b32_e32 v41, 0
	;; [unrolled: 1-line block ×48, first 2 shown]
	s_barrier
	s_cbranch_scc1 .LBB667_12
; %bb.10:
	s_cmpk_lt_u32 s60, 0x1101
	s_cselect_b32 s4, s11, 0x880
	s_ashr_i32 s5, s4, 31
	s_cmpk_lt_u32 s60, 0x1201
	v_lshl_add_u64 v[6:7], s[4:5], 1, v[0:1]
	s_cselect_b32 s4, s11, 0x900
	s_ashr_i32 s5, s4, 31
	s_cmpk_lt_u32 s60, 0x1301
	v_lshl_add_u64 v[8:9], s[4:5], 1, v[0:1]
	;; [unrolled: 4-line block ×7, first 2 shown]
	s_cselect_b32 s4, s11, 0xc00
	v_add_co_u32_e32 v4, vcc, 0x1000, v0
	s_ashr_i32 s5, s4, 31
	s_nop 0
	v_addc_co_u32_e32 v5, vcc, 0, v1, vcc
	s_cmpk_lt_u32 s60, 0x1901
	global_load_ushort v39, v[4:5], off
	global_load_ushort v38, v[6:7], off
	;; [unrolled: 1-line block ×8, first 2 shown]
	v_lshl_add_u64 v[4:5], s[4:5], 1, v[0:1]
	s_cselect_b32 s4, s11, 0xc80
	s_ashr_i32 s5, s4, 31
	s_cmpk_lt_u32 s60, 0x1a01
	v_lshl_add_u64 v[6:7], s[4:5], 1, v[0:1]
	s_cselect_b32 s4, s11, 0xd00
	s_ashr_i32 s5, s4, 31
	s_cmpk_lt_u32 s60, 0x1b01
	;; [unrolled: 4-line block ×6, first 2 shown]
	v_lshl_add_u64 v[48:49], s[4:5], 1, v[0:1]
	s_cselect_b32 s4, s11, 0xf80
	s_ashr_i32 s5, s4, 31
	v_lshl_add_u64 v[50:51], s[4:5], 1, v[0:1]
	global_load_ushort v47, v[4:5], off
	global_load_ushort v46, v[6:7], off
	;; [unrolled: 1-line block ×8, first 2 shown]
	s_cmpk_lt_u32 s60, 0x2001
	v_mov_b32_e32 v67, 0
	v_mov_b32_e32 v65, 0
	;; [unrolled: 1-line block ×32, first 2 shown]
	s_cbranch_scc1 .LBB667_12
; %bb.11:
	s_cmpk_lt_u32 s60, 0x2101
	s_cselect_b32 s4, s11, 0x1080
	s_ashr_i32 s5, s4, 31
	s_cmpk_lt_u32 s60, 0x2201
	v_lshl_add_u64 v[4:5], s[4:5], 1, v[0:1]
	s_cselect_b32 s4, s11, 0x1100
	s_ashr_i32 s5, s4, 31
	s_cmpk_lt_u32 s60, 0x2301
	v_lshl_add_u64 v[6:7], s[4:5], 1, v[0:1]
	;; [unrolled: 4-line block ×29, first 2 shown]
	s_cselect_b32 s4, s11, 0x1f00
	s_ashr_i32 s5, s4, 31
	v_lshl_add_u64 v[94:95], s[4:5], 1, v[0:1]
	s_movk_i32 s4, 0x2000
	s_cmpk_lt_u32 s60, 0x3f01
	v_add_co_u32_e32 v96, vcc, s4, v0
	s_cselect_b32 s4, s11, 0x1f80
	s_nop 0
	v_addc_co_u32_e32 v97, vcc, 0, v1, vcc
	s_ashr_i32 s5, s4, 31
	global_load_ushort v98, v[96:97], off
	global_load_ushort v99, v[4:5], off
	;; [unrolled: 1-line block ×15, first 2 shown]
                                        ; kill: killed $vgpr58_vgpr59
                                        ; kill: killed $vgpr10_vgpr11
                                        ; kill: killed $vgpr48_vgpr49
                                        ; kill: killed $vgpr54_vgpr55
                                        ; kill: killed $vgpr6_vgpr7
                                        ; kill: killed $vgpr60_vgpr61
                                        ; kill: killed $vgpr12_vgpr13
                                        ; kill: killed $vgpr50_vgpr51
                                        ; kill: killed $vgpr56_vgpr57
                                        ; kill: killed $vgpr8_vgpr9
                                        ; kill: killed $vgpr62_vgpr63
                                        ; kill: killed $vgpr14_vgpr15
                                        ; kill: killed $vgpr96 killed $vgpr97
                                        ; kill: killed $vgpr52_vgpr53
                                        ; kill: killed $vgpr4_vgpr5
	global_load_ushort v6, v[64:65], off
	global_load_ushort v7, v[66:67], off
	global_load_ushort v8, v[68:69], off
	global_load_ushort v9, v[70:71], off
	global_load_ushort v10, v[72:73], off
	global_load_ushort v11, v[82:83], off
	global_load_ushort v13, v[80:81], off
	global_load_ushort v12, v[78:79], off
	global_load_ushort v15, v[76:77], off
	global_load_ushort v14, v[74:75], off
	global_load_ushort v96, v[84:85], off
	global_load_ushort v97, v[94:95], off
	global_load_ushort v113, v[92:93], off
	global_load_ushort v114, v[90:91], off
	global_load_ushort v115, v[88:89], off
                                        ; kill: killed $vgpr90_vgpr91
                                        ; kill: killed $vgpr74_vgpr75
                                        ; kill: killed $vgpr80_vgpr81
                                        ; kill: killed $vgpr64_vgpr65
                                        ; kill: killed $vgpr70_vgpr71
                                        ; kill: killed $vgpr92_vgpr93
                                        ; kill: killed $vgpr76_vgpr77
                                        ; kill: killed $vgpr82_vgpr83
                                        ; kill: killed $vgpr66_vgpr67
                                        ; kill: killed $vgpr88_vgpr89
                                        ; kill: killed $vgpr72_vgpr73
                                        ; kill: killed $vgpr94_vgpr95
                                        ; kill: killed $vgpr78_vgpr79
                                        ; kill: killed $vgpr84_vgpr85
                                        ; kill: killed $vgpr68_vgpr69
	global_load_ushort v68, v[86:87], off
	v_lshl_add_u64 v[4:5], s[4:5], 1, v[0:1]
	global_load_ushort v5, v[4:5], off
	s_waitcnt vmcnt(31)
	v_lshlrev_b32_e32 v67, 16, v98
	s_waitcnt vmcnt(30)
	v_lshlrev_b32_e32 v65, 16, v99
	;; [unrolled: 2-line block ×32, first 2 shown]
.LBB667_12:
	s_load_dwordx2 s[4:5], s[0:1], 0x0
	s_load_dwordx2 s[6:7], s[0:1], 0x38
	ds_read_b128 v[68:71], v3
	s_waitcnt vmcnt(15)
	v_lshlrev_b32_e32 v23, 16, v23
	ds_read_b128 v[72:75], v3 offset:16
	ds_read_b128 v[76:79], v3 offset:32
	;; [unrolled: 1-line block ×3, first 2 shown]
	s_waitcnt vmcnt(14)
	v_lshlrev_b32_e32 v22, 16, v22
	s_waitcnt vmcnt(13)
	v_lshlrev_b32_e32 v21, 16, v21
	s_waitcnt lgkmcnt(0)
	v_fma_f32 v23, v68, v23, 0
	v_fmac_f32_e32 v23, v69, v22
	v_fmac_f32_e32 v23, v70, v21
	s_waitcnt vmcnt(12)
	v_lshlrev_b32_e32 v20, 16, v20
	s_waitcnt vmcnt(10)
	v_lshlrev_b32_e32 v19, 16, v19
	v_lshlrev_b32_e32 v18, 16, v18
	v_fmac_f32_e32 v23, v71, v20
	v_pk_mul_f32 v[18:19], v[72:73], v[18:19]
	s_waitcnt vmcnt(8)
	v_lshlrev_b32_e32 v17, 16, v17
	v_add_f32_e32 v18, v23, v18
	v_lshlrev_b32_e32 v16, 16, v16
	v_add_f32_e32 v18, v18, v19
	v_pk_mul_f32 v[16:17], v[74:75], v[16:17]
	s_and_b64 vcc, exec, s[8:9]
	v_add_f32_e32 v16, v18, v16
	v_add_f32_e32 v18, v16, v17
	s_waitcnt vmcnt(6)
	v_lshlrev_b32_e32 v17, 16, v31
	v_lshlrev_b32_e32 v16, 16, v30
	v_pk_mul_f32 v[16:17], v[76:77], v[16:17]
	s_nop 0
	v_add_f32_e32 v16, v18, v16
	v_add_f32_e32 v18, v16, v17
	s_waitcnt vmcnt(4)
	v_lshlrev_b32_e32 v17, 16, v29
	v_lshlrev_b32_e32 v16, 16, v28
	v_pk_mul_f32 v[16:17], v[78:79], v[16:17]
	s_nop 0
	;; [unrolled: 7-line block ×4, first 2 shown]
	v_add_f32_e32 v16, v18, v16
	v_add_f32_e32 v110, v16, v17
	s_cbranch_vccz .LBB667_15
; %bb.13:
	ds_read_b128 v[16:19], v3 offset:64
	v_lshlrev_b32_e32 v39, 16, v39
	ds_read_b128 v[20:23], v3 offset:80
	ds_read_b128 v[24:27], v3 offset:96
	;; [unrolled: 1-line block ×3, first 2 shown]
	v_lshlrev_b32_e32 v3, 16, v38
	s_cmpk_lt_u32 s60, 0x2001
	s_waitcnt lgkmcnt(3)
	v_fmac_f32_e32 v110, v16, v39
	v_fmac_f32_e32 v110, v17, v3
	v_lshlrev_b32_e32 v3, 16, v37
	v_fmac_f32_e32 v110, v18, v3
	v_lshlrev_b32_e32 v3, 16, v36
	v_fmac_f32_e32 v110, v19, v3
	v_lshlrev_b32_e32 v3, 16, v35
	s_waitcnt lgkmcnt(2)
	v_fmac_f32_e32 v110, v20, v3
	v_lshlrev_b32_e32 v3, 16, v34
	v_fmac_f32_e32 v110, v21, v3
	v_lshlrev_b32_e32 v3, 16, v33
	v_fmac_f32_e32 v110, v22, v3
	v_lshlrev_b32_e32 v3, 16, v32
	v_fmac_f32_e32 v110, v23, v3
	v_lshlrev_b32_e32 v3, 16, v47
	s_waitcnt lgkmcnt(1)
	v_fmac_f32_e32 v110, v24, v3
	v_lshlrev_b32_e32 v3, 16, v46
	;; [unrolled: 9-line block ×3, first 2 shown]
	v_fmac_f32_e32 v110, v29, v3
	v_lshlrev_b32_e32 v3, 16, v41
	v_fmac_f32_e32 v110, v30, v3
	v_lshlrev_b32_e32 v3, 16, v40
	v_fmac_f32_e32 v110, v31, v3
	s_cbranch_scc1 .LBB667_15
; %bb.14:
	v_mov_b32_e32 v3, 0
	ds_read_b128 v[16:19], v3 offset:128
	ds_read_b128 v[20:23], v3 offset:144
	;; [unrolled: 1-line block ×4, first 2 shown]
	s_waitcnt lgkmcnt(3)
	v_fmac_f32_e32 v110, v16, v67
	v_fmac_f32_e32 v110, v17, v65
	v_fmac_f32_e32 v110, v18, v66
	v_fmac_f32_e32 v110, v19, v63
	s_waitcnt lgkmcnt(2)
	v_fmac_f32_e32 v110, v20, v64
	v_fmac_f32_e32 v110, v21, v61
	v_fmac_f32_e32 v110, v22, v62
	v_fmac_f32_e32 v110, v23, v59
	;; [unrolled: 5-line block ×3, first 2 shown]
	ds_read_b128 v[16:19], v3 offset:192
	ds_read_b128 v[20:23], v3 offset:208
	s_waitcnt lgkmcnt(2)
	v_fmac_f32_e32 v110, v28, v56
	v_fmac_f32_e32 v110, v29, v53
	;; [unrolled: 1-line block ×4, first 2 shown]
	s_waitcnt lgkmcnt(1)
	v_fmac_f32_e32 v110, v16, v51
	v_fmac_f32_e32 v110, v17, v49
	;; [unrolled: 1-line block ×4, first 2 shown]
	s_waitcnt lgkmcnt(0)
	v_pk_mul_f32 v[14:15], v[20:21], v[14:15]
	v_pk_mul_f32 v[12:13], v[22:23], v[12:13]
	v_add_f32_e32 v14, v110, v14
	v_add_f32_e32 v18, v14, v15
	ds_read_b128 v[14:17], v3 offset:224
	v_add_f32_e32 v12, v18, v12
	ds_read_b128 v[18:21], v3 offset:240
	v_add_f32_e32 v12, v12, v13
	s_waitcnt lgkmcnt(1)
	v_pk_mul_f32 v[10:11], v[14:15], v[10:11]
	s_nop 0
	v_add_f32_e32 v3, v12, v10
	v_add_f32_e32 v3, v3, v11
	v_pk_mul_f32 v[8:9], v[16:17], v[8:9]
	s_waitcnt lgkmcnt(0)
	v_pk_mul_f32 v[6:7], v[18:19], v[6:7]
	v_add_f32_e32 v3, v3, v8
	v_add_f32_e32 v3, v3, v9
	;; [unrolled: 1-line block ×4, first 2 shown]
	v_pk_mul_f32 v[4:5], v[20:21], v[4:5]
	s_nop 0
	v_add_f32_e32 v3, v3, v4
	v_add_f32_e32 v110, v3, v5
.LBB667_15:
	s_movk_i32 s0, 0x3f80
	s_movk_i32 s1, 0x100
	s_mov_b32 s8, 64
	s_branch .LBB667_17
.LBB667_16:                             ;   in Loop: Header=BB667_17 Depth=1
	s_addk_i32 s0, 0x2000
	s_addk_i32 s1, 0x100
	s_add_i32 s8, s8, 64
	s_cmp_eq_u32 s0, 0x21f80
	s_cbranch_scc1 .LBB667_19
.LBB667_17:                             ; =>This Inner Loop Header: Depth=1
	s_cmp_le_i32 s33, s8
	s_cbranch_scc1 .LBB667_16
; %bb.18:                               ;   in Loop: Header=BB667_17 Depth=1
	s_add_i32 s9, s0, 0xffffe080
	s_cmp_lt_i32 s9, s10
	s_cselect_b32 s12, s9, s11
	s_ashr_i32 s13, s12, 31
	s_add_i32 s9, s0, 0xffffe100
	s_cmp_lt_i32 s9, s10
	v_lshl_add_u64 v[42:43], s[12:13], 1, v[0:1]
	s_cselect_b32 s12, s9, s11
	s_ashr_i32 s13, s12, 31
	s_add_i32 s9, s0, 0xffffe180
	s_cmp_lt_i32 s9, s10
	v_lshl_add_u64 v[4:5], s[12:13], 1, v[0:1]
	;; [unrolled: 5-line block ×25, first 2 shown]
	s_cselect_b32 s12, s9, s11
	s_ashr_i32 s13, s12, 31
	s_add_i32 s9, s0, 0xffffed80
	s_cmp_lt_i32 s9, s10
	global_load_ushort v3, v[42:43], off
	global_load_ushort v120, v[44:45], off
	v_lshl_add_u64 v[18:19], s[12:13], 1, v[0:1]
	s_cselect_b32 s12, s9, s11
	global_load_ushort v111, v[4:5], off
	global_load_ushort v112, v[6:7], off
	;; [unrolled: 1-line block ×8, first 2 shown]
	s_ashr_i32 s13, s12, 31
	s_add_i32 s9, s0, 0xffffee00
	s_cmp_lt_i32 s9, s10
	v_lshl_add_u64 v[20:21], s[12:13], 1, v[0:1]
	s_cselect_b32 s12, s9, s11
	s_ashr_i32 s13, s12, 31
	s_add_i32 s9, s0, 0xffffee80
	s_cmp_lt_i32 s9, s10
	v_lshl_add_u64 v[38:39], s[12:13], 1, v[0:1]
	s_cselect_b32 s12, s9, s11
	s_ashr_i32 s13, s12, 31
	s_add_i32 s9, s0, 0xffffef00
	s_cmp_lt_i32 s9, s10
	global_load_ushort v119, v[28:29], off
	v_lshl_add_u64 v[40:41], s[12:13], 1, v[0:1]
	s_cselect_b32 s12, s9, s11
	s_ashr_i32 s13, s12, 31
	s_add_i32 s9, s0, 0xffffef80
	global_load_ushort v121, v[54:55], off
	global_load_ushort v122, v[56:57], off
	s_cmp_lt_i32 s9, s10
	global_load_ushort v58, v[58:59], off
	v_lshl_add_u64 v[50:51], s[12:13], 1, v[0:1]
	s_cselect_b32 s12, s9, s11
	s_ashr_i32 s13, s12, 31
	s_add_i32 s9, s0, 0xfffff000
	s_cmp_lt_i32 s9, s10
	v_lshl_add_u64 v[52:53], s[12:13], 1, v[0:1]
	s_cselect_b32 s12, s9, s11
	s_ashr_i32 s13, s12, 31
	s_add_i32 s9, s0, 0xfffff080
	global_load_ushort v59, v[60:61], off
	s_cmp_lt_i32 s9, s10
	global_load_ushort v60, v[66:67], off
	global_load_ushort v61, v[62:63], off
	v_lshl_add_u64 v[64:65], s[12:13], 1, v[0:1]
	s_cselect_b32 s12, s9, s11
	s_ashr_i32 s13, s12, 31
	s_add_i32 s9, s0, 0xfffff100
	s_cmp_lt_i32 s9, s10
	v_lshl_add_u64 v[68:69], s[12:13], 1, v[0:1]
	s_cselect_b32 s12, s9, s11
	s_ashr_i32 s13, s12, 31
	s_add_i32 s9, s0, 0xfffff180
	s_cmp_lt_i32 s9, s10
	;; [unrolled: 5-line block ×3, first 2 shown]
	global_load_ushort v62, v[24:25], off
	v_lshl_add_u64 v[72:73], s[12:13], 1, v[0:1]
	s_cselect_b32 s12, s9, s11
	global_load_ushort v66, v[30:31], off
	global_load_ushort v123, v[32:33], off
	;; [unrolled: 1-line block ×4, first 2 shown]
	s_ashr_i32 s13, s12, 31
	s_add_i32 s9, s0, 0xfffff280
	s_cmp_lt_i32 s9, s10
	global_load_ushort v67, v[46:47], off
	v_lshl_add_u64 v[74:75], s[12:13], 1, v[0:1]
	s_cselect_b32 s12, s9, s11
	s_ashr_i32 s13, s12, 31
	s_add_i32 s9, s0, 0xfffff300
	s_cmp_lt_i32 s9, s10
	v_lshl_add_u64 v[76:77], s[12:13], 1, v[0:1]
	s_cselect_b32 s12, s9, s11
	s_ashr_i32 s13, s12, 31
	s_add_i32 s9, s0, 0xfffff380
	s_cmp_lt_i32 s9, s10
	v_mov_b32_e32 v124, s1
	v_lshl_add_u64 v[78:79], s[12:13], 1, v[0:1]
	s_cselect_b32 s12, s9, s11
	ds_read_b128 v[28:31], v124
	ds_read_b128 v[32:35], v124 offset:16
	global_load_ushort v48, v[48:49], off
	s_ashr_i32 s13, s12, 31
	s_add_i32 s9, s0, 0xfffff400
	s_cmp_lt_i32 s9, s10
	v_lshl_add_u64 v[80:81], s[12:13], 1, v[0:1]
	s_cselect_b32 s12, s9, s11
	ds_read_b128 v[44:47], v124 offset:32
	ds_read_b128 v[54:57], v124 offset:48
	global_load_ushort v36, v[36:37], off
	s_ashr_i32 s13, s12, 31
	v_lshl_add_u64 v[82:83], s[12:13], 1, v[0:1]
	global_load_ushort v49, v[82:83], off
	global_load_ushort v37, v[18:19], off
	s_add_i32 s9, s0, 0xfffff480
	s_cmp_lt_i32 s9, s10
	s_cselect_b32 s12, s9, s11
	s_ashr_i32 s13, s12, 31
	s_add_i32 s9, s0, 0xfffff500
	s_cmp_lt_i32 s9, s10
	v_lshl_add_u64 v[84:85], s[12:13], 1, v[0:1]
	s_cselect_b32 s12, s9, s11
	s_ashr_i32 s13, s12, 31
	s_add_i32 s9, s0, 0xfffff580
	s_cmp_lt_i32 s9, s10
	v_lshl_add_u64 v[86:87], s[12:13], 1, v[0:1]
	s_cselect_b32 s12, s9, s11
	s_ashr_i32 s13, s12, 31
	s_add_i32 s9, s0, 0xfffff600
	s_cmp_lt_i32 s9, s10
	v_lshl_add_u64 v[88:89], s[12:13], 1, v[0:1]
	s_cselect_b32 s12, s9, s11
	s_ashr_i32 s13, s12, 31
	s_add_i32 s9, s0, 0xfffff680
	s_cmp_lt_i32 s9, s10
	v_lshl_add_u64 v[90:91], s[12:13], 1, v[0:1]
	s_cselect_b32 s12, s9, s11
	s_ashr_i32 s13, s12, 31
	s_add_i32 s9, s0, 0xfffff700
	s_cmp_lt_i32 s9, s10
	v_lshl_add_u64 v[92:93], s[12:13], 1, v[0:1]
	s_cselect_b32 s12, s9, s11
	s_ashr_i32 s13, s12, 31
	s_add_i32 s9, s0, 0xfffff780
	s_cmp_lt_i32 s9, s10
	v_lshl_add_u64 v[94:95], s[12:13], 1, v[0:1]
	s_cselect_b32 s12, s9, s11
	s_ashr_i32 s13, s12, 31
	s_add_i32 s9, s0, 0xfffff800
	s_cmp_lt_i32 s9, s10
	v_lshl_add_u64 v[96:97], s[12:13], 1, v[0:1]
	s_cselect_b32 s12, s9, s11
	s_ashr_i32 s13, s12, 31
	s_add_i32 s9, s0, 0xfffff880
	s_waitcnt vmcnt(26)
	v_lshlrev_b32_e32 v3, 16, v3
	s_cmp_lt_i32 s9, s10
	s_waitcnt lgkmcnt(3)
	v_fmac_f32_e32 v110, v28, v3
	s_waitcnt vmcnt(24)
	v_lshlrev_b32_e32 v3, 16, v111
	v_lshl_add_u64 v[100:101], s[12:13], 1, v[0:1]
	s_cselect_b32 s12, s9, s11
	v_fmac_f32_e32 v110, v29, v3
	s_waitcnt vmcnt(23)
	v_lshlrev_b32_e32 v3, 16, v112
	s_ashr_i32 s13, s12, 31
	s_add_i32 s9, s0, 0xfffff900
	v_fmac_f32_e32 v110, v30, v3
	s_waitcnt vmcnt(22)
	v_lshlrev_b32_e32 v3, 16, v113
	s_cmp_lt_i32 s9, s10
	v_fmac_f32_e32 v110, v31, v3
	s_waitcnt vmcnt(21)
	v_lshlrev_b32_e32 v3, 16, v114
	v_lshl_add_u64 v[102:103], s[12:13], 1, v[0:1]
	s_cselect_b32 s12, s9, s11
	s_waitcnt lgkmcnt(2)
	v_fmac_f32_e32 v110, v32, v3
	global_load_ushort v3, v[20:21], off
	global_load_ushort v32, v[38:39], off
	s_waitcnt vmcnt(22)
	v_lshlrev_b32_e32 v18, 16, v115
	s_ashr_i32 s13, s12, 31
	s_add_i32 s9, s0, 0xfffff980
	v_fmac_f32_e32 v110, v33, v18
	s_waitcnt vmcnt(21)
	v_lshlrev_b32_e32 v18, 16, v116
	s_cmp_lt_i32 s9, s10
	v_fmac_f32_e32 v110, v34, v18
	s_waitcnt vmcnt(20)
	v_lshlrev_b32_e32 v18, 16, v117
	v_lshl_add_u64 v[104:105], s[12:13], 1, v[0:1]
	s_cselect_b32 s12, s9, s11
	global_load_ushort v33, v[40:41], off
	global_load_ushort v34, v[50:51], off
	v_fmac_f32_e32 v110, v35, v18
	global_load_ushort v35, v[52:53], off
	global_load_ushort v38, v[64:65], off
	;; [unrolled: 1-line block ×3, first 2 shown]
	s_waitcnt vmcnt(24)
	v_lshlrev_b32_e32 v18, 16, v118
	s_ashr_i32 s13, s12, 31
	s_add_i32 s9, s0, 0xfffffa00
	s_waitcnt lgkmcnt(1)
	v_fmac_f32_e32 v110, v44, v18
	global_load_ushort v44, v[74:75], off
	s_waitcnt vmcnt(24)
	v_lshlrev_b32_e32 v18, 16, v119
	s_cmp_lt_i32 s9, s10
	v_fmac_f32_e32 v110, v45, v18
	v_lshlrev_b32_e32 v18, 16, v120
	v_lshl_add_u64 v[106:107], s[12:13], 1, v[0:1]
	s_cselect_b32 s12, s9, s11
	v_fmac_f32_e32 v110, v46, v18
	global_load_ushort v46, v[78:79], off
	s_waitcnt vmcnt(24)
	v_lshlrev_b32_e32 v18, 16, v121
	s_ashr_i32 s13, s12, 31
	s_add_i32 s9, s0, 0xfffffa80
	v_fmac_f32_e32 v110, v47, v18
	s_waitcnt vmcnt(23)
	v_lshlrev_b32_e32 v18, 16, v122
	s_cmp_lt_i32 s9, s10
	s_waitcnt lgkmcnt(0)
	v_fmac_f32_e32 v110, v54, v18
	global_load_ushort v54, v[90:91], off
	global_load_ushort v40, v[70:71], off
	;; [unrolled: 1-line block ×8, first 2 shown]
	v_lshl_add_u64 v[98:99], s[12:13], 1, v[0:1]
	s_cselect_b32 s12, s9, s11
	s_ashr_i32 s13, s12, 31
	s_add_i32 s9, s0, 0xfffffb00
	s_cmp_lt_i32 s9, s10
	s_waitcnt vmcnt(30)
	v_lshlrev_b32_e32 v18, 16, v58
	v_lshl_add_u64 v[42:43], s[12:13], 1, v[0:1]
	s_cselect_b32 s12, s9, s11
	v_fmac_f32_e32 v110, v55, v18
	s_waitcnt vmcnt(29)
	v_lshlrev_b32_e32 v18, 16, v59
	s_ashr_i32 s13, s12, 31
	s_add_i32 s9, s0, 0xfffffb80
	v_fmac_f32_e32 v110, v56, v18
	s_waitcnt vmcnt(28)
	v_lshlrev_b32_e32 v18, 16, v60
	s_cmp_lt_i32 s9, s10
	v_fmac_f32_e32 v110, v57, v18
	ds_read_b128 v[18:21], v124 offset:64
	ds_read_b128 v[28:31], v124 offset:80
	v_lshl_add_u64 v[108:109], s[12:13], 1, v[0:1]
	s_cselect_b32 s12, s9, s11
	s_ashr_i32 s13, s12, 31
	s_add_i32 s9, s0, 0xfffffc00
	s_cmp_lt_i32 s9, s10
	v_lshl_add_u64 v[4:5], s[12:13], 1, v[0:1]
	s_cselect_b32 s12, s9, s11
	s_waitcnt vmcnt(27)
	v_lshlrev_b32_e32 v52, 16, v61
	s_ashr_i32 s13, s12, 31
	s_add_i32 s9, s0, 0xfffffc80
	s_waitcnt lgkmcnt(1)
	v_fmac_f32_e32 v110, v18, v52
	global_load_ushort v52, v[92:93], off
	s_cmp_lt_i32 s9, s10
	global_load_ushort v55, v[94:95], off
	global_load_ushort v56, v[96:97], off
	;; [unrolled: 1-line block ×5, first 2 shown]
	v_lshl_add_u64 v[6:7], s[12:13], 1, v[0:1]
	s_cselect_b32 s12, s9, s11
	s_ashr_i32 s13, s12, 31
	s_add_i32 s9, s0, 0xfffffd00
	s_waitcnt vmcnt(32)
	v_lshlrev_b32_e32 v18, 16, v62
	s_cmp_lt_i32 s9, s10
	v_fmac_f32_e32 v110, v19, v18
	s_waitcnt vmcnt(28)
	v_lshlrev_b32_e32 v18, 16, v63
	v_lshl_add_u64 v[8:9], s[12:13], 1, v[0:1]
	s_cselect_b32 s12, s9, s11
	v_fmac_f32_e32 v110, v20, v18
	v_lshlrev_b32_e32 v18, 16, v66
	s_ashr_i32 s13, s12, 31
	s_add_i32 s9, s0, 0xfffffd80
	v_fmac_f32_e32 v110, v21, v18
	s_waitcnt vmcnt(27)
	v_lshlrev_b32_e32 v18, 16, v67
	s_cmp_lt_i32 s9, s10
	s_waitcnt lgkmcnt(0)
	v_fmac_f32_e32 v110, v28, v18
	global_load_ushort v28, v[106:107], off
	v_lshl_add_u64 v[12:13], s[12:13], 1, v[0:1]
	s_cselect_b32 s12, s9, s11
	global_load_ushort v60, v[98:99], off
	global_load_ushort v61, v[42:43], off
	;; [unrolled: 1-line block ×3, first 2 shown]
	s_ashr_i32 s13, s12, 31
	s_add_i32 s9, s0, 0xfffffe00
	v_lshlrev_b32_e32 v18, 16, v123
	s_cmp_lt_i32 s9, s10
	v_fmac_f32_e32 v110, v29, v18
	v_lshlrev_b32_e32 v18, 16, v125
	v_lshl_add_u64 v[10:11], s[12:13], 1, v[0:1]
	s_cselect_b32 s12, s9, s11
	v_fmac_f32_e32 v110, v30, v18
	global_load_ushort v29, v[4:5], off
	global_load_ushort v30, v[6:7], off
	s_ashr_i32 s13, s12, 31
	s_add_i32 s9, s0, 0xfffffe80
	s_cmp_lt_i32 s9, s10
	s_waitcnt vmcnt(32)
	v_lshlrev_b32_e32 v4, 16, v48
	v_lshl_add_u64 v[22:23], s[12:13], 1, v[0:1]
	s_cselect_b32 s12, s9, s11
	v_fmac_f32_e32 v110, v31, v4
	ds_read_b128 v[4:7], v124 offset:96
	s_ashr_i32 s13, s12, 31
	s_add_i32 s9, s0, 0xffffff00
	s_cmp_lt_i32 s9, s10
	s_waitcnt vmcnt(31)
	v_lshlrev_b32_e32 v31, 16, v36
	global_load_ushort v36, v[8:9], off
	global_load_ushort v42, v[12:13], off
	v_lshl_add_u64 v[14:15], s[12:13], 1, v[0:1]
	s_cselect_b32 s12, s9, s11
	s_ashr_i32 s13, s12, 31
	s_add_i32 s9, s0, 0xffffff80
	s_cmp_lt_i32 s9, s10
	ds_read_b128 v[18:21], v124 offset:112
	s_waitcnt lgkmcnt(1)
	v_fmac_f32_e32 v110, v4, v31
	s_waitcnt vmcnt(31)
	v_lshlrev_b32_e32 v4, 16, v37
	global_load_ushort v31, v[10:11], off
	global_load_ushort v37, v[22:23], off
	v_lshl_add_u64 v[24:25], s[12:13], 1, v[0:1]
	s_cselect_b32 s12, s9, s11
	s_ashr_i32 s13, s12, 31
	s_cmp_lt_i32 s0, s10
	global_load_ushort v22, v[14:15], off
	global_load_ushort v23, v[24:25], off
	v_lshl_add_u64 v[16:17], s[12:13], 1, v[0:1]
	s_cselect_b32 s12, s0, s11
	s_ashr_i32 s13, s12, 31
	v_lshl_add_u64 v[26:27], s[12:13], 1, v[0:1]
	global_load_ushort v14, v[16:17], off
	global_load_ushort v15, v[26:27], off
	v_fmac_f32_e32 v110, v5, v4
	s_waitcnt vmcnt(36)
	v_lshlrev_b32_e32 v3, 16, v3
	v_fmac_f32_e32 v110, v6, v3
	s_waitcnt vmcnt(35)
	v_lshlrev_b32_e32 v3, 16, v32
	;; [unrolled: 3-line block ×3, first 2 shown]
	ds_read_b128 v[4:7], v124 offset:128
	ds_read_b128 v[8:11], v124 offset:144
	s_waitcnt lgkmcnt(2)
	v_fmac_f32_e32 v110, v18, v3
	s_waitcnt vmcnt(33)
	v_lshlrev_b32_e32 v3, 16, v34
	v_fmac_f32_e32 v110, v19, v3
	s_waitcnt vmcnt(32)
	v_lshlrev_b32_e32 v3, 16, v35
	;; [unrolled: 3-line block ×4, first 2 shown]
	s_waitcnt lgkmcnt(1)
	v_fmac_f32_e32 v110, v4, v3
	s_waitcnt vmcnt(26)
	v_lshlrev_b32_e32 v3, 16, v40
	v_fmac_f32_e32 v110, v5, v3
	s_waitcnt vmcnt(25)
	v_lshlrev_b32_e32 v3, 16, v41
	v_fmac_f32_e32 v110, v6, v3
	v_lshlrev_b32_e32 v3, 16, v44
	v_fmac_f32_e32 v110, v7, v3
	s_waitcnt vmcnt(24)
	v_lshlrev_b32_e32 v3, 16, v45
	ds_read_b128 v[4:7], v124 offset:160
	s_waitcnt lgkmcnt(1)
	v_fmac_f32_e32 v110, v8, v3
	v_lshlrev_b32_e32 v3, 16, v46
	v_fmac_f32_e32 v110, v9, v3
	s_waitcnt vmcnt(23)
	v_lshlrev_b32_e32 v3, 16, v47
	v_fmac_f32_e32 v110, v10, v3
	v_lshlrev_b32_e32 v3, 16, v49
	v_fmac_f32_e32 v110, v11, v3
	ds_read_b128 v[8:11], v124 offset:176
	s_waitcnt vmcnt(22)
	v_lshlrev_b32_e32 v3, 16, v50
	s_waitcnt lgkmcnt(1)
	v_fmac_f32_e32 v110, v4, v3
	s_waitcnt vmcnt(21)
	v_lshlrev_b32_e32 v3, 16, v51
	v_fmac_f32_e32 v110, v5, v3
	s_waitcnt vmcnt(20)
	v_lshlrev_b32_e32 v3, 16, v53
	v_fmac_f32_e32 v110, v6, v3
	v_lshlrev_b32_e32 v3, 16, v54
	v_fmac_f32_e32 v110, v7, v3
	s_waitcnt vmcnt(19)
	v_lshlrev_b32_e32 v3, 16, v52
	s_waitcnt lgkmcnt(0)
	v_fmac_f32_e32 v110, v8, v3
	s_waitcnt vmcnt(18)
	v_lshlrev_b32_e32 v3, 16, v55
	ds_read_b128 v[4:7], v124 offset:192
	v_fmac_f32_e32 v110, v9, v3
	s_waitcnt vmcnt(17)
	v_lshlrev_b32_e32 v3, 16, v56
	v_fmac_f32_e32 v110, v10, v3
	s_waitcnt vmcnt(16)
	v_lshlrev_b32_e32 v3, 16, v57
	v_fmac_f32_e32 v110, v11, v3
	ds_read_b128 v[8:11], v124 offset:208
	s_waitcnt vmcnt(15)
	v_lshlrev_b32_e32 v3, 16, v58
	s_waitcnt lgkmcnt(1)
	v_fmac_f32_e32 v110, v4, v3
	s_waitcnt vmcnt(14)
	v_lshlrev_b32_e32 v3, 16, v59
	v_fmac_f32_e32 v110, v5, v3
	s_waitcnt vmcnt(13)
	v_lshlrev_b32_e32 v3, 16, v28
	;; [unrolled: 3-line block ×3, first 2 shown]
	s_waitcnt vmcnt(10)
	v_lshlrev_b32_e32 v5, 16, v62
	v_lshlrev_b32_e32 v4, 16, v61
	v_fmac_f32_e32 v110, v7, v3
	s_waitcnt lgkmcnt(0)
	v_pk_mul_f32 v[4:5], v[8:9], v[4:5]
	s_waitcnt vmcnt(6)
	v_lshlrev_b32_e32 v13, 16, v42
	v_add_f32_e32 v3, v110, v4
	v_add_f32_e32 v3, v3, v5
	v_lshlrev_b32_e32 v5, 16, v30
	v_lshlrev_b32_e32 v4, 16, v29
	v_pk_mul_f32 v[8:9], v[10:11], v[4:5]
	ds_read_b128 v[4:7], v124 offset:224
	v_add_f32_e32 v3, v3, v8
	v_lshlrev_b32_e32 v12, 16, v36
	v_add_f32_e32 v3, v3, v9
	ds_read_b128 v[8:11], v124 offset:240
	s_waitcnt lgkmcnt(1)
	v_pk_mul_f32 v[4:5], v[4:5], v[12:13]
	s_nop 0
	v_add_f32_e32 v3, v3, v4
	v_add_f32_e32 v3, v3, v5
	s_waitcnt vmcnt(4)
	v_lshlrev_b32_e32 v5, 16, v37
	v_lshlrev_b32_e32 v4, 16, v31
	v_pk_mul_f32 v[4:5], v[6:7], v[4:5]
	s_nop 0
	v_add_f32_e32 v3, v3, v4
	v_add_f32_e32 v3, v3, v5
	s_waitcnt vmcnt(2)
	v_lshlrev_b32_e32 v5, 16, v23
	v_lshlrev_b32_e32 v4, 16, v22
	s_waitcnt lgkmcnt(0)
	v_pk_mul_f32 v[4:5], v[8:9], v[4:5]
	s_nop 0
	v_add_f32_e32 v3, v3, v4
	v_add_f32_e32 v3, v3, v5
	s_waitcnt vmcnt(1)
	v_lshlrev_b32_e32 v4, 16, v14
	s_waitcnt vmcnt(0)
	v_lshlrev_b32_e32 v5, 16, v15
	v_pk_mul_f32 v[4:5], v[10:11], v[4:5]
	s_nop 0
	v_add_f32_e32 v3, v3, v4
	v_add_f32_e32 v110, v3, v5
	s_branch .LBB667_16
.LBB667_19:
	v_mov_b32_e32 v0, 0
	ds_read_b32 v0, v0 offset:4096
	s_cmp_lg_u64 s[6:7], 0
	s_cbranch_scc0 .LBB667_28
; %bb.20:
	s_load_dword s6, s[6:7], 0x0
	s_waitcnt lgkmcnt(0)
	v_div_scale_f32 v1, s[0:1], s6, s6, 1.0
	v_rcp_f32_e32 v3, v1
	v_div_scale_f32 v4, vcc, 1.0, s6, 1.0
	v_fma_f32 v5, -v1, v3, 1.0
	v_fmac_f32_e32 v3, v5, v3
	v_mul_f32_e32 v5, v4, v3
	v_fma_f32 v6, -v1, v5, v4
	v_fmac_f32_e32 v5, v6, v3
	v_fma_f32 v1, -v1, v5, v4
	v_div_fmas_f32 v1, v1, v3, v5
	v_div_fixup_f32 v1, v1, s6, 1.0
	s_andn2_b64 vcc, exec, s[50:51]
	s_cbranch_vccnz .LBB667_22
.LBB667_21:
	s_add_u32 s0, s48, s52
	s_addc_u32 s1, s49, s53
	s_load_dword s38, s[0:1], 0x0
	s_mov_b32 s39, 0
.LBB667_22:
	s_waitcnt lgkmcnt(0)
	v_add_f32_e32 v0, 0x358637bd, v0
	v_div_scale_f32 v3, s[0:1], v0, v0, 1.0
	v_rcp_f32_e32 v4, v3
	v_div_scale_f32 v5, vcc, 1.0, v0, 1.0
	s_mov_b32 s0, 0x7f800000
	v_fma_f32 v6, -v3, v4, 1.0
	v_fmac_f32_e32 v4, v6, v4
	v_mul_f32_e32 v6, v5, v4
	v_fma_f32 v7, -v3, v6, v5
	v_fmac_f32_e32 v6, v7, v4
	v_fma_f32 v3, -v3, v6, v5
	v_div_fmas_f32 v3, v3, v4, v6
	v_div_fixup_f32 v0, v3, v0, 1.0
	v_mul_f32_e32 v0, v110, v0
	v_mul_f32_e32 v1, v0, v1
	v_and_b32_e32 v0, 0x7f800000, v1
	v_cmp_ne_u32_e32 vcc, s0, v0
                                        ; implicit-def: $vgpr0
	s_and_saveexec_b64 s[0:1], vcc
	s_xor_b64 s[0:1], exec, s[0:1]
; %bb.23:
	v_bfe_u32 v0, v1, 16, 1
	s_movk_i32 s6, 0x7fff
	v_add3_u32 v0, v1, v0, s6
                                        ; implicit-def: $vgpr1
; %bb.24:
	s_andn2_saveexec_b64 s[0:1], s[0:1]
; %bb.25:
	v_mov_b32_e32 v0, 0
	v_or_b32_e32 v3, 0x10000, v1
	v_cmp_eq_u32_sdwa vcc, v1, v0 src0_sel:WORD_0 src1_sel:DWORD
	s_nop 1
	v_cndmask_b32_e32 v0, v3, v1, vcc
; %bb.26:
	s_or_b64 exec, exec, s[0:1]
	s_mul_i32 s0, s3, s39
	s_mul_hi_u32 s1, s3, s38
	s_add_i32 s1, s1, s0
	s_mul_i32 s0, s3, s38
	s_lshl_b64 s[0:1], s[0:1], 8
	s_add_u32 s4, s4, s0
	s_mov_b32 s3, 0
	s_addc_u32 s5, s5, s1
	s_lshl_b64 s[0:1], s[2:3], 8
	s_add_u32 s0, s4, s0
	s_addc_u32 s1, s5, s1
	global_store_short_d16_hi v2, v0, s[0:1]
	s_endpgm
.LBB667_27:
	s_mov_b64 s[6:7], 0
	s_branch .LBB667_2
.LBB667_28:
	v_mov_b32_e32 v1, 1.0
	s_andn2_b64 vcc, exec, s[50:51]
	s_cbranch_vccz .LBB667_21
	s_branch .LBB667_22
	.section	.rodata,"a",@progbits
	.p2align	6, 0x0
	.amdhsa_kernel _Z35paged_attention_ll4mi_reduce_kernelI14__hip_bfloat16S0_Li128ELi128ELi256ELi16EEvPT0_PKfS4_PKT_PKiS9_iS4_
		.amdhsa_group_segment_fixed_size 4100
		.amdhsa_private_segment_fixed_size 0
		.amdhsa_kernarg_size 320
		.amdhsa_user_sgpr_count 2
		.amdhsa_user_sgpr_dispatch_ptr 0
		.amdhsa_user_sgpr_queue_ptr 0
		.amdhsa_user_sgpr_kernarg_segment_ptr 1
		.amdhsa_user_sgpr_dispatch_id 0
		.amdhsa_user_sgpr_kernarg_preload_length 0
		.amdhsa_user_sgpr_kernarg_preload_offset 0
		.amdhsa_user_sgpr_private_segment_size 0
		.amdhsa_uses_dynamic_stack 0
		.amdhsa_enable_private_segment 0
		.amdhsa_system_sgpr_workgroup_id_x 1
		.amdhsa_system_sgpr_workgroup_id_y 1
		.amdhsa_system_sgpr_workgroup_id_z 0
		.amdhsa_system_sgpr_workgroup_info 0
		.amdhsa_system_vgpr_workitem_id 0
		.amdhsa_next_free_vgpr 126
		.amdhsa_next_free_sgpr 61
		.amdhsa_accum_offset 128
		.amdhsa_reserve_vcc 1
		.amdhsa_float_round_mode_32 0
		.amdhsa_float_round_mode_16_64 0
		.amdhsa_float_denorm_mode_32 3
		.amdhsa_float_denorm_mode_16_64 3
		.amdhsa_dx10_clamp 1
		.amdhsa_ieee_mode 1
		.amdhsa_fp16_overflow 0
		.amdhsa_tg_split 0
		.amdhsa_exception_fp_ieee_invalid_op 0
		.amdhsa_exception_fp_denorm_src 0
		.amdhsa_exception_fp_ieee_div_zero 0
		.amdhsa_exception_fp_ieee_overflow 0
		.amdhsa_exception_fp_ieee_underflow 0
		.amdhsa_exception_fp_ieee_inexact 0
		.amdhsa_exception_int_div_zero 0
	.end_amdhsa_kernel
	.section	.text._Z35paged_attention_ll4mi_reduce_kernelI14__hip_bfloat16S0_Li128ELi128ELi256ELi16EEvPT0_PKfS4_PKT_PKiS9_iS4_,"axG",@progbits,_Z35paged_attention_ll4mi_reduce_kernelI14__hip_bfloat16S0_Li128ELi128ELi256ELi16EEvPT0_PKfS4_PKT_PKiS9_iS4_,comdat
.Lfunc_end667:
	.size	_Z35paged_attention_ll4mi_reduce_kernelI14__hip_bfloat16S0_Li128ELi128ELi256ELi16EEvPT0_PKfS4_PKT_PKiS9_iS4_, .Lfunc_end667-_Z35paged_attention_ll4mi_reduce_kernelI14__hip_bfloat16S0_Li128ELi128ELi256ELi16EEvPT0_PKfS4_PKT_PKiS9_iS4_
                                        ; -- End function
	.section	.AMDGPU.csdata,"",@progbits
; Kernel info:
; codeLenInByte = 10976
; NumSgprs: 67
; NumVgprs: 126
; NumAgprs: 0
; TotalNumVgprs: 126
; ScratchSize: 0
; MemoryBound: 0
; FloatMode: 240
; IeeeMode: 1
; LDSByteSize: 4100 bytes/workgroup (compile time only)
; SGPRBlocks: 8
; VGPRBlocks: 15
; NumSGPRsForWavesPerEU: 67
; NumVGPRsForWavesPerEU: 126
; AccumOffset: 128
; Occupancy: 4
; WaveLimiterHint : 1
; COMPUTE_PGM_RSRC2:SCRATCH_EN: 0
; COMPUTE_PGM_RSRC2:USER_SGPR: 2
; COMPUTE_PGM_RSRC2:TRAP_HANDLER: 0
; COMPUTE_PGM_RSRC2:TGID_X_EN: 1
; COMPUTE_PGM_RSRC2:TGID_Y_EN: 1
; COMPUTE_PGM_RSRC2:TGID_Z_EN: 0
; COMPUTE_PGM_RSRC2:TIDIG_COMP_CNT: 0
; COMPUTE_PGM_RSRC3_GFX90A:ACCUM_OFFSET: 31
; COMPUTE_PGM_RSRC3_GFX90A:TG_SPLIT: 0
	.section	.text._Z38paged_attention_ll4mi_QKV_mfma4_kernelI14__hip_bfloat16S0_LN4vllm18Fp8KVCacheDataTypeE0ES0_Li16ELi128ELi256ELb0ELi1EEvPKT_PKT0_S8_ifPKiSA_SA_iPKfiiiPfSD_PS3_PT2_iSC_SC_,"axG",@progbits,_Z38paged_attention_ll4mi_QKV_mfma4_kernelI14__hip_bfloat16S0_LN4vllm18Fp8KVCacheDataTypeE0ES0_Li16ELi128ELi256ELb0ELi1EEvPKT_PKT0_S8_ifPKiSA_SA_iPKfiiiPfSD_PS3_PT2_iSC_SC_,comdat
	.protected	_Z38paged_attention_ll4mi_QKV_mfma4_kernelI14__hip_bfloat16S0_LN4vllm18Fp8KVCacheDataTypeE0ES0_Li16ELi128ELi256ELb0ELi1EEvPKT_PKT0_S8_ifPKiSA_SA_iPKfiiiPfSD_PS3_PT2_iSC_SC_ ; -- Begin function _Z38paged_attention_ll4mi_QKV_mfma4_kernelI14__hip_bfloat16S0_LN4vllm18Fp8KVCacheDataTypeE0ES0_Li16ELi128ELi256ELb0ELi1EEvPKT_PKT0_S8_ifPKiSA_SA_iPKfiiiPfSD_PS3_PT2_iSC_SC_
	.globl	_Z38paged_attention_ll4mi_QKV_mfma4_kernelI14__hip_bfloat16S0_LN4vllm18Fp8KVCacheDataTypeE0ES0_Li16ELi128ELi256ELb0ELi1EEvPKT_PKT0_S8_ifPKiSA_SA_iPKfiiiPfSD_PS3_PT2_iSC_SC_
	.p2align	8
	.type	_Z38paged_attention_ll4mi_QKV_mfma4_kernelI14__hip_bfloat16S0_LN4vllm18Fp8KVCacheDataTypeE0ES0_Li16ELi128ELi256ELb0ELi1EEvPKT_PKT0_S8_ifPKiSA_SA_iPKfiiiPfSD_PS3_PT2_iSC_SC_,@function
_Z38paged_attention_ll4mi_QKV_mfma4_kernelI14__hip_bfloat16S0_LN4vllm18Fp8KVCacheDataTypeE0ES0_Li16ELi128ELi256ELb0ELi1EEvPKT_PKT0_S8_ifPKiSA_SA_iPKfiiiPfSD_PS3_PT2_iSC_SC_: ; @_Z38paged_attention_ll4mi_QKV_mfma4_kernelI14__hip_bfloat16S0_LN4vllm18Fp8KVCacheDataTypeE0ES0_Li16ELi128ELi256ELb0ELi1EEvPKT_PKT0_S8_ifPKiSA_SA_iPKfiiiPfSD_PS3_PT2_iSC_SC_
; %bb.0:
	s_load_dwordx2 s[16:17], s[0:1], 0x30
	s_mov_b32 s20, s3
	s_mov_b64 s[6:7], 0
	s_waitcnt lgkmcnt(0)
	s_cmp_lg_u64 s[16:17], 0
	s_cselect_b64 s[18:19], -1, 0
	s_and_b64 vcc, exec, s[18:19]
	s_cbranch_vccz .LBB668_10
; %bb.1:
	s_add_i32 s8, s2, 1
	s_mov_b32 s9, 0
	s_lshl_b64 s[10:11], s[8:9], 2
	s_add_u32 s10, s16, s10
	s_mov_b32 s3, s9
	s_addc_u32 s11, s17, s11
	s_lshl_b64 s[8:9], s[2:3], 2
	s_add_u32 s8, s16, s8
	s_addc_u32 s9, s17, s9
	s_load_dword s5, s[10:11], 0x0
	s_load_dword s12, s[8:9], 0x0
	s_waitcnt lgkmcnt(0)
	s_sub_i32 s5, s5, s12
	s_cmp_eq_u32 s5, 1
	s_cselect_b64 s[8:9], -1, 0
	s_andn2_b64 vcc, exec, s[6:7]
	s_cbranch_vccnz .LBB668_3
.LBB668_2:
	s_mov_b32 s3, 0
	s_mov_b64 s[8:9], -1
.LBB668_3:
	s_andn2_b64 vcc, exec, s[8:9]
	s_cbranch_vccnz .LBB668_25
; %bb.4:
	s_load_dword s5, s[0:1], 0x9c
	s_load_dwordx2 s[6:7], s[0:1], 0x28
	s_add_u32 s24, s0, 0x90
	s_addc_u32 s25, s1, 0
	s_lshl_b64 s[28:29], s[2:3], 2
	s_waitcnt lgkmcnt(0)
	s_and_b32 s5, s5, 0xffff
	s_add_u32 s6, s6, s28
	s_addc_u32 s7, s7, s29
	s_load_dword s3, s[6:7], 0x0
	s_mul_i32 s10, s20, s5
	s_waitcnt lgkmcnt(0)
	s_cmp_ge_i32 s10, s3
	s_cbranch_scc1 .LBB668_25
; %bb.5:
	v_and_b32_e32 v1, 0xc0, v0
	v_add_u32_e32 v2, s10, v1
	v_lshrrev_b32_e32 v70, 6, v0
	v_cmp_le_i32_e64 s[6:7], s3, v2
                                        ; implicit-def: $sgpr21
                                        ; implicit-def: $sgpr11
	s_and_saveexec_b64 s[8:9], s[6:7]
	s_xor_b64 s[8:9], exec, s[8:9]
	s_cbranch_execz .LBB668_7
; %bb.6:
	v_mul_u32_u24_e32 v1, 20, v70
	v_or_b32_e32 v1, 0x1400, v1
	v_mov_b32_e32 v2, 0x1450
	v_mov_b32_e32 v3, 0xff7fffff
	v_mad_u32_u24 v2, v70, 20, v2
	ds_write2_b32 v1, v3, v3 offset1:1
	v_mov_b32_e32 v1, 0
	ds_write2_b32 v2, v1, v1 offset1:1
	v_mov_b32_e32 v2, 0x1408
	s_mov_b32 s11, 0xff7fffff
	s_mov_b32 s21, 0
	v_mad_u32_u24 v2, v70, 20, v2
	v_mov_b32_e32 v4, 0x1458
	v_mad_u32_u24 v4, v70, 20, v4
	ds_write2_b32 v2, v3, v3 offset1:1
	ds_write2_b32 v4, v1, v1 offset1:1
                                        ; implicit-def: $vgpr2
.LBB668_7:
	s_or_saveexec_b64 s[26:27], s[8:9]
	s_load_dwordx2 s[22:23], s[0:1], 0x68
	s_load_dwordx4 s[12:15], s[0:1], 0x58
	s_load_dword s5, s[24:25], 0x4
	v_and_b32_e32 v1, 63, v0
	v_and_b32_e32 v71, 3, v0
	v_mov_b32_e32 v67, s21
	v_mov_b32_e32 v72, s11
	;; [unrolled: 1-line block ×5, first 2 shown]
                                        ; implicit-def: $vgpr51
                                        ; implicit-def: $vgpr55
                                        ; implicit-def: $vgpr11
                                        ; implicit-def: $vgpr23
                                        ; implicit-def: $vgpr39
                                        ; implicit-def: $vgpr3
                                        ; implicit-def: $vgpr19
                                        ; implicit-def: $vgpr27
                                        ; implicit-def: $vgpr63
                                        ; implicit-def: $vgpr59
                                        ; implicit-def: $vgpr7
                                        ; implicit-def: $vgpr15
                                        ; implicit-def: $vgpr31
                                        ; implicit-def: $vgpr35
                                        ; implicit-def: $vgpr43
                                        ; implicit-def: $vgpr47
	s_xor_b64 exec, exec, s[26:27]
	s_cbranch_execz .LBB668_17
; %bb.8:
	s_add_i32 s21, s3, 15
	s_load_dwordx2 s[8:9], s[0:1], 0x20
	s_load_dword s11, s[0:1], 0x38
	s_ashr_i32 s30, s21, 31
	s_lshr_b32 s30, s30, 28
	v_add_u32_e32 v72, s10, v0
	s_add_i32 s21, s21, s30
	v_ashrrev_i32_e32 v3, 31, v72
	s_ashr_i32 s21, s21, 4
	v_lshrrev_b32_e32 v3, 28, v3
	s_add_i32 s21, s21, -1
	v_add_u32_e32 v3, v72, v3
	s_waitcnt lgkmcnt(0)
	s_mul_i32 s30, s2, s11
	s_mov_b32 s31, 0
	v_ashrrev_i32_e32 v3, 4, v3
	v_mov_b32_e32 v4, s21
	v_cmp_gt_i32_e32 vcc, s3, v72
	s_lshl_b64 s[30:31], s[30:31], 2
	s_add_u32 s8, s8, s30
	v_cndmask_b32_e32 v4, v4, v3, vcc
	v_ashrrev_i32_e32 v3, 31, v2
	v_lshrrev_b32_e32 v3, 28, v3
	s_addc_u32 s9, s9, s31
	v_ashrrev_i32_e32 v5, 31, v4
	v_add_u32_e32 v2, v2, v3
	v_lshl_add_u64 v[8:9], v[4:5], 2, s[8:9]
	v_ashrrev_i32_e32 v4, 4, v2
	v_min_i32_e32 v2, s21, v4
	v_ashrrev_i32_e32 v3, 31, v2
	v_lshl_add_u64 v[10:11], v[2:3], 2, s[8:9]
	v_add_u32_e32 v2, 1, v4
	v_min_i32_e32 v2, s21, v2
	v_ashrrev_i32_e32 v3, 31, v2
	v_lshl_add_u64 v[12:13], v[2:3], 2, s[8:9]
	v_add_u32_e32 v2, 2, v4
	;; [unrolled: 4-line block ×3, first 2 shown]
	v_min_i32_e32 v2, s21, v2
	v_ashrrev_i32_e32 v3, 31, v2
	v_lshl_add_u64 v[16:17], v[2:3], 2, s[8:9]
	global_load_dword v2, v[8:9], off
	global_load_dword v4, v[10:11], off
	;; [unrolled: 1-line block ×5, first 2 shown]
	s_load_dwordx4 s[8:11], s[0:1], 0x8
	s_andn2_b64 vcc, exec, s[18:19]
	s_cbranch_vccnz .LBB668_11
; %bb.9:
	s_add_u32 s16, s16, s28
	s_addc_u32 s17, s17, s29
	s_load_dword s21, s[16:17], 0x0
	s_branch .LBB668_12
.LBB668_10:
	s_mov_b64 s[8:9], 0
	s_branch .LBB668_2
.LBB668_11:
	s_mov_b32 s21, s2
.LBB668_12:
	s_load_dwordx4 s[16:19], s[0:1], 0x48
	v_cmp_eq_u32_e32 vcc, 0, v71
	s_mov_b32 s29, 0
	v_mov_b32_e32 v73, 0
	v_mov_b32_e32 v51, 0
	;; [unrolled: 1-line block ×6, first 2 shown]
	s_and_saveexec_b64 s[30:31], vcc
	s_cbranch_execz .LBB668_14
; %bb.13:
	s_load_dwordx2 s[34:35], s[0:1], 0x0
	s_waitcnt lgkmcnt(0)
	s_ashr_i32 s19, s16, 31
	s_mul_hi_u32 s28, s21, s16
	s_mul_i32 s19, s21, s19
	s_add_i32 s37, s28, s19
	s_mul_i32 s36, s21, s16
	s_lshl_b64 s[36:37], s[36:37], 1
	s_add_u32 s16, s34, s36
	s_addc_u32 s19, s35, s37
	s_lshl_b32 s28, s4, 7
	s_lshl_b64 s[34:35], s[28:29], 1
	s_add_u32 s34, s16, s34
	s_addc_u32 s35, s19, s35
	v_lshlrev_b32_e32 v3, 2, v1
	global_load_dwordx4 v[66:69], v3, s[34:35]
	v_mov_b32_e32 v73, 1.0
.LBB668_14:
	s_or_b64 exec, exec, s[30:31]
	s_waitcnt lgkmcnt(0)
	s_mul_i32 s28, s4, s18
	s_lshl_b64 s[18:19], s[28:29], 1
	s_add_u32 s8, s18, s8
	s_waitcnt vmcnt(4)
	v_mad_i64_i32 v[2:3], s[30:31], v2, s17, 0
	s_addc_u32 s9, s19, s9
	v_and_b32_e32 v8, 15, v0
	v_lshl_add_u64 v[2:3], v[2:3], 1, s[8:9]
	v_lshlrev_b32_e32 v50, 4, v8
	v_lshl_add_u64 v[2:3], v[2:3], 0, v[50:51]
	global_load_dwordx4 v[8:11], v[2:3], off
	global_load_dwordx4 v[12:15], v[2:3], off offset:256
	global_load_dwordx4 v[16:19], v[2:3], off offset:512
	;; [unrolled: 1-line block ×15, first 2 shown]
	s_waitcnt vmcnt(19)
	v_mul_hi_i32 v48, v4, s17
	s_waitcnt vmcnt(18)
	v_mul_hi_i32 v50, v5, s17
	;; [unrolled: 2-line block ×4, first 2 shown]
	v_ashrrev_i32_e32 v93, 31, v48
	v_ashrrev_i32_e32 v48, 31, v50
	;; [unrolled: 1-line block ×4, first 2 shown]
	v_mov_b32_e32 v49, v51
	v_mov_b32_e32 v65, v51
	;; [unrolled: 1-line block ×3, first 2 shown]
	v_lshrrev_b32_e32 v48, 29, v48
	v_lshrrev_b32_e32 v64, 29, v50
	;; [unrolled: 1-line block ×3, first 2 shown]
	v_mad_i64_i32 v[2:3], s[8:9], v5, s17, v[48:49]
	v_mad_i64_i32 v[48:49], s[8:9], v6, s17, v[64:65]
	;; [unrolled: 1-line block ×3, first 2 shown]
	s_add_u32 s8, s10, s18
	v_lshrrev_b32_e32 v50, 29, v93
	s_addc_u32 s9, s11, s19
	v_mad_i64_i32 v[4:5], s[10:11], v4, s17, v[50:51]
	v_lshlrev_b64 v[2:3], 1, v[2:3]
	v_lshlrev_b64 v[6:7], 1, v[6:7]
	;; [unrolled: 1-line block ×3, first 2 shown]
	v_and_b32_e32 v2, -16, v2
	v_and_b32_e32 v6, -16, v6
	;; [unrolled: 1-line block ×3, first 2 shown]
	v_lshlrev_b32_e32 v50, 5, v1
	v_lshl_add_u64 v[2:3], s[8:9], 0, v[2:3]
	v_lshl_add_u64 v[6:7], s[8:9], 0, v[6:7]
	;; [unrolled: 1-line block ×4, first 2 shown]
	s_load_dword s0, s[0:1], 0x1c
	v_cmp_eq_u32_e32 vcc, 1, v71
	v_and_b32_e32 v91, -4, v72
	v_lshlrev_b32_e32 v92, 2, v0
	v_cndmask_b32_e64 v88, 0, 1.0, vcc
	v_cmp_eq_u32_e32 vcc, 2, v71
	v_or_b32_e32 v72, 3, v72
	v_cmp_gt_i32_e64 s[10:11], s3, v72
	v_cndmask_b32_e64 v89, 0, 1.0, vcc
	v_cmp_eq_u32_e32 vcc, 3, v71
	s_waitcnt vmcnt(15)
	v_mfma_f32_4x4x4_16b_bf16 a[0:3], v[66:67], v[8:9], 0 cbsz:4
	v_lshlrev_b64 v[8:9], 1, v[48:49]
	s_nop 0
	v_mfma_f32_4x4x4_16b_bf16 a[0:3], v[68:69], v[10:11], a[0:3] cbsz:4
	v_and_b32_e32 v8, -16, v8
	v_lshl_add_u64 v[8:9], s[8:9], 0, v[8:9]
	s_waitcnt vmcnt(14)
	v_mfma_f32_4x4x4_16b_bf16 a[0:3], v[66:67], v[12:13], a[0:3] cbsz:4 abid:1
	v_cndmask_b32_e64 v90, 0, 1.0, vcc
	v_cmp_gt_i32_e32 vcc, s3, v91
	v_mfma_f32_4x4x4_16b_bf16 a[0:3], v[68:69], v[14:15], a[0:3] cbsz:4 abid:1
	s_waitcnt vmcnt(13)
	s_nop 0
	v_mfma_f32_4x4x4_16b_bf16 a[0:3], v[66:67], v[16:17], a[0:3] cbsz:4 abid:2
	s_nop 1
	v_mfma_f32_4x4x4_16b_bf16 a[0:3], v[68:69], v[18:19], a[0:3] cbsz:4 abid:2
	v_lshl_add_u64 v[18:19], v[8:9], 0, v[50:51]
	s_waitcnt vmcnt(12)
	v_mfma_f32_4x4x4_16b_bf16 a[0:3], v[66:67], v[20:21], a[0:3] cbsz:4 abid:3
	s_nop 1
	v_mfma_f32_4x4x4_16b_bf16 a[0:3], v[68:69], v[22:23], a[0:3] cbsz:4 abid:3
	s_waitcnt vmcnt(11)
	s_nop 0
	v_mfma_f32_4x4x4_16b_bf16 a[0:3], v[66:67], v[24:25], a[0:3] cbsz:4 abid:4
	global_load_dwordx4 v[10:13], v[2:3], off
	global_load_dwordx4 v[22:25], v[2:3], off offset:16
	v_mfma_f32_4x4x4_16b_bf16 a[0:3], v[68:69], v[26:27], a[0:3] cbsz:4 abid:4
	global_load_dwordx4 v[6:9], v[2:3], off offset:2048
	global_load_dwordx4 v[14:17], v[2:3], off offset:2064
	s_waitcnt vmcnt(14)
	v_mfma_f32_4x4x4_16b_bf16 a[0:3], v[66:67], v[28:29], a[0:3] cbsz:4 abid:5
	s_nop 1
	v_mfma_f32_4x4x4_16b_bf16 a[0:3], v[68:69], v[30:31], a[0:3] cbsz:4 abid:5
	s_waitcnt vmcnt(13)
	s_nop 0
	v_mfma_f32_4x4x4_16b_bf16 a[0:3], v[66:67], v[32:33], a[0:3] cbsz:4 abid:6
	s_nop 1
	v_mfma_f32_4x4x4_16b_bf16 a[0:3], v[68:69], v[34:35], a[0:3] cbsz:4 abid:6
	s_waitcnt vmcnt(12)
	s_nop 0
	;; [unrolled: 5-line block ×3, first 2 shown]
	v_mfma_f32_4x4x4_16b_bf16 a[0:3], v[66:67], v[40:41], a[0:3] cbsz:4 abid:8
	global_load_dwordx4 v[38:41], v[18:19], off
	global_load_dwordx4 v[2:5], v[18:19], off offset:16
	v_mfma_f32_4x4x4_16b_bf16 a[0:3], v[68:69], v[42:43], a[0:3] cbsz:4 abid:8
	global_load_dwordx4 v[30:33], v[18:19], off offset:2048
	global_load_dwordx4 v[34:37], v[18:19], off offset:2064
	s_waitcnt vmcnt(14)
	v_mfma_f32_4x4x4_16b_bf16 a[0:3], v[66:67], v[44:45], a[0:3] cbsz:4 abid:9
	global_load_dwordx4 v[18:21], v[86:87], off
	global_load_dwordx4 v[26:29], v[86:87], off offset:16
	v_mfma_f32_4x4x4_16b_bf16 a[0:3], v[68:69], v[46:47], a[0:3] cbsz:4 abid:9
	global_load_dwordx4 v[42:45], v[86:87], off offset:2048
	global_load_dwordx4 v[46:49], v[86:87], off offset:2064
	s_waitcnt vmcnt(17)
	v_mfma_f32_4x4x4_16b_bf16 a[0:3], v[66:67], v[52:53], a[0:3] cbsz:4 abid:10
	v_lshl_add_u64 v[52:53], s[8:9], 0, v[64:65]
	s_nop 0
	v_mfma_f32_4x4x4_16b_bf16 a[0:3], v[68:69], v[54:55], a[0:3] cbsz:4 abid:10
	s_waitcnt vmcnt(16)
	s_nop 0
	v_mfma_f32_4x4x4_16b_bf16 a[0:3], v[66:67], v[56:57], a[0:3] cbsz:4 abid:11
	s_nop 1
	v_mfma_f32_4x4x4_16b_bf16 a[0:3], v[68:69], v[58:59], a[0:3] cbsz:4 abid:11
	s_waitcnt vmcnt(15)
	s_nop 0
	v_mfma_f32_4x4x4_16b_bf16 a[0:3], v[66:67], v[60:61], a[0:3] cbsz:4 abid:12
	;; [unrolled: 5-line block ×3, first 2 shown]
	v_lshl_add_u64 v[74:75], v[52:53], 0, v[50:51]
	global_load_dwordx4 v[50:53], v[74:75], off
	global_load_dwordx4 v[54:57], v[74:75], off offset:16
	global_load_dwordx4 v[62:65], v[74:75], off offset:2048
	;; [unrolled: 1-line block ×3, first 2 shown]
	v_mfma_f32_4x4x4_16b_bf16 a[0:3], v[68:69], v[76:77], a[0:3] cbsz:4 abid:13
	v_mov_b32_e32 v74, 0xff7fffff
	v_and_or_b32 v75, v92, 48, v71
	s_waitcnt vmcnt(17)
	v_mfma_f32_4x4x4_16b_bf16 a[0:3], v[66:67], v[78:79], a[0:3] cbsz:4 abid:14
	s_nop 1
	v_mfma_f32_4x4x4_16b_bf16 a[0:3], v[68:69], v[80:81], a[0:3] cbsz:4 abid:14
	s_waitcnt vmcnt(16)
	s_nop 0
	v_mfma_f32_4x4x4_16b_bf16 a[0:3], v[66:67], v[82:83], a[0:3] cbsz:4 abid:15
	s_nop 1
	v_mfma_f32_4x4x4_16b_bf16 a[0:3], v[68:69], v[84:85], a[0:3] cbsz:4 abid:15
	s_nop 4
	v_accvgpr_read_b32 v67, a1
	v_accvgpr_read_b32 v66, a0
	s_waitcnt lgkmcnt(0)
	v_pk_mul_f32 v[66:67], s[0:1], v[66:67] op_sel_hi:[0,1]
	v_accvgpr_read_b32 v69, a3
	v_accvgpr_read_b32 v68, a2
	v_pk_mul_f32 v[68:69], s[0:1], v[68:69] op_sel_hi:[0,1]
	v_mfma_f32_4x4x1_16b_f32 a[0:3], v66, v73, 0
	v_or_b32_e32 v66, 1, v91
	s_nop 0
	v_mfma_f32_4x4x1_16b_f32 a[0:3], v67, v88, a[0:3]
	v_lshlrev_b32_e32 v73, 2, v75
	v_cmp_gt_i32_e64 s[0:1], s3, v66
	v_mfma_f32_4x4x1_16b_f32 a[0:3], v68, v89, a[0:3]
	v_or_b32_e32 v67, 2, v91
	v_cmp_gt_i32_e64 s[8:9], s3, v67
	v_mfma_f32_4x4x1_16b_f32 a[0:3], v69, v90, a[0:3]
	s_nop 3
	v_accvgpr_read_b32 v68, a0
	v_max_f32_e32 v77, v68, v68
	v_accvgpr_read_b32 v69, a1
	v_max_f32_e32 v77, 0xff7fffff, v77
	v_max_f32_e32 v78, v69, v69
	v_cndmask_b32_e32 v74, v74, v77, vcc
	v_accvgpr_read_b32 v75, a2
	v_max_f32_e32 v77, v74, v78
	v_max_f32_e32 v79, v75, v75
	v_cndmask_b32_e64 v66, v74, v77, s[0:1]
	v_accvgpr_read_b32 v76, a3
	v_max_f32_e32 v74, v66, v79
	v_max_f32_e32 v80, v76, v76
	v_cndmask_b32_e64 v66, v66, v74, s[8:9]
	v_max_f32_e32 v67, v66, v80
	v_cndmask_b32_e64 v66, v66, v67, s[10:11]
	;;#ASMSTART
	v_nop
 v_nop
 v_max_f32_dpp v66, v66, v66 row_ror:4
	;;#ASMEND
	s_nop 0
	;;#ASMSTART
	v_nop
 v_nop
 v_max_f32_dpp v66, v66, v66 row_ror:8
	;;#ASMEND
	ds_bpermute_b32 v66, v73, v66
	s_waitcnt lgkmcnt(0)
	;;#ASMSTART
	v_nop
 v_nop
 v_max_f32_dpp v66, v66, v66 row_ror:4
	;;#ASMEND
	s_nop 0
	;;#ASMSTART
	v_nop
 v_nop
 v_max_f32_dpp v72, v66, v66 row_ror:8
	;;#ASMEND
	s_nop 0
	v_sub_f32_e32 v66, v68, v72
	v_sub_f32_e32 v67, v69, v72
	;; [unrolled: 1-line block ×3, first 2 shown]
	v_mul_f32_e32 v66, 0x3fb8aa3b, v66
	v_mul_f32_e32 v67, 0x3fb8aa3b, v67
	;; [unrolled: 1-line block ×3, first 2 shown]
	v_exp_f32_e32 v66, v66
	v_sub_f32_e32 v69, v76, v72
	v_exp_f32_e32 v67, v67
	v_exp_f32_e32 v74, v68
	v_mul_f32_e32 v69, 0x3fb8aa3b, v69
	v_exp_f32_e32 v75, v69
	v_cndmask_b32_e32 v68, 0, v66, vcc
	v_cndmask_b32_e64 v69, 0, v67, s[0:1]
	v_cndmask_b32_e64 v66, 0, v74, s[8:9]
	v_add_f32_e32 v74, 0, v68
	v_add_f32_e32 v74, v74, v69
	v_cndmask_b32_e64 v67, 0, v75, s[10:11]
	v_add_f32_e32 v74, v74, v66
	v_add_f32_e32 v74, v74, v67
	;;#ASMSTART
	v_nop
 v_nop
 v_add_f32_dpp v74, v74, v74 row_ror:4
	;;#ASMEND
	v_cmp_gt_u32_e32 vcc, 4, v1
	;;#ASMSTART
	v_nop
 v_nop
 v_add_f32_dpp v74, v74, v74 row_ror:8
	;;#ASMEND
	ds_bpermute_b32 v73, v73, v74
	s_waitcnt lgkmcnt(0)
	;;#ASMSTART
	v_nop
 v_nop
 v_add_f32_dpp v73, v73, v73 row_ror:4
	;;#ASMEND
	s_nop 0
	;;#ASMSTART
	v_nop
 v_nop
 v_add_f32_dpp v73, v73, v73 row_ror:8
	;;#ASMEND
	s_and_saveexec_b64 s[0:1], vcc
	s_cbranch_execz .LBB668_16
; %bb.15:
	v_mul_u32_u24_e32 v74, 20, v70
	v_lshl_add_u32 v74, v71, 2, v74
	v_add_u32_e32 v74, 0x1400, v74
	ds_write2_b32 v74, v72, v73 offset1:20
.LBB668_16:
	s_or_b64 exec, exec, s[0:1]
.LBB668_17:
	s_or_b64 exec, exec, s[26:27]
	s_waitcnt lgkmcnt(0)
	s_barrier
	s_load_dword s0, s[24:25], 0x8
	v_lshlrev_b32_e32 v73, 2, v71
	v_add_u32_e32 v75, 0x1400, v73
	ds_read2_b32 v[76:77], v75 offset1:5
	ds_read2_b32 v[78:79], v75 offset0:10 offset1:15
	s_mul_i32 s1, s5, s2
	s_waitcnt lgkmcnt(0)
	s_mul_i32 s0, s1, s0
	s_mov_b32 s1, 0xff7fffff
	v_max3_f32 v73, v76, s1, v77
	v_max3_f32 v74, v73, v78, v79
	v_sub_f32_e32 v73, v76, v74
	v_sub_f32_e32 v76, v77, v74
	v_mul_f32_e32 v76, 0x3fb8aa3b, v76
	ds_read2_b32 v[80:81], v75 offset0:20 offset1:25
	v_mul_f32_e32 v73, 0x3fb8aa3b, v73
	v_exp_f32_e32 v83, v76
	ds_read2_b32 v[76:77], v75 offset0:30 offset1:35
	v_sub_f32_e32 v75, v78, v74
	v_exp_f32_e32 v82, v73
	v_mul_f32_e32 v75, 0x3fb8aa3b, v75
	v_exp_f32_e32 v78, v75
	v_sub_f32_e32 v75, v79, v74
	v_mul_f32_e32 v75, 0x3fb8aa3b, v75
	v_exp_f32_e32 v79, v75
	s_waitcnt lgkmcnt(1)
	v_fma_f32 v75, v82, v80, 0
	v_fmac_f32_e32 v75, v83, v81
	s_waitcnt lgkmcnt(0)
	v_fmac_f32_e32 v75, v78, v76
	v_mov_b32_e32 v73, 0
	v_fmac_f32_e32 v75, v79, v77
	s_mov_b32 s1, 0
	v_cmp_eq_u32_e32 vcc, 0, v71
	s_and_saveexec_b64 s[2:3], vcc
	s_cbranch_execz .LBB668_19
; %bb.18:
	s_lshl_b64 s[8:9], s[0:1], 2
	s_add_u32 s12, s12, s8
	s_mov_b32 s21, s1
	s_addc_u32 s13, s13, s9
	s_lshl_b64 s[10:11], s[20:21], 2
	s_add_u32 s12, s12, s10
	s_addc_u32 s13, s13, s11
	s_add_u32 s8, s14, s8
	s_addc_u32 s9, s15, s9
	s_add_u32 s14, s8, s10
	s_addc_u32 s15, s9, s11
	s_mul_i32 s8, s5, s4
	s_mov_b32 s9, s1
	s_lshl_b64 s[8:9], s[8:9], 2
	s_add_u32 s10, s12, s8
	s_addc_u32 s11, s13, s9
	s_add_u32 s8, s14, s8
	s_addc_u32 s9, s15, s9
	global_store_dword v73, v74, s[8:9]
	global_store_dword v73, v75, s[10:11]
.LBB668_19:
	s_or_b64 exec, exec, s[2:3]
	v_lshlrev_b32_e32 v73, 3, v70
                                        ; implicit-def: $sgpr1
	s_and_saveexec_b64 s[2:3], s[6:7]
	s_xor_b64 s[2:3], exec, s[2:3]
	s_cbranch_execz .LBB668_21
; %bb.20:
	s_waitcnt vmcnt(10)
	v_mov_b32_e32 v2, 0
	v_mad_u32_u24 v4, v1, 40, v73
	s_mov_b32 s1, 0
	v_mov_b32_e32 v3, v2
	ds_write_b64 v4, v[2:3]
                                        ; implicit-def: $vgpr67
                                        ; implicit-def: $vgpr69
                                        ; implicit-def: $vgpr51
                                        ; implicit-def: $vgpr55
                                        ; implicit-def: $vgpr11
                                        ; implicit-def: $vgpr23
                                        ; implicit-def: $vgpr39
                                        ; implicit-def: $vgpr3
                                        ; implicit-def: $vgpr19
                                        ; implicit-def: $vgpr27
                                        ; implicit-def: $vgpr63
                                        ; implicit-def: $vgpr59
                                        ; implicit-def: $vgpr7
                                        ; implicit-def: $vgpr15
                                        ; implicit-def: $vgpr31
                                        ; implicit-def: $vgpr35
                                        ; implicit-def: $vgpr43
                                        ; implicit-def: $vgpr47
                                        ; implicit-def: $vgpr72
                                        ; implicit-def: $vgpr74
                                        ; implicit-def: $vgpr75
.LBB668_21:
	s_or_saveexec_b64 s[2:3], s[2:3]
	v_mov_b32_e32 v70, s1
	v_mov_b32_e32 v71, s1
	s_xor_b64 exec, exec, s[2:3]
	s_cbranch_execz .LBB668_23
; %bb.22:
	v_add_f32_e32 v70, 0x358637bd, v75
	v_div_scale_f32 v71, s[6:7], v70, v70, 1.0
	v_rcp_f32_e32 v75, v71
	v_sub_f32_e32 v72, v72, v74
	v_mul_f32_e32 v72, 0x3fb8aa3b, v72
	v_exp_f32_e32 v72, v72
	v_fma_f32 v74, -v71, v75, 1.0
	v_fmac_f32_e32 v75, v74, v75
	v_div_scale_f32 v74, vcc, 1.0, v70, 1.0
	v_mul_f32_e32 v76, v74, v75
	v_fma_f32 v77, -v71, v76, v74
	v_fmac_f32_e32 v76, v77, v75
	v_fma_f32 v71, -v71, v76, v74
	v_div_fmas_f32 v71, v71, v75, v76
	v_div_fixup_f32 v70, v71, v70, 1.0
	v_mul_f32_e32 v70, v72, v70
	v_pk_mul_f32 v[68:69], v[68:69], v[70:71] op_sel_hi:[1,0]
	v_pk_mul_f32 v[66:67], v[66:67], v[70:71] op_sel_hi:[1,0]
	v_bfe_u32 v70, v69, 16, 1
	v_bfe_u32 v71, v68, 16, 1
	s_movk_i32 s1, 0x7fff
	v_add3_u32 v68, v68, v71, s1
	v_add3_u32 v69, v69, v70, s1
	s_mov_b32 s6, 0x7060302
	v_perm_b32 v68, v69, v68, s6
	v_bfe_u32 v69, v67, 16, 1
	v_bfe_u32 v70, v66, 16, 1
	v_add3_u32 v66, v66, v70, s1
	v_add3_u32 v67, v67, v69, s1
	v_perm_b32 v69, v67, v66, s6
	s_waitcnt vmcnt(3)
	s_nop 0
	v_mfma_f32_4x4x4_16b_bf16 a[0:3], v[68:69], v[50:51], 0 cbsz:4
	s_nop 1
	v_mfma_f32_4x4x4_16b_bf16 a[0:3], v[68:69], v[52:53], a[0:3] cbsz:4 abid:1
	s_waitcnt vmcnt(1)
	v_mfma_f32_4x4x4_16b_bf16 a[4:7], v[68:69], v[62:63], 0 cbsz:4
	v_mfma_f32_4x4x4_16b_bf16 a[0:3], v[68:69], v[54:55], a[0:3] cbsz:4 abid:2
	s_nop 0
	v_mfma_f32_4x4x4_16b_bf16 a[4:7], v[68:69], v[64:65], a[4:7] cbsz:4 abid:1
	v_mfma_f32_4x4x4_16b_bf16 a[0:3], v[68:69], v[56:57], a[0:3] cbsz:4 abid:3
	s_waitcnt vmcnt(0)
	v_mfma_f32_4x4x4_16b_bf16 a[4:7], v[68:69], v[58:59], a[4:7] cbsz:4 abid:2
	v_mfma_f32_4x4x4_16b_bf16 a[0:3], v[68:69], v[10:11], a[0:3] cbsz:4 abid:4
	s_nop 1
	v_mfma_f32_4x4x4_16b_bf16 a[0:3], v[68:69], v[12:13], a[0:3] cbsz:4 abid:5
	s_nop 1
	;; [unrolled: 2-line block ×12, first 2 shown]
	v_accvgpr_read_b32 v3, a2
	v_accvgpr_read_b32 v4, a3
	;; [unrolled: 1-line block ×4, first 2 shown]
	v_mfma_f32_4x4x4_16b_bf16 a[0:3], v[68:69], v[60:61], a[4:7] cbsz:4 abid:3
	v_bfe_u32 v10, v5, 16, 1
	v_add3_u32 v5, v5, v10, s1
	v_mfma_f32_4x4x4_16b_bf16 a[0:3], v[68:69], v[6:7], a[0:3] cbsz:4 abid:4
	v_bfe_u32 v6, v2, 16, 1
	v_add3_u32 v2, v2, v6, s1
	v_mfma_f32_4x4x4_16b_bf16 a[0:3], v[68:69], v[8:9], a[0:3] cbsz:4 abid:5
	v_perm_b32 v2, v5, v2, s6
	v_bfe_u32 v5, v4, 16, 1
	v_mfma_f32_4x4x4_16b_bf16 a[0:3], v[68:69], v[14:15], a[0:3] cbsz:4 abid:6
	v_bfe_u32 v6, v3, 16, 1
	v_add3_u32 v3, v3, v6, s1
	v_mfma_f32_4x4x4_16b_bf16 a[0:3], v[68:69], v[16:17], a[0:3] cbsz:4 abid:7
	v_add3_u32 v4, v4, v5, s1
	v_perm_b32 v3, v4, v3, s6
	v_mfma_f32_4x4x4_16b_bf16 a[0:3], v[68:69], v[30:31], a[0:3] cbsz:4 abid:8
	v_mad_u32_u24 v4, v1, 40, v73
	ds_write_b64 v4, v[2:3]
	v_mfma_f32_4x4x4_16b_bf16 a[0:3], v[68:69], v[32:33], a[0:3] cbsz:4 abid:9
	s_nop 1
	v_mfma_f32_4x4x4_16b_bf16 a[0:3], v[68:69], v[34:35], a[0:3] cbsz:4 abid:10
	s_nop 1
	;; [unrolled: 2-line block ×7, first 2 shown]
	v_accvgpr_read_b32 v4, a0
	v_accvgpr_read_b32 v5, a1
	;; [unrolled: 1-line block ×4, first 2 shown]
	v_bfe_u32 v6, v5, 16, 1
	v_bfe_u32 v7, v4, 16, 1
	v_add3_u32 v4, v4, v7, s1
	v_add3_u32 v5, v5, v6, s1
	v_bfe_u32 v6, v3, 16, 1
	v_bfe_u32 v7, v2, 16, 1
	v_add3_u32 v2, v2, v7, s1
	v_add3_u32 v3, v3, v6, s1
	v_perm_b32 v71, v3, v2, s6
	v_perm_b32 v70, v5, v4, s6
.LBB668_23:
	s_or_b64 exec, exec, s[2:3]
	s_waitcnt vmcnt(10)
	v_mad_u32_u24 v2, v1, 40, v73
	v_cmp_gt_u32_e32 vcc, 64, v0
	ds_write_b64 v2, v[70:71] offset:2560
	s_waitcnt lgkmcnt(0)
	s_barrier
	s_and_saveexec_b64 s[2:3], vcc
	s_cbranch_execz .LBB668_25
; %bb.24:
	v_mov_b32_e32 v2, 0xa00
	v_mad_u32_u24 v2, v1, 40, v2
	ds_read2_b64 v[2:5], v2 offset1:1
	s_waitcnt lgkmcnt(0)
	v_mov_b32_e32 v3, 0xa10
	v_mul_u32_u24_e32 v10, 40, v1
	v_mad_u32_u24 v1, v1, 40, v3
	ds_read2_b64 v[6:9], v1 offset1:1
	v_lshlrev_b32_e32 v1, 16, v2
	v_add_f32_e32 v1, 0, v1
	v_and_b32_e32 v1, 0xffff0000, v1
	v_lshlrev_b32_e32 v2, 16, v4
	v_add_f32_e32 v1, v1, v2
	v_and_b32_e32 v1, 0xffff0000, v1
	s_waitcnt lgkmcnt(0)
	v_lshlrev_b32_e32 v2, 16, v6
	v_add_f32_e32 v1, v1, v2
	v_and_b32_e32 v1, 0xffff0000, v1
	v_lshlrev_b32_e32 v2, 16, v8
	v_add_f32_e32 v11, v1, v2
	ds_read2_b64 v[2:5], v10 offset1:1
	ds_read2_b64 v[6:9], v10 offset0:2 offset1:3
	s_mov_b32 s1, 0
	s_lshl_b32 s0, s0, 7
	s_lshl_b64 s[2:3], s[0:1], 1
	s_waitcnt lgkmcnt(1)
	v_lshlrev_b32_e32 v2, 16, v2
	v_add_f32_e32 v2, 0, v2
	s_add_u32 s2, s22, s2
	v_and_b32_e32 v2, 0xffff0000, v2
	v_lshlrev_b32_e32 v3, 16, v4
	s_addc_u32 s3, s23, s3
	s_lshl_b32 s0, s20, 7
	v_add_f32_e32 v2, v2, v3
	s_lshl_b64 s[0:1], s[0:1], 1
	v_and_b32_e32 v2, 0xffff0000, v2
	s_waitcnt lgkmcnt(0)
	v_lshlrev_b32_e32 v3, 16, v6
	s_add_u32 s0, s2, s0
	s_mul_i32 s4, s4, s5
	v_add_f32_e32 v2, v2, v3
	s_addc_u32 s1, s3, s1
	v_lshl_or_b32 v0, s4, 7, v0
	v_mov_b32_e32 v1, 0
	v_and_b32_e32 v2, 0xffff0000, v2
	v_lshlrev_b32_e32 v3, 16, v8
	v_lshl_add_u64 v[0:1], v[0:1], 1, s[0:1]
	v_add_f32_e32 v2, v2, v3
	global_store_short_d16_hi v[0:1], v2, off
	global_store_short_d16_hi v[0:1], v11, off offset:128
.LBB668_25:
	s_endpgm
	.section	.rodata,"a",@progbits
	.p2align	6, 0x0
	.amdhsa_kernel _Z38paged_attention_ll4mi_QKV_mfma4_kernelI14__hip_bfloat16S0_LN4vllm18Fp8KVCacheDataTypeE0ES0_Li16ELi128ELi256ELb0ELi1EEvPKT_PKT0_S8_ifPKiSA_SA_iPKfiiiPfSD_PS3_PT2_iSC_SC_
		.amdhsa_group_segment_fixed_size 5280
		.amdhsa_private_segment_fixed_size 0
		.amdhsa_kernarg_size 400
		.amdhsa_user_sgpr_count 2
		.amdhsa_user_sgpr_dispatch_ptr 0
		.amdhsa_user_sgpr_queue_ptr 0
		.amdhsa_user_sgpr_kernarg_segment_ptr 1
		.amdhsa_user_sgpr_dispatch_id 0
		.amdhsa_user_sgpr_kernarg_preload_length 0
		.amdhsa_user_sgpr_kernarg_preload_offset 0
		.amdhsa_user_sgpr_private_segment_size 0
		.amdhsa_uses_dynamic_stack 0
		.amdhsa_enable_private_segment 0
		.amdhsa_system_sgpr_workgroup_id_x 1
		.amdhsa_system_sgpr_workgroup_id_y 1
		.amdhsa_system_sgpr_workgroup_id_z 1
		.amdhsa_system_sgpr_workgroup_info 0
		.amdhsa_system_vgpr_workitem_id 0
		.amdhsa_next_free_vgpr 104
		.amdhsa_next_free_sgpr 38
		.amdhsa_accum_offset 96
		.amdhsa_reserve_vcc 1
		.amdhsa_float_round_mode_32 0
		.amdhsa_float_round_mode_16_64 0
		.amdhsa_float_denorm_mode_32 3
		.amdhsa_float_denorm_mode_16_64 3
		.amdhsa_dx10_clamp 1
		.amdhsa_ieee_mode 1
		.amdhsa_fp16_overflow 0
		.amdhsa_tg_split 0
		.amdhsa_exception_fp_ieee_invalid_op 0
		.amdhsa_exception_fp_denorm_src 0
		.amdhsa_exception_fp_ieee_div_zero 0
		.amdhsa_exception_fp_ieee_overflow 0
		.amdhsa_exception_fp_ieee_underflow 0
		.amdhsa_exception_fp_ieee_inexact 0
		.amdhsa_exception_int_div_zero 0
	.end_amdhsa_kernel
	.section	.text._Z38paged_attention_ll4mi_QKV_mfma4_kernelI14__hip_bfloat16S0_LN4vllm18Fp8KVCacheDataTypeE0ES0_Li16ELi128ELi256ELb0ELi1EEvPKT_PKT0_S8_ifPKiSA_SA_iPKfiiiPfSD_PS3_PT2_iSC_SC_,"axG",@progbits,_Z38paged_attention_ll4mi_QKV_mfma4_kernelI14__hip_bfloat16S0_LN4vllm18Fp8KVCacheDataTypeE0ES0_Li16ELi128ELi256ELb0ELi1EEvPKT_PKT0_S8_ifPKiSA_SA_iPKfiiiPfSD_PS3_PT2_iSC_SC_,comdat
.Lfunc_end668:
	.size	_Z38paged_attention_ll4mi_QKV_mfma4_kernelI14__hip_bfloat16S0_LN4vllm18Fp8KVCacheDataTypeE0ES0_Li16ELi128ELi256ELb0ELi1EEvPKT_PKT0_S8_ifPKiSA_SA_iPKfiiiPfSD_PS3_PT2_iSC_SC_, .Lfunc_end668-_Z38paged_attention_ll4mi_QKV_mfma4_kernelI14__hip_bfloat16S0_LN4vllm18Fp8KVCacheDataTypeE0ES0_Li16ELi128ELi256ELb0ELi1EEvPKT_PKT0_S8_ifPKiSA_SA_iPKfiiiPfSD_PS3_PT2_iSC_SC_
                                        ; -- End function
	.section	.AMDGPU.csdata,"",@progbits
; Kernel info:
; codeLenInByte = 3980
; NumSgprs: 44
; NumVgprs: 94
; NumAgprs: 8
; TotalNumVgprs: 104
; ScratchSize: 0
; MemoryBound: 0
; FloatMode: 240
; IeeeMode: 1
; LDSByteSize: 5280 bytes/workgroup (compile time only)
; SGPRBlocks: 5
; VGPRBlocks: 12
; NumSGPRsForWavesPerEU: 44
; NumVGPRsForWavesPerEU: 104
; AccumOffset: 96
; Occupancy: 4
; WaveLimiterHint : 1
; COMPUTE_PGM_RSRC2:SCRATCH_EN: 0
; COMPUTE_PGM_RSRC2:USER_SGPR: 2
; COMPUTE_PGM_RSRC2:TRAP_HANDLER: 0
; COMPUTE_PGM_RSRC2:TGID_X_EN: 1
; COMPUTE_PGM_RSRC2:TGID_Y_EN: 1
; COMPUTE_PGM_RSRC2:TGID_Z_EN: 1
; COMPUTE_PGM_RSRC2:TIDIG_COMP_CNT: 0
; COMPUTE_PGM_RSRC3_GFX90A:ACCUM_OFFSET: 23
; COMPUTE_PGM_RSRC3_GFX90A:TG_SPLIT: 0
	.section	.text._Z38paged_attention_ll4mi_QKV_mfma4_kernelI14__hip_bfloat16S0_LN4vllm18Fp8KVCacheDataTypeE0ES0_Li16ELi128ELi256ELb0ELi2EEvPKT_PKT0_S8_ifPKiSA_SA_iPKfiiiPfSD_PS3_PT2_iSC_SC_,"axG",@progbits,_Z38paged_attention_ll4mi_QKV_mfma4_kernelI14__hip_bfloat16S0_LN4vllm18Fp8KVCacheDataTypeE0ES0_Li16ELi128ELi256ELb0ELi2EEvPKT_PKT0_S8_ifPKiSA_SA_iPKfiiiPfSD_PS3_PT2_iSC_SC_,comdat
	.protected	_Z38paged_attention_ll4mi_QKV_mfma4_kernelI14__hip_bfloat16S0_LN4vllm18Fp8KVCacheDataTypeE0ES0_Li16ELi128ELi256ELb0ELi2EEvPKT_PKT0_S8_ifPKiSA_SA_iPKfiiiPfSD_PS3_PT2_iSC_SC_ ; -- Begin function _Z38paged_attention_ll4mi_QKV_mfma4_kernelI14__hip_bfloat16S0_LN4vllm18Fp8KVCacheDataTypeE0ES0_Li16ELi128ELi256ELb0ELi2EEvPKT_PKT0_S8_ifPKiSA_SA_iPKfiiiPfSD_PS3_PT2_iSC_SC_
	.globl	_Z38paged_attention_ll4mi_QKV_mfma4_kernelI14__hip_bfloat16S0_LN4vllm18Fp8KVCacheDataTypeE0ES0_Li16ELi128ELi256ELb0ELi2EEvPKT_PKT0_S8_ifPKiSA_SA_iPKfiiiPfSD_PS3_PT2_iSC_SC_
	.p2align	8
	.type	_Z38paged_attention_ll4mi_QKV_mfma4_kernelI14__hip_bfloat16S0_LN4vllm18Fp8KVCacheDataTypeE0ES0_Li16ELi128ELi256ELb0ELi2EEvPKT_PKT0_S8_ifPKiSA_SA_iPKfiiiPfSD_PS3_PT2_iSC_SC_,@function
_Z38paged_attention_ll4mi_QKV_mfma4_kernelI14__hip_bfloat16S0_LN4vllm18Fp8KVCacheDataTypeE0ES0_Li16ELi128ELi256ELb0ELi2EEvPKT_PKT0_S8_ifPKiSA_SA_iPKfiiiPfSD_PS3_PT2_iSC_SC_: ; @_Z38paged_attention_ll4mi_QKV_mfma4_kernelI14__hip_bfloat16S0_LN4vllm18Fp8KVCacheDataTypeE0ES0_Li16ELi128ELi256ELb0ELi2EEvPKT_PKT0_S8_ifPKiSA_SA_iPKfiiiPfSD_PS3_PT2_iSC_SC_
; %bb.0:
	s_load_dwordx2 s[16:17], s[0:1], 0x30
	s_mov_b32 s20, s3
	s_mov_b64 s[6:7], 0
	s_waitcnt lgkmcnt(0)
	s_cmp_lg_u64 s[16:17], 0
	s_cselect_b64 s[18:19], -1, 0
	s_and_b64 vcc, exec, s[18:19]
	s_cbranch_vccz .LBB669_10
; %bb.1:
	s_add_i32 s8, s2, 1
	s_mov_b32 s9, 0
	s_lshl_b64 s[10:11], s[8:9], 2
	s_add_u32 s10, s16, s10
	s_mov_b32 s3, s9
	s_addc_u32 s11, s17, s11
	s_lshl_b64 s[8:9], s[2:3], 2
	s_add_u32 s8, s16, s8
	s_addc_u32 s9, s17, s9
	s_load_dword s5, s[10:11], 0x0
	s_load_dword s12, s[8:9], 0x0
	s_waitcnt lgkmcnt(0)
	s_sub_i32 s5, s5, s12
	s_cmp_eq_u32 s5, 1
	s_cselect_b64 s[8:9], -1, 0
	s_andn2_b64 vcc, exec, s[6:7]
	s_cbranch_vccnz .LBB669_3
.LBB669_2:
	s_mov_b32 s3, 0
	s_mov_b64 s[8:9], -1
.LBB669_3:
	s_andn2_b64 vcc, exec, s[8:9]
	s_cbranch_vccnz .LBB669_25
; %bb.4:
	s_load_dword s5, s[0:1], 0x9c
	s_load_dwordx2 s[6:7], s[0:1], 0x28
	s_add_u32 s24, s0, 0x90
	s_addc_u32 s25, s1, 0
	s_lshl_b64 s[28:29], s[2:3], 2
	s_waitcnt lgkmcnt(0)
	s_and_b32 s5, s5, 0xffff
	s_add_u32 s6, s6, s28
	s_addc_u32 s7, s7, s29
	s_load_dword s3, s[6:7], 0x0
	s_mul_i32 s10, s20, s5
	s_waitcnt lgkmcnt(0)
	s_cmp_ge_i32 s10, s3
	s_cbranch_scc1 .LBB669_25
; %bb.5:
	v_and_b32_e32 v1, 0xc0, v0
	v_add_u32_e32 v2, s10, v1
	v_lshrrev_b32_e32 v70, 6, v0
	v_cmp_le_i32_e64 s[6:7], s3, v2
                                        ; implicit-def: $sgpr21
                                        ; implicit-def: $sgpr11
	s_and_saveexec_b64 s[8:9], s[6:7]
	s_xor_b64 s[8:9], exec, s[8:9]
	s_cbranch_execz .LBB669_7
; %bb.6:
	v_mul_u32_u24_e32 v1, 20, v70
	v_or_b32_e32 v1, 0x1400, v1
	v_mov_b32_e32 v2, 0x1450
	v_mov_b32_e32 v3, 0xff7fffff
	v_mad_u32_u24 v2, v70, 20, v2
	ds_write2_b32 v1, v3, v3 offset1:1
	v_mov_b32_e32 v1, 0
	ds_write2_b32 v2, v1, v1 offset1:1
	v_mov_b32_e32 v2, 0x1408
	s_mov_b32 s11, 0xff7fffff
	s_mov_b32 s21, 0
	v_mad_u32_u24 v2, v70, 20, v2
	v_mov_b32_e32 v4, 0x1458
	v_mad_u32_u24 v4, v70, 20, v4
	ds_write2_b32 v2, v3, v3 offset1:1
	ds_write2_b32 v4, v1, v1 offset1:1
                                        ; implicit-def: $vgpr2
.LBB669_7:
	s_or_saveexec_b64 s[26:27], s[8:9]
	s_load_dwordx2 s[22:23], s[0:1], 0x68
	s_load_dwordx4 s[12:15], s[0:1], 0x58
	s_load_dword s5, s[24:25], 0x4
	v_and_b32_e32 v1, 63, v0
	v_and_b32_e32 v71, 3, v0
	v_mov_b32_e32 v67, s21
	v_mov_b32_e32 v72, s11
	;; [unrolled: 1-line block ×5, first 2 shown]
                                        ; implicit-def: $vgpr51
                                        ; implicit-def: $vgpr55
                                        ; implicit-def: $vgpr11
                                        ; implicit-def: $vgpr23
                                        ; implicit-def: $vgpr39
                                        ; implicit-def: $vgpr3
                                        ; implicit-def: $vgpr19
                                        ; implicit-def: $vgpr27
                                        ; implicit-def: $vgpr63
                                        ; implicit-def: $vgpr59
                                        ; implicit-def: $vgpr7
                                        ; implicit-def: $vgpr15
                                        ; implicit-def: $vgpr31
                                        ; implicit-def: $vgpr35
                                        ; implicit-def: $vgpr43
                                        ; implicit-def: $vgpr47
	s_xor_b64 exec, exec, s[26:27]
	s_cbranch_execz .LBB669_17
; %bb.8:
	s_add_i32 s21, s3, 15
	s_load_dwordx2 s[8:9], s[0:1], 0x20
	s_load_dword s11, s[0:1], 0x38
	s_ashr_i32 s30, s21, 31
	s_lshr_b32 s30, s30, 28
	v_add_u32_e32 v72, s10, v0
	s_add_i32 s21, s21, s30
	v_ashrrev_i32_e32 v3, 31, v72
	s_ashr_i32 s21, s21, 4
	v_lshrrev_b32_e32 v3, 28, v3
	s_add_i32 s21, s21, -1
	v_add_u32_e32 v3, v72, v3
	s_waitcnt lgkmcnt(0)
	s_mul_i32 s30, s2, s11
	s_mov_b32 s31, 0
	v_ashrrev_i32_e32 v3, 4, v3
	v_mov_b32_e32 v4, s21
	v_cmp_gt_i32_e32 vcc, s3, v72
	s_lshl_b64 s[30:31], s[30:31], 2
	s_add_u32 s8, s8, s30
	v_cndmask_b32_e32 v4, v4, v3, vcc
	v_ashrrev_i32_e32 v3, 31, v2
	v_lshrrev_b32_e32 v3, 28, v3
	s_addc_u32 s9, s9, s31
	v_ashrrev_i32_e32 v5, 31, v4
	v_add_u32_e32 v2, v2, v3
	v_lshl_add_u64 v[8:9], v[4:5], 2, s[8:9]
	v_ashrrev_i32_e32 v4, 4, v2
	v_min_i32_e32 v2, s21, v4
	v_ashrrev_i32_e32 v3, 31, v2
	v_lshl_add_u64 v[10:11], v[2:3], 2, s[8:9]
	v_add_u32_e32 v2, 1, v4
	v_min_i32_e32 v2, s21, v2
	v_ashrrev_i32_e32 v3, 31, v2
	v_lshl_add_u64 v[12:13], v[2:3], 2, s[8:9]
	v_add_u32_e32 v2, 2, v4
	;; [unrolled: 4-line block ×3, first 2 shown]
	v_min_i32_e32 v2, s21, v2
	v_ashrrev_i32_e32 v3, 31, v2
	v_lshl_add_u64 v[16:17], v[2:3], 2, s[8:9]
	global_load_dword v2, v[8:9], off
	global_load_dword v4, v[10:11], off
	;; [unrolled: 1-line block ×5, first 2 shown]
	s_load_dwordx4 s[8:11], s[0:1], 0x8
	s_andn2_b64 vcc, exec, s[18:19]
	s_cbranch_vccnz .LBB669_11
; %bb.9:
	s_add_u32 s16, s16, s28
	s_addc_u32 s17, s17, s29
	s_load_dword s21, s[16:17], 0x0
	s_branch .LBB669_12
.LBB669_10:
	s_mov_b64 s[8:9], 0
	s_branch .LBB669_2
.LBB669_11:
	s_mov_b32 s21, s2
.LBB669_12:
	s_load_dwordx4 s[16:19], s[0:1], 0x48
	v_cmp_gt_u32_e32 vcc, 2, v71
	s_mov_b32 s29, 0
	v_mov_b32_e32 v51, 0
	v_mov_b32_e32 v66, 0
	;; [unrolled: 1-line block ×5, first 2 shown]
	s_and_saveexec_b64 s[30:31], vcc
	s_cbranch_execz .LBB669_14
; %bb.13:
	s_load_dwordx2 s[34:35], s[0:1], 0x0
	s_waitcnt lgkmcnt(0)
	s_ashr_i32 s19, s16, 31
	s_mul_hi_u32 s28, s21, s16
	s_mul_i32 s19, s21, s19
	s_add_i32 s37, s28, s19
	s_mul_i32 s36, s21, s16
	s_lshl_b64 s[36:37], s[36:37], 1
	s_add_u32 s16, s34, s36
	s_addc_u32 s19, s35, s37
	s_lshl_b32 s28, s4, 8
	s_lshl_b64 s[34:35], s[28:29], 1
	v_lshlrev_b32_e32 v3, 2, v1
	s_add_u32 s34, s16, s34
	v_and_b32_e32 v3, 0xf0, v3
	s_addc_u32 s35, s19, s35
	v_lshl_or_b32 v3, v71, 8, v3
	global_load_dwordx4 v[66:69], v3, s[34:35]
.LBB669_14:
	s_or_b64 exec, exec, s[30:31]
	s_waitcnt lgkmcnt(0)
	s_mul_i32 s28, s4, s18
	s_lshl_b64 s[18:19], s[28:29], 1
	s_add_u32 s8, s18, s8
	s_waitcnt vmcnt(4)
	v_mad_i64_i32 v[2:3], s[30:31], v2, s17, 0
	s_addc_u32 s9, s19, s9
	v_and_b32_e32 v8, 15, v0
	v_lshl_add_u64 v[2:3], v[2:3], 1, s[8:9]
	v_lshlrev_b32_e32 v50, 4, v8
	v_lshl_add_u64 v[2:3], v[2:3], 0, v[50:51]
	global_load_dwordx4 v[8:11], v[2:3], off
	global_load_dwordx4 v[12:15], v[2:3], off offset:256
	global_load_dwordx4 v[16:19], v[2:3], off offset:512
	;; [unrolled: 1-line block ×15, first 2 shown]
	s_waitcnt vmcnt(19)
	v_mul_hi_i32 v48, v4, s17
	s_waitcnt vmcnt(18)
	v_mul_hi_i32 v50, v5, s17
	;; [unrolled: 2-line block ×4, first 2 shown]
	v_ashrrev_i32_e32 v94, 31, v48
	v_ashrrev_i32_e32 v48, 31, v50
	;; [unrolled: 1-line block ×4, first 2 shown]
	v_mov_b32_e32 v49, v51
	v_mov_b32_e32 v65, v51
	;; [unrolled: 1-line block ×3, first 2 shown]
	v_lshrrev_b32_e32 v48, 29, v48
	v_lshrrev_b32_e32 v64, 29, v50
	;; [unrolled: 1-line block ×3, first 2 shown]
	v_mad_i64_i32 v[2:3], s[8:9], v5, s17, v[48:49]
	v_mad_i64_i32 v[48:49], s[8:9], v6, s17, v[64:65]
	;; [unrolled: 1-line block ×3, first 2 shown]
	s_add_u32 s8, s10, s18
	v_lshrrev_b32_e32 v50, 29, v94
	s_addc_u32 s9, s11, s19
	v_mad_i64_i32 v[4:5], s[10:11], v4, s17, v[50:51]
	v_lshlrev_b64 v[2:3], 1, v[2:3]
	v_lshlrev_b64 v[6:7], 1, v[6:7]
	;; [unrolled: 1-line block ×3, first 2 shown]
	v_and_b32_e32 v2, -16, v2
	v_and_b32_e32 v6, -16, v6
	v_and_b32_e32 v64, -16, v64
	v_lshlrev_b32_e32 v50, 5, v1
	v_lshl_add_u64 v[2:3], s[8:9], 0, v[2:3]
	v_lshl_add_u64 v[6:7], s[8:9], 0, v[6:7]
	v_lshl_add_u64 v[2:3], v[2:3], 0, v[50:51]
	v_lshl_add_u64 v[86:87], v[6:7], 0, v[50:51]
	s_load_dword s0, s[0:1], 0x1c
	v_cmp_eq_u32_e32 vcc, 0, v71
	v_and_b32_e32 v92, -4, v72
	v_mov_b32_e32 v73, 0xff7fffff
	v_cndmask_b32_e64 v88, 0, 1.0, vcc
	v_cmp_eq_u32_e32 vcc, 1, v71
	v_or_b32_e32 v72, 3, v72
	v_cmp_gt_i32_e64 s[10:11], s3, v72
	v_cndmask_b32_e64 v89, 0, 1.0, vcc
	v_cmp_eq_u32_e32 vcc, 2, v71
	v_lshlrev_b32_e32 v93, 2, v0
	s_waitcnt vmcnt(15)
	v_mfma_f32_4x4x4_16b_bf16 a[0:3], v[66:67], v[8:9], 0 cbsz:4
	v_lshlrev_b64 v[8:9], 1, v[48:49]
	s_nop 0
	v_mfma_f32_4x4x4_16b_bf16 a[0:3], v[68:69], v[10:11], a[0:3] cbsz:4
	v_and_b32_e32 v8, -16, v8
	v_lshl_add_u64 v[8:9], s[8:9], 0, v[8:9]
	s_waitcnt vmcnt(14)
	v_mfma_f32_4x4x4_16b_bf16 a[0:3], v[66:67], v[12:13], a[0:3] cbsz:4 abid:1
	v_cndmask_b32_e64 v90, 0, 1.0, vcc
	v_cmp_eq_u32_e32 vcc, 3, v71
	v_mfma_f32_4x4x4_16b_bf16 a[0:3], v[68:69], v[14:15], a[0:3] cbsz:4 abid:1
	s_nop 0
	v_cndmask_b32_e64 v91, 0, 1.0, vcc
	s_waitcnt vmcnt(13)
	v_mfma_f32_4x4x4_16b_bf16 a[0:3], v[66:67], v[16:17], a[0:3] cbsz:4 abid:2
	v_cmp_gt_i32_e32 vcc, s3, v92
	s_nop 0
	v_mfma_f32_4x4x4_16b_bf16 a[0:3], v[68:69], v[18:19], a[0:3] cbsz:4 abid:2
	v_lshl_add_u64 v[18:19], v[8:9], 0, v[50:51]
	s_waitcnt vmcnt(12)
	v_mfma_f32_4x4x4_16b_bf16 a[0:3], v[66:67], v[20:21], a[0:3] cbsz:4 abid:3
	s_nop 1
	v_mfma_f32_4x4x4_16b_bf16 a[0:3], v[68:69], v[22:23], a[0:3] cbsz:4 abid:3
	s_waitcnt vmcnt(11)
	s_nop 0
	v_mfma_f32_4x4x4_16b_bf16 a[0:3], v[66:67], v[24:25], a[0:3] cbsz:4 abid:4
	global_load_dwordx4 v[10:13], v[2:3], off
	global_load_dwordx4 v[22:25], v[2:3], off offset:16
	v_mfma_f32_4x4x4_16b_bf16 a[0:3], v[68:69], v[26:27], a[0:3] cbsz:4 abid:4
	global_load_dwordx4 v[6:9], v[2:3], off offset:2048
	global_load_dwordx4 v[14:17], v[2:3], off offset:2064
	s_waitcnt vmcnt(14)
	v_mfma_f32_4x4x4_16b_bf16 a[0:3], v[66:67], v[28:29], a[0:3] cbsz:4 abid:5
	s_nop 1
	v_mfma_f32_4x4x4_16b_bf16 a[0:3], v[68:69], v[30:31], a[0:3] cbsz:4 abid:5
	s_waitcnt vmcnt(13)
	s_nop 0
	v_mfma_f32_4x4x4_16b_bf16 a[0:3], v[66:67], v[32:33], a[0:3] cbsz:4 abid:6
	s_nop 1
	v_mfma_f32_4x4x4_16b_bf16 a[0:3], v[68:69], v[34:35], a[0:3] cbsz:4 abid:6
	s_waitcnt vmcnt(12)
	s_nop 0
	;; [unrolled: 5-line block ×3, first 2 shown]
	v_mfma_f32_4x4x4_16b_bf16 a[0:3], v[66:67], v[40:41], a[0:3] cbsz:4 abid:8
	global_load_dwordx4 v[38:41], v[18:19], off
	global_load_dwordx4 v[2:5], v[18:19], off offset:16
	v_mfma_f32_4x4x4_16b_bf16 a[0:3], v[68:69], v[42:43], a[0:3] cbsz:4 abid:8
	global_load_dwordx4 v[30:33], v[18:19], off offset:2048
	global_load_dwordx4 v[34:37], v[18:19], off offset:2064
	s_waitcnt vmcnt(14)
	v_mfma_f32_4x4x4_16b_bf16 a[0:3], v[66:67], v[44:45], a[0:3] cbsz:4 abid:9
	global_load_dwordx4 v[18:21], v[86:87], off
	global_load_dwordx4 v[26:29], v[86:87], off offset:16
	v_mfma_f32_4x4x4_16b_bf16 a[0:3], v[68:69], v[46:47], a[0:3] cbsz:4 abid:9
	global_load_dwordx4 v[42:45], v[86:87], off offset:2048
	global_load_dwordx4 v[46:49], v[86:87], off offset:2064
	s_waitcnt vmcnt(17)
	v_mfma_f32_4x4x4_16b_bf16 a[0:3], v[66:67], v[52:53], a[0:3] cbsz:4 abid:10
	v_lshl_add_u64 v[52:53], s[8:9], 0, v[64:65]
	s_nop 0
	v_mfma_f32_4x4x4_16b_bf16 a[0:3], v[68:69], v[54:55], a[0:3] cbsz:4 abid:10
	s_waitcnt vmcnt(16)
	s_nop 0
	v_mfma_f32_4x4x4_16b_bf16 a[0:3], v[66:67], v[56:57], a[0:3] cbsz:4 abid:11
	s_nop 1
	v_mfma_f32_4x4x4_16b_bf16 a[0:3], v[68:69], v[58:59], a[0:3] cbsz:4 abid:11
	s_waitcnt vmcnt(15)
	s_nop 0
	v_mfma_f32_4x4x4_16b_bf16 a[0:3], v[66:67], v[60:61], a[0:3] cbsz:4 abid:12
	;; [unrolled: 5-line block ×3, first 2 shown]
	v_lshl_add_u64 v[74:75], v[52:53], 0, v[50:51]
	global_load_dwordx4 v[50:53], v[74:75], off
	global_load_dwordx4 v[54:57], v[74:75], off offset:16
	global_load_dwordx4 v[62:65], v[74:75], off offset:2048
	;; [unrolled: 1-line block ×3, first 2 shown]
	v_mfma_f32_4x4x4_16b_bf16 a[0:3], v[68:69], v[76:77], a[0:3] cbsz:4 abid:13
	v_and_or_b32 v74, v93, 48, v71
	v_lshlrev_b32_e32 v74, 2, v74
	s_waitcnt vmcnt(17)
	v_mfma_f32_4x4x4_16b_bf16 a[0:3], v[66:67], v[78:79], a[0:3] cbsz:4 abid:14
	s_nop 1
	v_mfma_f32_4x4x4_16b_bf16 a[0:3], v[68:69], v[80:81], a[0:3] cbsz:4 abid:14
	s_waitcnt vmcnt(16)
	s_nop 0
	v_mfma_f32_4x4x4_16b_bf16 a[0:3], v[66:67], v[82:83], a[0:3] cbsz:4 abid:15
	s_nop 1
	v_mfma_f32_4x4x4_16b_bf16 a[0:3], v[68:69], v[84:85], a[0:3] cbsz:4 abid:15
	s_nop 4
	v_accvgpr_read_b32 v67, a1
	v_accvgpr_read_b32 v66, a0
	s_waitcnt lgkmcnt(0)
	v_pk_mul_f32 v[66:67], s[0:1], v[66:67] op_sel_hi:[0,1]
	v_accvgpr_read_b32 v69, a3
	v_accvgpr_read_b32 v68, a2
	v_pk_mul_f32 v[68:69], s[0:1], v[68:69] op_sel_hi:[0,1]
	v_mfma_f32_4x4x1_16b_f32 a[0:3], v66, v88, 0
	v_or_b32_e32 v66, 1, v92
	s_nop 0
	v_mfma_f32_4x4x1_16b_f32 a[0:3], v67, v89, a[0:3]
	v_cmp_gt_i32_e64 s[0:1], s3, v66
	v_or_b32_e32 v67, 2, v92
	v_mfma_f32_4x4x1_16b_f32 a[0:3], v68, v90, a[0:3]
	v_cmp_gt_i32_e64 s[8:9], s3, v67
	s_nop 0
	v_mfma_f32_4x4x1_16b_f32 a[0:3], v69, v91, a[0:3]
	s_nop 3
	v_accvgpr_read_b32 v68, a0
	v_max_f32_e32 v77, v68, v68
	v_accvgpr_read_b32 v69, a1
	v_max_f32_e32 v77, 0xff7fffff, v77
	v_max_f32_e32 v78, v69, v69
	v_cndmask_b32_e32 v73, v73, v77, vcc
	v_accvgpr_read_b32 v75, a2
	v_max_f32_e32 v77, v73, v78
	v_max_f32_e32 v79, v75, v75
	v_cndmask_b32_e64 v66, v73, v77, s[0:1]
	v_accvgpr_read_b32 v76, a3
	v_max_f32_e32 v73, v66, v79
	v_max_f32_e32 v80, v76, v76
	v_cndmask_b32_e64 v66, v66, v73, s[8:9]
	v_max_f32_e32 v67, v66, v80
	v_cndmask_b32_e64 v66, v66, v67, s[10:11]
	;;#ASMSTART
	v_nop
 v_nop
 v_max_f32_dpp v66, v66, v66 row_ror:4
	;;#ASMEND
	s_nop 0
	;;#ASMSTART
	v_nop
 v_nop
 v_max_f32_dpp v66, v66, v66 row_ror:8
	;;#ASMEND
	ds_bpermute_b32 v66, v74, v66
	s_waitcnt lgkmcnt(0)
	;;#ASMSTART
	v_nop
 v_nop
 v_max_f32_dpp v66, v66, v66 row_ror:4
	;;#ASMEND
	s_nop 0
	;;#ASMSTART
	v_nop
 v_nop
 v_max_f32_dpp v72, v66, v66 row_ror:8
	;;#ASMEND
	s_nop 0
	v_sub_f32_e32 v66, v68, v72
	v_sub_f32_e32 v67, v69, v72
	;; [unrolled: 1-line block ×3, first 2 shown]
	v_mul_f32_e32 v66, 0x3fb8aa3b, v66
	v_mul_f32_e32 v67, 0x3fb8aa3b, v67
	;; [unrolled: 1-line block ×3, first 2 shown]
	v_exp_f32_e32 v66, v66
	v_sub_f32_e32 v69, v76, v72
	v_exp_f32_e32 v67, v67
	v_exp_f32_e32 v73, v68
	v_mul_f32_e32 v69, 0x3fb8aa3b, v69
	v_exp_f32_e32 v75, v69
	v_cndmask_b32_e32 v68, 0, v66, vcc
	v_cndmask_b32_e64 v69, 0, v67, s[0:1]
	v_cndmask_b32_e64 v66, 0, v73, s[8:9]
	v_add_f32_e32 v73, 0, v68
	v_add_f32_e32 v73, v73, v69
	v_cndmask_b32_e64 v67, 0, v75, s[10:11]
	v_add_f32_e32 v73, v73, v66
	v_add_f32_e32 v73, v73, v67
	;;#ASMSTART
	v_nop
 v_nop
 v_add_f32_dpp v73, v73, v73 row_ror:4
	;;#ASMEND
	v_cmp_gt_u32_e32 vcc, 4, v1
	;;#ASMSTART
	v_nop
 v_nop
 v_add_f32_dpp v73, v73, v73 row_ror:8
	;;#ASMEND
	ds_bpermute_b32 v73, v74, v73
	s_waitcnt lgkmcnt(0)
	;;#ASMSTART
	v_nop
 v_nop
 v_add_f32_dpp v73, v73, v73 row_ror:4
	;;#ASMEND
	s_nop 0
	;;#ASMSTART
	v_nop
 v_nop
 v_add_f32_dpp v73, v73, v73 row_ror:8
	;;#ASMEND
	s_and_saveexec_b64 s[0:1], vcc
	s_cbranch_execz .LBB669_16
; %bb.15:
	v_mul_u32_u24_e32 v74, 20, v70
	v_lshl_add_u32 v74, v71, 2, v74
	v_add_u32_e32 v74, 0x1400, v74
	ds_write2_b32 v74, v72, v73 offset1:20
.LBB669_16:
	s_or_b64 exec, exec, s[0:1]
.LBB669_17:
	s_or_b64 exec, exec, s[26:27]
	s_waitcnt lgkmcnt(0)
	s_barrier
	s_load_dword s0, s[24:25], 0x8
	v_lshlrev_b32_e32 v73, 2, v71
	v_add_u32_e32 v73, 0x1400, v73
	ds_read2_b32 v[76:77], v73 offset1:5
	ds_read2_b32 v[78:79], v73 offset0:10 offset1:15
	s_mul_i32 s1, s2, s5
	s_waitcnt lgkmcnt(0)
	s_mul_i32 s1, s1, s0
	s_lshl_b32 s0, s1, 1
	s_mov_b32 s1, 0xff7fffff
	v_max3_f32 v74, v76, s1, v77
	v_max3_f32 v74, v74, v78, v79
	v_sub_f32_e32 v75, v76, v74
	v_sub_f32_e32 v76, v77, v74
	ds_read2_b32 v[80:81], v73 offset0:20 offset1:25
	v_mul_f32_e32 v75, 0x3fb8aa3b, v75
	v_mul_f32_e32 v76, 0x3fb8aa3b, v76
	v_exp_f32_e32 v75, v75
	v_exp_f32_e32 v82, v76
	ds_read2_b32 v[76:77], v73 offset0:30 offset1:35
	v_sub_f32_e32 v73, v78, v74
	v_mul_f32_e32 v73, 0x3fb8aa3b, v73
	v_sub_f32_e32 v78, v79, v74
	v_exp_f32_e32 v73, v73
	v_mul_f32_e32 v78, 0x3fb8aa3b, v78
	v_exp_f32_e32 v78, v78
	s_waitcnt lgkmcnt(1)
	v_fma_f32 v75, v75, v80, 0
	v_fmac_f32_e32 v75, v82, v81
	s_waitcnt lgkmcnt(0)
	v_fmac_f32_e32 v75, v73, v76
	s_lshl_b32 s4, s4, 1
	v_fmac_f32_e32 v75, v78, v77
	v_cmp_gt_u32_e32 vcc, 2, v71
	s_and_saveexec_b64 s[2:3], vcc
	s_cbranch_execz .LBB669_19
; %bb.18:
	s_mov_b32 s1, 0
	s_lshl_b64 s[8:9], s[0:1], 2
	s_add_u32 s12, s12, s8
	s_mov_b32 s21, s1
	s_addc_u32 s13, s13, s9
	s_lshl_b64 s[10:11], s[20:21], 2
	s_add_u32 s12, s12, s10
	s_addc_u32 s13, s13, s11
	s_add_u32 s1, s14, s8
	s_addc_u32 s9, s15, s9
	v_or_b32_e32 v71, s4, v71
	s_add_u32 s8, s1, s10
	v_mul_lo_u32 v76, s5, v71
	v_mov_b32_e32 v77, 0
	s_addc_u32 s9, s9, s11
	v_lshlrev_b64 v[76:77], 2, v[76:77]
	v_lshl_add_u64 v[78:79], s[12:13], 0, v[76:77]
	v_lshl_add_u64 v[76:77], s[8:9], 0, v[76:77]
	global_store_dword v[76:77], v74, off
	global_store_dword v[78:79], v75, off
.LBB669_19:
	s_or_b64 exec, exec, s[2:3]
	v_lshlrev_b32_e32 v73, 3, v70
                                        ; implicit-def: $sgpr1
	s_and_saveexec_b64 s[2:3], s[6:7]
	s_xor_b64 s[2:3], exec, s[2:3]
	s_cbranch_execz .LBB669_21
; %bb.20:
	s_waitcnt vmcnt(10)
	v_mov_b32_e32 v2, 0
	v_mad_u32_u24 v4, v1, 40, v73
	s_mov_b32 s1, 0
	v_mov_b32_e32 v3, v2
	ds_write_b64 v4, v[2:3]
                                        ; implicit-def: $vgpr67
                                        ; implicit-def: $vgpr69
                                        ; implicit-def: $vgpr51
                                        ; implicit-def: $vgpr55
                                        ; implicit-def: $vgpr11
                                        ; implicit-def: $vgpr23
                                        ; implicit-def: $vgpr39
                                        ; implicit-def: $vgpr3
                                        ; implicit-def: $vgpr19
                                        ; implicit-def: $vgpr27
                                        ; implicit-def: $vgpr63
                                        ; implicit-def: $vgpr59
                                        ; implicit-def: $vgpr7
                                        ; implicit-def: $vgpr15
                                        ; implicit-def: $vgpr31
                                        ; implicit-def: $vgpr35
                                        ; implicit-def: $vgpr43
                                        ; implicit-def: $vgpr47
                                        ; implicit-def: $vgpr72
                                        ; implicit-def: $vgpr74
                                        ; implicit-def: $vgpr75
.LBB669_21:
	s_or_saveexec_b64 s[2:3], s[2:3]
	v_mov_b32_e32 v70, s1
	v_mov_b32_e32 v71, s1
	s_xor_b64 exec, exec, s[2:3]
	s_cbranch_execz .LBB669_23
; %bb.22:
	v_add_f32_e32 v70, 0x358637bd, v75
	v_div_scale_f32 v71, s[6:7], v70, v70, 1.0
	v_rcp_f32_e32 v75, v71
	v_sub_f32_e32 v72, v72, v74
	v_mul_f32_e32 v72, 0x3fb8aa3b, v72
	v_exp_f32_e32 v72, v72
	v_fma_f32 v74, -v71, v75, 1.0
	v_fmac_f32_e32 v75, v74, v75
	v_div_scale_f32 v74, vcc, 1.0, v70, 1.0
	v_mul_f32_e32 v76, v74, v75
	v_fma_f32 v77, -v71, v76, v74
	v_fmac_f32_e32 v76, v77, v75
	v_fma_f32 v71, -v71, v76, v74
	v_div_fmas_f32 v71, v71, v75, v76
	v_div_fixup_f32 v70, v71, v70, 1.0
	v_mul_f32_e32 v70, v72, v70
	v_pk_mul_f32 v[68:69], v[68:69], v[70:71] op_sel_hi:[1,0]
	v_pk_mul_f32 v[66:67], v[66:67], v[70:71] op_sel_hi:[1,0]
	v_bfe_u32 v70, v69, 16, 1
	v_bfe_u32 v71, v68, 16, 1
	s_movk_i32 s1, 0x7fff
	v_add3_u32 v68, v68, v71, s1
	v_add3_u32 v69, v69, v70, s1
	s_mov_b32 s6, 0x7060302
	v_perm_b32 v68, v69, v68, s6
	v_bfe_u32 v69, v67, 16, 1
	v_bfe_u32 v70, v66, 16, 1
	v_add3_u32 v66, v66, v70, s1
	v_add3_u32 v67, v67, v69, s1
	v_perm_b32 v69, v67, v66, s6
	s_waitcnt vmcnt(3)
	s_nop 0
	v_mfma_f32_4x4x4_16b_bf16 a[0:3], v[68:69], v[50:51], 0 cbsz:4
	s_nop 1
	v_mfma_f32_4x4x4_16b_bf16 a[0:3], v[68:69], v[52:53], a[0:3] cbsz:4 abid:1
	s_waitcnt vmcnt(1)
	v_mfma_f32_4x4x4_16b_bf16 a[4:7], v[68:69], v[62:63], 0 cbsz:4
	v_mfma_f32_4x4x4_16b_bf16 a[0:3], v[68:69], v[54:55], a[0:3] cbsz:4 abid:2
	s_nop 0
	v_mfma_f32_4x4x4_16b_bf16 a[4:7], v[68:69], v[64:65], a[4:7] cbsz:4 abid:1
	v_mfma_f32_4x4x4_16b_bf16 a[0:3], v[68:69], v[56:57], a[0:3] cbsz:4 abid:3
	s_waitcnt vmcnt(0)
	v_mfma_f32_4x4x4_16b_bf16 a[4:7], v[68:69], v[58:59], a[4:7] cbsz:4 abid:2
	v_mfma_f32_4x4x4_16b_bf16 a[0:3], v[68:69], v[10:11], a[0:3] cbsz:4 abid:4
	s_nop 1
	v_mfma_f32_4x4x4_16b_bf16 a[0:3], v[68:69], v[12:13], a[0:3] cbsz:4 abid:5
	s_nop 1
	;; [unrolled: 2-line block ×12, first 2 shown]
	v_accvgpr_read_b32 v3, a2
	v_accvgpr_read_b32 v4, a3
	;; [unrolled: 1-line block ×4, first 2 shown]
	v_mfma_f32_4x4x4_16b_bf16 a[0:3], v[68:69], v[60:61], a[4:7] cbsz:4 abid:3
	v_bfe_u32 v10, v5, 16, 1
	v_add3_u32 v5, v5, v10, s1
	v_mfma_f32_4x4x4_16b_bf16 a[0:3], v[68:69], v[6:7], a[0:3] cbsz:4 abid:4
	v_bfe_u32 v6, v2, 16, 1
	v_add3_u32 v2, v2, v6, s1
	v_mfma_f32_4x4x4_16b_bf16 a[0:3], v[68:69], v[8:9], a[0:3] cbsz:4 abid:5
	v_perm_b32 v2, v5, v2, s6
	v_bfe_u32 v5, v4, 16, 1
	v_mfma_f32_4x4x4_16b_bf16 a[0:3], v[68:69], v[14:15], a[0:3] cbsz:4 abid:6
	v_bfe_u32 v6, v3, 16, 1
	v_add3_u32 v3, v3, v6, s1
	v_mfma_f32_4x4x4_16b_bf16 a[0:3], v[68:69], v[16:17], a[0:3] cbsz:4 abid:7
	v_add3_u32 v4, v4, v5, s1
	v_perm_b32 v3, v4, v3, s6
	v_mfma_f32_4x4x4_16b_bf16 a[0:3], v[68:69], v[30:31], a[0:3] cbsz:4 abid:8
	v_mad_u32_u24 v4, v1, 40, v73
	ds_write_b64 v4, v[2:3]
	v_mfma_f32_4x4x4_16b_bf16 a[0:3], v[68:69], v[32:33], a[0:3] cbsz:4 abid:9
	s_nop 1
	v_mfma_f32_4x4x4_16b_bf16 a[0:3], v[68:69], v[34:35], a[0:3] cbsz:4 abid:10
	s_nop 1
	;; [unrolled: 2-line block ×7, first 2 shown]
	v_accvgpr_read_b32 v4, a0
	v_accvgpr_read_b32 v5, a1
	;; [unrolled: 1-line block ×4, first 2 shown]
	v_bfe_u32 v6, v5, 16, 1
	v_bfe_u32 v7, v4, 16, 1
	v_add3_u32 v4, v4, v7, s1
	v_add3_u32 v5, v5, v6, s1
	v_bfe_u32 v6, v3, 16, 1
	v_bfe_u32 v7, v2, 16, 1
	v_add3_u32 v2, v2, v7, s1
	v_add3_u32 v3, v3, v6, s1
	v_perm_b32 v71, v3, v2, s6
	v_perm_b32 v70, v5, v4, s6
.LBB669_23:
	s_or_b64 exec, exec, s[2:3]
	s_waitcnt vmcnt(10)
	v_mad_u32_u24 v2, v1, 40, v73
	v_cmp_gt_u32_e32 vcc, 64, v0
	ds_write_b64 v2, v[70:71] offset:2560
	s_waitcnt lgkmcnt(0)
	s_barrier
	s_and_saveexec_b64 s[2:3], vcc
	s_cbranch_execz .LBB669_25
; %bb.24:
	v_mul_u32_u24_e32 v6, 40, v1
	ds_read2_b64 v[2:5], v6 offset1:1
	ds_read2_b64 v[6:9], v6 offset0:2 offset1:3
	s_mov_b32 s1, 0
	s_lshl_b32 s0, s0, 7
	s_lshl_b64 s[2:3], s[0:1], 1
	s_waitcnt lgkmcnt(1)
	v_and_b32_e32 v3, 0xffff0000, v2
	v_add_f32_e32 v3, 0, v3
	v_and_b32_e32 v5, 0xffff0000, v4
	v_and_b32_e32 v3, 0xffff0000, v3
	v_add_f32_e32 v3, v3, v5
	s_waitcnt lgkmcnt(0)
	v_and_b32_e32 v7, 0xffff0000, v6
	v_and_b32_e32 v3, 0xffff0000, v3
	v_add_f32_e32 v3, v3, v7
	v_mov_b32_e32 v7, 0xa00
	v_mad_u32_u24 v7, v1, 40, v7
	ds_read2_b64 v[10:13], v7 offset1:1
	v_and_b32_e32 v3, 0xffff0000, v3
	v_and_b32_e32 v5, 0xffff0000, v8
	v_add_f32_e32 v7, v3, v5
	v_mov_b32_e32 v3, 0xa10
	v_mad_u32_u24 v1, v1, 40, v3
	ds_read2_b64 v[14:17], v1 offset1:1
	s_waitcnt lgkmcnt(1)
	v_lshlrev_b32_e32 v1, 16, v10
	v_add_f32_e32 v1, 0, v1
	v_and_b32_e32 v3, 0xffff0000, v10
	v_and_b32_e32 v1, 0xffff0000, v1
	v_add_f32_e32 v3, 0, v3
	v_lshlrev_b32_e32 v5, 16, v12
	v_and_b32_e32 v3, 0xffff0000, v3
	v_add_f32_e32 v1, v1, v5
	v_and_b32_e32 v5, 0xffff0000, v12
	v_and_b32_e32 v1, 0xffff0000, v1
	v_add_f32_e32 v3, v3, v5
	s_waitcnt lgkmcnt(0)
	v_lshlrev_b32_e32 v5, 16, v14
	v_and_b32_e32 v3, 0xffff0000, v3
	v_add_f32_e32 v1, v1, v5
	v_and_b32_e32 v5, 0xffff0000, v14
	v_and_b32_e32 v1, 0xffff0000, v1
	v_add_f32_e32 v3, v3, v5
	v_lshlrev_b32_e32 v5, 16, v16
	v_and_b32_e32 v3, 0xffff0000, v3
	v_add_f32_e32 v9, v1, v5
	v_and_b32_e32 v1, 0xffff0000, v16
	v_add_f32_e32 v10, v3, v1
	v_lshlrev_b32_e32 v1, 16, v2
	s_add_u32 s2, s22, s2
	v_add_f32_e32 v1, 0, v1
	s_addc_u32 s3, s23, s3
	s_lshl_b32 s0, s20, 7
	v_and_b32_e32 v1, 0xffff0000, v1
	v_lshlrev_b32_e32 v2, 16, v4
	s_lshl_b64 s[0:1], s[0:1], 1
	v_add_f32_e32 v1, v1, v2
	s_add_u32 s0, s2, s0
	v_and_b32_e32 v1, 0xffff0000, v1
	v_lshlrev_b32_e32 v2, 16, v6
	s_addc_u32 s1, s3, s1
	s_lshl_b32 s2, s5, 7
	v_add_f32_e32 v1, v1, v2
	v_and_b32_e32 v1, 0xffff0000, v1
	v_lshlrev_b32_e32 v2, 16, v8
	s_mul_i32 s3, s2, s4
	v_add_f32_e32 v1, v1, v2
	v_or_b32_e32 v2, s3, v0
	v_mov_b32_e32 v3, 0
	s_add_i32 s3, s3, s2
	v_lshl_add_u64 v[4:5], v[2:3], 1, s[0:1]
	v_or_b32_e32 v2, s3, v0
	global_store_short_d16_hi v[4:5], v1, off
	v_lshl_add_u64 v[0:1], v[2:3], 1, s[0:1]
	global_store_short_d16_hi v[0:1], v7, off
	global_store_short_d16_hi v[4:5], v9, off offset:128
	global_store_short_d16_hi v[0:1], v10, off offset:128
.LBB669_25:
	s_endpgm
	.section	.rodata,"a",@progbits
	.p2align	6, 0x0
	.amdhsa_kernel _Z38paged_attention_ll4mi_QKV_mfma4_kernelI14__hip_bfloat16S0_LN4vllm18Fp8KVCacheDataTypeE0ES0_Li16ELi128ELi256ELb0ELi2EEvPKT_PKT0_S8_ifPKiSA_SA_iPKfiiiPfSD_PS3_PT2_iSC_SC_
		.amdhsa_group_segment_fixed_size 5280
		.amdhsa_private_segment_fixed_size 0
		.amdhsa_kernarg_size 400
		.amdhsa_user_sgpr_count 2
		.amdhsa_user_sgpr_dispatch_ptr 0
		.amdhsa_user_sgpr_queue_ptr 0
		.amdhsa_user_sgpr_kernarg_segment_ptr 1
		.amdhsa_user_sgpr_dispatch_id 0
		.amdhsa_user_sgpr_kernarg_preload_length 0
		.amdhsa_user_sgpr_kernarg_preload_offset 0
		.amdhsa_user_sgpr_private_segment_size 0
		.amdhsa_uses_dynamic_stack 0
		.amdhsa_enable_private_segment 0
		.amdhsa_system_sgpr_workgroup_id_x 1
		.amdhsa_system_sgpr_workgroup_id_y 1
		.amdhsa_system_sgpr_workgroup_id_z 1
		.amdhsa_system_sgpr_workgroup_info 0
		.amdhsa_system_vgpr_workitem_id 0
		.amdhsa_next_free_vgpr 104
		.amdhsa_next_free_sgpr 38
		.amdhsa_accum_offset 96
		.amdhsa_reserve_vcc 1
		.amdhsa_float_round_mode_32 0
		.amdhsa_float_round_mode_16_64 0
		.amdhsa_float_denorm_mode_32 3
		.amdhsa_float_denorm_mode_16_64 3
		.amdhsa_dx10_clamp 1
		.amdhsa_ieee_mode 1
		.amdhsa_fp16_overflow 0
		.amdhsa_tg_split 0
		.amdhsa_exception_fp_ieee_invalid_op 0
		.amdhsa_exception_fp_denorm_src 0
		.amdhsa_exception_fp_ieee_div_zero 0
		.amdhsa_exception_fp_ieee_overflow 0
		.amdhsa_exception_fp_ieee_underflow 0
		.amdhsa_exception_fp_ieee_inexact 0
		.amdhsa_exception_int_div_zero 0
	.end_amdhsa_kernel
	.section	.text._Z38paged_attention_ll4mi_QKV_mfma4_kernelI14__hip_bfloat16S0_LN4vllm18Fp8KVCacheDataTypeE0ES0_Li16ELi128ELi256ELb0ELi2EEvPKT_PKT0_S8_ifPKiSA_SA_iPKfiiiPfSD_PS3_PT2_iSC_SC_,"axG",@progbits,_Z38paged_attention_ll4mi_QKV_mfma4_kernelI14__hip_bfloat16S0_LN4vllm18Fp8KVCacheDataTypeE0ES0_Li16ELi128ELi256ELb0ELi2EEvPKT_PKT0_S8_ifPKiSA_SA_iPKfiiiPfSD_PS3_PT2_iSC_SC_,comdat
.Lfunc_end669:
	.size	_Z38paged_attention_ll4mi_QKV_mfma4_kernelI14__hip_bfloat16S0_LN4vllm18Fp8KVCacheDataTypeE0ES0_Li16ELi128ELi256ELb0ELi2EEvPKT_PKT0_S8_ifPKiSA_SA_iPKfiiiPfSD_PS3_PT2_iSC_SC_, .Lfunc_end669-_Z38paged_attention_ll4mi_QKV_mfma4_kernelI14__hip_bfloat16S0_LN4vllm18Fp8KVCacheDataTypeE0ES0_Li16ELi128ELi256ELb0ELi2EEvPKT_PKT0_S8_ifPKiSA_SA_iPKfiiiPfSD_PS3_PT2_iSC_SC_
                                        ; -- End function
	.section	.AMDGPU.csdata,"",@progbits
; Kernel info:
; codeLenInByte = 4196
; NumSgprs: 44
; NumVgprs: 95
; NumAgprs: 8
; TotalNumVgprs: 104
; ScratchSize: 0
; MemoryBound: 0
; FloatMode: 240
; IeeeMode: 1
; LDSByteSize: 5280 bytes/workgroup (compile time only)
; SGPRBlocks: 5
; VGPRBlocks: 12
; NumSGPRsForWavesPerEU: 44
; NumVGPRsForWavesPerEU: 104
; AccumOffset: 96
; Occupancy: 4
; WaveLimiterHint : 1
; COMPUTE_PGM_RSRC2:SCRATCH_EN: 0
; COMPUTE_PGM_RSRC2:USER_SGPR: 2
; COMPUTE_PGM_RSRC2:TRAP_HANDLER: 0
; COMPUTE_PGM_RSRC2:TGID_X_EN: 1
; COMPUTE_PGM_RSRC2:TGID_Y_EN: 1
; COMPUTE_PGM_RSRC2:TGID_Z_EN: 1
; COMPUTE_PGM_RSRC2:TIDIG_COMP_CNT: 0
; COMPUTE_PGM_RSRC3_GFX90A:ACCUM_OFFSET: 23
; COMPUTE_PGM_RSRC3_GFX90A:TG_SPLIT: 0
	.section	.text._Z38paged_attention_ll4mi_QKV_mfma4_kernelI14__hip_bfloat16S0_LN4vllm18Fp8KVCacheDataTypeE0ES0_Li16ELi128ELi256ELb0ELi3EEvPKT_PKT0_S8_ifPKiSA_SA_iPKfiiiPfSD_PS3_PT2_iSC_SC_,"axG",@progbits,_Z38paged_attention_ll4mi_QKV_mfma4_kernelI14__hip_bfloat16S0_LN4vllm18Fp8KVCacheDataTypeE0ES0_Li16ELi128ELi256ELb0ELi3EEvPKT_PKT0_S8_ifPKiSA_SA_iPKfiiiPfSD_PS3_PT2_iSC_SC_,comdat
	.protected	_Z38paged_attention_ll4mi_QKV_mfma4_kernelI14__hip_bfloat16S0_LN4vllm18Fp8KVCacheDataTypeE0ES0_Li16ELi128ELi256ELb0ELi3EEvPKT_PKT0_S8_ifPKiSA_SA_iPKfiiiPfSD_PS3_PT2_iSC_SC_ ; -- Begin function _Z38paged_attention_ll4mi_QKV_mfma4_kernelI14__hip_bfloat16S0_LN4vllm18Fp8KVCacheDataTypeE0ES0_Li16ELi128ELi256ELb0ELi3EEvPKT_PKT0_S8_ifPKiSA_SA_iPKfiiiPfSD_PS3_PT2_iSC_SC_
	.globl	_Z38paged_attention_ll4mi_QKV_mfma4_kernelI14__hip_bfloat16S0_LN4vllm18Fp8KVCacheDataTypeE0ES0_Li16ELi128ELi256ELb0ELi3EEvPKT_PKT0_S8_ifPKiSA_SA_iPKfiiiPfSD_PS3_PT2_iSC_SC_
	.p2align	8
	.type	_Z38paged_attention_ll4mi_QKV_mfma4_kernelI14__hip_bfloat16S0_LN4vllm18Fp8KVCacheDataTypeE0ES0_Li16ELi128ELi256ELb0ELi3EEvPKT_PKT0_S8_ifPKiSA_SA_iPKfiiiPfSD_PS3_PT2_iSC_SC_,@function
_Z38paged_attention_ll4mi_QKV_mfma4_kernelI14__hip_bfloat16S0_LN4vllm18Fp8KVCacheDataTypeE0ES0_Li16ELi128ELi256ELb0ELi3EEvPKT_PKT0_S8_ifPKiSA_SA_iPKfiiiPfSD_PS3_PT2_iSC_SC_: ; @_Z38paged_attention_ll4mi_QKV_mfma4_kernelI14__hip_bfloat16S0_LN4vllm18Fp8KVCacheDataTypeE0ES0_Li16ELi128ELi256ELb0ELi3EEvPKT_PKT0_S8_ifPKiSA_SA_iPKfiiiPfSD_PS3_PT2_iSC_SC_
; %bb.0:
	s_load_dwordx2 s[16:17], s[0:1], 0x30
	s_mov_b32 s20, s3
	s_mov_b64 s[6:7], 0
	s_waitcnt lgkmcnt(0)
	s_cmp_lg_u64 s[16:17], 0
	s_cselect_b64 s[18:19], -1, 0
	s_and_b64 vcc, exec, s[18:19]
	s_cbranch_vccz .LBB670_10
; %bb.1:
	s_add_i32 s8, s2, 1
	s_mov_b32 s9, 0
	s_lshl_b64 s[10:11], s[8:9], 2
	s_add_u32 s10, s16, s10
	s_mov_b32 s3, s9
	s_addc_u32 s11, s17, s11
	s_lshl_b64 s[8:9], s[2:3], 2
	s_add_u32 s8, s16, s8
	s_addc_u32 s9, s17, s9
	s_load_dword s5, s[10:11], 0x0
	s_load_dword s12, s[8:9], 0x0
	s_waitcnt lgkmcnt(0)
	s_sub_i32 s5, s5, s12
	s_cmp_eq_u32 s5, 1
	s_cselect_b64 s[8:9], -1, 0
	s_andn2_b64 vcc, exec, s[6:7]
	s_cbranch_vccnz .LBB670_3
.LBB670_2:
	s_mov_b32 s3, 0
	s_mov_b64 s[8:9], -1
.LBB670_3:
	s_andn2_b64 vcc, exec, s[8:9]
	s_cbranch_vccnz .LBB670_25
; %bb.4:
	s_load_dword s5, s[0:1], 0x9c
	s_load_dwordx2 s[6:7], s[0:1], 0x28
	s_add_u32 s24, s0, 0x90
	s_addc_u32 s25, s1, 0
	s_lshl_b64 s[28:29], s[2:3], 2
	s_waitcnt lgkmcnt(0)
	s_and_b32 s5, s5, 0xffff
	s_add_u32 s6, s6, s28
	s_addc_u32 s7, s7, s29
	s_load_dword s3, s[6:7], 0x0
	s_mul_i32 s10, s20, s5
	s_waitcnt lgkmcnt(0)
	s_cmp_ge_i32 s10, s3
	s_cbranch_scc1 .LBB670_25
; %bb.5:
	v_and_b32_e32 v1, 0xc0, v0
	v_add_u32_e32 v2, s10, v1
	v_lshrrev_b32_e32 v70, 6, v0
	v_cmp_le_i32_e64 s[6:7], s3, v2
                                        ; implicit-def: $sgpr21
                                        ; implicit-def: $sgpr11
	s_and_saveexec_b64 s[8:9], s[6:7]
	s_xor_b64 s[8:9], exec, s[8:9]
	s_cbranch_execz .LBB670_7
; %bb.6:
	v_mul_u32_u24_e32 v1, 20, v70
	v_or_b32_e32 v1, 0x1400, v1
	v_mov_b32_e32 v2, 0x1450
	v_mov_b32_e32 v3, 0xff7fffff
	v_mad_u32_u24 v2, v70, 20, v2
	ds_write2_b32 v1, v3, v3 offset1:1
	v_mov_b32_e32 v1, 0
	ds_write2_b32 v2, v1, v1 offset1:1
	v_mov_b32_e32 v2, 0x1408
	s_mov_b32 s11, 0xff7fffff
	s_mov_b32 s21, 0
	v_mad_u32_u24 v2, v70, 20, v2
	v_mov_b32_e32 v4, 0x1458
	v_mad_u32_u24 v4, v70, 20, v4
	ds_write2_b32 v2, v3, v3 offset1:1
	ds_write2_b32 v4, v1, v1 offset1:1
                                        ; implicit-def: $vgpr2
.LBB670_7:
	s_or_saveexec_b64 s[26:27], s[8:9]
	s_load_dwordx2 s[22:23], s[0:1], 0x68
	s_load_dwordx4 s[12:15], s[0:1], 0x58
	s_load_dword s5, s[24:25], 0x4
	v_and_b32_e32 v1, 63, v0
	v_and_b32_e32 v71, 3, v0
	v_mov_b32_e32 v67, s21
	v_mov_b32_e32 v72, s11
	;; [unrolled: 1-line block ×5, first 2 shown]
                                        ; implicit-def: $vgpr51
                                        ; implicit-def: $vgpr55
                                        ; implicit-def: $vgpr11
                                        ; implicit-def: $vgpr23
                                        ; implicit-def: $vgpr39
                                        ; implicit-def: $vgpr3
                                        ; implicit-def: $vgpr19
                                        ; implicit-def: $vgpr27
                                        ; implicit-def: $vgpr63
                                        ; implicit-def: $vgpr59
                                        ; implicit-def: $vgpr7
                                        ; implicit-def: $vgpr15
                                        ; implicit-def: $vgpr31
                                        ; implicit-def: $vgpr35
                                        ; implicit-def: $vgpr43
                                        ; implicit-def: $vgpr47
	s_xor_b64 exec, exec, s[26:27]
	s_cbranch_execz .LBB670_17
; %bb.8:
	s_add_i32 s21, s3, 15
	s_load_dwordx2 s[8:9], s[0:1], 0x20
	s_load_dword s11, s[0:1], 0x38
	s_ashr_i32 s30, s21, 31
	s_lshr_b32 s30, s30, 28
	v_add_u32_e32 v72, s10, v0
	s_add_i32 s21, s21, s30
	v_ashrrev_i32_e32 v3, 31, v72
	s_ashr_i32 s21, s21, 4
	v_lshrrev_b32_e32 v3, 28, v3
	s_add_i32 s21, s21, -1
	v_add_u32_e32 v3, v72, v3
	s_waitcnt lgkmcnt(0)
	s_mul_i32 s30, s2, s11
	s_mov_b32 s31, 0
	v_ashrrev_i32_e32 v3, 4, v3
	v_mov_b32_e32 v4, s21
	v_cmp_gt_i32_e32 vcc, s3, v72
	s_lshl_b64 s[30:31], s[30:31], 2
	s_add_u32 s8, s8, s30
	v_cndmask_b32_e32 v4, v4, v3, vcc
	v_ashrrev_i32_e32 v3, 31, v2
	v_lshrrev_b32_e32 v3, 28, v3
	s_addc_u32 s9, s9, s31
	v_ashrrev_i32_e32 v5, 31, v4
	v_add_u32_e32 v2, v2, v3
	v_lshl_add_u64 v[8:9], v[4:5], 2, s[8:9]
	v_ashrrev_i32_e32 v4, 4, v2
	v_min_i32_e32 v2, s21, v4
	v_ashrrev_i32_e32 v3, 31, v2
	v_lshl_add_u64 v[10:11], v[2:3], 2, s[8:9]
	v_add_u32_e32 v2, 1, v4
	v_min_i32_e32 v2, s21, v2
	v_ashrrev_i32_e32 v3, 31, v2
	v_lshl_add_u64 v[12:13], v[2:3], 2, s[8:9]
	v_add_u32_e32 v2, 2, v4
	;; [unrolled: 4-line block ×3, first 2 shown]
	v_min_i32_e32 v2, s21, v2
	v_ashrrev_i32_e32 v3, 31, v2
	v_lshl_add_u64 v[16:17], v[2:3], 2, s[8:9]
	global_load_dword v2, v[8:9], off
	global_load_dword v4, v[10:11], off
	;; [unrolled: 1-line block ×5, first 2 shown]
	s_load_dwordx4 s[8:11], s[0:1], 0x8
	s_andn2_b64 vcc, exec, s[18:19]
	s_cbranch_vccnz .LBB670_11
; %bb.9:
	s_add_u32 s16, s16, s28
	s_addc_u32 s17, s17, s29
	s_load_dword s21, s[16:17], 0x0
	s_branch .LBB670_12
.LBB670_10:
	s_mov_b64 s[8:9], 0
	s_branch .LBB670_2
.LBB670_11:
	s_mov_b32 s21, s2
.LBB670_12:
	s_load_dwordx4 s[16:19], s[0:1], 0x48
	v_cmp_ne_u32_e32 vcc, 3, v71
	s_mov_b32 s29, 0
	v_mov_b32_e32 v73, 1.0
	v_mov_b32_e32 v51, 0
	v_mov_b32_e32 v66, 0
	;; [unrolled: 1-line block ×5, first 2 shown]
	s_and_saveexec_b64 s[30:31], vcc
	s_cbranch_execz .LBB670_14
; %bb.13:
	s_load_dwordx2 s[34:35], s[0:1], 0x0
	s_waitcnt lgkmcnt(0)
	s_ashr_i32 s19, s16, 31
	s_mul_hi_u32 s28, s21, s16
	s_mul_i32 s19, s21, s19
	s_add_i32 s37, s28, s19
	s_mul_i32 s36, s21, s16
	s_lshl_b64 s[36:37], s[36:37], 1
	s_add_u32 s16, s34, s36
	s_mul_i32 s28, s4, 0x180
	s_addc_u32 s19, s35, s37
	s_lshl_b64 s[34:35], s[28:29], 1
	v_lshlrev_b32_e32 v3, 2, v1
	s_add_u32 s34, s16, s34
	v_and_b32_e32 v3, 0xf0, v3
	s_addc_u32 s35, s19, s35
	v_lshl_or_b32 v3, v71, 8, v3
	global_load_dwordx4 v[66:69], v3, s[34:35]
	v_mov_b32_e32 v73, 0
.LBB670_14:
	s_or_b64 exec, exec, s[30:31]
	s_waitcnt lgkmcnt(0)
	s_mul_i32 s28, s4, s18
	s_lshl_b64 s[18:19], s[28:29], 1
	s_add_u32 s8, s18, s8
	s_waitcnt vmcnt(4)
	v_mad_i64_i32 v[2:3], s[30:31], v2, s17, 0
	s_addc_u32 s9, s19, s9
	v_and_b32_e32 v8, 15, v0
	v_lshl_add_u64 v[2:3], v[2:3], 1, s[8:9]
	v_lshlrev_b32_e32 v50, 4, v8
	v_lshl_add_u64 v[2:3], v[2:3], 0, v[50:51]
	global_load_dwordx4 v[8:11], v[2:3], off
	global_load_dwordx4 v[12:15], v[2:3], off offset:256
	global_load_dwordx4 v[16:19], v[2:3], off offset:512
	global_load_dwordx4 v[20:23], v[2:3], off offset:768
	global_load_dwordx4 v[24:27], v[2:3], off offset:1024
	global_load_dwordx4 v[28:31], v[2:3], off offset:1280
	global_load_dwordx4 v[32:35], v[2:3], off offset:1536
	global_load_dwordx4 v[36:39], v[2:3], off offset:1792
	global_load_dwordx4 v[40:43], v[2:3], off offset:2048
	global_load_dwordx4 v[44:47], v[2:3], off offset:2304
	global_load_dwordx4 v[52:55], v[2:3], off offset:2560
	global_load_dwordx4 v[56:59], v[2:3], off offset:2816
	global_load_dwordx4 v[60:63], v[2:3], off offset:3072
	global_load_dwordx4 v[74:77], v[2:3], off offset:3328
	global_load_dwordx4 v[78:81], v[2:3], off offset:3584
	global_load_dwordx4 v[82:85], v[2:3], off offset:3840
	s_waitcnt vmcnt(19)
	v_mul_hi_i32 v48, v4, s17
	s_waitcnt vmcnt(18)
	v_mul_hi_i32 v50, v5, s17
	;; [unrolled: 2-line block ×4, first 2 shown]
	v_ashrrev_i32_e32 v93, 31, v48
	v_ashrrev_i32_e32 v48, 31, v50
	;; [unrolled: 1-line block ×4, first 2 shown]
	v_mov_b32_e32 v49, v51
	v_mov_b32_e32 v65, v51
	;; [unrolled: 1-line block ×3, first 2 shown]
	v_lshrrev_b32_e32 v48, 29, v48
	v_lshrrev_b32_e32 v64, 29, v50
	;; [unrolled: 1-line block ×3, first 2 shown]
	v_mad_i64_i32 v[2:3], s[8:9], v5, s17, v[48:49]
	v_mad_i64_i32 v[48:49], s[8:9], v6, s17, v[64:65]
	;; [unrolled: 1-line block ×3, first 2 shown]
	s_add_u32 s8, s10, s18
	v_lshrrev_b32_e32 v50, 29, v93
	s_addc_u32 s9, s11, s19
	v_mad_i64_i32 v[4:5], s[10:11], v4, s17, v[50:51]
	v_lshlrev_b64 v[2:3], 1, v[2:3]
	v_lshlrev_b64 v[6:7], 1, v[6:7]
	;; [unrolled: 1-line block ×3, first 2 shown]
	v_and_b32_e32 v2, -16, v2
	v_and_b32_e32 v6, -16, v6
	;; [unrolled: 1-line block ×3, first 2 shown]
	v_lshlrev_b32_e32 v50, 5, v1
	v_lshl_add_u64 v[2:3], s[8:9], 0, v[2:3]
	v_lshl_add_u64 v[6:7], s[8:9], 0, v[6:7]
	;; [unrolled: 1-line block ×4, first 2 shown]
	s_load_dword s0, s[0:1], 0x1c
	v_cmp_eq_u32_e32 vcc, 0, v71
	v_and_b32_e32 v91, -4, v72
	v_or_b32_e32 v72, 3, v72
	v_cndmask_b32_e64 v88, 0, 1.0, vcc
	v_cmp_eq_u32_e32 vcc, 1, v71
	v_cmp_gt_i32_e64 s[10:11], s3, v72
	v_lshlrev_b32_e32 v92, 2, v0
	v_cndmask_b32_e64 v89, 0, 1.0, vcc
	v_cmp_eq_u32_e32 vcc, 2, v71
	s_waitcnt vmcnt(15)
	v_mfma_f32_4x4x4_16b_bf16 a[0:3], v[66:67], v[8:9], 0 cbsz:4
	v_lshlrev_b64 v[8:9], 1, v[48:49]
	s_nop 0
	v_mfma_f32_4x4x4_16b_bf16 a[0:3], v[68:69], v[10:11], a[0:3] cbsz:4
	v_and_b32_e32 v8, -16, v8
	v_lshl_add_u64 v[8:9], s[8:9], 0, v[8:9]
	s_waitcnt vmcnt(14)
	v_mfma_f32_4x4x4_16b_bf16 a[0:3], v[66:67], v[12:13], a[0:3] cbsz:4 abid:1
	v_cndmask_b32_e64 v90, 0, 1.0, vcc
	v_cmp_gt_i32_e32 vcc, s3, v91
	v_mfma_f32_4x4x4_16b_bf16 a[0:3], v[68:69], v[14:15], a[0:3] cbsz:4 abid:1
	s_waitcnt vmcnt(13)
	s_nop 0
	v_mfma_f32_4x4x4_16b_bf16 a[0:3], v[66:67], v[16:17], a[0:3] cbsz:4 abid:2
	s_nop 1
	v_mfma_f32_4x4x4_16b_bf16 a[0:3], v[68:69], v[18:19], a[0:3] cbsz:4 abid:2
	v_lshl_add_u64 v[18:19], v[8:9], 0, v[50:51]
	s_waitcnt vmcnt(12)
	v_mfma_f32_4x4x4_16b_bf16 a[0:3], v[66:67], v[20:21], a[0:3] cbsz:4 abid:3
	s_nop 1
	v_mfma_f32_4x4x4_16b_bf16 a[0:3], v[68:69], v[22:23], a[0:3] cbsz:4 abid:3
	s_waitcnt vmcnt(11)
	s_nop 0
	v_mfma_f32_4x4x4_16b_bf16 a[0:3], v[66:67], v[24:25], a[0:3] cbsz:4 abid:4
	global_load_dwordx4 v[10:13], v[2:3], off
	global_load_dwordx4 v[22:25], v[2:3], off offset:16
	v_mfma_f32_4x4x4_16b_bf16 a[0:3], v[68:69], v[26:27], a[0:3] cbsz:4 abid:4
	global_load_dwordx4 v[6:9], v[2:3], off offset:2048
	global_load_dwordx4 v[14:17], v[2:3], off offset:2064
	s_waitcnt vmcnt(14)
	v_mfma_f32_4x4x4_16b_bf16 a[0:3], v[66:67], v[28:29], a[0:3] cbsz:4 abid:5
	s_nop 1
	v_mfma_f32_4x4x4_16b_bf16 a[0:3], v[68:69], v[30:31], a[0:3] cbsz:4 abid:5
	s_waitcnt vmcnt(13)
	s_nop 0
	v_mfma_f32_4x4x4_16b_bf16 a[0:3], v[66:67], v[32:33], a[0:3] cbsz:4 abid:6
	s_nop 1
	v_mfma_f32_4x4x4_16b_bf16 a[0:3], v[68:69], v[34:35], a[0:3] cbsz:4 abid:6
	s_waitcnt vmcnt(12)
	s_nop 0
	;; [unrolled: 5-line block ×3, first 2 shown]
	v_mfma_f32_4x4x4_16b_bf16 a[0:3], v[66:67], v[40:41], a[0:3] cbsz:4 abid:8
	global_load_dwordx4 v[38:41], v[18:19], off
	global_load_dwordx4 v[2:5], v[18:19], off offset:16
	v_mfma_f32_4x4x4_16b_bf16 a[0:3], v[68:69], v[42:43], a[0:3] cbsz:4 abid:8
	global_load_dwordx4 v[30:33], v[18:19], off offset:2048
	global_load_dwordx4 v[34:37], v[18:19], off offset:2064
	s_waitcnt vmcnt(14)
	v_mfma_f32_4x4x4_16b_bf16 a[0:3], v[66:67], v[44:45], a[0:3] cbsz:4 abid:9
	global_load_dwordx4 v[18:21], v[86:87], off
	global_load_dwordx4 v[26:29], v[86:87], off offset:16
	v_mfma_f32_4x4x4_16b_bf16 a[0:3], v[68:69], v[46:47], a[0:3] cbsz:4 abid:9
	global_load_dwordx4 v[42:45], v[86:87], off offset:2048
	global_load_dwordx4 v[46:49], v[86:87], off offset:2064
	s_waitcnt vmcnt(17)
	v_mfma_f32_4x4x4_16b_bf16 a[0:3], v[66:67], v[52:53], a[0:3] cbsz:4 abid:10
	v_lshl_add_u64 v[52:53], s[8:9], 0, v[64:65]
	s_nop 0
	v_mfma_f32_4x4x4_16b_bf16 a[0:3], v[68:69], v[54:55], a[0:3] cbsz:4 abid:10
	s_waitcnt vmcnt(16)
	s_nop 0
	v_mfma_f32_4x4x4_16b_bf16 a[0:3], v[66:67], v[56:57], a[0:3] cbsz:4 abid:11
	s_nop 1
	v_mfma_f32_4x4x4_16b_bf16 a[0:3], v[68:69], v[58:59], a[0:3] cbsz:4 abid:11
	s_waitcnt vmcnt(15)
	s_nop 0
	v_mfma_f32_4x4x4_16b_bf16 a[0:3], v[66:67], v[60:61], a[0:3] cbsz:4 abid:12
	;; [unrolled: 5-line block ×3, first 2 shown]
	v_lshl_add_u64 v[74:75], v[52:53], 0, v[50:51]
	global_load_dwordx4 v[50:53], v[74:75], off
	global_load_dwordx4 v[54:57], v[74:75], off offset:16
	global_load_dwordx4 v[62:65], v[74:75], off offset:2048
	;; [unrolled: 1-line block ×3, first 2 shown]
	v_mfma_f32_4x4x4_16b_bf16 a[0:3], v[68:69], v[76:77], a[0:3] cbsz:4 abid:13
	v_mov_b32_e32 v74, 0xff7fffff
	v_and_or_b32 v75, v92, 48, v71
	s_waitcnt vmcnt(17)
	v_mfma_f32_4x4x4_16b_bf16 a[0:3], v[66:67], v[78:79], a[0:3] cbsz:4 abid:14
	v_lshlrev_b32_e32 v75, 2, v75
	s_nop 0
	v_mfma_f32_4x4x4_16b_bf16 a[0:3], v[68:69], v[80:81], a[0:3] cbsz:4 abid:14
	s_waitcnt vmcnt(16)
	s_nop 0
	v_mfma_f32_4x4x4_16b_bf16 a[0:3], v[66:67], v[82:83], a[0:3] cbsz:4 abid:15
	s_nop 1
	v_mfma_f32_4x4x4_16b_bf16 a[0:3], v[68:69], v[84:85], a[0:3] cbsz:4 abid:15
	s_nop 4
	v_accvgpr_read_b32 v67, a1
	v_accvgpr_read_b32 v66, a0
	s_waitcnt lgkmcnt(0)
	v_pk_mul_f32 v[66:67], s[0:1], v[66:67] op_sel_hi:[0,1]
	v_accvgpr_read_b32 v69, a3
	v_accvgpr_read_b32 v68, a2
	v_pk_mul_f32 v[68:69], s[0:1], v[68:69] op_sel_hi:[0,1]
	v_mfma_f32_4x4x1_16b_f32 a[0:3], v66, v88, 0
	v_or_b32_e32 v66, 1, v91
	s_nop 0
	v_mfma_f32_4x4x1_16b_f32 a[0:3], v67, v89, a[0:3]
	v_cmp_gt_i32_e64 s[0:1], s3, v66
	v_or_b32_e32 v67, 2, v91
	v_mfma_f32_4x4x1_16b_f32 a[0:3], v68, v90, a[0:3]
	v_cmp_gt_i32_e64 s[8:9], s3, v67
	s_nop 0
	v_mfma_f32_4x4x1_16b_f32 a[0:3], v69, v73, a[0:3]
	s_nop 3
	v_accvgpr_read_b32 v68, a0
	v_max_f32_e32 v77, v68, v68
	v_accvgpr_read_b32 v69, a1
	v_max_f32_e32 v77, 0xff7fffff, v77
	v_max_f32_e32 v78, v69, v69
	v_cndmask_b32_e32 v74, v74, v77, vcc
	v_accvgpr_read_b32 v73, a2
	v_max_f32_e32 v77, v74, v78
	v_max_f32_e32 v79, v73, v73
	v_cndmask_b32_e64 v66, v74, v77, s[0:1]
	v_accvgpr_read_b32 v76, a3
	v_max_f32_e32 v74, v66, v79
	v_max_f32_e32 v80, v76, v76
	v_cndmask_b32_e64 v66, v66, v74, s[8:9]
	v_max_f32_e32 v67, v66, v80
	v_cndmask_b32_e64 v66, v66, v67, s[10:11]
	;;#ASMSTART
	v_nop
 v_nop
 v_max_f32_dpp v66, v66, v66 row_ror:4
	;;#ASMEND
	s_nop 0
	;;#ASMSTART
	v_nop
 v_nop
 v_max_f32_dpp v66, v66, v66 row_ror:8
	;;#ASMEND
	ds_bpermute_b32 v66, v75, v66
	s_waitcnt lgkmcnt(0)
	;;#ASMSTART
	v_nop
 v_nop
 v_max_f32_dpp v66, v66, v66 row_ror:4
	;;#ASMEND
	s_nop 0
	;;#ASMSTART
	v_nop
 v_nop
 v_max_f32_dpp v72, v66, v66 row_ror:8
	;;#ASMEND
	s_nop 0
	v_sub_f32_e32 v66, v68, v72
	v_sub_f32_e32 v67, v69, v72
	;; [unrolled: 1-line block ×3, first 2 shown]
	v_mul_f32_e32 v66, 0x3fb8aa3b, v66
	v_mul_f32_e32 v67, 0x3fb8aa3b, v67
	;; [unrolled: 1-line block ×3, first 2 shown]
	v_exp_f32_e32 v66, v66
	v_sub_f32_e32 v69, v76, v72
	v_exp_f32_e32 v67, v67
	v_exp_f32_e32 v73, v68
	v_mul_f32_e32 v69, 0x3fb8aa3b, v69
	v_exp_f32_e32 v74, v69
	v_cndmask_b32_e32 v68, 0, v66, vcc
	v_cndmask_b32_e64 v69, 0, v67, s[0:1]
	v_cndmask_b32_e64 v66, 0, v73, s[8:9]
	v_add_f32_e32 v73, 0, v68
	v_add_f32_e32 v73, v73, v69
	v_cndmask_b32_e64 v67, 0, v74, s[10:11]
	v_add_f32_e32 v73, v73, v66
	v_add_f32_e32 v73, v73, v67
	;;#ASMSTART
	v_nop
 v_nop
 v_add_f32_dpp v73, v73, v73 row_ror:4
	;;#ASMEND
	v_cmp_gt_u32_e32 vcc, 4, v1
	;;#ASMSTART
	v_nop
 v_nop
 v_add_f32_dpp v73, v73, v73 row_ror:8
	;;#ASMEND
	ds_bpermute_b32 v73, v75, v73
	s_waitcnt lgkmcnt(0)
	;;#ASMSTART
	v_nop
 v_nop
 v_add_f32_dpp v73, v73, v73 row_ror:4
	;;#ASMEND
	s_nop 0
	;;#ASMSTART
	v_nop
 v_nop
 v_add_f32_dpp v73, v73, v73 row_ror:8
	;;#ASMEND
	s_and_saveexec_b64 s[0:1], vcc
	s_cbranch_execz .LBB670_16
; %bb.15:
	v_mul_u32_u24_e32 v74, 20, v70
	v_lshl_add_u32 v74, v71, 2, v74
	v_add_u32_e32 v74, 0x1400, v74
	ds_write2_b32 v74, v72, v73 offset1:20
.LBB670_16:
	s_or_b64 exec, exec, s[0:1]
.LBB670_17:
	s_or_b64 exec, exec, s[26:27]
	s_waitcnt lgkmcnt(0)
	s_barrier
	s_load_dword s0, s[24:25], 0x8
	v_lshlrev_b32_e32 v73, 2, v71
	v_add_u32_e32 v73, 0x1400, v73
	ds_read2_b32 v[76:77], v73 offset1:5
	ds_read2_b32 v[78:79], v73 offset0:10 offset1:15
	s_mul_i32 s1, s2, s5
	s_waitcnt lgkmcnt(0)
	s_mul_i32 s0, s1, s0
	s_mov_b32 s1, 0xff7fffff
	v_max3_f32 v74, v76, s1, v77
	v_max3_f32 v74, v74, v78, v79
	v_sub_f32_e32 v75, v76, v74
	v_sub_f32_e32 v76, v77, v74
	ds_read2_b32 v[80:81], v73 offset0:20 offset1:25
	v_mul_f32_e32 v75, 0x3fb8aa3b, v75
	v_mul_f32_e32 v76, 0x3fb8aa3b, v76
	v_exp_f32_e32 v75, v75
	v_exp_f32_e32 v82, v76
	ds_read2_b32 v[76:77], v73 offset0:30 offset1:35
	v_sub_f32_e32 v73, v78, v74
	v_mul_f32_e32 v73, 0x3fb8aa3b, v73
	v_sub_f32_e32 v78, v79, v74
	v_exp_f32_e32 v73, v73
	v_mul_f32_e32 v78, 0x3fb8aa3b, v78
	v_exp_f32_e32 v78, v78
	s_waitcnt lgkmcnt(1)
	v_fma_f32 v75, v75, v80, 0
	v_fmac_f32_e32 v75, v82, v81
	s_waitcnt lgkmcnt(0)
	v_fmac_f32_e32 v75, v73, v76
	s_mul_i32 s4, s4, 3
	s_mul_i32 s0, s0, 3
	v_fmac_f32_e32 v75, v78, v77
	v_cmp_ne_u32_e32 vcc, 3, v71
	s_and_saveexec_b64 s[2:3], vcc
	s_cbranch_execz .LBB670_19
; %bb.18:
	s_mov_b32 s1, 0
	s_lshl_b64 s[8:9], s[0:1], 2
	s_add_u32 s12, s12, s8
	s_mov_b32 s21, s1
	s_addc_u32 s13, s13, s9
	s_lshl_b64 s[10:11], s[20:21], 2
	s_add_u32 s12, s12, s10
	s_addc_u32 s13, s13, s11
	s_add_u32 s1, s14, s8
	s_addc_u32 s9, s15, s9
	v_add_u32_e32 v71, s4, v71
	s_add_u32 s8, s1, s10
	v_mul_lo_u32 v76, s5, v71
	v_mov_b32_e32 v77, 0
	s_addc_u32 s9, s9, s11
	v_lshlrev_b64 v[76:77], 2, v[76:77]
	v_lshl_add_u64 v[78:79], s[12:13], 0, v[76:77]
	v_lshl_add_u64 v[76:77], s[8:9], 0, v[76:77]
	global_store_dword v[76:77], v74, off
	global_store_dword v[78:79], v75, off
.LBB670_19:
	s_or_b64 exec, exec, s[2:3]
	v_lshlrev_b32_e32 v73, 3, v70
                                        ; implicit-def: $sgpr1
	s_and_saveexec_b64 s[2:3], s[6:7]
	s_xor_b64 s[2:3], exec, s[2:3]
	s_cbranch_execz .LBB670_21
; %bb.20:
	s_waitcnt vmcnt(10)
	v_mov_b32_e32 v2, 0
	v_mad_u32_u24 v4, v1, 40, v73
	s_mov_b32 s1, 0
	v_mov_b32_e32 v3, v2
	ds_write_b64 v4, v[2:3]
                                        ; implicit-def: $vgpr67
                                        ; implicit-def: $vgpr69
                                        ; implicit-def: $vgpr51
                                        ; implicit-def: $vgpr55
                                        ; implicit-def: $vgpr11
                                        ; implicit-def: $vgpr23
                                        ; implicit-def: $vgpr39
                                        ; implicit-def: $vgpr3
                                        ; implicit-def: $vgpr19
                                        ; implicit-def: $vgpr27
                                        ; implicit-def: $vgpr63
                                        ; implicit-def: $vgpr59
                                        ; implicit-def: $vgpr7
                                        ; implicit-def: $vgpr15
                                        ; implicit-def: $vgpr31
                                        ; implicit-def: $vgpr35
                                        ; implicit-def: $vgpr43
                                        ; implicit-def: $vgpr47
                                        ; implicit-def: $vgpr72
                                        ; implicit-def: $vgpr74
                                        ; implicit-def: $vgpr75
.LBB670_21:
	s_or_saveexec_b64 s[2:3], s[2:3]
	v_mov_b32_e32 v70, s1
	v_mov_b32_e32 v71, s1
	s_xor_b64 exec, exec, s[2:3]
	s_cbranch_execz .LBB670_23
; %bb.22:
	v_add_f32_e32 v70, 0x358637bd, v75
	v_div_scale_f32 v71, s[6:7], v70, v70, 1.0
	v_rcp_f32_e32 v75, v71
	v_sub_f32_e32 v72, v72, v74
	v_mul_f32_e32 v72, 0x3fb8aa3b, v72
	v_exp_f32_e32 v72, v72
	v_fma_f32 v74, -v71, v75, 1.0
	v_fmac_f32_e32 v75, v74, v75
	v_div_scale_f32 v74, vcc, 1.0, v70, 1.0
	v_mul_f32_e32 v76, v74, v75
	v_fma_f32 v77, -v71, v76, v74
	v_fmac_f32_e32 v76, v77, v75
	v_fma_f32 v71, -v71, v76, v74
	v_div_fmas_f32 v71, v71, v75, v76
	v_div_fixup_f32 v70, v71, v70, 1.0
	v_mul_f32_e32 v70, v72, v70
	v_pk_mul_f32 v[68:69], v[68:69], v[70:71] op_sel_hi:[1,0]
	v_pk_mul_f32 v[66:67], v[66:67], v[70:71] op_sel_hi:[1,0]
	v_bfe_u32 v70, v69, 16, 1
	v_bfe_u32 v71, v68, 16, 1
	s_movk_i32 s1, 0x7fff
	v_add3_u32 v68, v68, v71, s1
	v_add3_u32 v69, v69, v70, s1
	s_mov_b32 s6, 0x7060302
	v_perm_b32 v68, v69, v68, s6
	v_bfe_u32 v69, v67, 16, 1
	v_bfe_u32 v70, v66, 16, 1
	v_add3_u32 v66, v66, v70, s1
	v_add3_u32 v67, v67, v69, s1
	v_perm_b32 v69, v67, v66, s6
	s_waitcnt vmcnt(3)
	s_nop 0
	v_mfma_f32_4x4x4_16b_bf16 a[0:3], v[68:69], v[50:51], 0 cbsz:4
	s_nop 1
	v_mfma_f32_4x4x4_16b_bf16 a[0:3], v[68:69], v[52:53], a[0:3] cbsz:4 abid:1
	s_waitcnt vmcnt(1)
	v_mfma_f32_4x4x4_16b_bf16 a[4:7], v[68:69], v[62:63], 0 cbsz:4
	v_mfma_f32_4x4x4_16b_bf16 a[0:3], v[68:69], v[54:55], a[0:3] cbsz:4 abid:2
	s_nop 0
	v_mfma_f32_4x4x4_16b_bf16 a[4:7], v[68:69], v[64:65], a[4:7] cbsz:4 abid:1
	v_mfma_f32_4x4x4_16b_bf16 a[0:3], v[68:69], v[56:57], a[0:3] cbsz:4 abid:3
	s_waitcnt vmcnt(0)
	v_mfma_f32_4x4x4_16b_bf16 a[4:7], v[68:69], v[58:59], a[4:7] cbsz:4 abid:2
	v_mfma_f32_4x4x4_16b_bf16 a[0:3], v[68:69], v[10:11], a[0:3] cbsz:4 abid:4
	s_nop 1
	v_mfma_f32_4x4x4_16b_bf16 a[0:3], v[68:69], v[12:13], a[0:3] cbsz:4 abid:5
	s_nop 1
	;; [unrolled: 2-line block ×12, first 2 shown]
	v_accvgpr_read_b32 v3, a2
	v_accvgpr_read_b32 v4, a3
	;; [unrolled: 1-line block ×4, first 2 shown]
	v_mfma_f32_4x4x4_16b_bf16 a[0:3], v[68:69], v[60:61], a[4:7] cbsz:4 abid:3
	v_bfe_u32 v10, v5, 16, 1
	v_add3_u32 v5, v5, v10, s1
	v_mfma_f32_4x4x4_16b_bf16 a[0:3], v[68:69], v[6:7], a[0:3] cbsz:4 abid:4
	v_bfe_u32 v6, v2, 16, 1
	v_add3_u32 v2, v2, v6, s1
	v_mfma_f32_4x4x4_16b_bf16 a[0:3], v[68:69], v[8:9], a[0:3] cbsz:4 abid:5
	v_perm_b32 v2, v5, v2, s6
	v_bfe_u32 v5, v4, 16, 1
	v_mfma_f32_4x4x4_16b_bf16 a[0:3], v[68:69], v[14:15], a[0:3] cbsz:4 abid:6
	v_bfe_u32 v6, v3, 16, 1
	v_add3_u32 v3, v3, v6, s1
	v_mfma_f32_4x4x4_16b_bf16 a[0:3], v[68:69], v[16:17], a[0:3] cbsz:4 abid:7
	v_add3_u32 v4, v4, v5, s1
	v_perm_b32 v3, v4, v3, s6
	v_mfma_f32_4x4x4_16b_bf16 a[0:3], v[68:69], v[30:31], a[0:3] cbsz:4 abid:8
	v_mad_u32_u24 v4, v1, 40, v73
	ds_write_b64 v4, v[2:3]
	v_mfma_f32_4x4x4_16b_bf16 a[0:3], v[68:69], v[32:33], a[0:3] cbsz:4 abid:9
	s_nop 1
	v_mfma_f32_4x4x4_16b_bf16 a[0:3], v[68:69], v[34:35], a[0:3] cbsz:4 abid:10
	s_nop 1
	;; [unrolled: 2-line block ×7, first 2 shown]
	v_accvgpr_read_b32 v4, a0
	v_accvgpr_read_b32 v5, a1
	;; [unrolled: 1-line block ×4, first 2 shown]
	v_bfe_u32 v6, v5, 16, 1
	v_bfe_u32 v7, v4, 16, 1
	v_add3_u32 v4, v4, v7, s1
	v_add3_u32 v5, v5, v6, s1
	v_bfe_u32 v6, v3, 16, 1
	v_bfe_u32 v7, v2, 16, 1
	v_add3_u32 v2, v2, v7, s1
	v_add3_u32 v3, v3, v6, s1
	v_perm_b32 v71, v3, v2, s6
	v_perm_b32 v70, v5, v4, s6
.LBB670_23:
	s_or_b64 exec, exec, s[2:3]
	s_waitcnt vmcnt(10)
	v_mad_u32_u24 v2, v1, 40, v73
	v_cmp_gt_u32_e32 vcc, 64, v0
	ds_write_b64 v2, v[70:71] offset:2560
	s_waitcnt lgkmcnt(0)
	s_barrier
	s_and_saveexec_b64 s[2:3], vcc
	s_cbranch_execz .LBB670_25
; %bb.24:
	v_mul_u32_u24_e32 v6, 40, v1
	ds_read2_b64 v[2:5], v6 offset1:1
	ds_read2_b64 v[6:9], v6 offset0:2 offset1:3
	s_mov_b32 s1, 0
	s_lshl_b32 s0, s0, 7
	s_lshl_b64 s[2:3], s[0:1], 1
	s_waitcnt lgkmcnt(1)
	v_and_b32_e32 v10, 0xffff0000, v2
	v_lshlrev_b32_e32 v3, 16, v3
	v_add_f32_e32 v10, 0, v10
	v_add_f32_e32 v3, 0, v3
	v_and_b32_e32 v10, 0xffff0000, v10
	v_and_b32_e32 v11, 0xffff0000, v4
	;; [unrolled: 1-line block ×3, first 2 shown]
	v_add_f32_e32 v10, v10, v11
	v_lshlrev_b32_e32 v5, 16, v5
	v_and_b32_e32 v10, 0xffff0000, v10
	v_add_f32_e32 v3, v3, v5
	s_waitcnt lgkmcnt(0)
	v_and_b32_e32 v5, 0xffff0000, v6
	v_and_b32_e32 v3, 0xffff0000, v3
	v_add_f32_e32 v5, v10, v5
	v_lshlrev_b32_e32 v7, 16, v7
	v_and_b32_e32 v5, 0xffff0000, v5
	v_add_f32_e32 v3, v3, v7
	v_and_b32_e32 v7, 0xffff0000, v8
	s_waitcnt vmcnt(7)
	v_add_f32_e32 v18, v5, v7
	v_mov_b32_e32 v7, 0xa00
	v_mad_u32_u24 v7, v1, 40, v7
	ds_read2_b64 v[10:13], v7 offset1:1
	v_and_b32_e32 v3, 0xffff0000, v3
	v_lshlrev_b32_e32 v5, 16, v9
	v_add_f32_e32 v9, v3, v5
	v_mov_b32_e32 v3, 0xa10
	v_mad_u32_u24 v1, v1, 40, v3
	ds_read2_b64 v[14:17], v1 offset1:1
	s_waitcnt lgkmcnt(1)
	v_lshlrev_b32_e32 v1, 16, v10
	v_add_f32_e32 v1, 0, v1
	v_and_b32_e32 v3, 0xffff0000, v10
	v_and_b32_e32 v1, 0xffff0000, v1
	v_add_f32_e32 v3, 0, v3
	v_lshlrev_b32_e32 v5, 16, v11
	v_lshlrev_b32_e32 v7, 16, v12
	v_and_b32_e32 v3, 0xffff0000, v3
	v_add_f32_e32 v5, 0, v5
	v_add_f32_e32 v1, v1, v7
	v_and_b32_e32 v7, 0xffff0000, v12
	v_and_b32_e32 v5, 0xffff0000, v5
	v_add_f32_e32 v3, v3, v7
	v_lshlrev_b32_e32 v7, 16, v13
	v_and_b32_e32 v1, 0xffff0000, v1
	v_add_f32_e32 v5, v5, v7
	s_waitcnt lgkmcnt(0)
	v_lshlrev_b32_e32 v7, 16, v14
	v_and_b32_e32 v3, 0xffff0000, v3
	v_add_f32_e32 v1, v1, v7
	v_and_b32_e32 v7, 0xffff0000, v14
	v_and_b32_e32 v5, 0xffff0000, v5
	v_add_f32_e32 v3, v3, v7
	v_lshlrev_b32_e32 v7, 16, v15
	v_and_b32_e32 v1, 0xffff0000, v1
	v_add_f32_e32 v5, v5, v7
	v_lshlrev_b32_e32 v7, 16, v16
	v_and_b32_e32 v3, 0xffff0000, v3
	v_add_f32_e32 v10, v1, v7
	v_and_b32_e32 v1, 0xffff0000, v16
	v_and_b32_e32 v5, 0xffff0000, v5
	v_add_f32_e32 v11, v3, v1
	v_lshlrev_b32_e32 v1, 16, v17
	v_add_f32_e32 v12, v5, v1
	v_lshlrev_b32_e32 v1, 16, v2
	s_add_u32 s2, s22, s2
	v_add_f32_e32 v1, 0, v1
	s_addc_u32 s3, s23, s3
	s_lshl_b32 s0, s20, 7
	v_and_b32_e32 v1, 0xffff0000, v1
	v_lshlrev_b32_e32 v2, 16, v4
	s_lshl_b64 s[0:1], s[0:1], 1
	v_add_f32_e32 v1, v1, v2
	s_add_u32 s0, s2, s0
	v_and_b32_e32 v1, 0xffff0000, v1
	v_lshlrev_b32_e32 v2, 16, v6
	s_addc_u32 s1, s3, s1
	s_lshl_b32 s2, s5, 7
	v_add_f32_e32 v1, v1, v2
	v_and_b32_e32 v1, 0xffff0000, v1
	v_lshlrev_b32_e32 v2, 16, v8
	s_mul_i32 s3, s2, s4
	v_add_f32_e32 v1, v1, v2
	v_or_b32_e32 v2, s3, v0
	v_mov_b32_e32 v3, 0
	s_add_i32 s3, s3, s2
	v_lshl_add_u64 v[4:5], v[2:3], 1, s[0:1]
	v_or_b32_e32 v2, s3, v0
	s_add_i32 s3, s3, s2
	v_lshl_add_u64 v[6:7], v[2:3], 1, s[0:1]
	v_or_b32_e32 v2, s3, v0
	global_store_short_d16_hi v[4:5], v1, off
	v_lshl_add_u64 v[0:1], v[2:3], 1, s[0:1]
	global_store_short_d16_hi v[6:7], v18, off
	global_store_short_d16_hi v[0:1], v9, off
	global_store_short_d16_hi v[4:5], v10, off offset:128
	global_store_short_d16_hi v[6:7], v11, off offset:128
	;; [unrolled: 1-line block ×3, first 2 shown]
.LBB670_25:
	s_endpgm
	.section	.rodata,"a",@progbits
	.p2align	6, 0x0
	.amdhsa_kernel _Z38paged_attention_ll4mi_QKV_mfma4_kernelI14__hip_bfloat16S0_LN4vllm18Fp8KVCacheDataTypeE0ES0_Li16ELi128ELi256ELb0ELi3EEvPKT_PKT0_S8_ifPKiSA_SA_iPKfiiiPfSD_PS3_PT2_iSC_SC_
		.amdhsa_group_segment_fixed_size 5280
		.amdhsa_private_segment_fixed_size 0
		.amdhsa_kernarg_size 400
		.amdhsa_user_sgpr_count 2
		.amdhsa_user_sgpr_dispatch_ptr 0
		.amdhsa_user_sgpr_queue_ptr 0
		.amdhsa_user_sgpr_kernarg_segment_ptr 1
		.amdhsa_user_sgpr_dispatch_id 0
		.amdhsa_user_sgpr_kernarg_preload_length 0
		.amdhsa_user_sgpr_kernarg_preload_offset 0
		.amdhsa_user_sgpr_private_segment_size 0
		.amdhsa_uses_dynamic_stack 0
		.amdhsa_enable_private_segment 0
		.amdhsa_system_sgpr_workgroup_id_x 1
		.amdhsa_system_sgpr_workgroup_id_y 1
		.amdhsa_system_sgpr_workgroup_id_z 1
		.amdhsa_system_sgpr_workgroup_info 0
		.amdhsa_system_vgpr_workitem_id 0
		.amdhsa_next_free_vgpr 104
		.amdhsa_next_free_sgpr 38
		.amdhsa_accum_offset 96
		.amdhsa_reserve_vcc 1
		.amdhsa_float_round_mode_32 0
		.amdhsa_float_round_mode_16_64 0
		.amdhsa_float_denorm_mode_32 3
		.amdhsa_float_denorm_mode_16_64 3
		.amdhsa_dx10_clamp 1
		.amdhsa_ieee_mode 1
		.amdhsa_fp16_overflow 0
		.amdhsa_tg_split 0
		.amdhsa_exception_fp_ieee_invalid_op 0
		.amdhsa_exception_fp_denorm_src 0
		.amdhsa_exception_fp_ieee_div_zero 0
		.amdhsa_exception_fp_ieee_overflow 0
		.amdhsa_exception_fp_ieee_underflow 0
		.amdhsa_exception_fp_ieee_inexact 0
		.amdhsa_exception_int_div_zero 0
	.end_amdhsa_kernel
	.section	.text._Z38paged_attention_ll4mi_QKV_mfma4_kernelI14__hip_bfloat16S0_LN4vllm18Fp8KVCacheDataTypeE0ES0_Li16ELi128ELi256ELb0ELi3EEvPKT_PKT0_S8_ifPKiSA_SA_iPKfiiiPfSD_PS3_PT2_iSC_SC_,"axG",@progbits,_Z38paged_attention_ll4mi_QKV_mfma4_kernelI14__hip_bfloat16S0_LN4vllm18Fp8KVCacheDataTypeE0ES0_Li16ELi128ELi256ELb0ELi3EEvPKT_PKT0_S8_ifPKiSA_SA_iPKfiiiPfSD_PS3_PT2_iSC_SC_,comdat
.Lfunc_end670:
	.size	_Z38paged_attention_ll4mi_QKV_mfma4_kernelI14__hip_bfloat16S0_LN4vllm18Fp8KVCacheDataTypeE0ES0_Li16ELi128ELi256ELb0ELi3EEvPKT_PKT0_S8_ifPKiSA_SA_iPKfiiiPfSD_PS3_PT2_iSC_SC_, .Lfunc_end670-_Z38paged_attention_ll4mi_QKV_mfma4_kernelI14__hip_bfloat16S0_LN4vllm18Fp8KVCacheDataTypeE0ES0_Li16ELi128ELi256ELb0ELi3EEvPKT_PKT0_S8_ifPKiSA_SA_iPKfiiiPfSD_PS3_PT2_iSC_SC_
                                        ; -- End function
	.section	.AMDGPU.csdata,"",@progbits
; Kernel info:
; codeLenInByte = 4344
; NumSgprs: 44
; NumVgprs: 94
; NumAgprs: 8
; TotalNumVgprs: 104
; ScratchSize: 0
; MemoryBound: 0
; FloatMode: 240
; IeeeMode: 1
; LDSByteSize: 5280 bytes/workgroup (compile time only)
; SGPRBlocks: 5
; VGPRBlocks: 12
; NumSGPRsForWavesPerEU: 44
; NumVGPRsForWavesPerEU: 104
; AccumOffset: 96
; Occupancy: 4
; WaveLimiterHint : 1
; COMPUTE_PGM_RSRC2:SCRATCH_EN: 0
; COMPUTE_PGM_RSRC2:USER_SGPR: 2
; COMPUTE_PGM_RSRC2:TRAP_HANDLER: 0
; COMPUTE_PGM_RSRC2:TGID_X_EN: 1
; COMPUTE_PGM_RSRC2:TGID_Y_EN: 1
; COMPUTE_PGM_RSRC2:TGID_Z_EN: 1
; COMPUTE_PGM_RSRC2:TIDIG_COMP_CNT: 0
; COMPUTE_PGM_RSRC3_GFX90A:ACCUM_OFFSET: 23
; COMPUTE_PGM_RSRC3_GFX90A:TG_SPLIT: 0
	.section	.text._Z38paged_attention_ll4mi_QKV_mfma4_kernelI14__hip_bfloat16S0_LN4vllm18Fp8KVCacheDataTypeE0ES0_Li16ELi128ELi256ELb0ELi4EEvPKT_PKT0_S8_ifPKiSA_SA_iPKfiiiPfSD_PS3_PT2_iSC_SC_,"axG",@progbits,_Z38paged_attention_ll4mi_QKV_mfma4_kernelI14__hip_bfloat16S0_LN4vllm18Fp8KVCacheDataTypeE0ES0_Li16ELi128ELi256ELb0ELi4EEvPKT_PKT0_S8_ifPKiSA_SA_iPKfiiiPfSD_PS3_PT2_iSC_SC_,comdat
	.protected	_Z38paged_attention_ll4mi_QKV_mfma4_kernelI14__hip_bfloat16S0_LN4vllm18Fp8KVCacheDataTypeE0ES0_Li16ELi128ELi256ELb0ELi4EEvPKT_PKT0_S8_ifPKiSA_SA_iPKfiiiPfSD_PS3_PT2_iSC_SC_ ; -- Begin function _Z38paged_attention_ll4mi_QKV_mfma4_kernelI14__hip_bfloat16S0_LN4vllm18Fp8KVCacheDataTypeE0ES0_Li16ELi128ELi256ELb0ELi4EEvPKT_PKT0_S8_ifPKiSA_SA_iPKfiiiPfSD_PS3_PT2_iSC_SC_
	.globl	_Z38paged_attention_ll4mi_QKV_mfma4_kernelI14__hip_bfloat16S0_LN4vllm18Fp8KVCacheDataTypeE0ES0_Li16ELi128ELi256ELb0ELi4EEvPKT_PKT0_S8_ifPKiSA_SA_iPKfiiiPfSD_PS3_PT2_iSC_SC_
	.p2align	8
	.type	_Z38paged_attention_ll4mi_QKV_mfma4_kernelI14__hip_bfloat16S0_LN4vllm18Fp8KVCacheDataTypeE0ES0_Li16ELi128ELi256ELb0ELi4EEvPKT_PKT0_S8_ifPKiSA_SA_iPKfiiiPfSD_PS3_PT2_iSC_SC_,@function
_Z38paged_attention_ll4mi_QKV_mfma4_kernelI14__hip_bfloat16S0_LN4vllm18Fp8KVCacheDataTypeE0ES0_Li16ELi128ELi256ELb0ELi4EEvPKT_PKT0_S8_ifPKiSA_SA_iPKfiiiPfSD_PS3_PT2_iSC_SC_: ; @_Z38paged_attention_ll4mi_QKV_mfma4_kernelI14__hip_bfloat16S0_LN4vllm18Fp8KVCacheDataTypeE0ES0_Li16ELi128ELi256ELb0ELi4EEvPKT_PKT0_S8_ifPKiSA_SA_iPKfiiiPfSD_PS3_PT2_iSC_SC_
; %bb.0:
	s_load_dwordx2 s[8:9], s[0:1], 0x30
	s_mov_b32 s20, s3
	s_mov_b64 s[6:7], 0
	s_waitcnt lgkmcnt(0)
	s_cmp_lg_u64 s[8:9], 0
	s_cselect_b64 s[10:11], -1, 0
	s_and_b64 vcc, exec, s[10:11]
	s_cbranch_vccz .LBB671_20
; %bb.1:
	s_add_i32 s12, s2, 1
	s_mov_b32 s13, 0
	s_lshl_b64 s[14:15], s[12:13], 2
	s_add_u32 s14, s8, s14
	s_mov_b32 s3, s13
	s_addc_u32 s15, s9, s15
	s_lshl_b64 s[12:13], s[2:3], 2
	s_add_u32 s12, s8, s12
	s_addc_u32 s13, s9, s13
	s_load_dword s5, s[14:15], 0x0
	s_load_dword s16, s[12:13], 0x0
	s_mov_b64 s[30:31], s[2:3]
	s_waitcnt lgkmcnt(0)
	s_sub_i32 s5, s5, s16
	s_cmp_eq_u32 s5, 1
	s_cselect_b64 s[12:13], -1, 0
	s_andn2_b64 vcc, exec, s[6:7]
	s_cbranch_vccnz .LBB671_3
.LBB671_2:
	s_mov_b32 s3, 0
	s_mov_b64 s[12:13], -1
	s_mov_b64 s[30:31], s[2:3]
.LBB671_3:
	s_andn2_b64 vcc, exec, s[12:13]
	s_cbranch_vccnz .LBB671_19
; %bb.4:
	s_load_dword s3, s[0:1], 0x9c
	s_load_dwordx2 s[6:7], s[0:1], 0x28
	s_add_u32 s24, s0, 0x90
	s_addc_u32 s25, s1, 0
	s_lshl_b64 s[34:35], s[30:31], 2
	s_waitcnt lgkmcnt(0)
	s_and_b32 s5, s3, 0xffff
	s_add_u32 s6, s6, s34
	s_addc_u32 s7, s7, s35
	s_load_dword s3, s[6:7], 0x0
	s_mul_i32 s16, s20, s5
	s_waitcnt lgkmcnt(0)
	s_cmp_ge_i32 s16, s3
	s_cbranch_scc1 .LBB671_19
; %bb.5:
	v_and_b32_e32 v1, 0xc0, v0
	v_add_u32_e32 v2, s16, v1
	v_lshrrev_b32_e32 v72, 6, v0
	v_cmp_le_i32_e64 s[6:7], s3, v2
                                        ; implicit-def: $sgpr18
                                        ; implicit-def: $sgpr17
	s_and_saveexec_b64 s[12:13], s[6:7]
	s_xor_b64 s[12:13], exec, s[12:13]
	s_cbranch_execz .LBB671_7
; %bb.6:
	v_mul_u32_u24_e32 v1, 20, v72
	v_or_b32_e32 v1, 0x1400, v1
	v_mov_b32_e32 v2, 0x1450
	v_mov_b32_e32 v3, 0xff7fffff
	v_mad_u32_u24 v2, v72, 20, v2
	ds_write2_b32 v1, v3, v3 offset1:1
	v_mov_b32_e32 v1, 0
	ds_write2_b32 v2, v1, v1 offset1:1
	v_mov_b32_e32 v2, 0x1408
	s_mov_b32 s17, 0xff7fffff
	s_mov_b32 s18, 0
	v_mad_u32_u24 v2, v72, 20, v2
	v_mov_b32_e32 v4, 0x1458
	v_mad_u32_u24 v4, v72, 20, v4
	ds_write2_b32 v2, v3, v3 offset1:1
	ds_write2_b32 v4, v1, v1 offset1:1
                                        ; implicit-def: $vgpr2
.LBB671_7:
	s_or_saveexec_b64 s[26:27], s[12:13]
	s_load_dwordx2 s[22:23], s[0:1], 0x68
	s_load_dwordx4 s[12:15], s[0:1], 0x58
	s_load_dword s5, s[24:25], 0x4
	v_and_b32_e32 v1, 63, v0
	v_and_b32_e32 v70, 3, v0
	v_mov_b32_e32 v67, s18
	v_mov_b32_e32 v73, s17
	;; [unrolled: 1-line block ×5, first 2 shown]
                                        ; implicit-def: $vgpr51
                                        ; implicit-def: $vgpr55
                                        ; implicit-def: $vgpr11
                                        ; implicit-def: $vgpr23
                                        ; implicit-def: $vgpr39
                                        ; implicit-def: $vgpr3
                                        ; implicit-def: $vgpr19
                                        ; implicit-def: $vgpr27
                                        ; implicit-def: $vgpr63
                                        ; implicit-def: $vgpr59
                                        ; implicit-def: $vgpr7
                                        ; implicit-def: $vgpr15
                                        ; implicit-def: $vgpr31
                                        ; implicit-def: $vgpr35
                                        ; implicit-def: $vgpr43
                                        ; implicit-def: $vgpr47
	s_xor_b64 exec, exec, s[26:27]
	s_cbranch_execz .LBB671_13
; %bb.8:
	s_add_i32 s21, s3, 15
	s_load_dwordx2 s[18:19], s[0:1], 0x20
	s_load_dword s17, s[0:1], 0x38
	s_ashr_i32 s28, s21, 31
	s_lshr_b32 s28, s28, 28
	v_add_u32_e32 v66, s16, v0
	s_add_i32 s21, s21, s28
	v_ashrrev_i32_e32 v3, 31, v66
	s_ashr_i32 s21, s21, 4
	v_lshrrev_b32_e32 v3, 28, v3
	s_add_i32 s21, s21, -1
	v_add_u32_e32 v3, v66, v3
	s_waitcnt lgkmcnt(0)
	s_mul_i32 s36, s2, s17
	s_mov_b32 s37, 0
	v_ashrrev_i32_e32 v3, 4, v3
	v_mov_b32_e32 v4, s21
	v_cmp_gt_i32_e32 vcc, s3, v66
	s_lshl_b64 s[28:29], s[36:37], 2
	s_add_u32 s18, s18, s28
	v_cndmask_b32_e32 v4, v4, v3, vcc
	v_ashrrev_i32_e32 v3, 31, v2
	v_lshrrev_b32_e32 v3, 28, v3
	s_addc_u32 s19, s19, s29
	v_ashrrev_i32_e32 v5, 31, v4
	v_add_u32_e32 v2, v2, v3
	v_lshl_add_u64 v[8:9], v[4:5], 2, s[18:19]
	v_ashrrev_i32_e32 v4, 4, v2
	v_min_i32_e32 v2, s21, v4
	v_ashrrev_i32_e32 v3, 31, v2
	v_lshl_add_u64 v[10:11], v[2:3], 2, s[18:19]
	v_add_u32_e32 v2, 1, v4
	v_min_i32_e32 v2, s21, v2
	v_ashrrev_i32_e32 v3, 31, v2
	v_lshl_add_u64 v[12:13], v[2:3], 2, s[18:19]
	v_add_u32_e32 v2, 2, v4
	;; [unrolled: 4-line block ×3, first 2 shown]
	v_min_i32_e32 v2, s21, v2
	v_ashrrev_i32_e32 v3, 31, v2
	v_lshl_add_u64 v[16:17], v[2:3], 2, s[18:19]
	global_load_dword v2, v[8:9], off
	global_load_dword v4, v[10:11], off
	;; [unrolled: 1-line block ×5, first 2 shown]
	s_load_dwordx4 s[16:19], s[0:1], 0x0
	s_load_dwordx2 s[28:29], s[0:1], 0x10
	s_andn2_b64 vcc, exec, s[10:11]
	s_cbranch_vccnz .LBB671_10
; %bb.9:
	s_add_u32 s8, s8, s34
	s_addc_u32 s9, s9, s35
	s_load_dword s36, s[8:9], 0x0
	s_waitcnt lgkmcnt(0)
	s_mov_b64 s[30:31], s[36:37]
.LBB671_10:
	s_load_dwordx4 s[8:11], s[0:1], 0x48
	v_lshlrev_b32_e32 v3, 2, v1
	v_and_b32_e32 v3, 0xf0, v3
	v_lshl_or_b32 v3, v70, 8, v3
	v_and_b32_e32 v8, 15, v0
	s_waitcnt lgkmcnt(0)
	s_ashr_i32 s11, s8, 31
	s_mul_hi_u32 s21, s30, s8
	s_mul_i32 s31, s31, s8
	s_mul_i32 s34, s30, s8
	;; [unrolled: 1-line block ×3, first 2 shown]
	s_add_i32 s8, s21, s8
	s_add_i32 s35, s8, s31
	s_lshl_b64 s[30:31], s[34:35], 1
	s_add_u32 s8, s16, s30
	s_addc_u32 s11, s17, s31
	s_lshl_b32 s36, s4, 9
	s_lshl_b64 s[16:17], s[36:37], 1
	s_add_u32 s16, s8, s16
	s_addc_u32 s17, s11, s17
	global_load_dwordx4 v[74:77], v3, s[16:17]
	s_mul_i32 s36, s4, s10
	s_waitcnt vmcnt(5)
	v_mad_i64_i32 v[2:3], s[16:17], v2, s9, 0
	s_lshl_b64 s[10:11], s[36:37], 1
	s_add_u32 s16, s10, s18
	s_addc_u32 s17, s11, s19
	v_lshl_add_u64 v[2:3], v[2:3], 1, s[16:17]
	v_lshlrev_b32_e32 v50, 4, v8
	v_mov_b32_e32 v51, 0
	v_lshl_add_u64 v[2:3], v[2:3], 0, v[50:51]
	global_load_dwordx4 v[8:11], v[2:3], off
	global_load_dwordx4 v[12:15], v[2:3], off offset:256
	global_load_dwordx4 v[16:19], v[2:3], off offset:512
	;; [unrolled: 1-line block ×15, first 2 shown]
	s_waitcnt vmcnt(20)
	v_mul_hi_i32 v48, v4, s9
	s_waitcnt vmcnt(19)
	v_mul_hi_i32 v50, v5, s9
	;; [unrolled: 2-line block ×4, first 2 shown]
	v_ashrrev_i32_e32 v94, 31, v48
	v_ashrrev_i32_e32 v48, 31, v50
	;; [unrolled: 1-line block ×4, first 2 shown]
	v_mov_b32_e32 v49, v51
	v_mov_b32_e32 v65, v51
	v_mov_b32_e32 v69, v51
	v_lshrrev_b32_e32 v48, 29, v48
	v_lshrrev_b32_e32 v64, 29, v50
	;; [unrolled: 1-line block ×3, first 2 shown]
	v_mad_i64_i32 v[2:3], s[16:17], v5, s9, v[48:49]
	v_mad_i64_i32 v[48:49], s[16:17], v6, s9, v[64:65]
	;; [unrolled: 1-line block ×3, first 2 shown]
	v_lshrrev_b32_e32 v50, 29, v94
	v_lshlrev_b64 v[2:3], 1, v[2:3]
	v_lshlrev_b64 v[6:7], 1, v[6:7]
	s_add_u32 s10, s28, s10
	v_mad_i64_i32 v[4:5], s[8:9], v4, s9, v[50:51]
	v_and_b32_e32 v2, -16, v2
	v_and_b32_e32 v6, -16, v6
	s_addc_u32 s11, s29, s11
	v_lshlrev_b64 v[64:65], 1, v[4:5]
	v_lshlrev_b32_e32 v50, 5, v1
	v_lshl_add_u64 v[2:3], s[10:11], 0, v[2:3]
	v_lshl_add_u64 v[6:7], s[10:11], 0, v[6:7]
	v_and_b32_e32 v64, -16, v64
	v_lshl_add_u64 v[2:3], v[2:3], 0, v[50:51]
	v_lshl_add_u64 v[68:69], v[6:7], 0, v[50:51]
	s_load_dword s0, s[0:1], 0x1c
	v_and_b32_e32 v92, -4, v66
	v_cmp_eq_u32_e32 vcc, 0, v70
	v_lshlrev_b32_e32 v93, 2, v0
	s_waitcnt vmcnt(15)
	v_mfma_f32_4x4x4_16b_bf16 a[0:3], v[74:75], v[8:9], 0 cbsz:4
	v_lshlrev_b64 v[8:9], 1, v[48:49]
	s_nop 0
	v_mfma_f32_4x4x4_16b_bf16 a[0:3], v[76:77], v[10:11], a[0:3] cbsz:4
	v_and_b32_e32 v8, -16, v8
	v_lshl_add_u64 v[8:9], s[10:11], 0, v[8:9]
	s_waitcnt vmcnt(14)
	v_mfma_f32_4x4x4_16b_bf16 a[0:3], v[74:75], v[12:13], a[0:3] cbsz:4 abid:1
	v_cndmask_b32_e64 v71, 0, 1.0, vcc
	v_cmp_eq_u32_e32 vcc, 1, v70
	v_mfma_f32_4x4x4_16b_bf16 a[0:3], v[76:77], v[14:15], a[0:3] cbsz:4 abid:1
	s_nop 0
	v_cndmask_b32_e64 v73, 0, 1.0, vcc
	s_waitcnt vmcnt(13)
	v_mfma_f32_4x4x4_16b_bf16 a[0:3], v[74:75], v[16:17], a[0:3] cbsz:4 abid:2
	v_cmp_eq_u32_e32 vcc, 2, v70
	s_nop 0
	v_mfma_f32_4x4x4_16b_bf16 a[0:3], v[76:77], v[18:19], a[0:3] cbsz:4 abid:2
	v_lshl_add_u64 v[18:19], v[8:9], 0, v[50:51]
	v_cndmask_b32_e64 v90, 0, 1.0, vcc
	s_waitcnt vmcnt(12)
	v_mfma_f32_4x4x4_16b_bf16 a[0:3], v[74:75], v[20:21], a[0:3] cbsz:4 abid:3
	v_cmp_eq_u32_e32 vcc, 3, v70
	s_nop 0
	v_mfma_f32_4x4x4_16b_bf16 a[0:3], v[76:77], v[22:23], a[0:3] cbsz:4 abid:3
	v_cndmask_b32_e64 v91, 0, 1.0, vcc
	v_cmp_gt_i32_e32 vcc, s3, v92
	s_waitcnt vmcnt(11)
	v_mfma_f32_4x4x4_16b_bf16 a[0:3], v[74:75], v[24:25], a[0:3] cbsz:4 abid:4
	global_load_dwordx4 v[10:13], v[2:3], off
	global_load_dwordx4 v[22:25], v[2:3], off offset:16
	v_mfma_f32_4x4x4_16b_bf16 a[0:3], v[76:77], v[26:27], a[0:3] cbsz:4 abid:4
	global_load_dwordx4 v[6:9], v[2:3], off offset:2048
	global_load_dwordx4 v[14:17], v[2:3], off offset:2064
	s_waitcnt vmcnt(14)
	v_mfma_f32_4x4x4_16b_bf16 a[0:3], v[74:75], v[28:29], a[0:3] cbsz:4 abid:5
	s_nop 1
	v_mfma_f32_4x4x4_16b_bf16 a[0:3], v[76:77], v[30:31], a[0:3] cbsz:4 abid:5
	s_waitcnt vmcnt(13)
	s_nop 0
	v_mfma_f32_4x4x4_16b_bf16 a[0:3], v[74:75], v[32:33], a[0:3] cbsz:4 abid:6
	s_nop 1
	v_mfma_f32_4x4x4_16b_bf16 a[0:3], v[76:77], v[34:35], a[0:3] cbsz:4 abid:6
	s_waitcnt vmcnt(12)
	s_nop 0
	;; [unrolled: 5-line block ×3, first 2 shown]
	v_mfma_f32_4x4x4_16b_bf16 a[0:3], v[74:75], v[40:41], a[0:3] cbsz:4 abid:8
	global_load_dwordx4 v[38:41], v[18:19], off
	global_load_dwordx4 v[2:5], v[18:19], off offset:16
	v_mfma_f32_4x4x4_16b_bf16 a[0:3], v[76:77], v[42:43], a[0:3] cbsz:4 abid:8
	global_load_dwordx4 v[30:33], v[18:19], off offset:2048
	global_load_dwordx4 v[34:37], v[18:19], off offset:2064
	s_waitcnt vmcnt(14)
	v_mfma_f32_4x4x4_16b_bf16 a[0:3], v[74:75], v[44:45], a[0:3] cbsz:4 abid:9
	global_load_dwordx4 v[18:21], v[68:69], off
	global_load_dwordx4 v[26:29], v[68:69], off offset:16
	v_mfma_f32_4x4x4_16b_bf16 a[0:3], v[76:77], v[46:47], a[0:3] cbsz:4 abid:9
	global_load_dwordx4 v[42:45], v[68:69], off offset:2048
	global_load_dwordx4 v[46:49], v[68:69], off offset:2064
	s_waitcnt vmcnt(17)
	v_mfma_f32_4x4x4_16b_bf16 a[0:3], v[74:75], v[52:53], a[0:3] cbsz:4 abid:10
	v_lshl_add_u64 v[52:53], s[10:11], 0, v[64:65]
	v_lshl_add_u64 v[68:69], v[52:53], 0, v[50:51]
	v_mfma_f32_4x4x4_16b_bf16 a[0:3], v[76:77], v[54:55], a[0:3] cbsz:4 abid:10
	s_waitcnt vmcnt(16)
	s_nop 0
	v_mfma_f32_4x4x4_16b_bf16 a[0:3], v[74:75], v[56:57], a[0:3] cbsz:4 abid:11
	global_load_dwordx4 v[50:53], v[68:69], off
	global_load_dwordx4 v[54:57], v[68:69], off offset:16
	v_mfma_f32_4x4x4_16b_bf16 a[0:3], v[76:77], v[58:59], a[0:3] cbsz:4 abid:11
	s_waitcnt vmcnt(17)
	s_nop 0
	v_mfma_f32_4x4x4_16b_bf16 a[0:3], v[74:75], v[60:61], a[0:3] cbsz:4 abid:12
	s_nop 1
	v_mfma_f32_4x4x4_16b_bf16 a[0:3], v[76:77], v[62:63], a[0:3] cbsz:4 abid:12
	global_load_dwordx4 v[62:65], v[68:69], off offset:2048
	global_load_dwordx4 v[58:61], v[68:69], off offset:2064
	s_waitcnt vmcnt(18)
	v_mfma_f32_4x4x4_16b_bf16 a[0:3], v[74:75], v[78:79], a[0:3] cbsz:4 abid:13
	v_mov_b32_e32 v78, 0xff7fffff
	s_nop 0
	v_mfma_f32_4x4x4_16b_bf16 a[0:3], v[76:77], v[80:81], a[0:3] cbsz:4 abid:13
	s_waitcnt vmcnt(17)
	s_nop 0
	v_mfma_f32_4x4x4_16b_bf16 a[0:3], v[74:75], v[82:83], a[0:3] cbsz:4 abid:14
	s_nop 1
	v_mfma_f32_4x4x4_16b_bf16 a[0:3], v[76:77], v[84:85], a[0:3] cbsz:4 abid:14
	s_waitcnt vmcnt(16)
	s_nop 0
	v_mfma_f32_4x4x4_16b_bf16 a[0:3], v[74:75], v[86:87], a[0:3] cbsz:4 abid:15
	v_or_b32_e32 v74, 3, v66
	v_and_or_b32 v75, v93, 48, v70
	v_mfma_f32_4x4x4_16b_bf16 a[0:3], v[76:77], v[88:89], a[0:3] cbsz:4 abid:15
	v_cmp_gt_i32_e64 s[10:11], s3, v74
	s_nop 3
	v_accvgpr_read_b32 v67, a1
	v_accvgpr_read_b32 v66, a0
	s_waitcnt lgkmcnt(0)
	v_pk_mul_f32 v[66:67], s[0:1], v[66:67] op_sel_hi:[0,1]
	v_accvgpr_read_b32 v69, a3
	v_accvgpr_read_b32 v68, a2
	v_pk_mul_f32 v[68:69], s[0:1], v[68:69] op_sel_hi:[0,1]
	v_mfma_f32_4x4x1_16b_f32 a[0:3], v66, v71, 0
	v_or_b32_e32 v66, 1, v92
	s_nop 0
	v_mfma_f32_4x4x1_16b_f32 a[0:3], v67, v73, a[0:3]
	v_lshlrev_b32_e32 v71, 2, v75
	v_cmp_gt_i32_e64 s[0:1], s3, v66
	v_mfma_f32_4x4x1_16b_f32 a[0:3], v68, v90, a[0:3]
	v_or_b32_e32 v67, 2, v92
	v_cmp_gt_i32_e64 s[8:9], s3, v67
	v_mfma_f32_4x4x1_16b_f32 a[0:3], v69, v91, a[0:3]
	s_nop 3
	v_accvgpr_read_b32 v68, a0
	v_max_f32_e32 v73, v68, v68
	v_accvgpr_read_b32 v69, a1
	v_max_f32_e32 v73, 0xff7fffff, v73
	v_max_f32_e32 v77, v69, v69
	v_cndmask_b32_e32 v73, v78, v73, vcc
	v_accvgpr_read_b32 v75, a2
	v_max_f32_e32 v77, v73, v77
	v_max_f32_e32 v79, v75, v75
	v_cndmask_b32_e64 v66, v73, v77, s[0:1]
	v_accvgpr_read_b32 v76, a3
	v_max_f32_e32 v73, v66, v79
	v_max_f32_e32 v80, v76, v76
	v_cndmask_b32_e64 v66, v66, v73, s[8:9]
	v_max_f32_e32 v67, v66, v80
	v_cndmask_b32_e64 v66, v66, v67, s[10:11]
	;;#ASMSTART
	v_nop
 v_nop
 v_max_f32_dpp v66, v66, v66 row_ror:4
	;;#ASMEND
	s_nop 0
	;;#ASMSTART
	v_nop
 v_nop
 v_max_f32_dpp v66, v66, v66 row_ror:8
	;;#ASMEND
	ds_bpermute_b32 v66, v71, v66
	s_waitcnt lgkmcnt(0)
	;;#ASMSTART
	v_nop
 v_nop
 v_max_f32_dpp v66, v66, v66 row_ror:4
	;;#ASMEND
	s_nop 0
	;;#ASMSTART
	v_nop
 v_nop
 v_max_f32_dpp v73, v66, v66 row_ror:8
	;;#ASMEND
	s_nop 0
	v_sub_f32_e32 v66, v68, v73
	v_sub_f32_e32 v67, v69, v73
	v_sub_f32_e32 v68, v75, v73
	v_mul_f32_e32 v66, 0x3fb8aa3b, v66
	v_mul_f32_e32 v67, 0x3fb8aa3b, v67
	;; [unrolled: 1-line block ×3, first 2 shown]
	v_exp_f32_e32 v66, v66
	v_sub_f32_e32 v69, v76, v73
	v_exp_f32_e32 v67, v67
	v_exp_f32_e32 v74, v68
	v_mul_f32_e32 v69, 0x3fb8aa3b, v69
	v_exp_f32_e32 v75, v69
	v_cndmask_b32_e32 v68, 0, v66, vcc
	v_cndmask_b32_e64 v69, 0, v67, s[0:1]
	v_cndmask_b32_e64 v66, 0, v74, s[8:9]
	v_add_f32_e32 v74, 0, v68
	v_add_f32_e32 v74, v74, v69
	v_cndmask_b32_e64 v67, 0, v75, s[10:11]
	v_add_f32_e32 v74, v74, v66
	v_add_f32_e32 v74, v74, v67
	;;#ASMSTART
	v_nop
 v_nop
 v_add_f32_dpp v74, v74, v74 row_ror:4
	;;#ASMEND
	v_cmp_gt_u32_e32 vcc, 4, v1
	;;#ASMSTART
	v_nop
 v_nop
 v_add_f32_dpp v74, v74, v74 row_ror:8
	;;#ASMEND
	ds_bpermute_b32 v71, v71, v74
	s_waitcnt lgkmcnt(0)
	;;#ASMSTART
	v_nop
 v_nop
 v_add_f32_dpp v71, v71, v71 row_ror:4
	;;#ASMEND
	s_nop 0
	;;#ASMSTART
	v_nop
 v_nop
 v_add_f32_dpp v71, v71, v71 row_ror:8
	;;#ASMEND
	s_and_saveexec_b64 s[0:1], vcc
	s_cbranch_execz .LBB671_12
; %bb.11:
	v_mul_u32_u24_e32 v74, 20, v72
	v_lshl_add_u32 v74, v70, 2, v74
	v_add_u32_e32 v74, 0x1400, v74
	ds_write2_b32 v74, v73, v71 offset1:20
.LBB671_12:
	s_or_b64 exec, exec, s[0:1]
.LBB671_13:
	s_or_b64 exec, exec, s[26:27]
	v_lshlrev_b32_e32 v71, 2, v70
	v_add_u32_e32 v71, 0x1400, v71
	s_waitcnt lgkmcnt(0)
	s_barrier
	s_load_dword s0, s[24:25], 0x8
	ds_read2_b32 v[76:77], v71 offset1:5
	ds_read2_b32 v[78:79], v71 offset0:10 offset1:15
	s_mov_b32 s8, 0xff7fffff
	s_mul_i32 s1, s2, s5
	s_lshl_b32 s4, s4, 2
	s_waitcnt lgkmcnt(0)
	v_max3_f32 v74, v76, s8, v77
	s_mul_i32 s1, s1, s0
	v_max3_f32 v74, v74, v78, v79
	s_lshl_b32 s0, s1, 2
	s_mov_b32 s1, 0
	v_sub_f32_e32 v75, v76, v74
	v_sub_f32_e32 v76, v77, v74
	s_lshl_b64 s[2:3], s[0:1], 2
	ds_read2_b32 v[80:81], v71 offset0:20 offset1:25
	v_mul_f32_e32 v75, 0x3fb8aa3b, v75
	v_mul_f32_e32 v76, 0x3fb8aa3b, v76
	s_add_u32 s10, s12, s2
	v_exp_f32_e32 v75, v75
	v_exp_f32_e32 v82, v76
	ds_read2_b32 v[76:77], v71 offset0:30 offset1:35
	v_sub_f32_e32 v71, v78, v74
	s_addc_u32 s11, s13, s3
	v_mul_f32_e32 v71, 0x3fb8aa3b, v71
	v_sub_f32_e32 v78, v79, v74
	s_mov_b32 s21, s1
	s_add_u32 s8, s14, s2
	v_exp_f32_e32 v71, v71
	v_mul_f32_e32 v78, 0x3fb8aa3b, v78
	s_addc_u32 s9, s15, s3
	s_lshl_b64 s[2:3], s[20:21], 2
	v_exp_f32_e32 v78, v78
	s_add_u32 s8, s8, s2
	s_waitcnt lgkmcnt(1)
	v_fma_f32 v75, v75, v80, 0
	s_addc_u32 s9, s9, s3
	v_fmac_f32_e32 v75, v82, v81
	v_or_b32_e32 v70, s4, v70
	s_waitcnt lgkmcnt(0)
	v_fmac_f32_e32 v75, v71, v76
	s_add_u32 s2, s10, s2
	v_mul_lo_u32 v70, s5, v70
	v_mov_b32_e32 v71, 0
	v_fmac_f32_e32 v75, v78, v77
	s_addc_u32 s3, s11, s3
	v_lshlrev_b64 v[76:77], 2, v[70:71]
	v_lshl_add_u64 v[78:79], s[8:9], 0, v[76:77]
	v_lshl_add_u64 v[76:77], s[2:3], 0, v[76:77]
	v_lshlrev_b32_e32 v72, 3, v72
	global_store_dword v[78:79], v74, off
	global_store_dword v[76:77], v75, off
	s_and_saveexec_b64 s[2:3], s[6:7]
	s_xor_b64 s[2:3], exec, s[2:3]
	s_cbranch_execz .LBB671_15
; %bb.14:
	s_waitcnt vmcnt(12)
	v_mad_u32_u24 v2, v1, 40, v72
	v_mov_b32_e32 v70, v71
	ds_write_b64 v2, v[70:71]
                                        ; implicit-def: $vgpr67
                                        ; implicit-def: $vgpr69
                                        ; implicit-def: $vgpr51
                                        ; implicit-def: $vgpr55
                                        ; implicit-def: $vgpr11
                                        ; implicit-def: $vgpr23
                                        ; implicit-def: $vgpr39
                                        ; implicit-def: $vgpr3
                                        ; implicit-def: $vgpr19
                                        ; implicit-def: $vgpr27
                                        ; implicit-def: $vgpr63
                                        ; implicit-def: $vgpr59
                                        ; implicit-def: $vgpr7
                                        ; implicit-def: $vgpr15
                                        ; implicit-def: $vgpr31
                                        ; implicit-def: $vgpr35
                                        ; implicit-def: $vgpr43
                                        ; implicit-def: $vgpr47
                                        ; implicit-def: $vgpr73
                                        ; implicit-def: $vgpr74
                                        ; implicit-def: $vgpr75
.LBB671_15:
	s_or_saveexec_b64 s[2:3], s[2:3]
	v_mov_b32_e32 v70, s1
	v_mov_b32_e32 v71, s1
	s_xor_b64 exec, exec, s[2:3]
	s_cbranch_execz .LBB671_17
; %bb.16:
	v_add_f32_e32 v70, 0x358637bd, v75
	v_div_scale_f32 v71, s[6:7], v70, v70, 1.0
	v_rcp_f32_e32 v75, v71
	v_sub_f32_e32 v73, v73, v74
	v_mul_f32_e32 v73, 0x3fb8aa3b, v73
	v_exp_f32_e32 v73, v73
	v_fma_f32 v74, -v71, v75, 1.0
	v_fmac_f32_e32 v75, v74, v75
	v_div_scale_f32 v74, vcc, 1.0, v70, 1.0
	v_mul_f32_e32 v76, v74, v75
	v_fma_f32 v77, -v71, v76, v74
	v_fmac_f32_e32 v76, v77, v75
	v_fma_f32 v71, -v71, v76, v74
	v_div_fmas_f32 v71, v71, v75, v76
	v_div_fixup_f32 v70, v71, v70, 1.0
	v_mul_f32_e32 v70, v73, v70
	v_pk_mul_f32 v[68:69], v[68:69], v[70:71] op_sel_hi:[1,0]
	v_pk_mul_f32 v[66:67], v[66:67], v[70:71] op_sel_hi:[1,0]
	v_bfe_u32 v70, v69, 16, 1
	v_bfe_u32 v71, v68, 16, 1
	s_movk_i32 s1, 0x7fff
	v_add3_u32 v68, v68, v71, s1
	v_add3_u32 v69, v69, v70, s1
	s_mov_b32 s6, 0x7060302
	v_perm_b32 v68, v69, v68, s6
	v_bfe_u32 v69, v67, 16, 1
	v_bfe_u32 v70, v66, 16, 1
	v_add3_u32 v66, v66, v70, s1
	v_add3_u32 v67, v67, v69, s1
	v_perm_b32 v69, v67, v66, s6
	s_waitcnt vmcnt(5)
	s_nop 0
	v_mfma_f32_4x4x4_16b_bf16 a[0:3], v[68:69], v[50:51], 0 cbsz:4
	s_nop 1
	v_mfma_f32_4x4x4_16b_bf16 a[0:3], v[68:69], v[52:53], a[0:3] cbsz:4 abid:1
	s_waitcnt vmcnt(3)
	v_mfma_f32_4x4x4_16b_bf16 a[4:7], v[68:69], v[62:63], 0 cbsz:4
	v_mfma_f32_4x4x4_16b_bf16 a[0:3], v[68:69], v[54:55], a[0:3] cbsz:4 abid:2
	s_nop 0
	v_mfma_f32_4x4x4_16b_bf16 a[4:7], v[68:69], v[64:65], a[4:7] cbsz:4 abid:1
	v_mfma_f32_4x4x4_16b_bf16 a[0:3], v[68:69], v[56:57], a[0:3] cbsz:4 abid:3
	s_waitcnt vmcnt(2)
	v_mfma_f32_4x4x4_16b_bf16 a[4:7], v[68:69], v[58:59], a[4:7] cbsz:4 abid:2
	v_mfma_f32_4x4x4_16b_bf16 a[0:3], v[68:69], v[10:11], a[0:3] cbsz:4 abid:4
	s_nop 1
	v_mfma_f32_4x4x4_16b_bf16 a[0:3], v[68:69], v[12:13], a[0:3] cbsz:4 abid:5
	s_nop 1
	;; [unrolled: 2-line block ×12, first 2 shown]
	v_accvgpr_read_b32 v3, a2
	v_accvgpr_read_b32 v4, a3
	;; [unrolled: 1-line block ×4, first 2 shown]
	v_mfma_f32_4x4x4_16b_bf16 a[0:3], v[68:69], v[60:61], a[4:7] cbsz:4 abid:3
	v_bfe_u32 v10, v5, 16, 1
	v_add3_u32 v5, v5, v10, s1
	v_mfma_f32_4x4x4_16b_bf16 a[0:3], v[68:69], v[6:7], a[0:3] cbsz:4 abid:4
	v_bfe_u32 v6, v2, 16, 1
	v_add3_u32 v2, v2, v6, s1
	v_mfma_f32_4x4x4_16b_bf16 a[0:3], v[68:69], v[8:9], a[0:3] cbsz:4 abid:5
	v_perm_b32 v2, v5, v2, s6
	v_bfe_u32 v5, v4, 16, 1
	v_mfma_f32_4x4x4_16b_bf16 a[0:3], v[68:69], v[14:15], a[0:3] cbsz:4 abid:6
	v_bfe_u32 v6, v3, 16, 1
	v_add3_u32 v3, v3, v6, s1
	v_mfma_f32_4x4x4_16b_bf16 a[0:3], v[68:69], v[16:17], a[0:3] cbsz:4 abid:7
	v_add3_u32 v4, v4, v5, s1
	v_perm_b32 v3, v4, v3, s6
	v_mfma_f32_4x4x4_16b_bf16 a[0:3], v[68:69], v[30:31], a[0:3] cbsz:4 abid:8
	v_mad_u32_u24 v4, v1, 40, v72
	ds_write_b64 v4, v[2:3]
	v_mfma_f32_4x4x4_16b_bf16 a[0:3], v[68:69], v[32:33], a[0:3] cbsz:4 abid:9
	s_nop 1
	v_mfma_f32_4x4x4_16b_bf16 a[0:3], v[68:69], v[34:35], a[0:3] cbsz:4 abid:10
	s_nop 1
	;; [unrolled: 2-line block ×7, first 2 shown]
	v_accvgpr_read_b32 v4, a0
	v_accvgpr_read_b32 v5, a1
	;; [unrolled: 1-line block ×4, first 2 shown]
	v_bfe_u32 v6, v5, 16, 1
	v_bfe_u32 v7, v4, 16, 1
	v_add3_u32 v4, v4, v7, s1
	v_add3_u32 v5, v5, v6, s1
	v_bfe_u32 v6, v3, 16, 1
	v_bfe_u32 v7, v2, 16, 1
	v_add3_u32 v2, v2, v7, s1
	v_add3_u32 v3, v3, v6, s1
	v_perm_b32 v71, v3, v2, s6
	v_perm_b32 v70, v5, v4, s6
.LBB671_17:
	s_or_b64 exec, exec, s[2:3]
	s_waitcnt vmcnt(12)
	v_mad_u32_u24 v2, v1, 40, v72
	v_cmp_gt_u32_e32 vcc, 64, v0
	ds_write_b64 v2, v[70:71] offset:2560
	s_waitcnt lgkmcnt(0)
	s_barrier
	s_and_saveexec_b64 s[2:3], vcc
	s_cbranch_execz .LBB671_19
; %bb.18:
	v_mul_u32_u24_e32 v6, 40, v1
	ds_read2_b64 v[2:5], v6 offset1:1
	ds_read2_b64 v[6:9], v6 offset0:2 offset1:3
	s_mov_b32 s1, 0
	s_lshl_b32 s0, s0, 7
	s_lshl_b64 s[2:3], s[0:1], 1
	s_waitcnt lgkmcnt(1)
	v_lshlrev_b32_e32 v10, 16, v2
	v_and_b32_e32 v2, 0xffff0000, v2
	v_add_f32_e32 v2, 0, v2
	v_lshlrev_b32_e32 v11, 16, v3
	v_and_b32_e32 v3, 0xffff0000, v3
	v_and_b32_e32 v2, 0xffff0000, v2
	v_add_f32_e32 v11, 0, v11
	v_add_f32_e32 v3, 0, v3
	v_lshlrev_b32_e32 v12, 16, v4
	v_and_b32_e32 v4, 0xffff0000, v4
	v_add_f32_e32 v10, 0, v10
	v_and_b32_e32 v11, 0xffff0000, v11
	v_and_b32_e32 v3, 0xffff0000, v3
	v_add_f32_e32 v2, v2, v4
	v_lshlrev_b32_e32 v4, 16, v5
	v_and_b32_e32 v5, 0xffff0000, v5
	v_and_b32_e32 v10, 0xffff0000, v10
	v_and_b32_e32 v2, 0xffff0000, v2
	v_add_f32_e32 v4, v11, v4
	v_add_f32_e32 v3, v3, v5
	s_waitcnt lgkmcnt(0)
	v_lshlrev_b32_e32 v5, 16, v6
	v_and_b32_e32 v6, 0xffff0000, v6
	v_add_f32_e32 v10, v10, v12
	v_and_b32_e32 v4, 0xffff0000, v4
	v_add_f32_e32 v2, v2, v6
	v_lshlrev_b32_e32 v6, 16, v7
	v_and_b32_e32 v10, 0xffff0000, v10
	v_and_b32_e32 v3, 0xffff0000, v3
	v_add_f32_e32 v4, v4, v6
	v_and_b32_e32 v6, 0xffff0000, v7
	v_add_f32_e32 v5, v10, v5
	v_add_f32_e32 v3, v3, v6
	v_and_b32_e32 v5, 0xffff0000, v5
	v_and_b32_e32 v6, 0xffff0000, v3
	v_lshlrev_b32_e32 v3, 16, v8
	v_and_b32_e32 v2, 0xffff0000, v2
	v_add_f32_e32 v10, v5, v3
	v_and_b32_e32 v3, 0xffff0000, v8
	v_and_b32_e32 v4, 0xffff0000, v4
	v_add_f32_e32 v11, v2, v3
	v_lshlrev_b32_e32 v2, 16, v9
	v_add_f32_e32 v12, v4, v2
	v_mov_b32_e32 v2, 0xa00
	v_mad_u32_u24 v2, v1, 40, v2
	ds_read2_b64 v[2:5], v2 offset1:1
	v_and_b32_e32 v7, 0xffff0000, v9
	v_add_f32_e32 v13, v6, v7
	v_mov_b32_e32 v6, 0xa10
	v_mad_u32_u24 v1, v1, 40, v6
	ds_read2_b64 v[6:9], v1 offset1:1
	s_waitcnt lgkmcnt(1)
	v_lshlrev_b32_e32 v1, 16, v2
	v_and_b32_e32 v2, 0xffff0000, v2
	v_add_f32_e32 v1, 0, v1
	v_add_f32_e32 v2, 0, v2
	v_lshlrev_b32_e32 v14, 16, v3
	v_and_b32_e32 v3, 0xffff0000, v3
	v_and_b32_e32 v1, 0xffff0000, v1
	v_and_b32_e32 v2, 0xffff0000, v2
	v_add_f32_e32 v3, 0, v3
	v_lshlrev_b32_e32 v15, 16, v4
	v_and_b32_e32 v4, 0xffff0000, v4
	v_add_f32_e32 v14, 0, v14
	v_and_b32_e32 v3, 0xffff0000, v3
	v_add_f32_e32 v1, v1, v15
	v_add_f32_e32 v2, v2, v4
	v_lshlrev_b32_e32 v4, 16, v5
	v_and_b32_e32 v5, 0xffff0000, v5
	v_and_b32_e32 v14, 0xffff0000, v14
	;; [unrolled: 1-line block ×3, first 2 shown]
	v_add_f32_e32 v3, v3, v5
	s_waitcnt lgkmcnt(0)
	v_lshlrev_b32_e32 v5, 16, v6
	v_and_b32_e32 v2, 0xffff0000, v2
	v_add_f32_e32 v4, v14, v4
	v_add_f32_e32 v1, v1, v5
	v_and_b32_e32 v5, 0xffff0000, v6
	v_and_b32_e32 v4, 0xffff0000, v4
	v_add_f32_e32 v2, v2, v5
	v_lshlrev_b32_e32 v5, 16, v7
	s_add_u32 s2, s22, s2
	v_and_b32_e32 v3, 0xffff0000, v3
	v_add_f32_e32 v4, v4, v5
	v_and_b32_e32 v5, 0xffff0000, v7
	s_addc_u32 s3, s23, s3
	s_lshl_b32 s0, s20, 7
	v_and_b32_e32 v1, 0xffff0000, v1
	v_add_f32_e32 v3, v3, v5
	v_lshlrev_b32_e32 v5, 16, v8
	s_lshl_b64 s[0:1], s[0:1], 1
	v_and_b32_e32 v2, 0xffff0000, v2
	v_add_f32_e32 v14, v1, v5
	v_and_b32_e32 v1, 0xffff0000, v8
	s_add_u32 s0, s2, s0
	v_and_b32_e32 v4, 0xffff0000, v4
	v_add_f32_e32 v15, v2, v1
	v_lshlrev_b32_e32 v1, 16, v9
	s_addc_u32 s1, s3, s1
	s_lshl_b32 s2, s5, 7
	v_and_b32_e32 v3, 0xffff0000, v3
	v_add_f32_e32 v16, v4, v1
	v_and_b32_e32 v1, 0xffff0000, v9
	s_mul_i32 s3, s2, s4
	v_add_f32_e32 v17, v3, v1
	v_or_b32_e32 v2, s3, v0
	v_mov_b32_e32 v3, 0
	s_add_i32 s3, s3, s2
	v_lshl_add_u64 v[4:5], v[2:3], 1, s[0:1]
	v_or_b32_e32 v2, s3, v0
	s_add_i32 s3, s3, s2
	v_lshl_add_u64 v[6:7], v[2:3], 1, s[0:1]
	v_or_b32_e32 v2, s3, v0
	;; [unrolled: 3-line block ×3, first 2 shown]
	v_lshl_add_u64 v[0:1], v[2:3], 1, s[0:1]
	global_store_short_d16_hi v[4:5], v10, off
	global_store_short_d16_hi v[6:7], v11, off
	;; [unrolled: 1-line block ×4, first 2 shown]
	global_store_short_d16_hi v[4:5], v14, off offset:128
	global_store_short_d16_hi v[6:7], v15, off offset:128
	;; [unrolled: 1-line block ×4, first 2 shown]
.LBB671_19:
	s_endpgm
.LBB671_20:
	s_mov_b64 s[12:13], 0
                                        ; implicit-def: $sgpr30_sgpr31
	s_branch .LBB671_2
	.section	.rodata,"a",@progbits
	.p2align	6, 0x0
	.amdhsa_kernel _Z38paged_attention_ll4mi_QKV_mfma4_kernelI14__hip_bfloat16S0_LN4vllm18Fp8KVCacheDataTypeE0ES0_Li16ELi128ELi256ELb0ELi4EEvPKT_PKT0_S8_ifPKiSA_SA_iPKfiiiPfSD_PS3_PT2_iSC_SC_
		.amdhsa_group_segment_fixed_size 5280
		.amdhsa_private_segment_fixed_size 0
		.amdhsa_kernarg_size 400
		.amdhsa_user_sgpr_count 2
		.amdhsa_user_sgpr_dispatch_ptr 0
		.amdhsa_user_sgpr_queue_ptr 0
		.amdhsa_user_sgpr_kernarg_segment_ptr 1
		.amdhsa_user_sgpr_dispatch_id 0
		.amdhsa_user_sgpr_kernarg_preload_length 0
		.amdhsa_user_sgpr_kernarg_preload_offset 0
		.amdhsa_user_sgpr_private_segment_size 0
		.amdhsa_uses_dynamic_stack 0
		.amdhsa_enable_private_segment 0
		.amdhsa_system_sgpr_workgroup_id_x 1
		.amdhsa_system_sgpr_workgroup_id_y 1
		.amdhsa_system_sgpr_workgroup_id_z 1
		.amdhsa_system_sgpr_workgroup_info 0
		.amdhsa_system_vgpr_workitem_id 0
		.amdhsa_next_free_vgpr 104
		.amdhsa_next_free_sgpr 38
		.amdhsa_accum_offset 96
		.amdhsa_reserve_vcc 1
		.amdhsa_float_round_mode_32 0
		.amdhsa_float_round_mode_16_64 0
		.amdhsa_float_denorm_mode_32 3
		.amdhsa_float_denorm_mode_16_64 3
		.amdhsa_dx10_clamp 1
		.amdhsa_ieee_mode 1
		.amdhsa_fp16_overflow 0
		.amdhsa_tg_split 0
		.amdhsa_exception_fp_ieee_invalid_op 0
		.amdhsa_exception_fp_denorm_src 0
		.amdhsa_exception_fp_ieee_div_zero 0
		.amdhsa_exception_fp_ieee_overflow 0
		.amdhsa_exception_fp_ieee_underflow 0
		.amdhsa_exception_fp_ieee_inexact 0
		.amdhsa_exception_int_div_zero 0
	.end_amdhsa_kernel
	.section	.text._Z38paged_attention_ll4mi_QKV_mfma4_kernelI14__hip_bfloat16S0_LN4vllm18Fp8KVCacheDataTypeE0ES0_Li16ELi128ELi256ELb0ELi4EEvPKT_PKT0_S8_ifPKiSA_SA_iPKfiiiPfSD_PS3_PT2_iSC_SC_,"axG",@progbits,_Z38paged_attention_ll4mi_QKV_mfma4_kernelI14__hip_bfloat16S0_LN4vllm18Fp8KVCacheDataTypeE0ES0_Li16ELi128ELi256ELb0ELi4EEvPKT_PKT0_S8_ifPKiSA_SA_iPKfiiiPfSD_PS3_PT2_iSC_SC_,comdat
.Lfunc_end671:
	.size	_Z38paged_attention_ll4mi_QKV_mfma4_kernelI14__hip_bfloat16S0_LN4vllm18Fp8KVCacheDataTypeE0ES0_Li16ELi128ELi256ELb0ELi4EEvPKT_PKT0_S8_ifPKiSA_SA_iPKfiiiPfSD_PS3_PT2_iSC_SC_, .Lfunc_end671-_Z38paged_attention_ll4mi_QKV_mfma4_kernelI14__hip_bfloat16S0_LN4vllm18Fp8KVCacheDataTypeE0ES0_Li16ELi128ELi256ELb0ELi4EEvPKT_PKT0_S8_ifPKiSA_SA_iPKfiiiPfSD_PS3_PT2_iSC_SC_
                                        ; -- End function
	.section	.AMDGPU.csdata,"",@progbits
; Kernel info:
; codeLenInByte = 4452
; NumSgprs: 44
; NumVgprs: 95
; NumAgprs: 8
; TotalNumVgprs: 104
; ScratchSize: 0
; MemoryBound: 0
; FloatMode: 240
; IeeeMode: 1
; LDSByteSize: 5280 bytes/workgroup (compile time only)
; SGPRBlocks: 5
; VGPRBlocks: 12
; NumSGPRsForWavesPerEU: 44
; NumVGPRsForWavesPerEU: 104
; AccumOffset: 96
; Occupancy: 4
; WaveLimiterHint : 1
; COMPUTE_PGM_RSRC2:SCRATCH_EN: 0
; COMPUTE_PGM_RSRC2:USER_SGPR: 2
; COMPUTE_PGM_RSRC2:TRAP_HANDLER: 0
; COMPUTE_PGM_RSRC2:TGID_X_EN: 1
; COMPUTE_PGM_RSRC2:TGID_Y_EN: 1
; COMPUTE_PGM_RSRC2:TGID_Z_EN: 1
; COMPUTE_PGM_RSRC2:TIDIG_COMP_CNT: 0
; COMPUTE_PGM_RSRC3_GFX90A:ACCUM_OFFSET: 23
; COMPUTE_PGM_RSRC3_GFX90A:TG_SPLIT: 0
	.section	.text._Z39paged_attention_ll4mi_QKV_mfma16_kernelI14__hip_bfloat16S0_LN4vllm18Fp8KVCacheDataTypeE0ES0_Li16ELi128ELi256ELb0ELi5EEvPKT_PKT0_S8_ifPKiSA_SA_iPKfiiiPfSD_PS3_PT2_iSC_SC_,"axG",@progbits,_Z39paged_attention_ll4mi_QKV_mfma16_kernelI14__hip_bfloat16S0_LN4vllm18Fp8KVCacheDataTypeE0ES0_Li16ELi128ELi256ELb0ELi5EEvPKT_PKT0_S8_ifPKiSA_SA_iPKfiiiPfSD_PS3_PT2_iSC_SC_,comdat
	.protected	_Z39paged_attention_ll4mi_QKV_mfma16_kernelI14__hip_bfloat16S0_LN4vllm18Fp8KVCacheDataTypeE0ES0_Li16ELi128ELi256ELb0ELi5EEvPKT_PKT0_S8_ifPKiSA_SA_iPKfiiiPfSD_PS3_PT2_iSC_SC_ ; -- Begin function _Z39paged_attention_ll4mi_QKV_mfma16_kernelI14__hip_bfloat16S0_LN4vllm18Fp8KVCacheDataTypeE0ES0_Li16ELi128ELi256ELb0ELi5EEvPKT_PKT0_S8_ifPKiSA_SA_iPKfiiiPfSD_PS3_PT2_iSC_SC_
	.globl	_Z39paged_attention_ll4mi_QKV_mfma16_kernelI14__hip_bfloat16S0_LN4vllm18Fp8KVCacheDataTypeE0ES0_Li16ELi128ELi256ELb0ELi5EEvPKT_PKT0_S8_ifPKiSA_SA_iPKfiiiPfSD_PS3_PT2_iSC_SC_
	.p2align	8
	.type	_Z39paged_attention_ll4mi_QKV_mfma16_kernelI14__hip_bfloat16S0_LN4vllm18Fp8KVCacheDataTypeE0ES0_Li16ELi128ELi256ELb0ELi5EEvPKT_PKT0_S8_ifPKiSA_SA_iPKfiiiPfSD_PS3_PT2_iSC_SC_,@function
_Z39paged_attention_ll4mi_QKV_mfma16_kernelI14__hip_bfloat16S0_LN4vllm18Fp8KVCacheDataTypeE0ES0_Li16ELi128ELi256ELb0ELi5EEvPKT_PKT0_S8_ifPKiSA_SA_iPKfiiiPfSD_PS3_PT2_iSC_SC_: ; @_Z39paged_attention_ll4mi_QKV_mfma16_kernelI14__hip_bfloat16S0_LN4vllm18Fp8KVCacheDataTypeE0ES0_Li16ELi128ELi256ELb0ELi5EEvPKT_PKT0_S8_ifPKiSA_SA_iPKfiiiPfSD_PS3_PT2_iSC_SC_
; %bb.0:
	s_load_dwordx2 s[8:9], s[0:1], 0x30
	s_mov_b32 s26, s3
	s_mov_b64 s[6:7], 0
	s_waitcnt lgkmcnt(0)
	s_cmp_lg_u64 s[8:9], 0
	s_cselect_b64 s[10:11], -1, 0
	s_and_b64 vcc, exec, s[10:11]
	s_cbranch_vccz .LBB672_7
; %bb.1:
	s_add_i32 s12, s2, 1
	s_mov_b32 s13, 0
	s_lshl_b64 s[14:15], s[12:13], 2
	s_add_u32 s14, s8, s14
	s_mov_b32 s3, s13
	s_addc_u32 s15, s9, s15
	s_lshl_b64 s[12:13], s[2:3], 2
	s_add_u32 s12, s8, s12
	s_addc_u32 s13, s9, s13
	s_load_dword s5, s[14:15], 0x0
	s_load_dword s16, s[12:13], 0x0
	s_waitcnt lgkmcnt(0)
	s_sub_i32 s5, s5, s16
	s_cmp_eq_u32 s5, 1
	s_cselect_b64 s[12:13], -1, 0
	s_andn2_b64 vcc, exec, s[6:7]
	s_cbranch_vccnz .LBB672_3
.LBB672_2:
	s_mov_b32 s3, 0
	s_mov_b64 s[12:13], -1
.LBB672_3:
	s_andn2_b64 vcc, exec, s[12:13]
	s_cbranch_vccnz .LBB672_18
; %bb.4:
	s_load_dwordx2 s[6:7], s[0:1], 0x28
	s_lshl_b64 s[16:17], s[2:3], 2
	s_waitcnt lgkmcnt(0)
	s_add_u32 s6, s6, s16
	s_addc_u32 s7, s7, s17
	s_load_dword s33, s[6:7], 0x0
	s_lshl_b32 s18, s26, 8
	s_waitcnt lgkmcnt(0)
	s_cmp_ge_i32 s18, s33
	s_cbranch_scc1 .LBB672_18
; %bb.5:
	s_load_dwordx2 s[6:7], s[0:1], 0x20
	s_load_dword s5, s[0:1], 0x38
	s_add_i32 s12, s33, 15
	s_ashr_i32 s13, s12, 31
	v_and_b32_e32 v1, 0xcf, v0
	s_lshr_b32 s13, s13, 28
	v_add_u32_e32 v1, s18, v1
	s_add_i32 s12, s12, s13
	v_ashrrev_i32_e32 v2, 31, v1
	s_ashr_i32 s19, s12, 4
	v_lshrrev_b32_e32 v4, 28, v2
	s_add_i32 s19, s19, -1
	s_waitcnt lgkmcnt(0)
	s_mul_i32 s12, s2, s5
	s_mov_b32 s13, 0
	v_add_u32_e32 v2, v1, v4
	s_lshl_b64 s[12:13], s[12:13], 2
	v_ashrrev_i32_e32 v2, 4, v2
	v_mov_b32_e32 v5, s19
	v_cmp_gt_i32_e32 vcc, s33, v1
	s_add_u32 s6, s6, s12
	s_addc_u32 s7, s7, s13
	v_cndmask_b32_e32 v2, v5, v2, vcc
	v_ashrrev_i32_e32 v3, 31, v2
	v_lshl_add_u64 v[6:7], v[2:3], 2, s[6:7]
	v_or_b32_e32 v2, 16, v1
	v_add_u32_e32 v3, v2, v4
	v_ashrrev_i32_e32 v3, 4, v3
	v_cmp_gt_i32_e32 vcc, s33, v2
	s_load_dwordx4 s[12:15], s[0:1], 0x8
	s_nop 0
	v_cndmask_b32_e32 v2, v5, v3, vcc
	v_ashrrev_i32_e32 v3, 31, v2
	v_lshl_add_u64 v[8:9], v[2:3], 2, s[6:7]
	v_or_b32_e32 v2, 32, v1
	v_add_u32_e32 v3, v2, v4
	v_ashrrev_i32_e32 v3, 4, v3
	v_cmp_gt_i32_e32 vcc, s33, v2
	v_or_b32_e32 v1, 48, v1
	s_nop 0
	v_cndmask_b32_e32 v2, v5, v3, vcc
	v_ashrrev_i32_e32 v3, 31, v2
	v_lshl_add_u64 v[10:11], v[2:3], 2, s[6:7]
	v_add_u32_e32 v2, v1, v4
	v_ashrrev_i32_e32 v2, 4, v2
	v_cmp_gt_i32_e32 vcc, s33, v1
	s_nop 1
	v_cndmask_b32_e32 v2, v5, v2, vcc
	v_ashrrev_i32_e32 v3, 31, v2
	v_lshl_add_u64 v[12:13], v[2:3], 2, s[6:7]
	global_load_dword v4, v[6:7], off
	global_load_dword v3, v[8:9], off
	;; [unrolled: 1-line block ×4, first 2 shown]
	s_andn2_b64 vcc, exec, s[10:11]
	s_cbranch_vccnz .LBB672_8
; %bb.6:
	s_add_u32 s8, s8, s16
	s_addc_u32 s9, s9, s17
	s_load_dword s5, s[8:9], 0x0
	s_branch .LBB672_9
.LBB672_7:
	s_mov_b64 s[12:13], 0
	s_branch .LBB672_2
.LBB672_8:
	s_mov_b32 s5, s2
.LBB672_9:
	s_load_dwordx4 s[8:11], s[0:1], 0x48
	v_lshrrev_b32_e32 v77, 6, v0
	v_bfe_u32 v86, v0, 4, 2
	v_and_b32_e32 v76, 15, v0
	v_lshl_or_b32 v1, v77, 2, v86
	v_lshlrev_b32_e32 v5, 3, v76
	v_and_b32_e32 v87, 63, v0
	s_mul_i32 s40, s4, 5
	v_cmp_gt_u32_e32 vcc, 5, v1
	v_lshlrev_b32_e32 v74, 1, v5
	s_and_saveexec_b64 s[16:17], vcc
	s_cbranch_execz .LBB672_11
; %bb.10:
	s_load_dwordx2 s[20:21], s[0:1], 0x0
	s_waitcnt lgkmcnt(0)
	s_ashr_i32 s11, s8, 31
	s_mul_hi_u32 s22, s5, s8
	s_mul_i32 s11, s5, s11
	s_add_i32 s23, s22, s11
	s_mul_i32 s22, s5, s8
	s_lshl_b64 s[22:23], s[22:23], 1
	s_add_u32 s20, s20, s22
	v_add_lshl_u32 v6, v1, s40, 7
	s_addc_u32 s21, s21, s23
	v_ashrrev_i32_e32 v7, 31, v6
	v_lshl_add_u64 v[6:7], v[6:7], 1, s[20:21]
	v_mov_b32_e32 v75, 0
	v_lshl_add_u64 v[6:7], v[6:7], 0, v[74:75]
	global_load_dwordx4 v[6:9], v[6:7], off
	v_and_b32_e32 v5, 3, v0
	v_lshlrev_b32_e32 v10, 9, v76
	v_lshlrev_b32_e32 v1, 5, v1
	;; [unrolled: 1-line block ×3, first 2 shown]
	v_and_b32_e32 v10, 0x1800, v10
	v_or3_b32 v1, v10, v5, v1
	s_waitcnt vmcnt(0)
	ds_write_b128 v1, v[6:9]
.LBB672_11:
	s_or_b64 exec, exec, s[16:17]
	s_waitcnt lgkmcnt(0)
	s_mul_i32 s4, s4, s10
	s_mov_b32 s5, 0
	s_lshl_b64 s[4:5], s[4:5], 1
	s_add_u32 s10, s12, s4
	v_lshlrev_b32_e32 v1, 4, v0
	s_addc_u32 s11, s13, s5
	v_and_b32_e32 v34, 0xf0, v1
	v_mov_b32_e32 v35, 0
	v_lshl_add_u64 v[30:31], s[10:11], 0, v[34:35]
	s_waitcnt vmcnt(3)
	v_mad_i64_i32 v[4:5], s[10:11], v4, s9, 0
	v_lshl_add_u64 v[4:5], v[4:5], 1, v[30:31]
	v_and_b32_e32 v34, 0x300, v1
	v_lshl_add_u64 v[32:33], v[4:5], 0, v[34:35]
	s_load_dword s27, s[0:1], 0x98
	s_load_dword s8, s[0:1], 0x1c
	s_waitcnt lgkmcnt(0)
	s_barrier
	global_load_dwordx4 v[6:9], v[32:33], off
	global_load_dwordx4 v[18:21], v[32:33], off offset:1024
	s_waitcnt vmcnt(4)
	v_mad_i64_i32 v[4:5], s[10:11], v3, s9, 0
	s_waitcnt vmcnt(3)
	v_mad_i64_i32 v[2:3], s[10:11], v2, s9, 0
	v_lshl_add_u64 v[4:5], v[4:5], 1, v[30:31]
	v_lshl_add_u64 v[2:3], v[2:3], 1, v[30:31]
	;; [unrolled: 1-line block ×4, first 2 shown]
	global_load_dwordx4 v[14:17], v[36:37], off
	global_load_dwordx4 v[22:25], v[36:37], off offset:1024
	global_load_dwordx4 v[26:29], v[38:39], off
	global_load_dwordx4 v[46:49], v[38:39], off offset:1024
	v_mul_lo_u16_e32 v2, 52, v76
	v_mov_b32_e32 v3, 5
	v_mul_lo_u16_sdwa v2, v2, v3 dst_sel:DWORD dst_unused:UNUSED_PAD src0_sel:BYTE_1 src1_sel:DWORD
	v_sub_u16_e32 v2, v76, v2
	v_lshlrev_b32_sdwa v2, v3, v2 dst_sel:DWORD dst_unused:UNUSED_PAD src0_sel:DWORD src1_sel:BYTE_0
	v_lshl_add_u32 v41, v86, 9, v2
	ds_read_b128 v[10:13], v41
	ds_read_b128 v[2:5], v41 offset:2048
	global_load_dwordx4 v[54:57], v[32:33], off offset:2048
	global_load_dwordx4 v[62:65], v[36:37], off offset:2048
	v_mov_b32_e32 v70, s19
	s_add_u32 s4, s14, s4
	s_addc_u32 s5, s15, s5
	s_mov_b32 s41, 0xff7fffff
	s_waitcnt vmcnt(7) lgkmcnt(1)
	v_mfma_f32_16x16x16_bf16 v[42:45], v[6:7], v[10:11], 0
	v_mfma_f32_16x16x16_bf16 v[6:9], v[8:9], v[12:13], v[42:45]
	s_nop 5
	global_load_dwordx4 v[42:45], v[38:39], off offset:2048
	s_waitcnt vmcnt(6)
	v_mfma_f32_16x16x16_bf16 v[50:53], v[14:15], v[10:11], 0
	s_waitcnt vmcnt(4)
	v_mfma_f32_16x16x16_bf16 v[58:61], v[26:27], v[10:11], 0
	v_mfma_f32_16x16x16_bf16 v[14:17], v[16:17], v[12:13], v[50:53]
	;; [unrolled: 1-line block ×3, first 2 shown]
	s_nop 2
	global_load_dwordx4 v[50:53], v[32:33], off offset:3072
	v_mad_i64_i32 v[32:33], s[10:11], v40, s9, 0
	s_waitcnt lgkmcnt(0)
	v_mfma_f32_16x16x16_bf16 v[6:9], v[18:19], v[2:3], v[6:9]
	v_and_or_b32 v40, v0, 48, s18
	v_ashrrev_i32_e32 v58, 4, v40
	v_cmp_gt_i32_e32 vcc, s33, v40
	v_mfma_f32_16x16x16_bf16 v[14:17], v[22:23], v[2:3], v[14:17]
	v_or_b32_e32 v66, 64, v40
	v_cndmask_b32_e32 v22, v70, v58, vcc
	v_ashrrev_i32_e32 v23, 31, v22
	s_waitcnt vmcnt(4)
	v_mfma_f32_16x16x16_bf16 v[26:29], v[46:47], v[2:3], v[26:29]
	v_or_b32_e32 v71, 0x80, v40
	v_or_b32_e32 v72, 0xc0, v40
	v_ashrrev_i32_e32 v40, 4, v66
	v_mfma_f32_16x16x16_bf16 v[6:9], v[20:21], v[4:5], v[6:9]
	global_load_dwordx4 v[18:21], v[38:39], off offset:3072
	v_cmp_gt_i32_e32 vcc, s33, v66
	v_lshl_add_u64 v[22:23], v[22:23], 2, s[6:7]
	global_load_dwordx4 v[58:61], v[36:37], off offset:3072
	v_cndmask_b32_e32 v36, v70, v40, vcc
	v_mfma_f32_16x16x16_bf16 v[14:17], v[24:25], v[4:5], v[14:17]
	global_load_dword v78, v[22:23], off
	ds_read_b128 v[66:69], v41 offset:4096
	v_ashrrev_i32_e32 v37, 31, v36
	v_mfma_f32_16x16x16_bf16 v[22:25], v[48:49], v[4:5], v[26:29]
	v_ashrrev_i32_e32 v73, 4, v71
	v_cmp_gt_i32_e32 vcc, s33, v71
	v_ashrrev_i32_e32 v75, 4, v72
	v_lshl_add_u64 v[26:27], v[32:33], 1, v[30:31]
	v_lshl_add_u64 v[26:27], v[26:27], 0, v[34:35]
	;; [unrolled: 1-line block ×3, first 2 shown]
	global_load_dwordx4 v[46:49], v[26:27], off
	global_load_dword v36, v[28:29], off
	s_waitcnt vmcnt(8) lgkmcnt(0)
	v_mfma_f32_16x16x16_bf16 v[6:9], v[54:55], v[66:67], v[6:9]
	v_cndmask_b32_e32 v28, v70, v73, vcc
	v_ashrrev_i32_e32 v29, 31, v28
	v_lshl_add_u64 v[28:29], v[28:29], 2, s[6:7]
	v_mfma_f32_16x16x16_bf16 v[6:9], v[56:57], v[68:69], v[6:9]
	global_load_dwordx4 v[54:57], v[26:27], off offset:1024
	v_cmp_gt_i32_e32 vcc, s33, v72
	global_load_dword v84, v[28:29], off
	s_waitcnt vmcnt(9)
	v_mfma_f32_16x16x16_bf16 v[14:17], v[62:63], v[66:67], v[14:17]
	v_cndmask_b32_e32 v28, v70, v75, vcc
	v_ashrrev_i32_e32 v29, 31, v28
	v_lshl_add_u64 v[28:29], v[28:29], 2, s[6:7]
	v_mfma_f32_16x16x16_bf16 v[14:17], v[64:65], v[68:69], v[14:17]
	global_load_dword v64, v[28:29], off
	ds_read_b128 v[38:41], v41 offset:6144
	v_lshl_or_b32 v75, v77, 4, v76
	v_lshlrev_b32_e32 v34, 5, v75
	v_lshl_add_u64 v[62:63], s[4:5], 0, v[34:35]
	v_or_b32_e32 v34, 0x800, v34
	s_waitcnt vmcnt(9)
	v_mfma_f32_16x16x16_bf16 v[22:25], v[42:43], v[66:67], v[22:25]
	global_load_dwordx4 v[70:73], v[26:27], off offset:3072
	v_mfma_f32_16x16x16_bf16 v[22:25], v[44:45], v[68:69], v[22:25]
	global_load_dwordx4 v[42:45], v[26:27], off offset:2048
	s_waitcnt vmcnt(10) lgkmcnt(0)
	v_mfma_f32_16x16x16_bf16 v[6:9], v[50:51], v[38:39], v[6:9]
	s_waitcnt vmcnt(9)
	v_mfma_f32_16x16x16_bf16 v[22:25], v[18:19], v[38:39], v[22:25]
	s_waitcnt vmcnt(7)
	v_mad_i64_i32 v[18:19], s[6:7], v78, s9, 0
	v_lshlrev_b64 v[82:83], 1, v[18:19]
	v_mfma_f32_16x16x16_bf16 v[78:81], v[52:53], v[40:41], v[6:9]
	s_nop 2
	v_lshl_add_u64 v[6:7], v[62:63], 0, v[82:83]
	global_load_dwordx4 v[30:33], v[6:7], off
	global_load_dwordx4 v[26:29], v[6:7], off offset:16
	v_mfma_f32_16x16x16_bf16 v[88:91], v[20:21], v[40:41], v[22:25]
	s_waitcnt vmcnt(7)
	v_mad_i64_i32 v[6:7], s[6:7], v36, s9, 0
	v_lshlrev_b64 v[36:37], 1, v[6:7]
	v_lshl_add_u64 v[6:7], v[62:63], 0, v[36:37]
	global_load_dwordx4 v[22:25], v[6:7], off
	global_load_dwordx4 v[18:21], v[6:7], off offset:16
	v_mfma_f32_16x16x16_bf16 v[6:9], v[46:47], v[10:11], 0
	s_waitcnt vmcnt(7)
	v_mad_i64_i32 v[10:11], s[6:7], v84, s9, 0
	v_mfma_f32_16x16x16_bf16 v[6:9], v[48:49], v[12:13], v[6:9]
	v_lshlrev_b64 v[50:51], 1, v[10:11]
	v_lshl_add_u64 v[10:11], v[62:63], 0, v[50:51]
	v_mfma_f32_16x16x16_bf16 v[6:9], v[54:55], v[2:3], v[6:9]
	s_waitcnt vmcnt(6)
	v_mad_i64_i32 v[2:3], s[6:7], v64, s9, 0
	v_lshlrev_b64 v[52:53], 1, v[2:3]
	v_mfma_f32_16x16x16_bf16 v[46:49], v[56:57], v[4:5], v[6:9]
	v_lshl_add_u64 v[2:3], v[62:63], 0, v[52:53]
	v_pk_mul_f32 v[62:63], s[8:9], v[78:79] op_sel_hi:[0,1]
	v_lshl_add_u64 v[64:65], s[4:5], 0, v[34:35]
	v_mfma_f32_16x16x16_bf16 v[14:17], v[58:59], v[38:39], v[14:17]
	v_lshl_add_u64 v[34:35], v[64:65], 0, v[82:83]
	v_pk_mul_f32 v[82:83], s[8:9], v[80:81] op_sel_hi:[0,1]
	v_pk_mul_f32 v[78:79], s[8:9], v[88:89] op_sel_hi:[0,1]
	v_mfma_f32_16x16x16_bf16 v[58:61], v[60:61], v[40:41], v[14:17]
	v_pk_mul_f32 v[80:81], s[8:9], v[90:91] op_sel_hi:[0,1]
	s_nop 1
	global_load_dwordx4 v[14:17], v[10:11], off
	s_nop 0
	global_load_dwordx4 v[10:13], v[10:11], off offset:16
	s_nop 0
	global_load_dwordx4 v[6:9], v[2:3], off
	s_nop 0
	global_load_dwordx4 v[2:5], v[2:3], off offset:16
	s_waitcnt vmcnt(8)
	v_mfma_f32_16x16x16_bf16 v[46:49], v[42:43], v[66:67], v[46:49]
	v_pk_mul_f32 v[84:85], s[8:9], v[60:61] op_sel_hi:[0,1]
	v_lshl_add_u64 v[50:51], v[64:65], 0, v[50:51]
	v_mfma_f32_16x16x16_bf16 v[42:45], v[44:45], v[68:69], v[46:49]
	v_mfma_f32_16x16x16_bf16 v[42:45], v[70:71], v[38:39], v[42:45]
	v_pk_mul_f32 v[70:71], s[8:9], v[58:59] op_sel_hi:[0,1]
	v_mfma_f32_16x16x16_bf16 v[38:41], v[72:73], v[40:41], v[42:45]
	s_nop 6
	v_pk_mul_f32 v[72:73], s[8:9], v[38:39] op_sel_hi:[0,1]
	v_and_b32_e32 v38, 0xc0, v0
	v_add_u32_e32 v38, s18, v38
	v_lshl_or_b32 v38, v86, 2, v38
	v_pk_mul_f32 v[66:67], s[8:9], v[40:41] op_sel_hi:[0,1]
	v_or_b32_e32 v41, 1, v38
	v_mov_b32_e32 v39, 0xff7fffff
	v_cmp_gt_i32_e64 s[28:29], s33, v38
	v_cmp_gt_i32_e64 s[30:31], s33, v41
	v_or_b32_e32 v42, 3, v38
	v_cndmask_b32_e64 v40, v39, v62, s[28:29]
	v_cndmask_b32_e64 v41, v39, v63, s[30:31]
	v_max3_f32 v40, v40, s41, v41
	v_or_b32_e32 v41, 2, v38
	v_cmp_gt_i32_e64 s[34:35], s33, v41
	v_cmp_gt_i32_e64 s[36:37], s33, v42
	s_nop 0
	v_cndmask_b32_e64 v41, v39, v82, s[34:35]
	v_cndmask_b32_e64 v42, v39, v83, s[36:37]
	v_max3_f32 v40, v40, v41, v42
	v_or_b32_e32 v41, 16, v38
	v_or_b32_e32 v42, 17, v38
	v_cmp_gt_i32_e64 s[22:23], s33, v41
	v_cmp_gt_i32_e64 s[24:25], s33, v42
	s_nop 0
	v_cndmask_b32_e64 v41, v39, v70, s[22:23]
	v_cndmask_b32_e64 v42, v39, v71, s[24:25]
	v_max3_f32 v40, v40, v41, v42
	v_or_b32_e32 v41, 18, v38
	v_or_b32_e32 v42, 19, v38
	v_cmp_gt_i32_e64 s[18:19], s33, v41
	v_cmp_gt_i32_e64 s[20:21], s33, v42
	s_nop 0
	v_cndmask_b32_e64 v41, v39, v84, s[18:19]
	v_cndmask_b32_e64 v42, v39, v85, s[20:21]
	v_max3_f32 v40, v40, v41, v42
	v_or_b32_e32 v41, 32, v38
	v_or_b32_e32 v42, 33, v38
	v_cmp_gt_i32_e64 s[14:15], s33, v41
	v_cmp_gt_i32_e64 s[16:17], s33, v42
	s_nop 0
	v_cndmask_b32_e64 v41, v39, v78, s[14:15]
	v_cndmask_b32_e64 v42, v39, v79, s[16:17]
	v_max3_f32 v40, v40, v41, v42
	v_or_b32_e32 v41, 34, v38
	v_or_b32_e32 v42, 35, v38
	v_cmp_gt_i32_e64 s[10:11], s33, v41
	v_cmp_gt_i32_e64 s[12:13], s33, v42
	s_nop 0
	v_cndmask_b32_e64 v41, v39, v80, s[10:11]
	v_cndmask_b32_e64 v42, v39, v81, s[12:13]
	v_max3_f32 v40, v40, v41, v42
	v_or_b32_e32 v41, 48, v38
	v_or_b32_e32 v42, 49, v38
	v_cmp_gt_i32_e64 s[6:7], s33, v41
	v_cmp_gt_i32_e64 s[8:9], s33, v42
	s_nop 0
	v_cndmask_b32_e64 v41, v39, v72, s[6:7]
	v_cndmask_b32_e64 v42, v39, v73, s[8:9]
	v_max3_f32 v40, v40, v41, v42
	v_or_b32_e32 v41, 50, v38
	v_or_b32_e32 v38, 51, v38
	v_cmp_gt_i32_e32 vcc, s33, v41
	v_cmp_gt_i32_e64 s[4:5], s33, v38
	s_nop 0
	v_cndmask_b32_e32 v41, v39, v66, vcc
	v_cndmask_b32_e64 v38, v39, v67, s[4:5]
	v_max3_f32 v54, v40, v41, v38
	v_mbcnt_lo_u32_b32 v38, -1, 0
	v_mbcnt_hi_u32_b32 v55, -1, v38
	v_and_b32_e32 v38, 64, v55
	v_add_u32_e32 v56, 64, v38
	v_xor_b32_e32 v38, 32, v55
	v_cmp_lt_i32_e64 s[38:39], v38, v56
	s_nop 1
	v_cndmask_b32_e64 v38, v55, v38, s[38:39]
	v_lshlrev_b32_e32 v89, 2, v38
	ds_bpermute_b32 v57, v89, v54
	global_load_dwordx4 v[46:49], v[34:35], off
	global_load_dwordx4 v[38:41], v[34:35], off offset:16
	v_lshl_add_u64 v[34:35], v[64:65], 0, v[36:37]
	global_load_dwordx4 v[42:45], v[34:35], off
	s_nop 0
	global_load_dwordx4 v[34:37], v[34:35], off offset:16
	s_waitcnt lgkmcnt(0)
	v_max_f32_e32 v57, v57, v57
	v_max_f32_e32 v68, v54, v57
	v_xor_b32_e32 v54, 16, v55
	v_cmp_lt_i32_e64 s[38:39], v54, v56
	s_nop 1
	v_cndmask_b32_e64 v54, v55, v54, s[38:39]
	v_lshlrev_b32_e32 v90, 2, v54
	ds_bpermute_b32 v69, v90, v68
	global_load_dwordx4 v[58:61], v[50:51], off
	global_load_dwordx4 v[54:57], v[50:51], off offset:16
	v_lshl_add_u64 v[50:51], v[64:65], 0, v[52:53]
	s_waitcnt lgkmcnt(0)
	v_max_f32_e32 v52, v69, v69
	v_max_f32_e32 v88, v68, v52
	v_sub_f32_e32 v52, v62, v88
	v_mul_f32_e32 v52, 0x3fb8aa3b, v52
	v_exp_f32_e32 v68, v52
	v_sub_f32_e32 v52, v63, v88
	v_mul_f32_e32 v52, 0x3fb8aa3b, v52
	v_exp_f32_e32 v69, v52
	global_load_dwordx4 v[62:65], v[50:51], off
	s_nop 0
	global_load_dwordx4 v[50:53], v[50:51], off offset:16
	v_sub_f32_e32 v82, v82, v88
	v_mul_f32_e32 v82, 0x3fb8aa3b, v82
	v_sub_f32_e32 v83, v83, v88
	v_exp_f32_e32 v82, v82
	v_mul_f32_e32 v83, 0x3fb8aa3b, v83
	v_sub_f32_e32 v70, v70, v88
	v_exp_f32_e32 v83, v83
	v_mul_f32_e32 v70, 0x3fb8aa3b, v70
	v_sub_f32_e32 v71, v71, v88
	v_cndmask_b32_e64 v68, 0, v68, s[28:29]
	v_exp_f32_e32 v70, v70
	v_mul_f32_e32 v71, 0x3fb8aa3b, v71
	v_sub_f32_e32 v84, v84, v88
	v_add_f32_e32 v91, 0, v68
	v_cndmask_b32_e64 v69, 0, v69, s[30:31]
	v_exp_f32_e32 v71, v71
	v_mul_f32_e32 v84, 0x3fb8aa3b, v84
	v_sub_f32_e32 v85, v85, v88
	v_add_f32_e32 v91, v91, v69
	;; [unrolled: 5-line block ×10, first 2 shown]
	v_cndmask_b32_e64 v80, 0, v80, s[10:11]
	v_exp_f32_e32 v66, v66
	v_mul_f32_e32 v67, 0x3fb8aa3b, v67
	v_add_f32_e32 v91, v91, v80
	v_cndmask_b32_e64 v81, 0, v81, s[12:13]
	v_exp_f32_e32 v67, v67
	v_add_f32_e32 v91, v91, v81
	v_cndmask_b32_e64 v72, 0, v72, s[6:7]
	v_add_f32_e32 v91, v91, v72
	v_cndmask_b32_e64 v73, 0, v73, s[8:9]
	v_add_f32_e32 v91, v91, v73
	v_cndmask_b32_e32 v66, 0, v66, vcc
	v_add_f32_e32 v91, v91, v66
	v_cndmask_b32_e64 v67, 0, v67, s[4:5]
	v_add_f32_e32 v91, v91, v67
	ds_bpermute_b32 v89, v89, v91
	v_cmp_gt_u32_e64 s[4:5], 16, v87
	s_waitcnt lgkmcnt(0)
	s_barrier
	v_add_f32_e32 v89, v91, v89
	ds_bpermute_b32 v90, v90, v89
	s_and_saveexec_b64 s[6:7], s[4:5]
	s_cbranch_execz .LBB672_13
; %bb.12:
	s_waitcnt lgkmcnt(0)
	v_add_f32_e32 v87, v89, v90
	v_lshlrev_b32_e32 v75, 2, v75
	ds_write2st64_b32 v75, v88, v87 offset1:1
.LBB672_13:
	s_or_b64 exec, exec, s[6:7]
	v_lshlrev_b32_e32 v75, 2, v76
	s_load_dword s8, s[0:1], 0x94
	s_waitcnt lgkmcnt(0)
	s_barrier
	ds_read2_b32 v[88:89], v75 offset1:16
	ds_read2_b32 v[90:91], v75 offset0:32 offset1:48
	ds_read2_b32 v[92:93], v75 offset0:64 offset1:80
	;; [unrolled: 1-line block ×3, first 2 shown]
	s_movk_i32 s10, 0x7fff
	s_waitcnt lgkmcnt(3)
	v_max3_f32 v87, v88, s41, v89
	s_waitcnt lgkmcnt(2)
	v_max3_f32 v87, v87, v90, v91
	v_sub_f32_e32 v88, v88, v87
	v_mul_f32_e32 v88, 0x3fb8aa3b, v88
	v_exp_f32_e32 v1, v88
	v_sub_f32_e32 v88, v89, v87
	v_mul_f32_e32 v88, 0x3fb8aa3b, v88
	v_exp_f32_e32 v89, v88
	v_sub_f32_e32 v88, v90, v87
	v_mul_f32_e32 v88, 0x3fb8aa3b, v88
	v_sub_f32_e32 v75, v91, v87
	v_exp_f32_e32 v90, v88
	v_mul_f32_e32 v75, 0x3fb8aa3b, v75
	v_exp_f32_e32 v75, v75
	s_waitcnt lgkmcnt(1)
	v_fma_f32 v88, v1, v92, 0
	v_fmac_f32_e32 v88, v89, v93
	s_waitcnt lgkmcnt(0)
	v_fmac_f32_e32 v88, v90, v94
	v_fmac_f32_e32 v88, v75, v95
	v_add_f32_e32 v91, 0x358637bd, v88
	v_div_scale_f32 v92, s[6:7], v91, v91, 1.0
	v_rcp_f32_e32 v93, v92
	s_mov_b32 s11, 0x7060302
	s_barrier
	v_fma_f32 v94, -v92, v93, 1.0
	v_fmac_f32_e32 v93, v94, v93
	v_div_scale_f32 v94, vcc, 1.0, v91, 1.0
	v_mul_f32_e32 v95, v94, v93
	v_fma_f32 v86, -v92, v95, v94
	v_fmac_f32_e32 v95, v86, v93
	v_fma_f32 v86, -v92, v95, v94
	v_div_fmas_f32 v86, v86, v93, v95
	v_cmp_eq_u32_e32 vcc, 1, v77
	v_div_fixup_f32 v86, v86, v91, 1.0
	s_nop 0
	v_cndmask_b32_e32 v1, v1, v89, vcc
	v_cmp_eq_u32_e32 vcc, 2, v77
	s_mul_i32 s9, s27, 5
	s_nop 0
	v_cndmask_b32_e32 v1, v1, v90, vcc
	v_cmp_eq_u32_e32 vcc, 3, v77
	s_nop 1
	v_cndmask_b32_e32 v1, v1, v75, vcc
	v_mul_f32_e32 v90, v1, v86
	v_pk_mul_f32 v[68:69], v[90:91], v[68:69] op_sel_hi:[0,1]
	v_bfe_u32 v1, v69, 16, 1
	v_bfe_u32 v75, v68, 16, 1
	v_pk_mul_f32 v[82:83], v[90:91], v[82:83] op_sel_hi:[0,1]
	v_add3_u32 v68, v68, v75, s10
	v_add3_u32 v1, v69, v1, s10
	v_perm_b32 v92, v1, v68, s11
	v_bfe_u32 v1, v83, 16, 1
	v_bfe_u32 v68, v82, 16, 1
	v_add3_u32 v68, v82, v68, s10
	v_add3_u32 v1, v83, v1, s10
	v_bfe_u32 v86, v0, 4, 2
	v_perm_b32 v93, v1, v68, s11
	v_lshlrev_b32_e32 v1, 3, v86
	v_lshlrev_b32_e32 v68, 5, v76
	v_lshlrev_b32_e32 v69, 11, v77
	v_pk_mul_f32 v[70:71], v[90:91], v[70:71] op_sel_hi:[0,1]
	v_or3_b32 v75, v69, v68, v1
	v_bfe_u32 v1, v71, 16, 1
	v_bfe_u32 v69, v70, 16, 1
	v_pk_mul_f32 v[82:83], v[90:91], v[84:85] op_sel_hi:[0,1]
	v_add3_u32 v69, v70, v69, s10
	v_add3_u32 v1, v71, v1, s10
	v_perm_b32 v70, v1, v69, s11
	v_bfe_u32 v1, v83, 16, 1
	v_bfe_u32 v69, v82, 16, 1
	v_add3_u32 v69, v82, v69, s10
	v_add3_u32 v1, v83, v1, s10
	v_pk_mul_f32 v[78:79], v[90:91], v[78:79] op_sel_hi:[0,1]
	v_perm_b32 v71, v1, v69, s11
	v_bfe_u32 v1, v79, 16, 1
	v_bfe_u32 v69, v78, 16, 1
	ds_write2st64_b64 v75, v[92:93], v[70:71] offset1:1
	v_pk_mul_f32 v[70:71], v[90:91], v[80:81] op_sel_hi:[0,1]
	v_add3_u32 v69, v78, v69, s10
	v_add3_u32 v1, v79, v1, s10
	v_perm_b32 v78, v1, v69, s11
	v_bfe_u32 v1, v71, 16, 1
	v_bfe_u32 v69, v70, 16, 1
	v_add3_u32 v69, v70, v69, s10
	v_add3_u32 v1, v71, v1, s10
	v_pk_mul_f32 v[70:71], v[90:91], v[72:73] op_sel_hi:[0,1]
	v_perm_b32 v79, v1, v69, s11
	v_bfe_u32 v1, v71, 16, 1
	v_bfe_u32 v69, v70, 16, 1
	v_pk_mul_f32 v[66:67], v[90:91], v[66:67] op_sel_hi:[0,1]
	v_add3_u32 v69, v70, v69, s10
	v_add3_u32 v1, v71, v1, s10
	v_perm_b32 v70, v1, v69, s11
	v_bfe_u32 v1, v67, 16, 1
	v_bfe_u32 v69, v66, 16, 1
	v_add3_u32 v66, v66, v69, s10
	v_add3_u32 v1, v67, v1, s10
	v_perm_b32 v71, v1, v66, s11
	v_cmp_gt_u32_e32 vcc, 5, v0
	ds_write2st64_b64 v75, v[78:79], v[70:71] offset0:2 offset1:3
	s_and_saveexec_b64 s[6:7], vcc
	s_cbranch_execz .LBB672_15
; %bb.14:
	s_mov_b32 s41, 0
	v_mov_b32_e32 v77, 0
	v_lshl_add_u64 v[66:67], s[40:41], 0, v[76:77]
	v_mov_b32_e32 v1, s9
	v_mad_u64_u32 v[66:67], s[16:17], s2, v1, v[66:67]
	s_mul_i32 s3, s3, s9
	v_mov_b32_e32 v70, s26
	v_mov_b32_e32 v71, v77
	s_load_dwordx4 s[12:15], s[0:1], 0x58
	v_add_u32_e32 v1, s3, v67
	v_mad_u64_u32 v[66:67], s[16:17], v66, s8, v[70:71]
	v_mov_b32_e32 v70, v67
	v_mad_u64_u32 v[70:71], s[16:17], v1, s8, v[70:71]
	v_mov_b32_e32 v67, v70
	v_lshlrev_b64 v[66:67], 2, v[66:67]
	s_waitcnt lgkmcnt(0)
	v_lshl_add_u64 v[70:71], s[14:15], 0, v[66:67]
	v_lshl_add_u64 v[66:67], s[12:13], 0, v[66:67]
	global_store_dword v[70:71], v87, off
	global_store_dword v[66:67], v88, off
.LBB672_15:
	s_or_b64 exec, exec, s[6:7]
	v_lshl_or_b32 v1, v86, 9, v68
	s_waitcnt lgkmcnt(0)
	s_barrier
	ds_read_b128 v[70:73], v1
	ds_read_b128 v[66:69], v1 offset:16
	s_waitcnt vmcnt(15) lgkmcnt(1)
	v_mfma_f32_16x16x16_bf16 v[78:81], v[30:31], v[70:71], 0
	s_mov_b32 s3, 0
	v_cmp_gt_u32_e32 vcc, 64, v0
	v_mfma_f32_16x16x16_bf16 v[30:33], v[32:33], v[72:73], v[78:81]
	s_waitcnt vmcnt(14) lgkmcnt(0)
	v_mfma_f32_16x16x16_bf16 v[30:33], v[26:27], v[66:67], v[30:33]
	v_mfma_f32_16x16x16_bf16 v[26:29], v[28:29], v[68:69], v[30:33]
	s_nop 5
	ds_read_b128 v[30:33], v1 offset:2048
	ds_read_b128 v[78:81], v1 offset:2064
	s_waitcnt vmcnt(13) lgkmcnt(1)
	v_mfma_f32_16x16x16_bf16 v[26:29], v[22:23], v[30:31], v[26:29]
	v_mfma_f32_16x16x16_bf16 v[22:25], v[24:25], v[32:33], v[26:29]
	s_waitcnt vmcnt(12) lgkmcnt(0)
	v_mfma_f32_16x16x16_bf16 v[22:25], v[18:19], v[78:79], v[22:25]
	v_mfma_f32_16x16x16_bf16 v[18:21], v[20:21], v[80:81], v[22:25]
	s_nop 5
	ds_read_b128 v[22:25], v1 offset:4096
	ds_read_b128 v[26:29], v1 offset:4112
	s_waitcnt vmcnt(11) lgkmcnt(1)
	v_mfma_f32_16x16x16_bf16 v[18:21], v[14:15], v[22:23], v[18:21]
	v_mfma_f32_16x16x16_bf16 v[14:17], v[16:17], v[24:25], v[18:21]
	s_waitcnt vmcnt(10) lgkmcnt(0)
	v_mfma_f32_16x16x16_bf16 v[14:17], v[10:11], v[26:27], v[14:17]
	v_mfma_f32_16x16x16_bf16 v[10:13], v[12:13], v[28:29], v[14:17]
	s_nop 5
	ds_read_b128 v[14:17], v1 offset:6144
	ds_read_b128 v[18:21], v1 offset:6160
	s_waitcnt lgkmcnt(0)
	s_barrier
	s_waitcnt vmcnt(9)
	v_mfma_f32_16x16x16_bf16 v[10:13], v[6:7], v[14:15], v[10:13]
	v_mfma_f32_16x16x16_bf16 v[6:9], v[8:9], v[16:17], v[10:13]
	s_waitcnt vmcnt(8)
	v_mfma_f32_16x16x16_bf16 v[6:9], v[2:3], v[18:19], v[6:9]
	v_mfma_f32_16x16x16_bf16 v[2:5], v[4:5], v[20:21], v[6:9]
	;; [unrolled: 3-line block ×3, first 2 shown]
	s_nop 3
	v_bfe_u32 v1, v3, 16, 1
	v_bfe_u32 v10, v2, 16, 1
	v_add3_u32 v2, v2, v10, s10
	s_waitcnt vmcnt(6)
	v_mfma_f32_16x16x16_bf16 v[6:9], v[38:39], v[66:67], v[6:9]
	v_add3_u32 v1, v3, v1, s10
	v_perm_b32 v10, v1, v2, s11
	v_bfe_u32 v1, v5, 16, 1
	v_mfma_f32_16x16x16_bf16 v[6:9], v[40:41], v[68:69], v[6:9]
	v_bfe_u32 v2, v4, 16, 1
	v_add3_u32 v2, v4, v2, s10
	v_add3_u32 v1, v5, v1, s10
	s_waitcnt vmcnt(5)
	v_mfma_f32_16x16x16_bf16 v[6:9], v[42:43], v[30:31], v[6:9]
	v_perm_b32 v11, v1, v2, s11
	v_mfma_f32_16x16x16_bf16 v[6:9], v[44:45], v[32:33], v[6:9]
	s_waitcnt vmcnt(4)
	v_mfma_f32_16x16x16_bf16 v[6:9], v[34:35], v[78:79], v[6:9]
	v_mfma_f32_16x16x16_bf16 v[6:9], v[36:37], v[80:81], v[6:9]
	s_waitcnt vmcnt(3)
	v_mfma_f32_16x16x16_bf16 v[6:9], v[58:59], v[22:23], v[6:9]
	;; [unrolled: 3-line block ×5, first 2 shown]
	v_mfma_f32_16x16x16_bf16 v[2:5], v[52:53], v[20:21], v[6:9]
	s_nop 6
	v_bfe_u32 v1, v3, 16, 1
	v_bfe_u32 v6, v2, 16, 1
	v_add3_u32 v2, v2, v6, s10
	v_add3_u32 v1, v3, v1, s10
	v_perm_b32 v2, v1, v2, s11
	v_bfe_u32 v1, v5, 16, 1
	v_bfe_u32 v3, v4, 16, 1
	v_add3_u32 v3, v4, v3, s10
	v_add3_u32 v1, v5, v1, s10
	v_perm_b32 v3, v1, v3, s11
	ds_write2st64_b64 v75, v[10:11], v[2:3] offset1:1
	s_waitcnt lgkmcnt(0)
	s_barrier
	s_and_saveexec_b64 s[6:7], vcc
	s_cbranch_execz .LBB672_18
; %bb.16:
	s_load_dwordx2 s[6:7], s[0:1], 0x68
	s_lshl_b32 s0, s8, 7
	s_mul_i32 s1, s9, s2
	v_lshlrev_b32_e32 v3, 6, v76
	s_mul_hi_u32 s9, s1, s0
	s_mul_i32 s8, s1, s0
	v_lshlrev_b32_e32 v2, 4, v0
	v_lshl_or_b32 v0, v0, 10, v3
	s_lshl_b64 s[8:9], s[8:9], 1
	v_lshlrev_b32_e32 v1, 5, v86
	v_and_b32_e32 v2, 16, v2
	v_and_b32_e32 v0, 0x1a00, v0
	s_waitcnt lgkmcnt(0)
	s_add_u32 s1, s6, s8
	v_or3_b32 v2, v0, v1, v2
	s_addc_u32 s6, s7, s9
	s_lshl_b32 s2, s26, 7
	s_lshl_b64 s[2:3], s[2:3], 1
	ds_read_b128 v[4:7], v2
	s_add_u32 s2, s1, s2
	s_addc_u32 s3, s6, s3
	v_mov_b32_e32 v75, 0
	v_add_u32_e32 v3, s40, v86
	v_lshl_add_u64 v[0:1], s[2:3], 0, v[74:75]
	v_mad_u64_u32 v[8:9], s[2:3], v3, s0, 0
	v_lshl_add_u64 v[8:9], v[8:9], 1, v[0:1]
	s_waitcnt lgkmcnt(0)
	global_store_dwordx4 v[8:9], v[4:7], off
	s_and_b64 exec, exec, s[4:5]
	s_cbranch_execz .LBB672_18
; %bb.17:
	ds_read_b128 v[2:5], v2 offset:128
	v_add3_u32 v6, s40, v86, 4
	v_mad_u64_u32 v[6:7], s[0:1], v6, s0, 0
	v_lshl_add_u64 v[0:1], v[6:7], 1, v[0:1]
	s_waitcnt lgkmcnt(0)
	global_store_dwordx4 v[0:1], v[2:5], off
.LBB672_18:
	s_endpgm
	.section	.rodata,"a",@progbits
	.p2align	6, 0x0
	.amdhsa_kernel _Z39paged_attention_ll4mi_QKV_mfma16_kernelI14__hip_bfloat16S0_LN4vllm18Fp8KVCacheDataTypeE0ES0_Li16ELi128ELi256ELb0ELi5EEvPKT_PKT0_S8_ifPKiSA_SA_iPKfiiiPfSD_PS3_PT2_iSC_SC_
		.amdhsa_group_segment_fixed_size 8192
		.amdhsa_private_segment_fixed_size 0
		.amdhsa_kernarg_size 400
		.amdhsa_user_sgpr_count 2
		.amdhsa_user_sgpr_dispatch_ptr 0
		.amdhsa_user_sgpr_queue_ptr 0
		.amdhsa_user_sgpr_kernarg_segment_ptr 1
		.amdhsa_user_sgpr_dispatch_id 0
		.amdhsa_user_sgpr_kernarg_preload_length 0
		.amdhsa_user_sgpr_kernarg_preload_offset 0
		.amdhsa_user_sgpr_private_segment_size 0
		.amdhsa_uses_dynamic_stack 0
		.amdhsa_enable_private_segment 0
		.amdhsa_system_sgpr_workgroup_id_x 1
		.amdhsa_system_sgpr_workgroup_id_y 1
		.amdhsa_system_sgpr_workgroup_id_z 1
		.amdhsa_system_sgpr_workgroup_info 0
		.amdhsa_system_vgpr_workitem_id 0
		.amdhsa_next_free_vgpr 96
		.amdhsa_next_free_sgpr 42
		.amdhsa_accum_offset 96
		.amdhsa_reserve_vcc 1
		.amdhsa_float_round_mode_32 0
		.amdhsa_float_round_mode_16_64 0
		.amdhsa_float_denorm_mode_32 3
		.amdhsa_float_denorm_mode_16_64 3
		.amdhsa_dx10_clamp 1
		.amdhsa_ieee_mode 1
		.amdhsa_fp16_overflow 0
		.amdhsa_tg_split 0
		.amdhsa_exception_fp_ieee_invalid_op 0
		.amdhsa_exception_fp_denorm_src 0
		.amdhsa_exception_fp_ieee_div_zero 0
		.amdhsa_exception_fp_ieee_overflow 0
		.amdhsa_exception_fp_ieee_underflow 0
		.amdhsa_exception_fp_ieee_inexact 0
		.amdhsa_exception_int_div_zero 0
	.end_amdhsa_kernel
	.section	.text._Z39paged_attention_ll4mi_QKV_mfma16_kernelI14__hip_bfloat16S0_LN4vllm18Fp8KVCacheDataTypeE0ES0_Li16ELi128ELi256ELb0ELi5EEvPKT_PKT0_S8_ifPKiSA_SA_iPKfiiiPfSD_PS3_PT2_iSC_SC_,"axG",@progbits,_Z39paged_attention_ll4mi_QKV_mfma16_kernelI14__hip_bfloat16S0_LN4vllm18Fp8KVCacheDataTypeE0ES0_Li16ELi128ELi256ELb0ELi5EEvPKT_PKT0_S8_ifPKiSA_SA_iPKfiiiPfSD_PS3_PT2_iSC_SC_,comdat
.Lfunc_end672:
	.size	_Z39paged_attention_ll4mi_QKV_mfma16_kernelI14__hip_bfloat16S0_LN4vllm18Fp8KVCacheDataTypeE0ES0_Li16ELi128ELi256ELb0ELi5EEvPKT_PKT0_S8_ifPKiSA_SA_iPKfiiiPfSD_PS3_PT2_iSC_SC_, .Lfunc_end672-_Z39paged_attention_ll4mi_QKV_mfma16_kernelI14__hip_bfloat16S0_LN4vllm18Fp8KVCacheDataTypeE0ES0_Li16ELi128ELi256ELb0ELi5EEvPKT_PKT0_S8_ifPKiSA_SA_iPKfiiiPfSD_PS3_PT2_iSC_SC_
                                        ; -- End function
	.section	.AMDGPU.csdata,"",@progbits
; Kernel info:
; codeLenInByte = 4700
; NumSgprs: 48
; NumVgprs: 96
; NumAgprs: 0
; TotalNumVgprs: 96
; ScratchSize: 0
; MemoryBound: 0
; FloatMode: 240
; IeeeMode: 1
; LDSByteSize: 8192 bytes/workgroup (compile time only)
; SGPRBlocks: 5
; VGPRBlocks: 11
; NumSGPRsForWavesPerEU: 48
; NumVGPRsForWavesPerEU: 96
; AccumOffset: 96
; Occupancy: 5
; WaveLimiterHint : 1
; COMPUTE_PGM_RSRC2:SCRATCH_EN: 0
; COMPUTE_PGM_RSRC2:USER_SGPR: 2
; COMPUTE_PGM_RSRC2:TRAP_HANDLER: 0
; COMPUTE_PGM_RSRC2:TGID_X_EN: 1
; COMPUTE_PGM_RSRC2:TGID_Y_EN: 1
; COMPUTE_PGM_RSRC2:TGID_Z_EN: 1
; COMPUTE_PGM_RSRC2:TIDIG_COMP_CNT: 0
; COMPUTE_PGM_RSRC3_GFX90A:ACCUM_OFFSET: 23
; COMPUTE_PGM_RSRC3_GFX90A:TG_SPLIT: 0
	.section	.text._Z39paged_attention_ll4mi_QKV_mfma16_kernelI14__hip_bfloat16S0_LN4vllm18Fp8KVCacheDataTypeE0ES0_Li16ELi128ELi256ELb0ELi6EEvPKT_PKT0_S8_ifPKiSA_SA_iPKfiiiPfSD_PS3_PT2_iSC_SC_,"axG",@progbits,_Z39paged_attention_ll4mi_QKV_mfma16_kernelI14__hip_bfloat16S0_LN4vllm18Fp8KVCacheDataTypeE0ES0_Li16ELi128ELi256ELb0ELi6EEvPKT_PKT0_S8_ifPKiSA_SA_iPKfiiiPfSD_PS3_PT2_iSC_SC_,comdat
	.protected	_Z39paged_attention_ll4mi_QKV_mfma16_kernelI14__hip_bfloat16S0_LN4vllm18Fp8KVCacheDataTypeE0ES0_Li16ELi128ELi256ELb0ELi6EEvPKT_PKT0_S8_ifPKiSA_SA_iPKfiiiPfSD_PS3_PT2_iSC_SC_ ; -- Begin function _Z39paged_attention_ll4mi_QKV_mfma16_kernelI14__hip_bfloat16S0_LN4vllm18Fp8KVCacheDataTypeE0ES0_Li16ELi128ELi256ELb0ELi6EEvPKT_PKT0_S8_ifPKiSA_SA_iPKfiiiPfSD_PS3_PT2_iSC_SC_
	.globl	_Z39paged_attention_ll4mi_QKV_mfma16_kernelI14__hip_bfloat16S0_LN4vllm18Fp8KVCacheDataTypeE0ES0_Li16ELi128ELi256ELb0ELi6EEvPKT_PKT0_S8_ifPKiSA_SA_iPKfiiiPfSD_PS3_PT2_iSC_SC_
	.p2align	8
	.type	_Z39paged_attention_ll4mi_QKV_mfma16_kernelI14__hip_bfloat16S0_LN4vllm18Fp8KVCacheDataTypeE0ES0_Li16ELi128ELi256ELb0ELi6EEvPKT_PKT0_S8_ifPKiSA_SA_iPKfiiiPfSD_PS3_PT2_iSC_SC_,@function
_Z39paged_attention_ll4mi_QKV_mfma16_kernelI14__hip_bfloat16S0_LN4vllm18Fp8KVCacheDataTypeE0ES0_Li16ELi128ELi256ELb0ELi6EEvPKT_PKT0_S8_ifPKiSA_SA_iPKfiiiPfSD_PS3_PT2_iSC_SC_: ; @_Z39paged_attention_ll4mi_QKV_mfma16_kernelI14__hip_bfloat16S0_LN4vllm18Fp8KVCacheDataTypeE0ES0_Li16ELi128ELi256ELb0ELi6EEvPKT_PKT0_S8_ifPKiSA_SA_iPKfiiiPfSD_PS3_PT2_iSC_SC_
; %bb.0:
	s_load_dwordx2 s[8:9], s[0:1], 0x30
	s_mov_b32 s26, s3
	s_mov_b64 s[6:7], 0
	s_waitcnt lgkmcnt(0)
	s_cmp_lg_u64 s[8:9], 0
	s_cselect_b64 s[10:11], -1, 0
	s_and_b64 vcc, exec, s[10:11]
	s_cbranch_vccz .LBB673_7
; %bb.1:
	s_add_i32 s12, s2, 1
	s_mov_b32 s13, 0
	s_lshl_b64 s[14:15], s[12:13], 2
	s_add_u32 s14, s8, s14
	s_mov_b32 s3, s13
	s_addc_u32 s15, s9, s15
	s_lshl_b64 s[12:13], s[2:3], 2
	s_add_u32 s12, s8, s12
	s_addc_u32 s13, s9, s13
	s_load_dword s5, s[14:15], 0x0
	s_load_dword s16, s[12:13], 0x0
	s_waitcnt lgkmcnt(0)
	s_sub_i32 s5, s5, s16
	s_cmp_eq_u32 s5, 1
	s_cselect_b64 s[12:13], -1, 0
	s_andn2_b64 vcc, exec, s[6:7]
	s_cbranch_vccnz .LBB673_3
.LBB673_2:
	s_mov_b32 s3, 0
	s_mov_b64 s[12:13], -1
.LBB673_3:
	s_andn2_b64 vcc, exec, s[12:13]
	s_cbranch_vccnz .LBB673_18
; %bb.4:
	s_load_dwordx2 s[6:7], s[0:1], 0x28
	s_lshl_b64 s[16:17], s[2:3], 2
	s_waitcnt lgkmcnt(0)
	s_add_u32 s6, s6, s16
	s_addc_u32 s7, s7, s17
	s_load_dword s33, s[6:7], 0x0
	s_lshl_b32 s18, s26, 8
	s_waitcnt lgkmcnt(0)
	s_cmp_ge_i32 s18, s33
	s_cbranch_scc1 .LBB673_18
; %bb.5:
	s_load_dwordx2 s[6:7], s[0:1], 0x20
	s_load_dword s5, s[0:1], 0x38
	s_add_i32 s12, s33, 15
	s_ashr_i32 s13, s12, 31
	v_and_b32_e32 v1, 0xcf, v0
	s_lshr_b32 s13, s13, 28
	v_add_u32_e32 v1, s18, v1
	s_add_i32 s12, s12, s13
	v_ashrrev_i32_e32 v2, 31, v1
	s_ashr_i32 s19, s12, 4
	v_lshrrev_b32_e32 v4, 28, v2
	s_add_i32 s19, s19, -1
	s_waitcnt lgkmcnt(0)
	s_mul_i32 s12, s2, s5
	s_mov_b32 s13, 0
	v_add_u32_e32 v2, v1, v4
	s_lshl_b64 s[12:13], s[12:13], 2
	v_ashrrev_i32_e32 v2, 4, v2
	v_mov_b32_e32 v5, s19
	v_cmp_gt_i32_e32 vcc, s33, v1
	s_add_u32 s6, s6, s12
	s_addc_u32 s7, s7, s13
	v_cndmask_b32_e32 v2, v5, v2, vcc
	v_ashrrev_i32_e32 v3, 31, v2
	v_lshl_add_u64 v[6:7], v[2:3], 2, s[6:7]
	v_or_b32_e32 v2, 16, v1
	v_add_u32_e32 v3, v2, v4
	v_ashrrev_i32_e32 v3, 4, v3
	v_cmp_gt_i32_e32 vcc, s33, v2
	s_load_dwordx4 s[12:15], s[0:1], 0x8
	s_nop 0
	v_cndmask_b32_e32 v2, v5, v3, vcc
	v_ashrrev_i32_e32 v3, 31, v2
	v_lshl_add_u64 v[8:9], v[2:3], 2, s[6:7]
	v_or_b32_e32 v2, 32, v1
	v_add_u32_e32 v3, v2, v4
	v_ashrrev_i32_e32 v3, 4, v3
	v_cmp_gt_i32_e32 vcc, s33, v2
	v_or_b32_e32 v1, 48, v1
	s_nop 0
	v_cndmask_b32_e32 v2, v5, v3, vcc
	v_ashrrev_i32_e32 v3, 31, v2
	v_lshl_add_u64 v[10:11], v[2:3], 2, s[6:7]
	v_add_u32_e32 v2, v1, v4
	v_ashrrev_i32_e32 v2, 4, v2
	v_cmp_gt_i32_e32 vcc, s33, v1
	s_nop 1
	v_cndmask_b32_e32 v2, v5, v2, vcc
	v_ashrrev_i32_e32 v3, 31, v2
	v_lshl_add_u64 v[12:13], v[2:3], 2, s[6:7]
	global_load_dword v4, v[6:7], off
	global_load_dword v3, v[8:9], off
	global_load_dword v2, v[10:11], off
	global_load_dword v40, v[12:13], off
	s_andn2_b64 vcc, exec, s[10:11]
	s_cbranch_vccnz .LBB673_8
; %bb.6:
	s_add_u32 s8, s8, s16
	s_addc_u32 s9, s9, s17
	s_load_dword s5, s[8:9], 0x0
	s_branch .LBB673_9
.LBB673_7:
	s_mov_b64 s[12:13], 0
	s_branch .LBB673_2
.LBB673_8:
	s_mov_b32 s5, s2
.LBB673_9:
	s_load_dwordx4 s[8:11], s[0:1], 0x48
	v_lshrrev_b32_e32 v77, 6, v0
	v_bfe_u32 v86, v0, 4, 2
	v_and_b32_e32 v76, 15, v0
	v_lshl_or_b32 v1, v77, 2, v86
	v_lshlrev_b32_e32 v5, 3, v76
	v_and_b32_e32 v87, 63, v0
	s_mul_i32 s40, s4, 6
	v_cmp_gt_u32_e32 vcc, 6, v1
	v_lshlrev_b32_e32 v6, 1, v5
	scratch_store_dwordx2 off, v[6:7], off  ; 8-byte Folded Spill
	s_and_saveexec_b64 s[16:17], vcc
	s_cbranch_execz .LBB673_11
; %bb.10:
	scratch_load_dwordx2 v[8:9], off, off   ; 8-byte Folded Reload
	s_load_dwordx2 s[20:21], s[0:1], 0x0
	s_waitcnt lgkmcnt(0)
	s_ashr_i32 s11, s8, 31
	s_mul_hi_u32 s22, s5, s8
	s_mul_i32 s11, s5, s11
	s_add_i32 s23, s22, s11
	s_mul_i32 s22, s5, s8
	s_lshl_b64 s[22:23], s[22:23], 1
	s_add_u32 s20, s20, s22
	v_add_lshl_u32 v6, v1, s40, 7
	s_addc_u32 s21, s21, s23
	v_ashrrev_i32_e32 v7, 31, v6
	v_lshl_add_u64 v[6:7], v[6:7], 1, s[20:21]
	v_mov_b32_e32 v11, 0
	v_and_b32_e32 v5, 3, v0
	v_lshlrev_b32_e32 v1, 5, v1
	v_lshlrev_b32_e32 v5, 9, v5
	s_waitcnt vmcnt(0)
	v_mov_b32_e32 v10, v8
	v_lshl_add_u64 v[6:7], v[6:7], 0, v[10:11]
	scratch_store_dwordx2 off, v[8:9], off  ; 8-byte Folded Spill
	global_load_dwordx4 v[6:9], v[6:7], off
	v_lshlrev_b32_e32 v10, 9, v76
	v_and_b32_e32 v10, 0x1800, v10
	v_or3_b32 v1, v10, v5, v1
	s_waitcnt vmcnt(0)
	ds_write_b128 v1, v[6:9]
.LBB673_11:
	s_or_b64 exec, exec, s[16:17]
	s_waitcnt lgkmcnt(0)
	s_mul_i32 s4, s4, s10
	s_mov_b32 s5, 0
	s_lshl_b64 s[4:5], s[4:5], 1
	s_add_u32 s10, s12, s4
	v_lshlrev_b32_e32 v1, 4, v0
	s_addc_u32 s11, s13, s5
	v_and_b32_e32 v34, 0xf0, v1
	v_mov_b32_e32 v35, 0
	v_lshl_add_u64 v[30:31], s[10:11], 0, v[34:35]
	s_waitcnt vmcnt(4)
	v_mad_i64_i32 v[4:5], s[10:11], v4, s9, 0
	v_lshl_add_u64 v[4:5], v[4:5], 1, v[30:31]
	v_and_b32_e32 v34, 0x300, v1
	v_lshl_add_u64 v[32:33], v[4:5], 0, v[34:35]
	s_load_dword s27, s[0:1], 0x98
	s_load_dword s8, s[0:1], 0x1c
	s_waitcnt lgkmcnt(0)
	s_barrier
	global_load_dwordx4 v[6:9], v[32:33], off
	global_load_dwordx4 v[18:21], v[32:33], off offset:1024
	s_waitcnt vmcnt(5)
	v_mad_i64_i32 v[4:5], s[10:11], v3, s9, 0
	v_lshl_add_u64 v[4:5], v[4:5], 1, v[30:31]
	v_lshl_add_u64 v[36:37], v[4:5], 0, v[34:35]
	global_load_dwordx4 v[14:17], v[36:37], off
	global_load_dwordx4 v[22:25], v[36:37], off offset:1024
	s_waitcnt vmcnt(6)
	v_mad_i64_i32 v[2:3], s[10:11], v2, s9, 0
	v_lshl_add_u64 v[2:3], v[2:3], 1, v[30:31]
	v_lshl_add_u64 v[38:39], v[2:3], 0, v[34:35]
	global_load_dwordx4 v[26:29], v[38:39], off
	global_load_dwordx4 v[46:49], v[38:39], off offset:1024
	v_mul_lo_u16_e32 v2, 43, v76
	v_mov_b32_e32 v3, 6
	v_mul_lo_u16_sdwa v2, v2, v3 dst_sel:DWORD dst_unused:UNUSED_PAD src0_sel:BYTE_1 src1_sel:DWORD
	v_mov_b32_e32 v4, 5
	v_sub_u16_e32 v2, v76, v2
	v_lshlrev_b32_sdwa v2, v4, v2 dst_sel:DWORD dst_unused:UNUSED_PAD src0_sel:DWORD src1_sel:BYTE_0
	v_lshl_add_u32 v41, v86, 9, v2
	ds_read_b128 v[10:13], v41
	ds_read_b128 v[2:5], v41 offset:2048
	global_load_dwordx4 v[54:57], v[32:33], off offset:2048
	global_load_dwordx4 v[62:65], v[36:37], off offset:2048
	v_mov_b32_e32 v70, s19
	s_add_u32 s4, s14, s4
	s_addc_u32 s5, s15, s5
	s_mov_b32 s41, 0xff7fffff
	v_mov_b32_e32 v74, v86
	s_waitcnt vmcnt(7) lgkmcnt(1)
	v_mfma_f32_16x16x16_bf16 v[42:45], v[6:7], v[10:11], 0
	v_mfma_f32_16x16x16_bf16 v[6:9], v[8:9], v[12:13], v[42:45]
	s_nop 5
	global_load_dwordx4 v[42:45], v[38:39], off offset:2048
	s_waitcnt vmcnt(6)
	v_mfma_f32_16x16x16_bf16 v[50:53], v[14:15], v[10:11], 0
	s_waitcnt vmcnt(4)
	v_mfma_f32_16x16x16_bf16 v[58:61], v[26:27], v[10:11], 0
	v_mfma_f32_16x16x16_bf16 v[14:17], v[16:17], v[12:13], v[50:53]
	s_nop 3
	global_load_dwordx4 v[50:53], v[32:33], off offset:3072
	v_mfma_f32_16x16x16_bf16 v[26:29], v[28:29], v[12:13], v[58:61]
	v_mad_i64_i32 v[32:33], s[10:11], v40, s9, 0
	v_and_or_b32 v40, v0, 48, s18
	s_waitcnt lgkmcnt(0)
	v_mfma_f32_16x16x16_bf16 v[14:17], v[22:23], v[2:3], v[14:17]
	v_ashrrev_i32_e32 v58, 4, v40
	v_cmp_gt_i32_e32 vcc, s33, v40
	v_or_b32_e32 v66, 64, v40
	v_mfma_f32_16x16x16_bf16 v[6:9], v[18:19], v[2:3], v[6:9]
	v_cndmask_b32_e32 v18, v70, v58, vcc
	global_load_dwordx4 v[58:61], v[36:37], off offset:3072
	v_ashrrev_i32_e32 v22, 4, v66
	s_waitcnt vmcnt(5)
	v_mfma_f32_16x16x16_bf16 v[26:29], v[46:47], v[2:3], v[26:29]
	v_ashrrev_i32_e32 v19, 31, v18
	v_cmp_gt_i32_e32 vcc, s33, v66
	v_lshl_add_u64 v[18:19], v[18:19], 2, s[6:7]
	v_mfma_f32_16x16x16_bf16 v[14:17], v[24:25], v[4:5], v[14:17]
	v_cndmask_b32_e32 v36, v70, v22, vcc
	global_load_dwordx4 v[22:25], v[38:39], off offset:3072
	global_load_dword v82, v[18:19], off
	v_mfma_f32_16x16x16_bf16 v[6:9], v[20:21], v[4:5], v[6:9]
	v_ashrrev_i32_e32 v37, 31, v36
	ds_read_b128 v[66:69], v41 offset:4096
	v_or_b32_e32 v71, 0x80, v40
	v_mfma_f32_16x16x16_bf16 v[18:21], v[48:49], v[4:5], v[26:29]
	v_ashrrev_i32_e32 v73, 4, v71
	v_cmp_gt_i32_e32 vcc, s33, v71
	v_or_b32_e32 v72, 0xc0, v40
	v_lshl_add_u64 v[26:27], v[32:33], 1, v[30:31]
	v_lshl_add_u64 v[26:27], v[26:27], 0, v[34:35]
	;; [unrolled: 1-line block ×3, first 2 shown]
	global_load_dwordx4 v[46:49], v[26:27], off
	global_load_dword v36, v[28:29], off
	s_waitcnt vmcnt(8) lgkmcnt(0)
	v_mfma_f32_16x16x16_bf16 v[6:9], v[54:55], v[66:67], v[6:9]
	v_cndmask_b32_e32 v28, v70, v73, vcc
	v_ashrrev_i32_e32 v29, 31, v28
	v_ashrrev_i32_e32 v75, 4, v72
	v_mfma_f32_16x16x16_bf16 v[6:9], v[56:57], v[68:69], v[6:9]
	global_load_dwordx4 v[54:57], v[26:27], off offset:1024
	v_lshl_add_u64 v[28:29], v[28:29], 2, s[6:7]
	v_cmp_gt_i32_e32 vcc, s33, v72
	global_load_dword v84, v[28:29], off
	s_waitcnt vmcnt(9)
	v_mfma_f32_16x16x16_bf16 v[14:17], v[62:63], v[66:67], v[14:17]
	v_cndmask_b32_e32 v28, v70, v75, vcc
	v_ashrrev_i32_e32 v29, 31, v28
	v_lshl_add_u64 v[28:29], v[28:29], 2, s[6:7]
	v_mfma_f32_16x16x16_bf16 v[14:17], v[64:65], v[68:69], v[14:17]
	global_load_dword v64, v[28:29], off
	ds_read_b128 v[38:41], v41 offset:6144
	v_lshl_or_b32 v75, v77, 4, v76
	v_lshlrev_b32_e32 v34, 5, v75
	v_lshl_add_u64 v[62:63], s[4:5], 0, v[34:35]
	v_or_b32_e32 v34, 0x800, v34
	s_waitcnt vmcnt(9)
	v_mfma_f32_16x16x16_bf16 v[18:21], v[42:43], v[66:67], v[18:21]
	global_load_dwordx4 v[70:73], v[26:27], off offset:3072
	v_mfma_f32_16x16x16_bf16 v[18:21], v[44:45], v[68:69], v[18:21]
	global_load_dwordx4 v[42:45], v[26:27], off offset:2048
	s_waitcnt vmcnt(10) lgkmcnt(0)
	v_mfma_f32_16x16x16_bf16 v[6:9], v[50:51], v[38:39], v[6:9]
	v_mfma_f32_16x16x16_bf16 v[78:81], v[52:53], v[40:41], v[6:9]
	s_waitcnt vmcnt(9)
	v_mfma_f32_16x16x16_bf16 v[14:17], v[58:59], v[38:39], v[14:17]
	s_waitcnt vmcnt(7)
	s_nop 2
	v_mad_i64_i32 v[6:7], s[6:7], v82, s9, 0
	v_lshlrev_b64 v[82:83], 1, v[6:7]
	v_lshl_add_u64 v[6:7], v[62:63], 0, v[82:83]
	global_load_dwordx4 v[30:33], v[6:7], off
	global_load_dwordx4 v[26:29], v[6:7], off offset:16
	v_mfma_f32_16x16x16_bf16 v[6:9], v[22:23], v[38:39], v[18:21]
	v_mfma_f32_16x16x16_bf16 v[58:61], v[60:61], v[40:41], v[14:17]
	s_waitcnt vmcnt(7)
	s_nop 1
	v_mad_i64_i32 v[14:15], s[6:7], v36, s9, 0
	v_lshlrev_b64 v[36:37], 1, v[14:15]
	v_mfma_f32_16x16x16_bf16 v[88:91], v[24:25], v[40:41], v[6:9]
	s_nop 2
	v_lshl_add_u64 v[6:7], v[62:63], 0, v[36:37]
	global_load_dwordx4 v[22:25], v[6:7], off
	global_load_dwordx4 v[18:21], v[6:7], off offset:16
	v_mfma_f32_16x16x16_bf16 v[6:9], v[46:47], v[10:11], 0
	s_waitcnt vmcnt(7)
	v_mad_i64_i32 v[10:11], s[6:7], v84, s9, 0
	v_lshlrev_b64 v[50:51], 1, v[10:11]
	v_mfma_f32_16x16x16_bf16 v[6:9], v[48:49], v[12:13], v[6:9]
	v_lshl_add_u64 v[10:11], v[62:63], 0, v[50:51]
	v_pk_mul_f32 v[84:85], s[8:9], v[60:61] op_sel_hi:[0,1]
	global_load_dwordx4 v[14:17], v[10:11], off
	s_nop 0
	global_load_dwordx4 v[10:13], v[10:11], off offset:16
	v_mfma_f32_16x16x16_bf16 v[6:9], v[54:55], v[2:3], v[6:9]
	s_waitcnt vmcnt(8)
	v_mad_i64_i32 v[2:3], s[6:7], v64, s9, 0
	v_lshlrev_b64 v[52:53], 1, v[2:3]
	v_mfma_f32_16x16x16_bf16 v[46:49], v[56:57], v[4:5], v[6:9]
	v_lshl_add_u64 v[2:3], v[62:63], 0, v[52:53]
	v_pk_mul_f32 v[62:63], s[8:9], v[78:79] op_sel_hi:[0,1]
	v_lshl_add_u64 v[64:65], s[4:5], 0, v[34:35]
	v_lshl_add_u64 v[34:35], v[64:65], 0, v[82:83]
	v_pk_mul_f32 v[82:83], s[8:9], v[80:81] op_sel_hi:[0,1]
	v_pk_mul_f32 v[78:79], s[8:9], v[88:89] op_sel_hi:[0,1]
	;; [unrolled: 1-line block ×3, first 2 shown]
	global_load_dwordx4 v[6:9], v[2:3], off
	s_nop 0
	global_load_dwordx4 v[2:5], v[2:3], off offset:16
	v_lshl_add_u64 v[50:51], v[64:65], 0, v[50:51]
	s_waitcnt vmcnt(8)
	v_mfma_f32_16x16x16_bf16 v[46:49], v[42:43], v[66:67], v[46:49]
	v_mfma_f32_16x16x16_bf16 v[42:45], v[44:45], v[68:69], v[46:49]
	;; [unrolled: 1-line block ×3, first 2 shown]
	v_pk_mul_f32 v[70:71], s[8:9], v[58:59] op_sel_hi:[0,1]
	v_mfma_f32_16x16x16_bf16 v[38:41], v[72:73], v[40:41], v[42:45]
	s_nop 6
	v_pk_mul_f32 v[72:73], s[8:9], v[38:39] op_sel_hi:[0,1]
	v_and_b32_e32 v38, 0xc0, v0
	v_add_u32_e32 v38, s18, v38
	v_lshl_or_b32 v38, v86, 2, v38
	v_pk_mul_f32 v[66:67], s[8:9], v[40:41] op_sel_hi:[0,1]
	v_or_b32_e32 v41, 1, v38
	v_mov_b32_e32 v39, 0xff7fffff
	v_cmp_gt_i32_e64 s[28:29], s33, v38
	v_cmp_gt_i32_e64 s[30:31], s33, v41
	v_or_b32_e32 v42, 3, v38
	v_cndmask_b32_e64 v40, v39, v62, s[28:29]
	v_cndmask_b32_e64 v41, v39, v63, s[30:31]
	v_max3_f32 v40, v40, s41, v41
	v_or_b32_e32 v41, 2, v38
	v_cmp_gt_i32_e64 s[34:35], s33, v41
	v_cmp_gt_i32_e64 s[36:37], s33, v42
	s_nop 0
	v_cndmask_b32_e64 v41, v39, v82, s[34:35]
	v_cndmask_b32_e64 v42, v39, v83, s[36:37]
	v_max3_f32 v40, v40, v41, v42
	v_or_b32_e32 v41, 16, v38
	v_or_b32_e32 v42, 17, v38
	v_cmp_gt_i32_e64 s[22:23], s33, v41
	v_cmp_gt_i32_e64 s[24:25], s33, v42
	s_nop 0
	v_cndmask_b32_e64 v41, v39, v70, s[22:23]
	v_cndmask_b32_e64 v42, v39, v71, s[24:25]
	v_max3_f32 v40, v40, v41, v42
	v_or_b32_e32 v41, 18, v38
	;; [unrolled: 8-line block ×6, first 2 shown]
	v_or_b32_e32 v38, 51, v38
	v_cmp_gt_i32_e32 vcc, s33, v41
	v_cmp_gt_i32_e64 s[4:5], s33, v38
	s_nop 0
	v_cndmask_b32_e32 v41, v39, v66, vcc
	v_cndmask_b32_e64 v38, v39, v67, s[4:5]
	v_max3_f32 v54, v40, v41, v38
	v_mbcnt_lo_u32_b32 v38, -1, 0
	v_mbcnt_hi_u32_b32 v55, -1, v38
	v_and_b32_e32 v38, 64, v55
	v_add_u32_e32 v56, 64, v38
	v_xor_b32_e32 v38, 32, v55
	v_cmp_lt_i32_e64 s[38:39], v38, v56
	s_nop 1
	v_cndmask_b32_e64 v38, v55, v38, s[38:39]
	v_lshlrev_b32_e32 v89, 2, v38
	ds_bpermute_b32 v57, v89, v54
	global_load_dwordx4 v[46:49], v[34:35], off
	global_load_dwordx4 v[38:41], v[34:35], off offset:16
	v_lshl_add_u64 v[34:35], v[64:65], 0, v[36:37]
	global_load_dwordx4 v[42:45], v[34:35], off
	s_nop 0
	global_load_dwordx4 v[34:37], v[34:35], off offset:16
	s_waitcnt lgkmcnt(0)
	v_max_f32_e32 v57, v57, v57
	v_max_f32_e32 v68, v54, v57
	v_xor_b32_e32 v54, 16, v55
	v_cmp_lt_i32_e64 s[38:39], v54, v56
	s_nop 1
	v_cndmask_b32_e64 v54, v55, v54, s[38:39]
	v_lshlrev_b32_e32 v90, 2, v54
	ds_bpermute_b32 v69, v90, v68
	global_load_dwordx4 v[58:61], v[50:51], off
	global_load_dwordx4 v[54:57], v[50:51], off offset:16
	v_lshl_add_u64 v[50:51], v[64:65], 0, v[52:53]
	s_waitcnt lgkmcnt(0)
	v_max_f32_e32 v52, v69, v69
	v_max_f32_e32 v88, v68, v52
	v_sub_f32_e32 v52, v62, v88
	v_mul_f32_e32 v52, 0x3fb8aa3b, v52
	v_exp_f32_e32 v68, v52
	v_sub_f32_e32 v52, v63, v88
	v_mul_f32_e32 v52, 0x3fb8aa3b, v52
	v_exp_f32_e32 v69, v52
	global_load_dwordx4 v[62:65], v[50:51], off
	s_nop 0
	global_load_dwordx4 v[50:53], v[50:51], off offset:16
	v_sub_f32_e32 v82, v82, v88
	v_mul_f32_e32 v82, 0x3fb8aa3b, v82
	v_sub_f32_e32 v83, v83, v88
	v_exp_f32_e32 v82, v82
	v_mul_f32_e32 v83, 0x3fb8aa3b, v83
	v_sub_f32_e32 v70, v70, v88
	v_exp_f32_e32 v83, v83
	v_mul_f32_e32 v70, 0x3fb8aa3b, v70
	v_sub_f32_e32 v71, v71, v88
	v_cndmask_b32_e64 v68, 0, v68, s[28:29]
	v_exp_f32_e32 v70, v70
	v_mul_f32_e32 v71, 0x3fb8aa3b, v71
	v_sub_f32_e32 v84, v84, v88
	v_add_f32_e32 v91, 0, v68
	v_cndmask_b32_e64 v69, 0, v69, s[30:31]
	v_exp_f32_e32 v71, v71
	v_mul_f32_e32 v84, 0x3fb8aa3b, v84
	v_sub_f32_e32 v85, v85, v88
	v_add_f32_e32 v91, v91, v69
	;; [unrolled: 5-line block ×10, first 2 shown]
	v_cndmask_b32_e64 v80, 0, v80, s[10:11]
	v_exp_f32_e32 v66, v66
	v_mul_f32_e32 v67, 0x3fb8aa3b, v67
	v_add_f32_e32 v91, v91, v80
	v_cndmask_b32_e64 v81, 0, v81, s[12:13]
	v_exp_f32_e32 v67, v67
	v_add_f32_e32 v91, v91, v81
	v_cndmask_b32_e64 v72, 0, v72, s[6:7]
	v_add_f32_e32 v91, v91, v72
	v_cndmask_b32_e64 v73, 0, v73, s[8:9]
	v_add_f32_e32 v91, v91, v73
	v_cndmask_b32_e32 v66, 0, v66, vcc
	v_add_f32_e32 v91, v91, v66
	v_cndmask_b32_e64 v67, 0, v67, s[4:5]
	v_add_f32_e32 v91, v91, v67
	ds_bpermute_b32 v89, v89, v91
	v_cmp_gt_u32_e32 vcc, 16, v87
	s_waitcnt lgkmcnt(0)
	s_barrier
	v_add_f32_e32 v89, v91, v89
	ds_bpermute_b32 v90, v90, v89
	s_and_saveexec_b64 s[4:5], vcc
	s_cbranch_execz .LBB673_13
; %bb.12:
	s_waitcnt lgkmcnt(0)
	v_add_f32_e32 v87, v89, v90
	v_lshlrev_b32_e32 v75, 2, v75
	ds_write2st64_b32 v75, v88, v87 offset1:1
.LBB673_13:
	s_or_b64 exec, exec, s[4:5]
	v_lshlrev_b32_e32 v75, 2, v76
	s_load_dword s6, s[0:1], 0x94
	s_waitcnt lgkmcnt(0)
	s_barrier
	ds_read2_b32 v[88:89], v75 offset1:16
	ds_read2_b32 v[90:91], v75 offset0:32 offset1:48
	ds_read2_b32 v[92:93], v75 offset0:64 offset1:80
	;; [unrolled: 1-line block ×3, first 2 shown]
	s_movk_i32 s8, 0x7fff
	s_waitcnt lgkmcnt(3)
	v_max3_f32 v87, v88, s41, v89
	s_waitcnt lgkmcnt(2)
	v_max3_f32 v87, v87, v90, v91
	v_sub_f32_e32 v88, v88, v87
	v_mul_f32_e32 v88, 0x3fb8aa3b, v88
	v_exp_f32_e32 v1, v88
	v_sub_f32_e32 v88, v89, v87
	v_mul_f32_e32 v88, 0x3fb8aa3b, v88
	v_exp_f32_e32 v89, v88
	v_sub_f32_e32 v88, v90, v87
	v_mul_f32_e32 v88, 0x3fb8aa3b, v88
	v_sub_f32_e32 v75, v91, v87
	v_exp_f32_e32 v90, v88
	v_mul_f32_e32 v75, 0x3fb8aa3b, v75
	v_exp_f32_e32 v75, v75
	s_waitcnt lgkmcnt(1)
	v_fma_f32 v88, v1, v92, 0
	v_fmac_f32_e32 v88, v89, v93
	s_waitcnt lgkmcnt(0)
	v_fmac_f32_e32 v88, v90, v94
	v_fmac_f32_e32 v88, v75, v95
	v_add_f32_e32 v91, 0x358637bd, v88
	v_div_scale_f32 v92, s[4:5], v91, v91, 1.0
	v_rcp_f32_e32 v93, v92
	s_mov_b32 s9, 0x7060302
	s_barrier
	v_fma_f32 v94, -v92, v93, 1.0
	v_fmac_f32_e32 v93, v94, v93
	v_div_scale_f32 v94, vcc, 1.0, v91, 1.0
	v_mul_f32_e32 v95, v94, v93
	v_fma_f32 v86, -v92, v95, v94
	v_fmac_f32_e32 v95, v86, v93
	v_fma_f32 v86, -v92, v95, v94
	v_div_fmas_f32 v86, v86, v93, v95
	v_cmp_eq_u32_e32 vcc, 1, v77
	v_div_fixup_f32 v86, v86, v91, 1.0
	s_nop 0
	v_cndmask_b32_e32 v1, v1, v89, vcc
	v_cmp_eq_u32_e32 vcc, 2, v77
	s_mul_i32 s7, s27, 6
	s_nop 0
	v_cndmask_b32_e32 v1, v1, v90, vcc
	v_cmp_eq_u32_e32 vcc, 3, v77
	s_nop 1
	v_cndmask_b32_e32 v1, v1, v75, vcc
	v_mul_f32_e32 v90, v1, v86
	v_pk_mul_f32 v[68:69], v[90:91], v[68:69] op_sel_hi:[0,1]
	v_bfe_u32 v1, v69, 16, 1
	v_bfe_u32 v75, v68, 16, 1
	v_pk_mul_f32 v[82:83], v[90:91], v[82:83] op_sel_hi:[0,1]
	v_add3_u32 v68, v68, v75, s8
	v_add3_u32 v1, v69, v1, s8
	v_perm_b32 v92, v1, v68, s9
	v_bfe_u32 v1, v83, 16, 1
	v_bfe_u32 v68, v82, 16, 1
	v_add3_u32 v68, v82, v68, s8
	v_add3_u32 v1, v83, v1, s8
	v_perm_b32 v93, v1, v68, s9
	v_lshlrev_b32_e32 v1, 3, v74
	v_lshlrev_b32_e32 v68, 5, v76
	;; [unrolled: 1-line block ×3, first 2 shown]
	v_pk_mul_f32 v[70:71], v[90:91], v[70:71] op_sel_hi:[0,1]
	v_or3_b32 v75, v69, v68, v1
	v_bfe_u32 v1, v71, 16, 1
	v_bfe_u32 v69, v70, 16, 1
	v_pk_mul_f32 v[82:83], v[90:91], v[84:85] op_sel_hi:[0,1]
	v_add3_u32 v69, v70, v69, s8
	v_add3_u32 v1, v71, v1, s8
	v_perm_b32 v70, v1, v69, s9
	v_bfe_u32 v1, v83, 16, 1
	v_bfe_u32 v69, v82, 16, 1
	v_add3_u32 v69, v82, v69, s8
	v_add3_u32 v1, v83, v1, s8
	v_pk_mul_f32 v[78:79], v[90:91], v[78:79] op_sel_hi:[0,1]
	v_perm_b32 v71, v1, v69, s9
	v_bfe_u32 v1, v79, 16, 1
	v_bfe_u32 v69, v78, 16, 1
	ds_write2st64_b64 v75, v[92:93], v[70:71] offset1:1
	v_pk_mul_f32 v[70:71], v[90:91], v[80:81] op_sel_hi:[0,1]
	v_add3_u32 v69, v78, v69, s8
	v_add3_u32 v1, v79, v1, s8
	v_perm_b32 v78, v1, v69, s9
	v_bfe_u32 v1, v71, 16, 1
	v_bfe_u32 v69, v70, 16, 1
	v_add3_u32 v69, v70, v69, s8
	v_add3_u32 v1, v71, v1, s8
	v_pk_mul_f32 v[70:71], v[90:91], v[72:73] op_sel_hi:[0,1]
	v_perm_b32 v79, v1, v69, s9
	v_bfe_u32 v1, v71, 16, 1
	v_bfe_u32 v69, v70, 16, 1
	v_pk_mul_f32 v[66:67], v[90:91], v[66:67] op_sel_hi:[0,1]
	v_add3_u32 v69, v70, v69, s8
	v_add3_u32 v1, v71, v1, s8
	v_perm_b32 v70, v1, v69, s9
	v_bfe_u32 v1, v67, 16, 1
	v_bfe_u32 v69, v66, 16, 1
	v_add3_u32 v66, v66, v69, s8
	v_add3_u32 v1, v67, v1, s8
	v_perm_b32 v71, v1, v66, s9
	v_cmp_gt_u32_e32 vcc, 6, v0
	ds_write2st64_b64 v75, v[78:79], v[70:71] offset0:2 offset1:3
	s_and_saveexec_b64 s[4:5], vcc
	s_cbranch_execz .LBB673_15
; %bb.14:
	s_mov_b32 s41, 0
	v_mov_b32_e32 v77, 0
	v_lshl_add_u64 v[66:67], s[40:41], 0, v[76:77]
	v_mov_b32_e32 v1, s7
	v_mad_u64_u32 v[66:67], s[10:11], s2, v1, v[66:67]
	s_mul_i32 s3, s3, s7
	v_mov_b32_e32 v70, s26
	v_mov_b32_e32 v71, v77
	s_load_dwordx4 s[12:15], s[0:1], 0x58
	v_add_u32_e32 v1, s3, v67
	v_mad_u64_u32 v[66:67], s[10:11], v66, s6, v[70:71]
	v_mov_b32_e32 v70, v67
	v_mad_u64_u32 v[70:71], s[10:11], v1, s6, v[70:71]
	v_mov_b32_e32 v67, v70
	v_lshlrev_b64 v[66:67], 2, v[66:67]
	s_waitcnt lgkmcnt(0)
	v_lshl_add_u64 v[70:71], s[14:15], 0, v[66:67]
	v_lshl_add_u64 v[66:67], s[12:13], 0, v[66:67]
	global_store_dword v[70:71], v87, off
	global_store_dword v[66:67], v88, off
.LBB673_15:
	s_or_b64 exec, exec, s[4:5]
	v_lshl_or_b32 v1, v74, 9, v68
	s_waitcnt lgkmcnt(0)
	s_barrier
	ds_read_b128 v[70:73], v1
	ds_read_b128 v[66:69], v1 offset:16
	s_waitcnt vmcnt(15) lgkmcnt(1)
	v_mfma_f32_16x16x16_bf16 v[78:81], v[30:31], v[70:71], 0
	s_mov_b32 s3, 0
	v_cmp_gt_u32_e32 vcc, 64, v0
	v_mfma_f32_16x16x16_bf16 v[30:33], v[32:33], v[72:73], v[78:81]
	s_waitcnt vmcnt(14) lgkmcnt(0)
	v_mfma_f32_16x16x16_bf16 v[30:33], v[26:27], v[66:67], v[30:33]
	v_mfma_f32_16x16x16_bf16 v[26:29], v[28:29], v[68:69], v[30:33]
	s_nop 5
	ds_read_b128 v[30:33], v1 offset:2048
	ds_read_b128 v[78:81], v1 offset:2064
	s_waitcnt vmcnt(13) lgkmcnt(1)
	v_mfma_f32_16x16x16_bf16 v[26:29], v[22:23], v[30:31], v[26:29]
	v_mfma_f32_16x16x16_bf16 v[22:25], v[24:25], v[32:33], v[26:29]
	s_waitcnt vmcnt(12) lgkmcnt(0)
	v_mfma_f32_16x16x16_bf16 v[22:25], v[18:19], v[78:79], v[22:25]
	v_mfma_f32_16x16x16_bf16 v[18:21], v[20:21], v[80:81], v[22:25]
	s_nop 5
	ds_read_b128 v[22:25], v1 offset:4096
	ds_read_b128 v[26:29], v1 offset:4112
	s_waitcnt vmcnt(11) lgkmcnt(1)
	v_mfma_f32_16x16x16_bf16 v[18:21], v[14:15], v[22:23], v[18:21]
	v_mfma_f32_16x16x16_bf16 v[14:17], v[16:17], v[24:25], v[18:21]
	s_waitcnt vmcnt(10) lgkmcnt(0)
	v_mfma_f32_16x16x16_bf16 v[14:17], v[10:11], v[26:27], v[14:17]
	v_mfma_f32_16x16x16_bf16 v[10:13], v[12:13], v[28:29], v[14:17]
	s_nop 5
	ds_read_b128 v[14:17], v1 offset:6144
	ds_read_b128 v[18:21], v1 offset:6160
	s_waitcnt lgkmcnt(0)
	s_barrier
	s_waitcnt vmcnt(9)
	v_mfma_f32_16x16x16_bf16 v[10:13], v[6:7], v[14:15], v[10:13]
	v_mfma_f32_16x16x16_bf16 v[6:9], v[8:9], v[16:17], v[10:13]
	s_waitcnt vmcnt(8)
	v_mfma_f32_16x16x16_bf16 v[6:9], v[2:3], v[18:19], v[6:9]
	v_mfma_f32_16x16x16_bf16 v[2:5], v[4:5], v[20:21], v[6:9]
	;; [unrolled: 3-line block ×3, first 2 shown]
	s_nop 3
	v_bfe_u32 v1, v3, 16, 1
	v_bfe_u32 v10, v2, 16, 1
	v_add3_u32 v2, v2, v10, s8
	s_waitcnt vmcnt(6)
	v_mfma_f32_16x16x16_bf16 v[6:9], v[38:39], v[66:67], v[6:9]
	v_add3_u32 v1, v3, v1, s8
	v_perm_b32 v10, v1, v2, s9
	v_bfe_u32 v1, v5, 16, 1
	v_mfma_f32_16x16x16_bf16 v[6:9], v[40:41], v[68:69], v[6:9]
	v_bfe_u32 v2, v4, 16, 1
	v_add3_u32 v2, v4, v2, s8
	v_add3_u32 v1, v5, v1, s8
	s_waitcnt vmcnt(5)
	v_mfma_f32_16x16x16_bf16 v[6:9], v[42:43], v[30:31], v[6:9]
	v_perm_b32 v11, v1, v2, s9
	v_mfma_f32_16x16x16_bf16 v[6:9], v[44:45], v[32:33], v[6:9]
	s_waitcnt vmcnt(4)
	v_mfma_f32_16x16x16_bf16 v[6:9], v[34:35], v[78:79], v[6:9]
	v_mfma_f32_16x16x16_bf16 v[6:9], v[36:37], v[80:81], v[6:9]
	s_waitcnt vmcnt(3)
	v_mfma_f32_16x16x16_bf16 v[6:9], v[58:59], v[22:23], v[6:9]
	;; [unrolled: 3-line block ×5, first 2 shown]
	v_mfma_f32_16x16x16_bf16 v[2:5], v[52:53], v[20:21], v[6:9]
	s_nop 6
	v_bfe_u32 v1, v3, 16, 1
	v_bfe_u32 v6, v2, 16, 1
	v_add3_u32 v2, v2, v6, s8
	v_add3_u32 v1, v3, v1, s8
	v_perm_b32 v2, v1, v2, s9
	v_bfe_u32 v1, v5, 16, 1
	v_bfe_u32 v3, v4, 16, 1
	v_add3_u32 v3, v4, v3, s8
	v_add3_u32 v1, v5, v1, s8
	v_perm_b32 v3, v1, v3, s9
	ds_write2st64_b64 v75, v[10:11], v[2:3] offset1:1
	s_waitcnt lgkmcnt(0)
	s_barrier
	s_and_saveexec_b64 s[4:5], vcc
	s_cbranch_execz .LBB673_18
; %bb.16:
	v_lshlrev_b32_e32 v4, 6, v76
	v_lshlrev_b32_e32 v3, 4, v0
	v_lshl_or_b32 v0, v0, 10, v4
	v_lshlrev_b32_e32 v1, 5, v74
	v_and_b32_e32 v3, 16, v3
	v_and_b32_e32 v0, 0x1a00, v0
	v_or3_b32 v3, v0, v1, v3
	scratch_load_dwordx2 v[0:1], off, off   ; 8-byte Folded Reload
	s_load_dwordx2 s[4:5], s[0:1], 0x68
	s_lshl_b32 s0, s6, 7
	s_mul_i32 s1, s7, s2
	s_mul_hi_u32 s7, s1, s0
	s_mul_i32 s6, s1, s0
	s_lshl_b64 s[6:7], s[6:7], 1
	s_waitcnt lgkmcnt(0)
	s_add_u32 s1, s4, s6
	s_addc_u32 s4, s5, s7
	s_lshl_b32 s2, s26, 7
	s_lshl_b64 s[2:3], s[2:3], 1
	ds_read_b128 v[4:7], v3
	s_add_u32 s2, s1, s2
	s_addc_u32 s3, s4, s3
	s_waitcnt vmcnt(0)
	v_mov_b32_e32 v1, 0
	v_add_u32_e32 v8, s40, v74
	v_or_b32_e32 v2, 4, v74
	v_cmp_gt_u32_e32 vcc, 6, v2
	v_lshl_add_u64 v[0:1], s[2:3], 0, v[0:1]
	v_mad_u64_u32 v[8:9], s[2:3], v8, s0, 0
	v_lshl_add_u64 v[8:9], v[8:9], 1, v[0:1]
	s_waitcnt lgkmcnt(0)
	global_store_dwordx4 v[8:9], v[4:7], off
	s_and_b64 exec, exec, vcc
	s_cbranch_execz .LBB673_18
; %bb.17:
	ds_read_b128 v[4:7], v3 offset:128
	v_add_u32_e32 v2, s40, v2
	v_mad_u64_u32 v[2:3], s[0:1], v2, s0, 0
	v_lshl_add_u64 v[0:1], v[2:3], 1, v[0:1]
	s_waitcnt lgkmcnt(0)
	global_store_dwordx4 v[0:1], v[4:7], off
.LBB673_18:
	s_endpgm
	.section	.rodata,"a",@progbits
	.p2align	6, 0x0
	.amdhsa_kernel _Z39paged_attention_ll4mi_QKV_mfma16_kernelI14__hip_bfloat16S0_LN4vllm18Fp8KVCacheDataTypeE0ES0_Li16ELi128ELi256ELb0ELi6EEvPKT_PKT0_S8_ifPKiSA_SA_iPKfiiiPfSD_PS3_PT2_iSC_SC_
		.amdhsa_group_segment_fixed_size 8192
		.amdhsa_private_segment_fixed_size 12
		.amdhsa_kernarg_size 400
		.amdhsa_user_sgpr_count 2
		.amdhsa_user_sgpr_dispatch_ptr 0
		.amdhsa_user_sgpr_queue_ptr 0
		.amdhsa_user_sgpr_kernarg_segment_ptr 1
		.amdhsa_user_sgpr_dispatch_id 0
		.amdhsa_user_sgpr_kernarg_preload_length 0
		.amdhsa_user_sgpr_kernarg_preload_offset 0
		.amdhsa_user_sgpr_private_segment_size 0
		.amdhsa_uses_dynamic_stack 0
		.amdhsa_enable_private_segment 1
		.amdhsa_system_sgpr_workgroup_id_x 1
		.amdhsa_system_sgpr_workgroup_id_y 1
		.amdhsa_system_sgpr_workgroup_id_z 1
		.amdhsa_system_sgpr_workgroup_info 0
		.amdhsa_system_vgpr_workitem_id 0
		.amdhsa_next_free_vgpr 96
		.amdhsa_next_free_sgpr 42
		.amdhsa_accum_offset 96
		.amdhsa_reserve_vcc 1
		.amdhsa_float_round_mode_32 0
		.amdhsa_float_round_mode_16_64 0
		.amdhsa_float_denorm_mode_32 3
		.amdhsa_float_denorm_mode_16_64 3
		.amdhsa_dx10_clamp 1
		.amdhsa_ieee_mode 1
		.amdhsa_fp16_overflow 0
		.amdhsa_tg_split 0
		.amdhsa_exception_fp_ieee_invalid_op 0
		.amdhsa_exception_fp_denorm_src 0
		.amdhsa_exception_fp_ieee_div_zero 0
		.amdhsa_exception_fp_ieee_overflow 0
		.amdhsa_exception_fp_ieee_underflow 0
		.amdhsa_exception_fp_ieee_inexact 0
		.amdhsa_exception_int_div_zero 0
	.end_amdhsa_kernel
	.section	.text._Z39paged_attention_ll4mi_QKV_mfma16_kernelI14__hip_bfloat16S0_LN4vllm18Fp8KVCacheDataTypeE0ES0_Li16ELi128ELi256ELb0ELi6EEvPKT_PKT0_S8_ifPKiSA_SA_iPKfiiiPfSD_PS3_PT2_iSC_SC_,"axG",@progbits,_Z39paged_attention_ll4mi_QKV_mfma16_kernelI14__hip_bfloat16S0_LN4vllm18Fp8KVCacheDataTypeE0ES0_Li16ELi128ELi256ELb0ELi6EEvPKT_PKT0_S8_ifPKiSA_SA_iPKfiiiPfSD_PS3_PT2_iSC_SC_,comdat
.Lfunc_end673:
	.size	_Z39paged_attention_ll4mi_QKV_mfma16_kernelI14__hip_bfloat16S0_LN4vllm18Fp8KVCacheDataTypeE0ES0_Li16ELi128ELi256ELb0ELi6EEvPKT_PKT0_S8_ifPKiSA_SA_iPKfiiiPfSD_PS3_PT2_iSC_SC_, .Lfunc_end673-_Z39paged_attention_ll4mi_QKV_mfma16_kernelI14__hip_bfloat16S0_LN4vllm18Fp8KVCacheDataTypeE0ES0_Li16ELi128ELi256ELb0ELi6EEvPKT_PKT0_S8_ifPKiSA_SA_iPKfiiiPfSD_PS3_PT2_iSC_SC_
                                        ; -- End function
	.section	.AMDGPU.csdata,"",@progbits
; Kernel info:
; codeLenInByte = 4744
; NumSgprs: 48
; NumVgprs: 96
; NumAgprs: 0
; TotalNumVgprs: 96
; ScratchSize: 12
; MemoryBound: 0
; FloatMode: 240
; IeeeMode: 1
; LDSByteSize: 8192 bytes/workgroup (compile time only)
; SGPRBlocks: 5
; VGPRBlocks: 11
; NumSGPRsForWavesPerEU: 48
; NumVGPRsForWavesPerEU: 96
; AccumOffset: 96
; Occupancy: 5
; WaveLimiterHint : 1
; COMPUTE_PGM_RSRC2:SCRATCH_EN: 1
; COMPUTE_PGM_RSRC2:USER_SGPR: 2
; COMPUTE_PGM_RSRC2:TRAP_HANDLER: 0
; COMPUTE_PGM_RSRC2:TGID_X_EN: 1
; COMPUTE_PGM_RSRC2:TGID_Y_EN: 1
; COMPUTE_PGM_RSRC2:TGID_Z_EN: 1
; COMPUTE_PGM_RSRC2:TIDIG_COMP_CNT: 0
; COMPUTE_PGM_RSRC3_GFX90A:ACCUM_OFFSET: 23
; COMPUTE_PGM_RSRC3_GFX90A:TG_SPLIT: 0
	.section	.text._Z39paged_attention_ll4mi_QKV_mfma16_kernelI14__hip_bfloat16S0_LN4vllm18Fp8KVCacheDataTypeE0ES0_Li16ELi128ELi256ELb0ELi7EEvPKT_PKT0_S8_ifPKiSA_SA_iPKfiiiPfSD_PS3_PT2_iSC_SC_,"axG",@progbits,_Z39paged_attention_ll4mi_QKV_mfma16_kernelI14__hip_bfloat16S0_LN4vllm18Fp8KVCacheDataTypeE0ES0_Li16ELi128ELi256ELb0ELi7EEvPKT_PKT0_S8_ifPKiSA_SA_iPKfiiiPfSD_PS3_PT2_iSC_SC_,comdat
	.protected	_Z39paged_attention_ll4mi_QKV_mfma16_kernelI14__hip_bfloat16S0_LN4vllm18Fp8KVCacheDataTypeE0ES0_Li16ELi128ELi256ELb0ELi7EEvPKT_PKT0_S8_ifPKiSA_SA_iPKfiiiPfSD_PS3_PT2_iSC_SC_ ; -- Begin function _Z39paged_attention_ll4mi_QKV_mfma16_kernelI14__hip_bfloat16S0_LN4vllm18Fp8KVCacheDataTypeE0ES0_Li16ELi128ELi256ELb0ELi7EEvPKT_PKT0_S8_ifPKiSA_SA_iPKfiiiPfSD_PS3_PT2_iSC_SC_
	.globl	_Z39paged_attention_ll4mi_QKV_mfma16_kernelI14__hip_bfloat16S0_LN4vllm18Fp8KVCacheDataTypeE0ES0_Li16ELi128ELi256ELb0ELi7EEvPKT_PKT0_S8_ifPKiSA_SA_iPKfiiiPfSD_PS3_PT2_iSC_SC_
	.p2align	8
	.type	_Z39paged_attention_ll4mi_QKV_mfma16_kernelI14__hip_bfloat16S0_LN4vllm18Fp8KVCacheDataTypeE0ES0_Li16ELi128ELi256ELb0ELi7EEvPKT_PKT0_S8_ifPKiSA_SA_iPKfiiiPfSD_PS3_PT2_iSC_SC_,@function
_Z39paged_attention_ll4mi_QKV_mfma16_kernelI14__hip_bfloat16S0_LN4vllm18Fp8KVCacheDataTypeE0ES0_Li16ELi128ELi256ELb0ELi7EEvPKT_PKT0_S8_ifPKiSA_SA_iPKfiiiPfSD_PS3_PT2_iSC_SC_: ; @_Z39paged_attention_ll4mi_QKV_mfma16_kernelI14__hip_bfloat16S0_LN4vllm18Fp8KVCacheDataTypeE0ES0_Li16ELi128ELi256ELb0ELi7EEvPKT_PKT0_S8_ifPKiSA_SA_iPKfiiiPfSD_PS3_PT2_iSC_SC_
; %bb.0:
	s_load_dwordx2 s[8:9], s[0:1], 0x30
	s_mov_b32 s26, s3
	s_mov_b64 s[6:7], 0
	s_waitcnt lgkmcnt(0)
	s_cmp_lg_u64 s[8:9], 0
	s_cselect_b64 s[10:11], -1, 0
	s_and_b64 vcc, exec, s[10:11]
	s_cbranch_vccz .LBB674_7
; %bb.1:
	s_add_i32 s12, s2, 1
	s_mov_b32 s13, 0
	s_lshl_b64 s[14:15], s[12:13], 2
	s_add_u32 s14, s8, s14
	s_mov_b32 s3, s13
	s_addc_u32 s15, s9, s15
	s_lshl_b64 s[12:13], s[2:3], 2
	s_add_u32 s12, s8, s12
	s_addc_u32 s13, s9, s13
	s_load_dword s5, s[14:15], 0x0
	s_load_dword s16, s[12:13], 0x0
	s_waitcnt lgkmcnt(0)
	s_sub_i32 s5, s5, s16
	s_cmp_eq_u32 s5, 1
	s_cselect_b64 s[12:13], -1, 0
	s_andn2_b64 vcc, exec, s[6:7]
	s_cbranch_vccnz .LBB674_3
.LBB674_2:
	s_mov_b32 s3, 0
	s_mov_b64 s[12:13], -1
.LBB674_3:
	s_andn2_b64 vcc, exec, s[12:13]
	s_cbranch_vccnz .LBB674_18
; %bb.4:
	s_load_dwordx2 s[6:7], s[0:1], 0x28
	s_lshl_b64 s[16:17], s[2:3], 2
	s_waitcnt lgkmcnt(0)
	s_add_u32 s6, s6, s16
	s_addc_u32 s7, s7, s17
	s_load_dword s33, s[6:7], 0x0
	s_lshl_b32 s18, s26, 8
	s_waitcnt lgkmcnt(0)
	s_cmp_ge_i32 s18, s33
	s_cbranch_scc1 .LBB674_18
; %bb.5:
	s_load_dwordx2 s[6:7], s[0:1], 0x20
	s_load_dword s5, s[0:1], 0x38
	s_add_i32 s12, s33, 15
	s_ashr_i32 s13, s12, 31
	v_and_b32_e32 v1, 0xcf, v0
	s_lshr_b32 s13, s13, 28
	v_add_u32_e32 v1, s18, v1
	s_add_i32 s12, s12, s13
	v_ashrrev_i32_e32 v2, 31, v1
	s_ashr_i32 s19, s12, 4
	v_lshrrev_b32_e32 v4, 28, v2
	s_add_i32 s19, s19, -1
	s_waitcnt lgkmcnt(0)
	s_mul_i32 s12, s2, s5
	s_mov_b32 s13, 0
	v_add_u32_e32 v2, v1, v4
	s_lshl_b64 s[12:13], s[12:13], 2
	v_ashrrev_i32_e32 v2, 4, v2
	v_mov_b32_e32 v5, s19
	v_cmp_gt_i32_e32 vcc, s33, v1
	s_add_u32 s6, s6, s12
	s_addc_u32 s7, s7, s13
	v_cndmask_b32_e32 v2, v5, v2, vcc
	v_ashrrev_i32_e32 v3, 31, v2
	v_lshl_add_u64 v[6:7], v[2:3], 2, s[6:7]
	v_or_b32_e32 v2, 16, v1
	v_add_u32_e32 v3, v2, v4
	v_ashrrev_i32_e32 v3, 4, v3
	v_cmp_gt_i32_e32 vcc, s33, v2
	s_load_dwordx4 s[12:15], s[0:1], 0x8
	s_nop 0
	v_cndmask_b32_e32 v2, v5, v3, vcc
	v_ashrrev_i32_e32 v3, 31, v2
	v_lshl_add_u64 v[8:9], v[2:3], 2, s[6:7]
	v_or_b32_e32 v2, 32, v1
	v_add_u32_e32 v3, v2, v4
	v_ashrrev_i32_e32 v3, 4, v3
	v_cmp_gt_i32_e32 vcc, s33, v2
	v_or_b32_e32 v1, 48, v1
	s_nop 0
	v_cndmask_b32_e32 v2, v5, v3, vcc
	v_ashrrev_i32_e32 v3, 31, v2
	v_lshl_add_u64 v[10:11], v[2:3], 2, s[6:7]
	v_add_u32_e32 v2, v1, v4
	v_ashrrev_i32_e32 v2, 4, v2
	v_cmp_gt_i32_e32 vcc, s33, v1
	s_nop 1
	v_cndmask_b32_e32 v2, v5, v2, vcc
	v_ashrrev_i32_e32 v3, 31, v2
	v_lshl_add_u64 v[12:13], v[2:3], 2, s[6:7]
	global_load_dword v4, v[6:7], off
	global_load_dword v3, v[8:9], off
	;; [unrolled: 1-line block ×4, first 2 shown]
	s_andn2_b64 vcc, exec, s[10:11]
	s_cbranch_vccnz .LBB674_8
; %bb.6:
	s_add_u32 s8, s8, s16
	s_addc_u32 s9, s9, s17
	s_load_dword s5, s[8:9], 0x0
	s_branch .LBB674_9
.LBB674_7:
	s_mov_b64 s[12:13], 0
	s_branch .LBB674_2
.LBB674_8:
	s_mov_b32 s5, s2
.LBB674_9:
	s_load_dwordx4 s[8:11], s[0:1], 0x48
	v_lshrrev_b32_e32 v77, 6, v0
	v_bfe_u32 v86, v0, 4, 2
	v_and_b32_e32 v76, 15, v0
	v_lshl_or_b32 v1, v77, 2, v86
	v_lshlrev_b32_e32 v5, 3, v76
	v_and_b32_e32 v87, 63, v0
	s_mul_i32 s40, s4, 7
	v_cmp_gt_u32_e32 vcc, 7, v1
	v_lshlrev_b32_e32 v6, 1, v5
	scratch_store_dwordx2 off, v[6:7], off  ; 8-byte Folded Spill
	s_and_saveexec_b64 s[16:17], vcc
	s_cbranch_execz .LBB674_11
; %bb.10:
	scratch_load_dwordx2 v[8:9], off, off   ; 8-byte Folded Reload
	s_load_dwordx2 s[20:21], s[0:1], 0x0
	s_waitcnt lgkmcnt(0)
	s_ashr_i32 s11, s8, 31
	s_mul_hi_u32 s22, s5, s8
	s_mul_i32 s11, s5, s11
	s_add_i32 s23, s22, s11
	s_mul_i32 s22, s5, s8
	s_lshl_b64 s[22:23], s[22:23], 1
	s_add_u32 s20, s20, s22
	v_add_lshl_u32 v6, v1, s40, 7
	s_addc_u32 s21, s21, s23
	v_ashrrev_i32_e32 v7, 31, v6
	v_lshl_add_u64 v[6:7], v[6:7], 1, s[20:21]
	v_mov_b32_e32 v11, 0
	v_and_b32_e32 v5, 3, v0
	v_lshlrev_b32_e32 v1, 5, v1
	v_lshlrev_b32_e32 v5, 9, v5
	s_waitcnt vmcnt(0)
	v_mov_b32_e32 v10, v8
	v_lshl_add_u64 v[6:7], v[6:7], 0, v[10:11]
	scratch_store_dwordx2 off, v[8:9], off  ; 8-byte Folded Spill
	global_load_dwordx4 v[6:9], v[6:7], off
	v_lshlrev_b32_e32 v10, 9, v76
	v_and_b32_e32 v10, 0x1800, v10
	v_or3_b32 v1, v10, v5, v1
	s_waitcnt vmcnt(0)
	ds_write_b128 v1, v[6:9]
.LBB674_11:
	s_or_b64 exec, exec, s[16:17]
	s_waitcnt lgkmcnt(0)
	s_mul_i32 s4, s4, s10
	s_mov_b32 s5, 0
	s_lshl_b64 s[4:5], s[4:5], 1
	s_add_u32 s10, s12, s4
	v_lshlrev_b32_e32 v1, 4, v0
	s_addc_u32 s11, s13, s5
	v_and_b32_e32 v34, 0xf0, v1
	v_mov_b32_e32 v35, 0
	v_lshl_add_u64 v[30:31], s[10:11], 0, v[34:35]
	s_waitcnt vmcnt(4)
	v_mad_i64_i32 v[4:5], s[10:11], v4, s9, 0
	v_lshl_add_u64 v[4:5], v[4:5], 1, v[30:31]
	v_and_b32_e32 v34, 0x300, v1
	v_lshl_add_u64 v[32:33], v[4:5], 0, v[34:35]
	s_load_dword s27, s[0:1], 0x98
	s_load_dword s8, s[0:1], 0x1c
	s_waitcnt lgkmcnt(0)
	s_barrier
	global_load_dwordx4 v[6:9], v[32:33], off
	global_load_dwordx4 v[18:21], v[32:33], off offset:1024
	s_waitcnt vmcnt(5)
	v_mad_i64_i32 v[4:5], s[10:11], v3, s9, 0
	v_lshl_add_u64 v[4:5], v[4:5], 1, v[30:31]
	v_lshl_add_u64 v[36:37], v[4:5], 0, v[34:35]
	global_load_dwordx4 v[14:17], v[36:37], off
	global_load_dwordx4 v[22:25], v[36:37], off offset:1024
	s_waitcnt vmcnt(6)
	v_mad_i64_i32 v[2:3], s[10:11], v2, s9, 0
	v_lshl_add_u64 v[2:3], v[2:3], 1, v[30:31]
	v_lshl_add_u64 v[38:39], v[2:3], 0, v[34:35]
	global_load_dwordx4 v[26:29], v[38:39], off
	global_load_dwordx4 v[46:49], v[38:39], off offset:1024
	v_mul_lo_u16_e32 v2, 37, v76
	v_mov_b32_e32 v3, 7
	v_mul_lo_u16_sdwa v2, v2, v3 dst_sel:DWORD dst_unused:UNUSED_PAD src0_sel:BYTE_1 src1_sel:DWORD
	v_mov_b32_e32 v4, 5
	v_sub_u16_e32 v2, v76, v2
	v_lshlrev_b32_sdwa v2, v4, v2 dst_sel:DWORD dst_unused:UNUSED_PAD src0_sel:DWORD src1_sel:BYTE_0
	v_lshl_add_u32 v41, v86, 9, v2
	ds_read_b128 v[10:13], v41
	ds_read_b128 v[2:5], v41 offset:2048
	global_load_dwordx4 v[54:57], v[32:33], off offset:2048
	global_load_dwordx4 v[62:65], v[36:37], off offset:2048
	v_mov_b32_e32 v70, s19
	s_add_u32 s4, s14, s4
	s_addc_u32 s5, s15, s5
	s_mov_b32 s41, 0xff7fffff
	v_mov_b32_e32 v74, v86
	s_waitcnt vmcnt(7) lgkmcnt(1)
	v_mfma_f32_16x16x16_bf16 v[42:45], v[6:7], v[10:11], 0
	v_mfma_f32_16x16x16_bf16 v[6:9], v[8:9], v[12:13], v[42:45]
	s_nop 5
	global_load_dwordx4 v[42:45], v[38:39], off offset:2048
	s_waitcnt vmcnt(6)
	v_mfma_f32_16x16x16_bf16 v[50:53], v[14:15], v[10:11], 0
	s_waitcnt vmcnt(4)
	v_mfma_f32_16x16x16_bf16 v[58:61], v[26:27], v[10:11], 0
	v_mfma_f32_16x16x16_bf16 v[14:17], v[16:17], v[12:13], v[50:53]
	s_nop 3
	global_load_dwordx4 v[50:53], v[32:33], off offset:3072
	v_mfma_f32_16x16x16_bf16 v[26:29], v[28:29], v[12:13], v[58:61]
	v_mad_i64_i32 v[32:33], s[10:11], v40, s9, 0
	v_and_or_b32 v40, v0, 48, s18
	s_waitcnt lgkmcnt(0)
	v_mfma_f32_16x16x16_bf16 v[14:17], v[22:23], v[2:3], v[14:17]
	v_ashrrev_i32_e32 v58, 4, v40
	v_cmp_gt_i32_e32 vcc, s33, v40
	v_or_b32_e32 v66, 64, v40
	v_mfma_f32_16x16x16_bf16 v[6:9], v[18:19], v[2:3], v[6:9]
	v_cndmask_b32_e32 v18, v70, v58, vcc
	global_load_dwordx4 v[58:61], v[36:37], off offset:3072
	v_ashrrev_i32_e32 v22, 4, v66
	s_waitcnt vmcnt(5)
	v_mfma_f32_16x16x16_bf16 v[26:29], v[46:47], v[2:3], v[26:29]
	v_ashrrev_i32_e32 v19, 31, v18
	v_cmp_gt_i32_e32 vcc, s33, v66
	v_lshl_add_u64 v[18:19], v[18:19], 2, s[6:7]
	v_mfma_f32_16x16x16_bf16 v[14:17], v[24:25], v[4:5], v[14:17]
	v_cndmask_b32_e32 v36, v70, v22, vcc
	global_load_dwordx4 v[22:25], v[38:39], off offset:3072
	global_load_dword v82, v[18:19], off
	v_mfma_f32_16x16x16_bf16 v[6:9], v[20:21], v[4:5], v[6:9]
	v_ashrrev_i32_e32 v37, 31, v36
	ds_read_b128 v[66:69], v41 offset:4096
	v_or_b32_e32 v71, 0x80, v40
	v_mfma_f32_16x16x16_bf16 v[18:21], v[48:49], v[4:5], v[26:29]
	v_ashrrev_i32_e32 v73, 4, v71
	v_cmp_gt_i32_e32 vcc, s33, v71
	v_or_b32_e32 v72, 0xc0, v40
	v_lshl_add_u64 v[26:27], v[32:33], 1, v[30:31]
	v_lshl_add_u64 v[26:27], v[26:27], 0, v[34:35]
	;; [unrolled: 1-line block ×3, first 2 shown]
	global_load_dwordx4 v[46:49], v[26:27], off
	global_load_dword v36, v[28:29], off
	s_waitcnt vmcnt(8) lgkmcnt(0)
	v_mfma_f32_16x16x16_bf16 v[6:9], v[54:55], v[66:67], v[6:9]
	v_cndmask_b32_e32 v28, v70, v73, vcc
	v_ashrrev_i32_e32 v29, 31, v28
	v_ashrrev_i32_e32 v75, 4, v72
	v_mfma_f32_16x16x16_bf16 v[6:9], v[56:57], v[68:69], v[6:9]
	global_load_dwordx4 v[54:57], v[26:27], off offset:1024
	v_lshl_add_u64 v[28:29], v[28:29], 2, s[6:7]
	v_cmp_gt_i32_e32 vcc, s33, v72
	global_load_dword v84, v[28:29], off
	s_waitcnt vmcnt(9)
	v_mfma_f32_16x16x16_bf16 v[14:17], v[62:63], v[66:67], v[14:17]
	v_cndmask_b32_e32 v28, v70, v75, vcc
	v_ashrrev_i32_e32 v29, 31, v28
	v_lshl_add_u64 v[28:29], v[28:29], 2, s[6:7]
	v_mfma_f32_16x16x16_bf16 v[14:17], v[64:65], v[68:69], v[14:17]
	global_load_dword v64, v[28:29], off
	ds_read_b128 v[38:41], v41 offset:6144
	v_lshl_or_b32 v75, v77, 4, v76
	v_lshlrev_b32_e32 v34, 5, v75
	v_lshl_add_u64 v[62:63], s[4:5], 0, v[34:35]
	v_or_b32_e32 v34, 0x800, v34
	s_waitcnt vmcnt(9)
	v_mfma_f32_16x16x16_bf16 v[18:21], v[42:43], v[66:67], v[18:21]
	global_load_dwordx4 v[70:73], v[26:27], off offset:3072
	v_mfma_f32_16x16x16_bf16 v[18:21], v[44:45], v[68:69], v[18:21]
	global_load_dwordx4 v[42:45], v[26:27], off offset:2048
	s_waitcnt vmcnt(10) lgkmcnt(0)
	v_mfma_f32_16x16x16_bf16 v[6:9], v[50:51], v[38:39], v[6:9]
	v_mfma_f32_16x16x16_bf16 v[78:81], v[52:53], v[40:41], v[6:9]
	s_waitcnt vmcnt(9)
	v_mfma_f32_16x16x16_bf16 v[14:17], v[58:59], v[38:39], v[14:17]
	s_waitcnt vmcnt(7)
	s_nop 2
	v_mad_i64_i32 v[6:7], s[6:7], v82, s9, 0
	v_lshlrev_b64 v[82:83], 1, v[6:7]
	v_lshl_add_u64 v[6:7], v[62:63], 0, v[82:83]
	global_load_dwordx4 v[30:33], v[6:7], off
	global_load_dwordx4 v[26:29], v[6:7], off offset:16
	v_mfma_f32_16x16x16_bf16 v[6:9], v[22:23], v[38:39], v[18:21]
	v_mfma_f32_16x16x16_bf16 v[58:61], v[60:61], v[40:41], v[14:17]
	s_waitcnt vmcnt(7)
	s_nop 1
	v_mad_i64_i32 v[14:15], s[6:7], v36, s9, 0
	v_lshlrev_b64 v[36:37], 1, v[14:15]
	v_mfma_f32_16x16x16_bf16 v[88:91], v[24:25], v[40:41], v[6:9]
	s_nop 2
	v_lshl_add_u64 v[6:7], v[62:63], 0, v[36:37]
	global_load_dwordx4 v[22:25], v[6:7], off
	global_load_dwordx4 v[18:21], v[6:7], off offset:16
	v_mfma_f32_16x16x16_bf16 v[6:9], v[46:47], v[10:11], 0
	s_waitcnt vmcnt(7)
	v_mad_i64_i32 v[10:11], s[6:7], v84, s9, 0
	v_lshlrev_b64 v[50:51], 1, v[10:11]
	v_mfma_f32_16x16x16_bf16 v[6:9], v[48:49], v[12:13], v[6:9]
	v_lshl_add_u64 v[10:11], v[62:63], 0, v[50:51]
	v_pk_mul_f32 v[84:85], s[8:9], v[60:61] op_sel_hi:[0,1]
	global_load_dwordx4 v[14:17], v[10:11], off
	s_nop 0
	global_load_dwordx4 v[10:13], v[10:11], off offset:16
	v_mfma_f32_16x16x16_bf16 v[6:9], v[54:55], v[2:3], v[6:9]
	s_waitcnt vmcnt(8)
	v_mad_i64_i32 v[2:3], s[6:7], v64, s9, 0
	v_lshlrev_b64 v[52:53], 1, v[2:3]
	v_mfma_f32_16x16x16_bf16 v[46:49], v[56:57], v[4:5], v[6:9]
	v_lshl_add_u64 v[2:3], v[62:63], 0, v[52:53]
	v_pk_mul_f32 v[62:63], s[8:9], v[78:79] op_sel_hi:[0,1]
	v_lshl_add_u64 v[64:65], s[4:5], 0, v[34:35]
	v_lshl_add_u64 v[34:35], v[64:65], 0, v[82:83]
	v_pk_mul_f32 v[82:83], s[8:9], v[80:81] op_sel_hi:[0,1]
	v_pk_mul_f32 v[78:79], s[8:9], v[88:89] op_sel_hi:[0,1]
	;; [unrolled: 1-line block ×3, first 2 shown]
	global_load_dwordx4 v[6:9], v[2:3], off
	s_nop 0
	global_load_dwordx4 v[2:5], v[2:3], off offset:16
	v_lshl_add_u64 v[50:51], v[64:65], 0, v[50:51]
	s_waitcnt vmcnt(8)
	v_mfma_f32_16x16x16_bf16 v[46:49], v[42:43], v[66:67], v[46:49]
	v_mfma_f32_16x16x16_bf16 v[42:45], v[44:45], v[68:69], v[46:49]
	;; [unrolled: 1-line block ×3, first 2 shown]
	v_pk_mul_f32 v[70:71], s[8:9], v[58:59] op_sel_hi:[0,1]
	v_mfma_f32_16x16x16_bf16 v[38:41], v[72:73], v[40:41], v[42:45]
	s_nop 6
	v_pk_mul_f32 v[72:73], s[8:9], v[38:39] op_sel_hi:[0,1]
	v_and_b32_e32 v38, 0xc0, v0
	v_add_u32_e32 v38, s18, v38
	v_lshl_or_b32 v38, v86, 2, v38
	v_pk_mul_f32 v[66:67], s[8:9], v[40:41] op_sel_hi:[0,1]
	v_or_b32_e32 v41, 1, v38
	v_mov_b32_e32 v39, 0xff7fffff
	v_cmp_gt_i32_e64 s[28:29], s33, v38
	v_cmp_gt_i32_e64 s[30:31], s33, v41
	v_or_b32_e32 v42, 3, v38
	v_cndmask_b32_e64 v40, v39, v62, s[28:29]
	v_cndmask_b32_e64 v41, v39, v63, s[30:31]
	v_max3_f32 v40, v40, s41, v41
	v_or_b32_e32 v41, 2, v38
	v_cmp_gt_i32_e64 s[34:35], s33, v41
	v_cmp_gt_i32_e64 s[36:37], s33, v42
	s_nop 0
	v_cndmask_b32_e64 v41, v39, v82, s[34:35]
	v_cndmask_b32_e64 v42, v39, v83, s[36:37]
	v_max3_f32 v40, v40, v41, v42
	v_or_b32_e32 v41, 16, v38
	v_or_b32_e32 v42, 17, v38
	v_cmp_gt_i32_e64 s[22:23], s33, v41
	v_cmp_gt_i32_e64 s[24:25], s33, v42
	s_nop 0
	v_cndmask_b32_e64 v41, v39, v70, s[22:23]
	v_cndmask_b32_e64 v42, v39, v71, s[24:25]
	v_max3_f32 v40, v40, v41, v42
	v_or_b32_e32 v41, 18, v38
	;; [unrolled: 8-line block ×6, first 2 shown]
	v_or_b32_e32 v38, 51, v38
	v_cmp_gt_i32_e32 vcc, s33, v41
	v_cmp_gt_i32_e64 s[4:5], s33, v38
	s_nop 0
	v_cndmask_b32_e32 v41, v39, v66, vcc
	v_cndmask_b32_e64 v38, v39, v67, s[4:5]
	v_max3_f32 v54, v40, v41, v38
	v_mbcnt_lo_u32_b32 v38, -1, 0
	v_mbcnt_hi_u32_b32 v55, -1, v38
	v_and_b32_e32 v38, 64, v55
	v_add_u32_e32 v56, 64, v38
	v_xor_b32_e32 v38, 32, v55
	v_cmp_lt_i32_e64 s[38:39], v38, v56
	s_nop 1
	v_cndmask_b32_e64 v38, v55, v38, s[38:39]
	v_lshlrev_b32_e32 v89, 2, v38
	ds_bpermute_b32 v57, v89, v54
	global_load_dwordx4 v[46:49], v[34:35], off
	global_load_dwordx4 v[38:41], v[34:35], off offset:16
	v_lshl_add_u64 v[34:35], v[64:65], 0, v[36:37]
	global_load_dwordx4 v[42:45], v[34:35], off
	s_nop 0
	global_load_dwordx4 v[34:37], v[34:35], off offset:16
	s_waitcnt lgkmcnt(0)
	v_max_f32_e32 v57, v57, v57
	v_max_f32_e32 v68, v54, v57
	v_xor_b32_e32 v54, 16, v55
	v_cmp_lt_i32_e64 s[38:39], v54, v56
	s_nop 1
	v_cndmask_b32_e64 v54, v55, v54, s[38:39]
	v_lshlrev_b32_e32 v90, 2, v54
	ds_bpermute_b32 v69, v90, v68
	global_load_dwordx4 v[58:61], v[50:51], off
	global_load_dwordx4 v[54:57], v[50:51], off offset:16
	v_lshl_add_u64 v[50:51], v[64:65], 0, v[52:53]
	s_waitcnt lgkmcnt(0)
	v_max_f32_e32 v52, v69, v69
	v_max_f32_e32 v88, v68, v52
	v_sub_f32_e32 v52, v62, v88
	v_mul_f32_e32 v52, 0x3fb8aa3b, v52
	v_exp_f32_e32 v68, v52
	v_sub_f32_e32 v52, v63, v88
	v_mul_f32_e32 v52, 0x3fb8aa3b, v52
	v_exp_f32_e32 v69, v52
	global_load_dwordx4 v[62:65], v[50:51], off
	s_nop 0
	global_load_dwordx4 v[50:53], v[50:51], off offset:16
	v_sub_f32_e32 v82, v82, v88
	v_mul_f32_e32 v82, 0x3fb8aa3b, v82
	v_sub_f32_e32 v83, v83, v88
	v_exp_f32_e32 v82, v82
	v_mul_f32_e32 v83, 0x3fb8aa3b, v83
	v_sub_f32_e32 v70, v70, v88
	v_exp_f32_e32 v83, v83
	v_mul_f32_e32 v70, 0x3fb8aa3b, v70
	v_sub_f32_e32 v71, v71, v88
	v_cndmask_b32_e64 v68, 0, v68, s[28:29]
	v_exp_f32_e32 v70, v70
	v_mul_f32_e32 v71, 0x3fb8aa3b, v71
	v_sub_f32_e32 v84, v84, v88
	v_add_f32_e32 v91, 0, v68
	v_cndmask_b32_e64 v69, 0, v69, s[30:31]
	v_exp_f32_e32 v71, v71
	v_mul_f32_e32 v84, 0x3fb8aa3b, v84
	v_sub_f32_e32 v85, v85, v88
	v_add_f32_e32 v91, v91, v69
	;; [unrolled: 5-line block ×10, first 2 shown]
	v_cndmask_b32_e64 v80, 0, v80, s[10:11]
	v_exp_f32_e32 v66, v66
	v_mul_f32_e32 v67, 0x3fb8aa3b, v67
	v_add_f32_e32 v91, v91, v80
	v_cndmask_b32_e64 v81, 0, v81, s[12:13]
	v_exp_f32_e32 v67, v67
	v_add_f32_e32 v91, v91, v81
	v_cndmask_b32_e64 v72, 0, v72, s[6:7]
	v_add_f32_e32 v91, v91, v72
	v_cndmask_b32_e64 v73, 0, v73, s[8:9]
	v_add_f32_e32 v91, v91, v73
	v_cndmask_b32_e32 v66, 0, v66, vcc
	v_add_f32_e32 v91, v91, v66
	v_cndmask_b32_e64 v67, 0, v67, s[4:5]
	v_add_f32_e32 v91, v91, v67
	ds_bpermute_b32 v89, v89, v91
	v_cmp_gt_u32_e32 vcc, 16, v87
	s_waitcnt lgkmcnt(0)
	s_barrier
	v_add_f32_e32 v89, v91, v89
	ds_bpermute_b32 v90, v90, v89
	s_and_saveexec_b64 s[4:5], vcc
	s_cbranch_execz .LBB674_13
; %bb.12:
	s_waitcnt lgkmcnt(0)
	v_add_f32_e32 v87, v89, v90
	v_lshlrev_b32_e32 v75, 2, v75
	ds_write2st64_b32 v75, v88, v87 offset1:1
.LBB674_13:
	s_or_b64 exec, exec, s[4:5]
	v_lshlrev_b32_e32 v75, 2, v76
	s_load_dword s6, s[0:1], 0x94
	s_waitcnt lgkmcnt(0)
	s_barrier
	ds_read2_b32 v[88:89], v75 offset1:16
	ds_read2_b32 v[90:91], v75 offset0:32 offset1:48
	ds_read2_b32 v[92:93], v75 offset0:64 offset1:80
	;; [unrolled: 1-line block ×3, first 2 shown]
	s_movk_i32 s8, 0x7fff
	s_waitcnt lgkmcnt(3)
	v_max3_f32 v87, v88, s41, v89
	s_waitcnt lgkmcnt(2)
	v_max3_f32 v87, v87, v90, v91
	v_sub_f32_e32 v88, v88, v87
	v_mul_f32_e32 v88, 0x3fb8aa3b, v88
	v_exp_f32_e32 v1, v88
	v_sub_f32_e32 v88, v89, v87
	v_mul_f32_e32 v88, 0x3fb8aa3b, v88
	v_exp_f32_e32 v89, v88
	v_sub_f32_e32 v88, v90, v87
	v_mul_f32_e32 v88, 0x3fb8aa3b, v88
	v_sub_f32_e32 v75, v91, v87
	v_exp_f32_e32 v90, v88
	v_mul_f32_e32 v75, 0x3fb8aa3b, v75
	v_exp_f32_e32 v75, v75
	s_waitcnt lgkmcnt(1)
	v_fma_f32 v88, v1, v92, 0
	v_fmac_f32_e32 v88, v89, v93
	s_waitcnt lgkmcnt(0)
	v_fmac_f32_e32 v88, v90, v94
	v_fmac_f32_e32 v88, v75, v95
	v_add_f32_e32 v91, 0x358637bd, v88
	v_div_scale_f32 v92, s[4:5], v91, v91, 1.0
	v_rcp_f32_e32 v93, v92
	s_mov_b32 s9, 0x7060302
	s_barrier
	v_fma_f32 v94, -v92, v93, 1.0
	v_fmac_f32_e32 v93, v94, v93
	v_div_scale_f32 v94, vcc, 1.0, v91, 1.0
	v_mul_f32_e32 v95, v94, v93
	v_fma_f32 v86, -v92, v95, v94
	v_fmac_f32_e32 v95, v86, v93
	v_fma_f32 v86, -v92, v95, v94
	v_div_fmas_f32 v86, v86, v93, v95
	v_cmp_eq_u32_e32 vcc, 1, v77
	v_div_fixup_f32 v86, v86, v91, 1.0
	s_nop 0
	v_cndmask_b32_e32 v1, v1, v89, vcc
	v_cmp_eq_u32_e32 vcc, 2, v77
	s_mul_i32 s7, s27, 7
	s_nop 0
	v_cndmask_b32_e32 v1, v1, v90, vcc
	v_cmp_eq_u32_e32 vcc, 3, v77
	s_nop 1
	v_cndmask_b32_e32 v1, v1, v75, vcc
	v_mul_f32_e32 v90, v1, v86
	v_pk_mul_f32 v[68:69], v[90:91], v[68:69] op_sel_hi:[0,1]
	v_bfe_u32 v1, v69, 16, 1
	v_bfe_u32 v75, v68, 16, 1
	v_pk_mul_f32 v[82:83], v[90:91], v[82:83] op_sel_hi:[0,1]
	v_add3_u32 v68, v68, v75, s8
	v_add3_u32 v1, v69, v1, s8
	v_perm_b32 v92, v1, v68, s9
	v_bfe_u32 v1, v83, 16, 1
	v_bfe_u32 v68, v82, 16, 1
	v_add3_u32 v68, v82, v68, s8
	v_add3_u32 v1, v83, v1, s8
	v_perm_b32 v93, v1, v68, s9
	v_lshlrev_b32_e32 v1, 3, v74
	v_lshlrev_b32_e32 v68, 5, v76
	;; [unrolled: 1-line block ×3, first 2 shown]
	v_pk_mul_f32 v[70:71], v[90:91], v[70:71] op_sel_hi:[0,1]
	v_or3_b32 v75, v69, v68, v1
	v_bfe_u32 v1, v71, 16, 1
	v_bfe_u32 v69, v70, 16, 1
	v_pk_mul_f32 v[82:83], v[90:91], v[84:85] op_sel_hi:[0,1]
	v_add3_u32 v69, v70, v69, s8
	v_add3_u32 v1, v71, v1, s8
	v_perm_b32 v70, v1, v69, s9
	v_bfe_u32 v1, v83, 16, 1
	v_bfe_u32 v69, v82, 16, 1
	v_add3_u32 v69, v82, v69, s8
	v_add3_u32 v1, v83, v1, s8
	v_pk_mul_f32 v[78:79], v[90:91], v[78:79] op_sel_hi:[0,1]
	v_perm_b32 v71, v1, v69, s9
	v_bfe_u32 v1, v79, 16, 1
	v_bfe_u32 v69, v78, 16, 1
	ds_write2st64_b64 v75, v[92:93], v[70:71] offset1:1
	v_pk_mul_f32 v[70:71], v[90:91], v[80:81] op_sel_hi:[0,1]
	v_add3_u32 v69, v78, v69, s8
	v_add3_u32 v1, v79, v1, s8
	v_perm_b32 v78, v1, v69, s9
	v_bfe_u32 v1, v71, 16, 1
	v_bfe_u32 v69, v70, 16, 1
	v_add3_u32 v69, v70, v69, s8
	v_add3_u32 v1, v71, v1, s8
	v_pk_mul_f32 v[70:71], v[90:91], v[72:73] op_sel_hi:[0,1]
	v_perm_b32 v79, v1, v69, s9
	v_bfe_u32 v1, v71, 16, 1
	v_bfe_u32 v69, v70, 16, 1
	v_pk_mul_f32 v[66:67], v[90:91], v[66:67] op_sel_hi:[0,1]
	v_add3_u32 v69, v70, v69, s8
	v_add3_u32 v1, v71, v1, s8
	v_perm_b32 v70, v1, v69, s9
	v_bfe_u32 v1, v67, 16, 1
	v_bfe_u32 v69, v66, 16, 1
	v_add3_u32 v66, v66, v69, s8
	v_add3_u32 v1, v67, v1, s8
	v_perm_b32 v71, v1, v66, s9
	v_cmp_gt_u32_e32 vcc, 7, v0
	ds_write2st64_b64 v75, v[78:79], v[70:71] offset0:2 offset1:3
	s_and_saveexec_b64 s[4:5], vcc
	s_cbranch_execz .LBB674_15
; %bb.14:
	s_mov_b32 s41, 0
	v_mov_b32_e32 v77, 0
	v_lshl_add_u64 v[66:67], s[40:41], 0, v[76:77]
	v_mov_b32_e32 v1, s7
	v_mad_u64_u32 v[66:67], s[10:11], s2, v1, v[66:67]
	s_mul_i32 s3, s3, s7
	v_mov_b32_e32 v70, s26
	v_mov_b32_e32 v71, v77
	s_load_dwordx4 s[12:15], s[0:1], 0x58
	v_add_u32_e32 v1, s3, v67
	v_mad_u64_u32 v[66:67], s[10:11], v66, s6, v[70:71]
	v_mov_b32_e32 v70, v67
	v_mad_u64_u32 v[70:71], s[10:11], v1, s6, v[70:71]
	v_mov_b32_e32 v67, v70
	v_lshlrev_b64 v[66:67], 2, v[66:67]
	s_waitcnt lgkmcnt(0)
	v_lshl_add_u64 v[70:71], s[14:15], 0, v[66:67]
	v_lshl_add_u64 v[66:67], s[12:13], 0, v[66:67]
	global_store_dword v[70:71], v87, off
	global_store_dword v[66:67], v88, off
.LBB674_15:
	s_or_b64 exec, exec, s[4:5]
	v_lshl_or_b32 v1, v74, 9, v68
	s_waitcnt lgkmcnt(0)
	s_barrier
	ds_read_b128 v[70:73], v1
	ds_read_b128 v[66:69], v1 offset:16
	s_waitcnt vmcnt(15) lgkmcnt(1)
	v_mfma_f32_16x16x16_bf16 v[78:81], v[30:31], v[70:71], 0
	s_mov_b32 s3, 0
	v_cmp_gt_u32_e32 vcc, 64, v0
	v_mfma_f32_16x16x16_bf16 v[30:33], v[32:33], v[72:73], v[78:81]
	s_waitcnt vmcnt(14) lgkmcnt(0)
	v_mfma_f32_16x16x16_bf16 v[30:33], v[26:27], v[66:67], v[30:33]
	v_mfma_f32_16x16x16_bf16 v[26:29], v[28:29], v[68:69], v[30:33]
	s_nop 5
	ds_read_b128 v[30:33], v1 offset:2048
	ds_read_b128 v[78:81], v1 offset:2064
	s_waitcnt vmcnt(13) lgkmcnt(1)
	v_mfma_f32_16x16x16_bf16 v[26:29], v[22:23], v[30:31], v[26:29]
	v_mfma_f32_16x16x16_bf16 v[22:25], v[24:25], v[32:33], v[26:29]
	s_waitcnt vmcnt(12) lgkmcnt(0)
	v_mfma_f32_16x16x16_bf16 v[22:25], v[18:19], v[78:79], v[22:25]
	v_mfma_f32_16x16x16_bf16 v[18:21], v[20:21], v[80:81], v[22:25]
	s_nop 5
	ds_read_b128 v[22:25], v1 offset:4096
	ds_read_b128 v[26:29], v1 offset:4112
	s_waitcnt vmcnt(11) lgkmcnt(1)
	v_mfma_f32_16x16x16_bf16 v[18:21], v[14:15], v[22:23], v[18:21]
	v_mfma_f32_16x16x16_bf16 v[14:17], v[16:17], v[24:25], v[18:21]
	s_waitcnt vmcnt(10) lgkmcnt(0)
	v_mfma_f32_16x16x16_bf16 v[14:17], v[10:11], v[26:27], v[14:17]
	v_mfma_f32_16x16x16_bf16 v[10:13], v[12:13], v[28:29], v[14:17]
	s_nop 5
	ds_read_b128 v[14:17], v1 offset:6144
	ds_read_b128 v[18:21], v1 offset:6160
	s_waitcnt lgkmcnt(0)
	s_barrier
	s_waitcnt vmcnt(9)
	v_mfma_f32_16x16x16_bf16 v[10:13], v[6:7], v[14:15], v[10:13]
	v_mfma_f32_16x16x16_bf16 v[6:9], v[8:9], v[16:17], v[10:13]
	s_waitcnt vmcnt(8)
	v_mfma_f32_16x16x16_bf16 v[6:9], v[2:3], v[18:19], v[6:9]
	v_mfma_f32_16x16x16_bf16 v[2:5], v[4:5], v[20:21], v[6:9]
	;; [unrolled: 3-line block ×3, first 2 shown]
	s_nop 3
	v_bfe_u32 v1, v3, 16, 1
	v_bfe_u32 v10, v2, 16, 1
	v_add3_u32 v2, v2, v10, s8
	s_waitcnt vmcnt(6)
	v_mfma_f32_16x16x16_bf16 v[6:9], v[38:39], v[66:67], v[6:9]
	v_add3_u32 v1, v3, v1, s8
	v_perm_b32 v10, v1, v2, s9
	v_bfe_u32 v1, v5, 16, 1
	v_mfma_f32_16x16x16_bf16 v[6:9], v[40:41], v[68:69], v[6:9]
	v_bfe_u32 v2, v4, 16, 1
	v_add3_u32 v2, v4, v2, s8
	v_add3_u32 v1, v5, v1, s8
	s_waitcnt vmcnt(5)
	v_mfma_f32_16x16x16_bf16 v[6:9], v[42:43], v[30:31], v[6:9]
	v_perm_b32 v11, v1, v2, s9
	v_mfma_f32_16x16x16_bf16 v[6:9], v[44:45], v[32:33], v[6:9]
	s_waitcnt vmcnt(4)
	v_mfma_f32_16x16x16_bf16 v[6:9], v[34:35], v[78:79], v[6:9]
	v_mfma_f32_16x16x16_bf16 v[6:9], v[36:37], v[80:81], v[6:9]
	s_waitcnt vmcnt(3)
	v_mfma_f32_16x16x16_bf16 v[6:9], v[58:59], v[22:23], v[6:9]
	;; [unrolled: 3-line block ×5, first 2 shown]
	v_mfma_f32_16x16x16_bf16 v[2:5], v[52:53], v[20:21], v[6:9]
	s_nop 6
	v_bfe_u32 v1, v3, 16, 1
	v_bfe_u32 v6, v2, 16, 1
	v_add3_u32 v2, v2, v6, s8
	v_add3_u32 v1, v3, v1, s8
	v_perm_b32 v2, v1, v2, s9
	v_bfe_u32 v1, v5, 16, 1
	v_bfe_u32 v3, v4, 16, 1
	v_add3_u32 v3, v4, v3, s8
	v_add3_u32 v1, v5, v1, s8
	v_perm_b32 v3, v1, v3, s9
	ds_write2st64_b64 v75, v[10:11], v[2:3] offset1:1
	s_waitcnt lgkmcnt(0)
	s_barrier
	s_and_saveexec_b64 s[4:5], vcc
	s_cbranch_execz .LBB674_18
; %bb.16:
	v_lshlrev_b32_e32 v3, 6, v76
	v_lshlrev_b32_e32 v2, 4, v0
	v_lshl_or_b32 v0, v0, 10, v3
	v_lshlrev_b32_e32 v1, 5, v74
	v_and_b32_e32 v2, 16, v2
	v_and_b32_e32 v0, 0x1a00, v0
	v_or3_b32 v2, v0, v1, v2
	scratch_load_dwordx2 v[0:1], off, off   ; 8-byte Folded Reload
	s_load_dwordx2 s[4:5], s[0:1], 0x68
	s_lshl_b32 s0, s6, 7
	s_mul_i32 s1, s7, s2
	s_mul_hi_u32 s7, s1, s0
	s_mul_i32 s6, s1, s0
	s_lshl_b64 s[6:7], s[6:7], 1
	s_waitcnt lgkmcnt(0)
	s_add_u32 s1, s4, s6
	s_addc_u32 s4, s5, s7
	s_lshl_b32 s2, s26, 7
	s_lshl_b64 s[2:3], s[2:3], 1
	ds_read_b128 v[4:7], v2
	s_add_u32 s2, s1, s2
	s_addc_u32 s3, s4, s3
	s_waitcnt vmcnt(0)
	v_mov_b32_e32 v1, 0
	v_add_u32_e32 v3, s40, v74
	v_cmp_ne_u32_e32 vcc, 3, v74
	v_lshl_add_u64 v[0:1], s[2:3], 0, v[0:1]
	v_mad_u64_u32 v[8:9], s[2:3], v3, s0, 0
	v_lshl_add_u64 v[8:9], v[8:9], 1, v[0:1]
	s_waitcnt lgkmcnt(0)
	global_store_dwordx4 v[8:9], v[4:7], off
	s_and_b64 exec, exec, vcc
	s_cbranch_execz .LBB674_18
; %bb.17:
	ds_read_b128 v[2:5], v2 offset:128
	v_add3_u32 v6, s40, v74, 4
	v_mad_u64_u32 v[6:7], s[0:1], v6, s0, 0
	v_lshl_add_u64 v[0:1], v[6:7], 1, v[0:1]
	s_waitcnt lgkmcnt(0)
	global_store_dwordx4 v[0:1], v[2:5], off
.LBB674_18:
	s_endpgm
	.section	.rodata,"a",@progbits
	.p2align	6, 0x0
	.amdhsa_kernel _Z39paged_attention_ll4mi_QKV_mfma16_kernelI14__hip_bfloat16S0_LN4vllm18Fp8KVCacheDataTypeE0ES0_Li16ELi128ELi256ELb0ELi7EEvPKT_PKT0_S8_ifPKiSA_SA_iPKfiiiPfSD_PS3_PT2_iSC_SC_
		.amdhsa_group_segment_fixed_size 8192
		.amdhsa_private_segment_fixed_size 12
		.amdhsa_kernarg_size 400
		.amdhsa_user_sgpr_count 2
		.amdhsa_user_sgpr_dispatch_ptr 0
		.amdhsa_user_sgpr_queue_ptr 0
		.amdhsa_user_sgpr_kernarg_segment_ptr 1
		.amdhsa_user_sgpr_dispatch_id 0
		.amdhsa_user_sgpr_kernarg_preload_length 0
		.amdhsa_user_sgpr_kernarg_preload_offset 0
		.amdhsa_user_sgpr_private_segment_size 0
		.amdhsa_uses_dynamic_stack 0
		.amdhsa_enable_private_segment 1
		.amdhsa_system_sgpr_workgroup_id_x 1
		.amdhsa_system_sgpr_workgroup_id_y 1
		.amdhsa_system_sgpr_workgroup_id_z 1
		.amdhsa_system_sgpr_workgroup_info 0
		.amdhsa_system_vgpr_workitem_id 0
		.amdhsa_next_free_vgpr 96
		.amdhsa_next_free_sgpr 42
		.amdhsa_accum_offset 96
		.amdhsa_reserve_vcc 1
		.amdhsa_float_round_mode_32 0
		.amdhsa_float_round_mode_16_64 0
		.amdhsa_float_denorm_mode_32 3
		.amdhsa_float_denorm_mode_16_64 3
		.amdhsa_dx10_clamp 1
		.amdhsa_ieee_mode 1
		.amdhsa_fp16_overflow 0
		.amdhsa_tg_split 0
		.amdhsa_exception_fp_ieee_invalid_op 0
		.amdhsa_exception_fp_denorm_src 0
		.amdhsa_exception_fp_ieee_div_zero 0
		.amdhsa_exception_fp_ieee_overflow 0
		.amdhsa_exception_fp_ieee_underflow 0
		.amdhsa_exception_fp_ieee_inexact 0
		.amdhsa_exception_int_div_zero 0
	.end_amdhsa_kernel
	.section	.text._Z39paged_attention_ll4mi_QKV_mfma16_kernelI14__hip_bfloat16S0_LN4vllm18Fp8KVCacheDataTypeE0ES0_Li16ELi128ELi256ELb0ELi7EEvPKT_PKT0_S8_ifPKiSA_SA_iPKfiiiPfSD_PS3_PT2_iSC_SC_,"axG",@progbits,_Z39paged_attention_ll4mi_QKV_mfma16_kernelI14__hip_bfloat16S0_LN4vllm18Fp8KVCacheDataTypeE0ES0_Li16ELi128ELi256ELb0ELi7EEvPKT_PKT0_S8_ifPKiSA_SA_iPKfiiiPfSD_PS3_PT2_iSC_SC_,comdat
.Lfunc_end674:
	.size	_Z39paged_attention_ll4mi_QKV_mfma16_kernelI14__hip_bfloat16S0_LN4vllm18Fp8KVCacheDataTypeE0ES0_Li16ELi128ELi256ELb0ELi7EEvPKT_PKT0_S8_ifPKiSA_SA_iPKfiiiPfSD_PS3_PT2_iSC_SC_, .Lfunc_end674-_Z39paged_attention_ll4mi_QKV_mfma16_kernelI14__hip_bfloat16S0_LN4vllm18Fp8KVCacheDataTypeE0ES0_Li16ELi128ELi256ELb0ELi7EEvPKT_PKT0_S8_ifPKiSA_SA_iPKfiiiPfSD_PS3_PT2_iSC_SC_
                                        ; -- End function
	.section	.AMDGPU.csdata,"",@progbits
; Kernel info:
; codeLenInByte = 4744
; NumSgprs: 48
; NumVgprs: 96
; NumAgprs: 0
; TotalNumVgprs: 96
; ScratchSize: 12
; MemoryBound: 0
; FloatMode: 240
; IeeeMode: 1
; LDSByteSize: 8192 bytes/workgroup (compile time only)
; SGPRBlocks: 5
; VGPRBlocks: 11
; NumSGPRsForWavesPerEU: 48
; NumVGPRsForWavesPerEU: 96
; AccumOffset: 96
; Occupancy: 5
; WaveLimiterHint : 1
; COMPUTE_PGM_RSRC2:SCRATCH_EN: 1
; COMPUTE_PGM_RSRC2:USER_SGPR: 2
; COMPUTE_PGM_RSRC2:TRAP_HANDLER: 0
; COMPUTE_PGM_RSRC2:TGID_X_EN: 1
; COMPUTE_PGM_RSRC2:TGID_Y_EN: 1
; COMPUTE_PGM_RSRC2:TGID_Z_EN: 1
; COMPUTE_PGM_RSRC2:TIDIG_COMP_CNT: 0
; COMPUTE_PGM_RSRC3_GFX90A:ACCUM_OFFSET: 23
; COMPUTE_PGM_RSRC3_GFX90A:TG_SPLIT: 0
	.section	.text._Z39paged_attention_ll4mi_QKV_mfma16_kernelI14__hip_bfloat16S0_LN4vllm18Fp8KVCacheDataTypeE0ES0_Li16ELi128ELi256ELb0ELi8EEvPKT_PKT0_S8_ifPKiSA_SA_iPKfiiiPfSD_PS3_PT2_iSC_SC_,"axG",@progbits,_Z39paged_attention_ll4mi_QKV_mfma16_kernelI14__hip_bfloat16S0_LN4vllm18Fp8KVCacheDataTypeE0ES0_Li16ELi128ELi256ELb0ELi8EEvPKT_PKT0_S8_ifPKiSA_SA_iPKfiiiPfSD_PS3_PT2_iSC_SC_,comdat
	.protected	_Z39paged_attention_ll4mi_QKV_mfma16_kernelI14__hip_bfloat16S0_LN4vllm18Fp8KVCacheDataTypeE0ES0_Li16ELi128ELi256ELb0ELi8EEvPKT_PKT0_S8_ifPKiSA_SA_iPKfiiiPfSD_PS3_PT2_iSC_SC_ ; -- Begin function _Z39paged_attention_ll4mi_QKV_mfma16_kernelI14__hip_bfloat16S0_LN4vllm18Fp8KVCacheDataTypeE0ES0_Li16ELi128ELi256ELb0ELi8EEvPKT_PKT0_S8_ifPKiSA_SA_iPKfiiiPfSD_PS3_PT2_iSC_SC_
	.globl	_Z39paged_attention_ll4mi_QKV_mfma16_kernelI14__hip_bfloat16S0_LN4vllm18Fp8KVCacheDataTypeE0ES0_Li16ELi128ELi256ELb0ELi8EEvPKT_PKT0_S8_ifPKiSA_SA_iPKfiiiPfSD_PS3_PT2_iSC_SC_
	.p2align	8
	.type	_Z39paged_attention_ll4mi_QKV_mfma16_kernelI14__hip_bfloat16S0_LN4vllm18Fp8KVCacheDataTypeE0ES0_Li16ELi128ELi256ELb0ELi8EEvPKT_PKT0_S8_ifPKiSA_SA_iPKfiiiPfSD_PS3_PT2_iSC_SC_,@function
_Z39paged_attention_ll4mi_QKV_mfma16_kernelI14__hip_bfloat16S0_LN4vllm18Fp8KVCacheDataTypeE0ES0_Li16ELi128ELi256ELb0ELi8EEvPKT_PKT0_S8_ifPKiSA_SA_iPKfiiiPfSD_PS3_PT2_iSC_SC_: ; @_Z39paged_attention_ll4mi_QKV_mfma16_kernelI14__hip_bfloat16S0_LN4vllm18Fp8KVCacheDataTypeE0ES0_Li16ELi128ELi256ELb0ELi8EEvPKT_PKT0_S8_ifPKiSA_SA_iPKfiiiPfSD_PS3_PT2_iSC_SC_
; %bb.0:
	s_load_dwordx2 s[8:9], s[0:1], 0x30
	s_mov_b32 s26, s3
	s_mov_b64 s[6:7], 0
	s_waitcnt lgkmcnt(0)
	s_cmp_lg_u64 s[8:9], 0
	s_cselect_b64 s[10:11], -1, 0
	s_and_b64 vcc, exec, s[10:11]
	s_cbranch_vccz .LBB675_7
; %bb.1:
	s_add_i32 s12, s2, 1
	s_mov_b32 s13, 0
	s_lshl_b64 s[14:15], s[12:13], 2
	s_add_u32 s14, s8, s14
	s_mov_b32 s3, s13
	s_addc_u32 s15, s9, s15
	s_lshl_b64 s[12:13], s[2:3], 2
	s_add_u32 s12, s8, s12
	s_addc_u32 s13, s9, s13
	s_load_dword s5, s[14:15], 0x0
	s_load_dword s16, s[12:13], 0x0
	s_waitcnt lgkmcnt(0)
	s_sub_i32 s5, s5, s16
	s_cmp_eq_u32 s5, 1
	s_cselect_b64 s[12:13], -1, 0
	s_andn2_b64 vcc, exec, s[6:7]
	s_cbranch_vccnz .LBB675_3
.LBB675_2:
	s_mov_b32 s3, 0
	s_mov_b64 s[12:13], -1
.LBB675_3:
	s_andn2_b64 vcc, exec, s[12:13]
	s_cbranch_vccnz .LBB675_17
; %bb.4:
	s_load_dwordx2 s[6:7], s[0:1], 0x28
	s_lshl_b64 s[16:17], s[2:3], 2
	s_waitcnt lgkmcnt(0)
	s_add_u32 s6, s6, s16
	s_addc_u32 s7, s7, s17
	s_load_dword s38, s[6:7], 0x0
	s_lshl_b32 s18, s26, 8
	s_waitcnt lgkmcnt(0)
	s_cmp_ge_i32 s18, s38
	s_cbranch_scc1 .LBB675_17
; %bb.5:
	s_load_dwordx2 s[6:7], s[0:1], 0x20
	s_load_dword s5, s[0:1], 0x38
	s_add_i32 s12, s38, 15
	s_ashr_i32 s13, s12, 31
	v_and_b32_e32 v1, 0xcf, v0
	s_lshr_b32 s13, s13, 28
	v_add_u32_e32 v1, s18, v1
	s_add_i32 s12, s12, s13
	v_ashrrev_i32_e32 v2, 31, v1
	s_ashr_i32 s19, s12, 4
	v_lshrrev_b32_e32 v4, 28, v2
	s_add_i32 s19, s19, -1
	s_waitcnt lgkmcnt(0)
	s_mul_i32 s12, s2, s5
	s_mov_b32 s13, 0
	v_add_u32_e32 v2, v1, v4
	s_lshl_b64 s[12:13], s[12:13], 2
	v_ashrrev_i32_e32 v2, 4, v2
	v_mov_b32_e32 v5, s19
	v_cmp_gt_i32_e32 vcc, s38, v1
	s_add_u32 s6, s6, s12
	s_addc_u32 s7, s7, s13
	v_cndmask_b32_e32 v2, v5, v2, vcc
	v_ashrrev_i32_e32 v3, 31, v2
	v_lshl_add_u64 v[6:7], v[2:3], 2, s[6:7]
	v_or_b32_e32 v2, 16, v1
	v_add_u32_e32 v3, v2, v4
	v_ashrrev_i32_e32 v3, 4, v3
	v_cmp_gt_i32_e32 vcc, s38, v2
	s_load_dwordx4 s[12:15], s[0:1], 0x8
	s_nop 0
	v_cndmask_b32_e32 v2, v5, v3, vcc
	v_ashrrev_i32_e32 v3, 31, v2
	v_lshl_add_u64 v[8:9], v[2:3], 2, s[6:7]
	v_or_b32_e32 v2, 32, v1
	v_add_u32_e32 v3, v2, v4
	v_ashrrev_i32_e32 v3, 4, v3
	v_cmp_gt_i32_e32 vcc, s38, v2
	v_or_b32_e32 v1, 48, v1
	s_nop 0
	v_cndmask_b32_e32 v2, v5, v3, vcc
	v_ashrrev_i32_e32 v3, 31, v2
	v_lshl_add_u64 v[10:11], v[2:3], 2, s[6:7]
	v_add_u32_e32 v2, v1, v4
	v_ashrrev_i32_e32 v2, 4, v2
	v_cmp_gt_i32_e32 vcc, s38, v1
	s_nop 1
	v_cndmask_b32_e32 v2, v5, v2, vcc
	v_ashrrev_i32_e32 v3, 31, v2
	v_lshl_add_u64 v[12:13], v[2:3], 2, s[6:7]
	global_load_dword v4, v[6:7], off
	global_load_dword v3, v[8:9], off
	;; [unrolled: 1-line block ×4, first 2 shown]
	s_andn2_b64 vcc, exec, s[10:11]
	s_cbranch_vccnz .LBB675_8
; %bb.6:
	s_add_u32 s8, s8, s16
	s_addc_u32 s9, s9, s17
	s_load_dword s5, s[8:9], 0x0
	s_branch .LBB675_9
.LBB675_7:
	s_mov_b64 s[12:13], 0
	s_branch .LBB675_2
.LBB675_8:
	s_mov_b32 s5, s2
.LBB675_9:
	s_load_dwordx4 s[8:11], s[0:1], 0x48
	v_and_b32_e32 v84, 15, v0
	v_lshlrev_b32_e32 v5, 3, v84
	s_waitcnt lgkmcnt(0)
	s_movk_i32 s11, 0x80
	v_lshrrev_b32_e32 v85, 6, v0
	v_and_b32_e32 v86, 63, v0
	v_bfe_u32 v1, v0, 4, 2
	s_lshl_b32 s27, s4, 3
	v_cmp_gt_u32_e32 vcc, s11, v0
	v_lshlrev_b32_e32 v74, 1, v5
	s_and_saveexec_b64 s[16:17], vcc
	s_cbranch_execz .LBB675_11
; %bb.10:
	s_load_dwordx2 s[20:21], s[0:1], 0x0
	s_ashr_i32 s11, s8, 31
	s_mul_hi_u32 s22, s5, s8
	s_mul_i32 s11, s5, s11
	s_add_i32 s23, s22, s11
	s_mul_i32 s22, s5, s8
	v_lshl_or_b32 v5, v85, 2, v1
	s_lshl_b64 s[22:23], s[22:23], 1
	s_waitcnt lgkmcnt(0)
	s_add_u32 s20, s20, s22
	v_add_lshl_u32 v6, v5, s27, 7
	s_addc_u32 s21, s21, s23
	v_ashrrev_i32_e32 v7, 31, v6
	v_lshl_add_u64 v[6:7], v[6:7], 1, s[20:21]
	v_mov_b32_e32 v75, 0
	v_lshl_add_u64 v[6:7], v[6:7], 0, v[74:75]
	global_load_dwordx4 v[6:9], v[6:7], off
	v_and_b32_e32 v10, 3, v0
	v_lshlrev_b32_e32 v11, 9, v84
	v_lshlrev_b32_e32 v5, 5, v5
	;; [unrolled: 1-line block ×3, first 2 shown]
	v_and_b32_e32 v11, 0x1800, v11
	v_or3_b32 v5, v11, v10, v5
	s_waitcnt vmcnt(0)
	ds_write_b128 v5, v[6:9]
.LBB675_11:
	s_or_b64 exec, exec, s[16:17]
	s_mul_i32 s4, s4, s10
	s_mov_b32 s5, 0
	s_lshl_b64 s[4:5], s[4:5], 1
	s_add_u32 s10, s12, s4
	v_lshlrev_b32_e32 v6, 4, v0
	s_addc_u32 s11, s13, s5
	v_and_b32_e32 v34, 0xf0, v6
	v_mov_b32_e32 v35, 0
	v_lshl_add_u64 v[30:31], s[10:11], 0, v[34:35]
	s_waitcnt vmcnt(3)
	v_mad_i64_i32 v[4:5], s[10:11], v4, s9, 0
	v_lshl_add_u64 v[4:5], v[4:5], 1, v[30:31]
	v_and_b32_e32 v34, 0x300, v6
	v_lshl_add_u64 v[32:33], v[4:5], 0, v[34:35]
	s_load_dword s33, s[0:1], 0x98
	s_load_dword s8, s[0:1], 0x1c
	s_waitcnt lgkmcnt(0)
	s_barrier
	global_load_dwordx4 v[10:13], v[32:33], off
	global_load_dwordx4 v[22:25], v[32:33], off offset:1024
	s_waitcnt vmcnt(4)
	v_mad_i64_i32 v[4:5], s[10:11], v3, s9, 0
	s_waitcnt vmcnt(3)
	v_mad_i64_i32 v[2:3], s[10:11], v2, s9, 0
	v_lshl_add_u64 v[4:5], v[4:5], 1, v[30:31]
	v_lshl_add_u64 v[2:3], v[2:3], 1, v[30:31]
	;; [unrolled: 1-line block ×4, first 2 shown]
	global_load_dwordx4 v[14:17], v[36:37], off
	global_load_dwordx4 v[18:21], v[36:37], off offset:1024
	global_load_dwordx4 v[26:29], v[38:39], off
	global_load_dwordx4 v[46:49], v[38:39], off offset:1024
	v_and_b32_e32 v2, 7, v0
	v_lshlrev_b32_e32 v2, 5, v2
	v_lshl_or_b32 v41, v1, 9, v2
	ds_read_b128 v[6:9], v41
	ds_read_b128 v[2:5], v41 offset:2048
	global_load_dwordx4 v[54:57], v[32:33], off offset:2048
	global_load_dwordx4 v[62:65], v[36:37], off offset:2048
	v_mov_b32_e32 v76, s19
	v_lshl_or_b32 v87, v85, 4, v84
	s_add_u32 s4, s14, s4
	s_addc_u32 s5, s15, s5
	s_mov_b32 s40, 0xff7fffff
	s_waitcnt vmcnt(7) lgkmcnt(1)
	v_mfma_f32_16x16x16_bf16 v[42:45], v[10:11], v[6:7], 0
	v_mfma_f32_16x16x16_bf16 v[10:13], v[12:13], v[8:9], v[42:45]
	s_nop 5
	global_load_dwordx4 v[42:45], v[38:39], off offset:2048
	s_waitcnt vmcnt(6)
	v_mfma_f32_16x16x16_bf16 v[50:53], v[14:15], v[6:7], 0
	s_waitcnt vmcnt(4)
	v_mfma_f32_16x16x16_bf16 v[58:61], v[26:27], v[6:7], 0
	v_mfma_f32_16x16x16_bf16 v[14:17], v[16:17], v[8:9], v[50:53]
	;; [unrolled: 1-line block ×3, first 2 shown]
	s_nop 2
	global_load_dwordx4 v[50:53], v[32:33], off offset:3072
	v_mad_i64_i32 v[32:33], s[10:11], v40, s9, 0
	global_load_dwordx4 v[58:61], v[36:37], off offset:3072
	v_and_or_b32 v40, v0, 48, s18
	s_waitcnt lgkmcnt(0)
	v_mfma_f32_16x16x16_bf16 v[10:13], v[22:23], v[2:3], v[10:13]
	v_ashrrev_i32_e32 v22, 4, v40
	v_cmp_gt_i32_e32 vcc, s38, v40
	v_or_b32_e32 v77, 64, v40
	v_mfma_f32_16x16x16_bf16 v[14:17], v[18:19], v[2:3], v[14:17]
	v_cndmask_b32_e32 v18, v76, v22, vcc
	v_or_b32_e32 v78, 0x80, v40
	v_or_b32_e32 v79, 0xc0, v40
	s_waitcnt vmcnt(5)
	v_mfma_f32_16x16x16_bf16 v[26:29], v[46:47], v[2:3], v[26:29]
	v_ashrrev_i32_e32 v40, 4, v77
	v_ashrrev_i32_e32 v19, 31, v18
	v_cmp_gt_i32_e32 vcc, s38, v77
	v_ashrrev_i32_e32 v46, 4, v78
	v_lshl_add_u64 v[18:19], v[18:19], 2, s[6:7]
	v_cndmask_b32_e32 v36, v76, v40, vcc
	v_cmp_gt_i32_e32 vcc, s38, v78
	ds_read_b128 v[66:69], v41 offset:4096
	ds_read_b128 v[70:73], v41 offset:6144
	v_mfma_f32_16x16x16_bf16 v[14:17], v[20:21], v[4:5], v[14:17]
	global_load_dword v77, v[18:19], off
	v_ashrrev_i32_e32 v37, 31, v36
	v_mfma_f32_16x16x16_bf16 v[18:21], v[48:49], v[4:5], v[26:29]
	s_nop 2
	v_cndmask_b32_e32 v28, v76, v46, vcc
	v_mfma_f32_16x16x16_bf16 v[10:13], v[24:25], v[4:5], v[10:13]
	global_load_dwordx4 v[22:25], v[38:39], off offset:3072
	v_ashrrev_i32_e32 v29, 31, v28
	v_lshl_add_u64 v[26:27], v[36:37], 2, s[6:7]
	v_lshl_add_u64 v[28:29], v[28:29], 2, s[6:7]
	global_load_dword v36, v[26:27], off
	global_load_dword v82, v[28:29], off
	v_lshl_add_u64 v[26:27], v[32:33], 1, v[30:31]
	v_lshl_add_u64 v[26:27], v[26:27], 0, v[34:35]
	global_load_dwordx4 v[38:41], v[26:27], off
	global_load_dwordx4 v[46:49], v[26:27], off offset:1024
	s_waitcnt vmcnt(10) lgkmcnt(1)
	v_mfma_f32_16x16x16_bf16 v[10:13], v[54:55], v[66:67], v[10:13]
	v_ashrrev_i32_e32 v37, 4, v79
	v_cmp_gt_i32_e32 vcc, s38, v79
	v_lshlrev_b32_e32 v34, 5, v87
	v_mfma_f32_16x16x16_bf16 v[10:13], v[56:57], v[68:69], v[10:13]
	v_cndmask_b32_e32 v28, v76, v37, vcc
	v_ashrrev_i32_e32 v29, 31, v28
	v_lshl_add_u64 v[28:29], v[28:29], 2, s[6:7]
	s_waitcnt vmcnt(9)
	v_mfma_f32_16x16x16_bf16 v[14:17], v[62:63], v[66:67], v[14:17]
	v_lshl_add_u64 v[62:63], s[4:5], 0, v[34:35]
	v_or_b32_e32 v34, 0x800, v34
	global_load_dwordx4 v[54:57], v[26:27], off offset:3072
	s_waitcnt vmcnt(9)
	v_mfma_f32_16x16x16_bf16 v[18:21], v[42:43], v[66:67], v[18:21]
	v_mfma_f32_16x16x16_bf16 v[18:21], v[44:45], v[68:69], v[18:21]
	global_load_dwordx4 v[42:45], v[26:27], off offset:2048
	v_mfma_f32_16x16x16_bf16 v[14:17], v[64:65], v[68:69], v[14:17]
	global_load_dword v64, v[28:29], off
	s_waitcnt vmcnt(10) lgkmcnt(0)
	v_mfma_f32_16x16x16_bf16 v[10:13], v[50:51], v[70:71], v[10:13]
	s_waitcnt vmcnt(7)
	v_mfma_f32_16x16x16_bf16 v[18:21], v[22:23], v[70:71], v[18:21]
	v_mad_i64_i32 v[22:23], s[6:7], v77, s9, 0
	v_lshlrev_b64 v[80:81], 1, v[22:23]
	v_mfma_f32_16x16x16_bf16 v[76:79], v[52:53], v[72:73], v[10:13]
	s_waitcnt vmcnt(6)
	s_nop 1
	v_mad_i64_i32 v[10:11], s[6:7], v36, s9, 0
	v_lshlrev_b64 v[36:37], 1, v[10:11]
	v_lshl_add_u64 v[12:13], v[62:63], 0, v[80:81]
	v_lshl_add_u64 v[10:11], v[62:63], 0, v[36:37]
	global_load_dwordx4 v[30:33], v[12:13], off
	global_load_dwordx4 v[26:29], v[12:13], off offset:16
	v_mfma_f32_16x16x16_bf16 v[88:91], v[24:25], v[72:73], v[18:21]
	global_load_dwordx4 v[22:25], v[10:11], off
	s_nop 1
	global_load_dwordx4 v[18:21], v[10:11], off offset:16
	s_waitcnt vmcnt(8)
	v_mfma_f32_16x16x16_bf16 v[10:13], v[38:39], v[6:7], 0
	v_mad_i64_i32 v[6:7], s[6:7], v82, s9, 0
	v_lshlrev_b64 v[50:51], 1, v[6:7]
	v_mfma_f32_16x16x16_bf16 v[6:9], v[40:41], v[8:9], v[10:13]
	s_waitcnt vmcnt(7)
	v_mfma_f32_16x16x16_bf16 v[6:9], v[46:47], v[2:3], v[6:9]
	s_nop 1
	v_lshl_add_u64 v[10:11], v[62:63], 0, v[50:51]
	s_waitcnt vmcnt(4)
	v_mad_i64_i32 v[2:3], s[6:7], v64, s9, 0
	v_mfma_f32_16x16x16_bf16 v[38:41], v[48:49], v[4:5], v[6:9]
	v_lshlrev_b64 v[52:53], 1, v[2:3]
	v_lshl_add_u64 v[2:3], v[62:63], 0, v[52:53]
	v_pk_mul_f32 v[62:63], s[8:9], v[76:77] op_sel_hi:[0,1]
	v_mfma_f32_16x16x16_bf16 v[38:41], v[42:43], v[66:67], v[38:41]
	v_lshl_add_u64 v[64:65], s[4:5], 0, v[34:35]
	v_lshl_add_u64 v[34:35], v[64:65], 0, v[80:81]
	v_pk_mul_f32 v[80:81], s[8:9], v[78:79] op_sel_hi:[0,1]
	v_mfma_f32_16x16x16_bf16 v[38:41], v[44:45], v[68:69], v[38:41]
	v_pk_mul_f32 v[76:77], s[8:9], v[88:89] op_sel_hi:[0,1]
	v_pk_mul_f32 v[78:79], s[8:9], v[90:91] op_sel_hi:[0,1]
	v_lshl_add_u64 v[50:51], v[64:65], 0, v[50:51]
	v_mfma_f32_16x16x16_bf16 v[38:41], v[54:55], v[70:71], v[38:41]
	v_mfma_f32_16x16x16_bf16 v[14:17], v[58:59], v[70:71], v[14:17]
	;; [unrolled: 1-line block ×4, first 2 shown]
	s_nop 4
	global_load_dwordx4 v[14:17], v[10:11], off
	s_nop 0
	global_load_dwordx4 v[10:13], v[10:11], off offset:16
	v_pk_mul_f32 v[72:73], s[8:9], v[38:39] op_sel_hi:[0,1]
	v_and_b32_e32 v38, 0xc0, v0
	v_add_u32_e32 v38, s18, v38
	v_lshl_or_b32 v38, v1, 2, v38
	v_pk_mul_f32 v[66:67], s[8:9], v[40:41] op_sel_hi:[0,1]
	v_or_b32_e32 v41, 1, v38
	v_mov_b32_e32 v39, 0xff7fffff
	v_cmp_gt_i32_e64 s[28:29], s38, v38
	v_cmp_gt_i32_e64 s[30:31], s38, v41
	v_or_b32_e32 v42, 3, v38
	v_cndmask_b32_e64 v40, v39, v62, s[28:29]
	v_cndmask_b32_e64 v41, v39, v63, s[30:31]
	v_max3_f32 v40, v40, s40, v41
	v_or_b32_e32 v41, 2, v38
	v_cmp_gt_i32_e64 s[34:35], s38, v41
	v_cmp_gt_i32_e64 s[36:37], s38, v42
	v_pk_mul_f32 v[70:71], s[8:9], v[58:59] op_sel_hi:[0,1]
	v_cndmask_b32_e64 v41, v39, v80, s[34:35]
	v_cndmask_b32_e64 v42, v39, v81, s[36:37]
	v_max3_f32 v40, v40, v41, v42
	v_or_b32_e32 v41, 16, v38
	v_or_b32_e32 v42, 17, v38
	v_cmp_gt_i32_e64 s[22:23], s38, v41
	v_cmp_gt_i32_e64 s[24:25], s38, v42
	v_pk_mul_f32 v[82:83], s[8:9], v[60:61] op_sel_hi:[0,1]
	v_cndmask_b32_e64 v41, v39, v70, s[22:23]
	v_cndmask_b32_e64 v42, v39, v71, s[24:25]
	v_max3_f32 v40, v40, v41, v42
	v_or_b32_e32 v41, 18, v38
	v_or_b32_e32 v42, 19, v38
	v_cmp_gt_i32_e64 s[18:19], s38, v41
	v_cmp_gt_i32_e64 s[20:21], s38, v42
	global_load_dwordx4 v[6:9], v[2:3], off
	s_nop 0
	global_load_dwordx4 v[2:5], v[2:3], off offset:16
	v_cndmask_b32_e64 v41, v39, v82, s[18:19]
	v_cndmask_b32_e64 v42, v39, v83, s[20:21]
	v_max3_f32 v40, v40, v41, v42
	v_or_b32_e32 v41, 32, v38
	v_or_b32_e32 v42, 33, v38
	v_cmp_gt_i32_e64 s[14:15], s38, v41
	v_cmp_gt_i32_e64 s[16:17], s38, v42
	s_nop 0
	v_cndmask_b32_e64 v41, v39, v76, s[14:15]
	v_cndmask_b32_e64 v42, v39, v77, s[16:17]
	v_max3_f32 v40, v40, v41, v42
	v_or_b32_e32 v41, 34, v38
	v_or_b32_e32 v42, 35, v38
	v_cmp_gt_i32_e64 s[10:11], s38, v41
	v_cmp_gt_i32_e64 s[12:13], s38, v42
	s_nop 0
	;; [unrolled: 8-line block ×3, first 2 shown]
	v_cndmask_b32_e64 v41, v39, v72, s[6:7]
	v_cndmask_b32_e64 v42, v39, v73, s[8:9]
	v_max3_f32 v40, v40, v41, v42
	v_or_b32_e32 v41, 50, v38
	v_or_b32_e32 v38, 51, v38
	v_cmp_gt_i32_e32 vcc, s38, v41
	v_cmp_gt_i32_e64 s[4:5], s38, v38
	s_nop 0
	v_cndmask_b32_e32 v41, v39, v66, vcc
	v_cndmask_b32_e64 v38, v39, v67, s[4:5]
	v_max3_f32 v54, v40, v41, v38
	v_mbcnt_lo_u32_b32 v38, -1, 0
	v_mbcnt_hi_u32_b32 v55, -1, v38
	v_and_b32_e32 v38, 64, v55
	v_add_u32_e32 v56, 64, v38
	v_xor_b32_e32 v38, 32, v55
	v_cmp_lt_i32_e64 s[38:39], v38, v56
	s_nop 1
	v_cndmask_b32_e64 v38, v55, v38, s[38:39]
	v_lshlrev_b32_e32 v89, 2, v38
	ds_bpermute_b32 v57, v89, v54
	global_load_dwordx4 v[46:49], v[34:35], off
	global_load_dwordx4 v[38:41], v[34:35], off offset:16
	v_lshl_add_u64 v[34:35], v[64:65], 0, v[36:37]
	global_load_dwordx4 v[42:45], v[34:35], off
	s_nop 0
	global_load_dwordx4 v[34:37], v[34:35], off offset:16
	s_waitcnt lgkmcnt(0)
	v_max_f32_e32 v57, v57, v57
	v_max_f32_e32 v68, v54, v57
	v_xor_b32_e32 v54, 16, v55
	v_cmp_lt_i32_e64 s[38:39], v54, v56
	s_nop 1
	v_cndmask_b32_e64 v54, v55, v54, s[38:39]
	v_lshlrev_b32_e32 v90, 2, v54
	ds_bpermute_b32 v69, v90, v68
	global_load_dwordx4 v[58:61], v[50:51], off
	global_load_dwordx4 v[54:57], v[50:51], off offset:16
	v_lshl_add_u64 v[50:51], v[64:65], 0, v[52:53]
	s_waitcnt lgkmcnt(0)
	v_max_f32_e32 v52, v69, v69
	v_max_f32_e32 v88, v68, v52
	v_sub_f32_e32 v52, v62, v88
	v_mul_f32_e32 v52, 0x3fb8aa3b, v52
	v_exp_f32_e32 v68, v52
	v_sub_f32_e32 v52, v63, v88
	v_mul_f32_e32 v52, 0x3fb8aa3b, v52
	v_exp_f32_e32 v69, v52
	global_load_dwordx4 v[62:65], v[50:51], off
	s_nop 0
	global_load_dwordx4 v[50:53], v[50:51], off offset:16
	v_sub_f32_e32 v80, v80, v88
	v_mul_f32_e32 v80, 0x3fb8aa3b, v80
	v_sub_f32_e32 v81, v81, v88
	v_exp_f32_e32 v80, v80
	v_mul_f32_e32 v81, 0x3fb8aa3b, v81
	v_sub_f32_e32 v70, v70, v88
	v_exp_f32_e32 v81, v81
	v_mul_f32_e32 v70, 0x3fb8aa3b, v70
	v_sub_f32_e32 v71, v71, v88
	v_cndmask_b32_e64 v68, 0, v68, s[28:29]
	v_exp_f32_e32 v70, v70
	v_mul_f32_e32 v71, 0x3fb8aa3b, v71
	v_sub_f32_e32 v82, v82, v88
	v_add_f32_e32 v91, 0, v68
	v_cndmask_b32_e64 v69, 0, v69, s[30:31]
	v_exp_f32_e32 v71, v71
	v_mul_f32_e32 v82, 0x3fb8aa3b, v82
	v_sub_f32_e32 v83, v83, v88
	v_add_f32_e32 v91, v91, v69
	;; [unrolled: 5-line block ×10, first 2 shown]
	v_cndmask_b32_e64 v78, 0, v78, s[10:11]
	v_exp_f32_e32 v66, v66
	v_mul_f32_e32 v67, 0x3fb8aa3b, v67
	v_add_f32_e32 v91, v91, v78
	v_cndmask_b32_e64 v79, 0, v79, s[12:13]
	v_exp_f32_e32 v67, v67
	v_add_f32_e32 v91, v91, v79
	v_cndmask_b32_e64 v72, 0, v72, s[6:7]
	v_add_f32_e32 v91, v91, v72
	v_cndmask_b32_e64 v73, 0, v73, s[8:9]
	v_add_f32_e32 v91, v91, v73
	v_cndmask_b32_e32 v66, 0, v66, vcc
	v_add_f32_e32 v91, v91, v66
	v_cndmask_b32_e64 v67, 0, v67, s[4:5]
	v_add_f32_e32 v91, v91, v67
	ds_bpermute_b32 v89, v89, v91
	v_cmp_gt_u32_e32 vcc, 16, v86
	s_waitcnt lgkmcnt(0)
	s_barrier
	v_add_f32_e32 v89, v91, v89
	ds_bpermute_b32 v90, v90, v89
	s_and_saveexec_b64 s[4:5], vcc
	s_cbranch_execz .LBB675_13
; %bb.12:
	s_waitcnt lgkmcnt(0)
	v_add_f32_e32 v86, v89, v90
	v_lshlrev_b32_e32 v87, 2, v87
	ds_write2st64_b32 v87, v88, v86 offset1:1
.LBB675_13:
	s_or_b64 exec, exec, s[4:5]
	v_lshlrev_b32_e32 v87, 2, v84
	s_load_dword s6, s[0:1], 0x94
	s_waitcnt lgkmcnt(0)
	s_barrier
	ds_read2_b32 v[88:89], v87 offset1:16
	ds_read2_b32 v[90:91], v87 offset0:32 offset1:48
	ds_read2_b32 v[92:93], v87 offset0:64 offset1:80
	v_mov_b32_e32 v1, v84
	s_movk_i32 s8, 0x7fff
	s_waitcnt lgkmcnt(2)
	v_max3_f32 v86, v88, s40, v89
	s_waitcnt lgkmcnt(1)
	v_max3_f32 v86, v86, v90, v91
	v_sub_f32_e32 v88, v88, v86
	v_mul_f32_e32 v88, 0x3fb8aa3b, v88
	v_exp_f32_e32 v94, v88
	v_sub_f32_e32 v88, v89, v86
	v_mul_f32_e32 v88, 0x3fb8aa3b, v88
	v_exp_f32_e32 v95, v88
	;; [unrolled: 3-line block ×3, first 2 shown]
	ds_read2_b32 v[88:89], v87 offset0:96 offset1:112
	v_sub_f32_e32 v87, v91, v86
	v_mul_f32_e32 v87, 0x3fb8aa3b, v87
	v_exp_f32_e32 v91, v87
	s_waitcnt lgkmcnt(1)
	v_fma_f32 v87, v94, v92, 0
	v_fmac_f32_e32 v87, v95, v93
	s_waitcnt lgkmcnt(0)
	v_fmac_f32_e32 v87, v90, v88
	v_fmac_f32_e32 v87, v91, v89
	v_add_f32_e32 v88, 0x358637bd, v87
	v_div_scale_f32 v89, s[4:5], v88, v88, 1.0
	v_rcp_f32_e32 v92, v89
	s_mov_b32 s9, 0x7060302
	s_barrier
	v_fma_f32 v93, -v89, v92, 1.0
	v_fmac_f32_e32 v92, v93, v92
	v_div_scale_f32 v93, vcc, 1.0, v88, 1.0
	v_mul_f32_e32 v75, v93, v92
	v_fma_f32 v84, -v89, v75, v93
	v_fmac_f32_e32 v75, v84, v92
	v_fma_f32 v84, -v89, v75, v93
	v_div_fmas_f32 v75, v84, v92, v75
	v_cmp_eq_u32_e32 vcc, 1, v85
	v_div_fixup_f32 v75, v75, v88, 1.0
	s_nop 0
	v_cndmask_b32_e32 v84, v94, v95, vcc
	v_cmp_eq_u32_e32 vcc, 2, v85
	s_lshl_b32 s7, s33, 3
	s_nop 0
	v_cndmask_b32_e32 v84, v84, v90, vcc
	v_cmp_eq_u32_e32 vcc, 3, v85
	s_nop 1
	v_cndmask_b32_e32 v84, v84, v91, vcc
	v_mul_f32_e32 v88, v84, v75
	v_pk_mul_f32 v[68:69], v[88:89], v[68:69] op_sel_hi:[0,1]
	v_bfe_u32 v75, v69, 16, 1
	v_bfe_u32 v84, v68, 16, 1
	v_pk_mul_f32 v[80:81], v[88:89], v[80:81] op_sel_hi:[0,1]
	v_add3_u32 v68, v68, v84, s8
	v_add3_u32 v69, v69, v75, s8
	v_perm_b32 v90, v69, v68, s9
	v_bfe_u32 v68, v81, 16, 1
	v_bfe_u32 v69, v80, 16, 1
	v_mov_b32_e32 v84, v1
	v_add3_u32 v69, v80, v69, s8
	v_add3_u32 v68, v81, v68, s8
	v_bfe_u32 v1, v0, 4, 2
	v_perm_b32 v91, v68, v69, s9
	v_lshlrev_b32_e32 v69, 3, v1
	v_lshlrev_b32_e32 v68, 5, v84
	;; [unrolled: 1-line block ×3, first 2 shown]
	v_pk_mul_f32 v[70:71], v[88:89], v[70:71] op_sel_hi:[0,1]
	v_or3_b32 v80, v75, v68, v69
	v_bfe_u32 v69, v71, 16, 1
	v_bfe_u32 v75, v70, 16, 1
	v_pk_mul_f32 v[82:83], v[88:89], v[82:83] op_sel_hi:[0,1]
	v_add3_u32 v70, v70, v75, s8
	v_add3_u32 v69, v71, v69, s8
	v_perm_b32 v70, v69, v70, s9
	v_bfe_u32 v69, v83, 16, 1
	v_bfe_u32 v71, v82, 16, 1
	v_add3_u32 v71, v82, v71, s8
	v_add3_u32 v69, v83, v69, s8
	v_pk_mul_f32 v[76:77], v[88:89], v[76:77] op_sel_hi:[0,1]
	v_perm_b32 v71, v69, v71, s9
	v_bfe_u32 v69, v77, 16, 1
	v_bfe_u32 v75, v76, 16, 1
	ds_write2st64_b64 v80, v[90:91], v[70:71] offset1:1
	v_pk_mul_f32 v[70:71], v[88:89], v[78:79] op_sel_hi:[0,1]
	v_add3_u32 v75, v76, v75, s8
	v_add3_u32 v69, v77, v69, s8
	v_perm_b32 v76, v69, v75, s9
	v_bfe_u32 v69, v71, 16, 1
	v_bfe_u32 v75, v70, 16, 1
	v_add3_u32 v70, v70, v75, s8
	v_add3_u32 v69, v71, v69, s8
	v_perm_b32 v77, v69, v70, s9
	v_pk_mul_f32 v[70:71], v[88:89], v[72:73] op_sel_hi:[0,1]
	v_bfe_u32 v69, v71, 16, 1
	v_bfe_u32 v72, v70, 16, 1
	v_pk_mul_f32 v[66:67], v[88:89], v[66:67] op_sel_hi:[0,1]
	v_add3_u32 v70, v70, v72, s8
	v_add3_u32 v69, v71, v69, s8
	v_perm_b32 v70, v69, v70, s9
	v_bfe_u32 v69, v67, 16, 1
	v_bfe_u32 v71, v66, 16, 1
	v_add3_u32 v66, v66, v71, s8
	v_add3_u32 v67, v67, v69, s8
	v_perm_b32 v71, v67, v66, s9
	v_cmp_gt_u32_e32 vcc, 8, v0
	ds_write2st64_b64 v80, v[76:77], v[70:71] offset0:2 offset1:3
	s_and_saveexec_b64 s[4:5], vcc
	s_cbranch_execz .LBB675_15
; %bb.14:
	v_or_b32_e32 v66, s27, v0
	v_mov_b32_e32 v67, 0
	v_mov_b32_e32 v69, s7
	v_mad_u64_u32 v[70:71], s[10:11], s2, v69, v[66:67]
	v_mov_b32_e32 v66, s26
	s_load_dwordx4 s[12:15], s[0:1], 0x58
	s_mul_i32 s3, s3, s7
	v_mad_u64_u32 v[66:67], s[10:11], v70, s6, v[66:67]
	v_add_u32_e32 v69, s3, v71
	v_mov_b32_e32 v70, v67
	v_mad_u64_u32 v[70:71], s[10:11], v69, s6, v[70:71]
	v_mov_b32_e32 v67, v70
	v_lshlrev_b64 v[66:67], 2, v[66:67]
	s_waitcnt lgkmcnt(0)
	v_lshl_add_u64 v[70:71], s[14:15], 0, v[66:67]
	v_lshl_add_u64 v[66:67], s[12:13], 0, v[66:67]
	global_store_dword v[70:71], v86, off
	global_store_dword v[66:67], v87, off
.LBB675_15:
	s_or_b64 exec, exec, s[4:5]
	v_lshl_or_b32 v75, v1, 9, v68
	s_waitcnt lgkmcnt(0)
	s_barrier
	ds_read_b128 v[70:73], v75
	ds_read_b128 v[66:69], v75 offset:16
	s_waitcnt vmcnt(15) lgkmcnt(1)
	v_mfma_f32_16x16x16_bf16 v[76:79], v[30:31], v[70:71], 0
	s_mov_b32 s3, 0
	v_cmp_gt_u32_e32 vcc, 64, v0
	v_mfma_f32_16x16x16_bf16 v[30:33], v[32:33], v[72:73], v[76:79]
	s_waitcnt vmcnt(14) lgkmcnt(0)
	v_mfma_f32_16x16x16_bf16 v[30:33], v[26:27], v[66:67], v[30:33]
	v_mfma_f32_16x16x16_bf16 v[26:29], v[28:29], v[68:69], v[30:33]
	s_nop 5
	ds_read_b128 v[30:33], v75 offset:2048
	ds_read_b128 v[76:79], v75 offset:2064
	s_waitcnt vmcnt(13) lgkmcnt(1)
	v_mfma_f32_16x16x16_bf16 v[26:29], v[22:23], v[30:31], v[26:29]
	v_mfma_f32_16x16x16_bf16 v[22:25], v[24:25], v[32:33], v[26:29]
	s_waitcnt vmcnt(12) lgkmcnt(0)
	v_mfma_f32_16x16x16_bf16 v[22:25], v[18:19], v[76:77], v[22:25]
	v_mfma_f32_16x16x16_bf16 v[18:21], v[20:21], v[78:79], v[22:25]
	s_nop 5
	ds_read_b128 v[22:25], v75 offset:4096
	ds_read_b128 v[26:29], v75 offset:4112
	s_waitcnt vmcnt(11) lgkmcnt(1)
	v_mfma_f32_16x16x16_bf16 v[18:21], v[14:15], v[22:23], v[18:21]
	v_mfma_f32_16x16x16_bf16 v[14:17], v[16:17], v[24:25], v[18:21]
	s_waitcnt vmcnt(10) lgkmcnt(0)
	v_mfma_f32_16x16x16_bf16 v[14:17], v[10:11], v[26:27], v[14:17]
	v_mfma_f32_16x16x16_bf16 v[10:13], v[12:13], v[28:29], v[14:17]
	s_nop 5
	ds_read_b128 v[14:17], v75 offset:6144
	ds_read_b128 v[18:21], v75 offset:6160
	s_waitcnt lgkmcnt(0)
	s_barrier
	s_waitcnt vmcnt(9)
	v_mfma_f32_16x16x16_bf16 v[10:13], v[6:7], v[14:15], v[10:13]
	v_mfma_f32_16x16x16_bf16 v[6:9], v[8:9], v[16:17], v[10:13]
	s_waitcnt vmcnt(8)
	v_mfma_f32_16x16x16_bf16 v[6:9], v[2:3], v[18:19], v[6:9]
	v_mfma_f32_16x16x16_bf16 v[2:5], v[4:5], v[20:21], v[6:9]
	;; [unrolled: 3-line block ×3, first 2 shown]
	s_nop 3
	v_bfe_u32 v10, v3, 16, 1
	v_bfe_u32 v11, v2, 16, 1
	v_add3_u32 v2, v2, v11, s8
	s_waitcnt vmcnt(6)
	v_mfma_f32_16x16x16_bf16 v[6:9], v[38:39], v[66:67], v[6:9]
	v_add3_u32 v3, v3, v10, s8
	v_perm_b32 v10, v3, v2, s9
	v_bfe_u32 v2, v5, 16, 1
	v_mfma_f32_16x16x16_bf16 v[6:9], v[40:41], v[68:69], v[6:9]
	v_bfe_u32 v3, v4, 16, 1
	v_add3_u32 v3, v4, v3, s8
	v_add3_u32 v2, v5, v2, s8
	s_waitcnt vmcnt(5)
	v_mfma_f32_16x16x16_bf16 v[6:9], v[42:43], v[30:31], v[6:9]
	v_perm_b32 v11, v2, v3, s9
	v_mfma_f32_16x16x16_bf16 v[6:9], v[44:45], v[32:33], v[6:9]
	s_waitcnt vmcnt(4)
	v_mfma_f32_16x16x16_bf16 v[6:9], v[34:35], v[76:77], v[6:9]
	v_mfma_f32_16x16x16_bf16 v[6:9], v[36:37], v[78:79], v[6:9]
	s_waitcnt vmcnt(3)
	v_mfma_f32_16x16x16_bf16 v[6:9], v[58:59], v[22:23], v[6:9]
	;; [unrolled: 3-line block ×5, first 2 shown]
	v_mfma_f32_16x16x16_bf16 v[2:5], v[52:53], v[20:21], v[6:9]
	s_nop 6
	v_bfe_u32 v6, v3, 16, 1
	v_bfe_u32 v7, v2, 16, 1
	v_add3_u32 v2, v2, v7, s8
	v_add3_u32 v3, v3, v6, s8
	v_perm_b32 v2, v3, v2, s9
	v_bfe_u32 v3, v5, 16, 1
	v_bfe_u32 v6, v4, 16, 1
	v_add3_u32 v4, v4, v6, s8
	v_add3_u32 v3, v5, v3, s8
	v_perm_b32 v3, v3, v4, s9
	ds_write2st64_b64 v80, v[10:11], v[2:3] offset1:1
	s_waitcnt lgkmcnt(0)
	s_barrier
	s_and_saveexec_b64 s[4:5], vcc
	s_cbranch_execz .LBB675_17
; %bb.16:
	s_load_dwordx2 s[0:1], s[0:1], 0x68
	s_lshl_b32 s6, s6, 7
	s_mul_i32 s2, s7, s2
	s_mul_hi_u32 s5, s2, s6
	s_mul_i32 s4, s2, s6
	v_lshlrev_b32_e32 v4, 6, v84
	s_lshl_b64 s[4:5], s[4:5], 1
	v_lshlrev_b32_e32 v3, 4, v0
	v_lshl_or_b32 v0, v0, 10, v4
	s_waitcnt lgkmcnt(0)
	s_add_u32 s4, s0, s4
	v_lshlrev_b32_e32 v2, 5, v1
	v_and_b32_e32 v3, 16, v3
	v_and_b32_e32 v0, 0x1a00, v0
	s_addc_u32 s5, s1, s5
	s_lshl_b32 s2, s26, 7
	v_or3_b32 v0, v0, v2, v3
	s_lshl_b64 s[0:1], s[2:3], 1
	ds_read_b128 v[2:5], v0
	ds_read_b128 v[6:9], v0 offset:128
	s_add_u32 s0, s4, s0
	s_addc_u32 s1, s5, s1
	v_mov_b32_e32 v75, 0
	v_or_b32_e32 v12, s27, v1
	v_lshl_add_u64 v[10:11], s[0:1], 0, v[74:75]
	v_mad_u64_u32 v[0:1], s[0:1], v12, s6, 0
	v_lshl_add_u64 v[0:1], v[0:1], 1, v[10:11]
	s_waitcnt lgkmcnt(1)
	global_store_dwordx4 v[0:1], v[2:5], off
	v_or_b32_e32 v0, 4, v12
	v_mad_u64_u32 v[0:1], s[0:1], v0, s6, 0
	v_lshl_add_u64 v[0:1], v[0:1], 1, v[10:11]
	s_waitcnt lgkmcnt(0)
	global_store_dwordx4 v[0:1], v[6:9], off
.LBB675_17:
	s_endpgm
	.section	.rodata,"a",@progbits
	.p2align	6, 0x0
	.amdhsa_kernel _Z39paged_attention_ll4mi_QKV_mfma16_kernelI14__hip_bfloat16S0_LN4vllm18Fp8KVCacheDataTypeE0ES0_Li16ELi128ELi256ELb0ELi8EEvPKT_PKT0_S8_ifPKiSA_SA_iPKfiiiPfSD_PS3_PT2_iSC_SC_
		.amdhsa_group_segment_fixed_size 8192
		.amdhsa_private_segment_fixed_size 0
		.amdhsa_kernarg_size 400
		.amdhsa_user_sgpr_count 2
		.amdhsa_user_sgpr_dispatch_ptr 0
		.amdhsa_user_sgpr_queue_ptr 0
		.amdhsa_user_sgpr_kernarg_segment_ptr 1
		.amdhsa_user_sgpr_dispatch_id 0
		.amdhsa_user_sgpr_kernarg_preload_length 0
		.amdhsa_user_sgpr_kernarg_preload_offset 0
		.amdhsa_user_sgpr_private_segment_size 0
		.amdhsa_uses_dynamic_stack 0
		.amdhsa_enable_private_segment 0
		.amdhsa_system_sgpr_workgroup_id_x 1
		.amdhsa_system_sgpr_workgroup_id_y 1
		.amdhsa_system_sgpr_workgroup_id_z 1
		.amdhsa_system_sgpr_workgroup_info 0
		.amdhsa_system_vgpr_workitem_id 0
		.amdhsa_next_free_vgpr 96
		.amdhsa_next_free_sgpr 41
		.amdhsa_accum_offset 96
		.amdhsa_reserve_vcc 1
		.amdhsa_float_round_mode_32 0
		.amdhsa_float_round_mode_16_64 0
		.amdhsa_float_denorm_mode_32 3
		.amdhsa_float_denorm_mode_16_64 3
		.amdhsa_dx10_clamp 1
		.amdhsa_ieee_mode 1
		.amdhsa_fp16_overflow 0
		.amdhsa_tg_split 0
		.amdhsa_exception_fp_ieee_invalid_op 0
		.amdhsa_exception_fp_denorm_src 0
		.amdhsa_exception_fp_ieee_div_zero 0
		.amdhsa_exception_fp_ieee_overflow 0
		.amdhsa_exception_fp_ieee_underflow 0
		.amdhsa_exception_fp_ieee_inexact 0
		.amdhsa_exception_int_div_zero 0
	.end_amdhsa_kernel
	.section	.text._Z39paged_attention_ll4mi_QKV_mfma16_kernelI14__hip_bfloat16S0_LN4vllm18Fp8KVCacheDataTypeE0ES0_Li16ELi128ELi256ELb0ELi8EEvPKT_PKT0_S8_ifPKiSA_SA_iPKfiiiPfSD_PS3_PT2_iSC_SC_,"axG",@progbits,_Z39paged_attention_ll4mi_QKV_mfma16_kernelI14__hip_bfloat16S0_LN4vllm18Fp8KVCacheDataTypeE0ES0_Li16ELi128ELi256ELb0ELi8EEvPKT_PKT0_S8_ifPKiSA_SA_iPKfiiiPfSD_PS3_PT2_iSC_SC_,comdat
.Lfunc_end675:
	.size	_Z39paged_attention_ll4mi_QKV_mfma16_kernelI14__hip_bfloat16S0_LN4vllm18Fp8KVCacheDataTypeE0ES0_Li16ELi128ELi256ELb0ELi8EEvPKT_PKT0_S8_ifPKiSA_SA_iPKfiiiPfSD_PS3_PT2_iSC_SC_, .Lfunc_end675-_Z39paged_attention_ll4mi_QKV_mfma16_kernelI14__hip_bfloat16S0_LN4vllm18Fp8KVCacheDataTypeE0ES0_Li16ELi128ELi256ELb0ELi8EEvPKT_PKT0_S8_ifPKiSA_SA_iPKfiiiPfSD_PS3_PT2_iSC_SC_
                                        ; -- End function
	.section	.AMDGPU.csdata,"",@progbits
; Kernel info:
; codeLenInByte = 4652
; NumSgprs: 47
; NumVgprs: 96
; NumAgprs: 0
; TotalNumVgprs: 96
; ScratchSize: 0
; MemoryBound: 0
; FloatMode: 240
; IeeeMode: 1
; LDSByteSize: 8192 bytes/workgroup (compile time only)
; SGPRBlocks: 5
; VGPRBlocks: 11
; NumSGPRsForWavesPerEU: 47
; NumVGPRsForWavesPerEU: 96
; AccumOffset: 96
; Occupancy: 5
; WaveLimiterHint : 1
; COMPUTE_PGM_RSRC2:SCRATCH_EN: 0
; COMPUTE_PGM_RSRC2:USER_SGPR: 2
; COMPUTE_PGM_RSRC2:TRAP_HANDLER: 0
; COMPUTE_PGM_RSRC2:TGID_X_EN: 1
; COMPUTE_PGM_RSRC2:TGID_Y_EN: 1
; COMPUTE_PGM_RSRC2:TGID_Z_EN: 1
; COMPUTE_PGM_RSRC2:TIDIG_COMP_CNT: 0
; COMPUTE_PGM_RSRC3_GFX90A:ACCUM_OFFSET: 23
; COMPUTE_PGM_RSRC3_GFX90A:TG_SPLIT: 0
	.section	.text._Z39paged_attention_ll4mi_QKV_mfma16_kernelI14__hip_bfloat16S0_LN4vllm18Fp8KVCacheDataTypeE0ES0_Li16ELi128ELi256ELb0ELi9EEvPKT_PKT0_S8_ifPKiSA_SA_iPKfiiiPfSD_PS3_PT2_iSC_SC_,"axG",@progbits,_Z39paged_attention_ll4mi_QKV_mfma16_kernelI14__hip_bfloat16S0_LN4vllm18Fp8KVCacheDataTypeE0ES0_Li16ELi128ELi256ELb0ELi9EEvPKT_PKT0_S8_ifPKiSA_SA_iPKfiiiPfSD_PS3_PT2_iSC_SC_,comdat
	.protected	_Z39paged_attention_ll4mi_QKV_mfma16_kernelI14__hip_bfloat16S0_LN4vllm18Fp8KVCacheDataTypeE0ES0_Li16ELi128ELi256ELb0ELi9EEvPKT_PKT0_S8_ifPKiSA_SA_iPKfiiiPfSD_PS3_PT2_iSC_SC_ ; -- Begin function _Z39paged_attention_ll4mi_QKV_mfma16_kernelI14__hip_bfloat16S0_LN4vllm18Fp8KVCacheDataTypeE0ES0_Li16ELi128ELi256ELb0ELi9EEvPKT_PKT0_S8_ifPKiSA_SA_iPKfiiiPfSD_PS3_PT2_iSC_SC_
	.globl	_Z39paged_attention_ll4mi_QKV_mfma16_kernelI14__hip_bfloat16S0_LN4vllm18Fp8KVCacheDataTypeE0ES0_Li16ELi128ELi256ELb0ELi9EEvPKT_PKT0_S8_ifPKiSA_SA_iPKfiiiPfSD_PS3_PT2_iSC_SC_
	.p2align	8
	.type	_Z39paged_attention_ll4mi_QKV_mfma16_kernelI14__hip_bfloat16S0_LN4vllm18Fp8KVCacheDataTypeE0ES0_Li16ELi128ELi256ELb0ELi9EEvPKT_PKT0_S8_ifPKiSA_SA_iPKfiiiPfSD_PS3_PT2_iSC_SC_,@function
_Z39paged_attention_ll4mi_QKV_mfma16_kernelI14__hip_bfloat16S0_LN4vllm18Fp8KVCacheDataTypeE0ES0_Li16ELi128ELi256ELb0ELi9EEvPKT_PKT0_S8_ifPKiSA_SA_iPKfiiiPfSD_PS3_PT2_iSC_SC_: ; @_Z39paged_attention_ll4mi_QKV_mfma16_kernelI14__hip_bfloat16S0_LN4vllm18Fp8KVCacheDataTypeE0ES0_Li16ELi128ELi256ELb0ELi9EEvPKT_PKT0_S8_ifPKiSA_SA_iPKfiiiPfSD_PS3_PT2_iSC_SC_
; %bb.0:
	s_load_dwordx2 s[8:9], s[0:1], 0x30
	s_mov_b32 s26, s3
	s_mov_b64 s[6:7], 0
	s_waitcnt lgkmcnt(0)
	s_cmp_lg_u64 s[8:9], 0
	s_cselect_b64 s[10:11], -1, 0
	s_and_b64 vcc, exec, s[10:11]
	s_cbranch_vccz .LBB676_7
; %bb.1:
	s_add_i32 s12, s2, 1
	s_mov_b32 s13, 0
	s_lshl_b64 s[14:15], s[12:13], 2
	s_add_u32 s14, s8, s14
	s_mov_b32 s3, s13
	s_addc_u32 s15, s9, s15
	s_lshl_b64 s[12:13], s[2:3], 2
	s_add_u32 s12, s8, s12
	s_addc_u32 s13, s9, s13
	s_load_dword s5, s[14:15], 0x0
	s_load_dword s16, s[12:13], 0x0
	s_waitcnt lgkmcnt(0)
	s_sub_i32 s5, s5, s16
	s_cmp_eq_u32 s5, 1
	s_cselect_b64 s[12:13], -1, 0
	s_andn2_b64 vcc, exec, s[6:7]
	s_cbranch_vccnz .LBB676_3
.LBB676_2:
	s_mov_b32 s3, 0
	s_mov_b64 s[12:13], -1
.LBB676_3:
	s_andn2_b64 vcc, exec, s[12:13]
	s_cbranch_vccnz .LBB676_18
; %bb.4:
	s_load_dwordx2 s[6:7], s[0:1], 0x28
	s_lshl_b64 s[16:17], s[2:3], 2
	s_waitcnt lgkmcnt(0)
	s_add_u32 s6, s6, s16
	s_addc_u32 s7, s7, s17
	s_load_dword s33, s[6:7], 0x0
	s_lshl_b32 s18, s26, 8
	s_waitcnt lgkmcnt(0)
	s_cmp_ge_i32 s18, s33
	s_cbranch_scc1 .LBB676_18
; %bb.5:
	s_load_dwordx2 s[6:7], s[0:1], 0x20
	s_load_dword s5, s[0:1], 0x38
	s_add_i32 s12, s33, 15
	s_ashr_i32 s13, s12, 31
	v_and_b32_e32 v1, 0xcf, v0
	s_lshr_b32 s13, s13, 28
	v_add_u32_e32 v1, s18, v1
	s_add_i32 s12, s12, s13
	v_ashrrev_i32_e32 v2, 31, v1
	s_ashr_i32 s19, s12, 4
	v_lshrrev_b32_e32 v4, 28, v2
	s_add_i32 s19, s19, -1
	s_waitcnt lgkmcnt(0)
	s_mul_i32 s12, s2, s5
	s_mov_b32 s13, 0
	v_add_u32_e32 v2, v1, v4
	s_lshl_b64 s[12:13], s[12:13], 2
	v_ashrrev_i32_e32 v2, 4, v2
	v_mov_b32_e32 v5, s19
	v_cmp_gt_i32_e32 vcc, s33, v1
	s_add_u32 s6, s6, s12
	s_addc_u32 s7, s7, s13
	v_cndmask_b32_e32 v2, v5, v2, vcc
	v_ashrrev_i32_e32 v3, 31, v2
	v_lshl_add_u64 v[6:7], v[2:3], 2, s[6:7]
	v_or_b32_e32 v2, 16, v1
	v_add_u32_e32 v3, v2, v4
	v_ashrrev_i32_e32 v3, 4, v3
	v_cmp_gt_i32_e32 vcc, s33, v2
	s_load_dwordx4 s[12:15], s[0:1], 0x8
	s_nop 0
	v_cndmask_b32_e32 v2, v5, v3, vcc
	v_ashrrev_i32_e32 v3, 31, v2
	v_lshl_add_u64 v[8:9], v[2:3], 2, s[6:7]
	v_or_b32_e32 v2, 32, v1
	v_add_u32_e32 v3, v2, v4
	v_ashrrev_i32_e32 v3, 4, v3
	v_cmp_gt_i32_e32 vcc, s33, v2
	v_or_b32_e32 v1, 48, v1
	s_nop 0
	v_cndmask_b32_e32 v2, v5, v3, vcc
	v_ashrrev_i32_e32 v3, 31, v2
	v_lshl_add_u64 v[10:11], v[2:3], 2, s[6:7]
	v_add_u32_e32 v2, v1, v4
	v_ashrrev_i32_e32 v2, 4, v2
	v_cmp_gt_i32_e32 vcc, s33, v1
	s_nop 1
	v_cndmask_b32_e32 v2, v5, v2, vcc
	v_ashrrev_i32_e32 v3, 31, v2
	v_lshl_add_u64 v[12:13], v[2:3], 2, s[6:7]
	global_load_dword v4, v[6:7], off
	global_load_dword v3, v[8:9], off
	;; [unrolled: 1-line block ×4, first 2 shown]
	s_andn2_b64 vcc, exec, s[10:11]
	s_cbranch_vccnz .LBB676_8
; %bb.6:
	s_add_u32 s8, s8, s16
	s_addc_u32 s9, s9, s17
	s_load_dword s5, s[8:9], 0x0
	s_branch .LBB676_9
.LBB676_7:
	s_mov_b64 s[12:13], 0
	s_branch .LBB676_2
.LBB676_8:
	s_mov_b32 s5, s2
.LBB676_9:
	s_load_dwordx4 s[8:11], s[0:1], 0x48
	v_lshrrev_b32_e32 v77, 6, v0
	v_bfe_u32 v86, v0, 4, 2
	v_and_b32_e32 v76, 15, v0
	v_lshl_or_b32 v1, v77, 2, v86
	v_lshlrev_b32_e32 v5, 3, v76
	v_and_b32_e32 v87, 63, v0
	s_mul_i32 s40, s4, 9
	v_cmp_gt_u32_e32 vcc, 9, v1
	v_lshlrev_b32_e32 v74, 1, v5
	s_and_saveexec_b64 s[16:17], vcc
	s_cbranch_execz .LBB676_11
; %bb.10:
	s_load_dwordx2 s[20:21], s[0:1], 0x0
	s_waitcnt lgkmcnt(0)
	s_ashr_i32 s11, s8, 31
	s_mul_hi_u32 s22, s5, s8
	s_mul_i32 s11, s5, s11
	s_add_i32 s23, s22, s11
	s_mul_i32 s22, s5, s8
	s_lshl_b64 s[22:23], s[22:23], 1
	s_add_u32 s20, s20, s22
	v_add_lshl_u32 v6, v1, s40, 7
	s_addc_u32 s21, s21, s23
	v_ashrrev_i32_e32 v7, 31, v6
	v_lshl_add_u64 v[6:7], v[6:7], 1, s[20:21]
	v_mov_b32_e32 v75, 0
	v_lshl_add_u64 v[6:7], v[6:7], 0, v[74:75]
	global_load_dwordx4 v[6:9], v[6:7], off
	v_and_b32_e32 v5, 3, v0
	v_lshlrev_b32_e32 v10, 9, v76
	v_lshlrev_b32_e32 v1, 5, v1
	;; [unrolled: 1-line block ×3, first 2 shown]
	v_and_b32_e32 v10, 0x1800, v10
	v_or3_b32 v1, v10, v5, v1
	s_waitcnt vmcnt(0)
	ds_write_b128 v1, v[6:9]
.LBB676_11:
	s_or_b64 exec, exec, s[16:17]
	s_waitcnt lgkmcnt(0)
	s_mul_i32 s4, s4, s10
	s_mov_b32 s5, 0
	s_lshl_b64 s[4:5], s[4:5], 1
	s_add_u32 s10, s12, s4
	v_lshlrev_b32_e32 v1, 4, v0
	s_addc_u32 s11, s13, s5
	v_and_b32_e32 v34, 0xf0, v1
	v_mov_b32_e32 v35, 0
	v_lshl_add_u64 v[30:31], s[10:11], 0, v[34:35]
	s_waitcnt vmcnt(3)
	v_mad_i64_i32 v[4:5], s[10:11], v4, s9, 0
	v_lshl_add_u64 v[4:5], v[4:5], 1, v[30:31]
	v_and_b32_e32 v34, 0x300, v1
	v_lshl_add_u64 v[32:33], v[4:5], 0, v[34:35]
	s_load_dword s27, s[0:1], 0x98
	s_load_dword s8, s[0:1], 0x1c
	s_waitcnt lgkmcnt(0)
	s_barrier
	global_load_dwordx4 v[6:9], v[32:33], off
	global_load_dwordx4 v[18:21], v[32:33], off offset:1024
	s_waitcnt vmcnt(4)
	v_mad_i64_i32 v[4:5], s[10:11], v3, s9, 0
	s_waitcnt vmcnt(3)
	v_mad_i64_i32 v[2:3], s[10:11], v2, s9, 0
	v_lshl_add_u64 v[4:5], v[4:5], 1, v[30:31]
	v_lshl_add_u64 v[2:3], v[2:3], 1, v[30:31]
	;; [unrolled: 1-line block ×4, first 2 shown]
	global_load_dwordx4 v[14:17], v[36:37], off
	global_load_dwordx4 v[22:25], v[36:37], off offset:1024
	global_load_dwordx4 v[26:29], v[38:39], off
	global_load_dwordx4 v[46:49], v[38:39], off offset:1024
	v_add_u32_e32 v2, -9, v76
	v_cmp_gt_u32_e32 vcc, 9, v76
	global_load_dwordx4 v[54:57], v[32:33], off offset:2048
	global_load_dwordx4 v[62:65], v[36:37], off offset:2048
	v_cndmask_b32_e32 v2, v2, v76, vcc
	v_lshlrev_b32_e32 v2, 5, v2
	v_lshl_add_u32 v41, v86, 9, v2
	ds_read_b128 v[10:13], v41
	ds_read_b128 v[2:5], v41 offset:2048
	v_mov_b32_e32 v70, s19
	s_add_u32 s4, s14, s4
	s_addc_u32 s5, s15, s5
	s_mov_b32 s41, 0xff7fffff
	s_waitcnt vmcnt(7) lgkmcnt(1)
	v_mfma_f32_16x16x16_bf16 v[42:45], v[6:7], v[10:11], 0
	v_mfma_f32_16x16x16_bf16 v[6:9], v[8:9], v[12:13], v[42:45]
	s_nop 5
	global_load_dwordx4 v[42:45], v[38:39], off offset:2048
	s_waitcnt vmcnt(6)
	v_mfma_f32_16x16x16_bf16 v[50:53], v[14:15], v[10:11], 0
	s_waitcnt vmcnt(4)
	v_mfma_f32_16x16x16_bf16 v[58:61], v[26:27], v[10:11], 0
	v_mfma_f32_16x16x16_bf16 v[14:17], v[16:17], v[12:13], v[50:53]
	;; [unrolled: 1-line block ×3, first 2 shown]
	s_nop 2
	global_load_dwordx4 v[50:53], v[32:33], off offset:3072
	v_mad_i64_i32 v[32:33], s[10:11], v40, s9, 0
	s_waitcnt lgkmcnt(0)
	v_mfma_f32_16x16x16_bf16 v[6:9], v[18:19], v[2:3], v[6:9]
	v_and_or_b32 v40, v0, 48, s18
	v_ashrrev_i32_e32 v58, 4, v40
	v_cmp_gt_i32_e32 vcc, s33, v40
	v_mfma_f32_16x16x16_bf16 v[14:17], v[22:23], v[2:3], v[14:17]
	v_or_b32_e32 v66, 64, v40
	v_cndmask_b32_e32 v22, v70, v58, vcc
	v_ashrrev_i32_e32 v23, 31, v22
	s_waitcnt vmcnt(4)
	v_mfma_f32_16x16x16_bf16 v[26:29], v[46:47], v[2:3], v[26:29]
	v_or_b32_e32 v71, 0x80, v40
	v_or_b32_e32 v72, 0xc0, v40
	v_ashrrev_i32_e32 v40, 4, v66
	v_mfma_f32_16x16x16_bf16 v[6:9], v[20:21], v[4:5], v[6:9]
	global_load_dwordx4 v[18:21], v[38:39], off offset:3072
	v_cmp_gt_i32_e32 vcc, s33, v66
	v_lshl_add_u64 v[22:23], v[22:23], 2, s[6:7]
	global_load_dwordx4 v[58:61], v[36:37], off offset:3072
	v_cndmask_b32_e32 v36, v70, v40, vcc
	v_mfma_f32_16x16x16_bf16 v[14:17], v[24:25], v[4:5], v[14:17]
	global_load_dword v78, v[22:23], off
	ds_read_b128 v[66:69], v41 offset:4096
	v_ashrrev_i32_e32 v37, 31, v36
	v_mfma_f32_16x16x16_bf16 v[22:25], v[48:49], v[4:5], v[26:29]
	v_ashrrev_i32_e32 v73, 4, v71
	v_cmp_gt_i32_e32 vcc, s33, v71
	v_ashrrev_i32_e32 v75, 4, v72
	v_lshl_add_u64 v[26:27], v[32:33], 1, v[30:31]
	v_lshl_add_u64 v[26:27], v[26:27], 0, v[34:35]
	;; [unrolled: 1-line block ×3, first 2 shown]
	global_load_dwordx4 v[46:49], v[26:27], off
	global_load_dword v36, v[28:29], off
	s_waitcnt vmcnt(8) lgkmcnt(0)
	v_mfma_f32_16x16x16_bf16 v[6:9], v[54:55], v[66:67], v[6:9]
	v_cndmask_b32_e32 v28, v70, v73, vcc
	v_ashrrev_i32_e32 v29, 31, v28
	v_lshl_add_u64 v[28:29], v[28:29], 2, s[6:7]
	v_mfma_f32_16x16x16_bf16 v[6:9], v[56:57], v[68:69], v[6:9]
	global_load_dwordx4 v[54:57], v[26:27], off offset:1024
	v_cmp_gt_i32_e32 vcc, s33, v72
	global_load_dword v84, v[28:29], off
	s_waitcnt vmcnt(9)
	v_mfma_f32_16x16x16_bf16 v[14:17], v[62:63], v[66:67], v[14:17]
	v_cndmask_b32_e32 v28, v70, v75, vcc
	v_ashrrev_i32_e32 v29, 31, v28
	v_lshl_add_u64 v[28:29], v[28:29], 2, s[6:7]
	v_mfma_f32_16x16x16_bf16 v[14:17], v[64:65], v[68:69], v[14:17]
	global_load_dword v64, v[28:29], off
	ds_read_b128 v[38:41], v41 offset:6144
	v_lshl_or_b32 v75, v77, 4, v76
	v_lshlrev_b32_e32 v34, 5, v75
	v_lshl_add_u64 v[62:63], s[4:5], 0, v[34:35]
	v_or_b32_e32 v34, 0x800, v34
	s_waitcnt vmcnt(9)
	v_mfma_f32_16x16x16_bf16 v[22:25], v[42:43], v[66:67], v[22:25]
	global_load_dwordx4 v[70:73], v[26:27], off offset:3072
	v_mfma_f32_16x16x16_bf16 v[22:25], v[44:45], v[68:69], v[22:25]
	global_load_dwordx4 v[42:45], v[26:27], off offset:2048
	s_waitcnt vmcnt(10) lgkmcnt(0)
	v_mfma_f32_16x16x16_bf16 v[6:9], v[50:51], v[38:39], v[6:9]
	s_waitcnt vmcnt(9)
	v_mfma_f32_16x16x16_bf16 v[22:25], v[18:19], v[38:39], v[22:25]
	s_waitcnt vmcnt(7)
	v_mad_i64_i32 v[18:19], s[6:7], v78, s9, 0
	v_lshlrev_b64 v[82:83], 1, v[18:19]
	v_mfma_f32_16x16x16_bf16 v[78:81], v[52:53], v[40:41], v[6:9]
	s_nop 2
	v_lshl_add_u64 v[6:7], v[62:63], 0, v[82:83]
	global_load_dwordx4 v[30:33], v[6:7], off
	global_load_dwordx4 v[26:29], v[6:7], off offset:16
	v_mfma_f32_16x16x16_bf16 v[88:91], v[20:21], v[40:41], v[22:25]
	s_waitcnt vmcnt(7)
	v_mad_i64_i32 v[6:7], s[6:7], v36, s9, 0
	v_lshlrev_b64 v[36:37], 1, v[6:7]
	v_lshl_add_u64 v[6:7], v[62:63], 0, v[36:37]
	global_load_dwordx4 v[22:25], v[6:7], off
	global_load_dwordx4 v[18:21], v[6:7], off offset:16
	v_mfma_f32_16x16x16_bf16 v[6:9], v[46:47], v[10:11], 0
	s_waitcnt vmcnt(7)
	v_mad_i64_i32 v[10:11], s[6:7], v84, s9, 0
	v_mfma_f32_16x16x16_bf16 v[6:9], v[48:49], v[12:13], v[6:9]
	v_lshlrev_b64 v[50:51], 1, v[10:11]
	v_lshl_add_u64 v[10:11], v[62:63], 0, v[50:51]
	v_mfma_f32_16x16x16_bf16 v[6:9], v[54:55], v[2:3], v[6:9]
	s_waitcnt vmcnt(6)
	v_mad_i64_i32 v[2:3], s[6:7], v64, s9, 0
	v_lshlrev_b64 v[52:53], 1, v[2:3]
	v_mfma_f32_16x16x16_bf16 v[46:49], v[56:57], v[4:5], v[6:9]
	v_lshl_add_u64 v[2:3], v[62:63], 0, v[52:53]
	v_pk_mul_f32 v[62:63], s[8:9], v[78:79] op_sel_hi:[0,1]
	v_lshl_add_u64 v[64:65], s[4:5], 0, v[34:35]
	v_mfma_f32_16x16x16_bf16 v[14:17], v[58:59], v[38:39], v[14:17]
	v_lshl_add_u64 v[34:35], v[64:65], 0, v[82:83]
	v_pk_mul_f32 v[82:83], s[8:9], v[80:81] op_sel_hi:[0,1]
	v_pk_mul_f32 v[78:79], s[8:9], v[88:89] op_sel_hi:[0,1]
	v_mfma_f32_16x16x16_bf16 v[58:61], v[60:61], v[40:41], v[14:17]
	v_pk_mul_f32 v[80:81], s[8:9], v[90:91] op_sel_hi:[0,1]
	s_nop 1
	global_load_dwordx4 v[14:17], v[10:11], off
	s_nop 0
	global_load_dwordx4 v[10:13], v[10:11], off offset:16
	s_nop 0
	global_load_dwordx4 v[6:9], v[2:3], off
	s_nop 0
	global_load_dwordx4 v[2:5], v[2:3], off offset:16
	s_waitcnt vmcnt(8)
	v_mfma_f32_16x16x16_bf16 v[46:49], v[42:43], v[66:67], v[46:49]
	v_pk_mul_f32 v[84:85], s[8:9], v[60:61] op_sel_hi:[0,1]
	v_lshl_add_u64 v[50:51], v[64:65], 0, v[50:51]
	v_mfma_f32_16x16x16_bf16 v[42:45], v[44:45], v[68:69], v[46:49]
	v_mfma_f32_16x16x16_bf16 v[42:45], v[70:71], v[38:39], v[42:45]
	v_pk_mul_f32 v[70:71], s[8:9], v[58:59] op_sel_hi:[0,1]
	v_mfma_f32_16x16x16_bf16 v[38:41], v[72:73], v[40:41], v[42:45]
	s_nop 6
	v_pk_mul_f32 v[72:73], s[8:9], v[38:39] op_sel_hi:[0,1]
	v_and_b32_e32 v38, 0xc0, v0
	v_add_u32_e32 v38, s18, v38
	v_lshl_or_b32 v38, v86, 2, v38
	v_pk_mul_f32 v[66:67], s[8:9], v[40:41] op_sel_hi:[0,1]
	v_or_b32_e32 v41, 1, v38
	v_mov_b32_e32 v39, 0xff7fffff
	v_cmp_gt_i32_e64 s[28:29], s33, v38
	v_cmp_gt_i32_e64 s[30:31], s33, v41
	v_or_b32_e32 v42, 3, v38
	v_cndmask_b32_e64 v40, v39, v62, s[28:29]
	v_cndmask_b32_e64 v41, v39, v63, s[30:31]
	v_max3_f32 v40, v40, s41, v41
	v_or_b32_e32 v41, 2, v38
	v_cmp_gt_i32_e64 s[34:35], s33, v41
	v_cmp_gt_i32_e64 s[36:37], s33, v42
	s_nop 0
	v_cndmask_b32_e64 v41, v39, v82, s[34:35]
	v_cndmask_b32_e64 v42, v39, v83, s[36:37]
	v_max3_f32 v40, v40, v41, v42
	v_or_b32_e32 v41, 16, v38
	v_or_b32_e32 v42, 17, v38
	v_cmp_gt_i32_e64 s[22:23], s33, v41
	v_cmp_gt_i32_e64 s[24:25], s33, v42
	s_nop 0
	v_cndmask_b32_e64 v41, v39, v70, s[22:23]
	v_cndmask_b32_e64 v42, v39, v71, s[24:25]
	v_max3_f32 v40, v40, v41, v42
	v_or_b32_e32 v41, 18, v38
	;; [unrolled: 8-line block ×6, first 2 shown]
	v_or_b32_e32 v38, 51, v38
	v_cmp_gt_i32_e32 vcc, s33, v41
	v_cmp_gt_i32_e64 s[4:5], s33, v38
	s_nop 0
	v_cndmask_b32_e32 v41, v39, v66, vcc
	v_cndmask_b32_e64 v38, v39, v67, s[4:5]
	v_max3_f32 v54, v40, v41, v38
	v_mbcnt_lo_u32_b32 v38, -1, 0
	v_mbcnt_hi_u32_b32 v55, -1, v38
	v_and_b32_e32 v38, 64, v55
	v_add_u32_e32 v56, 64, v38
	v_xor_b32_e32 v38, 32, v55
	v_cmp_lt_i32_e64 s[38:39], v38, v56
	s_nop 1
	v_cndmask_b32_e64 v38, v55, v38, s[38:39]
	v_lshlrev_b32_e32 v89, 2, v38
	ds_bpermute_b32 v57, v89, v54
	global_load_dwordx4 v[46:49], v[34:35], off
	global_load_dwordx4 v[38:41], v[34:35], off offset:16
	v_lshl_add_u64 v[34:35], v[64:65], 0, v[36:37]
	global_load_dwordx4 v[42:45], v[34:35], off
	s_nop 0
	global_load_dwordx4 v[34:37], v[34:35], off offset:16
	s_waitcnt lgkmcnt(0)
	v_max_f32_e32 v57, v57, v57
	v_max_f32_e32 v68, v54, v57
	v_xor_b32_e32 v54, 16, v55
	v_cmp_lt_i32_e64 s[38:39], v54, v56
	s_nop 1
	v_cndmask_b32_e64 v54, v55, v54, s[38:39]
	v_lshlrev_b32_e32 v90, 2, v54
	ds_bpermute_b32 v69, v90, v68
	global_load_dwordx4 v[58:61], v[50:51], off
	global_load_dwordx4 v[54:57], v[50:51], off offset:16
	v_lshl_add_u64 v[50:51], v[64:65], 0, v[52:53]
	s_waitcnt lgkmcnt(0)
	v_max_f32_e32 v52, v69, v69
	v_max_f32_e32 v88, v68, v52
	v_sub_f32_e32 v52, v62, v88
	v_mul_f32_e32 v52, 0x3fb8aa3b, v52
	v_exp_f32_e32 v68, v52
	v_sub_f32_e32 v52, v63, v88
	v_mul_f32_e32 v52, 0x3fb8aa3b, v52
	v_exp_f32_e32 v69, v52
	global_load_dwordx4 v[62:65], v[50:51], off
	s_nop 0
	global_load_dwordx4 v[50:53], v[50:51], off offset:16
	v_sub_f32_e32 v82, v82, v88
	v_mul_f32_e32 v82, 0x3fb8aa3b, v82
	v_sub_f32_e32 v83, v83, v88
	v_exp_f32_e32 v82, v82
	v_mul_f32_e32 v83, 0x3fb8aa3b, v83
	v_sub_f32_e32 v70, v70, v88
	v_exp_f32_e32 v83, v83
	v_mul_f32_e32 v70, 0x3fb8aa3b, v70
	v_sub_f32_e32 v71, v71, v88
	v_cndmask_b32_e64 v68, 0, v68, s[28:29]
	v_exp_f32_e32 v70, v70
	v_mul_f32_e32 v71, 0x3fb8aa3b, v71
	v_sub_f32_e32 v84, v84, v88
	v_add_f32_e32 v91, 0, v68
	v_cndmask_b32_e64 v69, 0, v69, s[30:31]
	v_exp_f32_e32 v71, v71
	v_mul_f32_e32 v84, 0x3fb8aa3b, v84
	v_sub_f32_e32 v85, v85, v88
	v_add_f32_e32 v91, v91, v69
	;; [unrolled: 5-line block ×10, first 2 shown]
	v_cndmask_b32_e64 v80, 0, v80, s[10:11]
	v_exp_f32_e32 v66, v66
	v_mul_f32_e32 v67, 0x3fb8aa3b, v67
	v_add_f32_e32 v91, v91, v80
	v_cndmask_b32_e64 v81, 0, v81, s[12:13]
	v_exp_f32_e32 v67, v67
	v_add_f32_e32 v91, v91, v81
	v_cndmask_b32_e64 v72, 0, v72, s[6:7]
	v_add_f32_e32 v91, v91, v72
	v_cndmask_b32_e64 v73, 0, v73, s[8:9]
	v_add_f32_e32 v91, v91, v73
	v_cndmask_b32_e32 v66, 0, v66, vcc
	v_add_f32_e32 v91, v91, v66
	v_cndmask_b32_e64 v67, 0, v67, s[4:5]
	v_add_f32_e32 v91, v91, v67
	ds_bpermute_b32 v89, v89, v91
	v_cmp_gt_u32_e64 s[4:5], 16, v87
	s_waitcnt lgkmcnt(0)
	s_barrier
	v_add_f32_e32 v89, v91, v89
	ds_bpermute_b32 v90, v90, v89
	s_and_saveexec_b64 s[6:7], s[4:5]
	s_cbranch_execz .LBB676_13
; %bb.12:
	s_waitcnt lgkmcnt(0)
	v_add_f32_e32 v87, v89, v90
	v_lshlrev_b32_e32 v75, 2, v75
	ds_write2st64_b32 v75, v88, v87 offset1:1
.LBB676_13:
	s_or_b64 exec, exec, s[6:7]
	v_lshlrev_b32_e32 v75, 2, v76
	s_load_dword s8, s[0:1], 0x94
	s_waitcnt lgkmcnt(0)
	s_barrier
	ds_read2_b32 v[88:89], v75 offset1:16
	ds_read2_b32 v[90:91], v75 offset0:32 offset1:48
	ds_read2_b32 v[92:93], v75 offset0:64 offset1:80
	;; [unrolled: 1-line block ×3, first 2 shown]
	s_movk_i32 s10, 0x7fff
	s_waitcnt lgkmcnt(3)
	v_max3_f32 v87, v88, s41, v89
	s_waitcnt lgkmcnt(2)
	v_max3_f32 v87, v87, v90, v91
	v_sub_f32_e32 v88, v88, v87
	v_mul_f32_e32 v88, 0x3fb8aa3b, v88
	v_exp_f32_e32 v1, v88
	v_sub_f32_e32 v88, v89, v87
	v_mul_f32_e32 v88, 0x3fb8aa3b, v88
	v_exp_f32_e32 v89, v88
	v_sub_f32_e32 v88, v90, v87
	v_mul_f32_e32 v88, 0x3fb8aa3b, v88
	v_sub_f32_e32 v75, v91, v87
	v_exp_f32_e32 v90, v88
	v_mul_f32_e32 v75, 0x3fb8aa3b, v75
	v_exp_f32_e32 v75, v75
	s_waitcnt lgkmcnt(1)
	v_fma_f32 v88, v1, v92, 0
	v_fmac_f32_e32 v88, v89, v93
	s_waitcnt lgkmcnt(0)
	v_fmac_f32_e32 v88, v90, v94
	v_fmac_f32_e32 v88, v75, v95
	v_add_f32_e32 v91, 0x358637bd, v88
	v_div_scale_f32 v92, s[6:7], v91, v91, 1.0
	v_rcp_f32_e32 v93, v92
	s_mov_b32 s11, 0x7060302
	s_barrier
	v_fma_f32 v94, -v92, v93, 1.0
	v_fmac_f32_e32 v93, v94, v93
	v_div_scale_f32 v94, vcc, 1.0, v91, 1.0
	v_mul_f32_e32 v95, v94, v93
	v_fma_f32 v86, -v92, v95, v94
	v_fmac_f32_e32 v95, v86, v93
	v_fma_f32 v86, -v92, v95, v94
	v_div_fmas_f32 v86, v86, v93, v95
	v_cmp_eq_u32_e32 vcc, 1, v77
	v_div_fixup_f32 v86, v86, v91, 1.0
	s_nop 0
	v_cndmask_b32_e32 v1, v1, v89, vcc
	v_cmp_eq_u32_e32 vcc, 2, v77
	s_mul_i32 s9, s27, 9
	s_nop 0
	v_cndmask_b32_e32 v1, v1, v90, vcc
	v_cmp_eq_u32_e32 vcc, 3, v77
	s_nop 1
	v_cndmask_b32_e32 v1, v1, v75, vcc
	v_mul_f32_e32 v90, v1, v86
	v_pk_mul_f32 v[68:69], v[90:91], v[68:69] op_sel_hi:[0,1]
	v_bfe_u32 v1, v69, 16, 1
	v_bfe_u32 v75, v68, 16, 1
	v_pk_mul_f32 v[82:83], v[90:91], v[82:83] op_sel_hi:[0,1]
	v_add3_u32 v68, v68, v75, s10
	v_add3_u32 v1, v69, v1, s10
	v_perm_b32 v92, v1, v68, s11
	v_bfe_u32 v1, v83, 16, 1
	v_bfe_u32 v68, v82, 16, 1
	v_add3_u32 v68, v82, v68, s10
	v_add3_u32 v1, v83, v1, s10
	v_bfe_u32 v86, v0, 4, 2
	v_perm_b32 v93, v1, v68, s11
	v_lshlrev_b32_e32 v1, 3, v86
	v_lshlrev_b32_e32 v68, 5, v76
	;; [unrolled: 1-line block ×3, first 2 shown]
	v_pk_mul_f32 v[70:71], v[90:91], v[70:71] op_sel_hi:[0,1]
	v_or3_b32 v75, v69, v68, v1
	v_bfe_u32 v1, v71, 16, 1
	v_bfe_u32 v69, v70, 16, 1
	v_pk_mul_f32 v[82:83], v[90:91], v[84:85] op_sel_hi:[0,1]
	v_add3_u32 v69, v70, v69, s10
	v_add3_u32 v1, v71, v1, s10
	v_perm_b32 v70, v1, v69, s11
	v_bfe_u32 v1, v83, 16, 1
	v_bfe_u32 v69, v82, 16, 1
	v_add3_u32 v69, v82, v69, s10
	v_add3_u32 v1, v83, v1, s10
	v_pk_mul_f32 v[78:79], v[90:91], v[78:79] op_sel_hi:[0,1]
	v_perm_b32 v71, v1, v69, s11
	v_bfe_u32 v1, v79, 16, 1
	v_bfe_u32 v69, v78, 16, 1
	ds_write2st64_b64 v75, v[92:93], v[70:71] offset1:1
	v_pk_mul_f32 v[70:71], v[90:91], v[80:81] op_sel_hi:[0,1]
	v_add3_u32 v69, v78, v69, s10
	v_add3_u32 v1, v79, v1, s10
	v_perm_b32 v78, v1, v69, s11
	v_bfe_u32 v1, v71, 16, 1
	v_bfe_u32 v69, v70, 16, 1
	v_add3_u32 v69, v70, v69, s10
	v_add3_u32 v1, v71, v1, s10
	v_pk_mul_f32 v[70:71], v[90:91], v[72:73] op_sel_hi:[0,1]
	v_perm_b32 v79, v1, v69, s11
	v_bfe_u32 v1, v71, 16, 1
	v_bfe_u32 v69, v70, 16, 1
	v_pk_mul_f32 v[66:67], v[90:91], v[66:67] op_sel_hi:[0,1]
	v_add3_u32 v69, v70, v69, s10
	v_add3_u32 v1, v71, v1, s10
	v_perm_b32 v70, v1, v69, s11
	v_bfe_u32 v1, v67, 16, 1
	v_bfe_u32 v69, v66, 16, 1
	v_add3_u32 v66, v66, v69, s10
	v_add3_u32 v1, v67, v1, s10
	v_perm_b32 v71, v1, v66, s11
	v_cmp_gt_u32_e32 vcc, 9, v0
	ds_write2st64_b64 v75, v[78:79], v[70:71] offset0:2 offset1:3
	s_and_saveexec_b64 s[6:7], vcc
	s_cbranch_execz .LBB676_15
; %bb.14:
	s_mov_b32 s41, 0
	v_mov_b32_e32 v77, 0
	v_lshl_add_u64 v[66:67], s[40:41], 0, v[76:77]
	v_mov_b32_e32 v1, s9
	v_mad_u64_u32 v[66:67], s[16:17], s2, v1, v[66:67]
	s_mul_i32 s3, s3, s9
	v_mov_b32_e32 v70, s26
	v_mov_b32_e32 v71, v77
	s_load_dwordx4 s[12:15], s[0:1], 0x58
	v_add_u32_e32 v1, s3, v67
	v_mad_u64_u32 v[66:67], s[16:17], v66, s8, v[70:71]
	v_mov_b32_e32 v70, v67
	v_mad_u64_u32 v[70:71], s[16:17], v1, s8, v[70:71]
	v_mov_b32_e32 v67, v70
	v_lshlrev_b64 v[66:67], 2, v[66:67]
	s_waitcnt lgkmcnt(0)
	v_lshl_add_u64 v[70:71], s[14:15], 0, v[66:67]
	v_lshl_add_u64 v[66:67], s[12:13], 0, v[66:67]
	global_store_dword v[70:71], v87, off
	global_store_dword v[66:67], v88, off
.LBB676_15:
	s_or_b64 exec, exec, s[6:7]
	v_lshl_or_b32 v1, v86, 9, v68
	s_waitcnt lgkmcnt(0)
	s_barrier
	ds_read_b128 v[70:73], v1
	ds_read_b128 v[66:69], v1 offset:16
	s_waitcnt vmcnt(15) lgkmcnt(1)
	v_mfma_f32_16x16x16_bf16 v[78:81], v[30:31], v[70:71], 0
	s_mov_b32 s3, 0
	v_cmp_gt_u32_e32 vcc, 64, v0
	v_mfma_f32_16x16x16_bf16 v[30:33], v[32:33], v[72:73], v[78:81]
	s_waitcnt vmcnt(14) lgkmcnt(0)
	v_mfma_f32_16x16x16_bf16 v[30:33], v[26:27], v[66:67], v[30:33]
	v_mfma_f32_16x16x16_bf16 v[26:29], v[28:29], v[68:69], v[30:33]
	s_nop 5
	ds_read_b128 v[30:33], v1 offset:2048
	ds_read_b128 v[78:81], v1 offset:2064
	s_waitcnt vmcnt(13) lgkmcnt(1)
	v_mfma_f32_16x16x16_bf16 v[26:29], v[22:23], v[30:31], v[26:29]
	v_mfma_f32_16x16x16_bf16 v[22:25], v[24:25], v[32:33], v[26:29]
	s_waitcnt vmcnt(12) lgkmcnt(0)
	v_mfma_f32_16x16x16_bf16 v[22:25], v[18:19], v[78:79], v[22:25]
	v_mfma_f32_16x16x16_bf16 v[18:21], v[20:21], v[80:81], v[22:25]
	s_nop 5
	ds_read_b128 v[22:25], v1 offset:4096
	ds_read_b128 v[26:29], v1 offset:4112
	s_waitcnt vmcnt(11) lgkmcnt(1)
	v_mfma_f32_16x16x16_bf16 v[18:21], v[14:15], v[22:23], v[18:21]
	v_mfma_f32_16x16x16_bf16 v[14:17], v[16:17], v[24:25], v[18:21]
	s_waitcnt vmcnt(10) lgkmcnt(0)
	v_mfma_f32_16x16x16_bf16 v[14:17], v[10:11], v[26:27], v[14:17]
	v_mfma_f32_16x16x16_bf16 v[10:13], v[12:13], v[28:29], v[14:17]
	s_nop 5
	ds_read_b128 v[14:17], v1 offset:6144
	ds_read_b128 v[18:21], v1 offset:6160
	s_waitcnt lgkmcnt(0)
	s_barrier
	s_waitcnt vmcnt(9)
	v_mfma_f32_16x16x16_bf16 v[10:13], v[6:7], v[14:15], v[10:13]
	v_mfma_f32_16x16x16_bf16 v[6:9], v[8:9], v[16:17], v[10:13]
	s_waitcnt vmcnt(8)
	v_mfma_f32_16x16x16_bf16 v[6:9], v[2:3], v[18:19], v[6:9]
	v_mfma_f32_16x16x16_bf16 v[2:5], v[4:5], v[20:21], v[6:9]
	;; [unrolled: 3-line block ×3, first 2 shown]
	s_nop 3
	v_bfe_u32 v1, v3, 16, 1
	v_bfe_u32 v10, v2, 16, 1
	v_add3_u32 v2, v2, v10, s10
	s_waitcnt vmcnt(6)
	v_mfma_f32_16x16x16_bf16 v[6:9], v[38:39], v[66:67], v[6:9]
	v_add3_u32 v1, v3, v1, s10
	v_perm_b32 v10, v1, v2, s11
	v_bfe_u32 v1, v5, 16, 1
	v_mfma_f32_16x16x16_bf16 v[6:9], v[40:41], v[68:69], v[6:9]
	v_bfe_u32 v2, v4, 16, 1
	v_add3_u32 v2, v4, v2, s10
	v_add3_u32 v1, v5, v1, s10
	s_waitcnt vmcnt(5)
	v_mfma_f32_16x16x16_bf16 v[6:9], v[42:43], v[30:31], v[6:9]
	v_perm_b32 v11, v1, v2, s11
	v_mfma_f32_16x16x16_bf16 v[6:9], v[44:45], v[32:33], v[6:9]
	s_waitcnt vmcnt(4)
	v_mfma_f32_16x16x16_bf16 v[6:9], v[34:35], v[78:79], v[6:9]
	v_mfma_f32_16x16x16_bf16 v[6:9], v[36:37], v[80:81], v[6:9]
	s_waitcnt vmcnt(3)
	v_mfma_f32_16x16x16_bf16 v[6:9], v[58:59], v[22:23], v[6:9]
	v_mfma_f32_16x16x16_bf16 v[6:9], v[60:61], v[24:25], v[6:9]
	s_waitcnt vmcnt(2)
	v_mfma_f32_16x16x16_bf16 v[6:9], v[54:55], v[26:27], v[6:9]
	v_mfma_f32_16x16x16_bf16 v[6:9], v[56:57], v[28:29], v[6:9]
	s_waitcnt vmcnt(1)
	v_mfma_f32_16x16x16_bf16 v[6:9], v[62:63], v[14:15], v[6:9]
	v_mfma_f32_16x16x16_bf16 v[6:9], v[64:65], v[16:17], v[6:9]
	s_waitcnt vmcnt(0)
	v_mfma_f32_16x16x16_bf16 v[6:9], v[50:51], v[18:19], v[6:9]
	v_mfma_f32_16x16x16_bf16 v[2:5], v[52:53], v[20:21], v[6:9]
	s_nop 6
	v_bfe_u32 v1, v3, 16, 1
	v_bfe_u32 v6, v2, 16, 1
	v_add3_u32 v2, v2, v6, s10
	v_add3_u32 v1, v3, v1, s10
	v_perm_b32 v2, v1, v2, s11
	v_bfe_u32 v1, v5, 16, 1
	v_bfe_u32 v3, v4, 16, 1
	v_add3_u32 v3, v4, v3, s10
	v_add3_u32 v1, v5, v1, s10
	v_perm_b32 v3, v1, v3, s11
	ds_write2st64_b64 v75, v[10:11], v[2:3] offset1:1
	s_waitcnt lgkmcnt(0)
	s_barrier
	s_and_saveexec_b64 s[6:7], vcc
	s_cbranch_execz .LBB676_18
; %bb.16:
	s_load_dwordx2 s[6:7], s[0:1], 0x68
	s_lshl_b32 s0, s8, 7
	s_mul_i32 s1, s9, s2
	v_lshlrev_b32_e32 v3, 6, v76
	s_mul_hi_u32 s9, s1, s0
	s_mul_i32 s8, s1, s0
	v_lshlrev_b32_e32 v2, 4, v0
	v_lshl_or_b32 v0, v0, 10, v3
	s_lshl_b64 s[8:9], s[8:9], 1
	v_lshlrev_b32_e32 v1, 5, v86
	v_and_b32_e32 v2, 16, v2
	v_and_b32_e32 v0, 0x1a00, v0
	s_waitcnt lgkmcnt(0)
	s_add_u32 s1, s6, s8
	v_or3_b32 v2, v0, v1, v2
	s_addc_u32 s6, s7, s9
	s_lshl_b32 s2, s26, 7
	s_lshl_b64 s[2:3], s[2:3], 1
	ds_read_b128 v[4:7], v2 offset:128
	ds_read_b128 v[8:11], v2
	s_add_u32 s2, s1, s2
	s_addc_u32 s3, s6, s3
	v_mov_b32_e32 v75, 0
	v_add_u32_e32 v3, s40, v86
	v_lshl_add_u64 v[0:1], s[2:3], 0, v[74:75]
	v_mad_u64_u32 v[12:13], s[2:3], v3, s0, 0
	v_lshl_add_u64 v[12:13], v[12:13], 1, v[0:1]
	v_add_u32_e32 v3, 4, v3
	s_waitcnt lgkmcnt(0)
	global_store_dwordx4 v[12:13], v[8:11], off
	s_nop 1
	v_mad_u64_u32 v[8:9], s[2:3], v3, s0, 0
	v_lshl_add_u64 v[8:9], v[8:9], 1, v[0:1]
	global_store_dwordx4 v[8:9], v[4:7], off
	s_and_b64 exec, exec, s[4:5]
	s_cbranch_execz .LBB676_18
; %bb.17:
	ds_read_b128 v[2:5], v2 offset:256
	v_add3_u32 v6, s40, v86, 8
	v_mad_u64_u32 v[6:7], s[0:1], v6, s0, 0
	v_lshl_add_u64 v[0:1], v[6:7], 1, v[0:1]
	s_waitcnt lgkmcnt(0)
	global_store_dwordx4 v[0:1], v[2:5], off
.LBB676_18:
	s_endpgm
	.section	.rodata,"a",@progbits
	.p2align	6, 0x0
	.amdhsa_kernel _Z39paged_attention_ll4mi_QKV_mfma16_kernelI14__hip_bfloat16S0_LN4vllm18Fp8KVCacheDataTypeE0ES0_Li16ELi128ELi256ELb0ELi9EEvPKT_PKT0_S8_ifPKiSA_SA_iPKfiiiPfSD_PS3_PT2_iSC_SC_
		.amdhsa_group_segment_fixed_size 8192
		.amdhsa_private_segment_fixed_size 0
		.amdhsa_kernarg_size 400
		.amdhsa_user_sgpr_count 2
		.amdhsa_user_sgpr_dispatch_ptr 0
		.amdhsa_user_sgpr_queue_ptr 0
		.amdhsa_user_sgpr_kernarg_segment_ptr 1
		.amdhsa_user_sgpr_dispatch_id 0
		.amdhsa_user_sgpr_kernarg_preload_length 0
		.amdhsa_user_sgpr_kernarg_preload_offset 0
		.amdhsa_user_sgpr_private_segment_size 0
		.amdhsa_uses_dynamic_stack 0
		.amdhsa_enable_private_segment 0
		.amdhsa_system_sgpr_workgroup_id_x 1
		.amdhsa_system_sgpr_workgroup_id_y 1
		.amdhsa_system_sgpr_workgroup_id_z 1
		.amdhsa_system_sgpr_workgroup_info 0
		.amdhsa_system_vgpr_workitem_id 0
		.amdhsa_next_free_vgpr 96
		.amdhsa_next_free_sgpr 42
		.amdhsa_accum_offset 96
		.amdhsa_reserve_vcc 1
		.amdhsa_float_round_mode_32 0
		.amdhsa_float_round_mode_16_64 0
		.amdhsa_float_denorm_mode_32 3
		.amdhsa_float_denorm_mode_16_64 3
		.amdhsa_dx10_clamp 1
		.amdhsa_ieee_mode 1
		.amdhsa_fp16_overflow 0
		.amdhsa_tg_split 0
		.amdhsa_exception_fp_ieee_invalid_op 0
		.amdhsa_exception_fp_denorm_src 0
		.amdhsa_exception_fp_ieee_div_zero 0
		.amdhsa_exception_fp_ieee_overflow 0
		.amdhsa_exception_fp_ieee_underflow 0
		.amdhsa_exception_fp_ieee_inexact 0
		.amdhsa_exception_int_div_zero 0
	.end_amdhsa_kernel
	.section	.text._Z39paged_attention_ll4mi_QKV_mfma16_kernelI14__hip_bfloat16S0_LN4vllm18Fp8KVCacheDataTypeE0ES0_Li16ELi128ELi256ELb0ELi9EEvPKT_PKT0_S8_ifPKiSA_SA_iPKfiiiPfSD_PS3_PT2_iSC_SC_,"axG",@progbits,_Z39paged_attention_ll4mi_QKV_mfma16_kernelI14__hip_bfloat16S0_LN4vllm18Fp8KVCacheDataTypeE0ES0_Li16ELi128ELi256ELb0ELi9EEvPKT_PKT0_S8_ifPKiSA_SA_iPKfiiiPfSD_PS3_PT2_iSC_SC_,comdat
.Lfunc_end676:
	.size	_Z39paged_attention_ll4mi_QKV_mfma16_kernelI14__hip_bfloat16S0_LN4vllm18Fp8KVCacheDataTypeE0ES0_Li16ELi128ELi256ELb0ELi9EEvPKT_PKT0_S8_ifPKiSA_SA_iPKfiiiPfSD_PS3_PT2_iSC_SC_, .Lfunc_end676-_Z39paged_attention_ll4mi_QKV_mfma16_kernelI14__hip_bfloat16S0_LN4vllm18Fp8KVCacheDataTypeE0ES0_Li16ELi128ELi256ELb0ELi9EEvPKT_PKT0_S8_ifPKiSA_SA_iPKfiiiPfSD_PS3_PT2_iSC_SC_
                                        ; -- End function
	.section	.AMDGPU.csdata,"",@progbits
; Kernel info:
; codeLenInByte = 4728
; NumSgprs: 48
; NumVgprs: 96
; NumAgprs: 0
; TotalNumVgprs: 96
; ScratchSize: 0
; MemoryBound: 0
; FloatMode: 240
; IeeeMode: 1
; LDSByteSize: 8192 bytes/workgroup (compile time only)
; SGPRBlocks: 5
; VGPRBlocks: 11
; NumSGPRsForWavesPerEU: 48
; NumVGPRsForWavesPerEU: 96
; AccumOffset: 96
; Occupancy: 5
; WaveLimiterHint : 1
; COMPUTE_PGM_RSRC2:SCRATCH_EN: 0
; COMPUTE_PGM_RSRC2:USER_SGPR: 2
; COMPUTE_PGM_RSRC2:TRAP_HANDLER: 0
; COMPUTE_PGM_RSRC2:TGID_X_EN: 1
; COMPUTE_PGM_RSRC2:TGID_Y_EN: 1
; COMPUTE_PGM_RSRC2:TGID_Z_EN: 1
; COMPUTE_PGM_RSRC2:TIDIG_COMP_CNT: 0
; COMPUTE_PGM_RSRC3_GFX90A:ACCUM_OFFSET: 23
; COMPUTE_PGM_RSRC3_GFX90A:TG_SPLIT: 0
	.section	.text._Z39paged_attention_ll4mi_QKV_mfma16_kernelI14__hip_bfloat16S0_LN4vllm18Fp8KVCacheDataTypeE0ES0_Li16ELi128ELi256ELb0ELi10EEvPKT_PKT0_S8_ifPKiSA_SA_iPKfiiiPfSD_PS3_PT2_iSC_SC_,"axG",@progbits,_Z39paged_attention_ll4mi_QKV_mfma16_kernelI14__hip_bfloat16S0_LN4vllm18Fp8KVCacheDataTypeE0ES0_Li16ELi128ELi256ELb0ELi10EEvPKT_PKT0_S8_ifPKiSA_SA_iPKfiiiPfSD_PS3_PT2_iSC_SC_,comdat
	.protected	_Z39paged_attention_ll4mi_QKV_mfma16_kernelI14__hip_bfloat16S0_LN4vllm18Fp8KVCacheDataTypeE0ES0_Li16ELi128ELi256ELb0ELi10EEvPKT_PKT0_S8_ifPKiSA_SA_iPKfiiiPfSD_PS3_PT2_iSC_SC_ ; -- Begin function _Z39paged_attention_ll4mi_QKV_mfma16_kernelI14__hip_bfloat16S0_LN4vllm18Fp8KVCacheDataTypeE0ES0_Li16ELi128ELi256ELb0ELi10EEvPKT_PKT0_S8_ifPKiSA_SA_iPKfiiiPfSD_PS3_PT2_iSC_SC_
	.globl	_Z39paged_attention_ll4mi_QKV_mfma16_kernelI14__hip_bfloat16S0_LN4vllm18Fp8KVCacheDataTypeE0ES0_Li16ELi128ELi256ELb0ELi10EEvPKT_PKT0_S8_ifPKiSA_SA_iPKfiiiPfSD_PS3_PT2_iSC_SC_
	.p2align	8
	.type	_Z39paged_attention_ll4mi_QKV_mfma16_kernelI14__hip_bfloat16S0_LN4vllm18Fp8KVCacheDataTypeE0ES0_Li16ELi128ELi256ELb0ELi10EEvPKT_PKT0_S8_ifPKiSA_SA_iPKfiiiPfSD_PS3_PT2_iSC_SC_,@function
_Z39paged_attention_ll4mi_QKV_mfma16_kernelI14__hip_bfloat16S0_LN4vllm18Fp8KVCacheDataTypeE0ES0_Li16ELi128ELi256ELb0ELi10EEvPKT_PKT0_S8_ifPKiSA_SA_iPKfiiiPfSD_PS3_PT2_iSC_SC_: ; @_Z39paged_attention_ll4mi_QKV_mfma16_kernelI14__hip_bfloat16S0_LN4vllm18Fp8KVCacheDataTypeE0ES0_Li16ELi128ELi256ELb0ELi10EEvPKT_PKT0_S8_ifPKiSA_SA_iPKfiiiPfSD_PS3_PT2_iSC_SC_
; %bb.0:
	s_load_dwordx2 s[8:9], s[0:1], 0x30
	s_mov_b32 s26, s3
	s_mov_b64 s[6:7], 0
	s_waitcnt lgkmcnt(0)
	s_cmp_lg_u64 s[8:9], 0
	s_cselect_b64 s[10:11], -1, 0
	s_and_b64 vcc, exec, s[10:11]
	s_cbranch_vccz .LBB677_7
; %bb.1:
	s_add_i32 s12, s2, 1
	s_mov_b32 s13, 0
	s_lshl_b64 s[14:15], s[12:13], 2
	s_add_u32 s14, s8, s14
	s_mov_b32 s3, s13
	s_addc_u32 s15, s9, s15
	s_lshl_b64 s[12:13], s[2:3], 2
	s_add_u32 s12, s8, s12
	s_addc_u32 s13, s9, s13
	s_load_dword s5, s[14:15], 0x0
	s_load_dword s16, s[12:13], 0x0
	s_waitcnt lgkmcnt(0)
	s_sub_i32 s5, s5, s16
	s_cmp_eq_u32 s5, 1
	s_cselect_b64 s[12:13], -1, 0
	s_andn2_b64 vcc, exec, s[6:7]
	s_cbranch_vccnz .LBB677_3
.LBB677_2:
	s_mov_b32 s3, 0
	s_mov_b64 s[12:13], -1
.LBB677_3:
	s_andn2_b64 vcc, exec, s[12:13]
	s_cbranch_vccnz .LBB677_18
; %bb.4:
	s_load_dwordx2 s[6:7], s[0:1], 0x28
	s_lshl_b64 s[16:17], s[2:3], 2
	s_waitcnt lgkmcnt(0)
	s_add_u32 s6, s6, s16
	s_addc_u32 s7, s7, s17
	s_load_dword s33, s[6:7], 0x0
	s_lshl_b32 s18, s26, 8
	s_waitcnt lgkmcnt(0)
	s_cmp_ge_i32 s18, s33
	s_cbranch_scc1 .LBB677_18
; %bb.5:
	s_load_dwordx2 s[6:7], s[0:1], 0x20
	s_load_dword s5, s[0:1], 0x38
	s_add_i32 s12, s33, 15
	s_ashr_i32 s13, s12, 31
	v_and_b32_e32 v1, 0xcf, v0
	s_lshr_b32 s13, s13, 28
	v_add_u32_e32 v1, s18, v1
	s_add_i32 s12, s12, s13
	v_ashrrev_i32_e32 v2, 31, v1
	s_ashr_i32 s19, s12, 4
	v_lshrrev_b32_e32 v4, 28, v2
	s_add_i32 s19, s19, -1
	s_waitcnt lgkmcnt(0)
	s_mul_i32 s12, s2, s5
	s_mov_b32 s13, 0
	v_add_u32_e32 v2, v1, v4
	s_lshl_b64 s[12:13], s[12:13], 2
	v_ashrrev_i32_e32 v2, 4, v2
	v_mov_b32_e32 v5, s19
	v_cmp_gt_i32_e32 vcc, s33, v1
	s_add_u32 s6, s6, s12
	s_addc_u32 s7, s7, s13
	v_cndmask_b32_e32 v2, v5, v2, vcc
	v_ashrrev_i32_e32 v3, 31, v2
	v_lshl_add_u64 v[6:7], v[2:3], 2, s[6:7]
	v_or_b32_e32 v2, 16, v1
	v_add_u32_e32 v3, v2, v4
	v_ashrrev_i32_e32 v3, 4, v3
	v_cmp_gt_i32_e32 vcc, s33, v2
	s_load_dwordx4 s[12:15], s[0:1], 0x8
	s_nop 0
	v_cndmask_b32_e32 v2, v5, v3, vcc
	v_ashrrev_i32_e32 v3, 31, v2
	v_lshl_add_u64 v[8:9], v[2:3], 2, s[6:7]
	v_or_b32_e32 v2, 32, v1
	v_add_u32_e32 v3, v2, v4
	v_ashrrev_i32_e32 v3, 4, v3
	v_cmp_gt_i32_e32 vcc, s33, v2
	v_or_b32_e32 v1, 48, v1
	s_nop 0
	v_cndmask_b32_e32 v2, v5, v3, vcc
	v_ashrrev_i32_e32 v3, 31, v2
	v_lshl_add_u64 v[10:11], v[2:3], 2, s[6:7]
	v_add_u32_e32 v2, v1, v4
	v_ashrrev_i32_e32 v2, 4, v2
	v_cmp_gt_i32_e32 vcc, s33, v1
	s_nop 1
	v_cndmask_b32_e32 v2, v5, v2, vcc
	v_ashrrev_i32_e32 v3, 31, v2
	v_lshl_add_u64 v[12:13], v[2:3], 2, s[6:7]
	global_load_dword v4, v[6:7], off
	global_load_dword v3, v[8:9], off
	global_load_dword v2, v[10:11], off
	global_load_dword v40, v[12:13], off
	s_andn2_b64 vcc, exec, s[10:11]
	s_cbranch_vccnz .LBB677_8
; %bb.6:
	s_add_u32 s8, s8, s16
	s_addc_u32 s9, s9, s17
	s_load_dword s5, s[8:9], 0x0
	s_branch .LBB677_9
.LBB677_7:
	s_mov_b64 s[12:13], 0
	s_branch .LBB677_2
.LBB677_8:
	s_mov_b32 s5, s2
.LBB677_9:
	s_load_dwordx4 s[8:11], s[0:1], 0x48
	v_lshrrev_b32_e32 v77, 6, v0
	v_bfe_u32 v86, v0, 4, 2
	v_and_b32_e32 v76, 15, v0
	v_lshl_or_b32 v1, v77, 2, v86
	v_lshlrev_b32_e32 v5, 3, v76
	v_and_b32_e32 v87, 63, v0
	s_mul_i32 s40, s4, 10
	v_cmp_gt_u32_e32 vcc, 10, v1
	v_lshlrev_b32_e32 v74, 1, v5
	s_and_saveexec_b64 s[16:17], vcc
	s_cbranch_execz .LBB677_11
; %bb.10:
	s_load_dwordx2 s[20:21], s[0:1], 0x0
	s_waitcnt lgkmcnt(0)
	s_ashr_i32 s11, s8, 31
	s_mul_hi_u32 s22, s5, s8
	s_mul_i32 s11, s5, s11
	s_add_i32 s23, s22, s11
	s_mul_i32 s22, s5, s8
	s_lshl_b64 s[22:23], s[22:23], 1
	s_add_u32 s20, s20, s22
	v_add_lshl_u32 v6, v1, s40, 7
	s_addc_u32 s21, s21, s23
	v_ashrrev_i32_e32 v7, 31, v6
	v_lshl_add_u64 v[6:7], v[6:7], 1, s[20:21]
	v_mov_b32_e32 v75, 0
	v_lshl_add_u64 v[6:7], v[6:7], 0, v[74:75]
	global_load_dwordx4 v[6:9], v[6:7], off
	v_and_b32_e32 v5, 3, v0
	v_lshlrev_b32_e32 v10, 9, v76
	v_lshlrev_b32_e32 v1, 5, v1
	;; [unrolled: 1-line block ×3, first 2 shown]
	v_and_b32_e32 v10, 0x1800, v10
	v_or3_b32 v1, v10, v5, v1
	s_waitcnt vmcnt(0)
	ds_write_b128 v1, v[6:9]
.LBB677_11:
	s_or_b64 exec, exec, s[16:17]
	s_waitcnt lgkmcnt(0)
	s_mul_i32 s4, s4, s10
	s_mov_b32 s5, 0
	s_lshl_b64 s[4:5], s[4:5], 1
	s_add_u32 s10, s12, s4
	v_lshlrev_b32_e32 v1, 4, v0
	s_addc_u32 s11, s13, s5
	v_and_b32_e32 v34, 0xf0, v1
	v_mov_b32_e32 v35, 0
	v_lshl_add_u64 v[30:31], s[10:11], 0, v[34:35]
	s_waitcnt vmcnt(3)
	v_mad_i64_i32 v[4:5], s[10:11], v4, s9, 0
	v_lshl_add_u64 v[4:5], v[4:5], 1, v[30:31]
	v_and_b32_e32 v34, 0x300, v1
	v_lshl_add_u64 v[32:33], v[4:5], 0, v[34:35]
	s_load_dword s27, s[0:1], 0x98
	s_load_dword s8, s[0:1], 0x1c
	s_waitcnt lgkmcnt(0)
	s_barrier
	global_load_dwordx4 v[6:9], v[32:33], off
	global_load_dwordx4 v[18:21], v[32:33], off offset:1024
	s_waitcnt vmcnt(4)
	v_mad_i64_i32 v[4:5], s[10:11], v3, s9, 0
	s_waitcnt vmcnt(3)
	v_mad_i64_i32 v[2:3], s[10:11], v2, s9, 0
	v_lshl_add_u64 v[4:5], v[4:5], 1, v[30:31]
	v_lshl_add_u64 v[2:3], v[2:3], 1, v[30:31]
	v_lshl_add_u64 v[36:37], v[4:5], 0, v[34:35]
	v_lshl_add_u64 v[38:39], v[2:3], 0, v[34:35]
	global_load_dwordx4 v[14:17], v[36:37], off
	global_load_dwordx4 v[22:25], v[36:37], off offset:1024
	global_load_dwordx4 v[26:29], v[38:39], off
	global_load_dwordx4 v[46:49], v[38:39], off offset:1024
	v_add_u32_e32 v2, -10, v76
	v_cmp_gt_u32_e32 vcc, 10, v76
	global_load_dwordx4 v[54:57], v[32:33], off offset:2048
	global_load_dwordx4 v[62:65], v[36:37], off offset:2048
	v_cndmask_b32_e32 v2, v2, v76, vcc
	v_lshlrev_b32_e32 v2, 5, v2
	v_lshl_add_u32 v41, v86, 9, v2
	ds_read_b128 v[10:13], v41
	ds_read_b128 v[2:5], v41 offset:2048
	v_mov_b32_e32 v70, s19
	s_add_u32 s4, s14, s4
	s_addc_u32 s5, s15, s5
	s_mov_b32 s41, 0xff7fffff
	s_waitcnt vmcnt(7) lgkmcnt(1)
	v_mfma_f32_16x16x16_bf16 v[42:45], v[6:7], v[10:11], 0
	v_mfma_f32_16x16x16_bf16 v[6:9], v[8:9], v[12:13], v[42:45]
	s_nop 5
	global_load_dwordx4 v[42:45], v[38:39], off offset:2048
	s_waitcnt vmcnt(6)
	v_mfma_f32_16x16x16_bf16 v[50:53], v[14:15], v[10:11], 0
	s_waitcnt vmcnt(4)
	v_mfma_f32_16x16x16_bf16 v[58:61], v[26:27], v[10:11], 0
	v_mfma_f32_16x16x16_bf16 v[14:17], v[16:17], v[12:13], v[50:53]
	;; [unrolled: 1-line block ×3, first 2 shown]
	s_nop 2
	global_load_dwordx4 v[50:53], v[32:33], off offset:3072
	v_mad_i64_i32 v[32:33], s[10:11], v40, s9, 0
	s_waitcnt lgkmcnt(0)
	v_mfma_f32_16x16x16_bf16 v[6:9], v[18:19], v[2:3], v[6:9]
	v_and_or_b32 v40, v0, 48, s18
	v_ashrrev_i32_e32 v58, 4, v40
	v_cmp_gt_i32_e32 vcc, s33, v40
	v_mfma_f32_16x16x16_bf16 v[14:17], v[22:23], v[2:3], v[14:17]
	v_or_b32_e32 v66, 64, v40
	v_cndmask_b32_e32 v22, v70, v58, vcc
	v_ashrrev_i32_e32 v23, 31, v22
	s_waitcnt vmcnt(4)
	v_mfma_f32_16x16x16_bf16 v[26:29], v[46:47], v[2:3], v[26:29]
	v_or_b32_e32 v71, 0x80, v40
	v_or_b32_e32 v72, 0xc0, v40
	v_ashrrev_i32_e32 v40, 4, v66
	v_mfma_f32_16x16x16_bf16 v[6:9], v[20:21], v[4:5], v[6:9]
	global_load_dwordx4 v[18:21], v[38:39], off offset:3072
	v_cmp_gt_i32_e32 vcc, s33, v66
	v_lshl_add_u64 v[22:23], v[22:23], 2, s[6:7]
	global_load_dwordx4 v[58:61], v[36:37], off offset:3072
	v_cndmask_b32_e32 v36, v70, v40, vcc
	v_mfma_f32_16x16x16_bf16 v[14:17], v[24:25], v[4:5], v[14:17]
	global_load_dword v78, v[22:23], off
	ds_read_b128 v[66:69], v41 offset:4096
	v_ashrrev_i32_e32 v37, 31, v36
	v_mfma_f32_16x16x16_bf16 v[22:25], v[48:49], v[4:5], v[26:29]
	v_ashrrev_i32_e32 v73, 4, v71
	v_cmp_gt_i32_e32 vcc, s33, v71
	v_ashrrev_i32_e32 v75, 4, v72
	v_lshl_add_u64 v[26:27], v[32:33], 1, v[30:31]
	v_lshl_add_u64 v[26:27], v[26:27], 0, v[34:35]
	;; [unrolled: 1-line block ×3, first 2 shown]
	global_load_dwordx4 v[46:49], v[26:27], off
	global_load_dword v36, v[28:29], off
	s_waitcnt vmcnt(8) lgkmcnt(0)
	v_mfma_f32_16x16x16_bf16 v[6:9], v[54:55], v[66:67], v[6:9]
	v_cndmask_b32_e32 v28, v70, v73, vcc
	v_ashrrev_i32_e32 v29, 31, v28
	v_lshl_add_u64 v[28:29], v[28:29], 2, s[6:7]
	v_mfma_f32_16x16x16_bf16 v[6:9], v[56:57], v[68:69], v[6:9]
	global_load_dwordx4 v[54:57], v[26:27], off offset:1024
	v_cmp_gt_i32_e32 vcc, s33, v72
	global_load_dword v84, v[28:29], off
	s_waitcnt vmcnt(9)
	v_mfma_f32_16x16x16_bf16 v[14:17], v[62:63], v[66:67], v[14:17]
	v_cndmask_b32_e32 v28, v70, v75, vcc
	v_ashrrev_i32_e32 v29, 31, v28
	v_lshl_add_u64 v[28:29], v[28:29], 2, s[6:7]
	v_mfma_f32_16x16x16_bf16 v[14:17], v[64:65], v[68:69], v[14:17]
	global_load_dword v64, v[28:29], off
	ds_read_b128 v[38:41], v41 offset:6144
	v_lshl_or_b32 v75, v77, 4, v76
	v_lshlrev_b32_e32 v34, 5, v75
	v_lshl_add_u64 v[62:63], s[4:5], 0, v[34:35]
	v_or_b32_e32 v34, 0x800, v34
	s_waitcnt vmcnt(9)
	v_mfma_f32_16x16x16_bf16 v[22:25], v[42:43], v[66:67], v[22:25]
	global_load_dwordx4 v[70:73], v[26:27], off offset:3072
	v_mfma_f32_16x16x16_bf16 v[22:25], v[44:45], v[68:69], v[22:25]
	global_load_dwordx4 v[42:45], v[26:27], off offset:2048
	s_waitcnt vmcnt(10) lgkmcnt(0)
	v_mfma_f32_16x16x16_bf16 v[6:9], v[50:51], v[38:39], v[6:9]
	s_waitcnt vmcnt(9)
	v_mfma_f32_16x16x16_bf16 v[22:25], v[18:19], v[38:39], v[22:25]
	s_waitcnt vmcnt(7)
	v_mad_i64_i32 v[18:19], s[6:7], v78, s9, 0
	v_lshlrev_b64 v[82:83], 1, v[18:19]
	v_mfma_f32_16x16x16_bf16 v[78:81], v[52:53], v[40:41], v[6:9]
	s_nop 2
	v_lshl_add_u64 v[6:7], v[62:63], 0, v[82:83]
	global_load_dwordx4 v[30:33], v[6:7], off
	global_load_dwordx4 v[26:29], v[6:7], off offset:16
	v_mfma_f32_16x16x16_bf16 v[88:91], v[20:21], v[40:41], v[22:25]
	s_waitcnt vmcnt(7)
	v_mad_i64_i32 v[6:7], s[6:7], v36, s9, 0
	v_lshlrev_b64 v[36:37], 1, v[6:7]
	v_lshl_add_u64 v[6:7], v[62:63], 0, v[36:37]
	global_load_dwordx4 v[22:25], v[6:7], off
	global_load_dwordx4 v[18:21], v[6:7], off offset:16
	v_mfma_f32_16x16x16_bf16 v[6:9], v[46:47], v[10:11], 0
	s_waitcnt vmcnt(7)
	v_mad_i64_i32 v[10:11], s[6:7], v84, s9, 0
	v_mfma_f32_16x16x16_bf16 v[6:9], v[48:49], v[12:13], v[6:9]
	v_lshlrev_b64 v[50:51], 1, v[10:11]
	v_lshl_add_u64 v[10:11], v[62:63], 0, v[50:51]
	v_mfma_f32_16x16x16_bf16 v[6:9], v[54:55], v[2:3], v[6:9]
	s_waitcnt vmcnt(6)
	v_mad_i64_i32 v[2:3], s[6:7], v64, s9, 0
	v_lshlrev_b64 v[52:53], 1, v[2:3]
	v_mfma_f32_16x16x16_bf16 v[46:49], v[56:57], v[4:5], v[6:9]
	v_lshl_add_u64 v[2:3], v[62:63], 0, v[52:53]
	v_pk_mul_f32 v[62:63], s[8:9], v[78:79] op_sel_hi:[0,1]
	v_lshl_add_u64 v[64:65], s[4:5], 0, v[34:35]
	v_mfma_f32_16x16x16_bf16 v[14:17], v[58:59], v[38:39], v[14:17]
	v_lshl_add_u64 v[34:35], v[64:65], 0, v[82:83]
	v_pk_mul_f32 v[82:83], s[8:9], v[80:81] op_sel_hi:[0,1]
	v_pk_mul_f32 v[78:79], s[8:9], v[88:89] op_sel_hi:[0,1]
	v_mfma_f32_16x16x16_bf16 v[58:61], v[60:61], v[40:41], v[14:17]
	v_pk_mul_f32 v[80:81], s[8:9], v[90:91] op_sel_hi:[0,1]
	s_nop 1
	global_load_dwordx4 v[14:17], v[10:11], off
	s_nop 0
	global_load_dwordx4 v[10:13], v[10:11], off offset:16
	s_nop 0
	global_load_dwordx4 v[6:9], v[2:3], off
	s_nop 0
	global_load_dwordx4 v[2:5], v[2:3], off offset:16
	s_waitcnt vmcnt(8)
	v_mfma_f32_16x16x16_bf16 v[46:49], v[42:43], v[66:67], v[46:49]
	v_pk_mul_f32 v[84:85], s[8:9], v[60:61] op_sel_hi:[0,1]
	v_lshl_add_u64 v[50:51], v[64:65], 0, v[50:51]
	v_mfma_f32_16x16x16_bf16 v[42:45], v[44:45], v[68:69], v[46:49]
	v_mfma_f32_16x16x16_bf16 v[42:45], v[70:71], v[38:39], v[42:45]
	v_pk_mul_f32 v[70:71], s[8:9], v[58:59] op_sel_hi:[0,1]
	v_mfma_f32_16x16x16_bf16 v[38:41], v[72:73], v[40:41], v[42:45]
	s_nop 6
	v_pk_mul_f32 v[72:73], s[8:9], v[38:39] op_sel_hi:[0,1]
	v_and_b32_e32 v38, 0xc0, v0
	v_add_u32_e32 v38, s18, v38
	v_lshl_or_b32 v38, v86, 2, v38
	v_pk_mul_f32 v[66:67], s[8:9], v[40:41] op_sel_hi:[0,1]
	v_or_b32_e32 v41, 1, v38
	v_mov_b32_e32 v39, 0xff7fffff
	v_cmp_gt_i32_e64 s[28:29], s33, v38
	v_cmp_gt_i32_e64 s[30:31], s33, v41
	v_or_b32_e32 v42, 3, v38
	v_cndmask_b32_e64 v40, v39, v62, s[28:29]
	v_cndmask_b32_e64 v41, v39, v63, s[30:31]
	v_max3_f32 v40, v40, s41, v41
	v_or_b32_e32 v41, 2, v38
	v_cmp_gt_i32_e64 s[34:35], s33, v41
	v_cmp_gt_i32_e64 s[36:37], s33, v42
	s_nop 0
	v_cndmask_b32_e64 v41, v39, v82, s[34:35]
	v_cndmask_b32_e64 v42, v39, v83, s[36:37]
	v_max3_f32 v40, v40, v41, v42
	v_or_b32_e32 v41, 16, v38
	v_or_b32_e32 v42, 17, v38
	v_cmp_gt_i32_e64 s[22:23], s33, v41
	v_cmp_gt_i32_e64 s[24:25], s33, v42
	s_nop 0
	v_cndmask_b32_e64 v41, v39, v70, s[22:23]
	v_cndmask_b32_e64 v42, v39, v71, s[24:25]
	v_max3_f32 v40, v40, v41, v42
	v_or_b32_e32 v41, 18, v38
	;; [unrolled: 8-line block ×6, first 2 shown]
	v_or_b32_e32 v38, 51, v38
	v_cmp_gt_i32_e32 vcc, s33, v41
	v_cmp_gt_i32_e64 s[4:5], s33, v38
	s_nop 0
	v_cndmask_b32_e32 v41, v39, v66, vcc
	v_cndmask_b32_e64 v38, v39, v67, s[4:5]
	v_max3_f32 v54, v40, v41, v38
	v_mbcnt_lo_u32_b32 v38, -1, 0
	v_mbcnt_hi_u32_b32 v55, -1, v38
	v_and_b32_e32 v38, 64, v55
	v_add_u32_e32 v56, 64, v38
	v_xor_b32_e32 v38, 32, v55
	v_cmp_lt_i32_e64 s[38:39], v38, v56
	s_nop 1
	v_cndmask_b32_e64 v38, v55, v38, s[38:39]
	v_lshlrev_b32_e32 v89, 2, v38
	ds_bpermute_b32 v57, v89, v54
	global_load_dwordx4 v[46:49], v[34:35], off
	global_load_dwordx4 v[38:41], v[34:35], off offset:16
	v_lshl_add_u64 v[34:35], v[64:65], 0, v[36:37]
	global_load_dwordx4 v[42:45], v[34:35], off
	s_nop 0
	global_load_dwordx4 v[34:37], v[34:35], off offset:16
	s_waitcnt lgkmcnt(0)
	v_max_f32_e32 v57, v57, v57
	v_max_f32_e32 v68, v54, v57
	v_xor_b32_e32 v54, 16, v55
	v_cmp_lt_i32_e64 s[38:39], v54, v56
	s_nop 1
	v_cndmask_b32_e64 v54, v55, v54, s[38:39]
	v_lshlrev_b32_e32 v90, 2, v54
	ds_bpermute_b32 v69, v90, v68
	global_load_dwordx4 v[58:61], v[50:51], off
	global_load_dwordx4 v[54:57], v[50:51], off offset:16
	v_lshl_add_u64 v[50:51], v[64:65], 0, v[52:53]
	s_waitcnt lgkmcnt(0)
	v_max_f32_e32 v52, v69, v69
	v_max_f32_e32 v88, v68, v52
	v_sub_f32_e32 v52, v62, v88
	v_mul_f32_e32 v52, 0x3fb8aa3b, v52
	v_exp_f32_e32 v68, v52
	v_sub_f32_e32 v52, v63, v88
	v_mul_f32_e32 v52, 0x3fb8aa3b, v52
	v_exp_f32_e32 v69, v52
	global_load_dwordx4 v[62:65], v[50:51], off
	s_nop 0
	global_load_dwordx4 v[50:53], v[50:51], off offset:16
	v_sub_f32_e32 v82, v82, v88
	v_mul_f32_e32 v82, 0x3fb8aa3b, v82
	v_sub_f32_e32 v83, v83, v88
	v_exp_f32_e32 v82, v82
	v_mul_f32_e32 v83, 0x3fb8aa3b, v83
	v_sub_f32_e32 v70, v70, v88
	v_exp_f32_e32 v83, v83
	v_mul_f32_e32 v70, 0x3fb8aa3b, v70
	v_sub_f32_e32 v71, v71, v88
	v_cndmask_b32_e64 v68, 0, v68, s[28:29]
	v_exp_f32_e32 v70, v70
	v_mul_f32_e32 v71, 0x3fb8aa3b, v71
	v_sub_f32_e32 v84, v84, v88
	v_add_f32_e32 v91, 0, v68
	v_cndmask_b32_e64 v69, 0, v69, s[30:31]
	v_exp_f32_e32 v71, v71
	v_mul_f32_e32 v84, 0x3fb8aa3b, v84
	v_sub_f32_e32 v85, v85, v88
	v_add_f32_e32 v91, v91, v69
	;; [unrolled: 5-line block ×10, first 2 shown]
	v_cndmask_b32_e64 v80, 0, v80, s[10:11]
	v_exp_f32_e32 v66, v66
	v_mul_f32_e32 v67, 0x3fb8aa3b, v67
	v_add_f32_e32 v91, v91, v80
	v_cndmask_b32_e64 v81, 0, v81, s[12:13]
	v_exp_f32_e32 v67, v67
	v_add_f32_e32 v91, v91, v81
	v_cndmask_b32_e64 v72, 0, v72, s[6:7]
	v_add_f32_e32 v91, v91, v72
	v_cndmask_b32_e64 v73, 0, v73, s[8:9]
	v_add_f32_e32 v91, v91, v73
	v_cndmask_b32_e32 v66, 0, v66, vcc
	v_add_f32_e32 v91, v91, v66
	v_cndmask_b32_e64 v67, 0, v67, s[4:5]
	v_add_f32_e32 v91, v91, v67
	ds_bpermute_b32 v89, v89, v91
	v_cmp_gt_u32_e32 vcc, 16, v87
	s_waitcnt lgkmcnt(0)
	s_barrier
	v_add_f32_e32 v89, v91, v89
	ds_bpermute_b32 v90, v90, v89
	s_and_saveexec_b64 s[4:5], vcc
	s_cbranch_execz .LBB677_13
; %bb.12:
	s_waitcnt lgkmcnt(0)
	v_add_f32_e32 v87, v89, v90
	v_lshlrev_b32_e32 v75, 2, v75
	ds_write2st64_b32 v75, v88, v87 offset1:1
.LBB677_13:
	s_or_b64 exec, exec, s[4:5]
	v_lshlrev_b32_e32 v75, 2, v76
	s_load_dword s6, s[0:1], 0x94
	s_waitcnt lgkmcnt(0)
	s_barrier
	ds_read2_b32 v[88:89], v75 offset1:16
	ds_read2_b32 v[90:91], v75 offset0:32 offset1:48
	ds_read2_b32 v[92:93], v75 offset0:64 offset1:80
	ds_read2_b32 v[94:95], v75 offset0:96 offset1:112
	s_movk_i32 s8, 0x7fff
	s_waitcnt lgkmcnt(3)
	v_max3_f32 v87, v88, s41, v89
	s_waitcnt lgkmcnt(2)
	v_max3_f32 v87, v87, v90, v91
	v_sub_f32_e32 v88, v88, v87
	v_mul_f32_e32 v88, 0x3fb8aa3b, v88
	v_exp_f32_e32 v1, v88
	v_sub_f32_e32 v88, v89, v87
	v_mul_f32_e32 v88, 0x3fb8aa3b, v88
	v_exp_f32_e32 v89, v88
	v_sub_f32_e32 v88, v90, v87
	v_mul_f32_e32 v88, 0x3fb8aa3b, v88
	v_sub_f32_e32 v75, v91, v87
	v_exp_f32_e32 v90, v88
	v_mul_f32_e32 v75, 0x3fb8aa3b, v75
	v_exp_f32_e32 v75, v75
	s_waitcnt lgkmcnt(1)
	v_fma_f32 v88, v1, v92, 0
	v_fmac_f32_e32 v88, v89, v93
	s_waitcnt lgkmcnt(0)
	v_fmac_f32_e32 v88, v90, v94
	v_fmac_f32_e32 v88, v75, v95
	v_add_f32_e32 v91, 0x358637bd, v88
	v_div_scale_f32 v92, s[4:5], v91, v91, 1.0
	v_rcp_f32_e32 v93, v92
	s_mov_b32 s9, 0x7060302
	s_barrier
	v_fma_f32 v94, -v92, v93, 1.0
	v_fmac_f32_e32 v93, v94, v93
	v_div_scale_f32 v94, vcc, 1.0, v91, 1.0
	v_mul_f32_e32 v95, v94, v93
	v_fma_f32 v86, -v92, v95, v94
	v_fmac_f32_e32 v95, v86, v93
	v_fma_f32 v86, -v92, v95, v94
	v_div_fmas_f32 v86, v86, v93, v95
	v_cmp_eq_u32_e32 vcc, 1, v77
	v_div_fixup_f32 v86, v86, v91, 1.0
	s_nop 0
	v_cndmask_b32_e32 v1, v1, v89, vcc
	v_cmp_eq_u32_e32 vcc, 2, v77
	s_mul_i32 s7, s27, 10
	s_nop 0
	v_cndmask_b32_e32 v1, v1, v90, vcc
	v_cmp_eq_u32_e32 vcc, 3, v77
	s_nop 1
	v_cndmask_b32_e32 v1, v1, v75, vcc
	v_mul_f32_e32 v90, v1, v86
	v_pk_mul_f32 v[68:69], v[90:91], v[68:69] op_sel_hi:[0,1]
	v_bfe_u32 v1, v69, 16, 1
	v_bfe_u32 v75, v68, 16, 1
	v_pk_mul_f32 v[82:83], v[90:91], v[82:83] op_sel_hi:[0,1]
	v_add3_u32 v68, v68, v75, s8
	v_add3_u32 v1, v69, v1, s8
	v_perm_b32 v92, v1, v68, s9
	v_bfe_u32 v1, v83, 16, 1
	v_bfe_u32 v68, v82, 16, 1
	v_add3_u32 v68, v82, v68, s8
	v_add3_u32 v1, v83, v1, s8
	v_bfe_u32 v86, v0, 4, 2
	v_perm_b32 v93, v1, v68, s9
	v_lshlrev_b32_e32 v1, 3, v86
	v_lshlrev_b32_e32 v68, 5, v76
	;; [unrolled: 1-line block ×3, first 2 shown]
	v_pk_mul_f32 v[70:71], v[90:91], v[70:71] op_sel_hi:[0,1]
	v_or3_b32 v75, v69, v68, v1
	v_bfe_u32 v1, v71, 16, 1
	v_bfe_u32 v69, v70, 16, 1
	v_pk_mul_f32 v[82:83], v[90:91], v[84:85] op_sel_hi:[0,1]
	v_add3_u32 v69, v70, v69, s8
	v_add3_u32 v1, v71, v1, s8
	v_perm_b32 v70, v1, v69, s9
	v_bfe_u32 v1, v83, 16, 1
	v_bfe_u32 v69, v82, 16, 1
	v_add3_u32 v69, v82, v69, s8
	v_add3_u32 v1, v83, v1, s8
	v_pk_mul_f32 v[78:79], v[90:91], v[78:79] op_sel_hi:[0,1]
	v_perm_b32 v71, v1, v69, s9
	v_bfe_u32 v1, v79, 16, 1
	v_bfe_u32 v69, v78, 16, 1
	ds_write2st64_b64 v75, v[92:93], v[70:71] offset1:1
	v_pk_mul_f32 v[70:71], v[90:91], v[80:81] op_sel_hi:[0,1]
	v_add3_u32 v69, v78, v69, s8
	v_add3_u32 v1, v79, v1, s8
	v_perm_b32 v78, v1, v69, s9
	v_bfe_u32 v1, v71, 16, 1
	v_bfe_u32 v69, v70, 16, 1
	v_add3_u32 v69, v70, v69, s8
	v_add3_u32 v1, v71, v1, s8
	v_pk_mul_f32 v[70:71], v[90:91], v[72:73] op_sel_hi:[0,1]
	v_perm_b32 v79, v1, v69, s9
	v_bfe_u32 v1, v71, 16, 1
	v_bfe_u32 v69, v70, 16, 1
	v_pk_mul_f32 v[66:67], v[90:91], v[66:67] op_sel_hi:[0,1]
	v_add3_u32 v69, v70, v69, s8
	v_add3_u32 v1, v71, v1, s8
	v_perm_b32 v70, v1, v69, s9
	v_bfe_u32 v1, v67, 16, 1
	v_bfe_u32 v69, v66, 16, 1
	v_add3_u32 v66, v66, v69, s8
	v_add3_u32 v1, v67, v1, s8
	v_perm_b32 v71, v1, v66, s9
	v_cmp_gt_u32_e32 vcc, 10, v0
	ds_write2st64_b64 v75, v[78:79], v[70:71] offset0:2 offset1:3
	s_and_saveexec_b64 s[4:5], vcc
	s_cbranch_execz .LBB677_15
; %bb.14:
	s_mov_b32 s41, 0
	v_mov_b32_e32 v77, 0
	v_lshl_add_u64 v[66:67], s[40:41], 0, v[76:77]
	v_mov_b32_e32 v1, s7
	v_mad_u64_u32 v[66:67], s[10:11], s2, v1, v[66:67]
	s_mul_i32 s3, s3, s7
	v_mov_b32_e32 v70, s26
	v_mov_b32_e32 v71, v77
	s_load_dwordx4 s[12:15], s[0:1], 0x58
	v_add_u32_e32 v1, s3, v67
	v_mad_u64_u32 v[66:67], s[10:11], v66, s6, v[70:71]
	v_mov_b32_e32 v70, v67
	v_mad_u64_u32 v[70:71], s[10:11], v1, s6, v[70:71]
	v_mov_b32_e32 v67, v70
	v_lshlrev_b64 v[66:67], 2, v[66:67]
	s_waitcnt lgkmcnt(0)
	v_lshl_add_u64 v[70:71], s[14:15], 0, v[66:67]
	v_lshl_add_u64 v[66:67], s[12:13], 0, v[66:67]
	global_store_dword v[70:71], v87, off
	global_store_dword v[66:67], v88, off
.LBB677_15:
	s_or_b64 exec, exec, s[4:5]
	v_lshl_or_b32 v1, v86, 9, v68
	s_waitcnt lgkmcnt(0)
	s_barrier
	ds_read_b128 v[70:73], v1
	ds_read_b128 v[66:69], v1 offset:16
	s_waitcnt vmcnt(15) lgkmcnt(1)
	v_mfma_f32_16x16x16_bf16 v[78:81], v[30:31], v[70:71], 0
	s_mov_b32 s3, 0
	v_cmp_gt_u32_e32 vcc, 64, v0
	v_mfma_f32_16x16x16_bf16 v[30:33], v[32:33], v[72:73], v[78:81]
	s_waitcnt vmcnt(14) lgkmcnt(0)
	v_mfma_f32_16x16x16_bf16 v[30:33], v[26:27], v[66:67], v[30:33]
	v_mfma_f32_16x16x16_bf16 v[26:29], v[28:29], v[68:69], v[30:33]
	s_nop 5
	ds_read_b128 v[30:33], v1 offset:2048
	ds_read_b128 v[78:81], v1 offset:2064
	s_waitcnt vmcnt(13) lgkmcnt(1)
	v_mfma_f32_16x16x16_bf16 v[26:29], v[22:23], v[30:31], v[26:29]
	v_mfma_f32_16x16x16_bf16 v[22:25], v[24:25], v[32:33], v[26:29]
	s_waitcnt vmcnt(12) lgkmcnt(0)
	v_mfma_f32_16x16x16_bf16 v[22:25], v[18:19], v[78:79], v[22:25]
	v_mfma_f32_16x16x16_bf16 v[18:21], v[20:21], v[80:81], v[22:25]
	s_nop 5
	ds_read_b128 v[22:25], v1 offset:4096
	ds_read_b128 v[26:29], v1 offset:4112
	s_waitcnt vmcnt(11) lgkmcnt(1)
	v_mfma_f32_16x16x16_bf16 v[18:21], v[14:15], v[22:23], v[18:21]
	v_mfma_f32_16x16x16_bf16 v[14:17], v[16:17], v[24:25], v[18:21]
	s_waitcnt vmcnt(10) lgkmcnt(0)
	v_mfma_f32_16x16x16_bf16 v[14:17], v[10:11], v[26:27], v[14:17]
	v_mfma_f32_16x16x16_bf16 v[10:13], v[12:13], v[28:29], v[14:17]
	s_nop 5
	ds_read_b128 v[14:17], v1 offset:6144
	ds_read_b128 v[18:21], v1 offset:6160
	s_waitcnt lgkmcnt(0)
	s_barrier
	s_waitcnt vmcnt(9)
	v_mfma_f32_16x16x16_bf16 v[10:13], v[6:7], v[14:15], v[10:13]
	v_mfma_f32_16x16x16_bf16 v[6:9], v[8:9], v[16:17], v[10:13]
	s_waitcnt vmcnt(8)
	v_mfma_f32_16x16x16_bf16 v[6:9], v[2:3], v[18:19], v[6:9]
	v_mfma_f32_16x16x16_bf16 v[2:5], v[4:5], v[20:21], v[6:9]
	;; [unrolled: 3-line block ×3, first 2 shown]
	s_nop 3
	v_bfe_u32 v1, v3, 16, 1
	v_bfe_u32 v10, v2, 16, 1
	v_add3_u32 v2, v2, v10, s8
	s_waitcnt vmcnt(6)
	v_mfma_f32_16x16x16_bf16 v[6:9], v[38:39], v[66:67], v[6:9]
	v_add3_u32 v1, v3, v1, s8
	v_perm_b32 v10, v1, v2, s9
	v_bfe_u32 v1, v5, 16, 1
	v_mfma_f32_16x16x16_bf16 v[6:9], v[40:41], v[68:69], v[6:9]
	v_bfe_u32 v2, v4, 16, 1
	v_add3_u32 v2, v4, v2, s8
	v_add3_u32 v1, v5, v1, s8
	s_waitcnt vmcnt(5)
	v_mfma_f32_16x16x16_bf16 v[6:9], v[42:43], v[30:31], v[6:9]
	v_perm_b32 v11, v1, v2, s9
	v_mfma_f32_16x16x16_bf16 v[6:9], v[44:45], v[32:33], v[6:9]
	s_waitcnt vmcnt(4)
	v_mfma_f32_16x16x16_bf16 v[6:9], v[34:35], v[78:79], v[6:9]
	v_mfma_f32_16x16x16_bf16 v[6:9], v[36:37], v[80:81], v[6:9]
	s_waitcnt vmcnt(3)
	v_mfma_f32_16x16x16_bf16 v[6:9], v[58:59], v[22:23], v[6:9]
	;; [unrolled: 3-line block ×5, first 2 shown]
	v_mfma_f32_16x16x16_bf16 v[2:5], v[52:53], v[20:21], v[6:9]
	s_nop 6
	v_bfe_u32 v1, v3, 16, 1
	v_bfe_u32 v6, v2, 16, 1
	v_add3_u32 v2, v2, v6, s8
	v_add3_u32 v1, v3, v1, s8
	v_perm_b32 v2, v1, v2, s9
	v_bfe_u32 v1, v5, 16, 1
	v_bfe_u32 v3, v4, 16, 1
	v_add3_u32 v3, v4, v3, s8
	v_add3_u32 v1, v5, v1, s8
	v_perm_b32 v3, v1, v3, s9
	ds_write2st64_b64 v75, v[10:11], v[2:3] offset1:1
	s_waitcnt lgkmcnt(0)
	s_barrier
	s_and_saveexec_b64 s[4:5], vcc
	s_cbranch_execz .LBB677_18
; %bb.16:
	s_load_dwordx2 s[4:5], s[0:1], 0x68
	s_lshl_b32 s0, s6, 7
	s_mul_i32 s1, s7, s2
	v_lshlrev_b32_e32 v3, 6, v76
	s_mul_hi_u32 s7, s1, s0
	s_mul_i32 s6, s1, s0
	v_lshlrev_b32_e32 v2, 4, v0
	v_lshl_or_b32 v0, v0, 10, v3
	s_lshl_b64 s[6:7], s[6:7], 1
	v_lshlrev_b32_e32 v1, 5, v86
	v_and_b32_e32 v2, 16, v2
	v_and_b32_e32 v0, 0x1a00, v0
	s_waitcnt lgkmcnt(0)
	s_add_u32 s1, s4, s6
	v_or3_b32 v2, v0, v1, v2
	s_addc_u32 s4, s5, s7
	s_lshl_b32 s2, s26, 7
	s_lshl_b64 s[2:3], s[2:3], 1
	ds_read_b128 v[4:7], v2 offset:128
	ds_read_b128 v[8:11], v2
	s_add_u32 s2, s1, s2
	s_addc_u32 s3, s4, s3
	v_mov_b32_e32 v75, 0
	v_add_u32_e32 v14, s40, v86
	v_lshl_add_u64 v[0:1], s[2:3], 0, v[74:75]
	v_mad_u64_u32 v[12:13], s[2:3], v14, s0, 0
	v_lshl_add_u64 v[12:13], v[12:13], 1, v[0:1]
	s_waitcnt lgkmcnt(0)
	global_store_dwordx4 v[12:13], v[8:11], off
	v_or_b32_e32 v3, 8, v86
	v_cmp_gt_u32_e32 vcc, 10, v3
	v_add_u32_e32 v8, 4, v14
	v_mad_u64_u32 v[8:9], s[2:3], v8, s0, 0
	v_lshl_add_u64 v[8:9], v[8:9], 1, v[0:1]
	global_store_dwordx4 v[8:9], v[4:7], off
	s_and_b64 exec, exec, vcc
	s_cbranch_execz .LBB677_18
; %bb.17:
	ds_read_b128 v[4:7], v2 offset:256
	v_add_u32_e32 v2, s40, v3
	v_mad_u64_u32 v[2:3], s[0:1], v2, s0, 0
	v_lshl_add_u64 v[0:1], v[2:3], 1, v[0:1]
	s_waitcnt lgkmcnt(0)
	global_store_dwordx4 v[0:1], v[4:7], off
.LBB677_18:
	s_endpgm
	.section	.rodata,"a",@progbits
	.p2align	6, 0x0
	.amdhsa_kernel _Z39paged_attention_ll4mi_QKV_mfma16_kernelI14__hip_bfloat16S0_LN4vllm18Fp8KVCacheDataTypeE0ES0_Li16ELi128ELi256ELb0ELi10EEvPKT_PKT0_S8_ifPKiSA_SA_iPKfiiiPfSD_PS3_PT2_iSC_SC_
		.amdhsa_group_segment_fixed_size 8192
		.amdhsa_private_segment_fixed_size 0
		.amdhsa_kernarg_size 400
		.amdhsa_user_sgpr_count 2
		.amdhsa_user_sgpr_dispatch_ptr 0
		.amdhsa_user_sgpr_queue_ptr 0
		.amdhsa_user_sgpr_kernarg_segment_ptr 1
		.amdhsa_user_sgpr_dispatch_id 0
		.amdhsa_user_sgpr_kernarg_preload_length 0
		.amdhsa_user_sgpr_kernarg_preload_offset 0
		.amdhsa_user_sgpr_private_segment_size 0
		.amdhsa_uses_dynamic_stack 0
		.amdhsa_enable_private_segment 0
		.amdhsa_system_sgpr_workgroup_id_x 1
		.amdhsa_system_sgpr_workgroup_id_y 1
		.amdhsa_system_sgpr_workgroup_id_z 1
		.amdhsa_system_sgpr_workgroup_info 0
		.amdhsa_system_vgpr_workitem_id 0
		.amdhsa_next_free_vgpr 96
		.amdhsa_next_free_sgpr 42
		.amdhsa_accum_offset 96
		.amdhsa_reserve_vcc 1
		.amdhsa_float_round_mode_32 0
		.amdhsa_float_round_mode_16_64 0
		.amdhsa_float_denorm_mode_32 3
		.amdhsa_float_denorm_mode_16_64 3
		.amdhsa_dx10_clamp 1
		.amdhsa_ieee_mode 1
		.amdhsa_fp16_overflow 0
		.amdhsa_tg_split 0
		.amdhsa_exception_fp_ieee_invalid_op 0
		.amdhsa_exception_fp_denorm_src 0
		.amdhsa_exception_fp_ieee_div_zero 0
		.amdhsa_exception_fp_ieee_overflow 0
		.amdhsa_exception_fp_ieee_underflow 0
		.amdhsa_exception_fp_ieee_inexact 0
		.amdhsa_exception_int_div_zero 0
	.end_amdhsa_kernel
	.section	.text._Z39paged_attention_ll4mi_QKV_mfma16_kernelI14__hip_bfloat16S0_LN4vllm18Fp8KVCacheDataTypeE0ES0_Li16ELi128ELi256ELb0ELi10EEvPKT_PKT0_S8_ifPKiSA_SA_iPKfiiiPfSD_PS3_PT2_iSC_SC_,"axG",@progbits,_Z39paged_attention_ll4mi_QKV_mfma16_kernelI14__hip_bfloat16S0_LN4vllm18Fp8KVCacheDataTypeE0ES0_Li16ELi128ELi256ELb0ELi10EEvPKT_PKT0_S8_ifPKiSA_SA_iPKfiiiPfSD_PS3_PT2_iSC_SC_,comdat
.Lfunc_end677:
	.size	_Z39paged_attention_ll4mi_QKV_mfma16_kernelI14__hip_bfloat16S0_LN4vllm18Fp8KVCacheDataTypeE0ES0_Li16ELi128ELi256ELb0ELi10EEvPKT_PKT0_S8_ifPKiSA_SA_iPKfiiiPfSD_PS3_PT2_iSC_SC_, .Lfunc_end677-_Z39paged_attention_ll4mi_QKV_mfma16_kernelI14__hip_bfloat16S0_LN4vllm18Fp8KVCacheDataTypeE0ES0_Li16ELi128ELi256ELb0ELi10EEvPKT_PKT0_S8_ifPKiSA_SA_iPKfiiiPfSD_PS3_PT2_iSC_SC_
                                        ; -- End function
	.section	.AMDGPU.csdata,"",@progbits
; Kernel info:
; codeLenInByte = 4724
; NumSgprs: 48
; NumVgprs: 96
; NumAgprs: 0
; TotalNumVgprs: 96
; ScratchSize: 0
; MemoryBound: 0
; FloatMode: 240
; IeeeMode: 1
; LDSByteSize: 8192 bytes/workgroup (compile time only)
; SGPRBlocks: 5
; VGPRBlocks: 11
; NumSGPRsForWavesPerEU: 48
; NumVGPRsForWavesPerEU: 96
; AccumOffset: 96
; Occupancy: 5
; WaveLimiterHint : 1
; COMPUTE_PGM_RSRC2:SCRATCH_EN: 0
; COMPUTE_PGM_RSRC2:USER_SGPR: 2
; COMPUTE_PGM_RSRC2:TRAP_HANDLER: 0
; COMPUTE_PGM_RSRC2:TGID_X_EN: 1
; COMPUTE_PGM_RSRC2:TGID_Y_EN: 1
; COMPUTE_PGM_RSRC2:TGID_Z_EN: 1
; COMPUTE_PGM_RSRC2:TIDIG_COMP_CNT: 0
; COMPUTE_PGM_RSRC3_GFX90A:ACCUM_OFFSET: 23
; COMPUTE_PGM_RSRC3_GFX90A:TG_SPLIT: 0
	.section	.text._Z39paged_attention_ll4mi_QKV_mfma16_kernelI14__hip_bfloat16S0_LN4vllm18Fp8KVCacheDataTypeE0ES0_Li16ELi128ELi256ELb0ELi11EEvPKT_PKT0_S8_ifPKiSA_SA_iPKfiiiPfSD_PS3_PT2_iSC_SC_,"axG",@progbits,_Z39paged_attention_ll4mi_QKV_mfma16_kernelI14__hip_bfloat16S0_LN4vllm18Fp8KVCacheDataTypeE0ES0_Li16ELi128ELi256ELb0ELi11EEvPKT_PKT0_S8_ifPKiSA_SA_iPKfiiiPfSD_PS3_PT2_iSC_SC_,comdat
	.protected	_Z39paged_attention_ll4mi_QKV_mfma16_kernelI14__hip_bfloat16S0_LN4vllm18Fp8KVCacheDataTypeE0ES0_Li16ELi128ELi256ELb0ELi11EEvPKT_PKT0_S8_ifPKiSA_SA_iPKfiiiPfSD_PS3_PT2_iSC_SC_ ; -- Begin function _Z39paged_attention_ll4mi_QKV_mfma16_kernelI14__hip_bfloat16S0_LN4vllm18Fp8KVCacheDataTypeE0ES0_Li16ELi128ELi256ELb0ELi11EEvPKT_PKT0_S8_ifPKiSA_SA_iPKfiiiPfSD_PS3_PT2_iSC_SC_
	.globl	_Z39paged_attention_ll4mi_QKV_mfma16_kernelI14__hip_bfloat16S0_LN4vllm18Fp8KVCacheDataTypeE0ES0_Li16ELi128ELi256ELb0ELi11EEvPKT_PKT0_S8_ifPKiSA_SA_iPKfiiiPfSD_PS3_PT2_iSC_SC_
	.p2align	8
	.type	_Z39paged_attention_ll4mi_QKV_mfma16_kernelI14__hip_bfloat16S0_LN4vllm18Fp8KVCacheDataTypeE0ES0_Li16ELi128ELi256ELb0ELi11EEvPKT_PKT0_S8_ifPKiSA_SA_iPKfiiiPfSD_PS3_PT2_iSC_SC_,@function
_Z39paged_attention_ll4mi_QKV_mfma16_kernelI14__hip_bfloat16S0_LN4vllm18Fp8KVCacheDataTypeE0ES0_Li16ELi128ELi256ELb0ELi11EEvPKT_PKT0_S8_ifPKiSA_SA_iPKfiiiPfSD_PS3_PT2_iSC_SC_: ; @_Z39paged_attention_ll4mi_QKV_mfma16_kernelI14__hip_bfloat16S0_LN4vllm18Fp8KVCacheDataTypeE0ES0_Li16ELi128ELi256ELb0ELi11EEvPKT_PKT0_S8_ifPKiSA_SA_iPKfiiiPfSD_PS3_PT2_iSC_SC_
; %bb.0:
	s_load_dwordx2 s[8:9], s[0:1], 0x30
	s_mov_b32 s26, s3
	s_mov_b64 s[6:7], 0
	s_waitcnt lgkmcnt(0)
	s_cmp_lg_u64 s[8:9], 0
	s_cselect_b64 s[10:11], -1, 0
	s_and_b64 vcc, exec, s[10:11]
	s_cbranch_vccz .LBB678_7
; %bb.1:
	s_add_i32 s12, s2, 1
	s_mov_b32 s13, 0
	s_lshl_b64 s[14:15], s[12:13], 2
	s_add_u32 s14, s8, s14
	s_mov_b32 s3, s13
	s_addc_u32 s15, s9, s15
	s_lshl_b64 s[12:13], s[2:3], 2
	s_add_u32 s12, s8, s12
	s_addc_u32 s13, s9, s13
	s_load_dword s5, s[14:15], 0x0
	s_load_dword s16, s[12:13], 0x0
	s_waitcnt lgkmcnt(0)
	s_sub_i32 s5, s5, s16
	s_cmp_eq_u32 s5, 1
	s_cselect_b64 s[12:13], -1, 0
	s_andn2_b64 vcc, exec, s[6:7]
	s_cbranch_vccnz .LBB678_3
.LBB678_2:
	s_mov_b32 s3, 0
	s_mov_b64 s[12:13], -1
.LBB678_3:
	s_andn2_b64 vcc, exec, s[12:13]
	s_cbranch_vccnz .LBB678_18
; %bb.4:
	s_load_dwordx2 s[6:7], s[0:1], 0x28
	s_lshl_b64 s[16:17], s[2:3], 2
	s_waitcnt lgkmcnt(0)
	s_add_u32 s6, s6, s16
	s_addc_u32 s7, s7, s17
	s_load_dword s33, s[6:7], 0x0
	s_lshl_b32 s18, s26, 8
	s_waitcnt lgkmcnt(0)
	s_cmp_ge_i32 s18, s33
	s_cbranch_scc1 .LBB678_18
; %bb.5:
	s_load_dwordx2 s[6:7], s[0:1], 0x20
	s_load_dword s5, s[0:1], 0x38
	s_add_i32 s12, s33, 15
	s_ashr_i32 s13, s12, 31
	v_and_b32_e32 v1, 0xcf, v0
	s_lshr_b32 s13, s13, 28
	v_add_u32_e32 v1, s18, v1
	s_add_i32 s12, s12, s13
	v_ashrrev_i32_e32 v2, 31, v1
	s_ashr_i32 s19, s12, 4
	v_lshrrev_b32_e32 v4, 28, v2
	s_add_i32 s19, s19, -1
	s_waitcnt lgkmcnt(0)
	s_mul_i32 s12, s2, s5
	s_mov_b32 s13, 0
	v_add_u32_e32 v2, v1, v4
	s_lshl_b64 s[12:13], s[12:13], 2
	v_ashrrev_i32_e32 v2, 4, v2
	v_mov_b32_e32 v5, s19
	v_cmp_gt_i32_e32 vcc, s33, v1
	s_add_u32 s6, s6, s12
	s_addc_u32 s7, s7, s13
	v_cndmask_b32_e32 v2, v5, v2, vcc
	v_ashrrev_i32_e32 v3, 31, v2
	v_lshl_add_u64 v[6:7], v[2:3], 2, s[6:7]
	v_or_b32_e32 v2, 16, v1
	v_add_u32_e32 v3, v2, v4
	v_ashrrev_i32_e32 v3, 4, v3
	v_cmp_gt_i32_e32 vcc, s33, v2
	s_load_dwordx4 s[12:15], s[0:1], 0x8
	s_nop 0
	v_cndmask_b32_e32 v2, v5, v3, vcc
	v_ashrrev_i32_e32 v3, 31, v2
	v_lshl_add_u64 v[8:9], v[2:3], 2, s[6:7]
	v_or_b32_e32 v2, 32, v1
	v_add_u32_e32 v3, v2, v4
	v_ashrrev_i32_e32 v3, 4, v3
	v_cmp_gt_i32_e32 vcc, s33, v2
	v_or_b32_e32 v1, 48, v1
	s_nop 0
	v_cndmask_b32_e32 v2, v5, v3, vcc
	v_ashrrev_i32_e32 v3, 31, v2
	v_lshl_add_u64 v[10:11], v[2:3], 2, s[6:7]
	v_add_u32_e32 v2, v1, v4
	v_ashrrev_i32_e32 v2, 4, v2
	v_cmp_gt_i32_e32 vcc, s33, v1
	s_nop 1
	v_cndmask_b32_e32 v2, v5, v2, vcc
	v_ashrrev_i32_e32 v3, 31, v2
	v_lshl_add_u64 v[12:13], v[2:3], 2, s[6:7]
	global_load_dword v4, v[6:7], off
	global_load_dword v3, v[8:9], off
	;; [unrolled: 1-line block ×4, first 2 shown]
	s_andn2_b64 vcc, exec, s[10:11]
	s_cbranch_vccnz .LBB678_8
; %bb.6:
	s_add_u32 s8, s8, s16
	s_addc_u32 s9, s9, s17
	s_load_dword s5, s[8:9], 0x0
	s_branch .LBB678_9
.LBB678_7:
	s_mov_b64 s[12:13], 0
	s_branch .LBB678_2
.LBB678_8:
	s_mov_b32 s5, s2
.LBB678_9:
	s_load_dwordx4 s[8:11], s[0:1], 0x48
	v_lshrrev_b32_e32 v77, 6, v0
	v_bfe_u32 v86, v0, 4, 2
	v_and_b32_e32 v76, 15, v0
	v_lshl_or_b32 v1, v77, 2, v86
	v_lshlrev_b32_e32 v5, 3, v76
	v_and_b32_e32 v87, 63, v0
	s_mul_i32 s40, s4, 11
	v_cmp_gt_u32_e32 vcc, 11, v1
	v_lshlrev_b32_e32 v74, 1, v5
	s_and_saveexec_b64 s[16:17], vcc
	s_cbranch_execz .LBB678_11
; %bb.10:
	s_load_dwordx2 s[20:21], s[0:1], 0x0
	s_waitcnt lgkmcnt(0)
	s_ashr_i32 s11, s8, 31
	s_mul_hi_u32 s22, s5, s8
	s_mul_i32 s11, s5, s11
	s_add_i32 s23, s22, s11
	s_mul_i32 s22, s5, s8
	s_lshl_b64 s[22:23], s[22:23], 1
	s_add_u32 s20, s20, s22
	v_add_lshl_u32 v6, v1, s40, 7
	s_addc_u32 s21, s21, s23
	v_ashrrev_i32_e32 v7, 31, v6
	v_lshl_add_u64 v[6:7], v[6:7], 1, s[20:21]
	v_mov_b32_e32 v75, 0
	v_lshl_add_u64 v[6:7], v[6:7], 0, v[74:75]
	global_load_dwordx4 v[6:9], v[6:7], off
	v_and_b32_e32 v5, 3, v0
	v_lshlrev_b32_e32 v10, 9, v76
	v_lshlrev_b32_e32 v1, 5, v1
	;; [unrolled: 1-line block ×3, first 2 shown]
	v_and_b32_e32 v10, 0x1800, v10
	v_or3_b32 v1, v10, v5, v1
	s_waitcnt vmcnt(0)
	ds_write_b128 v1, v[6:9]
.LBB678_11:
	s_or_b64 exec, exec, s[16:17]
	s_waitcnt lgkmcnt(0)
	s_mul_i32 s4, s4, s10
	s_mov_b32 s5, 0
	s_lshl_b64 s[4:5], s[4:5], 1
	s_add_u32 s10, s12, s4
	v_lshlrev_b32_e32 v1, 4, v0
	s_addc_u32 s11, s13, s5
	v_and_b32_e32 v34, 0xf0, v1
	v_mov_b32_e32 v35, 0
	v_lshl_add_u64 v[30:31], s[10:11], 0, v[34:35]
	s_waitcnt vmcnt(3)
	v_mad_i64_i32 v[4:5], s[10:11], v4, s9, 0
	v_lshl_add_u64 v[4:5], v[4:5], 1, v[30:31]
	v_and_b32_e32 v34, 0x300, v1
	v_lshl_add_u64 v[32:33], v[4:5], 0, v[34:35]
	s_load_dword s27, s[0:1], 0x98
	s_load_dword s8, s[0:1], 0x1c
	s_waitcnt lgkmcnt(0)
	s_barrier
	global_load_dwordx4 v[6:9], v[32:33], off
	global_load_dwordx4 v[18:21], v[32:33], off offset:1024
	s_waitcnt vmcnt(4)
	v_mad_i64_i32 v[4:5], s[10:11], v3, s9, 0
	s_waitcnt vmcnt(3)
	v_mad_i64_i32 v[2:3], s[10:11], v2, s9, 0
	v_lshl_add_u64 v[4:5], v[4:5], 1, v[30:31]
	v_lshl_add_u64 v[2:3], v[2:3], 1, v[30:31]
	;; [unrolled: 1-line block ×4, first 2 shown]
	global_load_dwordx4 v[14:17], v[36:37], off
	global_load_dwordx4 v[22:25], v[36:37], off offset:1024
	global_load_dwordx4 v[26:29], v[38:39], off
	global_load_dwordx4 v[46:49], v[38:39], off offset:1024
	v_add_u32_e32 v2, -11, v76
	v_cmp_gt_u32_e32 vcc, 11, v76
	global_load_dwordx4 v[54:57], v[32:33], off offset:2048
	global_load_dwordx4 v[62:65], v[36:37], off offset:2048
	v_cndmask_b32_e32 v2, v2, v76, vcc
	v_lshlrev_b32_e32 v2, 5, v2
	v_lshl_add_u32 v41, v86, 9, v2
	ds_read_b128 v[10:13], v41
	ds_read_b128 v[2:5], v41 offset:2048
	v_mov_b32_e32 v70, s19
	s_add_u32 s4, s14, s4
	s_addc_u32 s5, s15, s5
	s_mov_b32 s41, 0xff7fffff
	s_waitcnt vmcnt(7) lgkmcnt(1)
	v_mfma_f32_16x16x16_bf16 v[42:45], v[6:7], v[10:11], 0
	v_mfma_f32_16x16x16_bf16 v[6:9], v[8:9], v[12:13], v[42:45]
	s_nop 5
	global_load_dwordx4 v[42:45], v[38:39], off offset:2048
	s_waitcnt vmcnt(6)
	v_mfma_f32_16x16x16_bf16 v[50:53], v[14:15], v[10:11], 0
	s_waitcnt vmcnt(4)
	v_mfma_f32_16x16x16_bf16 v[58:61], v[26:27], v[10:11], 0
	v_mfma_f32_16x16x16_bf16 v[14:17], v[16:17], v[12:13], v[50:53]
	;; [unrolled: 1-line block ×3, first 2 shown]
	s_nop 2
	global_load_dwordx4 v[50:53], v[32:33], off offset:3072
	v_mad_i64_i32 v[32:33], s[10:11], v40, s9, 0
	s_waitcnt lgkmcnt(0)
	v_mfma_f32_16x16x16_bf16 v[6:9], v[18:19], v[2:3], v[6:9]
	v_and_or_b32 v40, v0, 48, s18
	v_ashrrev_i32_e32 v58, 4, v40
	v_cmp_gt_i32_e32 vcc, s33, v40
	v_mfma_f32_16x16x16_bf16 v[14:17], v[22:23], v[2:3], v[14:17]
	v_or_b32_e32 v66, 64, v40
	v_cndmask_b32_e32 v22, v70, v58, vcc
	v_ashrrev_i32_e32 v23, 31, v22
	s_waitcnt vmcnt(4)
	v_mfma_f32_16x16x16_bf16 v[26:29], v[46:47], v[2:3], v[26:29]
	v_or_b32_e32 v71, 0x80, v40
	v_or_b32_e32 v72, 0xc0, v40
	v_ashrrev_i32_e32 v40, 4, v66
	v_mfma_f32_16x16x16_bf16 v[6:9], v[20:21], v[4:5], v[6:9]
	global_load_dwordx4 v[18:21], v[38:39], off offset:3072
	v_cmp_gt_i32_e32 vcc, s33, v66
	v_lshl_add_u64 v[22:23], v[22:23], 2, s[6:7]
	global_load_dwordx4 v[58:61], v[36:37], off offset:3072
	v_cndmask_b32_e32 v36, v70, v40, vcc
	v_mfma_f32_16x16x16_bf16 v[14:17], v[24:25], v[4:5], v[14:17]
	global_load_dword v78, v[22:23], off
	ds_read_b128 v[66:69], v41 offset:4096
	v_ashrrev_i32_e32 v37, 31, v36
	v_mfma_f32_16x16x16_bf16 v[22:25], v[48:49], v[4:5], v[26:29]
	v_ashrrev_i32_e32 v73, 4, v71
	v_cmp_gt_i32_e32 vcc, s33, v71
	v_ashrrev_i32_e32 v75, 4, v72
	v_lshl_add_u64 v[26:27], v[32:33], 1, v[30:31]
	v_lshl_add_u64 v[26:27], v[26:27], 0, v[34:35]
	;; [unrolled: 1-line block ×3, first 2 shown]
	global_load_dwordx4 v[46:49], v[26:27], off
	global_load_dword v36, v[28:29], off
	s_waitcnt vmcnt(8) lgkmcnt(0)
	v_mfma_f32_16x16x16_bf16 v[6:9], v[54:55], v[66:67], v[6:9]
	v_cndmask_b32_e32 v28, v70, v73, vcc
	v_ashrrev_i32_e32 v29, 31, v28
	v_lshl_add_u64 v[28:29], v[28:29], 2, s[6:7]
	v_mfma_f32_16x16x16_bf16 v[6:9], v[56:57], v[68:69], v[6:9]
	global_load_dwordx4 v[54:57], v[26:27], off offset:1024
	v_cmp_gt_i32_e32 vcc, s33, v72
	global_load_dword v84, v[28:29], off
	s_waitcnt vmcnt(9)
	v_mfma_f32_16x16x16_bf16 v[14:17], v[62:63], v[66:67], v[14:17]
	v_cndmask_b32_e32 v28, v70, v75, vcc
	v_ashrrev_i32_e32 v29, 31, v28
	v_lshl_add_u64 v[28:29], v[28:29], 2, s[6:7]
	v_mfma_f32_16x16x16_bf16 v[14:17], v[64:65], v[68:69], v[14:17]
	global_load_dword v64, v[28:29], off
	ds_read_b128 v[38:41], v41 offset:6144
	v_lshl_or_b32 v75, v77, 4, v76
	v_lshlrev_b32_e32 v34, 5, v75
	v_lshl_add_u64 v[62:63], s[4:5], 0, v[34:35]
	v_or_b32_e32 v34, 0x800, v34
	s_waitcnt vmcnt(9)
	v_mfma_f32_16x16x16_bf16 v[22:25], v[42:43], v[66:67], v[22:25]
	global_load_dwordx4 v[70:73], v[26:27], off offset:3072
	v_mfma_f32_16x16x16_bf16 v[22:25], v[44:45], v[68:69], v[22:25]
	global_load_dwordx4 v[42:45], v[26:27], off offset:2048
	s_waitcnt vmcnt(10) lgkmcnt(0)
	v_mfma_f32_16x16x16_bf16 v[6:9], v[50:51], v[38:39], v[6:9]
	s_waitcnt vmcnt(9)
	v_mfma_f32_16x16x16_bf16 v[22:25], v[18:19], v[38:39], v[22:25]
	s_waitcnt vmcnt(7)
	v_mad_i64_i32 v[18:19], s[6:7], v78, s9, 0
	v_lshlrev_b64 v[82:83], 1, v[18:19]
	v_mfma_f32_16x16x16_bf16 v[78:81], v[52:53], v[40:41], v[6:9]
	s_nop 2
	v_lshl_add_u64 v[6:7], v[62:63], 0, v[82:83]
	global_load_dwordx4 v[30:33], v[6:7], off
	global_load_dwordx4 v[26:29], v[6:7], off offset:16
	v_mfma_f32_16x16x16_bf16 v[88:91], v[20:21], v[40:41], v[22:25]
	s_waitcnt vmcnt(7)
	v_mad_i64_i32 v[6:7], s[6:7], v36, s9, 0
	v_lshlrev_b64 v[36:37], 1, v[6:7]
	v_lshl_add_u64 v[6:7], v[62:63], 0, v[36:37]
	global_load_dwordx4 v[22:25], v[6:7], off
	global_load_dwordx4 v[18:21], v[6:7], off offset:16
	v_mfma_f32_16x16x16_bf16 v[6:9], v[46:47], v[10:11], 0
	s_waitcnt vmcnt(7)
	v_mad_i64_i32 v[10:11], s[6:7], v84, s9, 0
	v_mfma_f32_16x16x16_bf16 v[6:9], v[48:49], v[12:13], v[6:9]
	v_lshlrev_b64 v[50:51], 1, v[10:11]
	v_lshl_add_u64 v[10:11], v[62:63], 0, v[50:51]
	v_mfma_f32_16x16x16_bf16 v[6:9], v[54:55], v[2:3], v[6:9]
	s_waitcnt vmcnt(6)
	v_mad_i64_i32 v[2:3], s[6:7], v64, s9, 0
	v_lshlrev_b64 v[52:53], 1, v[2:3]
	v_mfma_f32_16x16x16_bf16 v[46:49], v[56:57], v[4:5], v[6:9]
	v_lshl_add_u64 v[2:3], v[62:63], 0, v[52:53]
	v_pk_mul_f32 v[62:63], s[8:9], v[78:79] op_sel_hi:[0,1]
	v_lshl_add_u64 v[64:65], s[4:5], 0, v[34:35]
	v_mfma_f32_16x16x16_bf16 v[14:17], v[58:59], v[38:39], v[14:17]
	v_lshl_add_u64 v[34:35], v[64:65], 0, v[82:83]
	v_pk_mul_f32 v[82:83], s[8:9], v[80:81] op_sel_hi:[0,1]
	v_pk_mul_f32 v[78:79], s[8:9], v[88:89] op_sel_hi:[0,1]
	v_mfma_f32_16x16x16_bf16 v[58:61], v[60:61], v[40:41], v[14:17]
	v_pk_mul_f32 v[80:81], s[8:9], v[90:91] op_sel_hi:[0,1]
	s_nop 1
	global_load_dwordx4 v[14:17], v[10:11], off
	s_nop 0
	global_load_dwordx4 v[10:13], v[10:11], off offset:16
	s_nop 0
	global_load_dwordx4 v[6:9], v[2:3], off
	s_nop 0
	global_load_dwordx4 v[2:5], v[2:3], off offset:16
	s_waitcnt vmcnt(8)
	v_mfma_f32_16x16x16_bf16 v[46:49], v[42:43], v[66:67], v[46:49]
	v_pk_mul_f32 v[84:85], s[8:9], v[60:61] op_sel_hi:[0,1]
	v_lshl_add_u64 v[50:51], v[64:65], 0, v[50:51]
	v_mfma_f32_16x16x16_bf16 v[42:45], v[44:45], v[68:69], v[46:49]
	v_mfma_f32_16x16x16_bf16 v[42:45], v[70:71], v[38:39], v[42:45]
	v_pk_mul_f32 v[70:71], s[8:9], v[58:59] op_sel_hi:[0,1]
	v_mfma_f32_16x16x16_bf16 v[38:41], v[72:73], v[40:41], v[42:45]
	s_nop 6
	v_pk_mul_f32 v[72:73], s[8:9], v[38:39] op_sel_hi:[0,1]
	v_and_b32_e32 v38, 0xc0, v0
	v_add_u32_e32 v38, s18, v38
	v_lshl_or_b32 v38, v86, 2, v38
	v_pk_mul_f32 v[66:67], s[8:9], v[40:41] op_sel_hi:[0,1]
	v_or_b32_e32 v41, 1, v38
	v_mov_b32_e32 v39, 0xff7fffff
	v_cmp_gt_i32_e64 s[28:29], s33, v38
	v_cmp_gt_i32_e64 s[30:31], s33, v41
	v_or_b32_e32 v42, 3, v38
	v_cndmask_b32_e64 v40, v39, v62, s[28:29]
	v_cndmask_b32_e64 v41, v39, v63, s[30:31]
	v_max3_f32 v40, v40, s41, v41
	v_or_b32_e32 v41, 2, v38
	v_cmp_gt_i32_e64 s[34:35], s33, v41
	v_cmp_gt_i32_e64 s[36:37], s33, v42
	s_nop 0
	v_cndmask_b32_e64 v41, v39, v82, s[34:35]
	v_cndmask_b32_e64 v42, v39, v83, s[36:37]
	v_max3_f32 v40, v40, v41, v42
	v_or_b32_e32 v41, 16, v38
	v_or_b32_e32 v42, 17, v38
	v_cmp_gt_i32_e64 s[22:23], s33, v41
	v_cmp_gt_i32_e64 s[24:25], s33, v42
	s_nop 0
	v_cndmask_b32_e64 v41, v39, v70, s[22:23]
	v_cndmask_b32_e64 v42, v39, v71, s[24:25]
	v_max3_f32 v40, v40, v41, v42
	v_or_b32_e32 v41, 18, v38
	;; [unrolled: 8-line block ×6, first 2 shown]
	v_or_b32_e32 v38, 51, v38
	v_cmp_gt_i32_e32 vcc, s33, v41
	v_cmp_gt_i32_e64 s[4:5], s33, v38
	s_nop 0
	v_cndmask_b32_e32 v41, v39, v66, vcc
	v_cndmask_b32_e64 v38, v39, v67, s[4:5]
	v_max3_f32 v54, v40, v41, v38
	v_mbcnt_lo_u32_b32 v38, -1, 0
	v_mbcnt_hi_u32_b32 v55, -1, v38
	v_and_b32_e32 v38, 64, v55
	v_add_u32_e32 v56, 64, v38
	v_xor_b32_e32 v38, 32, v55
	v_cmp_lt_i32_e64 s[38:39], v38, v56
	s_nop 1
	v_cndmask_b32_e64 v38, v55, v38, s[38:39]
	v_lshlrev_b32_e32 v89, 2, v38
	ds_bpermute_b32 v57, v89, v54
	global_load_dwordx4 v[46:49], v[34:35], off
	global_load_dwordx4 v[38:41], v[34:35], off offset:16
	v_lshl_add_u64 v[34:35], v[64:65], 0, v[36:37]
	global_load_dwordx4 v[42:45], v[34:35], off
	s_nop 0
	global_load_dwordx4 v[34:37], v[34:35], off offset:16
	s_waitcnt lgkmcnt(0)
	v_max_f32_e32 v57, v57, v57
	v_max_f32_e32 v68, v54, v57
	v_xor_b32_e32 v54, 16, v55
	v_cmp_lt_i32_e64 s[38:39], v54, v56
	s_nop 1
	v_cndmask_b32_e64 v54, v55, v54, s[38:39]
	v_lshlrev_b32_e32 v90, 2, v54
	ds_bpermute_b32 v69, v90, v68
	global_load_dwordx4 v[58:61], v[50:51], off
	global_load_dwordx4 v[54:57], v[50:51], off offset:16
	v_lshl_add_u64 v[50:51], v[64:65], 0, v[52:53]
	s_waitcnt lgkmcnt(0)
	v_max_f32_e32 v52, v69, v69
	v_max_f32_e32 v88, v68, v52
	v_sub_f32_e32 v52, v62, v88
	v_mul_f32_e32 v52, 0x3fb8aa3b, v52
	v_exp_f32_e32 v68, v52
	v_sub_f32_e32 v52, v63, v88
	v_mul_f32_e32 v52, 0x3fb8aa3b, v52
	v_exp_f32_e32 v69, v52
	global_load_dwordx4 v[62:65], v[50:51], off
	s_nop 0
	global_load_dwordx4 v[50:53], v[50:51], off offset:16
	v_sub_f32_e32 v82, v82, v88
	v_mul_f32_e32 v82, 0x3fb8aa3b, v82
	v_sub_f32_e32 v83, v83, v88
	v_exp_f32_e32 v82, v82
	v_mul_f32_e32 v83, 0x3fb8aa3b, v83
	v_sub_f32_e32 v70, v70, v88
	v_exp_f32_e32 v83, v83
	v_mul_f32_e32 v70, 0x3fb8aa3b, v70
	v_sub_f32_e32 v71, v71, v88
	v_cndmask_b32_e64 v68, 0, v68, s[28:29]
	v_exp_f32_e32 v70, v70
	v_mul_f32_e32 v71, 0x3fb8aa3b, v71
	v_sub_f32_e32 v84, v84, v88
	v_add_f32_e32 v91, 0, v68
	v_cndmask_b32_e64 v69, 0, v69, s[30:31]
	v_exp_f32_e32 v71, v71
	v_mul_f32_e32 v84, 0x3fb8aa3b, v84
	v_sub_f32_e32 v85, v85, v88
	v_add_f32_e32 v91, v91, v69
	;; [unrolled: 5-line block ×10, first 2 shown]
	v_cndmask_b32_e64 v80, 0, v80, s[10:11]
	v_exp_f32_e32 v66, v66
	v_mul_f32_e32 v67, 0x3fb8aa3b, v67
	v_add_f32_e32 v91, v91, v80
	v_cndmask_b32_e64 v81, 0, v81, s[12:13]
	v_exp_f32_e32 v67, v67
	v_add_f32_e32 v91, v91, v81
	v_cndmask_b32_e64 v72, 0, v72, s[6:7]
	v_add_f32_e32 v91, v91, v72
	v_cndmask_b32_e64 v73, 0, v73, s[8:9]
	v_add_f32_e32 v91, v91, v73
	v_cndmask_b32_e32 v66, 0, v66, vcc
	v_add_f32_e32 v91, v91, v66
	v_cndmask_b32_e64 v67, 0, v67, s[4:5]
	v_add_f32_e32 v91, v91, v67
	ds_bpermute_b32 v89, v89, v91
	v_cmp_gt_u32_e32 vcc, 16, v87
	s_waitcnt lgkmcnt(0)
	s_barrier
	v_add_f32_e32 v89, v91, v89
	ds_bpermute_b32 v90, v90, v89
	s_and_saveexec_b64 s[4:5], vcc
	s_cbranch_execz .LBB678_13
; %bb.12:
	s_waitcnt lgkmcnt(0)
	v_add_f32_e32 v87, v89, v90
	v_lshlrev_b32_e32 v75, 2, v75
	ds_write2st64_b32 v75, v88, v87 offset1:1
.LBB678_13:
	s_or_b64 exec, exec, s[4:5]
	v_lshlrev_b32_e32 v75, 2, v76
	s_load_dword s6, s[0:1], 0x94
	s_waitcnt lgkmcnt(0)
	s_barrier
	ds_read2_b32 v[88:89], v75 offset1:16
	ds_read2_b32 v[90:91], v75 offset0:32 offset1:48
	ds_read2_b32 v[92:93], v75 offset0:64 offset1:80
	;; [unrolled: 1-line block ×3, first 2 shown]
	s_movk_i32 s8, 0x7fff
	s_waitcnt lgkmcnt(3)
	v_max3_f32 v87, v88, s41, v89
	s_waitcnt lgkmcnt(2)
	v_max3_f32 v87, v87, v90, v91
	v_sub_f32_e32 v88, v88, v87
	v_mul_f32_e32 v88, 0x3fb8aa3b, v88
	v_exp_f32_e32 v1, v88
	v_sub_f32_e32 v88, v89, v87
	v_mul_f32_e32 v88, 0x3fb8aa3b, v88
	v_exp_f32_e32 v89, v88
	v_sub_f32_e32 v88, v90, v87
	v_mul_f32_e32 v88, 0x3fb8aa3b, v88
	v_sub_f32_e32 v75, v91, v87
	v_exp_f32_e32 v90, v88
	v_mul_f32_e32 v75, 0x3fb8aa3b, v75
	v_exp_f32_e32 v75, v75
	s_waitcnt lgkmcnt(1)
	v_fma_f32 v88, v1, v92, 0
	v_fmac_f32_e32 v88, v89, v93
	s_waitcnt lgkmcnt(0)
	v_fmac_f32_e32 v88, v90, v94
	v_fmac_f32_e32 v88, v75, v95
	v_add_f32_e32 v91, 0x358637bd, v88
	v_div_scale_f32 v92, s[4:5], v91, v91, 1.0
	v_rcp_f32_e32 v93, v92
	s_mov_b32 s9, 0x7060302
	s_barrier
	v_fma_f32 v94, -v92, v93, 1.0
	v_fmac_f32_e32 v93, v94, v93
	v_div_scale_f32 v94, vcc, 1.0, v91, 1.0
	v_mul_f32_e32 v95, v94, v93
	v_fma_f32 v86, -v92, v95, v94
	v_fmac_f32_e32 v95, v86, v93
	v_fma_f32 v86, -v92, v95, v94
	v_div_fmas_f32 v86, v86, v93, v95
	v_cmp_eq_u32_e32 vcc, 1, v77
	v_div_fixup_f32 v86, v86, v91, 1.0
	s_nop 0
	v_cndmask_b32_e32 v1, v1, v89, vcc
	v_cmp_eq_u32_e32 vcc, 2, v77
	s_mul_i32 s7, s27, 11
	s_nop 0
	v_cndmask_b32_e32 v1, v1, v90, vcc
	v_cmp_eq_u32_e32 vcc, 3, v77
	s_nop 1
	v_cndmask_b32_e32 v1, v1, v75, vcc
	v_mul_f32_e32 v90, v1, v86
	v_pk_mul_f32 v[68:69], v[90:91], v[68:69] op_sel_hi:[0,1]
	v_bfe_u32 v1, v69, 16, 1
	v_bfe_u32 v75, v68, 16, 1
	v_pk_mul_f32 v[82:83], v[90:91], v[82:83] op_sel_hi:[0,1]
	v_add3_u32 v68, v68, v75, s8
	v_add3_u32 v1, v69, v1, s8
	v_perm_b32 v92, v1, v68, s9
	v_bfe_u32 v1, v83, 16, 1
	v_bfe_u32 v68, v82, 16, 1
	v_add3_u32 v68, v82, v68, s8
	v_add3_u32 v1, v83, v1, s8
	v_bfe_u32 v86, v0, 4, 2
	v_perm_b32 v93, v1, v68, s9
	v_lshlrev_b32_e32 v1, 3, v86
	v_lshlrev_b32_e32 v68, 5, v76
	v_lshlrev_b32_e32 v69, 11, v77
	v_pk_mul_f32 v[70:71], v[90:91], v[70:71] op_sel_hi:[0,1]
	v_or3_b32 v75, v69, v68, v1
	v_bfe_u32 v1, v71, 16, 1
	v_bfe_u32 v69, v70, 16, 1
	v_pk_mul_f32 v[82:83], v[90:91], v[84:85] op_sel_hi:[0,1]
	v_add3_u32 v69, v70, v69, s8
	v_add3_u32 v1, v71, v1, s8
	v_perm_b32 v70, v1, v69, s9
	v_bfe_u32 v1, v83, 16, 1
	v_bfe_u32 v69, v82, 16, 1
	v_add3_u32 v69, v82, v69, s8
	v_add3_u32 v1, v83, v1, s8
	v_pk_mul_f32 v[78:79], v[90:91], v[78:79] op_sel_hi:[0,1]
	v_perm_b32 v71, v1, v69, s9
	v_bfe_u32 v1, v79, 16, 1
	v_bfe_u32 v69, v78, 16, 1
	ds_write2st64_b64 v75, v[92:93], v[70:71] offset1:1
	v_pk_mul_f32 v[70:71], v[90:91], v[80:81] op_sel_hi:[0,1]
	v_add3_u32 v69, v78, v69, s8
	v_add3_u32 v1, v79, v1, s8
	v_perm_b32 v78, v1, v69, s9
	v_bfe_u32 v1, v71, 16, 1
	v_bfe_u32 v69, v70, 16, 1
	v_add3_u32 v69, v70, v69, s8
	v_add3_u32 v1, v71, v1, s8
	v_pk_mul_f32 v[70:71], v[90:91], v[72:73] op_sel_hi:[0,1]
	v_perm_b32 v79, v1, v69, s9
	v_bfe_u32 v1, v71, 16, 1
	v_bfe_u32 v69, v70, 16, 1
	v_pk_mul_f32 v[66:67], v[90:91], v[66:67] op_sel_hi:[0,1]
	v_add3_u32 v69, v70, v69, s8
	v_add3_u32 v1, v71, v1, s8
	v_perm_b32 v70, v1, v69, s9
	v_bfe_u32 v1, v67, 16, 1
	v_bfe_u32 v69, v66, 16, 1
	v_add3_u32 v66, v66, v69, s8
	v_add3_u32 v1, v67, v1, s8
	v_perm_b32 v71, v1, v66, s9
	v_cmp_gt_u32_e32 vcc, 11, v0
	ds_write2st64_b64 v75, v[78:79], v[70:71] offset0:2 offset1:3
	s_and_saveexec_b64 s[4:5], vcc
	s_cbranch_execz .LBB678_15
; %bb.14:
	s_mov_b32 s41, 0
	v_mov_b32_e32 v77, 0
	v_lshl_add_u64 v[66:67], s[40:41], 0, v[76:77]
	v_mov_b32_e32 v1, s7
	v_mad_u64_u32 v[66:67], s[10:11], s2, v1, v[66:67]
	s_mul_i32 s3, s3, s7
	v_mov_b32_e32 v70, s26
	v_mov_b32_e32 v71, v77
	s_load_dwordx4 s[12:15], s[0:1], 0x58
	v_add_u32_e32 v1, s3, v67
	v_mad_u64_u32 v[66:67], s[10:11], v66, s6, v[70:71]
	v_mov_b32_e32 v70, v67
	v_mad_u64_u32 v[70:71], s[10:11], v1, s6, v[70:71]
	v_mov_b32_e32 v67, v70
	v_lshlrev_b64 v[66:67], 2, v[66:67]
	s_waitcnt lgkmcnt(0)
	v_lshl_add_u64 v[70:71], s[14:15], 0, v[66:67]
	v_lshl_add_u64 v[66:67], s[12:13], 0, v[66:67]
	global_store_dword v[70:71], v87, off
	global_store_dword v[66:67], v88, off
.LBB678_15:
	s_or_b64 exec, exec, s[4:5]
	v_lshl_or_b32 v1, v86, 9, v68
	s_waitcnt lgkmcnt(0)
	s_barrier
	ds_read_b128 v[70:73], v1
	ds_read_b128 v[66:69], v1 offset:16
	s_waitcnt vmcnt(15) lgkmcnt(1)
	v_mfma_f32_16x16x16_bf16 v[78:81], v[30:31], v[70:71], 0
	s_mov_b32 s3, 0
	v_cmp_gt_u32_e32 vcc, 64, v0
	v_mfma_f32_16x16x16_bf16 v[30:33], v[32:33], v[72:73], v[78:81]
	s_waitcnt vmcnt(14) lgkmcnt(0)
	v_mfma_f32_16x16x16_bf16 v[30:33], v[26:27], v[66:67], v[30:33]
	v_mfma_f32_16x16x16_bf16 v[26:29], v[28:29], v[68:69], v[30:33]
	s_nop 5
	ds_read_b128 v[30:33], v1 offset:2048
	ds_read_b128 v[78:81], v1 offset:2064
	s_waitcnt vmcnt(13) lgkmcnt(1)
	v_mfma_f32_16x16x16_bf16 v[26:29], v[22:23], v[30:31], v[26:29]
	v_mfma_f32_16x16x16_bf16 v[22:25], v[24:25], v[32:33], v[26:29]
	s_waitcnt vmcnt(12) lgkmcnt(0)
	v_mfma_f32_16x16x16_bf16 v[22:25], v[18:19], v[78:79], v[22:25]
	v_mfma_f32_16x16x16_bf16 v[18:21], v[20:21], v[80:81], v[22:25]
	s_nop 5
	ds_read_b128 v[22:25], v1 offset:4096
	ds_read_b128 v[26:29], v1 offset:4112
	s_waitcnt vmcnt(11) lgkmcnt(1)
	v_mfma_f32_16x16x16_bf16 v[18:21], v[14:15], v[22:23], v[18:21]
	v_mfma_f32_16x16x16_bf16 v[14:17], v[16:17], v[24:25], v[18:21]
	s_waitcnt vmcnt(10) lgkmcnt(0)
	v_mfma_f32_16x16x16_bf16 v[14:17], v[10:11], v[26:27], v[14:17]
	v_mfma_f32_16x16x16_bf16 v[10:13], v[12:13], v[28:29], v[14:17]
	s_nop 5
	ds_read_b128 v[14:17], v1 offset:6144
	ds_read_b128 v[18:21], v1 offset:6160
	s_waitcnt lgkmcnt(0)
	s_barrier
	s_waitcnt vmcnt(9)
	v_mfma_f32_16x16x16_bf16 v[10:13], v[6:7], v[14:15], v[10:13]
	v_mfma_f32_16x16x16_bf16 v[6:9], v[8:9], v[16:17], v[10:13]
	s_waitcnt vmcnt(8)
	v_mfma_f32_16x16x16_bf16 v[6:9], v[2:3], v[18:19], v[6:9]
	v_mfma_f32_16x16x16_bf16 v[2:5], v[4:5], v[20:21], v[6:9]
	;; [unrolled: 3-line block ×3, first 2 shown]
	s_nop 3
	v_bfe_u32 v1, v3, 16, 1
	v_bfe_u32 v10, v2, 16, 1
	v_add3_u32 v2, v2, v10, s8
	s_waitcnt vmcnt(6)
	v_mfma_f32_16x16x16_bf16 v[6:9], v[38:39], v[66:67], v[6:9]
	v_add3_u32 v1, v3, v1, s8
	v_perm_b32 v10, v1, v2, s9
	v_bfe_u32 v1, v5, 16, 1
	v_mfma_f32_16x16x16_bf16 v[6:9], v[40:41], v[68:69], v[6:9]
	v_bfe_u32 v2, v4, 16, 1
	v_add3_u32 v2, v4, v2, s8
	v_add3_u32 v1, v5, v1, s8
	s_waitcnt vmcnt(5)
	v_mfma_f32_16x16x16_bf16 v[6:9], v[42:43], v[30:31], v[6:9]
	v_perm_b32 v11, v1, v2, s9
	v_mfma_f32_16x16x16_bf16 v[6:9], v[44:45], v[32:33], v[6:9]
	s_waitcnt vmcnt(4)
	v_mfma_f32_16x16x16_bf16 v[6:9], v[34:35], v[78:79], v[6:9]
	v_mfma_f32_16x16x16_bf16 v[6:9], v[36:37], v[80:81], v[6:9]
	s_waitcnt vmcnt(3)
	v_mfma_f32_16x16x16_bf16 v[6:9], v[58:59], v[22:23], v[6:9]
	;; [unrolled: 3-line block ×5, first 2 shown]
	v_mfma_f32_16x16x16_bf16 v[2:5], v[52:53], v[20:21], v[6:9]
	s_nop 6
	v_bfe_u32 v1, v3, 16, 1
	v_bfe_u32 v6, v2, 16, 1
	v_add3_u32 v2, v2, v6, s8
	v_add3_u32 v1, v3, v1, s8
	v_perm_b32 v2, v1, v2, s9
	v_bfe_u32 v1, v5, 16, 1
	v_bfe_u32 v3, v4, 16, 1
	v_add3_u32 v3, v4, v3, s8
	v_add3_u32 v1, v5, v1, s8
	v_perm_b32 v3, v1, v3, s9
	ds_write2st64_b64 v75, v[10:11], v[2:3] offset1:1
	s_waitcnt lgkmcnt(0)
	s_barrier
	s_and_saveexec_b64 s[4:5], vcc
	s_cbranch_execz .LBB678_18
; %bb.16:
	s_load_dwordx2 s[4:5], s[0:1], 0x68
	s_lshl_b32 s0, s6, 7
	s_mul_i32 s1, s7, s2
	v_lshlrev_b32_e32 v3, 6, v76
	s_mul_hi_u32 s7, s1, s0
	s_mul_i32 s6, s1, s0
	v_lshlrev_b32_e32 v2, 4, v0
	v_lshl_or_b32 v0, v0, 10, v3
	s_lshl_b64 s[6:7], s[6:7], 1
	v_lshlrev_b32_e32 v1, 5, v86
	v_and_b32_e32 v2, 16, v2
	v_and_b32_e32 v0, 0x1a00, v0
	s_waitcnt lgkmcnt(0)
	s_add_u32 s1, s4, s6
	v_or3_b32 v2, v0, v1, v2
	s_addc_u32 s4, s5, s7
	s_lshl_b32 s2, s26, 7
	s_lshl_b64 s[2:3], s[2:3], 1
	ds_read_b128 v[4:7], v2 offset:128
	ds_read_b128 v[8:11], v2
	s_add_u32 s2, s1, s2
	s_addc_u32 s3, s4, s3
	v_mov_b32_e32 v75, 0
	v_add_u32_e32 v3, s40, v86
	v_lshl_add_u64 v[0:1], s[2:3], 0, v[74:75]
	v_mad_u64_u32 v[12:13], s[2:3], v3, s0, 0
	v_lshl_add_u64 v[12:13], v[12:13], 1, v[0:1]
	v_add_u32_e32 v3, 4, v3
	s_waitcnt lgkmcnt(0)
	global_store_dwordx4 v[12:13], v[8:11], off
	v_cmp_ne_u32_e32 vcc, 3, v86
	s_nop 0
	v_mad_u64_u32 v[8:9], s[2:3], v3, s0, 0
	v_lshl_add_u64 v[8:9], v[8:9], 1, v[0:1]
	global_store_dwordx4 v[8:9], v[4:7], off
	s_and_b64 exec, exec, vcc
	s_cbranch_execz .LBB678_18
; %bb.17:
	ds_read_b128 v[2:5], v2 offset:256
	v_add3_u32 v6, s40, v86, 8
	v_mad_u64_u32 v[6:7], s[0:1], v6, s0, 0
	v_lshl_add_u64 v[0:1], v[6:7], 1, v[0:1]
	s_waitcnt lgkmcnt(0)
	global_store_dwordx4 v[0:1], v[2:5], off
.LBB678_18:
	s_endpgm
	.section	.rodata,"a",@progbits
	.p2align	6, 0x0
	.amdhsa_kernel _Z39paged_attention_ll4mi_QKV_mfma16_kernelI14__hip_bfloat16S0_LN4vllm18Fp8KVCacheDataTypeE0ES0_Li16ELi128ELi256ELb0ELi11EEvPKT_PKT0_S8_ifPKiSA_SA_iPKfiiiPfSD_PS3_PT2_iSC_SC_
		.amdhsa_group_segment_fixed_size 8192
		.amdhsa_private_segment_fixed_size 0
		.amdhsa_kernarg_size 400
		.amdhsa_user_sgpr_count 2
		.amdhsa_user_sgpr_dispatch_ptr 0
		.amdhsa_user_sgpr_queue_ptr 0
		.amdhsa_user_sgpr_kernarg_segment_ptr 1
		.amdhsa_user_sgpr_dispatch_id 0
		.amdhsa_user_sgpr_kernarg_preload_length 0
		.amdhsa_user_sgpr_kernarg_preload_offset 0
		.amdhsa_user_sgpr_private_segment_size 0
		.amdhsa_uses_dynamic_stack 0
		.amdhsa_enable_private_segment 0
		.amdhsa_system_sgpr_workgroup_id_x 1
		.amdhsa_system_sgpr_workgroup_id_y 1
		.amdhsa_system_sgpr_workgroup_id_z 1
		.amdhsa_system_sgpr_workgroup_info 0
		.amdhsa_system_vgpr_workitem_id 0
		.amdhsa_next_free_vgpr 96
		.amdhsa_next_free_sgpr 42
		.amdhsa_accum_offset 96
		.amdhsa_reserve_vcc 1
		.amdhsa_float_round_mode_32 0
		.amdhsa_float_round_mode_16_64 0
		.amdhsa_float_denorm_mode_32 3
		.amdhsa_float_denorm_mode_16_64 3
		.amdhsa_dx10_clamp 1
		.amdhsa_ieee_mode 1
		.amdhsa_fp16_overflow 0
		.amdhsa_tg_split 0
		.amdhsa_exception_fp_ieee_invalid_op 0
		.amdhsa_exception_fp_denorm_src 0
		.amdhsa_exception_fp_ieee_div_zero 0
		.amdhsa_exception_fp_ieee_overflow 0
		.amdhsa_exception_fp_ieee_underflow 0
		.amdhsa_exception_fp_ieee_inexact 0
		.amdhsa_exception_int_div_zero 0
	.end_amdhsa_kernel
	.section	.text._Z39paged_attention_ll4mi_QKV_mfma16_kernelI14__hip_bfloat16S0_LN4vllm18Fp8KVCacheDataTypeE0ES0_Li16ELi128ELi256ELb0ELi11EEvPKT_PKT0_S8_ifPKiSA_SA_iPKfiiiPfSD_PS3_PT2_iSC_SC_,"axG",@progbits,_Z39paged_attention_ll4mi_QKV_mfma16_kernelI14__hip_bfloat16S0_LN4vllm18Fp8KVCacheDataTypeE0ES0_Li16ELi128ELi256ELb0ELi11EEvPKT_PKT0_S8_ifPKiSA_SA_iPKfiiiPfSD_PS3_PT2_iSC_SC_,comdat
.Lfunc_end678:
	.size	_Z39paged_attention_ll4mi_QKV_mfma16_kernelI14__hip_bfloat16S0_LN4vllm18Fp8KVCacheDataTypeE0ES0_Li16ELi128ELi256ELb0ELi11EEvPKT_PKT0_S8_ifPKiSA_SA_iPKfiiiPfSD_PS3_PT2_iSC_SC_, .Lfunc_end678-_Z39paged_attention_ll4mi_QKV_mfma16_kernelI14__hip_bfloat16S0_LN4vllm18Fp8KVCacheDataTypeE0ES0_Li16ELi128ELi256ELb0ELi11EEvPKT_PKT0_S8_ifPKiSA_SA_iPKfiiiPfSD_PS3_PT2_iSC_SC_
                                        ; -- End function
	.section	.AMDGPU.csdata,"",@progbits
; Kernel info:
; codeLenInByte = 4728
; NumSgprs: 48
; NumVgprs: 96
; NumAgprs: 0
; TotalNumVgprs: 96
; ScratchSize: 0
; MemoryBound: 0
; FloatMode: 240
; IeeeMode: 1
; LDSByteSize: 8192 bytes/workgroup (compile time only)
; SGPRBlocks: 5
; VGPRBlocks: 11
; NumSGPRsForWavesPerEU: 48
; NumVGPRsForWavesPerEU: 96
; AccumOffset: 96
; Occupancy: 5
; WaveLimiterHint : 1
; COMPUTE_PGM_RSRC2:SCRATCH_EN: 0
; COMPUTE_PGM_RSRC2:USER_SGPR: 2
; COMPUTE_PGM_RSRC2:TRAP_HANDLER: 0
; COMPUTE_PGM_RSRC2:TGID_X_EN: 1
; COMPUTE_PGM_RSRC2:TGID_Y_EN: 1
; COMPUTE_PGM_RSRC2:TGID_Z_EN: 1
; COMPUTE_PGM_RSRC2:TIDIG_COMP_CNT: 0
; COMPUTE_PGM_RSRC3_GFX90A:ACCUM_OFFSET: 23
; COMPUTE_PGM_RSRC3_GFX90A:TG_SPLIT: 0
	.section	.text._Z39paged_attention_ll4mi_QKV_mfma16_kernelI14__hip_bfloat16S0_LN4vllm18Fp8KVCacheDataTypeE0ES0_Li16ELi128ELi256ELb0ELi12EEvPKT_PKT0_S8_ifPKiSA_SA_iPKfiiiPfSD_PS3_PT2_iSC_SC_,"axG",@progbits,_Z39paged_attention_ll4mi_QKV_mfma16_kernelI14__hip_bfloat16S0_LN4vllm18Fp8KVCacheDataTypeE0ES0_Li16ELi128ELi256ELb0ELi12EEvPKT_PKT0_S8_ifPKiSA_SA_iPKfiiiPfSD_PS3_PT2_iSC_SC_,comdat
	.protected	_Z39paged_attention_ll4mi_QKV_mfma16_kernelI14__hip_bfloat16S0_LN4vllm18Fp8KVCacheDataTypeE0ES0_Li16ELi128ELi256ELb0ELi12EEvPKT_PKT0_S8_ifPKiSA_SA_iPKfiiiPfSD_PS3_PT2_iSC_SC_ ; -- Begin function _Z39paged_attention_ll4mi_QKV_mfma16_kernelI14__hip_bfloat16S0_LN4vllm18Fp8KVCacheDataTypeE0ES0_Li16ELi128ELi256ELb0ELi12EEvPKT_PKT0_S8_ifPKiSA_SA_iPKfiiiPfSD_PS3_PT2_iSC_SC_
	.globl	_Z39paged_attention_ll4mi_QKV_mfma16_kernelI14__hip_bfloat16S0_LN4vllm18Fp8KVCacheDataTypeE0ES0_Li16ELi128ELi256ELb0ELi12EEvPKT_PKT0_S8_ifPKiSA_SA_iPKfiiiPfSD_PS3_PT2_iSC_SC_
	.p2align	8
	.type	_Z39paged_attention_ll4mi_QKV_mfma16_kernelI14__hip_bfloat16S0_LN4vllm18Fp8KVCacheDataTypeE0ES0_Li16ELi128ELi256ELb0ELi12EEvPKT_PKT0_S8_ifPKiSA_SA_iPKfiiiPfSD_PS3_PT2_iSC_SC_,@function
_Z39paged_attention_ll4mi_QKV_mfma16_kernelI14__hip_bfloat16S0_LN4vllm18Fp8KVCacheDataTypeE0ES0_Li16ELi128ELi256ELb0ELi12EEvPKT_PKT0_S8_ifPKiSA_SA_iPKfiiiPfSD_PS3_PT2_iSC_SC_: ; @_Z39paged_attention_ll4mi_QKV_mfma16_kernelI14__hip_bfloat16S0_LN4vllm18Fp8KVCacheDataTypeE0ES0_Li16ELi128ELi256ELb0ELi12EEvPKT_PKT0_S8_ifPKiSA_SA_iPKfiiiPfSD_PS3_PT2_iSC_SC_
; %bb.0:
	s_load_dwordx2 s[8:9], s[0:1], 0x30
	s_mov_b32 s26, s3
	s_mov_b64 s[6:7], 0
	s_waitcnt lgkmcnt(0)
	s_cmp_lg_u64 s[8:9], 0
	s_cselect_b64 s[10:11], -1, 0
	s_and_b64 vcc, exec, s[10:11]
	s_cbranch_vccz .LBB679_7
; %bb.1:
	s_add_i32 s12, s2, 1
	s_mov_b32 s13, 0
	s_lshl_b64 s[14:15], s[12:13], 2
	s_add_u32 s14, s8, s14
	s_mov_b32 s3, s13
	s_addc_u32 s15, s9, s15
	s_lshl_b64 s[12:13], s[2:3], 2
	s_add_u32 s12, s8, s12
	s_addc_u32 s13, s9, s13
	s_load_dword s5, s[14:15], 0x0
	s_load_dword s16, s[12:13], 0x0
	s_waitcnt lgkmcnt(0)
	s_sub_i32 s5, s5, s16
	s_cmp_eq_u32 s5, 1
	s_cselect_b64 s[12:13], -1, 0
	s_andn2_b64 vcc, exec, s[6:7]
	s_cbranch_vccnz .LBB679_3
.LBB679_2:
	s_mov_b32 s3, 0
	s_mov_b64 s[12:13], -1
.LBB679_3:
	s_andn2_b64 vcc, exec, s[12:13]
	s_cbranch_vccnz .LBB679_17
; %bb.4:
	s_load_dwordx2 s[6:7], s[0:1], 0x28
	s_lshl_b64 s[16:17], s[2:3], 2
	s_waitcnt lgkmcnt(0)
	s_add_u32 s6, s6, s16
	s_addc_u32 s7, s7, s17
	s_load_dword s33, s[6:7], 0x0
	s_lshl_b32 s18, s26, 8
	s_waitcnt lgkmcnt(0)
	s_cmp_ge_i32 s18, s33
	s_cbranch_scc1 .LBB679_17
; %bb.5:
	s_load_dwordx2 s[6:7], s[0:1], 0x20
	s_load_dword s5, s[0:1], 0x38
	s_add_i32 s12, s33, 15
	s_ashr_i32 s13, s12, 31
	v_and_b32_e32 v1, 0xcf, v0
	s_lshr_b32 s13, s13, 28
	v_add_u32_e32 v1, s18, v1
	s_add_i32 s12, s12, s13
	v_ashrrev_i32_e32 v2, 31, v1
	s_ashr_i32 s19, s12, 4
	v_lshrrev_b32_e32 v4, 28, v2
	s_add_i32 s19, s19, -1
	s_waitcnt lgkmcnt(0)
	s_mul_i32 s12, s2, s5
	s_mov_b32 s13, 0
	v_add_u32_e32 v2, v1, v4
	s_lshl_b64 s[12:13], s[12:13], 2
	v_ashrrev_i32_e32 v2, 4, v2
	v_mov_b32_e32 v5, s19
	v_cmp_gt_i32_e32 vcc, s33, v1
	s_add_u32 s6, s6, s12
	s_addc_u32 s7, s7, s13
	v_cndmask_b32_e32 v2, v5, v2, vcc
	v_ashrrev_i32_e32 v3, 31, v2
	v_lshl_add_u64 v[6:7], v[2:3], 2, s[6:7]
	v_or_b32_e32 v2, 16, v1
	v_add_u32_e32 v3, v2, v4
	v_ashrrev_i32_e32 v3, 4, v3
	v_cmp_gt_i32_e32 vcc, s33, v2
	s_load_dwordx4 s[12:15], s[0:1], 0x8
	s_nop 0
	v_cndmask_b32_e32 v2, v5, v3, vcc
	v_ashrrev_i32_e32 v3, 31, v2
	v_lshl_add_u64 v[8:9], v[2:3], 2, s[6:7]
	v_or_b32_e32 v2, 32, v1
	v_add_u32_e32 v3, v2, v4
	v_ashrrev_i32_e32 v3, 4, v3
	v_cmp_gt_i32_e32 vcc, s33, v2
	v_or_b32_e32 v1, 48, v1
	s_nop 0
	v_cndmask_b32_e32 v2, v5, v3, vcc
	v_ashrrev_i32_e32 v3, 31, v2
	v_lshl_add_u64 v[10:11], v[2:3], 2, s[6:7]
	v_add_u32_e32 v2, v1, v4
	v_ashrrev_i32_e32 v2, 4, v2
	v_cmp_gt_i32_e32 vcc, s33, v1
	s_nop 1
	v_cndmask_b32_e32 v2, v5, v2, vcc
	v_ashrrev_i32_e32 v3, 31, v2
	v_lshl_add_u64 v[12:13], v[2:3], 2, s[6:7]
	global_load_dword v4, v[6:7], off
	global_load_dword v3, v[8:9], off
	;; [unrolled: 1-line block ×4, first 2 shown]
	s_andn2_b64 vcc, exec, s[10:11]
	s_cbranch_vccnz .LBB679_8
; %bb.6:
	s_add_u32 s8, s8, s16
	s_addc_u32 s9, s9, s17
	s_load_dword s5, s[8:9], 0x0
	s_branch .LBB679_9
.LBB679_7:
	s_mov_b64 s[12:13], 0
	s_branch .LBB679_2
.LBB679_8:
	s_mov_b32 s5, s2
.LBB679_9:
	s_load_dwordx4 s[8:11], s[0:1], 0x48
	v_and_b32_e32 v76, 15, v0
	v_lshlrev_b32_e32 v5, 3, v76
	s_waitcnt lgkmcnt(0)
	s_movk_i32 s11, 0xc0
	v_lshrrev_b32_e32 v77, 6, v0
	v_and_b32_e32 v86, 63, v0
	v_bfe_u32 v1, v0, 4, 2
	s_mul_i32 s40, s4, 12
	v_cmp_gt_u32_e32 vcc, s11, v0
	v_lshlrev_b32_e32 v6, 1, v5
	scratch_store_dwordx2 off, v[6:7], off  ; 8-byte Folded Spill
	s_and_saveexec_b64 s[16:17], vcc
	s_cbranch_execz .LBB679_11
; %bb.10:
	scratch_load_dwordx2 v[8:9], off, off   ; 8-byte Folded Reload
	s_load_dwordx2 s[20:21], s[0:1], 0x0
	s_ashr_i32 s11, s8, 31
	s_mul_hi_u32 s22, s5, s8
	s_mul_i32 s11, s5, s11
	s_add_i32 s23, s22, s11
	s_mul_i32 s22, s5, s8
	v_lshl_or_b32 v5, v77, 2, v1
	s_lshl_b64 s[22:23], s[22:23], 1
	s_waitcnt lgkmcnt(0)
	s_add_u32 s20, s20, s22
	v_add_lshl_u32 v6, v5, s40, 7
	s_addc_u32 s21, s21, s23
	v_ashrrev_i32_e32 v7, 31, v6
	v_lshl_add_u64 v[6:7], v[6:7], 1, s[20:21]
	v_mov_b32_e32 v11, 0
	v_lshlrev_b32_e32 v5, 5, v5
	s_waitcnt vmcnt(0)
	v_mov_b32_e32 v10, v8
	v_lshl_add_u64 v[6:7], v[6:7], 0, v[10:11]
	scratch_store_dwordx2 off, v[8:9], off  ; 8-byte Folded Spill
	global_load_dwordx4 v[6:9], v[6:7], off
	v_and_b32_e32 v10, 3, v0
	v_lshlrev_b32_e32 v11, 9, v76
	v_lshlrev_b32_e32 v10, 9, v10
	v_and_b32_e32 v11, 0x1800, v11
	v_or3_b32 v5, v11, v10, v5
	s_waitcnt vmcnt(0)
	ds_write_b128 v5, v[6:9]
.LBB679_11:
	s_or_b64 exec, exec, s[16:17]
	s_mul_i32 s4, s4, s10
	s_mov_b32 s5, 0
	s_lshl_b64 s[4:5], s[4:5], 1
	s_add_u32 s10, s12, s4
	v_lshlrev_b32_e32 v6, 4, v0
	s_addc_u32 s11, s13, s5
	v_and_b32_e32 v34, 0xf0, v6
	v_mov_b32_e32 v35, 0
	v_lshl_add_u64 v[30:31], s[10:11], 0, v[34:35]
	s_waitcnt vmcnt(4)
	v_mad_i64_i32 v[4:5], s[10:11], v4, s9, 0
	v_lshl_add_u64 v[4:5], v[4:5], 1, v[30:31]
	v_and_b32_e32 v34, 0x300, v6
	v_lshl_add_u64 v[32:33], v[4:5], 0, v[34:35]
	s_load_dword s27, s[0:1], 0x98
	s_load_dword s8, s[0:1], 0x1c
	s_waitcnt lgkmcnt(0)
	s_barrier
	global_load_dwordx4 v[6:9], v[32:33], off
	global_load_dwordx4 v[18:21], v[32:33], off offset:1024
	s_waitcnt vmcnt(5)
	v_mad_i64_i32 v[4:5], s[10:11], v3, s9, 0
	s_waitcnt vmcnt(4)
	v_mad_i64_i32 v[2:3], s[10:11], v2, s9, 0
	v_lshl_add_u64 v[4:5], v[4:5], 1, v[30:31]
	v_lshl_add_u64 v[2:3], v[2:3], 1, v[30:31]
	;; [unrolled: 1-line block ×4, first 2 shown]
	global_load_dwordx4 v[14:17], v[36:37], off
	global_load_dwordx4 v[22:25], v[36:37], off offset:1024
	global_load_dwordx4 v[26:29], v[38:39], off
	global_load_dwordx4 v[46:49], v[38:39], off offset:1024
	v_add_u32_e32 v2, -12, v76
	v_cmp_gt_u32_e32 vcc, 12, v76
	global_load_dwordx4 v[54:57], v[32:33], off offset:2048
	global_load_dwordx4 v[62:65], v[36:37], off offset:2048
	v_cndmask_b32_e32 v2, v2, v76, vcc
	v_lshlrev_b32_e32 v2, 5, v2
	v_lshl_add_u32 v41, v1, 9, v2
	ds_read_b128 v[10:13], v41
	ds_read_b128 v[2:5], v41 offset:2048
	v_mov_b32_e32 v70, s19
	v_lshl_or_b32 v87, v77, 4, v76
	s_add_u32 s4, s14, s4
	s_addc_u32 s5, s15, s5
	s_mov_b32 s41, 0xff7fffff
	v_mov_b32_e32 v74, v1
	s_waitcnt vmcnt(7) lgkmcnt(1)
	v_mfma_f32_16x16x16_bf16 v[42:45], v[6:7], v[10:11], 0
	v_mfma_f32_16x16x16_bf16 v[6:9], v[8:9], v[12:13], v[42:45]
	s_nop 5
	global_load_dwordx4 v[42:45], v[38:39], off offset:2048
	s_waitcnt vmcnt(6)
	v_mfma_f32_16x16x16_bf16 v[50:53], v[14:15], v[10:11], 0
	s_waitcnt vmcnt(4)
	v_mfma_f32_16x16x16_bf16 v[58:61], v[26:27], v[10:11], 0
	v_mfma_f32_16x16x16_bf16 v[14:17], v[16:17], v[12:13], v[50:53]
	;; [unrolled: 1-line block ×3, first 2 shown]
	s_nop 2
	global_load_dwordx4 v[50:53], v[32:33], off offset:3072
	v_mad_i64_i32 v[32:33], s[10:11], v40, s9, 0
	s_waitcnt lgkmcnt(0)
	v_mfma_f32_16x16x16_bf16 v[6:9], v[18:19], v[2:3], v[6:9]
	v_and_or_b32 v40, v0, 48, s18
	v_ashrrev_i32_e32 v58, 4, v40
	v_cmp_gt_i32_e32 vcc, s33, v40
	v_mfma_f32_16x16x16_bf16 v[14:17], v[22:23], v[2:3], v[14:17]
	v_or_b32_e32 v66, 64, v40
	v_cndmask_b32_e32 v22, v70, v58, vcc
	v_ashrrev_i32_e32 v23, 31, v22
	s_waitcnt vmcnt(4)
	v_mfma_f32_16x16x16_bf16 v[26:29], v[46:47], v[2:3], v[26:29]
	v_or_b32_e32 v71, 0x80, v40
	v_or_b32_e32 v72, 0xc0, v40
	v_ashrrev_i32_e32 v40, 4, v66
	v_mfma_f32_16x16x16_bf16 v[6:9], v[20:21], v[4:5], v[6:9]
	global_load_dwordx4 v[18:21], v[38:39], off offset:3072
	v_cmp_gt_i32_e32 vcc, s33, v66
	v_lshl_add_u64 v[22:23], v[22:23], 2, s[6:7]
	global_load_dwordx4 v[58:61], v[36:37], off offset:3072
	v_cndmask_b32_e32 v36, v70, v40, vcc
	v_mfma_f32_16x16x16_bf16 v[14:17], v[24:25], v[4:5], v[14:17]
	global_load_dword v79, v[22:23], off
	ds_read_b128 v[66:69], v41 offset:4096
	v_ashrrev_i32_e32 v37, 31, v36
	v_mfma_f32_16x16x16_bf16 v[22:25], v[48:49], v[4:5], v[26:29]
	v_ashrrev_i32_e32 v73, 4, v71
	v_cmp_gt_i32_e32 vcc, s33, v71
	v_ashrrev_i32_e32 v78, 4, v72
	v_lshl_add_u64 v[26:27], v[32:33], 1, v[30:31]
	v_lshl_add_u64 v[26:27], v[26:27], 0, v[34:35]
	;; [unrolled: 1-line block ×3, first 2 shown]
	global_load_dwordx4 v[46:49], v[26:27], off
	global_load_dword v36, v[28:29], off
	s_waitcnt vmcnt(8) lgkmcnt(0)
	v_mfma_f32_16x16x16_bf16 v[6:9], v[54:55], v[66:67], v[6:9]
	v_cndmask_b32_e32 v28, v70, v73, vcc
	v_ashrrev_i32_e32 v29, 31, v28
	v_lshl_add_u64 v[28:29], v[28:29], 2, s[6:7]
	v_mfma_f32_16x16x16_bf16 v[6:9], v[56:57], v[68:69], v[6:9]
	global_load_dwordx4 v[54:57], v[26:27], off offset:1024
	v_cmp_gt_i32_e32 vcc, s33, v72
	global_load_dword v84, v[28:29], off
	s_waitcnt vmcnt(9)
	v_mfma_f32_16x16x16_bf16 v[14:17], v[62:63], v[66:67], v[14:17]
	v_cndmask_b32_e32 v28, v70, v78, vcc
	v_ashrrev_i32_e32 v29, 31, v28
	v_lshl_add_u64 v[28:29], v[28:29], 2, s[6:7]
	v_mfma_f32_16x16x16_bf16 v[14:17], v[64:65], v[68:69], v[14:17]
	global_load_dword v64, v[28:29], off
	ds_read_b128 v[38:41], v41 offset:6144
	v_lshlrev_b32_e32 v34, 5, v87
	v_lshl_add_u64 v[62:63], s[4:5], 0, v[34:35]
	v_or_b32_e32 v34, 0x800, v34
	s_waitcnt vmcnt(9)
	v_mfma_f32_16x16x16_bf16 v[22:25], v[42:43], v[66:67], v[22:25]
	global_load_dwordx4 v[70:73], v[26:27], off offset:3072
	v_mfma_f32_16x16x16_bf16 v[22:25], v[44:45], v[68:69], v[22:25]
	global_load_dwordx4 v[42:45], v[26:27], off offset:2048
	s_waitcnt vmcnt(10) lgkmcnt(0)
	v_mfma_f32_16x16x16_bf16 v[6:9], v[50:51], v[38:39], v[6:9]
	s_waitcnt vmcnt(9)
	v_mfma_f32_16x16x16_bf16 v[22:25], v[18:19], v[38:39], v[22:25]
	s_waitcnt vmcnt(7)
	v_mad_i64_i32 v[18:19], s[6:7], v79, s9, 0
	v_lshlrev_b64 v[82:83], 1, v[18:19]
	v_mfma_f32_16x16x16_bf16 v[78:81], v[52:53], v[40:41], v[6:9]
	s_nop 2
	v_lshl_add_u64 v[6:7], v[62:63], 0, v[82:83]
	global_load_dwordx4 v[30:33], v[6:7], off
	global_load_dwordx4 v[26:29], v[6:7], off offset:16
	v_mfma_f32_16x16x16_bf16 v[88:91], v[20:21], v[40:41], v[22:25]
	s_waitcnt vmcnt(7)
	v_mad_i64_i32 v[6:7], s[6:7], v36, s9, 0
	v_lshlrev_b64 v[36:37], 1, v[6:7]
	v_lshl_add_u64 v[6:7], v[62:63], 0, v[36:37]
	global_load_dwordx4 v[22:25], v[6:7], off
	global_load_dwordx4 v[18:21], v[6:7], off offset:16
	v_mfma_f32_16x16x16_bf16 v[6:9], v[46:47], v[10:11], 0
	s_waitcnt vmcnt(7)
	v_mad_i64_i32 v[10:11], s[6:7], v84, s9, 0
	v_mfma_f32_16x16x16_bf16 v[6:9], v[48:49], v[12:13], v[6:9]
	v_lshlrev_b64 v[50:51], 1, v[10:11]
	v_lshl_add_u64 v[10:11], v[62:63], 0, v[50:51]
	v_mfma_f32_16x16x16_bf16 v[6:9], v[54:55], v[2:3], v[6:9]
	s_waitcnt vmcnt(6)
	v_mad_i64_i32 v[2:3], s[6:7], v64, s9, 0
	v_lshlrev_b64 v[52:53], 1, v[2:3]
	v_mfma_f32_16x16x16_bf16 v[46:49], v[56:57], v[4:5], v[6:9]
	v_lshl_add_u64 v[2:3], v[62:63], 0, v[52:53]
	v_pk_mul_f32 v[62:63], s[8:9], v[78:79] op_sel_hi:[0,1]
	v_lshl_add_u64 v[64:65], s[4:5], 0, v[34:35]
	v_mfma_f32_16x16x16_bf16 v[14:17], v[58:59], v[38:39], v[14:17]
	v_lshl_add_u64 v[34:35], v[64:65], 0, v[82:83]
	v_pk_mul_f32 v[82:83], s[8:9], v[80:81] op_sel_hi:[0,1]
	v_pk_mul_f32 v[78:79], s[8:9], v[88:89] op_sel_hi:[0,1]
	v_mfma_f32_16x16x16_bf16 v[58:61], v[60:61], v[40:41], v[14:17]
	v_pk_mul_f32 v[80:81], s[8:9], v[90:91] op_sel_hi:[0,1]
	s_nop 1
	global_load_dwordx4 v[14:17], v[10:11], off
	s_nop 0
	global_load_dwordx4 v[10:13], v[10:11], off offset:16
	s_nop 0
	global_load_dwordx4 v[6:9], v[2:3], off
	s_nop 0
	global_load_dwordx4 v[2:5], v[2:3], off offset:16
	s_waitcnt vmcnt(8)
	v_mfma_f32_16x16x16_bf16 v[46:49], v[42:43], v[66:67], v[46:49]
	v_pk_mul_f32 v[84:85], s[8:9], v[60:61] op_sel_hi:[0,1]
	v_lshl_add_u64 v[50:51], v[64:65], 0, v[50:51]
	v_mfma_f32_16x16x16_bf16 v[42:45], v[44:45], v[68:69], v[46:49]
	v_mfma_f32_16x16x16_bf16 v[42:45], v[70:71], v[38:39], v[42:45]
	v_pk_mul_f32 v[70:71], s[8:9], v[58:59] op_sel_hi:[0,1]
	v_mfma_f32_16x16x16_bf16 v[38:41], v[72:73], v[40:41], v[42:45]
	s_nop 6
	v_pk_mul_f32 v[72:73], s[8:9], v[38:39] op_sel_hi:[0,1]
	v_and_b32_e32 v38, 0xc0, v0
	v_add_u32_e32 v38, s18, v38
	v_lshl_or_b32 v38, v1, 2, v38
	v_pk_mul_f32 v[66:67], s[8:9], v[40:41] op_sel_hi:[0,1]
	v_or_b32_e32 v41, 1, v38
	v_mov_b32_e32 v39, 0xff7fffff
	v_cmp_gt_i32_e64 s[28:29], s33, v38
	v_cmp_gt_i32_e64 s[30:31], s33, v41
	v_or_b32_e32 v42, 3, v38
	v_cndmask_b32_e64 v40, v39, v62, s[28:29]
	v_cndmask_b32_e64 v41, v39, v63, s[30:31]
	v_max3_f32 v40, v40, s41, v41
	v_or_b32_e32 v41, 2, v38
	v_cmp_gt_i32_e64 s[34:35], s33, v41
	v_cmp_gt_i32_e64 s[36:37], s33, v42
	s_nop 0
	v_cndmask_b32_e64 v41, v39, v82, s[34:35]
	v_cndmask_b32_e64 v42, v39, v83, s[36:37]
	v_max3_f32 v40, v40, v41, v42
	v_or_b32_e32 v41, 16, v38
	v_or_b32_e32 v42, 17, v38
	v_cmp_gt_i32_e64 s[22:23], s33, v41
	v_cmp_gt_i32_e64 s[24:25], s33, v42
	s_nop 0
	v_cndmask_b32_e64 v41, v39, v70, s[22:23]
	v_cndmask_b32_e64 v42, v39, v71, s[24:25]
	v_max3_f32 v40, v40, v41, v42
	v_or_b32_e32 v41, 18, v38
	;; [unrolled: 8-line block ×6, first 2 shown]
	v_or_b32_e32 v38, 51, v38
	v_cmp_gt_i32_e32 vcc, s33, v41
	v_cmp_gt_i32_e64 s[4:5], s33, v38
	s_nop 0
	v_cndmask_b32_e32 v41, v39, v66, vcc
	v_cndmask_b32_e64 v38, v39, v67, s[4:5]
	v_max3_f32 v54, v40, v41, v38
	v_mbcnt_lo_u32_b32 v38, -1, 0
	v_mbcnt_hi_u32_b32 v55, -1, v38
	v_and_b32_e32 v38, 64, v55
	v_add_u32_e32 v56, 64, v38
	v_xor_b32_e32 v38, 32, v55
	v_cmp_lt_i32_e64 s[38:39], v38, v56
	s_nop 1
	v_cndmask_b32_e64 v38, v55, v38, s[38:39]
	v_lshlrev_b32_e32 v89, 2, v38
	ds_bpermute_b32 v57, v89, v54
	global_load_dwordx4 v[46:49], v[34:35], off
	global_load_dwordx4 v[38:41], v[34:35], off offset:16
	v_lshl_add_u64 v[34:35], v[64:65], 0, v[36:37]
	global_load_dwordx4 v[42:45], v[34:35], off
	s_nop 0
	global_load_dwordx4 v[34:37], v[34:35], off offset:16
	s_waitcnt lgkmcnt(0)
	v_max_f32_e32 v57, v57, v57
	v_max_f32_e32 v68, v54, v57
	v_xor_b32_e32 v54, 16, v55
	v_cmp_lt_i32_e64 s[38:39], v54, v56
	s_nop 1
	v_cndmask_b32_e64 v54, v55, v54, s[38:39]
	v_lshlrev_b32_e32 v90, 2, v54
	ds_bpermute_b32 v69, v90, v68
	global_load_dwordx4 v[58:61], v[50:51], off
	global_load_dwordx4 v[54:57], v[50:51], off offset:16
	v_lshl_add_u64 v[50:51], v[64:65], 0, v[52:53]
	s_waitcnt lgkmcnt(0)
	v_max_f32_e32 v52, v69, v69
	v_max_f32_e32 v88, v68, v52
	v_sub_f32_e32 v52, v62, v88
	v_mul_f32_e32 v52, 0x3fb8aa3b, v52
	v_exp_f32_e32 v68, v52
	v_sub_f32_e32 v52, v63, v88
	v_mul_f32_e32 v52, 0x3fb8aa3b, v52
	v_exp_f32_e32 v69, v52
	global_load_dwordx4 v[62:65], v[50:51], off
	s_nop 0
	global_load_dwordx4 v[50:53], v[50:51], off offset:16
	v_sub_f32_e32 v82, v82, v88
	v_mul_f32_e32 v82, 0x3fb8aa3b, v82
	v_sub_f32_e32 v83, v83, v88
	v_exp_f32_e32 v82, v82
	v_mul_f32_e32 v83, 0x3fb8aa3b, v83
	v_sub_f32_e32 v70, v70, v88
	v_exp_f32_e32 v83, v83
	v_mul_f32_e32 v70, 0x3fb8aa3b, v70
	v_sub_f32_e32 v71, v71, v88
	v_cndmask_b32_e64 v68, 0, v68, s[28:29]
	v_exp_f32_e32 v70, v70
	v_mul_f32_e32 v71, 0x3fb8aa3b, v71
	v_sub_f32_e32 v84, v84, v88
	v_add_f32_e32 v91, 0, v68
	v_cndmask_b32_e64 v69, 0, v69, s[30:31]
	v_exp_f32_e32 v71, v71
	v_mul_f32_e32 v84, 0x3fb8aa3b, v84
	v_sub_f32_e32 v85, v85, v88
	v_add_f32_e32 v91, v91, v69
	;; [unrolled: 5-line block ×10, first 2 shown]
	v_cndmask_b32_e64 v80, 0, v80, s[10:11]
	v_exp_f32_e32 v66, v66
	v_mul_f32_e32 v67, 0x3fb8aa3b, v67
	v_add_f32_e32 v91, v91, v80
	v_cndmask_b32_e64 v81, 0, v81, s[12:13]
	v_exp_f32_e32 v67, v67
	v_add_f32_e32 v91, v91, v81
	v_cndmask_b32_e64 v72, 0, v72, s[6:7]
	v_add_f32_e32 v91, v91, v72
	v_cndmask_b32_e64 v73, 0, v73, s[8:9]
	v_add_f32_e32 v91, v91, v73
	v_cndmask_b32_e32 v66, 0, v66, vcc
	v_add_f32_e32 v91, v91, v66
	v_cndmask_b32_e64 v67, 0, v67, s[4:5]
	v_add_f32_e32 v91, v91, v67
	ds_bpermute_b32 v89, v89, v91
	v_cmp_gt_u32_e32 vcc, 16, v86
	s_waitcnt lgkmcnt(0)
	s_barrier
	v_add_f32_e32 v89, v91, v89
	ds_bpermute_b32 v90, v90, v89
	s_and_saveexec_b64 s[4:5], vcc
	s_cbranch_execz .LBB679_13
; %bb.12:
	s_waitcnt lgkmcnt(0)
	v_add_f32_e32 v86, v89, v90
	v_lshlrev_b32_e32 v87, 2, v87
	ds_write2st64_b32 v87, v88, v86 offset1:1
.LBB679_13:
	s_or_b64 exec, exec, s[4:5]
	v_lshlrev_b32_e32 v87, 2, v76
	s_load_dword s6, s[0:1], 0x94
	s_waitcnt lgkmcnt(0)
	s_barrier
	ds_read2_b32 v[88:89], v87 offset1:16
	ds_read2_b32 v[90:91], v87 offset0:32 offset1:48
	ds_read2_b32 v[92:93], v87 offset0:64 offset1:80
	s_movk_i32 s8, 0x7fff
	s_mov_b32 s9, 0x7060302
	s_waitcnt lgkmcnt(2)
	v_max3_f32 v86, v88, s41, v89
	s_waitcnt lgkmcnt(1)
	v_max3_f32 v86, v86, v90, v91
	v_sub_f32_e32 v88, v88, v86
	v_mul_f32_e32 v88, 0x3fb8aa3b, v88
	v_exp_f32_e32 v94, v88
	v_sub_f32_e32 v88, v89, v86
	v_mul_f32_e32 v88, 0x3fb8aa3b, v88
	v_exp_f32_e32 v95, v88
	;; [unrolled: 3-line block ×3, first 2 shown]
	ds_read2_b32 v[88:89], v87 offset0:96 offset1:112
	v_sub_f32_e32 v87, v91, v86
	v_mul_f32_e32 v87, 0x3fb8aa3b, v87
	v_exp_f32_e32 v91, v87
	s_waitcnt lgkmcnt(1)
	v_fma_f32 v87, v94, v92, 0
	v_fmac_f32_e32 v87, v95, v93
	s_waitcnt lgkmcnt(0)
	v_fmac_f32_e32 v87, v90, v88
	v_fmac_f32_e32 v87, v91, v89
	v_add_f32_e32 v88, 0x358637bd, v87
	v_div_scale_f32 v89, s[4:5], v88, v88, 1.0
	v_rcp_f32_e32 v92, v89
	s_barrier
	v_fma_f32 v93, -v89, v92, 1.0
	v_fmac_f32_e32 v92, v93, v92
	v_div_scale_f32 v93, vcc, 1.0, v88, 1.0
	v_mul_f32_e32 v75, v93, v92
	v_fma_f32 v1, -v89, v75, v93
	v_fmac_f32_e32 v75, v1, v92
	v_fma_f32 v1, -v89, v75, v93
	v_div_fmas_f32 v1, v1, v92, v75
	v_cmp_eq_u32_e32 vcc, 1, v77
	v_div_fixup_f32 v1, v1, v88, 1.0
	s_mul_i32 s7, s27, 12
	v_cndmask_b32_e32 v75, v94, v95, vcc
	v_cmp_eq_u32_e32 vcc, 2, v77
	s_nop 1
	v_cndmask_b32_e32 v75, v75, v90, vcc
	v_cmp_eq_u32_e32 vcc, 3, v77
	s_nop 1
	v_cndmask_b32_e32 v75, v75, v91, vcc
	v_mul_f32_e32 v88, v75, v1
	v_pk_mul_f32 v[68:69], v[88:89], v[68:69] op_sel_hi:[0,1]
	v_bfe_u32 v1, v69, 16, 1
	v_bfe_u32 v75, v68, 16, 1
	v_pk_mul_f32 v[82:83], v[88:89], v[82:83] op_sel_hi:[0,1]
	v_add3_u32 v68, v68, v75, s8
	v_add3_u32 v1, v69, v1, s8
	v_perm_b32 v90, v1, v68, s9
	v_bfe_u32 v1, v83, 16, 1
	v_bfe_u32 v68, v82, 16, 1
	v_add3_u32 v68, v82, v68, s8
	v_add3_u32 v1, v83, v1, s8
	v_perm_b32 v91, v1, v68, s9
	v_lshlrev_b32_e32 v1, 3, v74
	v_lshlrev_b32_e32 v68, 5, v76
	;; [unrolled: 1-line block ×3, first 2 shown]
	v_pk_mul_f32 v[70:71], v[88:89], v[70:71] op_sel_hi:[0,1]
	v_or3_b32 v82, v69, v68, v1
	v_bfe_u32 v1, v71, 16, 1
	v_bfe_u32 v69, v70, 16, 1
	v_pk_mul_f32 v[84:85], v[88:89], v[84:85] op_sel_hi:[0,1]
	v_add3_u32 v69, v70, v69, s8
	v_add3_u32 v1, v71, v1, s8
	v_perm_b32 v70, v1, v69, s9
	v_bfe_u32 v1, v85, 16, 1
	v_bfe_u32 v69, v84, 16, 1
	v_add3_u32 v69, v84, v69, s8
	v_add3_u32 v1, v85, v1, s8
	v_pk_mul_f32 v[78:79], v[88:89], v[78:79] op_sel_hi:[0,1]
	v_perm_b32 v71, v1, v69, s9
	v_bfe_u32 v1, v79, 16, 1
	v_bfe_u32 v69, v78, 16, 1
	ds_write2st64_b64 v82, v[90:91], v[70:71] offset1:1
	v_pk_mul_f32 v[70:71], v[88:89], v[80:81] op_sel_hi:[0,1]
	v_add3_u32 v69, v78, v69, s8
	v_add3_u32 v1, v79, v1, s8
	v_perm_b32 v78, v1, v69, s9
	v_bfe_u32 v1, v71, 16, 1
	v_bfe_u32 v69, v70, 16, 1
	v_add3_u32 v69, v70, v69, s8
	v_add3_u32 v1, v71, v1, s8
	v_pk_mul_f32 v[70:71], v[88:89], v[72:73] op_sel_hi:[0,1]
	v_perm_b32 v79, v1, v69, s9
	v_bfe_u32 v1, v71, 16, 1
	v_bfe_u32 v69, v70, 16, 1
	v_pk_mul_f32 v[66:67], v[88:89], v[66:67] op_sel_hi:[0,1]
	v_add3_u32 v69, v70, v69, s8
	v_add3_u32 v1, v71, v1, s8
	v_perm_b32 v70, v1, v69, s9
	v_bfe_u32 v1, v67, 16, 1
	v_bfe_u32 v69, v66, 16, 1
	v_add3_u32 v66, v66, v69, s8
	v_add3_u32 v1, v67, v1, s8
	v_perm_b32 v71, v1, v66, s9
	v_cmp_gt_u32_e32 vcc, 12, v0
	ds_write2st64_b64 v82, v[78:79], v[70:71] offset0:2 offset1:3
	s_and_saveexec_b64 s[4:5], vcc
	s_cbranch_execz .LBB679_15
; %bb.14:
	s_mov_b32 s41, 0
	v_mov_b32_e32 v77, 0
	v_lshl_add_u64 v[66:67], s[40:41], 0, v[76:77]
	v_mov_b32_e32 v1, s7
	v_mad_u64_u32 v[66:67], s[10:11], s2, v1, v[66:67]
	s_mul_i32 s3, s3, s7
	v_mov_b32_e32 v70, s26
	v_mov_b32_e32 v71, v77
	s_load_dwordx4 s[12:15], s[0:1], 0x58
	v_add_u32_e32 v1, s3, v67
	v_mad_u64_u32 v[66:67], s[10:11], v66, s6, v[70:71]
	v_mov_b32_e32 v70, v67
	v_mad_u64_u32 v[70:71], s[10:11], v1, s6, v[70:71]
	v_mov_b32_e32 v67, v70
	v_lshlrev_b64 v[66:67], 2, v[66:67]
	s_waitcnt lgkmcnt(0)
	v_lshl_add_u64 v[70:71], s[14:15], 0, v[66:67]
	v_lshl_add_u64 v[66:67], s[12:13], 0, v[66:67]
	global_store_dword v[70:71], v86, off
	global_store_dword v[66:67], v87, off
.LBB679_15:
	s_or_b64 exec, exec, s[4:5]
	v_lshl_or_b32 v1, v74, 9, v68
	s_waitcnt lgkmcnt(0)
	s_barrier
	ds_read_b128 v[70:73], v1
	ds_read_b128 v[66:69], v1 offset:16
	s_waitcnt vmcnt(15) lgkmcnt(1)
	v_mfma_f32_16x16x16_bf16 v[78:81], v[30:31], v[70:71], 0
	s_mov_b32 s3, 0
	v_cmp_gt_u32_e32 vcc, 64, v0
	v_mfma_f32_16x16x16_bf16 v[30:33], v[32:33], v[72:73], v[78:81]
	s_waitcnt vmcnt(14) lgkmcnt(0)
	v_mfma_f32_16x16x16_bf16 v[30:33], v[26:27], v[66:67], v[30:33]
	v_mfma_f32_16x16x16_bf16 v[26:29], v[28:29], v[68:69], v[30:33]
	s_nop 5
	ds_read_b128 v[30:33], v1 offset:2048
	ds_read_b128 v[78:81], v1 offset:2064
	s_waitcnt vmcnt(13) lgkmcnt(1)
	v_mfma_f32_16x16x16_bf16 v[26:29], v[22:23], v[30:31], v[26:29]
	v_mfma_f32_16x16x16_bf16 v[22:25], v[24:25], v[32:33], v[26:29]
	s_waitcnt vmcnt(12) lgkmcnt(0)
	v_mfma_f32_16x16x16_bf16 v[22:25], v[18:19], v[78:79], v[22:25]
	v_mfma_f32_16x16x16_bf16 v[18:21], v[20:21], v[80:81], v[22:25]
	s_nop 5
	ds_read_b128 v[22:25], v1 offset:4096
	ds_read_b128 v[26:29], v1 offset:4112
	s_waitcnt vmcnt(11) lgkmcnt(1)
	v_mfma_f32_16x16x16_bf16 v[18:21], v[14:15], v[22:23], v[18:21]
	v_mfma_f32_16x16x16_bf16 v[14:17], v[16:17], v[24:25], v[18:21]
	s_waitcnt vmcnt(10) lgkmcnt(0)
	v_mfma_f32_16x16x16_bf16 v[14:17], v[10:11], v[26:27], v[14:17]
	v_mfma_f32_16x16x16_bf16 v[10:13], v[12:13], v[28:29], v[14:17]
	s_nop 5
	ds_read_b128 v[14:17], v1 offset:6144
	ds_read_b128 v[18:21], v1 offset:6160
	s_waitcnt lgkmcnt(0)
	s_barrier
	s_waitcnt vmcnt(9)
	v_mfma_f32_16x16x16_bf16 v[10:13], v[6:7], v[14:15], v[10:13]
	v_mfma_f32_16x16x16_bf16 v[6:9], v[8:9], v[16:17], v[10:13]
	s_waitcnt vmcnt(8)
	v_mfma_f32_16x16x16_bf16 v[6:9], v[2:3], v[18:19], v[6:9]
	v_mfma_f32_16x16x16_bf16 v[2:5], v[4:5], v[20:21], v[6:9]
	;; [unrolled: 3-line block ×3, first 2 shown]
	s_nop 3
	v_bfe_u32 v1, v3, 16, 1
	v_bfe_u32 v10, v2, 16, 1
	v_add3_u32 v2, v2, v10, s8
	s_waitcnt vmcnt(6)
	v_mfma_f32_16x16x16_bf16 v[6:9], v[38:39], v[66:67], v[6:9]
	v_add3_u32 v1, v3, v1, s8
	v_perm_b32 v10, v1, v2, s9
	v_bfe_u32 v1, v5, 16, 1
	v_mfma_f32_16x16x16_bf16 v[6:9], v[40:41], v[68:69], v[6:9]
	v_bfe_u32 v2, v4, 16, 1
	v_add3_u32 v2, v4, v2, s8
	v_add3_u32 v1, v5, v1, s8
	s_waitcnt vmcnt(5)
	v_mfma_f32_16x16x16_bf16 v[6:9], v[42:43], v[30:31], v[6:9]
	v_perm_b32 v11, v1, v2, s9
	v_mfma_f32_16x16x16_bf16 v[6:9], v[44:45], v[32:33], v[6:9]
	s_waitcnt vmcnt(4)
	v_mfma_f32_16x16x16_bf16 v[6:9], v[34:35], v[78:79], v[6:9]
	v_mfma_f32_16x16x16_bf16 v[6:9], v[36:37], v[80:81], v[6:9]
	s_waitcnt vmcnt(3)
	v_mfma_f32_16x16x16_bf16 v[6:9], v[58:59], v[22:23], v[6:9]
	;; [unrolled: 3-line block ×5, first 2 shown]
	v_mfma_f32_16x16x16_bf16 v[2:5], v[52:53], v[20:21], v[6:9]
	s_nop 6
	v_bfe_u32 v1, v3, 16, 1
	v_bfe_u32 v6, v2, 16, 1
	v_add3_u32 v2, v2, v6, s8
	v_add3_u32 v1, v3, v1, s8
	v_perm_b32 v2, v1, v2, s9
	v_bfe_u32 v1, v5, 16, 1
	v_bfe_u32 v3, v4, 16, 1
	v_add3_u32 v3, v4, v3, s8
	v_add3_u32 v1, v5, v1, s8
	v_perm_b32 v3, v1, v3, s9
	ds_write2st64_b64 v82, v[10:11], v[2:3] offset1:1
	s_waitcnt lgkmcnt(0)
	s_barrier
	s_and_saveexec_b64 s[4:5], vcc
	s_cbranch_execz .LBB679_17
; %bb.16:
	v_lshlrev_b32_e32 v3, 6, v76
	v_lshlrev_b32_e32 v2, 4, v0
	v_lshl_or_b32 v0, v0, 10, v3
	v_lshlrev_b32_e32 v1, 5, v74
	v_and_b32_e32 v2, 16, v2
	v_and_b32_e32 v0, 0x1a00, v0
	v_or3_b32 v0, v0, v1, v2
	ds_read_b128 v[2:5], v0
	ds_read_b128 v[6:9], v0 offset:128
	ds_read_b128 v[10:13], v0 offset:256
	scratch_load_dwordx2 v[0:1], off, off   ; 8-byte Folded Reload
	s_load_dwordx2 s[0:1], s[0:1], 0x68
	s_lshl_b32 s6, s6, 7
	s_mul_i32 s2, s7, s2
	s_mul_hi_u32 s5, s2, s6
	s_mul_i32 s4, s2, s6
	s_lshl_b64 s[4:5], s[4:5], 1
	s_waitcnt lgkmcnt(0)
	s_add_u32 s4, s0, s4
	s_addc_u32 s5, s1, s5
	s_lshl_b32 s2, s26, 7
	s_lshl_b64 s[0:1], s[2:3], 1
	s_add_u32 s0, s4, s0
	s_addc_u32 s1, s5, s1
	v_or_b32_e32 v16, s40, v74
	s_waitcnt vmcnt(0)
	v_mov_b32_e32 v1, 0
	v_lshl_add_u64 v[0:1], s[0:1], 0, v[0:1]
	v_mad_u64_u32 v[14:15], s[0:1], v16, s6, 0
	v_lshl_add_u64 v[14:15], v[14:15], 1, v[0:1]
	global_store_dwordx4 v[14:15], v[2:5], off
	s_nop 1
	v_add_u32_e32 v2, 4, v16
	v_mad_u64_u32 v[2:3], s[0:1], v2, s6, 0
	v_lshl_add_u64 v[2:3], v[2:3], 1, v[0:1]
	global_store_dwordx4 v[2:3], v[6:9], off
	v_add_u32_e32 v2, 8, v16
	v_mad_u64_u32 v[2:3], s[0:1], v2, s6, 0
	v_lshl_add_u64 v[0:1], v[2:3], 1, v[0:1]
	global_store_dwordx4 v[0:1], v[10:13], off
.LBB679_17:
	s_endpgm
	.section	.rodata,"a",@progbits
	.p2align	6, 0x0
	.amdhsa_kernel _Z39paged_attention_ll4mi_QKV_mfma16_kernelI14__hip_bfloat16S0_LN4vllm18Fp8KVCacheDataTypeE0ES0_Li16ELi128ELi256ELb0ELi12EEvPKT_PKT0_S8_ifPKiSA_SA_iPKfiiiPfSD_PS3_PT2_iSC_SC_
		.amdhsa_group_segment_fixed_size 8192
		.amdhsa_private_segment_fixed_size 12
		.amdhsa_kernarg_size 400
		.amdhsa_user_sgpr_count 2
		.amdhsa_user_sgpr_dispatch_ptr 0
		.amdhsa_user_sgpr_queue_ptr 0
		.amdhsa_user_sgpr_kernarg_segment_ptr 1
		.amdhsa_user_sgpr_dispatch_id 0
		.amdhsa_user_sgpr_kernarg_preload_length 0
		.amdhsa_user_sgpr_kernarg_preload_offset 0
		.amdhsa_user_sgpr_private_segment_size 0
		.amdhsa_uses_dynamic_stack 0
		.amdhsa_enable_private_segment 1
		.amdhsa_system_sgpr_workgroup_id_x 1
		.amdhsa_system_sgpr_workgroup_id_y 1
		.amdhsa_system_sgpr_workgroup_id_z 1
		.amdhsa_system_sgpr_workgroup_info 0
		.amdhsa_system_vgpr_workitem_id 0
		.amdhsa_next_free_vgpr 96
		.amdhsa_next_free_sgpr 42
		.amdhsa_accum_offset 96
		.amdhsa_reserve_vcc 1
		.amdhsa_float_round_mode_32 0
		.amdhsa_float_round_mode_16_64 0
		.amdhsa_float_denorm_mode_32 3
		.amdhsa_float_denorm_mode_16_64 3
		.amdhsa_dx10_clamp 1
		.amdhsa_ieee_mode 1
		.amdhsa_fp16_overflow 0
		.amdhsa_tg_split 0
		.amdhsa_exception_fp_ieee_invalid_op 0
		.amdhsa_exception_fp_denorm_src 0
		.amdhsa_exception_fp_ieee_div_zero 0
		.amdhsa_exception_fp_ieee_overflow 0
		.amdhsa_exception_fp_ieee_underflow 0
		.amdhsa_exception_fp_ieee_inexact 0
		.amdhsa_exception_int_div_zero 0
	.end_amdhsa_kernel
	.section	.text._Z39paged_attention_ll4mi_QKV_mfma16_kernelI14__hip_bfloat16S0_LN4vllm18Fp8KVCacheDataTypeE0ES0_Li16ELi128ELi256ELb0ELi12EEvPKT_PKT0_S8_ifPKiSA_SA_iPKfiiiPfSD_PS3_PT2_iSC_SC_,"axG",@progbits,_Z39paged_attention_ll4mi_QKV_mfma16_kernelI14__hip_bfloat16S0_LN4vllm18Fp8KVCacheDataTypeE0ES0_Li16ELi128ELi256ELb0ELi12EEvPKT_PKT0_S8_ifPKiSA_SA_iPKfiiiPfSD_PS3_PT2_iSC_SC_,comdat
.Lfunc_end679:
	.size	_Z39paged_attention_ll4mi_QKV_mfma16_kernelI14__hip_bfloat16S0_LN4vllm18Fp8KVCacheDataTypeE0ES0_Li16ELi128ELi256ELb0ELi12EEvPKT_PKT0_S8_ifPKiSA_SA_iPKfiiiPfSD_PS3_PT2_iSC_SC_, .Lfunc_end679-_Z39paged_attention_ll4mi_QKV_mfma16_kernelI14__hip_bfloat16S0_LN4vllm18Fp8KVCacheDataTypeE0ES0_Li16ELi128ELi256ELb0ELi12EEvPKT_PKT0_S8_ifPKiSA_SA_iPKfiiiPfSD_PS3_PT2_iSC_SC_
                                        ; -- End function
	.section	.AMDGPU.csdata,"",@progbits
; Kernel info:
; codeLenInByte = 4744
; NumSgprs: 48
; NumVgprs: 96
; NumAgprs: 0
; TotalNumVgprs: 96
; ScratchSize: 12
; MemoryBound: 0
; FloatMode: 240
; IeeeMode: 1
; LDSByteSize: 8192 bytes/workgroup (compile time only)
; SGPRBlocks: 5
; VGPRBlocks: 11
; NumSGPRsForWavesPerEU: 48
; NumVGPRsForWavesPerEU: 96
; AccumOffset: 96
; Occupancy: 5
; WaveLimiterHint : 1
; COMPUTE_PGM_RSRC2:SCRATCH_EN: 1
; COMPUTE_PGM_RSRC2:USER_SGPR: 2
; COMPUTE_PGM_RSRC2:TRAP_HANDLER: 0
; COMPUTE_PGM_RSRC2:TGID_X_EN: 1
; COMPUTE_PGM_RSRC2:TGID_Y_EN: 1
; COMPUTE_PGM_RSRC2:TGID_Z_EN: 1
; COMPUTE_PGM_RSRC2:TIDIG_COMP_CNT: 0
; COMPUTE_PGM_RSRC3_GFX90A:ACCUM_OFFSET: 23
; COMPUTE_PGM_RSRC3_GFX90A:TG_SPLIT: 0
	.section	.text._Z39paged_attention_ll4mi_QKV_mfma16_kernelI14__hip_bfloat16S0_LN4vllm18Fp8KVCacheDataTypeE0ES0_Li16ELi128ELi256ELb0ELi13EEvPKT_PKT0_S8_ifPKiSA_SA_iPKfiiiPfSD_PS3_PT2_iSC_SC_,"axG",@progbits,_Z39paged_attention_ll4mi_QKV_mfma16_kernelI14__hip_bfloat16S0_LN4vllm18Fp8KVCacheDataTypeE0ES0_Li16ELi128ELi256ELb0ELi13EEvPKT_PKT0_S8_ifPKiSA_SA_iPKfiiiPfSD_PS3_PT2_iSC_SC_,comdat
	.protected	_Z39paged_attention_ll4mi_QKV_mfma16_kernelI14__hip_bfloat16S0_LN4vllm18Fp8KVCacheDataTypeE0ES0_Li16ELi128ELi256ELb0ELi13EEvPKT_PKT0_S8_ifPKiSA_SA_iPKfiiiPfSD_PS3_PT2_iSC_SC_ ; -- Begin function _Z39paged_attention_ll4mi_QKV_mfma16_kernelI14__hip_bfloat16S0_LN4vllm18Fp8KVCacheDataTypeE0ES0_Li16ELi128ELi256ELb0ELi13EEvPKT_PKT0_S8_ifPKiSA_SA_iPKfiiiPfSD_PS3_PT2_iSC_SC_
	.globl	_Z39paged_attention_ll4mi_QKV_mfma16_kernelI14__hip_bfloat16S0_LN4vllm18Fp8KVCacheDataTypeE0ES0_Li16ELi128ELi256ELb0ELi13EEvPKT_PKT0_S8_ifPKiSA_SA_iPKfiiiPfSD_PS3_PT2_iSC_SC_
	.p2align	8
	.type	_Z39paged_attention_ll4mi_QKV_mfma16_kernelI14__hip_bfloat16S0_LN4vllm18Fp8KVCacheDataTypeE0ES0_Li16ELi128ELi256ELb0ELi13EEvPKT_PKT0_S8_ifPKiSA_SA_iPKfiiiPfSD_PS3_PT2_iSC_SC_,@function
_Z39paged_attention_ll4mi_QKV_mfma16_kernelI14__hip_bfloat16S0_LN4vllm18Fp8KVCacheDataTypeE0ES0_Li16ELi128ELi256ELb0ELi13EEvPKT_PKT0_S8_ifPKiSA_SA_iPKfiiiPfSD_PS3_PT2_iSC_SC_: ; @_Z39paged_attention_ll4mi_QKV_mfma16_kernelI14__hip_bfloat16S0_LN4vllm18Fp8KVCacheDataTypeE0ES0_Li16ELi128ELi256ELb0ELi13EEvPKT_PKT0_S8_ifPKiSA_SA_iPKfiiiPfSD_PS3_PT2_iSC_SC_
; %bb.0:
	s_load_dwordx2 s[8:9], s[0:1], 0x30
	s_mov_b32 s26, s3
	s_mov_b64 s[6:7], 0
	s_waitcnt lgkmcnt(0)
	s_cmp_lg_u64 s[8:9], 0
	s_cselect_b64 s[10:11], -1, 0
	s_and_b64 vcc, exec, s[10:11]
	s_cbranch_vccz .LBB680_7
; %bb.1:
	s_add_i32 s12, s2, 1
	s_mov_b32 s13, 0
	s_lshl_b64 s[14:15], s[12:13], 2
	s_add_u32 s14, s8, s14
	s_mov_b32 s3, s13
	s_addc_u32 s15, s9, s15
	s_lshl_b64 s[12:13], s[2:3], 2
	s_add_u32 s12, s8, s12
	s_addc_u32 s13, s9, s13
	s_load_dword s5, s[14:15], 0x0
	s_load_dword s16, s[12:13], 0x0
	s_waitcnt lgkmcnt(0)
	s_sub_i32 s5, s5, s16
	s_cmp_eq_u32 s5, 1
	s_cselect_b64 s[12:13], -1, 0
	s_andn2_b64 vcc, exec, s[6:7]
	s_cbranch_vccnz .LBB680_3
.LBB680_2:
	s_mov_b32 s3, 0
	s_mov_b64 s[12:13], -1
.LBB680_3:
	s_andn2_b64 vcc, exec, s[12:13]
	s_cbranch_vccnz .LBB680_18
; %bb.4:
	s_load_dwordx2 s[6:7], s[0:1], 0x28
	s_lshl_b64 s[16:17], s[2:3], 2
	s_waitcnt lgkmcnt(0)
	s_add_u32 s6, s6, s16
	s_addc_u32 s7, s7, s17
	s_load_dword s33, s[6:7], 0x0
	s_lshl_b32 s18, s26, 8
	s_waitcnt lgkmcnt(0)
	s_cmp_ge_i32 s18, s33
	s_cbranch_scc1 .LBB680_18
; %bb.5:
	s_load_dwordx2 s[6:7], s[0:1], 0x20
	s_load_dword s5, s[0:1], 0x38
	s_add_i32 s12, s33, 15
	s_ashr_i32 s13, s12, 31
	v_and_b32_e32 v1, 0xcf, v0
	s_lshr_b32 s13, s13, 28
	v_add_u32_e32 v1, s18, v1
	s_add_i32 s12, s12, s13
	v_ashrrev_i32_e32 v2, 31, v1
	s_ashr_i32 s19, s12, 4
	v_lshrrev_b32_e32 v4, 28, v2
	s_add_i32 s19, s19, -1
	s_waitcnt lgkmcnt(0)
	s_mul_i32 s12, s2, s5
	s_mov_b32 s13, 0
	v_add_u32_e32 v2, v1, v4
	s_lshl_b64 s[12:13], s[12:13], 2
	v_ashrrev_i32_e32 v2, 4, v2
	v_mov_b32_e32 v5, s19
	v_cmp_gt_i32_e32 vcc, s33, v1
	s_add_u32 s6, s6, s12
	s_addc_u32 s7, s7, s13
	v_cndmask_b32_e32 v2, v5, v2, vcc
	v_ashrrev_i32_e32 v3, 31, v2
	v_lshl_add_u64 v[6:7], v[2:3], 2, s[6:7]
	v_or_b32_e32 v2, 16, v1
	v_add_u32_e32 v3, v2, v4
	v_ashrrev_i32_e32 v3, 4, v3
	v_cmp_gt_i32_e32 vcc, s33, v2
	s_load_dwordx4 s[12:15], s[0:1], 0x8
	s_nop 0
	v_cndmask_b32_e32 v2, v5, v3, vcc
	v_ashrrev_i32_e32 v3, 31, v2
	v_lshl_add_u64 v[8:9], v[2:3], 2, s[6:7]
	v_or_b32_e32 v2, 32, v1
	v_add_u32_e32 v3, v2, v4
	v_ashrrev_i32_e32 v3, 4, v3
	v_cmp_gt_i32_e32 vcc, s33, v2
	v_or_b32_e32 v1, 48, v1
	s_nop 0
	v_cndmask_b32_e32 v2, v5, v3, vcc
	v_ashrrev_i32_e32 v3, 31, v2
	v_lshl_add_u64 v[10:11], v[2:3], 2, s[6:7]
	v_add_u32_e32 v2, v1, v4
	v_ashrrev_i32_e32 v2, 4, v2
	v_cmp_gt_i32_e32 vcc, s33, v1
	s_nop 1
	v_cndmask_b32_e32 v2, v5, v2, vcc
	v_ashrrev_i32_e32 v3, 31, v2
	v_lshl_add_u64 v[12:13], v[2:3], 2, s[6:7]
	global_load_dword v4, v[6:7], off
	global_load_dword v3, v[8:9], off
	;; [unrolled: 1-line block ×4, first 2 shown]
	s_andn2_b64 vcc, exec, s[10:11]
	s_cbranch_vccnz .LBB680_8
; %bb.6:
	s_add_u32 s8, s8, s16
	s_addc_u32 s9, s9, s17
	s_load_dword s5, s[8:9], 0x0
	s_branch .LBB680_9
.LBB680_7:
	s_mov_b64 s[12:13], 0
	s_branch .LBB680_2
.LBB680_8:
	s_mov_b32 s5, s2
.LBB680_9:
	s_load_dwordx4 s[8:11], s[0:1], 0x48
	v_lshrrev_b32_e32 v77, 6, v0
	v_bfe_u32 v86, v0, 4, 2
	v_and_b32_e32 v76, 15, v0
	v_lshl_or_b32 v1, v77, 2, v86
	v_lshlrev_b32_e32 v5, 3, v76
	v_and_b32_e32 v87, 63, v0
	s_mul_i32 s40, s4, 13
	v_cmp_gt_u32_e32 vcc, 13, v1
	v_lshlrev_b32_e32 v74, 1, v5
	s_and_saveexec_b64 s[16:17], vcc
	s_cbranch_execz .LBB680_11
; %bb.10:
	s_load_dwordx2 s[20:21], s[0:1], 0x0
	s_waitcnt lgkmcnt(0)
	s_ashr_i32 s11, s8, 31
	s_mul_hi_u32 s22, s5, s8
	s_mul_i32 s11, s5, s11
	s_add_i32 s23, s22, s11
	s_mul_i32 s22, s5, s8
	s_lshl_b64 s[22:23], s[22:23], 1
	s_add_u32 s20, s20, s22
	v_add_lshl_u32 v6, v1, s40, 7
	s_addc_u32 s21, s21, s23
	v_ashrrev_i32_e32 v7, 31, v6
	v_lshl_add_u64 v[6:7], v[6:7], 1, s[20:21]
	v_mov_b32_e32 v75, 0
	v_lshl_add_u64 v[6:7], v[6:7], 0, v[74:75]
	global_load_dwordx4 v[6:9], v[6:7], off
	v_and_b32_e32 v5, 3, v0
	v_lshlrev_b32_e32 v10, 9, v76
	v_lshlrev_b32_e32 v1, 5, v1
	;; [unrolled: 1-line block ×3, first 2 shown]
	v_and_b32_e32 v10, 0x1800, v10
	v_or3_b32 v1, v10, v5, v1
	s_waitcnt vmcnt(0)
	ds_write_b128 v1, v[6:9]
.LBB680_11:
	s_or_b64 exec, exec, s[16:17]
	s_waitcnt lgkmcnt(0)
	s_mul_i32 s4, s4, s10
	s_mov_b32 s5, 0
	s_lshl_b64 s[4:5], s[4:5], 1
	s_add_u32 s10, s12, s4
	v_lshlrev_b32_e32 v1, 4, v0
	s_addc_u32 s11, s13, s5
	v_and_b32_e32 v34, 0xf0, v1
	v_mov_b32_e32 v35, 0
	v_lshl_add_u64 v[30:31], s[10:11], 0, v[34:35]
	s_waitcnt vmcnt(3)
	v_mad_i64_i32 v[4:5], s[10:11], v4, s9, 0
	v_lshl_add_u64 v[4:5], v[4:5], 1, v[30:31]
	v_and_b32_e32 v34, 0x300, v1
	v_lshl_add_u64 v[32:33], v[4:5], 0, v[34:35]
	s_load_dword s27, s[0:1], 0x98
	s_load_dword s8, s[0:1], 0x1c
	s_waitcnt lgkmcnt(0)
	s_barrier
	global_load_dwordx4 v[6:9], v[32:33], off
	global_load_dwordx4 v[18:21], v[32:33], off offset:1024
	s_waitcnt vmcnt(4)
	v_mad_i64_i32 v[4:5], s[10:11], v3, s9, 0
	s_waitcnt vmcnt(3)
	v_mad_i64_i32 v[2:3], s[10:11], v2, s9, 0
	v_lshl_add_u64 v[4:5], v[4:5], 1, v[30:31]
	v_lshl_add_u64 v[2:3], v[2:3], 1, v[30:31]
	;; [unrolled: 1-line block ×4, first 2 shown]
	global_load_dwordx4 v[14:17], v[36:37], off
	global_load_dwordx4 v[22:25], v[36:37], off offset:1024
	global_load_dwordx4 v[26:29], v[38:39], off
	global_load_dwordx4 v[46:49], v[38:39], off offset:1024
	v_add_u32_e32 v2, -13, v76
	v_cmp_gt_u32_e32 vcc, 13, v76
	global_load_dwordx4 v[54:57], v[32:33], off offset:2048
	global_load_dwordx4 v[62:65], v[36:37], off offset:2048
	v_cndmask_b32_e32 v2, v2, v76, vcc
	v_lshlrev_b32_e32 v2, 5, v2
	v_lshl_add_u32 v41, v86, 9, v2
	ds_read_b128 v[10:13], v41
	ds_read_b128 v[2:5], v41 offset:2048
	v_mov_b32_e32 v70, s19
	s_add_u32 s4, s14, s4
	s_addc_u32 s5, s15, s5
	s_mov_b32 s41, 0xff7fffff
	s_waitcnt vmcnt(7) lgkmcnt(1)
	v_mfma_f32_16x16x16_bf16 v[42:45], v[6:7], v[10:11], 0
	v_mfma_f32_16x16x16_bf16 v[6:9], v[8:9], v[12:13], v[42:45]
	s_nop 5
	global_load_dwordx4 v[42:45], v[38:39], off offset:2048
	s_waitcnt vmcnt(6)
	v_mfma_f32_16x16x16_bf16 v[50:53], v[14:15], v[10:11], 0
	s_waitcnt vmcnt(4)
	v_mfma_f32_16x16x16_bf16 v[58:61], v[26:27], v[10:11], 0
	v_mfma_f32_16x16x16_bf16 v[14:17], v[16:17], v[12:13], v[50:53]
	;; [unrolled: 1-line block ×3, first 2 shown]
	s_nop 2
	global_load_dwordx4 v[50:53], v[32:33], off offset:3072
	v_mad_i64_i32 v[32:33], s[10:11], v40, s9, 0
	s_waitcnt lgkmcnt(0)
	v_mfma_f32_16x16x16_bf16 v[6:9], v[18:19], v[2:3], v[6:9]
	v_and_or_b32 v40, v0, 48, s18
	v_ashrrev_i32_e32 v58, 4, v40
	v_cmp_gt_i32_e32 vcc, s33, v40
	v_mfma_f32_16x16x16_bf16 v[14:17], v[22:23], v[2:3], v[14:17]
	v_or_b32_e32 v66, 64, v40
	v_cndmask_b32_e32 v22, v70, v58, vcc
	v_ashrrev_i32_e32 v23, 31, v22
	s_waitcnt vmcnt(4)
	v_mfma_f32_16x16x16_bf16 v[26:29], v[46:47], v[2:3], v[26:29]
	v_or_b32_e32 v71, 0x80, v40
	v_or_b32_e32 v72, 0xc0, v40
	v_ashrrev_i32_e32 v40, 4, v66
	v_mfma_f32_16x16x16_bf16 v[6:9], v[20:21], v[4:5], v[6:9]
	global_load_dwordx4 v[18:21], v[38:39], off offset:3072
	v_cmp_gt_i32_e32 vcc, s33, v66
	v_lshl_add_u64 v[22:23], v[22:23], 2, s[6:7]
	global_load_dwordx4 v[58:61], v[36:37], off offset:3072
	v_cndmask_b32_e32 v36, v70, v40, vcc
	v_mfma_f32_16x16x16_bf16 v[14:17], v[24:25], v[4:5], v[14:17]
	global_load_dword v78, v[22:23], off
	ds_read_b128 v[66:69], v41 offset:4096
	v_ashrrev_i32_e32 v37, 31, v36
	v_mfma_f32_16x16x16_bf16 v[22:25], v[48:49], v[4:5], v[26:29]
	v_ashrrev_i32_e32 v73, 4, v71
	v_cmp_gt_i32_e32 vcc, s33, v71
	v_ashrrev_i32_e32 v75, 4, v72
	v_lshl_add_u64 v[26:27], v[32:33], 1, v[30:31]
	v_lshl_add_u64 v[26:27], v[26:27], 0, v[34:35]
	;; [unrolled: 1-line block ×3, first 2 shown]
	global_load_dwordx4 v[46:49], v[26:27], off
	global_load_dword v36, v[28:29], off
	s_waitcnt vmcnt(8) lgkmcnt(0)
	v_mfma_f32_16x16x16_bf16 v[6:9], v[54:55], v[66:67], v[6:9]
	v_cndmask_b32_e32 v28, v70, v73, vcc
	v_ashrrev_i32_e32 v29, 31, v28
	v_lshl_add_u64 v[28:29], v[28:29], 2, s[6:7]
	v_mfma_f32_16x16x16_bf16 v[6:9], v[56:57], v[68:69], v[6:9]
	global_load_dwordx4 v[54:57], v[26:27], off offset:1024
	v_cmp_gt_i32_e32 vcc, s33, v72
	global_load_dword v84, v[28:29], off
	s_waitcnt vmcnt(9)
	v_mfma_f32_16x16x16_bf16 v[14:17], v[62:63], v[66:67], v[14:17]
	v_cndmask_b32_e32 v28, v70, v75, vcc
	v_ashrrev_i32_e32 v29, 31, v28
	v_lshl_add_u64 v[28:29], v[28:29], 2, s[6:7]
	v_mfma_f32_16x16x16_bf16 v[14:17], v[64:65], v[68:69], v[14:17]
	global_load_dword v64, v[28:29], off
	ds_read_b128 v[38:41], v41 offset:6144
	v_lshl_or_b32 v75, v77, 4, v76
	v_lshlrev_b32_e32 v34, 5, v75
	v_lshl_add_u64 v[62:63], s[4:5], 0, v[34:35]
	v_or_b32_e32 v34, 0x800, v34
	s_waitcnt vmcnt(9)
	v_mfma_f32_16x16x16_bf16 v[22:25], v[42:43], v[66:67], v[22:25]
	global_load_dwordx4 v[70:73], v[26:27], off offset:3072
	v_mfma_f32_16x16x16_bf16 v[22:25], v[44:45], v[68:69], v[22:25]
	global_load_dwordx4 v[42:45], v[26:27], off offset:2048
	s_waitcnt vmcnt(10) lgkmcnt(0)
	v_mfma_f32_16x16x16_bf16 v[6:9], v[50:51], v[38:39], v[6:9]
	s_waitcnt vmcnt(9)
	v_mfma_f32_16x16x16_bf16 v[22:25], v[18:19], v[38:39], v[22:25]
	s_waitcnt vmcnt(7)
	v_mad_i64_i32 v[18:19], s[6:7], v78, s9, 0
	v_lshlrev_b64 v[82:83], 1, v[18:19]
	v_mfma_f32_16x16x16_bf16 v[78:81], v[52:53], v[40:41], v[6:9]
	s_nop 2
	v_lshl_add_u64 v[6:7], v[62:63], 0, v[82:83]
	global_load_dwordx4 v[30:33], v[6:7], off
	global_load_dwordx4 v[26:29], v[6:7], off offset:16
	v_mfma_f32_16x16x16_bf16 v[88:91], v[20:21], v[40:41], v[22:25]
	s_waitcnt vmcnt(7)
	v_mad_i64_i32 v[6:7], s[6:7], v36, s9, 0
	v_lshlrev_b64 v[36:37], 1, v[6:7]
	v_lshl_add_u64 v[6:7], v[62:63], 0, v[36:37]
	global_load_dwordx4 v[22:25], v[6:7], off
	global_load_dwordx4 v[18:21], v[6:7], off offset:16
	v_mfma_f32_16x16x16_bf16 v[6:9], v[46:47], v[10:11], 0
	s_waitcnt vmcnt(7)
	v_mad_i64_i32 v[10:11], s[6:7], v84, s9, 0
	v_mfma_f32_16x16x16_bf16 v[6:9], v[48:49], v[12:13], v[6:9]
	v_lshlrev_b64 v[50:51], 1, v[10:11]
	v_lshl_add_u64 v[10:11], v[62:63], 0, v[50:51]
	v_mfma_f32_16x16x16_bf16 v[6:9], v[54:55], v[2:3], v[6:9]
	s_waitcnt vmcnt(6)
	v_mad_i64_i32 v[2:3], s[6:7], v64, s9, 0
	v_lshlrev_b64 v[52:53], 1, v[2:3]
	v_mfma_f32_16x16x16_bf16 v[46:49], v[56:57], v[4:5], v[6:9]
	v_lshl_add_u64 v[2:3], v[62:63], 0, v[52:53]
	v_pk_mul_f32 v[62:63], s[8:9], v[78:79] op_sel_hi:[0,1]
	v_lshl_add_u64 v[64:65], s[4:5], 0, v[34:35]
	v_mfma_f32_16x16x16_bf16 v[14:17], v[58:59], v[38:39], v[14:17]
	v_lshl_add_u64 v[34:35], v[64:65], 0, v[82:83]
	v_pk_mul_f32 v[82:83], s[8:9], v[80:81] op_sel_hi:[0,1]
	v_pk_mul_f32 v[78:79], s[8:9], v[88:89] op_sel_hi:[0,1]
	v_mfma_f32_16x16x16_bf16 v[58:61], v[60:61], v[40:41], v[14:17]
	v_pk_mul_f32 v[80:81], s[8:9], v[90:91] op_sel_hi:[0,1]
	s_nop 1
	global_load_dwordx4 v[14:17], v[10:11], off
	s_nop 0
	global_load_dwordx4 v[10:13], v[10:11], off offset:16
	s_nop 0
	global_load_dwordx4 v[6:9], v[2:3], off
	s_nop 0
	global_load_dwordx4 v[2:5], v[2:3], off offset:16
	s_waitcnt vmcnt(8)
	v_mfma_f32_16x16x16_bf16 v[46:49], v[42:43], v[66:67], v[46:49]
	v_pk_mul_f32 v[84:85], s[8:9], v[60:61] op_sel_hi:[0,1]
	v_lshl_add_u64 v[50:51], v[64:65], 0, v[50:51]
	v_mfma_f32_16x16x16_bf16 v[42:45], v[44:45], v[68:69], v[46:49]
	v_mfma_f32_16x16x16_bf16 v[42:45], v[70:71], v[38:39], v[42:45]
	v_pk_mul_f32 v[70:71], s[8:9], v[58:59] op_sel_hi:[0,1]
	v_mfma_f32_16x16x16_bf16 v[38:41], v[72:73], v[40:41], v[42:45]
	s_nop 6
	v_pk_mul_f32 v[72:73], s[8:9], v[38:39] op_sel_hi:[0,1]
	v_and_b32_e32 v38, 0xc0, v0
	v_add_u32_e32 v38, s18, v38
	v_lshl_or_b32 v38, v86, 2, v38
	v_pk_mul_f32 v[66:67], s[8:9], v[40:41] op_sel_hi:[0,1]
	v_or_b32_e32 v41, 1, v38
	v_mov_b32_e32 v39, 0xff7fffff
	v_cmp_gt_i32_e64 s[28:29], s33, v38
	v_cmp_gt_i32_e64 s[30:31], s33, v41
	v_or_b32_e32 v42, 3, v38
	v_cndmask_b32_e64 v40, v39, v62, s[28:29]
	v_cndmask_b32_e64 v41, v39, v63, s[30:31]
	v_max3_f32 v40, v40, s41, v41
	v_or_b32_e32 v41, 2, v38
	v_cmp_gt_i32_e64 s[34:35], s33, v41
	v_cmp_gt_i32_e64 s[36:37], s33, v42
	s_nop 0
	v_cndmask_b32_e64 v41, v39, v82, s[34:35]
	v_cndmask_b32_e64 v42, v39, v83, s[36:37]
	v_max3_f32 v40, v40, v41, v42
	v_or_b32_e32 v41, 16, v38
	v_or_b32_e32 v42, 17, v38
	v_cmp_gt_i32_e64 s[22:23], s33, v41
	v_cmp_gt_i32_e64 s[24:25], s33, v42
	s_nop 0
	v_cndmask_b32_e64 v41, v39, v70, s[22:23]
	v_cndmask_b32_e64 v42, v39, v71, s[24:25]
	v_max3_f32 v40, v40, v41, v42
	v_or_b32_e32 v41, 18, v38
	;; [unrolled: 8-line block ×6, first 2 shown]
	v_or_b32_e32 v38, 51, v38
	v_cmp_gt_i32_e32 vcc, s33, v41
	v_cmp_gt_i32_e64 s[4:5], s33, v38
	s_nop 0
	v_cndmask_b32_e32 v41, v39, v66, vcc
	v_cndmask_b32_e64 v38, v39, v67, s[4:5]
	v_max3_f32 v54, v40, v41, v38
	v_mbcnt_lo_u32_b32 v38, -1, 0
	v_mbcnt_hi_u32_b32 v55, -1, v38
	v_and_b32_e32 v38, 64, v55
	v_add_u32_e32 v56, 64, v38
	v_xor_b32_e32 v38, 32, v55
	v_cmp_lt_i32_e64 s[38:39], v38, v56
	s_nop 1
	v_cndmask_b32_e64 v38, v55, v38, s[38:39]
	v_lshlrev_b32_e32 v89, 2, v38
	ds_bpermute_b32 v57, v89, v54
	global_load_dwordx4 v[46:49], v[34:35], off
	global_load_dwordx4 v[38:41], v[34:35], off offset:16
	v_lshl_add_u64 v[34:35], v[64:65], 0, v[36:37]
	global_load_dwordx4 v[42:45], v[34:35], off
	s_nop 0
	global_load_dwordx4 v[34:37], v[34:35], off offset:16
	s_waitcnt lgkmcnt(0)
	v_max_f32_e32 v57, v57, v57
	v_max_f32_e32 v68, v54, v57
	v_xor_b32_e32 v54, 16, v55
	v_cmp_lt_i32_e64 s[38:39], v54, v56
	s_nop 1
	v_cndmask_b32_e64 v54, v55, v54, s[38:39]
	v_lshlrev_b32_e32 v90, 2, v54
	ds_bpermute_b32 v69, v90, v68
	global_load_dwordx4 v[58:61], v[50:51], off
	global_load_dwordx4 v[54:57], v[50:51], off offset:16
	v_lshl_add_u64 v[50:51], v[64:65], 0, v[52:53]
	s_waitcnt lgkmcnt(0)
	v_max_f32_e32 v52, v69, v69
	v_max_f32_e32 v88, v68, v52
	v_sub_f32_e32 v52, v62, v88
	v_mul_f32_e32 v52, 0x3fb8aa3b, v52
	v_exp_f32_e32 v68, v52
	v_sub_f32_e32 v52, v63, v88
	v_mul_f32_e32 v52, 0x3fb8aa3b, v52
	v_exp_f32_e32 v69, v52
	global_load_dwordx4 v[62:65], v[50:51], off
	s_nop 0
	global_load_dwordx4 v[50:53], v[50:51], off offset:16
	v_sub_f32_e32 v82, v82, v88
	v_mul_f32_e32 v82, 0x3fb8aa3b, v82
	v_sub_f32_e32 v83, v83, v88
	v_exp_f32_e32 v82, v82
	v_mul_f32_e32 v83, 0x3fb8aa3b, v83
	v_sub_f32_e32 v70, v70, v88
	v_exp_f32_e32 v83, v83
	v_mul_f32_e32 v70, 0x3fb8aa3b, v70
	v_sub_f32_e32 v71, v71, v88
	v_cndmask_b32_e64 v68, 0, v68, s[28:29]
	v_exp_f32_e32 v70, v70
	v_mul_f32_e32 v71, 0x3fb8aa3b, v71
	v_sub_f32_e32 v84, v84, v88
	v_add_f32_e32 v91, 0, v68
	v_cndmask_b32_e64 v69, 0, v69, s[30:31]
	v_exp_f32_e32 v71, v71
	v_mul_f32_e32 v84, 0x3fb8aa3b, v84
	v_sub_f32_e32 v85, v85, v88
	v_add_f32_e32 v91, v91, v69
	;; [unrolled: 5-line block ×10, first 2 shown]
	v_cndmask_b32_e64 v80, 0, v80, s[10:11]
	v_exp_f32_e32 v66, v66
	v_mul_f32_e32 v67, 0x3fb8aa3b, v67
	v_add_f32_e32 v91, v91, v80
	v_cndmask_b32_e64 v81, 0, v81, s[12:13]
	v_exp_f32_e32 v67, v67
	v_add_f32_e32 v91, v91, v81
	v_cndmask_b32_e64 v72, 0, v72, s[6:7]
	v_add_f32_e32 v91, v91, v72
	v_cndmask_b32_e64 v73, 0, v73, s[8:9]
	v_add_f32_e32 v91, v91, v73
	v_cndmask_b32_e32 v66, 0, v66, vcc
	v_add_f32_e32 v91, v91, v66
	v_cndmask_b32_e64 v67, 0, v67, s[4:5]
	v_add_f32_e32 v91, v91, v67
	ds_bpermute_b32 v89, v89, v91
	v_cmp_gt_u32_e64 s[4:5], 16, v87
	s_waitcnt lgkmcnt(0)
	s_barrier
	v_add_f32_e32 v89, v91, v89
	ds_bpermute_b32 v90, v90, v89
	s_and_saveexec_b64 s[6:7], s[4:5]
	s_cbranch_execz .LBB680_13
; %bb.12:
	s_waitcnt lgkmcnt(0)
	v_add_f32_e32 v87, v89, v90
	v_lshlrev_b32_e32 v75, 2, v75
	ds_write2st64_b32 v75, v88, v87 offset1:1
.LBB680_13:
	s_or_b64 exec, exec, s[6:7]
	v_lshlrev_b32_e32 v75, 2, v76
	s_load_dword s8, s[0:1], 0x94
	s_waitcnt lgkmcnt(0)
	s_barrier
	ds_read2_b32 v[88:89], v75 offset1:16
	ds_read2_b32 v[90:91], v75 offset0:32 offset1:48
	ds_read2_b32 v[92:93], v75 offset0:64 offset1:80
	;; [unrolled: 1-line block ×3, first 2 shown]
	s_movk_i32 s10, 0x7fff
	s_waitcnt lgkmcnt(3)
	v_max3_f32 v87, v88, s41, v89
	s_waitcnt lgkmcnt(2)
	v_max3_f32 v87, v87, v90, v91
	v_sub_f32_e32 v88, v88, v87
	v_mul_f32_e32 v88, 0x3fb8aa3b, v88
	v_exp_f32_e32 v1, v88
	v_sub_f32_e32 v88, v89, v87
	v_mul_f32_e32 v88, 0x3fb8aa3b, v88
	v_exp_f32_e32 v89, v88
	v_sub_f32_e32 v88, v90, v87
	v_mul_f32_e32 v88, 0x3fb8aa3b, v88
	v_sub_f32_e32 v75, v91, v87
	v_exp_f32_e32 v90, v88
	v_mul_f32_e32 v75, 0x3fb8aa3b, v75
	v_exp_f32_e32 v75, v75
	s_waitcnt lgkmcnt(1)
	v_fma_f32 v88, v1, v92, 0
	v_fmac_f32_e32 v88, v89, v93
	s_waitcnt lgkmcnt(0)
	v_fmac_f32_e32 v88, v90, v94
	v_fmac_f32_e32 v88, v75, v95
	v_add_f32_e32 v91, 0x358637bd, v88
	v_div_scale_f32 v92, s[6:7], v91, v91, 1.0
	v_rcp_f32_e32 v93, v92
	s_mov_b32 s11, 0x7060302
	s_barrier
	v_fma_f32 v94, -v92, v93, 1.0
	v_fmac_f32_e32 v93, v94, v93
	v_div_scale_f32 v94, vcc, 1.0, v91, 1.0
	v_mul_f32_e32 v95, v94, v93
	v_fma_f32 v86, -v92, v95, v94
	v_fmac_f32_e32 v95, v86, v93
	v_fma_f32 v86, -v92, v95, v94
	v_div_fmas_f32 v86, v86, v93, v95
	v_cmp_eq_u32_e32 vcc, 1, v77
	v_div_fixup_f32 v86, v86, v91, 1.0
	s_nop 0
	v_cndmask_b32_e32 v1, v1, v89, vcc
	v_cmp_eq_u32_e32 vcc, 2, v77
	s_mul_i32 s9, s27, 13
	s_nop 0
	v_cndmask_b32_e32 v1, v1, v90, vcc
	v_cmp_eq_u32_e32 vcc, 3, v77
	s_nop 1
	v_cndmask_b32_e32 v1, v1, v75, vcc
	v_mul_f32_e32 v90, v1, v86
	v_pk_mul_f32 v[68:69], v[90:91], v[68:69] op_sel_hi:[0,1]
	v_bfe_u32 v1, v69, 16, 1
	v_bfe_u32 v75, v68, 16, 1
	v_pk_mul_f32 v[82:83], v[90:91], v[82:83] op_sel_hi:[0,1]
	v_add3_u32 v68, v68, v75, s10
	v_add3_u32 v1, v69, v1, s10
	v_perm_b32 v92, v1, v68, s11
	v_bfe_u32 v1, v83, 16, 1
	v_bfe_u32 v68, v82, 16, 1
	v_add3_u32 v68, v82, v68, s10
	v_add3_u32 v1, v83, v1, s10
	v_bfe_u32 v86, v0, 4, 2
	v_perm_b32 v93, v1, v68, s11
	v_lshlrev_b32_e32 v1, 3, v86
	v_lshlrev_b32_e32 v68, 5, v76
	v_lshlrev_b32_e32 v69, 11, v77
	v_pk_mul_f32 v[70:71], v[90:91], v[70:71] op_sel_hi:[0,1]
	v_or3_b32 v75, v69, v68, v1
	v_bfe_u32 v1, v71, 16, 1
	v_bfe_u32 v69, v70, 16, 1
	v_pk_mul_f32 v[82:83], v[90:91], v[84:85] op_sel_hi:[0,1]
	v_add3_u32 v69, v70, v69, s10
	v_add3_u32 v1, v71, v1, s10
	v_perm_b32 v70, v1, v69, s11
	v_bfe_u32 v1, v83, 16, 1
	v_bfe_u32 v69, v82, 16, 1
	v_add3_u32 v69, v82, v69, s10
	v_add3_u32 v1, v83, v1, s10
	v_pk_mul_f32 v[78:79], v[90:91], v[78:79] op_sel_hi:[0,1]
	v_perm_b32 v71, v1, v69, s11
	v_bfe_u32 v1, v79, 16, 1
	v_bfe_u32 v69, v78, 16, 1
	ds_write2st64_b64 v75, v[92:93], v[70:71] offset1:1
	v_pk_mul_f32 v[70:71], v[90:91], v[80:81] op_sel_hi:[0,1]
	v_add3_u32 v69, v78, v69, s10
	v_add3_u32 v1, v79, v1, s10
	v_perm_b32 v78, v1, v69, s11
	v_bfe_u32 v1, v71, 16, 1
	v_bfe_u32 v69, v70, 16, 1
	v_add3_u32 v69, v70, v69, s10
	v_add3_u32 v1, v71, v1, s10
	v_pk_mul_f32 v[70:71], v[90:91], v[72:73] op_sel_hi:[0,1]
	v_perm_b32 v79, v1, v69, s11
	v_bfe_u32 v1, v71, 16, 1
	v_bfe_u32 v69, v70, 16, 1
	v_pk_mul_f32 v[66:67], v[90:91], v[66:67] op_sel_hi:[0,1]
	v_add3_u32 v69, v70, v69, s10
	v_add3_u32 v1, v71, v1, s10
	v_perm_b32 v70, v1, v69, s11
	v_bfe_u32 v1, v67, 16, 1
	v_bfe_u32 v69, v66, 16, 1
	v_add3_u32 v66, v66, v69, s10
	v_add3_u32 v1, v67, v1, s10
	v_perm_b32 v71, v1, v66, s11
	v_cmp_gt_u32_e32 vcc, 13, v0
	ds_write2st64_b64 v75, v[78:79], v[70:71] offset0:2 offset1:3
	s_and_saveexec_b64 s[6:7], vcc
	s_cbranch_execz .LBB680_15
; %bb.14:
	s_mov_b32 s41, 0
	v_mov_b32_e32 v77, 0
	v_lshl_add_u64 v[66:67], s[40:41], 0, v[76:77]
	v_mov_b32_e32 v1, s9
	v_mad_u64_u32 v[66:67], s[16:17], s2, v1, v[66:67]
	s_mul_i32 s3, s3, s9
	v_mov_b32_e32 v70, s26
	v_mov_b32_e32 v71, v77
	s_load_dwordx4 s[12:15], s[0:1], 0x58
	v_add_u32_e32 v1, s3, v67
	v_mad_u64_u32 v[66:67], s[16:17], v66, s8, v[70:71]
	v_mov_b32_e32 v70, v67
	v_mad_u64_u32 v[70:71], s[16:17], v1, s8, v[70:71]
	v_mov_b32_e32 v67, v70
	v_lshlrev_b64 v[66:67], 2, v[66:67]
	s_waitcnt lgkmcnt(0)
	v_lshl_add_u64 v[70:71], s[14:15], 0, v[66:67]
	v_lshl_add_u64 v[66:67], s[12:13], 0, v[66:67]
	global_store_dword v[70:71], v87, off
	global_store_dword v[66:67], v88, off
.LBB680_15:
	s_or_b64 exec, exec, s[6:7]
	v_lshl_or_b32 v1, v86, 9, v68
	s_waitcnt lgkmcnt(0)
	s_barrier
	ds_read_b128 v[70:73], v1
	ds_read_b128 v[66:69], v1 offset:16
	s_waitcnt vmcnt(15) lgkmcnt(1)
	v_mfma_f32_16x16x16_bf16 v[78:81], v[30:31], v[70:71], 0
	s_mov_b32 s3, 0
	v_cmp_gt_u32_e32 vcc, 64, v0
	v_mfma_f32_16x16x16_bf16 v[30:33], v[32:33], v[72:73], v[78:81]
	s_waitcnt vmcnt(14) lgkmcnt(0)
	v_mfma_f32_16x16x16_bf16 v[30:33], v[26:27], v[66:67], v[30:33]
	v_mfma_f32_16x16x16_bf16 v[26:29], v[28:29], v[68:69], v[30:33]
	s_nop 5
	ds_read_b128 v[30:33], v1 offset:2048
	ds_read_b128 v[78:81], v1 offset:2064
	s_waitcnt vmcnt(13) lgkmcnt(1)
	v_mfma_f32_16x16x16_bf16 v[26:29], v[22:23], v[30:31], v[26:29]
	v_mfma_f32_16x16x16_bf16 v[22:25], v[24:25], v[32:33], v[26:29]
	s_waitcnt vmcnt(12) lgkmcnt(0)
	v_mfma_f32_16x16x16_bf16 v[22:25], v[18:19], v[78:79], v[22:25]
	v_mfma_f32_16x16x16_bf16 v[18:21], v[20:21], v[80:81], v[22:25]
	s_nop 5
	ds_read_b128 v[22:25], v1 offset:4096
	ds_read_b128 v[26:29], v1 offset:4112
	s_waitcnt vmcnt(11) lgkmcnt(1)
	v_mfma_f32_16x16x16_bf16 v[18:21], v[14:15], v[22:23], v[18:21]
	v_mfma_f32_16x16x16_bf16 v[14:17], v[16:17], v[24:25], v[18:21]
	s_waitcnt vmcnt(10) lgkmcnt(0)
	v_mfma_f32_16x16x16_bf16 v[14:17], v[10:11], v[26:27], v[14:17]
	v_mfma_f32_16x16x16_bf16 v[10:13], v[12:13], v[28:29], v[14:17]
	s_nop 5
	ds_read_b128 v[14:17], v1 offset:6144
	ds_read_b128 v[18:21], v1 offset:6160
	s_waitcnt lgkmcnt(0)
	s_barrier
	s_waitcnt vmcnt(9)
	v_mfma_f32_16x16x16_bf16 v[10:13], v[6:7], v[14:15], v[10:13]
	v_mfma_f32_16x16x16_bf16 v[6:9], v[8:9], v[16:17], v[10:13]
	s_waitcnt vmcnt(8)
	v_mfma_f32_16x16x16_bf16 v[6:9], v[2:3], v[18:19], v[6:9]
	v_mfma_f32_16x16x16_bf16 v[2:5], v[4:5], v[20:21], v[6:9]
	;; [unrolled: 3-line block ×3, first 2 shown]
	s_nop 3
	v_bfe_u32 v1, v3, 16, 1
	v_bfe_u32 v10, v2, 16, 1
	v_add3_u32 v2, v2, v10, s10
	s_waitcnt vmcnt(6)
	v_mfma_f32_16x16x16_bf16 v[6:9], v[38:39], v[66:67], v[6:9]
	v_add3_u32 v1, v3, v1, s10
	v_perm_b32 v10, v1, v2, s11
	v_bfe_u32 v1, v5, 16, 1
	v_mfma_f32_16x16x16_bf16 v[6:9], v[40:41], v[68:69], v[6:9]
	v_bfe_u32 v2, v4, 16, 1
	v_add3_u32 v2, v4, v2, s10
	v_add3_u32 v1, v5, v1, s10
	s_waitcnt vmcnt(5)
	v_mfma_f32_16x16x16_bf16 v[6:9], v[42:43], v[30:31], v[6:9]
	v_perm_b32 v11, v1, v2, s11
	v_mfma_f32_16x16x16_bf16 v[6:9], v[44:45], v[32:33], v[6:9]
	s_waitcnt vmcnt(4)
	v_mfma_f32_16x16x16_bf16 v[6:9], v[34:35], v[78:79], v[6:9]
	v_mfma_f32_16x16x16_bf16 v[6:9], v[36:37], v[80:81], v[6:9]
	s_waitcnt vmcnt(3)
	v_mfma_f32_16x16x16_bf16 v[6:9], v[58:59], v[22:23], v[6:9]
	;; [unrolled: 3-line block ×5, first 2 shown]
	v_mfma_f32_16x16x16_bf16 v[2:5], v[52:53], v[20:21], v[6:9]
	s_nop 6
	v_bfe_u32 v1, v3, 16, 1
	v_bfe_u32 v6, v2, 16, 1
	v_add3_u32 v2, v2, v6, s10
	v_add3_u32 v1, v3, v1, s10
	v_perm_b32 v2, v1, v2, s11
	v_bfe_u32 v1, v5, 16, 1
	v_bfe_u32 v3, v4, 16, 1
	v_add3_u32 v3, v4, v3, s10
	v_add3_u32 v1, v5, v1, s10
	v_perm_b32 v3, v1, v3, s11
	ds_write2st64_b64 v75, v[10:11], v[2:3] offset1:1
	s_waitcnt lgkmcnt(0)
	s_barrier
	s_and_saveexec_b64 s[6:7], vcc
	s_cbranch_execz .LBB680_18
; %bb.16:
	s_load_dwordx2 s[6:7], s[0:1], 0x68
	s_lshl_b32 s0, s8, 7
	s_mul_i32 s1, s9, s2
	v_lshlrev_b32_e32 v3, 6, v76
	s_mul_hi_u32 s9, s1, s0
	s_mul_i32 s8, s1, s0
	v_lshlrev_b32_e32 v2, 4, v0
	v_lshl_or_b32 v0, v0, 10, v3
	s_lshl_b64 s[8:9], s[8:9], 1
	v_lshlrev_b32_e32 v1, 5, v86
	v_and_b32_e32 v2, 16, v2
	v_and_b32_e32 v0, 0x1a00, v0
	s_waitcnt lgkmcnt(0)
	s_add_u32 s1, s6, s8
	v_or3_b32 v2, v0, v1, v2
	s_addc_u32 s6, s7, s9
	s_lshl_b32 s2, s26, 7
	ds_read_b128 v[4:7], v2 offset:256
	s_lshl_b64 s[2:3], s[2:3], 1
	ds_read_b128 v[8:11], v2 offset:128
	ds_read_b128 v[12:15], v2
	s_add_u32 s2, s1, s2
	s_addc_u32 s3, s6, s3
	v_mov_b32_e32 v75, 0
	v_add_u32_e32 v3, s40, v86
	v_lshl_add_u64 v[0:1], s[2:3], 0, v[74:75]
	v_mad_u64_u32 v[16:17], s[2:3], v3, s0, 0
	v_lshl_add_u64 v[16:17], v[16:17], 1, v[0:1]
	s_waitcnt lgkmcnt(0)
	global_store_dwordx4 v[16:17], v[12:15], off
	s_nop 1
	v_add_u32_e32 v12, 4, v3
	v_mad_u64_u32 v[12:13], s[2:3], v12, s0, 0
	v_lshl_add_u64 v[12:13], v[12:13], 1, v[0:1]
	v_add_u32_e32 v3, 8, v3
	global_store_dwordx4 v[12:13], v[8:11], off
	s_nop 1
	v_mad_u64_u32 v[8:9], s[2:3], v3, s0, 0
	v_lshl_add_u64 v[8:9], v[8:9], 1, v[0:1]
	global_store_dwordx4 v[8:9], v[4:7], off
	s_and_b64 exec, exec, s[4:5]
	s_cbranch_execz .LBB680_18
; %bb.17:
	ds_read_b128 v[2:5], v2 offset:384
	v_add3_u32 v6, s40, v86, 12
	v_mad_u64_u32 v[6:7], s[0:1], v6, s0, 0
	v_lshl_add_u64 v[0:1], v[6:7], 1, v[0:1]
	s_waitcnt lgkmcnt(0)
	global_store_dwordx4 v[0:1], v[2:5], off
.LBB680_18:
	s_endpgm
	.section	.rodata,"a",@progbits
	.p2align	6, 0x0
	.amdhsa_kernel _Z39paged_attention_ll4mi_QKV_mfma16_kernelI14__hip_bfloat16S0_LN4vllm18Fp8KVCacheDataTypeE0ES0_Li16ELi128ELi256ELb0ELi13EEvPKT_PKT0_S8_ifPKiSA_SA_iPKfiiiPfSD_PS3_PT2_iSC_SC_
		.amdhsa_group_segment_fixed_size 8192
		.amdhsa_private_segment_fixed_size 0
		.amdhsa_kernarg_size 400
		.amdhsa_user_sgpr_count 2
		.amdhsa_user_sgpr_dispatch_ptr 0
		.amdhsa_user_sgpr_queue_ptr 0
		.amdhsa_user_sgpr_kernarg_segment_ptr 1
		.amdhsa_user_sgpr_dispatch_id 0
		.amdhsa_user_sgpr_kernarg_preload_length 0
		.amdhsa_user_sgpr_kernarg_preload_offset 0
		.amdhsa_user_sgpr_private_segment_size 0
		.amdhsa_uses_dynamic_stack 0
		.amdhsa_enable_private_segment 0
		.amdhsa_system_sgpr_workgroup_id_x 1
		.amdhsa_system_sgpr_workgroup_id_y 1
		.amdhsa_system_sgpr_workgroup_id_z 1
		.amdhsa_system_sgpr_workgroup_info 0
		.amdhsa_system_vgpr_workitem_id 0
		.amdhsa_next_free_vgpr 96
		.amdhsa_next_free_sgpr 42
		.amdhsa_accum_offset 96
		.amdhsa_reserve_vcc 1
		.amdhsa_float_round_mode_32 0
		.amdhsa_float_round_mode_16_64 0
		.amdhsa_float_denorm_mode_32 3
		.amdhsa_float_denorm_mode_16_64 3
		.amdhsa_dx10_clamp 1
		.amdhsa_ieee_mode 1
		.amdhsa_fp16_overflow 0
		.amdhsa_tg_split 0
		.amdhsa_exception_fp_ieee_invalid_op 0
		.amdhsa_exception_fp_denorm_src 0
		.amdhsa_exception_fp_ieee_div_zero 0
		.amdhsa_exception_fp_ieee_overflow 0
		.amdhsa_exception_fp_ieee_underflow 0
		.amdhsa_exception_fp_ieee_inexact 0
		.amdhsa_exception_int_div_zero 0
	.end_amdhsa_kernel
	.section	.text._Z39paged_attention_ll4mi_QKV_mfma16_kernelI14__hip_bfloat16S0_LN4vllm18Fp8KVCacheDataTypeE0ES0_Li16ELi128ELi256ELb0ELi13EEvPKT_PKT0_S8_ifPKiSA_SA_iPKfiiiPfSD_PS3_PT2_iSC_SC_,"axG",@progbits,_Z39paged_attention_ll4mi_QKV_mfma16_kernelI14__hip_bfloat16S0_LN4vllm18Fp8KVCacheDataTypeE0ES0_Li16ELi128ELi256ELb0ELi13EEvPKT_PKT0_S8_ifPKiSA_SA_iPKfiiiPfSD_PS3_PT2_iSC_SC_,comdat
.Lfunc_end680:
	.size	_Z39paged_attention_ll4mi_QKV_mfma16_kernelI14__hip_bfloat16S0_LN4vllm18Fp8KVCacheDataTypeE0ES0_Li16ELi128ELi256ELb0ELi13EEvPKT_PKT0_S8_ifPKiSA_SA_iPKfiiiPfSD_PS3_PT2_iSC_SC_, .Lfunc_end680-_Z39paged_attention_ll4mi_QKV_mfma16_kernelI14__hip_bfloat16S0_LN4vllm18Fp8KVCacheDataTypeE0ES0_Li16ELi128ELi256ELb0ELi13EEvPKT_PKT0_S8_ifPKiSA_SA_iPKfiiiPfSD_PS3_PT2_iSC_SC_
                                        ; -- End function
	.section	.AMDGPU.csdata,"",@progbits
; Kernel info:
; codeLenInByte = 4768
; NumSgprs: 48
; NumVgprs: 96
; NumAgprs: 0
; TotalNumVgprs: 96
; ScratchSize: 0
; MemoryBound: 0
; FloatMode: 240
; IeeeMode: 1
; LDSByteSize: 8192 bytes/workgroup (compile time only)
; SGPRBlocks: 5
; VGPRBlocks: 11
; NumSGPRsForWavesPerEU: 48
; NumVGPRsForWavesPerEU: 96
; AccumOffset: 96
; Occupancy: 5
; WaveLimiterHint : 1
; COMPUTE_PGM_RSRC2:SCRATCH_EN: 0
; COMPUTE_PGM_RSRC2:USER_SGPR: 2
; COMPUTE_PGM_RSRC2:TRAP_HANDLER: 0
; COMPUTE_PGM_RSRC2:TGID_X_EN: 1
; COMPUTE_PGM_RSRC2:TGID_Y_EN: 1
; COMPUTE_PGM_RSRC2:TGID_Z_EN: 1
; COMPUTE_PGM_RSRC2:TIDIG_COMP_CNT: 0
; COMPUTE_PGM_RSRC3_GFX90A:ACCUM_OFFSET: 23
; COMPUTE_PGM_RSRC3_GFX90A:TG_SPLIT: 0
	.section	.text._Z39paged_attention_ll4mi_QKV_mfma16_kernelI14__hip_bfloat16S0_LN4vllm18Fp8KVCacheDataTypeE0ES0_Li16ELi128ELi256ELb0ELi14EEvPKT_PKT0_S8_ifPKiSA_SA_iPKfiiiPfSD_PS3_PT2_iSC_SC_,"axG",@progbits,_Z39paged_attention_ll4mi_QKV_mfma16_kernelI14__hip_bfloat16S0_LN4vllm18Fp8KVCacheDataTypeE0ES0_Li16ELi128ELi256ELb0ELi14EEvPKT_PKT0_S8_ifPKiSA_SA_iPKfiiiPfSD_PS3_PT2_iSC_SC_,comdat
	.protected	_Z39paged_attention_ll4mi_QKV_mfma16_kernelI14__hip_bfloat16S0_LN4vllm18Fp8KVCacheDataTypeE0ES0_Li16ELi128ELi256ELb0ELi14EEvPKT_PKT0_S8_ifPKiSA_SA_iPKfiiiPfSD_PS3_PT2_iSC_SC_ ; -- Begin function _Z39paged_attention_ll4mi_QKV_mfma16_kernelI14__hip_bfloat16S0_LN4vllm18Fp8KVCacheDataTypeE0ES0_Li16ELi128ELi256ELb0ELi14EEvPKT_PKT0_S8_ifPKiSA_SA_iPKfiiiPfSD_PS3_PT2_iSC_SC_
	.globl	_Z39paged_attention_ll4mi_QKV_mfma16_kernelI14__hip_bfloat16S0_LN4vllm18Fp8KVCacheDataTypeE0ES0_Li16ELi128ELi256ELb0ELi14EEvPKT_PKT0_S8_ifPKiSA_SA_iPKfiiiPfSD_PS3_PT2_iSC_SC_
	.p2align	8
	.type	_Z39paged_attention_ll4mi_QKV_mfma16_kernelI14__hip_bfloat16S0_LN4vllm18Fp8KVCacheDataTypeE0ES0_Li16ELi128ELi256ELb0ELi14EEvPKT_PKT0_S8_ifPKiSA_SA_iPKfiiiPfSD_PS3_PT2_iSC_SC_,@function
_Z39paged_attention_ll4mi_QKV_mfma16_kernelI14__hip_bfloat16S0_LN4vllm18Fp8KVCacheDataTypeE0ES0_Li16ELi128ELi256ELb0ELi14EEvPKT_PKT0_S8_ifPKiSA_SA_iPKfiiiPfSD_PS3_PT2_iSC_SC_: ; @_Z39paged_attention_ll4mi_QKV_mfma16_kernelI14__hip_bfloat16S0_LN4vllm18Fp8KVCacheDataTypeE0ES0_Li16ELi128ELi256ELb0ELi14EEvPKT_PKT0_S8_ifPKiSA_SA_iPKfiiiPfSD_PS3_PT2_iSC_SC_
; %bb.0:
	s_load_dwordx2 s[8:9], s[0:1], 0x30
	s_mov_b32 s26, s3
	s_mov_b64 s[6:7], 0
	s_waitcnt lgkmcnt(0)
	s_cmp_lg_u64 s[8:9], 0
	s_cselect_b64 s[10:11], -1, 0
	s_and_b64 vcc, exec, s[10:11]
	s_cbranch_vccz .LBB681_7
; %bb.1:
	s_add_i32 s12, s2, 1
	s_mov_b32 s13, 0
	s_lshl_b64 s[14:15], s[12:13], 2
	s_add_u32 s14, s8, s14
	s_mov_b32 s3, s13
	s_addc_u32 s15, s9, s15
	s_lshl_b64 s[12:13], s[2:3], 2
	s_add_u32 s12, s8, s12
	s_addc_u32 s13, s9, s13
	s_load_dword s5, s[14:15], 0x0
	s_load_dword s16, s[12:13], 0x0
	s_waitcnt lgkmcnt(0)
	s_sub_i32 s5, s5, s16
	s_cmp_eq_u32 s5, 1
	s_cselect_b64 s[12:13], -1, 0
	s_andn2_b64 vcc, exec, s[6:7]
	s_cbranch_vccnz .LBB681_3
.LBB681_2:
	s_mov_b32 s3, 0
	s_mov_b64 s[12:13], -1
.LBB681_3:
	s_andn2_b64 vcc, exec, s[12:13]
	s_cbranch_vccnz .LBB681_18
; %bb.4:
	s_load_dwordx2 s[6:7], s[0:1], 0x28
	s_lshl_b64 s[16:17], s[2:3], 2
	s_waitcnt lgkmcnt(0)
	s_add_u32 s6, s6, s16
	s_addc_u32 s7, s7, s17
	s_load_dword s33, s[6:7], 0x0
	s_lshl_b32 s18, s26, 8
	s_waitcnt lgkmcnt(0)
	s_cmp_ge_i32 s18, s33
	s_cbranch_scc1 .LBB681_18
; %bb.5:
	s_load_dwordx2 s[6:7], s[0:1], 0x20
	s_load_dword s5, s[0:1], 0x38
	s_add_i32 s12, s33, 15
	s_ashr_i32 s13, s12, 31
	v_and_b32_e32 v1, 0xcf, v0
	s_lshr_b32 s13, s13, 28
	v_add_u32_e32 v1, s18, v1
	s_add_i32 s12, s12, s13
	v_ashrrev_i32_e32 v2, 31, v1
	s_ashr_i32 s19, s12, 4
	v_lshrrev_b32_e32 v4, 28, v2
	s_add_i32 s19, s19, -1
	s_waitcnt lgkmcnt(0)
	s_mul_i32 s12, s2, s5
	s_mov_b32 s13, 0
	v_add_u32_e32 v2, v1, v4
	s_lshl_b64 s[12:13], s[12:13], 2
	v_ashrrev_i32_e32 v2, 4, v2
	v_mov_b32_e32 v5, s19
	v_cmp_gt_i32_e32 vcc, s33, v1
	s_add_u32 s6, s6, s12
	s_addc_u32 s7, s7, s13
	v_cndmask_b32_e32 v2, v5, v2, vcc
	v_ashrrev_i32_e32 v3, 31, v2
	v_lshl_add_u64 v[6:7], v[2:3], 2, s[6:7]
	v_or_b32_e32 v2, 16, v1
	v_add_u32_e32 v3, v2, v4
	v_ashrrev_i32_e32 v3, 4, v3
	v_cmp_gt_i32_e32 vcc, s33, v2
	s_load_dwordx4 s[12:15], s[0:1], 0x8
	s_nop 0
	v_cndmask_b32_e32 v2, v5, v3, vcc
	v_ashrrev_i32_e32 v3, 31, v2
	v_lshl_add_u64 v[8:9], v[2:3], 2, s[6:7]
	v_or_b32_e32 v2, 32, v1
	v_add_u32_e32 v3, v2, v4
	v_ashrrev_i32_e32 v3, 4, v3
	v_cmp_gt_i32_e32 vcc, s33, v2
	v_or_b32_e32 v1, 48, v1
	s_nop 0
	v_cndmask_b32_e32 v2, v5, v3, vcc
	v_ashrrev_i32_e32 v3, 31, v2
	v_lshl_add_u64 v[10:11], v[2:3], 2, s[6:7]
	v_add_u32_e32 v2, v1, v4
	v_ashrrev_i32_e32 v2, 4, v2
	v_cmp_gt_i32_e32 vcc, s33, v1
	s_nop 1
	v_cndmask_b32_e32 v2, v5, v2, vcc
	v_ashrrev_i32_e32 v3, 31, v2
	v_lshl_add_u64 v[12:13], v[2:3], 2, s[6:7]
	global_load_dword v4, v[6:7], off
	global_load_dword v3, v[8:9], off
	;; [unrolled: 1-line block ×4, first 2 shown]
	s_andn2_b64 vcc, exec, s[10:11]
	s_cbranch_vccnz .LBB681_8
; %bb.6:
	s_add_u32 s8, s8, s16
	s_addc_u32 s9, s9, s17
	s_load_dword s5, s[8:9], 0x0
	s_branch .LBB681_9
.LBB681_7:
	s_mov_b64 s[12:13], 0
	s_branch .LBB681_2
.LBB681_8:
	s_mov_b32 s5, s2
.LBB681_9:
	s_load_dwordx4 s[8:11], s[0:1], 0x48
	v_lshrrev_b32_e32 v77, 6, v0
	v_bfe_u32 v86, v0, 4, 2
	v_and_b32_e32 v76, 15, v0
	v_lshl_or_b32 v1, v77, 2, v86
	v_lshlrev_b32_e32 v5, 3, v76
	v_and_b32_e32 v87, 63, v0
	s_mul_i32 s40, s4, 14
	v_cmp_gt_u32_e32 vcc, 14, v1
	v_lshlrev_b32_e32 v74, 1, v5
	s_and_saveexec_b64 s[16:17], vcc
	s_cbranch_execz .LBB681_11
; %bb.10:
	s_load_dwordx2 s[20:21], s[0:1], 0x0
	s_waitcnt lgkmcnt(0)
	s_ashr_i32 s11, s8, 31
	s_mul_hi_u32 s22, s5, s8
	s_mul_i32 s11, s5, s11
	s_add_i32 s23, s22, s11
	s_mul_i32 s22, s5, s8
	s_lshl_b64 s[22:23], s[22:23], 1
	s_add_u32 s20, s20, s22
	v_add_lshl_u32 v6, v1, s40, 7
	s_addc_u32 s21, s21, s23
	v_ashrrev_i32_e32 v7, 31, v6
	v_lshl_add_u64 v[6:7], v[6:7], 1, s[20:21]
	v_mov_b32_e32 v75, 0
	v_lshl_add_u64 v[6:7], v[6:7], 0, v[74:75]
	global_load_dwordx4 v[6:9], v[6:7], off
	v_and_b32_e32 v5, 3, v0
	v_lshlrev_b32_e32 v10, 9, v76
	v_lshlrev_b32_e32 v1, 5, v1
	;; [unrolled: 1-line block ×3, first 2 shown]
	v_and_b32_e32 v10, 0x1800, v10
	v_or3_b32 v1, v10, v5, v1
	s_waitcnt vmcnt(0)
	ds_write_b128 v1, v[6:9]
.LBB681_11:
	s_or_b64 exec, exec, s[16:17]
	s_waitcnt lgkmcnt(0)
	s_mul_i32 s4, s4, s10
	s_mov_b32 s5, 0
	s_lshl_b64 s[4:5], s[4:5], 1
	s_add_u32 s10, s12, s4
	v_lshlrev_b32_e32 v1, 4, v0
	s_addc_u32 s11, s13, s5
	v_and_b32_e32 v34, 0xf0, v1
	v_mov_b32_e32 v35, 0
	v_lshl_add_u64 v[30:31], s[10:11], 0, v[34:35]
	s_waitcnt vmcnt(3)
	v_mad_i64_i32 v[4:5], s[10:11], v4, s9, 0
	v_lshl_add_u64 v[4:5], v[4:5], 1, v[30:31]
	v_and_b32_e32 v34, 0x300, v1
	v_lshl_add_u64 v[32:33], v[4:5], 0, v[34:35]
	s_load_dword s27, s[0:1], 0x98
	s_load_dword s8, s[0:1], 0x1c
	s_waitcnt lgkmcnt(0)
	s_barrier
	global_load_dwordx4 v[6:9], v[32:33], off
	global_load_dwordx4 v[18:21], v[32:33], off offset:1024
	s_waitcnt vmcnt(4)
	v_mad_i64_i32 v[4:5], s[10:11], v3, s9, 0
	s_waitcnt vmcnt(3)
	v_mad_i64_i32 v[2:3], s[10:11], v2, s9, 0
	v_lshl_add_u64 v[4:5], v[4:5], 1, v[30:31]
	v_lshl_add_u64 v[2:3], v[2:3], 1, v[30:31]
	;; [unrolled: 1-line block ×4, first 2 shown]
	global_load_dwordx4 v[14:17], v[36:37], off
	global_load_dwordx4 v[22:25], v[36:37], off offset:1024
	global_load_dwordx4 v[26:29], v[38:39], off
	global_load_dwordx4 v[46:49], v[38:39], off offset:1024
	v_add_u32_e32 v2, -14, v76
	v_cmp_gt_u32_e32 vcc, 14, v76
	global_load_dwordx4 v[54:57], v[32:33], off offset:2048
	global_load_dwordx4 v[62:65], v[36:37], off offset:2048
	v_cndmask_b32_e32 v2, v2, v76, vcc
	v_lshlrev_b32_e32 v2, 5, v2
	v_lshl_add_u32 v41, v86, 9, v2
	ds_read_b128 v[10:13], v41
	ds_read_b128 v[2:5], v41 offset:2048
	v_mov_b32_e32 v70, s19
	s_add_u32 s4, s14, s4
	s_addc_u32 s5, s15, s5
	s_mov_b32 s41, 0xff7fffff
	s_waitcnt vmcnt(7) lgkmcnt(1)
	v_mfma_f32_16x16x16_bf16 v[42:45], v[6:7], v[10:11], 0
	v_mfma_f32_16x16x16_bf16 v[6:9], v[8:9], v[12:13], v[42:45]
	s_nop 5
	global_load_dwordx4 v[42:45], v[38:39], off offset:2048
	s_waitcnt vmcnt(6)
	v_mfma_f32_16x16x16_bf16 v[50:53], v[14:15], v[10:11], 0
	s_waitcnt vmcnt(4)
	v_mfma_f32_16x16x16_bf16 v[58:61], v[26:27], v[10:11], 0
	v_mfma_f32_16x16x16_bf16 v[14:17], v[16:17], v[12:13], v[50:53]
	;; [unrolled: 1-line block ×3, first 2 shown]
	s_nop 2
	global_load_dwordx4 v[50:53], v[32:33], off offset:3072
	v_mad_i64_i32 v[32:33], s[10:11], v40, s9, 0
	s_waitcnt lgkmcnt(0)
	v_mfma_f32_16x16x16_bf16 v[6:9], v[18:19], v[2:3], v[6:9]
	v_and_or_b32 v40, v0, 48, s18
	v_ashrrev_i32_e32 v58, 4, v40
	v_cmp_gt_i32_e32 vcc, s33, v40
	v_mfma_f32_16x16x16_bf16 v[14:17], v[22:23], v[2:3], v[14:17]
	v_or_b32_e32 v66, 64, v40
	v_cndmask_b32_e32 v22, v70, v58, vcc
	v_ashrrev_i32_e32 v23, 31, v22
	s_waitcnt vmcnt(4)
	v_mfma_f32_16x16x16_bf16 v[26:29], v[46:47], v[2:3], v[26:29]
	v_or_b32_e32 v71, 0x80, v40
	v_or_b32_e32 v72, 0xc0, v40
	v_ashrrev_i32_e32 v40, 4, v66
	v_mfma_f32_16x16x16_bf16 v[6:9], v[20:21], v[4:5], v[6:9]
	global_load_dwordx4 v[18:21], v[38:39], off offset:3072
	v_cmp_gt_i32_e32 vcc, s33, v66
	v_lshl_add_u64 v[22:23], v[22:23], 2, s[6:7]
	global_load_dwordx4 v[58:61], v[36:37], off offset:3072
	v_cndmask_b32_e32 v36, v70, v40, vcc
	v_mfma_f32_16x16x16_bf16 v[14:17], v[24:25], v[4:5], v[14:17]
	global_load_dword v78, v[22:23], off
	ds_read_b128 v[66:69], v41 offset:4096
	v_ashrrev_i32_e32 v37, 31, v36
	v_mfma_f32_16x16x16_bf16 v[22:25], v[48:49], v[4:5], v[26:29]
	v_ashrrev_i32_e32 v73, 4, v71
	v_cmp_gt_i32_e32 vcc, s33, v71
	v_ashrrev_i32_e32 v75, 4, v72
	v_lshl_add_u64 v[26:27], v[32:33], 1, v[30:31]
	v_lshl_add_u64 v[26:27], v[26:27], 0, v[34:35]
	;; [unrolled: 1-line block ×3, first 2 shown]
	global_load_dwordx4 v[46:49], v[26:27], off
	global_load_dword v36, v[28:29], off
	s_waitcnt vmcnt(8) lgkmcnt(0)
	v_mfma_f32_16x16x16_bf16 v[6:9], v[54:55], v[66:67], v[6:9]
	v_cndmask_b32_e32 v28, v70, v73, vcc
	v_ashrrev_i32_e32 v29, 31, v28
	v_lshl_add_u64 v[28:29], v[28:29], 2, s[6:7]
	v_mfma_f32_16x16x16_bf16 v[6:9], v[56:57], v[68:69], v[6:9]
	global_load_dwordx4 v[54:57], v[26:27], off offset:1024
	v_cmp_gt_i32_e32 vcc, s33, v72
	global_load_dword v84, v[28:29], off
	s_waitcnt vmcnt(9)
	v_mfma_f32_16x16x16_bf16 v[14:17], v[62:63], v[66:67], v[14:17]
	v_cndmask_b32_e32 v28, v70, v75, vcc
	v_ashrrev_i32_e32 v29, 31, v28
	v_lshl_add_u64 v[28:29], v[28:29], 2, s[6:7]
	v_mfma_f32_16x16x16_bf16 v[14:17], v[64:65], v[68:69], v[14:17]
	global_load_dword v64, v[28:29], off
	ds_read_b128 v[38:41], v41 offset:6144
	v_lshl_or_b32 v75, v77, 4, v76
	v_lshlrev_b32_e32 v34, 5, v75
	v_lshl_add_u64 v[62:63], s[4:5], 0, v[34:35]
	v_or_b32_e32 v34, 0x800, v34
	s_waitcnt vmcnt(9)
	v_mfma_f32_16x16x16_bf16 v[22:25], v[42:43], v[66:67], v[22:25]
	global_load_dwordx4 v[70:73], v[26:27], off offset:3072
	v_mfma_f32_16x16x16_bf16 v[22:25], v[44:45], v[68:69], v[22:25]
	global_load_dwordx4 v[42:45], v[26:27], off offset:2048
	s_waitcnt vmcnt(10) lgkmcnt(0)
	v_mfma_f32_16x16x16_bf16 v[6:9], v[50:51], v[38:39], v[6:9]
	s_waitcnt vmcnt(9)
	v_mfma_f32_16x16x16_bf16 v[22:25], v[18:19], v[38:39], v[22:25]
	s_waitcnt vmcnt(7)
	v_mad_i64_i32 v[18:19], s[6:7], v78, s9, 0
	v_lshlrev_b64 v[82:83], 1, v[18:19]
	v_mfma_f32_16x16x16_bf16 v[78:81], v[52:53], v[40:41], v[6:9]
	s_nop 2
	v_lshl_add_u64 v[6:7], v[62:63], 0, v[82:83]
	global_load_dwordx4 v[30:33], v[6:7], off
	global_load_dwordx4 v[26:29], v[6:7], off offset:16
	v_mfma_f32_16x16x16_bf16 v[88:91], v[20:21], v[40:41], v[22:25]
	s_waitcnt vmcnt(7)
	v_mad_i64_i32 v[6:7], s[6:7], v36, s9, 0
	v_lshlrev_b64 v[36:37], 1, v[6:7]
	v_lshl_add_u64 v[6:7], v[62:63], 0, v[36:37]
	global_load_dwordx4 v[22:25], v[6:7], off
	global_load_dwordx4 v[18:21], v[6:7], off offset:16
	v_mfma_f32_16x16x16_bf16 v[6:9], v[46:47], v[10:11], 0
	s_waitcnt vmcnt(7)
	v_mad_i64_i32 v[10:11], s[6:7], v84, s9, 0
	v_mfma_f32_16x16x16_bf16 v[6:9], v[48:49], v[12:13], v[6:9]
	v_lshlrev_b64 v[50:51], 1, v[10:11]
	v_lshl_add_u64 v[10:11], v[62:63], 0, v[50:51]
	v_mfma_f32_16x16x16_bf16 v[6:9], v[54:55], v[2:3], v[6:9]
	s_waitcnt vmcnt(6)
	v_mad_i64_i32 v[2:3], s[6:7], v64, s9, 0
	v_lshlrev_b64 v[52:53], 1, v[2:3]
	v_mfma_f32_16x16x16_bf16 v[46:49], v[56:57], v[4:5], v[6:9]
	v_lshl_add_u64 v[2:3], v[62:63], 0, v[52:53]
	v_pk_mul_f32 v[62:63], s[8:9], v[78:79] op_sel_hi:[0,1]
	v_lshl_add_u64 v[64:65], s[4:5], 0, v[34:35]
	v_mfma_f32_16x16x16_bf16 v[14:17], v[58:59], v[38:39], v[14:17]
	v_lshl_add_u64 v[34:35], v[64:65], 0, v[82:83]
	v_pk_mul_f32 v[82:83], s[8:9], v[80:81] op_sel_hi:[0,1]
	v_pk_mul_f32 v[78:79], s[8:9], v[88:89] op_sel_hi:[0,1]
	v_mfma_f32_16x16x16_bf16 v[58:61], v[60:61], v[40:41], v[14:17]
	v_pk_mul_f32 v[80:81], s[8:9], v[90:91] op_sel_hi:[0,1]
	s_nop 1
	global_load_dwordx4 v[14:17], v[10:11], off
	s_nop 0
	global_load_dwordx4 v[10:13], v[10:11], off offset:16
	s_nop 0
	global_load_dwordx4 v[6:9], v[2:3], off
	s_nop 0
	global_load_dwordx4 v[2:5], v[2:3], off offset:16
	s_waitcnt vmcnt(8)
	v_mfma_f32_16x16x16_bf16 v[46:49], v[42:43], v[66:67], v[46:49]
	v_pk_mul_f32 v[84:85], s[8:9], v[60:61] op_sel_hi:[0,1]
	v_lshl_add_u64 v[50:51], v[64:65], 0, v[50:51]
	v_mfma_f32_16x16x16_bf16 v[42:45], v[44:45], v[68:69], v[46:49]
	v_mfma_f32_16x16x16_bf16 v[42:45], v[70:71], v[38:39], v[42:45]
	v_pk_mul_f32 v[70:71], s[8:9], v[58:59] op_sel_hi:[0,1]
	v_mfma_f32_16x16x16_bf16 v[38:41], v[72:73], v[40:41], v[42:45]
	s_nop 6
	v_pk_mul_f32 v[72:73], s[8:9], v[38:39] op_sel_hi:[0,1]
	v_and_b32_e32 v38, 0xc0, v0
	v_add_u32_e32 v38, s18, v38
	v_lshl_or_b32 v38, v86, 2, v38
	v_pk_mul_f32 v[66:67], s[8:9], v[40:41] op_sel_hi:[0,1]
	v_or_b32_e32 v41, 1, v38
	v_mov_b32_e32 v39, 0xff7fffff
	v_cmp_gt_i32_e64 s[28:29], s33, v38
	v_cmp_gt_i32_e64 s[30:31], s33, v41
	v_or_b32_e32 v42, 3, v38
	v_cndmask_b32_e64 v40, v39, v62, s[28:29]
	v_cndmask_b32_e64 v41, v39, v63, s[30:31]
	v_max3_f32 v40, v40, s41, v41
	v_or_b32_e32 v41, 2, v38
	v_cmp_gt_i32_e64 s[34:35], s33, v41
	v_cmp_gt_i32_e64 s[36:37], s33, v42
	s_nop 0
	v_cndmask_b32_e64 v41, v39, v82, s[34:35]
	v_cndmask_b32_e64 v42, v39, v83, s[36:37]
	v_max3_f32 v40, v40, v41, v42
	v_or_b32_e32 v41, 16, v38
	v_or_b32_e32 v42, 17, v38
	v_cmp_gt_i32_e64 s[22:23], s33, v41
	v_cmp_gt_i32_e64 s[24:25], s33, v42
	s_nop 0
	v_cndmask_b32_e64 v41, v39, v70, s[22:23]
	v_cndmask_b32_e64 v42, v39, v71, s[24:25]
	v_max3_f32 v40, v40, v41, v42
	v_or_b32_e32 v41, 18, v38
	;; [unrolled: 8-line block ×6, first 2 shown]
	v_or_b32_e32 v38, 51, v38
	v_cmp_gt_i32_e32 vcc, s33, v41
	v_cmp_gt_i32_e64 s[4:5], s33, v38
	s_nop 0
	v_cndmask_b32_e32 v41, v39, v66, vcc
	v_cndmask_b32_e64 v38, v39, v67, s[4:5]
	v_max3_f32 v54, v40, v41, v38
	v_mbcnt_lo_u32_b32 v38, -1, 0
	v_mbcnt_hi_u32_b32 v55, -1, v38
	v_and_b32_e32 v38, 64, v55
	v_add_u32_e32 v56, 64, v38
	v_xor_b32_e32 v38, 32, v55
	v_cmp_lt_i32_e64 s[38:39], v38, v56
	s_nop 1
	v_cndmask_b32_e64 v38, v55, v38, s[38:39]
	v_lshlrev_b32_e32 v89, 2, v38
	ds_bpermute_b32 v57, v89, v54
	global_load_dwordx4 v[46:49], v[34:35], off
	global_load_dwordx4 v[38:41], v[34:35], off offset:16
	v_lshl_add_u64 v[34:35], v[64:65], 0, v[36:37]
	global_load_dwordx4 v[42:45], v[34:35], off
	s_nop 0
	global_load_dwordx4 v[34:37], v[34:35], off offset:16
	s_waitcnt lgkmcnt(0)
	v_max_f32_e32 v57, v57, v57
	v_max_f32_e32 v68, v54, v57
	v_xor_b32_e32 v54, 16, v55
	v_cmp_lt_i32_e64 s[38:39], v54, v56
	s_nop 1
	v_cndmask_b32_e64 v54, v55, v54, s[38:39]
	v_lshlrev_b32_e32 v90, 2, v54
	ds_bpermute_b32 v69, v90, v68
	global_load_dwordx4 v[58:61], v[50:51], off
	global_load_dwordx4 v[54:57], v[50:51], off offset:16
	v_lshl_add_u64 v[50:51], v[64:65], 0, v[52:53]
	s_waitcnt lgkmcnt(0)
	v_max_f32_e32 v52, v69, v69
	v_max_f32_e32 v88, v68, v52
	v_sub_f32_e32 v52, v62, v88
	v_mul_f32_e32 v52, 0x3fb8aa3b, v52
	v_exp_f32_e32 v68, v52
	v_sub_f32_e32 v52, v63, v88
	v_mul_f32_e32 v52, 0x3fb8aa3b, v52
	v_exp_f32_e32 v69, v52
	global_load_dwordx4 v[62:65], v[50:51], off
	s_nop 0
	global_load_dwordx4 v[50:53], v[50:51], off offset:16
	v_sub_f32_e32 v82, v82, v88
	v_mul_f32_e32 v82, 0x3fb8aa3b, v82
	v_sub_f32_e32 v83, v83, v88
	v_exp_f32_e32 v82, v82
	v_mul_f32_e32 v83, 0x3fb8aa3b, v83
	v_sub_f32_e32 v70, v70, v88
	v_exp_f32_e32 v83, v83
	v_mul_f32_e32 v70, 0x3fb8aa3b, v70
	v_sub_f32_e32 v71, v71, v88
	v_cndmask_b32_e64 v68, 0, v68, s[28:29]
	v_exp_f32_e32 v70, v70
	v_mul_f32_e32 v71, 0x3fb8aa3b, v71
	v_sub_f32_e32 v84, v84, v88
	v_add_f32_e32 v91, 0, v68
	v_cndmask_b32_e64 v69, 0, v69, s[30:31]
	v_exp_f32_e32 v71, v71
	v_mul_f32_e32 v84, 0x3fb8aa3b, v84
	v_sub_f32_e32 v85, v85, v88
	v_add_f32_e32 v91, v91, v69
	;; [unrolled: 5-line block ×10, first 2 shown]
	v_cndmask_b32_e64 v80, 0, v80, s[10:11]
	v_exp_f32_e32 v66, v66
	v_mul_f32_e32 v67, 0x3fb8aa3b, v67
	v_add_f32_e32 v91, v91, v80
	v_cndmask_b32_e64 v81, 0, v81, s[12:13]
	v_exp_f32_e32 v67, v67
	v_add_f32_e32 v91, v91, v81
	v_cndmask_b32_e64 v72, 0, v72, s[6:7]
	v_add_f32_e32 v91, v91, v72
	v_cndmask_b32_e64 v73, 0, v73, s[8:9]
	v_add_f32_e32 v91, v91, v73
	v_cndmask_b32_e32 v66, 0, v66, vcc
	v_add_f32_e32 v91, v91, v66
	v_cndmask_b32_e64 v67, 0, v67, s[4:5]
	v_add_f32_e32 v91, v91, v67
	ds_bpermute_b32 v89, v89, v91
	v_cmp_gt_u32_e32 vcc, 16, v87
	s_waitcnt lgkmcnt(0)
	s_barrier
	v_add_f32_e32 v89, v91, v89
	ds_bpermute_b32 v90, v90, v89
	s_and_saveexec_b64 s[4:5], vcc
	s_cbranch_execz .LBB681_13
; %bb.12:
	s_waitcnt lgkmcnt(0)
	v_add_f32_e32 v87, v89, v90
	v_lshlrev_b32_e32 v75, 2, v75
	ds_write2st64_b32 v75, v88, v87 offset1:1
.LBB681_13:
	s_or_b64 exec, exec, s[4:5]
	v_lshlrev_b32_e32 v75, 2, v76
	s_load_dword s6, s[0:1], 0x94
	s_waitcnt lgkmcnt(0)
	s_barrier
	ds_read2_b32 v[88:89], v75 offset1:16
	ds_read2_b32 v[90:91], v75 offset0:32 offset1:48
	ds_read2_b32 v[92:93], v75 offset0:64 offset1:80
	;; [unrolled: 1-line block ×3, first 2 shown]
	s_movk_i32 s8, 0x7fff
	s_waitcnt lgkmcnt(3)
	v_max3_f32 v87, v88, s41, v89
	s_waitcnt lgkmcnt(2)
	v_max3_f32 v87, v87, v90, v91
	v_sub_f32_e32 v88, v88, v87
	v_mul_f32_e32 v88, 0x3fb8aa3b, v88
	v_exp_f32_e32 v1, v88
	v_sub_f32_e32 v88, v89, v87
	v_mul_f32_e32 v88, 0x3fb8aa3b, v88
	v_exp_f32_e32 v89, v88
	v_sub_f32_e32 v88, v90, v87
	v_mul_f32_e32 v88, 0x3fb8aa3b, v88
	v_sub_f32_e32 v75, v91, v87
	v_exp_f32_e32 v90, v88
	v_mul_f32_e32 v75, 0x3fb8aa3b, v75
	v_exp_f32_e32 v75, v75
	s_waitcnt lgkmcnt(1)
	v_fma_f32 v88, v1, v92, 0
	v_fmac_f32_e32 v88, v89, v93
	s_waitcnt lgkmcnt(0)
	v_fmac_f32_e32 v88, v90, v94
	v_fmac_f32_e32 v88, v75, v95
	v_add_f32_e32 v91, 0x358637bd, v88
	v_div_scale_f32 v92, s[4:5], v91, v91, 1.0
	v_rcp_f32_e32 v93, v92
	s_mov_b32 s9, 0x7060302
	s_barrier
	v_fma_f32 v94, -v92, v93, 1.0
	v_fmac_f32_e32 v93, v94, v93
	v_div_scale_f32 v94, vcc, 1.0, v91, 1.0
	v_mul_f32_e32 v95, v94, v93
	v_fma_f32 v86, -v92, v95, v94
	v_fmac_f32_e32 v95, v86, v93
	v_fma_f32 v86, -v92, v95, v94
	v_div_fmas_f32 v86, v86, v93, v95
	v_cmp_eq_u32_e32 vcc, 1, v77
	v_div_fixup_f32 v86, v86, v91, 1.0
	s_nop 0
	v_cndmask_b32_e32 v1, v1, v89, vcc
	v_cmp_eq_u32_e32 vcc, 2, v77
	s_mul_i32 s7, s27, 14
	s_nop 0
	v_cndmask_b32_e32 v1, v1, v90, vcc
	v_cmp_eq_u32_e32 vcc, 3, v77
	s_nop 1
	v_cndmask_b32_e32 v1, v1, v75, vcc
	v_mul_f32_e32 v90, v1, v86
	v_pk_mul_f32 v[68:69], v[90:91], v[68:69] op_sel_hi:[0,1]
	v_bfe_u32 v1, v69, 16, 1
	v_bfe_u32 v75, v68, 16, 1
	v_pk_mul_f32 v[82:83], v[90:91], v[82:83] op_sel_hi:[0,1]
	v_add3_u32 v68, v68, v75, s8
	v_add3_u32 v1, v69, v1, s8
	v_perm_b32 v92, v1, v68, s9
	v_bfe_u32 v1, v83, 16, 1
	v_bfe_u32 v68, v82, 16, 1
	v_add3_u32 v68, v82, v68, s8
	v_add3_u32 v1, v83, v1, s8
	v_bfe_u32 v86, v0, 4, 2
	v_perm_b32 v93, v1, v68, s9
	v_lshlrev_b32_e32 v1, 3, v86
	v_lshlrev_b32_e32 v68, 5, v76
	;; [unrolled: 1-line block ×3, first 2 shown]
	v_pk_mul_f32 v[70:71], v[90:91], v[70:71] op_sel_hi:[0,1]
	v_or3_b32 v75, v69, v68, v1
	v_bfe_u32 v1, v71, 16, 1
	v_bfe_u32 v69, v70, 16, 1
	v_pk_mul_f32 v[82:83], v[90:91], v[84:85] op_sel_hi:[0,1]
	v_add3_u32 v69, v70, v69, s8
	v_add3_u32 v1, v71, v1, s8
	v_perm_b32 v70, v1, v69, s9
	v_bfe_u32 v1, v83, 16, 1
	v_bfe_u32 v69, v82, 16, 1
	v_add3_u32 v69, v82, v69, s8
	v_add3_u32 v1, v83, v1, s8
	v_pk_mul_f32 v[78:79], v[90:91], v[78:79] op_sel_hi:[0,1]
	v_perm_b32 v71, v1, v69, s9
	v_bfe_u32 v1, v79, 16, 1
	v_bfe_u32 v69, v78, 16, 1
	ds_write2st64_b64 v75, v[92:93], v[70:71] offset1:1
	v_pk_mul_f32 v[70:71], v[90:91], v[80:81] op_sel_hi:[0,1]
	v_add3_u32 v69, v78, v69, s8
	v_add3_u32 v1, v79, v1, s8
	v_perm_b32 v78, v1, v69, s9
	v_bfe_u32 v1, v71, 16, 1
	v_bfe_u32 v69, v70, 16, 1
	v_add3_u32 v69, v70, v69, s8
	v_add3_u32 v1, v71, v1, s8
	v_pk_mul_f32 v[70:71], v[90:91], v[72:73] op_sel_hi:[0,1]
	v_perm_b32 v79, v1, v69, s9
	v_bfe_u32 v1, v71, 16, 1
	v_bfe_u32 v69, v70, 16, 1
	v_pk_mul_f32 v[66:67], v[90:91], v[66:67] op_sel_hi:[0,1]
	v_add3_u32 v69, v70, v69, s8
	v_add3_u32 v1, v71, v1, s8
	v_perm_b32 v70, v1, v69, s9
	v_bfe_u32 v1, v67, 16, 1
	v_bfe_u32 v69, v66, 16, 1
	v_add3_u32 v66, v66, v69, s8
	v_add3_u32 v1, v67, v1, s8
	v_perm_b32 v71, v1, v66, s9
	v_cmp_gt_u32_e32 vcc, 14, v0
	ds_write2st64_b64 v75, v[78:79], v[70:71] offset0:2 offset1:3
	s_and_saveexec_b64 s[4:5], vcc
	s_cbranch_execz .LBB681_15
; %bb.14:
	s_mov_b32 s41, 0
	v_mov_b32_e32 v77, 0
	v_lshl_add_u64 v[66:67], s[40:41], 0, v[76:77]
	v_mov_b32_e32 v1, s7
	v_mad_u64_u32 v[66:67], s[10:11], s2, v1, v[66:67]
	s_mul_i32 s3, s3, s7
	v_mov_b32_e32 v70, s26
	v_mov_b32_e32 v71, v77
	s_load_dwordx4 s[12:15], s[0:1], 0x58
	v_add_u32_e32 v1, s3, v67
	v_mad_u64_u32 v[66:67], s[10:11], v66, s6, v[70:71]
	v_mov_b32_e32 v70, v67
	v_mad_u64_u32 v[70:71], s[10:11], v1, s6, v[70:71]
	v_mov_b32_e32 v67, v70
	v_lshlrev_b64 v[66:67], 2, v[66:67]
	s_waitcnt lgkmcnt(0)
	v_lshl_add_u64 v[70:71], s[14:15], 0, v[66:67]
	v_lshl_add_u64 v[66:67], s[12:13], 0, v[66:67]
	global_store_dword v[70:71], v87, off
	global_store_dword v[66:67], v88, off
.LBB681_15:
	s_or_b64 exec, exec, s[4:5]
	v_lshl_or_b32 v1, v86, 9, v68
	s_waitcnt lgkmcnt(0)
	s_barrier
	ds_read_b128 v[70:73], v1
	ds_read_b128 v[66:69], v1 offset:16
	s_waitcnt vmcnt(15) lgkmcnt(1)
	v_mfma_f32_16x16x16_bf16 v[78:81], v[30:31], v[70:71], 0
	s_mov_b32 s3, 0
	v_cmp_gt_u32_e32 vcc, 64, v0
	v_mfma_f32_16x16x16_bf16 v[30:33], v[32:33], v[72:73], v[78:81]
	s_waitcnt vmcnt(14) lgkmcnt(0)
	v_mfma_f32_16x16x16_bf16 v[30:33], v[26:27], v[66:67], v[30:33]
	v_mfma_f32_16x16x16_bf16 v[26:29], v[28:29], v[68:69], v[30:33]
	s_nop 5
	ds_read_b128 v[30:33], v1 offset:2048
	ds_read_b128 v[78:81], v1 offset:2064
	s_waitcnt vmcnt(13) lgkmcnt(1)
	v_mfma_f32_16x16x16_bf16 v[26:29], v[22:23], v[30:31], v[26:29]
	v_mfma_f32_16x16x16_bf16 v[22:25], v[24:25], v[32:33], v[26:29]
	s_waitcnt vmcnt(12) lgkmcnt(0)
	v_mfma_f32_16x16x16_bf16 v[22:25], v[18:19], v[78:79], v[22:25]
	v_mfma_f32_16x16x16_bf16 v[18:21], v[20:21], v[80:81], v[22:25]
	s_nop 5
	ds_read_b128 v[22:25], v1 offset:4096
	ds_read_b128 v[26:29], v1 offset:4112
	s_waitcnt vmcnt(11) lgkmcnt(1)
	v_mfma_f32_16x16x16_bf16 v[18:21], v[14:15], v[22:23], v[18:21]
	v_mfma_f32_16x16x16_bf16 v[14:17], v[16:17], v[24:25], v[18:21]
	s_waitcnt vmcnt(10) lgkmcnt(0)
	v_mfma_f32_16x16x16_bf16 v[14:17], v[10:11], v[26:27], v[14:17]
	v_mfma_f32_16x16x16_bf16 v[10:13], v[12:13], v[28:29], v[14:17]
	s_nop 5
	ds_read_b128 v[14:17], v1 offset:6144
	ds_read_b128 v[18:21], v1 offset:6160
	s_waitcnt lgkmcnt(0)
	s_barrier
	s_waitcnt vmcnt(9)
	v_mfma_f32_16x16x16_bf16 v[10:13], v[6:7], v[14:15], v[10:13]
	v_mfma_f32_16x16x16_bf16 v[6:9], v[8:9], v[16:17], v[10:13]
	s_waitcnt vmcnt(8)
	v_mfma_f32_16x16x16_bf16 v[6:9], v[2:3], v[18:19], v[6:9]
	v_mfma_f32_16x16x16_bf16 v[2:5], v[4:5], v[20:21], v[6:9]
	;; [unrolled: 3-line block ×3, first 2 shown]
	s_nop 3
	v_bfe_u32 v1, v3, 16, 1
	v_bfe_u32 v10, v2, 16, 1
	v_add3_u32 v2, v2, v10, s8
	s_waitcnt vmcnt(6)
	v_mfma_f32_16x16x16_bf16 v[6:9], v[38:39], v[66:67], v[6:9]
	v_add3_u32 v1, v3, v1, s8
	v_perm_b32 v10, v1, v2, s9
	v_bfe_u32 v1, v5, 16, 1
	v_mfma_f32_16x16x16_bf16 v[6:9], v[40:41], v[68:69], v[6:9]
	v_bfe_u32 v2, v4, 16, 1
	v_add3_u32 v2, v4, v2, s8
	v_add3_u32 v1, v5, v1, s8
	s_waitcnt vmcnt(5)
	v_mfma_f32_16x16x16_bf16 v[6:9], v[42:43], v[30:31], v[6:9]
	v_perm_b32 v11, v1, v2, s9
	v_mfma_f32_16x16x16_bf16 v[6:9], v[44:45], v[32:33], v[6:9]
	s_waitcnt vmcnt(4)
	v_mfma_f32_16x16x16_bf16 v[6:9], v[34:35], v[78:79], v[6:9]
	v_mfma_f32_16x16x16_bf16 v[6:9], v[36:37], v[80:81], v[6:9]
	s_waitcnt vmcnt(3)
	v_mfma_f32_16x16x16_bf16 v[6:9], v[58:59], v[22:23], v[6:9]
	;; [unrolled: 3-line block ×5, first 2 shown]
	v_mfma_f32_16x16x16_bf16 v[2:5], v[52:53], v[20:21], v[6:9]
	s_nop 6
	v_bfe_u32 v1, v3, 16, 1
	v_bfe_u32 v6, v2, 16, 1
	v_add3_u32 v2, v2, v6, s8
	v_add3_u32 v1, v3, v1, s8
	v_perm_b32 v2, v1, v2, s9
	v_bfe_u32 v1, v5, 16, 1
	v_bfe_u32 v3, v4, 16, 1
	v_add3_u32 v3, v4, v3, s8
	v_add3_u32 v1, v5, v1, s8
	v_perm_b32 v3, v1, v3, s9
	ds_write2st64_b64 v75, v[10:11], v[2:3] offset1:1
	s_waitcnt lgkmcnt(0)
	s_barrier
	s_and_saveexec_b64 s[4:5], vcc
	s_cbranch_execz .LBB681_18
; %bb.16:
	s_load_dwordx2 s[4:5], s[0:1], 0x68
	s_lshl_b32 s0, s6, 7
	s_mul_i32 s1, s7, s2
	v_lshlrev_b32_e32 v3, 6, v76
	s_mul_hi_u32 s7, s1, s0
	s_mul_i32 s6, s1, s0
	v_lshlrev_b32_e32 v2, 4, v0
	v_lshl_or_b32 v0, v0, 10, v3
	s_lshl_b64 s[6:7], s[6:7], 1
	v_lshlrev_b32_e32 v1, 5, v86
	v_and_b32_e32 v2, 16, v2
	v_and_b32_e32 v0, 0x1a00, v0
	s_waitcnt lgkmcnt(0)
	s_add_u32 s1, s4, s6
	v_or3_b32 v2, v0, v1, v2
	s_addc_u32 s4, s5, s7
	s_lshl_b32 s2, s26, 7
	ds_read_b128 v[4:7], v2 offset:256
	s_lshl_b64 s[2:3], s[2:3], 1
	ds_read_b128 v[8:11], v2 offset:128
	ds_read_b128 v[12:15], v2
	s_add_u32 s2, s1, s2
	s_addc_u32 s3, s4, s3
	v_mov_b32_e32 v75, 0
	v_add_u32_e32 v18, s40, v86
	v_lshl_add_u64 v[0:1], s[2:3], 0, v[74:75]
	v_mad_u64_u32 v[16:17], s[2:3], v18, s0, 0
	v_lshl_add_u64 v[16:17], v[16:17], 1, v[0:1]
	s_waitcnt lgkmcnt(0)
	global_store_dwordx4 v[16:17], v[12:15], off
	v_or_b32_e32 v3, 12, v86
	v_cmp_gt_u32_e32 vcc, 14, v3
	v_add_u32_e32 v12, 4, v18
	v_mad_u64_u32 v[12:13], s[2:3], v12, s0, 0
	v_lshl_add_u64 v[12:13], v[12:13], 1, v[0:1]
	global_store_dwordx4 v[12:13], v[8:11], off
	s_nop 1
	v_add_u32_e32 v8, 8, v18
	v_mad_u64_u32 v[8:9], s[2:3], v8, s0, 0
	v_lshl_add_u64 v[8:9], v[8:9], 1, v[0:1]
	global_store_dwordx4 v[8:9], v[4:7], off
	s_and_b64 exec, exec, vcc
	s_cbranch_execz .LBB681_18
; %bb.17:
	ds_read_b128 v[4:7], v2 offset:384
	v_add_u32_e32 v2, s40, v3
	v_mad_u64_u32 v[2:3], s[0:1], v2, s0, 0
	v_lshl_add_u64 v[0:1], v[2:3], 1, v[0:1]
	s_waitcnt lgkmcnt(0)
	global_store_dwordx4 v[0:1], v[4:7], off
.LBB681_18:
	s_endpgm
	.section	.rodata,"a",@progbits
	.p2align	6, 0x0
	.amdhsa_kernel _Z39paged_attention_ll4mi_QKV_mfma16_kernelI14__hip_bfloat16S0_LN4vllm18Fp8KVCacheDataTypeE0ES0_Li16ELi128ELi256ELb0ELi14EEvPKT_PKT0_S8_ifPKiSA_SA_iPKfiiiPfSD_PS3_PT2_iSC_SC_
		.amdhsa_group_segment_fixed_size 8192
		.amdhsa_private_segment_fixed_size 0
		.amdhsa_kernarg_size 400
		.amdhsa_user_sgpr_count 2
		.amdhsa_user_sgpr_dispatch_ptr 0
		.amdhsa_user_sgpr_queue_ptr 0
		.amdhsa_user_sgpr_kernarg_segment_ptr 1
		.amdhsa_user_sgpr_dispatch_id 0
		.amdhsa_user_sgpr_kernarg_preload_length 0
		.amdhsa_user_sgpr_kernarg_preload_offset 0
		.amdhsa_user_sgpr_private_segment_size 0
		.amdhsa_uses_dynamic_stack 0
		.amdhsa_enable_private_segment 0
		.amdhsa_system_sgpr_workgroup_id_x 1
		.amdhsa_system_sgpr_workgroup_id_y 1
		.amdhsa_system_sgpr_workgroup_id_z 1
		.amdhsa_system_sgpr_workgroup_info 0
		.amdhsa_system_vgpr_workitem_id 0
		.amdhsa_next_free_vgpr 96
		.amdhsa_next_free_sgpr 42
		.amdhsa_accum_offset 96
		.amdhsa_reserve_vcc 1
		.amdhsa_float_round_mode_32 0
		.amdhsa_float_round_mode_16_64 0
		.amdhsa_float_denorm_mode_32 3
		.amdhsa_float_denorm_mode_16_64 3
		.amdhsa_dx10_clamp 1
		.amdhsa_ieee_mode 1
		.amdhsa_fp16_overflow 0
		.amdhsa_tg_split 0
		.amdhsa_exception_fp_ieee_invalid_op 0
		.amdhsa_exception_fp_denorm_src 0
		.amdhsa_exception_fp_ieee_div_zero 0
		.amdhsa_exception_fp_ieee_overflow 0
		.amdhsa_exception_fp_ieee_underflow 0
		.amdhsa_exception_fp_ieee_inexact 0
		.amdhsa_exception_int_div_zero 0
	.end_amdhsa_kernel
	.section	.text._Z39paged_attention_ll4mi_QKV_mfma16_kernelI14__hip_bfloat16S0_LN4vllm18Fp8KVCacheDataTypeE0ES0_Li16ELi128ELi256ELb0ELi14EEvPKT_PKT0_S8_ifPKiSA_SA_iPKfiiiPfSD_PS3_PT2_iSC_SC_,"axG",@progbits,_Z39paged_attention_ll4mi_QKV_mfma16_kernelI14__hip_bfloat16S0_LN4vllm18Fp8KVCacheDataTypeE0ES0_Li16ELi128ELi256ELb0ELi14EEvPKT_PKT0_S8_ifPKiSA_SA_iPKfiiiPfSD_PS3_PT2_iSC_SC_,comdat
.Lfunc_end681:
	.size	_Z39paged_attention_ll4mi_QKV_mfma16_kernelI14__hip_bfloat16S0_LN4vllm18Fp8KVCacheDataTypeE0ES0_Li16ELi128ELi256ELb0ELi14EEvPKT_PKT0_S8_ifPKiSA_SA_iPKfiiiPfSD_PS3_PT2_iSC_SC_, .Lfunc_end681-_Z39paged_attention_ll4mi_QKV_mfma16_kernelI14__hip_bfloat16S0_LN4vllm18Fp8KVCacheDataTypeE0ES0_Li16ELi128ELi256ELb0ELi14EEvPKT_PKT0_S8_ifPKiSA_SA_iPKfiiiPfSD_PS3_PT2_iSC_SC_
                                        ; -- End function
	.section	.AMDGPU.csdata,"",@progbits
; Kernel info:
; codeLenInByte = 4764
; NumSgprs: 48
; NumVgprs: 96
; NumAgprs: 0
; TotalNumVgprs: 96
; ScratchSize: 0
; MemoryBound: 0
; FloatMode: 240
; IeeeMode: 1
; LDSByteSize: 8192 bytes/workgroup (compile time only)
; SGPRBlocks: 5
; VGPRBlocks: 11
; NumSGPRsForWavesPerEU: 48
; NumVGPRsForWavesPerEU: 96
; AccumOffset: 96
; Occupancy: 5
; WaveLimiterHint : 1
; COMPUTE_PGM_RSRC2:SCRATCH_EN: 0
; COMPUTE_PGM_RSRC2:USER_SGPR: 2
; COMPUTE_PGM_RSRC2:TRAP_HANDLER: 0
; COMPUTE_PGM_RSRC2:TGID_X_EN: 1
; COMPUTE_PGM_RSRC2:TGID_Y_EN: 1
; COMPUTE_PGM_RSRC2:TGID_Z_EN: 1
; COMPUTE_PGM_RSRC2:TIDIG_COMP_CNT: 0
; COMPUTE_PGM_RSRC3_GFX90A:ACCUM_OFFSET: 23
; COMPUTE_PGM_RSRC3_GFX90A:TG_SPLIT: 0
	.section	.text._Z39paged_attention_ll4mi_QKV_mfma16_kernelI14__hip_bfloat16S0_LN4vllm18Fp8KVCacheDataTypeE0ES0_Li16ELi128ELi256ELb0ELi15EEvPKT_PKT0_S8_ifPKiSA_SA_iPKfiiiPfSD_PS3_PT2_iSC_SC_,"axG",@progbits,_Z39paged_attention_ll4mi_QKV_mfma16_kernelI14__hip_bfloat16S0_LN4vllm18Fp8KVCacheDataTypeE0ES0_Li16ELi128ELi256ELb0ELi15EEvPKT_PKT0_S8_ifPKiSA_SA_iPKfiiiPfSD_PS3_PT2_iSC_SC_,comdat
	.protected	_Z39paged_attention_ll4mi_QKV_mfma16_kernelI14__hip_bfloat16S0_LN4vllm18Fp8KVCacheDataTypeE0ES0_Li16ELi128ELi256ELb0ELi15EEvPKT_PKT0_S8_ifPKiSA_SA_iPKfiiiPfSD_PS3_PT2_iSC_SC_ ; -- Begin function _Z39paged_attention_ll4mi_QKV_mfma16_kernelI14__hip_bfloat16S0_LN4vllm18Fp8KVCacheDataTypeE0ES0_Li16ELi128ELi256ELb0ELi15EEvPKT_PKT0_S8_ifPKiSA_SA_iPKfiiiPfSD_PS3_PT2_iSC_SC_
	.globl	_Z39paged_attention_ll4mi_QKV_mfma16_kernelI14__hip_bfloat16S0_LN4vllm18Fp8KVCacheDataTypeE0ES0_Li16ELi128ELi256ELb0ELi15EEvPKT_PKT0_S8_ifPKiSA_SA_iPKfiiiPfSD_PS3_PT2_iSC_SC_
	.p2align	8
	.type	_Z39paged_attention_ll4mi_QKV_mfma16_kernelI14__hip_bfloat16S0_LN4vllm18Fp8KVCacheDataTypeE0ES0_Li16ELi128ELi256ELb0ELi15EEvPKT_PKT0_S8_ifPKiSA_SA_iPKfiiiPfSD_PS3_PT2_iSC_SC_,@function
_Z39paged_attention_ll4mi_QKV_mfma16_kernelI14__hip_bfloat16S0_LN4vllm18Fp8KVCacheDataTypeE0ES0_Li16ELi128ELi256ELb0ELi15EEvPKT_PKT0_S8_ifPKiSA_SA_iPKfiiiPfSD_PS3_PT2_iSC_SC_: ; @_Z39paged_attention_ll4mi_QKV_mfma16_kernelI14__hip_bfloat16S0_LN4vllm18Fp8KVCacheDataTypeE0ES0_Li16ELi128ELi256ELb0ELi15EEvPKT_PKT0_S8_ifPKiSA_SA_iPKfiiiPfSD_PS3_PT2_iSC_SC_
; %bb.0:
	s_load_dwordx2 s[8:9], s[0:1], 0x30
	s_mov_b32 s26, s3
	s_mov_b64 s[6:7], 0
	s_waitcnt lgkmcnt(0)
	s_cmp_lg_u64 s[8:9], 0
	s_cselect_b64 s[10:11], -1, 0
	s_and_b64 vcc, exec, s[10:11]
	s_cbranch_vccz .LBB682_7
; %bb.1:
	s_add_i32 s12, s2, 1
	s_mov_b32 s13, 0
	s_lshl_b64 s[14:15], s[12:13], 2
	s_add_u32 s14, s8, s14
	s_mov_b32 s3, s13
	s_addc_u32 s15, s9, s15
	s_lshl_b64 s[12:13], s[2:3], 2
	s_add_u32 s12, s8, s12
	s_addc_u32 s13, s9, s13
	s_load_dword s5, s[14:15], 0x0
	s_load_dword s16, s[12:13], 0x0
	s_waitcnt lgkmcnt(0)
	s_sub_i32 s5, s5, s16
	s_cmp_eq_u32 s5, 1
	s_cselect_b64 s[12:13], -1, 0
	s_andn2_b64 vcc, exec, s[6:7]
	s_cbranch_vccnz .LBB682_3
.LBB682_2:
	s_mov_b32 s3, 0
	s_mov_b64 s[12:13], -1
.LBB682_3:
	s_andn2_b64 vcc, exec, s[12:13]
	s_cbranch_vccnz .LBB682_18
; %bb.4:
	s_load_dwordx2 s[6:7], s[0:1], 0x28
	s_lshl_b64 s[16:17], s[2:3], 2
	s_waitcnt lgkmcnt(0)
	s_add_u32 s6, s6, s16
	s_addc_u32 s7, s7, s17
	s_load_dword s33, s[6:7], 0x0
	s_lshl_b32 s18, s26, 8
	s_waitcnt lgkmcnt(0)
	s_cmp_ge_i32 s18, s33
	s_cbranch_scc1 .LBB682_18
; %bb.5:
	s_load_dwordx2 s[6:7], s[0:1], 0x20
	s_load_dword s5, s[0:1], 0x38
	s_add_i32 s12, s33, 15
	s_ashr_i32 s13, s12, 31
	v_and_b32_e32 v1, 0xcf, v0
	s_lshr_b32 s13, s13, 28
	v_add_u32_e32 v1, s18, v1
	s_add_i32 s12, s12, s13
	v_ashrrev_i32_e32 v2, 31, v1
	s_ashr_i32 s19, s12, 4
	v_lshrrev_b32_e32 v4, 28, v2
	s_add_i32 s19, s19, -1
	s_waitcnt lgkmcnt(0)
	s_mul_i32 s12, s2, s5
	s_mov_b32 s13, 0
	v_add_u32_e32 v2, v1, v4
	s_lshl_b64 s[12:13], s[12:13], 2
	v_ashrrev_i32_e32 v2, 4, v2
	v_mov_b32_e32 v5, s19
	v_cmp_gt_i32_e32 vcc, s33, v1
	s_add_u32 s6, s6, s12
	s_addc_u32 s7, s7, s13
	v_cndmask_b32_e32 v2, v5, v2, vcc
	v_ashrrev_i32_e32 v3, 31, v2
	v_lshl_add_u64 v[6:7], v[2:3], 2, s[6:7]
	v_or_b32_e32 v2, 16, v1
	v_add_u32_e32 v3, v2, v4
	v_ashrrev_i32_e32 v3, 4, v3
	v_cmp_gt_i32_e32 vcc, s33, v2
	s_load_dwordx4 s[12:15], s[0:1], 0x8
	s_nop 0
	v_cndmask_b32_e32 v2, v5, v3, vcc
	v_ashrrev_i32_e32 v3, 31, v2
	v_lshl_add_u64 v[8:9], v[2:3], 2, s[6:7]
	v_or_b32_e32 v2, 32, v1
	v_add_u32_e32 v3, v2, v4
	v_ashrrev_i32_e32 v3, 4, v3
	v_cmp_gt_i32_e32 vcc, s33, v2
	v_or_b32_e32 v1, 48, v1
	s_nop 0
	v_cndmask_b32_e32 v2, v5, v3, vcc
	v_ashrrev_i32_e32 v3, 31, v2
	v_lshl_add_u64 v[10:11], v[2:3], 2, s[6:7]
	v_add_u32_e32 v2, v1, v4
	v_ashrrev_i32_e32 v2, 4, v2
	v_cmp_gt_i32_e32 vcc, s33, v1
	s_nop 1
	v_cndmask_b32_e32 v2, v5, v2, vcc
	v_ashrrev_i32_e32 v3, 31, v2
	v_lshl_add_u64 v[12:13], v[2:3], 2, s[6:7]
	global_load_dword v4, v[6:7], off
	global_load_dword v3, v[8:9], off
	;; [unrolled: 1-line block ×4, first 2 shown]
	s_andn2_b64 vcc, exec, s[10:11]
	s_cbranch_vccnz .LBB682_8
; %bb.6:
	s_add_u32 s8, s8, s16
	s_addc_u32 s9, s9, s17
	s_load_dword s5, s[8:9], 0x0
	s_branch .LBB682_9
.LBB682_7:
	s_mov_b64 s[12:13], 0
	s_branch .LBB682_2
.LBB682_8:
	s_mov_b32 s5, s2
.LBB682_9:
	s_load_dwordx4 s[8:11], s[0:1], 0x48
	v_lshrrev_b32_e32 v77, 6, v0
	v_bfe_u32 v86, v0, 4, 2
	v_and_b32_e32 v76, 15, v0
	v_lshl_or_b32 v1, v77, 2, v86
	v_lshlrev_b32_e32 v5, 3, v76
	v_and_b32_e32 v87, 63, v0
	s_mul_i32 s40, s4, 15
	v_cmp_gt_u32_e32 vcc, 15, v1
	v_lshlrev_b32_e32 v74, 1, v5
	s_and_saveexec_b64 s[16:17], vcc
	s_cbranch_execz .LBB682_11
; %bb.10:
	s_load_dwordx2 s[20:21], s[0:1], 0x0
	s_waitcnt lgkmcnt(0)
	s_ashr_i32 s11, s8, 31
	s_mul_hi_u32 s22, s5, s8
	s_mul_i32 s11, s5, s11
	s_add_i32 s23, s22, s11
	s_mul_i32 s22, s5, s8
	s_lshl_b64 s[22:23], s[22:23], 1
	s_add_u32 s20, s20, s22
	v_add_lshl_u32 v6, v1, s40, 7
	s_addc_u32 s21, s21, s23
	v_ashrrev_i32_e32 v7, 31, v6
	v_lshl_add_u64 v[6:7], v[6:7], 1, s[20:21]
	v_mov_b32_e32 v75, 0
	v_lshl_add_u64 v[6:7], v[6:7], 0, v[74:75]
	global_load_dwordx4 v[6:9], v[6:7], off
	v_and_b32_e32 v5, 3, v0
	v_lshlrev_b32_e32 v10, 9, v76
	v_lshlrev_b32_e32 v1, 5, v1
	;; [unrolled: 1-line block ×3, first 2 shown]
	v_and_b32_e32 v10, 0x1800, v10
	v_or3_b32 v1, v10, v5, v1
	s_waitcnt vmcnt(0)
	ds_write_b128 v1, v[6:9]
.LBB682_11:
	s_or_b64 exec, exec, s[16:17]
	s_waitcnt lgkmcnt(0)
	s_mov_b32 s5, 0
	s_mul_i32 s4, s4, s10
	s_lshl_b64 s[4:5], s[4:5], 1
	s_add_u32 s10, s12, s4
	v_lshlrev_b32_e32 v1, 4, v0
	v_mov_b32_e32 v35, 0
	s_addc_u32 s11, s13, s5
	v_and_b32_e32 v34, 0xf0, v1
	v_lshl_add_u64 v[30:31], s[10:11], 0, v[34:35]
	s_waitcnt vmcnt(3)
	v_mad_i64_i32 v[4:5], s[10:11], v4, s9, 0
	v_lshl_add_u64 v[4:5], v[4:5], 1, v[30:31]
	v_and_b32_e32 v34, 0x300, v1
	v_lshl_add_u64 v[32:33], v[4:5], 0, v[34:35]
	s_load_dword s27, s[0:1], 0x98
	s_load_dword s8, s[0:1], 0x1c
	s_waitcnt lgkmcnt(0)
	s_barrier
	global_load_dwordx4 v[6:9], v[32:33], off
	global_load_dwordx4 v[22:25], v[32:33], off offset:1024
	s_waitcnt vmcnt(4)
	v_mad_i64_i32 v[4:5], s[10:11], v3, s9, 0
	s_waitcnt vmcnt(3)
	v_mad_i64_i32 v[2:3], s[10:11], v2, s9, 0
	v_lshl_add_u64 v[4:5], v[4:5], 1, v[30:31]
	v_lshl_add_u64 v[2:3], v[2:3], 1, v[30:31]
	;; [unrolled: 1-line block ×4, first 2 shown]
	global_load_dwordx4 v[14:17], v[36:37], off
	global_load_dwordx4 v[18:21], v[36:37], off offset:1024
	global_load_dwordx4 v[26:29], v[38:39], off
	global_load_dwordx4 v[46:49], v[38:39], off offset:1024
	v_cmp_ne_u32_e32 vcc, 15, v76
	global_load_dwordx4 v[54:57], v[32:33], off offset:2048
	global_load_dwordx4 v[62:65], v[36:37], off offset:2048
	v_cndmask_b32_e32 v2, 0, v76, vcc
	v_lshlrev_b32_e32 v2, 5, v2
	v_lshl_or_b32 v41, v86, 9, v2
	ds_read_b128 v[10:13], v41
	ds_read_b128 v[2:5], v41 offset:2048
	v_mov_b32_e32 v75, s19
	s_add_u32 s4, s14, s4
	s_addc_u32 s5, s15, s5
	s_mov_b32 s41, 0xff7fffff
	s_waitcnt vmcnt(7) lgkmcnt(1)
	v_mfma_f32_16x16x16_bf16 v[42:45], v[6:7], v[10:11], 0
	v_mfma_f32_16x16x16_bf16 v[6:9], v[8:9], v[12:13], v[42:45]
	s_nop 5
	global_load_dwordx4 v[42:45], v[38:39], off offset:2048
	s_waitcnt vmcnt(6)
	v_mfma_f32_16x16x16_bf16 v[50:53], v[14:15], v[10:11], 0
	s_waitcnt vmcnt(4)
	v_mfma_f32_16x16x16_bf16 v[58:61], v[26:27], v[10:11], 0
	v_mfma_f32_16x16x16_bf16 v[14:17], v[16:17], v[12:13], v[50:53]
	;; [unrolled: 1-line block ×3, first 2 shown]
	s_nop 2
	global_load_dwordx4 v[50:53], v[32:33], off offset:3072
	v_mad_i64_i32 v[32:33], s[10:11], v40, s9, 0
	v_and_or_b32 v40, v0, 48, s18
	s_waitcnt lgkmcnt(0)
	v_mfma_f32_16x16x16_bf16 v[6:9], v[22:23], v[2:3], v[6:9]
	v_ashrrev_i32_e32 v22, 4, v40
	v_cmp_gt_i32_e32 vcc, s33, v40
	v_or_b32_e32 v78, 64, v40
	v_mfma_f32_16x16x16_bf16 v[14:17], v[18:19], v[2:3], v[14:17]
	v_cndmask_b32_e32 v18, v75, v22, vcc
	v_or_b32_e32 v79, 0x80, v40
	v_or_b32_e32 v80, 0xc0, v40
	s_waitcnt vmcnt(4)
	v_mfma_f32_16x16x16_bf16 v[26:29], v[46:47], v[2:3], v[26:29]
	v_ashrrev_i32_e32 v40, 4, v78
	v_ashrrev_i32_e32 v19, 31, v18
	v_cmp_gt_i32_e32 vcc, s33, v78
	v_ashrrev_i32_e32 v46, 4, v79
	global_load_dwordx4 v[58:61], v[36:37], off offset:3072
	v_cndmask_b32_e32 v36, v75, v40, vcc
	v_lshl_add_u64 v[18:19], v[18:19], 2, s[6:7]
	v_cmp_gt_i32_e32 vcc, s33, v79
	ds_read_b128 v[66:69], v41 offset:4096
	ds_read_b128 v[70:73], v41 offset:6144
	v_mfma_f32_16x16x16_bf16 v[14:17], v[20:21], v[4:5], v[14:17]
	global_load_dword v78, v[18:19], off
	v_ashrrev_i32_e32 v37, 31, v36
	v_mfma_f32_16x16x16_bf16 v[18:21], v[48:49], v[4:5], v[26:29]
	s_nop 2
	v_cndmask_b32_e32 v28, v75, v46, vcc
	v_mfma_f32_16x16x16_bf16 v[6:9], v[24:25], v[4:5], v[6:9]
	global_load_dwordx4 v[22:25], v[38:39], off offset:3072
	v_ashrrev_i32_e32 v29, 31, v28
	v_lshl_add_u64 v[26:27], v[36:37], 2, s[6:7]
	v_lshl_add_u64 v[28:29], v[28:29], 2, s[6:7]
	global_load_dword v36, v[26:27], off
	global_load_dword v84, v[28:29], off
	v_lshl_add_u64 v[26:27], v[32:33], 1, v[30:31]
	v_lshl_add_u64 v[26:27], v[26:27], 0, v[34:35]
	global_load_dwordx4 v[38:41], v[26:27], off
	global_load_dwordx4 v[46:49], v[26:27], off offset:1024
	s_waitcnt vmcnt(10) lgkmcnt(1)
	v_mfma_f32_16x16x16_bf16 v[6:9], v[54:55], v[66:67], v[6:9]
	v_ashrrev_i32_e32 v37, 4, v80
	v_cmp_gt_i32_e32 vcc, s33, v80
	v_mfma_f32_16x16x16_bf16 v[6:9], v[56:57], v[68:69], v[6:9]
	s_nop 0
	v_cndmask_b32_e32 v28, v75, v37, vcc
	v_ashrrev_i32_e32 v29, 31, v28
	v_lshl_add_u64 v[28:29], v[28:29], 2, s[6:7]
	s_waitcnt vmcnt(9)
	v_mfma_f32_16x16x16_bf16 v[14:17], v[62:63], v[66:67], v[14:17]
	v_lshl_or_b32 v75, v77, 4, v76
	v_lshlrev_b32_e32 v34, 5, v75
	v_lshl_add_u64 v[62:63], s[4:5], 0, v[34:35]
	s_waitcnt vmcnt(8)
	v_mfma_f32_16x16x16_bf16 v[18:21], v[42:43], v[66:67], v[18:21]
	global_load_dwordx4 v[54:57], v[26:27], off offset:3072
	v_or_b32_e32 v34, 0x800, v34
	v_mfma_f32_16x16x16_bf16 v[18:21], v[44:45], v[68:69], v[18:21]
	global_load_dwordx4 v[42:45], v[26:27], off offset:2048
	v_mfma_f32_16x16x16_bf16 v[14:17], v[64:65], v[68:69], v[14:17]
	global_load_dword v64, v[28:29], off
	s_waitcnt vmcnt(10) lgkmcnt(0)
	v_mfma_f32_16x16x16_bf16 v[6:9], v[50:51], v[70:71], v[6:9]
	s_waitcnt vmcnt(7)
	v_mfma_f32_16x16x16_bf16 v[18:21], v[22:23], v[70:71], v[18:21]
	v_mad_i64_i32 v[22:23], s[6:7], v78, s9, 0
	v_lshlrev_b64 v[82:83], 1, v[22:23]
	v_mfma_f32_16x16x16_bf16 v[78:81], v[52:53], v[72:73], v[6:9]
	s_waitcnt vmcnt(6)
	s_nop 1
	v_mad_i64_i32 v[6:7], s[6:7], v36, s9, 0
	v_lshlrev_b64 v[36:37], 1, v[6:7]
	v_lshl_add_u64 v[8:9], v[62:63], 0, v[82:83]
	v_lshl_add_u64 v[6:7], v[62:63], 0, v[36:37]
	global_load_dwordx4 v[30:33], v[8:9], off
	global_load_dwordx4 v[26:29], v[8:9], off offset:16
	v_mfma_f32_16x16x16_bf16 v[88:91], v[24:25], v[72:73], v[18:21]
	global_load_dwordx4 v[22:25], v[6:7], off
	s_nop 1
	global_load_dwordx4 v[18:21], v[6:7], off offset:16
	s_waitcnt vmcnt(8)
	v_mfma_f32_16x16x16_bf16 v[6:9], v[38:39], v[10:11], 0
	v_mad_i64_i32 v[10:11], s[6:7], v84, s9, 0
	v_lshlrev_b64 v[50:51], 1, v[10:11]
	v_mfma_f32_16x16x16_bf16 v[6:9], v[40:41], v[12:13], v[6:9]
	v_lshl_add_u64 v[10:11], v[62:63], 0, v[50:51]
	s_waitcnt vmcnt(7)
	v_mfma_f32_16x16x16_bf16 v[6:9], v[46:47], v[2:3], v[6:9]
	s_waitcnt vmcnt(4)
	v_mad_i64_i32 v[2:3], s[6:7], v64, s9, 0
	v_mfma_f32_16x16x16_bf16 v[38:41], v[48:49], v[4:5], v[6:9]
	v_lshlrev_b64 v[52:53], 1, v[2:3]
	v_lshl_add_u64 v[2:3], v[62:63], 0, v[52:53]
	v_pk_mul_f32 v[62:63], s[8:9], v[78:79] op_sel_hi:[0,1]
	v_mfma_f32_16x16x16_bf16 v[38:41], v[42:43], v[66:67], v[38:41]
	v_lshl_add_u64 v[64:65], s[4:5], 0, v[34:35]
	v_lshl_add_u64 v[34:35], v[64:65], 0, v[82:83]
	v_pk_mul_f32 v[82:83], s[8:9], v[80:81] op_sel_hi:[0,1]
	v_mfma_f32_16x16x16_bf16 v[38:41], v[44:45], v[68:69], v[38:41]
	v_pk_mul_f32 v[78:79], s[8:9], v[88:89] op_sel_hi:[0,1]
	v_pk_mul_f32 v[80:81], s[8:9], v[90:91] op_sel_hi:[0,1]
	v_lshl_add_u64 v[50:51], v[64:65], 0, v[50:51]
	v_mfma_f32_16x16x16_bf16 v[38:41], v[54:55], v[70:71], v[38:41]
	v_mfma_f32_16x16x16_bf16 v[14:17], v[58:59], v[70:71], v[14:17]
	;; [unrolled: 1-line block ×4, first 2 shown]
	s_nop 4
	global_load_dwordx4 v[14:17], v[10:11], off
	s_nop 0
	global_load_dwordx4 v[10:13], v[10:11], off offset:16
	v_pk_mul_f32 v[72:73], s[8:9], v[38:39] op_sel_hi:[0,1]
	v_and_b32_e32 v38, 0xc0, v0
	v_add_u32_e32 v38, s18, v38
	v_lshl_or_b32 v38, v86, 2, v38
	v_pk_mul_f32 v[66:67], s[8:9], v[40:41] op_sel_hi:[0,1]
	v_or_b32_e32 v41, 1, v38
	v_mov_b32_e32 v39, 0xff7fffff
	v_cmp_gt_i32_e64 s[28:29], s33, v38
	v_cmp_gt_i32_e64 s[30:31], s33, v41
	v_or_b32_e32 v42, 3, v38
	v_cndmask_b32_e64 v40, v39, v62, s[28:29]
	v_cndmask_b32_e64 v41, v39, v63, s[30:31]
	v_max3_f32 v40, v40, s41, v41
	v_or_b32_e32 v41, 2, v38
	v_cmp_gt_i32_e64 s[34:35], s33, v41
	v_cmp_gt_i32_e64 s[36:37], s33, v42
	v_pk_mul_f32 v[70:71], s[8:9], v[58:59] op_sel_hi:[0,1]
	v_cndmask_b32_e64 v41, v39, v82, s[34:35]
	v_cndmask_b32_e64 v42, v39, v83, s[36:37]
	v_max3_f32 v40, v40, v41, v42
	v_or_b32_e32 v41, 16, v38
	v_or_b32_e32 v42, 17, v38
	v_cmp_gt_i32_e64 s[22:23], s33, v41
	v_cmp_gt_i32_e64 s[24:25], s33, v42
	v_pk_mul_f32 v[84:85], s[8:9], v[60:61] op_sel_hi:[0,1]
	v_cndmask_b32_e64 v41, v39, v70, s[22:23]
	v_cndmask_b32_e64 v42, v39, v71, s[24:25]
	v_max3_f32 v40, v40, v41, v42
	v_or_b32_e32 v41, 18, v38
	v_or_b32_e32 v42, 19, v38
	v_cmp_gt_i32_e64 s[18:19], s33, v41
	v_cmp_gt_i32_e64 s[20:21], s33, v42
	global_load_dwordx4 v[6:9], v[2:3], off
	s_nop 0
	global_load_dwordx4 v[2:5], v[2:3], off offset:16
	v_cndmask_b32_e64 v41, v39, v84, s[18:19]
	v_cndmask_b32_e64 v42, v39, v85, s[20:21]
	v_max3_f32 v40, v40, v41, v42
	v_or_b32_e32 v41, 32, v38
	v_or_b32_e32 v42, 33, v38
	v_cmp_gt_i32_e64 s[14:15], s33, v41
	v_cmp_gt_i32_e64 s[16:17], s33, v42
	s_nop 0
	v_cndmask_b32_e64 v41, v39, v78, s[14:15]
	v_cndmask_b32_e64 v42, v39, v79, s[16:17]
	v_max3_f32 v40, v40, v41, v42
	v_or_b32_e32 v41, 34, v38
	v_or_b32_e32 v42, 35, v38
	v_cmp_gt_i32_e64 s[10:11], s33, v41
	v_cmp_gt_i32_e64 s[12:13], s33, v42
	s_nop 0
	v_cndmask_b32_e64 v41, v39, v80, s[10:11]
	v_cndmask_b32_e64 v42, v39, v81, s[12:13]
	v_max3_f32 v40, v40, v41, v42
	v_or_b32_e32 v41, 48, v38
	v_or_b32_e32 v42, 49, v38
	v_cmp_gt_i32_e64 s[6:7], s33, v41
	v_cmp_gt_i32_e64 s[8:9], s33, v42
	s_nop 0
	v_cndmask_b32_e64 v41, v39, v72, s[6:7]
	v_cndmask_b32_e64 v42, v39, v73, s[8:9]
	v_max3_f32 v40, v40, v41, v42
	v_or_b32_e32 v41, 50, v38
	v_or_b32_e32 v38, 51, v38
	v_cmp_gt_i32_e32 vcc, s33, v41
	v_cmp_gt_i32_e64 s[4:5], s33, v38
	s_nop 0
	v_cndmask_b32_e32 v41, v39, v66, vcc
	v_cndmask_b32_e64 v38, v39, v67, s[4:5]
	v_max3_f32 v54, v40, v41, v38
	v_mbcnt_lo_u32_b32 v38, -1, 0
	v_mbcnt_hi_u32_b32 v55, -1, v38
	v_and_b32_e32 v38, 64, v55
	v_add_u32_e32 v56, 64, v38
	v_xor_b32_e32 v38, 32, v55
	v_cmp_lt_i32_e64 s[38:39], v38, v56
	s_nop 1
	v_cndmask_b32_e64 v38, v55, v38, s[38:39]
	v_lshlrev_b32_e32 v89, 2, v38
	ds_bpermute_b32 v57, v89, v54
	global_load_dwordx4 v[46:49], v[34:35], off
	global_load_dwordx4 v[38:41], v[34:35], off offset:16
	v_lshl_add_u64 v[34:35], v[64:65], 0, v[36:37]
	global_load_dwordx4 v[42:45], v[34:35], off
	s_nop 0
	global_load_dwordx4 v[34:37], v[34:35], off offset:16
	s_waitcnt lgkmcnt(0)
	v_max_f32_e32 v57, v57, v57
	v_max_f32_e32 v68, v54, v57
	v_xor_b32_e32 v54, 16, v55
	v_cmp_lt_i32_e64 s[38:39], v54, v56
	s_nop 1
	v_cndmask_b32_e64 v54, v55, v54, s[38:39]
	v_lshlrev_b32_e32 v90, 2, v54
	ds_bpermute_b32 v69, v90, v68
	global_load_dwordx4 v[58:61], v[50:51], off
	global_load_dwordx4 v[54:57], v[50:51], off offset:16
	v_lshl_add_u64 v[50:51], v[64:65], 0, v[52:53]
	s_waitcnt lgkmcnt(0)
	v_max_f32_e32 v52, v69, v69
	v_max_f32_e32 v88, v68, v52
	v_sub_f32_e32 v52, v62, v88
	v_mul_f32_e32 v52, 0x3fb8aa3b, v52
	v_exp_f32_e32 v68, v52
	v_sub_f32_e32 v52, v63, v88
	v_mul_f32_e32 v52, 0x3fb8aa3b, v52
	v_exp_f32_e32 v69, v52
	global_load_dwordx4 v[62:65], v[50:51], off
	s_nop 0
	global_load_dwordx4 v[50:53], v[50:51], off offset:16
	v_sub_f32_e32 v82, v82, v88
	v_mul_f32_e32 v82, 0x3fb8aa3b, v82
	v_sub_f32_e32 v83, v83, v88
	v_exp_f32_e32 v82, v82
	v_mul_f32_e32 v83, 0x3fb8aa3b, v83
	v_sub_f32_e32 v70, v70, v88
	v_exp_f32_e32 v83, v83
	v_mul_f32_e32 v70, 0x3fb8aa3b, v70
	v_sub_f32_e32 v71, v71, v88
	v_cndmask_b32_e64 v68, 0, v68, s[28:29]
	v_exp_f32_e32 v70, v70
	v_mul_f32_e32 v71, 0x3fb8aa3b, v71
	v_sub_f32_e32 v84, v84, v88
	v_add_f32_e32 v91, 0, v68
	v_cndmask_b32_e64 v69, 0, v69, s[30:31]
	v_exp_f32_e32 v71, v71
	v_mul_f32_e32 v84, 0x3fb8aa3b, v84
	v_sub_f32_e32 v85, v85, v88
	v_add_f32_e32 v91, v91, v69
	;; [unrolled: 5-line block ×10, first 2 shown]
	v_cndmask_b32_e64 v80, 0, v80, s[10:11]
	v_exp_f32_e32 v66, v66
	v_mul_f32_e32 v67, 0x3fb8aa3b, v67
	v_add_f32_e32 v91, v91, v80
	v_cndmask_b32_e64 v81, 0, v81, s[12:13]
	v_exp_f32_e32 v67, v67
	v_add_f32_e32 v91, v91, v81
	v_cndmask_b32_e64 v72, 0, v72, s[6:7]
	v_add_f32_e32 v91, v91, v72
	v_cndmask_b32_e64 v73, 0, v73, s[8:9]
	v_add_f32_e32 v91, v91, v73
	v_cndmask_b32_e32 v66, 0, v66, vcc
	v_add_f32_e32 v91, v91, v66
	v_cndmask_b32_e64 v67, 0, v67, s[4:5]
	v_add_f32_e32 v91, v91, v67
	ds_bpermute_b32 v89, v89, v91
	v_cmp_gt_u32_e32 vcc, 16, v87
	s_waitcnt lgkmcnt(0)
	s_barrier
	v_add_f32_e32 v89, v91, v89
	ds_bpermute_b32 v90, v90, v89
	s_and_saveexec_b64 s[4:5], vcc
	s_cbranch_execz .LBB682_13
; %bb.12:
	s_waitcnt lgkmcnt(0)
	v_add_f32_e32 v87, v89, v90
	v_lshlrev_b32_e32 v75, 2, v75
	ds_write2st64_b32 v75, v88, v87 offset1:1
.LBB682_13:
	s_or_b64 exec, exec, s[4:5]
	v_lshlrev_b32_e32 v75, 2, v76
	s_load_dword s6, s[0:1], 0x94
	s_waitcnt lgkmcnt(0)
	s_barrier
	ds_read2_b32 v[88:89], v75 offset1:16
	ds_read2_b32 v[90:91], v75 offset0:32 offset1:48
	ds_read2_b32 v[92:93], v75 offset0:64 offset1:80
	;; [unrolled: 1-line block ×3, first 2 shown]
	s_movk_i32 s8, 0x7fff
	s_waitcnt lgkmcnt(3)
	v_max3_f32 v87, v88, s41, v89
	s_waitcnt lgkmcnt(2)
	v_max3_f32 v87, v87, v90, v91
	v_sub_f32_e32 v88, v88, v87
	v_mul_f32_e32 v88, 0x3fb8aa3b, v88
	v_exp_f32_e32 v1, v88
	v_sub_f32_e32 v88, v89, v87
	v_mul_f32_e32 v88, 0x3fb8aa3b, v88
	v_exp_f32_e32 v89, v88
	v_sub_f32_e32 v88, v90, v87
	v_mul_f32_e32 v88, 0x3fb8aa3b, v88
	v_sub_f32_e32 v75, v91, v87
	v_exp_f32_e32 v90, v88
	v_mul_f32_e32 v75, 0x3fb8aa3b, v75
	v_exp_f32_e32 v75, v75
	s_waitcnt lgkmcnt(1)
	v_fma_f32 v88, v1, v92, 0
	v_fmac_f32_e32 v88, v89, v93
	s_waitcnt lgkmcnt(0)
	v_fmac_f32_e32 v88, v90, v94
	v_fmac_f32_e32 v88, v75, v95
	v_add_f32_e32 v91, 0x358637bd, v88
	v_div_scale_f32 v92, s[4:5], v91, v91, 1.0
	v_rcp_f32_e32 v93, v92
	s_mov_b32 s9, 0x7060302
	s_barrier
	v_fma_f32 v94, -v92, v93, 1.0
	v_fmac_f32_e32 v93, v94, v93
	v_div_scale_f32 v94, vcc, 1.0, v91, 1.0
	v_mul_f32_e32 v95, v94, v93
	v_fma_f32 v86, -v92, v95, v94
	v_fmac_f32_e32 v95, v86, v93
	v_fma_f32 v86, -v92, v95, v94
	v_div_fmas_f32 v86, v86, v93, v95
	v_cmp_eq_u32_e32 vcc, 1, v77
	v_div_fixup_f32 v86, v86, v91, 1.0
	s_nop 0
	v_cndmask_b32_e32 v1, v1, v89, vcc
	v_cmp_eq_u32_e32 vcc, 2, v77
	s_mul_i32 s7, s27, 15
	s_nop 0
	v_cndmask_b32_e32 v1, v1, v90, vcc
	v_cmp_eq_u32_e32 vcc, 3, v77
	s_nop 1
	v_cndmask_b32_e32 v1, v1, v75, vcc
	v_mul_f32_e32 v90, v1, v86
	v_pk_mul_f32 v[68:69], v[90:91], v[68:69] op_sel_hi:[0,1]
	v_bfe_u32 v1, v69, 16, 1
	v_bfe_u32 v75, v68, 16, 1
	v_pk_mul_f32 v[82:83], v[90:91], v[82:83] op_sel_hi:[0,1]
	v_add3_u32 v68, v68, v75, s8
	v_add3_u32 v1, v69, v1, s8
	v_perm_b32 v92, v1, v68, s9
	v_bfe_u32 v1, v83, 16, 1
	v_bfe_u32 v68, v82, 16, 1
	v_add3_u32 v68, v82, v68, s8
	v_add3_u32 v1, v83, v1, s8
	v_bfe_u32 v86, v0, 4, 2
	v_perm_b32 v93, v1, v68, s9
	v_lshlrev_b32_e32 v1, 3, v86
	v_lshlrev_b32_e32 v68, 5, v76
	;; [unrolled: 1-line block ×3, first 2 shown]
	v_pk_mul_f32 v[70:71], v[90:91], v[70:71] op_sel_hi:[0,1]
	v_or3_b32 v75, v69, v68, v1
	v_bfe_u32 v1, v71, 16, 1
	v_bfe_u32 v69, v70, 16, 1
	v_pk_mul_f32 v[82:83], v[90:91], v[84:85] op_sel_hi:[0,1]
	v_add3_u32 v69, v70, v69, s8
	v_add3_u32 v1, v71, v1, s8
	v_perm_b32 v70, v1, v69, s9
	v_bfe_u32 v1, v83, 16, 1
	v_bfe_u32 v69, v82, 16, 1
	v_add3_u32 v69, v82, v69, s8
	v_add3_u32 v1, v83, v1, s8
	v_pk_mul_f32 v[78:79], v[90:91], v[78:79] op_sel_hi:[0,1]
	v_perm_b32 v71, v1, v69, s9
	v_bfe_u32 v1, v79, 16, 1
	v_bfe_u32 v69, v78, 16, 1
	ds_write2st64_b64 v75, v[92:93], v[70:71] offset1:1
	v_pk_mul_f32 v[70:71], v[90:91], v[80:81] op_sel_hi:[0,1]
	v_add3_u32 v69, v78, v69, s8
	v_add3_u32 v1, v79, v1, s8
	v_perm_b32 v78, v1, v69, s9
	v_bfe_u32 v1, v71, 16, 1
	v_bfe_u32 v69, v70, 16, 1
	v_add3_u32 v69, v70, v69, s8
	v_add3_u32 v1, v71, v1, s8
	v_pk_mul_f32 v[70:71], v[90:91], v[72:73] op_sel_hi:[0,1]
	v_perm_b32 v79, v1, v69, s9
	v_bfe_u32 v1, v71, 16, 1
	v_bfe_u32 v69, v70, 16, 1
	v_pk_mul_f32 v[66:67], v[90:91], v[66:67] op_sel_hi:[0,1]
	v_add3_u32 v69, v70, v69, s8
	v_add3_u32 v1, v71, v1, s8
	v_perm_b32 v70, v1, v69, s9
	v_bfe_u32 v1, v67, 16, 1
	v_bfe_u32 v69, v66, 16, 1
	v_add3_u32 v66, v66, v69, s8
	v_add3_u32 v1, v67, v1, s8
	v_perm_b32 v71, v1, v66, s9
	v_cmp_gt_u32_e32 vcc, 15, v0
	ds_write2st64_b64 v75, v[78:79], v[70:71] offset0:2 offset1:3
	s_and_saveexec_b64 s[4:5], vcc
	s_cbranch_execz .LBB682_15
; %bb.14:
	s_mov_b32 s41, 0
	v_mov_b32_e32 v77, 0
	v_lshl_add_u64 v[66:67], s[40:41], 0, v[76:77]
	v_mov_b32_e32 v1, s7
	v_mad_u64_u32 v[66:67], s[10:11], s2, v1, v[66:67]
	s_mul_i32 s3, s3, s7
	v_mov_b32_e32 v70, s26
	v_mov_b32_e32 v71, v77
	s_load_dwordx4 s[12:15], s[0:1], 0x58
	v_add_u32_e32 v1, s3, v67
	v_mad_u64_u32 v[66:67], s[10:11], v66, s6, v[70:71]
	v_mov_b32_e32 v70, v67
	v_mad_u64_u32 v[70:71], s[10:11], v1, s6, v[70:71]
	v_mov_b32_e32 v67, v70
	v_lshlrev_b64 v[66:67], 2, v[66:67]
	s_waitcnt lgkmcnt(0)
	v_lshl_add_u64 v[70:71], s[14:15], 0, v[66:67]
	v_lshl_add_u64 v[66:67], s[12:13], 0, v[66:67]
	global_store_dword v[70:71], v87, off
	global_store_dword v[66:67], v88, off
.LBB682_15:
	s_or_b64 exec, exec, s[4:5]
	v_lshl_or_b32 v1, v86, 9, v68
	s_waitcnt lgkmcnt(0)
	s_barrier
	ds_read_b128 v[70:73], v1
	ds_read_b128 v[66:69], v1 offset:16
	s_waitcnt vmcnt(15) lgkmcnt(1)
	v_mfma_f32_16x16x16_bf16 v[78:81], v[30:31], v[70:71], 0
	s_mov_b32 s3, 0
	v_cmp_gt_u32_e32 vcc, 64, v0
	v_mfma_f32_16x16x16_bf16 v[30:33], v[32:33], v[72:73], v[78:81]
	s_waitcnt vmcnt(14) lgkmcnt(0)
	v_mfma_f32_16x16x16_bf16 v[30:33], v[26:27], v[66:67], v[30:33]
	v_mfma_f32_16x16x16_bf16 v[26:29], v[28:29], v[68:69], v[30:33]
	s_nop 5
	ds_read_b128 v[30:33], v1 offset:2048
	ds_read_b128 v[78:81], v1 offset:2064
	s_waitcnt vmcnt(13) lgkmcnt(1)
	v_mfma_f32_16x16x16_bf16 v[26:29], v[22:23], v[30:31], v[26:29]
	v_mfma_f32_16x16x16_bf16 v[22:25], v[24:25], v[32:33], v[26:29]
	s_waitcnt vmcnt(12) lgkmcnt(0)
	v_mfma_f32_16x16x16_bf16 v[22:25], v[18:19], v[78:79], v[22:25]
	v_mfma_f32_16x16x16_bf16 v[18:21], v[20:21], v[80:81], v[22:25]
	s_nop 5
	ds_read_b128 v[22:25], v1 offset:4096
	ds_read_b128 v[26:29], v1 offset:4112
	s_waitcnt vmcnt(11) lgkmcnt(1)
	v_mfma_f32_16x16x16_bf16 v[18:21], v[14:15], v[22:23], v[18:21]
	v_mfma_f32_16x16x16_bf16 v[14:17], v[16:17], v[24:25], v[18:21]
	s_waitcnt vmcnt(10) lgkmcnt(0)
	v_mfma_f32_16x16x16_bf16 v[14:17], v[10:11], v[26:27], v[14:17]
	v_mfma_f32_16x16x16_bf16 v[10:13], v[12:13], v[28:29], v[14:17]
	s_nop 5
	ds_read_b128 v[14:17], v1 offset:6144
	ds_read_b128 v[18:21], v1 offset:6160
	s_waitcnt lgkmcnt(0)
	s_barrier
	s_waitcnt vmcnt(9)
	v_mfma_f32_16x16x16_bf16 v[10:13], v[6:7], v[14:15], v[10:13]
	v_mfma_f32_16x16x16_bf16 v[6:9], v[8:9], v[16:17], v[10:13]
	s_waitcnt vmcnt(8)
	v_mfma_f32_16x16x16_bf16 v[6:9], v[2:3], v[18:19], v[6:9]
	v_mfma_f32_16x16x16_bf16 v[2:5], v[4:5], v[20:21], v[6:9]
	s_waitcnt vmcnt(7)
	v_mfma_f32_16x16x16_bf16 v[6:9], v[46:47], v[70:71], 0
	v_mfma_f32_16x16x16_bf16 v[6:9], v[48:49], v[72:73], v[6:9]
	s_nop 3
	v_bfe_u32 v1, v3, 16, 1
	v_bfe_u32 v10, v2, 16, 1
	v_add3_u32 v2, v2, v10, s8
	s_waitcnt vmcnt(6)
	v_mfma_f32_16x16x16_bf16 v[6:9], v[38:39], v[66:67], v[6:9]
	v_add3_u32 v1, v3, v1, s8
	v_perm_b32 v10, v1, v2, s9
	v_bfe_u32 v1, v5, 16, 1
	v_mfma_f32_16x16x16_bf16 v[6:9], v[40:41], v[68:69], v[6:9]
	v_bfe_u32 v2, v4, 16, 1
	v_add3_u32 v2, v4, v2, s8
	v_add3_u32 v1, v5, v1, s8
	s_waitcnt vmcnt(5)
	v_mfma_f32_16x16x16_bf16 v[6:9], v[42:43], v[30:31], v[6:9]
	v_perm_b32 v11, v1, v2, s9
	v_mfma_f32_16x16x16_bf16 v[6:9], v[44:45], v[32:33], v[6:9]
	s_waitcnt vmcnt(4)
	v_mfma_f32_16x16x16_bf16 v[6:9], v[34:35], v[78:79], v[6:9]
	v_mfma_f32_16x16x16_bf16 v[6:9], v[36:37], v[80:81], v[6:9]
	s_waitcnt vmcnt(3)
	v_mfma_f32_16x16x16_bf16 v[6:9], v[58:59], v[22:23], v[6:9]
	v_mfma_f32_16x16x16_bf16 v[6:9], v[60:61], v[24:25], v[6:9]
	s_waitcnt vmcnt(2)
	v_mfma_f32_16x16x16_bf16 v[6:9], v[54:55], v[26:27], v[6:9]
	v_mfma_f32_16x16x16_bf16 v[6:9], v[56:57], v[28:29], v[6:9]
	s_waitcnt vmcnt(1)
	v_mfma_f32_16x16x16_bf16 v[6:9], v[62:63], v[14:15], v[6:9]
	v_mfma_f32_16x16x16_bf16 v[6:9], v[64:65], v[16:17], v[6:9]
	s_waitcnt vmcnt(0)
	v_mfma_f32_16x16x16_bf16 v[6:9], v[50:51], v[18:19], v[6:9]
	v_mfma_f32_16x16x16_bf16 v[2:5], v[52:53], v[20:21], v[6:9]
	s_nop 6
	v_bfe_u32 v1, v3, 16, 1
	v_bfe_u32 v6, v2, 16, 1
	v_add3_u32 v2, v2, v6, s8
	v_add3_u32 v1, v3, v1, s8
	v_perm_b32 v2, v1, v2, s9
	v_bfe_u32 v1, v5, 16, 1
	v_bfe_u32 v3, v4, 16, 1
	v_add3_u32 v3, v4, v3, s8
	v_add3_u32 v1, v5, v1, s8
	v_perm_b32 v3, v1, v3, s9
	ds_write2st64_b64 v75, v[10:11], v[2:3] offset1:1
	s_waitcnt lgkmcnt(0)
	s_barrier
	s_and_saveexec_b64 s[4:5], vcc
	s_cbranch_execz .LBB682_18
; %bb.16:
	s_load_dwordx2 s[4:5], s[0:1], 0x68
	s_lshl_b32 s0, s6, 7
	s_mul_i32 s1, s7, s2
	v_lshlrev_b32_e32 v3, 6, v76
	s_mul_hi_u32 s7, s1, s0
	s_mul_i32 s6, s1, s0
	v_lshlrev_b32_e32 v2, 4, v0
	v_lshl_or_b32 v0, v0, 10, v3
	s_lshl_b64 s[6:7], s[6:7], 1
	v_lshlrev_b32_e32 v1, 5, v86
	v_and_b32_e32 v2, 16, v2
	v_and_b32_e32 v0, 0x1a00, v0
	s_waitcnt lgkmcnt(0)
	s_add_u32 s1, s4, s6
	v_or3_b32 v2, v0, v1, v2
	s_addc_u32 s4, s5, s7
	s_lshl_b32 s2, s26, 7
	ds_read_b128 v[4:7], v2 offset:256
	s_lshl_b64 s[2:3], s[2:3], 1
	ds_read_b128 v[8:11], v2 offset:128
	ds_read_b128 v[12:15], v2
	s_add_u32 s2, s1, s2
	s_addc_u32 s3, s4, s3
	v_mov_b32_e32 v75, 0
	v_add_u32_e32 v3, s40, v86
	v_lshl_add_u64 v[0:1], s[2:3], 0, v[74:75]
	v_mad_u64_u32 v[16:17], s[2:3], v3, s0, 0
	v_lshl_add_u64 v[16:17], v[16:17], 1, v[0:1]
	s_waitcnt lgkmcnt(0)
	global_store_dwordx4 v[16:17], v[12:15], off
	v_cmp_ne_u32_e32 vcc, 3, v86
	s_nop 0
	v_add_u32_e32 v12, 4, v3
	v_mad_u64_u32 v[12:13], s[2:3], v12, s0, 0
	v_lshl_add_u64 v[12:13], v[12:13], 1, v[0:1]
	v_add_u32_e32 v3, 8, v3
	global_store_dwordx4 v[12:13], v[8:11], off
	s_nop 1
	v_mad_u64_u32 v[8:9], s[2:3], v3, s0, 0
	v_lshl_add_u64 v[8:9], v[8:9], 1, v[0:1]
	global_store_dwordx4 v[8:9], v[4:7], off
	s_and_b64 exec, exec, vcc
	s_cbranch_execz .LBB682_18
; %bb.17:
	ds_read_b128 v[2:5], v2 offset:384
	v_add3_u32 v6, s40, v86, 12
	v_mad_u64_u32 v[6:7], s[0:1], v6, s0, 0
	v_lshl_add_u64 v[0:1], v[6:7], 1, v[0:1]
	s_waitcnt lgkmcnt(0)
	global_store_dwordx4 v[0:1], v[2:5], off
.LBB682_18:
	s_endpgm
	.section	.rodata,"a",@progbits
	.p2align	6, 0x0
	.amdhsa_kernel _Z39paged_attention_ll4mi_QKV_mfma16_kernelI14__hip_bfloat16S0_LN4vllm18Fp8KVCacheDataTypeE0ES0_Li16ELi128ELi256ELb0ELi15EEvPKT_PKT0_S8_ifPKiSA_SA_iPKfiiiPfSD_PS3_PT2_iSC_SC_
		.amdhsa_group_segment_fixed_size 8192
		.amdhsa_private_segment_fixed_size 0
		.amdhsa_kernarg_size 400
		.amdhsa_user_sgpr_count 2
		.amdhsa_user_sgpr_dispatch_ptr 0
		.amdhsa_user_sgpr_queue_ptr 0
		.amdhsa_user_sgpr_kernarg_segment_ptr 1
		.amdhsa_user_sgpr_dispatch_id 0
		.amdhsa_user_sgpr_kernarg_preload_length 0
		.amdhsa_user_sgpr_kernarg_preload_offset 0
		.amdhsa_user_sgpr_private_segment_size 0
		.amdhsa_uses_dynamic_stack 0
		.amdhsa_enable_private_segment 0
		.amdhsa_system_sgpr_workgroup_id_x 1
		.amdhsa_system_sgpr_workgroup_id_y 1
		.amdhsa_system_sgpr_workgroup_id_z 1
		.amdhsa_system_sgpr_workgroup_info 0
		.amdhsa_system_vgpr_workitem_id 0
		.amdhsa_next_free_vgpr 96
		.amdhsa_next_free_sgpr 42
		.amdhsa_accum_offset 96
		.amdhsa_reserve_vcc 1
		.amdhsa_float_round_mode_32 0
		.amdhsa_float_round_mode_16_64 0
		.amdhsa_float_denorm_mode_32 3
		.amdhsa_float_denorm_mode_16_64 3
		.amdhsa_dx10_clamp 1
		.amdhsa_ieee_mode 1
		.amdhsa_fp16_overflow 0
		.amdhsa_tg_split 0
		.amdhsa_exception_fp_ieee_invalid_op 0
		.amdhsa_exception_fp_denorm_src 0
		.amdhsa_exception_fp_ieee_div_zero 0
		.amdhsa_exception_fp_ieee_overflow 0
		.amdhsa_exception_fp_ieee_underflow 0
		.amdhsa_exception_fp_ieee_inexact 0
		.amdhsa_exception_int_div_zero 0
	.end_amdhsa_kernel
	.section	.text._Z39paged_attention_ll4mi_QKV_mfma16_kernelI14__hip_bfloat16S0_LN4vllm18Fp8KVCacheDataTypeE0ES0_Li16ELi128ELi256ELb0ELi15EEvPKT_PKT0_S8_ifPKiSA_SA_iPKfiiiPfSD_PS3_PT2_iSC_SC_,"axG",@progbits,_Z39paged_attention_ll4mi_QKV_mfma16_kernelI14__hip_bfloat16S0_LN4vllm18Fp8KVCacheDataTypeE0ES0_Li16ELi128ELi256ELb0ELi15EEvPKT_PKT0_S8_ifPKiSA_SA_iPKfiiiPfSD_PS3_PT2_iSC_SC_,comdat
.Lfunc_end682:
	.size	_Z39paged_attention_ll4mi_QKV_mfma16_kernelI14__hip_bfloat16S0_LN4vllm18Fp8KVCacheDataTypeE0ES0_Li16ELi128ELi256ELb0ELi15EEvPKT_PKT0_S8_ifPKiSA_SA_iPKfiiiPfSD_PS3_PT2_iSC_SC_, .Lfunc_end682-_Z39paged_attention_ll4mi_QKV_mfma16_kernelI14__hip_bfloat16S0_LN4vllm18Fp8KVCacheDataTypeE0ES0_Li16ELi128ELi256ELb0ELi15EEvPKT_PKT0_S8_ifPKiSA_SA_iPKfiiiPfSD_PS3_PT2_iSC_SC_
                                        ; -- End function
	.section	.AMDGPU.csdata,"",@progbits
; Kernel info:
; codeLenInByte = 4752
; NumSgprs: 48
; NumVgprs: 96
; NumAgprs: 0
; TotalNumVgprs: 96
; ScratchSize: 0
; MemoryBound: 0
; FloatMode: 240
; IeeeMode: 1
; LDSByteSize: 8192 bytes/workgroup (compile time only)
; SGPRBlocks: 5
; VGPRBlocks: 11
; NumSGPRsForWavesPerEU: 48
; NumVGPRsForWavesPerEU: 96
; AccumOffset: 96
; Occupancy: 5
; WaveLimiterHint : 1
; COMPUTE_PGM_RSRC2:SCRATCH_EN: 0
; COMPUTE_PGM_RSRC2:USER_SGPR: 2
; COMPUTE_PGM_RSRC2:TRAP_HANDLER: 0
; COMPUTE_PGM_RSRC2:TGID_X_EN: 1
; COMPUTE_PGM_RSRC2:TGID_Y_EN: 1
; COMPUTE_PGM_RSRC2:TGID_Z_EN: 1
; COMPUTE_PGM_RSRC2:TIDIG_COMP_CNT: 0
; COMPUTE_PGM_RSRC3_GFX90A:ACCUM_OFFSET: 23
; COMPUTE_PGM_RSRC3_GFX90A:TG_SPLIT: 0
	.section	.text._Z39paged_attention_ll4mi_QKV_mfma16_kernelI14__hip_bfloat16S0_LN4vllm18Fp8KVCacheDataTypeE0ES0_Li16ELi128ELi256ELb0ELi16EEvPKT_PKT0_S8_ifPKiSA_SA_iPKfiiiPfSD_PS3_PT2_iSC_SC_,"axG",@progbits,_Z39paged_attention_ll4mi_QKV_mfma16_kernelI14__hip_bfloat16S0_LN4vllm18Fp8KVCacheDataTypeE0ES0_Li16ELi128ELi256ELb0ELi16EEvPKT_PKT0_S8_ifPKiSA_SA_iPKfiiiPfSD_PS3_PT2_iSC_SC_,comdat
	.protected	_Z39paged_attention_ll4mi_QKV_mfma16_kernelI14__hip_bfloat16S0_LN4vllm18Fp8KVCacheDataTypeE0ES0_Li16ELi128ELi256ELb0ELi16EEvPKT_PKT0_S8_ifPKiSA_SA_iPKfiiiPfSD_PS3_PT2_iSC_SC_ ; -- Begin function _Z39paged_attention_ll4mi_QKV_mfma16_kernelI14__hip_bfloat16S0_LN4vllm18Fp8KVCacheDataTypeE0ES0_Li16ELi128ELi256ELb0ELi16EEvPKT_PKT0_S8_ifPKiSA_SA_iPKfiiiPfSD_PS3_PT2_iSC_SC_
	.globl	_Z39paged_attention_ll4mi_QKV_mfma16_kernelI14__hip_bfloat16S0_LN4vllm18Fp8KVCacheDataTypeE0ES0_Li16ELi128ELi256ELb0ELi16EEvPKT_PKT0_S8_ifPKiSA_SA_iPKfiiiPfSD_PS3_PT2_iSC_SC_
	.p2align	8
	.type	_Z39paged_attention_ll4mi_QKV_mfma16_kernelI14__hip_bfloat16S0_LN4vllm18Fp8KVCacheDataTypeE0ES0_Li16ELi128ELi256ELb0ELi16EEvPKT_PKT0_S8_ifPKiSA_SA_iPKfiiiPfSD_PS3_PT2_iSC_SC_,@function
_Z39paged_attention_ll4mi_QKV_mfma16_kernelI14__hip_bfloat16S0_LN4vllm18Fp8KVCacheDataTypeE0ES0_Li16ELi128ELi256ELb0ELi16EEvPKT_PKT0_S8_ifPKiSA_SA_iPKfiiiPfSD_PS3_PT2_iSC_SC_: ; @_Z39paged_attention_ll4mi_QKV_mfma16_kernelI14__hip_bfloat16S0_LN4vllm18Fp8KVCacheDataTypeE0ES0_Li16ELi128ELi256ELb0ELi16EEvPKT_PKT0_S8_ifPKiSA_SA_iPKfiiiPfSD_PS3_PT2_iSC_SC_
; %bb.0:
	s_load_dwordx2 s[8:9], s[0:1], 0x30
	s_mov_b32 s26, s3
	s_mov_b64 s[6:7], 0
	s_waitcnt lgkmcnt(0)
	s_cmp_lg_u64 s[8:9], 0
	s_cselect_b64 s[10:11], -1, 0
	s_and_b64 vcc, exec, s[10:11]
	s_cbranch_vccz .LBB683_7
; %bb.1:
	s_add_i32 s12, s2, 1
	s_mov_b32 s13, 0
	s_lshl_b64 s[14:15], s[12:13], 2
	s_add_u32 s14, s8, s14
	s_mov_b32 s3, s13
	s_addc_u32 s15, s9, s15
	s_lshl_b64 s[12:13], s[2:3], 2
	s_add_u32 s12, s8, s12
	s_addc_u32 s13, s9, s13
	s_load_dword s5, s[14:15], 0x0
	s_load_dword s16, s[12:13], 0x0
	s_waitcnt lgkmcnt(0)
	s_sub_i32 s5, s5, s16
	s_cmp_eq_u32 s5, 1
	s_cselect_b64 s[12:13], -1, 0
	s_andn2_b64 vcc, exec, s[6:7]
	s_cbranch_vccnz .LBB683_3
.LBB683_2:
	s_mov_b32 s3, 0
	s_mov_b64 s[12:13], -1
.LBB683_3:
	s_andn2_b64 vcc, exec, s[12:13]
	s_cbranch_vccnz .LBB683_17
; %bb.4:
	s_load_dwordx2 s[6:7], s[0:1], 0x28
	s_lshl_b64 s[16:17], s[2:3], 2
	s_waitcnt lgkmcnt(0)
	s_add_u32 s6, s6, s16
	s_addc_u32 s7, s7, s17
	s_load_dword s38, s[6:7], 0x0
	s_lshl_b32 s18, s26, 8
	s_waitcnt lgkmcnt(0)
	s_cmp_ge_i32 s18, s38
	s_cbranch_scc1 .LBB683_17
; %bb.5:
	s_load_dwordx2 s[6:7], s[0:1], 0x20
	s_load_dword s5, s[0:1], 0x38
	s_add_i32 s12, s38, 15
	s_ashr_i32 s13, s12, 31
	v_and_b32_e32 v1, 0xcf, v0
	s_lshr_b32 s13, s13, 28
	v_add_u32_e32 v1, s18, v1
	s_add_i32 s12, s12, s13
	v_ashrrev_i32_e32 v2, 31, v1
	s_ashr_i32 s19, s12, 4
	v_lshrrev_b32_e32 v4, 28, v2
	s_add_i32 s19, s19, -1
	s_waitcnt lgkmcnt(0)
	s_mul_i32 s12, s2, s5
	s_mov_b32 s13, 0
	v_add_u32_e32 v2, v1, v4
	s_lshl_b64 s[12:13], s[12:13], 2
	v_ashrrev_i32_e32 v2, 4, v2
	v_mov_b32_e32 v5, s19
	v_cmp_gt_i32_e32 vcc, s38, v1
	s_add_u32 s6, s6, s12
	s_addc_u32 s7, s7, s13
	v_cndmask_b32_e32 v2, v5, v2, vcc
	v_ashrrev_i32_e32 v3, 31, v2
	v_lshl_add_u64 v[6:7], v[2:3], 2, s[6:7]
	v_or_b32_e32 v2, 16, v1
	v_add_u32_e32 v3, v2, v4
	v_ashrrev_i32_e32 v3, 4, v3
	v_cmp_gt_i32_e32 vcc, s38, v2
	s_load_dwordx4 s[12:15], s[0:1], 0x8
	s_nop 0
	v_cndmask_b32_e32 v2, v5, v3, vcc
	v_ashrrev_i32_e32 v3, 31, v2
	v_lshl_add_u64 v[8:9], v[2:3], 2, s[6:7]
	v_or_b32_e32 v2, 32, v1
	v_add_u32_e32 v3, v2, v4
	v_ashrrev_i32_e32 v3, 4, v3
	v_cmp_gt_i32_e32 vcc, s38, v2
	v_or_b32_e32 v1, 48, v1
	s_nop 0
	v_cndmask_b32_e32 v2, v5, v3, vcc
	v_ashrrev_i32_e32 v3, 31, v2
	v_lshl_add_u64 v[10:11], v[2:3], 2, s[6:7]
	v_add_u32_e32 v2, v1, v4
	v_ashrrev_i32_e32 v2, 4, v2
	v_cmp_gt_i32_e32 vcc, s38, v1
	s_nop 1
	v_cndmask_b32_e32 v2, v5, v2, vcc
	v_ashrrev_i32_e32 v3, 31, v2
	v_lshl_add_u64 v[12:13], v[2:3], 2, s[6:7]
	global_load_dword v4, v[6:7], off
	global_load_dword v3, v[8:9], off
	;; [unrolled: 1-line block ×4, first 2 shown]
	s_andn2_b64 vcc, exec, s[10:11]
	s_cbranch_vccnz .LBB683_8
; %bb.6:
	s_add_u32 s8, s8, s16
	s_addc_u32 s9, s9, s17
	s_load_dword s5, s[8:9], 0x0
	s_branch .LBB683_9
.LBB683_7:
	s_mov_b64 s[12:13], 0
	s_branch .LBB683_2
.LBB683_8:
	s_mov_b32 s5, s2
.LBB683_9:
	s_load_dwordx4 s[8:11], s[0:1], 0x48
	v_and_b32_e32 v81, 15, v0
	v_lshlrev_b32_e32 v1, 3, v81
	s_waitcnt lgkmcnt(0)
	s_movk_i32 s11, 0x100
	v_lshrrev_b32_e32 v94, 6, v0
	v_and_b32_e32 v74, 63, v0
	v_bfe_u32 v95, v0, 4, 2
	s_lshl_b32 s27, s4, 4
	v_cmp_gt_u32_e32 vcc, s11, v0
	v_lshlrev_b32_e32 v6, 1, v1
	scratch_store_dwordx2 off, v[6:7], off  ; 8-byte Folded Spill
	s_and_saveexec_b64 s[16:17], vcc
	s_cbranch_execz .LBB683_11
; %bb.10:
	scratch_load_dwordx2 v[8:9], off, off   ; 8-byte Folded Reload
	s_load_dwordx2 s[20:21], s[0:1], 0x0
	s_ashr_i32 s11, s8, 31
	s_mul_hi_u32 s22, s5, s8
	s_mul_i32 s11, s5, s11
	s_add_i32 s23, s22, s11
	s_mul_i32 s22, s5, s8
	v_lshl_or_b32 v1, v94, 2, v95
	s_lshl_b64 s[22:23], s[22:23], 1
	s_waitcnt lgkmcnt(0)
	s_add_u32 s20, s20, s22
	v_add_lshl_u32 v6, v1, s27, 7
	s_addc_u32 s21, s21, s23
	v_ashrrev_i32_e32 v7, 31, v6
	v_lshl_add_u64 v[6:7], v[6:7], 1, s[20:21]
	v_mov_b32_e32 v11, 0
	v_and_b32_e32 v5, 3, v0
	v_lshlrev_b32_e32 v1, 5, v1
	v_lshlrev_b32_e32 v5, 9, v5
	s_waitcnt vmcnt(0)
	v_mov_b32_e32 v10, v8
	v_lshl_add_u64 v[6:7], v[6:7], 0, v[10:11]
	scratch_store_dwordx2 off, v[8:9], off  ; 8-byte Folded Spill
	global_load_dwordx4 v[6:9], v[6:7], off
	v_lshlrev_b32_e32 v10, 9, v81
	v_and_b32_e32 v10, 0x1800, v10
	v_or3_b32 v1, v10, v5, v1
	s_waitcnt vmcnt(0)
	ds_write_b128 v1, v[6:9]
.LBB683_11:
	s_or_b64 exec, exec, s[16:17]
	s_mul_i32 s4, s4, s10
	s_mov_b32 s5, 0
	s_lshl_b64 s[4:5], s[4:5], 1
	s_add_u32 s10, s12, s4
	v_lshlrev_b32_e32 v1, 4, v0
	s_addc_u32 s11, s13, s5
	v_and_b32_e32 v38, 0xf0, v1
	v_mov_b32_e32 v39, 0
	v_lshl_add_u64 v[30:31], s[10:11], 0, v[38:39]
	s_waitcnt vmcnt(4)
	v_mad_i64_i32 v[4:5], s[10:11], v4, s9, 0
	v_lshl_add_u64 v[4:5], v[4:5], 1, v[30:31]
	v_and_b32_e32 v38, 0x300, v1
	v_lshl_add_u64 v[32:33], v[4:5], 0, v[38:39]
	s_load_dword s33, s[0:1], 0x98
	s_load_dword s8, s[0:1], 0x1c
	s_waitcnt lgkmcnt(0)
	s_barrier
	global_load_dwordx4 v[10:13], v[32:33], off
	global_load_dwordx4 v[22:25], v[32:33], off offset:1024
	s_waitcnt vmcnt(5)
	v_mad_i64_i32 v[4:5], s[10:11], v3, s9, 0
	s_waitcnt vmcnt(4)
	v_mad_i64_i32 v[2:3], s[10:11], v2, s9, 0
	v_lshl_add_u64 v[4:5], v[4:5], 1, v[30:31]
	v_lshl_add_u64 v[2:3], v[2:3], 1, v[30:31]
	;; [unrolled: 1-line block ×4, first 2 shown]
	global_load_dwordx4 v[14:17], v[40:41], off
	global_load_dwordx4 v[18:21], v[40:41], off offset:1024
	global_load_dwordx4 v[26:29], v[42:43], off
	global_load_dwordx4 v[64:67], v[40:41], off offset:2048
	global_load_dwordx4 v[48:51], v[42:43], off offset:1024
	v_lshlrev_b32_e32 v1, 5, v81
	v_lshl_or_b32 v85, v95, 9, v1
	ds_read_b128 v[6:9], v85
	ds_read_b128 v[2:5], v85 offset:2048
	global_load_dwordx4 v[56:59], v[32:33], off offset:2048
	v_mov_b32_e32 v72, s19
	scratch_store_dword off, v1, off offset:8 ; 4-byte Folded Spill
	v_and_or_b32 v1, v0, 48, s18
	v_cmp_gt_i32_e32 vcc, s38, v1
	v_or_b32_e32 v73, 64, v1
	v_or_b32_e32 v75, 0x80, v1
	;; [unrolled: 1-line block ×3, first 2 shown]
	s_add_u32 s4, s14, s4
	s_addc_u32 s5, s15, s5
	s_mov_b32 s40, 0xff7fffff
	v_mov_b32_e32 v84, v95
	s_waitcnt vmcnt(8) lgkmcnt(1)
	v_mfma_f32_16x16x16_bf16 v[44:47], v[10:11], v[6:7], 0
	v_mfma_f32_16x16x16_bf16 v[10:13], v[12:13], v[8:9], v[44:47]
	s_nop 5
	global_load_dwordx4 v[44:47], v[42:43], off offset:2048
	s_waitcnt vmcnt(7)
	v_mfma_f32_16x16x16_bf16 v[52:55], v[14:15], v[6:7], 0
	s_waitcnt vmcnt(5)
	v_mfma_f32_16x16x16_bf16 v[60:63], v[26:27], v[6:7], 0
	v_mfma_f32_16x16x16_bf16 v[14:17], v[16:17], v[8:9], v[52:55]
	s_nop 3
	global_load_dwordx4 v[52:55], v[32:33], off offset:3072
	v_mfma_f32_16x16x16_bf16 v[26:29], v[28:29], v[8:9], v[60:63]
	v_mad_i64_i32 v[32:33], s[10:11], v34, s9, 0
	s_nop 1
	ds_read_b128 v[60:63], v85 offset:4096
	ds_read_b128 v[34:37], v85 offset:6144
	s_waitcnt lgkmcnt(2)
	v_mfma_f32_16x16x16_bf16 v[10:13], v[22:23], v[2:3], v[10:13]
	v_ashrrev_i32_e32 v22, 4, v1
	v_ashrrev_i32_e32 v1, 4, v73
	global_load_dwordx4 v[68:71], v[40:41], off offset:3072
	v_mfma_f32_16x16x16_bf16 v[14:17], v[18:19], v[2:3], v[14:17]
	v_cndmask_b32_e32 v18, v72, v22, vcc
	v_ashrrev_i32_e32 v19, 31, v18
	v_cmp_gt_i32_e32 vcc, s38, v73
	s_waitcnt vmcnt(5)
	v_mfma_f32_16x16x16_bf16 v[26:29], v[48:49], v[2:3], v[26:29]
	v_ashrrev_i32_e32 v48, 4, v75
	v_lshl_add_u64 v[18:19], v[18:19], 2, s[6:7]
	v_mfma_f32_16x16x16_bf16 v[10:13], v[24:25], v[4:5], v[10:13]
	global_load_dwordx4 v[22:25], v[42:43], off offset:3072
	v_cndmask_b32_e32 v40, v72, v1, vcc
	v_cmp_gt_i32_e32 vcc, s38, v75
	v_mfma_f32_16x16x16_bf16 v[14:17], v[20:21], v[4:5], v[14:17]
	global_load_dword v42, v[18:19], off
	v_ashrrev_i32_e32 v41, 31, v40
	v_ashrrev_i32_e32 v1, 4, v80
	v_mfma_f32_16x16x16_bf16 v[18:21], v[50:51], v[4:5], v[26:29]
	s_nop 2
	v_cndmask_b32_e32 v28, v72, v48, vcc
	v_ashrrev_i32_e32 v29, 31, v28
	v_lshl_add_u64 v[26:27], v[40:41], 2, s[6:7]
	v_lshl_add_u64 v[28:29], v[28:29], 2, s[6:7]
	global_load_dword v43, v[26:27], off
	global_load_dword v50, v[28:29], off
	v_lshl_add_u64 v[26:27], v[32:33], 1, v[30:31]
	v_lshl_add_u64 v[26:27], v[26:27], 0, v[38:39]
	global_load_dwordx4 v[76:79], v[26:27], off
	s_waitcnt vmcnt(9) lgkmcnt(1)
	v_mfma_f32_16x16x16_bf16 v[10:13], v[56:57], v[60:61], v[10:13]
	v_cmp_gt_i32_e32 vcc, s38, v80
	global_load_dwordx4 v[90:93], v[26:27], off offset:3072
	v_mfma_f32_16x16x16_bf16 v[10:13], v[58:59], v[62:63], v[10:13]
	global_load_dwordx4 v[56:59], v[26:27], off offset:1024
	v_cndmask_b32_e32 v28, v72, v1, vcc
	v_ashrrev_i32_e32 v29, 31, v28
	s_waitcnt vmcnt(9)
	v_mfma_f32_16x16x16_bf16 v[18:21], v[44:45], v[60:61], v[18:21]
	v_lshl_add_u64 v[28:29], v[28:29], 2, s[6:7]
	v_lshl_or_b32 v1, v94, 4, v81
	v_lshlrev_b32_e32 v38, 5, v1
	v_mfma_f32_16x16x16_bf16 v[18:21], v[46:47], v[62:63], v[18:21]
	global_load_dwordx4 v[44:47], v[26:27], off offset:2048
	v_lshl_add_u64 v[40:41], s[4:5], 0, v[38:39]
	v_or_b32_e32 v38, 0x800, v38
	v_mfma_f32_16x16x16_bf16 v[14:17], v[64:65], v[60:61], v[14:17]
	global_load_dword v64, v[28:29], off
	v_mfma_f32_16x16x16_bf16 v[14:17], v[66:67], v[62:63], v[14:17]
	s_waitcnt vmcnt(10) lgkmcnt(0)
	v_mfma_f32_16x16x16_bf16 v[10:13], v[52:53], v[34:35], v[10:13]
	s_waitcnt vmcnt(8)
	v_mfma_f32_16x16x16_bf16 v[18:21], v[22:23], v[34:35], v[18:21]
	s_waitcnt vmcnt(7)
	v_mad_i64_i32 v[22:23], s[6:7], v42, s9, 0
	v_lshlrev_b64 v[48:49], 1, v[22:23]
	v_mfma_f32_16x16x16_bf16 v[14:17], v[68:69], v[34:35], v[14:17]
	v_mfma_f32_16x16x16_bf16 v[66:69], v[54:55], v[36:37], v[10:13]
	s_waitcnt vmcnt(6)
	s_nop 1
	v_mad_i64_i32 v[10:11], s[6:7], v43, s9, 0
	v_lshlrev_b64 v[42:43], 1, v[10:11]
	v_lshl_add_u64 v[12:13], v[40:41], 0, v[48:49]
	v_lshl_add_u64 v[10:11], v[40:41], 0, v[42:43]
	global_load_dwordx4 v[30:33], v[12:13], off
	global_load_dwordx4 v[26:29], v[12:13], off offset:16
	v_mfma_f32_16x16x16_bf16 v[86:89], v[24:25], v[36:37], v[18:21]
	global_load_dwordx4 v[22:25], v[10:11], off
	s_nop 1
	global_load_dwordx4 v[18:21], v[10:11], off offset:16
	v_pk_mul_f32 v[80:81], s[8:9], v[68:69] op_sel_hi:[0,1]
	s_waitcnt vmcnt(8)
	v_mfma_f32_16x16x16_bf16 v[10:13], v[76:77], v[6:7], 0
	v_mad_i64_i32 v[6:7], s[6:7], v50, s9, 0
	v_lshlrev_b64 v[50:51], 1, v[6:7]
	v_mfma_f32_16x16x16_bf16 v[6:9], v[78:79], v[8:9], v[10:13]
	v_pk_mul_f32 v[76:77], s[8:9], v[86:87] op_sel_hi:[0,1]
	v_pk_mul_f32 v[78:79], s[8:9], v[88:89] op_sel_hi:[0,1]
	s_waitcnt vmcnt(6)
	v_mfma_f32_16x16x16_bf16 v[6:9], v[56:57], v[2:3], v[6:9]
	v_lshl_add_u64 v[10:11], v[40:41], 0, v[50:51]
	s_waitcnt vmcnt(4)
	v_mad_i64_i32 v[2:3], s[6:7], v64, s9, 0
	v_mfma_f32_16x16x16_bf16 v[54:57], v[58:59], v[4:5], v[6:9]
	v_lshlrev_b64 v[52:53], 1, v[2:3]
	v_lshl_add_u64 v[2:3], v[40:41], 0, v[52:53]
	v_lshl_add_u64 v[64:65], s[4:5], 0, v[38:39]
	v_mfma_f32_16x16x16_bf16 v[54:57], v[44:45], v[60:61], v[54:57]
	v_lshl_add_u64 v[44:45], v[64:65], 0, v[48:49]
	v_lshl_add_u64 v[50:51], v[64:65], 0, v[50:51]
	v_mfma_f32_16x16x16_bf16 v[38:41], v[46:47], v[62:63], v[54:57]
	v_pk_mul_f32 v[62:63], s[8:9], v[66:67] op_sel_hi:[0,1]
	v_mfma_f32_16x16x16_bf16 v[38:41], v[90:91], v[34:35], v[38:41]
	v_mfma_f32_16x16x16_bf16 v[70:73], v[70:71], v[36:37], v[14:17]
	s_nop 2
	global_load_dwordx4 v[14:17], v[10:11], off
	s_nop 0
	global_load_dwordx4 v[10:13], v[10:11], off offset:16
	s_nop 0
	global_load_dwordx4 v[6:9], v[2:3], off
	s_nop 0
	global_load_dwordx4 v[2:5], v[2:3], off offset:16
	v_pk_mul_f32 v[82:83], s[8:9], v[72:73] op_sel_hi:[0,1]
	v_mfma_f32_16x16x16_bf16 v[34:37], v[92:93], v[36:37], v[38:41]
	v_pk_mul_f32 v[70:71], s[8:9], v[70:71] op_sel_hi:[0,1]
	s_nop 5
	v_pk_mul_f32 v[72:73], s[8:9], v[34:35] op_sel_hi:[0,1]
	v_and_b32_e32 v34, 0xc0, v0
	v_add_u32_e32 v34, s18, v34
	v_lshl_or_b32 v34, v95, 2, v34
	v_pk_mul_f32 v[66:67], s[8:9], v[36:37] op_sel_hi:[0,1]
	v_or_b32_e32 v37, 1, v34
	v_mov_b32_e32 v35, 0xff7fffff
	v_cmp_gt_i32_e64 s[28:29], s38, v34
	v_cmp_gt_i32_e64 s[30:31], s38, v37
	v_or_b32_e32 v38, 3, v34
	v_cndmask_b32_e64 v36, v35, v62, s[28:29]
	v_cndmask_b32_e64 v37, v35, v63, s[30:31]
	v_max3_f32 v36, v36, s40, v37
	v_or_b32_e32 v37, 2, v34
	v_cmp_gt_i32_e64 s[34:35], s38, v37
	v_cmp_gt_i32_e64 s[36:37], s38, v38
	s_nop 0
	v_cndmask_b32_e64 v37, v35, v80, s[34:35]
	v_cndmask_b32_e64 v38, v35, v81, s[36:37]
	v_max3_f32 v36, v36, v37, v38
	v_or_b32_e32 v37, 16, v34
	v_or_b32_e32 v38, 17, v34
	v_cmp_gt_i32_e64 s[22:23], s38, v37
	v_cmp_gt_i32_e64 s[24:25], s38, v38
	s_nop 0
	v_cndmask_b32_e64 v37, v35, v70, s[22:23]
	v_cndmask_b32_e64 v38, v35, v71, s[24:25]
	v_max3_f32 v36, v36, v37, v38
	v_or_b32_e32 v37, 18, v34
	;; [unrolled: 8-line block ×6, first 2 shown]
	v_or_b32_e32 v34, 51, v34
	v_cmp_gt_i32_e32 vcc, s38, v37
	v_cmp_gt_i32_e64 s[4:5], s38, v34
	global_load_dwordx4 v[46:49], v[44:45], off
	global_load_dwordx4 v[38:41], v[44:45], off offset:16
	v_cndmask_b32_e32 v37, v35, v66, vcc
	v_cndmask_b32_e64 v34, v35, v67, s[4:5]
	v_max3_f32 v54, v36, v37, v34
	v_mbcnt_lo_u32_b32 v34, -1, 0
	v_mbcnt_hi_u32_b32 v55, -1, v34
	v_and_b32_e32 v34, 64, v55
	v_add_u32_e32 v56, 64, v34
	v_xor_b32_e32 v34, 32, v55
	v_cmp_lt_i32_e64 s[38:39], v34, v56
	s_nop 1
	v_cndmask_b32_e64 v34, v55, v34, s[38:39]
	v_lshlrev_b32_e32 v75, 2, v34
	ds_bpermute_b32 v57, v75, v54
	v_lshl_add_u64 v[34:35], v[64:65], 0, v[42:43]
	global_load_dwordx4 v[42:45], v[34:35], off
	s_nop 0
	global_load_dwordx4 v[34:37], v[34:35], off offset:16
	s_waitcnt lgkmcnt(0)
	v_max_f32_e32 v57, v57, v57
	v_max_f32_e32 v68, v54, v57
	v_xor_b32_e32 v54, 16, v55
	v_cmp_lt_i32_e64 s[38:39], v54, v56
	s_nop 1
	v_cndmask_b32_e64 v54, v55, v54, s[38:39]
	v_lshlrev_b32_e32 v86, 2, v54
	ds_bpermute_b32 v69, v86, v68
	global_load_dwordx4 v[58:61], v[50:51], off
	global_load_dwordx4 v[54:57], v[50:51], off offset:16
	v_lshl_add_u64 v[50:51], v[64:65], 0, v[52:53]
	s_waitcnt lgkmcnt(0)
	v_max_f32_e32 v52, v69, v69
	v_max_f32_e32 v90, v68, v52
	v_sub_f32_e32 v52, v62, v90
	v_mul_f32_e32 v52, 0x3fb8aa3b, v52
	v_exp_f32_e32 v68, v52
	v_sub_f32_e32 v52, v63, v90
	v_mul_f32_e32 v52, 0x3fb8aa3b, v52
	v_exp_f32_e32 v69, v52
	global_load_dwordx4 v[62:65], v[50:51], off
	s_nop 0
	global_load_dwordx4 v[50:53], v[50:51], off offset:16
	v_sub_f32_e32 v80, v80, v90
	v_mul_f32_e32 v80, 0x3fb8aa3b, v80
	v_sub_f32_e32 v81, v81, v90
	v_exp_f32_e32 v80, v80
	v_mul_f32_e32 v81, 0x3fb8aa3b, v81
	v_sub_f32_e32 v70, v70, v90
	v_exp_f32_e32 v81, v81
	v_mul_f32_e32 v70, 0x3fb8aa3b, v70
	v_sub_f32_e32 v71, v71, v90
	v_cndmask_b32_e64 v68, 0, v68, s[28:29]
	v_exp_f32_e32 v70, v70
	v_mul_f32_e32 v71, 0x3fb8aa3b, v71
	v_sub_f32_e32 v82, v82, v90
	v_add_f32_e32 v87, 0, v68
	v_cndmask_b32_e64 v69, 0, v69, s[30:31]
	v_exp_f32_e32 v71, v71
	v_mul_f32_e32 v82, 0x3fb8aa3b, v82
	v_sub_f32_e32 v83, v83, v90
	v_add_f32_e32 v87, v87, v69
	;; [unrolled: 5-line block ×10, first 2 shown]
	v_cndmask_b32_e64 v78, 0, v78, s[10:11]
	v_exp_f32_e32 v66, v66
	v_mul_f32_e32 v67, 0x3fb8aa3b, v67
	v_add_f32_e32 v87, v87, v78
	v_cndmask_b32_e64 v79, 0, v79, s[12:13]
	v_exp_f32_e32 v67, v67
	v_add_f32_e32 v87, v87, v79
	v_cndmask_b32_e64 v72, 0, v72, s[6:7]
	v_add_f32_e32 v87, v87, v72
	v_cndmask_b32_e64 v73, 0, v73, s[8:9]
	v_add_f32_e32 v87, v87, v73
	v_cndmask_b32_e32 v66, 0, v66, vcc
	v_add_f32_e32 v87, v87, v66
	v_cndmask_b32_e64 v67, 0, v67, s[4:5]
	v_add_f32_e32 v87, v87, v67
	ds_bpermute_b32 v75, v75, v87
	v_cmp_gt_u32_e32 vcc, 16, v74
	s_waitcnt lgkmcnt(0)
	s_barrier
	v_add_f32_e32 v91, v87, v75
	ds_bpermute_b32 v92, v86, v91
	s_and_saveexec_b64 s[4:5], vcc
	s_cbranch_execz .LBB683_13
; %bb.12:
	s_waitcnt lgkmcnt(0)
	v_add_f32_e32 v74, v91, v92
	v_lshlrev_b32_e32 v1, 2, v1
	ds_write2st64_b32 v1, v90, v74 offset1:1
.LBB683_13:
	s_or_b64 exec, exec, s[4:5]
	v_and_b32_e32 v1, 15, v0
	v_lshlrev_b32_e32 v1, 2, v1
	s_load_dword s6, s[0:1], 0x94
	s_waitcnt lgkmcnt(0)
	s_barrier
	ds_read2_b32 v[88:89], v1 offset1:16
	ds_read2_b32 v[90:91], v1 offset0:32 offset1:48
	ds_read2_b32 v[92:93], v1 offset0:64 offset1:80
	s_movk_i32 s8, 0x7fff
	s_mov_b32 s9, 0x7060302
	s_waitcnt lgkmcnt(2)
	v_max3_f32 v74, v88, s40, v89
	s_waitcnt lgkmcnt(1)
	v_max3_f32 v87, v74, v90, v91
	v_sub_f32_e32 v74, v88, v87
	v_mul_f32_e32 v74, 0x3fb8aa3b, v74
	v_exp_f32_e32 v86, v74
	v_sub_f32_e32 v74, v89, v87
	v_mul_f32_e32 v74, 0x3fb8aa3b, v74
	v_exp_f32_e32 v88, v74
	;; [unrolled: 3-line block ×3, first 2 shown]
	ds_read2_b32 v[74:75], v1 offset0:96 offset1:112
	v_sub_f32_e32 v1, v91, v87
	v_mul_f32_e32 v1, 0x3fb8aa3b, v1
	v_exp_f32_e32 v1, v1
	s_waitcnt lgkmcnt(1)
	v_fma_f32 v89, v86, v92, 0
	v_fmac_f32_e32 v89, v88, v93
	s_waitcnt lgkmcnt(0)
	v_fmac_f32_e32 v89, v90, v74
	v_fmac_f32_e32 v89, v1, v75
	v_add_f32_e32 v74, 0x358637bd, v89
	v_div_scale_f32 v75, s[4:5], v74, v74, 1.0
	v_rcp_f32_e32 v91, v75
	s_barrier
	v_fma_f32 v92, -v75, v91, 1.0
	v_fmac_f32_e32 v91, v92, v91
	v_div_scale_f32 v92, vcc, 1.0, v74, 1.0
	v_mul_f32_e32 v93, v92, v91
	v_fma_f32 v95, -v75, v93, v92
	v_fmac_f32_e32 v93, v95, v91
	v_fma_f32 v75, -v75, v93, v92
	v_div_fmas_f32 v75, v75, v91, v93
	v_cmp_eq_u32_e32 vcc, 1, v94
	v_div_fixup_f32 v74, v75, v74, 1.0
	s_lshl_b32 s7, s33, 4
	v_cndmask_b32_e32 v75, v86, v88, vcc
	v_cmp_eq_u32_e32 vcc, 2, v94
	s_nop 1
	v_cndmask_b32_e32 v75, v75, v90, vcc
	v_cmp_eq_u32_e32 vcc, 3, v94
	s_nop 1
	v_cndmask_b32_e32 v1, v75, v1, vcc
	v_mul_f32_e32 v74, v1, v74
	v_pk_mul_f32 v[68:69], v[74:75], v[68:69] op_sel_hi:[0,1]
	v_pk_mul_f32 v[80:81], v[74:75], v[80:81] op_sel_hi:[0,1]
	v_bfe_u32 v1, v69, 16, 1
	v_add3_u32 v1, v69, v1, s8
	v_bfe_u32 v69, v80, 16, 1
	v_add3_u32 v69, v80, v69, s8
	scratch_load_dword v80, off, off offset:8 ; 4-byte Folded Reload
	v_bfe_u32 v75, v68, 16, 1
	v_add3_u32 v68, v68, v75, s8
	v_perm_b32 v68, v1, v68, s9
	v_bfe_u32 v1, v81, 16, 1
	v_add3_u32 v1, v81, v1, s8
	v_lshlrev_b32_e32 v75, 11, v94
	v_perm_b32 v69, v1, v69, s9
	v_lshlrev_b32_e32 v1, 3, v84
	v_pk_mul_f32 v[70:71], v[74:75], v[70:71] op_sel_hi:[0,1]
	v_pk_mul_f32 v[82:83], v[74:75], v[82:83] op_sel_hi:[0,1]
	v_cmp_gt_u32_e32 vcc, 16, v0
	s_waitcnt vmcnt(0)
	v_or3_b32 v80, v75, v80, v1
	v_bfe_u32 v1, v71, 16, 1
	v_bfe_u32 v75, v70, 16, 1
	v_add3_u32 v70, v70, v75, s8
	v_add3_u32 v1, v71, v1, s8
	v_perm_b32 v70, v1, v70, s9
	v_bfe_u32 v1, v83, 16, 1
	v_bfe_u32 v71, v82, 16, 1
	v_add3_u32 v71, v82, v71, s8
	v_add3_u32 v1, v83, v1, s8
	v_perm_b32 v71, v1, v71, s9
	ds_write2st64_b64 v80, v[68:69], v[70:71] offset1:1
	v_pk_mul_f32 v[70:71], v[74:75], v[76:77] op_sel_hi:[0,1]
	v_pk_mul_f32 v[68:69], v[74:75], v[78:79] op_sel_hi:[0,1]
	v_bfe_u32 v1, v71, 16, 1
	v_bfe_u32 v75, v70, 16, 1
	v_add3_u32 v70, v70, v75, s8
	v_add3_u32 v1, v71, v1, s8
	v_perm_b32 v70, v1, v70, s9
	v_bfe_u32 v1, v69, 16, 1
	v_bfe_u32 v71, v68, 16, 1
	v_add3_u32 v68, v68, v71, s8
	v_add3_u32 v1, v69, v1, s8
	v_perm_b32 v71, v1, v68, s9
	v_pk_mul_f32 v[68:69], v[74:75], v[72:73] op_sel_hi:[0,1]
	v_bfe_u32 v1, v69, 16, 1
	v_bfe_u32 v72, v68, 16, 1
	v_pk_mul_f32 v[66:67], v[74:75], v[66:67] op_sel_hi:[0,1]
	v_add3_u32 v68, v68, v72, s8
	v_add3_u32 v1, v69, v1, s8
	v_perm_b32 v68, v1, v68, s9
	v_bfe_u32 v1, v67, 16, 1
	v_bfe_u32 v69, v66, 16, 1
	v_add3_u32 v66, v66, v69, s8
	v_add3_u32 v1, v67, v1, s8
	v_perm_b32 v69, v1, v66, s9
	ds_write2st64_b64 v80, v[70:71], v[68:69] offset0:2 offset1:3
	s_and_saveexec_b64 s[4:5], vcc
	s_cbranch_execz .LBB683_15
; %bb.14:
	v_or_b32_e32 v66, s27, v0
	v_mov_b32_e32 v67, 0
	v_mov_b32_e32 v1, s7
	v_mad_u64_u32 v[68:69], s[10:11], s2, v1, v[66:67]
	v_mov_b32_e32 v66, s26
	s_load_dwordx4 s[12:15], s[0:1], 0x58
	s_mul_i32 s3, s3, s7
	v_mad_u64_u32 v[66:67], s[10:11], v68, s6, v[66:67]
	v_add_u32_e32 v1, s3, v69
	v_mov_b32_e32 v68, v67
	v_mad_u64_u32 v[68:69], s[10:11], v1, s6, v[68:69]
	v_mov_b32_e32 v67, v68
	v_lshlrev_b64 v[66:67], 2, v[66:67]
	s_waitcnt lgkmcnt(0)
	v_lshl_add_u64 v[68:69], s[14:15], 0, v[66:67]
	v_lshl_add_u64 v[66:67], s[12:13], 0, v[66:67]
	global_store_dword v[68:69], v87, off
	global_store_dword v[66:67], v89, off
.LBB683_15:
	s_or_b64 exec, exec, s[4:5]
	s_waitcnt lgkmcnt(0)
	s_barrier
	ds_read_b128 v[70:73], v85
	ds_read_b128 v[66:69], v85 offset:16
	s_waitcnt lgkmcnt(1)
	v_mfma_f32_16x16x16_bf16 v[76:79], v[30:31], v[70:71], 0
	s_mov_b32 s3, 0
	v_cmp_gt_u32_e32 vcc, 64, v0
	v_mfma_f32_16x16x16_bf16 v[30:33], v[32:33], v[72:73], v[76:79]
	s_waitcnt lgkmcnt(0)
	v_mfma_f32_16x16x16_bf16 v[30:33], v[26:27], v[66:67], v[30:33]
	v_mfma_f32_16x16x16_bf16 v[26:29], v[28:29], v[68:69], v[30:33]
	s_nop 5
	ds_read_b128 v[30:33], v85 offset:2048
	ds_read_b128 v[76:79], v85 offset:2064
	s_waitcnt lgkmcnt(1)
	v_mfma_f32_16x16x16_bf16 v[26:29], v[22:23], v[30:31], v[26:29]
	v_mfma_f32_16x16x16_bf16 v[22:25], v[24:25], v[32:33], v[26:29]
	s_waitcnt lgkmcnt(0)
	v_mfma_f32_16x16x16_bf16 v[22:25], v[18:19], v[76:77], v[22:25]
	v_mfma_f32_16x16x16_bf16 v[18:21], v[20:21], v[78:79], v[22:25]
	s_nop 5
	ds_read_b128 v[22:25], v85 offset:4096
	ds_read_b128 v[26:29], v85 offset:4112
	s_waitcnt lgkmcnt(1)
	v_mfma_f32_16x16x16_bf16 v[18:21], v[14:15], v[22:23], v[18:21]
	v_mfma_f32_16x16x16_bf16 v[14:17], v[16:17], v[24:25], v[18:21]
	s_waitcnt lgkmcnt(0)
	v_mfma_f32_16x16x16_bf16 v[14:17], v[10:11], v[26:27], v[14:17]
	v_mfma_f32_16x16x16_bf16 v[10:13], v[12:13], v[28:29], v[14:17]
	s_nop 5
	ds_read_b128 v[14:17], v85 offset:6144
	ds_read_b128 v[18:21], v85 offset:6160
	s_waitcnt lgkmcnt(0)
	s_barrier
	v_mfma_f32_16x16x16_bf16 v[10:13], v[6:7], v[14:15], v[10:13]
	v_mfma_f32_16x16x16_bf16 v[6:9], v[8:9], v[16:17], v[10:13]
	v_mfma_f32_16x16x16_bf16 v[6:9], v[2:3], v[18:19], v[6:9]
	v_mfma_f32_16x16x16_bf16 v[2:5], v[4:5], v[20:21], v[6:9]
	v_mfma_f32_16x16x16_bf16 v[6:9], v[46:47], v[70:71], 0
	v_mfma_f32_16x16x16_bf16 v[6:9], v[48:49], v[72:73], v[6:9]
	s_nop 4
	v_bfe_u32 v1, v3, 16, 1
	v_bfe_u32 v10, v2, 16, 1
	v_add3_u32 v2, v2, v10, s8
	v_mfma_f32_16x16x16_bf16 v[6:9], v[38:39], v[66:67], v[6:9]
	v_add3_u32 v1, v3, v1, s8
	v_perm_b32 v10, v1, v2, s9
	v_bfe_u32 v1, v5, 16, 1
	v_mfma_f32_16x16x16_bf16 v[6:9], v[40:41], v[68:69], v[6:9]
	v_bfe_u32 v2, v4, 16, 1
	v_add3_u32 v2, v4, v2, s8
	v_add3_u32 v1, v5, v1, s8
	v_mfma_f32_16x16x16_bf16 v[6:9], v[42:43], v[30:31], v[6:9]
	v_perm_b32 v11, v1, v2, s9
	v_mfma_f32_16x16x16_bf16 v[6:9], v[44:45], v[32:33], v[6:9]
	v_mfma_f32_16x16x16_bf16 v[6:9], v[34:35], v[76:77], v[6:9]
	;; [unrolled: 1-line block ×11, first 2 shown]
	s_nop 6
	v_bfe_u32 v1, v3, 16, 1
	v_bfe_u32 v6, v2, 16, 1
	v_add3_u32 v2, v2, v6, s8
	v_add3_u32 v1, v3, v1, s8
	v_perm_b32 v2, v1, v2, s9
	v_bfe_u32 v1, v5, 16, 1
	v_bfe_u32 v3, v4, 16, 1
	v_add3_u32 v3, v4, v3, s8
	v_add3_u32 v1, v5, v1, s8
	v_perm_b32 v3, v1, v3, s9
	ds_write2st64_b64 v80, v[10:11], v[2:3] offset1:1
	s_waitcnt lgkmcnt(0)
	s_barrier
	s_and_saveexec_b64 s[4:5], vcc
	s_cbranch_execz .LBB683_17
; %bb.16:
	v_and_b32_e32 v3, 15, v0
	v_lshlrev_b32_e32 v3, 6, v3
	v_lshlrev_b32_e32 v2, 4, v0
	v_lshl_or_b32 v0, v0, 10, v3
	v_lshlrev_b32_e32 v1, 5, v84
	v_and_b32_e32 v2, 16, v2
	v_and_b32_e32 v0, 0x1a00, v0
	v_or3_b32 v12, v0, v1, v2
	ds_read_b128 v[0:3], v12
	ds_read_b128 v[4:7], v12 offset:128
	ds_read_b128 v[8:11], v12 offset:256
	;; [unrolled: 1-line block ×3, first 2 shown]
	scratch_load_dwordx2 v[16:17], off, off ; 8-byte Folded Reload
	s_load_dwordx2 s[0:1], s[0:1], 0x68
	s_lshl_b32 s6, s6, 7
	s_mul_i32 s2, s7, s2
	s_mul_hi_u32 s5, s2, s6
	s_mul_i32 s4, s2, s6
	s_lshl_b64 s[4:5], s[4:5], 1
	s_waitcnt lgkmcnt(0)
	s_add_u32 s4, s0, s4
	s_addc_u32 s5, s1, s5
	s_lshl_b32 s2, s26, 7
	s_lshl_b64 s[0:1], s[2:3], 1
	s_add_u32 s0, s4, s0
	s_addc_u32 s1, s5, s1
	s_waitcnt vmcnt(0)
	v_mov_b32_e32 v17, 0
	v_or_b32_e32 v20, s27, v84
	v_lshl_add_u64 v[16:17], s[0:1], 0, v[16:17]
	v_mad_u64_u32 v[18:19], s[0:1], v20, s6, 0
	v_lshl_add_u64 v[18:19], v[18:19], 1, v[16:17]
	global_store_dwordx4 v[18:19], v[0:3], off
	s_nop 1
	v_or_b32_e32 v0, 4, v20
	v_mad_u64_u32 v[0:1], s[0:1], v0, s6, 0
	v_lshl_add_u64 v[0:1], v[0:1], 1, v[16:17]
	global_store_dwordx4 v[0:1], v[4:7], off
	v_or_b32_e32 v0, 8, v20
	v_mad_u64_u32 v[0:1], s[0:1], v0, s6, 0
	v_lshl_add_u64 v[0:1], v[0:1], 1, v[16:17]
	global_store_dwordx4 v[0:1], v[8:11], off
	;; [unrolled: 4-line block ×3, first 2 shown]
.LBB683_17:
	s_endpgm
	.section	.rodata,"a",@progbits
	.p2align	6, 0x0
	.amdhsa_kernel _Z39paged_attention_ll4mi_QKV_mfma16_kernelI14__hip_bfloat16S0_LN4vllm18Fp8KVCacheDataTypeE0ES0_Li16ELi128ELi256ELb0ELi16EEvPKT_PKT0_S8_ifPKiSA_SA_iPKfiiiPfSD_PS3_PT2_iSC_SC_
		.amdhsa_group_segment_fixed_size 8192
		.amdhsa_private_segment_fixed_size 16
		.amdhsa_kernarg_size 400
		.amdhsa_user_sgpr_count 2
		.amdhsa_user_sgpr_dispatch_ptr 0
		.amdhsa_user_sgpr_queue_ptr 0
		.amdhsa_user_sgpr_kernarg_segment_ptr 1
		.amdhsa_user_sgpr_dispatch_id 0
		.amdhsa_user_sgpr_kernarg_preload_length 0
		.amdhsa_user_sgpr_kernarg_preload_offset 0
		.amdhsa_user_sgpr_private_segment_size 0
		.amdhsa_uses_dynamic_stack 0
		.amdhsa_enable_private_segment 1
		.amdhsa_system_sgpr_workgroup_id_x 1
		.amdhsa_system_sgpr_workgroup_id_y 1
		.amdhsa_system_sgpr_workgroup_id_z 1
		.amdhsa_system_sgpr_workgroup_info 0
		.amdhsa_system_vgpr_workitem_id 0
		.amdhsa_next_free_vgpr 96
		.amdhsa_next_free_sgpr 41
		.amdhsa_accum_offset 96
		.amdhsa_reserve_vcc 1
		.amdhsa_float_round_mode_32 0
		.amdhsa_float_round_mode_16_64 0
		.amdhsa_float_denorm_mode_32 3
		.amdhsa_float_denorm_mode_16_64 3
		.amdhsa_dx10_clamp 1
		.amdhsa_ieee_mode 1
		.amdhsa_fp16_overflow 0
		.amdhsa_tg_split 0
		.amdhsa_exception_fp_ieee_invalid_op 0
		.amdhsa_exception_fp_denorm_src 0
		.amdhsa_exception_fp_ieee_div_zero 0
		.amdhsa_exception_fp_ieee_overflow 0
		.amdhsa_exception_fp_ieee_underflow 0
		.amdhsa_exception_fp_ieee_inexact 0
		.amdhsa_exception_int_div_zero 0
	.end_amdhsa_kernel
	.section	.text._Z39paged_attention_ll4mi_QKV_mfma16_kernelI14__hip_bfloat16S0_LN4vllm18Fp8KVCacheDataTypeE0ES0_Li16ELi128ELi256ELb0ELi16EEvPKT_PKT0_S8_ifPKiSA_SA_iPKfiiiPfSD_PS3_PT2_iSC_SC_,"axG",@progbits,_Z39paged_attention_ll4mi_QKV_mfma16_kernelI14__hip_bfloat16S0_LN4vllm18Fp8KVCacheDataTypeE0ES0_Li16ELi128ELi256ELb0ELi16EEvPKT_PKT0_S8_ifPKiSA_SA_iPKfiiiPfSD_PS3_PT2_iSC_SC_,comdat
.Lfunc_end683:
	.size	_Z39paged_attention_ll4mi_QKV_mfma16_kernelI14__hip_bfloat16S0_LN4vllm18Fp8KVCacheDataTypeE0ES0_Li16ELi128ELi256ELb0ELi16EEvPKT_PKT0_S8_ifPKiSA_SA_iPKfiiiPfSD_PS3_PT2_iSC_SC_, .Lfunc_end683-_Z39paged_attention_ll4mi_QKV_mfma16_kernelI14__hip_bfloat16S0_LN4vllm18Fp8KVCacheDataTypeE0ES0_Li16ELi128ELi256ELb0ELi16EEvPKT_PKT0_S8_ifPKiSA_SA_iPKfiiiPfSD_PS3_PT2_iSC_SC_
                                        ; -- End function
	.section	.AMDGPU.csdata,"",@progbits
; Kernel info:
; codeLenInByte = 4736
; NumSgprs: 47
; NumVgprs: 96
; NumAgprs: 0
; TotalNumVgprs: 96
; ScratchSize: 16
; MemoryBound: 0
; FloatMode: 240
; IeeeMode: 1
; LDSByteSize: 8192 bytes/workgroup (compile time only)
; SGPRBlocks: 5
; VGPRBlocks: 11
; NumSGPRsForWavesPerEU: 47
; NumVGPRsForWavesPerEU: 96
; AccumOffset: 96
; Occupancy: 5
; WaveLimiterHint : 1
; COMPUTE_PGM_RSRC2:SCRATCH_EN: 1
; COMPUTE_PGM_RSRC2:USER_SGPR: 2
; COMPUTE_PGM_RSRC2:TRAP_HANDLER: 0
; COMPUTE_PGM_RSRC2:TGID_X_EN: 1
; COMPUTE_PGM_RSRC2:TGID_Y_EN: 1
; COMPUTE_PGM_RSRC2:TGID_Z_EN: 1
; COMPUTE_PGM_RSRC2:TIDIG_COMP_CNT: 0
; COMPUTE_PGM_RSRC3_GFX90A:ACCUM_OFFSET: 23
; COMPUTE_PGM_RSRC3_GFX90A:TG_SPLIT: 0
	.section	.text._Z39paged_attention_ll4mi_QKV_mfma16_kernelI14__hip_bfloat16S0_LN4vllm18Fp8KVCacheDataTypeE0ES0_Li16ELi128ELi256ELb0ELi1EEvPKT_PKT0_S8_ifPKiSA_SA_iPKfiiiPfSD_PS3_PT2_iSC_SC_,"axG",@progbits,_Z39paged_attention_ll4mi_QKV_mfma16_kernelI14__hip_bfloat16S0_LN4vllm18Fp8KVCacheDataTypeE0ES0_Li16ELi128ELi256ELb0ELi1EEvPKT_PKT0_S8_ifPKiSA_SA_iPKfiiiPfSD_PS3_PT2_iSC_SC_,comdat
	.protected	_Z39paged_attention_ll4mi_QKV_mfma16_kernelI14__hip_bfloat16S0_LN4vllm18Fp8KVCacheDataTypeE0ES0_Li16ELi128ELi256ELb0ELi1EEvPKT_PKT0_S8_ifPKiSA_SA_iPKfiiiPfSD_PS3_PT2_iSC_SC_ ; -- Begin function _Z39paged_attention_ll4mi_QKV_mfma16_kernelI14__hip_bfloat16S0_LN4vllm18Fp8KVCacheDataTypeE0ES0_Li16ELi128ELi256ELb0ELi1EEvPKT_PKT0_S8_ifPKiSA_SA_iPKfiiiPfSD_PS3_PT2_iSC_SC_
	.globl	_Z39paged_attention_ll4mi_QKV_mfma16_kernelI14__hip_bfloat16S0_LN4vllm18Fp8KVCacheDataTypeE0ES0_Li16ELi128ELi256ELb0ELi1EEvPKT_PKT0_S8_ifPKiSA_SA_iPKfiiiPfSD_PS3_PT2_iSC_SC_
	.p2align	8
	.type	_Z39paged_attention_ll4mi_QKV_mfma16_kernelI14__hip_bfloat16S0_LN4vllm18Fp8KVCacheDataTypeE0ES0_Li16ELi128ELi256ELb0ELi1EEvPKT_PKT0_S8_ifPKiSA_SA_iPKfiiiPfSD_PS3_PT2_iSC_SC_,@function
_Z39paged_attention_ll4mi_QKV_mfma16_kernelI14__hip_bfloat16S0_LN4vllm18Fp8KVCacheDataTypeE0ES0_Li16ELi128ELi256ELb0ELi1EEvPKT_PKT0_S8_ifPKiSA_SA_iPKfiiiPfSD_PS3_PT2_iSC_SC_: ; @_Z39paged_attention_ll4mi_QKV_mfma16_kernelI14__hip_bfloat16S0_LN4vllm18Fp8KVCacheDataTypeE0ES0_Li16ELi128ELi256ELb0ELi1EEvPKT_PKT0_S8_ifPKiSA_SA_iPKfiiiPfSD_PS3_PT2_iSC_SC_
; %bb.0:
	s_load_dwordx2 s[8:9], s[0:1], 0x30
	s_mov_b32 s5, s3
	s_mov_b64 s[6:7], 0
	s_waitcnt lgkmcnt(0)
	s_cmp_lg_u64 s[8:9], 0
	s_cselect_b64 s[10:11], -1, 0
	s_and_b64 vcc, exec, s[10:11]
	s_cbranch_vccz .LBB684_7
; %bb.1:
	s_add_i32 s12, s2, 1
	s_mov_b32 s13, 0
	s_lshl_b64 s[14:15], s[12:13], 2
	s_add_u32 s14, s8, s14
	s_mov_b32 s3, s13
	s_addc_u32 s15, s9, s15
	s_lshl_b64 s[12:13], s[2:3], 2
	s_add_u32 s12, s8, s12
	s_addc_u32 s13, s9, s13
	s_load_dword s16, s[14:15], 0x0
	s_load_dword s17, s[12:13], 0x0
	s_waitcnt lgkmcnt(0)
	s_sub_i32 s12, s16, s17
	s_cmp_eq_u32 s12, 1
	s_cselect_b64 s[12:13], -1, 0
	s_andn2_b64 vcc, exec, s[6:7]
	s_cbranch_vccnz .LBB684_3
.LBB684_2:
	s_mov_b32 s3, 0
	s_mov_b64 s[12:13], -1
.LBB684_3:
	s_andn2_b64 vcc, exec, s[12:13]
	s_cbranch_vccnz .LBB684_17
; %bb.4:
	s_load_dwordx2 s[6:7], s[0:1], 0x28
	s_lshl_b64 s[16:17], s[2:3], 2
	s_waitcnt lgkmcnt(0)
	s_add_u32 s6, s6, s16
	s_addc_u32 s7, s7, s17
	s_load_dword s26, s[6:7], 0x0
	s_lshl_b32 s18, s5, 8
	s_waitcnt lgkmcnt(0)
	s_cmp_ge_i32 s18, s26
	s_cbranch_scc1 .LBB684_17
; %bb.5:
	s_load_dwordx2 s[6:7], s[0:1], 0x20
	s_load_dword s12, s[0:1], 0x38
	s_add_i32 s13, s26, 15
	s_ashr_i32 s14, s13, 31
	v_and_b32_e32 v1, 0xcf, v0
	s_lshr_b32 s14, s14, 28
	v_add_u32_e32 v1, s18, v1
	s_add_i32 s13, s13, s14
	v_ashrrev_i32_e32 v2, 31, v1
	s_ashr_i32 s19, s13, 4
	v_lshrrev_b32_e32 v4, 28, v2
	s_add_i32 s19, s19, -1
	s_waitcnt lgkmcnt(0)
	s_mul_i32 s12, s2, s12
	s_mov_b32 s13, 0
	v_add_u32_e32 v2, v1, v4
	s_lshl_b64 s[12:13], s[12:13], 2
	v_ashrrev_i32_e32 v2, 4, v2
	v_mov_b32_e32 v5, s19
	v_cmp_gt_i32_e32 vcc, s26, v1
	s_add_u32 s6, s6, s12
	s_addc_u32 s7, s7, s13
	v_cndmask_b32_e32 v2, v5, v2, vcc
	v_ashrrev_i32_e32 v3, 31, v2
	v_lshl_add_u64 v[6:7], v[2:3], 2, s[6:7]
	v_or_b32_e32 v2, 16, v1
	v_add_u32_e32 v3, v2, v4
	v_ashrrev_i32_e32 v3, 4, v3
	v_cmp_gt_i32_e32 vcc, s26, v2
	s_load_dwordx4 s[12:15], s[0:1], 0x8
	s_nop 0
	v_cndmask_b32_e32 v2, v5, v3, vcc
	v_ashrrev_i32_e32 v3, 31, v2
	v_lshl_add_u64 v[8:9], v[2:3], 2, s[6:7]
	v_or_b32_e32 v2, 32, v1
	v_add_u32_e32 v3, v2, v4
	v_ashrrev_i32_e32 v3, 4, v3
	v_cmp_gt_i32_e32 vcc, s26, v2
	v_or_b32_e32 v1, 48, v1
	s_nop 0
	v_cndmask_b32_e32 v2, v5, v3, vcc
	v_ashrrev_i32_e32 v3, 31, v2
	v_lshl_add_u64 v[10:11], v[2:3], 2, s[6:7]
	v_add_u32_e32 v2, v1, v4
	v_ashrrev_i32_e32 v2, 4, v2
	v_cmp_gt_i32_e32 vcc, s26, v1
	s_nop 1
	v_cndmask_b32_e32 v2, v5, v2, vcc
	v_ashrrev_i32_e32 v3, 31, v2
	v_lshl_add_u64 v[12:13], v[2:3], 2, s[6:7]
	global_load_dword v4, v[6:7], off
	global_load_dword v3, v[8:9], off
	;; [unrolled: 1-line block ×4, first 2 shown]
	s_andn2_b64 vcc, exec, s[10:11]
	s_cbranch_vccnz .LBB684_8
; %bb.6:
	s_add_u32 s8, s8, s16
	s_addc_u32 s9, s9, s17
	s_load_dword s20, s[8:9], 0x0
	s_branch .LBB684_9
.LBB684_7:
	s_mov_b64 s[12:13], 0
	s_branch .LBB684_2
.LBB684_8:
	s_mov_b32 s20, s2
.LBB684_9:
	s_load_dwordx4 s[8:11], s[0:1], 0x48
	v_lshrrev_b32_e32 v87, 6, v0
	v_bfe_u32 v84, v0, 4, 2
	v_and_b32_e32 v85, 15, v0
	v_lshl_or_b32 v1, v87, 2, v84
	v_lshlrev_b32_e32 v5, 3, v85
	v_and_b32_e32 v88, 63, v0
	v_cmp_eq_u32_e32 vcc, 0, v1
	v_lshlrev_b32_e32 v1, 1, v5
	scratch_store_dword off, v1, off        ; 4-byte Folded Spill
	s_and_saveexec_b64 s[16:17], vcc
	s_cbranch_execz .LBB684_11
; %bb.10:
	scratch_load_dword v1, off, off         ; 4-byte Folded Reload
	s_load_dwordx2 s[22:23], s[0:1], 0x0
	s_waitcnt lgkmcnt(0)
	s_ashr_i32 s11, s8, 31
	s_mul_hi_u32 s21, s20, s8
	s_mul_i32 s11, s20, s11
	s_add_i32 s21, s21, s11
	s_mul_i32 s20, s20, s8
	s_lshl_b64 s[20:21], s[20:21], 1
	s_add_u32 s8, s22, s20
	s_addc_u32 s11, s23, s21
	s_lshl_b32 s20, s4, 7
	s_ashr_i32 s21, s20, 31
	s_lshl_b64 s[20:21], s[20:21], 1
	s_add_u32 s20, s8, s20
	s_addc_u32 s21, s11, s21
	v_and_b32_e32 v5, 3, v0
	v_lshlrev_b32_e32 v10, 9, v85
	v_lshlrev_b32_e32 v5, 9, v5
	s_movk_i32 s8, 0x1800
	v_and_or_b32 v5, v10, s8, v5
	s_waitcnt vmcnt(0)
	global_load_dwordx4 v[6:9], v1, s[20:21]
	s_waitcnt vmcnt(0)
	ds_write_b128 v5, v[6:9]
.LBB684_11:
	s_or_b64 exec, exec, s[16:17]
	s_waitcnt lgkmcnt(0)
	s_mul_i32 s10, s4, s10
	s_mov_b32 s11, 0
	s_lshl_b64 s[10:11], s[10:11], 1
	s_add_u32 s12, s12, s10
	v_lshlrev_b32_e32 v1, 4, v0
	s_addc_u32 s13, s13, s11
	v_and_b32_e32 v66, 0xf0, v1
	v_mov_b32_e32 v67, 0
	v_lshl_add_u64 v[30:31], s[12:13], 0, v[66:67]
	s_waitcnt vmcnt(4)
	v_mad_i64_i32 v[4:5], s[12:13], v4, s9, 0
	v_lshl_add_u64 v[4:5], v[4:5], 1, v[30:31]
	v_and_b32_e32 v66, 0x300, v1
	v_lshl_add_u64 v[32:33], v[4:5], 0, v[66:67]
	s_waitcnt vmcnt(3)
	v_mad_i64_i32 v[4:5], s[12:13], v3, s9, 0
	s_barrier
	global_load_dwordx4 v[10:13], v[32:33], off
	v_lshl_add_u64 v[4:5], v[4:5], 1, v[30:31]
	v_lshl_add_u64 v[42:43], v[4:5], 0, v[66:67]
	global_load_dwordx4 v[14:17], v[42:43], off
	s_waitcnt vmcnt(4)
	v_mad_i64_i32 v[2:3], s[12:13], v2, s9, 0
	v_lshl_add_u64 v[2:3], v[2:3], 1, v[30:31]
	v_lshl_add_u64 v[44:45], v[2:3], 0, v[66:67]
	global_load_dwordx4 v[26:29], v[44:45], off
	global_load_dwordx4 v[22:25], v[32:33], off offset:1024
	global_load_dwordx4 v[18:21], v[42:43], off offset:1024
	;; [unrolled: 1-line block ×6, first 2 shown]
	v_lshlrev_b32_e32 v35, 9, v84
	ds_read_b128 v[6:9], v35
	ds_read_b128 v[2:5], v35 offset:2048
	v_and_or_b32 v74, v0, 48, s18
	v_mov_b32_e32 v76, s19
	v_or_b32_e32 v75, 64, v74
	v_cmp_gt_i32_e32 vcc, s26, v74
	s_waitcnt vmcnt(10)
	v_mad_i64_i32 v[72:73], s[12:13], v34, s9, 0
	v_or_b32_e32 v77, 0x80, v74
	v_or_b32_e32 v78, 0xc0, v74
	v_lshl_or_b32 v89, v87, 4, v85
	s_add_u32 s10, s14, s10
	s_addc_u32 s11, s15, s11
	s_mov_b32 s33, 0xff7fffff
	s_waitcnt vmcnt(6) lgkmcnt(1)
	v_mfma_f32_16x16x16_bf16 v[58:61], v[26:27], v[6:7], 0
	v_mfma_f32_16x16x16_bf16 v[36:39], v[10:11], v[6:7], 0
	;; [unrolled: 1-line block ×4, first 2 shown]
	s_nop 4
	ds_read_b128 v[38:41], v35 offset:4096
	ds_read_b128 v[34:37], v35 offset:6144
	v_mfma_f32_16x16x16_bf16 v[14:17], v[16:17], v[8:9], v[50:53]
	s_waitcnt vmcnt(5) lgkmcnt(2)
	v_mfma_f32_16x16x16_bf16 v[10:13], v[22:23], v[2:3], v[10:13]
	s_nop 0
	global_load_dwordx4 v[50:53], v[32:33], off offset:3072
	v_ashrrev_i32_e32 v22, 4, v75
	v_mfma_f32_16x16x16_bf16 v[26:29], v[28:29], v[8:9], v[58:61]
	s_nop 2
	v_ashrrev_i32_e32 v58, 4, v74
	s_waitcnt vmcnt(5)
	v_mfma_f32_16x16x16_bf16 v[14:17], v[18:19], v[2:3], v[14:17]
	v_cndmask_b32_e32 v18, v76, v58, vcc
	global_load_dwordx4 v[58:61], v[42:43], off offset:3072
	v_cmp_gt_i32_e32 vcc, s26, v75
	v_ashrrev_i32_e32 v32, 4, v77
	v_mfma_f32_16x16x16_bf16 v[10:13], v[24:25], v[4:5], v[10:13]
	v_cndmask_b32_e32 v22, v76, v22, vcc
	v_cmp_gt_i32_e32 vcc, s26, v77
	global_load_dwordx4 v[42:45], v[44:45], off offset:3072
	s_waitcnt vmcnt(5)
	v_mfma_f32_16x16x16_bf16 v[26:29], v[46:47], v[2:3], v[26:29]
	v_cndmask_b32_e32 v24, v76, v32, vcc
	v_ashrrev_i32_e32 v19, 31, v18
	v_ashrrev_i32_e32 v25, 31, v24
	v_lshl_add_u64 v[18:19], v[18:19], 2, s[6:7]
	v_ashrrev_i32_e32 v23, 31, v22
	v_lshl_add_u64 v[24:25], v[24:25], 2, s[6:7]
	global_load_dword v33, v[18:19], off
	global_load_dword v83, v[24:25], off
	v_lshl_add_u64 v[18:19], v[22:23], 2, s[6:7]
	v_lshl_add_u64 v[22:23], v[72:73], 1, v[30:31]
	;; [unrolled: 1-line block ×3, first 2 shown]
	v_mfma_f32_16x16x16_bf16 v[14:17], v[20:21], v[4:5], v[14:17]
	global_load_dword v82, v[18:19], off
	global_load_dwordx4 v[72:75], v[22:23], off offset:1024
	v_cmp_gt_i32_e32 vcc, s26, v78
	v_mfma_f32_16x16x16_bf16 v[18:21], v[48:49], v[4:5], v[26:29]
	global_load_dwordx4 v[46:49], v[22:23], off
	v_lshlrev_b32_e32 v66, 5, v89
	s_waitcnt lgkmcnt(1)
	v_mfma_f32_16x16x16_bf16 v[10:13], v[54:55], v[38:39], v[10:13]
	v_ashrrev_i32_e32 v26, 4, v78
	v_cndmask_b32_e32 v24, v76, v26, vcc
	v_ashrrev_i32_e32 v25, 31, v24
	v_mfma_f32_16x16x16_bf16 v[10:13], v[56:57], v[40:41], v[10:13]
	global_load_dwordx4 v[54:57], v[22:23], off offset:2048
	v_lshl_add_u64 v[24:25], v[24:25], 2, s[6:7]
	global_load_dword v94, v[24:25], off
	s_waitcnt vmcnt(10)
	v_mfma_f32_16x16x16_bf16 v[18:21], v[68:69], v[38:39], v[18:21]
	s_load_dword s6, s[0:1], 0x1c
	v_mfma_f32_16x16x16_bf16 v[18:21], v[70:71], v[40:41], v[18:21]
	global_load_dwordx4 v[68:71], v[22:23], off offset:3072
	s_waitcnt vmcnt(7)
	v_mad_i64_i32 v[22:23], s[12:13], v33, s9, 0
	s_waitcnt lgkmcnt(0)
	v_mfma_f32_16x16x16_bf16 v[10:13], v[50:51], v[34:35], v[10:13]
	v_lshlrev_b64 v[80:81], 1, v[22:23]
	v_mfma_f32_16x16x16_bf16 v[18:21], v[42:43], v[34:35], v[18:21]
	v_mfma_f32_16x16x16_bf16 v[76:79], v[52:53], v[36:37], v[10:13]
	s_waitcnt vmcnt(5)
	s_nop 2
	v_mad_i64_i32 v[10:11], s[12:13], v82, s9, 0
	v_mfma_f32_16x16x16_bf16 v[14:17], v[62:63], v[38:39], v[14:17]
	v_lshl_add_u64 v[62:63], s[10:11], 0, v[66:67]
	v_lshlrev_b64 v[42:43], 1, v[10:11]
	v_lshl_add_u64 v[12:13], v[62:63], 0, v[80:81]
	v_lshl_add_u64 v[10:11], v[62:63], 0, v[42:43]
	global_load_dwordx4 v[30:33], v[12:13], off
	global_load_dwordx4 v[26:29], v[12:13], off offset:16
	v_mfma_f32_16x16x16_bf16 v[90:93], v[44:45], v[36:37], v[18:21]
	global_load_dwordx4 v[22:25], v[10:11], off
	s_nop 1
	global_load_dwordx4 v[18:21], v[10:11], off offset:16
	v_or_b32_e32 v66, 0x800, v66
	s_waitcnt vmcnt(7)
	v_mfma_f32_16x16x16_bf16 v[10:13], v[46:47], v[6:7], 0
	v_mad_i64_i32 v[6:7], s[12:13], v83, s9, 0
	v_lshlrev_b64 v[50:51], 1, v[6:7]
	v_mfma_f32_16x16x16_bf16 v[6:9], v[48:49], v[8:9], v[10:13]
	v_mfma_f32_16x16x16_bf16 v[6:9], v[72:73], v[2:3], v[6:9]
	s_waitcnt vmcnt(5)
	v_mad_i64_i32 v[2:3], s[8:9], v94, s9, 0
	v_lshlrev_b64 v[52:53], 1, v[2:3]
	v_mfma_f32_16x16x16_bf16 v[44:47], v[74:75], v[4:5], v[6:9]
	v_lshl_add_u64 v[10:11], v[62:63], 0, v[50:51]
	v_lshl_add_u64 v[2:3], v[62:63], 0, v[52:53]
	v_pk_mul_f32 v[62:63], s[6:7], v[76:77] op_sel_hi:[0,1]
	v_mfma_f32_16x16x16_bf16 v[44:47], v[54:55], v[38:39], v[44:47]
	v_pk_mul_f32 v[76:77], s[6:7], v[90:91] op_sel_hi:[0,1]
	v_mfma_f32_16x16x16_bf16 v[14:17], v[64:65], v[40:41], v[14:17]
	v_lshl_add_u64 v[64:65], s[10:11], 0, v[66:67]
	v_lshl_add_u64 v[54:55], v[64:65], 0, v[80:81]
	v_pk_mul_f32 v[80:81], s[6:7], v[78:79] op_sel_hi:[0,1]
	v_mfma_f32_16x16x16_bf16 v[38:41], v[56:57], v[40:41], v[44:47]
	v_pk_mul_f32 v[78:79], s[6:7], v[92:93] op_sel_hi:[0,1]
	v_lshl_add_u64 v[50:51], v[64:65], 0, v[50:51]
	v_mfma_f32_16x16x16_bf16 v[14:17], v[58:59], v[34:35], v[14:17]
	s_waitcnt vmcnt(4)
	v_mfma_f32_16x16x16_bf16 v[38:41], v[68:69], v[34:35], v[38:41]
	v_mfma_f32_16x16x16_bf16 v[58:61], v[60:61], v[36:37], v[14:17]
	s_nop 3
	global_load_dwordx4 v[14:17], v[10:11], off
	s_nop 0
	global_load_dwordx4 v[10:13], v[10:11], off offset:16
	s_nop 0
	global_load_dwordx4 v[6:9], v[2:3], off
	s_nop 0
	global_load_dwordx4 v[2:5], v[2:3], off offset:16
	v_pk_mul_f32 v[72:73], s[6:7], v[58:59] op_sel_hi:[0,1]
	v_mfma_f32_16x16x16_bf16 v[34:37], v[70:71], v[36:37], v[38:41]
	v_pk_mul_f32 v[82:83], s[6:7], v[60:61] op_sel_hi:[0,1]
	s_nop 5
	v_pk_mul_f32 v[74:75], s[6:7], v[34:35] op_sel_hi:[0,1]
	v_and_b32_e32 v34, 0xc0, v0
	v_add_u32_e32 v34, s18, v34
	v_lshl_or_b32 v34, v84, 2, v34
	v_pk_mul_f32 v[68:69], s[6:7], v[36:37] op_sel_hi:[0,1]
	v_or_b32_e32 v37, 1, v34
	v_mov_b32_e32 v35, 0xff7fffff
	v_cmp_gt_i32_e64 s[28:29], s26, v34
	v_cmp_gt_i32_e64 s[30:31], s26, v37
	v_or_b32_e32 v38, 3, v34
	v_cndmask_b32_e64 v36, v35, v62, s[28:29]
	v_cndmask_b32_e64 v37, v35, v63, s[30:31]
	v_max3_f32 v36, v36, s33, v37
	v_or_b32_e32 v37, 2, v34
	v_cmp_gt_i32_e64 s[34:35], s26, v37
	v_cmp_gt_i32_e64 s[36:37], s26, v38
	s_nop 0
	v_cndmask_b32_e64 v37, v35, v80, s[34:35]
	v_cndmask_b32_e64 v38, v35, v81, s[36:37]
	v_max3_f32 v36, v36, v37, v38
	v_or_b32_e32 v37, 16, v34
	v_or_b32_e32 v38, 17, v34
	v_cmp_gt_i32_e64 s[22:23], s26, v37
	v_cmp_gt_i32_e64 s[24:25], s26, v38
	s_nop 0
	v_cndmask_b32_e64 v37, v35, v72, s[22:23]
	v_cndmask_b32_e64 v38, v35, v73, s[24:25]
	v_max3_f32 v36, v36, v37, v38
	v_or_b32_e32 v37, 18, v34
	;; [unrolled: 8-line block ×6, first 2 shown]
	v_or_b32_e32 v34, 51, v34
	v_cmp_gt_i32_e32 vcc, s26, v37
	v_cmp_gt_i32_e64 s[26:27], s26, v34
	global_load_dwordx4 v[46:49], v[54:55], off
	global_load_dwordx4 v[38:41], v[54:55], off offset:16
	v_cndmask_b32_e32 v37, v35, v68, vcc
	v_cndmask_b32_e64 v34, v35, v69, s[26:27]
	v_max3_f32 v56, v36, v37, v34
	v_mbcnt_lo_u32_b32 v34, -1, 0
	v_mbcnt_hi_u32_b32 v57, -1, v34
	v_and_b32_e32 v34, 64, v57
	v_add_u32_e32 v58, 64, v34
	v_xor_b32_e32 v34, 32, v57
	v_cmp_lt_i32_e64 s[38:39], v34, v58
	s_nop 1
	v_cndmask_b32_e64 v34, v57, v34, s[38:39]
	v_lshlrev_b32_e32 v90, 2, v34
	ds_bpermute_b32 v59, v90, v56
	v_lshl_add_u64 v[34:35], v[64:65], 0, v[42:43]
	global_load_dwordx4 v[42:45], v[34:35], off
	s_nop 0
	global_load_dwordx4 v[34:37], v[34:35], off offset:16
	s_waitcnt lgkmcnt(0)
	v_max_f32_e32 v54, v59, v59
	v_max_f32_e32 v66, v56, v54
	v_xor_b32_e32 v54, 16, v57
	v_cmp_lt_i32_e64 s[38:39], v54, v58
	s_nop 1
	v_cndmask_b32_e64 v54, v57, v54, s[38:39]
	v_lshlrev_b32_e32 v91, 2, v54
	ds_bpermute_b32 v70, v91, v66
	global_load_dwordx4 v[58:61], v[50:51], off
	global_load_dwordx4 v[54:57], v[50:51], off offset:16
	v_lshl_add_u64 v[50:51], v[64:65], 0, v[52:53]
	s_waitcnt lgkmcnt(0)
	v_max_f32_e32 v52, v70, v70
	v_max_f32_e32 v66, v66, v52
	v_sub_f32_e32 v52, v62, v66
	v_mul_f32_e32 v52, 0x3fb8aa3b, v52
	v_exp_f32_e32 v70, v52
	v_sub_f32_e32 v52, v63, v66
	v_mul_f32_e32 v52, 0x3fb8aa3b, v52
	v_exp_f32_e32 v71, v52
	global_load_dwordx4 v[62:65], v[50:51], off
	s_nop 0
	global_load_dwordx4 v[50:53], v[50:51], off offset:16
	v_sub_f32_e32 v80, v80, v66
	v_mul_f32_e32 v80, 0x3fb8aa3b, v80
	v_sub_f32_e32 v81, v81, v66
	v_exp_f32_e32 v80, v80
	v_mul_f32_e32 v81, 0x3fb8aa3b, v81
	v_sub_f32_e32 v72, v72, v66
	v_exp_f32_e32 v81, v81
	v_mul_f32_e32 v72, 0x3fb8aa3b, v72
	v_sub_f32_e32 v73, v73, v66
	v_cndmask_b32_e64 v70, 0, v70, s[28:29]
	v_exp_f32_e32 v72, v72
	v_mul_f32_e32 v73, 0x3fb8aa3b, v73
	v_sub_f32_e32 v82, v82, v66
	v_add_f32_e32 v92, 0, v70
	v_cndmask_b32_e64 v71, 0, v71, s[30:31]
	v_exp_f32_e32 v73, v73
	v_mul_f32_e32 v82, 0x3fb8aa3b, v82
	v_sub_f32_e32 v83, v83, v66
	v_add_f32_e32 v92, v92, v71
	;; [unrolled: 5-line block ×10, first 2 shown]
	v_cndmask_b32_e64 v78, 0, v78, s[10:11]
	v_exp_f32_e32 v68, v68
	v_mul_f32_e32 v69, 0x3fb8aa3b, v69
	v_add_f32_e32 v92, v92, v78
	v_cndmask_b32_e64 v79, 0, v79, s[12:13]
	v_exp_f32_e32 v69, v69
	v_add_f32_e32 v92, v92, v79
	v_cndmask_b32_e64 v74, 0, v74, s[6:7]
	v_add_f32_e32 v92, v92, v74
	v_cndmask_b32_e64 v75, 0, v75, s[8:9]
	v_add_f32_e32 v92, v92, v75
	v_cndmask_b32_e32 v68, 0, v68, vcc
	v_add_f32_e32 v92, v92, v68
	v_cndmask_b32_e64 v69, 0, v69, s[26:27]
	v_add_f32_e32 v92, v92, v69
	ds_bpermute_b32 v90, v90, v92
	v_cmp_lt_u32_e64 s[6:7], 15, v88
	v_cmp_gt_u32_e32 vcc, 16, v88
	s_waitcnt lgkmcnt(0)
	s_barrier
	v_add_f32_e32 v90, v92, v90
	ds_bpermute_b32 v91, v91, v90
	s_waitcnt lgkmcnt(0)
	s_and_saveexec_b64 s[8:9], vcc
	s_cbranch_execz .LBB684_13
; %bb.12:
	v_add_f32_e32 v88, v90, v91
	v_lshlrev_b32_e32 v89, 2, v89
	ds_write2st64_b32 v89, v66, v88 offset1:1
.LBB684_13:
	s_or_b64 exec, exec, s[8:9]
	v_lshlrev_b32_e32 v66, 2, v85
	s_load_dwordx2 s[8:9], s[0:1], 0x94
	s_waitcnt lgkmcnt(0)
	s_barrier
	ds_read2_b32 v[90:91], v66 offset1:16
	ds_read2_b32 v[92:93], v66 offset0:32 offset1:48
	ds_read2_b32 v[94:95], v66 offset0:64 offset1:80
	v_mov_b32_e32 v84, v85
	s_movk_i32 s12, 0x7fff
	s_waitcnt lgkmcnt(2)
	v_max3_f32 v88, v90, s33, v91
	s_waitcnt lgkmcnt(1)
	v_max3_f32 v88, v88, v92, v93
	v_sub_f32_e32 v89, v90, v88
	v_mul_f32_e32 v89, 0x3fb8aa3b, v89
	v_exp_f32_e32 v1, v89
	v_sub_f32_e32 v89, v91, v88
	v_mul_f32_e32 v89, 0x3fb8aa3b, v89
	v_exp_f32_e32 v86, v89
	v_sub_f32_e32 v89, v92, v88
	v_mul_f32_e32 v89, 0x3fb8aa3b, v89
	ds_read2_b32 v[90:91], v66 offset0:96 offset1:112
	v_sub_f32_e32 v66, v93, v88
	v_exp_f32_e32 v92, v89
	v_mul_f32_e32 v66, 0x3fb8aa3b, v66
	v_exp_f32_e32 v66, v66
	s_waitcnt lgkmcnt(1)
	v_fma_f32 v89, v1, v94, 0
	v_fmac_f32_e32 v89, v86, v95
	s_waitcnt lgkmcnt(0)
	v_fmac_f32_e32 v89, v92, v90
	v_fmac_f32_e32 v89, v66, v91
	v_add_f32_e32 v90, 0x358637bd, v89
	v_div_scale_f32 v91, s[10:11], v90, v90, 1.0
	v_rcp_f32_e32 v93, v91
	s_mov_b32 s13, 0x7060302
	s_barrier
	v_fma_f32 v94, -v91, v93, 1.0
	v_fmac_f32_e32 v93, v94, v93
	v_div_scale_f32 v94, vcc, 1.0, v90, 1.0
	v_mul_f32_e32 v95, v94, v93
	v_fma_f32 v85, -v91, v95, v94
	v_fmac_f32_e32 v95, v85, v93
	v_fma_f32 v85, -v91, v95, v94
	v_div_fmas_f32 v85, v85, v93, v95
	v_cmp_eq_u32_e32 vcc, 1, v87
	v_div_fixup_f32 v85, v85, v90, 1.0
	s_nop 0
	v_cndmask_b32_e32 v1, v1, v86, vcc
	v_cmp_eq_u32_e32 vcc, 2, v87
	s_nop 1
	v_cndmask_b32_e32 v1, v1, v92, vcc
	v_cmp_eq_u32_e32 vcc, 3, v87
	s_nop 1
	v_cndmask_b32_e32 v1, v1, v66, vcc
	v_mul_f32_e32 v90, v1, v85
	v_pk_mul_f32 v[70:71], v[90:91], v[70:71] op_sel_hi:[0,1]
	v_bfe_u32 v1, v71, 16, 1
	v_bfe_u32 v66, v70, 16, 1
	v_pk_mul_f32 v[80:81], v[90:91], v[80:81] op_sel_hi:[0,1]
	v_add3_u32 v66, v70, v66, s12
	v_add3_u32 v1, v71, v1, s12
	v_perm_b32 v70, v1, v66, s13
	v_bfe_u32 v1, v81, 16, 1
	v_bfe_u32 v66, v80, 16, 1
	v_mov_b32_e32 v85, v84
	v_add3_u32 v66, v80, v66, s12
	v_add3_u32 v1, v81, v1, s12
	v_bfe_u32 v84, v0, 4, 2
	v_perm_b32 v71, v1, v66, s13
	v_lshlrev_b32_e32 v1, 3, v84
	v_lshlrev_b32_e32 v66, 5, v85
	;; [unrolled: 1-line block ×3, first 2 shown]
	v_pk_mul_f32 v[72:73], v[90:91], v[72:73] op_sel_hi:[0,1]
	v_or3_b32 v80, v80, v66, v1
	v_bfe_u32 v1, v73, 16, 1
	v_bfe_u32 v81, v72, 16, 1
	v_pk_mul_f32 v[82:83], v[90:91], v[82:83] op_sel_hi:[0,1]
	v_add3_u32 v72, v72, v81, s12
	v_add3_u32 v1, v73, v1, s12
	v_perm_b32 v72, v1, v72, s13
	v_bfe_u32 v1, v83, 16, 1
	v_bfe_u32 v73, v82, 16, 1
	v_add3_u32 v73, v82, v73, s12
	v_add3_u32 v1, v83, v1, s12
	v_perm_b32 v73, v1, v73, s13
	ds_write2st64_b64 v80, v[70:71], v[72:73] offset1:1
	v_pk_mul_f32 v[72:73], v[90:91], v[76:77] op_sel_hi:[0,1]
	v_bfe_u32 v1, v73, 16, 1
	v_bfe_u32 v76, v72, 16, 1
	v_pk_mul_f32 v[70:71], v[90:91], v[78:79] op_sel_hi:[0,1]
	v_add3_u32 v72, v72, v76, s12
	v_add3_u32 v1, v73, v1, s12
	v_perm_b32 v72, v1, v72, s13
	v_bfe_u32 v1, v71, 16, 1
	v_bfe_u32 v73, v70, 16, 1
	v_add3_u32 v70, v70, v73, s12
	v_add3_u32 v1, v71, v1, s12
	v_perm_b32 v73, v1, v70, s13
	v_pk_mul_f32 v[70:71], v[90:91], v[74:75] op_sel_hi:[0,1]
	v_bfe_u32 v1, v71, 16, 1
	v_bfe_u32 v74, v70, 16, 1
	v_pk_mul_f32 v[68:69], v[90:91], v[68:69] op_sel_hi:[0,1]
	v_add3_u32 v70, v70, v74, s12
	v_add3_u32 v1, v71, v1, s12
	v_perm_b32 v70, v1, v70, s13
	v_bfe_u32 v1, v69, 16, 1
	v_bfe_u32 v71, v68, 16, 1
	v_add3_u32 v68, v68, v71, s12
	v_add3_u32 v1, v69, v1, s12
	v_perm_b32 v71, v1, v68, s13
	v_cmp_eq_u32_e32 vcc, 0, v0
	ds_write2st64_b64 v80, v[72:73], v[70:71] offset0:2 offset1:3
	s_and_saveexec_b64 s[10:11], vcc
	s_cbranch_execz .LBB684_15
; %bb.14:
	s_mul_i32 s3, s3, s9
	s_mul_hi_u32 s14, s2, s9
	s_add_i32 s14, s14, s3
	s_mul_i32 s3, s2, s9
	s_add_u32 s3, s3, s4
	s_addc_u32 s14, s14, 0
	s_load_dwordx4 s[16:19], s[0:1], 0x58
	s_mul_i32 s14, s14, s8
	s_mul_hi_u32 s15, s3, s8
	s_add_i32 s15, s15, s14
	s_mul_i32 s3, s3, s8
	s_add_u32 s14, s3, s5
	s_addc_u32 s15, s15, 0
	s_lshl_b64 s[14:15], s[14:15], 2
	s_waitcnt lgkmcnt(0)
	s_add_u32 s18, s18, s14
	s_addc_u32 s19, s19, s15
	s_add_u32 s14, s16, s14
	s_addc_u32 s15, s17, s15
	global_store_dword v67, v88, s[18:19]
	global_store_dword v67, v89, s[14:15]
.LBB684_15:
	s_or_b64 exec, exec, s[10:11]
	v_lshl_or_b32 v1, v84, 9, v66
	s_waitcnt lgkmcnt(0)
	s_barrier
	ds_read_b128 v[70:73], v1
	ds_read_b128 v[66:69], v1 offset:16
	s_waitcnt vmcnt(15) lgkmcnt(1)
	v_mfma_f32_16x16x16_bf16 v[74:77], v[30:31], v[70:71], 0
	v_cmp_gt_u32_e32 vcc, 64, v0
	s_xor_b64 s[6:7], s[6:7], -1
	s_mov_b32 s3, 0
	v_mfma_f32_16x16x16_bf16 v[30:33], v[32:33], v[72:73], v[74:77]
	s_and_b64 s[6:7], vcc, s[6:7]
	s_waitcnt vmcnt(14) lgkmcnt(0)
	v_mfma_f32_16x16x16_bf16 v[30:33], v[26:27], v[66:67], v[30:33]
	v_mfma_f32_16x16x16_bf16 v[26:29], v[28:29], v[68:69], v[30:33]
	s_nop 5
	ds_read_b128 v[30:33], v1 offset:2048
	ds_read_b128 v[74:77], v1 offset:2064
	s_waitcnt vmcnt(13) lgkmcnt(1)
	v_mfma_f32_16x16x16_bf16 v[26:29], v[22:23], v[30:31], v[26:29]
	v_mfma_f32_16x16x16_bf16 v[22:25], v[24:25], v[32:33], v[26:29]
	s_waitcnt vmcnt(12) lgkmcnt(0)
	v_mfma_f32_16x16x16_bf16 v[22:25], v[18:19], v[74:75], v[22:25]
	v_mfma_f32_16x16x16_bf16 v[18:21], v[20:21], v[76:77], v[22:25]
	s_nop 5
	ds_read_b128 v[22:25], v1 offset:4096
	ds_read_b128 v[26:29], v1 offset:4112
	s_waitcnt vmcnt(11) lgkmcnt(1)
	v_mfma_f32_16x16x16_bf16 v[18:21], v[14:15], v[22:23], v[18:21]
	v_mfma_f32_16x16x16_bf16 v[14:17], v[16:17], v[24:25], v[18:21]
	s_waitcnt vmcnt(10) lgkmcnt(0)
	v_mfma_f32_16x16x16_bf16 v[14:17], v[10:11], v[26:27], v[14:17]
	v_mfma_f32_16x16x16_bf16 v[10:13], v[12:13], v[28:29], v[14:17]
	s_nop 5
	ds_read_b128 v[14:17], v1 offset:6144
	ds_read_b128 v[18:21], v1 offset:6160
	s_waitcnt lgkmcnt(0)
	s_barrier
	s_waitcnt vmcnt(9)
	v_mfma_f32_16x16x16_bf16 v[10:13], v[6:7], v[14:15], v[10:13]
	v_mfma_f32_16x16x16_bf16 v[6:9], v[8:9], v[16:17], v[10:13]
	s_waitcnt vmcnt(8)
	v_mfma_f32_16x16x16_bf16 v[6:9], v[2:3], v[18:19], v[6:9]
	v_mfma_f32_16x16x16_bf16 v[2:5], v[4:5], v[20:21], v[6:9]
	;; [unrolled: 3-line block ×3, first 2 shown]
	s_nop 3
	v_bfe_u32 v1, v3, 16, 1
	v_bfe_u32 v10, v2, 16, 1
	v_add3_u32 v2, v2, v10, s12
	s_waitcnt vmcnt(6)
	v_mfma_f32_16x16x16_bf16 v[6:9], v[38:39], v[66:67], v[6:9]
	v_add3_u32 v1, v3, v1, s12
	v_perm_b32 v10, v1, v2, s13
	v_bfe_u32 v1, v5, 16, 1
	v_mfma_f32_16x16x16_bf16 v[6:9], v[40:41], v[68:69], v[6:9]
	v_bfe_u32 v2, v4, 16, 1
	v_add3_u32 v2, v4, v2, s12
	v_add3_u32 v1, v5, v1, s12
	s_waitcnt vmcnt(5)
	v_mfma_f32_16x16x16_bf16 v[6:9], v[42:43], v[30:31], v[6:9]
	v_perm_b32 v11, v1, v2, s13
	v_mfma_f32_16x16x16_bf16 v[6:9], v[44:45], v[32:33], v[6:9]
	s_waitcnt vmcnt(4)
	v_mfma_f32_16x16x16_bf16 v[6:9], v[34:35], v[74:75], v[6:9]
	v_mfma_f32_16x16x16_bf16 v[6:9], v[36:37], v[76:77], v[6:9]
	s_waitcnt vmcnt(3)
	v_mfma_f32_16x16x16_bf16 v[6:9], v[58:59], v[22:23], v[6:9]
	;; [unrolled: 3-line block ×5, first 2 shown]
	v_mfma_f32_16x16x16_bf16 v[2:5], v[52:53], v[20:21], v[6:9]
	s_nop 6
	v_bfe_u32 v1, v3, 16, 1
	v_bfe_u32 v6, v2, 16, 1
	v_add3_u32 v2, v2, v6, s12
	v_add3_u32 v1, v3, v1, s12
	v_perm_b32 v2, v1, v2, s13
	v_bfe_u32 v1, v5, 16, 1
	v_bfe_u32 v3, v4, 16, 1
	v_add3_u32 v3, v4, v3, s12
	v_add3_u32 v1, v5, v1, s12
	v_perm_b32 v3, v1, v3, s13
	ds_write2st64_b64 v80, v[10:11], v[2:3] offset1:1
	s_waitcnt lgkmcnt(0)
	s_barrier
	s_and_saveexec_b64 s[10:11], s[6:7]
	s_cbranch_execz .LBB684_17
; %bb.16:
	v_lshlrev_b32_e32 v3, 6, v85
	v_lshlrev_b32_e32 v2, 4, v0
	v_lshl_or_b32 v0, v0, 10, v3
	v_lshlrev_b32_e32 v1, 5, v84
	v_and_b32_e32 v2, 16, v2
	v_and_b32_e32 v0, 0x1a00, v0
	v_or3_b32 v0, v0, v1, v2
	ds_read_b128 v[2:5], v0
	scratch_load_dword v0, off, off         ; 4-byte Folded Reload
	s_load_dwordx2 s[0:1], s[0:1], 0x68
	s_mul_i32 s2, s9, s2
	s_lshl_b32 s8, s8, 7
	s_mul_hi_u32 s7, s2, s8
	s_mul_i32 s6, s2, s8
	s_lshl_b64 s[6:7], s[6:7], 1
	s_waitcnt lgkmcnt(0)
	s_add_u32 s6, s0, s6
	s_addc_u32 s7, s1, s7
	s_lshl_b32 s2, s5, 7
	s_lshl_b64 s[0:1], s[2:3], 1
	s_add_u32 s2, s6, s0
	s_addc_u32 s3, s7, s1
	s_mul_hi_u32 s1, s8, s4
	s_mul_i32 s0, s8, s4
	s_lshl_b64 s[0:1], s[0:1], 1
	s_add_u32 s0, s2, s0
	s_addc_u32 s1, s3, s1
	s_waitcnt vmcnt(0)
	global_store_dwordx4 v0, v[2:5], s[0:1]
.LBB684_17:
	s_endpgm
	.section	.rodata,"a",@progbits
	.p2align	6, 0x0
	.amdhsa_kernel _Z39paged_attention_ll4mi_QKV_mfma16_kernelI14__hip_bfloat16S0_LN4vllm18Fp8KVCacheDataTypeE0ES0_Li16ELi128ELi256ELb0ELi1EEvPKT_PKT0_S8_ifPKiSA_SA_iPKfiiiPfSD_PS3_PT2_iSC_SC_
		.amdhsa_group_segment_fixed_size 8192
		.amdhsa_private_segment_fixed_size 8
		.amdhsa_kernarg_size 400
		.amdhsa_user_sgpr_count 2
		.amdhsa_user_sgpr_dispatch_ptr 0
		.amdhsa_user_sgpr_queue_ptr 0
		.amdhsa_user_sgpr_kernarg_segment_ptr 1
		.amdhsa_user_sgpr_dispatch_id 0
		.amdhsa_user_sgpr_kernarg_preload_length 0
		.amdhsa_user_sgpr_kernarg_preload_offset 0
		.amdhsa_user_sgpr_private_segment_size 0
		.amdhsa_uses_dynamic_stack 0
		.amdhsa_enable_private_segment 1
		.amdhsa_system_sgpr_workgroup_id_x 1
		.amdhsa_system_sgpr_workgroup_id_y 1
		.amdhsa_system_sgpr_workgroup_id_z 1
		.amdhsa_system_sgpr_workgroup_info 0
		.amdhsa_system_vgpr_workitem_id 0
		.amdhsa_next_free_vgpr 96
		.amdhsa_next_free_sgpr 40
		.amdhsa_accum_offset 96
		.amdhsa_reserve_vcc 1
		.amdhsa_float_round_mode_32 0
		.amdhsa_float_round_mode_16_64 0
		.amdhsa_float_denorm_mode_32 3
		.amdhsa_float_denorm_mode_16_64 3
		.amdhsa_dx10_clamp 1
		.amdhsa_ieee_mode 1
		.amdhsa_fp16_overflow 0
		.amdhsa_tg_split 0
		.amdhsa_exception_fp_ieee_invalid_op 0
		.amdhsa_exception_fp_denorm_src 0
		.amdhsa_exception_fp_ieee_div_zero 0
		.amdhsa_exception_fp_ieee_overflow 0
		.amdhsa_exception_fp_ieee_underflow 0
		.amdhsa_exception_fp_ieee_inexact 0
		.amdhsa_exception_int_div_zero 0
	.end_amdhsa_kernel
	.section	.text._Z39paged_attention_ll4mi_QKV_mfma16_kernelI14__hip_bfloat16S0_LN4vllm18Fp8KVCacheDataTypeE0ES0_Li16ELi128ELi256ELb0ELi1EEvPKT_PKT0_S8_ifPKiSA_SA_iPKfiiiPfSD_PS3_PT2_iSC_SC_,"axG",@progbits,_Z39paged_attention_ll4mi_QKV_mfma16_kernelI14__hip_bfloat16S0_LN4vllm18Fp8KVCacheDataTypeE0ES0_Li16ELi128ELi256ELb0ELi1EEvPKT_PKT0_S8_ifPKiSA_SA_iPKfiiiPfSD_PS3_PT2_iSC_SC_,comdat
.Lfunc_end684:
	.size	_Z39paged_attention_ll4mi_QKV_mfma16_kernelI14__hip_bfloat16S0_LN4vllm18Fp8KVCacheDataTypeE0ES0_Li16ELi128ELi256ELb0ELi1EEvPKT_PKT0_S8_ifPKiSA_SA_iPKfiiiPfSD_PS3_PT2_iSC_SC_, .Lfunc_end684-_Z39paged_attention_ll4mi_QKV_mfma16_kernelI14__hip_bfloat16S0_LN4vllm18Fp8KVCacheDataTypeE0ES0_Li16ELi128ELi256ELb0ELi1EEvPKT_PKT0_S8_ifPKiSA_SA_iPKfiiiPfSD_PS3_PT2_iSC_SC_
                                        ; -- End function
	.section	.AMDGPU.csdata,"",@progbits
; Kernel info:
; codeLenInByte = 4584
; NumSgprs: 46
; NumVgprs: 96
; NumAgprs: 0
; TotalNumVgprs: 96
; ScratchSize: 8
; MemoryBound: 0
; FloatMode: 240
; IeeeMode: 1
; LDSByteSize: 8192 bytes/workgroup (compile time only)
; SGPRBlocks: 5
; VGPRBlocks: 11
; NumSGPRsForWavesPerEU: 46
; NumVGPRsForWavesPerEU: 96
; AccumOffset: 96
; Occupancy: 5
; WaveLimiterHint : 1
; COMPUTE_PGM_RSRC2:SCRATCH_EN: 1
; COMPUTE_PGM_RSRC2:USER_SGPR: 2
; COMPUTE_PGM_RSRC2:TRAP_HANDLER: 0
; COMPUTE_PGM_RSRC2:TGID_X_EN: 1
; COMPUTE_PGM_RSRC2:TGID_Y_EN: 1
; COMPUTE_PGM_RSRC2:TGID_Z_EN: 1
; COMPUTE_PGM_RSRC2:TIDIG_COMP_CNT: 0
; COMPUTE_PGM_RSRC3_GFX90A:ACCUM_OFFSET: 23
; COMPUTE_PGM_RSRC3_GFX90A:TG_SPLIT: 0
	.section	.text._Z39paged_attention_ll4mi_QKV_mfma16_kernelI14__hip_bfloat16S0_LN4vllm18Fp8KVCacheDataTypeE0ES0_Li16ELi128ELi256ELb0ELi2EEvPKT_PKT0_S8_ifPKiSA_SA_iPKfiiiPfSD_PS3_PT2_iSC_SC_,"axG",@progbits,_Z39paged_attention_ll4mi_QKV_mfma16_kernelI14__hip_bfloat16S0_LN4vllm18Fp8KVCacheDataTypeE0ES0_Li16ELi128ELi256ELb0ELi2EEvPKT_PKT0_S8_ifPKiSA_SA_iPKfiiiPfSD_PS3_PT2_iSC_SC_,comdat
	.protected	_Z39paged_attention_ll4mi_QKV_mfma16_kernelI14__hip_bfloat16S0_LN4vllm18Fp8KVCacheDataTypeE0ES0_Li16ELi128ELi256ELb0ELi2EEvPKT_PKT0_S8_ifPKiSA_SA_iPKfiiiPfSD_PS3_PT2_iSC_SC_ ; -- Begin function _Z39paged_attention_ll4mi_QKV_mfma16_kernelI14__hip_bfloat16S0_LN4vllm18Fp8KVCacheDataTypeE0ES0_Li16ELi128ELi256ELb0ELi2EEvPKT_PKT0_S8_ifPKiSA_SA_iPKfiiiPfSD_PS3_PT2_iSC_SC_
	.globl	_Z39paged_attention_ll4mi_QKV_mfma16_kernelI14__hip_bfloat16S0_LN4vllm18Fp8KVCacheDataTypeE0ES0_Li16ELi128ELi256ELb0ELi2EEvPKT_PKT0_S8_ifPKiSA_SA_iPKfiiiPfSD_PS3_PT2_iSC_SC_
	.p2align	8
	.type	_Z39paged_attention_ll4mi_QKV_mfma16_kernelI14__hip_bfloat16S0_LN4vllm18Fp8KVCacheDataTypeE0ES0_Li16ELi128ELi256ELb0ELi2EEvPKT_PKT0_S8_ifPKiSA_SA_iPKfiiiPfSD_PS3_PT2_iSC_SC_,@function
_Z39paged_attention_ll4mi_QKV_mfma16_kernelI14__hip_bfloat16S0_LN4vllm18Fp8KVCacheDataTypeE0ES0_Li16ELi128ELi256ELb0ELi2EEvPKT_PKT0_S8_ifPKiSA_SA_iPKfiiiPfSD_PS3_PT2_iSC_SC_: ; @_Z39paged_attention_ll4mi_QKV_mfma16_kernelI14__hip_bfloat16S0_LN4vllm18Fp8KVCacheDataTypeE0ES0_Li16ELi128ELi256ELb0ELi2EEvPKT_PKT0_S8_ifPKiSA_SA_iPKfiiiPfSD_PS3_PT2_iSC_SC_
; %bb.0:
	s_load_dwordx2 s[8:9], s[0:1], 0x30
	s_mov_b32 s26, s3
	s_mov_b64 s[6:7], 0
	s_waitcnt lgkmcnt(0)
	s_cmp_lg_u64 s[8:9], 0
	s_cselect_b64 s[10:11], -1, 0
	s_and_b64 vcc, exec, s[10:11]
	s_cbranch_vccz .LBB685_7
; %bb.1:
	s_add_i32 s12, s2, 1
	s_mov_b32 s13, 0
	s_lshl_b64 s[14:15], s[12:13], 2
	s_add_u32 s14, s8, s14
	s_mov_b32 s3, s13
	s_addc_u32 s15, s9, s15
	s_lshl_b64 s[12:13], s[2:3], 2
	s_add_u32 s12, s8, s12
	s_addc_u32 s13, s9, s13
	s_load_dword s5, s[14:15], 0x0
	s_load_dword s16, s[12:13], 0x0
	s_waitcnt lgkmcnt(0)
	s_sub_i32 s5, s5, s16
	s_cmp_eq_u32 s5, 1
	s_cselect_b64 s[12:13], -1, 0
	s_andn2_b64 vcc, exec, s[6:7]
	s_cbranch_vccnz .LBB685_3
.LBB685_2:
	s_mov_b32 s3, 0
	s_mov_b64 s[12:13], -1
.LBB685_3:
	s_andn2_b64 vcc, exec, s[12:13]
	s_cbranch_vccnz .LBB685_17
; %bb.4:
	s_load_dwordx2 s[6:7], s[0:1], 0x28
	s_lshl_b64 s[16:17], s[2:3], 2
	s_waitcnt lgkmcnt(0)
	s_add_u32 s6, s6, s16
	s_addc_u32 s7, s7, s17
	s_load_dword s38, s[6:7], 0x0
	s_lshl_b32 s18, s26, 8
	s_waitcnt lgkmcnt(0)
	s_cmp_ge_i32 s18, s38
	s_cbranch_scc1 .LBB685_17
; %bb.5:
	s_load_dwordx2 s[6:7], s[0:1], 0x20
	s_load_dword s5, s[0:1], 0x38
	s_add_i32 s12, s38, 15
	s_ashr_i32 s13, s12, 31
	v_and_b32_e32 v1, 0xcf, v0
	s_lshr_b32 s13, s13, 28
	v_add_u32_e32 v1, s18, v1
	s_add_i32 s12, s12, s13
	v_ashrrev_i32_e32 v2, 31, v1
	s_ashr_i32 s19, s12, 4
	v_lshrrev_b32_e32 v4, 28, v2
	s_add_i32 s19, s19, -1
	s_waitcnt lgkmcnt(0)
	s_mul_i32 s12, s2, s5
	s_mov_b32 s13, 0
	v_add_u32_e32 v2, v1, v4
	s_lshl_b64 s[12:13], s[12:13], 2
	v_ashrrev_i32_e32 v2, 4, v2
	v_mov_b32_e32 v5, s19
	v_cmp_gt_i32_e32 vcc, s38, v1
	s_add_u32 s6, s6, s12
	s_addc_u32 s7, s7, s13
	v_cndmask_b32_e32 v2, v5, v2, vcc
	v_ashrrev_i32_e32 v3, 31, v2
	v_lshl_add_u64 v[6:7], v[2:3], 2, s[6:7]
	v_or_b32_e32 v2, 16, v1
	v_add_u32_e32 v3, v2, v4
	v_ashrrev_i32_e32 v3, 4, v3
	v_cmp_gt_i32_e32 vcc, s38, v2
	s_load_dwordx4 s[12:15], s[0:1], 0x8
	s_nop 0
	v_cndmask_b32_e32 v2, v5, v3, vcc
	v_ashrrev_i32_e32 v3, 31, v2
	v_lshl_add_u64 v[8:9], v[2:3], 2, s[6:7]
	v_or_b32_e32 v2, 32, v1
	v_add_u32_e32 v3, v2, v4
	v_ashrrev_i32_e32 v3, 4, v3
	v_cmp_gt_i32_e32 vcc, s38, v2
	v_or_b32_e32 v1, 48, v1
	s_nop 0
	v_cndmask_b32_e32 v2, v5, v3, vcc
	v_ashrrev_i32_e32 v3, 31, v2
	v_lshl_add_u64 v[10:11], v[2:3], 2, s[6:7]
	v_add_u32_e32 v2, v1, v4
	v_ashrrev_i32_e32 v2, 4, v2
	v_cmp_gt_i32_e32 vcc, s38, v1
	s_nop 1
	v_cndmask_b32_e32 v2, v5, v2, vcc
	v_ashrrev_i32_e32 v3, 31, v2
	v_lshl_add_u64 v[12:13], v[2:3], 2, s[6:7]
	global_load_dword v4, v[6:7], off
	global_load_dword v3, v[8:9], off
	;; [unrolled: 1-line block ×4, first 2 shown]
	s_andn2_b64 vcc, exec, s[10:11]
	s_cbranch_vccnz .LBB685_8
; %bb.6:
	s_add_u32 s8, s8, s16
	s_addc_u32 s9, s9, s17
	s_load_dword s5, s[8:9], 0x0
	s_branch .LBB685_9
.LBB685_7:
	s_mov_b64 s[12:13], 0
	s_branch .LBB685_2
.LBB685_8:
	s_mov_b32 s5, s2
.LBB685_9:
	s_load_dwordx4 s[8:11], s[0:1], 0x48
	v_lshrrev_b32_e32 v86, 6, v0
	v_bfe_u32 v1, v0, 4, 2
	v_and_b32_e32 v84, 15, v0
	v_lshl_or_b32 v5, v86, 2, v1
	v_lshlrev_b32_e32 v6, 3, v84
	s_lshl_b32 s27, s4, 1
	v_cmp_gt_u32_e32 vcc, 2, v5
	v_lshlrev_b32_e32 v74, 1, v6
	s_and_saveexec_b64 s[16:17], vcc
	s_cbranch_execz .LBB685_11
; %bb.10:
	s_load_dwordx2 s[20:21], s[0:1], 0x0
	s_waitcnt lgkmcnt(0)
	s_ashr_i32 s11, s8, 31
	s_mul_hi_u32 s22, s5, s8
	s_mul_i32 s11, s5, s11
	s_add_i32 s23, s22, s11
	s_mul_i32 s22, s5, s8
	s_lshl_b64 s[22:23], s[22:23], 1
	s_add_u32 s20, s20, s22
	v_add_lshl_u32 v6, v1, s27, 7
	s_addc_u32 s21, s21, s23
	v_ashrrev_i32_e32 v7, 31, v6
	v_lshl_add_u64 v[6:7], v[6:7], 1, s[20:21]
	v_mov_b32_e32 v75, 0
	v_lshl_add_u64 v[6:7], v[6:7], 0, v[74:75]
	global_load_dwordx4 v[6:9], v[6:7], off
	v_and_b32_e32 v10, 3, v0
	v_lshlrev_b32_e32 v11, 9, v84
	v_lshlrev_b32_e32 v5, 5, v5
	;; [unrolled: 1-line block ×3, first 2 shown]
	v_and_b32_e32 v11, 0x1800, v11
	v_or3_b32 v5, v11, v10, v5
	s_waitcnt vmcnt(0)
	ds_write_b128 v5, v[6:9]
.LBB685_11:
	s_or_b64 exec, exec, s[16:17]
	s_waitcnt lgkmcnt(0)
	s_mul_i32 s4, s4, s10
	s_mov_b32 s5, 0
	s_lshl_b64 s[4:5], s[4:5], 1
	s_add_u32 s10, s12, s4
	v_lshlrev_b32_e32 v6, 4, v0
	s_addc_u32 s11, s13, s5
	v_and_b32_e32 v34, 0xf0, v6
	v_mov_b32_e32 v35, 0
	v_lshl_add_u64 v[30:31], s[10:11], 0, v[34:35]
	s_waitcnt vmcnt(3)
	v_mad_i64_i32 v[4:5], s[10:11], v4, s9, 0
	v_lshl_add_u64 v[4:5], v[4:5], 1, v[30:31]
	v_and_b32_e32 v34, 0x300, v6
	v_lshl_add_u64 v[32:33], v[4:5], 0, v[34:35]
	s_load_dword s33, s[0:1], 0x98
	s_load_dword s8, s[0:1], 0x1c
	s_waitcnt lgkmcnt(0)
	s_barrier
	global_load_dwordx4 v[10:13], v[32:33], off
	global_load_dwordx4 v[22:25], v[32:33], off offset:1024
	s_waitcnt vmcnt(4)
	v_mad_i64_i32 v[4:5], s[10:11], v3, s9, 0
	s_waitcnt vmcnt(3)
	v_mad_i64_i32 v[2:3], s[10:11], v2, s9, 0
	v_lshl_add_u64 v[4:5], v[4:5], 1, v[30:31]
	v_lshl_add_u64 v[2:3], v[2:3], 1, v[30:31]
	;; [unrolled: 1-line block ×4, first 2 shown]
	global_load_dwordx4 v[14:17], v[36:37], off
	global_load_dwordx4 v[18:21], v[36:37], off offset:1024
	global_load_dwordx4 v[26:29], v[38:39], off
	global_load_dwordx4 v[46:49], v[38:39], off offset:1024
	v_and_b32_e32 v2, 1, v0
	v_lshlrev_b32_e32 v2, 5, v2
	v_lshl_or_b32 v41, v1, 9, v2
	ds_read_b128 v[6:9], v41
	ds_read_b128 v[2:5], v41 offset:2048
	global_load_dwordx4 v[54:57], v[32:33], off offset:2048
	global_load_dwordx4 v[62:65], v[36:37], off offset:2048
	v_mov_b32_e32 v76, s19
	v_lshl_or_b32 v87, v86, 4, v84
	s_add_u32 s4, s14, s4
	s_addc_u32 s5, s15, s5
	s_mov_b32 s40, 0xff7fffff
	s_waitcnt vmcnt(7) lgkmcnt(1)
	v_mfma_f32_16x16x16_bf16 v[42:45], v[10:11], v[6:7], 0
	v_mfma_f32_16x16x16_bf16 v[10:13], v[12:13], v[8:9], v[42:45]
	s_nop 5
	global_load_dwordx4 v[42:45], v[38:39], off offset:2048
	s_waitcnt vmcnt(6)
	v_mfma_f32_16x16x16_bf16 v[50:53], v[14:15], v[6:7], 0
	s_waitcnt vmcnt(4)
	v_mfma_f32_16x16x16_bf16 v[58:61], v[26:27], v[6:7], 0
	v_mfma_f32_16x16x16_bf16 v[14:17], v[16:17], v[8:9], v[50:53]
	;; [unrolled: 1-line block ×3, first 2 shown]
	s_nop 2
	global_load_dwordx4 v[50:53], v[32:33], off offset:3072
	v_mad_i64_i32 v[32:33], s[10:11], v40, s9, 0
	global_load_dwordx4 v[58:61], v[36:37], off offset:3072
	v_and_or_b32 v40, v0, 48, s18
	s_waitcnt lgkmcnt(0)
	v_mfma_f32_16x16x16_bf16 v[10:13], v[22:23], v[2:3], v[10:13]
	v_ashrrev_i32_e32 v22, 4, v40
	v_cmp_gt_i32_e32 vcc, s38, v40
	v_or_b32_e32 v77, 64, v40
	v_mfma_f32_16x16x16_bf16 v[14:17], v[18:19], v[2:3], v[14:17]
	v_cndmask_b32_e32 v18, v76, v22, vcc
	v_or_b32_e32 v78, 0x80, v40
	v_or_b32_e32 v79, 0xc0, v40
	s_waitcnt vmcnt(5)
	v_mfma_f32_16x16x16_bf16 v[26:29], v[46:47], v[2:3], v[26:29]
	v_ashrrev_i32_e32 v40, 4, v77
	v_ashrrev_i32_e32 v19, 31, v18
	v_cmp_gt_i32_e32 vcc, s38, v77
	v_ashrrev_i32_e32 v46, 4, v78
	v_lshl_add_u64 v[18:19], v[18:19], 2, s[6:7]
	v_cndmask_b32_e32 v36, v76, v40, vcc
	v_cmp_gt_i32_e32 vcc, s38, v78
	ds_read_b128 v[66:69], v41 offset:4096
	ds_read_b128 v[70:73], v41 offset:6144
	v_mfma_f32_16x16x16_bf16 v[14:17], v[20:21], v[4:5], v[14:17]
	global_load_dword v77, v[18:19], off
	v_ashrrev_i32_e32 v37, 31, v36
	v_mfma_f32_16x16x16_bf16 v[18:21], v[48:49], v[4:5], v[26:29]
	s_nop 2
	v_cndmask_b32_e32 v28, v76, v46, vcc
	v_mfma_f32_16x16x16_bf16 v[10:13], v[24:25], v[4:5], v[10:13]
	global_load_dwordx4 v[22:25], v[38:39], off offset:3072
	v_ashrrev_i32_e32 v29, 31, v28
	v_lshl_add_u64 v[26:27], v[36:37], 2, s[6:7]
	v_lshl_add_u64 v[28:29], v[28:29], 2, s[6:7]
	global_load_dword v36, v[26:27], off
	global_load_dword v82, v[28:29], off
	v_lshl_add_u64 v[26:27], v[32:33], 1, v[30:31]
	v_lshl_add_u64 v[26:27], v[26:27], 0, v[34:35]
	global_load_dwordx4 v[38:41], v[26:27], off
	global_load_dwordx4 v[46:49], v[26:27], off offset:1024
	s_waitcnt vmcnt(10) lgkmcnt(1)
	v_mfma_f32_16x16x16_bf16 v[10:13], v[54:55], v[66:67], v[10:13]
	v_ashrrev_i32_e32 v37, 4, v79
	v_cmp_gt_i32_e32 vcc, s38, v79
	v_lshlrev_b32_e32 v34, 5, v87
	v_mfma_f32_16x16x16_bf16 v[10:13], v[56:57], v[68:69], v[10:13]
	v_cndmask_b32_e32 v28, v76, v37, vcc
	v_ashrrev_i32_e32 v29, 31, v28
	v_lshl_add_u64 v[28:29], v[28:29], 2, s[6:7]
	s_waitcnt vmcnt(9)
	v_mfma_f32_16x16x16_bf16 v[14:17], v[62:63], v[66:67], v[14:17]
	v_lshl_add_u64 v[62:63], s[4:5], 0, v[34:35]
	v_or_b32_e32 v34, 0x800, v34
	global_load_dwordx4 v[54:57], v[26:27], off offset:3072
	s_waitcnt vmcnt(9)
	v_mfma_f32_16x16x16_bf16 v[18:21], v[42:43], v[66:67], v[18:21]
	v_mfma_f32_16x16x16_bf16 v[18:21], v[44:45], v[68:69], v[18:21]
	global_load_dwordx4 v[42:45], v[26:27], off offset:2048
	v_mfma_f32_16x16x16_bf16 v[14:17], v[64:65], v[68:69], v[14:17]
	global_load_dword v64, v[28:29], off
	s_waitcnt vmcnt(10) lgkmcnt(0)
	v_mfma_f32_16x16x16_bf16 v[10:13], v[50:51], v[70:71], v[10:13]
	s_waitcnt vmcnt(7)
	v_mfma_f32_16x16x16_bf16 v[18:21], v[22:23], v[70:71], v[18:21]
	v_mad_i64_i32 v[22:23], s[6:7], v77, s9, 0
	v_lshlrev_b64 v[80:81], 1, v[22:23]
	v_mfma_f32_16x16x16_bf16 v[76:79], v[52:53], v[72:73], v[10:13]
	s_waitcnt vmcnt(6)
	s_nop 1
	v_mad_i64_i32 v[10:11], s[6:7], v36, s9, 0
	v_lshlrev_b64 v[36:37], 1, v[10:11]
	v_lshl_add_u64 v[12:13], v[62:63], 0, v[80:81]
	v_lshl_add_u64 v[10:11], v[62:63], 0, v[36:37]
	global_load_dwordx4 v[30:33], v[12:13], off
	global_load_dwordx4 v[26:29], v[12:13], off offset:16
	v_mfma_f32_16x16x16_bf16 v[88:91], v[24:25], v[72:73], v[18:21]
	global_load_dwordx4 v[22:25], v[10:11], off
	s_nop 1
	global_load_dwordx4 v[18:21], v[10:11], off offset:16
	s_waitcnt vmcnt(8)
	v_mfma_f32_16x16x16_bf16 v[10:13], v[38:39], v[6:7], 0
	v_mad_i64_i32 v[6:7], s[6:7], v82, s9, 0
	v_lshlrev_b64 v[50:51], 1, v[6:7]
	v_mfma_f32_16x16x16_bf16 v[6:9], v[40:41], v[8:9], v[10:13]
	s_waitcnt vmcnt(7)
	v_mfma_f32_16x16x16_bf16 v[6:9], v[46:47], v[2:3], v[6:9]
	s_nop 1
	v_lshl_add_u64 v[10:11], v[62:63], 0, v[50:51]
	s_waitcnt vmcnt(4)
	v_mad_i64_i32 v[2:3], s[6:7], v64, s9, 0
	v_mfma_f32_16x16x16_bf16 v[38:41], v[48:49], v[4:5], v[6:9]
	v_lshlrev_b64 v[52:53], 1, v[2:3]
	v_lshl_add_u64 v[2:3], v[62:63], 0, v[52:53]
	v_pk_mul_f32 v[62:63], s[8:9], v[76:77] op_sel_hi:[0,1]
	v_mfma_f32_16x16x16_bf16 v[38:41], v[42:43], v[66:67], v[38:41]
	v_lshl_add_u64 v[64:65], s[4:5], 0, v[34:35]
	v_lshl_add_u64 v[34:35], v[64:65], 0, v[80:81]
	v_pk_mul_f32 v[80:81], s[8:9], v[78:79] op_sel_hi:[0,1]
	v_mfma_f32_16x16x16_bf16 v[38:41], v[44:45], v[68:69], v[38:41]
	v_pk_mul_f32 v[76:77], s[8:9], v[88:89] op_sel_hi:[0,1]
	v_pk_mul_f32 v[78:79], s[8:9], v[90:91] op_sel_hi:[0,1]
	v_lshl_add_u64 v[50:51], v[64:65], 0, v[50:51]
	v_mfma_f32_16x16x16_bf16 v[38:41], v[54:55], v[70:71], v[38:41]
	v_mfma_f32_16x16x16_bf16 v[14:17], v[58:59], v[70:71], v[14:17]
	;; [unrolled: 1-line block ×4, first 2 shown]
	s_nop 4
	global_load_dwordx4 v[14:17], v[10:11], off
	s_nop 0
	global_load_dwordx4 v[10:13], v[10:11], off offset:16
	v_pk_mul_f32 v[72:73], s[8:9], v[38:39] op_sel_hi:[0,1]
	v_and_b32_e32 v38, 0xc0, v0
	v_add_u32_e32 v38, s18, v38
	v_lshl_or_b32 v38, v1, 2, v38
	v_pk_mul_f32 v[66:67], s[8:9], v[40:41] op_sel_hi:[0,1]
	v_or_b32_e32 v41, 1, v38
	v_mov_b32_e32 v39, 0xff7fffff
	v_cmp_gt_i32_e64 s[28:29], s38, v38
	v_cmp_gt_i32_e64 s[30:31], s38, v41
	v_or_b32_e32 v42, 3, v38
	v_cndmask_b32_e64 v40, v39, v62, s[28:29]
	v_cndmask_b32_e64 v41, v39, v63, s[30:31]
	v_max3_f32 v40, v40, s40, v41
	v_or_b32_e32 v41, 2, v38
	v_cmp_gt_i32_e64 s[34:35], s38, v41
	v_cmp_gt_i32_e64 s[36:37], s38, v42
	v_pk_mul_f32 v[70:71], s[8:9], v[58:59] op_sel_hi:[0,1]
	v_cndmask_b32_e64 v41, v39, v80, s[34:35]
	v_cndmask_b32_e64 v42, v39, v81, s[36:37]
	v_max3_f32 v40, v40, v41, v42
	v_or_b32_e32 v41, 16, v38
	v_or_b32_e32 v42, 17, v38
	v_cmp_gt_i32_e64 s[22:23], s38, v41
	v_cmp_gt_i32_e64 s[24:25], s38, v42
	v_pk_mul_f32 v[82:83], s[8:9], v[60:61] op_sel_hi:[0,1]
	v_cndmask_b32_e64 v41, v39, v70, s[22:23]
	v_cndmask_b32_e64 v42, v39, v71, s[24:25]
	v_max3_f32 v40, v40, v41, v42
	v_or_b32_e32 v41, 18, v38
	v_or_b32_e32 v42, 19, v38
	v_cmp_gt_i32_e64 s[18:19], s38, v41
	v_cmp_gt_i32_e64 s[20:21], s38, v42
	global_load_dwordx4 v[6:9], v[2:3], off
	s_nop 0
	global_load_dwordx4 v[2:5], v[2:3], off offset:16
	v_cndmask_b32_e64 v41, v39, v82, s[18:19]
	v_cndmask_b32_e64 v42, v39, v83, s[20:21]
	v_max3_f32 v40, v40, v41, v42
	v_or_b32_e32 v41, 32, v38
	v_or_b32_e32 v42, 33, v38
	v_cmp_gt_i32_e64 s[14:15], s38, v41
	v_cmp_gt_i32_e64 s[16:17], s38, v42
	v_and_b32_e32 v1, 63, v0
	v_cndmask_b32_e64 v41, v39, v76, s[14:15]
	v_cndmask_b32_e64 v42, v39, v77, s[16:17]
	v_max3_f32 v40, v40, v41, v42
	v_or_b32_e32 v41, 34, v38
	v_or_b32_e32 v42, 35, v38
	v_cmp_gt_i32_e64 s[10:11], s38, v41
	v_cmp_gt_i32_e64 s[12:13], s38, v42
	s_nop 0
	v_cndmask_b32_e64 v41, v39, v78, s[10:11]
	v_cndmask_b32_e64 v42, v39, v79, s[12:13]
	v_max3_f32 v40, v40, v41, v42
	v_or_b32_e32 v41, 48, v38
	v_or_b32_e32 v42, 49, v38
	v_cmp_gt_i32_e64 s[6:7], s38, v41
	v_cmp_gt_i32_e64 s[8:9], s38, v42
	s_nop 0
	v_cndmask_b32_e64 v41, v39, v72, s[6:7]
	v_cndmask_b32_e64 v42, v39, v73, s[8:9]
	v_max3_f32 v40, v40, v41, v42
	v_or_b32_e32 v41, 50, v38
	v_or_b32_e32 v38, 51, v38
	v_cmp_gt_i32_e32 vcc, s38, v41
	v_cmp_gt_i32_e64 s[4:5], s38, v38
	s_nop 0
	v_cndmask_b32_e32 v41, v39, v66, vcc
	v_cndmask_b32_e64 v38, v39, v67, s[4:5]
	v_max3_f32 v54, v40, v41, v38
	v_mbcnt_lo_u32_b32 v38, -1, 0
	v_mbcnt_hi_u32_b32 v55, -1, v38
	v_and_b32_e32 v38, 64, v55
	v_add_u32_e32 v56, 64, v38
	v_xor_b32_e32 v38, 32, v55
	v_cmp_lt_i32_e64 s[38:39], v38, v56
	s_nop 1
	v_cndmask_b32_e64 v38, v55, v38, s[38:39]
	v_lshlrev_b32_e32 v89, 2, v38
	ds_bpermute_b32 v57, v89, v54
	global_load_dwordx4 v[46:49], v[34:35], off
	global_load_dwordx4 v[38:41], v[34:35], off offset:16
	v_lshl_add_u64 v[34:35], v[64:65], 0, v[36:37]
	global_load_dwordx4 v[42:45], v[34:35], off
	s_nop 0
	global_load_dwordx4 v[34:37], v[34:35], off offset:16
	s_waitcnt lgkmcnt(0)
	v_max_f32_e32 v57, v57, v57
	v_max_f32_e32 v68, v54, v57
	v_xor_b32_e32 v54, 16, v55
	v_cmp_lt_i32_e64 s[38:39], v54, v56
	s_nop 1
	v_cndmask_b32_e64 v54, v55, v54, s[38:39]
	v_lshlrev_b32_e32 v90, 2, v54
	ds_bpermute_b32 v69, v90, v68
	global_load_dwordx4 v[58:61], v[50:51], off
	global_load_dwordx4 v[54:57], v[50:51], off offset:16
	v_lshl_add_u64 v[50:51], v[64:65], 0, v[52:53]
	s_waitcnt lgkmcnt(0)
	v_max_f32_e32 v52, v69, v69
	v_max_f32_e32 v88, v68, v52
	v_sub_f32_e32 v52, v62, v88
	v_mul_f32_e32 v52, 0x3fb8aa3b, v52
	v_exp_f32_e32 v68, v52
	v_sub_f32_e32 v52, v63, v88
	v_mul_f32_e32 v52, 0x3fb8aa3b, v52
	v_exp_f32_e32 v69, v52
	global_load_dwordx4 v[62:65], v[50:51], off
	s_nop 0
	global_load_dwordx4 v[50:53], v[50:51], off offset:16
	v_sub_f32_e32 v80, v80, v88
	v_mul_f32_e32 v80, 0x3fb8aa3b, v80
	v_sub_f32_e32 v81, v81, v88
	v_exp_f32_e32 v80, v80
	v_mul_f32_e32 v81, 0x3fb8aa3b, v81
	v_sub_f32_e32 v70, v70, v88
	v_exp_f32_e32 v81, v81
	v_mul_f32_e32 v70, 0x3fb8aa3b, v70
	v_sub_f32_e32 v71, v71, v88
	v_cndmask_b32_e64 v68, 0, v68, s[28:29]
	v_exp_f32_e32 v70, v70
	v_mul_f32_e32 v71, 0x3fb8aa3b, v71
	v_sub_f32_e32 v82, v82, v88
	v_add_f32_e32 v91, 0, v68
	v_cndmask_b32_e64 v69, 0, v69, s[30:31]
	v_exp_f32_e32 v71, v71
	v_mul_f32_e32 v82, 0x3fb8aa3b, v82
	v_sub_f32_e32 v83, v83, v88
	v_add_f32_e32 v91, v91, v69
	;; [unrolled: 5-line block ×10, first 2 shown]
	v_cndmask_b32_e64 v78, 0, v78, s[10:11]
	v_exp_f32_e32 v66, v66
	v_mul_f32_e32 v67, 0x3fb8aa3b, v67
	v_add_f32_e32 v91, v91, v78
	v_cndmask_b32_e64 v79, 0, v79, s[12:13]
	v_exp_f32_e32 v67, v67
	v_add_f32_e32 v91, v91, v79
	v_cndmask_b32_e64 v72, 0, v72, s[6:7]
	v_add_f32_e32 v91, v91, v72
	v_cndmask_b32_e64 v73, 0, v73, s[8:9]
	v_add_f32_e32 v91, v91, v73
	v_cndmask_b32_e32 v66, 0, v66, vcc
	v_add_f32_e32 v91, v91, v66
	v_cndmask_b32_e64 v67, 0, v67, s[4:5]
	v_add_f32_e32 v91, v91, v67
	ds_bpermute_b32 v89, v89, v91
	v_cmp_gt_u32_e32 vcc, 16, v1
	s_waitcnt lgkmcnt(0)
	s_barrier
	v_add_f32_e32 v89, v91, v89
	ds_bpermute_b32 v90, v90, v89
	s_and_saveexec_b64 s[4:5], vcc
	s_cbranch_execz .LBB685_13
; %bb.12:
	s_waitcnt lgkmcnt(0)
	v_add_f32_e32 v89, v89, v90
	v_lshlrev_b32_e32 v87, 2, v87
	ds_write2st64_b32 v87, v88, v89 offset1:1
.LBB685_13:
	s_or_b64 exec, exec, s[4:5]
	v_lshlrev_b32_e32 v94, 2, v84
	s_load_dword s6, s[0:1], 0x94
	s_waitcnt lgkmcnt(0)
	s_barrier
	ds_read2_b32 v[88:89], v94 offset1:16
	ds_read2_b32 v[90:91], v94 offset0:32 offset1:48
	ds_read2_b32 v[92:93], v94 offset0:64 offset1:80
	;; [unrolled: 1-line block ×3, first 2 shown]
	v_mov_b32_e32 v1, v84
	s_waitcnt lgkmcnt(3)
	v_max3_f32 v87, v88, s40, v89
	s_waitcnt lgkmcnt(2)
	v_max3_f32 v87, v87, v90, v91
	v_sub_f32_e32 v88, v88, v87
	v_mul_f32_e32 v88, 0x3fb8aa3b, v88
	v_exp_f32_e32 v85, v88
	v_sub_f32_e32 v88, v89, v87
	v_mul_f32_e32 v88, 0x3fb8aa3b, v88
	v_exp_f32_e32 v89, v88
	;; [unrolled: 3-line block ×4, first 2 shown]
	s_waitcnt lgkmcnt(1)
	v_fma_f32 v88, v85, v92, 0
	v_fmac_f32_e32 v88, v89, v93
	s_waitcnt lgkmcnt(0)
	v_fmac_f32_e32 v88, v90, v94
	v_fmac_f32_e32 v88, v91, v95
	v_add_f32_e32 v92, 0x358637bd, v88
	v_div_scale_f32 v93, s[4:5], v92, v92, 1.0
	v_rcp_f32_e32 v94, v93
	s_movk_i32 s8, 0x7fff
	s_mov_b32 s9, 0x7060302
	v_fma_f32 v95, -v93, v94, 1.0
	v_fmac_f32_e32 v94, v95, v94
	v_div_scale_f32 v95, vcc, 1.0, v92, 1.0
	v_mul_f32_e32 v75, v95, v94
	v_fma_f32 v84, -v93, v75, v95
	v_fmac_f32_e32 v75, v84, v94
	v_fma_f32 v84, -v93, v75, v95
	v_div_fmas_f32 v75, v84, v94, v75
	v_cmp_eq_u32_e32 vcc, 1, v86
	v_div_fixup_f32 v75, v75, v92, 1.0
	s_barrier
	v_cndmask_b32_e32 v84, v85, v89, vcc
	v_cmp_eq_u32_e32 vcc, 2, v86
	s_lshl_b32 s7, s33, 1
	s_nop 0
	v_cndmask_b32_e32 v84, v84, v90, vcc
	v_cmp_eq_u32_e32 vcc, 3, v86
	s_nop 1
	v_cndmask_b32_e32 v84, v84, v91, vcc
	v_mul_f32_e32 v90, v84, v75
	v_pk_mul_f32 v[68:69], v[90:91], v[68:69] op_sel_hi:[0,1]
	v_bfe_u32 v75, v69, 16, 1
	v_bfe_u32 v84, v68, 16, 1
	v_pk_mul_f32 v[80:81], v[90:91], v[80:81] op_sel_hi:[0,1]
	v_add3_u32 v68, v68, v84, s8
	v_add3_u32 v69, v69, v75, s8
	v_perm_b32 v92, v69, v68, s9
	v_bfe_u32 v68, v81, 16, 1
	v_bfe_u32 v69, v80, 16, 1
	v_mov_b32_e32 v84, v1
	v_add3_u32 v69, v80, v69, s8
	v_add3_u32 v68, v81, v68, s8
	v_bfe_u32 v1, v0, 4, 2
	v_perm_b32 v93, v68, v69, s9
	v_lshlrev_b32_e32 v69, 3, v1
	v_lshlrev_b32_e32 v68, 5, v84
	;; [unrolled: 1-line block ×3, first 2 shown]
	v_pk_mul_f32 v[70:71], v[90:91], v[70:71] op_sel_hi:[0,1]
	v_or3_b32 v80, v75, v68, v69
	v_bfe_u32 v69, v71, 16, 1
	v_bfe_u32 v75, v70, 16, 1
	v_pk_mul_f32 v[82:83], v[90:91], v[82:83] op_sel_hi:[0,1]
	v_add3_u32 v70, v70, v75, s8
	v_add3_u32 v69, v71, v69, s8
	v_perm_b32 v70, v69, v70, s9
	v_bfe_u32 v69, v83, 16, 1
	v_bfe_u32 v71, v82, 16, 1
	v_add3_u32 v71, v82, v71, s8
	v_add3_u32 v69, v83, v69, s8
	v_pk_mul_f32 v[76:77], v[90:91], v[76:77] op_sel_hi:[0,1]
	v_perm_b32 v71, v69, v71, s9
	v_bfe_u32 v69, v77, 16, 1
	v_bfe_u32 v75, v76, 16, 1
	ds_write2st64_b64 v80, v[92:93], v[70:71] offset1:1
	v_pk_mul_f32 v[70:71], v[90:91], v[78:79] op_sel_hi:[0,1]
	v_add3_u32 v75, v76, v75, s8
	v_add3_u32 v69, v77, v69, s8
	v_perm_b32 v76, v69, v75, s9
	v_bfe_u32 v69, v71, 16, 1
	v_bfe_u32 v75, v70, 16, 1
	v_add3_u32 v70, v70, v75, s8
	v_add3_u32 v69, v71, v69, s8
	v_perm_b32 v77, v69, v70, s9
	v_pk_mul_f32 v[70:71], v[90:91], v[72:73] op_sel_hi:[0,1]
	v_bfe_u32 v69, v71, 16, 1
	v_bfe_u32 v72, v70, 16, 1
	v_pk_mul_f32 v[66:67], v[90:91], v[66:67] op_sel_hi:[0,1]
	v_add3_u32 v70, v70, v72, s8
	v_add3_u32 v69, v71, v69, s8
	v_perm_b32 v70, v69, v70, s9
	v_bfe_u32 v69, v67, 16, 1
	v_bfe_u32 v71, v66, 16, 1
	v_add3_u32 v66, v66, v71, s8
	v_add3_u32 v67, v67, v69, s8
	v_perm_b32 v71, v67, v66, s9
	v_cmp_gt_u32_e32 vcc, 2, v0
	ds_write2st64_b64 v80, v[76:77], v[70:71] offset0:2 offset1:3
	s_and_saveexec_b64 s[4:5], vcc
	s_cbranch_execz .LBB685_15
; %bb.14:
	v_or_b32_e32 v66, s27, v0
	v_mov_b32_e32 v67, 0
	v_mov_b32_e32 v69, s7
	v_mad_u64_u32 v[70:71], s[10:11], s2, v69, v[66:67]
	v_mov_b32_e32 v66, s26
	s_load_dwordx4 s[12:15], s[0:1], 0x58
	s_mul_i32 s3, s3, s7
	v_mad_u64_u32 v[66:67], s[10:11], v70, s6, v[66:67]
	v_add_u32_e32 v69, s3, v71
	v_mov_b32_e32 v70, v67
	v_mad_u64_u32 v[70:71], s[10:11], v69, s6, v[70:71]
	v_mov_b32_e32 v67, v70
	v_lshlrev_b64 v[66:67], 2, v[66:67]
	s_waitcnt lgkmcnt(0)
	v_lshl_add_u64 v[70:71], s[14:15], 0, v[66:67]
	v_lshl_add_u64 v[66:67], s[12:13], 0, v[66:67]
	global_store_dword v[70:71], v87, off
	global_store_dword v[66:67], v88, off
.LBB685_15:
	s_or_b64 exec, exec, s[4:5]
	v_lshl_or_b32 v75, v1, 9, v68
	s_waitcnt lgkmcnt(0)
	s_barrier
	ds_read_b128 v[70:73], v75
	ds_read_b128 v[66:69], v75 offset:16
	s_waitcnt vmcnt(15) lgkmcnt(1)
	v_mfma_f32_16x16x16_bf16 v[76:79], v[30:31], v[70:71], 0
	v_cmp_gt_u32_e32 vcc, 64, v0
	s_mov_b32 s3, 0
	v_mfma_f32_16x16x16_bf16 v[30:33], v[32:33], v[72:73], v[76:79]
	s_waitcnt vmcnt(14) lgkmcnt(0)
	v_mfma_f32_16x16x16_bf16 v[30:33], v[26:27], v[66:67], v[30:33]
	v_mfma_f32_16x16x16_bf16 v[26:29], v[28:29], v[68:69], v[30:33]
	s_nop 5
	ds_read_b128 v[30:33], v75 offset:2048
	ds_read_b128 v[76:79], v75 offset:2064
	s_waitcnt vmcnt(13) lgkmcnt(1)
	v_mfma_f32_16x16x16_bf16 v[26:29], v[22:23], v[30:31], v[26:29]
	v_mfma_f32_16x16x16_bf16 v[22:25], v[24:25], v[32:33], v[26:29]
	s_waitcnt vmcnt(12) lgkmcnt(0)
	v_mfma_f32_16x16x16_bf16 v[22:25], v[18:19], v[76:77], v[22:25]
	v_mfma_f32_16x16x16_bf16 v[18:21], v[20:21], v[78:79], v[22:25]
	s_nop 5
	ds_read_b128 v[22:25], v75 offset:4096
	ds_read_b128 v[26:29], v75 offset:4112
	s_waitcnt vmcnt(11) lgkmcnt(1)
	v_mfma_f32_16x16x16_bf16 v[18:21], v[14:15], v[22:23], v[18:21]
	v_mfma_f32_16x16x16_bf16 v[14:17], v[16:17], v[24:25], v[18:21]
	s_waitcnt vmcnt(10) lgkmcnt(0)
	v_mfma_f32_16x16x16_bf16 v[14:17], v[10:11], v[26:27], v[14:17]
	v_mfma_f32_16x16x16_bf16 v[10:13], v[12:13], v[28:29], v[14:17]
	s_nop 5
	ds_read_b128 v[14:17], v75 offset:6144
	ds_read_b128 v[18:21], v75 offset:6160
	s_waitcnt lgkmcnt(0)
	s_barrier
	s_waitcnt vmcnt(9)
	v_mfma_f32_16x16x16_bf16 v[10:13], v[6:7], v[14:15], v[10:13]
	v_mfma_f32_16x16x16_bf16 v[6:9], v[8:9], v[16:17], v[10:13]
	s_waitcnt vmcnt(8)
	v_mfma_f32_16x16x16_bf16 v[6:9], v[2:3], v[18:19], v[6:9]
	v_mfma_f32_16x16x16_bf16 v[2:5], v[4:5], v[20:21], v[6:9]
	;; [unrolled: 3-line block ×3, first 2 shown]
	s_nop 3
	v_bfe_u32 v10, v3, 16, 1
	v_bfe_u32 v11, v2, 16, 1
	v_add3_u32 v2, v2, v11, s8
	s_waitcnt vmcnt(6)
	v_mfma_f32_16x16x16_bf16 v[6:9], v[38:39], v[66:67], v[6:9]
	v_add3_u32 v3, v3, v10, s8
	v_perm_b32 v10, v3, v2, s9
	v_bfe_u32 v2, v5, 16, 1
	v_mfma_f32_16x16x16_bf16 v[6:9], v[40:41], v[68:69], v[6:9]
	v_bfe_u32 v3, v4, 16, 1
	v_add3_u32 v3, v4, v3, s8
	v_add3_u32 v2, v5, v2, s8
	s_waitcnt vmcnt(5)
	v_mfma_f32_16x16x16_bf16 v[6:9], v[42:43], v[30:31], v[6:9]
	v_perm_b32 v11, v2, v3, s9
	v_mfma_f32_16x16x16_bf16 v[6:9], v[44:45], v[32:33], v[6:9]
	s_waitcnt vmcnt(4)
	v_mfma_f32_16x16x16_bf16 v[6:9], v[34:35], v[76:77], v[6:9]
	v_mfma_f32_16x16x16_bf16 v[6:9], v[36:37], v[78:79], v[6:9]
	s_waitcnt vmcnt(3)
	v_mfma_f32_16x16x16_bf16 v[6:9], v[58:59], v[22:23], v[6:9]
	v_mfma_f32_16x16x16_bf16 v[6:9], v[60:61], v[24:25], v[6:9]
	s_waitcnt vmcnt(2)
	v_mfma_f32_16x16x16_bf16 v[6:9], v[54:55], v[26:27], v[6:9]
	v_mfma_f32_16x16x16_bf16 v[6:9], v[56:57], v[28:29], v[6:9]
	s_waitcnt vmcnt(1)
	v_mfma_f32_16x16x16_bf16 v[6:9], v[62:63], v[14:15], v[6:9]
	v_mfma_f32_16x16x16_bf16 v[6:9], v[64:65], v[16:17], v[6:9]
	s_waitcnt vmcnt(0)
	v_mfma_f32_16x16x16_bf16 v[6:9], v[50:51], v[18:19], v[6:9]
	v_mfma_f32_16x16x16_bf16 v[2:5], v[52:53], v[20:21], v[6:9]
	s_nop 6
	v_bfe_u32 v6, v3, 16, 1
	v_bfe_u32 v7, v2, 16, 1
	v_add3_u32 v2, v2, v7, s8
	v_add3_u32 v3, v3, v6, s8
	v_perm_b32 v2, v3, v2, s9
	v_bfe_u32 v3, v5, 16, 1
	v_bfe_u32 v6, v4, 16, 1
	v_add3_u32 v4, v4, v6, s8
	v_add3_u32 v3, v5, v3, s8
	v_perm_b32 v3, v3, v4, s9
	ds_write2st64_b64 v80, v[10:11], v[2:3] offset1:1
	v_and_b32_e32 v2, 63, v0
	v_cmp_gt_u32_e64 s[4:5], 32, v2
	s_and_b64 s[4:5], vcc, s[4:5]
	s_waitcnt lgkmcnt(0)
	s_barrier
	s_and_saveexec_b64 s[8:9], s[4:5]
	s_cbranch_execz .LBB685_17
; %bb.16:
	s_load_dwordx2 s[0:1], s[0:1], 0x68
	s_mul_i32 s2, s7, s2
	s_lshl_b32 s6, s6, 7
	v_lshlrev_b32_e32 v4, 6, v84
	s_mul_hi_u32 s5, s2, s6
	s_mul_i32 s4, s2, s6
	v_lshlrev_b32_e32 v3, 4, v0
	v_lshl_or_b32 v0, v0, 10, v4
	s_lshl_b64 s[4:5], s[4:5], 1
	v_lshlrev_b32_e32 v2, 5, v1
	v_and_b32_e32 v3, 16, v3
	v_and_b32_e32 v0, 0x1a00, v0
	s_waitcnt lgkmcnt(0)
	s_add_u32 s4, s0, s4
	v_or3_b32 v0, v0, v2, v3
	s_addc_u32 s5, s1, s5
	s_lshl_b32 s2, s26, 7
	ds_read_b128 v[2:5], v0
	s_lshl_b64 s[0:1], s[2:3], 1
	s_add_u32 s0, s4, s0
	v_or_b32_e32 v0, s27, v1
	s_addc_u32 s1, s5, s1
	v_mad_u64_u32 v[0:1], s[2:3], s6, v0, 0
	v_lshl_add_u64 v[0:1], v[0:1], 1, s[0:1]
	v_mov_b32_e32 v75, 0
	v_lshl_add_u64 v[0:1], v[0:1], 0, v[74:75]
	s_waitcnt lgkmcnt(0)
	global_store_dwordx4 v[0:1], v[2:5], off
.LBB685_17:
	s_endpgm
	.section	.rodata,"a",@progbits
	.p2align	6, 0x0
	.amdhsa_kernel _Z39paged_attention_ll4mi_QKV_mfma16_kernelI14__hip_bfloat16S0_LN4vllm18Fp8KVCacheDataTypeE0ES0_Li16ELi128ELi256ELb0ELi2EEvPKT_PKT0_S8_ifPKiSA_SA_iPKfiiiPfSD_PS3_PT2_iSC_SC_
		.amdhsa_group_segment_fixed_size 8192
		.amdhsa_private_segment_fixed_size 0
		.amdhsa_kernarg_size 400
		.amdhsa_user_sgpr_count 2
		.amdhsa_user_sgpr_dispatch_ptr 0
		.amdhsa_user_sgpr_queue_ptr 0
		.amdhsa_user_sgpr_kernarg_segment_ptr 1
		.amdhsa_user_sgpr_dispatch_id 0
		.amdhsa_user_sgpr_kernarg_preload_length 0
		.amdhsa_user_sgpr_kernarg_preload_offset 0
		.amdhsa_user_sgpr_private_segment_size 0
		.amdhsa_uses_dynamic_stack 0
		.amdhsa_enable_private_segment 0
		.amdhsa_system_sgpr_workgroup_id_x 1
		.amdhsa_system_sgpr_workgroup_id_y 1
		.amdhsa_system_sgpr_workgroup_id_z 1
		.amdhsa_system_sgpr_workgroup_info 0
		.amdhsa_system_vgpr_workitem_id 0
		.amdhsa_next_free_vgpr 96
		.amdhsa_next_free_sgpr 41
		.amdhsa_accum_offset 96
		.amdhsa_reserve_vcc 1
		.amdhsa_float_round_mode_32 0
		.amdhsa_float_round_mode_16_64 0
		.amdhsa_float_denorm_mode_32 3
		.amdhsa_float_denorm_mode_16_64 3
		.amdhsa_dx10_clamp 1
		.amdhsa_ieee_mode 1
		.amdhsa_fp16_overflow 0
		.amdhsa_tg_split 0
		.amdhsa_exception_fp_ieee_invalid_op 0
		.amdhsa_exception_fp_denorm_src 0
		.amdhsa_exception_fp_ieee_div_zero 0
		.amdhsa_exception_fp_ieee_overflow 0
		.amdhsa_exception_fp_ieee_underflow 0
		.amdhsa_exception_fp_ieee_inexact 0
		.amdhsa_exception_int_div_zero 0
	.end_amdhsa_kernel
	.section	.text._Z39paged_attention_ll4mi_QKV_mfma16_kernelI14__hip_bfloat16S0_LN4vllm18Fp8KVCacheDataTypeE0ES0_Li16ELi128ELi256ELb0ELi2EEvPKT_PKT0_S8_ifPKiSA_SA_iPKfiiiPfSD_PS3_PT2_iSC_SC_,"axG",@progbits,_Z39paged_attention_ll4mi_QKV_mfma16_kernelI14__hip_bfloat16S0_LN4vllm18Fp8KVCacheDataTypeE0ES0_Li16ELi128ELi256ELb0ELi2EEvPKT_PKT0_S8_ifPKiSA_SA_iPKfiiiPfSD_PS3_PT2_iSC_SC_,comdat
.Lfunc_end685:
	.size	_Z39paged_attention_ll4mi_QKV_mfma16_kernelI14__hip_bfloat16S0_LN4vllm18Fp8KVCacheDataTypeE0ES0_Li16ELi128ELi256ELb0ELi2EEvPKT_PKT0_S8_ifPKiSA_SA_iPKfiiiPfSD_PS3_PT2_iSC_SC_, .Lfunc_end685-_Z39paged_attention_ll4mi_QKV_mfma16_kernelI14__hip_bfloat16S0_LN4vllm18Fp8KVCacheDataTypeE0ES0_Li16ELi128ELi256ELb0ELi2EEvPKT_PKT0_S8_ifPKiSA_SA_iPKfiiiPfSD_PS3_PT2_iSC_SC_
                                        ; -- End function
	.section	.AMDGPU.csdata,"",@progbits
; Kernel info:
; codeLenInByte = 4616
; NumSgprs: 47
; NumVgprs: 96
; NumAgprs: 0
; TotalNumVgprs: 96
; ScratchSize: 0
; MemoryBound: 0
; FloatMode: 240
; IeeeMode: 1
; LDSByteSize: 8192 bytes/workgroup (compile time only)
; SGPRBlocks: 5
; VGPRBlocks: 11
; NumSGPRsForWavesPerEU: 47
; NumVGPRsForWavesPerEU: 96
; AccumOffset: 96
; Occupancy: 5
; WaveLimiterHint : 1
; COMPUTE_PGM_RSRC2:SCRATCH_EN: 0
; COMPUTE_PGM_RSRC2:USER_SGPR: 2
; COMPUTE_PGM_RSRC2:TRAP_HANDLER: 0
; COMPUTE_PGM_RSRC2:TGID_X_EN: 1
; COMPUTE_PGM_RSRC2:TGID_Y_EN: 1
; COMPUTE_PGM_RSRC2:TGID_Z_EN: 1
; COMPUTE_PGM_RSRC2:TIDIG_COMP_CNT: 0
; COMPUTE_PGM_RSRC3_GFX90A:ACCUM_OFFSET: 23
; COMPUTE_PGM_RSRC3_GFX90A:TG_SPLIT: 0
	.section	.text._Z39paged_attention_ll4mi_QKV_mfma16_kernelI14__hip_bfloat16S0_LN4vllm18Fp8KVCacheDataTypeE0ES0_Li16ELi128ELi256ELb0ELi3EEvPKT_PKT0_S8_ifPKiSA_SA_iPKfiiiPfSD_PS3_PT2_iSC_SC_,"axG",@progbits,_Z39paged_attention_ll4mi_QKV_mfma16_kernelI14__hip_bfloat16S0_LN4vllm18Fp8KVCacheDataTypeE0ES0_Li16ELi128ELi256ELb0ELi3EEvPKT_PKT0_S8_ifPKiSA_SA_iPKfiiiPfSD_PS3_PT2_iSC_SC_,comdat
	.protected	_Z39paged_attention_ll4mi_QKV_mfma16_kernelI14__hip_bfloat16S0_LN4vllm18Fp8KVCacheDataTypeE0ES0_Li16ELi128ELi256ELb0ELi3EEvPKT_PKT0_S8_ifPKiSA_SA_iPKfiiiPfSD_PS3_PT2_iSC_SC_ ; -- Begin function _Z39paged_attention_ll4mi_QKV_mfma16_kernelI14__hip_bfloat16S0_LN4vllm18Fp8KVCacheDataTypeE0ES0_Li16ELi128ELi256ELb0ELi3EEvPKT_PKT0_S8_ifPKiSA_SA_iPKfiiiPfSD_PS3_PT2_iSC_SC_
	.globl	_Z39paged_attention_ll4mi_QKV_mfma16_kernelI14__hip_bfloat16S0_LN4vllm18Fp8KVCacheDataTypeE0ES0_Li16ELi128ELi256ELb0ELi3EEvPKT_PKT0_S8_ifPKiSA_SA_iPKfiiiPfSD_PS3_PT2_iSC_SC_
	.p2align	8
	.type	_Z39paged_attention_ll4mi_QKV_mfma16_kernelI14__hip_bfloat16S0_LN4vllm18Fp8KVCacheDataTypeE0ES0_Li16ELi128ELi256ELb0ELi3EEvPKT_PKT0_S8_ifPKiSA_SA_iPKfiiiPfSD_PS3_PT2_iSC_SC_,@function
_Z39paged_attention_ll4mi_QKV_mfma16_kernelI14__hip_bfloat16S0_LN4vllm18Fp8KVCacheDataTypeE0ES0_Li16ELi128ELi256ELb0ELi3EEvPKT_PKT0_S8_ifPKiSA_SA_iPKfiiiPfSD_PS3_PT2_iSC_SC_: ; @_Z39paged_attention_ll4mi_QKV_mfma16_kernelI14__hip_bfloat16S0_LN4vllm18Fp8KVCacheDataTypeE0ES0_Li16ELi128ELi256ELb0ELi3EEvPKT_PKT0_S8_ifPKiSA_SA_iPKfiiiPfSD_PS3_PT2_iSC_SC_
; %bb.0:
	s_load_dwordx2 s[8:9], s[0:1], 0x30
	s_mov_b32 s26, s3
	s_mov_b64 s[6:7], 0
	s_waitcnt lgkmcnt(0)
	s_cmp_lg_u64 s[8:9], 0
	s_cselect_b64 s[10:11], -1, 0
	s_and_b64 vcc, exec, s[10:11]
	s_cbranch_vccz .LBB686_7
; %bb.1:
	s_add_i32 s12, s2, 1
	s_mov_b32 s13, 0
	s_lshl_b64 s[14:15], s[12:13], 2
	s_add_u32 s14, s8, s14
	s_mov_b32 s3, s13
	s_addc_u32 s15, s9, s15
	s_lshl_b64 s[12:13], s[2:3], 2
	s_add_u32 s12, s8, s12
	s_addc_u32 s13, s9, s13
	s_load_dword s5, s[14:15], 0x0
	s_load_dword s16, s[12:13], 0x0
	s_waitcnt lgkmcnt(0)
	s_sub_i32 s5, s5, s16
	s_cmp_eq_u32 s5, 1
	s_cselect_b64 s[12:13], -1, 0
	s_andn2_b64 vcc, exec, s[6:7]
	s_cbranch_vccnz .LBB686_3
.LBB686_2:
	s_mov_b32 s3, 0
	s_mov_b64 s[12:13], -1
.LBB686_3:
	s_andn2_b64 vcc, exec, s[12:13]
	s_cbranch_vccnz .LBB686_17
; %bb.4:
	s_load_dwordx2 s[6:7], s[0:1], 0x28
	s_lshl_b64 s[16:17], s[2:3], 2
	s_waitcnt lgkmcnt(0)
	s_add_u32 s6, s6, s16
	s_addc_u32 s7, s7, s17
	s_load_dword s33, s[6:7], 0x0
	s_lshl_b32 s18, s26, 8
	s_waitcnt lgkmcnt(0)
	s_cmp_ge_i32 s18, s33
	s_cbranch_scc1 .LBB686_17
; %bb.5:
	s_load_dwordx2 s[6:7], s[0:1], 0x20
	s_load_dword s5, s[0:1], 0x38
	s_add_i32 s12, s33, 15
	s_ashr_i32 s13, s12, 31
	v_and_b32_e32 v1, 0xcf, v0
	s_lshr_b32 s13, s13, 28
	v_add_u32_e32 v1, s18, v1
	s_add_i32 s12, s12, s13
	v_ashrrev_i32_e32 v2, 31, v1
	s_ashr_i32 s19, s12, 4
	v_lshrrev_b32_e32 v4, 28, v2
	s_add_i32 s19, s19, -1
	s_waitcnt lgkmcnt(0)
	s_mul_i32 s12, s2, s5
	s_mov_b32 s13, 0
	v_add_u32_e32 v2, v1, v4
	s_lshl_b64 s[12:13], s[12:13], 2
	v_ashrrev_i32_e32 v2, 4, v2
	v_mov_b32_e32 v5, s19
	v_cmp_gt_i32_e32 vcc, s33, v1
	s_add_u32 s6, s6, s12
	s_addc_u32 s7, s7, s13
	v_cndmask_b32_e32 v2, v5, v2, vcc
	v_ashrrev_i32_e32 v3, 31, v2
	v_lshl_add_u64 v[6:7], v[2:3], 2, s[6:7]
	v_or_b32_e32 v2, 16, v1
	v_add_u32_e32 v3, v2, v4
	v_ashrrev_i32_e32 v3, 4, v3
	v_cmp_gt_i32_e32 vcc, s33, v2
	s_load_dwordx4 s[12:15], s[0:1], 0x8
	s_nop 0
	v_cndmask_b32_e32 v2, v5, v3, vcc
	v_ashrrev_i32_e32 v3, 31, v2
	v_lshl_add_u64 v[8:9], v[2:3], 2, s[6:7]
	v_or_b32_e32 v2, 32, v1
	v_add_u32_e32 v3, v2, v4
	v_ashrrev_i32_e32 v3, 4, v3
	v_cmp_gt_i32_e32 vcc, s33, v2
	v_or_b32_e32 v1, 48, v1
	s_nop 0
	v_cndmask_b32_e32 v2, v5, v3, vcc
	v_ashrrev_i32_e32 v3, 31, v2
	v_lshl_add_u64 v[10:11], v[2:3], 2, s[6:7]
	v_add_u32_e32 v2, v1, v4
	v_ashrrev_i32_e32 v2, 4, v2
	v_cmp_gt_i32_e32 vcc, s33, v1
	s_nop 1
	v_cndmask_b32_e32 v2, v5, v2, vcc
	v_ashrrev_i32_e32 v3, 31, v2
	v_lshl_add_u64 v[12:13], v[2:3], 2, s[6:7]
	global_load_dword v4, v[6:7], off
	global_load_dword v3, v[8:9], off
	;; [unrolled: 1-line block ×4, first 2 shown]
	s_andn2_b64 vcc, exec, s[10:11]
	s_cbranch_vccnz .LBB686_8
; %bb.6:
	s_add_u32 s8, s8, s16
	s_addc_u32 s9, s9, s17
	s_load_dword s5, s[8:9], 0x0
	s_branch .LBB686_9
.LBB686_7:
	s_mov_b64 s[12:13], 0
	s_branch .LBB686_2
.LBB686_8:
	s_mov_b32 s5, s2
.LBB686_9:
	s_load_dwordx4 s[8:11], s[0:1], 0x48
	v_lshrrev_b32_e32 v77, 6, v0
	v_bfe_u32 v86, v0, 4, 2
	v_and_b32_e32 v76, 15, v0
	s_mul_i32 s40, s4, 3
	v_lshl_or_b32 v5, v77, 2, v86
	v_lshlrev_b32_e32 v6, 3, v76
	v_and_b32_e32 v87, 63, v0
	v_add_u32_e32 v1, s40, v86
	v_cmp_gt_u32_e32 vcc, 3, v5
	v_lshlrev_b32_e32 v6, 1, v6
	scratch_store_dword off, v1, off offset:8 ; 4-byte Folded Spill
	scratch_store_dwordx2 off, v[6:7], off  ; 8-byte Folded Spill
	s_and_saveexec_b64 s[16:17], vcc
	s_cbranch_execz .LBB686_11
; %bb.10:
	scratch_load_dword v1, off, off offset:8 ; 4-byte Folded Reload
	scratch_load_dwordx2 v[8:9], off, off   ; 8-byte Folded Reload
	s_load_dwordx2 s[20:21], s[0:1], 0x0
	s_waitcnt lgkmcnt(0)
	s_ashr_i32 s11, s8, 31
	s_mul_hi_u32 s22, s5, s8
	s_mul_i32 s11, s5, s11
	s_add_i32 s23, s22, s11
	s_mul_i32 s22, s5, s8
	s_lshl_b64 s[22:23], s[22:23], 1
	s_add_u32 s20, s20, s22
	s_addc_u32 s21, s21, s23
	v_mov_b32_e32 v11, 0
	v_lshlrev_b32_e32 v5, 5, v5
	s_waitcnt vmcnt(1)
	v_lshlrev_b32_e32 v6, 7, v1
	v_ashrrev_i32_e32 v7, 31, v6
	v_lshl_add_u64 v[6:7], v[6:7], 1, s[20:21]
	s_waitcnt vmcnt(0)
	v_mov_b32_e32 v10, v8
	v_lshl_add_u64 v[6:7], v[6:7], 0, v[10:11]
	scratch_store_dwordx2 off, v[8:9], off  ; 8-byte Folded Spill
	global_load_dwordx4 v[6:9], v[6:7], off
	v_and_b32_e32 v10, 3, v0
	v_lshlrev_b32_e32 v11, 9, v76
	v_lshlrev_b32_e32 v10, 9, v10
	v_and_b32_e32 v11, 0x1800, v11
	v_or3_b32 v5, v11, v10, v5
	s_waitcnt vmcnt(0)
	ds_write_b128 v5, v[6:9]
.LBB686_11:
	s_or_b64 exec, exec, s[16:17]
	s_waitcnt lgkmcnt(0)
	s_mul_i32 s4, s4, s10
	s_mov_b32 s5, 0
	s_lshl_b64 s[4:5], s[4:5], 1
	s_add_u32 s10, s12, s4
	v_lshlrev_b32_e32 v1, 4, v0
	s_addc_u32 s11, s13, s5
	v_and_b32_e32 v34, 0xf0, v1
	v_mov_b32_e32 v35, 0
	v_lshl_add_u64 v[30:31], s[10:11], 0, v[34:35]
	s_waitcnt vmcnt(5)
	v_mad_i64_i32 v[4:5], s[10:11], v4, s9, 0
	v_lshl_add_u64 v[4:5], v[4:5], 1, v[30:31]
	v_and_b32_e32 v34, 0x300, v1
	v_lshl_add_u64 v[32:33], v[4:5], 0, v[34:35]
	s_load_dword s27, s[0:1], 0x98
	s_load_dword s8, s[0:1], 0x1c
	s_waitcnt lgkmcnt(0)
	s_barrier
	global_load_dwordx4 v[6:9], v[32:33], off
	global_load_dwordx4 v[18:21], v[32:33], off offset:1024
	s_waitcnt vmcnt(6)
	v_mad_i64_i32 v[4:5], s[10:11], v3, s9, 0
	v_lshl_add_u64 v[4:5], v[4:5], 1, v[30:31]
	v_lshl_add_u64 v[36:37], v[4:5], 0, v[34:35]
	global_load_dwordx4 v[14:17], v[36:37], off
	global_load_dwordx4 v[22:25], v[36:37], off offset:1024
	s_waitcnt vmcnt(7)
	v_mad_i64_i32 v[2:3], s[10:11], v2, s9, 0
	v_lshl_add_u64 v[2:3], v[2:3], 1, v[30:31]
	v_lshl_add_u64 v[38:39], v[2:3], 0, v[34:35]
	global_load_dwordx4 v[26:29], v[38:39], off
	global_load_dwordx4 v[46:49], v[38:39], off offset:1024
	v_mul_lo_u16_e32 v2, 0x56, v76
	v_mov_b32_e32 v3, 3
	v_mul_lo_u16_sdwa v2, v2, v3 dst_sel:DWORD dst_unused:UNUSED_PAD src0_sel:BYTE_1 src1_sel:DWORD
	v_mov_b32_e32 v4, 5
	v_sub_u16_e32 v2, v76, v2
	v_lshlrev_b32_sdwa v2, v4, v2 dst_sel:DWORD dst_unused:UNUSED_PAD src0_sel:DWORD src1_sel:BYTE_0
	v_lshl_add_u32 v41, v86, 9, v2
	ds_read_b128 v[10:13], v41
	ds_read_b128 v[2:5], v41 offset:2048
	global_load_dwordx4 v[54:57], v[32:33], off offset:2048
	global_load_dwordx4 v[62:65], v[36:37], off offset:2048
	v_mov_b32_e32 v70, s19
	v_lshl_or_b32 v88, v77, 4, v76
	s_add_u32 s4, s14, s4
	s_addc_u32 s5, s15, s5
	s_mov_b32 s41, 0xff7fffff
	s_waitcnt vmcnt(7) lgkmcnt(1)
	v_mfma_f32_16x16x16_bf16 v[42:45], v[6:7], v[10:11], 0
	v_mfma_f32_16x16x16_bf16 v[6:9], v[8:9], v[12:13], v[42:45]
	s_nop 5
	global_load_dwordx4 v[42:45], v[38:39], off offset:2048
	s_waitcnt vmcnt(6)
	v_mfma_f32_16x16x16_bf16 v[50:53], v[14:15], v[10:11], 0
	s_waitcnt vmcnt(4)
	v_mfma_f32_16x16x16_bf16 v[58:61], v[26:27], v[10:11], 0
	v_mfma_f32_16x16x16_bf16 v[14:17], v[16:17], v[12:13], v[50:53]
	s_nop 3
	global_load_dwordx4 v[50:53], v[32:33], off offset:3072
	v_mfma_f32_16x16x16_bf16 v[26:29], v[28:29], v[12:13], v[58:61]
	v_mad_i64_i32 v[32:33], s[10:11], v40, s9, 0
	v_and_or_b32 v40, v0, 48, s18
	s_waitcnt lgkmcnt(0)
	v_mfma_f32_16x16x16_bf16 v[14:17], v[22:23], v[2:3], v[14:17]
	v_ashrrev_i32_e32 v58, 4, v40
	v_cmp_gt_i32_e32 vcc, s33, v40
	v_or_b32_e32 v66, 64, v40
	v_mfma_f32_16x16x16_bf16 v[6:9], v[18:19], v[2:3], v[6:9]
	v_cndmask_b32_e32 v18, v70, v58, vcc
	global_load_dwordx4 v[58:61], v[36:37], off offset:3072
	v_ashrrev_i32_e32 v22, 4, v66
	s_waitcnt vmcnt(5)
	v_mfma_f32_16x16x16_bf16 v[26:29], v[46:47], v[2:3], v[26:29]
	v_ashrrev_i32_e32 v19, 31, v18
	v_cmp_gt_i32_e32 vcc, s33, v66
	v_lshl_add_u64 v[18:19], v[18:19], 2, s[6:7]
	v_mfma_f32_16x16x16_bf16 v[14:17], v[24:25], v[4:5], v[14:17]
	v_cndmask_b32_e32 v36, v70, v22, vcc
	global_load_dwordx4 v[22:25], v[38:39], off offset:3072
	global_load_dword v82, v[18:19], off
	v_mfma_f32_16x16x16_bf16 v[6:9], v[20:21], v[4:5], v[6:9]
	v_ashrrev_i32_e32 v37, 31, v36
	ds_read_b128 v[66:69], v41 offset:4096
	v_or_b32_e32 v71, 0x80, v40
	v_mfma_f32_16x16x16_bf16 v[18:21], v[48:49], v[4:5], v[26:29]
	v_ashrrev_i32_e32 v73, 4, v71
	v_cmp_gt_i32_e32 vcc, s33, v71
	v_or_b32_e32 v72, 0xc0, v40
	v_lshl_add_u64 v[26:27], v[32:33], 1, v[30:31]
	v_lshl_add_u64 v[26:27], v[26:27], 0, v[34:35]
	v_lshl_add_u64 v[28:29], v[36:37], 2, s[6:7]
	global_load_dwordx4 v[46:49], v[26:27], off
	global_load_dword v36, v[28:29], off
	s_waitcnt vmcnt(8) lgkmcnt(0)
	v_mfma_f32_16x16x16_bf16 v[6:9], v[54:55], v[66:67], v[6:9]
	v_cndmask_b32_e32 v28, v70, v73, vcc
	v_ashrrev_i32_e32 v29, 31, v28
	v_ashrrev_i32_e32 v78, 4, v72
	v_mfma_f32_16x16x16_bf16 v[6:9], v[56:57], v[68:69], v[6:9]
	global_load_dwordx4 v[54:57], v[26:27], off offset:1024
	v_lshl_add_u64 v[28:29], v[28:29], 2, s[6:7]
	v_cmp_gt_i32_e32 vcc, s33, v72
	global_load_dword v84, v[28:29], off
	s_waitcnt vmcnt(9)
	v_mfma_f32_16x16x16_bf16 v[14:17], v[62:63], v[66:67], v[14:17]
	v_cndmask_b32_e32 v28, v70, v78, vcc
	v_ashrrev_i32_e32 v29, 31, v28
	v_lshl_add_u64 v[28:29], v[28:29], 2, s[6:7]
	v_mfma_f32_16x16x16_bf16 v[14:17], v[64:65], v[68:69], v[14:17]
	global_load_dword v64, v[28:29], off
	ds_read_b128 v[38:41], v41 offset:6144
	v_lshlrev_b32_e32 v34, 5, v88
	v_lshl_add_u64 v[62:63], s[4:5], 0, v[34:35]
	v_or_b32_e32 v34, 0x800, v34
	s_waitcnt vmcnt(9)
	v_mfma_f32_16x16x16_bf16 v[18:21], v[42:43], v[66:67], v[18:21]
	global_load_dwordx4 v[70:73], v[26:27], off offset:3072
	v_mfma_f32_16x16x16_bf16 v[18:21], v[44:45], v[68:69], v[18:21]
	global_load_dwordx4 v[42:45], v[26:27], off offset:2048
	s_waitcnt vmcnt(10) lgkmcnt(0)
	v_mfma_f32_16x16x16_bf16 v[6:9], v[50:51], v[38:39], v[6:9]
	v_mfma_f32_16x16x16_bf16 v[78:81], v[52:53], v[40:41], v[6:9]
	s_waitcnt vmcnt(9)
	v_mfma_f32_16x16x16_bf16 v[14:17], v[58:59], v[38:39], v[14:17]
	s_waitcnt vmcnt(7)
	s_nop 2
	v_mad_i64_i32 v[6:7], s[6:7], v82, s9, 0
	v_lshlrev_b64 v[82:83], 1, v[6:7]
	v_lshl_add_u64 v[6:7], v[62:63], 0, v[82:83]
	global_load_dwordx4 v[30:33], v[6:7], off
	global_load_dwordx4 v[26:29], v[6:7], off offset:16
	v_mfma_f32_16x16x16_bf16 v[6:9], v[22:23], v[38:39], v[18:21]
	v_mfma_f32_16x16x16_bf16 v[58:61], v[60:61], v[40:41], v[14:17]
	s_waitcnt vmcnt(7)
	s_nop 1
	v_mad_i64_i32 v[14:15], s[6:7], v36, s9, 0
	v_lshlrev_b64 v[36:37], 1, v[14:15]
	v_mfma_f32_16x16x16_bf16 v[90:93], v[24:25], v[40:41], v[6:9]
	s_nop 2
	v_lshl_add_u64 v[6:7], v[62:63], 0, v[36:37]
	global_load_dwordx4 v[22:25], v[6:7], off
	global_load_dwordx4 v[18:21], v[6:7], off offset:16
	v_mfma_f32_16x16x16_bf16 v[6:9], v[46:47], v[10:11], 0
	s_waitcnt vmcnt(7)
	v_mad_i64_i32 v[10:11], s[6:7], v84, s9, 0
	v_lshlrev_b64 v[50:51], 1, v[10:11]
	v_mfma_f32_16x16x16_bf16 v[6:9], v[48:49], v[12:13], v[6:9]
	v_lshl_add_u64 v[10:11], v[62:63], 0, v[50:51]
	v_pk_mul_f32 v[84:85], s[8:9], v[60:61] op_sel_hi:[0,1]
	global_load_dwordx4 v[14:17], v[10:11], off
	s_nop 0
	global_load_dwordx4 v[10:13], v[10:11], off offset:16
	v_mfma_f32_16x16x16_bf16 v[6:9], v[54:55], v[2:3], v[6:9]
	s_waitcnt vmcnt(8)
	v_mad_i64_i32 v[2:3], s[6:7], v64, s9, 0
	v_lshlrev_b64 v[52:53], 1, v[2:3]
	v_mfma_f32_16x16x16_bf16 v[46:49], v[56:57], v[4:5], v[6:9]
	v_lshl_add_u64 v[2:3], v[62:63], 0, v[52:53]
	v_pk_mul_f32 v[62:63], s[8:9], v[78:79] op_sel_hi:[0,1]
	v_lshl_add_u64 v[64:65], s[4:5], 0, v[34:35]
	v_lshl_add_u64 v[34:35], v[64:65], 0, v[82:83]
	v_pk_mul_f32 v[82:83], s[8:9], v[80:81] op_sel_hi:[0,1]
	v_pk_mul_f32 v[78:79], s[8:9], v[90:91] op_sel_hi:[0,1]
	;; [unrolled: 1-line block ×3, first 2 shown]
	global_load_dwordx4 v[6:9], v[2:3], off
	s_nop 0
	global_load_dwordx4 v[2:5], v[2:3], off offset:16
	v_lshl_add_u64 v[50:51], v[64:65], 0, v[50:51]
	s_waitcnt vmcnt(8)
	v_mfma_f32_16x16x16_bf16 v[46:49], v[42:43], v[66:67], v[46:49]
	v_mfma_f32_16x16x16_bf16 v[42:45], v[44:45], v[68:69], v[46:49]
	;; [unrolled: 1-line block ×3, first 2 shown]
	v_pk_mul_f32 v[70:71], s[8:9], v[58:59] op_sel_hi:[0,1]
	v_mfma_f32_16x16x16_bf16 v[38:41], v[72:73], v[40:41], v[42:45]
	s_nop 6
	v_pk_mul_f32 v[72:73], s[8:9], v[38:39] op_sel_hi:[0,1]
	v_and_b32_e32 v38, 0xc0, v0
	v_add_u32_e32 v38, s18, v38
	v_lshl_or_b32 v38, v86, 2, v38
	v_pk_mul_f32 v[66:67], s[8:9], v[40:41] op_sel_hi:[0,1]
	v_or_b32_e32 v41, 1, v38
	v_mov_b32_e32 v39, 0xff7fffff
	v_cmp_gt_i32_e64 s[28:29], s33, v38
	v_cmp_gt_i32_e64 s[30:31], s33, v41
	v_or_b32_e32 v42, 3, v38
	v_cndmask_b32_e64 v40, v39, v62, s[28:29]
	v_cndmask_b32_e64 v41, v39, v63, s[30:31]
	v_max3_f32 v40, v40, s41, v41
	v_or_b32_e32 v41, 2, v38
	v_cmp_gt_i32_e64 s[34:35], s33, v41
	v_cmp_gt_i32_e64 s[36:37], s33, v42
	s_nop 0
	v_cndmask_b32_e64 v41, v39, v82, s[34:35]
	v_cndmask_b32_e64 v42, v39, v83, s[36:37]
	v_max3_f32 v40, v40, v41, v42
	v_or_b32_e32 v41, 16, v38
	v_or_b32_e32 v42, 17, v38
	v_cmp_gt_i32_e64 s[22:23], s33, v41
	v_cmp_gt_i32_e64 s[24:25], s33, v42
	s_nop 0
	v_cndmask_b32_e64 v41, v39, v70, s[22:23]
	v_cndmask_b32_e64 v42, v39, v71, s[24:25]
	v_max3_f32 v40, v40, v41, v42
	v_or_b32_e32 v41, 18, v38
	;; [unrolled: 8-line block ×6, first 2 shown]
	v_or_b32_e32 v38, 51, v38
	v_cmp_gt_i32_e32 vcc, s33, v41
	v_cmp_gt_i32_e64 s[4:5], s33, v38
	s_nop 0
	v_cndmask_b32_e32 v41, v39, v66, vcc
	v_cndmask_b32_e64 v38, v39, v67, s[4:5]
	v_max3_f32 v54, v40, v41, v38
	v_mbcnt_lo_u32_b32 v38, -1, 0
	v_mbcnt_hi_u32_b32 v55, -1, v38
	v_and_b32_e32 v38, 64, v55
	v_add_u32_e32 v56, 64, v38
	v_xor_b32_e32 v38, 32, v55
	v_cmp_lt_i32_e64 s[38:39], v38, v56
	s_nop 1
	v_cndmask_b32_e64 v38, v55, v38, s[38:39]
	v_lshlrev_b32_e32 v90, 2, v38
	ds_bpermute_b32 v57, v90, v54
	global_load_dwordx4 v[46:49], v[34:35], off
	global_load_dwordx4 v[38:41], v[34:35], off offset:16
	v_lshl_add_u64 v[34:35], v[64:65], 0, v[36:37]
	global_load_dwordx4 v[42:45], v[34:35], off
	s_nop 0
	global_load_dwordx4 v[34:37], v[34:35], off offset:16
	s_waitcnt lgkmcnt(0)
	v_max_f32_e32 v57, v57, v57
	v_max_f32_e32 v68, v54, v57
	v_xor_b32_e32 v54, 16, v55
	v_cmp_lt_i32_e64 s[38:39], v54, v56
	s_nop 1
	v_cndmask_b32_e64 v54, v55, v54, s[38:39]
	v_lshlrev_b32_e32 v91, 2, v54
	ds_bpermute_b32 v69, v91, v68
	global_load_dwordx4 v[58:61], v[50:51], off
	global_load_dwordx4 v[54:57], v[50:51], off offset:16
	v_lshl_add_u64 v[50:51], v[64:65], 0, v[52:53]
	s_waitcnt lgkmcnt(0)
	v_max_f32_e32 v52, v69, v69
	v_max_f32_e32 v89, v68, v52
	v_sub_f32_e32 v52, v62, v89
	v_mul_f32_e32 v52, 0x3fb8aa3b, v52
	v_exp_f32_e32 v68, v52
	v_sub_f32_e32 v52, v63, v89
	v_mul_f32_e32 v52, 0x3fb8aa3b, v52
	v_exp_f32_e32 v69, v52
	global_load_dwordx4 v[62:65], v[50:51], off
	s_nop 0
	global_load_dwordx4 v[50:53], v[50:51], off offset:16
	v_sub_f32_e32 v82, v82, v89
	v_mul_f32_e32 v82, 0x3fb8aa3b, v82
	v_sub_f32_e32 v83, v83, v89
	v_exp_f32_e32 v82, v82
	v_mul_f32_e32 v83, 0x3fb8aa3b, v83
	v_sub_f32_e32 v70, v70, v89
	v_exp_f32_e32 v83, v83
	v_mul_f32_e32 v70, 0x3fb8aa3b, v70
	v_sub_f32_e32 v71, v71, v89
	v_cndmask_b32_e64 v68, 0, v68, s[28:29]
	v_exp_f32_e32 v70, v70
	v_mul_f32_e32 v71, 0x3fb8aa3b, v71
	v_sub_f32_e32 v84, v84, v89
	v_add_f32_e32 v92, 0, v68
	v_cndmask_b32_e64 v69, 0, v69, s[30:31]
	v_exp_f32_e32 v71, v71
	v_mul_f32_e32 v84, 0x3fb8aa3b, v84
	v_sub_f32_e32 v85, v85, v89
	v_add_f32_e32 v92, v92, v69
	;; [unrolled: 5-line block ×10, first 2 shown]
	v_cndmask_b32_e64 v80, 0, v80, s[10:11]
	v_exp_f32_e32 v66, v66
	v_mul_f32_e32 v67, 0x3fb8aa3b, v67
	v_add_f32_e32 v92, v92, v80
	v_cndmask_b32_e64 v81, 0, v81, s[12:13]
	v_exp_f32_e32 v67, v67
	v_add_f32_e32 v92, v92, v81
	v_cndmask_b32_e64 v72, 0, v72, s[6:7]
	v_add_f32_e32 v92, v92, v72
	v_cndmask_b32_e64 v73, 0, v73, s[8:9]
	v_add_f32_e32 v92, v92, v73
	v_cndmask_b32_e32 v66, 0, v66, vcc
	v_add_f32_e32 v92, v92, v66
	v_cndmask_b32_e64 v67, 0, v67, s[4:5]
	v_add_f32_e32 v92, v92, v67
	ds_bpermute_b32 v90, v90, v92
	v_cmp_gt_u32_e32 vcc, 16, v87
	s_waitcnt lgkmcnt(0)
	s_barrier
	v_add_f32_e32 v90, v92, v90
	ds_bpermute_b32 v91, v91, v90
	s_and_saveexec_b64 s[4:5], vcc
	s_cbranch_execz .LBB686_13
; %bb.12:
	s_waitcnt lgkmcnt(0)
	v_add_f32_e32 v87, v90, v91
	v_lshlrev_b32_e32 v88, 2, v88
	ds_write2st64_b32 v88, v89, v87 offset1:1
.LBB686_13:
	s_or_b64 exec, exec, s[4:5]
	v_lshlrev_b32_e32 v94, 2, v76
	s_load_dword s6, s[0:1], 0x94
	s_waitcnt lgkmcnt(0)
	s_barrier
	ds_read2_b32 v[88:89], v94 offset1:16
	ds_read2_b32 v[90:91], v94 offset0:32 offset1:48
	ds_read2_b32 v[92:93], v94 offset0:64 offset1:80
	;; [unrolled: 1-line block ×3, first 2 shown]
	s_movk_i32 s8, 0x7fff
	s_waitcnt lgkmcnt(3)
	v_max3_f32 v87, v88, s41, v89
	s_waitcnt lgkmcnt(2)
	v_max3_f32 v87, v87, v90, v91
	v_sub_f32_e32 v88, v88, v87
	v_mul_f32_e32 v88, 0x3fb8aa3b, v88
	v_exp_f32_e32 v1, v88
	v_sub_f32_e32 v88, v89, v87
	v_mul_f32_e32 v88, 0x3fb8aa3b, v88
	v_exp_f32_e32 v89, v88
	;; [unrolled: 3-line block ×4, first 2 shown]
	s_waitcnt lgkmcnt(1)
	v_fma_f32 v88, v1, v92, 0
	v_fmac_f32_e32 v88, v89, v93
	s_waitcnt lgkmcnt(0)
	v_fmac_f32_e32 v88, v90, v94
	v_fmac_f32_e32 v88, v91, v95
	v_add_f32_e32 v92, 0x358637bd, v88
	v_div_scale_f32 v93, s[4:5], v92, v92, 1.0
	v_rcp_f32_e32 v94, v93
	s_mov_b32 s9, 0x7060302
	s_barrier
	v_fma_f32 v95, -v93, v94, 1.0
	v_fmac_f32_e32 v94, v95, v94
	v_div_scale_f32 v95, vcc, 1.0, v92, 1.0
	v_mul_f32_e32 v75, v95, v94
	v_fma_f32 v74, -v93, v75, v95
	v_fmac_f32_e32 v75, v74, v94
	v_fma_f32 v74, -v93, v75, v95
	v_div_fmas_f32 v74, v74, v94, v75
	v_cmp_eq_u32_e32 vcc, 1, v77
	v_div_fixup_f32 v74, v74, v92, 1.0
	s_nop 0
	v_cndmask_b32_e32 v1, v1, v89, vcc
	v_cmp_eq_u32_e32 vcc, 2, v77
	s_mul_i32 s7, s27, 3
	s_nop 0
	v_cndmask_b32_e32 v1, v1, v90, vcc
	v_cmp_eq_u32_e32 vcc, 3, v77
	s_nop 1
	v_cndmask_b32_e32 v1, v1, v91, vcc
	v_mul_f32_e32 v90, v1, v74
	v_pk_mul_f32 v[68:69], v[90:91], v[68:69] op_sel_hi:[0,1]
	v_bfe_u32 v1, v69, 16, 1
	v_bfe_u32 v74, v68, 16, 1
	v_pk_mul_f32 v[82:83], v[90:91], v[82:83] op_sel_hi:[0,1]
	v_add3_u32 v68, v68, v74, s8
	v_add3_u32 v1, v69, v1, s8
	v_perm_b32 v92, v1, v68, s9
	v_bfe_u32 v1, v83, 16, 1
	v_bfe_u32 v68, v82, 16, 1
	v_add3_u32 v68, v82, v68, s8
	v_add3_u32 v1, v83, v1, s8
	v_perm_b32 v93, v1, v68, s9
	v_lshlrev_b32_e32 v1, 3, v86
	v_lshlrev_b32_e32 v68, 5, v76
	;; [unrolled: 1-line block ×3, first 2 shown]
	v_pk_mul_f32 v[70:71], v[90:91], v[70:71] op_sel_hi:[0,1]
	v_or3_b32 v82, v69, v68, v1
	v_bfe_u32 v1, v71, 16, 1
	v_bfe_u32 v69, v70, 16, 1
	v_pk_mul_f32 v[84:85], v[90:91], v[84:85] op_sel_hi:[0,1]
	v_add3_u32 v69, v70, v69, s8
	v_add3_u32 v1, v71, v1, s8
	v_perm_b32 v70, v1, v69, s9
	v_bfe_u32 v1, v85, 16, 1
	v_bfe_u32 v69, v84, 16, 1
	v_add3_u32 v69, v84, v69, s8
	v_add3_u32 v1, v85, v1, s8
	v_pk_mul_f32 v[78:79], v[90:91], v[78:79] op_sel_hi:[0,1]
	v_perm_b32 v71, v1, v69, s9
	v_bfe_u32 v1, v79, 16, 1
	v_bfe_u32 v69, v78, 16, 1
	ds_write2st64_b64 v82, v[92:93], v[70:71] offset1:1
	v_pk_mul_f32 v[70:71], v[90:91], v[80:81] op_sel_hi:[0,1]
	v_add3_u32 v69, v78, v69, s8
	v_add3_u32 v1, v79, v1, s8
	v_perm_b32 v78, v1, v69, s9
	v_bfe_u32 v1, v71, 16, 1
	v_bfe_u32 v69, v70, 16, 1
	v_add3_u32 v69, v70, v69, s8
	v_add3_u32 v1, v71, v1, s8
	v_pk_mul_f32 v[70:71], v[90:91], v[72:73] op_sel_hi:[0,1]
	v_perm_b32 v79, v1, v69, s9
	v_bfe_u32 v1, v71, 16, 1
	v_bfe_u32 v69, v70, 16, 1
	v_pk_mul_f32 v[66:67], v[90:91], v[66:67] op_sel_hi:[0,1]
	v_add3_u32 v69, v70, v69, s8
	v_add3_u32 v1, v71, v1, s8
	v_perm_b32 v70, v1, v69, s9
	v_bfe_u32 v1, v67, 16, 1
	v_bfe_u32 v69, v66, 16, 1
	v_add3_u32 v66, v66, v69, s8
	v_add3_u32 v1, v67, v1, s8
	v_perm_b32 v71, v1, v66, s9
	v_cmp_gt_u32_e32 vcc, 3, v0
	ds_write2st64_b64 v82, v[78:79], v[70:71] offset0:2 offset1:3
	s_and_saveexec_b64 s[4:5], vcc
	s_cbranch_execz .LBB686_15
; %bb.14:
	s_mov_b32 s41, 0
	v_mov_b32_e32 v77, 0
	v_lshl_add_u64 v[66:67], s[40:41], 0, v[76:77]
	v_mov_b32_e32 v1, s7
	v_mad_u64_u32 v[66:67], s[10:11], s2, v1, v[66:67]
	s_mul_i32 s3, s3, s7
	v_mov_b32_e32 v70, s26
	v_mov_b32_e32 v71, v77
	s_load_dwordx4 s[12:15], s[0:1], 0x58
	v_add_u32_e32 v1, s3, v67
	v_mad_u64_u32 v[66:67], s[10:11], v66, s6, v[70:71]
	v_mov_b32_e32 v70, v67
	v_mad_u64_u32 v[70:71], s[10:11], v1, s6, v[70:71]
	v_mov_b32_e32 v67, v70
	v_lshlrev_b64 v[66:67], 2, v[66:67]
	s_waitcnt lgkmcnt(0)
	v_lshl_add_u64 v[70:71], s[14:15], 0, v[66:67]
	v_lshl_add_u64 v[66:67], s[12:13], 0, v[66:67]
	global_store_dword v[70:71], v87, off
	global_store_dword v[66:67], v88, off
.LBB686_15:
	s_or_b64 exec, exec, s[4:5]
	v_lshl_or_b32 v1, v86, 9, v68
	s_waitcnt lgkmcnt(0)
	s_barrier
	ds_read_b128 v[70:73], v1
	ds_read_b128 v[66:69], v1 offset:16
	s_waitcnt vmcnt(15) lgkmcnt(1)
	v_mfma_f32_16x16x16_bf16 v[78:81], v[30:31], v[70:71], 0
	v_cmp_gt_u32_e32 vcc, 64, v0
	v_cmp_ne_u32_e64 s[4:5], 3, v86
	s_mov_b32 s3, 0
	v_mfma_f32_16x16x16_bf16 v[30:33], v[32:33], v[72:73], v[78:81]
	s_and_b64 s[4:5], vcc, s[4:5]
	s_waitcnt vmcnt(14) lgkmcnt(0)
	v_mfma_f32_16x16x16_bf16 v[30:33], v[26:27], v[66:67], v[30:33]
	v_mfma_f32_16x16x16_bf16 v[26:29], v[28:29], v[68:69], v[30:33]
	s_nop 5
	ds_read_b128 v[30:33], v1 offset:2048
	ds_read_b128 v[78:81], v1 offset:2064
	s_waitcnt vmcnt(13) lgkmcnt(1)
	v_mfma_f32_16x16x16_bf16 v[26:29], v[22:23], v[30:31], v[26:29]
	v_mfma_f32_16x16x16_bf16 v[22:25], v[24:25], v[32:33], v[26:29]
	s_waitcnt vmcnt(12) lgkmcnt(0)
	v_mfma_f32_16x16x16_bf16 v[22:25], v[18:19], v[78:79], v[22:25]
	v_mfma_f32_16x16x16_bf16 v[18:21], v[20:21], v[80:81], v[22:25]
	s_nop 5
	ds_read_b128 v[22:25], v1 offset:4096
	ds_read_b128 v[26:29], v1 offset:4112
	s_waitcnt vmcnt(11) lgkmcnt(1)
	v_mfma_f32_16x16x16_bf16 v[18:21], v[14:15], v[22:23], v[18:21]
	v_mfma_f32_16x16x16_bf16 v[14:17], v[16:17], v[24:25], v[18:21]
	s_waitcnt vmcnt(10) lgkmcnt(0)
	v_mfma_f32_16x16x16_bf16 v[14:17], v[10:11], v[26:27], v[14:17]
	v_mfma_f32_16x16x16_bf16 v[10:13], v[12:13], v[28:29], v[14:17]
	s_nop 5
	ds_read_b128 v[14:17], v1 offset:6144
	ds_read_b128 v[18:21], v1 offset:6160
	s_waitcnt lgkmcnt(0)
	s_barrier
	s_waitcnt vmcnt(9)
	v_mfma_f32_16x16x16_bf16 v[10:13], v[6:7], v[14:15], v[10:13]
	v_mfma_f32_16x16x16_bf16 v[6:9], v[8:9], v[16:17], v[10:13]
	s_waitcnt vmcnt(8)
	v_mfma_f32_16x16x16_bf16 v[6:9], v[2:3], v[18:19], v[6:9]
	v_mfma_f32_16x16x16_bf16 v[2:5], v[4:5], v[20:21], v[6:9]
	;; [unrolled: 3-line block ×3, first 2 shown]
	s_nop 3
	v_bfe_u32 v1, v3, 16, 1
	v_bfe_u32 v10, v2, 16, 1
	v_add3_u32 v2, v2, v10, s8
	s_waitcnt vmcnt(6)
	v_mfma_f32_16x16x16_bf16 v[6:9], v[38:39], v[66:67], v[6:9]
	v_add3_u32 v1, v3, v1, s8
	v_perm_b32 v10, v1, v2, s9
	v_bfe_u32 v1, v5, 16, 1
	v_mfma_f32_16x16x16_bf16 v[6:9], v[40:41], v[68:69], v[6:9]
	v_bfe_u32 v2, v4, 16, 1
	v_add3_u32 v2, v4, v2, s8
	v_add3_u32 v1, v5, v1, s8
	s_waitcnt vmcnt(5)
	v_mfma_f32_16x16x16_bf16 v[6:9], v[42:43], v[30:31], v[6:9]
	v_perm_b32 v11, v1, v2, s9
	v_mfma_f32_16x16x16_bf16 v[6:9], v[44:45], v[32:33], v[6:9]
	s_waitcnt vmcnt(4)
	v_mfma_f32_16x16x16_bf16 v[6:9], v[34:35], v[78:79], v[6:9]
	v_mfma_f32_16x16x16_bf16 v[6:9], v[36:37], v[80:81], v[6:9]
	s_waitcnt vmcnt(3)
	v_mfma_f32_16x16x16_bf16 v[6:9], v[58:59], v[22:23], v[6:9]
	;; [unrolled: 3-line block ×5, first 2 shown]
	v_mfma_f32_16x16x16_bf16 v[2:5], v[52:53], v[20:21], v[6:9]
	s_nop 6
	v_bfe_u32 v1, v3, 16, 1
	v_bfe_u32 v6, v2, 16, 1
	v_add3_u32 v2, v2, v6, s8
	v_add3_u32 v1, v3, v1, s8
	v_perm_b32 v2, v1, v2, s9
	v_bfe_u32 v1, v5, 16, 1
	v_bfe_u32 v3, v4, 16, 1
	v_add3_u32 v3, v4, v3, s8
	v_add3_u32 v1, v5, v1, s8
	v_perm_b32 v3, v1, v3, s9
	ds_write2st64_b64 v82, v[10:11], v[2:3] offset1:1
	s_waitcnt lgkmcnt(0)
	s_barrier
	s_and_saveexec_b64 s[8:9], s[4:5]
	s_cbranch_execz .LBB686_17
; %bb.16:
	v_lshlrev_b32_e32 v3, 6, v76
	v_lshlrev_b32_e32 v2, 4, v0
	v_lshl_or_b32 v0, v0, 10, v3
	v_lshlrev_b32_e32 v1, 5, v86
	v_and_b32_e32 v2, 16, v2
	v_and_b32_e32 v0, 0x1a00, v0
	v_or3_b32 v0, v0, v1, v2
	ds_read_b128 v[2:5], v0
	scratch_load_dword v0, off, off offset:8 ; 4-byte Folded Reload
	scratch_load_dwordx2 v[6:7], off, off   ; 8-byte Folded Reload
	s_load_dwordx2 s[0:1], s[0:1], 0x68
	s_mul_i32 s2, s7, s2
	s_lshl_b32 s6, s6, 7
	s_mul_hi_u32 s5, s2, s6
	s_mul_i32 s4, s2, s6
	s_lshl_b64 s[4:5], s[4:5], 1
	s_waitcnt lgkmcnt(0)
	s_add_u32 s4, s0, s4
	s_addc_u32 s5, s1, s5
	s_lshl_b32 s2, s26, 7
	s_lshl_b64 s[0:1], s[2:3], 1
	s_add_u32 s0, s4, s0
	s_addc_u32 s1, s5, s1
	s_waitcnt vmcnt(0)
	v_mov_b32_e32 v7, 0
	v_mad_u64_u32 v[0:1], s[2:3], s6, v0, 0
	v_lshl_add_u64 v[0:1], v[0:1], 1, s[0:1]
	v_lshl_add_u64 v[0:1], v[0:1], 0, v[6:7]
	global_store_dwordx4 v[0:1], v[2:5], off
.LBB686_17:
	s_endpgm
	.section	.rodata,"a",@progbits
	.p2align	6, 0x0
	.amdhsa_kernel _Z39paged_attention_ll4mi_QKV_mfma16_kernelI14__hip_bfloat16S0_LN4vllm18Fp8KVCacheDataTypeE0ES0_Li16ELi128ELi256ELb0ELi3EEvPKT_PKT0_S8_ifPKiSA_SA_iPKfiiiPfSD_PS3_PT2_iSC_SC_
		.amdhsa_group_segment_fixed_size 8192
		.amdhsa_private_segment_fixed_size 16
		.amdhsa_kernarg_size 400
		.amdhsa_user_sgpr_count 2
		.amdhsa_user_sgpr_dispatch_ptr 0
		.amdhsa_user_sgpr_queue_ptr 0
		.amdhsa_user_sgpr_kernarg_segment_ptr 1
		.amdhsa_user_sgpr_dispatch_id 0
		.amdhsa_user_sgpr_kernarg_preload_length 0
		.amdhsa_user_sgpr_kernarg_preload_offset 0
		.amdhsa_user_sgpr_private_segment_size 0
		.amdhsa_uses_dynamic_stack 0
		.amdhsa_enable_private_segment 1
		.amdhsa_system_sgpr_workgroup_id_x 1
		.amdhsa_system_sgpr_workgroup_id_y 1
		.amdhsa_system_sgpr_workgroup_id_z 1
		.amdhsa_system_sgpr_workgroup_info 0
		.amdhsa_system_vgpr_workitem_id 0
		.amdhsa_next_free_vgpr 96
		.amdhsa_next_free_sgpr 42
		.amdhsa_accum_offset 96
		.amdhsa_reserve_vcc 1
		.amdhsa_float_round_mode_32 0
		.amdhsa_float_round_mode_16_64 0
		.amdhsa_float_denorm_mode_32 3
		.amdhsa_float_denorm_mode_16_64 3
		.amdhsa_dx10_clamp 1
		.amdhsa_ieee_mode 1
		.amdhsa_fp16_overflow 0
		.amdhsa_tg_split 0
		.amdhsa_exception_fp_ieee_invalid_op 0
		.amdhsa_exception_fp_denorm_src 0
		.amdhsa_exception_fp_ieee_div_zero 0
		.amdhsa_exception_fp_ieee_overflow 0
		.amdhsa_exception_fp_ieee_underflow 0
		.amdhsa_exception_fp_ieee_inexact 0
		.amdhsa_exception_int_div_zero 0
	.end_amdhsa_kernel
	.section	.text._Z39paged_attention_ll4mi_QKV_mfma16_kernelI14__hip_bfloat16S0_LN4vllm18Fp8KVCacheDataTypeE0ES0_Li16ELi128ELi256ELb0ELi3EEvPKT_PKT0_S8_ifPKiSA_SA_iPKfiiiPfSD_PS3_PT2_iSC_SC_,"axG",@progbits,_Z39paged_attention_ll4mi_QKV_mfma16_kernelI14__hip_bfloat16S0_LN4vllm18Fp8KVCacheDataTypeE0ES0_Li16ELi128ELi256ELb0ELi3EEvPKT_PKT0_S8_ifPKiSA_SA_iPKfiiiPfSD_PS3_PT2_iSC_SC_,comdat
.Lfunc_end686:
	.size	_Z39paged_attention_ll4mi_QKV_mfma16_kernelI14__hip_bfloat16S0_LN4vllm18Fp8KVCacheDataTypeE0ES0_Li16ELi128ELi256ELb0ELi3EEvPKT_PKT0_S8_ifPKiSA_SA_iPKfiiiPfSD_PS3_PT2_iSC_SC_, .Lfunc_end686-_Z39paged_attention_ll4mi_QKV_mfma16_kernelI14__hip_bfloat16S0_LN4vllm18Fp8KVCacheDataTypeE0ES0_Li16ELi128ELi256ELb0ELi3EEvPKT_PKT0_S8_ifPKiSA_SA_iPKfiiiPfSD_PS3_PT2_iSC_SC_
                                        ; -- End function
	.section	.AMDGPU.csdata,"",@progbits
; Kernel info:
; codeLenInByte = 4720
; NumSgprs: 48
; NumVgprs: 96
; NumAgprs: 0
; TotalNumVgprs: 96
; ScratchSize: 16
; MemoryBound: 0
; FloatMode: 240
; IeeeMode: 1
; LDSByteSize: 8192 bytes/workgroup (compile time only)
; SGPRBlocks: 5
; VGPRBlocks: 11
; NumSGPRsForWavesPerEU: 48
; NumVGPRsForWavesPerEU: 96
; AccumOffset: 96
; Occupancy: 5
; WaveLimiterHint : 1
; COMPUTE_PGM_RSRC2:SCRATCH_EN: 1
; COMPUTE_PGM_RSRC2:USER_SGPR: 2
; COMPUTE_PGM_RSRC2:TRAP_HANDLER: 0
; COMPUTE_PGM_RSRC2:TGID_X_EN: 1
; COMPUTE_PGM_RSRC2:TGID_Y_EN: 1
; COMPUTE_PGM_RSRC2:TGID_Z_EN: 1
; COMPUTE_PGM_RSRC2:TIDIG_COMP_CNT: 0
; COMPUTE_PGM_RSRC3_GFX90A:ACCUM_OFFSET: 23
; COMPUTE_PGM_RSRC3_GFX90A:TG_SPLIT: 0
	.section	.text._Z39paged_attention_ll4mi_QKV_mfma16_kernelI14__hip_bfloat16S0_LN4vllm18Fp8KVCacheDataTypeE0ES0_Li16ELi128ELi256ELb0ELi4EEvPKT_PKT0_S8_ifPKiSA_SA_iPKfiiiPfSD_PS3_PT2_iSC_SC_,"axG",@progbits,_Z39paged_attention_ll4mi_QKV_mfma16_kernelI14__hip_bfloat16S0_LN4vllm18Fp8KVCacheDataTypeE0ES0_Li16ELi128ELi256ELb0ELi4EEvPKT_PKT0_S8_ifPKiSA_SA_iPKfiiiPfSD_PS3_PT2_iSC_SC_,comdat
	.protected	_Z39paged_attention_ll4mi_QKV_mfma16_kernelI14__hip_bfloat16S0_LN4vllm18Fp8KVCacheDataTypeE0ES0_Li16ELi128ELi256ELb0ELi4EEvPKT_PKT0_S8_ifPKiSA_SA_iPKfiiiPfSD_PS3_PT2_iSC_SC_ ; -- Begin function _Z39paged_attention_ll4mi_QKV_mfma16_kernelI14__hip_bfloat16S0_LN4vllm18Fp8KVCacheDataTypeE0ES0_Li16ELi128ELi256ELb0ELi4EEvPKT_PKT0_S8_ifPKiSA_SA_iPKfiiiPfSD_PS3_PT2_iSC_SC_
	.globl	_Z39paged_attention_ll4mi_QKV_mfma16_kernelI14__hip_bfloat16S0_LN4vllm18Fp8KVCacheDataTypeE0ES0_Li16ELi128ELi256ELb0ELi4EEvPKT_PKT0_S8_ifPKiSA_SA_iPKfiiiPfSD_PS3_PT2_iSC_SC_
	.p2align	8
	.type	_Z39paged_attention_ll4mi_QKV_mfma16_kernelI14__hip_bfloat16S0_LN4vllm18Fp8KVCacheDataTypeE0ES0_Li16ELi128ELi256ELb0ELi4EEvPKT_PKT0_S8_ifPKiSA_SA_iPKfiiiPfSD_PS3_PT2_iSC_SC_,@function
_Z39paged_attention_ll4mi_QKV_mfma16_kernelI14__hip_bfloat16S0_LN4vllm18Fp8KVCacheDataTypeE0ES0_Li16ELi128ELi256ELb0ELi4EEvPKT_PKT0_S8_ifPKiSA_SA_iPKfiiiPfSD_PS3_PT2_iSC_SC_: ; @_Z39paged_attention_ll4mi_QKV_mfma16_kernelI14__hip_bfloat16S0_LN4vllm18Fp8KVCacheDataTypeE0ES0_Li16ELi128ELi256ELb0ELi4EEvPKT_PKT0_S8_ifPKiSA_SA_iPKfiiiPfSD_PS3_PT2_iSC_SC_
; %bb.0:
	s_load_dwordx2 s[8:9], s[0:1], 0x30
	s_mov_b32 s28, s3
	s_mov_b64 s[6:7], 0
	s_waitcnt lgkmcnt(0)
	s_cmp_lg_u64 s[8:9], 0
	s_cselect_b64 s[10:11], -1, 0
	s_and_b64 vcc, exec, s[10:11]
	s_cbranch_vccz .LBB687_7
; %bb.1:
	s_add_i32 s12, s2, 1
	s_mov_b32 s13, 0
	s_lshl_b64 s[14:15], s[12:13], 2
	s_add_u32 s14, s8, s14
	s_mov_b32 s3, s13
	s_addc_u32 s15, s9, s15
	s_lshl_b64 s[12:13], s[2:3], 2
	s_add_u32 s12, s8, s12
	s_addc_u32 s13, s9, s13
	s_load_dword s5, s[14:15], 0x0
	s_load_dword s16, s[12:13], 0x0
	s_waitcnt lgkmcnt(0)
	s_sub_i32 s5, s5, s16
	s_cmp_eq_u32 s5, 1
	s_cselect_b64 s[12:13], -1, 0
	s_andn2_b64 vcc, exec, s[6:7]
	s_cbranch_vccnz .LBB687_3
.LBB687_2:
	s_mov_b32 s3, 0
	s_mov_b64 s[12:13], -1
.LBB687_3:
	s_andn2_b64 vcc, exec, s[12:13]
	s_cbranch_vccnz .LBB687_17
; %bb.4:
	s_load_dwordx2 s[6:7], s[0:1], 0x28
	s_lshl_b64 s[16:17], s[2:3], 2
	s_waitcnt lgkmcnt(0)
	s_add_u32 s6, s6, s16
	s_addc_u32 s7, s7, s17
	s_load_dword s40, s[6:7], 0x0
	s_lshl_b32 s18, s28, 8
	s_waitcnt lgkmcnt(0)
	s_cmp_ge_i32 s18, s40
	s_cbranch_scc1 .LBB687_17
; %bb.5:
	s_load_dwordx2 s[6:7], s[0:1], 0x20
	s_load_dword s5, s[0:1], 0x38
	s_add_i32 s12, s40, 15
	s_ashr_i32 s13, s12, 31
	v_and_b32_e32 v1, 0xcf, v0
	s_lshr_b32 s13, s13, 28
	v_add_u32_e32 v1, s18, v1
	s_add_i32 s12, s12, s13
	v_ashrrev_i32_e32 v2, 31, v1
	s_ashr_i32 s19, s12, 4
	v_lshrrev_b32_e32 v4, 28, v2
	s_add_i32 s19, s19, -1
	s_waitcnt lgkmcnt(0)
	s_mul_i32 s12, s2, s5
	s_mov_b32 s13, 0
	v_add_u32_e32 v2, v1, v4
	s_lshl_b64 s[12:13], s[12:13], 2
	v_ashrrev_i32_e32 v2, 4, v2
	v_mov_b32_e32 v5, s19
	v_cmp_gt_i32_e32 vcc, s40, v1
	s_add_u32 s6, s6, s12
	s_addc_u32 s7, s7, s13
	v_cndmask_b32_e32 v2, v5, v2, vcc
	v_ashrrev_i32_e32 v3, 31, v2
	v_lshl_add_u64 v[6:7], v[2:3], 2, s[6:7]
	v_or_b32_e32 v2, 16, v1
	v_add_u32_e32 v3, v2, v4
	v_ashrrev_i32_e32 v3, 4, v3
	v_cmp_gt_i32_e32 vcc, s40, v2
	s_load_dwordx4 s[12:15], s[0:1], 0x8
	s_nop 0
	v_cndmask_b32_e32 v2, v5, v3, vcc
	v_ashrrev_i32_e32 v3, 31, v2
	v_lshl_add_u64 v[8:9], v[2:3], 2, s[6:7]
	v_or_b32_e32 v2, 32, v1
	v_add_u32_e32 v3, v2, v4
	v_ashrrev_i32_e32 v3, 4, v3
	v_cmp_gt_i32_e32 vcc, s40, v2
	v_or_b32_e32 v1, 48, v1
	s_nop 0
	v_cndmask_b32_e32 v2, v5, v3, vcc
	v_ashrrev_i32_e32 v3, 31, v2
	v_lshl_add_u64 v[10:11], v[2:3], 2, s[6:7]
	v_add_u32_e32 v2, v1, v4
	v_ashrrev_i32_e32 v2, 4, v2
	v_cmp_gt_i32_e32 vcc, s40, v1
	s_nop 1
	v_cndmask_b32_e32 v2, v5, v2, vcc
	v_ashrrev_i32_e32 v3, 31, v2
	v_lshl_add_u64 v[12:13], v[2:3], 2, s[6:7]
	global_load_dword v5, v[6:7], off
	global_load_dword v4, v[8:9], off
	;; [unrolled: 1-line block ×4, first 2 shown]
	s_andn2_b64 vcc, exec, s[10:11]
	s_cbranch_vccnz .LBB687_8
; %bb.6:
	s_add_u32 s8, s8, s16
	s_addc_u32 s9, s9, s17
	s_load_dword s5, s[8:9], 0x0
	s_branch .LBB687_9
.LBB687_7:
	s_mov_b64 s[12:13], 0
	s_branch .LBB687_2
.LBB687_8:
	s_mov_b32 s5, s2
.LBB687_9:
	s_load_dwordx4 s[8:11], s[0:1], 0x48
	v_and_b32_e32 v94, 15, v0
	v_bfe_u32 v1, v0, 4, 2
	s_lshl_b32 s29, s4, 2
	v_lshlrev_b32_e32 v6, 3, v94
	v_or_b32_e32 v3, s29, v1
	v_lshlrev_b32_e32 v6, 1, v6
	v_lshrrev_b32_e32 v74, 6, v0
	v_and_b32_e32 v88, 63, v0
	scratch_store_dword off, v3, off offset:8 ; 4-byte Folded Spill
	v_and_b32_e32 v3, 3, v0
	v_cmp_gt_u32_e64 s[30:31], 64, v0
	scratch_store_dwordx2 off, v[6:7], off  ; 8-byte Folded Spill
	v_lshlrev_b32_e32 v6, 5, v1
	scratch_store_dword off, v6, off offset:12 ; 4-byte Folded Spill
	s_and_saveexec_b64 s[16:17], s[30:31]
	s_cbranch_execz .LBB687_11
; %bb.10:
	scratch_load_dword v6, off, off offset:8 ; 4-byte Folded Reload
	scratch_load_dwordx2 v[8:9], off, off   ; 8-byte Folded Reload
	s_load_dwordx2 s[20:21], s[0:1], 0x0
	s_waitcnt lgkmcnt(0)
	s_ashr_i32 s11, s8, 31
	s_mul_hi_u32 s22, s5, s8
	s_mul_i32 s11, s5, s11
	s_add_i32 s23, s22, s11
	s_mul_i32 s22, s5, s8
	s_lshl_b64 s[22:23], s[22:23], 1
	s_add_u32 s20, s20, s22
	s_addc_u32 s21, s21, s23
	v_mov_b32_e32 v11, 0
	v_lshlrev_b32_e32 v12, 9, v94
	v_and_b32_e32 v12, 0x1800, v12
	s_waitcnt vmcnt(1)
	v_lshlrev_b32_e32 v6, 7, v6
	v_ashrrev_i32_e32 v7, 31, v6
	v_lshl_add_u64 v[6:7], v[6:7], 1, s[20:21]
	s_waitcnt vmcnt(0)
	v_mov_b32_e32 v10, v8
	v_lshl_add_u64 v[6:7], v[6:7], 0, v[10:11]
	scratch_store_dwordx2 off, v[8:9], off  ; 8-byte Folded Spill
	global_load_dwordx4 v[6:9], v[6:7], off
	v_lshlrev_b32_e32 v10, 5, v1
	v_lshl_or_b32 v10, v74, 7, v10
	v_lshlrev_b32_e32 v11, 9, v3
	v_or3_b32 v10, v12, v11, v10
	s_waitcnt vmcnt(0)
	ds_write_b128 v10, v[6:9]
.LBB687_11:
	s_or_b64 exec, exec, s[16:17]
	s_waitcnt lgkmcnt(0)
	s_mul_i32 s4, s4, s10
	s_mov_b32 s5, 0
	s_lshl_b64 s[4:5], s[4:5], 1
	s_add_u32 s10, s12, s4
	v_lshlrev_b32_e32 v8, 4, v0
	s_addc_u32 s11, s13, s5
	v_and_b32_e32 v38, 0xf0, v8
	v_mov_b32_e32 v39, 0
	v_lshl_add_u64 v[30:31], s[10:11], 0, v[38:39]
	s_waitcnt vmcnt(6)
	v_mad_i64_i32 v[6:7], s[10:11], v5, s9, 0
	v_lshl_add_u64 v[6:7], v[6:7], 1, v[30:31]
	v_and_b32_e32 v38, 0x300, v8
	v_lshl_add_u64 v[32:33], v[6:7], 0, v[38:39]
	s_load_dword s33, s[0:1], 0x98
	s_load_dword s8, s[0:1], 0x1c
	s_waitcnt lgkmcnt(0)
	s_barrier
	global_load_dwordx4 v[10:13], v[32:33], off
	global_load_dwordx4 v[22:25], v[32:33], off offset:1024
	s_waitcnt vmcnt(7)
	v_mad_i64_i32 v[4:5], s[10:11], v4, s9, 0
	v_lshl_add_u64 v[4:5], v[4:5], 1, v[30:31]
	v_lshl_add_u64 v[40:41], v[4:5], 0, v[38:39]
	s_waitcnt vmcnt(6)
	v_mad_i64_i32 v[4:5], s[10:11], v2, s9, 0
	v_lshl_add_u64 v[4:5], v[4:5], 1, v[30:31]
	v_lshl_add_u64 v[42:43], v[4:5], 0, v[38:39]
	global_load_dwordx4 v[14:17], v[40:41], off
	global_load_dwordx4 v[18:21], v[40:41], off offset:1024
	global_load_dwordx4 v[26:29], v[42:43], off
	global_load_dwordx4 v[64:67], v[40:41], off offset:2048
	global_load_dwordx4 v[48:51], v[42:43], off offset:1024
	v_lshlrev_b32_e32 v2, 5, v3
	v_lshl_or_b32 v35, v1, 9, v2
	ds_read_b128 v[6:9], v35
	ds_read_b128 v[2:5], v35 offset:2048
	global_load_dwordx4 v[56:59], v[32:33], off offset:2048
	v_and_or_b32 v68, v0, 48, s18
	v_mov_b32_e32 v72, s19
	v_cmp_gt_i32_e32 vcc, s40, v68
	v_or_b32_e32 v73, 64, v68
	v_or_b32_e32 v80, 0x80, v68
	;; [unrolled: 1-line block ×3, first 2 shown]
	v_lshl_or_b32 v89, v74, 4, v94
	s_add_u32 s4, s14, s4
	s_addc_u32 s5, s15, s5
	s_mov_b32 s42, 0xff7fffff
	s_waitcnt vmcnt(7) lgkmcnt(1)
	v_mfma_f32_16x16x16_bf16 v[44:47], v[10:11], v[6:7], 0
	v_mfma_f32_16x16x16_bf16 v[10:13], v[12:13], v[8:9], v[44:47]
	s_nop 5
	global_load_dwordx4 v[44:47], v[42:43], off offset:2048
	s_waitcnt vmcnt(6)
	v_mfma_f32_16x16x16_bf16 v[52:55], v[14:15], v[6:7], 0
	s_waitcnt vmcnt(4)
	v_mfma_f32_16x16x16_bf16 v[60:63], v[26:27], v[6:7], 0
	v_mfma_f32_16x16x16_bf16 v[14:17], v[16:17], v[8:9], v[52:55]
	s_nop 3
	global_load_dwordx4 v[52:55], v[32:33], off offset:3072
	v_mfma_f32_16x16x16_bf16 v[26:29], v[28:29], v[8:9], v[60:63]
	v_mad_i64_i32 v[32:33], s[10:11], v34, s9, 0
	s_nop 1
	ds_read_b128 v[60:63], v35 offset:4096
	ds_read_b128 v[34:37], v35 offset:6144
	s_waitcnt lgkmcnt(2)
	v_mfma_f32_16x16x16_bf16 v[10:13], v[22:23], v[2:3], v[10:13]
	v_ashrrev_i32_e32 v22, 4, v68
	global_load_dwordx4 v[68:71], v[40:41], off offset:3072
	v_mfma_f32_16x16x16_bf16 v[14:17], v[18:19], v[2:3], v[14:17]
	v_cndmask_b32_e32 v18, v72, v22, vcc
	v_ashrrev_i32_e32 v19, 31, v18
	v_cmp_gt_i32_e32 vcc, s40, v73
	s_waitcnt vmcnt(4)
	v_mfma_f32_16x16x16_bf16 v[26:29], v[48:49], v[2:3], v[26:29]
	v_ashrrev_i32_e32 v48, 4, v80
	v_lshl_add_u64 v[18:19], v[18:19], 2, s[6:7]
	v_mfma_f32_16x16x16_bf16 v[10:13], v[24:25], v[4:5], v[10:13]
	global_load_dwordx4 v[22:25], v[42:43], off offset:3072
	v_ashrrev_i32_e32 v40, 4, v73
	v_cndmask_b32_e32 v40, v72, v40, vcc
	v_cmp_gt_i32_e32 vcc, s40, v80
	v_mfma_f32_16x16x16_bf16 v[14:17], v[20:21], v[4:5], v[14:17]
	global_load_dword v42, v[18:19], off
	v_ashrrev_i32_e32 v41, 31, v40
	v_mfma_f32_16x16x16_bf16 v[18:21], v[50:51], v[4:5], v[26:29]
	s_nop 2
	v_cndmask_b32_e32 v28, v72, v48, vcc
	v_ashrrev_i32_e32 v29, 31, v28
	v_lshl_add_u64 v[26:27], v[40:41], 2, s[6:7]
	v_lshl_add_u64 v[28:29], v[28:29], 2, s[6:7]
	global_load_dword v43, v[26:27], off
	global_load_dword v50, v[28:29], off
	v_lshl_add_u64 v[26:27], v[32:33], 1, v[30:31]
	v_lshl_add_u64 v[26:27], v[26:27], 0, v[38:39]
	global_load_dwordx4 v[76:79], v[26:27], off
	s_waitcnt vmcnt(8) lgkmcnt(1)
	v_mfma_f32_16x16x16_bf16 v[10:13], v[56:57], v[60:61], v[10:13]
	v_ashrrev_i32_e32 v40, 4, v81
	v_cmp_gt_i32_e32 vcc, s40, v81
	v_lshlrev_b32_e32 v38, 5, v89
	v_mfma_f32_16x16x16_bf16 v[10:13], v[58:59], v[62:63], v[10:13]
	global_load_dwordx4 v[56:59], v[26:27], off offset:1024
	v_cndmask_b32_e32 v28, v72, v40, vcc
	v_ashrrev_i32_e32 v29, 31, v28
	v_lshl_add_u64 v[28:29], v[28:29], 2, s[6:7]
	v_mfma_f32_16x16x16_bf16 v[14:17], v[64:65], v[60:61], v[14:17]
	global_load_dword v64, v[28:29], off
	v_lshl_add_u64 v[40:41], s[4:5], 0, v[38:39]
	v_or_b32_e32 v38, 0x800, v38
	v_mfma_f32_16x16x16_bf16 v[14:17], v[66:67], v[62:63], v[14:17]
	global_load_dwordx4 v[90:93], v[26:27], off offset:3072
	s_waitcnt vmcnt(10)
	v_mfma_f32_16x16x16_bf16 v[18:21], v[44:45], v[60:61], v[18:21]
	v_mfma_f32_16x16x16_bf16 v[18:21], v[46:47], v[62:63], v[18:21]
	global_load_dwordx4 v[44:47], v[26:27], off offset:2048
	s_waitcnt vmcnt(10) lgkmcnt(0)
	v_mfma_f32_16x16x16_bf16 v[10:13], v[52:53], v[34:35], v[10:13]
	s_waitcnt vmcnt(8)
	v_mfma_f32_16x16x16_bf16 v[18:21], v[22:23], v[34:35], v[18:21]
	s_waitcnt vmcnt(7)
	v_mad_i64_i32 v[22:23], s[6:7], v42, s9, 0
	v_lshlrev_b64 v[48:49], 1, v[22:23]
	v_mfma_f32_16x16x16_bf16 v[14:17], v[68:69], v[34:35], v[14:17]
	v_mfma_f32_16x16x16_bf16 v[66:69], v[54:55], v[36:37], v[10:13]
	s_waitcnt vmcnt(6)
	s_nop 1
	v_mad_i64_i32 v[10:11], s[6:7], v43, s9, 0
	v_lshlrev_b64 v[42:43], 1, v[10:11]
	v_lshl_add_u64 v[12:13], v[40:41], 0, v[48:49]
	v_lshl_add_u64 v[10:11], v[40:41], 0, v[42:43]
	global_load_dwordx4 v[30:33], v[12:13], off
	global_load_dwordx4 v[26:29], v[12:13], off offset:16
	v_mfma_f32_16x16x16_bf16 v[84:87], v[24:25], v[36:37], v[18:21]
	global_load_dwordx4 v[22:25], v[10:11], off
	s_nop 1
	global_load_dwordx4 v[18:21], v[10:11], off offset:16
	v_pk_mul_f32 v[80:81], s[8:9], v[68:69] op_sel_hi:[0,1]
	s_waitcnt vmcnt(8)
	v_mfma_f32_16x16x16_bf16 v[10:13], v[76:77], v[6:7], 0
	v_mad_i64_i32 v[6:7], s[6:7], v50, s9, 0
	v_lshlrev_b64 v[50:51], 1, v[6:7]
	v_mfma_f32_16x16x16_bf16 v[6:9], v[78:79], v[8:9], v[10:13]
	v_pk_mul_f32 v[76:77], s[8:9], v[84:85] op_sel_hi:[0,1]
	v_pk_mul_f32 v[78:79], s[8:9], v[86:87] op_sel_hi:[0,1]
	s_waitcnt vmcnt(7)
	v_mfma_f32_16x16x16_bf16 v[6:9], v[56:57], v[2:3], v[6:9]
	s_waitcnt vmcnt(6)
	v_mad_i64_i32 v[2:3], s[6:7], v64, s9, 0
	v_lshlrev_b64 v[52:53], 1, v[2:3]
	v_mfma_f32_16x16x16_bf16 v[54:57], v[58:59], v[4:5], v[6:9]
	v_lshl_add_u64 v[10:11], v[40:41], 0, v[50:51]
	v_lshl_add_u64 v[2:3], v[40:41], 0, v[52:53]
	;; [unrolled: 1-line block ×3, first 2 shown]
	v_mfma_f32_16x16x16_bf16 v[70:73], v[70:71], v[36:37], v[14:17]
	v_lshl_add_u64 v[50:51], v[64:65], 0, v[50:51]
	s_nop 1
	global_load_dwordx4 v[14:17], v[10:11], off
	s_nop 0
	global_load_dwordx4 v[10:13], v[10:11], off offset:16
	s_nop 0
	global_load_dwordx4 v[6:9], v[2:3], off
	s_nop 0
	global_load_dwordx4 v[2:5], v[2:3], off offset:16
	s_waitcnt vmcnt(8)
	v_mfma_f32_16x16x16_bf16 v[54:57], v[44:45], v[60:61], v[54:57]
	v_pk_mul_f32 v[82:83], s[8:9], v[72:73] op_sel_hi:[0,1]
	v_pk_mul_f32 v[70:71], s[8:9], v[70:71] op_sel_hi:[0,1]
	v_lshl_add_u64 v[44:45], v[64:65], 0, v[48:49]
	v_mfma_f32_16x16x16_bf16 v[38:41], v[46:47], v[62:63], v[54:57]
	v_pk_mul_f32 v[62:63], s[8:9], v[66:67] op_sel_hi:[0,1]
	v_mfma_f32_16x16x16_bf16 v[38:41], v[90:91], v[34:35], v[38:41]
	v_mfma_f32_16x16x16_bf16 v[34:37], v[92:93], v[36:37], v[38:41]
	s_nop 6
	v_pk_mul_f32 v[72:73], s[8:9], v[34:35] op_sel_hi:[0,1]
	v_and_b32_e32 v34, 0xc0, v0
	v_add_u32_e32 v34, s18, v34
	v_lshl_or_b32 v34, v1, 2, v34
	v_pk_mul_f32 v[66:67], s[8:9], v[36:37] op_sel_hi:[0,1]
	v_or_b32_e32 v37, 1, v34
	v_mov_b32_e32 v35, 0xff7fffff
	v_cmp_gt_i32_e64 s[4:5], s40, v34
	v_cmp_gt_i32_e64 s[34:35], s40, v37
	v_or_b32_e32 v38, 3, v34
	v_cndmask_b32_e64 v36, v35, v62, s[4:5]
	v_cndmask_b32_e64 v37, v35, v63, s[34:35]
	v_max3_f32 v36, v36, s42, v37
	v_or_b32_e32 v37, 2, v34
	v_cmp_gt_i32_e64 s[36:37], s40, v37
	v_cmp_gt_i32_e64 s[38:39], s40, v38
	s_nop 0
	v_cndmask_b32_e64 v37, v35, v80, s[36:37]
	v_cndmask_b32_e64 v38, v35, v81, s[38:39]
	v_max3_f32 v36, v36, v37, v38
	v_or_b32_e32 v37, 16, v34
	v_or_b32_e32 v38, 17, v34
	v_cmp_gt_i32_e64 s[24:25], s40, v37
	v_cmp_gt_i32_e64 s[26:27], s40, v38
	s_nop 0
	v_cndmask_b32_e64 v37, v35, v70, s[24:25]
	v_cndmask_b32_e64 v38, v35, v71, s[26:27]
	v_max3_f32 v36, v36, v37, v38
	v_or_b32_e32 v37, 18, v34
	;; [unrolled: 8-line block ×6, first 2 shown]
	v_or_b32_e32 v34, 51, v34
	v_cmp_gt_i32_e32 vcc, s40, v37
	v_cmp_gt_i32_e64 s[6:7], s40, v34
	global_load_dwordx4 v[46:49], v[44:45], off
	global_load_dwordx4 v[38:41], v[44:45], off offset:16
	v_cndmask_b32_e32 v37, v35, v66, vcc
	v_cndmask_b32_e64 v34, v35, v67, s[6:7]
	v_max3_f32 v54, v36, v37, v34
	v_mbcnt_lo_u32_b32 v34, -1, 0
	v_mbcnt_hi_u32_b32 v55, -1, v34
	v_and_b32_e32 v34, 64, v55
	v_add_u32_e32 v56, 64, v34
	v_xor_b32_e32 v34, 32, v55
	v_cmp_lt_i32_e64 s[40:41], v34, v56
	s_nop 1
	v_cndmask_b32_e64 v34, v55, v34, s[40:41]
	v_lshlrev_b32_e32 v84, 2, v34
	ds_bpermute_b32 v57, v84, v54
	v_lshl_add_u64 v[34:35], v[64:65], 0, v[42:43]
	global_load_dwordx4 v[42:45], v[34:35], off
	s_nop 0
	global_load_dwordx4 v[34:37], v[34:35], off offset:16
	s_waitcnt lgkmcnt(0)
	v_max_f32_e32 v57, v57, v57
	v_max_f32_e32 v68, v54, v57
	v_xor_b32_e32 v54, 16, v55
	v_cmp_lt_i32_e64 s[40:41], v54, v56
	s_nop 1
	v_cndmask_b32_e64 v54, v55, v54, s[40:41]
	v_lshlrev_b32_e32 v85, 2, v54
	ds_bpermute_b32 v69, v85, v68
	global_load_dwordx4 v[58:61], v[50:51], off
	global_load_dwordx4 v[54:57], v[50:51], off offset:16
	v_lshl_add_u64 v[50:51], v[64:65], 0, v[52:53]
	s_waitcnt lgkmcnt(0)
	v_max_f32_e32 v52, v69, v69
	v_max_f32_e32 v90, v68, v52
	v_sub_f32_e32 v52, v62, v90
	v_mul_f32_e32 v52, 0x3fb8aa3b, v52
	v_exp_f32_e32 v68, v52
	v_sub_f32_e32 v52, v63, v90
	v_mul_f32_e32 v52, 0x3fb8aa3b, v52
	v_exp_f32_e32 v69, v52
	global_load_dwordx4 v[62:65], v[50:51], off
	s_nop 0
	global_load_dwordx4 v[50:53], v[50:51], off offset:16
	v_sub_f32_e32 v80, v80, v90
	v_mul_f32_e32 v80, 0x3fb8aa3b, v80
	v_sub_f32_e32 v81, v81, v90
	v_exp_f32_e32 v80, v80
	v_mul_f32_e32 v81, 0x3fb8aa3b, v81
	v_sub_f32_e32 v70, v70, v90
	v_exp_f32_e32 v81, v81
	v_mul_f32_e32 v70, 0x3fb8aa3b, v70
	v_sub_f32_e32 v71, v71, v90
	v_cndmask_b32_e64 v68, 0, v68, s[4:5]
	v_exp_f32_e32 v70, v70
	v_mul_f32_e32 v71, 0x3fb8aa3b, v71
	v_sub_f32_e32 v82, v82, v90
	v_add_f32_e32 v86, 0, v68
	v_cndmask_b32_e64 v69, 0, v69, s[34:35]
	v_exp_f32_e32 v71, v71
	v_mul_f32_e32 v82, 0x3fb8aa3b, v82
	v_sub_f32_e32 v83, v83, v90
	v_add_f32_e32 v86, v86, v69
	;; [unrolled: 5-line block ×10, first 2 shown]
	v_cndmask_b32_e64 v78, 0, v78, s[12:13]
	v_exp_f32_e32 v66, v66
	v_mul_f32_e32 v67, 0x3fb8aa3b, v67
	v_add_f32_e32 v86, v86, v78
	v_cndmask_b32_e64 v79, 0, v79, s[14:15]
	v_exp_f32_e32 v67, v67
	v_add_f32_e32 v86, v86, v79
	v_cndmask_b32_e64 v72, 0, v72, s[8:9]
	v_add_f32_e32 v86, v86, v72
	v_cndmask_b32_e64 v73, 0, v73, s[10:11]
	v_add_f32_e32 v86, v86, v73
	v_cndmask_b32_e32 v66, 0, v66, vcc
	v_add_f32_e32 v86, v86, v66
	v_cndmask_b32_e64 v67, 0, v67, s[6:7]
	v_add_f32_e32 v86, v86, v67
	ds_bpermute_b32 v84, v84, v86
	v_cmp_gt_u32_e32 vcc, 16, v88
	s_waitcnt lgkmcnt(0)
	s_barrier
	v_add_f32_e32 v91, v86, v84
	ds_bpermute_b32 v92, v85, v91
	s_and_saveexec_b64 s[4:5], vcc
	s_cbranch_execz .LBB687_13
; %bb.12:
	s_waitcnt lgkmcnt(0)
	v_add_f32_e32 v84, v91, v92
	v_lshlrev_b32_e32 v85, 2, v89
	ds_write2st64_b32 v85, v90, v84 offset1:1
.LBB687_13:
	s_or_b64 exec, exec, s[4:5]
	v_lshlrev_b32_e32 v89, 2, v94
	s_load_dword s6, s[0:1], 0x94
	s_waitcnt lgkmcnt(0)
	s_barrier
	ds_read2_b32 v[84:85], v89 offset1:16
	ds_read2_b32 v[86:87], v89 offset0:32 offset1:48
	ds_read2_b32 v[90:91], v89 offset0:64 offset1:80
	s_movk_i32 s8, 0x7fff
	s_mov_b32 s9, 0x7060302
	s_waitcnt lgkmcnt(2)
	v_max3_f32 v88, v84, s42, v85
	s_waitcnt lgkmcnt(1)
	v_max3_f32 v88, v88, v86, v87
	v_sub_f32_e32 v84, v84, v88
	v_mul_f32_e32 v84, 0x3fb8aa3b, v84
	v_exp_f32_e32 v92, v84
	v_sub_f32_e32 v84, v85, v88
	v_mul_f32_e32 v84, 0x3fb8aa3b, v84
	v_exp_f32_e32 v93, v84
	;; [unrolled: 3-line block ×3, first 2 shown]
	ds_read2_b32 v[84:85], v89 offset0:96 offset1:112
	v_sub_f32_e32 v87, v87, v88
	v_mul_f32_e32 v87, 0x3fb8aa3b, v87
	v_exp_f32_e32 v87, v87
	s_waitcnt lgkmcnt(1)
	v_fma_f32 v89, v92, v90, 0
	v_fmac_f32_e32 v89, v93, v91
	s_waitcnt lgkmcnt(0)
	v_fmac_f32_e32 v89, v86, v84
	v_fmac_f32_e32 v89, v87, v85
	v_add_f32_e32 v84, 0x358637bd, v89
	v_div_scale_f32 v85, s[4:5], v84, v84, 1.0
	v_rcp_f32_e32 v90, v85
	s_barrier
	v_fma_f32 v91, -v85, v90, 1.0
	v_fmac_f32_e32 v90, v91, v90
	v_div_scale_f32 v91, vcc, 1.0, v84, 1.0
	v_mul_f32_e32 v95, v91, v90
	v_fma_f32 v75, -v85, v95, v91
	v_fmac_f32_e32 v95, v75, v90
	v_fma_f32 v75, -v85, v95, v91
	v_div_fmas_f32 v75, v75, v90, v95
	v_cmp_eq_u32_e32 vcc, 1, v74
	v_div_fixup_f32 v75, v75, v84, 1.0
	s_lshl_b32 s7, s33, 2
	v_cndmask_b32_e32 v84, v92, v93, vcc
	v_cmp_eq_u32_e32 vcc, 2, v74
	s_nop 1
	v_cndmask_b32_e32 v84, v84, v86, vcc
	v_cmp_eq_u32_e32 vcc, 3, v74
	v_lshlrev_b32_e32 v74, 11, v74
	s_nop 0
	v_cndmask_b32_e32 v84, v84, v87, vcc
	v_mul_f32_e32 v84, v84, v75
	v_pk_mul_f32 v[68:69], v[84:85], v[68:69] op_sel_hi:[0,1]
	v_pk_mul_f32 v[80:81], v[84:85], v[80:81] op_sel_hi:[0,1]
	v_bfe_u32 v75, v69, 16, 1
	v_bfe_u32 v85, v68, 16, 1
	v_add3_u32 v68, v68, v85, s8
	v_add3_u32 v69, v69, v75, s8
	v_perm_b32 v86, v69, v68, s9
	v_bfe_u32 v68, v81, 16, 1
	v_bfe_u32 v69, v80, 16, 1
	v_add3_u32 v69, v80, v69, s8
	v_add3_u32 v68, v81, v68, s8
	v_perm_b32 v87, v68, v69, s9
	v_lshlrev_b32_e32 v69, 3, v1
	v_lshlrev_b32_e32 v68, 5, v94
	v_pk_mul_f32 v[70:71], v[84:85], v[70:71] op_sel_hi:[0,1]
	v_or3_b32 v80, v74, v68, v69
	v_bfe_u32 v69, v71, 16, 1
	v_bfe_u32 v74, v70, 16, 1
	v_pk_mul_f32 v[82:83], v[84:85], v[82:83] op_sel_hi:[0,1]
	v_add3_u32 v70, v70, v74, s8
	v_add3_u32 v69, v71, v69, s8
	v_perm_b32 v70, v69, v70, s9
	v_bfe_u32 v69, v83, 16, 1
	v_bfe_u32 v71, v82, 16, 1
	v_add3_u32 v71, v82, v71, s8
	v_add3_u32 v69, v83, v69, s8
	v_pk_mul_f32 v[76:77], v[84:85], v[76:77] op_sel_hi:[0,1]
	v_perm_b32 v71, v69, v71, s9
	v_bfe_u32 v69, v77, 16, 1
	v_bfe_u32 v74, v76, 16, 1
	ds_write2st64_b64 v80, v[86:87], v[70:71] offset1:1
	v_pk_mul_f32 v[70:71], v[84:85], v[78:79] op_sel_hi:[0,1]
	v_add3_u32 v74, v76, v74, s8
	v_add3_u32 v69, v77, v69, s8
	v_perm_b32 v76, v69, v74, s9
	v_bfe_u32 v69, v71, 16, 1
	v_bfe_u32 v74, v70, 16, 1
	v_add3_u32 v70, v70, v74, s8
	v_add3_u32 v69, v71, v69, s8
	v_perm_b32 v77, v69, v70, s9
	v_pk_mul_f32 v[70:71], v[84:85], v[72:73] op_sel_hi:[0,1]
	v_bfe_u32 v69, v71, 16, 1
	v_bfe_u32 v72, v70, 16, 1
	v_pk_mul_f32 v[66:67], v[84:85], v[66:67] op_sel_hi:[0,1]
	v_add3_u32 v70, v70, v72, s8
	v_add3_u32 v69, v71, v69, s8
	v_perm_b32 v70, v69, v70, s9
	v_bfe_u32 v69, v67, 16, 1
	v_bfe_u32 v71, v66, 16, 1
	v_add3_u32 v66, v66, v71, s8
	v_add3_u32 v67, v67, v69, s8
	v_perm_b32 v71, v67, v66, s9
	v_cmp_gt_u32_e32 vcc, 4, v0
	ds_write2st64_b64 v80, v[76:77], v[70:71] offset0:2 offset1:3
	s_and_saveexec_b64 s[4:5], vcc
	s_cbranch_execz .LBB687_15
; %bb.14:
	v_or_b32_e32 v66, s29, v0
	v_mov_b32_e32 v67, 0
	v_mov_b32_e32 v69, s7
	v_mad_u64_u32 v[70:71], s[10:11], s2, v69, v[66:67]
	v_mov_b32_e32 v66, s28
	s_load_dwordx4 s[12:15], s[0:1], 0x58
	s_mul_i32 s3, s3, s7
	v_mad_u64_u32 v[66:67], s[10:11], v70, s6, v[66:67]
	v_add_u32_e32 v69, s3, v71
	v_mov_b32_e32 v70, v67
	v_mad_u64_u32 v[70:71], s[10:11], v69, s6, v[70:71]
	v_mov_b32_e32 v67, v70
	v_lshlrev_b64 v[66:67], 2, v[66:67]
	s_waitcnt lgkmcnt(0)
	v_lshl_add_u64 v[70:71], s[14:15], 0, v[66:67]
	v_lshl_add_u64 v[66:67], s[12:13], 0, v[66:67]
	global_store_dword v[70:71], v88, off
	global_store_dword v[66:67], v89, off
.LBB687_15:
	s_or_b64 exec, exec, s[4:5]
	v_lshl_or_b32 v1, v1, 9, v68
	s_waitcnt lgkmcnt(0)
	s_barrier
	ds_read_b128 v[70:73], v1
	ds_read_b128 v[66:69], v1 offset:16
	s_waitcnt vmcnt(15) lgkmcnt(1)
	v_mfma_f32_16x16x16_bf16 v[76:79], v[30:31], v[70:71], 0
	s_mov_b32 s3, 0
	v_mfma_f32_16x16x16_bf16 v[30:33], v[32:33], v[72:73], v[76:79]
	s_waitcnt vmcnt(14) lgkmcnt(0)
	v_mfma_f32_16x16x16_bf16 v[30:33], v[26:27], v[66:67], v[30:33]
	v_mfma_f32_16x16x16_bf16 v[26:29], v[28:29], v[68:69], v[30:33]
	s_nop 5
	ds_read_b128 v[30:33], v1 offset:2048
	ds_read_b128 v[76:79], v1 offset:2064
	s_waitcnt vmcnt(13) lgkmcnt(1)
	v_mfma_f32_16x16x16_bf16 v[26:29], v[22:23], v[30:31], v[26:29]
	v_mfma_f32_16x16x16_bf16 v[22:25], v[24:25], v[32:33], v[26:29]
	s_waitcnt vmcnt(12) lgkmcnt(0)
	v_mfma_f32_16x16x16_bf16 v[22:25], v[18:19], v[76:77], v[22:25]
	v_mfma_f32_16x16x16_bf16 v[18:21], v[20:21], v[78:79], v[22:25]
	s_nop 5
	ds_read_b128 v[22:25], v1 offset:4096
	ds_read_b128 v[26:29], v1 offset:4112
	s_waitcnt vmcnt(11) lgkmcnt(1)
	v_mfma_f32_16x16x16_bf16 v[18:21], v[14:15], v[22:23], v[18:21]
	v_mfma_f32_16x16x16_bf16 v[14:17], v[16:17], v[24:25], v[18:21]
	s_waitcnt vmcnt(10) lgkmcnt(0)
	v_mfma_f32_16x16x16_bf16 v[14:17], v[10:11], v[26:27], v[14:17]
	v_mfma_f32_16x16x16_bf16 v[10:13], v[12:13], v[28:29], v[14:17]
	s_nop 5
	ds_read_b128 v[14:17], v1 offset:6144
	ds_read_b128 v[18:21], v1 offset:6160
	s_waitcnt lgkmcnt(0)
	s_barrier
	s_waitcnt vmcnt(9)
	v_mfma_f32_16x16x16_bf16 v[10:13], v[6:7], v[14:15], v[10:13]
	v_mfma_f32_16x16x16_bf16 v[6:9], v[8:9], v[16:17], v[10:13]
	s_waitcnt vmcnt(8)
	v_mfma_f32_16x16x16_bf16 v[6:9], v[2:3], v[18:19], v[6:9]
	v_mfma_f32_16x16x16_bf16 v[2:5], v[4:5], v[20:21], v[6:9]
	;; [unrolled: 3-line block ×3, first 2 shown]
	s_nop 3
	v_bfe_u32 v1, v3, 16, 1
	v_bfe_u32 v10, v2, 16, 1
	v_add3_u32 v2, v2, v10, s8
	s_waitcnt vmcnt(6)
	v_mfma_f32_16x16x16_bf16 v[6:9], v[38:39], v[66:67], v[6:9]
	v_add3_u32 v1, v3, v1, s8
	v_perm_b32 v10, v1, v2, s9
	v_bfe_u32 v1, v5, 16, 1
	v_mfma_f32_16x16x16_bf16 v[6:9], v[40:41], v[68:69], v[6:9]
	v_bfe_u32 v2, v4, 16, 1
	v_add3_u32 v2, v4, v2, s8
	v_add3_u32 v1, v5, v1, s8
	s_waitcnt vmcnt(5)
	v_mfma_f32_16x16x16_bf16 v[6:9], v[42:43], v[30:31], v[6:9]
	v_perm_b32 v11, v1, v2, s9
	v_mfma_f32_16x16x16_bf16 v[6:9], v[44:45], v[32:33], v[6:9]
	s_waitcnt vmcnt(4)
	v_mfma_f32_16x16x16_bf16 v[6:9], v[34:35], v[76:77], v[6:9]
	v_mfma_f32_16x16x16_bf16 v[6:9], v[36:37], v[78:79], v[6:9]
	s_waitcnt vmcnt(3)
	v_mfma_f32_16x16x16_bf16 v[6:9], v[58:59], v[22:23], v[6:9]
	v_mfma_f32_16x16x16_bf16 v[6:9], v[60:61], v[24:25], v[6:9]
	s_waitcnt vmcnt(2)
	v_mfma_f32_16x16x16_bf16 v[6:9], v[54:55], v[26:27], v[6:9]
	v_mfma_f32_16x16x16_bf16 v[6:9], v[56:57], v[28:29], v[6:9]
	s_waitcnt vmcnt(1)
	v_mfma_f32_16x16x16_bf16 v[6:9], v[62:63], v[14:15], v[6:9]
	v_mfma_f32_16x16x16_bf16 v[6:9], v[64:65], v[16:17], v[6:9]
	s_waitcnt vmcnt(0)
	v_mfma_f32_16x16x16_bf16 v[6:9], v[50:51], v[18:19], v[6:9]
	v_mfma_f32_16x16x16_bf16 v[2:5], v[52:53], v[20:21], v[6:9]
	s_nop 6
	v_bfe_u32 v1, v3, 16, 1
	v_bfe_u32 v6, v2, 16, 1
	v_add3_u32 v2, v2, v6, s8
	v_add3_u32 v1, v3, v1, s8
	v_perm_b32 v2, v1, v2, s9
	v_bfe_u32 v1, v5, 16, 1
	v_bfe_u32 v3, v4, 16, 1
	v_add3_u32 v3, v4, v3, s8
	v_add3_u32 v1, v5, v1, s8
	v_perm_b32 v3, v1, v3, s9
	ds_write2st64_b64 v80, v[10:11], v[2:3] offset1:1
	s_waitcnt lgkmcnt(0)
	s_barrier
	s_and_saveexec_b64 s[4:5], s[30:31]
	s_cbranch_execz .LBB687_17
; %bb.16:
	v_lshlrev_b32_e32 v2, 6, v94
	v_lshlrev_b32_e32 v1, 4, v0
	v_lshl_or_b32 v0, v0, 10, v2
	scratch_load_dword v2, off, off offset:12 ; 4-byte Folded Reload
	scratch_load_dword v4, off, off offset:8 ; 4-byte Folded Reload
	scratch_load_dwordx2 v[6:7], off, off   ; 8-byte Folded Reload
	s_load_dwordx2 s[0:1], s[0:1], 0x68
	s_lshl_b32 s6, s6, 7
	s_mul_i32 s2, s7, s2
	s_mul_hi_u32 s5, s2, s6
	s_mul_i32 s4, s2, s6
	s_lshl_b64 s[4:5], s[4:5], 1
	v_and_b32_e32 v1, 16, v1
	v_and_b32_e32 v0, 0x1a00, v0
	s_waitcnt lgkmcnt(0)
	s_add_u32 s4, s0, s4
	s_addc_u32 s5, s1, s5
	s_lshl_b32 s2, s28, 7
	s_lshl_b64 s[0:1], s[2:3], 1
	s_add_u32 s0, s4, s0
	s_addc_u32 s1, s5, s1
	s_waitcnt vmcnt(0)
	v_mov_b32_e32 v7, 0
	v_or3_b32 v0, v0, v2, v1
	ds_read_b128 v[0:3], v0
	v_mad_u64_u32 v[4:5], s[2:3], s6, v4, 0
	v_lshl_add_u64 v[4:5], v[4:5], 1, s[0:1]
	v_lshl_add_u64 v[4:5], v[4:5], 0, v[6:7]
	s_waitcnt lgkmcnt(0)
	global_store_dwordx4 v[4:5], v[0:3], off
.LBB687_17:
	s_endpgm
	.section	.rodata,"a",@progbits
	.p2align	6, 0x0
	.amdhsa_kernel _Z39paged_attention_ll4mi_QKV_mfma16_kernelI14__hip_bfloat16S0_LN4vllm18Fp8KVCacheDataTypeE0ES0_Li16ELi128ELi256ELb0ELi4EEvPKT_PKT0_S8_ifPKiSA_SA_iPKfiiiPfSD_PS3_PT2_iSC_SC_
		.amdhsa_group_segment_fixed_size 8192
		.amdhsa_private_segment_fixed_size 20
		.amdhsa_kernarg_size 400
		.amdhsa_user_sgpr_count 2
		.amdhsa_user_sgpr_dispatch_ptr 0
		.amdhsa_user_sgpr_queue_ptr 0
		.amdhsa_user_sgpr_kernarg_segment_ptr 1
		.amdhsa_user_sgpr_dispatch_id 0
		.amdhsa_user_sgpr_kernarg_preload_length 0
		.amdhsa_user_sgpr_kernarg_preload_offset 0
		.amdhsa_user_sgpr_private_segment_size 0
		.amdhsa_uses_dynamic_stack 0
		.amdhsa_enable_private_segment 1
		.amdhsa_system_sgpr_workgroup_id_x 1
		.amdhsa_system_sgpr_workgroup_id_y 1
		.amdhsa_system_sgpr_workgroup_id_z 1
		.amdhsa_system_sgpr_workgroup_info 0
		.amdhsa_system_vgpr_workitem_id 0
		.amdhsa_next_free_vgpr 96
		.amdhsa_next_free_sgpr 43
		.amdhsa_accum_offset 96
		.amdhsa_reserve_vcc 1
		.amdhsa_float_round_mode_32 0
		.amdhsa_float_round_mode_16_64 0
		.amdhsa_float_denorm_mode_32 3
		.amdhsa_float_denorm_mode_16_64 3
		.amdhsa_dx10_clamp 1
		.amdhsa_ieee_mode 1
		.amdhsa_fp16_overflow 0
		.amdhsa_tg_split 0
		.amdhsa_exception_fp_ieee_invalid_op 0
		.amdhsa_exception_fp_denorm_src 0
		.amdhsa_exception_fp_ieee_div_zero 0
		.amdhsa_exception_fp_ieee_overflow 0
		.amdhsa_exception_fp_ieee_underflow 0
		.amdhsa_exception_fp_ieee_inexact 0
		.amdhsa_exception_int_div_zero 0
	.end_amdhsa_kernel
	.section	.text._Z39paged_attention_ll4mi_QKV_mfma16_kernelI14__hip_bfloat16S0_LN4vllm18Fp8KVCacheDataTypeE0ES0_Li16ELi128ELi256ELb0ELi4EEvPKT_PKT0_S8_ifPKiSA_SA_iPKfiiiPfSD_PS3_PT2_iSC_SC_,"axG",@progbits,_Z39paged_attention_ll4mi_QKV_mfma16_kernelI14__hip_bfloat16S0_LN4vllm18Fp8KVCacheDataTypeE0ES0_Li16ELi128ELi256ELb0ELi4EEvPKT_PKT0_S8_ifPKiSA_SA_iPKfiiiPfSD_PS3_PT2_iSC_SC_,comdat
.Lfunc_end687:
	.size	_Z39paged_attention_ll4mi_QKV_mfma16_kernelI14__hip_bfloat16S0_LN4vllm18Fp8KVCacheDataTypeE0ES0_Li16ELi128ELi256ELb0ELi4EEvPKT_PKT0_S8_ifPKiSA_SA_iPKfiiiPfSD_PS3_PT2_iSC_SC_, .Lfunc_end687-_Z39paged_attention_ll4mi_QKV_mfma16_kernelI14__hip_bfloat16S0_LN4vllm18Fp8KVCacheDataTypeE0ES0_Li16ELi128ELi256ELb0ELi4EEvPKT_PKT0_S8_ifPKiSA_SA_iPKfiiiPfSD_PS3_PT2_iSC_SC_
                                        ; -- End function
	.section	.AMDGPU.csdata,"",@progbits
; Kernel info:
; codeLenInByte = 4688
; NumSgprs: 49
; NumVgprs: 96
; NumAgprs: 0
; TotalNumVgprs: 96
; ScratchSize: 20
; MemoryBound: 0
; FloatMode: 240
; IeeeMode: 1
; LDSByteSize: 8192 bytes/workgroup (compile time only)
; SGPRBlocks: 6
; VGPRBlocks: 11
; NumSGPRsForWavesPerEU: 49
; NumVGPRsForWavesPerEU: 96
; AccumOffset: 96
; Occupancy: 5
; WaveLimiterHint : 1
; COMPUTE_PGM_RSRC2:SCRATCH_EN: 1
; COMPUTE_PGM_RSRC2:USER_SGPR: 2
; COMPUTE_PGM_RSRC2:TRAP_HANDLER: 0
; COMPUTE_PGM_RSRC2:TGID_X_EN: 1
; COMPUTE_PGM_RSRC2:TGID_Y_EN: 1
; COMPUTE_PGM_RSRC2:TGID_Z_EN: 1
; COMPUTE_PGM_RSRC2:TIDIG_COMP_CNT: 0
; COMPUTE_PGM_RSRC3_GFX90A:ACCUM_OFFSET: 23
; COMPUTE_PGM_RSRC3_GFX90A:TG_SPLIT: 0
	.section	.text._Z38paged_attention_ll4mi_QKV_mfma4_kernelI14__hip_bfloat16S0_LN4vllm18Fp8KVCacheDataTypeE0EhLi32ELi128ELi256ELb1ELi1EEvPKT_PKT0_S8_ifPKiSA_SA_iPKfiiiPfSD_PS3_PT2_iSC_SC_,"axG",@progbits,_Z38paged_attention_ll4mi_QKV_mfma4_kernelI14__hip_bfloat16S0_LN4vllm18Fp8KVCacheDataTypeE0EhLi32ELi128ELi256ELb1ELi1EEvPKT_PKT0_S8_ifPKiSA_SA_iPKfiiiPfSD_PS3_PT2_iSC_SC_,comdat
	.protected	_Z38paged_attention_ll4mi_QKV_mfma4_kernelI14__hip_bfloat16S0_LN4vllm18Fp8KVCacheDataTypeE0EhLi32ELi128ELi256ELb1ELi1EEvPKT_PKT0_S8_ifPKiSA_SA_iPKfiiiPfSD_PS3_PT2_iSC_SC_ ; -- Begin function _Z38paged_attention_ll4mi_QKV_mfma4_kernelI14__hip_bfloat16S0_LN4vllm18Fp8KVCacheDataTypeE0EhLi32ELi128ELi256ELb1ELi1EEvPKT_PKT0_S8_ifPKiSA_SA_iPKfiiiPfSD_PS3_PT2_iSC_SC_
	.globl	_Z38paged_attention_ll4mi_QKV_mfma4_kernelI14__hip_bfloat16S0_LN4vllm18Fp8KVCacheDataTypeE0EhLi32ELi128ELi256ELb1ELi1EEvPKT_PKT0_S8_ifPKiSA_SA_iPKfiiiPfSD_PS3_PT2_iSC_SC_
	.p2align	8
	.type	_Z38paged_attention_ll4mi_QKV_mfma4_kernelI14__hip_bfloat16S0_LN4vllm18Fp8KVCacheDataTypeE0EhLi32ELi128ELi256ELb1ELi1EEvPKT_PKT0_S8_ifPKiSA_SA_iPKfiiiPfSD_PS3_PT2_iSC_SC_,@function
_Z38paged_attention_ll4mi_QKV_mfma4_kernelI14__hip_bfloat16S0_LN4vllm18Fp8KVCacheDataTypeE0EhLi32ELi128ELi256ELb1ELi1EEvPKT_PKT0_S8_ifPKiSA_SA_iPKfiiiPfSD_PS3_PT2_iSC_SC_: ; @_Z38paged_attention_ll4mi_QKV_mfma4_kernelI14__hip_bfloat16S0_LN4vllm18Fp8KVCacheDataTypeE0EhLi32ELi128ELi256ELb1ELi1EEvPKT_PKT0_S8_ifPKiSA_SA_iPKfiiiPfSD_PS3_PT2_iSC_SC_
; %bb.0:
	s_load_dwordx2 s[8:9], s[0:1], 0x30
	s_mov_b32 s16, s3
	s_mov_b64 s[6:7], 0
	s_waitcnt lgkmcnt(0)
	s_cmp_lg_u64 s[8:9], 0
	s_cselect_b64 s[10:11], -1, 0
	s_and_b64 vcc, exec, s[10:11]
	s_cbranch_vccz .LBB688_10
; %bb.1:
	s_add_i32 s12, s2, 1
	s_mov_b32 s13, 0
	s_lshl_b64 s[14:15], s[12:13], 2
	s_add_u32 s14, s8, s14
	s_mov_b32 s3, s13
	s_addc_u32 s15, s9, s15
	s_lshl_b64 s[12:13], s[2:3], 2
	s_add_u32 s12, s8, s12
	s_addc_u32 s13, s9, s13
	s_load_dword s5, s[14:15], 0x0
	s_load_dword s17, s[12:13], 0x0
	s_waitcnt lgkmcnt(0)
	s_sub_i32 s5, s5, s17
	s_cmp_eq_u32 s5, 1
	s_cselect_b64 s[12:13], -1, 0
	s_andn2_b64 vcc, exec, s[6:7]
	s_cbranch_vccnz .LBB688_3
.LBB688_2:
	s_mov_b32 s3, 0
	s_mov_b64 s[12:13], -1
.LBB688_3:
	s_andn2_b64 vcc, exec, s[12:13]
	s_cbranch_vccnz .LBB688_27
; %bb.4:
	s_load_dword s5, s[0:1], 0x9c
	s_load_dwordx2 s[6:7], s[0:1], 0x28
	s_add_u32 s20, s0, 0x90
	s_addc_u32 s21, s1, 0
	s_lshl_b64 s[24:25], s[2:3], 2
	s_waitcnt lgkmcnt(0)
	s_and_b32 s5, s5, 0xffff
	s_add_u32 s6, s6, s24
	s_addc_u32 s7, s7, s25
	s_load_dword s3, s[6:7], 0x0
	s_mul_i32 s5, s16, s5
	s_waitcnt lgkmcnt(0)
	s_cmp_ge_i32 s5, s3
	s_cbranch_scc1 .LBB688_27
; %bb.5:
	v_and_b32_e32 v1, 0xc0, v0
	v_add_u32_e32 v2, s5, v1
	v_lshrrev_b32_e32 v78, 6, v0
	v_cmp_le_i32_e64 s[6:7], s3, v2
                                        ; implicit-def: $sgpr26
                                        ; implicit-def: $sgpr17
	s_and_saveexec_b64 s[12:13], s[6:7]
	s_xor_b64 s[12:13], exec, s[12:13]
	s_cbranch_execz .LBB688_7
; %bb.6:
	v_mul_u32_u24_e32 v1, 20, v78
	v_or_b32_e32 v1, 0x1400, v1
	v_mov_b32_e32 v2, 0x1450
	v_mov_b32_e32 v3, 0xff7fffff
	v_mad_u32_u24 v2, v78, 20, v2
	ds_write2_b32 v1, v3, v3 offset1:1
	v_mov_b32_e32 v1, 0
	ds_write2_b32 v2, v1, v1 offset1:1
	v_mov_b32_e32 v2, 0x1408
	s_mov_b32 s17, 0xff7fffff
	s_mov_b32 s26, 0
	v_mad_u32_u24 v2, v78, 20, v2
	v_mov_b32_e32 v4, 0x1458
	v_mad_u32_u24 v4, v78, 20, v4
	ds_write2_b32 v2, v3, v3 offset1:1
	ds_write2_b32 v4, v1, v1 offset1:1
                                        ; implicit-def: $vgpr2
.LBB688_7:
	s_or_saveexec_b64 s[22:23], s[12:13]
	s_load_dwordx2 s[18:19], s[0:1], 0x68
	s_load_dwordx4 s[12:15], s[0:1], 0x58
	s_load_dword s33, s[20:21], 0x4
	v_and_b32_e32 v1, 63, v0
	v_and_b32_e32 v79, 3, v0
	v_mov_b32_e32 v69, s26
	v_mov_b32_e32 v72, s17
	v_mov_b32_e32 v68, s26
	v_mov_b32_e32 v67, s26
	v_mov_b32_e32 v66, s26
                                        ; implicit-def: $vgpr3
                                        ; implicit-def: $vgpr7
                                        ; implicit-def: $vgpr11
                                        ; implicit-def: $vgpr15
                                        ; implicit-def: $vgpr47
                                        ; implicit-def: $vgpr35
                                        ; implicit-def: $vgpr39
                                        ; implicit-def: $vgpr43
                                        ; implicit-def: $vgpr27
                                        ; implicit-def: $vgpr19
                                        ; implicit-def: $vgpr23
                                        ; implicit-def: $vgpr31
                                        ; implicit-def: $vgpr51
                                        ; implicit-def: $vgpr55
                                        ; implicit-def: $vgpr59
                                        ; implicit-def: $vgpr63
	s_xor_b64 exec, exec, s[22:23]
	s_cbranch_execz .LBB688_19
; %bb.8:
	s_add_i32 s28, s3, 31
	s_ashr_i32 s29, s28, 31
	s_lshr_b32 s29, s29, 27
	v_add_u32_e32 v80, s5, v0
	s_add_i32 s28, s28, s29
	v_ashrrev_i32_e32 v3, 31, v80
	s_load_dwordx2 s[26:27], s[0:1], 0x20
	s_load_dword s17, s[0:1], 0x38
	s_ashr_i32 s28, s28, 5
	v_lshrrev_b32_e32 v3, 27, v3
	s_add_i32 s30, s28, -1
	v_add_u32_e32 v3, v80, v3
	v_ashrrev_i32_e32 v3, 5, v3
	v_mov_b32_e32 v4, s30
	v_cmp_gt_i32_e32 vcc, s3, v80
	s_waitcnt lgkmcnt(0)
	s_mul_i32 s28, s2, s17
	s_mov_b32 s29, 0
	v_cndmask_b32_e32 v4, v4, v3, vcc
	v_ashrrev_i32_e32 v3, 31, v2
	v_lshrrev_b32_e32 v3, 27, v3
	v_add_u32_e32 v2, v2, v3
	s_lshl_b64 s[28:29], s[28:29], 2
	v_ashrrev_i32_e32 v8, 5, v2
	s_add_u32 s26, s26, s28
	v_min_i32_e32 v2, s30, v8
	s_addc_u32 s27, s27, s29
	v_ashrrev_i32_e32 v3, 31, v2
	v_lshl_add_u64 v[6:7], v[2:3], 2, s[26:27]
	v_add_u32_e32 v2, 1, v8
	v_ashrrev_i32_e32 v5, 31, v4
	v_min_i32_e32 v2, s30, v2
	v_lshl_add_u64 v[4:5], v[4:5], 2, s[26:27]
	v_ashrrev_i32_e32 v3, 31, v2
	v_lshl_add_u64 v[8:9], v[2:3], 2, s[26:27]
	global_load_dword v2, v[4:5], off
	global_load_dword v26, v[6:7], off
	;; [unrolled: 1-line block ×3, first 2 shown]
	s_load_dwordx2 s[28:29], s[0:1], 0x8
	s_andn2_b64 vcc, exec, s[10:11]
	s_cbranch_vccnz .LBB688_11
; %bb.9:
	s_add_u32 s8, s8, s24
	s_addc_u32 s9, s9, s25
	s_load_dword s5, s[8:9], 0x0
	s_branch .LBB688_12
.LBB688_10:
	s_mov_b64 s[12:13], 0
	s_branch .LBB688_2
.LBB688_11:
	s_mov_b32 s5, s2
.LBB688_12:
	s_load_dwordx2 s[24:25], s[0:1], 0x10
	s_load_dwordx4 s[8:11], s[0:1], 0x48
	v_cmp_eq_u32_e32 vcc, 0, v79
	s_mov_b32 s27, 0
	v_mov_b32_e32 v77, 0
	v_mov_b32_e32 v56, 0
	;; [unrolled: 1-line block ×5, first 2 shown]
	s_and_saveexec_b64 s[30:31], vcc
	s_cbranch_execz .LBB688_14
; %bb.13:
	s_load_dwordx2 s[34:35], s[0:1], 0x0
	s_waitcnt lgkmcnt(0)
	s_ashr_i32 s11, s8, 31
	s_mul_hi_u32 s17, s5, s8
	s_mul_i32 s11, s5, s11
	s_add_i32 s37, s17, s11
	s_mul_i32 s36, s5, s8
	s_lshl_b64 s[36:37], s[36:37], 1
	s_add_u32 s5, s34, s36
	s_addc_u32 s8, s35, s37
	s_lshl_b32 s26, s4, 7
	s_lshl_b64 s[34:35], s[26:27], 1
	s_add_u32 s34, s5, s34
	s_addc_u32 s35, s8, s35
	v_lshlrev_b32_e32 v3, 2, v1
	global_load_dwordx4 v[56:59], v3, s[34:35]
.LBB688_14:
	s_or_b64 exec, exec, s[30:31]
	s_waitcnt lgkmcnt(0)
	s_mul_i32 s26, s4, s10
	s_lshl_b64 s[10:11], s[26:27], 1
	s_add_u32 s28, s10, s28
	s_waitcnt vmcnt(2)
	v_mad_i64_i32 v[2:3], s[30:31], v2, s9, 0
	s_addc_u32 s29, s11, s29
	v_lshl_add_u64 v[32:33], v[2:3], 1, s[28:29]
	v_and_b32_e32 v2, 31, v0
	v_lshlrev_b32_e32 v76, 4, v2
	v_lshl_add_u64 v[28:29], v[32:33], 0, v[76:77]
	global_load_dwordx4 v[72:75], v[28:29], off
	global_load_dwordx4 v[68:71], v[28:29], off offset:512
	global_load_dwordx4 v[14:17], v[28:29], off offset:1024
	;; [unrolled: 1-line block ×7, first 2 shown]
	v_or_b32_e32 v28, 0x1000, v76
	v_mov_b32_e32 v29, v77
	v_lshl_add_u64 v[38:39], v[32:33], 0, v[28:29]
	v_or_b32_e32 v28, 0x1200, v76
	v_lshl_add_u64 v[40:41], v[32:33], 0, v[28:29]
	global_load_dwordx4 v[28:31], v[38:39], off
	global_load_dwordx4 v[34:37], v[40:41], off
	v_or_b32_e32 v38, 0x1400, v76
	v_mov_b32_e32 v39, v77
	v_lshl_add_u64 v[46:47], v[32:33], 0, v[38:39]
	v_or_b32_e32 v38, 0x1600, v76
	v_lshl_add_u64 v[48:49], v[32:33], 0, v[38:39]
	global_load_dwordx4 v[42:45], v[46:47], off
	global_load_dwordx4 v[38:41], v[48:49], off
	v_or_b32_e32 v46, 0x1800, v76
	v_mov_b32_e32 v47, v77
	v_lshl_add_u64 v[60:61], v[32:33], 0, v[46:47]
	v_or_b32_e32 v46, 0x1a00, v76
	v_or_b32_e32 v76, 0x1c00, v76
	v_mov_b32_e32 v27, 0x1e00
	v_lshl_add_u64 v[62:63], v[32:33], 0, v[46:47]
	v_lshl_add_u64 v[82:83], v[32:33], 0, v[76:77]
	v_lshl_or_b32 v76, v0, 4, v27
	global_load_dwordx4 v[50:53], v[60:61], off
	global_load_dwordx4 v[46:49], v[62:63], off
	v_lshl_add_u64 v[32:33], v[32:33], 0, v[76:77]
	global_load_dwordx4 v[64:67], v[82:83], off
	global_load_dwordx4 v[60:63], v[32:33], off
	v_mov_b32_e32 v76, 0
	s_and_saveexec_b64 s[28:29], vcc
	s_cbranch_execz .LBB688_16
; %bb.15:
	s_load_dwordx2 s[30:31], s[0:1], 0x40
	s_mov_b32 s5, s27
	s_lshl_b64 s[26:27], s[4:5], 2
	v_mov_b32_e32 v77, 1.0
	s_waitcnt lgkmcnt(0)
	s_add_u32 s26, s30, s26
	s_addc_u32 s27, s31, s27
	s_load_dword s5, s[26:27], 0x0
	s_waitcnt lgkmcnt(0)
	v_mov_b32_e32 v76, s5
.LBB688_16:
	s_or_b64 exec, exec, s[28:29]
	s_waitcnt vmcnt(15)
	v_mfma_f32_4x4x4_16b_bf16 a[0:3], v[56:57], v[72:73], 0 cbsz:4
	v_mul_hi_i32 v27, v26, s9
	v_ashrrev_i32_e32 v27, 31, v27
	v_mfma_f32_4x4x4_16b_bf16 a[0:3], v[58:59], v[74:75], a[0:3] cbsz:4
	s_add_u32 s10, s24, s10
	s_load_dword s0, s[0:1], 0x1c
	s_waitcnt vmcnt(14)
	v_mfma_f32_4x4x4_16b_bf16 a[0:3], v[56:57], v[68:69], a[0:3] cbsz:4 abid:1
	v_mov_b32_e32 v69, 0
	v_lshrrev_b32_e32 v68, 29, v27
	v_mfma_f32_4x4x4_16b_bf16 a[0:3], v[58:59], v[70:71], a[0:3] cbsz:4 abid:1
	s_addc_u32 s11, s25, s11
	v_mov_b32_e32 v71, v69
	s_waitcnt vmcnt(13)
	v_mfma_f32_4x4x4_16b_bf16 a[0:3], v[56:57], v[14:15], a[0:3] cbsz:4 abid:2
	v_mad_i64_i32 v[14:15], s[24:25], v26, s9, v[68:69]
	s_nop 0
	v_mfma_f32_4x4x4_16b_bf16 a[0:3], v[58:59], v[16:17], a[0:3] cbsz:4 abid:2
	v_lshlrev_b32_e32 v68, 6, v1
	v_or_b32_e32 v70, 0x1000, v68
	s_waitcnt vmcnt(12)
	v_mfma_f32_4x4x4_16b_bf16 a[0:3], v[56:57], v[10:11], a[0:3] cbsz:4 abid:3
	v_lshlrev_b64 v[10:11], 1, v[14:15]
	v_and_b32_e32 v10, -16, v10
	v_mfma_f32_4x4x4_16b_bf16 a[0:3], v[58:59], v[12:13], a[0:3] cbsz:4 abid:3
	v_lshl_add_u64 v[26:27], s[10:11], 0, v[10:11]
	v_lshl_add_u64 v[32:33], v[26:27], 0, v[68:69]
	s_waitcnt vmcnt(11)
	v_mfma_f32_4x4x4_16b_bf16 a[0:3], v[56:57], v[6:7], a[0:3] cbsz:4 abid:4
	v_lshl_add_u64 v[72:73], v[26:27], 0, v[70:71]
	v_cmp_eq_u32_e32 vcc, 1, v79
	v_mfma_f32_4x4x4_16b_bf16 a[0:3], v[58:59], v[8:9], a[0:3] cbsz:4 abid:4
	s_waitcnt vmcnt(10)
	s_nop 0
	v_mfma_f32_4x4x4_16b_bf16 a[0:3], v[56:57], v[2:3], a[0:3] cbsz:4 abid:5
	s_nop 1
	v_mfma_f32_4x4x4_16b_bf16 a[0:3], v[58:59], v[4:5], a[0:3] cbsz:4 abid:5
	global_load_dwordx4 v[2:5], v[32:33], off
	global_load_dwordx4 v[6:9], v[32:33], off offset:16
	s_waitcnt vmcnt(11)
	v_mfma_f32_4x4x4_16b_bf16 a[0:3], v[56:57], v[22:23], a[0:3] cbsz:4 abid:6
	global_load_dwordx4 v[10:13], v[32:33], off offset:32
	global_load_dwordx4 v[14:17], v[32:33], off offset:48
	v_mfma_f32_4x4x4_16b_bf16 a[0:3], v[58:59], v[24:25], a[0:3] cbsz:4 abid:6
	s_waitcnt vmcnt(12)
	s_nop 0
	v_mfma_f32_4x4x4_16b_bf16 a[0:3], v[56:57], v[18:19], a[0:3] cbsz:4 abid:7
	s_nop 1
	v_mfma_f32_4x4x4_16b_bf16 a[0:3], v[58:59], v[20:21], a[0:3] cbsz:4 abid:7
	s_waitcnt vmcnt(11)
	s_nop 0
	v_mfma_f32_4x4x4_16b_bf16 a[0:3], v[56:57], v[28:29], a[0:3] cbsz:4 abid:8
	global_load_dwordx4 v[26:29], v[72:73], off
	global_load_dwordx4 v[18:21], v[72:73], off offset:16
	v_mfma_f32_4x4x4_16b_bf16 a[0:3], v[58:59], v[30:31], a[0:3] cbsz:4 abid:8
	global_load_dwordx4 v[22:25], v[72:73], off offset:32
	global_load_dwordx4 v[30:33], v[72:73], off offset:48
	s_waitcnt vmcnt(14)
	v_mfma_f32_4x4x4_16b_bf16 a[0:3], v[56:57], v[34:35], a[0:3] cbsz:4 abid:9
	v_mul_hi_i32 v34, v54, s9
	v_ashrrev_i32_e32 v34, 31, v34
	v_mfma_f32_4x4x4_16b_bf16 a[0:3], v[58:59], v[36:37], a[0:3] cbsz:4 abid:9
	v_lshrrev_b32_e32 v34, 29, v34
	v_mov_b32_e32 v35, v69
	s_waitcnt vmcnt(13)
	v_mfma_f32_4x4x4_16b_bf16 a[0:3], v[56:57], v[42:43], a[0:3] cbsz:4 abid:10
	v_mad_i64_i32 v[34:35], s[8:9], v54, s9, v[34:35]
	s_nop 0
	v_mfma_f32_4x4x4_16b_bf16 a[0:3], v[58:59], v[44:45], a[0:3] cbsz:4 abid:10
	v_lshlrev_b64 v[34:35], 1, v[34:35]
	v_and_b32_e32 v34, -16, v34
	s_waitcnt vmcnt(12)
	v_mfma_f32_4x4x4_16b_bf16 a[0:3], v[56:57], v[38:39], a[0:3] cbsz:4 abid:11
	v_mov_b32_e32 v73, 0xff7fffff
	s_nop 0
	v_mfma_f32_4x4x4_16b_bf16 a[0:3], v[58:59], v[40:41], a[0:3] cbsz:4 abid:11
	s_waitcnt vmcnt(11)
	s_nop 0
	v_mfma_f32_4x4x4_16b_bf16 a[0:3], v[56:57], v[50:51], a[0:3] cbsz:4 abid:12
	v_lshl_add_u64 v[50:51], s[10:11], 0, v[34:35]
	s_nop 0
	v_mfma_f32_4x4x4_16b_bf16 a[0:3], v[58:59], v[52:53], a[0:3] cbsz:4 abid:12
	v_lshl_add_u64 v[52:53], v[50:51], 0, v[68:69]
	s_waitcnt vmcnt(10)
	v_mfma_f32_4x4x4_16b_bf16 a[0:3], v[56:57], v[46:47], a[0:3] cbsz:4 abid:13
	s_nop 1
	v_mfma_f32_4x4x4_16b_bf16 a[0:3], v[58:59], v[48:49], a[0:3] cbsz:4 abid:13
	global_load_dwordx4 v[46:49], v[52:53], off
	global_load_dwordx4 v[34:37], v[52:53], off offset:16
	s_waitcnt vmcnt(11)
	v_mfma_f32_4x4x4_16b_bf16 a[0:3], v[56:57], v[64:65], a[0:3] cbsz:4 abid:14
	global_load_dwordx4 v[38:41], v[52:53], off offset:32
	global_load_dwordx4 v[42:45], v[52:53], off offset:48
	v_mfma_f32_4x4x4_16b_bf16 a[0:3], v[58:59], v[66:67], a[0:3] cbsz:4 abid:14
	v_lshl_add_u64 v[66:67], v[50:51], 0, v[70:71]
	s_waitcnt vmcnt(12)
	v_mfma_f32_4x4x4_16b_bf16 a[0:3], v[56:57], v[60:61], a[0:3] cbsz:4 abid:15
	global_load_dwordx4 v[50:53], v[66:67], off
	global_load_dwordx4 v[54:57], v[66:67], off offset:16
	v_mfma_f32_4x4x4_16b_bf16 a[0:3], v[58:59], v[62:63], a[0:3] cbsz:4 abid:15
	s_nop 4
	v_accvgpr_read_b32 v59, a1
	v_accvgpr_read_b32 v58, a0
	s_waitcnt lgkmcnt(0)
	v_pk_mul_f32 v[68:69], s[0:1], v[58:59] op_sel_hi:[0,1]
	global_load_dwordx4 v[58:61], v[66:67], off offset:32
	global_load_dwordx4 v[62:65], v[66:67], off offset:48
	v_accvgpr_read_b32 v67, a3
	v_accvgpr_read_b32 v66, a2
	v_pk_mul_f32 v[66:67], s[0:1], v[66:67] op_sel_hi:[0,1]
	v_mfma_f32_4x4x1_16b_f32 a[0:3], v68, v77, 0
	v_cndmask_b32_e64 v68, 0, 1.0, vcc
	v_cmp_eq_u32_e32 vcc, 2, v79
	s_nop 0
	v_mfma_f32_4x4x1_16b_f32 a[0:3], v69, v68, a[0:3]
	v_cndmask_b32_e64 v68, 0, 1.0, vcc
	v_cmp_eq_u32_e32 vcc, 3, v79
	s_nop 0
	v_mfma_f32_4x4x1_16b_f32 a[0:3], v66, v68, a[0:3]
	v_cndmask_b32_e64 v66, 0, 1.0, vcc
	s_nop 1
	v_mfma_f32_4x4x1_16b_f32 a[0:3], v67, v66, a[0:3]
	v_and_b32_e32 v66, -4, v80
	v_subrev_u32_e32 v67, s3, v66
	v_add_u32_e32 v68, 1, v67
	v_cvt_f32_i32_e32 v68, v68
	v_add_u32_e32 v69, 2, v67
	v_cvt_f32_i32_e32 v69, v69
	v_accvgpr_read_b32 v70, a0
	v_fma_f32 v68, v76, v68, v70
	v_accvgpr_read_b32 v70, a1
	v_fma_f32 v69, v76, v69, v70
	v_add_u32_e32 v70, 3, v67
	v_cvt_f32_i32_e32 v70, v70
	v_add_u32_e32 v67, 4, v67
	v_max_f32_e32 v72, 0xff7fffff, v68
	v_cmp_gt_i32_e32 vcc, s3, v66
	v_cvt_f32_i32_e32 v67, v67
	v_accvgpr_read_b32 v71, a2
	v_cndmask_b32_e32 v72, v73, v72, vcc
	v_or_b32_e32 v73, 1, v66
	v_max_f32_e32 v74, v72, v69
	v_cmp_gt_i32_e64 s[0:1], s3, v73
	v_fma_f32 v70, v76, v70, v71
	v_or_b32_e32 v66, 2, v66
	v_cndmask_b32_e64 v72, v72, v74, s[0:1]
	v_accvgpr_read_b32 v71, a3
	v_max_f32_e32 v73, v72, v70
	v_cmp_gt_i32_e64 s[8:9], s3, v66
	v_fmac_f32_e32 v71, v76, v67
	v_lshlrev_b32_e32 v67, 2, v0
	v_cndmask_b32_e64 v66, v72, v73, s[8:9]
	v_or_b32_e32 v72, 3, v80
	v_max_f32_e32 v73, v66, v71
	v_cmp_gt_i32_e64 s[10:11], s3, v72
	v_and_or_b32 v67, v67, 48, v79
	s_nop 0
	v_cndmask_b32_e64 v66, v66, v73, s[10:11]
	;;#ASMSTART
	v_nop
 v_nop
 v_max_f32_dpp v66, v66, v66 row_ror:4
	;;#ASMEND
	v_lshlrev_b32_e32 v73, 2, v67
	;;#ASMSTART
	v_nop
 v_nop
 v_max_f32_dpp v66, v66, v66 row_ror:8
	;;#ASMEND
	ds_bpermute_b32 v66, v73, v66
	s_waitcnt lgkmcnt(0)
	;;#ASMSTART
	v_nop
 v_nop
 v_max_f32_dpp v66, v66, v66 row_ror:4
	;;#ASMEND
	s_nop 0
	;;#ASMSTART
	v_nop
 v_nop
 v_max_f32_dpp v72, v66, v66 row_ror:8
	;;#ASMEND
	s_nop 0
	v_sub_f32_e32 v66, v68, v72
	v_mul_f32_e32 v66, 0x3fb8aa3b, v66
	v_sub_f32_e32 v67, v69, v72
	v_exp_f32_e32 v66, v66
	v_mul_f32_e32 v67, 0x3fb8aa3b, v67
	v_sub_f32_e32 v69, v70, v72
	v_exp_f32_e32 v67, v67
	v_mul_f32_e32 v69, 0x3fb8aa3b, v69
	v_sub_f32_e32 v70, v71, v72
	v_exp_f32_e32 v69, v69
	v_mul_f32_e32 v70, 0x3fb8aa3b, v70
	v_exp_f32_e32 v70, v70
	v_cndmask_b32_e32 v66, 0, v66, vcc
	v_add_f32_e32 v68, 0, v66
	v_cndmask_b32_e64 v67, 0, v67, s[0:1]
	v_add_f32_e32 v71, v68, v67
	v_cndmask_b32_e64 v68, 0, v69, s[8:9]
	v_add_f32_e32 v71, v71, v68
	v_cndmask_b32_e64 v69, 0, v70, s[10:11]
	v_add_f32_e32 v70, v71, v69
	;;#ASMSTART
	v_nop
 v_nop
 v_add_f32_dpp v70, v70, v70 row_ror:4
	;;#ASMEND
	v_cmp_gt_u32_e32 vcc, 4, v1
	;;#ASMSTART
	v_nop
 v_nop
 v_add_f32_dpp v70, v70, v70 row_ror:8
	;;#ASMEND
	ds_bpermute_b32 v70, v73, v70
	s_waitcnt lgkmcnt(0)
	;;#ASMSTART
	v_nop
 v_nop
 v_add_f32_dpp v70, v70, v70 row_ror:4
	;;#ASMEND
	s_nop 0
	;;#ASMSTART
	v_nop
 v_nop
 v_add_f32_dpp v70, v70, v70 row_ror:8
	;;#ASMEND
	s_and_saveexec_b64 s[0:1], vcc
	s_cbranch_execz .LBB688_18
; %bb.17:
	v_mul_u32_u24_e32 v71, 20, v78
	v_lshl_add_u32 v71, v79, 2, v71
	v_add_u32_e32 v71, 0x1400, v71
	ds_write2_b32 v71, v72, v70 offset1:20
.LBB688_18:
	s_or_b64 exec, exec, s[0:1]
.LBB688_19:
	s_or_b64 exec, exec, s[22:23]
	s_waitcnt lgkmcnt(0)
	s_barrier
	s_load_dword s0, s[20:21], 0x8
	v_lshlrev_b32_e32 v70, 2, v79
	v_add_u32_e32 v73, 0x1400, v70
	ds_read2_b32 v[70:71], v73 offset1:5
	ds_read2_b32 v[76:77], v73 offset0:10 offset1:15
	s_mul_i32 s1, s33, s2
	s_waitcnt lgkmcnt(0)
	s_mul_i32 s0, s1, s0
	s_mov_b32 s1, 0xff7fffff
	v_max3_f32 v74, v70, s1, v71
	v_max3_f32 v74, v74, v76, v77
	v_sub_f32_e32 v70, v70, v74
	ds_read2_b32 v[80:81], v73 offset0:20 offset1:25
	v_mul_f32_e32 v70, 0x3fb8aa3b, v70
	v_sub_f32_e32 v71, v71, v74
	v_exp_f32_e32 v75, v70
	v_mul_f32_e32 v71, 0x3fb8aa3b, v71
	ds_read2_b32 v[82:83], v73 offset0:30 offset1:35
	v_sub_f32_e32 v73, v76, v74
	v_exp_f32_e32 v71, v71
	v_mul_f32_e32 v73, 0x3fb8aa3b, v73
	v_sub_f32_e32 v76, v77, v74
	v_exp_f32_e32 v73, v73
	v_mul_f32_e32 v76, 0x3fb8aa3b, v76
	v_exp_f32_e32 v76, v76
	s_waitcnt lgkmcnt(1)
	v_fma_f32 v75, v75, v80, 0
	v_fmac_f32_e32 v75, v71, v81
	s_waitcnt lgkmcnt(0)
	v_fmac_f32_e32 v75, v73, v82
	v_mov_b32_e32 v70, 0
	v_fmac_f32_e32 v75, v76, v83
	s_mov_b32 s1, 0
	v_cmp_eq_u32_e32 vcc, 0, v79
	s_and_saveexec_b64 s[2:3], vcc
	s_cbranch_execz .LBB688_21
; %bb.20:
	s_lshl_b64 s[8:9], s[0:1], 2
	s_add_u32 s5, s12, s8
	s_mov_b32 s17, s1
	s_addc_u32 s12, s13, s9
	s_lshl_b64 s[10:11], s[16:17], 2
	s_add_u32 s5, s5, s10
	s_addc_u32 s12, s12, s11
	s_add_u32 s8, s14, s8
	s_addc_u32 s9, s15, s9
	s_add_u32 s13, s8, s10
	s_addc_u32 s14, s9, s11
	s_mul_i32 s8, s33, s4
	s_mov_b32 s9, s1
	s_lshl_b64 s[8:9], s[8:9], 2
	s_add_u32 s10, s5, s8
	s_addc_u32 s11, s12, s9
	s_add_u32 s8, s13, s8
	s_addc_u32 s9, s14, s9
	global_store_dword v70, v74, s[8:9]
	global_store_dword v70, v75, s[10:11]
.LBB688_21:
	s_or_b64 exec, exec, s[2:3]
	v_lshlrev_b32_e32 v73, 3, v78
                                        ; implicit-def: $sgpr1
	s_and_saveexec_b64 s[2:3], s[6:7]
	s_xor_b64 s[2:3], exec, s[2:3]
	s_cbranch_execz .LBB688_23
; %bb.22:
	s_waitcnt vmcnt(15)
	v_mov_b32_e32 v2, 0
	v_mad_u32_u24 v4, v1, 40, v73
	s_mov_b32 s1, 0
	v_mov_b32_e32 v3, v2
	ds_write_b64 v4, v[2:3]
                                        ; implicit-def: $vgpr69
                                        ; implicit-def: $vgpr67
                                        ; implicit-def: $vgpr3
                                        ; implicit-def: $vgpr7
                                        ; implicit-def: $vgpr11
                                        ; implicit-def: $vgpr15
                                        ; implicit-def: $vgpr47
                                        ; implicit-def: $vgpr35
                                        ; implicit-def: $vgpr39
                                        ; implicit-def: $vgpr43
                                        ; implicit-def: $vgpr27
                                        ; implicit-def: $vgpr19
                                        ; implicit-def: $vgpr23
                                        ; implicit-def: $vgpr31
                                        ; implicit-def: $vgpr51
                                        ; implicit-def: $vgpr55
                                        ; implicit-def: $vgpr59
                                        ; implicit-def: $vgpr63
                                        ; implicit-def: $vgpr72
                                        ; implicit-def: $vgpr74
                                        ; implicit-def: $vgpr75
.LBB688_23:
	s_or_saveexec_b64 s[2:3], s[2:3]
	v_mov_b32_e32 v70, s1
	v_mov_b32_e32 v71, s1
	s_xor_b64 exec, exec, s[2:3]
	s_cbranch_execz .LBB688_25
; %bb.24:
	v_add_f32_e32 v70, 0x358637bd, v75
	v_div_scale_f32 v71, s[6:7], v70, v70, 1.0
	v_rcp_f32_e32 v75, v71
	v_sub_f32_e32 v72, v72, v74
	v_mul_f32_e32 v72, 0x3fb8aa3b, v72
	v_exp_f32_e32 v72, v72
	v_fma_f32 v74, -v71, v75, 1.0
	v_fmac_f32_e32 v75, v74, v75
	v_div_scale_f32 v74, vcc, 1.0, v70, 1.0
	v_mul_f32_e32 v76, v74, v75
	v_fma_f32 v77, -v71, v76, v74
	v_fmac_f32_e32 v76, v77, v75
	v_fma_f32 v71, -v71, v76, v74
	v_div_fmas_f32 v71, v71, v75, v76
	v_div_fixup_f32 v70, v71, v70, 1.0
	v_mul_f32_e32 v70, v72, v70
	v_pk_mul_f32 v[66:67], v[66:67], v[70:71] op_sel_hi:[1,0]
	v_pk_mul_f32 v[68:69], v[68:69], v[70:71] op_sel_hi:[1,0]
	v_bfe_u32 v70, v67, 16, 1
	v_bfe_u32 v71, v66, 16, 1
	s_movk_i32 s1, 0x7fff
	v_add3_u32 v66, v66, v71, s1
	v_add3_u32 v67, v67, v70, s1
	s_mov_b32 s5, 0x7060302
	v_perm_b32 v66, v67, v66, s5
	v_bfe_u32 v67, v69, 16, 1
	v_bfe_u32 v70, v68, 16, 1
	v_add3_u32 v68, v68, v70, s1
	v_add3_u32 v67, v69, v67, s1
	v_perm_b32 v67, v67, v68, s5
	s_waitcnt vmcnt(15)
	s_nop 0
	v_mfma_f32_4x4x4_16b_bf16 a[0:3], v[66:67], v[2:3], 0 cbsz:4
	s_nop 1
	v_mfma_f32_4x4x4_16b_bf16 a[0:3], v[66:67], v[4:5], a[0:3] cbsz:4 abid:1
	s_waitcnt vmcnt(11)
	v_mfma_f32_4x4x4_16b_bf16 a[4:7], v[66:67], v[26:27], 0 cbsz:4
	v_mfma_f32_4x4x4_16b_bf16 a[0:3], v[66:67], v[6:7], a[0:3] cbsz:4 abid:2
	s_nop 0
	v_mfma_f32_4x4x4_16b_bf16 a[4:7], v[66:67], v[28:29], a[4:7] cbsz:4 abid:1
	v_mfma_f32_4x4x4_16b_bf16 a[0:3], v[66:67], v[8:9], a[0:3] cbsz:4 abid:3
	s_waitcnt vmcnt(10)
	v_mfma_f32_4x4x4_16b_bf16 a[4:7], v[66:67], v[18:19], a[4:7] cbsz:4 abid:2
	v_mfma_f32_4x4x4_16b_bf16 a[0:3], v[66:67], v[10:11], a[0:3] cbsz:4 abid:4
	s_nop 1
	v_mfma_f32_4x4x4_16b_bf16 a[0:3], v[66:67], v[12:13], a[0:3] cbsz:4 abid:5
	s_nop 1
	;; [unrolled: 2-line block ×3, first 2 shown]
	v_mfma_f32_4x4x4_16b_bf16 a[0:3], v[66:67], v[16:17], a[0:3] cbsz:4 abid:7
	s_waitcnt vmcnt(7)
	s_nop 0
	v_mfma_f32_4x4x4_16b_bf16 a[0:3], v[66:67], v[46:47], a[0:3] cbsz:4 abid:8
	s_nop 1
	v_mfma_f32_4x4x4_16b_bf16 a[0:3], v[66:67], v[48:49], a[0:3] cbsz:4 abid:9
	s_waitcnt vmcnt(6)
	s_nop 0
	v_mfma_f32_4x4x4_16b_bf16 a[0:3], v[66:67], v[34:35], a[0:3] cbsz:4 abid:10
	s_nop 1
	;; [unrolled: 5-line block ×4, first 2 shown]
	v_mfma_f32_4x4x4_16b_bf16 a[0:3], v[66:67], v[44:45], a[0:3] cbsz:4 abid:15
	s_nop 4
	v_accvgpr_read_b32 v3, a2
	v_accvgpr_read_b32 v4, a3
	v_accvgpr_read_b32 v2, a0
	v_accvgpr_read_b32 v5, a1
	v_mfma_f32_4x4x4_16b_bf16 a[0:3], v[66:67], v[20:21], a[4:7] cbsz:4 abid:3
	v_bfe_u32 v6, v5, 16, 1
	v_bfe_u32 v7, v2, 16, 1
	v_mfma_f32_4x4x4_16b_bf16 a[0:3], v[66:67], v[22:23], a[0:3] cbsz:4 abid:4
	v_add3_u32 v2, v2, v7, s1
	v_add3_u32 v5, v5, v6, s1
	v_mfma_f32_4x4x4_16b_bf16 a[0:3], v[66:67], v[24:25], a[0:3] cbsz:4 abid:5
	v_perm_b32 v2, v5, v2, s5
	v_bfe_u32 v5, v4, 16, 1
	v_mfma_f32_4x4x4_16b_bf16 a[0:3], v[66:67], v[30:31], a[0:3] cbsz:4 abid:6
	v_bfe_u32 v6, v3, 16, 1
	v_add3_u32 v3, v3, v6, s1
	v_mfma_f32_4x4x4_16b_bf16 a[0:3], v[66:67], v[32:33], a[0:3] cbsz:4 abid:7
	v_add3_u32 v4, v4, v5, s1
	v_perm_b32 v3, v4, v3, s5
	s_waitcnt vmcnt(3)
	v_mfma_f32_4x4x4_16b_bf16 a[0:3], v[66:67], v[50:51], a[0:3] cbsz:4 abid:8
	v_mad_u32_u24 v4, v1, 40, v73
	ds_write_b64 v4, v[2:3]
	v_mfma_f32_4x4x4_16b_bf16 a[0:3], v[66:67], v[52:53], a[0:3] cbsz:4 abid:9
	s_waitcnt vmcnt(2)
	s_nop 0
	v_mfma_f32_4x4x4_16b_bf16 a[0:3], v[66:67], v[54:55], a[0:3] cbsz:4 abid:10
	s_nop 1
	v_mfma_f32_4x4x4_16b_bf16 a[0:3], v[66:67], v[56:57], a[0:3] cbsz:4 abid:11
	s_waitcnt vmcnt(1)
	s_nop 0
	v_mfma_f32_4x4x4_16b_bf16 a[0:3], v[66:67], v[58:59], a[0:3] cbsz:4 abid:12
	s_nop 1
	;; [unrolled: 5-line block ×3, first 2 shown]
	v_mfma_f32_4x4x4_16b_bf16 a[0:3], v[66:67], v[64:65], a[0:3] cbsz:4 abid:15
	s_nop 4
	v_accvgpr_read_b32 v4, a0
	v_accvgpr_read_b32 v5, a1
	;; [unrolled: 1-line block ×4, first 2 shown]
	v_bfe_u32 v6, v5, 16, 1
	v_bfe_u32 v7, v4, 16, 1
	v_add3_u32 v4, v4, v7, s1
	v_add3_u32 v5, v5, v6, s1
	v_bfe_u32 v6, v3, 16, 1
	v_bfe_u32 v7, v2, 16, 1
	v_add3_u32 v2, v2, v7, s1
	v_add3_u32 v3, v3, v6, s1
	v_perm_b32 v71, v3, v2, s5
	v_perm_b32 v70, v5, v4, s5
.LBB688_25:
	s_or_b64 exec, exec, s[2:3]
	s_waitcnt vmcnt(15)
	v_mad_u32_u24 v2, v1, 40, v73
	v_cmp_gt_u32_e32 vcc, 64, v0
	ds_write_b64 v2, v[70:71] offset:2560
	s_waitcnt lgkmcnt(0)
	s_barrier
	s_and_saveexec_b64 s[2:3], vcc
	s_cbranch_execz .LBB688_27
; %bb.26:
	v_mov_b32_e32 v2, 0xa00
	v_mad_u32_u24 v2, v1, 40, v2
	ds_read2_b64 v[2:5], v2 offset1:1
	s_waitcnt lgkmcnt(0)
	v_mov_b32_e32 v3, 0xa10
	s_waitcnt vmcnt(13)
	v_mul_u32_u24_e32 v10, 40, v1
	v_mad_u32_u24 v1, v1, 40, v3
	ds_read2_b64 v[6:9], v1 offset1:1
	v_lshlrev_b32_e32 v1, 16, v2
	v_add_f32_e32 v1, 0, v1
	v_and_b32_e32 v1, 0xffff0000, v1
	v_lshlrev_b32_e32 v2, 16, v4
	v_add_f32_e32 v1, v1, v2
	v_and_b32_e32 v1, 0xffff0000, v1
	s_waitcnt lgkmcnt(0)
	v_lshlrev_b32_e32 v2, 16, v6
	v_add_f32_e32 v1, v1, v2
	v_and_b32_e32 v1, 0xffff0000, v1
	v_lshlrev_b32_e32 v2, 16, v8
	v_add_f32_e32 v11, v1, v2
	ds_read2_b64 v[2:5], v10 offset1:1
	ds_read2_b64 v[6:9], v10 offset0:2 offset1:3
	s_mov_b32 s1, 0
	s_lshl_b32 s0, s0, 7
	s_lshl_b64 s[2:3], s[0:1], 1
	s_waitcnt lgkmcnt(1)
	v_lshlrev_b32_e32 v2, 16, v2
	v_add_f32_e32 v2, 0, v2
	s_add_u32 s2, s18, s2
	v_and_b32_e32 v2, 0xffff0000, v2
	v_lshlrev_b32_e32 v3, 16, v4
	s_addc_u32 s3, s19, s3
	s_lshl_b32 s0, s16, 7
	v_add_f32_e32 v2, v2, v3
	s_lshl_b64 s[0:1], s[0:1], 1
	v_and_b32_e32 v2, 0xffff0000, v2
	s_waitcnt lgkmcnt(0)
	v_lshlrev_b32_e32 v3, 16, v6
	s_add_u32 s0, s2, s0
	s_mul_i32 s2, s4, s33
	v_add_f32_e32 v2, v2, v3
	s_addc_u32 s1, s3, s1
	v_lshl_or_b32 v0, s2, 7, v0
	v_mov_b32_e32 v1, 0
	v_and_b32_e32 v2, 0xffff0000, v2
	v_lshlrev_b32_e32 v3, 16, v8
	v_lshl_add_u64 v[0:1], v[0:1], 1, s[0:1]
	v_add_f32_e32 v2, v2, v3
	global_store_short_d16_hi v[0:1], v2, off
	global_store_short_d16_hi v[0:1], v11, off offset:128
.LBB688_27:
	s_endpgm
	.section	.rodata,"a",@progbits
	.p2align	6, 0x0
	.amdhsa_kernel _Z38paged_attention_ll4mi_QKV_mfma4_kernelI14__hip_bfloat16S0_LN4vllm18Fp8KVCacheDataTypeE0EhLi32ELi128ELi256ELb1ELi1EEvPKT_PKT0_S8_ifPKiSA_SA_iPKfiiiPfSD_PS3_PT2_iSC_SC_
		.amdhsa_group_segment_fixed_size 5280
		.amdhsa_private_segment_fixed_size 0
		.amdhsa_kernarg_size 400
		.amdhsa_user_sgpr_count 2
		.amdhsa_user_sgpr_dispatch_ptr 0
		.amdhsa_user_sgpr_queue_ptr 0
		.amdhsa_user_sgpr_kernarg_segment_ptr 1
		.amdhsa_user_sgpr_dispatch_id 0
		.amdhsa_user_sgpr_kernarg_preload_length 0
		.amdhsa_user_sgpr_kernarg_preload_offset 0
		.amdhsa_user_sgpr_private_segment_size 0
		.amdhsa_uses_dynamic_stack 0
		.amdhsa_enable_private_segment 0
		.amdhsa_system_sgpr_workgroup_id_x 1
		.amdhsa_system_sgpr_workgroup_id_y 1
		.amdhsa_system_sgpr_workgroup_id_z 1
		.amdhsa_system_sgpr_workgroup_info 0
		.amdhsa_system_vgpr_workitem_id 0
		.amdhsa_next_free_vgpr 92
		.amdhsa_next_free_sgpr 38
		.amdhsa_accum_offset 84
		.amdhsa_reserve_vcc 1
		.amdhsa_float_round_mode_32 0
		.amdhsa_float_round_mode_16_64 0
		.amdhsa_float_denorm_mode_32 3
		.amdhsa_float_denorm_mode_16_64 3
		.amdhsa_dx10_clamp 1
		.amdhsa_ieee_mode 1
		.amdhsa_fp16_overflow 0
		.amdhsa_tg_split 0
		.amdhsa_exception_fp_ieee_invalid_op 0
		.amdhsa_exception_fp_denorm_src 0
		.amdhsa_exception_fp_ieee_div_zero 0
		.amdhsa_exception_fp_ieee_overflow 0
		.amdhsa_exception_fp_ieee_underflow 0
		.amdhsa_exception_fp_ieee_inexact 0
		.amdhsa_exception_int_div_zero 0
	.end_amdhsa_kernel
	.section	.text._Z38paged_attention_ll4mi_QKV_mfma4_kernelI14__hip_bfloat16S0_LN4vllm18Fp8KVCacheDataTypeE0EhLi32ELi128ELi256ELb1ELi1EEvPKT_PKT0_S8_ifPKiSA_SA_iPKfiiiPfSD_PS3_PT2_iSC_SC_,"axG",@progbits,_Z38paged_attention_ll4mi_QKV_mfma4_kernelI14__hip_bfloat16S0_LN4vllm18Fp8KVCacheDataTypeE0EhLi32ELi128ELi256ELb1ELi1EEvPKT_PKT0_S8_ifPKiSA_SA_iPKfiiiPfSD_PS3_PT2_iSC_SC_,comdat
.Lfunc_end688:
	.size	_Z38paged_attention_ll4mi_QKV_mfma4_kernelI14__hip_bfloat16S0_LN4vllm18Fp8KVCacheDataTypeE0EhLi32ELi128ELi256ELb1ELi1EEvPKT_PKT0_S8_ifPKiSA_SA_iPKfiiiPfSD_PS3_PT2_iSC_SC_, .Lfunc_end688-_Z38paged_attention_ll4mi_QKV_mfma4_kernelI14__hip_bfloat16S0_LN4vllm18Fp8KVCacheDataTypeE0EhLi32ELi128ELi256ELb1ELi1EEvPKT_PKT0_S8_ifPKiSA_SA_iPKfiiiPfSD_PS3_PT2_iSC_SC_
                                        ; -- End function
	.section	.AMDGPU.csdata,"",@progbits
; Kernel info:
; codeLenInByte = 4092
; NumSgprs: 44
; NumVgprs: 84
; NumAgprs: 8
; TotalNumVgprs: 92
; ScratchSize: 0
; MemoryBound: 0
; FloatMode: 240
; IeeeMode: 1
; LDSByteSize: 5280 bytes/workgroup (compile time only)
; SGPRBlocks: 5
; VGPRBlocks: 11
; NumSGPRsForWavesPerEU: 44
; NumVGPRsForWavesPerEU: 92
; AccumOffset: 84
; Occupancy: 5
; WaveLimiterHint : 1
; COMPUTE_PGM_RSRC2:SCRATCH_EN: 0
; COMPUTE_PGM_RSRC2:USER_SGPR: 2
; COMPUTE_PGM_RSRC2:TRAP_HANDLER: 0
; COMPUTE_PGM_RSRC2:TGID_X_EN: 1
; COMPUTE_PGM_RSRC2:TGID_Y_EN: 1
; COMPUTE_PGM_RSRC2:TGID_Z_EN: 1
; COMPUTE_PGM_RSRC2:TIDIG_COMP_CNT: 0
; COMPUTE_PGM_RSRC3_GFX90A:ACCUM_OFFSET: 20
; COMPUTE_PGM_RSRC3_GFX90A:TG_SPLIT: 0
	.section	.text._Z38paged_attention_ll4mi_QKV_mfma4_kernelI14__hip_bfloat16S0_LN4vllm18Fp8KVCacheDataTypeE0EhLi32ELi128ELi256ELb1ELi2EEvPKT_PKT0_S8_ifPKiSA_SA_iPKfiiiPfSD_PS3_PT2_iSC_SC_,"axG",@progbits,_Z38paged_attention_ll4mi_QKV_mfma4_kernelI14__hip_bfloat16S0_LN4vllm18Fp8KVCacheDataTypeE0EhLi32ELi128ELi256ELb1ELi2EEvPKT_PKT0_S8_ifPKiSA_SA_iPKfiiiPfSD_PS3_PT2_iSC_SC_,comdat
	.protected	_Z38paged_attention_ll4mi_QKV_mfma4_kernelI14__hip_bfloat16S0_LN4vllm18Fp8KVCacheDataTypeE0EhLi32ELi128ELi256ELb1ELi2EEvPKT_PKT0_S8_ifPKiSA_SA_iPKfiiiPfSD_PS3_PT2_iSC_SC_ ; -- Begin function _Z38paged_attention_ll4mi_QKV_mfma4_kernelI14__hip_bfloat16S0_LN4vllm18Fp8KVCacheDataTypeE0EhLi32ELi128ELi256ELb1ELi2EEvPKT_PKT0_S8_ifPKiSA_SA_iPKfiiiPfSD_PS3_PT2_iSC_SC_
	.globl	_Z38paged_attention_ll4mi_QKV_mfma4_kernelI14__hip_bfloat16S0_LN4vllm18Fp8KVCacheDataTypeE0EhLi32ELi128ELi256ELb1ELi2EEvPKT_PKT0_S8_ifPKiSA_SA_iPKfiiiPfSD_PS3_PT2_iSC_SC_
	.p2align	8
	.type	_Z38paged_attention_ll4mi_QKV_mfma4_kernelI14__hip_bfloat16S0_LN4vllm18Fp8KVCacheDataTypeE0EhLi32ELi128ELi256ELb1ELi2EEvPKT_PKT0_S8_ifPKiSA_SA_iPKfiiiPfSD_PS3_PT2_iSC_SC_,@function
_Z38paged_attention_ll4mi_QKV_mfma4_kernelI14__hip_bfloat16S0_LN4vllm18Fp8KVCacheDataTypeE0EhLi32ELi128ELi256ELb1ELi2EEvPKT_PKT0_S8_ifPKiSA_SA_iPKfiiiPfSD_PS3_PT2_iSC_SC_: ; @_Z38paged_attention_ll4mi_QKV_mfma4_kernelI14__hip_bfloat16S0_LN4vllm18Fp8KVCacheDataTypeE0EhLi32ELi128ELi256ELb1ELi2EEvPKT_PKT0_S8_ifPKiSA_SA_iPKfiiiPfSD_PS3_PT2_iSC_SC_
; %bb.0:
	s_load_dwordx2 s[8:9], s[0:1], 0x30
	s_mov_b32 s16, s3
	s_mov_b64 s[6:7], 0
	s_waitcnt lgkmcnt(0)
	s_cmp_lg_u64 s[8:9], 0
	s_cselect_b64 s[10:11], -1, 0
	s_and_b64 vcc, exec, s[10:11]
	s_cbranch_vccz .LBB689_10
; %bb.1:
	s_add_i32 s12, s2, 1
	s_mov_b32 s13, 0
	s_lshl_b64 s[14:15], s[12:13], 2
	s_add_u32 s14, s8, s14
	s_mov_b32 s3, s13
	s_addc_u32 s15, s9, s15
	s_lshl_b64 s[12:13], s[2:3], 2
	s_add_u32 s12, s8, s12
	s_addc_u32 s13, s9, s13
	s_load_dword s5, s[14:15], 0x0
	s_load_dword s17, s[12:13], 0x0
	s_waitcnt lgkmcnt(0)
	s_sub_i32 s5, s5, s17
	s_cmp_eq_u32 s5, 1
	s_cselect_b64 s[12:13], -1, 0
	s_andn2_b64 vcc, exec, s[6:7]
	s_cbranch_vccnz .LBB689_3
.LBB689_2:
	s_mov_b32 s3, 0
	s_mov_b64 s[12:13], -1
.LBB689_3:
	s_andn2_b64 vcc, exec, s[12:13]
	s_cbranch_vccnz .LBB689_27
; %bb.4:
	s_load_dword s5, s[0:1], 0x9c
	s_load_dwordx2 s[6:7], s[0:1], 0x28
	s_add_u32 s20, s0, 0x90
	s_addc_u32 s21, s1, 0
	s_lshl_b64 s[24:25], s[2:3], 2
	s_waitcnt lgkmcnt(0)
	s_and_b32 s5, s5, 0xffff
	s_add_u32 s6, s6, s24
	s_addc_u32 s7, s7, s25
	s_load_dword s3, s[6:7], 0x0
	s_mul_i32 s5, s16, s5
	s_waitcnt lgkmcnt(0)
	s_cmp_ge_i32 s5, s3
	s_cbranch_scc1 .LBB689_27
; %bb.5:
	v_and_b32_e32 v1, 0xc0, v0
	v_add_u32_e32 v2, s5, v1
	v_lshrrev_b32_e32 v78, 6, v0
	v_cmp_le_i32_e64 s[6:7], s3, v2
                                        ; implicit-def: $sgpr26
                                        ; implicit-def: $sgpr17
	s_and_saveexec_b64 s[12:13], s[6:7]
	s_xor_b64 s[12:13], exec, s[12:13]
	s_cbranch_execz .LBB689_7
; %bb.6:
	v_mul_u32_u24_e32 v1, 20, v78
	v_or_b32_e32 v1, 0x1400, v1
	v_mov_b32_e32 v2, 0x1450
	v_mov_b32_e32 v3, 0xff7fffff
	v_mad_u32_u24 v2, v78, 20, v2
	ds_write2_b32 v1, v3, v3 offset1:1
	v_mov_b32_e32 v1, 0
	ds_write2_b32 v2, v1, v1 offset1:1
	v_mov_b32_e32 v2, 0x1408
	s_mov_b32 s17, 0xff7fffff
	s_mov_b32 s26, 0
	v_mad_u32_u24 v2, v78, 20, v2
	v_mov_b32_e32 v4, 0x1458
	v_mad_u32_u24 v4, v78, 20, v4
	ds_write2_b32 v2, v3, v3 offset1:1
	ds_write2_b32 v4, v1, v1 offset1:1
                                        ; implicit-def: $vgpr2
.LBB689_7:
	s_or_saveexec_b64 s[22:23], s[12:13]
	s_load_dwordx2 s[18:19], s[0:1], 0x68
	s_load_dwordx4 s[12:15], s[0:1], 0x58
	s_load_dword s34, s[20:21], 0x4
	v_and_b32_e32 v1, 63, v0
	v_and_b32_e32 v79, 3, v0
	s_lshl_b32 s33, s4, 1
	v_mov_b32_e32 v69, s26
	v_mov_b32_e32 v72, s17
	;; [unrolled: 1-line block ×5, first 2 shown]
                                        ; implicit-def: $vgpr3
                                        ; implicit-def: $vgpr7
                                        ; implicit-def: $vgpr11
                                        ; implicit-def: $vgpr15
                                        ; implicit-def: $vgpr47
                                        ; implicit-def: $vgpr35
                                        ; implicit-def: $vgpr39
                                        ; implicit-def: $vgpr43
                                        ; implicit-def: $vgpr27
                                        ; implicit-def: $vgpr19
                                        ; implicit-def: $vgpr23
                                        ; implicit-def: $vgpr31
                                        ; implicit-def: $vgpr51
                                        ; implicit-def: $vgpr55
                                        ; implicit-def: $vgpr59
                                        ; implicit-def: $vgpr63
	s_xor_b64 exec, exec, s[22:23]
	s_cbranch_execz .LBB689_19
; %bb.8:
	s_add_i32 s28, s3, 31
	s_ashr_i32 s29, s28, 31
	s_lshr_b32 s29, s29, 27
	v_add_u32_e32 v80, s5, v0
	s_add_i32 s28, s28, s29
	v_ashrrev_i32_e32 v3, 31, v80
	s_load_dwordx2 s[26:27], s[0:1], 0x20
	s_load_dword s17, s[0:1], 0x38
	s_ashr_i32 s28, s28, 5
	v_lshrrev_b32_e32 v3, 27, v3
	s_add_i32 s30, s28, -1
	v_add_u32_e32 v3, v80, v3
	v_ashrrev_i32_e32 v3, 5, v3
	v_mov_b32_e32 v4, s30
	v_cmp_gt_i32_e32 vcc, s3, v80
	s_waitcnt lgkmcnt(0)
	s_mul_i32 s28, s2, s17
	s_mov_b32 s29, 0
	v_cndmask_b32_e32 v4, v4, v3, vcc
	v_ashrrev_i32_e32 v3, 31, v2
	v_lshrrev_b32_e32 v3, 27, v3
	v_add_u32_e32 v2, v2, v3
	s_lshl_b64 s[28:29], s[28:29], 2
	v_ashrrev_i32_e32 v6, 5, v2
	s_add_u32 s26, s26, s28
	v_min_i32_e32 v2, s30, v6
	s_addc_u32 s27, s27, s29
	v_ashrrev_i32_e32 v3, 31, v2
	v_lshl_add_u64 v[8:9], v[2:3], 2, s[26:27]
	v_add_u32_e32 v2, 1, v6
	v_ashrrev_i32_e32 v5, 31, v4
	v_min_i32_e32 v2, s30, v2
	v_lshl_add_u64 v[4:5], v[4:5], 2, s[26:27]
	v_ashrrev_i32_e32 v3, 31, v2
	v_lshl_add_u64 v[10:11], v[2:3], 2, s[26:27]
	global_load_dword v2, v[4:5], off
	global_load_dword v6, v[8:9], off
	;; [unrolled: 1-line block ×3, first 2 shown]
	s_load_dwordx2 s[26:27], s[0:1], 0x8
	s_andn2_b64 vcc, exec, s[10:11]
	s_cbranch_vccnz .LBB689_11
; %bb.9:
	s_add_u32 s8, s8, s24
	s_addc_u32 s9, s9, s25
	s_load_dword s5, s[8:9], 0x0
	s_branch .LBB689_12
.LBB689_10:
	s_mov_b64 s[12:13], 0
	s_branch .LBB689_2
.LBB689_11:
	s_mov_b32 s5, s2
.LBB689_12:
	s_load_dwordx2 s[24:25], s[0:1], 0x10
	s_load_dwordx4 s[8:11], s[0:1], 0x48
	v_cmp_gt_u32_e32 vcc, 2, v79
	s_mov_b32 s29, 0
	v_mov_b32_e32 v77, 0
	v_mov_b32_e32 v64, 0
	;; [unrolled: 1-line block ×5, first 2 shown]
	s_and_saveexec_b64 s[30:31], vcc
	s_cbranch_execz .LBB689_14
; %bb.13:
	s_load_dwordx2 s[36:37], s[0:1], 0x0
	s_waitcnt lgkmcnt(0)
	s_ashr_i32 s11, s8, 31
	s_mul_hi_u32 s17, s5, s8
	s_mul_i32 s11, s5, s11
	s_add_i32 s39, s17, s11
	s_mul_i32 s38, s5, s8
	s_lshl_b64 s[38:39], s[38:39], 1
	s_add_u32 s5, s36, s38
	s_addc_u32 s8, s37, s39
	s_lshl_b32 s28, s4, 8
	s_lshl_b64 s[36:37], s[28:29], 1
	v_lshlrev_b32_e32 v3, 2, v1
	s_add_u32 s36, s5, s36
	v_and_b32_e32 v3, 0xf0, v3
	s_addc_u32 s37, s8, s37
	v_lshl_or_b32 v3, v79, 8, v3
	global_load_dwordx4 v[64:67], v3, s[36:37]
.LBB689_14:
	s_or_b64 exec, exec, s[30:31]
	s_waitcnt lgkmcnt(0)
	s_mul_i32 s28, s4, s10
	s_lshl_b64 s[4:5], s[28:29], 1
	s_add_u32 s10, s4, s26
	s_waitcnt vmcnt(2)
	v_mad_i64_i32 v[2:3], s[30:31], v2, s9, 0
	s_addc_u32 s11, s5, s27
	v_lshl_add_u64 v[16:17], v[2:3], 1, s[10:11]
	v_and_b32_e32 v2, 31, v0
	v_lshlrev_b32_e32 v76, 4, v2
	v_lshl_add_u64 v[34:35], v[16:17], 0, v[76:77]
	global_load_dwordx4 v[72:75], v[34:35], off
	global_load_dwordx4 v[30:33], v[34:35], off offset:512
	global_load_dwordx4 v[26:29], v[34:35], off offset:1024
	global_load_dwordx4 v[12:15], v[34:35], off offset:1536
	global_load_dwordx4 v[2:5], v[34:35], off offset:2048
	global_load_dwordx4 v[8:11], v[34:35], off offset:2560
	global_load_dwordx4 v[22:25], v[34:35], off offset:3072
	global_load_dwordx4 v[18:21], v[34:35], off offset:3584
	v_or_b32_e32 v34, 0x1000, v76
	v_mov_b32_e32 v35, v77
	v_lshl_add_u64 v[42:43], v[16:17], 0, v[34:35]
	v_or_b32_e32 v34, 0x1200, v76
	v_lshl_add_u64 v[44:45], v[16:17], 0, v[34:35]
	global_load_dwordx4 v[38:41], v[42:43], off
	global_load_dwordx4 v[34:37], v[44:45], off
	v_or_b32_e32 v42, 0x1400, v76
	v_mov_b32_e32 v43, v77
	v_lshl_add_u64 v[50:51], v[16:17], 0, v[42:43]
	v_or_b32_e32 v42, 0x1600, v76
	v_lshl_add_u64 v[52:53], v[16:17], 0, v[42:43]
	global_load_dwordx4 v[46:49], v[50:51], off
	global_load_dwordx4 v[42:45], v[52:53], off
	v_or_b32_e32 v50, 0x1800, v76
	v_mov_b32_e32 v51, v77
	v_lshl_add_u64 v[58:59], v[16:17], 0, v[50:51]
	v_or_b32_e32 v50, 0x1a00, v76
	v_or_b32_e32 v76, 0x1c00, v76
	v_mov_b32_e32 v7, 0x1e00
	v_lshl_add_u64 v[60:61], v[16:17], 0, v[50:51]
	v_lshl_add_u64 v[82:83], v[16:17], 0, v[76:77]
	v_lshl_or_b32 v76, v0, 4, v7
	global_load_dwordx4 v[54:57], v[58:59], off
	global_load_dwordx4 v[50:53], v[60:61], off
	v_lshl_add_u64 v[16:17], v[16:17], 0, v[76:77]
	global_load_dwordx4 v[58:61], v[82:83], off
	global_load_dwordx4 v[68:71], v[16:17], off
	s_and_saveexec_b64 s[10:11], vcc
	s_cbranch_execz .LBB689_16
; %bb.15:
	s_load_dwordx2 s[26:27], s[0:1], 0x40
	v_or_b32_e32 v16, s33, v79
	v_mov_b32_e32 v17, 0
	s_waitcnt lgkmcnt(0)
	v_lshl_add_u64 v[16:17], v[16:17], 2, s[26:27]
	global_load_dword v77, v[16:17], off
.LBB689_16:
	s_or_b64 exec, exec, s[10:11]
	s_waitcnt vmcnt(15)
	v_mfma_f32_4x4x4_16b_bf16 a[0:3], v[64:65], v[72:73], 0 cbsz:4
	v_mul_hi_i32 v7, v6, s9
	v_ashrrev_i32_e32 v7, 31, v7
	v_mfma_f32_4x4x4_16b_bf16 a[0:3], v[66:67], v[74:75], a[0:3] cbsz:4
	v_mov_b32_e32 v73, 0
	v_lshrrev_b32_e32 v72, 29, v7
	s_waitcnt vmcnt(14)
	v_mfma_f32_4x4x4_16b_bf16 a[0:3], v[64:65], v[30:31], a[0:3] cbsz:4 abid:1
	v_mad_i64_i32 v[6:7], s[10:11], v6, s9, v[72:73]
	s_nop 0
	v_mfma_f32_4x4x4_16b_bf16 a[0:3], v[66:67], v[32:33], a[0:3] cbsz:4 abid:1
	s_add_u32 s4, s24, s4
	v_lshlrev_b64 v[6:7], 1, v[6:7]
	s_waitcnt vmcnt(13)
	v_mfma_f32_4x4x4_16b_bf16 a[0:3], v[64:65], v[26:27], a[0:3] cbsz:4 abid:2
	s_addc_u32 s5, s25, s5
	v_and_b32_e32 v6, -16, v6
	v_mfma_f32_4x4x4_16b_bf16 a[0:3], v[66:67], v[28:29], a[0:3] cbsz:4 abid:2
	v_lshlrev_b32_e32 v72, 6, v1
	v_lshl_add_u64 v[26:27], s[4:5], 0, v[6:7]
	s_waitcnt vmcnt(12)
	v_mfma_f32_4x4x4_16b_bf16 a[0:3], v[64:65], v[12:13], a[0:3] cbsz:4 abid:3
	v_or_b32_e32 v74, 0x1000, v72
	v_mov_b32_e32 v75, v73
	v_mfma_f32_4x4x4_16b_bf16 a[0:3], v[66:67], v[14:15], a[0:3] cbsz:4 abid:3
	v_lshl_add_u64 v[28:29], v[26:27], 0, v[72:73]
	v_lshl_add_u64 v[82:83], v[26:27], 0, v[74:75]
	s_waitcnt vmcnt(11)
	v_mfma_f32_4x4x4_16b_bf16 a[0:3], v[64:65], v[2:3], a[0:3] cbsz:4 abid:4
	s_load_dword s0, s[0:1], 0x1c
	v_cmp_eq_u32_e32 vcc, 0, v79
	v_mfma_f32_4x4x4_16b_bf16 a[0:3], v[66:67], v[4:5], a[0:3] cbsz:4 abid:4
	s_waitcnt vmcnt(10)
	s_nop 0
	v_mfma_f32_4x4x4_16b_bf16 a[0:3], v[64:65], v[8:9], a[0:3] cbsz:4 abid:5
	global_load_dwordx4 v[2:5], v[28:29], off
	global_load_dwordx4 v[6:9], v[28:29], off offset:16
	v_mfma_f32_4x4x4_16b_bf16 a[0:3], v[66:67], v[10:11], a[0:3] cbsz:4 abid:5
	global_load_dwordx4 v[10:13], v[28:29], off offset:32
	global_load_dwordx4 v[14:17], v[28:29], off offset:48
	s_waitcnt vmcnt(13)
	v_mfma_f32_4x4x4_16b_bf16 a[0:3], v[64:65], v[22:23], a[0:3] cbsz:4 abid:6
	s_nop 1
	v_mfma_f32_4x4x4_16b_bf16 a[0:3], v[66:67], v[24:25], a[0:3] cbsz:4 abid:6
	s_waitcnt vmcnt(12)
	s_nop 0
	v_mfma_f32_4x4x4_16b_bf16 a[0:3], v[64:65], v[18:19], a[0:3] cbsz:4 abid:7
	s_nop 1
	v_mfma_f32_4x4x4_16b_bf16 a[0:3], v[66:67], v[20:21], a[0:3] cbsz:4 abid:7
	global_load_dwordx4 v[26:29], v[82:83], off
	global_load_dwordx4 v[18:21], v[82:83], off offset:16
	s_waitcnt vmcnt(13)
	v_mfma_f32_4x4x4_16b_bf16 a[0:3], v[64:65], v[38:39], a[0:3] cbsz:4 abid:8
	v_mul_hi_i32 v38, v62, s9
	global_load_dwordx4 v[22:25], v[82:83], off offset:32
	global_load_dwordx4 v[30:33], v[82:83], off offset:48
	v_mfma_f32_4x4x4_16b_bf16 a[0:3], v[66:67], v[40:41], a[0:3] cbsz:4 abid:8
	s_waitcnt vmcnt(14)
	s_nop 0
	v_mfma_f32_4x4x4_16b_bf16 a[0:3], v[64:65], v[34:35], a[0:3] cbsz:4 abid:9
	v_ashrrev_i32_e32 v34, 31, v38
	v_lshrrev_b32_e32 v34, 29, v34
	v_mfma_f32_4x4x4_16b_bf16 a[0:3], v[66:67], v[36:37], a[0:3] cbsz:4 abid:9
	v_mov_b32_e32 v35, v73
	v_mad_i64_i32 v[34:35], s[8:9], v62, s9, v[34:35]
	s_waitcnt vmcnt(13)
	v_mfma_f32_4x4x4_16b_bf16 a[0:3], v[64:65], v[46:47], a[0:3] cbsz:4 abid:10
	v_lshlrev_b64 v[34:35], 1, v[34:35]
	v_and_b32_e32 v34, -16, v34
	v_mfma_f32_4x4x4_16b_bf16 a[0:3], v[66:67], v[48:49], a[0:3] cbsz:4 abid:10
	s_waitcnt vmcnt(12)
	s_nop 0
	v_mfma_f32_4x4x4_16b_bf16 a[0:3], v[64:65], v[42:43], a[0:3] cbsz:4 abid:11
	s_nop 1
	v_mfma_f32_4x4x4_16b_bf16 a[0:3], v[66:67], v[44:45], a[0:3] cbsz:4 abid:11
	s_waitcnt vmcnt(11)
	s_nop 0
	v_mfma_f32_4x4x4_16b_bf16 a[0:3], v[64:65], v[54:55], a[0:3] cbsz:4 abid:12
	v_lshl_add_u64 v[54:55], s[4:5], 0, v[34:35]
	s_nop 0
	v_mfma_f32_4x4x4_16b_bf16 a[0:3], v[66:67], v[56:57], a[0:3] cbsz:4 abid:12
	v_lshl_add_u64 v[56:57], v[54:55], 0, v[72:73]
	v_lshl_add_u64 v[72:73], v[54:55], 0, v[74:75]
	s_waitcnt vmcnt(10)
	v_mfma_f32_4x4x4_16b_bf16 a[0:3], v[64:65], v[50:51], a[0:3] cbsz:4 abid:13
	global_load_dwordx4 v[46:49], v[56:57], off
	global_load_dwordx4 v[34:37], v[56:57], off offset:16
	v_mfma_f32_4x4x4_16b_bf16 a[0:3], v[66:67], v[52:53], a[0:3] cbsz:4 abid:13
	global_load_dwordx4 v[38:41], v[56:57], off offset:32
	global_load_dwordx4 v[42:45], v[56:57], off offset:48
	s_waitcnt vmcnt(13)
	v_mfma_f32_4x4x4_16b_bf16 a[0:3], v[64:65], v[58:59], a[0:3] cbsz:4 abid:14
	global_load_dwordx4 v[50:53], v[72:73], off
	global_load_dwordx4 v[54:57], v[72:73], off offset:16
	v_mfma_f32_4x4x4_16b_bf16 a[0:3], v[66:67], v[60:61], a[0:3] cbsz:4 abid:14
	s_waitcnt vmcnt(14)
	s_nop 0
	v_mfma_f32_4x4x4_16b_bf16 a[0:3], v[64:65], v[68:69], a[0:3] cbsz:4 abid:15
	global_load_dwordx4 v[58:61], v[72:73], off offset:32
	global_load_dwordx4 v[62:65], v[72:73], off offset:48
	v_mfma_f32_4x4x4_16b_bf16 a[0:3], v[66:67], v[70:71], a[0:3] cbsz:4 abid:15
	v_cndmask_b32_e64 v70, 0, 1.0, vcc
	v_cmp_eq_u32_e32 vcc, 1, v79
	v_mov_b32_e32 v73, 0xff7fffff
	s_nop 1
	v_accvgpr_read_b32 v69, a1
	v_accvgpr_read_b32 v68, a0
	s_waitcnt lgkmcnt(0)
	v_pk_mul_f32 v[68:69], s[0:1], v[68:69] op_sel_hi:[0,1]
	v_accvgpr_read_b32 v67, a3
	v_accvgpr_read_b32 v66, a2
	v_pk_mul_f32 v[66:67], s[0:1], v[66:67] op_sel_hi:[0,1]
	v_mfma_f32_4x4x1_16b_f32 a[0:3], v68, v70, 0
	v_cndmask_b32_e64 v68, 0, 1.0, vcc
	v_cmp_eq_u32_e32 vcc, 2, v79
	s_nop 0
	v_mfma_f32_4x4x1_16b_f32 a[0:3], v69, v68, a[0:3]
	v_cndmask_b32_e64 v68, 0, 1.0, vcc
	v_cmp_eq_u32_e32 vcc, 3, v79
	s_nop 0
	v_mfma_f32_4x4x1_16b_f32 a[0:3], v66, v68, a[0:3]
	v_cndmask_b32_e64 v66, 0, 1.0, vcc
	s_nop 1
	v_mfma_f32_4x4x1_16b_f32 a[0:3], v67, v66, a[0:3]
	v_and_b32_e32 v66, -4, v80
	v_subrev_u32_e32 v67, s3, v66
	v_add_u32_e32 v68, 1, v67
	v_cvt_f32_i32_e32 v68, v68
	v_add_u32_e32 v69, 2, v67
	v_cvt_f32_i32_e32 v69, v69
	v_accvgpr_read_b32 v70, a0
	v_fma_f32 v68, v77, v68, v70
	v_accvgpr_read_b32 v70, a1
	v_fma_f32 v69, v77, v69, v70
	v_add_u32_e32 v70, 3, v67
	v_cvt_f32_i32_e32 v70, v70
	v_add_u32_e32 v67, 4, v67
	v_max_f32_e32 v72, 0xff7fffff, v68
	v_cmp_gt_i32_e32 vcc, s3, v66
	v_cvt_f32_i32_e32 v67, v67
	v_accvgpr_read_b32 v71, a2
	v_cndmask_b32_e32 v72, v73, v72, vcc
	v_or_b32_e32 v73, 1, v66
	v_max_f32_e32 v74, v72, v69
	v_cmp_gt_i32_e64 s[0:1], s3, v73
	v_fma_f32 v70, v77, v70, v71
	v_or_b32_e32 v66, 2, v66
	v_cndmask_b32_e64 v72, v72, v74, s[0:1]
	v_accvgpr_read_b32 v71, a3
	v_max_f32_e32 v73, v72, v70
	v_cmp_gt_i32_e64 s[4:5], s3, v66
	v_fmac_f32_e32 v71, v77, v67
	v_lshlrev_b32_e32 v67, 2, v0
	v_cndmask_b32_e64 v66, v72, v73, s[4:5]
	v_or_b32_e32 v72, 3, v80
	v_max_f32_e32 v73, v66, v71
	v_cmp_gt_i32_e64 s[8:9], s3, v72
	v_and_or_b32 v67, v67, 48, v79
	s_nop 0
	v_cndmask_b32_e64 v66, v66, v73, s[8:9]
	;;#ASMSTART
	v_nop
 v_nop
 v_max_f32_dpp v66, v66, v66 row_ror:4
	;;#ASMEND
	v_lshlrev_b32_e32 v73, 2, v67
	;;#ASMSTART
	v_nop
 v_nop
 v_max_f32_dpp v66, v66, v66 row_ror:8
	;;#ASMEND
	ds_bpermute_b32 v66, v73, v66
	s_waitcnt lgkmcnt(0)
	;;#ASMSTART
	v_nop
 v_nop
 v_max_f32_dpp v66, v66, v66 row_ror:4
	;;#ASMEND
	s_nop 0
	;;#ASMSTART
	v_nop
 v_nop
 v_max_f32_dpp v72, v66, v66 row_ror:8
	;;#ASMEND
	s_nop 0
	v_sub_f32_e32 v66, v68, v72
	v_mul_f32_e32 v66, 0x3fb8aa3b, v66
	v_sub_f32_e32 v67, v69, v72
	v_exp_f32_e32 v66, v66
	v_mul_f32_e32 v67, 0x3fb8aa3b, v67
	v_sub_f32_e32 v69, v70, v72
	v_exp_f32_e32 v67, v67
	;; [unrolled: 3-line block ×3, first 2 shown]
	v_mul_f32_e32 v70, 0x3fb8aa3b, v70
	v_exp_f32_e32 v70, v70
	v_cndmask_b32_e32 v66, 0, v66, vcc
	v_add_f32_e32 v68, 0, v66
	v_cndmask_b32_e64 v67, 0, v67, s[0:1]
	v_add_f32_e32 v71, v68, v67
	v_cndmask_b32_e64 v68, 0, v69, s[4:5]
	;; [unrolled: 2-line block ×3, first 2 shown]
	v_add_f32_e32 v70, v71, v69
	;;#ASMSTART
	v_nop
 v_nop
 v_add_f32_dpp v70, v70, v70 row_ror:4
	;;#ASMEND
	v_cmp_gt_u32_e32 vcc, 4, v1
	;;#ASMSTART
	v_nop
 v_nop
 v_add_f32_dpp v70, v70, v70 row_ror:8
	;;#ASMEND
	ds_bpermute_b32 v70, v73, v70
	s_waitcnt lgkmcnt(0)
	;;#ASMSTART
	v_nop
 v_nop
 v_add_f32_dpp v70, v70, v70 row_ror:4
	;;#ASMEND
	s_nop 0
	;;#ASMSTART
	v_nop
 v_nop
 v_add_f32_dpp v70, v70, v70 row_ror:8
	;;#ASMEND
	s_and_saveexec_b64 s[0:1], vcc
	s_cbranch_execz .LBB689_18
; %bb.17:
	v_mul_u32_u24_e32 v71, 20, v78
	v_lshl_add_u32 v71, v79, 2, v71
	v_add_u32_e32 v71, 0x1400, v71
	ds_write2_b32 v71, v72, v70 offset1:20
.LBB689_18:
	s_or_b64 exec, exec, s[0:1]
.LBB689_19:
	s_or_b64 exec, exec, s[22:23]
	s_waitcnt lgkmcnt(0)
	s_barrier
	s_load_dword s0, s[20:21], 0x8
	v_lshlrev_b32_e32 v70, 2, v79
	v_add_u32_e32 v73, 0x1400, v70
	ds_read2_b32 v[70:71], v73 offset1:5
	ds_read2_b32 v[76:77], v73 offset0:10 offset1:15
	s_mul_i32 s1, s2, s34
	s_waitcnt lgkmcnt(0)
	s_mul_i32 s1, s1, s0
	s_lshl_b32 s0, s1, 1
	s_mov_b32 s1, 0xff7fffff
	v_max3_f32 v74, v70, s1, v71
	v_max3_f32 v74, v74, v76, v77
	v_sub_f32_e32 v70, v70, v74
	v_mul_f32_e32 v70, 0x3fb8aa3b, v70
	v_exp_f32_e32 v75, v70
	v_sub_f32_e32 v70, v71, v74
	ds_read2_b32 v[80:81], v73 offset0:20 offset1:25
	v_mul_f32_e32 v70, 0x3fb8aa3b, v70
	v_exp_f32_e32 v82, v70
	ds_read2_b32 v[70:71], v73 offset0:30 offset1:35
	v_sub_f32_e32 v73, v76, v74
	v_mul_f32_e32 v73, 0x3fb8aa3b, v73
	v_sub_f32_e32 v76, v77, v74
	v_exp_f32_e32 v73, v73
	v_mul_f32_e32 v76, 0x3fb8aa3b, v76
	v_exp_f32_e32 v76, v76
	s_waitcnt lgkmcnt(1)
	v_fma_f32 v75, v75, v80, 0
	v_fmac_f32_e32 v75, v82, v81
	s_waitcnt lgkmcnt(0)
	v_fmac_f32_e32 v75, v73, v70
	v_fmac_f32_e32 v75, v76, v71
	v_cmp_gt_u32_e32 vcc, 2, v79
	s_and_saveexec_b64 s[2:3], vcc
	s_cbranch_execz .LBB689_21
; %bb.20:
	s_mov_b32 s1, 0
	s_lshl_b64 s[4:5], s[0:1], 2
	s_add_u32 s10, s12, s4
	s_mov_b32 s17, s1
	s_addc_u32 s11, s13, s5
	s_lshl_b64 s[8:9], s[16:17], 2
	s_add_u32 s10, s10, s8
	s_addc_u32 s11, s11, s9
	s_add_u32 s1, s14, s4
	s_addc_u32 s5, s15, s5
	v_or_b32_e32 v70, s33, v79
	s_add_u32 s4, s1, s8
	v_mul_lo_u32 v70, s34, v70
	v_mov_b32_e32 v71, 0
	s_addc_u32 s5, s5, s9
	v_lshlrev_b64 v[70:71], 2, v[70:71]
	v_lshl_add_u64 v[76:77], s[10:11], 0, v[70:71]
	v_lshl_add_u64 v[70:71], s[4:5], 0, v[70:71]
	global_store_dword v[70:71], v74, off
	global_store_dword v[76:77], v75, off
.LBB689_21:
	s_or_b64 exec, exec, s[2:3]
	v_lshlrev_b32_e32 v73, 3, v78
                                        ; implicit-def: $sgpr1
	s_and_saveexec_b64 s[2:3], s[6:7]
	s_xor_b64 s[2:3], exec, s[2:3]
	s_cbranch_execz .LBB689_23
; %bb.22:
	s_waitcnt vmcnt(15)
	v_mov_b32_e32 v2, 0
	v_mad_u32_u24 v4, v1, 40, v73
	s_mov_b32 s1, 0
	v_mov_b32_e32 v3, v2
	ds_write_b64 v4, v[2:3]
                                        ; implicit-def: $vgpr69
                                        ; implicit-def: $vgpr67
                                        ; implicit-def: $vgpr3
                                        ; implicit-def: $vgpr7
                                        ; implicit-def: $vgpr11
                                        ; implicit-def: $vgpr15
                                        ; implicit-def: $vgpr47
                                        ; implicit-def: $vgpr35
                                        ; implicit-def: $vgpr39
                                        ; implicit-def: $vgpr43
                                        ; implicit-def: $vgpr27
                                        ; implicit-def: $vgpr19
                                        ; implicit-def: $vgpr23
                                        ; implicit-def: $vgpr31
                                        ; implicit-def: $vgpr51
                                        ; implicit-def: $vgpr55
                                        ; implicit-def: $vgpr59
                                        ; implicit-def: $vgpr63
                                        ; implicit-def: $vgpr72
                                        ; implicit-def: $vgpr74
                                        ; implicit-def: $vgpr75
.LBB689_23:
	s_or_saveexec_b64 s[2:3], s[2:3]
	v_mov_b32_e32 v70, s1
	v_mov_b32_e32 v71, s1
	s_xor_b64 exec, exec, s[2:3]
	s_cbranch_execz .LBB689_25
; %bb.24:
	v_add_f32_e32 v70, 0x358637bd, v75
	v_div_scale_f32 v71, s[4:5], v70, v70, 1.0
	v_rcp_f32_e32 v75, v71
	v_sub_f32_e32 v72, v72, v74
	v_mul_f32_e32 v72, 0x3fb8aa3b, v72
	v_exp_f32_e32 v72, v72
	v_fma_f32 v74, -v71, v75, 1.0
	v_fmac_f32_e32 v75, v74, v75
	v_div_scale_f32 v74, vcc, 1.0, v70, 1.0
	v_mul_f32_e32 v76, v74, v75
	v_fma_f32 v77, -v71, v76, v74
	v_fmac_f32_e32 v76, v77, v75
	v_fma_f32 v71, -v71, v76, v74
	v_div_fmas_f32 v71, v71, v75, v76
	v_div_fixup_f32 v70, v71, v70, 1.0
	v_mul_f32_e32 v70, v72, v70
	v_pk_mul_f32 v[66:67], v[66:67], v[70:71] op_sel_hi:[1,0]
	v_pk_mul_f32 v[68:69], v[68:69], v[70:71] op_sel_hi:[1,0]
	v_bfe_u32 v70, v67, 16, 1
	v_bfe_u32 v71, v66, 16, 1
	s_movk_i32 s1, 0x7fff
	v_add3_u32 v66, v66, v71, s1
	v_add3_u32 v67, v67, v70, s1
	s_mov_b32 s4, 0x7060302
	v_perm_b32 v66, v67, v66, s4
	v_bfe_u32 v67, v69, 16, 1
	v_bfe_u32 v70, v68, 16, 1
	v_add3_u32 v68, v68, v70, s1
	v_add3_u32 v67, v69, v67, s1
	v_perm_b32 v67, v67, v68, s4
	s_waitcnt vmcnt(15)
	s_nop 0
	v_mfma_f32_4x4x4_16b_bf16 a[0:3], v[66:67], v[2:3], 0 cbsz:4
	s_nop 1
	v_mfma_f32_4x4x4_16b_bf16 a[0:3], v[66:67], v[4:5], a[0:3] cbsz:4 abid:1
	s_waitcnt vmcnt(11)
	v_mfma_f32_4x4x4_16b_bf16 a[4:7], v[66:67], v[26:27], 0 cbsz:4
	v_mfma_f32_4x4x4_16b_bf16 a[0:3], v[66:67], v[6:7], a[0:3] cbsz:4 abid:2
	s_nop 0
	v_mfma_f32_4x4x4_16b_bf16 a[4:7], v[66:67], v[28:29], a[4:7] cbsz:4 abid:1
	v_mfma_f32_4x4x4_16b_bf16 a[0:3], v[66:67], v[8:9], a[0:3] cbsz:4 abid:3
	s_waitcnt vmcnt(10)
	v_mfma_f32_4x4x4_16b_bf16 a[4:7], v[66:67], v[18:19], a[4:7] cbsz:4 abid:2
	v_mfma_f32_4x4x4_16b_bf16 a[0:3], v[66:67], v[10:11], a[0:3] cbsz:4 abid:4
	s_nop 1
	v_mfma_f32_4x4x4_16b_bf16 a[0:3], v[66:67], v[12:13], a[0:3] cbsz:4 abid:5
	s_nop 1
	;; [unrolled: 2-line block ×3, first 2 shown]
	v_mfma_f32_4x4x4_16b_bf16 a[0:3], v[66:67], v[16:17], a[0:3] cbsz:4 abid:7
	s_waitcnt vmcnt(7)
	s_nop 0
	v_mfma_f32_4x4x4_16b_bf16 a[0:3], v[66:67], v[46:47], a[0:3] cbsz:4 abid:8
	s_nop 1
	v_mfma_f32_4x4x4_16b_bf16 a[0:3], v[66:67], v[48:49], a[0:3] cbsz:4 abid:9
	s_waitcnt vmcnt(6)
	s_nop 0
	v_mfma_f32_4x4x4_16b_bf16 a[0:3], v[66:67], v[34:35], a[0:3] cbsz:4 abid:10
	s_nop 1
	;; [unrolled: 5-line block ×4, first 2 shown]
	v_mfma_f32_4x4x4_16b_bf16 a[0:3], v[66:67], v[44:45], a[0:3] cbsz:4 abid:15
	s_nop 4
	v_accvgpr_read_b32 v3, a2
	v_accvgpr_read_b32 v4, a3
	;; [unrolled: 1-line block ×4, first 2 shown]
	v_mfma_f32_4x4x4_16b_bf16 a[0:3], v[66:67], v[20:21], a[4:7] cbsz:4 abid:3
	v_bfe_u32 v6, v5, 16, 1
	v_bfe_u32 v7, v2, 16, 1
	v_mfma_f32_4x4x4_16b_bf16 a[0:3], v[66:67], v[22:23], a[0:3] cbsz:4 abid:4
	v_add3_u32 v2, v2, v7, s1
	v_add3_u32 v5, v5, v6, s1
	v_mfma_f32_4x4x4_16b_bf16 a[0:3], v[66:67], v[24:25], a[0:3] cbsz:4 abid:5
	v_perm_b32 v2, v5, v2, s4
	v_bfe_u32 v5, v4, 16, 1
	v_mfma_f32_4x4x4_16b_bf16 a[0:3], v[66:67], v[30:31], a[0:3] cbsz:4 abid:6
	v_bfe_u32 v6, v3, 16, 1
	v_add3_u32 v3, v3, v6, s1
	v_mfma_f32_4x4x4_16b_bf16 a[0:3], v[66:67], v[32:33], a[0:3] cbsz:4 abid:7
	v_add3_u32 v4, v4, v5, s1
	v_perm_b32 v3, v4, v3, s4
	s_waitcnt vmcnt(3)
	v_mfma_f32_4x4x4_16b_bf16 a[0:3], v[66:67], v[50:51], a[0:3] cbsz:4 abid:8
	v_mad_u32_u24 v4, v1, 40, v73
	ds_write_b64 v4, v[2:3]
	v_mfma_f32_4x4x4_16b_bf16 a[0:3], v[66:67], v[52:53], a[0:3] cbsz:4 abid:9
	s_waitcnt vmcnt(2)
	s_nop 0
	v_mfma_f32_4x4x4_16b_bf16 a[0:3], v[66:67], v[54:55], a[0:3] cbsz:4 abid:10
	s_nop 1
	v_mfma_f32_4x4x4_16b_bf16 a[0:3], v[66:67], v[56:57], a[0:3] cbsz:4 abid:11
	s_waitcnt vmcnt(1)
	s_nop 0
	v_mfma_f32_4x4x4_16b_bf16 a[0:3], v[66:67], v[58:59], a[0:3] cbsz:4 abid:12
	s_nop 1
	;; [unrolled: 5-line block ×3, first 2 shown]
	v_mfma_f32_4x4x4_16b_bf16 a[0:3], v[66:67], v[64:65], a[0:3] cbsz:4 abid:15
	s_nop 4
	v_accvgpr_read_b32 v4, a0
	v_accvgpr_read_b32 v5, a1
	;; [unrolled: 1-line block ×4, first 2 shown]
	v_bfe_u32 v6, v5, 16, 1
	v_bfe_u32 v7, v4, 16, 1
	v_add3_u32 v4, v4, v7, s1
	v_add3_u32 v5, v5, v6, s1
	v_bfe_u32 v6, v3, 16, 1
	v_bfe_u32 v7, v2, 16, 1
	v_add3_u32 v2, v2, v7, s1
	v_add3_u32 v3, v3, v6, s1
	v_perm_b32 v71, v3, v2, s4
	v_perm_b32 v70, v5, v4, s4
.LBB689_25:
	s_or_b64 exec, exec, s[2:3]
	s_waitcnt vmcnt(15)
	v_mad_u32_u24 v2, v1, 40, v73
	v_cmp_gt_u32_e32 vcc, 64, v0
	ds_write_b64 v2, v[70:71] offset:2560
	s_waitcnt lgkmcnt(0)
	s_barrier
	s_and_saveexec_b64 s[2:3], vcc
	s_cbranch_execz .LBB689_27
; %bb.26:
	s_waitcnt vmcnt(14)
	v_mul_u32_u24_e32 v6, 40, v1
	ds_read2_b64 v[2:5], v6 offset1:1
	ds_read2_b64 v[6:9], v6 offset0:2 offset1:3
	s_mov_b32 s1, 0
	s_lshl_b32 s0, s0, 7
	s_lshl_b64 s[2:3], s[0:1], 1
	s_waitcnt lgkmcnt(1)
	v_and_b32_e32 v3, 0xffff0000, v2
	v_add_f32_e32 v3, 0, v3
	v_and_b32_e32 v5, 0xffff0000, v4
	v_and_b32_e32 v3, 0xffff0000, v3
	v_add_f32_e32 v3, v3, v5
	s_waitcnt lgkmcnt(0)
	v_and_b32_e32 v7, 0xffff0000, v6
	v_and_b32_e32 v3, 0xffff0000, v3
	v_add_f32_e32 v3, v3, v7
	v_mov_b32_e32 v7, 0xa00
	v_mad_u32_u24 v7, v1, 40, v7
	s_waitcnt vmcnt(13)
	ds_read2_b64 v[10:13], v7 offset1:1
	v_and_b32_e32 v3, 0xffff0000, v3
	v_and_b32_e32 v5, 0xffff0000, v8
	v_add_f32_e32 v7, v3, v5
	v_mov_b32_e32 v3, 0xa10
	v_mad_u32_u24 v1, v1, 40, v3
	s_waitcnt vmcnt(12)
	ds_read2_b64 v[14:17], v1 offset1:1
	s_waitcnt lgkmcnt(1)
	v_lshlrev_b32_e32 v1, 16, v10
	v_add_f32_e32 v1, 0, v1
	v_and_b32_e32 v3, 0xffff0000, v10
	v_and_b32_e32 v1, 0xffff0000, v1
	v_add_f32_e32 v3, 0, v3
	v_lshlrev_b32_e32 v5, 16, v12
	v_and_b32_e32 v3, 0xffff0000, v3
	v_add_f32_e32 v1, v1, v5
	v_and_b32_e32 v5, 0xffff0000, v12
	v_and_b32_e32 v1, 0xffff0000, v1
	v_add_f32_e32 v3, v3, v5
	s_waitcnt lgkmcnt(0)
	v_lshlrev_b32_e32 v5, 16, v14
	v_and_b32_e32 v3, 0xffff0000, v3
	v_add_f32_e32 v1, v1, v5
	v_and_b32_e32 v5, 0xffff0000, v14
	v_and_b32_e32 v1, 0xffff0000, v1
	v_add_f32_e32 v3, v3, v5
	v_lshlrev_b32_e32 v5, 16, v16
	v_and_b32_e32 v3, 0xffff0000, v3
	v_add_f32_e32 v9, v1, v5
	v_and_b32_e32 v1, 0xffff0000, v16
	v_add_f32_e32 v10, v3, v1
	v_lshlrev_b32_e32 v1, 16, v2
	s_add_u32 s2, s18, s2
	v_add_f32_e32 v1, 0, v1
	s_addc_u32 s3, s19, s3
	s_lshl_b32 s0, s16, 7
	v_and_b32_e32 v1, 0xffff0000, v1
	v_lshlrev_b32_e32 v2, 16, v4
	s_lshl_b64 s[0:1], s[0:1], 1
	v_add_f32_e32 v1, v1, v2
	s_add_u32 s0, s2, s0
	v_and_b32_e32 v1, 0xffff0000, v1
	v_lshlrev_b32_e32 v2, 16, v6
	s_addc_u32 s1, s3, s1
	s_lshl_b32 s2, s34, 7
	v_add_f32_e32 v1, v1, v2
	v_and_b32_e32 v1, 0xffff0000, v1
	v_lshlrev_b32_e32 v2, 16, v8
	s_mul_i32 s3, s2, s33
	v_add_f32_e32 v1, v1, v2
	v_or_b32_e32 v2, s3, v0
	v_mov_b32_e32 v3, 0
	s_add_i32 s3, s3, s2
	v_lshl_add_u64 v[4:5], v[2:3], 1, s[0:1]
	v_or_b32_e32 v2, s3, v0
	global_store_short_d16_hi v[4:5], v1, off
	v_lshl_add_u64 v[0:1], v[2:3], 1, s[0:1]
	global_store_short_d16_hi v[0:1], v7, off
	global_store_short_d16_hi v[4:5], v9, off offset:128
	global_store_short_d16_hi v[0:1], v10, off offset:128
.LBB689_27:
	s_endpgm
	.section	.rodata,"a",@progbits
	.p2align	6, 0x0
	.amdhsa_kernel _Z38paged_attention_ll4mi_QKV_mfma4_kernelI14__hip_bfloat16S0_LN4vllm18Fp8KVCacheDataTypeE0EhLi32ELi128ELi256ELb1ELi2EEvPKT_PKT0_S8_ifPKiSA_SA_iPKfiiiPfSD_PS3_PT2_iSC_SC_
		.amdhsa_group_segment_fixed_size 5280
		.amdhsa_private_segment_fixed_size 0
		.amdhsa_kernarg_size 400
		.amdhsa_user_sgpr_count 2
		.amdhsa_user_sgpr_dispatch_ptr 0
		.amdhsa_user_sgpr_queue_ptr 0
		.amdhsa_user_sgpr_kernarg_segment_ptr 1
		.amdhsa_user_sgpr_dispatch_id 0
		.amdhsa_user_sgpr_kernarg_preload_length 0
		.amdhsa_user_sgpr_kernarg_preload_offset 0
		.amdhsa_user_sgpr_private_segment_size 0
		.amdhsa_uses_dynamic_stack 0
		.amdhsa_enable_private_segment 0
		.amdhsa_system_sgpr_workgroup_id_x 1
		.amdhsa_system_sgpr_workgroup_id_y 1
		.amdhsa_system_sgpr_workgroup_id_z 1
		.amdhsa_system_sgpr_workgroup_info 0
		.amdhsa_system_vgpr_workitem_id 0
		.amdhsa_next_free_vgpr 92
		.amdhsa_next_free_sgpr 40
		.amdhsa_accum_offset 84
		.amdhsa_reserve_vcc 1
		.amdhsa_float_round_mode_32 0
		.amdhsa_float_round_mode_16_64 0
		.amdhsa_float_denorm_mode_32 3
		.amdhsa_float_denorm_mode_16_64 3
		.amdhsa_dx10_clamp 1
		.amdhsa_ieee_mode 1
		.amdhsa_fp16_overflow 0
		.amdhsa_tg_split 0
		.amdhsa_exception_fp_ieee_invalid_op 0
		.amdhsa_exception_fp_denorm_src 0
		.amdhsa_exception_fp_ieee_div_zero 0
		.amdhsa_exception_fp_ieee_overflow 0
		.amdhsa_exception_fp_ieee_underflow 0
		.amdhsa_exception_fp_ieee_inexact 0
		.amdhsa_exception_int_div_zero 0
	.end_amdhsa_kernel
	.section	.text._Z38paged_attention_ll4mi_QKV_mfma4_kernelI14__hip_bfloat16S0_LN4vllm18Fp8KVCacheDataTypeE0EhLi32ELi128ELi256ELb1ELi2EEvPKT_PKT0_S8_ifPKiSA_SA_iPKfiiiPfSD_PS3_PT2_iSC_SC_,"axG",@progbits,_Z38paged_attention_ll4mi_QKV_mfma4_kernelI14__hip_bfloat16S0_LN4vllm18Fp8KVCacheDataTypeE0EhLi32ELi128ELi256ELb1ELi2EEvPKT_PKT0_S8_ifPKiSA_SA_iPKfiiiPfSD_PS3_PT2_iSC_SC_,comdat
.Lfunc_end689:
	.size	_Z38paged_attention_ll4mi_QKV_mfma4_kernelI14__hip_bfloat16S0_LN4vllm18Fp8KVCacheDataTypeE0EhLi32ELi128ELi256ELb1ELi2EEvPKT_PKT0_S8_ifPKiSA_SA_iPKfiiiPfSD_PS3_PT2_iSC_SC_, .Lfunc_end689-_Z38paged_attention_ll4mi_QKV_mfma4_kernelI14__hip_bfloat16S0_LN4vllm18Fp8KVCacheDataTypeE0EhLi32ELi128ELi256ELb1ELi2EEvPKT_PKT0_S8_ifPKiSA_SA_iPKfiiiPfSD_PS3_PT2_iSC_SC_
                                        ; -- End function
	.section	.AMDGPU.csdata,"",@progbits
; Kernel info:
; codeLenInByte = 4304
; NumSgprs: 46
; NumVgprs: 84
; NumAgprs: 8
; TotalNumVgprs: 92
; ScratchSize: 0
; MemoryBound: 0
; FloatMode: 240
; IeeeMode: 1
; LDSByteSize: 5280 bytes/workgroup (compile time only)
; SGPRBlocks: 5
; VGPRBlocks: 11
; NumSGPRsForWavesPerEU: 46
; NumVGPRsForWavesPerEU: 92
; AccumOffset: 84
; Occupancy: 5
; WaveLimiterHint : 1
; COMPUTE_PGM_RSRC2:SCRATCH_EN: 0
; COMPUTE_PGM_RSRC2:USER_SGPR: 2
; COMPUTE_PGM_RSRC2:TRAP_HANDLER: 0
; COMPUTE_PGM_RSRC2:TGID_X_EN: 1
; COMPUTE_PGM_RSRC2:TGID_Y_EN: 1
; COMPUTE_PGM_RSRC2:TGID_Z_EN: 1
; COMPUTE_PGM_RSRC2:TIDIG_COMP_CNT: 0
; COMPUTE_PGM_RSRC3_GFX90A:ACCUM_OFFSET: 20
; COMPUTE_PGM_RSRC3_GFX90A:TG_SPLIT: 0
	.section	.text._Z38paged_attention_ll4mi_QKV_mfma4_kernelI14__hip_bfloat16S0_LN4vllm18Fp8KVCacheDataTypeE0EhLi32ELi128ELi256ELb1ELi3EEvPKT_PKT0_S8_ifPKiSA_SA_iPKfiiiPfSD_PS3_PT2_iSC_SC_,"axG",@progbits,_Z38paged_attention_ll4mi_QKV_mfma4_kernelI14__hip_bfloat16S0_LN4vllm18Fp8KVCacheDataTypeE0EhLi32ELi128ELi256ELb1ELi3EEvPKT_PKT0_S8_ifPKiSA_SA_iPKfiiiPfSD_PS3_PT2_iSC_SC_,comdat
	.protected	_Z38paged_attention_ll4mi_QKV_mfma4_kernelI14__hip_bfloat16S0_LN4vllm18Fp8KVCacheDataTypeE0EhLi32ELi128ELi256ELb1ELi3EEvPKT_PKT0_S8_ifPKiSA_SA_iPKfiiiPfSD_PS3_PT2_iSC_SC_ ; -- Begin function _Z38paged_attention_ll4mi_QKV_mfma4_kernelI14__hip_bfloat16S0_LN4vllm18Fp8KVCacheDataTypeE0EhLi32ELi128ELi256ELb1ELi3EEvPKT_PKT0_S8_ifPKiSA_SA_iPKfiiiPfSD_PS3_PT2_iSC_SC_
	.globl	_Z38paged_attention_ll4mi_QKV_mfma4_kernelI14__hip_bfloat16S0_LN4vllm18Fp8KVCacheDataTypeE0EhLi32ELi128ELi256ELb1ELi3EEvPKT_PKT0_S8_ifPKiSA_SA_iPKfiiiPfSD_PS3_PT2_iSC_SC_
	.p2align	8
	.type	_Z38paged_attention_ll4mi_QKV_mfma4_kernelI14__hip_bfloat16S0_LN4vllm18Fp8KVCacheDataTypeE0EhLi32ELi128ELi256ELb1ELi3EEvPKT_PKT0_S8_ifPKiSA_SA_iPKfiiiPfSD_PS3_PT2_iSC_SC_,@function
_Z38paged_attention_ll4mi_QKV_mfma4_kernelI14__hip_bfloat16S0_LN4vllm18Fp8KVCacheDataTypeE0EhLi32ELi128ELi256ELb1ELi3EEvPKT_PKT0_S8_ifPKiSA_SA_iPKfiiiPfSD_PS3_PT2_iSC_SC_: ; @_Z38paged_attention_ll4mi_QKV_mfma4_kernelI14__hip_bfloat16S0_LN4vllm18Fp8KVCacheDataTypeE0EhLi32ELi128ELi256ELb1ELi3EEvPKT_PKT0_S8_ifPKiSA_SA_iPKfiiiPfSD_PS3_PT2_iSC_SC_
; %bb.0:
	s_load_dwordx2 s[8:9], s[0:1], 0x30
	s_mov_b32 s16, s3
	s_mov_b64 s[6:7], 0
	s_waitcnt lgkmcnt(0)
	s_cmp_lg_u64 s[8:9], 0
	s_cselect_b64 s[10:11], -1, 0
	s_and_b64 vcc, exec, s[10:11]
	s_cbranch_vccz .LBB690_10
; %bb.1:
	s_add_i32 s12, s2, 1
	s_mov_b32 s13, 0
	s_lshl_b64 s[14:15], s[12:13], 2
	s_add_u32 s14, s8, s14
	s_mov_b32 s3, s13
	s_addc_u32 s15, s9, s15
	s_lshl_b64 s[12:13], s[2:3], 2
	s_add_u32 s12, s8, s12
	s_addc_u32 s13, s9, s13
	s_load_dword s5, s[14:15], 0x0
	s_load_dword s17, s[12:13], 0x0
	s_waitcnt lgkmcnt(0)
	s_sub_i32 s5, s5, s17
	s_cmp_eq_u32 s5, 1
	s_cselect_b64 s[12:13], -1, 0
	s_andn2_b64 vcc, exec, s[6:7]
	s_cbranch_vccnz .LBB690_3
.LBB690_2:
	s_mov_b32 s3, 0
	s_mov_b64 s[12:13], -1
.LBB690_3:
	s_andn2_b64 vcc, exec, s[12:13]
	s_cbranch_vccnz .LBB690_27
; %bb.4:
	s_load_dword s5, s[0:1], 0x9c
	s_load_dwordx2 s[6:7], s[0:1], 0x28
	s_add_u32 s20, s0, 0x90
	s_addc_u32 s21, s1, 0
	s_lshl_b64 s[24:25], s[2:3], 2
	s_waitcnt lgkmcnt(0)
	s_and_b32 s5, s5, 0xffff
	s_add_u32 s6, s6, s24
	s_addc_u32 s7, s7, s25
	s_load_dword s3, s[6:7], 0x0
	s_mul_i32 s5, s16, s5
	s_waitcnt lgkmcnt(0)
	s_cmp_ge_i32 s5, s3
	s_cbranch_scc1 .LBB690_27
; %bb.5:
	v_and_b32_e32 v1, 0xc0, v0
	v_add_u32_e32 v2, s5, v1
	v_lshrrev_b32_e32 v80, 6, v0
	v_cmp_le_i32_e64 s[6:7], s3, v2
                                        ; implicit-def: $sgpr26
                                        ; implicit-def: $sgpr17
	s_and_saveexec_b64 s[12:13], s[6:7]
	s_xor_b64 s[12:13], exec, s[12:13]
	s_cbranch_execz .LBB690_7
; %bb.6:
	v_mul_u32_u24_e32 v1, 20, v80
	v_or_b32_e32 v1, 0x1400, v1
	v_mov_b32_e32 v2, 0x1450
	v_mov_b32_e32 v3, 0xff7fffff
	v_mad_u32_u24 v2, v80, 20, v2
	ds_write2_b32 v1, v3, v3 offset1:1
	v_mov_b32_e32 v1, 0
	ds_write2_b32 v2, v1, v1 offset1:1
	v_mov_b32_e32 v2, 0x1408
	s_mov_b32 s17, 0xff7fffff
	s_mov_b32 s26, 0
	v_mad_u32_u24 v2, v80, 20, v2
	v_mov_b32_e32 v4, 0x1458
	v_mad_u32_u24 v4, v80, 20, v4
	ds_write2_b32 v2, v3, v3 offset1:1
	ds_write2_b32 v4, v1, v1 offset1:1
                                        ; implicit-def: $vgpr2
.LBB690_7:
	s_or_saveexec_b64 s[22:23], s[12:13]
	s_load_dwordx2 s[18:19], s[0:1], 0x68
	s_load_dwordx4 s[12:15], s[0:1], 0x58
	s_load_dword s34, s[20:21], 0x4
	v_and_b32_e32 v1, 63, v0
	v_and_b32_e32 v81, 3, v0
	s_mul_i32 s33, s4, 3
	v_mov_b32_e32 v69, s26
	v_mov_b32_e32 v72, s17
	v_mov_b32_e32 v68, s26
	v_mov_b32_e32 v67, s26
	v_mov_b32_e32 v66, s26
                                        ; implicit-def: $vgpr3
                                        ; implicit-def: $vgpr7
                                        ; implicit-def: $vgpr11
                                        ; implicit-def: $vgpr15
                                        ; implicit-def: $vgpr47
                                        ; implicit-def: $vgpr35
                                        ; implicit-def: $vgpr39
                                        ; implicit-def: $vgpr43
                                        ; implicit-def: $vgpr27
                                        ; implicit-def: $vgpr19
                                        ; implicit-def: $vgpr23
                                        ; implicit-def: $vgpr31
                                        ; implicit-def: $vgpr51
                                        ; implicit-def: $vgpr55
                                        ; implicit-def: $vgpr59
                                        ; implicit-def: $vgpr63
	s_xor_b64 exec, exec, s[22:23]
	s_cbranch_execz .LBB690_19
; %bb.8:
	s_add_i32 s28, s3, 31
	s_ashr_i32 s29, s28, 31
	s_lshr_b32 s29, s29, 27
	v_add_u32_e32 v82, s5, v0
	s_add_i32 s28, s28, s29
	v_ashrrev_i32_e32 v3, 31, v82
	s_load_dwordx2 s[26:27], s[0:1], 0x20
	s_load_dword s17, s[0:1], 0x38
	s_ashr_i32 s28, s28, 5
	v_lshrrev_b32_e32 v3, 27, v3
	s_add_i32 s30, s28, -1
	v_add_u32_e32 v3, v82, v3
	v_ashrrev_i32_e32 v3, 5, v3
	v_mov_b32_e32 v4, s30
	v_cmp_gt_i32_e32 vcc, s3, v82
	s_waitcnt lgkmcnt(0)
	s_mul_i32 s28, s2, s17
	s_mov_b32 s29, 0
	v_cndmask_b32_e32 v4, v4, v3, vcc
	v_ashrrev_i32_e32 v3, 31, v2
	v_lshrrev_b32_e32 v3, 27, v3
	v_add_u32_e32 v2, v2, v3
	s_lshl_b64 s[28:29], s[28:29], 2
	v_ashrrev_i32_e32 v8, 5, v2
	s_add_u32 s26, s26, s28
	v_min_i32_e32 v2, s30, v8
	s_addc_u32 s27, s27, s29
	v_ashrrev_i32_e32 v3, 31, v2
	v_lshl_add_u64 v[6:7], v[2:3], 2, s[26:27]
	v_add_u32_e32 v2, 1, v8
	v_ashrrev_i32_e32 v5, 31, v4
	v_min_i32_e32 v2, s30, v2
	v_lshl_add_u64 v[4:5], v[4:5], 2, s[26:27]
	v_ashrrev_i32_e32 v3, 31, v2
	v_lshl_add_u64 v[8:9], v[2:3], 2, s[26:27]
	global_load_dword v2, v[4:5], off
	global_load_dword v26, v[6:7], off
	;; [unrolled: 1-line block ×3, first 2 shown]
	s_load_dwordx2 s[26:27], s[0:1], 0x8
	s_andn2_b64 vcc, exec, s[10:11]
	s_cbranch_vccnz .LBB690_11
; %bb.9:
	s_add_u32 s8, s8, s24
	s_addc_u32 s9, s9, s25
	s_load_dword s5, s[8:9], 0x0
	s_branch .LBB690_12
.LBB690_10:
	s_mov_b64 s[12:13], 0
	s_branch .LBB690_2
.LBB690_11:
	s_mov_b32 s5, s2
.LBB690_12:
	s_load_dwordx2 s[24:25], s[0:1], 0x10
	s_load_dwordx4 s[8:11], s[0:1], 0x48
	v_cmp_ne_u32_e32 vcc, 3, v81
	s_mov_b32 s29, 0
	v_mov_b32_e32 v77, 0
	v_mov_b32_e32 v56, 0
	;; [unrolled: 1-line block ×5, first 2 shown]
	s_and_saveexec_b64 s[30:31], vcc
	s_cbranch_execz .LBB690_14
; %bb.13:
	s_load_dwordx2 s[36:37], s[0:1], 0x0
	s_waitcnt lgkmcnt(0)
	s_ashr_i32 s11, s8, 31
	s_mul_hi_u32 s17, s5, s8
	s_mul_i32 s11, s5, s11
	s_add_i32 s39, s17, s11
	s_mul_i32 s38, s5, s8
	s_lshl_b64 s[38:39], s[38:39], 1
	s_add_u32 s5, s36, s38
	s_mul_i32 s28, s4, 0x180
	s_addc_u32 s8, s37, s39
	s_lshl_b64 s[36:37], s[28:29], 1
	v_lshlrev_b32_e32 v3, 2, v1
	s_add_u32 s36, s5, s36
	v_and_b32_e32 v3, 0xf0, v3
	s_addc_u32 s37, s8, s37
	v_lshl_or_b32 v3, v81, 8, v3
	global_load_dwordx4 v[56:59], v3, s[36:37]
.LBB690_14:
	s_or_b64 exec, exec, s[30:31]
	s_waitcnt lgkmcnt(0)
	s_mul_i32 s28, s4, s10
	s_lshl_b64 s[4:5], s[28:29], 1
	s_add_u32 s10, s4, s26
	s_waitcnt vmcnt(2)
	v_mad_i64_i32 v[2:3], s[30:31], v2, s9, 0
	s_addc_u32 s11, s5, s27
	v_lshl_add_u64 v[32:33], v[2:3], 1, s[10:11]
	v_and_b32_e32 v2, 31, v0
	v_lshlrev_b32_e32 v76, 4, v2
	v_lshl_add_u64 v[28:29], v[32:33], 0, v[76:77]
	global_load_dwordx4 v[72:75], v[28:29], off
	global_load_dwordx4 v[68:71], v[28:29], off offset:512
	global_load_dwordx4 v[14:17], v[28:29], off offset:1024
	;; [unrolled: 1-line block ×7, first 2 shown]
	v_or_b32_e32 v28, 0x1000, v76
	v_mov_b32_e32 v29, v77
	v_lshl_add_u64 v[38:39], v[32:33], 0, v[28:29]
	v_or_b32_e32 v28, 0x1200, v76
	v_lshl_add_u64 v[40:41], v[32:33], 0, v[28:29]
	global_load_dwordx4 v[28:31], v[38:39], off
	global_load_dwordx4 v[34:37], v[40:41], off
	v_or_b32_e32 v38, 0x1400, v76
	v_mov_b32_e32 v39, v77
	v_lshl_add_u64 v[46:47], v[32:33], 0, v[38:39]
	v_or_b32_e32 v38, 0x1600, v76
	v_lshl_add_u64 v[48:49], v[32:33], 0, v[38:39]
	global_load_dwordx4 v[42:45], v[46:47], off
	global_load_dwordx4 v[38:41], v[48:49], off
	v_or_b32_e32 v46, 0x1800, v76
	v_mov_b32_e32 v47, v77
	v_lshl_add_u64 v[60:61], v[32:33], 0, v[46:47]
	v_or_b32_e32 v46, 0x1a00, v76
	v_or_b32_e32 v76, 0x1c00, v76
	v_mov_b32_e32 v27, 0x1e00
	v_lshl_add_u64 v[62:63], v[32:33], 0, v[46:47]
	v_lshl_add_u64 v[78:79], v[32:33], 0, v[76:77]
	v_lshl_or_b32 v76, v0, 4, v27
	global_load_dwordx4 v[50:53], v[60:61], off
	global_load_dwordx4 v[46:49], v[62:63], off
	v_lshl_add_u64 v[32:33], v[32:33], 0, v[76:77]
	global_load_dwordx4 v[64:67], v[78:79], off
	global_load_dwordx4 v[60:63], v[32:33], off
	v_mov_b32_e32 v79, 1.0
	s_and_saveexec_b64 s[10:11], vcc
	s_cbranch_execz .LBB690_16
; %bb.15:
	s_load_dwordx2 s[26:27], s[0:1], 0x40
	v_add_u32_e32 v78, s33, v81
	v_mov_b32_e32 v79, 0
	s_waitcnt lgkmcnt(0)
	v_lshl_add_u64 v[32:33], v[78:79], 2, s[26:27]
	global_load_dword v77, v[32:33], off
.LBB690_16:
	s_or_b64 exec, exec, s[10:11]
	s_waitcnt vmcnt(15)
	v_mfma_f32_4x4x4_16b_bf16 a[0:3], v[56:57], v[72:73], 0 cbsz:4
	s_load_dword s0, s[0:1], 0x1c
	v_mul_hi_i32 v27, v26, s9
	v_mfma_f32_4x4x4_16b_bf16 a[0:3], v[58:59], v[74:75], a[0:3] cbsz:4
	v_ashrrev_i32_e32 v27, 31, v27
	s_add_u32 s4, s24, s4
	s_waitcnt vmcnt(14)
	v_mfma_f32_4x4x4_16b_bf16 a[0:3], v[56:57], v[68:69], a[0:3] cbsz:4 abid:1
	v_mov_b32_e32 v69, 0
	v_lshrrev_b32_e32 v68, 29, v27
	v_mfma_f32_4x4x4_16b_bf16 a[0:3], v[58:59], v[70:71], a[0:3] cbsz:4 abid:1
	s_addc_u32 s5, s25, s5
	v_cmp_eq_u32_e32 vcc, 0, v81
	s_waitcnt vmcnt(13)
	v_mfma_f32_4x4x4_16b_bf16 a[0:3], v[56:57], v[14:15], a[0:3] cbsz:4 abid:2
	v_mad_i64_i32 v[14:15], s[10:11], v26, s9, v[68:69]
	s_nop 0
	v_mfma_f32_4x4x4_16b_bf16 a[0:3], v[58:59], v[16:17], a[0:3] cbsz:4 abid:2
	v_lshlrev_b32_e32 v68, 6, v1
	v_or_b32_e32 v70, 0x1000, v68
	s_waitcnt vmcnt(12)
	v_mfma_f32_4x4x4_16b_bf16 a[0:3], v[56:57], v[10:11], a[0:3] cbsz:4 abid:3
	v_lshlrev_b64 v[10:11], 1, v[14:15]
	v_and_b32_e32 v10, -16, v10
	v_mfma_f32_4x4x4_16b_bf16 a[0:3], v[58:59], v[12:13], a[0:3] cbsz:4 abid:3
	v_lshl_add_u64 v[26:27], s[4:5], 0, v[10:11]
	v_lshl_add_u64 v[32:33], v[26:27], 0, v[68:69]
	s_waitcnt vmcnt(11)
	v_mfma_f32_4x4x4_16b_bf16 a[0:3], v[56:57], v[6:7], a[0:3] cbsz:4 abid:4
	v_mov_b32_e32 v71, v69
	v_lshl_add_u64 v[72:73], v[26:27], 0, v[70:71]
	v_mfma_f32_4x4x4_16b_bf16 a[0:3], v[58:59], v[8:9], a[0:3] cbsz:4 abid:4
	s_waitcnt vmcnt(10)
	s_nop 0
	v_mfma_f32_4x4x4_16b_bf16 a[0:3], v[56:57], v[2:3], a[0:3] cbsz:4 abid:5
	s_nop 1
	v_mfma_f32_4x4x4_16b_bf16 a[0:3], v[58:59], v[4:5], a[0:3] cbsz:4 abid:5
	global_load_dwordx4 v[2:5], v[32:33], off
	global_load_dwordx4 v[6:9], v[32:33], off offset:16
	s_waitcnt vmcnt(11)
	v_mfma_f32_4x4x4_16b_bf16 a[0:3], v[56:57], v[22:23], a[0:3] cbsz:4 abid:6
	global_load_dwordx4 v[10:13], v[32:33], off offset:32
	global_load_dwordx4 v[14:17], v[32:33], off offset:48
	v_mfma_f32_4x4x4_16b_bf16 a[0:3], v[58:59], v[24:25], a[0:3] cbsz:4 abid:6
	s_waitcnt vmcnt(12)
	s_nop 0
	v_mfma_f32_4x4x4_16b_bf16 a[0:3], v[56:57], v[18:19], a[0:3] cbsz:4 abid:7
	s_nop 1
	v_mfma_f32_4x4x4_16b_bf16 a[0:3], v[58:59], v[20:21], a[0:3] cbsz:4 abid:7
	s_waitcnt vmcnt(11)
	s_nop 0
	v_mfma_f32_4x4x4_16b_bf16 a[0:3], v[56:57], v[28:29], a[0:3] cbsz:4 abid:8
	global_load_dwordx4 v[26:29], v[72:73], off
	global_load_dwordx4 v[18:21], v[72:73], off offset:16
	v_mfma_f32_4x4x4_16b_bf16 a[0:3], v[58:59], v[30:31], a[0:3] cbsz:4 abid:8
	global_load_dwordx4 v[22:25], v[72:73], off offset:32
	global_load_dwordx4 v[30:33], v[72:73], off offset:48
	s_waitcnt vmcnt(14)
	v_mfma_f32_4x4x4_16b_bf16 a[0:3], v[56:57], v[34:35], a[0:3] cbsz:4 abid:9
	v_mul_hi_i32 v34, v54, s9
	v_ashrrev_i32_e32 v34, 31, v34
	v_mfma_f32_4x4x4_16b_bf16 a[0:3], v[58:59], v[36:37], a[0:3] cbsz:4 abid:9
	v_lshrrev_b32_e32 v34, 29, v34
	v_mov_b32_e32 v35, v69
	s_waitcnt vmcnt(13)
	v_mfma_f32_4x4x4_16b_bf16 a[0:3], v[56:57], v[42:43], a[0:3] cbsz:4 abid:10
	v_mad_i64_i32 v[34:35], s[8:9], v54, s9, v[34:35]
	s_nop 0
	v_mfma_f32_4x4x4_16b_bf16 a[0:3], v[58:59], v[44:45], a[0:3] cbsz:4 abid:10
	v_lshlrev_b64 v[34:35], 1, v[34:35]
	v_and_b32_e32 v34, -16, v34
	s_waitcnt vmcnt(12)
	v_mfma_f32_4x4x4_16b_bf16 a[0:3], v[56:57], v[38:39], a[0:3] cbsz:4 abid:11
	v_mov_b32_e32 v73, 0xff7fffff
	s_nop 0
	v_mfma_f32_4x4x4_16b_bf16 a[0:3], v[58:59], v[40:41], a[0:3] cbsz:4 abid:11
	s_waitcnt vmcnt(11)
	s_nop 0
	v_mfma_f32_4x4x4_16b_bf16 a[0:3], v[56:57], v[50:51], a[0:3] cbsz:4 abid:12
	v_lshl_add_u64 v[50:51], s[4:5], 0, v[34:35]
	s_nop 0
	v_mfma_f32_4x4x4_16b_bf16 a[0:3], v[58:59], v[52:53], a[0:3] cbsz:4 abid:12
	v_lshl_add_u64 v[52:53], v[50:51], 0, v[68:69]
	s_waitcnt vmcnt(10)
	v_mfma_f32_4x4x4_16b_bf16 a[0:3], v[56:57], v[46:47], a[0:3] cbsz:4 abid:13
	s_nop 1
	v_mfma_f32_4x4x4_16b_bf16 a[0:3], v[58:59], v[48:49], a[0:3] cbsz:4 abid:13
	global_load_dwordx4 v[46:49], v[52:53], off
	global_load_dwordx4 v[34:37], v[52:53], off offset:16
	s_waitcnt vmcnt(11)
	v_mfma_f32_4x4x4_16b_bf16 a[0:3], v[56:57], v[64:65], a[0:3] cbsz:4 abid:14
	global_load_dwordx4 v[38:41], v[52:53], off offset:32
	global_load_dwordx4 v[42:45], v[52:53], off offset:48
	v_mfma_f32_4x4x4_16b_bf16 a[0:3], v[58:59], v[66:67], a[0:3] cbsz:4 abid:14
	v_lshl_add_u64 v[66:67], v[50:51], 0, v[70:71]
	s_waitcnt vmcnt(12)
	v_mfma_f32_4x4x4_16b_bf16 a[0:3], v[56:57], v[60:61], a[0:3] cbsz:4 abid:15
	global_load_dwordx4 v[50:53], v[66:67], off
	global_load_dwordx4 v[54:57], v[66:67], off offset:16
	v_mfma_f32_4x4x4_16b_bf16 a[0:3], v[58:59], v[62:63], a[0:3] cbsz:4 abid:15
	s_nop 4
	v_accvgpr_read_b32 v61, a1
	v_accvgpr_read_b32 v60, a0
	s_waitcnt lgkmcnt(0)
	v_pk_mul_f32 v[60:61], s[0:1], v[60:61] op_sel_hi:[0,1]
	v_accvgpr_read_b32 v59, a3
	v_accvgpr_read_b32 v58, a2
	v_pk_mul_f32 v[68:69], s[0:1], v[58:59] op_sel_hi:[0,1]
	v_cndmask_b32_e64 v58, 0, 1.0, vcc
	v_cmp_eq_u32_e32 vcc, 1, v81
	s_nop 0
	v_mfma_f32_4x4x1_16b_f32 a[0:3], v60, v58, 0
	v_cndmask_b32_e64 v58, 0, 1.0, vcc
	v_cmp_eq_u32_e32 vcc, 2, v81
	s_nop 0
	v_mfma_f32_4x4x1_16b_f32 a[0:3], v61, v58, a[0:3]
	v_cndmask_b32_e64 v58, 0, 1.0, vcc
	s_nop 1
	v_mfma_f32_4x4x1_16b_f32 a[0:3], v68, v58, a[0:3]
	global_load_dwordx4 v[58:61], v[66:67], off offset:32
	global_load_dwordx4 v[62:65], v[66:67], off offset:48
	v_and_b32_e32 v66, -4, v82
	v_subrev_u32_e32 v67, s3, v66
	v_add_u32_e32 v68, 1, v67
	v_mfma_f32_4x4x1_16b_f32 a[0:3], v69, v79, a[0:3]
	v_cvt_f32_i32_e32 v68, v68
	v_add_u32_e32 v69, 2, v67
	v_cvt_f32_i32_e32 v69, v69
	v_cmp_gt_i32_e32 vcc, s3, v66
	v_accvgpr_read_b32 v70, a0
	v_fma_f32 v68, v77, v68, v70
	v_accvgpr_read_b32 v70, a1
	v_fma_f32 v69, v77, v69, v70
	v_add_u32_e32 v70, 3, v67
	v_cvt_f32_i32_e32 v70, v70
	v_add_u32_e32 v67, 4, v67
	v_max_f32_e32 v72, 0xff7fffff, v68
	v_cvt_f32_i32_e32 v67, v67
	v_cndmask_b32_e32 v72, v73, v72, vcc
	v_or_b32_e32 v73, 1, v66
	v_accvgpr_read_b32 v71, a2
	v_max_f32_e32 v74, v72, v69
	v_cmp_gt_i32_e64 s[0:1], s3, v73
	v_fma_f32 v70, v77, v70, v71
	v_or_b32_e32 v66, 2, v66
	v_cndmask_b32_e64 v72, v72, v74, s[0:1]
	v_accvgpr_read_b32 v71, a3
	v_max_f32_e32 v73, v72, v70
	v_cmp_gt_i32_e64 s[4:5], s3, v66
	v_fmac_f32_e32 v71, v77, v67
	v_lshlrev_b32_e32 v67, 2, v0
	v_cndmask_b32_e64 v66, v72, v73, s[4:5]
	v_or_b32_e32 v72, 3, v82
	v_max_f32_e32 v73, v66, v71
	v_cmp_gt_i32_e64 s[8:9], s3, v72
	v_and_or_b32 v67, v67, 48, v81
	s_nop 0
	v_cndmask_b32_e64 v66, v66, v73, s[8:9]
	;;#ASMSTART
	v_nop
 v_nop
 v_max_f32_dpp v66, v66, v66 row_ror:4
	;;#ASMEND
	v_lshlrev_b32_e32 v73, 2, v67
	;;#ASMSTART
	v_nop
 v_nop
 v_max_f32_dpp v66, v66, v66 row_ror:8
	;;#ASMEND
	ds_bpermute_b32 v66, v73, v66
	s_waitcnt lgkmcnt(0)
	;;#ASMSTART
	v_nop
 v_nop
 v_max_f32_dpp v66, v66, v66 row_ror:4
	;;#ASMEND
	s_nop 0
	;;#ASMSTART
	v_nop
 v_nop
 v_max_f32_dpp v72, v66, v66 row_ror:8
	;;#ASMEND
	s_nop 0
	v_sub_f32_e32 v66, v68, v72
	v_mul_f32_e32 v66, 0x3fb8aa3b, v66
	v_sub_f32_e32 v67, v69, v72
	v_exp_f32_e32 v66, v66
	v_mul_f32_e32 v67, 0x3fb8aa3b, v67
	v_sub_f32_e32 v69, v70, v72
	v_exp_f32_e32 v67, v67
	;; [unrolled: 3-line block ×3, first 2 shown]
	v_mul_f32_e32 v70, 0x3fb8aa3b, v70
	v_exp_f32_e32 v70, v70
	v_cndmask_b32_e32 v66, 0, v66, vcc
	v_add_f32_e32 v68, 0, v66
	v_cndmask_b32_e64 v67, 0, v67, s[0:1]
	v_add_f32_e32 v71, v68, v67
	v_cndmask_b32_e64 v68, 0, v69, s[4:5]
	;; [unrolled: 2-line block ×3, first 2 shown]
	v_add_f32_e32 v70, v71, v69
	;;#ASMSTART
	v_nop
 v_nop
 v_add_f32_dpp v70, v70, v70 row_ror:4
	;;#ASMEND
	v_cmp_gt_u32_e32 vcc, 4, v1
	;;#ASMSTART
	v_nop
 v_nop
 v_add_f32_dpp v70, v70, v70 row_ror:8
	;;#ASMEND
	ds_bpermute_b32 v70, v73, v70
	s_waitcnt lgkmcnt(0)
	;;#ASMSTART
	v_nop
 v_nop
 v_add_f32_dpp v70, v70, v70 row_ror:4
	;;#ASMEND
	s_nop 0
	;;#ASMSTART
	v_nop
 v_nop
 v_add_f32_dpp v70, v70, v70 row_ror:8
	;;#ASMEND
	s_and_saveexec_b64 s[0:1], vcc
	s_cbranch_execz .LBB690_18
; %bb.17:
	v_mul_u32_u24_e32 v71, 20, v80
	v_lshl_add_u32 v71, v81, 2, v71
	v_add_u32_e32 v71, 0x1400, v71
	ds_write2_b32 v71, v72, v70 offset1:20
.LBB690_18:
	s_or_b64 exec, exec, s[0:1]
.LBB690_19:
	s_or_b64 exec, exec, s[22:23]
	s_waitcnt lgkmcnt(0)
	s_barrier
	s_load_dword s0, s[20:21], 0x8
	v_lshlrev_b32_e32 v70, 2, v81
	v_add_u32_e32 v73, 0x1400, v70
	ds_read2_b32 v[70:71], v73 offset1:5
	ds_read2_b32 v[76:77], v73 offset0:10 offset1:15
	s_mul_i32 s1, s2, s34
	s_waitcnt lgkmcnt(0)
	s_mul_i32 s0, s1, s0
	s_mov_b32 s1, 0xff7fffff
	v_max3_f32 v74, v70, s1, v71
	v_max3_f32 v74, v74, v76, v77
	v_sub_f32_e32 v70, v70, v74
	v_mul_f32_e32 v70, 0x3fb8aa3b, v70
	v_exp_f32_e32 v75, v70
	v_sub_f32_e32 v70, v71, v74
	ds_read2_b32 v[78:79], v73 offset0:20 offset1:25
	v_mul_f32_e32 v70, 0x3fb8aa3b, v70
	v_exp_f32_e32 v82, v70
	ds_read2_b32 v[70:71], v73 offset0:30 offset1:35
	v_sub_f32_e32 v73, v76, v74
	v_mul_f32_e32 v73, 0x3fb8aa3b, v73
	v_sub_f32_e32 v76, v77, v74
	v_exp_f32_e32 v73, v73
	v_mul_f32_e32 v76, 0x3fb8aa3b, v76
	v_exp_f32_e32 v76, v76
	s_waitcnt lgkmcnt(1)
	v_fma_f32 v75, v75, v78, 0
	v_fmac_f32_e32 v75, v82, v79
	s_waitcnt lgkmcnt(0)
	v_fmac_f32_e32 v75, v73, v70
	s_mul_i32 s0, s0, 3
	v_fmac_f32_e32 v75, v76, v71
	v_cmp_ne_u32_e32 vcc, 3, v81
	s_and_saveexec_b64 s[2:3], vcc
	s_cbranch_execz .LBB690_21
; %bb.20:
	s_mov_b32 s1, 0
	s_lshl_b64 s[4:5], s[0:1], 2
	s_add_u32 s10, s12, s4
	s_mov_b32 s17, s1
	s_addc_u32 s11, s13, s5
	s_lshl_b64 s[8:9], s[16:17], 2
	s_add_u32 s10, s10, s8
	s_addc_u32 s11, s11, s9
	s_add_u32 s1, s14, s4
	s_addc_u32 s5, s15, s5
	v_add_u32_e32 v70, s33, v81
	s_add_u32 s4, s1, s8
	v_mul_lo_u32 v70, s34, v70
	v_mov_b32_e32 v71, 0
	s_addc_u32 s5, s5, s9
	v_lshlrev_b64 v[70:71], 2, v[70:71]
	v_lshl_add_u64 v[76:77], s[10:11], 0, v[70:71]
	v_lshl_add_u64 v[70:71], s[4:5], 0, v[70:71]
	global_store_dword v[70:71], v74, off
	global_store_dword v[76:77], v75, off
.LBB690_21:
	s_or_b64 exec, exec, s[2:3]
	v_lshlrev_b32_e32 v73, 3, v80
                                        ; implicit-def: $sgpr1
	s_and_saveexec_b64 s[2:3], s[6:7]
	s_xor_b64 s[2:3], exec, s[2:3]
	s_cbranch_execz .LBB690_23
; %bb.22:
	s_waitcnt vmcnt(15)
	v_mov_b32_e32 v2, 0
	v_mad_u32_u24 v4, v1, 40, v73
	s_mov_b32 s1, 0
	v_mov_b32_e32 v3, v2
	ds_write_b64 v4, v[2:3]
                                        ; implicit-def: $vgpr69
                                        ; implicit-def: $vgpr67
                                        ; implicit-def: $vgpr3
                                        ; implicit-def: $vgpr7
                                        ; implicit-def: $vgpr11
                                        ; implicit-def: $vgpr15
                                        ; implicit-def: $vgpr47
                                        ; implicit-def: $vgpr35
                                        ; implicit-def: $vgpr39
                                        ; implicit-def: $vgpr43
                                        ; implicit-def: $vgpr27
                                        ; implicit-def: $vgpr19
                                        ; implicit-def: $vgpr23
                                        ; implicit-def: $vgpr31
                                        ; implicit-def: $vgpr51
                                        ; implicit-def: $vgpr55
                                        ; implicit-def: $vgpr59
                                        ; implicit-def: $vgpr63
                                        ; implicit-def: $vgpr72
                                        ; implicit-def: $vgpr74
                                        ; implicit-def: $vgpr75
.LBB690_23:
	s_or_saveexec_b64 s[2:3], s[2:3]
	v_mov_b32_e32 v70, s1
	v_mov_b32_e32 v71, s1
	s_xor_b64 exec, exec, s[2:3]
	s_cbranch_execz .LBB690_25
; %bb.24:
	v_add_f32_e32 v70, 0x358637bd, v75
	v_div_scale_f32 v71, s[4:5], v70, v70, 1.0
	v_rcp_f32_e32 v75, v71
	v_sub_f32_e32 v72, v72, v74
	v_mul_f32_e32 v72, 0x3fb8aa3b, v72
	v_exp_f32_e32 v72, v72
	v_fma_f32 v74, -v71, v75, 1.0
	v_fmac_f32_e32 v75, v74, v75
	v_div_scale_f32 v74, vcc, 1.0, v70, 1.0
	v_mul_f32_e32 v76, v74, v75
	v_fma_f32 v77, -v71, v76, v74
	v_fmac_f32_e32 v76, v77, v75
	v_fma_f32 v71, -v71, v76, v74
	v_div_fmas_f32 v71, v71, v75, v76
	v_div_fixup_f32 v70, v71, v70, 1.0
	v_mul_f32_e32 v70, v72, v70
	v_pk_mul_f32 v[66:67], v[66:67], v[70:71] op_sel_hi:[1,0]
	v_pk_mul_f32 v[68:69], v[68:69], v[70:71] op_sel_hi:[1,0]
	v_bfe_u32 v70, v67, 16, 1
	v_bfe_u32 v71, v66, 16, 1
	s_movk_i32 s1, 0x7fff
	v_add3_u32 v66, v66, v71, s1
	v_add3_u32 v67, v67, v70, s1
	s_mov_b32 s4, 0x7060302
	v_perm_b32 v66, v67, v66, s4
	v_bfe_u32 v67, v69, 16, 1
	v_bfe_u32 v70, v68, 16, 1
	v_add3_u32 v68, v68, v70, s1
	v_add3_u32 v67, v69, v67, s1
	v_perm_b32 v67, v67, v68, s4
	s_waitcnt vmcnt(15)
	s_nop 0
	v_mfma_f32_4x4x4_16b_bf16 a[0:3], v[66:67], v[2:3], 0 cbsz:4
	s_nop 1
	v_mfma_f32_4x4x4_16b_bf16 a[0:3], v[66:67], v[4:5], a[0:3] cbsz:4 abid:1
	s_waitcnt vmcnt(11)
	v_mfma_f32_4x4x4_16b_bf16 a[4:7], v[66:67], v[26:27], 0 cbsz:4
	v_mfma_f32_4x4x4_16b_bf16 a[0:3], v[66:67], v[6:7], a[0:3] cbsz:4 abid:2
	s_nop 0
	v_mfma_f32_4x4x4_16b_bf16 a[4:7], v[66:67], v[28:29], a[4:7] cbsz:4 abid:1
	v_mfma_f32_4x4x4_16b_bf16 a[0:3], v[66:67], v[8:9], a[0:3] cbsz:4 abid:3
	s_waitcnt vmcnt(10)
	v_mfma_f32_4x4x4_16b_bf16 a[4:7], v[66:67], v[18:19], a[4:7] cbsz:4 abid:2
	v_mfma_f32_4x4x4_16b_bf16 a[0:3], v[66:67], v[10:11], a[0:3] cbsz:4 abid:4
	s_nop 1
	v_mfma_f32_4x4x4_16b_bf16 a[0:3], v[66:67], v[12:13], a[0:3] cbsz:4 abid:5
	s_nop 1
	;; [unrolled: 2-line block ×3, first 2 shown]
	v_mfma_f32_4x4x4_16b_bf16 a[0:3], v[66:67], v[16:17], a[0:3] cbsz:4 abid:7
	s_waitcnt vmcnt(7)
	s_nop 0
	v_mfma_f32_4x4x4_16b_bf16 a[0:3], v[66:67], v[46:47], a[0:3] cbsz:4 abid:8
	s_nop 1
	v_mfma_f32_4x4x4_16b_bf16 a[0:3], v[66:67], v[48:49], a[0:3] cbsz:4 abid:9
	s_waitcnt vmcnt(6)
	s_nop 0
	v_mfma_f32_4x4x4_16b_bf16 a[0:3], v[66:67], v[34:35], a[0:3] cbsz:4 abid:10
	s_nop 1
	;; [unrolled: 5-line block ×4, first 2 shown]
	v_mfma_f32_4x4x4_16b_bf16 a[0:3], v[66:67], v[44:45], a[0:3] cbsz:4 abid:15
	s_nop 4
	v_accvgpr_read_b32 v3, a2
	v_accvgpr_read_b32 v4, a3
	;; [unrolled: 1-line block ×4, first 2 shown]
	v_mfma_f32_4x4x4_16b_bf16 a[0:3], v[66:67], v[20:21], a[4:7] cbsz:4 abid:3
	v_bfe_u32 v6, v5, 16, 1
	v_bfe_u32 v7, v2, 16, 1
	v_mfma_f32_4x4x4_16b_bf16 a[0:3], v[66:67], v[22:23], a[0:3] cbsz:4 abid:4
	v_add3_u32 v2, v2, v7, s1
	v_add3_u32 v5, v5, v6, s1
	v_mfma_f32_4x4x4_16b_bf16 a[0:3], v[66:67], v[24:25], a[0:3] cbsz:4 abid:5
	v_perm_b32 v2, v5, v2, s4
	v_bfe_u32 v5, v4, 16, 1
	v_mfma_f32_4x4x4_16b_bf16 a[0:3], v[66:67], v[30:31], a[0:3] cbsz:4 abid:6
	v_bfe_u32 v6, v3, 16, 1
	v_add3_u32 v3, v3, v6, s1
	v_mfma_f32_4x4x4_16b_bf16 a[0:3], v[66:67], v[32:33], a[0:3] cbsz:4 abid:7
	v_add3_u32 v4, v4, v5, s1
	v_perm_b32 v3, v4, v3, s4
	s_waitcnt vmcnt(3)
	v_mfma_f32_4x4x4_16b_bf16 a[0:3], v[66:67], v[50:51], a[0:3] cbsz:4 abid:8
	v_mad_u32_u24 v4, v1, 40, v73
	ds_write_b64 v4, v[2:3]
	v_mfma_f32_4x4x4_16b_bf16 a[0:3], v[66:67], v[52:53], a[0:3] cbsz:4 abid:9
	s_waitcnt vmcnt(2)
	s_nop 0
	v_mfma_f32_4x4x4_16b_bf16 a[0:3], v[66:67], v[54:55], a[0:3] cbsz:4 abid:10
	s_nop 1
	v_mfma_f32_4x4x4_16b_bf16 a[0:3], v[66:67], v[56:57], a[0:3] cbsz:4 abid:11
	s_waitcnt vmcnt(1)
	s_nop 0
	v_mfma_f32_4x4x4_16b_bf16 a[0:3], v[66:67], v[58:59], a[0:3] cbsz:4 abid:12
	s_nop 1
	;; [unrolled: 5-line block ×3, first 2 shown]
	v_mfma_f32_4x4x4_16b_bf16 a[0:3], v[66:67], v[64:65], a[0:3] cbsz:4 abid:15
	s_nop 4
	v_accvgpr_read_b32 v4, a0
	v_accvgpr_read_b32 v5, a1
	;; [unrolled: 1-line block ×4, first 2 shown]
	v_bfe_u32 v6, v5, 16, 1
	v_bfe_u32 v7, v4, 16, 1
	v_add3_u32 v4, v4, v7, s1
	v_add3_u32 v5, v5, v6, s1
	v_bfe_u32 v6, v3, 16, 1
	v_bfe_u32 v7, v2, 16, 1
	v_add3_u32 v2, v2, v7, s1
	v_add3_u32 v3, v3, v6, s1
	v_perm_b32 v71, v3, v2, s4
	v_perm_b32 v70, v5, v4, s4
.LBB690_25:
	s_or_b64 exec, exec, s[2:3]
	s_waitcnt vmcnt(15)
	v_mad_u32_u24 v2, v1, 40, v73
	v_cmp_gt_u32_e32 vcc, 64, v0
	ds_write_b64 v2, v[70:71] offset:2560
	s_waitcnt lgkmcnt(0)
	s_barrier
	s_and_saveexec_b64 s[2:3], vcc
	s_cbranch_execz .LBB690_27
; %bb.26:
	s_waitcnt vmcnt(14)
	v_mul_u32_u24_e32 v6, 40, v1
	ds_read2_b64 v[2:5], v6 offset1:1
	ds_read2_b64 v[6:9], v6 offset0:2 offset1:3
	s_mov_b32 s1, 0
	s_lshl_b32 s0, s0, 7
	s_lshl_b64 s[2:3], s[0:1], 1
	s_waitcnt vmcnt(13) lgkmcnt(1)
	v_and_b32_e32 v10, 0xffff0000, v2
	v_lshlrev_b32_e32 v3, 16, v3
	v_add_f32_e32 v10, 0, v10
	v_add_f32_e32 v3, 0, v3
	v_and_b32_e32 v10, 0xffff0000, v10
	v_and_b32_e32 v11, 0xffff0000, v4
	;; [unrolled: 1-line block ×3, first 2 shown]
	v_add_f32_e32 v10, v10, v11
	v_lshlrev_b32_e32 v5, 16, v5
	v_and_b32_e32 v10, 0xffff0000, v10
	v_add_f32_e32 v3, v3, v5
	s_waitcnt lgkmcnt(0)
	v_and_b32_e32 v5, 0xffff0000, v6
	v_and_b32_e32 v3, 0xffff0000, v3
	v_add_f32_e32 v5, v10, v5
	v_lshlrev_b32_e32 v7, 16, v7
	v_and_b32_e32 v5, 0xffff0000, v5
	v_add_f32_e32 v3, v3, v7
	v_and_b32_e32 v7, 0xffff0000, v8
	s_waitcnt vmcnt(10)
	v_add_f32_e32 v18, v5, v7
	v_mov_b32_e32 v7, 0xa00
	v_mad_u32_u24 v7, v1, 40, v7
	ds_read2_b64 v[10:13], v7 offset1:1
	v_and_b32_e32 v3, 0xffff0000, v3
	v_lshlrev_b32_e32 v5, 16, v9
	v_add_f32_e32 v9, v3, v5
	v_mov_b32_e32 v3, 0xa10
	v_mad_u32_u24 v1, v1, 40, v3
	ds_read2_b64 v[14:17], v1 offset1:1
	s_waitcnt lgkmcnt(1)
	v_lshlrev_b32_e32 v1, 16, v10
	v_add_f32_e32 v1, 0, v1
	v_and_b32_e32 v3, 0xffff0000, v10
	v_and_b32_e32 v1, 0xffff0000, v1
	v_add_f32_e32 v3, 0, v3
	v_lshlrev_b32_e32 v5, 16, v11
	v_lshlrev_b32_e32 v7, 16, v12
	v_and_b32_e32 v3, 0xffff0000, v3
	v_add_f32_e32 v5, 0, v5
	v_add_f32_e32 v1, v1, v7
	v_and_b32_e32 v7, 0xffff0000, v12
	v_and_b32_e32 v5, 0xffff0000, v5
	v_add_f32_e32 v3, v3, v7
	v_lshlrev_b32_e32 v7, 16, v13
	v_and_b32_e32 v1, 0xffff0000, v1
	v_add_f32_e32 v5, v5, v7
	s_waitcnt lgkmcnt(0)
	v_lshlrev_b32_e32 v7, 16, v14
	v_and_b32_e32 v3, 0xffff0000, v3
	v_add_f32_e32 v1, v1, v7
	v_and_b32_e32 v7, 0xffff0000, v14
	v_and_b32_e32 v5, 0xffff0000, v5
	v_add_f32_e32 v3, v3, v7
	v_lshlrev_b32_e32 v7, 16, v15
	v_and_b32_e32 v1, 0xffff0000, v1
	v_add_f32_e32 v5, v5, v7
	v_lshlrev_b32_e32 v7, 16, v16
	v_and_b32_e32 v3, 0xffff0000, v3
	v_add_f32_e32 v10, v1, v7
	v_and_b32_e32 v1, 0xffff0000, v16
	v_and_b32_e32 v5, 0xffff0000, v5
	v_add_f32_e32 v11, v3, v1
	v_lshlrev_b32_e32 v1, 16, v17
	v_add_f32_e32 v12, v5, v1
	v_lshlrev_b32_e32 v1, 16, v2
	s_add_u32 s2, s18, s2
	v_add_f32_e32 v1, 0, v1
	s_addc_u32 s3, s19, s3
	s_lshl_b32 s0, s16, 7
	v_and_b32_e32 v1, 0xffff0000, v1
	v_lshlrev_b32_e32 v2, 16, v4
	s_lshl_b64 s[0:1], s[0:1], 1
	v_add_f32_e32 v1, v1, v2
	s_add_u32 s0, s2, s0
	v_and_b32_e32 v1, 0xffff0000, v1
	v_lshlrev_b32_e32 v2, 16, v6
	s_addc_u32 s1, s3, s1
	s_lshl_b32 s2, s34, 7
	v_add_f32_e32 v1, v1, v2
	v_and_b32_e32 v1, 0xffff0000, v1
	v_lshlrev_b32_e32 v2, 16, v8
	s_mul_i32 s3, s2, s33
	v_add_f32_e32 v1, v1, v2
	v_or_b32_e32 v2, s3, v0
	v_mov_b32_e32 v3, 0
	s_add_i32 s3, s3, s2
	v_lshl_add_u64 v[4:5], v[2:3], 1, s[0:1]
	v_or_b32_e32 v2, s3, v0
	s_add_i32 s3, s3, s2
	v_lshl_add_u64 v[6:7], v[2:3], 1, s[0:1]
	v_or_b32_e32 v2, s3, v0
	global_store_short_d16_hi v[4:5], v1, off
	v_lshl_add_u64 v[0:1], v[2:3], 1, s[0:1]
	global_store_short_d16_hi v[6:7], v18, off
	global_store_short_d16_hi v[0:1], v9, off
	global_store_short_d16_hi v[4:5], v10, off offset:128
	global_store_short_d16_hi v[6:7], v11, off offset:128
	;; [unrolled: 1-line block ×3, first 2 shown]
.LBB690_27:
	s_endpgm
	.section	.rodata,"a",@progbits
	.p2align	6, 0x0
	.amdhsa_kernel _Z38paged_attention_ll4mi_QKV_mfma4_kernelI14__hip_bfloat16S0_LN4vllm18Fp8KVCacheDataTypeE0EhLi32ELi128ELi256ELb1ELi3EEvPKT_PKT0_S8_ifPKiSA_SA_iPKfiiiPfSD_PS3_PT2_iSC_SC_
		.amdhsa_group_segment_fixed_size 5280
		.amdhsa_private_segment_fixed_size 0
		.amdhsa_kernarg_size 400
		.amdhsa_user_sgpr_count 2
		.amdhsa_user_sgpr_dispatch_ptr 0
		.amdhsa_user_sgpr_queue_ptr 0
		.amdhsa_user_sgpr_kernarg_segment_ptr 1
		.amdhsa_user_sgpr_dispatch_id 0
		.amdhsa_user_sgpr_kernarg_preload_length 0
		.amdhsa_user_sgpr_kernarg_preload_offset 0
		.amdhsa_user_sgpr_private_segment_size 0
		.amdhsa_uses_dynamic_stack 0
		.amdhsa_enable_private_segment 0
		.amdhsa_system_sgpr_workgroup_id_x 1
		.amdhsa_system_sgpr_workgroup_id_y 1
		.amdhsa_system_sgpr_workgroup_id_z 1
		.amdhsa_system_sgpr_workgroup_info 0
		.amdhsa_system_vgpr_workitem_id 0
		.amdhsa_next_free_vgpr 92
		.amdhsa_next_free_sgpr 40
		.amdhsa_accum_offset 84
		.amdhsa_reserve_vcc 1
		.amdhsa_float_round_mode_32 0
		.amdhsa_float_round_mode_16_64 0
		.amdhsa_float_denorm_mode_32 3
		.amdhsa_float_denorm_mode_16_64 3
		.amdhsa_dx10_clamp 1
		.amdhsa_ieee_mode 1
		.amdhsa_fp16_overflow 0
		.amdhsa_tg_split 0
		.amdhsa_exception_fp_ieee_invalid_op 0
		.amdhsa_exception_fp_denorm_src 0
		.amdhsa_exception_fp_ieee_div_zero 0
		.amdhsa_exception_fp_ieee_overflow 0
		.amdhsa_exception_fp_ieee_underflow 0
		.amdhsa_exception_fp_ieee_inexact 0
		.amdhsa_exception_int_div_zero 0
	.end_amdhsa_kernel
	.section	.text._Z38paged_attention_ll4mi_QKV_mfma4_kernelI14__hip_bfloat16S0_LN4vllm18Fp8KVCacheDataTypeE0EhLi32ELi128ELi256ELb1ELi3EEvPKT_PKT0_S8_ifPKiSA_SA_iPKfiiiPfSD_PS3_PT2_iSC_SC_,"axG",@progbits,_Z38paged_attention_ll4mi_QKV_mfma4_kernelI14__hip_bfloat16S0_LN4vllm18Fp8KVCacheDataTypeE0EhLi32ELi128ELi256ELb1ELi3EEvPKT_PKT0_S8_ifPKiSA_SA_iPKfiiiPfSD_PS3_PT2_iSC_SC_,comdat
.Lfunc_end690:
	.size	_Z38paged_attention_ll4mi_QKV_mfma4_kernelI14__hip_bfloat16S0_LN4vllm18Fp8KVCacheDataTypeE0EhLi32ELi128ELi256ELb1ELi3EEvPKT_PKT0_S8_ifPKiSA_SA_iPKfiiiPfSD_PS3_PT2_iSC_SC_, .Lfunc_end690-_Z38paged_attention_ll4mi_QKV_mfma4_kernelI14__hip_bfloat16S0_LN4vllm18Fp8KVCacheDataTypeE0EhLi32ELi128ELi256ELb1ELi3EEvPKT_PKT0_S8_ifPKiSA_SA_iPKfiiiPfSD_PS3_PT2_iSC_SC_
                                        ; -- End function
	.section	.AMDGPU.csdata,"",@progbits
; Kernel info:
; codeLenInByte = 4440
; NumSgprs: 46
; NumVgprs: 83
; NumAgprs: 8
; TotalNumVgprs: 92
; ScratchSize: 0
; MemoryBound: 0
; FloatMode: 240
; IeeeMode: 1
; LDSByteSize: 5280 bytes/workgroup (compile time only)
; SGPRBlocks: 5
; VGPRBlocks: 11
; NumSGPRsForWavesPerEU: 46
; NumVGPRsForWavesPerEU: 92
; AccumOffset: 84
; Occupancy: 5
; WaveLimiterHint : 1
; COMPUTE_PGM_RSRC2:SCRATCH_EN: 0
; COMPUTE_PGM_RSRC2:USER_SGPR: 2
; COMPUTE_PGM_RSRC2:TRAP_HANDLER: 0
; COMPUTE_PGM_RSRC2:TGID_X_EN: 1
; COMPUTE_PGM_RSRC2:TGID_Y_EN: 1
; COMPUTE_PGM_RSRC2:TGID_Z_EN: 1
; COMPUTE_PGM_RSRC2:TIDIG_COMP_CNT: 0
; COMPUTE_PGM_RSRC3_GFX90A:ACCUM_OFFSET: 20
; COMPUTE_PGM_RSRC3_GFX90A:TG_SPLIT: 0
	.section	.text._Z38paged_attention_ll4mi_QKV_mfma4_kernelI14__hip_bfloat16S0_LN4vllm18Fp8KVCacheDataTypeE0EhLi32ELi128ELi256ELb1ELi4EEvPKT_PKT0_S8_ifPKiSA_SA_iPKfiiiPfSD_PS3_PT2_iSC_SC_,"axG",@progbits,_Z38paged_attention_ll4mi_QKV_mfma4_kernelI14__hip_bfloat16S0_LN4vllm18Fp8KVCacheDataTypeE0EhLi32ELi128ELi256ELb1ELi4EEvPKT_PKT0_S8_ifPKiSA_SA_iPKfiiiPfSD_PS3_PT2_iSC_SC_,comdat
	.protected	_Z38paged_attention_ll4mi_QKV_mfma4_kernelI14__hip_bfloat16S0_LN4vllm18Fp8KVCacheDataTypeE0EhLi32ELi128ELi256ELb1ELi4EEvPKT_PKT0_S8_ifPKiSA_SA_iPKfiiiPfSD_PS3_PT2_iSC_SC_ ; -- Begin function _Z38paged_attention_ll4mi_QKV_mfma4_kernelI14__hip_bfloat16S0_LN4vllm18Fp8KVCacheDataTypeE0EhLi32ELi128ELi256ELb1ELi4EEvPKT_PKT0_S8_ifPKiSA_SA_iPKfiiiPfSD_PS3_PT2_iSC_SC_
	.globl	_Z38paged_attention_ll4mi_QKV_mfma4_kernelI14__hip_bfloat16S0_LN4vllm18Fp8KVCacheDataTypeE0EhLi32ELi128ELi256ELb1ELi4EEvPKT_PKT0_S8_ifPKiSA_SA_iPKfiiiPfSD_PS3_PT2_iSC_SC_
	.p2align	8
	.type	_Z38paged_attention_ll4mi_QKV_mfma4_kernelI14__hip_bfloat16S0_LN4vllm18Fp8KVCacheDataTypeE0EhLi32ELi128ELi256ELb1ELi4EEvPKT_PKT0_S8_ifPKiSA_SA_iPKfiiiPfSD_PS3_PT2_iSC_SC_,@function
_Z38paged_attention_ll4mi_QKV_mfma4_kernelI14__hip_bfloat16S0_LN4vllm18Fp8KVCacheDataTypeE0EhLi32ELi128ELi256ELb1ELi4EEvPKT_PKT0_S8_ifPKiSA_SA_iPKfiiiPfSD_PS3_PT2_iSC_SC_: ; @_Z38paged_attention_ll4mi_QKV_mfma4_kernelI14__hip_bfloat16S0_LN4vllm18Fp8KVCacheDataTypeE0EhLi32ELi128ELi256ELb1ELi4EEvPKT_PKT0_S8_ifPKiSA_SA_iPKfiiiPfSD_PS3_PT2_iSC_SC_
; %bb.0:
	s_load_dwordx2 s[8:9], s[0:1], 0x30
	s_mov_b32 s20, s3
	s_mov_b64 s[6:7], 0
	s_waitcnt lgkmcnt(0)
	s_cmp_lg_u64 s[8:9], 0
	s_cselect_b64 s[10:11], -1, 0
	s_and_b64 vcc, exec, s[10:11]
	s_cbranch_vccz .LBB691_20
; %bb.1:
	s_add_i32 s12, s2, 1
	s_mov_b32 s13, 0
	s_lshl_b64 s[14:15], s[12:13], 2
	s_add_u32 s14, s8, s14
	s_mov_b32 s3, s13
	s_addc_u32 s15, s9, s15
	s_lshl_b64 s[12:13], s[2:3], 2
	s_add_u32 s12, s8, s12
	s_addc_u32 s13, s9, s13
	s_load_dword s5, s[14:15], 0x0
	s_load_dword s16, s[12:13], 0x0
	s_mov_b64 s[34:35], s[2:3]
	s_waitcnt lgkmcnt(0)
	s_sub_i32 s5, s5, s16
	s_cmp_eq_u32 s5, 1
	s_cselect_b64 s[12:13], -1, 0
	s_andn2_b64 vcc, exec, s[6:7]
	s_cbranch_vccnz .LBB691_3
.LBB691_2:
	s_mov_b32 s3, 0
	s_mov_b64 s[12:13], -1
	s_mov_b64 s[34:35], s[2:3]
.LBB691_3:
	s_andn2_b64 vcc, exec, s[12:13]
	s_cbranch_vccnz .LBB691_19
; %bb.4:
	s_load_dword s3, s[0:1], 0x9c
	s_load_dwordx2 s[6:7], s[0:1], 0x28
	s_add_u32 s24, s0, 0x90
	s_addc_u32 s25, s1, 0
	s_lshl_b64 s[36:37], s[34:35], 2
	s_waitcnt lgkmcnt(0)
	s_and_b32 s5, s3, 0xffff
	s_add_u32 s6, s6, s36
	s_addc_u32 s7, s7, s37
	s_load_dword s3, s[6:7], 0x0
	s_mul_i32 s5, s20, s5
	s_waitcnt lgkmcnt(0)
	s_cmp_ge_i32 s5, s3
	s_cbranch_scc1 .LBB691_19
; %bb.5:
	v_and_b32_e32 v1, 0xc0, v0
	v_and_b32_e32 v73, 3, v0
	s_lshl_b32 s33, s4, 2
	v_add_u32_e32 v2, s5, v1
	v_lshrrev_b32_e32 v72, 6, v0
	v_cmp_le_i32_e64 s[6:7], s3, v2
	v_or_b32_e32 v66, s33, v73
                                        ; implicit-def: $sgpr17
                                        ; implicit-def: $sgpr16
	s_and_saveexec_b64 s[12:13], s[6:7]
	s_xor_b64 s[12:13], exec, s[12:13]
	s_cbranch_execz .LBB691_7
; %bb.6:
	v_mul_u32_u24_e32 v1, 20, v72
	v_or_b32_e32 v1, 0x1400, v1
	v_mov_b32_e32 v2, 0x1450
	v_mov_b32_e32 v3, 0xff7fffff
	v_mad_u32_u24 v2, v72, 20, v2
	ds_write2_b32 v1, v3, v3 offset1:1
	v_mov_b32_e32 v1, 0
	ds_write2_b32 v2, v1, v1 offset1:1
	v_mov_b32_e32 v2, 0x1408
	s_mov_b32 s16, 0xff7fffff
	s_mov_b32 s17, 0
	v_mad_u32_u24 v2, v72, 20, v2
	v_mov_b32_e32 v4, 0x1458
	v_or_b32_e32 v66, s33, v73
	v_mad_u32_u24 v4, v72, 20, v4
	ds_write2_b32 v2, v3, v3 offset1:1
	ds_write2_b32 v4, v1, v1 offset1:1
                                        ; implicit-def: $vgpr2
.LBB691_7:
	s_or_saveexec_b64 s[26:27], s[12:13]
	s_load_dwordx2 s[22:23], s[0:1], 0x68
	s_load_dwordx4 s[12:15], s[0:1], 0x58
	s_load_dword s40, s[24:25], 0x4
	v_and_b32_e32 v1, 63, v0
	v_mov_b32_e32 v71, s17
	v_mov_b32_e32 v74, s16
	v_mov_b32_e32 v70, s17
	v_mov_b32_e32 v69, s17
	v_mov_b32_e32 v68, s17
                                        ; implicit-def: $vgpr35
                                        ; implicit-def: $vgpr39
                                        ; implicit-def: $vgpr47
                                        ; implicit-def: $vgpr59
                                        ; implicit-def: $vgpr15
                                        ; implicit-def: $vgpr3
                                        ; implicit-def: $vgpr7
                                        ; implicit-def: $vgpr11
                                        ; implicit-def: $vgpr55
                                        ; implicit-def: $vgpr43
                                        ; implicit-def: $vgpr51
                                        ; implicit-def: $vgpr63
                                        ; implicit-def: $vgpr19
                                        ; implicit-def: $vgpr23
                                        ; implicit-def: $vgpr27
                                        ; implicit-def: $vgpr31
	s_xor_b64 exec, exec, s[26:27]
	s_cbranch_execz .LBB691_13
; %bb.8:
	s_add_i32 s19, s3, 31
	s_load_dwordx2 s[16:17], s[0:1], 0x20
	s_load_dword s18, s[0:1], 0x38
	s_ashr_i32 s21, s19, 31
	s_lshr_b32 s21, s21, 27
	v_add_u32_e32 v68, s5, v0
	s_add_i32 s19, s19, s21
	v_ashrrev_i32_e32 v3, 31, v68
	s_ashr_i32 s19, s19, 5
	v_lshrrev_b32_e32 v3, 27, v3
	s_add_i32 s21, s19, -1
	v_add_u32_e32 v3, v68, v3
	s_waitcnt lgkmcnt(0)
	s_mul_i32 s38, s2, s18
	s_mov_b32 s39, 0
	v_ashrrev_i32_e32 v3, 5, v3
	v_mov_b32_e32 v4, s21
	v_cmp_gt_i32_e32 vcc, s3, v68
	s_lshl_b64 s[18:19], s[38:39], 2
	s_add_u32 s16, s16, s18
	v_cndmask_b32_e32 v4, v4, v3, vcc
	v_ashrrev_i32_e32 v3, 31, v2
	v_lshrrev_b32_e32 v3, 27, v3
	s_addc_u32 s17, s17, s19
	v_ashrrev_i32_e32 v5, 31, v4
	v_add_u32_e32 v2, v2, v3
	v_lshl_add_u64 v[6:7], v[4:5], 2, s[16:17]
	v_ashrrev_i32_e32 v4, 5, v2
	v_min_i32_e32 v2, s21, v4
	v_ashrrev_i32_e32 v3, 31, v2
	v_lshl_add_u64 v[8:9], v[2:3], 2, s[16:17]
	v_add_u32_e32 v2, 1, v4
	v_min_i32_e32 v2, s21, v2
	v_ashrrev_i32_e32 v3, 31, v2
	v_lshl_add_u64 v[10:11], v[2:3], 2, s[16:17]
	global_load_dword v2, v[6:7], off
	global_load_dword v4, v[8:9], off
	;; [unrolled: 1-line block ×3, first 2 shown]
	s_load_dwordx2 s[30:31], s[0:1], 0x40
	s_load_dwordx4 s[16:19], s[0:1], 0x0
	s_load_dwordx2 s[28:29], s[0:1], 0x10
	s_andn2_b64 vcc, exec, s[10:11]
	s_cbranch_vccnz .LBB691_10
; %bb.9:
	s_add_u32 s8, s8, s36
	s_addc_u32 s9, s9, s37
	s_load_dword s38, s[8:9], 0x0
	s_waitcnt lgkmcnt(0)
	s_mov_b64 s[34:35], s[38:39]
.LBB691_10:
	s_load_dwordx4 s[8:11], s[0:1], 0x48
	v_lshlrev_b32_e32 v3, 2, v1
	v_and_b32_e32 v3, 0xf0, v3
	v_lshl_or_b32 v3, v73, 8, v3
	v_and_b32_e32 v6, 31, v0
	s_waitcnt lgkmcnt(0)
	s_ashr_i32 s5, s8, 31
	s_mul_hi_u32 s11, s34, s8
	s_mul_i32 s5, s34, s5
	s_mul_i32 s21, s35, s8
	s_add_i32 s5, s11, s5
	s_mul_i32 s36, s34, s8
	s_add_i32 s37, s5, s21
	s_lshl_b64 s[34:35], s[36:37], 1
	s_add_u32 s5, s16, s34
	s_addc_u32 s8, s17, s35
	s_lshl_b32 s38, s4, 9
	s_lshl_b64 s[16:17], s[38:39], 1
	s_add_u32 s16, s5, s16
	s_addc_u32 s17, s8, s17
	global_load_dwordx4 v[74:77], v3, s[16:17]
	s_mul_i32 s38, s4, s10
	s_lshl_b64 s[4:5], s[38:39], 1
	s_add_u32 s10, s4, s18
	s_waitcnt vmcnt(3)
	v_mad_i64_i32 v[2:3], s[16:17], v2, s9, 0
	s_addc_u32 s11, s5, s19
	v_lshl_add_u64 v[2:3], v[2:3], 1, s[10:11]
	v_lshlrev_b32_e32 v34, 4, v6
	v_mov_b32_e32 v35, 0
	v_lshl_add_u64 v[36:37], v[2:3], 0, v[34:35]
	global_load_dwordx4 v[6:9], v[36:37], off
	global_load_dwordx4 v[10:13], v[36:37], off offset:512
	global_load_dwordx4 v[14:17], v[36:37], off offset:1024
	;; [unrolled: 1-line block ×6, first 2 shown]
	v_mov_b32_e32 v41, v35
	global_load_dwordx4 v[36:39], v[36:37], off offset:3584
	v_or_b32_e32 v40, 0x1000, v34
	v_lshl_add_u64 v[40:41], v[2:3], 0, v[40:41]
	global_load_dwordx4 v[40:43], v[40:41], off
	v_mov_b32_e32 v45, v35
	v_or_b32_e32 v44, 0x1200, v34
	v_lshl_add_u64 v[44:45], v[2:3], 0, v[44:45]
	global_load_dwordx4 v[44:47], v[44:45], off
	v_mov_b32_e32 v49, v35
	;; [unrolled: 4-line block ×5, first 2 shown]
	v_or_b32_e32 v60, 0x1a00, v34
	v_lshl_add_u64 v[60:61], v[2:3], 0, v[60:61]
	global_load_dwordx4 v[60:63], v[60:61], off
	v_or_b32_e32 v34, 0x1c00, v34
	v_lshl_add_u64 v[64:65], v[2:3], 0, v[34:35]
	global_load_dwordx4 v[78:81], v[64:65], off
	v_mov_b32_e32 v67, 0x1e00
	v_lshl_or_b32 v34, v0, 4, v67
	v_lshl_add_u64 v[2:3], v[2:3], 0, v[34:35]
	global_load_dwordx4 v[82:85], v[2:3], off
	v_mov_b32_e32 v67, v35
	v_lshl_add_u64 v[70:71], v[66:67], 2, s[30:31]
	global_load_dword v93, v[70:71], off
	v_and_b32_e32 v89, -4, v68
	v_subrev_u32_e32 v2, s3, v89
	v_add_u32_e32 v67, 1, v2
	v_add_u32_e32 v90, 2, v2
	;; [unrolled: 1-line block ×4, first 2 shown]
	s_waitcnt vmcnt(19)
	v_mul_hi_i32 v2, v4, s9
	v_mov_b32_e32 v3, v35
	s_add_u32 s4, s28, s4
	s_addc_u32 s5, s29, s5
	v_mov_b32_e32 v65, v35
	s_load_dword s0, s[0:1], 0x1c
	v_cmp_eq_u32_e32 vcc, 0, v73
	v_cvt_f32_i32_e32 v67, v67
	v_or_b32_e32 v68, 3, v68
	v_cndmask_b32_e64 v69, 0, 1.0, vcc
	v_cmp_eq_u32_e32 vcc, 1, v73
	s_waitcnt vmcnt(16)
	v_mfma_f32_4x4x4_16b_bf16 a[0:3], v[74:75], v[6:7], 0 cbsz:4
	v_mul_hi_i32 v6, v5, s9
	s_nop 0
	v_mfma_f32_4x4x4_16b_bf16 a[0:3], v[76:77], v[8:9], a[0:3] cbsz:4
	v_ashrrev_i32_e32 v7, 31, v2
	v_ashrrev_i32_e32 v2, 31, v6
	s_waitcnt vmcnt(15)
	v_mfma_f32_4x4x4_16b_bf16 a[0:3], v[74:75], v[10:11], a[0:3] cbsz:4 abid:1
	v_lshrrev_b32_e32 v2, 29, v2
	v_mad_i64_i32 v[2:3], s[10:11], v5, s9, v[2:3]
	v_mfma_f32_4x4x4_16b_bf16 a[0:3], v[76:77], v[12:13], a[0:3] cbsz:4 abid:1
	v_lshlrev_b64 v[2:3], 1, v[2:3]
	v_and_b32_e32 v2, -16, v2
	s_waitcnt vmcnt(14)
	v_mfma_f32_4x4x4_16b_bf16 a[0:3], v[74:75], v[14:15], a[0:3] cbsz:4 abid:2
	v_lshrrev_b32_e32 v34, 29, v7
	v_cndmask_b32_e64 v86, 0, 1.0, vcc
	v_mfma_f32_4x4x4_16b_bf16 a[0:3], v[76:77], v[16:17], a[0:3] cbsz:4 abid:2
	v_cmp_eq_u32_e32 vcc, 2, v73
	s_waitcnt vmcnt(13)
	v_mfma_f32_4x4x4_16b_bf16 a[0:3], v[74:75], v[18:19], a[0:3] cbsz:4 abid:3
	v_lshl_add_u64 v[18:19], s[4:5], 0, v[2:3]
	v_mad_i64_i32 v[2:3], s[8:9], v4, s9, v[34:35]
	v_mfma_f32_4x4x4_16b_bf16 a[0:3], v[76:77], v[20:21], a[0:3] cbsz:4 abid:3
	v_lshlrev_b64 v[20:21], 1, v[2:3]
	v_lshlrev_b32_e32 v34, 6, v1
	s_waitcnt vmcnt(12)
	v_mfma_f32_4x4x4_16b_bf16 a[0:3], v[74:75], v[22:23], a[0:3] cbsz:4 abid:4
	v_and_b32_e32 v20, -16, v20
	v_or_b32_e32 v64, 0x1000, v34
	v_mfma_f32_4x4x4_16b_bf16 a[0:3], v[76:77], v[24:25], a[0:3] cbsz:4 abid:4
	v_lshl_add_u64 v[22:23], v[18:19], 0, v[34:35]
	global_load_dwordx4 v[14:17], v[22:23], off
	global_load_dwordx4 v[2:5], v[22:23], off offset:16
	s_waitcnt vmcnt(13)
	v_mfma_f32_4x4x4_16b_bf16 a[0:3], v[74:75], v[26:27], a[0:3] cbsz:4 abid:5
	global_load_dwordx4 v[6:9], v[22:23], off offset:32
	global_load_dwordx4 v[10:13], v[22:23], off offset:48
	v_mfma_f32_4x4x4_16b_bf16 a[0:3], v[76:77], v[28:29], a[0:3] cbsz:4 abid:5
	v_cndmask_b32_e64 v87, 0, 1.0, vcc
	v_cmp_eq_u32_e32 vcc, 3, v73
	s_waitcnt vmcnt(14)
	v_mfma_f32_4x4x4_16b_bf16 a[0:3], v[74:75], v[30:31], a[0:3] cbsz:4 abid:6
	v_cmp_gt_i32_e64 s[8:9], s3, v68
	v_cndmask_b32_e64 v88, 0, 1.0, vcc
	v_mfma_f32_4x4x4_16b_bf16 a[0:3], v[76:77], v[32:33], a[0:3] cbsz:4 abid:6
	v_cmp_gt_i32_e32 vcc, s3, v89
	s_waitcnt vmcnt(13)
	v_mfma_f32_4x4x4_16b_bf16 a[0:3], v[74:75], v[36:37], a[0:3] cbsz:4 abid:7
	v_lshl_add_u64 v[36:37], v[18:19], 0, v[64:65]
	s_nop 0
	v_mfma_f32_4x4x4_16b_bf16 a[0:3], v[76:77], v[38:39], a[0:3] cbsz:4 abid:7
	v_lshl_add_u64 v[38:39], s[4:5], 0, v[20:21]
	v_lshl_add_u64 v[70:71], v[38:39], 0, v[64:65]
	s_waitcnt vmcnt(12)
	v_mfma_f32_4x4x4_16b_bf16 a[0:3], v[74:75], v[40:41], a[0:3] cbsz:4 abid:8
	global_load_dwordx4 v[18:21], v[36:37], off
	global_load_dwordx4 v[22:25], v[36:37], off offset:16
	v_mfma_f32_4x4x4_16b_bf16 a[0:3], v[76:77], v[42:43], a[0:3] cbsz:4 abid:8
	v_lshl_add_u64 v[42:43], v[38:39], 0, v[34:35]
	global_load_dwordx4 v[26:29], v[36:37], off offset:32
	global_load_dwordx4 v[30:33], v[36:37], off offset:48
	s_waitcnt vmcnt(15)
	v_mfma_f32_4x4x4_16b_bf16 a[0:3], v[74:75], v[44:45], a[0:3] cbsz:4 abid:9
	global_load_dwordx4 v[34:37], v[42:43], off
	global_load_dwordx4 v[38:41], v[42:43], off offset:16
	v_mfma_f32_4x4x4_16b_bf16 a[0:3], v[76:77], v[46:47], a[0:3] cbsz:4 abid:9
	s_waitcnt vmcnt(16)
	s_nop 0
	v_mfma_f32_4x4x4_16b_bf16 a[0:3], v[74:75], v[48:49], a[0:3] cbsz:4 abid:10
	s_nop 1
	v_mfma_f32_4x4x4_16b_bf16 a[0:3], v[76:77], v[50:51], a[0:3] cbsz:4 abid:10
	s_waitcnt vmcnt(15)
	s_nop 0
	v_mfma_f32_4x4x4_16b_bf16 a[0:3], v[74:75], v[52:53], a[0:3] cbsz:4 abid:11
	s_nop 1
	;; [unrolled: 5-line block ×3, first 2 shown]
	v_mfma_f32_4x4x4_16b_bf16 a[0:3], v[76:77], v[58:59], a[0:3] cbsz:4 abid:12
	s_waitcnt vmcnt(13)
	s_nop 0
	v_mfma_f32_4x4x4_16b_bf16 a[0:3], v[74:75], v[60:61], a[0:3] cbsz:4 abid:13
	global_load_dwordx4 v[46:49], v[42:43], off offset:32
	global_load_dwordx4 v[58:61], v[42:43], off offset:48
	v_mfma_f32_4x4x4_16b_bf16 a[0:3], v[76:77], v[62:63], a[0:3] cbsz:4 abid:13
	global_load_dwordx4 v[54:57], v[70:71], off
	global_load_dwordx4 v[42:45], v[70:71], off offset:16
	global_load_dwordx4 v[50:53], v[70:71], off offset:32
	;; [unrolled: 1-line block ×3, first 2 shown]
	s_waitcnt vmcnt(18)
	v_mfma_f32_4x4x4_16b_bf16 a[0:3], v[74:75], v[78:79], a[0:3] cbsz:4 abid:14
	s_nop 1
	v_mfma_f32_4x4x4_16b_bf16 a[0:3], v[76:77], v[80:81], a[0:3] cbsz:4 abid:14
	s_waitcnt vmcnt(17)
	s_nop 0
	v_mfma_f32_4x4x4_16b_bf16 a[0:3], v[74:75], v[82:83], a[0:3] cbsz:4 abid:15
	s_nop 1
	v_mfma_f32_4x4x4_16b_bf16 a[0:3], v[76:77], v[84:85], a[0:3] cbsz:4 abid:15
	s_nop 4
	v_accvgpr_read_b32 v71, a1
	v_accvgpr_read_b32 v70, a0
	s_waitcnt lgkmcnt(0)
	v_pk_mul_f32 v[70:71], s[0:1], v[70:71] op_sel_hi:[0,1]
	v_accvgpr_read_b32 v75, a3
	v_accvgpr_read_b32 v74, a2
	v_pk_mul_f32 v[74:75], s[0:1], v[74:75] op_sel_hi:[0,1]
	v_mfma_f32_4x4x1_16b_f32 a[0:3], v70, v69, 0
	v_cvt_f32_i32_e32 v70, v91
	s_nop 0
	v_mfma_f32_4x4x1_16b_f32 a[0:3], v71, v86, a[0:3]
	v_cvt_f32_i32_e32 v69, v90
	v_cvt_f32_i32_e32 v71, v92
	v_mfma_f32_4x4x1_16b_f32 a[0:3], v74, v87, a[0:3]
	s_nop 1
	v_mfma_f32_4x4x1_16b_f32 a[0:3], v75, v88, a[0:3]
	s_nop 3
	v_accvgpr_read_b32 v74, a0
	v_accvgpr_read_b32 v76, a2
	s_waitcnt vmcnt(16)
	v_fma_f32 v67, v93, v67, v74
	v_accvgpr_read_b32 v75, a1
	v_fma_f32 v70, v93, v70, v76
	v_max_f32_e32 v74, 0xff7fffff, v67
	v_mov_b32_e32 v76, 0xff7fffff
	v_fma_f32 v69, v93, v69, v75
	v_cndmask_b32_e32 v74, v76, v74, vcc
	v_or_b32_e32 v76, 1, v89
	v_max_f32_e32 v77, v74, v69
	v_cmp_gt_i32_e64 s[0:1], s3, v76
	v_or_b32_e32 v76, 2, v89
	v_accvgpr_read_b32 v75, a3
	v_cndmask_b32_e64 v74, v74, v77, s[0:1]
	v_max_f32_e32 v77, v74, v70
	v_cmp_gt_i32_e64 s[4:5], s3, v76
	v_fmac_f32_e32 v75, v93, v71
	v_lshlrev_b32_e32 v71, 2, v0
	v_cndmask_b32_e64 v74, v74, v77, s[4:5]
	v_max_f32_e32 v76, v74, v75
	v_cndmask_b32_e64 v68, v74, v76, s[8:9]
	v_and_or_b32 v71, v71, 48, v73
	;;#ASMSTART
	v_nop
 v_nop
 v_max_f32_dpp v68, v68, v68 row_ror:4
	;;#ASMEND
	v_lshlrev_b32_e32 v76, 2, v71
	;;#ASMSTART
	v_nop
 v_nop
 v_max_f32_dpp v68, v68, v68 row_ror:8
	;;#ASMEND
	ds_bpermute_b32 v68, v76, v68
	s_waitcnt lgkmcnt(0)
	;;#ASMSTART
	v_nop
 v_nop
 v_max_f32_dpp v68, v68, v68 row_ror:4
	;;#ASMEND
	s_nop 0
	;;#ASMSTART
	v_nop
 v_nop
 v_max_f32_dpp v74, v68, v68 row_ror:8
	;;#ASMEND
	s_nop 0
	v_sub_f32_e32 v67, v67, v74
	v_mul_f32_e32 v67, 0x3fb8aa3b, v67
	v_sub_f32_e32 v68, v69, v74
	v_exp_f32_e32 v67, v67
	v_mul_f32_e32 v68, 0x3fb8aa3b, v68
	v_sub_f32_e32 v70, v70, v74
	v_exp_f32_e32 v69, v68
	;; [unrolled: 3-line block ×3, first 2 shown]
	v_mul_f32_e32 v71, 0x3fb8aa3b, v71
	v_exp_f32_e32 v71, v71
	v_cndmask_b32_e32 v68, 0, v67, vcc
	v_add_f32_e32 v67, 0, v68
	v_cndmask_b32_e64 v69, 0, v69, s[0:1]
	v_add_f32_e32 v67, v67, v69
	v_cndmask_b32_e64 v70, 0, v70, s[4:5]
	;; [unrolled: 2-line block ×3, first 2 shown]
	v_add_f32_e32 v67, v67, v71
	;;#ASMSTART
	v_nop
 v_nop
 v_add_f32_dpp v67, v67, v67 row_ror:4
	;;#ASMEND
	v_cmp_gt_u32_e32 vcc, 4, v1
	;;#ASMSTART
	v_nop
 v_nop
 v_add_f32_dpp v67, v67, v67 row_ror:8
	;;#ASMEND
	ds_bpermute_b32 v67, v76, v67
	s_waitcnt lgkmcnt(0)
	;;#ASMSTART
	v_nop
 v_nop
 v_add_f32_dpp v67, v67, v67 row_ror:4
	;;#ASMEND
	s_nop 0
	;;#ASMSTART
	v_nop
 v_nop
 v_add_f32_dpp v67, v67, v67 row_ror:8
	;;#ASMEND
	s_and_saveexec_b64 s[0:1], vcc
	s_cbranch_execz .LBB691_12
; %bb.11:
	v_mul_u32_u24_e32 v75, 20, v72
	v_lshl_add_u32 v75, v73, 2, v75
	v_add_u32_e32 v75, 0x1400, v75
	ds_write2_b32 v75, v74, v67 offset1:20
.LBB691_12:
	s_or_b64 exec, exec, s[0:1]
.LBB691_13:
	s_or_b64 exec, exec, s[26:27]
	v_lshlrev_b32_e32 v67, 2, v73
	v_add_u32_e32 v67, 0x1400, v67
	s_waitcnt lgkmcnt(0)
	s_barrier
	s_load_dword s0, s[24:25], 0x8
	ds_read2_b32 v[76:77], v67 offset1:5
	ds_read2_b32 v[78:79], v67 offset0:10 offset1:15
	s_mov_b32 s4, 0xff7fffff
	s_mul_i32 s1, s2, s40
	ds_read2_b32 v[80:81], v67 offset0:20 offset1:25
	s_waitcnt lgkmcnt(0)
	v_max3_f32 v73, v76, s4, v77
	s_mul_i32 s1, s1, s0
	v_max3_f32 v73, v73, v78, v79
	s_lshl_b32 s0, s1, 2
	s_mov_b32 s1, 0
	v_sub_f32_e32 v75, v76, v73
	v_sub_f32_e32 v76, v77, v73
	s_lshl_b64 s[2:3], s[0:1], 2
	v_mul_f32_e32 v75, 0x3fb8aa3b, v75
	v_mul_f32_e32 v76, 0x3fb8aa3b, v76
	s_add_u32 s8, s12, s2
	v_exp_f32_e32 v75, v75
	v_exp_f32_e32 v82, v76
	ds_read2_b32 v[76:77], v67 offset0:30 offset1:35
	v_sub_f32_e32 v67, v78, v73
	s_addc_u32 s9, s13, s3
	v_mul_f32_e32 v67, 0x3fb8aa3b, v67
	v_sub_f32_e32 v78, v79, v73
	s_mov_b32 s21, s1
	s_add_u32 s4, s14, s2
	v_exp_f32_e32 v67, v67
	v_mul_f32_e32 v78, 0x3fb8aa3b, v78
	s_addc_u32 s5, s15, s3
	s_lshl_b64 s[2:3], s[20:21], 2
	v_exp_f32_e32 v78, v78
	s_add_u32 s4, s4, s2
	v_fma_f32 v75, v75, v80, 0
	s_addc_u32 s5, s5, s3
	v_fmac_f32_e32 v75, v82, v81
	s_waitcnt lgkmcnt(0)
	v_fmac_f32_e32 v75, v67, v76
	s_add_u32 s2, s8, s2
	v_mul_lo_u32 v66, s40, v66
	v_mov_b32_e32 v67, 0
	v_fmac_f32_e32 v75, v78, v77
	s_addc_u32 s3, s9, s3
	v_lshlrev_b64 v[76:77], 2, v[66:67]
	v_lshl_add_u64 v[78:79], s[4:5], 0, v[76:77]
	v_lshl_add_u64 v[76:77], s[2:3], 0, v[76:77]
	v_lshlrev_b32_e32 v72, 3, v72
	global_store_dword v[78:79], v73, off
	global_store_dword v[76:77], v75, off
	s_and_saveexec_b64 s[2:3], s[6:7]
	s_xor_b64 s[2:3], exec, s[2:3]
	s_cbranch_execz .LBB691_15
; %bb.14:
	s_waitcnt vmcnt(16)
	v_mad_u32_u24 v2, v1, 40, v72
	v_mov_b32_e32 v66, v67
	ds_write_b64 v2, v[66:67]
                                        ; implicit-def: $vgpr71
                                        ; implicit-def: $vgpr69
                                        ; implicit-def: $vgpr35
                                        ; implicit-def: $vgpr39
                                        ; implicit-def: $vgpr47
                                        ; implicit-def: $vgpr59
                                        ; implicit-def: $vgpr15
                                        ; implicit-def: $vgpr3
                                        ; implicit-def: $vgpr7
                                        ; implicit-def: $vgpr11
                                        ; implicit-def: $vgpr55
                                        ; implicit-def: $vgpr43
                                        ; implicit-def: $vgpr51
                                        ; implicit-def: $vgpr63
                                        ; implicit-def: $vgpr19
                                        ; implicit-def: $vgpr23
                                        ; implicit-def: $vgpr27
                                        ; implicit-def: $vgpr31
                                        ; implicit-def: $vgpr74
                                        ; implicit-def: $vgpr73
                                        ; implicit-def: $vgpr75
.LBB691_15:
	s_or_saveexec_b64 s[2:3], s[2:3]
	v_mov_b32_e32 v66, s1
	v_mov_b32_e32 v67, s1
	s_xor_b64 exec, exec, s[2:3]
	s_cbranch_execz .LBB691_17
; %bb.16:
	v_add_f32_e32 v66, 0x358637bd, v75
	v_div_scale_f32 v67, s[4:5], v66, v66, 1.0
	v_rcp_f32_e32 v75, v67
	v_sub_f32_e32 v73, v74, v73
	v_mul_f32_e32 v73, 0x3fb8aa3b, v73
	v_exp_f32_e32 v73, v73
	v_fma_f32 v74, -v67, v75, 1.0
	v_fmac_f32_e32 v75, v74, v75
	v_div_scale_f32 v74, vcc, 1.0, v66, 1.0
	v_mul_f32_e32 v76, v74, v75
	v_fma_f32 v77, -v67, v76, v74
	v_fmac_f32_e32 v76, v77, v75
	v_fma_f32 v67, -v67, v76, v74
	v_div_fmas_f32 v67, v67, v75, v76
	v_div_fixup_f32 v66, v67, v66, 1.0
	v_mul_f32_e32 v66, v73, v66
	v_pk_mul_f32 v[70:71], v[70:71], v[66:67] op_sel_hi:[1,0]
	v_pk_mul_f32 v[66:67], v[68:69], v[66:67] op_sel_hi:[1,0]
	s_movk_i32 s1, 0x7fff
	v_bfe_u32 v68, v67, 16, 1
	v_bfe_u32 v69, v66, 16, 1
	v_add3_u32 v66, v66, v69, s1
	v_add3_u32 v67, v67, v68, s1
	s_mov_b32 s4, 0x7060302
	v_perm_b32 v66, v67, v66, s4
	v_bfe_u32 v67, v71, 16, 1
	v_bfe_u32 v68, v70, 16, 1
	v_add3_u32 v68, v70, v68, s1
	v_add3_u32 v67, v71, v67, s1
	v_perm_b32 v67, v67, v68, s4
	s_waitcnt vmcnt(9)
	s_nop 0
	v_mfma_f32_4x4x4_16b_bf16 a[0:3], v[66:67], v[34:35], 0 cbsz:4
	s_nop 1
	v_mfma_f32_4x4x4_16b_bf16 a[0:3], v[66:67], v[36:37], a[0:3] cbsz:4 abid:1
	s_waitcnt vmcnt(5)
	v_mfma_f32_4x4x4_16b_bf16 a[4:7], v[66:67], v[54:55], 0 cbsz:4
	v_mfma_f32_4x4x4_16b_bf16 a[0:3], v[66:67], v[38:39], a[0:3] cbsz:4 abid:2
	s_nop 0
	v_mfma_f32_4x4x4_16b_bf16 a[4:7], v[66:67], v[56:57], a[4:7] cbsz:4 abid:1
	v_mfma_f32_4x4x4_16b_bf16 a[0:3], v[66:67], v[40:41], a[0:3] cbsz:4 abid:3
	s_waitcnt vmcnt(4)
	v_mfma_f32_4x4x4_16b_bf16 a[4:7], v[66:67], v[42:43], a[4:7] cbsz:4 abid:2
	v_mfma_f32_4x4x4_16b_bf16 a[0:3], v[66:67], v[46:47], a[0:3] cbsz:4 abid:4
	s_nop 1
	v_mfma_f32_4x4x4_16b_bf16 a[0:3], v[66:67], v[48:49], a[0:3] cbsz:4 abid:5
	s_nop 1
	;; [unrolled: 2-line block ×12, first 2 shown]
	v_accvgpr_read_b32 v3, a2
	v_accvgpr_read_b32 v4, a3
	;; [unrolled: 1-line block ×4, first 2 shown]
	v_mfma_f32_4x4x4_16b_bf16 a[0:3], v[66:67], v[44:45], a[4:7] cbsz:4 abid:3
	v_bfe_u32 v6, v5, 16, 1
	v_bfe_u32 v7, v2, 16, 1
	s_waitcnt vmcnt(3)
	v_mfma_f32_4x4x4_16b_bf16 a[0:3], v[66:67], v[50:51], a[0:3] cbsz:4 abid:4
	v_add3_u32 v2, v2, v7, s1
	v_add3_u32 v5, v5, v6, s1
	v_mfma_f32_4x4x4_16b_bf16 a[0:3], v[66:67], v[52:53], a[0:3] cbsz:4 abid:5
	v_perm_b32 v2, v5, v2, s4
	v_bfe_u32 v5, v4, 16, 1
	s_waitcnt vmcnt(2)
	v_mfma_f32_4x4x4_16b_bf16 a[0:3], v[66:67], v[62:63], a[0:3] cbsz:4 abid:6
	v_bfe_u32 v6, v3, 16, 1
	v_add3_u32 v3, v3, v6, s1
	v_mfma_f32_4x4x4_16b_bf16 a[0:3], v[66:67], v[64:65], a[0:3] cbsz:4 abid:7
	v_add3_u32 v4, v4, v5, s1
	v_perm_b32 v3, v4, v3, s4
	v_mfma_f32_4x4x4_16b_bf16 a[0:3], v[66:67], v[18:19], a[0:3] cbsz:4 abid:8
	v_mad_u32_u24 v4, v1, 40, v72
	ds_write_b64 v4, v[2:3]
	v_mfma_f32_4x4x4_16b_bf16 a[0:3], v[66:67], v[20:21], a[0:3] cbsz:4 abid:9
	s_nop 1
	v_mfma_f32_4x4x4_16b_bf16 a[0:3], v[66:67], v[22:23], a[0:3] cbsz:4 abid:10
	s_nop 1
	;; [unrolled: 2-line block ×7, first 2 shown]
	v_accvgpr_read_b32 v4, a0
	v_accvgpr_read_b32 v5, a1
	;; [unrolled: 1-line block ×4, first 2 shown]
	v_bfe_u32 v6, v5, 16, 1
	v_bfe_u32 v7, v4, 16, 1
	v_add3_u32 v4, v4, v7, s1
	v_add3_u32 v5, v5, v6, s1
	v_bfe_u32 v6, v3, 16, 1
	v_bfe_u32 v7, v2, 16, 1
	v_add3_u32 v2, v2, v7, s1
	v_add3_u32 v3, v3, v6, s1
	v_perm_b32 v67, v3, v2, s4
	v_perm_b32 v66, v5, v4, s4
.LBB691_17:
	s_or_b64 exec, exec, s[2:3]
	s_waitcnt vmcnt(16)
	v_mad_u32_u24 v2, v1, 40, v72
	v_cmp_gt_u32_e32 vcc, 64, v0
	ds_write_b64 v2, v[66:67] offset:2560
	s_waitcnt lgkmcnt(0)
	s_barrier
	s_and_saveexec_b64 s[2:3], vcc
	s_cbranch_execz .LBB691_19
; %bb.18:
	s_waitcnt vmcnt(15)
	v_mul_u32_u24_e32 v6, 40, v1
	ds_read2_b64 v[2:5], v6 offset1:1
	ds_read2_b64 v[6:9], v6 offset0:2 offset1:3
	s_mov_b32 s1, 0
	s_lshl_b32 s0, s0, 7
	s_lshl_b64 s[2:3], s[0:1], 1
	s_waitcnt vmcnt(14) lgkmcnt(1)
	v_lshlrev_b32_e32 v10, 16, v2
	v_and_b32_e32 v2, 0xffff0000, v2
	v_add_f32_e32 v2, 0, v2
	v_lshlrev_b32_e32 v11, 16, v3
	v_and_b32_e32 v3, 0xffff0000, v3
	v_and_b32_e32 v2, 0xffff0000, v2
	v_add_f32_e32 v11, 0, v11
	v_add_f32_e32 v3, 0, v3
	v_lshlrev_b32_e32 v12, 16, v4
	v_and_b32_e32 v4, 0xffff0000, v4
	v_add_f32_e32 v10, 0, v10
	v_and_b32_e32 v11, 0xffff0000, v11
	v_and_b32_e32 v3, 0xffff0000, v3
	v_add_f32_e32 v2, v2, v4
	v_lshlrev_b32_e32 v4, 16, v5
	v_and_b32_e32 v5, 0xffff0000, v5
	v_and_b32_e32 v10, 0xffff0000, v10
	;; [unrolled: 1-line block ×3, first 2 shown]
	v_add_f32_e32 v4, v11, v4
	v_add_f32_e32 v3, v3, v5
	s_waitcnt lgkmcnt(0)
	v_lshlrev_b32_e32 v5, 16, v6
	v_and_b32_e32 v6, 0xffff0000, v6
	v_add_f32_e32 v10, v10, v12
	v_and_b32_e32 v4, 0xffff0000, v4
	v_add_f32_e32 v2, v2, v6
	v_lshlrev_b32_e32 v6, 16, v7
	v_and_b32_e32 v10, 0xffff0000, v10
	v_and_b32_e32 v3, 0xffff0000, v3
	v_add_f32_e32 v4, v4, v6
	v_and_b32_e32 v6, 0xffff0000, v7
	v_add_f32_e32 v5, v10, v5
	v_add_f32_e32 v3, v3, v6
	v_and_b32_e32 v5, 0xffff0000, v5
	v_and_b32_e32 v6, 0xffff0000, v3
	v_lshlrev_b32_e32 v3, 16, v8
	v_and_b32_e32 v2, 0xffff0000, v2
	v_add_f32_e32 v10, v5, v3
	v_and_b32_e32 v3, 0xffff0000, v8
	v_and_b32_e32 v4, 0xffff0000, v4
	v_add_f32_e32 v11, v2, v3
	v_lshlrev_b32_e32 v2, 16, v9
	v_add_f32_e32 v12, v4, v2
	v_mov_b32_e32 v2, 0xa00
	v_mad_u32_u24 v2, v1, 40, v2
	ds_read2_b64 v[2:5], v2 offset1:1
	v_and_b32_e32 v7, 0xffff0000, v9
	v_add_f32_e32 v13, v6, v7
	v_mov_b32_e32 v6, 0xa10
	v_mad_u32_u24 v1, v1, 40, v6
	ds_read2_b64 v[6:9], v1 offset1:1
	s_waitcnt lgkmcnt(1)
	v_lshlrev_b32_e32 v1, 16, v2
	v_and_b32_e32 v2, 0xffff0000, v2
	v_add_f32_e32 v1, 0, v1
	v_add_f32_e32 v2, 0, v2
	v_lshlrev_b32_e32 v14, 16, v3
	v_and_b32_e32 v3, 0xffff0000, v3
	v_and_b32_e32 v1, 0xffff0000, v1
	;; [unrolled: 1-line block ×3, first 2 shown]
	v_add_f32_e32 v3, 0, v3
	v_lshlrev_b32_e32 v15, 16, v4
	v_and_b32_e32 v4, 0xffff0000, v4
	v_add_f32_e32 v14, 0, v14
	v_and_b32_e32 v3, 0xffff0000, v3
	v_add_f32_e32 v1, v1, v15
	v_add_f32_e32 v2, v2, v4
	v_lshlrev_b32_e32 v4, 16, v5
	v_and_b32_e32 v5, 0xffff0000, v5
	v_and_b32_e32 v14, 0xffff0000, v14
	;; [unrolled: 1-line block ×3, first 2 shown]
	v_add_f32_e32 v3, v3, v5
	s_waitcnt lgkmcnt(0)
	v_lshlrev_b32_e32 v5, 16, v6
	v_and_b32_e32 v2, 0xffff0000, v2
	v_add_f32_e32 v4, v14, v4
	v_add_f32_e32 v1, v1, v5
	v_and_b32_e32 v5, 0xffff0000, v6
	v_and_b32_e32 v4, 0xffff0000, v4
	v_add_f32_e32 v2, v2, v5
	v_lshlrev_b32_e32 v5, 16, v7
	s_add_u32 s2, s22, s2
	v_and_b32_e32 v3, 0xffff0000, v3
	v_add_f32_e32 v4, v4, v5
	v_and_b32_e32 v5, 0xffff0000, v7
	s_addc_u32 s3, s23, s3
	s_lshl_b32 s0, s20, 7
	v_and_b32_e32 v1, 0xffff0000, v1
	v_add_f32_e32 v3, v3, v5
	v_lshlrev_b32_e32 v5, 16, v8
	s_lshl_b64 s[0:1], s[0:1], 1
	v_and_b32_e32 v2, 0xffff0000, v2
	v_add_f32_e32 v14, v1, v5
	v_and_b32_e32 v1, 0xffff0000, v8
	s_add_u32 s0, s2, s0
	v_and_b32_e32 v4, 0xffff0000, v4
	v_add_f32_e32 v15, v2, v1
	v_lshlrev_b32_e32 v1, 16, v9
	s_addc_u32 s1, s3, s1
	s_lshl_b32 s2, s40, 7
	v_and_b32_e32 v3, 0xffff0000, v3
	v_add_f32_e32 v16, v4, v1
	v_and_b32_e32 v1, 0xffff0000, v9
	s_mul_i32 s3, s2, s33
	v_add_f32_e32 v17, v3, v1
	v_or_b32_e32 v2, s3, v0
	v_mov_b32_e32 v3, 0
	s_add_i32 s3, s3, s2
	v_lshl_add_u64 v[4:5], v[2:3], 1, s[0:1]
	v_or_b32_e32 v2, s3, v0
	s_add_i32 s3, s3, s2
	v_lshl_add_u64 v[6:7], v[2:3], 1, s[0:1]
	v_or_b32_e32 v2, s3, v0
	;; [unrolled: 3-line block ×3, first 2 shown]
	v_lshl_add_u64 v[0:1], v[2:3], 1, s[0:1]
	global_store_short_d16_hi v[4:5], v10, off
	global_store_short_d16_hi v[6:7], v11, off
	;; [unrolled: 1-line block ×4, first 2 shown]
	global_store_short_d16_hi v[4:5], v14, off offset:128
	global_store_short_d16_hi v[6:7], v15, off offset:128
	;; [unrolled: 1-line block ×4, first 2 shown]
.LBB691_19:
	s_endpgm
.LBB691_20:
	s_mov_b64 s[12:13], 0
                                        ; implicit-def: $sgpr34_sgpr35
	s_branch .LBB691_2
	.section	.rodata,"a",@progbits
	.p2align	6, 0x0
	.amdhsa_kernel _Z38paged_attention_ll4mi_QKV_mfma4_kernelI14__hip_bfloat16S0_LN4vllm18Fp8KVCacheDataTypeE0EhLi32ELi128ELi256ELb1ELi4EEvPKT_PKT0_S8_ifPKiSA_SA_iPKfiiiPfSD_PS3_PT2_iSC_SC_
		.amdhsa_group_segment_fixed_size 5280
		.amdhsa_private_segment_fixed_size 0
		.amdhsa_kernarg_size 400
		.amdhsa_user_sgpr_count 2
		.amdhsa_user_sgpr_dispatch_ptr 0
		.amdhsa_user_sgpr_queue_ptr 0
		.amdhsa_user_sgpr_kernarg_segment_ptr 1
		.amdhsa_user_sgpr_dispatch_id 0
		.amdhsa_user_sgpr_kernarg_preload_length 0
		.amdhsa_user_sgpr_kernarg_preload_offset 0
		.amdhsa_user_sgpr_private_segment_size 0
		.amdhsa_uses_dynamic_stack 0
		.amdhsa_enable_private_segment 0
		.amdhsa_system_sgpr_workgroup_id_x 1
		.amdhsa_system_sgpr_workgroup_id_y 1
		.amdhsa_system_sgpr_workgroup_id_z 1
		.amdhsa_system_sgpr_workgroup_info 0
		.amdhsa_system_vgpr_workitem_id 0
		.amdhsa_next_free_vgpr 104
		.amdhsa_next_free_sgpr 41
		.amdhsa_accum_offset 96
		.amdhsa_reserve_vcc 1
		.amdhsa_float_round_mode_32 0
		.amdhsa_float_round_mode_16_64 0
		.amdhsa_float_denorm_mode_32 3
		.amdhsa_float_denorm_mode_16_64 3
		.amdhsa_dx10_clamp 1
		.amdhsa_ieee_mode 1
		.amdhsa_fp16_overflow 0
		.amdhsa_tg_split 0
		.amdhsa_exception_fp_ieee_invalid_op 0
		.amdhsa_exception_fp_denorm_src 0
		.amdhsa_exception_fp_ieee_div_zero 0
		.amdhsa_exception_fp_ieee_overflow 0
		.amdhsa_exception_fp_ieee_underflow 0
		.amdhsa_exception_fp_ieee_inexact 0
		.amdhsa_exception_int_div_zero 0
	.end_amdhsa_kernel
	.section	.text._Z38paged_attention_ll4mi_QKV_mfma4_kernelI14__hip_bfloat16S0_LN4vllm18Fp8KVCacheDataTypeE0EhLi32ELi128ELi256ELb1ELi4EEvPKT_PKT0_S8_ifPKiSA_SA_iPKfiiiPfSD_PS3_PT2_iSC_SC_,"axG",@progbits,_Z38paged_attention_ll4mi_QKV_mfma4_kernelI14__hip_bfloat16S0_LN4vllm18Fp8KVCacheDataTypeE0EhLi32ELi128ELi256ELb1ELi4EEvPKT_PKT0_S8_ifPKiSA_SA_iPKfiiiPfSD_PS3_PT2_iSC_SC_,comdat
.Lfunc_end691:
	.size	_Z38paged_attention_ll4mi_QKV_mfma4_kernelI14__hip_bfloat16S0_LN4vllm18Fp8KVCacheDataTypeE0EhLi32ELi128ELi256ELb1ELi4EEvPKT_PKT0_S8_ifPKiSA_SA_iPKfiiiPfSD_PS3_PT2_iSC_SC_, .Lfunc_end691-_Z38paged_attention_ll4mi_QKV_mfma4_kernelI14__hip_bfloat16S0_LN4vllm18Fp8KVCacheDataTypeE0EhLi32ELi128ELi256ELb1ELi4EEvPKT_PKT0_S8_ifPKiSA_SA_iPKfiiiPfSD_PS3_PT2_iSC_SC_
                                        ; -- End function
	.section	.AMDGPU.csdata,"",@progbits
; Kernel info:
; codeLenInByte = 4532
; NumSgprs: 47
; NumVgprs: 94
; NumAgprs: 8
; TotalNumVgprs: 104
; ScratchSize: 0
; MemoryBound: 0
; FloatMode: 240
; IeeeMode: 1
; LDSByteSize: 5280 bytes/workgroup (compile time only)
; SGPRBlocks: 5
; VGPRBlocks: 12
; NumSGPRsForWavesPerEU: 47
; NumVGPRsForWavesPerEU: 104
; AccumOffset: 96
; Occupancy: 4
; WaveLimiterHint : 1
; COMPUTE_PGM_RSRC2:SCRATCH_EN: 0
; COMPUTE_PGM_RSRC2:USER_SGPR: 2
; COMPUTE_PGM_RSRC2:TRAP_HANDLER: 0
; COMPUTE_PGM_RSRC2:TGID_X_EN: 1
; COMPUTE_PGM_RSRC2:TGID_Y_EN: 1
; COMPUTE_PGM_RSRC2:TGID_Z_EN: 1
; COMPUTE_PGM_RSRC2:TIDIG_COMP_CNT: 0
; COMPUTE_PGM_RSRC3_GFX90A:ACCUM_OFFSET: 23
; COMPUTE_PGM_RSRC3_GFX90A:TG_SPLIT: 0
	.section	.text._Z39paged_attention_ll4mi_QKV_mfma16_kernelI14__hip_bfloat16S0_LN4vllm18Fp8KVCacheDataTypeE0EhLi32ELi128ELi256ELb1ELi5EEvPKT_PKT0_S8_ifPKiSA_SA_iPKfiiiPfSD_PS3_PT2_iSC_SC_,"axG",@progbits,_Z39paged_attention_ll4mi_QKV_mfma16_kernelI14__hip_bfloat16S0_LN4vllm18Fp8KVCacheDataTypeE0EhLi32ELi128ELi256ELb1ELi5EEvPKT_PKT0_S8_ifPKiSA_SA_iPKfiiiPfSD_PS3_PT2_iSC_SC_,comdat
	.protected	_Z39paged_attention_ll4mi_QKV_mfma16_kernelI14__hip_bfloat16S0_LN4vllm18Fp8KVCacheDataTypeE0EhLi32ELi128ELi256ELb1ELi5EEvPKT_PKT0_S8_ifPKiSA_SA_iPKfiiiPfSD_PS3_PT2_iSC_SC_ ; -- Begin function _Z39paged_attention_ll4mi_QKV_mfma16_kernelI14__hip_bfloat16S0_LN4vllm18Fp8KVCacheDataTypeE0EhLi32ELi128ELi256ELb1ELi5EEvPKT_PKT0_S8_ifPKiSA_SA_iPKfiiiPfSD_PS3_PT2_iSC_SC_
	.globl	_Z39paged_attention_ll4mi_QKV_mfma16_kernelI14__hip_bfloat16S0_LN4vllm18Fp8KVCacheDataTypeE0EhLi32ELi128ELi256ELb1ELi5EEvPKT_PKT0_S8_ifPKiSA_SA_iPKfiiiPfSD_PS3_PT2_iSC_SC_
	.p2align	8
	.type	_Z39paged_attention_ll4mi_QKV_mfma16_kernelI14__hip_bfloat16S0_LN4vllm18Fp8KVCacheDataTypeE0EhLi32ELi128ELi256ELb1ELi5EEvPKT_PKT0_S8_ifPKiSA_SA_iPKfiiiPfSD_PS3_PT2_iSC_SC_,@function
_Z39paged_attention_ll4mi_QKV_mfma16_kernelI14__hip_bfloat16S0_LN4vllm18Fp8KVCacheDataTypeE0EhLi32ELi128ELi256ELb1ELi5EEvPKT_PKT0_S8_ifPKiSA_SA_iPKfiiiPfSD_PS3_PT2_iSC_SC_: ; @_Z39paged_attention_ll4mi_QKV_mfma16_kernelI14__hip_bfloat16S0_LN4vllm18Fp8KVCacheDataTypeE0EhLi32ELi128ELi256ELb1ELi5EEvPKT_PKT0_S8_ifPKiSA_SA_iPKfiiiPfSD_PS3_PT2_iSC_SC_
; %bb.0:
	s_load_dwordx2 s[8:9], s[0:1], 0x30
	s_mov_b32 s26, s3
	s_mov_b64 s[6:7], 0
	s_waitcnt lgkmcnt(0)
	s_cmp_lg_u64 s[8:9], 0
	s_cselect_b64 s[10:11], -1, 0
	s_and_b64 vcc, exec, s[10:11]
	s_cbranch_vccz .LBB692_7
; %bb.1:
	s_add_i32 s12, s2, 1
	s_mov_b32 s13, 0
	s_lshl_b64 s[14:15], s[12:13], 2
	s_add_u32 s14, s8, s14
	s_mov_b32 s3, s13
	s_addc_u32 s15, s9, s15
	s_lshl_b64 s[12:13], s[2:3], 2
	s_add_u32 s12, s8, s12
	s_addc_u32 s13, s9, s13
	s_load_dword s5, s[14:15], 0x0
	s_load_dword s16, s[12:13], 0x0
	s_waitcnt lgkmcnt(0)
	s_sub_i32 s5, s5, s16
	s_cmp_eq_u32 s5, 1
	s_cselect_b64 s[12:13], -1, 0
	s_andn2_b64 vcc, exec, s[6:7]
	s_cbranch_vccnz .LBB692_3
.LBB692_2:
	s_mov_b32 s3, 0
	s_mov_b64 s[12:13], -1
.LBB692_3:
	s_andn2_b64 vcc, exec, s[12:13]
	s_cbranch_vccnz .LBB692_22
; %bb.4:
	s_load_dwordx2 s[6:7], s[0:1], 0x28
	s_lshl_b64 s[12:13], s[2:3], 2
	s_waitcnt lgkmcnt(0)
	s_add_u32 s6, s6, s12
	s_addc_u32 s7, s7, s13
	s_load_dword s27, s[6:7], 0x0
	s_lshl_b32 s18, s26, 8
	s_waitcnt lgkmcnt(0)
	s_cmp_ge_i32 s18, s27
	s_cbranch_scc1 .LBB692_22
; %bb.5:
	s_load_dwordx2 s[6:7], s[0:1], 0x20
	s_load_dword s5, s[0:1], 0x38
	s_add_i32 s14, s27, 31
	s_ashr_i32 s15, s14, 31
	v_and_b32_e32 v1, 0xcf, v0
	s_lshr_b32 s15, s15, 27
	v_add_u32_e32 v1, s18, v1
	s_add_i32 s14, s14, s15
	v_ashrrev_i32_e32 v2, 31, v1
	s_ashr_i32 s19, s14, 5
	v_lshrrev_b32_e32 v4, 27, v2
	s_add_i32 s19, s19, -1
	s_waitcnt lgkmcnt(0)
	s_mul_i32 s14, s2, s5
	s_mov_b32 s15, 0
	v_add_u32_e32 v2, v1, v4
	s_lshl_b64 s[14:15], s[14:15], 2
	v_ashrrev_i32_e32 v2, 5, v2
	v_mov_b32_e32 v5, s19
	v_cmp_gt_i32_e32 vcc, s27, v1
	s_add_u32 s6, s6, s14
	s_addc_u32 s7, s7, s15
	v_cndmask_b32_e32 v2, v5, v2, vcc
	v_ashrrev_i32_e32 v3, 31, v2
	v_lshl_add_u64 v[6:7], v[2:3], 2, s[6:7]
	v_or_b32_e32 v2, 16, v1
	v_add_u32_e32 v3, v2, v4
	v_ashrrev_i32_e32 v3, 5, v3
	v_cmp_gt_i32_e32 vcc, s27, v2
	s_nop 1
	v_cndmask_b32_e32 v2, v5, v3, vcc
	v_ashrrev_i32_e32 v3, 31, v2
	v_lshl_add_u64 v[8:9], v[2:3], 2, s[6:7]
	v_or_b32_e32 v2, 32, v1
	v_add_u32_e32 v3, v2, v4
	v_ashrrev_i32_e32 v3, 5, v3
	v_cmp_gt_i32_e32 vcc, s27, v2
	v_or_b32_e32 v1, 48, v1
	s_nop 0
	v_cndmask_b32_e32 v2, v5, v3, vcc
	v_ashrrev_i32_e32 v3, 31, v2
	v_lshl_add_u64 v[10:11], v[2:3], 2, s[6:7]
	v_add_u32_e32 v2, v1, v4
	v_ashrrev_i32_e32 v2, 5, v2
	v_cmp_gt_i32_e32 vcc, s27, v1
	s_nop 1
	v_cndmask_b32_e32 v2, v5, v2, vcc
	v_ashrrev_i32_e32 v3, 31, v2
	v_lshl_add_u64 v[12:13], v[2:3], 2, s[6:7]
	global_load_dword v5, v[6:7], off
	global_load_dword v4, v[8:9], off
	;; [unrolled: 1-line block ×4, first 2 shown]
	s_andn2_b64 vcc, exec, s[10:11]
	s_cbranch_vccnz .LBB692_8
; %bb.6:
	s_add_u32 s8, s8, s12
	s_addc_u32 s9, s9, s13
	s_load_dword s5, s[8:9], 0x0
	s_branch .LBB692_9
.LBB692_7:
	s_mov_b64 s[12:13], 0
	s_branch .LBB692_2
.LBB692_8:
	s_mov_b32 s5, s2
.LBB692_9:
	s_load_dwordx2 s[14:15], s[0:1], 0x8
	s_load_dwordx4 s[8:11], s[0:1], 0x48
	v_lshrrev_b32_e32 v88, 6, v0
	v_bfe_u32 v1, v0, 4, 2
	v_lshl_or_b32 v6, v88, 2, v1
	v_and_b32_e32 v84, 15, v0
	v_lshlrev_b32_e32 v82, 3, v84
	v_cmp_lt_u32_e32 vcc, 4, v6
	s_and_saveexec_b64 s[12:13], vcc
	s_xor_b64 s[12:13], exec, s[12:13]
; %bb.10:
	v_mov_b32_e32 v83, 0
                                        ; implicit-def: $vgpr6
; %bb.11:
	s_or_saveexec_b64 s[16:17], s[12:13]
	s_load_dwordx2 s[12:13], s[0:1], 0x10
	s_mul_i32 s40, s4, 5
	s_xor_b64 exec, exec, s[16:17]
	s_cbranch_execz .LBB692_13
; %bb.12:
	s_load_dwordx2 s[20:21], s[0:1], 0x0
	s_waitcnt lgkmcnt(0)
	s_ashr_i32 s11, s8, 31
	s_mul_hi_u32 s22, s5, s8
	s_mul_i32 s11, s5, s11
	s_add_i32 s23, s22, s11
	s_mul_i32 s22, s5, s8
	s_lshl_b64 s[22:23], s[22:23], 1
	s_add_u32 s20, s20, s22
	v_add_lshl_u32 v8, v6, s40, 7
	s_addc_u32 s21, s21, s23
	v_ashrrev_i32_e32 v9, 31, v8
	v_mov_b32_e32 v83, 0
	v_lshl_add_u64 v[8:9], v[8:9], 1, s[20:21]
	v_lshlrev_b32_e32 v10, 1, v82
	v_mov_b32_e32 v11, v83
	v_lshl_add_u64 v[8:9], v[8:9], 0, v[10:11]
	global_load_dwordx4 v[8:11], v[8:9], off
	v_and_b32_e32 v7, 3, v0
	v_lshlrev_b32_e32 v12, 9, v84
	v_lshlrev_b32_e32 v6, 5, v6
	;; [unrolled: 1-line block ×3, first 2 shown]
	v_and_b32_e32 v12, 0x1800, v12
	v_or3_b32 v6, v12, v7, v6
	s_waitcnt vmcnt(0)
	ds_write_b128 v6, v[8:11]
.LBB692_13:
	s_or_b64 exec, exec, s[16:17]
	s_waitcnt lgkmcnt(0)
	s_mul_i32 s4, s4, s10
	s_mov_b32 s5, 0
	s_lshl_b64 s[4:5], s[4:5], 1
	s_add_u32 s10, s14, s4
	s_addc_u32 s11, s15, s5
	s_waitcnt vmcnt(3)
	v_mad_i64_i32 v[6:7], s[14:15], v5, s9, 0
	v_lshl_add_u64 v[6:7], v[6:7], 1, s[10:11]
	v_lshlrev_b64 v[8:9], 1, v[82:83]
	v_lshlrev_b32_e32 v86, 9, v1
	v_lshl_add_u64 v[6:7], v[6:7], 0, v[8:9]
	v_mov_b32_e32 v87, 0
	v_lshl_add_u64 v[10:11], v[6:7], 0, v[86:87]
	v_or_b32_e32 v14, 0x1000, v86
	v_mov_b32_e32 v15, v87
	v_or_b32_e32 v16, 0x1800, v86
	v_mov_b32_e32 v17, v87
	s_barrier
	global_load_dwordx4 v[66:69], v[10:11], off
	global_load_dwordx4 v[62:65], v[10:11], off offset:2048
	v_lshl_add_u64 v[10:11], v[6:7], 0, v[14:15]
	v_lshl_add_u64 v[6:7], v[6:7], 0, v[16:17]
	global_load_dwordx4 v[78:81], v[10:11], off
	global_load_dwordx4 v[74:77], v[6:7], off
	s_waitcnt vmcnt(6)
	v_mad_i64_i32 v[4:5], s[14:15], v4, s9, 0
	v_mov_b32_e32 v6, 0x100
	v_lshl_add_u64 v[4:5], v[4:5], 1, s[10:11]
	v_lshl_or_b32 v6, v84, 4, v6
	v_mov_b32_e32 v7, v87
	v_lshl_add_u64 v[4:5], v[4:5], 0, v[6:7]
	v_lshl_add_u64 v[10:11], v[4:5], 0, v[86:87]
	global_load_dwordx4 v[70:73], v[10:11], off
	global_load_dwordx4 v[58:61], v[10:11], off offset:2048
	v_lshl_add_u64 v[10:11], v[4:5], 0, v[14:15]
	v_lshl_add_u64 v[4:5], v[4:5], 0, v[16:17]
	global_load_dwordx4 v[54:57], v[10:11], off
	global_load_dwordx4 v[30:33], v[4:5], off
	s_waitcnt vmcnt(9)
	v_mad_i64_i32 v[4:5], s[14:15], v3, s9, 0
	v_lshl_add_u64 v[4:5], v[4:5], 1, s[10:11]
	s_waitcnt vmcnt(8)
	v_mad_i64_i32 v[2:3], s[14:15], v2, s9, 0
	v_lshl_add_u64 v[4:5], v[4:5], 0, v[8:9]
	v_lshl_add_u64 v[2:3], v[2:3], 1, s[10:11]
	v_lshl_add_u64 v[8:9], v[4:5], 0, v[86:87]
	v_lshl_add_u64 v[34:35], v[2:3], 0, v[6:7]
	global_load_dwordx4 v[26:29], v[8:9], off
	global_load_dwordx4 v[22:25], v[8:9], off offset:2048
	v_lshl_add_u64 v[8:9], v[4:5], 0, v[14:15]
	v_lshl_add_u64 v[4:5], v[4:5], 0, v[16:17]
	;; [unrolled: 1-line block ×4, first 2 shown]
	global_load_dwordx4 v[18:21], v[8:9], off
	global_load_dwordx4 v[10:13], v[4:5], off
	s_nop 0
	global_load_dwordx4 v[6:9], v[2:3], off
	s_nop 0
	global_load_dwordx4 v[2:5], v[2:3], off offset:2048
	v_lshl_add_u64 v[16:17], v[34:35], 0, v[16:17]
	global_load_dwordx4 v[38:41], v[14:15], off
	global_load_dwordx4 v[34:37], v[16:17], off
	v_mul_lo_u16_e32 v14, 52, v84
	v_mov_b32_e32 v15, 5
	v_mul_lo_u16_sdwa v14, v14, v15 dst_sel:DWORD dst_unused:UNUSED_PAD src0_sel:BYTE_1 src1_sel:DWORD
	v_sub_u16_e32 v14, v84, v14
	v_and_b32_e32 v14, 0xff, v14
	v_lshl_add_u32 v42, v14, 5, v86
	ds_read_b128 v[14:17], v42
	ds_read_b128 v[50:53], v42 offset:2048
	ds_read_b128 v[46:49], v42 offset:4096
	;; [unrolled: 1-line block ×3, first 2 shown]
	v_and_b32_e32 v85, 63, v0
	v_cmp_gt_u32_e32 vcc, 5, v84
	v_mov_b32_e32 v89, 0
	s_and_saveexec_b64 s[10:11], vcc
	s_cbranch_execz .LBB692_15
; %bb.14:
	s_load_dwordx2 s[14:15], s[0:1], 0x40
	v_add_u32_e32 v90, s40, v84
	v_ashrrev_i32_e32 v91, 31, v90
	s_waitcnt lgkmcnt(0)
	v_lshl_add_u64 v[90:91], v[90:91], 2, s[14:15]
	global_load_dword v89, v[90:91], off
.LBB692_15:
	s_or_b64 exec, exec, s[10:11]
	s_waitcnt vmcnt(15) lgkmcnt(3)
	v_mfma_f32_16x16x16_bf16 v[90:93], v[66:67], v[14:15], 0
	s_ashr_i32 s8, s18, 31
	s_lshr_b32 s8, s8, 27
	s_add_u32 s4, s12, s4
	v_mfma_f32_16x16x16_bf16 v[66:69], v[68:69], v[16:17], v[90:93]
	s_addc_u32 s5, s13, s5
	s_mov_b32 s33, 0xff7fffff
	s_waitcnt vmcnt(14) lgkmcnt(2)
	v_mfma_f32_16x16x16_bf16 v[66:69], v[62:63], v[50:51], v[66:69]
	v_lshl_or_b32 v90, v88, 4, v84
	v_mfma_f32_16x16x16_bf16 v[62:65], v[64:65], v[52:53], v[66:69]
	s_waitcnt vmcnt(13) lgkmcnt(1)
	v_mfma_f32_16x16x16_bf16 v[62:65], v[78:79], v[46:47], v[62:65]
	v_mfma_f32_16x16x16_bf16 v[62:65], v[80:81], v[48:49], v[62:65]
	s_waitcnt vmcnt(12) lgkmcnt(0)
	v_mfma_f32_16x16x16_bf16 v[62:65], v[74:75], v[42:43], v[62:65]
	v_and_or_b32 v74, v0, 48, s18
	v_add_u32_e32 v66, s8, v74
	v_ashrrev_i32_e32 v75, 5, v66
	s_waitcnt vmcnt(11)
	v_mfma_f32_16x16x16_bf16 v[66:69], v[70:71], v[14:15], 0
	v_cmp_gt_i32_e32 vcc, s27, v74
	v_mfma_f32_16x16x16_bf16 v[66:69], v[72:73], v[16:17], v[66:69]
	v_or_b32_e32 v72, 64, v74
	v_add_u32_e32 v73, s8, v72
	s_waitcnt vmcnt(10)
	v_mfma_f32_16x16x16_bf16 v[66:69], v[58:59], v[50:51], v[66:69]
	v_ashrrev_i32_e32 v58, 5, v73
	v_mfma_f32_16x16x16_bf16 v[62:65], v[76:77], v[44:45], v[62:65]
	v_mov_b32_e32 v76, s19
	v_cndmask_b32_e32 v70, v76, v75, vcc
	v_cmp_gt_i32_e32 vcc, s27, v72
	v_ashrrev_i32_e32 v71, 31, v70
	v_lshl_add_u64 v[70:71], v[70:71], 2, s[6:7]
	v_cndmask_b32_e32 v72, v76, v58, vcc
	v_mfma_f32_16x16x16_bf16 v[58:61], v[60:61], v[52:53], v[66:69]
	v_ashrrev_i32_e32 v73, 31, v72
	s_waitcnt vmcnt(9)
	v_mfma_f32_16x16x16_bf16 v[58:61], v[54:55], v[46:47], v[58:61]
	v_lshl_add_u64 v[66:67], v[72:73], 2, s[6:7]
	global_load_dword v68, v[70:71], off
	s_nop 0
	global_load_dword v66, v[66:67], off
	v_or_b32_e32 v67, 0x80, v74
	v_add_u32_e32 v69, s8, v67
	v_mfma_f32_16x16x16_bf16 v[54:57], v[56:57], v[48:49], v[58:61]
	v_cmp_gt_i32_e32 vcc, s27, v67
	s_nop 1
	v_ashrrev_i32_e32 v58, 5, v69
	v_cndmask_b32_e32 v58, v76, v58, vcc
	v_ashrrev_i32_e32 v59, 31, v58
	s_waitcnt vmcnt(10)
	v_mfma_f32_16x16x16_bf16 v[54:57], v[30:31], v[42:43], v[54:57]
	v_lshl_add_u64 v[30:31], v[58:59], 2, s[6:7]
	global_load_dword v70, v[30:31], off
	v_mfma_f32_16x16x16_bf16 v[58:61], v[32:33], v[44:45], v[54:57]
	s_nop 3
	v_or_b32_e32 v54, 0xc0, v74
	v_add_u32_e32 v30, s8, v54
	v_ashrrev_i32_e32 v55, 5, v30
	v_cmp_gt_i32_e32 vcc, s27, v54
	s_waitcnt vmcnt(10)
	v_mfma_f32_16x16x16_bf16 v[30:33], v[26:27], v[14:15], 0
	v_cndmask_b32_e32 v26, v76, v55, vcc
	v_ashrrev_i32_e32 v27, 31, v26
	v_lshl_add_u64 v[54:55], v[26:27], 2, s[6:7]
	global_load_dword v71, v[54:55], off
	v_mfma_f32_16x16x16_bf16 v[26:29], v[28:29], v[16:17], v[30:33]
	s_load_dword s6, s[0:1], 0x1c
	s_waitcnt vmcnt(10)
	v_mfma_f32_16x16x16_bf16 v[26:29], v[22:23], v[50:51], v[26:29]
	v_and_b32_e32 v30, 16, v0
	v_lshlrev_b32_e32 v86, 1, v30
	v_lshl_add_u64 v[74:75], s[4:5], 0, v[86:87]
	v_mfma_f32_16x16x16_bf16 v[22:25], v[24:25], v[52:53], v[26:29]
	v_lshlrev_b32_e32 v86, 6, v90
	v_lshl_add_u64 v[76:77], v[74:75], 0, v[86:87]
	v_or_b32_e32 v86, 0x1000, v86
	s_waitcnt vmcnt(9)
	v_mfma_f32_16x16x16_bf16 v[22:25], v[18:19], v[46:47], v[22:25]
	v_lshl_add_u64 v[80:81], v[74:75], 0, v[86:87]
	s_waitcnt lgkmcnt(0)
	v_pk_mul_f32 v[74:75], s[6:7], v[60:61] op_sel_hi:[0,1]
	v_mfma_f32_16x16x16_bf16 v[18:21], v[20:21], v[48:49], v[22:25]
	s_waitcnt vmcnt(8)
	v_mfma_f32_16x16x16_bf16 v[18:21], v[10:11], v[42:43], v[18:21]
	s_waitcnt vmcnt(3)
	v_mad_i64_i32 v[22:23], s[4:5], v68, s9, 0
	s_waitcnt vmcnt(2)
	v_mad_i64_i32 v[10:11], s[4:5], v66, s9, 0
	v_lshlrev_b64 v[78:79], 1, v[22:23]
	v_lshlrev_b64 v[54:55], 1, v[10:11]
	v_lshl_add_u64 v[22:23], v[76:77], 0, v[78:79]
	v_lshl_add_u64 v[10:11], v[76:77], 0, v[54:55]
	global_load_dwordx4 v[30:33], v[22:23], off
	global_load_dwordx4 v[26:29], v[22:23], off offset:16
	v_mfma_f32_16x16x16_bf16 v[66:69], v[12:13], v[44:45], v[18:21]
	global_load_dwordx4 v[22:25], v[10:11], off
	s_nop 1
	global_load_dwordx4 v[18:21], v[10:11], off offset:16
	v_mfma_f32_16x16x16_bf16 v[10:13], v[6:7], v[14:15], 0
	s_waitcnt vmcnt(5)
	v_mad_i64_i32 v[6:7], s[4:5], v70, s9, 0
	v_lshlrev_b64 v[56:57], 1, v[6:7]
	v_mfma_f32_16x16x16_bf16 v[6:9], v[8:9], v[16:17], v[10:13]
	v_mfma_f32_16x16x16_bf16 v[6:9], v[2:3], v[50:51], v[6:9]
	s_nop 1
	v_lshl_add_u64 v[10:11], v[76:77], 0, v[56:57]
	global_load_dwordx4 v[14:17], v[10:11], off
	s_nop 0
	global_load_dwordx4 v[10:13], v[10:11], off offset:16
	s_waitcnt vmcnt(6)
	v_mad_i64_i32 v[2:3], s[4:5], v71, s9, 0
	v_mfma_f32_16x16x16_bf16 v[70:73], v[4:5], v[52:53], v[6:9]
	v_pk_mul_f32 v[52:53], s[6:7], v[62:63] op_sel_hi:[0,1]
	v_lshlrev_b64 v[50:51], 1, v[2:3]
	v_lshl_add_u64 v[2:3], v[76:77], 0, v[50:51]
	v_mfma_f32_16x16x16_bf16 v[70:73], v[38:39], v[46:47], v[70:73]
	v_lshl_add_u64 v[38:39], v[80:81], 0, v[78:79]
	v_pk_mul_f32 v[78:79], s[6:7], v[64:65] op_sel_hi:[0,1]
	v_pk_mul_f32 v[76:77], s[6:7], v[58:59] op_sel_hi:[0,1]
	v_mfma_f32_16x16x16_bf16 v[46:49], v[40:41], v[48:49], v[70:73]
	v_lshl_add_u64 v[50:51], v[80:81], 0, v[50:51]
	global_load_dwordx4 v[6:9], v[2:3], off
	s_nop 0
	global_load_dwordx4 v[2:5], v[2:3], off offset:16
	v_pk_mul_f32 v[70:71], s[6:7], v[68:69] op_sel_hi:[0,1]
	v_mfma_f32_16x16x16_bf16 v[40:43], v[34:35], v[42:43], v[46:49]
	v_pk_mul_f32 v[72:73], s[6:7], v[66:67] op_sel_hi:[0,1]
	v_mfma_f32_16x16x16_bf16 v[34:37], v[36:37], v[44:45], v[40:43]
	s_nop 6
	v_pk_mul_f32 v[68:69], s[6:7], v[34:35] op_sel_hi:[0,1]
	v_and_b32_e32 v34, 0xc0, v0
	v_add_u32_e32 v34, s18, v34
	v_lshl_or_b32 v34, v1, 2, v34
	v_or_b32_e32 v35, 1, v34
	v_pk_mul_f32 v[66:67], s[6:7], v[36:37] op_sel_hi:[0,1]
	v_subrev_u32_e32 v36, s27, v35
	v_add_u32_e32 v40, 1, v36
	v_add_u32_e32 v41, 2, v36
	v_cvt_f32_i32_e32 v37, v36
	v_cvt_f32_i32_e32 v40, v40
	;; [unrolled: 1-line block ×3, first 2 shown]
	v_add_u32_e32 v42, 3, v36
	v_fma_f32 v52, v89, v37, v52
	v_fmac_f32_e32 v53, v89, v40
	v_fma_f32 v78, v89, v41, v78
	v_add_u32_e32 v37, 16, v36
	v_add_u32_e32 v40, 17, v36
	v_add_u32_e32 v41, 18, v36
	v_cvt_f32_i32_e32 v42, v42
	v_cvt_f32_i32_e32 v37, v37
	;; [unrolled: 1-line block ×4, first 2 shown]
	v_fmac_f32_e32 v79, v89, v42
	v_add_u32_e32 v42, 19, v36
	v_fma_f32 v76, v89, v37, v76
	v_fmac_f32_e32 v77, v89, v40
	v_fma_f32 v74, v89, v41, v74
	v_add_u32_e32 v37, 32, v36
	v_add_u32_e32 v40, 33, v36
	;; [unrolled: 1-line block ×3, first 2 shown]
	v_cvt_f32_i32_e32 v42, v42
	v_cvt_f32_i32_e32 v37, v37
	;; [unrolled: 1-line block ×4, first 2 shown]
	v_fmac_f32_e32 v75, v89, v42
	v_add_u32_e32 v42, 35, v36
	v_fma_f32 v72, v89, v37, v72
	v_fmac_f32_e32 v73, v89, v40
	v_fma_f32 v70, v89, v41, v70
	v_add_u32_e32 v37, 48, v36
	v_add_u32_e32 v40, 49, v36
	;; [unrolled: 1-line block ×4, first 2 shown]
	v_cvt_f32_i32_e32 v36, v36
	v_cvt_f32_i32_e32 v37, v37
	;; [unrolled: 1-line block ×3, first 2 shown]
	v_cmp_gt_i32_e64 s[28:29], s27, v34
	v_fmac_f32_e32 v67, v89, v36
	v_mov_b32_e32 v36, 0xff7fffff
	v_cmp_gt_i32_e64 s[30:31], s27, v35
	v_fma_f32 v68, v89, v37, v68
	v_cndmask_b32_e64 v37, v36, v52, s[28:29]
	v_cndmask_b32_e64 v35, v36, v53, s[30:31]
	v_fmac_f32_e32 v69, v89, v40
	v_max3_f32 v35, v37, s33, v35
	v_or_b32_e32 v37, 2, v34
	v_or_b32_e32 v40, 3, v34
	v_cmp_gt_i32_e64 s[34:35], s27, v37
	v_cmp_gt_i32_e64 s[36:37], s27, v40
	v_cvt_f32_i32_e32 v42, v42
	v_cndmask_b32_e64 v37, v36, v78, s[34:35]
	v_cndmask_b32_e64 v40, v36, v79, s[36:37]
	v_max3_f32 v35, v35, v37, v40
	v_or_b32_e32 v37, 16, v34
	v_or_b32_e32 v40, 17, v34
	v_cmp_gt_i32_e64 s[22:23], s27, v37
	v_cmp_gt_i32_e64 s[24:25], s27, v40
	v_fmac_f32_e32 v71, v89, v42
	v_cndmask_b32_e64 v37, v36, v76, s[22:23]
	v_cndmask_b32_e64 v40, v36, v77, s[24:25]
	v_max3_f32 v35, v35, v37, v40
	v_or_b32_e32 v37, 18, v34
	v_or_b32_e32 v40, 19, v34
	v_cmp_gt_i32_e64 s[18:19], s27, v37
	v_cmp_gt_i32_e64 s[20:21], s27, v40
	v_cvt_f32_i32_e32 v41, v41
	v_cndmask_b32_e64 v37, v36, v74, s[18:19]
	v_cndmask_b32_e64 v40, v36, v75, s[20:21]
	v_max3_f32 v35, v35, v37, v40
	v_or_b32_e32 v37, 32, v34
	v_or_b32_e32 v40, 33, v34
	v_cmp_gt_i32_e64 s[14:15], s27, v37
	v_cmp_gt_i32_e64 s[16:17], s27, v40
	v_fma_f32 v66, v89, v41, v66
	v_cndmask_b32_e64 v37, v36, v72, s[14:15]
	v_cndmask_b32_e64 v40, v36, v73, s[16:17]
	v_max3_f32 v35, v35, v37, v40
	v_or_b32_e32 v37, 34, v34
	v_or_b32_e32 v40, 35, v34
	v_cmp_gt_i32_e64 s[10:11], s27, v37
	v_cmp_gt_i32_e64 s[12:13], s27, v40
	s_nop 0
	v_cndmask_b32_e64 v37, v36, v70, s[10:11]
	v_cndmask_b32_e64 v40, v36, v71, s[12:13]
	v_max3_f32 v35, v35, v37, v40
	v_or_b32_e32 v37, 48, v34
	v_or_b32_e32 v40, 49, v34
	v_cmp_gt_i32_e64 s[6:7], s27, v37
	v_cmp_gt_i32_e64 s[8:9], s27, v40
	s_nop 0
	v_cndmask_b32_e64 v37, v36, v68, s[6:7]
	v_cndmask_b32_e64 v40, v36, v69, s[8:9]
	v_max3_f32 v35, v35, v37, v40
	v_or_b32_e32 v37, 50, v34
	v_or_b32_e32 v34, 51, v34
	v_cmp_gt_i32_e32 vcc, s27, v37
	v_cmp_gt_i32_e64 s[4:5], s27, v34
	global_load_dwordx4 v[46:49], v[38:39], off
	s_nop 0
	global_load_dwordx4 v[38:41], v[38:39], off offset:16
	v_cndmask_b32_e32 v37, v36, v66, vcc
	v_cndmask_b32_e64 v34, v36, v67, s[4:5]
	v_max3_f32 v58, v35, v37, v34
	v_mbcnt_lo_u32_b32 v34, -1, 0
	v_mbcnt_hi_u32_b32 v59, -1, v34
	v_and_b32_e32 v34, 64, v59
	v_add_u32_e32 v60, 64, v34
	v_xor_b32_e32 v34, 32, v59
	v_cmp_lt_i32_e64 s[38:39], v34, v60
	s_nop 1
	v_cndmask_b32_e64 v34, v59, v34, s[38:39]
	v_lshlrev_b32_e32 v87, 2, v34
	ds_bpermute_b32 v61, v87, v58
	v_lshl_add_u64 v[34:35], v[80:81], 0, v[54:55]
	global_load_dwordx4 v[42:45], v[34:35], off
	s_nop 0
	global_load_dwordx4 v[34:37], v[34:35], off offset:16
	s_waitcnt lgkmcnt(0)
	v_max_f32_e32 v54, v61, v61
	v_max_f32_e32 v62, v58, v54
	v_xor_b32_e32 v54, 16, v59
	v_cmp_lt_i32_e64 s[38:39], v54, v60
	s_nop 1
	v_cndmask_b32_e64 v54, v59, v54, s[38:39]
	v_lshlrev_b32_e32 v89, 2, v54
	ds_bpermute_b32 v63, v89, v62
	v_lshl_add_u64 v[54:55], v[80:81], 0, v[56:57]
	global_load_dwordx4 v[58:61], v[54:55], off
	s_nop 0
	global_load_dwordx4 v[54:57], v[54:55], off offset:16
	s_waitcnt lgkmcnt(0)
	v_max_f32_e32 v63, v63, v63
	v_max_f32_e32 v86, v62, v63
	v_sub_f32_e32 v52, v52, v86
	v_mul_f32_e32 v52, 0x3fb8aa3b, v52
	v_exp_f32_e32 v80, v52
	v_sub_f32_e32 v52, v53, v86
	v_mul_f32_e32 v52, 0x3fb8aa3b, v52
	v_exp_f32_e32 v81, v52
	global_load_dwordx4 v[62:65], v[50:51], off
	s_nop 0
	global_load_dwordx4 v[50:53], v[50:51], off offset:16
	v_sub_f32_e32 v78, v78, v86
	v_mul_f32_e32 v78, 0x3fb8aa3b, v78
	v_sub_f32_e32 v79, v79, v86
	v_exp_f32_e32 v78, v78
	v_mul_f32_e32 v79, 0x3fb8aa3b, v79
	v_sub_f32_e32 v76, v76, v86
	v_exp_f32_e32 v79, v79
	v_mul_f32_e32 v76, 0x3fb8aa3b, v76
	v_sub_f32_e32 v77, v77, v86
	v_cndmask_b32_e64 v80, 0, v80, s[28:29]
	v_exp_f32_e32 v76, v76
	v_mul_f32_e32 v77, 0x3fb8aa3b, v77
	v_sub_f32_e32 v74, v74, v86
	v_add_f32_e32 v91, 0, v80
	v_cndmask_b32_e64 v81, 0, v81, s[30:31]
	v_exp_f32_e32 v77, v77
	v_mul_f32_e32 v74, 0x3fb8aa3b, v74
	v_sub_f32_e32 v75, v75, v86
	v_add_f32_e32 v91, v91, v81
	;; [unrolled: 5-line block ×10, first 2 shown]
	v_cndmask_b32_e64 v70, 0, v70, s[10:11]
	v_exp_f32_e32 v66, v66
	v_mul_f32_e32 v67, 0x3fb8aa3b, v67
	v_add_f32_e32 v91, v91, v70
	v_cndmask_b32_e64 v71, 0, v71, s[12:13]
	v_exp_f32_e32 v67, v67
	v_add_f32_e32 v91, v91, v71
	v_cndmask_b32_e64 v68, 0, v68, s[6:7]
	v_add_f32_e32 v91, v91, v68
	v_cndmask_b32_e64 v69, 0, v69, s[8:9]
	v_add_f32_e32 v91, v91, v69
	v_cndmask_b32_e32 v66, 0, v66, vcc
	v_add_f32_e32 v91, v91, v66
	v_cndmask_b32_e64 v67, 0, v67, s[4:5]
	v_add_f32_e32 v91, v91, v67
	ds_bpermute_b32 v87, v87, v91
	s_load_dword s9, s[0:1], 0x98
	v_cmp_gt_u32_e64 s[4:5], 16, v85
	s_waitcnt lgkmcnt(0)
	s_barrier
	v_add_f32_e32 v87, v91, v87
	ds_bpermute_b32 v89, v89, v87
	s_waitcnt lgkmcnt(0)
	s_and_saveexec_b64 s[6:7], s[4:5]
	s_cbranch_execz .LBB692_17
; %bb.16:
	v_add_f32_e32 v85, v87, v89
	v_lshlrev_b32_e32 v87, 2, v90
	ds_write2st64_b32 v87, v86, v85 offset1:1
.LBB692_17:
	s_or_b64 exec, exec, s[6:7]
	v_lshlrev_b32_e32 v85, 2, v84
	s_load_dword s8, s[0:1], 0x94
	s_waitcnt lgkmcnt(0)
	s_barrier
	ds_read2_b32 v[90:91], v85 offset1:16
	ds_read2_b32 v[92:93], v85 offset0:32 offset1:48
	ds_read2_b32 v[94:95], v85 offset0:64 offset1:80
	s_movk_i32 s10, 0x7fff
	s_mov_b32 s11, 0x7060302
	s_waitcnt lgkmcnt(2)
	v_max3_f32 v86, v90, s33, v91
	s_waitcnt lgkmcnt(1)
	v_max3_f32 v86, v86, v92, v93
	v_sub_f32_e32 v87, v90, v86
	v_mul_f32_e32 v87, 0x3fb8aa3b, v87
	v_exp_f32_e32 v89, v87
	v_sub_f32_e32 v87, v91, v86
	v_mul_f32_e32 v87, 0x3fb8aa3b, v87
	v_exp_f32_e32 v88, v87
	v_sub_f32_e32 v87, v92, v86
	v_mul_f32_e32 v87, 0x3fb8aa3b, v87
	ds_read2_b32 v[90:91], v85 offset0:96 offset1:112
	v_sub_f32_e32 v85, v93, v86
	v_exp_f32_e32 v92, v87
	v_mul_f32_e32 v85, 0x3fb8aa3b, v85
	v_exp_f32_e32 v85, v85
	s_waitcnt lgkmcnt(1)
	v_fma_f32 v87, v89, v94, 0
	v_fmac_f32_e32 v87, v88, v95
	s_waitcnt lgkmcnt(0)
	v_fmac_f32_e32 v87, v92, v90
	v_fmac_f32_e32 v87, v85, v91
	v_add_f32_e32 v90, 0x358637bd, v87
	v_div_scale_f32 v91, s[6:7], v90, v90, 1.0
	v_rcp_f32_e32 v93, v91
	s_mul_i32 s9, s9, 5
	s_barrier
	v_fma_f32 v94, -v91, v93, 1.0
	v_fmac_f32_e32 v93, v94, v93
	v_div_scale_f32 v94, vcc, 1.0, v90, 1.0
	v_mul_f32_e32 v95, v94, v93
	v_fma_f32 v1, -v91, v95, v94
	v_fmac_f32_e32 v95, v1, v93
	v_fma_f32 v1, -v91, v95, v94
	v_lshrrev_b32_e32 v91, 6, v0
	v_div_fmas_f32 v1, v1, v93, v95
	v_cmp_eq_u32_e32 vcc, 1, v91
	v_div_fixup_f32 v1, v1, v90, 1.0
	s_nop 0
	v_cndmask_b32_e32 v88, v89, v88, vcc
	v_cmp_eq_u32_e32 vcc, 2, v91
	s_nop 1
	v_cndmask_b32_e32 v88, v88, v92, vcc
	v_cmp_eq_u32_e32 vcc, 3, v91
	s_nop 1
	v_cndmask_b32_e32 v85, v88, v85, vcc
	v_mul_f32_e32 v90, v85, v1
	v_pk_mul_f32 v[80:81], v[90:91], v[80:81] op_sel_hi:[0,1]
	v_bfe_u32 v1, v81, 16, 1
	v_bfe_u32 v85, v80, 16, 1
	v_pk_mul_f32 v[78:79], v[90:91], v[78:79] op_sel_hi:[0,1]
	v_add3_u32 v80, v80, v85, s10
	v_add3_u32 v1, v81, v1, s10
	v_perm_b32 v80, v1, v80, s11
	v_bfe_u32 v1, v79, 16, 1
	v_bfe_u32 v81, v78, 16, 1
	v_add3_u32 v78, v78, v81, s10
	v_add3_u32 v1, v79, v1, s10
	v_bfe_u32 v88, v0, 4, 2
	v_perm_b32 v81, v1, v78, s11
	v_lshlrev_b32_e32 v1, 3, v88
	v_lshlrev_b32_e32 v78, 5, v84
	;; [unrolled: 1-line block ×3, first 2 shown]
	v_pk_mul_f32 v[76:77], v[90:91], v[76:77] op_sel_hi:[0,1]
	v_or3_b32 v1, v79, v78, v1
	v_bfe_u32 v79, v77, 16, 1
	v_bfe_u32 v85, v76, 16, 1
	v_pk_mul_f32 v[74:75], v[90:91], v[74:75] op_sel_hi:[0,1]
	v_add3_u32 v76, v76, v85, s10
	v_add3_u32 v77, v77, v79, s10
	v_perm_b32 v76, v77, v76, s11
	v_bfe_u32 v77, v75, 16, 1
	v_bfe_u32 v79, v74, 16, 1
	v_add3_u32 v74, v74, v79, s10
	v_add3_u32 v75, v75, v77, s10
	v_pk_mul_f32 v[72:73], v[90:91], v[72:73] op_sel_hi:[0,1]
	v_perm_b32 v77, v75, v74, s11
	v_bfe_u32 v74, v73, 16, 1
	v_bfe_u32 v75, v72, 16, 1
	v_pk_mul_f32 v[70:71], v[90:91], v[70:71] op_sel_hi:[0,1]
	v_add3_u32 v72, v72, v75, s10
	v_add3_u32 v73, v73, v74, s10
	v_perm_b32 v72, v73, v72, s11
	v_bfe_u32 v73, v71, 16, 1
	v_bfe_u32 v74, v70, 16, 1
	v_add3_u32 v70, v70, v74, s10
	v_add3_u32 v71, v71, v73, s10
	v_pk_mul_f32 v[68:69], v[90:91], v[68:69] op_sel_hi:[0,1]
	v_perm_b32 v73, v71, v70, s11
	v_bfe_u32 v70, v69, 16, 1
	v_bfe_u32 v71, v68, 16, 1
	v_pk_mul_f32 v[66:67], v[90:91], v[66:67] op_sel_hi:[0,1]
	v_add3_u32 v68, v68, v71, s10
	v_add3_u32 v69, v69, v70, s10
	v_perm_b32 v68, v69, v68, s11
	v_bfe_u32 v69, v67, 16, 1
	v_bfe_u32 v70, v66, 16, 1
	v_add3_u32 v66, v66, v70, s10
	v_add3_u32 v67, v67, v69, s10
	v_perm_b32 v69, v67, v66, s11
	v_cmp_gt_u32_e32 vcc, 5, v0
	ds_write2st64_b64 v1, v[80:81], v[76:77] offset1:1
	ds_write2st64_b64 v1, v[72:73], v[68:69] offset0:2 offset1:3
	s_and_saveexec_b64 s[6:7], vcc
	s_cbranch_execz .LBB692_19
; %bb.18:
	s_mov_b32 s41, 0
	v_mov_b32_e32 v85, 0
	v_lshl_add_u64 v[66:67], s[40:41], 0, v[84:85]
	v_mov_b32_e32 v68, s9
	v_mad_u64_u32 v[66:67], s[16:17], s2, v68, v[66:67]
	s_mul_i32 s3, s3, s9
	v_mov_b32_e32 v68, s26
	v_mov_b32_e32 v69, v85
	s_load_dwordx4 s[12:15], s[0:1], 0x58
	v_add_u32_e32 v70, s3, v67
	v_mad_u64_u32 v[66:67], s[16:17], v66, s8, v[68:69]
	v_mov_b32_e32 v68, v67
	v_mad_u64_u32 v[68:69], s[16:17], v70, s8, v[68:69]
	v_mov_b32_e32 v67, v68
	v_lshlrev_b64 v[66:67], 2, v[66:67]
	s_waitcnt lgkmcnt(0)
	v_lshl_add_u64 v[68:69], s[14:15], 0, v[66:67]
	v_lshl_add_u64 v[66:67], s[12:13], 0, v[66:67]
	global_store_dword v[68:69], v86, off
	global_store_dword v[66:67], v87, off
.LBB692_19:
	s_or_b64 exec, exec, s[6:7]
	v_lshl_or_b32 v78, v88, 9, v78
	s_waitcnt lgkmcnt(0)
	s_barrier
	ds_read_b128 v[70:73], v78
	ds_read_b128 v[66:69], v78 offset:16
	s_waitcnt vmcnt(15) lgkmcnt(1)
	v_mfma_f32_16x16x16_bf16 v[74:77], v[30:31], v[70:71], 0
	s_mov_b32 s3, 0
	v_cmp_gt_u32_e32 vcc, 64, v0
	v_mfma_f32_16x16x16_bf16 v[30:33], v[32:33], v[72:73], v[74:77]
	s_waitcnt vmcnt(14) lgkmcnt(0)
	v_mfma_f32_16x16x16_bf16 v[30:33], v[26:27], v[66:67], v[30:33]
	v_mfma_f32_16x16x16_bf16 v[26:29], v[28:29], v[68:69], v[30:33]
	s_nop 5
	ds_read_b128 v[30:33], v78 offset:2048
	ds_read_b128 v[74:77], v78 offset:2064
	s_waitcnt vmcnt(13) lgkmcnt(1)
	v_mfma_f32_16x16x16_bf16 v[26:29], v[22:23], v[30:31], v[26:29]
	v_mfma_f32_16x16x16_bf16 v[22:25], v[24:25], v[32:33], v[26:29]
	s_waitcnt vmcnt(12) lgkmcnt(0)
	v_mfma_f32_16x16x16_bf16 v[22:25], v[18:19], v[74:75], v[22:25]
	v_mfma_f32_16x16x16_bf16 v[18:21], v[20:21], v[76:77], v[22:25]
	s_nop 5
	ds_read_b128 v[22:25], v78 offset:4096
	ds_read_b128 v[26:29], v78 offset:4112
	s_waitcnt vmcnt(11) lgkmcnt(1)
	v_mfma_f32_16x16x16_bf16 v[18:21], v[14:15], v[22:23], v[18:21]
	v_mfma_f32_16x16x16_bf16 v[14:17], v[16:17], v[24:25], v[18:21]
	s_waitcnt vmcnt(10) lgkmcnt(0)
	v_mfma_f32_16x16x16_bf16 v[14:17], v[10:11], v[26:27], v[14:17]
	v_mfma_f32_16x16x16_bf16 v[10:13], v[12:13], v[28:29], v[14:17]
	s_nop 5
	ds_read_b128 v[14:17], v78 offset:6144
	ds_read_b128 v[18:21], v78 offset:6160
	s_waitcnt lgkmcnt(0)
	s_barrier
	s_waitcnt vmcnt(9)
	v_mfma_f32_16x16x16_bf16 v[10:13], v[6:7], v[14:15], v[10:13]
	v_mfma_f32_16x16x16_bf16 v[6:9], v[8:9], v[16:17], v[10:13]
	s_waitcnt vmcnt(8)
	v_mfma_f32_16x16x16_bf16 v[6:9], v[2:3], v[18:19], v[6:9]
	v_mfma_f32_16x16x16_bf16 v[2:5], v[4:5], v[20:21], v[6:9]
	;; [unrolled: 3-line block ×3, first 2 shown]
	s_nop 3
	v_bfe_u32 v10, v3, 16, 1
	v_bfe_u32 v11, v2, 16, 1
	v_add3_u32 v2, v2, v11, s10
	s_waitcnt vmcnt(6)
	v_mfma_f32_16x16x16_bf16 v[6:9], v[38:39], v[66:67], v[6:9]
	v_add3_u32 v3, v3, v10, s10
	v_perm_b32 v10, v3, v2, s11
	v_bfe_u32 v2, v5, 16, 1
	v_mfma_f32_16x16x16_bf16 v[6:9], v[40:41], v[68:69], v[6:9]
	v_bfe_u32 v3, v4, 16, 1
	v_add3_u32 v3, v4, v3, s10
	v_add3_u32 v2, v5, v2, s10
	s_waitcnt vmcnt(5)
	v_mfma_f32_16x16x16_bf16 v[6:9], v[42:43], v[30:31], v[6:9]
	v_perm_b32 v11, v2, v3, s11
	v_mfma_f32_16x16x16_bf16 v[6:9], v[44:45], v[32:33], v[6:9]
	s_waitcnt vmcnt(4)
	v_mfma_f32_16x16x16_bf16 v[6:9], v[34:35], v[74:75], v[6:9]
	v_mfma_f32_16x16x16_bf16 v[6:9], v[36:37], v[76:77], v[6:9]
	s_waitcnt vmcnt(3)
	v_mfma_f32_16x16x16_bf16 v[6:9], v[58:59], v[22:23], v[6:9]
	;; [unrolled: 3-line block ×5, first 2 shown]
	v_mfma_f32_16x16x16_bf16 v[2:5], v[52:53], v[20:21], v[6:9]
	s_nop 6
	v_bfe_u32 v6, v3, 16, 1
	v_bfe_u32 v7, v2, 16, 1
	v_add3_u32 v2, v2, v7, s10
	v_add3_u32 v3, v3, v6, s10
	v_perm_b32 v2, v3, v2, s11
	v_bfe_u32 v3, v5, 16, 1
	v_bfe_u32 v6, v4, 16, 1
	v_add3_u32 v4, v4, v6, s10
	v_add3_u32 v3, v5, v3, s10
	v_perm_b32 v3, v3, v4, s11
	ds_write2st64_b64 v1, v[10:11], v[2:3] offset1:1
	s_waitcnt lgkmcnt(0)
	s_barrier
	s_and_saveexec_b64 s[6:7], vcc
	s_cbranch_execz .LBB692_22
; %bb.20:
	s_load_dwordx2 s[6:7], s[0:1], 0x68
	s_lshl_b32 s0, s8, 7
	s_mul_i32 s1, s9, s2
	v_lshlrev_b32_e32 v3, 6, v84
	s_mul_hi_u32 s9, s1, s0
	s_mul_i32 s8, s1, s0
	v_lshlrev_b32_e32 v2, 4, v0
	v_lshl_or_b32 v0, v0, 10, v3
	s_lshl_b64 s[8:9], s[8:9], 1
	v_lshlrev_b32_e32 v1, 5, v88
	v_and_b32_e32 v2, 16, v2
	v_and_b32_e32 v0, 0x1a00, v0
	s_waitcnt lgkmcnt(0)
	s_add_u32 s1, s6, s8
	v_or3_b32 v2, v0, v1, v2
	s_addc_u32 s6, s7, s9
	s_lshl_b32 s2, s26, 7
	s_lshl_b64 s[2:3], s[2:3], 1
	ds_read_b128 v[4:7], v2
	s_add_u32 s2, s1, s2
	s_addc_u32 s3, s6, s3
	v_add_u32_e32 v3, s40, v88
	v_lshl_add_u64 v[0:1], v[82:83], 1, s[2:3]
	v_mad_u64_u32 v[8:9], s[2:3], v3, s0, 0
	v_lshl_add_u64 v[8:9], v[8:9], 1, v[0:1]
	s_waitcnt lgkmcnt(0)
	global_store_dwordx4 v[8:9], v[4:7], off
	s_and_b64 exec, exec, s[4:5]
	s_cbranch_execz .LBB692_22
; %bb.21:
	ds_read_b128 v[2:5], v2 offset:128
	v_add3_u32 v6, s40, v88, 4
	v_mad_u64_u32 v[6:7], s[0:1], v6, s0, 0
	v_lshl_add_u64 v[0:1], v[6:7], 1, v[0:1]
	s_waitcnt lgkmcnt(0)
	global_store_dwordx4 v[0:1], v[2:5], off
.LBB692_22:
	s_endpgm
	.section	.rodata,"a",@progbits
	.p2align	6, 0x0
	.amdhsa_kernel _Z39paged_attention_ll4mi_QKV_mfma16_kernelI14__hip_bfloat16S0_LN4vllm18Fp8KVCacheDataTypeE0EhLi32ELi128ELi256ELb1ELi5EEvPKT_PKT0_S8_ifPKiSA_SA_iPKfiiiPfSD_PS3_PT2_iSC_SC_
		.amdhsa_group_segment_fixed_size 8192
		.amdhsa_private_segment_fixed_size 0
		.amdhsa_kernarg_size 400
		.amdhsa_user_sgpr_count 2
		.amdhsa_user_sgpr_dispatch_ptr 0
		.amdhsa_user_sgpr_queue_ptr 0
		.amdhsa_user_sgpr_kernarg_segment_ptr 1
		.amdhsa_user_sgpr_dispatch_id 0
		.amdhsa_user_sgpr_kernarg_preload_length 0
		.amdhsa_user_sgpr_kernarg_preload_offset 0
		.amdhsa_user_sgpr_private_segment_size 0
		.amdhsa_uses_dynamic_stack 0
		.amdhsa_enable_private_segment 0
		.amdhsa_system_sgpr_workgroup_id_x 1
		.amdhsa_system_sgpr_workgroup_id_y 1
		.amdhsa_system_sgpr_workgroup_id_z 1
		.amdhsa_system_sgpr_workgroup_info 0
		.amdhsa_system_vgpr_workitem_id 0
		.amdhsa_next_free_vgpr 96
		.amdhsa_next_free_sgpr 42
		.amdhsa_accum_offset 96
		.amdhsa_reserve_vcc 1
		.amdhsa_float_round_mode_32 0
		.amdhsa_float_round_mode_16_64 0
		.amdhsa_float_denorm_mode_32 3
		.amdhsa_float_denorm_mode_16_64 3
		.amdhsa_dx10_clamp 1
		.amdhsa_ieee_mode 1
		.amdhsa_fp16_overflow 0
		.amdhsa_tg_split 0
		.amdhsa_exception_fp_ieee_invalid_op 0
		.amdhsa_exception_fp_denorm_src 0
		.amdhsa_exception_fp_ieee_div_zero 0
		.amdhsa_exception_fp_ieee_overflow 0
		.amdhsa_exception_fp_ieee_underflow 0
		.amdhsa_exception_fp_ieee_inexact 0
		.amdhsa_exception_int_div_zero 0
	.end_amdhsa_kernel
	.section	.text._Z39paged_attention_ll4mi_QKV_mfma16_kernelI14__hip_bfloat16S0_LN4vllm18Fp8KVCacheDataTypeE0EhLi32ELi128ELi256ELb1ELi5EEvPKT_PKT0_S8_ifPKiSA_SA_iPKfiiiPfSD_PS3_PT2_iSC_SC_,"axG",@progbits,_Z39paged_attention_ll4mi_QKV_mfma16_kernelI14__hip_bfloat16S0_LN4vllm18Fp8KVCacheDataTypeE0EhLi32ELi128ELi256ELb1ELi5EEvPKT_PKT0_S8_ifPKiSA_SA_iPKfiiiPfSD_PS3_PT2_iSC_SC_,comdat
.Lfunc_end692:
	.size	_Z39paged_attention_ll4mi_QKV_mfma16_kernelI14__hip_bfloat16S0_LN4vllm18Fp8KVCacheDataTypeE0EhLi32ELi128ELi256ELb1ELi5EEvPKT_PKT0_S8_ifPKiSA_SA_iPKfiiiPfSD_PS3_PT2_iSC_SC_, .Lfunc_end692-_Z39paged_attention_ll4mi_QKV_mfma16_kernelI14__hip_bfloat16S0_LN4vllm18Fp8KVCacheDataTypeE0EhLi32ELi128ELi256ELb1ELi5EEvPKT_PKT0_S8_ifPKiSA_SA_iPKfiiiPfSD_PS3_PT2_iSC_SC_
                                        ; -- End function
	.section	.AMDGPU.csdata,"",@progbits
; Kernel info:
; codeLenInByte = 5176
; NumSgprs: 48
; NumVgprs: 96
; NumAgprs: 0
; TotalNumVgprs: 96
; ScratchSize: 0
; MemoryBound: 0
; FloatMode: 240
; IeeeMode: 1
; LDSByteSize: 8192 bytes/workgroup (compile time only)
; SGPRBlocks: 5
; VGPRBlocks: 11
; NumSGPRsForWavesPerEU: 48
; NumVGPRsForWavesPerEU: 96
; AccumOffset: 96
; Occupancy: 5
; WaveLimiterHint : 1
; COMPUTE_PGM_RSRC2:SCRATCH_EN: 0
; COMPUTE_PGM_RSRC2:USER_SGPR: 2
; COMPUTE_PGM_RSRC2:TRAP_HANDLER: 0
; COMPUTE_PGM_RSRC2:TGID_X_EN: 1
; COMPUTE_PGM_RSRC2:TGID_Y_EN: 1
; COMPUTE_PGM_RSRC2:TGID_Z_EN: 1
; COMPUTE_PGM_RSRC2:TIDIG_COMP_CNT: 0
; COMPUTE_PGM_RSRC3_GFX90A:ACCUM_OFFSET: 23
; COMPUTE_PGM_RSRC3_GFX90A:TG_SPLIT: 0
	.section	.text._Z39paged_attention_ll4mi_QKV_mfma16_kernelI14__hip_bfloat16S0_LN4vllm18Fp8KVCacheDataTypeE0EhLi32ELi128ELi256ELb1ELi6EEvPKT_PKT0_S8_ifPKiSA_SA_iPKfiiiPfSD_PS3_PT2_iSC_SC_,"axG",@progbits,_Z39paged_attention_ll4mi_QKV_mfma16_kernelI14__hip_bfloat16S0_LN4vllm18Fp8KVCacheDataTypeE0EhLi32ELi128ELi256ELb1ELi6EEvPKT_PKT0_S8_ifPKiSA_SA_iPKfiiiPfSD_PS3_PT2_iSC_SC_,comdat
	.protected	_Z39paged_attention_ll4mi_QKV_mfma16_kernelI14__hip_bfloat16S0_LN4vllm18Fp8KVCacheDataTypeE0EhLi32ELi128ELi256ELb1ELi6EEvPKT_PKT0_S8_ifPKiSA_SA_iPKfiiiPfSD_PS3_PT2_iSC_SC_ ; -- Begin function _Z39paged_attention_ll4mi_QKV_mfma16_kernelI14__hip_bfloat16S0_LN4vllm18Fp8KVCacheDataTypeE0EhLi32ELi128ELi256ELb1ELi6EEvPKT_PKT0_S8_ifPKiSA_SA_iPKfiiiPfSD_PS3_PT2_iSC_SC_
	.globl	_Z39paged_attention_ll4mi_QKV_mfma16_kernelI14__hip_bfloat16S0_LN4vllm18Fp8KVCacheDataTypeE0EhLi32ELi128ELi256ELb1ELi6EEvPKT_PKT0_S8_ifPKiSA_SA_iPKfiiiPfSD_PS3_PT2_iSC_SC_
	.p2align	8
	.type	_Z39paged_attention_ll4mi_QKV_mfma16_kernelI14__hip_bfloat16S0_LN4vllm18Fp8KVCacheDataTypeE0EhLi32ELi128ELi256ELb1ELi6EEvPKT_PKT0_S8_ifPKiSA_SA_iPKfiiiPfSD_PS3_PT2_iSC_SC_,@function
_Z39paged_attention_ll4mi_QKV_mfma16_kernelI14__hip_bfloat16S0_LN4vllm18Fp8KVCacheDataTypeE0EhLi32ELi128ELi256ELb1ELi6EEvPKT_PKT0_S8_ifPKiSA_SA_iPKfiiiPfSD_PS3_PT2_iSC_SC_: ; @_Z39paged_attention_ll4mi_QKV_mfma16_kernelI14__hip_bfloat16S0_LN4vllm18Fp8KVCacheDataTypeE0EhLi32ELi128ELi256ELb1ELi6EEvPKT_PKT0_S8_ifPKiSA_SA_iPKfiiiPfSD_PS3_PT2_iSC_SC_
; %bb.0:
	s_load_dwordx2 s[8:9], s[0:1], 0x30
	s_mov_b32 s26, s3
	s_mov_b64 s[6:7], 0
	s_waitcnt lgkmcnt(0)
	s_cmp_lg_u64 s[8:9], 0
	s_cselect_b64 s[10:11], -1, 0
	s_and_b64 vcc, exec, s[10:11]
	s_cbranch_vccz .LBB693_7
; %bb.1:
	s_add_i32 s12, s2, 1
	s_mov_b32 s13, 0
	s_lshl_b64 s[14:15], s[12:13], 2
	s_add_u32 s14, s8, s14
	s_mov_b32 s3, s13
	s_addc_u32 s15, s9, s15
	s_lshl_b64 s[12:13], s[2:3], 2
	s_add_u32 s12, s8, s12
	s_addc_u32 s13, s9, s13
	s_load_dword s5, s[14:15], 0x0
	s_load_dword s16, s[12:13], 0x0
	s_waitcnt lgkmcnt(0)
	s_sub_i32 s5, s5, s16
	s_cmp_eq_u32 s5, 1
	s_cselect_b64 s[12:13], -1, 0
	s_andn2_b64 vcc, exec, s[6:7]
	s_cbranch_vccnz .LBB693_3
.LBB693_2:
	s_mov_b32 s3, 0
	s_mov_b64 s[12:13], -1
.LBB693_3:
	s_andn2_b64 vcc, exec, s[12:13]
	s_cbranch_vccnz .LBB693_22
; %bb.4:
	s_load_dwordx2 s[6:7], s[0:1], 0x28
	s_lshl_b64 s[12:13], s[2:3], 2
	s_waitcnt lgkmcnt(0)
	s_add_u32 s6, s6, s12
	s_addc_u32 s7, s7, s13
	s_load_dword s27, s[6:7], 0x0
	s_lshl_b32 s18, s26, 8
	s_waitcnt lgkmcnt(0)
	s_cmp_ge_i32 s18, s27
	s_cbranch_scc1 .LBB693_22
; %bb.5:
	s_load_dwordx2 s[6:7], s[0:1], 0x20
	s_load_dword s5, s[0:1], 0x38
	s_add_i32 s14, s27, 31
	s_ashr_i32 s15, s14, 31
	v_and_b32_e32 v1, 0xcf, v0
	s_lshr_b32 s15, s15, 27
	v_add_u32_e32 v1, s18, v1
	s_add_i32 s14, s14, s15
	v_ashrrev_i32_e32 v2, 31, v1
	s_ashr_i32 s19, s14, 5
	v_lshrrev_b32_e32 v4, 27, v2
	s_add_i32 s19, s19, -1
	s_waitcnt lgkmcnt(0)
	s_mul_i32 s14, s2, s5
	s_mov_b32 s15, 0
	v_add_u32_e32 v2, v1, v4
	s_lshl_b64 s[14:15], s[14:15], 2
	v_ashrrev_i32_e32 v2, 5, v2
	v_mov_b32_e32 v5, s19
	v_cmp_gt_i32_e32 vcc, s27, v1
	s_add_u32 s6, s6, s14
	s_addc_u32 s7, s7, s15
	v_cndmask_b32_e32 v2, v5, v2, vcc
	v_ashrrev_i32_e32 v3, 31, v2
	v_lshl_add_u64 v[6:7], v[2:3], 2, s[6:7]
	v_or_b32_e32 v2, 16, v1
	v_add_u32_e32 v3, v2, v4
	v_ashrrev_i32_e32 v3, 5, v3
	v_cmp_gt_i32_e32 vcc, s27, v2
	s_nop 1
	v_cndmask_b32_e32 v2, v5, v3, vcc
	v_ashrrev_i32_e32 v3, 31, v2
	v_lshl_add_u64 v[8:9], v[2:3], 2, s[6:7]
	v_or_b32_e32 v2, 32, v1
	v_add_u32_e32 v3, v2, v4
	v_ashrrev_i32_e32 v3, 5, v3
	v_cmp_gt_i32_e32 vcc, s27, v2
	v_or_b32_e32 v1, 48, v1
	s_nop 0
	v_cndmask_b32_e32 v2, v5, v3, vcc
	v_ashrrev_i32_e32 v3, 31, v2
	v_lshl_add_u64 v[10:11], v[2:3], 2, s[6:7]
	v_add_u32_e32 v2, v1, v4
	v_ashrrev_i32_e32 v2, 5, v2
	v_cmp_gt_i32_e32 vcc, s27, v1
	s_nop 1
	v_cndmask_b32_e32 v2, v5, v2, vcc
	v_ashrrev_i32_e32 v3, 31, v2
	v_lshl_add_u64 v[12:13], v[2:3], 2, s[6:7]
	global_load_dword v5, v[6:7], off
	global_load_dword v4, v[8:9], off
	;; [unrolled: 1-line block ×4, first 2 shown]
	s_andn2_b64 vcc, exec, s[10:11]
	s_cbranch_vccnz .LBB693_8
; %bb.6:
	s_add_u32 s8, s8, s12
	s_addc_u32 s9, s9, s13
	s_load_dword s5, s[8:9], 0x0
	s_branch .LBB693_9
.LBB693_7:
	s_mov_b64 s[12:13], 0
	s_branch .LBB693_2
.LBB693_8:
	s_mov_b32 s5, s2
.LBB693_9:
	s_load_dwordx2 s[14:15], s[0:1], 0x8
	s_load_dwordx4 s[8:11], s[0:1], 0x48
	v_lshrrev_b32_e32 v88, 6, v0
	v_bfe_u32 v1, v0, 4, 2
	v_lshl_or_b32 v6, v88, 2, v1
	v_and_b32_e32 v84, 15, v0
	v_lshlrev_b32_e32 v82, 3, v84
	v_cmp_lt_u32_e32 vcc, 5, v6
	s_and_saveexec_b64 s[12:13], vcc
	s_xor_b64 s[12:13], exec, s[12:13]
; %bb.10:
	v_mov_b32_e32 v83, 0
                                        ; implicit-def: $vgpr6
; %bb.11:
	s_or_saveexec_b64 s[16:17], s[12:13]
	s_load_dwordx2 s[12:13], s[0:1], 0x10
	s_mul_i32 s40, s4, 6
	s_xor_b64 exec, exec, s[16:17]
	s_cbranch_execz .LBB693_13
; %bb.12:
	s_load_dwordx2 s[20:21], s[0:1], 0x0
	s_waitcnt lgkmcnt(0)
	s_ashr_i32 s11, s8, 31
	s_mul_hi_u32 s22, s5, s8
	s_mul_i32 s11, s5, s11
	s_add_i32 s23, s22, s11
	s_mul_i32 s22, s5, s8
	s_lshl_b64 s[22:23], s[22:23], 1
	s_add_u32 s20, s20, s22
	v_add_lshl_u32 v8, v6, s40, 7
	s_addc_u32 s21, s21, s23
	v_ashrrev_i32_e32 v9, 31, v8
	v_mov_b32_e32 v83, 0
	v_lshl_add_u64 v[8:9], v[8:9], 1, s[20:21]
	v_lshlrev_b32_e32 v10, 1, v82
	v_mov_b32_e32 v11, v83
	v_lshl_add_u64 v[8:9], v[8:9], 0, v[10:11]
	global_load_dwordx4 v[8:11], v[8:9], off
	v_and_b32_e32 v7, 3, v0
	v_lshlrev_b32_e32 v12, 9, v84
	v_lshlrev_b32_e32 v6, 5, v6
	;; [unrolled: 1-line block ×3, first 2 shown]
	v_and_b32_e32 v12, 0x1800, v12
	v_or3_b32 v6, v12, v7, v6
	s_waitcnt vmcnt(0)
	ds_write_b128 v6, v[8:11]
.LBB693_13:
	s_or_b64 exec, exec, s[16:17]
	s_waitcnt lgkmcnt(0)
	s_mul_i32 s4, s4, s10
	s_mov_b32 s5, 0
	s_lshl_b64 s[4:5], s[4:5], 1
	s_add_u32 s10, s14, s4
	s_addc_u32 s11, s15, s5
	s_waitcnt vmcnt(3)
	v_mad_i64_i32 v[6:7], s[14:15], v5, s9, 0
	v_lshl_add_u64 v[6:7], v[6:7], 1, s[10:11]
	v_lshlrev_b64 v[8:9], 1, v[82:83]
	v_lshlrev_b32_e32 v86, 9, v1
	v_lshl_add_u64 v[6:7], v[6:7], 0, v[8:9]
	v_mov_b32_e32 v87, 0
	v_lshl_add_u64 v[10:11], v[6:7], 0, v[86:87]
	v_or_b32_e32 v14, 0x1000, v86
	v_mov_b32_e32 v15, v87
	v_or_b32_e32 v16, 0x1800, v86
	v_mov_b32_e32 v17, v87
	s_barrier
	global_load_dwordx4 v[66:69], v[10:11], off
	global_load_dwordx4 v[62:65], v[10:11], off offset:2048
	v_lshl_add_u64 v[10:11], v[6:7], 0, v[14:15]
	v_lshl_add_u64 v[6:7], v[6:7], 0, v[16:17]
	global_load_dwordx4 v[78:81], v[10:11], off
	global_load_dwordx4 v[74:77], v[6:7], off
	s_waitcnt vmcnt(6)
	v_mad_i64_i32 v[4:5], s[14:15], v4, s9, 0
	v_mov_b32_e32 v6, 0x100
	v_lshl_add_u64 v[4:5], v[4:5], 1, s[10:11]
	v_lshl_or_b32 v6, v84, 4, v6
	v_mov_b32_e32 v7, v87
	v_lshl_add_u64 v[4:5], v[4:5], 0, v[6:7]
	v_lshl_add_u64 v[10:11], v[4:5], 0, v[86:87]
	global_load_dwordx4 v[70:73], v[10:11], off
	global_load_dwordx4 v[58:61], v[10:11], off offset:2048
	v_lshl_add_u64 v[10:11], v[4:5], 0, v[14:15]
	v_lshl_add_u64 v[4:5], v[4:5], 0, v[16:17]
	global_load_dwordx4 v[54:57], v[10:11], off
	global_load_dwordx4 v[30:33], v[4:5], off
	s_waitcnt vmcnt(9)
	v_mad_i64_i32 v[4:5], s[14:15], v3, s9, 0
	v_lshl_add_u64 v[4:5], v[4:5], 1, s[10:11]
	s_waitcnt vmcnt(8)
	v_mad_i64_i32 v[2:3], s[14:15], v2, s9, 0
	v_lshl_add_u64 v[4:5], v[4:5], 0, v[8:9]
	v_lshl_add_u64 v[2:3], v[2:3], 1, s[10:11]
	;; [unrolled: 1-line block ×4, first 2 shown]
	global_load_dwordx4 v[26:29], v[8:9], off
	global_load_dwordx4 v[22:25], v[8:9], off offset:2048
	v_lshl_add_u64 v[8:9], v[4:5], 0, v[14:15]
	v_lshl_add_u64 v[4:5], v[4:5], 0, v[16:17]
	;; [unrolled: 1-line block ×4, first 2 shown]
	global_load_dwordx4 v[18:21], v[8:9], off
	global_load_dwordx4 v[10:13], v[4:5], off
	s_nop 0
	global_load_dwordx4 v[6:9], v[2:3], off
	s_nop 0
	global_load_dwordx4 v[2:5], v[2:3], off offset:2048
	v_lshl_add_u64 v[16:17], v[34:35], 0, v[16:17]
	global_load_dwordx4 v[38:41], v[14:15], off
	global_load_dwordx4 v[34:37], v[16:17], off
	v_mul_lo_u16_e32 v14, 43, v84
	v_mov_b32_e32 v15, 6
	v_mul_lo_u16_sdwa v14, v14, v15 dst_sel:DWORD dst_unused:UNUSED_PAD src0_sel:BYTE_1 src1_sel:DWORD
	v_sub_u16_e32 v14, v84, v14
	v_and_b32_e32 v14, 0xff, v14
	v_lshl_add_u32 v42, v14, 5, v86
	ds_read_b128 v[14:17], v42
	ds_read_b128 v[50:53], v42 offset:2048
	ds_read_b128 v[46:49], v42 offset:4096
	;; [unrolled: 1-line block ×3, first 2 shown]
	v_and_b32_e32 v85, 63, v0
	v_cmp_gt_u32_e32 vcc, 6, v84
	v_mov_b32_e32 v89, 0
	s_and_saveexec_b64 s[10:11], vcc
	s_cbranch_execz .LBB693_15
; %bb.14:
	s_load_dwordx2 s[14:15], s[0:1], 0x40
	v_add_u32_e32 v90, s40, v84
	v_ashrrev_i32_e32 v91, 31, v90
	s_waitcnt lgkmcnt(0)
	v_lshl_add_u64 v[90:91], v[90:91], 2, s[14:15]
	global_load_dword v89, v[90:91], off
.LBB693_15:
	s_or_b64 exec, exec, s[10:11]
	s_waitcnt vmcnt(15) lgkmcnt(3)
	v_mfma_f32_16x16x16_bf16 v[90:93], v[66:67], v[14:15], 0
	s_ashr_i32 s8, s18, 31
	s_lshr_b32 s8, s8, 27
	s_add_u32 s4, s12, s4
	v_mfma_f32_16x16x16_bf16 v[66:69], v[68:69], v[16:17], v[90:93]
	s_addc_u32 s5, s13, s5
	s_mov_b32 s33, 0xff7fffff
	s_waitcnt vmcnt(14) lgkmcnt(2)
	v_mfma_f32_16x16x16_bf16 v[66:69], v[62:63], v[50:51], v[66:69]
	v_lshl_or_b32 v90, v88, 4, v84
	v_mfma_f32_16x16x16_bf16 v[62:65], v[64:65], v[52:53], v[66:69]
	s_waitcnt vmcnt(13) lgkmcnt(1)
	v_mfma_f32_16x16x16_bf16 v[62:65], v[78:79], v[46:47], v[62:65]
	v_mfma_f32_16x16x16_bf16 v[62:65], v[80:81], v[48:49], v[62:65]
	s_waitcnt vmcnt(12) lgkmcnt(0)
	v_mfma_f32_16x16x16_bf16 v[62:65], v[74:75], v[42:43], v[62:65]
	v_and_or_b32 v74, v0, 48, s18
	v_add_u32_e32 v66, s8, v74
	v_ashrrev_i32_e32 v75, 5, v66
	s_waitcnt vmcnt(11)
	v_mfma_f32_16x16x16_bf16 v[66:69], v[70:71], v[14:15], 0
	v_cmp_gt_i32_e32 vcc, s27, v74
	v_mfma_f32_16x16x16_bf16 v[66:69], v[72:73], v[16:17], v[66:69]
	v_or_b32_e32 v72, 64, v74
	v_add_u32_e32 v73, s8, v72
	s_waitcnt vmcnt(10)
	v_mfma_f32_16x16x16_bf16 v[66:69], v[58:59], v[50:51], v[66:69]
	v_ashrrev_i32_e32 v58, 5, v73
	v_mfma_f32_16x16x16_bf16 v[62:65], v[76:77], v[44:45], v[62:65]
	v_mov_b32_e32 v76, s19
	v_cndmask_b32_e32 v70, v76, v75, vcc
	v_cmp_gt_i32_e32 vcc, s27, v72
	v_ashrrev_i32_e32 v71, 31, v70
	v_lshl_add_u64 v[70:71], v[70:71], 2, s[6:7]
	v_cndmask_b32_e32 v72, v76, v58, vcc
	v_mfma_f32_16x16x16_bf16 v[58:61], v[60:61], v[52:53], v[66:69]
	v_ashrrev_i32_e32 v73, 31, v72
	s_waitcnt vmcnt(9)
	v_mfma_f32_16x16x16_bf16 v[58:61], v[54:55], v[46:47], v[58:61]
	v_lshl_add_u64 v[66:67], v[72:73], 2, s[6:7]
	global_load_dword v68, v[70:71], off
	s_nop 0
	global_load_dword v66, v[66:67], off
	v_or_b32_e32 v67, 0x80, v74
	v_add_u32_e32 v69, s8, v67
	v_mfma_f32_16x16x16_bf16 v[54:57], v[56:57], v[48:49], v[58:61]
	v_cmp_gt_i32_e32 vcc, s27, v67
	s_nop 1
	v_ashrrev_i32_e32 v58, 5, v69
	v_cndmask_b32_e32 v58, v76, v58, vcc
	v_ashrrev_i32_e32 v59, 31, v58
	s_waitcnt vmcnt(10)
	v_mfma_f32_16x16x16_bf16 v[54:57], v[30:31], v[42:43], v[54:57]
	v_lshl_add_u64 v[30:31], v[58:59], 2, s[6:7]
	global_load_dword v70, v[30:31], off
	v_mfma_f32_16x16x16_bf16 v[58:61], v[32:33], v[44:45], v[54:57]
	s_nop 3
	v_or_b32_e32 v54, 0xc0, v74
	v_add_u32_e32 v30, s8, v54
	v_ashrrev_i32_e32 v55, 5, v30
	v_cmp_gt_i32_e32 vcc, s27, v54
	s_waitcnt vmcnt(10)
	v_mfma_f32_16x16x16_bf16 v[30:33], v[26:27], v[14:15], 0
	v_cndmask_b32_e32 v26, v76, v55, vcc
	v_ashrrev_i32_e32 v27, 31, v26
	v_lshl_add_u64 v[54:55], v[26:27], 2, s[6:7]
	global_load_dword v71, v[54:55], off
	v_mfma_f32_16x16x16_bf16 v[26:29], v[28:29], v[16:17], v[30:33]
	s_load_dword s6, s[0:1], 0x1c
	s_waitcnt vmcnt(10)
	v_mfma_f32_16x16x16_bf16 v[26:29], v[22:23], v[50:51], v[26:29]
	v_and_b32_e32 v30, 16, v0
	v_lshlrev_b32_e32 v86, 1, v30
	v_lshl_add_u64 v[74:75], s[4:5], 0, v[86:87]
	v_mfma_f32_16x16x16_bf16 v[22:25], v[24:25], v[52:53], v[26:29]
	v_lshlrev_b32_e32 v86, 6, v90
	v_lshl_add_u64 v[76:77], v[74:75], 0, v[86:87]
	v_or_b32_e32 v86, 0x1000, v86
	s_waitcnt vmcnt(9)
	v_mfma_f32_16x16x16_bf16 v[22:25], v[18:19], v[46:47], v[22:25]
	v_lshl_add_u64 v[80:81], v[74:75], 0, v[86:87]
	s_waitcnt lgkmcnt(0)
	v_pk_mul_f32 v[74:75], s[6:7], v[60:61] op_sel_hi:[0,1]
	v_mfma_f32_16x16x16_bf16 v[18:21], v[20:21], v[48:49], v[22:25]
	s_waitcnt vmcnt(8)
	v_mfma_f32_16x16x16_bf16 v[18:21], v[10:11], v[42:43], v[18:21]
	s_waitcnt vmcnt(3)
	v_mad_i64_i32 v[22:23], s[4:5], v68, s9, 0
	s_waitcnt vmcnt(2)
	v_mad_i64_i32 v[10:11], s[4:5], v66, s9, 0
	v_lshlrev_b64 v[78:79], 1, v[22:23]
	v_lshlrev_b64 v[54:55], 1, v[10:11]
	v_lshl_add_u64 v[22:23], v[76:77], 0, v[78:79]
	v_lshl_add_u64 v[10:11], v[76:77], 0, v[54:55]
	global_load_dwordx4 v[30:33], v[22:23], off
	global_load_dwordx4 v[26:29], v[22:23], off offset:16
	v_mfma_f32_16x16x16_bf16 v[66:69], v[12:13], v[44:45], v[18:21]
	global_load_dwordx4 v[22:25], v[10:11], off
	s_nop 1
	global_load_dwordx4 v[18:21], v[10:11], off offset:16
	v_mfma_f32_16x16x16_bf16 v[10:13], v[6:7], v[14:15], 0
	s_waitcnt vmcnt(5)
	v_mad_i64_i32 v[6:7], s[4:5], v70, s9, 0
	v_lshlrev_b64 v[56:57], 1, v[6:7]
	v_mfma_f32_16x16x16_bf16 v[6:9], v[8:9], v[16:17], v[10:13]
	v_mfma_f32_16x16x16_bf16 v[6:9], v[2:3], v[50:51], v[6:9]
	s_nop 1
	v_lshl_add_u64 v[10:11], v[76:77], 0, v[56:57]
	global_load_dwordx4 v[14:17], v[10:11], off
	s_nop 0
	global_load_dwordx4 v[10:13], v[10:11], off offset:16
	s_waitcnt vmcnt(6)
	v_mad_i64_i32 v[2:3], s[4:5], v71, s9, 0
	v_mfma_f32_16x16x16_bf16 v[70:73], v[4:5], v[52:53], v[6:9]
	v_pk_mul_f32 v[52:53], s[6:7], v[62:63] op_sel_hi:[0,1]
	v_lshlrev_b64 v[50:51], 1, v[2:3]
	v_lshl_add_u64 v[2:3], v[76:77], 0, v[50:51]
	v_mfma_f32_16x16x16_bf16 v[70:73], v[38:39], v[46:47], v[70:73]
	v_lshl_add_u64 v[38:39], v[80:81], 0, v[78:79]
	v_pk_mul_f32 v[78:79], s[6:7], v[64:65] op_sel_hi:[0,1]
	v_pk_mul_f32 v[76:77], s[6:7], v[58:59] op_sel_hi:[0,1]
	v_mfma_f32_16x16x16_bf16 v[46:49], v[40:41], v[48:49], v[70:73]
	v_lshl_add_u64 v[50:51], v[80:81], 0, v[50:51]
	global_load_dwordx4 v[6:9], v[2:3], off
	s_nop 0
	global_load_dwordx4 v[2:5], v[2:3], off offset:16
	v_pk_mul_f32 v[70:71], s[6:7], v[68:69] op_sel_hi:[0,1]
	v_mfma_f32_16x16x16_bf16 v[40:43], v[34:35], v[42:43], v[46:49]
	v_pk_mul_f32 v[72:73], s[6:7], v[66:67] op_sel_hi:[0,1]
	v_mfma_f32_16x16x16_bf16 v[34:37], v[36:37], v[44:45], v[40:43]
	s_nop 6
	v_pk_mul_f32 v[68:69], s[6:7], v[34:35] op_sel_hi:[0,1]
	v_and_b32_e32 v34, 0xc0, v0
	v_add_u32_e32 v34, s18, v34
	v_lshl_or_b32 v34, v1, 2, v34
	v_or_b32_e32 v35, 1, v34
	v_pk_mul_f32 v[66:67], s[6:7], v[36:37] op_sel_hi:[0,1]
	v_subrev_u32_e32 v36, s27, v35
	v_add_u32_e32 v40, 1, v36
	v_add_u32_e32 v41, 2, v36
	v_cvt_f32_i32_e32 v37, v36
	v_cvt_f32_i32_e32 v40, v40
	;; [unrolled: 1-line block ×3, first 2 shown]
	v_add_u32_e32 v42, 3, v36
	v_fma_f32 v52, v89, v37, v52
	v_fmac_f32_e32 v53, v89, v40
	v_fma_f32 v78, v89, v41, v78
	v_add_u32_e32 v37, 16, v36
	v_add_u32_e32 v40, 17, v36
	;; [unrolled: 1-line block ×3, first 2 shown]
	v_cvt_f32_i32_e32 v42, v42
	v_cvt_f32_i32_e32 v37, v37
	;; [unrolled: 1-line block ×4, first 2 shown]
	v_fmac_f32_e32 v79, v89, v42
	v_add_u32_e32 v42, 19, v36
	v_fma_f32 v76, v89, v37, v76
	v_fmac_f32_e32 v77, v89, v40
	v_fma_f32 v74, v89, v41, v74
	v_add_u32_e32 v37, 32, v36
	v_add_u32_e32 v40, 33, v36
	;; [unrolled: 1-line block ×3, first 2 shown]
	v_cvt_f32_i32_e32 v42, v42
	v_cvt_f32_i32_e32 v37, v37
	;; [unrolled: 1-line block ×4, first 2 shown]
	v_fmac_f32_e32 v75, v89, v42
	v_add_u32_e32 v42, 35, v36
	v_fma_f32 v72, v89, v37, v72
	v_fmac_f32_e32 v73, v89, v40
	v_fma_f32 v70, v89, v41, v70
	v_add_u32_e32 v37, 48, v36
	v_add_u32_e32 v40, 49, v36
	;; [unrolled: 1-line block ×4, first 2 shown]
	v_cvt_f32_i32_e32 v36, v36
	v_cvt_f32_i32_e32 v37, v37
	;; [unrolled: 1-line block ×3, first 2 shown]
	v_cmp_gt_i32_e64 s[28:29], s27, v34
	v_fmac_f32_e32 v67, v89, v36
	v_mov_b32_e32 v36, 0xff7fffff
	v_cmp_gt_i32_e64 s[30:31], s27, v35
	v_fma_f32 v68, v89, v37, v68
	v_cndmask_b32_e64 v37, v36, v52, s[28:29]
	v_cndmask_b32_e64 v35, v36, v53, s[30:31]
	v_fmac_f32_e32 v69, v89, v40
	v_max3_f32 v35, v37, s33, v35
	v_or_b32_e32 v37, 2, v34
	v_or_b32_e32 v40, 3, v34
	v_cmp_gt_i32_e64 s[34:35], s27, v37
	v_cmp_gt_i32_e64 s[36:37], s27, v40
	v_cvt_f32_i32_e32 v42, v42
	v_cndmask_b32_e64 v37, v36, v78, s[34:35]
	v_cndmask_b32_e64 v40, v36, v79, s[36:37]
	v_max3_f32 v35, v35, v37, v40
	v_or_b32_e32 v37, 16, v34
	v_or_b32_e32 v40, 17, v34
	v_cmp_gt_i32_e64 s[22:23], s27, v37
	v_cmp_gt_i32_e64 s[24:25], s27, v40
	v_fmac_f32_e32 v71, v89, v42
	v_cndmask_b32_e64 v37, v36, v76, s[22:23]
	v_cndmask_b32_e64 v40, v36, v77, s[24:25]
	v_max3_f32 v35, v35, v37, v40
	v_or_b32_e32 v37, 18, v34
	v_or_b32_e32 v40, 19, v34
	v_cmp_gt_i32_e64 s[18:19], s27, v37
	v_cmp_gt_i32_e64 s[20:21], s27, v40
	v_cvt_f32_i32_e32 v41, v41
	v_cndmask_b32_e64 v37, v36, v74, s[18:19]
	v_cndmask_b32_e64 v40, v36, v75, s[20:21]
	v_max3_f32 v35, v35, v37, v40
	v_or_b32_e32 v37, 32, v34
	v_or_b32_e32 v40, 33, v34
	v_cmp_gt_i32_e64 s[14:15], s27, v37
	v_cmp_gt_i32_e64 s[16:17], s27, v40
	v_fma_f32 v66, v89, v41, v66
	v_cndmask_b32_e64 v37, v36, v72, s[14:15]
	v_cndmask_b32_e64 v40, v36, v73, s[16:17]
	v_max3_f32 v35, v35, v37, v40
	v_or_b32_e32 v37, 34, v34
	v_or_b32_e32 v40, 35, v34
	v_cmp_gt_i32_e64 s[10:11], s27, v37
	v_cmp_gt_i32_e64 s[12:13], s27, v40
	s_nop 0
	v_cndmask_b32_e64 v37, v36, v70, s[10:11]
	v_cndmask_b32_e64 v40, v36, v71, s[12:13]
	v_max3_f32 v35, v35, v37, v40
	v_or_b32_e32 v37, 48, v34
	v_or_b32_e32 v40, 49, v34
	v_cmp_gt_i32_e64 s[6:7], s27, v37
	v_cmp_gt_i32_e64 s[8:9], s27, v40
	s_nop 0
	v_cndmask_b32_e64 v37, v36, v68, s[6:7]
	v_cndmask_b32_e64 v40, v36, v69, s[8:9]
	v_max3_f32 v35, v35, v37, v40
	v_or_b32_e32 v37, 50, v34
	v_or_b32_e32 v34, 51, v34
	v_cmp_gt_i32_e32 vcc, s27, v37
	v_cmp_gt_i32_e64 s[4:5], s27, v34
	global_load_dwordx4 v[46:49], v[38:39], off
	s_nop 0
	global_load_dwordx4 v[38:41], v[38:39], off offset:16
	v_cndmask_b32_e32 v37, v36, v66, vcc
	v_cndmask_b32_e64 v34, v36, v67, s[4:5]
	v_max3_f32 v58, v35, v37, v34
	v_mbcnt_lo_u32_b32 v34, -1, 0
	v_mbcnt_hi_u32_b32 v59, -1, v34
	v_and_b32_e32 v34, 64, v59
	v_add_u32_e32 v60, 64, v34
	v_xor_b32_e32 v34, 32, v59
	v_cmp_lt_i32_e64 s[38:39], v34, v60
	s_nop 1
	v_cndmask_b32_e64 v34, v59, v34, s[38:39]
	v_lshlrev_b32_e32 v87, 2, v34
	ds_bpermute_b32 v61, v87, v58
	v_lshl_add_u64 v[34:35], v[80:81], 0, v[54:55]
	global_load_dwordx4 v[42:45], v[34:35], off
	s_nop 0
	global_load_dwordx4 v[34:37], v[34:35], off offset:16
	s_waitcnt lgkmcnt(0)
	v_max_f32_e32 v54, v61, v61
	v_max_f32_e32 v62, v58, v54
	v_xor_b32_e32 v54, 16, v59
	v_cmp_lt_i32_e64 s[38:39], v54, v60
	s_nop 1
	v_cndmask_b32_e64 v54, v59, v54, s[38:39]
	v_lshlrev_b32_e32 v89, 2, v54
	ds_bpermute_b32 v63, v89, v62
	v_lshl_add_u64 v[54:55], v[80:81], 0, v[56:57]
	global_load_dwordx4 v[58:61], v[54:55], off
	s_nop 0
	global_load_dwordx4 v[54:57], v[54:55], off offset:16
	s_waitcnt lgkmcnt(0)
	v_max_f32_e32 v63, v63, v63
	v_max_f32_e32 v86, v62, v63
	v_sub_f32_e32 v52, v52, v86
	v_mul_f32_e32 v52, 0x3fb8aa3b, v52
	v_exp_f32_e32 v80, v52
	v_sub_f32_e32 v52, v53, v86
	v_mul_f32_e32 v52, 0x3fb8aa3b, v52
	v_exp_f32_e32 v81, v52
	global_load_dwordx4 v[62:65], v[50:51], off
	s_nop 0
	global_load_dwordx4 v[50:53], v[50:51], off offset:16
	v_sub_f32_e32 v78, v78, v86
	v_mul_f32_e32 v78, 0x3fb8aa3b, v78
	v_sub_f32_e32 v79, v79, v86
	v_exp_f32_e32 v78, v78
	v_mul_f32_e32 v79, 0x3fb8aa3b, v79
	v_sub_f32_e32 v76, v76, v86
	v_exp_f32_e32 v79, v79
	v_mul_f32_e32 v76, 0x3fb8aa3b, v76
	v_sub_f32_e32 v77, v77, v86
	v_cndmask_b32_e64 v80, 0, v80, s[28:29]
	v_exp_f32_e32 v76, v76
	v_mul_f32_e32 v77, 0x3fb8aa3b, v77
	v_sub_f32_e32 v74, v74, v86
	v_add_f32_e32 v91, 0, v80
	v_cndmask_b32_e64 v81, 0, v81, s[30:31]
	v_exp_f32_e32 v77, v77
	v_mul_f32_e32 v74, 0x3fb8aa3b, v74
	v_sub_f32_e32 v75, v75, v86
	v_add_f32_e32 v91, v91, v81
	;; [unrolled: 5-line block ×10, first 2 shown]
	v_cndmask_b32_e64 v70, 0, v70, s[10:11]
	v_exp_f32_e32 v66, v66
	v_mul_f32_e32 v67, 0x3fb8aa3b, v67
	v_add_f32_e32 v91, v91, v70
	v_cndmask_b32_e64 v71, 0, v71, s[12:13]
	v_exp_f32_e32 v67, v67
	v_add_f32_e32 v91, v91, v71
	v_cndmask_b32_e64 v68, 0, v68, s[6:7]
	v_add_f32_e32 v91, v91, v68
	v_cndmask_b32_e64 v69, 0, v69, s[8:9]
	v_add_f32_e32 v91, v91, v69
	v_cndmask_b32_e32 v66, 0, v66, vcc
	v_add_f32_e32 v91, v91, v66
	v_cndmask_b32_e64 v67, 0, v67, s[4:5]
	v_add_f32_e32 v91, v91, v67
	ds_bpermute_b32 v87, v87, v91
	s_load_dword s7, s[0:1], 0x98
	v_cmp_gt_u32_e32 vcc, 16, v85
	s_waitcnt lgkmcnt(0)
	s_barrier
	v_add_f32_e32 v87, v91, v87
	ds_bpermute_b32 v89, v89, v87
	s_waitcnt lgkmcnt(0)
	s_and_saveexec_b64 s[4:5], vcc
	s_cbranch_execz .LBB693_17
; %bb.16:
	v_add_f32_e32 v85, v87, v89
	v_lshlrev_b32_e32 v87, 2, v90
	ds_write2st64_b32 v87, v86, v85 offset1:1
.LBB693_17:
	s_or_b64 exec, exec, s[4:5]
	v_lshlrev_b32_e32 v85, 2, v84
	s_load_dword s6, s[0:1], 0x94
	s_waitcnt lgkmcnt(0)
	s_barrier
	ds_read2_b32 v[90:91], v85 offset1:16
	ds_read2_b32 v[92:93], v85 offset0:32 offset1:48
	ds_read2_b32 v[94:95], v85 offset0:64 offset1:80
	s_movk_i32 s8, 0x7fff
	s_mov_b32 s9, 0x7060302
	s_waitcnt lgkmcnt(2)
	v_max3_f32 v86, v90, s33, v91
	s_waitcnt lgkmcnt(1)
	v_max3_f32 v86, v86, v92, v93
	v_sub_f32_e32 v87, v90, v86
	v_mul_f32_e32 v87, 0x3fb8aa3b, v87
	v_exp_f32_e32 v89, v87
	v_sub_f32_e32 v87, v91, v86
	v_mul_f32_e32 v87, 0x3fb8aa3b, v87
	v_exp_f32_e32 v88, v87
	v_sub_f32_e32 v87, v92, v86
	v_mul_f32_e32 v87, 0x3fb8aa3b, v87
	ds_read2_b32 v[90:91], v85 offset0:96 offset1:112
	v_sub_f32_e32 v85, v93, v86
	v_exp_f32_e32 v92, v87
	v_mul_f32_e32 v85, 0x3fb8aa3b, v85
	v_exp_f32_e32 v85, v85
	s_waitcnt lgkmcnt(1)
	v_fma_f32 v87, v89, v94, 0
	v_fmac_f32_e32 v87, v88, v95
	s_waitcnt lgkmcnt(0)
	v_fmac_f32_e32 v87, v92, v90
	v_fmac_f32_e32 v87, v85, v91
	v_add_f32_e32 v90, 0x358637bd, v87
	v_div_scale_f32 v91, s[4:5], v90, v90, 1.0
	v_rcp_f32_e32 v93, v91
	s_mul_i32 s7, s7, 6
	s_barrier
	v_fma_f32 v94, -v91, v93, 1.0
	v_fmac_f32_e32 v93, v94, v93
	v_div_scale_f32 v94, vcc, 1.0, v90, 1.0
	v_mul_f32_e32 v95, v94, v93
	v_fma_f32 v1, -v91, v95, v94
	v_fmac_f32_e32 v95, v1, v93
	v_fma_f32 v1, -v91, v95, v94
	v_lshrrev_b32_e32 v91, 6, v0
	v_div_fmas_f32 v1, v1, v93, v95
	v_cmp_eq_u32_e32 vcc, 1, v91
	v_div_fixup_f32 v1, v1, v90, 1.0
	s_nop 0
	v_cndmask_b32_e32 v88, v89, v88, vcc
	v_cmp_eq_u32_e32 vcc, 2, v91
	s_nop 1
	v_cndmask_b32_e32 v88, v88, v92, vcc
	v_cmp_eq_u32_e32 vcc, 3, v91
	s_nop 1
	v_cndmask_b32_e32 v85, v88, v85, vcc
	v_mul_f32_e32 v90, v85, v1
	v_pk_mul_f32 v[80:81], v[90:91], v[80:81] op_sel_hi:[0,1]
	v_bfe_u32 v1, v81, 16, 1
	v_bfe_u32 v85, v80, 16, 1
	v_pk_mul_f32 v[78:79], v[90:91], v[78:79] op_sel_hi:[0,1]
	v_add3_u32 v80, v80, v85, s8
	v_add3_u32 v1, v81, v1, s8
	v_perm_b32 v80, v1, v80, s9
	v_bfe_u32 v1, v79, 16, 1
	v_bfe_u32 v81, v78, 16, 1
	v_add3_u32 v78, v78, v81, s8
	v_add3_u32 v1, v79, v1, s8
	v_bfe_u32 v88, v0, 4, 2
	v_perm_b32 v81, v1, v78, s9
	v_lshlrev_b32_e32 v1, 3, v88
	v_lshlrev_b32_e32 v78, 5, v84
	v_lshlrev_b32_e32 v79, 11, v91
	v_pk_mul_f32 v[76:77], v[90:91], v[76:77] op_sel_hi:[0,1]
	v_or3_b32 v1, v79, v78, v1
	v_bfe_u32 v79, v77, 16, 1
	v_bfe_u32 v85, v76, 16, 1
	v_pk_mul_f32 v[74:75], v[90:91], v[74:75] op_sel_hi:[0,1]
	v_add3_u32 v76, v76, v85, s8
	v_add3_u32 v77, v77, v79, s8
	v_perm_b32 v76, v77, v76, s9
	v_bfe_u32 v77, v75, 16, 1
	v_bfe_u32 v79, v74, 16, 1
	v_add3_u32 v74, v74, v79, s8
	v_add3_u32 v75, v75, v77, s8
	v_pk_mul_f32 v[72:73], v[90:91], v[72:73] op_sel_hi:[0,1]
	v_perm_b32 v77, v75, v74, s9
	v_bfe_u32 v74, v73, 16, 1
	v_bfe_u32 v75, v72, 16, 1
	v_pk_mul_f32 v[70:71], v[90:91], v[70:71] op_sel_hi:[0,1]
	v_add3_u32 v72, v72, v75, s8
	v_add3_u32 v73, v73, v74, s8
	v_perm_b32 v72, v73, v72, s9
	v_bfe_u32 v73, v71, 16, 1
	v_bfe_u32 v74, v70, 16, 1
	v_add3_u32 v70, v70, v74, s8
	v_add3_u32 v71, v71, v73, s8
	v_pk_mul_f32 v[68:69], v[90:91], v[68:69] op_sel_hi:[0,1]
	v_perm_b32 v73, v71, v70, s9
	v_bfe_u32 v70, v69, 16, 1
	v_bfe_u32 v71, v68, 16, 1
	v_pk_mul_f32 v[66:67], v[90:91], v[66:67] op_sel_hi:[0,1]
	v_add3_u32 v68, v68, v71, s8
	v_add3_u32 v69, v69, v70, s8
	v_perm_b32 v68, v69, v68, s9
	v_bfe_u32 v69, v67, 16, 1
	v_bfe_u32 v70, v66, 16, 1
	v_add3_u32 v66, v66, v70, s8
	v_add3_u32 v67, v67, v69, s8
	v_perm_b32 v69, v67, v66, s9
	v_cmp_gt_u32_e32 vcc, 6, v0
	ds_write2st64_b64 v1, v[80:81], v[76:77] offset1:1
	ds_write2st64_b64 v1, v[72:73], v[68:69] offset0:2 offset1:3
	s_and_saveexec_b64 s[4:5], vcc
	s_cbranch_execz .LBB693_19
; %bb.18:
	s_mov_b32 s41, 0
	v_mov_b32_e32 v85, 0
	v_lshl_add_u64 v[66:67], s[40:41], 0, v[84:85]
	v_mov_b32_e32 v68, s7
	v_mad_u64_u32 v[66:67], s[10:11], s2, v68, v[66:67]
	s_mul_i32 s3, s3, s7
	v_mov_b32_e32 v68, s26
	v_mov_b32_e32 v69, v85
	s_load_dwordx4 s[12:15], s[0:1], 0x58
	v_add_u32_e32 v70, s3, v67
	v_mad_u64_u32 v[66:67], s[10:11], v66, s6, v[68:69]
	v_mov_b32_e32 v68, v67
	v_mad_u64_u32 v[68:69], s[10:11], v70, s6, v[68:69]
	v_mov_b32_e32 v67, v68
	v_lshlrev_b64 v[66:67], 2, v[66:67]
	s_waitcnt lgkmcnt(0)
	v_lshl_add_u64 v[68:69], s[14:15], 0, v[66:67]
	v_lshl_add_u64 v[66:67], s[12:13], 0, v[66:67]
	global_store_dword v[68:69], v86, off
	global_store_dword v[66:67], v87, off
.LBB693_19:
	s_or_b64 exec, exec, s[4:5]
	v_lshl_or_b32 v78, v88, 9, v78
	s_waitcnt lgkmcnt(0)
	s_barrier
	ds_read_b128 v[70:73], v78
	ds_read_b128 v[66:69], v78 offset:16
	s_waitcnt vmcnt(15) lgkmcnt(1)
	v_mfma_f32_16x16x16_bf16 v[74:77], v[30:31], v[70:71], 0
	s_mov_b32 s3, 0
	v_cmp_gt_u32_e32 vcc, 64, v0
	v_mfma_f32_16x16x16_bf16 v[30:33], v[32:33], v[72:73], v[74:77]
	s_waitcnt vmcnt(14) lgkmcnt(0)
	v_mfma_f32_16x16x16_bf16 v[30:33], v[26:27], v[66:67], v[30:33]
	v_mfma_f32_16x16x16_bf16 v[26:29], v[28:29], v[68:69], v[30:33]
	s_nop 5
	ds_read_b128 v[30:33], v78 offset:2048
	ds_read_b128 v[74:77], v78 offset:2064
	s_waitcnt vmcnt(13) lgkmcnt(1)
	v_mfma_f32_16x16x16_bf16 v[26:29], v[22:23], v[30:31], v[26:29]
	v_mfma_f32_16x16x16_bf16 v[22:25], v[24:25], v[32:33], v[26:29]
	s_waitcnt vmcnt(12) lgkmcnt(0)
	v_mfma_f32_16x16x16_bf16 v[22:25], v[18:19], v[74:75], v[22:25]
	v_mfma_f32_16x16x16_bf16 v[18:21], v[20:21], v[76:77], v[22:25]
	s_nop 5
	ds_read_b128 v[22:25], v78 offset:4096
	ds_read_b128 v[26:29], v78 offset:4112
	s_waitcnt vmcnt(11) lgkmcnt(1)
	v_mfma_f32_16x16x16_bf16 v[18:21], v[14:15], v[22:23], v[18:21]
	v_mfma_f32_16x16x16_bf16 v[14:17], v[16:17], v[24:25], v[18:21]
	s_waitcnt vmcnt(10) lgkmcnt(0)
	v_mfma_f32_16x16x16_bf16 v[14:17], v[10:11], v[26:27], v[14:17]
	v_mfma_f32_16x16x16_bf16 v[10:13], v[12:13], v[28:29], v[14:17]
	s_nop 5
	ds_read_b128 v[14:17], v78 offset:6144
	ds_read_b128 v[18:21], v78 offset:6160
	s_waitcnt lgkmcnt(0)
	s_barrier
	s_waitcnt vmcnt(9)
	v_mfma_f32_16x16x16_bf16 v[10:13], v[6:7], v[14:15], v[10:13]
	v_mfma_f32_16x16x16_bf16 v[6:9], v[8:9], v[16:17], v[10:13]
	s_waitcnt vmcnt(8)
	v_mfma_f32_16x16x16_bf16 v[6:9], v[2:3], v[18:19], v[6:9]
	v_mfma_f32_16x16x16_bf16 v[2:5], v[4:5], v[20:21], v[6:9]
	;; [unrolled: 3-line block ×3, first 2 shown]
	s_nop 3
	v_bfe_u32 v10, v3, 16, 1
	v_bfe_u32 v11, v2, 16, 1
	v_add3_u32 v2, v2, v11, s8
	s_waitcnt vmcnt(6)
	v_mfma_f32_16x16x16_bf16 v[6:9], v[38:39], v[66:67], v[6:9]
	v_add3_u32 v3, v3, v10, s8
	v_perm_b32 v10, v3, v2, s9
	v_bfe_u32 v2, v5, 16, 1
	v_mfma_f32_16x16x16_bf16 v[6:9], v[40:41], v[68:69], v[6:9]
	v_bfe_u32 v3, v4, 16, 1
	v_add3_u32 v3, v4, v3, s8
	v_add3_u32 v2, v5, v2, s8
	s_waitcnt vmcnt(5)
	v_mfma_f32_16x16x16_bf16 v[6:9], v[42:43], v[30:31], v[6:9]
	v_perm_b32 v11, v2, v3, s9
	v_mfma_f32_16x16x16_bf16 v[6:9], v[44:45], v[32:33], v[6:9]
	s_waitcnt vmcnt(4)
	v_mfma_f32_16x16x16_bf16 v[6:9], v[34:35], v[74:75], v[6:9]
	v_mfma_f32_16x16x16_bf16 v[6:9], v[36:37], v[76:77], v[6:9]
	s_waitcnt vmcnt(3)
	v_mfma_f32_16x16x16_bf16 v[6:9], v[58:59], v[22:23], v[6:9]
	;; [unrolled: 3-line block ×5, first 2 shown]
	v_mfma_f32_16x16x16_bf16 v[2:5], v[52:53], v[20:21], v[6:9]
	s_nop 6
	v_bfe_u32 v6, v3, 16, 1
	v_bfe_u32 v7, v2, 16, 1
	v_add3_u32 v2, v2, v7, s8
	v_add3_u32 v3, v3, v6, s8
	v_perm_b32 v2, v3, v2, s9
	v_bfe_u32 v3, v5, 16, 1
	v_bfe_u32 v6, v4, 16, 1
	v_add3_u32 v4, v4, v6, s8
	v_add3_u32 v3, v5, v3, s8
	v_perm_b32 v3, v3, v4, s9
	ds_write2st64_b64 v1, v[10:11], v[2:3] offset1:1
	s_waitcnt lgkmcnt(0)
	s_barrier
	s_and_saveexec_b64 s[4:5], vcc
	s_cbranch_execz .LBB693_22
; %bb.20:
	s_load_dwordx2 s[4:5], s[0:1], 0x68
	s_lshl_b32 s0, s6, 7
	s_mul_i32 s1, s7, s2
	v_lshlrev_b32_e32 v4, 6, v84
	s_mul_hi_u32 s7, s1, s0
	s_mul_i32 s6, s1, s0
	v_lshlrev_b32_e32 v3, 4, v0
	v_lshl_or_b32 v0, v0, 10, v4
	s_lshl_b64 s[6:7], s[6:7], 1
	v_lshlrev_b32_e32 v1, 5, v88
	v_and_b32_e32 v3, 16, v3
	v_and_b32_e32 v0, 0x1a00, v0
	s_waitcnt lgkmcnt(0)
	s_add_u32 s1, s4, s6
	v_or3_b32 v3, v0, v1, v3
	s_addc_u32 s4, s5, s7
	s_lshl_b32 s2, s26, 7
	s_lshl_b64 s[2:3], s[2:3], 1
	ds_read_b128 v[4:7], v3
	s_add_u32 s2, s1, s2
	s_addc_u32 s3, s4, s3
	v_add_u32_e32 v8, s40, v88
	v_or_b32_e32 v2, 4, v88
	v_lshl_add_u64 v[0:1], v[82:83], 1, s[2:3]
	v_mad_u64_u32 v[8:9], s[2:3], v8, s0, 0
	v_lshl_add_u64 v[8:9], v[8:9], 1, v[0:1]
	v_cmp_gt_u32_e32 vcc, 6, v2
	s_waitcnt lgkmcnt(0)
	global_store_dwordx4 v[8:9], v[4:7], off
	s_and_b64 exec, exec, vcc
	s_cbranch_execz .LBB693_22
; %bb.21:
	ds_read_b128 v[4:7], v3 offset:128
	v_add_u32_e32 v2, s40, v2
	v_mad_u64_u32 v[2:3], s[0:1], v2, s0, 0
	v_lshl_add_u64 v[0:1], v[2:3], 1, v[0:1]
	s_waitcnt lgkmcnt(0)
	global_store_dwordx4 v[0:1], v[4:7], off
.LBB693_22:
	s_endpgm
	.section	.rodata,"a",@progbits
	.p2align	6, 0x0
	.amdhsa_kernel _Z39paged_attention_ll4mi_QKV_mfma16_kernelI14__hip_bfloat16S0_LN4vllm18Fp8KVCacheDataTypeE0EhLi32ELi128ELi256ELb1ELi6EEvPKT_PKT0_S8_ifPKiSA_SA_iPKfiiiPfSD_PS3_PT2_iSC_SC_
		.amdhsa_group_segment_fixed_size 8192
		.amdhsa_private_segment_fixed_size 0
		.amdhsa_kernarg_size 400
		.amdhsa_user_sgpr_count 2
		.amdhsa_user_sgpr_dispatch_ptr 0
		.amdhsa_user_sgpr_queue_ptr 0
		.amdhsa_user_sgpr_kernarg_segment_ptr 1
		.amdhsa_user_sgpr_dispatch_id 0
		.amdhsa_user_sgpr_kernarg_preload_length 0
		.amdhsa_user_sgpr_kernarg_preload_offset 0
		.amdhsa_user_sgpr_private_segment_size 0
		.amdhsa_uses_dynamic_stack 0
		.amdhsa_enable_private_segment 0
		.amdhsa_system_sgpr_workgroup_id_x 1
		.amdhsa_system_sgpr_workgroup_id_y 1
		.amdhsa_system_sgpr_workgroup_id_z 1
		.amdhsa_system_sgpr_workgroup_info 0
		.amdhsa_system_vgpr_workitem_id 0
		.amdhsa_next_free_vgpr 96
		.amdhsa_next_free_sgpr 42
		.amdhsa_accum_offset 96
		.amdhsa_reserve_vcc 1
		.amdhsa_float_round_mode_32 0
		.amdhsa_float_round_mode_16_64 0
		.amdhsa_float_denorm_mode_32 3
		.amdhsa_float_denorm_mode_16_64 3
		.amdhsa_dx10_clamp 1
		.amdhsa_ieee_mode 1
		.amdhsa_fp16_overflow 0
		.amdhsa_tg_split 0
		.amdhsa_exception_fp_ieee_invalid_op 0
		.amdhsa_exception_fp_denorm_src 0
		.amdhsa_exception_fp_ieee_div_zero 0
		.amdhsa_exception_fp_ieee_overflow 0
		.amdhsa_exception_fp_ieee_underflow 0
		.amdhsa_exception_fp_ieee_inexact 0
		.amdhsa_exception_int_div_zero 0
	.end_amdhsa_kernel
	.section	.text._Z39paged_attention_ll4mi_QKV_mfma16_kernelI14__hip_bfloat16S0_LN4vllm18Fp8KVCacheDataTypeE0EhLi32ELi128ELi256ELb1ELi6EEvPKT_PKT0_S8_ifPKiSA_SA_iPKfiiiPfSD_PS3_PT2_iSC_SC_,"axG",@progbits,_Z39paged_attention_ll4mi_QKV_mfma16_kernelI14__hip_bfloat16S0_LN4vllm18Fp8KVCacheDataTypeE0EhLi32ELi128ELi256ELb1ELi6EEvPKT_PKT0_S8_ifPKiSA_SA_iPKfiiiPfSD_PS3_PT2_iSC_SC_,comdat
.Lfunc_end693:
	.size	_Z39paged_attention_ll4mi_QKV_mfma16_kernelI14__hip_bfloat16S0_LN4vllm18Fp8KVCacheDataTypeE0EhLi32ELi128ELi256ELb1ELi6EEvPKT_PKT0_S8_ifPKiSA_SA_iPKfiiiPfSD_PS3_PT2_iSC_SC_, .Lfunc_end693-_Z39paged_attention_ll4mi_QKV_mfma16_kernelI14__hip_bfloat16S0_LN4vllm18Fp8KVCacheDataTypeE0EhLi32ELi128ELi256ELb1ELi6EEvPKT_PKT0_S8_ifPKiSA_SA_iPKfiiiPfSD_PS3_PT2_iSC_SC_
                                        ; -- End function
	.section	.AMDGPU.csdata,"",@progbits
; Kernel info:
; codeLenInByte = 5176
; NumSgprs: 48
; NumVgprs: 96
; NumAgprs: 0
; TotalNumVgprs: 96
; ScratchSize: 0
; MemoryBound: 0
; FloatMode: 240
; IeeeMode: 1
; LDSByteSize: 8192 bytes/workgroup (compile time only)
; SGPRBlocks: 5
; VGPRBlocks: 11
; NumSGPRsForWavesPerEU: 48
; NumVGPRsForWavesPerEU: 96
; AccumOffset: 96
; Occupancy: 5
; WaveLimiterHint : 1
; COMPUTE_PGM_RSRC2:SCRATCH_EN: 0
; COMPUTE_PGM_RSRC2:USER_SGPR: 2
; COMPUTE_PGM_RSRC2:TRAP_HANDLER: 0
; COMPUTE_PGM_RSRC2:TGID_X_EN: 1
; COMPUTE_PGM_RSRC2:TGID_Y_EN: 1
; COMPUTE_PGM_RSRC2:TGID_Z_EN: 1
; COMPUTE_PGM_RSRC2:TIDIG_COMP_CNT: 0
; COMPUTE_PGM_RSRC3_GFX90A:ACCUM_OFFSET: 23
; COMPUTE_PGM_RSRC3_GFX90A:TG_SPLIT: 0
	.section	.text._Z39paged_attention_ll4mi_QKV_mfma16_kernelI14__hip_bfloat16S0_LN4vllm18Fp8KVCacheDataTypeE0EhLi32ELi128ELi256ELb1ELi7EEvPKT_PKT0_S8_ifPKiSA_SA_iPKfiiiPfSD_PS3_PT2_iSC_SC_,"axG",@progbits,_Z39paged_attention_ll4mi_QKV_mfma16_kernelI14__hip_bfloat16S0_LN4vllm18Fp8KVCacheDataTypeE0EhLi32ELi128ELi256ELb1ELi7EEvPKT_PKT0_S8_ifPKiSA_SA_iPKfiiiPfSD_PS3_PT2_iSC_SC_,comdat
	.protected	_Z39paged_attention_ll4mi_QKV_mfma16_kernelI14__hip_bfloat16S0_LN4vllm18Fp8KVCacheDataTypeE0EhLi32ELi128ELi256ELb1ELi7EEvPKT_PKT0_S8_ifPKiSA_SA_iPKfiiiPfSD_PS3_PT2_iSC_SC_ ; -- Begin function _Z39paged_attention_ll4mi_QKV_mfma16_kernelI14__hip_bfloat16S0_LN4vllm18Fp8KVCacheDataTypeE0EhLi32ELi128ELi256ELb1ELi7EEvPKT_PKT0_S8_ifPKiSA_SA_iPKfiiiPfSD_PS3_PT2_iSC_SC_
	.globl	_Z39paged_attention_ll4mi_QKV_mfma16_kernelI14__hip_bfloat16S0_LN4vllm18Fp8KVCacheDataTypeE0EhLi32ELi128ELi256ELb1ELi7EEvPKT_PKT0_S8_ifPKiSA_SA_iPKfiiiPfSD_PS3_PT2_iSC_SC_
	.p2align	8
	.type	_Z39paged_attention_ll4mi_QKV_mfma16_kernelI14__hip_bfloat16S0_LN4vllm18Fp8KVCacheDataTypeE0EhLi32ELi128ELi256ELb1ELi7EEvPKT_PKT0_S8_ifPKiSA_SA_iPKfiiiPfSD_PS3_PT2_iSC_SC_,@function
_Z39paged_attention_ll4mi_QKV_mfma16_kernelI14__hip_bfloat16S0_LN4vllm18Fp8KVCacheDataTypeE0EhLi32ELi128ELi256ELb1ELi7EEvPKT_PKT0_S8_ifPKiSA_SA_iPKfiiiPfSD_PS3_PT2_iSC_SC_: ; @_Z39paged_attention_ll4mi_QKV_mfma16_kernelI14__hip_bfloat16S0_LN4vllm18Fp8KVCacheDataTypeE0EhLi32ELi128ELi256ELb1ELi7EEvPKT_PKT0_S8_ifPKiSA_SA_iPKfiiiPfSD_PS3_PT2_iSC_SC_
; %bb.0:
	s_load_dwordx2 s[8:9], s[0:1], 0x30
	s_mov_b32 s26, s3
	s_mov_b64 s[6:7], 0
	s_waitcnt lgkmcnt(0)
	s_cmp_lg_u64 s[8:9], 0
	s_cselect_b64 s[10:11], -1, 0
	s_and_b64 vcc, exec, s[10:11]
	s_cbranch_vccz .LBB694_7
; %bb.1:
	s_add_i32 s12, s2, 1
	s_mov_b32 s13, 0
	s_lshl_b64 s[14:15], s[12:13], 2
	s_add_u32 s14, s8, s14
	s_mov_b32 s3, s13
	s_addc_u32 s15, s9, s15
	s_lshl_b64 s[12:13], s[2:3], 2
	s_add_u32 s12, s8, s12
	s_addc_u32 s13, s9, s13
	s_load_dword s5, s[14:15], 0x0
	s_load_dword s16, s[12:13], 0x0
	s_waitcnt lgkmcnt(0)
	s_sub_i32 s5, s5, s16
	s_cmp_eq_u32 s5, 1
	s_cselect_b64 s[12:13], -1, 0
	s_andn2_b64 vcc, exec, s[6:7]
	s_cbranch_vccnz .LBB694_3
.LBB694_2:
	s_mov_b32 s3, 0
	s_mov_b64 s[12:13], -1
.LBB694_3:
	s_andn2_b64 vcc, exec, s[12:13]
	s_cbranch_vccnz .LBB694_22
; %bb.4:
	s_load_dwordx2 s[6:7], s[0:1], 0x28
	s_lshl_b64 s[12:13], s[2:3], 2
	s_waitcnt lgkmcnt(0)
	s_add_u32 s6, s6, s12
	s_addc_u32 s7, s7, s13
	s_load_dword s27, s[6:7], 0x0
	s_lshl_b32 s18, s26, 8
	s_waitcnt lgkmcnt(0)
	s_cmp_ge_i32 s18, s27
	s_cbranch_scc1 .LBB694_22
; %bb.5:
	s_load_dwordx2 s[6:7], s[0:1], 0x20
	s_load_dword s5, s[0:1], 0x38
	s_add_i32 s14, s27, 31
	s_ashr_i32 s15, s14, 31
	v_and_b32_e32 v1, 0xcf, v0
	s_lshr_b32 s15, s15, 27
	v_add_u32_e32 v1, s18, v1
	s_add_i32 s14, s14, s15
	v_ashrrev_i32_e32 v2, 31, v1
	s_ashr_i32 s19, s14, 5
	v_lshrrev_b32_e32 v4, 27, v2
	s_add_i32 s19, s19, -1
	s_waitcnt lgkmcnt(0)
	s_mul_i32 s14, s2, s5
	s_mov_b32 s15, 0
	v_add_u32_e32 v2, v1, v4
	s_lshl_b64 s[14:15], s[14:15], 2
	v_ashrrev_i32_e32 v2, 5, v2
	v_mov_b32_e32 v5, s19
	v_cmp_gt_i32_e32 vcc, s27, v1
	s_add_u32 s6, s6, s14
	s_addc_u32 s7, s7, s15
	v_cndmask_b32_e32 v2, v5, v2, vcc
	v_ashrrev_i32_e32 v3, 31, v2
	v_lshl_add_u64 v[6:7], v[2:3], 2, s[6:7]
	v_or_b32_e32 v2, 16, v1
	v_add_u32_e32 v3, v2, v4
	v_ashrrev_i32_e32 v3, 5, v3
	v_cmp_gt_i32_e32 vcc, s27, v2
	s_nop 1
	v_cndmask_b32_e32 v2, v5, v3, vcc
	v_ashrrev_i32_e32 v3, 31, v2
	v_lshl_add_u64 v[8:9], v[2:3], 2, s[6:7]
	v_or_b32_e32 v2, 32, v1
	v_add_u32_e32 v3, v2, v4
	v_ashrrev_i32_e32 v3, 5, v3
	v_cmp_gt_i32_e32 vcc, s27, v2
	v_or_b32_e32 v1, 48, v1
	s_nop 0
	v_cndmask_b32_e32 v2, v5, v3, vcc
	v_ashrrev_i32_e32 v3, 31, v2
	v_lshl_add_u64 v[10:11], v[2:3], 2, s[6:7]
	v_add_u32_e32 v2, v1, v4
	v_ashrrev_i32_e32 v2, 5, v2
	v_cmp_gt_i32_e32 vcc, s27, v1
	s_nop 1
	v_cndmask_b32_e32 v2, v5, v2, vcc
	v_ashrrev_i32_e32 v3, 31, v2
	v_lshl_add_u64 v[12:13], v[2:3], 2, s[6:7]
	global_load_dword v5, v[6:7], off
	global_load_dword v4, v[8:9], off
	;; [unrolled: 1-line block ×4, first 2 shown]
	s_andn2_b64 vcc, exec, s[10:11]
	s_cbranch_vccnz .LBB694_8
; %bb.6:
	s_add_u32 s8, s8, s12
	s_addc_u32 s9, s9, s13
	s_load_dword s5, s[8:9], 0x0
	s_branch .LBB694_9
.LBB694_7:
	s_mov_b64 s[12:13], 0
	s_branch .LBB694_2
.LBB694_8:
	s_mov_b32 s5, s2
.LBB694_9:
	s_load_dwordx2 s[14:15], s[0:1], 0x8
	s_load_dwordx4 s[8:11], s[0:1], 0x48
	v_lshrrev_b32_e32 v88, 6, v0
	v_bfe_u32 v1, v0, 4, 2
	v_lshl_or_b32 v6, v88, 2, v1
	v_and_b32_e32 v84, 15, v0
	v_lshlrev_b32_e32 v82, 3, v84
	v_cmp_lt_u32_e32 vcc, 6, v6
	s_and_saveexec_b64 s[12:13], vcc
	s_xor_b64 s[12:13], exec, s[12:13]
; %bb.10:
	v_mov_b32_e32 v83, 0
                                        ; implicit-def: $vgpr6
; %bb.11:
	s_or_saveexec_b64 s[16:17], s[12:13]
	s_load_dwordx2 s[12:13], s[0:1], 0x10
	s_mul_i32 s40, s4, 7
	s_xor_b64 exec, exec, s[16:17]
	s_cbranch_execz .LBB694_13
; %bb.12:
	s_load_dwordx2 s[20:21], s[0:1], 0x0
	s_waitcnt lgkmcnt(0)
	s_ashr_i32 s11, s8, 31
	s_mul_hi_u32 s22, s5, s8
	s_mul_i32 s11, s5, s11
	s_add_i32 s23, s22, s11
	s_mul_i32 s22, s5, s8
	s_lshl_b64 s[22:23], s[22:23], 1
	s_add_u32 s20, s20, s22
	v_add_lshl_u32 v8, v6, s40, 7
	s_addc_u32 s21, s21, s23
	v_ashrrev_i32_e32 v9, 31, v8
	v_mov_b32_e32 v83, 0
	v_lshl_add_u64 v[8:9], v[8:9], 1, s[20:21]
	v_lshlrev_b32_e32 v10, 1, v82
	v_mov_b32_e32 v11, v83
	v_lshl_add_u64 v[8:9], v[8:9], 0, v[10:11]
	global_load_dwordx4 v[8:11], v[8:9], off
	v_and_b32_e32 v7, 3, v0
	v_lshlrev_b32_e32 v12, 9, v84
	v_lshlrev_b32_e32 v6, 5, v6
	;; [unrolled: 1-line block ×3, first 2 shown]
	v_and_b32_e32 v12, 0x1800, v12
	v_or3_b32 v6, v12, v7, v6
	s_waitcnt vmcnt(0)
	ds_write_b128 v6, v[8:11]
.LBB694_13:
	s_or_b64 exec, exec, s[16:17]
	s_waitcnt lgkmcnt(0)
	s_mul_i32 s4, s4, s10
	s_mov_b32 s5, 0
	s_lshl_b64 s[4:5], s[4:5], 1
	s_add_u32 s10, s14, s4
	s_addc_u32 s11, s15, s5
	s_waitcnt vmcnt(3)
	v_mad_i64_i32 v[6:7], s[14:15], v5, s9, 0
	v_lshl_add_u64 v[6:7], v[6:7], 1, s[10:11]
	v_lshlrev_b64 v[8:9], 1, v[82:83]
	v_lshlrev_b32_e32 v86, 9, v1
	v_lshl_add_u64 v[6:7], v[6:7], 0, v[8:9]
	v_mov_b32_e32 v87, 0
	v_lshl_add_u64 v[10:11], v[6:7], 0, v[86:87]
	v_or_b32_e32 v14, 0x1000, v86
	v_mov_b32_e32 v15, v87
	v_or_b32_e32 v16, 0x1800, v86
	v_mov_b32_e32 v17, v87
	s_barrier
	global_load_dwordx4 v[66:69], v[10:11], off
	global_load_dwordx4 v[62:65], v[10:11], off offset:2048
	v_lshl_add_u64 v[10:11], v[6:7], 0, v[14:15]
	v_lshl_add_u64 v[6:7], v[6:7], 0, v[16:17]
	global_load_dwordx4 v[78:81], v[10:11], off
	global_load_dwordx4 v[74:77], v[6:7], off
	s_waitcnt vmcnt(6)
	v_mad_i64_i32 v[4:5], s[14:15], v4, s9, 0
	v_mov_b32_e32 v6, 0x100
	v_lshl_add_u64 v[4:5], v[4:5], 1, s[10:11]
	v_lshl_or_b32 v6, v84, 4, v6
	v_mov_b32_e32 v7, v87
	v_lshl_add_u64 v[4:5], v[4:5], 0, v[6:7]
	v_lshl_add_u64 v[10:11], v[4:5], 0, v[86:87]
	global_load_dwordx4 v[70:73], v[10:11], off
	global_load_dwordx4 v[58:61], v[10:11], off offset:2048
	v_lshl_add_u64 v[10:11], v[4:5], 0, v[14:15]
	v_lshl_add_u64 v[4:5], v[4:5], 0, v[16:17]
	global_load_dwordx4 v[54:57], v[10:11], off
	global_load_dwordx4 v[30:33], v[4:5], off
	s_waitcnt vmcnt(9)
	v_mad_i64_i32 v[4:5], s[14:15], v3, s9, 0
	v_lshl_add_u64 v[4:5], v[4:5], 1, s[10:11]
	s_waitcnt vmcnt(8)
	v_mad_i64_i32 v[2:3], s[14:15], v2, s9, 0
	v_lshl_add_u64 v[4:5], v[4:5], 0, v[8:9]
	v_lshl_add_u64 v[2:3], v[2:3], 1, s[10:11]
	v_lshl_add_u64 v[8:9], v[4:5], 0, v[86:87]
	v_lshl_add_u64 v[34:35], v[2:3], 0, v[6:7]
	global_load_dwordx4 v[26:29], v[8:9], off
	global_load_dwordx4 v[22:25], v[8:9], off offset:2048
	v_lshl_add_u64 v[8:9], v[4:5], 0, v[14:15]
	v_lshl_add_u64 v[4:5], v[4:5], 0, v[16:17]
	;; [unrolled: 1-line block ×4, first 2 shown]
	global_load_dwordx4 v[18:21], v[8:9], off
	global_load_dwordx4 v[10:13], v[4:5], off
	s_nop 0
	global_load_dwordx4 v[6:9], v[2:3], off
	s_nop 0
	global_load_dwordx4 v[2:5], v[2:3], off offset:2048
	v_lshl_add_u64 v[16:17], v[34:35], 0, v[16:17]
	global_load_dwordx4 v[38:41], v[14:15], off
	global_load_dwordx4 v[34:37], v[16:17], off
	v_mul_lo_u16_e32 v14, 37, v84
	v_mov_b32_e32 v15, 7
	v_mul_lo_u16_sdwa v14, v14, v15 dst_sel:DWORD dst_unused:UNUSED_PAD src0_sel:BYTE_1 src1_sel:DWORD
	v_sub_u16_e32 v14, v84, v14
	v_and_b32_e32 v14, 0xff, v14
	v_lshl_add_u32 v42, v14, 5, v86
	ds_read_b128 v[14:17], v42
	ds_read_b128 v[50:53], v42 offset:2048
	ds_read_b128 v[46:49], v42 offset:4096
	ds_read_b128 v[42:45], v42 offset:6144
	v_and_b32_e32 v85, 63, v0
	v_cmp_gt_u32_e32 vcc, 7, v84
	v_mov_b32_e32 v89, 0
	s_and_saveexec_b64 s[10:11], vcc
	s_cbranch_execz .LBB694_15
; %bb.14:
	s_load_dwordx2 s[14:15], s[0:1], 0x40
	v_add_u32_e32 v90, s40, v84
	v_ashrrev_i32_e32 v91, 31, v90
	s_waitcnt lgkmcnt(0)
	v_lshl_add_u64 v[90:91], v[90:91], 2, s[14:15]
	global_load_dword v89, v[90:91], off
.LBB694_15:
	s_or_b64 exec, exec, s[10:11]
	s_waitcnt vmcnt(15) lgkmcnt(3)
	v_mfma_f32_16x16x16_bf16 v[90:93], v[66:67], v[14:15], 0
	s_ashr_i32 s8, s18, 31
	s_lshr_b32 s8, s8, 27
	s_add_u32 s4, s12, s4
	v_mfma_f32_16x16x16_bf16 v[66:69], v[68:69], v[16:17], v[90:93]
	s_addc_u32 s5, s13, s5
	s_mov_b32 s33, 0xff7fffff
	s_waitcnt vmcnt(14) lgkmcnt(2)
	v_mfma_f32_16x16x16_bf16 v[66:69], v[62:63], v[50:51], v[66:69]
	v_lshl_or_b32 v90, v88, 4, v84
	v_mfma_f32_16x16x16_bf16 v[62:65], v[64:65], v[52:53], v[66:69]
	s_waitcnt vmcnt(13) lgkmcnt(1)
	v_mfma_f32_16x16x16_bf16 v[62:65], v[78:79], v[46:47], v[62:65]
	v_mfma_f32_16x16x16_bf16 v[62:65], v[80:81], v[48:49], v[62:65]
	s_waitcnt vmcnt(12) lgkmcnt(0)
	v_mfma_f32_16x16x16_bf16 v[62:65], v[74:75], v[42:43], v[62:65]
	v_and_or_b32 v74, v0, 48, s18
	v_add_u32_e32 v66, s8, v74
	v_ashrrev_i32_e32 v75, 5, v66
	s_waitcnt vmcnt(11)
	v_mfma_f32_16x16x16_bf16 v[66:69], v[70:71], v[14:15], 0
	v_cmp_gt_i32_e32 vcc, s27, v74
	v_mfma_f32_16x16x16_bf16 v[66:69], v[72:73], v[16:17], v[66:69]
	v_or_b32_e32 v72, 64, v74
	v_add_u32_e32 v73, s8, v72
	s_waitcnt vmcnt(10)
	v_mfma_f32_16x16x16_bf16 v[66:69], v[58:59], v[50:51], v[66:69]
	v_ashrrev_i32_e32 v58, 5, v73
	v_mfma_f32_16x16x16_bf16 v[62:65], v[76:77], v[44:45], v[62:65]
	v_mov_b32_e32 v76, s19
	v_cndmask_b32_e32 v70, v76, v75, vcc
	v_cmp_gt_i32_e32 vcc, s27, v72
	v_ashrrev_i32_e32 v71, 31, v70
	v_lshl_add_u64 v[70:71], v[70:71], 2, s[6:7]
	v_cndmask_b32_e32 v72, v76, v58, vcc
	v_mfma_f32_16x16x16_bf16 v[58:61], v[60:61], v[52:53], v[66:69]
	v_ashrrev_i32_e32 v73, 31, v72
	s_waitcnt vmcnt(9)
	v_mfma_f32_16x16x16_bf16 v[58:61], v[54:55], v[46:47], v[58:61]
	v_lshl_add_u64 v[66:67], v[72:73], 2, s[6:7]
	global_load_dword v68, v[70:71], off
	s_nop 0
	global_load_dword v66, v[66:67], off
	v_or_b32_e32 v67, 0x80, v74
	v_add_u32_e32 v69, s8, v67
	v_mfma_f32_16x16x16_bf16 v[54:57], v[56:57], v[48:49], v[58:61]
	v_cmp_gt_i32_e32 vcc, s27, v67
	s_nop 1
	v_ashrrev_i32_e32 v58, 5, v69
	v_cndmask_b32_e32 v58, v76, v58, vcc
	v_ashrrev_i32_e32 v59, 31, v58
	s_waitcnt vmcnt(10)
	v_mfma_f32_16x16x16_bf16 v[54:57], v[30:31], v[42:43], v[54:57]
	v_lshl_add_u64 v[30:31], v[58:59], 2, s[6:7]
	global_load_dword v70, v[30:31], off
	v_mfma_f32_16x16x16_bf16 v[58:61], v[32:33], v[44:45], v[54:57]
	s_nop 3
	v_or_b32_e32 v54, 0xc0, v74
	v_add_u32_e32 v30, s8, v54
	v_ashrrev_i32_e32 v55, 5, v30
	v_cmp_gt_i32_e32 vcc, s27, v54
	s_waitcnt vmcnt(10)
	v_mfma_f32_16x16x16_bf16 v[30:33], v[26:27], v[14:15], 0
	v_cndmask_b32_e32 v26, v76, v55, vcc
	v_ashrrev_i32_e32 v27, 31, v26
	v_lshl_add_u64 v[54:55], v[26:27], 2, s[6:7]
	global_load_dword v71, v[54:55], off
	v_mfma_f32_16x16x16_bf16 v[26:29], v[28:29], v[16:17], v[30:33]
	s_load_dword s6, s[0:1], 0x1c
	s_waitcnt vmcnt(10)
	v_mfma_f32_16x16x16_bf16 v[26:29], v[22:23], v[50:51], v[26:29]
	v_and_b32_e32 v30, 16, v0
	v_lshlrev_b32_e32 v86, 1, v30
	v_lshl_add_u64 v[74:75], s[4:5], 0, v[86:87]
	v_mfma_f32_16x16x16_bf16 v[22:25], v[24:25], v[52:53], v[26:29]
	v_lshlrev_b32_e32 v86, 6, v90
	v_lshl_add_u64 v[76:77], v[74:75], 0, v[86:87]
	v_or_b32_e32 v86, 0x1000, v86
	s_waitcnt vmcnt(9)
	v_mfma_f32_16x16x16_bf16 v[22:25], v[18:19], v[46:47], v[22:25]
	v_lshl_add_u64 v[80:81], v[74:75], 0, v[86:87]
	s_waitcnt lgkmcnt(0)
	v_pk_mul_f32 v[74:75], s[6:7], v[60:61] op_sel_hi:[0,1]
	v_mfma_f32_16x16x16_bf16 v[18:21], v[20:21], v[48:49], v[22:25]
	s_waitcnt vmcnt(8)
	v_mfma_f32_16x16x16_bf16 v[18:21], v[10:11], v[42:43], v[18:21]
	s_waitcnt vmcnt(3)
	v_mad_i64_i32 v[22:23], s[4:5], v68, s9, 0
	s_waitcnt vmcnt(2)
	v_mad_i64_i32 v[10:11], s[4:5], v66, s9, 0
	v_lshlrev_b64 v[78:79], 1, v[22:23]
	v_lshlrev_b64 v[54:55], 1, v[10:11]
	v_lshl_add_u64 v[22:23], v[76:77], 0, v[78:79]
	v_lshl_add_u64 v[10:11], v[76:77], 0, v[54:55]
	global_load_dwordx4 v[30:33], v[22:23], off
	global_load_dwordx4 v[26:29], v[22:23], off offset:16
	v_mfma_f32_16x16x16_bf16 v[66:69], v[12:13], v[44:45], v[18:21]
	global_load_dwordx4 v[22:25], v[10:11], off
	s_nop 1
	global_load_dwordx4 v[18:21], v[10:11], off offset:16
	v_mfma_f32_16x16x16_bf16 v[10:13], v[6:7], v[14:15], 0
	s_waitcnt vmcnt(5)
	v_mad_i64_i32 v[6:7], s[4:5], v70, s9, 0
	v_lshlrev_b64 v[56:57], 1, v[6:7]
	v_mfma_f32_16x16x16_bf16 v[6:9], v[8:9], v[16:17], v[10:13]
	v_mfma_f32_16x16x16_bf16 v[6:9], v[2:3], v[50:51], v[6:9]
	s_nop 1
	v_lshl_add_u64 v[10:11], v[76:77], 0, v[56:57]
	global_load_dwordx4 v[14:17], v[10:11], off
	s_nop 0
	global_load_dwordx4 v[10:13], v[10:11], off offset:16
	s_waitcnt vmcnt(6)
	v_mad_i64_i32 v[2:3], s[4:5], v71, s9, 0
	v_mfma_f32_16x16x16_bf16 v[70:73], v[4:5], v[52:53], v[6:9]
	v_pk_mul_f32 v[52:53], s[6:7], v[62:63] op_sel_hi:[0,1]
	v_lshlrev_b64 v[50:51], 1, v[2:3]
	v_lshl_add_u64 v[2:3], v[76:77], 0, v[50:51]
	v_mfma_f32_16x16x16_bf16 v[70:73], v[38:39], v[46:47], v[70:73]
	v_lshl_add_u64 v[38:39], v[80:81], 0, v[78:79]
	v_pk_mul_f32 v[78:79], s[6:7], v[64:65] op_sel_hi:[0,1]
	v_pk_mul_f32 v[76:77], s[6:7], v[58:59] op_sel_hi:[0,1]
	v_mfma_f32_16x16x16_bf16 v[46:49], v[40:41], v[48:49], v[70:73]
	v_lshl_add_u64 v[50:51], v[80:81], 0, v[50:51]
	global_load_dwordx4 v[6:9], v[2:3], off
	s_nop 0
	global_load_dwordx4 v[2:5], v[2:3], off offset:16
	v_pk_mul_f32 v[70:71], s[6:7], v[68:69] op_sel_hi:[0,1]
	v_mfma_f32_16x16x16_bf16 v[40:43], v[34:35], v[42:43], v[46:49]
	v_pk_mul_f32 v[72:73], s[6:7], v[66:67] op_sel_hi:[0,1]
	v_mfma_f32_16x16x16_bf16 v[34:37], v[36:37], v[44:45], v[40:43]
	s_nop 6
	v_pk_mul_f32 v[68:69], s[6:7], v[34:35] op_sel_hi:[0,1]
	v_and_b32_e32 v34, 0xc0, v0
	v_add_u32_e32 v34, s18, v34
	v_lshl_or_b32 v34, v1, 2, v34
	v_or_b32_e32 v35, 1, v34
	v_pk_mul_f32 v[66:67], s[6:7], v[36:37] op_sel_hi:[0,1]
	v_subrev_u32_e32 v36, s27, v35
	v_add_u32_e32 v40, 1, v36
	v_add_u32_e32 v41, 2, v36
	v_cvt_f32_i32_e32 v37, v36
	v_cvt_f32_i32_e32 v40, v40
	;; [unrolled: 1-line block ×3, first 2 shown]
	v_add_u32_e32 v42, 3, v36
	v_fma_f32 v52, v89, v37, v52
	v_fmac_f32_e32 v53, v89, v40
	v_fma_f32 v78, v89, v41, v78
	v_add_u32_e32 v37, 16, v36
	v_add_u32_e32 v40, 17, v36
	;; [unrolled: 1-line block ×3, first 2 shown]
	v_cvt_f32_i32_e32 v42, v42
	v_cvt_f32_i32_e32 v37, v37
	;; [unrolled: 1-line block ×4, first 2 shown]
	v_fmac_f32_e32 v79, v89, v42
	v_add_u32_e32 v42, 19, v36
	v_fma_f32 v76, v89, v37, v76
	v_fmac_f32_e32 v77, v89, v40
	v_fma_f32 v74, v89, v41, v74
	v_add_u32_e32 v37, 32, v36
	v_add_u32_e32 v40, 33, v36
	;; [unrolled: 1-line block ×3, first 2 shown]
	v_cvt_f32_i32_e32 v42, v42
	v_cvt_f32_i32_e32 v37, v37
	;; [unrolled: 1-line block ×4, first 2 shown]
	v_fmac_f32_e32 v75, v89, v42
	v_add_u32_e32 v42, 35, v36
	v_fma_f32 v72, v89, v37, v72
	v_fmac_f32_e32 v73, v89, v40
	v_fma_f32 v70, v89, v41, v70
	v_add_u32_e32 v37, 48, v36
	v_add_u32_e32 v40, 49, v36
	;; [unrolled: 1-line block ×4, first 2 shown]
	v_cvt_f32_i32_e32 v36, v36
	v_cvt_f32_i32_e32 v37, v37
	;; [unrolled: 1-line block ×3, first 2 shown]
	v_cmp_gt_i32_e64 s[28:29], s27, v34
	v_fmac_f32_e32 v67, v89, v36
	v_mov_b32_e32 v36, 0xff7fffff
	v_cmp_gt_i32_e64 s[30:31], s27, v35
	v_fma_f32 v68, v89, v37, v68
	v_cndmask_b32_e64 v37, v36, v52, s[28:29]
	v_cndmask_b32_e64 v35, v36, v53, s[30:31]
	v_fmac_f32_e32 v69, v89, v40
	v_max3_f32 v35, v37, s33, v35
	v_or_b32_e32 v37, 2, v34
	v_or_b32_e32 v40, 3, v34
	v_cmp_gt_i32_e64 s[34:35], s27, v37
	v_cmp_gt_i32_e64 s[36:37], s27, v40
	v_cvt_f32_i32_e32 v42, v42
	v_cndmask_b32_e64 v37, v36, v78, s[34:35]
	v_cndmask_b32_e64 v40, v36, v79, s[36:37]
	v_max3_f32 v35, v35, v37, v40
	v_or_b32_e32 v37, 16, v34
	v_or_b32_e32 v40, 17, v34
	v_cmp_gt_i32_e64 s[22:23], s27, v37
	v_cmp_gt_i32_e64 s[24:25], s27, v40
	v_fmac_f32_e32 v71, v89, v42
	v_cndmask_b32_e64 v37, v36, v76, s[22:23]
	v_cndmask_b32_e64 v40, v36, v77, s[24:25]
	v_max3_f32 v35, v35, v37, v40
	v_or_b32_e32 v37, 18, v34
	v_or_b32_e32 v40, 19, v34
	v_cmp_gt_i32_e64 s[18:19], s27, v37
	v_cmp_gt_i32_e64 s[20:21], s27, v40
	v_cvt_f32_i32_e32 v41, v41
	v_cndmask_b32_e64 v37, v36, v74, s[18:19]
	v_cndmask_b32_e64 v40, v36, v75, s[20:21]
	v_max3_f32 v35, v35, v37, v40
	v_or_b32_e32 v37, 32, v34
	v_or_b32_e32 v40, 33, v34
	v_cmp_gt_i32_e64 s[14:15], s27, v37
	v_cmp_gt_i32_e64 s[16:17], s27, v40
	v_fma_f32 v66, v89, v41, v66
	v_cndmask_b32_e64 v37, v36, v72, s[14:15]
	v_cndmask_b32_e64 v40, v36, v73, s[16:17]
	v_max3_f32 v35, v35, v37, v40
	v_or_b32_e32 v37, 34, v34
	v_or_b32_e32 v40, 35, v34
	v_cmp_gt_i32_e64 s[10:11], s27, v37
	v_cmp_gt_i32_e64 s[12:13], s27, v40
	s_nop 0
	v_cndmask_b32_e64 v37, v36, v70, s[10:11]
	v_cndmask_b32_e64 v40, v36, v71, s[12:13]
	v_max3_f32 v35, v35, v37, v40
	v_or_b32_e32 v37, 48, v34
	v_or_b32_e32 v40, 49, v34
	v_cmp_gt_i32_e64 s[6:7], s27, v37
	v_cmp_gt_i32_e64 s[8:9], s27, v40
	s_nop 0
	v_cndmask_b32_e64 v37, v36, v68, s[6:7]
	v_cndmask_b32_e64 v40, v36, v69, s[8:9]
	v_max3_f32 v35, v35, v37, v40
	v_or_b32_e32 v37, 50, v34
	v_or_b32_e32 v34, 51, v34
	v_cmp_gt_i32_e32 vcc, s27, v37
	v_cmp_gt_i32_e64 s[4:5], s27, v34
	global_load_dwordx4 v[46:49], v[38:39], off
	s_nop 0
	global_load_dwordx4 v[38:41], v[38:39], off offset:16
	v_cndmask_b32_e32 v37, v36, v66, vcc
	v_cndmask_b32_e64 v34, v36, v67, s[4:5]
	v_max3_f32 v58, v35, v37, v34
	v_mbcnt_lo_u32_b32 v34, -1, 0
	v_mbcnt_hi_u32_b32 v59, -1, v34
	v_and_b32_e32 v34, 64, v59
	v_add_u32_e32 v60, 64, v34
	v_xor_b32_e32 v34, 32, v59
	v_cmp_lt_i32_e64 s[38:39], v34, v60
	s_nop 1
	v_cndmask_b32_e64 v34, v59, v34, s[38:39]
	v_lshlrev_b32_e32 v87, 2, v34
	ds_bpermute_b32 v61, v87, v58
	v_lshl_add_u64 v[34:35], v[80:81], 0, v[54:55]
	global_load_dwordx4 v[42:45], v[34:35], off
	s_nop 0
	global_load_dwordx4 v[34:37], v[34:35], off offset:16
	s_waitcnt lgkmcnt(0)
	v_max_f32_e32 v54, v61, v61
	v_max_f32_e32 v62, v58, v54
	v_xor_b32_e32 v54, 16, v59
	v_cmp_lt_i32_e64 s[38:39], v54, v60
	s_nop 1
	v_cndmask_b32_e64 v54, v59, v54, s[38:39]
	v_lshlrev_b32_e32 v89, 2, v54
	ds_bpermute_b32 v63, v89, v62
	v_lshl_add_u64 v[54:55], v[80:81], 0, v[56:57]
	global_load_dwordx4 v[58:61], v[54:55], off
	s_nop 0
	global_load_dwordx4 v[54:57], v[54:55], off offset:16
	s_waitcnt lgkmcnt(0)
	v_max_f32_e32 v63, v63, v63
	v_max_f32_e32 v86, v62, v63
	v_sub_f32_e32 v52, v52, v86
	v_mul_f32_e32 v52, 0x3fb8aa3b, v52
	v_exp_f32_e32 v80, v52
	v_sub_f32_e32 v52, v53, v86
	v_mul_f32_e32 v52, 0x3fb8aa3b, v52
	v_exp_f32_e32 v81, v52
	global_load_dwordx4 v[62:65], v[50:51], off
	s_nop 0
	global_load_dwordx4 v[50:53], v[50:51], off offset:16
	v_sub_f32_e32 v78, v78, v86
	v_mul_f32_e32 v78, 0x3fb8aa3b, v78
	v_sub_f32_e32 v79, v79, v86
	v_exp_f32_e32 v78, v78
	v_mul_f32_e32 v79, 0x3fb8aa3b, v79
	v_sub_f32_e32 v76, v76, v86
	v_exp_f32_e32 v79, v79
	v_mul_f32_e32 v76, 0x3fb8aa3b, v76
	v_sub_f32_e32 v77, v77, v86
	v_cndmask_b32_e64 v80, 0, v80, s[28:29]
	v_exp_f32_e32 v76, v76
	v_mul_f32_e32 v77, 0x3fb8aa3b, v77
	v_sub_f32_e32 v74, v74, v86
	v_add_f32_e32 v91, 0, v80
	v_cndmask_b32_e64 v81, 0, v81, s[30:31]
	v_exp_f32_e32 v77, v77
	v_mul_f32_e32 v74, 0x3fb8aa3b, v74
	v_sub_f32_e32 v75, v75, v86
	v_add_f32_e32 v91, v91, v81
	;; [unrolled: 5-line block ×10, first 2 shown]
	v_cndmask_b32_e64 v70, 0, v70, s[10:11]
	v_exp_f32_e32 v66, v66
	v_mul_f32_e32 v67, 0x3fb8aa3b, v67
	v_add_f32_e32 v91, v91, v70
	v_cndmask_b32_e64 v71, 0, v71, s[12:13]
	v_exp_f32_e32 v67, v67
	v_add_f32_e32 v91, v91, v71
	v_cndmask_b32_e64 v68, 0, v68, s[6:7]
	v_add_f32_e32 v91, v91, v68
	v_cndmask_b32_e64 v69, 0, v69, s[8:9]
	v_add_f32_e32 v91, v91, v69
	v_cndmask_b32_e32 v66, 0, v66, vcc
	v_add_f32_e32 v91, v91, v66
	v_cndmask_b32_e64 v67, 0, v67, s[4:5]
	v_add_f32_e32 v91, v91, v67
	ds_bpermute_b32 v87, v87, v91
	s_load_dword s7, s[0:1], 0x98
	v_cmp_gt_u32_e32 vcc, 16, v85
	s_waitcnt lgkmcnt(0)
	s_barrier
	v_add_f32_e32 v87, v91, v87
	ds_bpermute_b32 v89, v89, v87
	s_waitcnt lgkmcnt(0)
	s_and_saveexec_b64 s[4:5], vcc
	s_cbranch_execz .LBB694_17
; %bb.16:
	v_add_f32_e32 v85, v87, v89
	v_lshlrev_b32_e32 v87, 2, v90
	ds_write2st64_b32 v87, v86, v85 offset1:1
.LBB694_17:
	s_or_b64 exec, exec, s[4:5]
	v_lshlrev_b32_e32 v85, 2, v84
	s_load_dword s6, s[0:1], 0x94
	s_waitcnt lgkmcnt(0)
	s_barrier
	ds_read2_b32 v[90:91], v85 offset1:16
	ds_read2_b32 v[92:93], v85 offset0:32 offset1:48
	ds_read2_b32 v[94:95], v85 offset0:64 offset1:80
	s_movk_i32 s8, 0x7fff
	s_mov_b32 s9, 0x7060302
	s_waitcnt lgkmcnt(2)
	v_max3_f32 v86, v90, s33, v91
	s_waitcnt lgkmcnt(1)
	v_max3_f32 v86, v86, v92, v93
	v_sub_f32_e32 v87, v90, v86
	v_mul_f32_e32 v87, 0x3fb8aa3b, v87
	v_exp_f32_e32 v89, v87
	v_sub_f32_e32 v87, v91, v86
	v_mul_f32_e32 v87, 0x3fb8aa3b, v87
	v_exp_f32_e32 v88, v87
	v_sub_f32_e32 v87, v92, v86
	v_mul_f32_e32 v87, 0x3fb8aa3b, v87
	ds_read2_b32 v[90:91], v85 offset0:96 offset1:112
	v_sub_f32_e32 v85, v93, v86
	v_exp_f32_e32 v92, v87
	v_mul_f32_e32 v85, 0x3fb8aa3b, v85
	v_exp_f32_e32 v85, v85
	s_waitcnt lgkmcnt(1)
	v_fma_f32 v87, v89, v94, 0
	v_fmac_f32_e32 v87, v88, v95
	s_waitcnt lgkmcnt(0)
	v_fmac_f32_e32 v87, v92, v90
	v_fmac_f32_e32 v87, v85, v91
	v_add_f32_e32 v90, 0x358637bd, v87
	v_div_scale_f32 v91, s[4:5], v90, v90, 1.0
	v_rcp_f32_e32 v93, v91
	s_mul_i32 s7, s7, 7
	s_barrier
	v_fma_f32 v94, -v91, v93, 1.0
	v_fmac_f32_e32 v93, v94, v93
	v_div_scale_f32 v94, vcc, 1.0, v90, 1.0
	v_mul_f32_e32 v95, v94, v93
	v_fma_f32 v1, -v91, v95, v94
	v_fmac_f32_e32 v95, v1, v93
	v_fma_f32 v1, -v91, v95, v94
	v_lshrrev_b32_e32 v91, 6, v0
	v_div_fmas_f32 v1, v1, v93, v95
	v_cmp_eq_u32_e32 vcc, 1, v91
	v_div_fixup_f32 v1, v1, v90, 1.0
	s_nop 0
	v_cndmask_b32_e32 v88, v89, v88, vcc
	v_cmp_eq_u32_e32 vcc, 2, v91
	s_nop 1
	v_cndmask_b32_e32 v88, v88, v92, vcc
	v_cmp_eq_u32_e32 vcc, 3, v91
	s_nop 1
	v_cndmask_b32_e32 v85, v88, v85, vcc
	v_mul_f32_e32 v90, v85, v1
	v_pk_mul_f32 v[80:81], v[90:91], v[80:81] op_sel_hi:[0,1]
	v_bfe_u32 v1, v81, 16, 1
	v_bfe_u32 v85, v80, 16, 1
	v_pk_mul_f32 v[78:79], v[90:91], v[78:79] op_sel_hi:[0,1]
	v_add3_u32 v80, v80, v85, s8
	v_add3_u32 v1, v81, v1, s8
	v_perm_b32 v80, v1, v80, s9
	v_bfe_u32 v1, v79, 16, 1
	v_bfe_u32 v81, v78, 16, 1
	v_add3_u32 v78, v78, v81, s8
	v_add3_u32 v1, v79, v1, s8
	v_bfe_u32 v88, v0, 4, 2
	v_perm_b32 v81, v1, v78, s9
	v_lshlrev_b32_e32 v1, 3, v88
	v_lshlrev_b32_e32 v78, 5, v84
	;; [unrolled: 1-line block ×3, first 2 shown]
	v_pk_mul_f32 v[76:77], v[90:91], v[76:77] op_sel_hi:[0,1]
	v_or3_b32 v1, v79, v78, v1
	v_bfe_u32 v79, v77, 16, 1
	v_bfe_u32 v85, v76, 16, 1
	v_pk_mul_f32 v[74:75], v[90:91], v[74:75] op_sel_hi:[0,1]
	v_add3_u32 v76, v76, v85, s8
	v_add3_u32 v77, v77, v79, s8
	v_perm_b32 v76, v77, v76, s9
	v_bfe_u32 v77, v75, 16, 1
	v_bfe_u32 v79, v74, 16, 1
	v_add3_u32 v74, v74, v79, s8
	v_add3_u32 v75, v75, v77, s8
	v_pk_mul_f32 v[72:73], v[90:91], v[72:73] op_sel_hi:[0,1]
	v_perm_b32 v77, v75, v74, s9
	v_bfe_u32 v74, v73, 16, 1
	v_bfe_u32 v75, v72, 16, 1
	v_pk_mul_f32 v[70:71], v[90:91], v[70:71] op_sel_hi:[0,1]
	v_add3_u32 v72, v72, v75, s8
	v_add3_u32 v73, v73, v74, s8
	v_perm_b32 v72, v73, v72, s9
	v_bfe_u32 v73, v71, 16, 1
	v_bfe_u32 v74, v70, 16, 1
	v_add3_u32 v70, v70, v74, s8
	v_add3_u32 v71, v71, v73, s8
	v_pk_mul_f32 v[68:69], v[90:91], v[68:69] op_sel_hi:[0,1]
	v_perm_b32 v73, v71, v70, s9
	v_bfe_u32 v70, v69, 16, 1
	v_bfe_u32 v71, v68, 16, 1
	v_pk_mul_f32 v[66:67], v[90:91], v[66:67] op_sel_hi:[0,1]
	v_add3_u32 v68, v68, v71, s8
	v_add3_u32 v69, v69, v70, s8
	v_perm_b32 v68, v69, v68, s9
	v_bfe_u32 v69, v67, 16, 1
	v_bfe_u32 v70, v66, 16, 1
	v_add3_u32 v66, v66, v70, s8
	v_add3_u32 v67, v67, v69, s8
	v_perm_b32 v69, v67, v66, s9
	v_cmp_gt_u32_e32 vcc, 7, v0
	ds_write2st64_b64 v1, v[80:81], v[76:77] offset1:1
	ds_write2st64_b64 v1, v[72:73], v[68:69] offset0:2 offset1:3
	s_and_saveexec_b64 s[4:5], vcc
	s_cbranch_execz .LBB694_19
; %bb.18:
	s_mov_b32 s41, 0
	v_mov_b32_e32 v85, 0
	v_lshl_add_u64 v[66:67], s[40:41], 0, v[84:85]
	v_mov_b32_e32 v68, s7
	v_mad_u64_u32 v[66:67], s[10:11], s2, v68, v[66:67]
	s_mul_i32 s3, s3, s7
	v_mov_b32_e32 v68, s26
	v_mov_b32_e32 v69, v85
	s_load_dwordx4 s[12:15], s[0:1], 0x58
	v_add_u32_e32 v70, s3, v67
	v_mad_u64_u32 v[66:67], s[10:11], v66, s6, v[68:69]
	v_mov_b32_e32 v68, v67
	v_mad_u64_u32 v[68:69], s[10:11], v70, s6, v[68:69]
	v_mov_b32_e32 v67, v68
	v_lshlrev_b64 v[66:67], 2, v[66:67]
	s_waitcnt lgkmcnt(0)
	v_lshl_add_u64 v[68:69], s[14:15], 0, v[66:67]
	v_lshl_add_u64 v[66:67], s[12:13], 0, v[66:67]
	global_store_dword v[68:69], v86, off
	global_store_dword v[66:67], v87, off
.LBB694_19:
	s_or_b64 exec, exec, s[4:5]
	v_lshl_or_b32 v78, v88, 9, v78
	s_waitcnt lgkmcnt(0)
	s_barrier
	ds_read_b128 v[70:73], v78
	ds_read_b128 v[66:69], v78 offset:16
	s_waitcnt vmcnt(15) lgkmcnt(1)
	v_mfma_f32_16x16x16_bf16 v[74:77], v[30:31], v[70:71], 0
	s_mov_b32 s3, 0
	v_cmp_gt_u32_e32 vcc, 64, v0
	v_mfma_f32_16x16x16_bf16 v[30:33], v[32:33], v[72:73], v[74:77]
	s_waitcnt vmcnt(14) lgkmcnt(0)
	v_mfma_f32_16x16x16_bf16 v[30:33], v[26:27], v[66:67], v[30:33]
	v_mfma_f32_16x16x16_bf16 v[26:29], v[28:29], v[68:69], v[30:33]
	s_nop 5
	ds_read_b128 v[30:33], v78 offset:2048
	ds_read_b128 v[74:77], v78 offset:2064
	s_waitcnt vmcnt(13) lgkmcnt(1)
	v_mfma_f32_16x16x16_bf16 v[26:29], v[22:23], v[30:31], v[26:29]
	v_mfma_f32_16x16x16_bf16 v[22:25], v[24:25], v[32:33], v[26:29]
	s_waitcnt vmcnt(12) lgkmcnt(0)
	v_mfma_f32_16x16x16_bf16 v[22:25], v[18:19], v[74:75], v[22:25]
	v_mfma_f32_16x16x16_bf16 v[18:21], v[20:21], v[76:77], v[22:25]
	s_nop 5
	ds_read_b128 v[22:25], v78 offset:4096
	ds_read_b128 v[26:29], v78 offset:4112
	s_waitcnt vmcnt(11) lgkmcnt(1)
	v_mfma_f32_16x16x16_bf16 v[18:21], v[14:15], v[22:23], v[18:21]
	v_mfma_f32_16x16x16_bf16 v[14:17], v[16:17], v[24:25], v[18:21]
	s_waitcnt vmcnt(10) lgkmcnt(0)
	v_mfma_f32_16x16x16_bf16 v[14:17], v[10:11], v[26:27], v[14:17]
	v_mfma_f32_16x16x16_bf16 v[10:13], v[12:13], v[28:29], v[14:17]
	s_nop 5
	ds_read_b128 v[14:17], v78 offset:6144
	ds_read_b128 v[18:21], v78 offset:6160
	s_waitcnt lgkmcnt(0)
	s_barrier
	s_waitcnt vmcnt(9)
	v_mfma_f32_16x16x16_bf16 v[10:13], v[6:7], v[14:15], v[10:13]
	v_mfma_f32_16x16x16_bf16 v[6:9], v[8:9], v[16:17], v[10:13]
	s_waitcnt vmcnt(8)
	v_mfma_f32_16x16x16_bf16 v[6:9], v[2:3], v[18:19], v[6:9]
	v_mfma_f32_16x16x16_bf16 v[2:5], v[4:5], v[20:21], v[6:9]
	;; [unrolled: 3-line block ×3, first 2 shown]
	s_nop 3
	v_bfe_u32 v10, v3, 16, 1
	v_bfe_u32 v11, v2, 16, 1
	v_add3_u32 v2, v2, v11, s8
	s_waitcnt vmcnt(6)
	v_mfma_f32_16x16x16_bf16 v[6:9], v[38:39], v[66:67], v[6:9]
	v_add3_u32 v3, v3, v10, s8
	v_perm_b32 v10, v3, v2, s9
	v_bfe_u32 v2, v5, 16, 1
	v_mfma_f32_16x16x16_bf16 v[6:9], v[40:41], v[68:69], v[6:9]
	v_bfe_u32 v3, v4, 16, 1
	v_add3_u32 v3, v4, v3, s8
	v_add3_u32 v2, v5, v2, s8
	s_waitcnt vmcnt(5)
	v_mfma_f32_16x16x16_bf16 v[6:9], v[42:43], v[30:31], v[6:9]
	v_perm_b32 v11, v2, v3, s9
	v_mfma_f32_16x16x16_bf16 v[6:9], v[44:45], v[32:33], v[6:9]
	s_waitcnt vmcnt(4)
	v_mfma_f32_16x16x16_bf16 v[6:9], v[34:35], v[74:75], v[6:9]
	v_mfma_f32_16x16x16_bf16 v[6:9], v[36:37], v[76:77], v[6:9]
	s_waitcnt vmcnt(3)
	v_mfma_f32_16x16x16_bf16 v[6:9], v[58:59], v[22:23], v[6:9]
	;; [unrolled: 3-line block ×5, first 2 shown]
	v_mfma_f32_16x16x16_bf16 v[2:5], v[52:53], v[20:21], v[6:9]
	s_nop 6
	v_bfe_u32 v6, v3, 16, 1
	v_bfe_u32 v7, v2, 16, 1
	v_add3_u32 v2, v2, v7, s8
	v_add3_u32 v3, v3, v6, s8
	v_perm_b32 v2, v3, v2, s9
	v_bfe_u32 v3, v5, 16, 1
	v_bfe_u32 v6, v4, 16, 1
	v_add3_u32 v4, v4, v6, s8
	v_add3_u32 v3, v5, v3, s8
	v_perm_b32 v3, v3, v4, s9
	ds_write2st64_b64 v1, v[10:11], v[2:3] offset1:1
	s_waitcnt lgkmcnt(0)
	s_barrier
	s_and_saveexec_b64 s[4:5], vcc
	s_cbranch_execz .LBB694_22
; %bb.20:
	s_load_dwordx2 s[4:5], s[0:1], 0x68
	s_lshl_b32 s0, s6, 7
	s_mul_i32 s1, s7, s2
	v_lshlrev_b32_e32 v3, 6, v84
	s_mul_hi_u32 s7, s1, s0
	s_mul_i32 s6, s1, s0
	v_lshlrev_b32_e32 v2, 4, v0
	v_lshl_or_b32 v0, v0, 10, v3
	s_lshl_b64 s[6:7], s[6:7], 1
	v_lshlrev_b32_e32 v1, 5, v88
	v_and_b32_e32 v2, 16, v2
	v_and_b32_e32 v0, 0x1a00, v0
	s_waitcnt lgkmcnt(0)
	s_add_u32 s1, s4, s6
	v_or3_b32 v2, v0, v1, v2
	s_addc_u32 s4, s5, s7
	s_lshl_b32 s2, s26, 7
	s_lshl_b64 s[2:3], s[2:3], 1
	ds_read_b128 v[4:7], v2
	s_add_u32 s2, s1, s2
	s_addc_u32 s3, s4, s3
	v_add_u32_e32 v3, s40, v88
	v_lshl_add_u64 v[0:1], v[82:83], 1, s[2:3]
	v_mad_u64_u32 v[8:9], s[2:3], v3, s0, 0
	v_lshl_add_u64 v[8:9], v[8:9], 1, v[0:1]
	v_cmp_ne_u32_e32 vcc, 3, v88
	s_waitcnt lgkmcnt(0)
	global_store_dwordx4 v[8:9], v[4:7], off
	s_and_b64 exec, exec, vcc
	s_cbranch_execz .LBB694_22
; %bb.21:
	ds_read_b128 v[2:5], v2 offset:128
	v_add3_u32 v6, s40, v88, 4
	v_mad_u64_u32 v[6:7], s[0:1], v6, s0, 0
	v_lshl_add_u64 v[0:1], v[6:7], 1, v[0:1]
	s_waitcnt lgkmcnt(0)
	global_store_dwordx4 v[0:1], v[2:5], off
.LBB694_22:
	s_endpgm
	.section	.rodata,"a",@progbits
	.p2align	6, 0x0
	.amdhsa_kernel _Z39paged_attention_ll4mi_QKV_mfma16_kernelI14__hip_bfloat16S0_LN4vllm18Fp8KVCacheDataTypeE0EhLi32ELi128ELi256ELb1ELi7EEvPKT_PKT0_S8_ifPKiSA_SA_iPKfiiiPfSD_PS3_PT2_iSC_SC_
		.amdhsa_group_segment_fixed_size 8192
		.amdhsa_private_segment_fixed_size 0
		.amdhsa_kernarg_size 400
		.amdhsa_user_sgpr_count 2
		.amdhsa_user_sgpr_dispatch_ptr 0
		.amdhsa_user_sgpr_queue_ptr 0
		.amdhsa_user_sgpr_kernarg_segment_ptr 1
		.amdhsa_user_sgpr_dispatch_id 0
		.amdhsa_user_sgpr_kernarg_preload_length 0
		.amdhsa_user_sgpr_kernarg_preload_offset 0
		.amdhsa_user_sgpr_private_segment_size 0
		.amdhsa_uses_dynamic_stack 0
		.amdhsa_enable_private_segment 0
		.amdhsa_system_sgpr_workgroup_id_x 1
		.amdhsa_system_sgpr_workgroup_id_y 1
		.amdhsa_system_sgpr_workgroup_id_z 1
		.amdhsa_system_sgpr_workgroup_info 0
		.amdhsa_system_vgpr_workitem_id 0
		.amdhsa_next_free_vgpr 96
		.amdhsa_next_free_sgpr 42
		.amdhsa_accum_offset 96
		.amdhsa_reserve_vcc 1
		.amdhsa_float_round_mode_32 0
		.amdhsa_float_round_mode_16_64 0
		.amdhsa_float_denorm_mode_32 3
		.amdhsa_float_denorm_mode_16_64 3
		.amdhsa_dx10_clamp 1
		.amdhsa_ieee_mode 1
		.amdhsa_fp16_overflow 0
		.amdhsa_tg_split 0
		.amdhsa_exception_fp_ieee_invalid_op 0
		.amdhsa_exception_fp_denorm_src 0
		.amdhsa_exception_fp_ieee_div_zero 0
		.amdhsa_exception_fp_ieee_overflow 0
		.amdhsa_exception_fp_ieee_underflow 0
		.amdhsa_exception_fp_ieee_inexact 0
		.amdhsa_exception_int_div_zero 0
	.end_amdhsa_kernel
	.section	.text._Z39paged_attention_ll4mi_QKV_mfma16_kernelI14__hip_bfloat16S0_LN4vllm18Fp8KVCacheDataTypeE0EhLi32ELi128ELi256ELb1ELi7EEvPKT_PKT0_S8_ifPKiSA_SA_iPKfiiiPfSD_PS3_PT2_iSC_SC_,"axG",@progbits,_Z39paged_attention_ll4mi_QKV_mfma16_kernelI14__hip_bfloat16S0_LN4vllm18Fp8KVCacheDataTypeE0EhLi32ELi128ELi256ELb1ELi7EEvPKT_PKT0_S8_ifPKiSA_SA_iPKfiiiPfSD_PS3_PT2_iSC_SC_,comdat
.Lfunc_end694:
	.size	_Z39paged_attention_ll4mi_QKV_mfma16_kernelI14__hip_bfloat16S0_LN4vllm18Fp8KVCacheDataTypeE0EhLi32ELi128ELi256ELb1ELi7EEvPKT_PKT0_S8_ifPKiSA_SA_iPKfiiiPfSD_PS3_PT2_iSC_SC_, .Lfunc_end694-_Z39paged_attention_ll4mi_QKV_mfma16_kernelI14__hip_bfloat16S0_LN4vllm18Fp8KVCacheDataTypeE0EhLi32ELi128ELi256ELb1ELi7EEvPKT_PKT0_S8_ifPKiSA_SA_iPKfiiiPfSD_PS3_PT2_iSC_SC_
                                        ; -- End function
	.section	.AMDGPU.csdata,"",@progbits
; Kernel info:
; codeLenInByte = 5176
; NumSgprs: 48
; NumVgprs: 96
; NumAgprs: 0
; TotalNumVgprs: 96
; ScratchSize: 0
; MemoryBound: 0
; FloatMode: 240
; IeeeMode: 1
; LDSByteSize: 8192 bytes/workgroup (compile time only)
; SGPRBlocks: 5
; VGPRBlocks: 11
; NumSGPRsForWavesPerEU: 48
; NumVGPRsForWavesPerEU: 96
; AccumOffset: 96
; Occupancy: 5
; WaveLimiterHint : 1
; COMPUTE_PGM_RSRC2:SCRATCH_EN: 0
; COMPUTE_PGM_RSRC2:USER_SGPR: 2
; COMPUTE_PGM_RSRC2:TRAP_HANDLER: 0
; COMPUTE_PGM_RSRC2:TGID_X_EN: 1
; COMPUTE_PGM_RSRC2:TGID_Y_EN: 1
; COMPUTE_PGM_RSRC2:TGID_Z_EN: 1
; COMPUTE_PGM_RSRC2:TIDIG_COMP_CNT: 0
; COMPUTE_PGM_RSRC3_GFX90A:ACCUM_OFFSET: 23
; COMPUTE_PGM_RSRC3_GFX90A:TG_SPLIT: 0
	.section	.text._Z39paged_attention_ll4mi_QKV_mfma16_kernelI14__hip_bfloat16S0_LN4vllm18Fp8KVCacheDataTypeE0EhLi32ELi128ELi256ELb1ELi8EEvPKT_PKT0_S8_ifPKiSA_SA_iPKfiiiPfSD_PS3_PT2_iSC_SC_,"axG",@progbits,_Z39paged_attention_ll4mi_QKV_mfma16_kernelI14__hip_bfloat16S0_LN4vllm18Fp8KVCacheDataTypeE0EhLi32ELi128ELi256ELb1ELi8EEvPKT_PKT0_S8_ifPKiSA_SA_iPKfiiiPfSD_PS3_PT2_iSC_SC_,comdat
	.protected	_Z39paged_attention_ll4mi_QKV_mfma16_kernelI14__hip_bfloat16S0_LN4vllm18Fp8KVCacheDataTypeE0EhLi32ELi128ELi256ELb1ELi8EEvPKT_PKT0_S8_ifPKiSA_SA_iPKfiiiPfSD_PS3_PT2_iSC_SC_ ; -- Begin function _Z39paged_attention_ll4mi_QKV_mfma16_kernelI14__hip_bfloat16S0_LN4vllm18Fp8KVCacheDataTypeE0EhLi32ELi128ELi256ELb1ELi8EEvPKT_PKT0_S8_ifPKiSA_SA_iPKfiiiPfSD_PS3_PT2_iSC_SC_
	.globl	_Z39paged_attention_ll4mi_QKV_mfma16_kernelI14__hip_bfloat16S0_LN4vllm18Fp8KVCacheDataTypeE0EhLi32ELi128ELi256ELb1ELi8EEvPKT_PKT0_S8_ifPKiSA_SA_iPKfiiiPfSD_PS3_PT2_iSC_SC_
	.p2align	8
	.type	_Z39paged_attention_ll4mi_QKV_mfma16_kernelI14__hip_bfloat16S0_LN4vllm18Fp8KVCacheDataTypeE0EhLi32ELi128ELi256ELb1ELi8EEvPKT_PKT0_S8_ifPKiSA_SA_iPKfiiiPfSD_PS3_PT2_iSC_SC_,@function
_Z39paged_attention_ll4mi_QKV_mfma16_kernelI14__hip_bfloat16S0_LN4vllm18Fp8KVCacheDataTypeE0EhLi32ELi128ELi256ELb1ELi8EEvPKT_PKT0_S8_ifPKiSA_SA_iPKfiiiPfSD_PS3_PT2_iSC_SC_: ; @_Z39paged_attention_ll4mi_QKV_mfma16_kernelI14__hip_bfloat16S0_LN4vllm18Fp8KVCacheDataTypeE0EhLi32ELi128ELi256ELb1ELi8EEvPKT_PKT0_S8_ifPKiSA_SA_iPKfiiiPfSD_PS3_PT2_iSC_SC_
; %bb.0:
	s_load_dwordx2 s[8:9], s[0:1], 0x30
	s_mov_b32 s26, s3
	s_mov_b64 s[6:7], 0
	s_waitcnt lgkmcnt(0)
	s_cmp_lg_u64 s[8:9], 0
	s_cselect_b64 s[10:11], -1, 0
	s_and_b64 vcc, exec, s[10:11]
	s_cbranch_vccz .LBB695_7
; %bb.1:
	s_add_i32 s12, s2, 1
	s_mov_b32 s13, 0
	s_lshl_b64 s[14:15], s[12:13], 2
	s_add_u32 s14, s8, s14
	s_mov_b32 s3, s13
	s_addc_u32 s15, s9, s15
	s_lshl_b64 s[12:13], s[2:3], 2
	s_add_u32 s12, s8, s12
	s_addc_u32 s13, s9, s13
	s_load_dword s5, s[14:15], 0x0
	s_load_dword s16, s[12:13], 0x0
	s_waitcnt lgkmcnt(0)
	s_sub_i32 s5, s5, s16
	s_cmp_eq_u32 s5, 1
	s_cselect_b64 s[12:13], -1, 0
	s_andn2_b64 vcc, exec, s[6:7]
	s_cbranch_vccnz .LBB695_3
.LBB695_2:
	s_mov_b32 s3, 0
	s_mov_b64 s[12:13], -1
.LBB695_3:
	s_andn2_b64 vcc, exec, s[12:13]
	s_cbranch_vccnz .LBB695_21
; %bb.4:
	s_load_dwordx2 s[6:7], s[0:1], 0x28
	s_lshl_b64 s[12:13], s[2:3], 2
	s_waitcnt lgkmcnt(0)
	s_add_u32 s6, s6, s12
	s_addc_u32 s7, s7, s13
	s_load_dword s33, s[6:7], 0x0
	s_lshl_b32 s18, s26, 8
	s_waitcnt lgkmcnt(0)
	s_cmp_ge_i32 s18, s33
	s_cbranch_scc1 .LBB695_21
; %bb.5:
	s_load_dwordx2 s[6:7], s[0:1], 0x20
	s_load_dword s5, s[0:1], 0x38
	s_add_i32 s14, s33, 31
	s_ashr_i32 s15, s14, 31
	v_and_b32_e32 v1, 0xcf, v0
	s_lshr_b32 s15, s15, 27
	v_add_u32_e32 v1, s18, v1
	s_add_i32 s14, s14, s15
	v_ashrrev_i32_e32 v2, 31, v1
	s_ashr_i32 s19, s14, 5
	v_lshrrev_b32_e32 v4, 27, v2
	s_add_i32 s19, s19, -1
	s_waitcnt lgkmcnt(0)
	s_mul_i32 s14, s2, s5
	s_mov_b32 s15, 0
	v_add_u32_e32 v2, v1, v4
	s_lshl_b64 s[14:15], s[14:15], 2
	v_ashrrev_i32_e32 v2, 5, v2
	v_mov_b32_e32 v5, s19
	v_cmp_gt_i32_e32 vcc, s33, v1
	s_add_u32 s6, s6, s14
	s_addc_u32 s7, s7, s15
	v_cndmask_b32_e32 v2, v5, v2, vcc
	v_ashrrev_i32_e32 v3, 31, v2
	v_lshl_add_u64 v[6:7], v[2:3], 2, s[6:7]
	v_or_b32_e32 v2, 16, v1
	v_add_u32_e32 v3, v2, v4
	v_ashrrev_i32_e32 v3, 5, v3
	v_cmp_gt_i32_e32 vcc, s33, v2
	s_nop 1
	v_cndmask_b32_e32 v2, v5, v3, vcc
	v_ashrrev_i32_e32 v3, 31, v2
	v_lshl_add_u64 v[8:9], v[2:3], 2, s[6:7]
	v_or_b32_e32 v2, 32, v1
	v_add_u32_e32 v3, v2, v4
	v_ashrrev_i32_e32 v3, 5, v3
	v_cmp_gt_i32_e32 vcc, s33, v2
	v_or_b32_e32 v1, 48, v1
	s_nop 0
	v_cndmask_b32_e32 v2, v5, v3, vcc
	v_ashrrev_i32_e32 v3, 31, v2
	v_lshl_add_u64 v[10:11], v[2:3], 2, s[6:7]
	v_add_u32_e32 v2, v1, v4
	v_ashrrev_i32_e32 v2, 5, v2
	v_cmp_gt_i32_e32 vcc, s33, v1
	s_nop 1
	v_cndmask_b32_e32 v2, v5, v2, vcc
	v_ashrrev_i32_e32 v3, 31, v2
	v_lshl_add_u64 v[12:13], v[2:3], 2, s[6:7]
	global_load_dword v5, v[6:7], off
	global_load_dword v4, v[8:9], off
	;; [unrolled: 1-line block ×4, first 2 shown]
	s_andn2_b64 vcc, exec, s[10:11]
	s_cbranch_vccnz .LBB695_8
; %bb.6:
	s_add_u32 s8, s8, s12
	s_addc_u32 s9, s9, s13
	s_load_dword s5, s[8:9], 0x0
	s_branch .LBB695_9
.LBB695_7:
	s_mov_b64 s[12:13], 0
	s_branch .LBB695_2
.LBB695_8:
	s_mov_b32 s5, s2
.LBB695_9:
	s_load_dwordx2 s[14:15], s[0:1], 0x8
	s_load_dwordx4 s[8:11], s[0:1], 0x48
	v_and_b32_e32 v1, 15, v0
	s_waitcnt lgkmcnt(0)
	s_movk_i32 s11, 0x7f
	v_lshlrev_b32_e32 v82, 3, v1
	v_cmp_lt_u32_e32 vcc, s11, v0
	s_and_saveexec_b64 s[12:13], vcc
	s_xor_b64 s[12:13], exec, s[12:13]
; %bb.10:
	v_mov_b32_e32 v83, 0
; %bb.11:
	s_or_saveexec_b64 s[16:17], s[12:13]
	s_load_dwordx2 s[12:13], s[0:1], 0x10
	v_lshrrev_b32_e32 v87, 6, v0
	s_lshl_b32 s27, s4, 3
	v_bfe_u32 v86, v0, 4, 2
	s_xor_b64 exec, exec, s[16:17]
	s_cbranch_execz .LBB695_13
; %bb.12:
	s_load_dwordx2 s[20:21], s[0:1], 0x0
	s_ashr_i32 s11, s8, 31
	s_mul_hi_u32 s22, s5, s8
	s_mul_i32 s11, s5, s11
	s_add_i32 s23, s22, s11
	s_mul_i32 s22, s5, s8
	v_lshl_or_b32 v10, v87, 2, v86
	s_lshl_b64 s[22:23], s[22:23], 1
	s_waitcnt lgkmcnt(0)
	s_add_u32 s20, s20, s22
	v_add_lshl_u32 v6, v10, s27, 7
	s_addc_u32 s21, s21, s23
	v_ashrrev_i32_e32 v7, 31, v6
	v_mov_b32_e32 v83, 0
	v_lshl_add_u64 v[6:7], v[6:7], 1, s[20:21]
	v_lshlrev_b32_e32 v8, 1, v82
	v_mov_b32_e32 v9, v83
	v_lshl_add_u64 v[6:7], v[6:7], 0, v[8:9]
	global_load_dwordx4 v[6:9], v[6:7], off
	v_and_b32_e32 v11, 3, v0
	v_lshlrev_b32_e32 v12, 9, v1
	v_lshlrev_b32_e32 v10, 5, v10
	;; [unrolled: 1-line block ×3, first 2 shown]
	v_and_b32_e32 v12, 0x1800, v12
	v_or3_b32 v10, v12, v11, v10
	s_waitcnt vmcnt(0)
	ds_write_b128 v10, v[6:9]
.LBB695_13:
	s_or_b64 exec, exec, s[16:17]
	s_mul_i32 s4, s4, s10
	s_mov_b32 s5, 0
	s_lshl_b64 s[4:5], s[4:5], 1
	s_add_u32 s10, s14, s4
	s_addc_u32 s11, s15, s5
	s_waitcnt vmcnt(3)
	v_mad_i64_i32 v[6:7], s[14:15], v5, s9, 0
	v_lshl_add_u64 v[6:7], v[6:7], 1, s[10:11]
	v_lshlrev_b64 v[8:9], 1, v[82:83]
	v_lshlrev_b32_e32 v84, 9, v86
	v_lshl_add_u64 v[6:7], v[6:7], 0, v[8:9]
	v_mov_b32_e32 v85, 0
	v_lshl_add_u64 v[10:11], v[6:7], 0, v[84:85]
	v_or_b32_e32 v14, 0x1000, v84
	v_mov_b32_e32 v15, v85
	v_or_b32_e32 v16, 0x1800, v84
	v_mov_b32_e32 v17, v85
	s_waitcnt lgkmcnt(0)
	s_barrier
	global_load_dwordx4 v[66:69], v[10:11], off
	global_load_dwordx4 v[62:65], v[10:11], off offset:2048
	v_lshl_add_u64 v[10:11], v[6:7], 0, v[14:15]
	v_lshl_add_u64 v[6:7], v[6:7], 0, v[16:17]
	global_load_dwordx4 v[78:81], v[10:11], off
	global_load_dwordx4 v[74:77], v[6:7], off
	s_waitcnt vmcnt(6)
	v_mad_i64_i32 v[4:5], s[14:15], v4, s9, 0
	v_mov_b32_e32 v6, 0x100
	v_lshl_add_u64 v[4:5], v[4:5], 1, s[10:11]
	v_lshl_or_b32 v6, v1, 4, v6
	v_mov_b32_e32 v7, v85
	v_lshl_add_u64 v[4:5], v[4:5], 0, v[6:7]
	v_lshl_add_u64 v[10:11], v[4:5], 0, v[84:85]
	global_load_dwordx4 v[70:73], v[10:11], off
	global_load_dwordx4 v[58:61], v[10:11], off offset:2048
	v_lshl_add_u64 v[10:11], v[4:5], 0, v[14:15]
	v_lshl_add_u64 v[4:5], v[4:5], 0, v[16:17]
	global_load_dwordx4 v[54:57], v[10:11], off
	global_load_dwordx4 v[30:33], v[4:5], off
	s_waitcnt vmcnt(9)
	v_mad_i64_i32 v[4:5], s[14:15], v3, s9, 0
	v_lshl_add_u64 v[4:5], v[4:5], 1, s[10:11]
	s_waitcnt vmcnt(8)
	v_mad_i64_i32 v[2:3], s[14:15], v2, s9, 0
	v_lshl_add_u64 v[4:5], v[4:5], 0, v[8:9]
	v_lshl_add_u64 v[2:3], v[2:3], 1, s[10:11]
	;; [unrolled: 1-line block ×4, first 2 shown]
	global_load_dwordx4 v[26:29], v[8:9], off
	global_load_dwordx4 v[22:25], v[8:9], off offset:2048
	v_lshl_add_u64 v[8:9], v[4:5], 0, v[14:15]
	v_lshl_add_u64 v[4:5], v[4:5], 0, v[16:17]
	;; [unrolled: 1-line block ×4, first 2 shown]
	global_load_dwordx4 v[18:21], v[8:9], off
	global_load_dwordx4 v[10:13], v[4:5], off
	s_nop 0
	global_load_dwordx4 v[6:9], v[2:3], off
	s_nop 0
	global_load_dwordx4 v[2:5], v[2:3], off offset:2048
	v_lshl_add_u64 v[16:17], v[34:35], 0, v[16:17]
	global_load_dwordx4 v[42:45], v[14:15], off
	global_load_dwordx4 v[34:37], v[16:17], off
	v_and_b32_e32 v14, 7, v0
	v_lshl_or_b32 v38, v14, 5, v84
	ds_read_b128 v[14:17], v38
	ds_read_b128 v[50:53], v38 offset:2048
	ds_read_b128 v[46:49], v38 offset:4096
	;; [unrolled: 1-line block ×3, first 2 shown]
	v_and_b32_e32 v88, 63, v0
	v_cmp_gt_u32_e32 vcc, 8, v1
	v_mov_b32_e32 v89, 0
	s_and_saveexec_b64 s[10:11], vcc
	s_cbranch_execz .LBB695_15
; %bb.14:
	s_load_dwordx2 s[14:15], s[0:1], 0x40
	v_or_b32_e32 v90, s27, v1
	v_ashrrev_i32_e32 v91, 31, v90
	s_waitcnt lgkmcnt(0)
	v_lshl_add_u64 v[90:91], v[90:91], 2, s[14:15]
	global_load_dword v89, v[90:91], off
.LBB695_15:
	s_or_b64 exec, exec, s[10:11]
	s_waitcnt vmcnt(15) lgkmcnt(3)
	v_mfma_f32_16x16x16_bf16 v[90:93], v[66:67], v[14:15], 0
	s_ashr_i32 s8, s18, 31
	s_lshr_b32 s8, s8, 27
	s_add_u32 s4, s12, s4
	v_mfma_f32_16x16x16_bf16 v[66:69], v[68:69], v[16:17], v[90:93]
	s_addc_u32 s5, s13, s5
	s_mov_b32 s40, 0xff7fffff
	s_waitcnt vmcnt(14) lgkmcnt(2)
	v_mfma_f32_16x16x16_bf16 v[66:69], v[62:63], v[50:51], v[66:69]
	v_lshl_or_b32 v90, v87, 4, v1
	v_mfma_f32_16x16x16_bf16 v[62:65], v[64:65], v[52:53], v[66:69]
	s_waitcnt vmcnt(13) lgkmcnt(1)
	v_mfma_f32_16x16x16_bf16 v[62:65], v[78:79], v[46:47], v[62:65]
	v_mfma_f32_16x16x16_bf16 v[62:65], v[80:81], v[48:49], v[62:65]
	s_waitcnt vmcnt(12) lgkmcnt(0)
	v_mfma_f32_16x16x16_bf16 v[62:65], v[74:75], v[38:39], v[62:65]
	v_and_or_b32 v74, v0, 48, s18
	v_add_u32_e32 v66, s8, v74
	v_ashrrev_i32_e32 v75, 5, v66
	s_waitcnt vmcnt(11)
	v_mfma_f32_16x16x16_bf16 v[66:69], v[70:71], v[14:15], 0
	v_cmp_gt_i32_e32 vcc, s33, v74
	v_mfma_f32_16x16x16_bf16 v[66:69], v[72:73], v[16:17], v[66:69]
	v_or_b32_e32 v72, 64, v74
	v_add_u32_e32 v73, s8, v72
	s_waitcnt vmcnt(10)
	v_mfma_f32_16x16x16_bf16 v[66:69], v[58:59], v[50:51], v[66:69]
	v_ashrrev_i32_e32 v58, 5, v73
	v_mfma_f32_16x16x16_bf16 v[62:65], v[76:77], v[40:41], v[62:65]
	v_mov_b32_e32 v76, s19
	v_cndmask_b32_e32 v70, v76, v75, vcc
	v_cmp_gt_i32_e32 vcc, s33, v72
	v_ashrrev_i32_e32 v71, 31, v70
	v_lshl_add_u64 v[70:71], v[70:71], 2, s[6:7]
	v_cndmask_b32_e32 v72, v76, v58, vcc
	v_mfma_f32_16x16x16_bf16 v[58:61], v[60:61], v[52:53], v[66:69]
	v_ashrrev_i32_e32 v73, 31, v72
	s_waitcnt vmcnt(9)
	v_mfma_f32_16x16x16_bf16 v[58:61], v[54:55], v[46:47], v[58:61]
	v_lshl_add_u64 v[66:67], v[72:73], 2, s[6:7]
	global_load_dword v68, v[70:71], off
	s_nop 0
	global_load_dword v66, v[66:67], off
	v_or_b32_e32 v67, 0x80, v74
	v_add_u32_e32 v69, s8, v67
	v_mfma_f32_16x16x16_bf16 v[54:57], v[56:57], v[48:49], v[58:61]
	v_cmp_gt_i32_e32 vcc, s33, v67
	s_nop 1
	v_ashrrev_i32_e32 v58, 5, v69
	v_cndmask_b32_e32 v58, v76, v58, vcc
	v_ashrrev_i32_e32 v59, 31, v58
	s_waitcnt vmcnt(10)
	v_mfma_f32_16x16x16_bf16 v[54:57], v[30:31], v[38:39], v[54:57]
	v_lshl_add_u64 v[30:31], v[58:59], 2, s[6:7]
	global_load_dword v70, v[30:31], off
	v_mfma_f32_16x16x16_bf16 v[58:61], v[32:33], v[40:41], v[54:57]
	s_nop 3
	v_or_b32_e32 v54, 0xc0, v74
	v_add_u32_e32 v30, s8, v54
	v_ashrrev_i32_e32 v55, 5, v30
	v_cmp_gt_i32_e32 vcc, s33, v54
	s_waitcnt vmcnt(10)
	v_mfma_f32_16x16x16_bf16 v[30:33], v[26:27], v[14:15], 0
	v_cndmask_b32_e32 v26, v76, v55, vcc
	v_ashrrev_i32_e32 v27, 31, v26
	v_lshl_add_u64 v[54:55], v[26:27], 2, s[6:7]
	global_load_dword v71, v[54:55], off
	v_mfma_f32_16x16x16_bf16 v[26:29], v[28:29], v[16:17], v[30:33]
	s_load_dword s6, s[0:1], 0x1c
	s_waitcnt vmcnt(10)
	v_mfma_f32_16x16x16_bf16 v[26:29], v[22:23], v[50:51], v[26:29]
	v_and_b32_e32 v30, 16, v0
	v_lshlrev_b32_e32 v84, 1, v30
	v_lshl_add_u64 v[74:75], s[4:5], 0, v[84:85]
	v_mfma_f32_16x16x16_bf16 v[22:25], v[24:25], v[52:53], v[26:29]
	v_lshlrev_b32_e32 v84, 6, v90
	v_lshl_add_u64 v[76:77], v[74:75], 0, v[84:85]
	v_or_b32_e32 v84, 0x1000, v84
	s_waitcnt vmcnt(9)
	v_mfma_f32_16x16x16_bf16 v[22:25], v[18:19], v[46:47], v[22:25]
	v_lshl_add_u64 v[80:81], v[74:75], 0, v[84:85]
	s_waitcnt lgkmcnt(0)
	v_pk_mul_f32 v[74:75], s[6:7], v[60:61] op_sel_hi:[0,1]
	v_mfma_f32_16x16x16_bf16 v[18:21], v[20:21], v[48:49], v[22:25]
	s_waitcnt vmcnt(8)
	v_mfma_f32_16x16x16_bf16 v[18:21], v[10:11], v[38:39], v[18:21]
	s_waitcnt vmcnt(3)
	v_mad_i64_i32 v[22:23], s[4:5], v68, s9, 0
	s_waitcnt vmcnt(2)
	v_mad_i64_i32 v[10:11], s[4:5], v66, s9, 0
	v_lshlrev_b64 v[78:79], 1, v[22:23]
	v_lshlrev_b64 v[54:55], 1, v[10:11]
	v_lshl_add_u64 v[22:23], v[76:77], 0, v[78:79]
	v_lshl_add_u64 v[10:11], v[76:77], 0, v[54:55]
	global_load_dwordx4 v[30:33], v[22:23], off
	global_load_dwordx4 v[26:29], v[22:23], off offset:16
	v_mfma_f32_16x16x16_bf16 v[66:69], v[12:13], v[40:41], v[18:21]
	global_load_dwordx4 v[22:25], v[10:11], off
	s_nop 1
	global_load_dwordx4 v[18:21], v[10:11], off offset:16
	v_mfma_f32_16x16x16_bf16 v[10:13], v[6:7], v[14:15], 0
	s_waitcnt vmcnt(5)
	v_mad_i64_i32 v[6:7], s[4:5], v70, s9, 0
	v_lshlrev_b64 v[56:57], 1, v[6:7]
	v_mfma_f32_16x16x16_bf16 v[6:9], v[8:9], v[16:17], v[10:13]
	v_mfma_f32_16x16x16_bf16 v[6:9], v[2:3], v[50:51], v[6:9]
	s_nop 1
	v_lshl_add_u64 v[10:11], v[76:77], 0, v[56:57]
	global_load_dwordx4 v[14:17], v[10:11], off
	s_nop 0
	global_load_dwordx4 v[10:13], v[10:11], off offset:16
	s_waitcnt vmcnt(6)
	v_mad_i64_i32 v[2:3], s[4:5], v71, s9, 0
	v_mfma_f32_16x16x16_bf16 v[70:73], v[4:5], v[52:53], v[6:9]
	v_pk_mul_f32 v[52:53], s[6:7], v[62:63] op_sel_hi:[0,1]
	v_lshlrev_b64 v[50:51], 1, v[2:3]
	v_lshl_add_u64 v[2:3], v[76:77], 0, v[50:51]
	v_mfma_f32_16x16x16_bf16 v[70:73], v[42:43], v[46:47], v[70:73]
	v_lshl_add_u64 v[42:43], v[80:81], 0, v[78:79]
	v_pk_mul_f32 v[78:79], s[6:7], v[64:65] op_sel_hi:[0,1]
	v_pk_mul_f32 v[76:77], s[6:7], v[58:59] op_sel_hi:[0,1]
	v_mfma_f32_16x16x16_bf16 v[44:47], v[44:45], v[48:49], v[70:73]
	v_lshl_add_u64 v[50:51], v[80:81], 0, v[50:51]
	global_load_dwordx4 v[6:9], v[2:3], off
	s_nop 0
	global_load_dwordx4 v[2:5], v[2:3], off offset:16
	v_pk_mul_f32 v[70:71], s[6:7], v[68:69] op_sel_hi:[0,1]
	v_mfma_f32_16x16x16_bf16 v[44:47], v[34:35], v[38:39], v[44:47]
	v_pk_mul_f32 v[72:73], s[6:7], v[66:67] op_sel_hi:[0,1]
	v_mfma_f32_16x16x16_bf16 v[34:37], v[36:37], v[40:41], v[44:47]
	s_nop 6
	v_pk_mul_f32 v[68:69], s[6:7], v[34:35] op_sel_hi:[0,1]
	v_and_b32_e32 v34, 0xc0, v0
	v_add_u32_e32 v34, s18, v34
	v_lshl_or_b32 v34, v86, 2, v34
	v_or_b32_e32 v35, 1, v34
	v_pk_mul_f32 v[66:67], s[6:7], v[36:37] op_sel_hi:[0,1]
	v_subrev_u32_e32 v36, s33, v35
	v_add_u32_e32 v38, 1, v36
	v_add_u32_e32 v39, 2, v36
	v_cvt_f32_i32_e32 v37, v36
	v_cvt_f32_i32_e32 v38, v38
	;; [unrolled: 1-line block ×3, first 2 shown]
	v_add_u32_e32 v40, 3, v36
	v_fma_f32 v52, v89, v37, v52
	v_fmac_f32_e32 v53, v89, v38
	v_fma_f32 v78, v89, v39, v78
	v_add_u32_e32 v37, 16, v36
	v_add_u32_e32 v38, 17, v36
	;; [unrolled: 1-line block ×3, first 2 shown]
	v_cvt_f32_i32_e32 v40, v40
	v_cvt_f32_i32_e32 v37, v37
	;; [unrolled: 1-line block ×4, first 2 shown]
	v_fmac_f32_e32 v79, v89, v40
	v_add_u32_e32 v40, 19, v36
	v_fma_f32 v76, v89, v37, v76
	v_fmac_f32_e32 v77, v89, v38
	v_fma_f32 v74, v89, v39, v74
	v_add_u32_e32 v37, 32, v36
	v_add_u32_e32 v38, 33, v36
	;; [unrolled: 1-line block ×3, first 2 shown]
	v_cvt_f32_i32_e32 v40, v40
	v_cvt_f32_i32_e32 v37, v37
	;; [unrolled: 1-line block ×4, first 2 shown]
	v_fmac_f32_e32 v75, v89, v40
	v_add_u32_e32 v40, 35, v36
	v_fma_f32 v72, v89, v37, v72
	v_fmac_f32_e32 v73, v89, v38
	v_fma_f32 v70, v89, v39, v70
	v_add_u32_e32 v37, 48, v36
	v_add_u32_e32 v38, 49, v36
	;; [unrolled: 1-line block ×4, first 2 shown]
	v_cvt_f32_i32_e32 v36, v36
	v_cvt_f32_i32_e32 v37, v37
	;; [unrolled: 1-line block ×3, first 2 shown]
	v_cmp_gt_i32_e64 s[28:29], s33, v34
	v_fmac_f32_e32 v67, v89, v36
	v_mov_b32_e32 v36, 0xff7fffff
	v_cmp_gt_i32_e64 s[30:31], s33, v35
	v_fma_f32 v68, v89, v37, v68
	v_cndmask_b32_e64 v37, v36, v52, s[28:29]
	v_cndmask_b32_e64 v35, v36, v53, s[30:31]
	v_fmac_f32_e32 v69, v89, v38
	v_max3_f32 v35, v37, s40, v35
	v_or_b32_e32 v37, 2, v34
	v_or_b32_e32 v38, 3, v34
	v_cmp_gt_i32_e64 s[34:35], s33, v37
	v_cmp_gt_i32_e64 s[36:37], s33, v38
	v_cvt_f32_i32_e32 v40, v40
	v_cndmask_b32_e64 v37, v36, v78, s[34:35]
	v_cndmask_b32_e64 v38, v36, v79, s[36:37]
	v_max3_f32 v35, v35, v37, v38
	v_or_b32_e32 v37, 16, v34
	v_or_b32_e32 v38, 17, v34
	v_cmp_gt_i32_e64 s[22:23], s33, v37
	v_cmp_gt_i32_e64 s[24:25], s33, v38
	v_fmac_f32_e32 v71, v89, v40
	v_cndmask_b32_e64 v37, v36, v76, s[22:23]
	v_cndmask_b32_e64 v38, v36, v77, s[24:25]
	v_max3_f32 v35, v35, v37, v38
	v_or_b32_e32 v37, 18, v34
	v_or_b32_e32 v38, 19, v34
	v_cmp_gt_i32_e64 s[18:19], s33, v37
	v_cmp_gt_i32_e64 s[20:21], s33, v38
	v_cvt_f32_i32_e32 v39, v39
	v_cndmask_b32_e64 v37, v36, v74, s[18:19]
	v_cndmask_b32_e64 v38, v36, v75, s[20:21]
	v_max3_f32 v35, v35, v37, v38
	v_or_b32_e32 v37, 32, v34
	v_or_b32_e32 v38, 33, v34
	v_cmp_gt_i32_e64 s[14:15], s33, v37
	v_cmp_gt_i32_e64 s[16:17], s33, v38
	v_fma_f32 v66, v89, v39, v66
	v_cndmask_b32_e64 v37, v36, v72, s[14:15]
	v_cndmask_b32_e64 v38, v36, v73, s[16:17]
	v_max3_f32 v35, v35, v37, v38
	v_or_b32_e32 v37, 34, v34
	v_or_b32_e32 v38, 35, v34
	v_cmp_gt_i32_e64 s[10:11], s33, v37
	v_cmp_gt_i32_e64 s[12:13], s33, v38
	s_nop 0
	v_cndmask_b32_e64 v37, v36, v70, s[10:11]
	v_cndmask_b32_e64 v38, v36, v71, s[12:13]
	v_max3_f32 v35, v35, v37, v38
	v_or_b32_e32 v37, 48, v34
	v_or_b32_e32 v38, 49, v34
	v_cmp_gt_i32_e64 s[6:7], s33, v37
	v_cmp_gt_i32_e64 s[8:9], s33, v38
	s_nop 0
	v_cndmask_b32_e64 v37, v36, v68, s[6:7]
	v_cndmask_b32_e64 v38, v36, v69, s[8:9]
	v_max3_f32 v35, v35, v37, v38
	v_or_b32_e32 v37, 50, v34
	v_or_b32_e32 v34, 51, v34
	v_cmp_gt_i32_e32 vcc, s33, v37
	v_cmp_gt_i32_e64 s[4:5], s33, v34
	global_load_dwordx4 v[46:49], v[42:43], off
	global_load_dwordx4 v[38:41], v[42:43], off offset:16
	v_cndmask_b32_e32 v37, v36, v66, vcc
	v_cndmask_b32_e64 v34, v36, v67, s[4:5]
	v_max3_f32 v58, v35, v37, v34
	v_mbcnt_lo_u32_b32 v34, -1, 0
	v_mbcnt_hi_u32_b32 v59, -1, v34
	v_and_b32_e32 v34, 64, v59
	v_add_u32_e32 v60, 64, v34
	v_xor_b32_e32 v34, 32, v59
	v_cmp_lt_i32_e64 s[38:39], v34, v60
	s_nop 1
	v_cndmask_b32_e64 v34, v59, v34, s[38:39]
	v_lshlrev_b32_e32 v85, 2, v34
	ds_bpermute_b32 v61, v85, v58
	v_lshl_add_u64 v[34:35], v[80:81], 0, v[54:55]
	global_load_dwordx4 v[42:45], v[34:35], off
	s_nop 0
	global_load_dwordx4 v[34:37], v[34:35], off offset:16
	s_waitcnt lgkmcnt(0)
	v_max_f32_e32 v54, v61, v61
	v_max_f32_e32 v62, v58, v54
	v_xor_b32_e32 v54, 16, v59
	v_cmp_lt_i32_e64 s[38:39], v54, v60
	s_nop 1
	v_cndmask_b32_e64 v54, v59, v54, s[38:39]
	v_lshlrev_b32_e32 v89, 2, v54
	ds_bpermute_b32 v63, v89, v62
	v_lshl_add_u64 v[54:55], v[80:81], 0, v[56:57]
	global_load_dwordx4 v[58:61], v[54:55], off
	s_nop 0
	global_load_dwordx4 v[54:57], v[54:55], off offset:16
	s_waitcnt lgkmcnt(0)
	v_max_f32_e32 v63, v63, v63
	v_max_f32_e32 v84, v62, v63
	v_sub_f32_e32 v52, v52, v84
	v_mul_f32_e32 v52, 0x3fb8aa3b, v52
	v_exp_f32_e32 v80, v52
	v_sub_f32_e32 v52, v53, v84
	v_mul_f32_e32 v52, 0x3fb8aa3b, v52
	v_exp_f32_e32 v81, v52
	global_load_dwordx4 v[62:65], v[50:51], off
	s_nop 0
	global_load_dwordx4 v[50:53], v[50:51], off offset:16
	v_sub_f32_e32 v78, v78, v84
	v_mul_f32_e32 v78, 0x3fb8aa3b, v78
	v_sub_f32_e32 v79, v79, v84
	v_exp_f32_e32 v78, v78
	v_mul_f32_e32 v79, 0x3fb8aa3b, v79
	v_sub_f32_e32 v76, v76, v84
	v_exp_f32_e32 v79, v79
	v_mul_f32_e32 v76, 0x3fb8aa3b, v76
	v_sub_f32_e32 v77, v77, v84
	v_cndmask_b32_e64 v80, 0, v80, s[28:29]
	v_exp_f32_e32 v76, v76
	v_mul_f32_e32 v77, 0x3fb8aa3b, v77
	v_sub_f32_e32 v74, v74, v84
	v_add_f32_e32 v91, 0, v80
	v_cndmask_b32_e64 v81, 0, v81, s[30:31]
	v_exp_f32_e32 v77, v77
	v_mul_f32_e32 v74, 0x3fb8aa3b, v74
	v_sub_f32_e32 v75, v75, v84
	v_add_f32_e32 v91, v91, v81
	;; [unrolled: 5-line block ×10, first 2 shown]
	v_cndmask_b32_e64 v70, 0, v70, s[10:11]
	v_exp_f32_e32 v66, v66
	v_mul_f32_e32 v67, 0x3fb8aa3b, v67
	v_add_f32_e32 v91, v91, v70
	v_cndmask_b32_e64 v71, 0, v71, s[12:13]
	v_exp_f32_e32 v67, v67
	v_add_f32_e32 v91, v91, v71
	v_cndmask_b32_e64 v68, 0, v68, s[6:7]
	v_add_f32_e32 v91, v91, v68
	v_cndmask_b32_e64 v69, 0, v69, s[8:9]
	v_add_f32_e32 v91, v91, v69
	v_cndmask_b32_e32 v66, 0, v66, vcc
	v_add_f32_e32 v91, v91, v66
	v_cndmask_b32_e64 v67, 0, v67, s[4:5]
	v_add_f32_e32 v91, v91, v67
	ds_bpermute_b32 v85, v85, v91
	s_load_dword s7, s[0:1], 0x98
	v_cmp_gt_u32_e32 vcc, 16, v88
	s_waitcnt lgkmcnt(0)
	s_barrier
	v_add_f32_e32 v85, v91, v85
	ds_bpermute_b32 v89, v89, v85
	s_waitcnt lgkmcnt(0)
	s_and_saveexec_b64 s[4:5], vcc
	s_cbranch_execz .LBB695_17
; %bb.16:
	v_add_f32_e32 v85, v85, v89
	v_lshlrev_b32_e32 v88, 2, v90
	ds_write2st64_b32 v88, v84, v85 offset1:1
.LBB695_17:
	s_or_b64 exec, exec, s[4:5]
	v_lshlrev_b32_e32 v85, 2, v1
	s_load_dword s6, s[0:1], 0x94
	s_waitcnt lgkmcnt(0)
	s_barrier
	ds_read2_b32 v[88:89], v85 offset1:16
	ds_read2_b32 v[90:91], v85 offset0:32 offset1:48
	ds_read2_b32 v[92:93], v85 offset0:64 offset1:80
	v_mov_b32_e32 v87, v1
	s_movk_i32 s8, 0x7fff
	s_waitcnt lgkmcnt(2)
	v_max3_f32 v84, v88, s40, v89
	s_waitcnt lgkmcnt(1)
	v_max3_f32 v84, v84, v90, v91
	v_sub_f32_e32 v88, v88, v84
	v_mul_f32_e32 v88, 0x3fb8aa3b, v88
	v_exp_f32_e32 v94, v88
	v_sub_f32_e32 v88, v89, v84
	v_mul_f32_e32 v88, 0x3fb8aa3b, v88
	v_exp_f32_e32 v95, v88
	;; [unrolled: 3-line block ×3, first 2 shown]
	ds_read2_b32 v[88:89], v85 offset0:96 offset1:112
	v_sub_f32_e32 v85, v91, v84
	v_mul_f32_e32 v85, 0x3fb8aa3b, v85
	v_exp_f32_e32 v91, v85
	s_waitcnt lgkmcnt(1)
	v_fma_f32 v85, v94, v92, 0
	v_fmac_f32_e32 v85, v95, v93
	s_waitcnt lgkmcnt(0)
	v_fmac_f32_e32 v85, v90, v88
	v_fmac_f32_e32 v85, v91, v89
	v_add_f32_e32 v88, 0x358637bd, v85
	v_div_scale_f32 v89, s[4:5], v88, v88, 1.0
	v_rcp_f32_e32 v92, v89
	s_mov_b32 s9, 0x7060302
	s_lshl_b32 s7, s7, 3
	v_fma_f32 v93, -v89, v92, 1.0
	v_fmac_f32_e32 v92, v93, v92
	v_div_scale_f32 v93, vcc, 1.0, v88, 1.0
	v_mul_f32_e32 v86, v93, v92
	v_fma_f32 v1, -v89, v86, v93
	v_fmac_f32_e32 v86, v1, v92
	v_fma_f32 v1, -v89, v86, v93
	v_div_fmas_f32 v1, v1, v92, v86
	v_lshrrev_b32_e32 v92, 6, v0
	v_cmp_eq_u32_e32 vcc, 1, v92
	v_div_fixup_f32 v1, v1, v88, 1.0
	v_mov_b32_e32 v89, v87
	v_cndmask_b32_e32 v86, v94, v95, vcc
	v_cmp_eq_u32_e32 vcc, 2, v92
	v_bfe_u32 v87, v0, 4, 2
	s_barrier
	v_cndmask_b32_e32 v86, v86, v90, vcc
	v_cmp_eq_u32_e32 vcc, 3, v92
	s_nop 1
	v_cndmask_b32_e32 v86, v86, v91, vcc
	v_mul_f32_e32 v88, v86, v1
	v_pk_mul_f32 v[80:81], v[88:89], v[80:81] op_sel_hi:[0,1]
	v_bfe_u32 v1, v81, 16, 1
	v_bfe_u32 v86, v80, 16, 1
	v_pk_mul_f32 v[78:79], v[88:89], v[78:79] op_sel_hi:[0,1]
	v_add3_u32 v80, v80, v86, s8
	v_add3_u32 v1, v81, v1, s8
	v_perm_b32 v80, v1, v80, s9
	v_bfe_u32 v1, v79, 16, 1
	v_bfe_u32 v81, v78, 16, 1
	v_add3_u32 v78, v78, v81, s8
	v_add3_u32 v1, v79, v1, s8
	v_perm_b32 v81, v1, v78, s9
	v_lshlrev_b32_e32 v1, 3, v87
	v_lshlrev_b32_e32 v79, 5, v89
	;; [unrolled: 1-line block ×3, first 2 shown]
	v_pk_mul_f32 v[76:77], v[88:89], v[76:77] op_sel_hi:[0,1]
	v_or3_b32 v78, v78, v79, v1
	v_bfe_u32 v1, v77, 16, 1
	v_bfe_u32 v86, v76, 16, 1
	v_pk_mul_f32 v[74:75], v[88:89], v[74:75] op_sel_hi:[0,1]
	v_add3_u32 v76, v76, v86, s8
	v_add3_u32 v1, v77, v1, s8
	v_perm_b32 v76, v1, v76, s9
	v_bfe_u32 v1, v75, 16, 1
	v_bfe_u32 v77, v74, 16, 1
	v_add3_u32 v74, v74, v77, s8
	v_add3_u32 v1, v75, v1, s8
	v_pk_mul_f32 v[72:73], v[88:89], v[72:73] op_sel_hi:[0,1]
	v_perm_b32 v77, v1, v74, s9
	v_bfe_u32 v1, v73, 16, 1
	v_bfe_u32 v74, v72, 16, 1
	v_pk_mul_f32 v[70:71], v[88:89], v[70:71] op_sel_hi:[0,1]
	v_add3_u32 v72, v72, v74, s8
	v_add3_u32 v1, v73, v1, s8
	v_perm_b32 v72, v1, v72, s9
	v_bfe_u32 v1, v71, 16, 1
	v_bfe_u32 v73, v70, 16, 1
	v_add3_u32 v70, v70, v73, s8
	v_add3_u32 v1, v71, v1, s8
	v_pk_mul_f32 v[68:69], v[88:89], v[68:69] op_sel_hi:[0,1]
	v_perm_b32 v73, v1, v70, s9
	v_bfe_u32 v1, v69, 16, 1
	v_bfe_u32 v70, v68, 16, 1
	v_pk_mul_f32 v[66:67], v[88:89], v[66:67] op_sel_hi:[0,1]
	v_add3_u32 v68, v68, v70, s8
	v_add3_u32 v1, v69, v1, s8
	v_perm_b32 v68, v1, v68, s9
	v_bfe_u32 v1, v67, 16, 1
	v_bfe_u32 v69, v66, 16, 1
	v_add3_u32 v66, v66, v69, s8
	v_add3_u32 v1, v67, v1, s8
	v_perm_b32 v69, v1, v66, s9
	v_cmp_gt_u32_e32 vcc, 8, v0
	ds_write2st64_b64 v78, v[80:81], v[76:77] offset1:1
	ds_write2st64_b64 v78, v[72:73], v[68:69] offset0:2 offset1:3
	s_and_saveexec_b64 s[4:5], vcc
	s_cbranch_execz .LBB695_19
; %bb.18:
	v_or_b32_e32 v66, s27, v0
	v_mov_b32_e32 v67, 0
	v_mov_b32_e32 v1, s7
	v_mad_u64_u32 v[68:69], s[10:11], s2, v1, v[66:67]
	v_mov_b32_e32 v66, s26
	s_load_dwordx4 s[12:15], s[0:1], 0x58
	s_mul_i32 s3, s3, s7
	v_mad_u64_u32 v[66:67], s[10:11], v68, s6, v[66:67]
	v_add_u32_e32 v1, s3, v69
	v_mov_b32_e32 v68, v67
	v_mad_u64_u32 v[68:69], s[10:11], v1, s6, v[68:69]
	v_mov_b32_e32 v67, v68
	v_lshlrev_b64 v[66:67], 2, v[66:67]
	s_waitcnt lgkmcnt(0)
	v_lshl_add_u64 v[68:69], s[14:15], 0, v[66:67]
	v_lshl_add_u64 v[66:67], s[12:13], 0, v[66:67]
	global_store_dword v[68:69], v84, off
	global_store_dword v[66:67], v85, off
.LBB695_19:
	s_or_b64 exec, exec, s[4:5]
	v_lshl_or_b32 v1, v87, 9, v79
	s_waitcnt lgkmcnt(0)
	s_barrier
	ds_read_b128 v[70:73], v1
	ds_read_b128 v[66:69], v1 offset:16
	s_waitcnt vmcnt(15) lgkmcnt(1)
	v_mfma_f32_16x16x16_bf16 v[74:77], v[30:31], v[70:71], 0
	s_mov_b32 s3, 0
	v_cmp_gt_u32_e32 vcc, 64, v0
	v_mfma_f32_16x16x16_bf16 v[30:33], v[32:33], v[72:73], v[74:77]
	s_waitcnt vmcnt(14) lgkmcnt(0)
	v_mfma_f32_16x16x16_bf16 v[30:33], v[26:27], v[66:67], v[30:33]
	v_mfma_f32_16x16x16_bf16 v[26:29], v[28:29], v[68:69], v[30:33]
	s_nop 5
	ds_read_b128 v[30:33], v1 offset:2048
	ds_read_b128 v[74:77], v1 offset:2064
	s_waitcnt vmcnt(13) lgkmcnt(1)
	v_mfma_f32_16x16x16_bf16 v[26:29], v[22:23], v[30:31], v[26:29]
	v_mfma_f32_16x16x16_bf16 v[22:25], v[24:25], v[32:33], v[26:29]
	s_waitcnt vmcnt(12) lgkmcnt(0)
	v_mfma_f32_16x16x16_bf16 v[22:25], v[18:19], v[74:75], v[22:25]
	v_mfma_f32_16x16x16_bf16 v[18:21], v[20:21], v[76:77], v[22:25]
	s_nop 5
	ds_read_b128 v[22:25], v1 offset:4096
	ds_read_b128 v[26:29], v1 offset:4112
	s_waitcnt vmcnt(11) lgkmcnt(1)
	v_mfma_f32_16x16x16_bf16 v[18:21], v[14:15], v[22:23], v[18:21]
	v_mfma_f32_16x16x16_bf16 v[14:17], v[16:17], v[24:25], v[18:21]
	s_waitcnt vmcnt(10) lgkmcnt(0)
	v_mfma_f32_16x16x16_bf16 v[14:17], v[10:11], v[26:27], v[14:17]
	v_mfma_f32_16x16x16_bf16 v[10:13], v[12:13], v[28:29], v[14:17]
	s_nop 5
	ds_read_b128 v[14:17], v1 offset:6144
	ds_read_b128 v[18:21], v1 offset:6160
	s_waitcnt lgkmcnt(0)
	s_barrier
	s_waitcnt vmcnt(9)
	v_mfma_f32_16x16x16_bf16 v[10:13], v[6:7], v[14:15], v[10:13]
	v_mfma_f32_16x16x16_bf16 v[6:9], v[8:9], v[16:17], v[10:13]
	s_waitcnt vmcnt(8)
	v_mfma_f32_16x16x16_bf16 v[6:9], v[2:3], v[18:19], v[6:9]
	v_mfma_f32_16x16x16_bf16 v[2:5], v[4:5], v[20:21], v[6:9]
	;; [unrolled: 3-line block ×3, first 2 shown]
	s_nop 3
	v_bfe_u32 v1, v3, 16, 1
	v_bfe_u32 v10, v2, 16, 1
	v_add3_u32 v2, v2, v10, s8
	s_waitcnt vmcnt(6)
	v_mfma_f32_16x16x16_bf16 v[6:9], v[38:39], v[66:67], v[6:9]
	v_add3_u32 v1, v3, v1, s8
	v_perm_b32 v10, v1, v2, s9
	v_bfe_u32 v1, v5, 16, 1
	v_mfma_f32_16x16x16_bf16 v[6:9], v[40:41], v[68:69], v[6:9]
	v_bfe_u32 v2, v4, 16, 1
	v_add3_u32 v2, v4, v2, s8
	v_add3_u32 v1, v5, v1, s8
	s_waitcnt vmcnt(5)
	v_mfma_f32_16x16x16_bf16 v[6:9], v[42:43], v[30:31], v[6:9]
	v_perm_b32 v11, v1, v2, s9
	v_mfma_f32_16x16x16_bf16 v[6:9], v[44:45], v[32:33], v[6:9]
	s_waitcnt vmcnt(4)
	v_mfma_f32_16x16x16_bf16 v[6:9], v[34:35], v[74:75], v[6:9]
	v_mfma_f32_16x16x16_bf16 v[6:9], v[36:37], v[76:77], v[6:9]
	s_waitcnt vmcnt(3)
	v_mfma_f32_16x16x16_bf16 v[6:9], v[58:59], v[22:23], v[6:9]
	;; [unrolled: 3-line block ×5, first 2 shown]
	v_mfma_f32_16x16x16_bf16 v[2:5], v[52:53], v[20:21], v[6:9]
	s_nop 6
	v_bfe_u32 v1, v3, 16, 1
	v_bfe_u32 v6, v2, 16, 1
	v_add3_u32 v2, v2, v6, s8
	v_add3_u32 v1, v3, v1, s8
	v_perm_b32 v2, v1, v2, s9
	v_bfe_u32 v1, v5, 16, 1
	v_bfe_u32 v3, v4, 16, 1
	v_add3_u32 v3, v4, v3, s8
	v_add3_u32 v1, v5, v1, s8
	v_perm_b32 v3, v1, v3, s9
	ds_write2st64_b64 v78, v[10:11], v[2:3] offset1:1
	s_waitcnt lgkmcnt(0)
	s_barrier
	s_and_saveexec_b64 s[4:5], vcc
	s_cbranch_execz .LBB695_21
; %bb.20:
	s_load_dwordx2 s[0:1], s[0:1], 0x68
	s_lshl_b32 s6, s6, 7
	s_mul_i32 s2, s7, s2
	s_mul_hi_u32 s5, s2, s6
	s_mul_i32 s4, s2, s6
	v_lshlrev_b32_e32 v3, 6, v89
	s_lshl_b64 s[4:5], s[4:5], 1
	v_lshlrev_b32_e32 v2, 4, v0
	v_lshl_or_b32 v0, v0, 10, v3
	s_waitcnt lgkmcnt(0)
	s_add_u32 s4, s0, s4
	v_lshlrev_b32_e32 v1, 5, v87
	v_and_b32_e32 v2, 16, v2
	v_and_b32_e32 v0, 0x1a00, v0
	s_addc_u32 s5, s1, s5
	s_lshl_b32 s2, s26, 7
	v_or3_b32 v4, v0, v1, v2
	s_lshl_b64 s[0:1], s[2:3], 1
	ds_read_b128 v[0:3], v4
	ds_read_b128 v[4:7], v4 offset:128
	s_add_u32 s0, s4, s0
	s_addc_u32 s1, s5, s1
	v_or_b32_e32 v12, s27, v87
	v_lshl_add_u64 v[8:9], v[82:83], 1, s[0:1]
	v_mad_u64_u32 v[10:11], s[0:1], v12, s6, 0
	v_lshl_add_u64 v[10:11], v[10:11], 1, v[8:9]
	s_waitcnt lgkmcnt(1)
	global_store_dwordx4 v[10:11], v[0:3], off
	s_nop 1
	v_or_b32_e32 v0, 4, v12
	v_mad_u64_u32 v[0:1], s[0:1], v0, s6, 0
	v_lshl_add_u64 v[0:1], v[0:1], 1, v[8:9]
	s_waitcnt lgkmcnt(0)
	global_store_dwordx4 v[0:1], v[4:7], off
.LBB695_21:
	s_endpgm
	.section	.rodata,"a",@progbits
	.p2align	6, 0x0
	.amdhsa_kernel _Z39paged_attention_ll4mi_QKV_mfma16_kernelI14__hip_bfloat16S0_LN4vllm18Fp8KVCacheDataTypeE0EhLi32ELi128ELi256ELb1ELi8EEvPKT_PKT0_S8_ifPKiSA_SA_iPKfiiiPfSD_PS3_PT2_iSC_SC_
		.amdhsa_group_segment_fixed_size 8192
		.amdhsa_private_segment_fixed_size 0
		.amdhsa_kernarg_size 400
		.amdhsa_user_sgpr_count 2
		.amdhsa_user_sgpr_dispatch_ptr 0
		.amdhsa_user_sgpr_queue_ptr 0
		.amdhsa_user_sgpr_kernarg_segment_ptr 1
		.amdhsa_user_sgpr_dispatch_id 0
		.amdhsa_user_sgpr_kernarg_preload_length 0
		.amdhsa_user_sgpr_kernarg_preload_offset 0
		.amdhsa_user_sgpr_private_segment_size 0
		.amdhsa_uses_dynamic_stack 0
		.amdhsa_enable_private_segment 0
		.amdhsa_system_sgpr_workgroup_id_x 1
		.amdhsa_system_sgpr_workgroup_id_y 1
		.amdhsa_system_sgpr_workgroup_id_z 1
		.amdhsa_system_sgpr_workgroup_info 0
		.amdhsa_system_vgpr_workitem_id 0
		.amdhsa_next_free_vgpr 96
		.amdhsa_next_free_sgpr 41
		.amdhsa_accum_offset 96
		.amdhsa_reserve_vcc 1
		.amdhsa_float_round_mode_32 0
		.amdhsa_float_round_mode_16_64 0
		.amdhsa_float_denorm_mode_32 3
		.amdhsa_float_denorm_mode_16_64 3
		.amdhsa_dx10_clamp 1
		.amdhsa_ieee_mode 1
		.amdhsa_fp16_overflow 0
		.amdhsa_tg_split 0
		.amdhsa_exception_fp_ieee_invalid_op 0
		.amdhsa_exception_fp_denorm_src 0
		.amdhsa_exception_fp_ieee_div_zero 0
		.amdhsa_exception_fp_ieee_overflow 0
		.amdhsa_exception_fp_ieee_underflow 0
		.amdhsa_exception_fp_ieee_inexact 0
		.amdhsa_exception_int_div_zero 0
	.end_amdhsa_kernel
	.section	.text._Z39paged_attention_ll4mi_QKV_mfma16_kernelI14__hip_bfloat16S0_LN4vllm18Fp8KVCacheDataTypeE0EhLi32ELi128ELi256ELb1ELi8EEvPKT_PKT0_S8_ifPKiSA_SA_iPKfiiiPfSD_PS3_PT2_iSC_SC_,"axG",@progbits,_Z39paged_attention_ll4mi_QKV_mfma16_kernelI14__hip_bfloat16S0_LN4vllm18Fp8KVCacheDataTypeE0EhLi32ELi128ELi256ELb1ELi8EEvPKT_PKT0_S8_ifPKiSA_SA_iPKfiiiPfSD_PS3_PT2_iSC_SC_,comdat
.Lfunc_end695:
	.size	_Z39paged_attention_ll4mi_QKV_mfma16_kernelI14__hip_bfloat16S0_LN4vllm18Fp8KVCacheDataTypeE0EhLi32ELi128ELi256ELb1ELi8EEvPKT_PKT0_S8_ifPKiSA_SA_iPKfiiiPfSD_PS3_PT2_iSC_SC_, .Lfunc_end695-_Z39paged_attention_ll4mi_QKV_mfma16_kernelI14__hip_bfloat16S0_LN4vllm18Fp8KVCacheDataTypeE0EhLi32ELi128ELi256ELb1ELi8EEvPKT_PKT0_S8_ifPKiSA_SA_iPKfiiiPfSD_PS3_PT2_iSC_SC_
                                        ; -- End function
	.section	.AMDGPU.csdata,"",@progbits
; Kernel info:
; codeLenInByte = 5132
; NumSgprs: 47
; NumVgprs: 96
; NumAgprs: 0
; TotalNumVgprs: 96
; ScratchSize: 0
; MemoryBound: 0
; FloatMode: 240
; IeeeMode: 1
; LDSByteSize: 8192 bytes/workgroup (compile time only)
; SGPRBlocks: 5
; VGPRBlocks: 11
; NumSGPRsForWavesPerEU: 47
; NumVGPRsForWavesPerEU: 96
; AccumOffset: 96
; Occupancy: 5
; WaveLimiterHint : 1
; COMPUTE_PGM_RSRC2:SCRATCH_EN: 0
; COMPUTE_PGM_RSRC2:USER_SGPR: 2
; COMPUTE_PGM_RSRC2:TRAP_HANDLER: 0
; COMPUTE_PGM_RSRC2:TGID_X_EN: 1
; COMPUTE_PGM_RSRC2:TGID_Y_EN: 1
; COMPUTE_PGM_RSRC2:TGID_Z_EN: 1
; COMPUTE_PGM_RSRC2:TIDIG_COMP_CNT: 0
; COMPUTE_PGM_RSRC3_GFX90A:ACCUM_OFFSET: 23
; COMPUTE_PGM_RSRC3_GFX90A:TG_SPLIT: 0
	.section	.text._Z39paged_attention_ll4mi_QKV_mfma16_kernelI14__hip_bfloat16S0_LN4vllm18Fp8KVCacheDataTypeE0EhLi32ELi128ELi256ELb1ELi9EEvPKT_PKT0_S8_ifPKiSA_SA_iPKfiiiPfSD_PS3_PT2_iSC_SC_,"axG",@progbits,_Z39paged_attention_ll4mi_QKV_mfma16_kernelI14__hip_bfloat16S0_LN4vllm18Fp8KVCacheDataTypeE0EhLi32ELi128ELi256ELb1ELi9EEvPKT_PKT0_S8_ifPKiSA_SA_iPKfiiiPfSD_PS3_PT2_iSC_SC_,comdat
	.protected	_Z39paged_attention_ll4mi_QKV_mfma16_kernelI14__hip_bfloat16S0_LN4vllm18Fp8KVCacheDataTypeE0EhLi32ELi128ELi256ELb1ELi9EEvPKT_PKT0_S8_ifPKiSA_SA_iPKfiiiPfSD_PS3_PT2_iSC_SC_ ; -- Begin function _Z39paged_attention_ll4mi_QKV_mfma16_kernelI14__hip_bfloat16S0_LN4vllm18Fp8KVCacheDataTypeE0EhLi32ELi128ELi256ELb1ELi9EEvPKT_PKT0_S8_ifPKiSA_SA_iPKfiiiPfSD_PS3_PT2_iSC_SC_
	.globl	_Z39paged_attention_ll4mi_QKV_mfma16_kernelI14__hip_bfloat16S0_LN4vllm18Fp8KVCacheDataTypeE0EhLi32ELi128ELi256ELb1ELi9EEvPKT_PKT0_S8_ifPKiSA_SA_iPKfiiiPfSD_PS3_PT2_iSC_SC_
	.p2align	8
	.type	_Z39paged_attention_ll4mi_QKV_mfma16_kernelI14__hip_bfloat16S0_LN4vllm18Fp8KVCacheDataTypeE0EhLi32ELi128ELi256ELb1ELi9EEvPKT_PKT0_S8_ifPKiSA_SA_iPKfiiiPfSD_PS3_PT2_iSC_SC_,@function
_Z39paged_attention_ll4mi_QKV_mfma16_kernelI14__hip_bfloat16S0_LN4vllm18Fp8KVCacheDataTypeE0EhLi32ELi128ELi256ELb1ELi9EEvPKT_PKT0_S8_ifPKiSA_SA_iPKfiiiPfSD_PS3_PT2_iSC_SC_: ; @_Z39paged_attention_ll4mi_QKV_mfma16_kernelI14__hip_bfloat16S0_LN4vllm18Fp8KVCacheDataTypeE0EhLi32ELi128ELi256ELb1ELi9EEvPKT_PKT0_S8_ifPKiSA_SA_iPKfiiiPfSD_PS3_PT2_iSC_SC_
; %bb.0:
	s_load_dwordx2 s[8:9], s[0:1], 0x30
	s_mov_b32 s26, s3
	s_mov_b64 s[6:7], 0
	s_waitcnt lgkmcnt(0)
	s_cmp_lg_u64 s[8:9], 0
	s_cselect_b64 s[10:11], -1, 0
	s_and_b64 vcc, exec, s[10:11]
	s_cbranch_vccz .LBB696_7
; %bb.1:
	s_add_i32 s12, s2, 1
	s_mov_b32 s13, 0
	s_lshl_b64 s[14:15], s[12:13], 2
	s_add_u32 s14, s8, s14
	s_mov_b32 s3, s13
	s_addc_u32 s15, s9, s15
	s_lshl_b64 s[12:13], s[2:3], 2
	s_add_u32 s12, s8, s12
	s_addc_u32 s13, s9, s13
	s_load_dword s5, s[14:15], 0x0
	s_load_dword s16, s[12:13], 0x0
	s_waitcnt lgkmcnt(0)
	s_sub_i32 s5, s5, s16
	s_cmp_eq_u32 s5, 1
	s_cselect_b64 s[12:13], -1, 0
	s_andn2_b64 vcc, exec, s[6:7]
	s_cbranch_vccnz .LBB696_3
.LBB696_2:
	s_mov_b32 s3, 0
	s_mov_b64 s[12:13], -1
.LBB696_3:
	s_andn2_b64 vcc, exec, s[12:13]
	s_cbranch_vccnz .LBB696_22
; %bb.4:
	s_load_dwordx2 s[6:7], s[0:1], 0x28
	s_lshl_b64 s[12:13], s[2:3], 2
	s_waitcnt lgkmcnt(0)
	s_add_u32 s6, s6, s12
	s_addc_u32 s7, s7, s13
	s_load_dword s27, s[6:7], 0x0
	s_lshl_b32 s18, s26, 8
	s_waitcnt lgkmcnt(0)
	s_cmp_ge_i32 s18, s27
	s_cbranch_scc1 .LBB696_22
; %bb.5:
	s_load_dwordx2 s[6:7], s[0:1], 0x20
	s_load_dword s5, s[0:1], 0x38
	s_add_i32 s14, s27, 31
	s_ashr_i32 s15, s14, 31
	v_and_b32_e32 v1, 0xcf, v0
	s_lshr_b32 s15, s15, 27
	v_add_u32_e32 v1, s18, v1
	s_add_i32 s14, s14, s15
	v_ashrrev_i32_e32 v2, 31, v1
	s_ashr_i32 s19, s14, 5
	v_lshrrev_b32_e32 v4, 27, v2
	s_add_i32 s19, s19, -1
	s_waitcnt lgkmcnt(0)
	s_mul_i32 s14, s2, s5
	s_mov_b32 s15, 0
	v_add_u32_e32 v2, v1, v4
	s_lshl_b64 s[14:15], s[14:15], 2
	v_ashrrev_i32_e32 v2, 5, v2
	v_mov_b32_e32 v5, s19
	v_cmp_gt_i32_e32 vcc, s27, v1
	s_add_u32 s6, s6, s14
	s_addc_u32 s7, s7, s15
	v_cndmask_b32_e32 v2, v5, v2, vcc
	v_ashrrev_i32_e32 v3, 31, v2
	v_lshl_add_u64 v[6:7], v[2:3], 2, s[6:7]
	v_or_b32_e32 v2, 16, v1
	v_add_u32_e32 v3, v2, v4
	v_ashrrev_i32_e32 v3, 5, v3
	v_cmp_gt_i32_e32 vcc, s27, v2
	s_nop 1
	v_cndmask_b32_e32 v2, v5, v3, vcc
	v_ashrrev_i32_e32 v3, 31, v2
	v_lshl_add_u64 v[8:9], v[2:3], 2, s[6:7]
	v_or_b32_e32 v2, 32, v1
	v_add_u32_e32 v3, v2, v4
	v_ashrrev_i32_e32 v3, 5, v3
	v_cmp_gt_i32_e32 vcc, s27, v2
	v_or_b32_e32 v1, 48, v1
	s_nop 0
	v_cndmask_b32_e32 v2, v5, v3, vcc
	v_ashrrev_i32_e32 v3, 31, v2
	v_lshl_add_u64 v[10:11], v[2:3], 2, s[6:7]
	v_add_u32_e32 v2, v1, v4
	v_ashrrev_i32_e32 v2, 5, v2
	v_cmp_gt_i32_e32 vcc, s27, v1
	s_nop 1
	v_cndmask_b32_e32 v2, v5, v2, vcc
	v_ashrrev_i32_e32 v3, 31, v2
	v_lshl_add_u64 v[12:13], v[2:3], 2, s[6:7]
	global_load_dword v5, v[6:7], off
	global_load_dword v4, v[8:9], off
	;; [unrolled: 1-line block ×4, first 2 shown]
	s_andn2_b64 vcc, exec, s[10:11]
	s_cbranch_vccnz .LBB696_8
; %bb.6:
	s_add_u32 s8, s8, s12
	s_addc_u32 s9, s9, s13
	s_load_dword s5, s[8:9], 0x0
	s_branch .LBB696_9
.LBB696_7:
	s_mov_b64 s[12:13], 0
	s_branch .LBB696_2
.LBB696_8:
	s_mov_b32 s5, s2
.LBB696_9:
	s_load_dwordx2 s[14:15], s[0:1], 0x8
	s_load_dwordx4 s[8:11], s[0:1], 0x48
	v_lshrrev_b32_e32 v88, 6, v0
	v_bfe_u32 v1, v0, 4, 2
	v_lshl_or_b32 v6, v88, 2, v1
	v_and_b32_e32 v84, 15, v0
	v_lshlrev_b32_e32 v82, 3, v84
	v_cmp_lt_u32_e32 vcc, 8, v6
	s_and_saveexec_b64 s[12:13], vcc
	s_xor_b64 s[12:13], exec, s[12:13]
; %bb.10:
	v_mov_b32_e32 v83, 0
                                        ; implicit-def: $vgpr6
; %bb.11:
	s_or_saveexec_b64 s[16:17], s[12:13]
	s_load_dwordx2 s[12:13], s[0:1], 0x10
	s_mul_i32 s40, s4, 9
	s_xor_b64 exec, exec, s[16:17]
	s_cbranch_execz .LBB696_13
; %bb.12:
	s_load_dwordx2 s[20:21], s[0:1], 0x0
	s_waitcnt lgkmcnt(0)
	s_ashr_i32 s11, s8, 31
	s_mul_hi_u32 s22, s5, s8
	s_mul_i32 s11, s5, s11
	s_add_i32 s23, s22, s11
	s_mul_i32 s22, s5, s8
	s_lshl_b64 s[22:23], s[22:23], 1
	s_add_u32 s20, s20, s22
	v_add_lshl_u32 v8, v6, s40, 7
	s_addc_u32 s21, s21, s23
	v_ashrrev_i32_e32 v9, 31, v8
	v_mov_b32_e32 v83, 0
	v_lshl_add_u64 v[8:9], v[8:9], 1, s[20:21]
	v_lshlrev_b32_e32 v10, 1, v82
	v_mov_b32_e32 v11, v83
	v_lshl_add_u64 v[8:9], v[8:9], 0, v[10:11]
	global_load_dwordx4 v[8:11], v[8:9], off
	v_and_b32_e32 v7, 3, v0
	v_lshlrev_b32_e32 v12, 9, v84
	v_lshlrev_b32_e32 v6, 5, v6
	v_lshlrev_b32_e32 v7, 9, v7
	v_and_b32_e32 v12, 0x1800, v12
	v_or3_b32 v6, v12, v7, v6
	s_waitcnt vmcnt(0)
	ds_write_b128 v6, v[8:11]
.LBB696_13:
	s_or_b64 exec, exec, s[16:17]
	s_waitcnt lgkmcnt(0)
	s_mul_i32 s4, s4, s10
	s_mov_b32 s5, 0
	s_lshl_b64 s[4:5], s[4:5], 1
	s_add_u32 s10, s14, s4
	s_addc_u32 s11, s15, s5
	s_waitcnt vmcnt(3)
	v_mad_i64_i32 v[6:7], s[14:15], v5, s9, 0
	v_lshl_add_u64 v[6:7], v[6:7], 1, s[10:11]
	v_lshlrev_b64 v[8:9], 1, v[82:83]
	v_lshlrev_b32_e32 v86, 9, v1
	v_lshl_add_u64 v[6:7], v[6:7], 0, v[8:9]
	v_mov_b32_e32 v87, 0
	v_lshl_add_u64 v[10:11], v[6:7], 0, v[86:87]
	v_or_b32_e32 v14, 0x1000, v86
	v_mov_b32_e32 v15, v87
	v_or_b32_e32 v16, 0x1800, v86
	v_mov_b32_e32 v17, v87
	s_barrier
	global_load_dwordx4 v[66:69], v[10:11], off
	global_load_dwordx4 v[62:65], v[10:11], off offset:2048
	v_lshl_add_u64 v[10:11], v[6:7], 0, v[14:15]
	v_lshl_add_u64 v[6:7], v[6:7], 0, v[16:17]
	global_load_dwordx4 v[78:81], v[10:11], off
	global_load_dwordx4 v[74:77], v[6:7], off
	s_waitcnt vmcnt(6)
	v_mad_i64_i32 v[4:5], s[14:15], v4, s9, 0
	v_mov_b32_e32 v6, 0x100
	v_lshl_add_u64 v[4:5], v[4:5], 1, s[10:11]
	v_lshl_or_b32 v6, v84, 4, v6
	v_mov_b32_e32 v7, v87
	v_lshl_add_u64 v[4:5], v[4:5], 0, v[6:7]
	v_lshl_add_u64 v[10:11], v[4:5], 0, v[86:87]
	global_load_dwordx4 v[70:73], v[10:11], off
	global_load_dwordx4 v[58:61], v[10:11], off offset:2048
	v_lshl_add_u64 v[10:11], v[4:5], 0, v[14:15]
	v_lshl_add_u64 v[4:5], v[4:5], 0, v[16:17]
	global_load_dwordx4 v[54:57], v[10:11], off
	global_load_dwordx4 v[30:33], v[4:5], off
	s_waitcnt vmcnt(9)
	v_mad_i64_i32 v[4:5], s[14:15], v3, s9, 0
	v_lshl_add_u64 v[4:5], v[4:5], 1, s[10:11]
	s_waitcnt vmcnt(8)
	v_mad_i64_i32 v[2:3], s[14:15], v2, s9, 0
	v_lshl_add_u64 v[4:5], v[4:5], 0, v[8:9]
	v_lshl_add_u64 v[2:3], v[2:3], 1, s[10:11]
	;; [unrolled: 1-line block ×4, first 2 shown]
	global_load_dwordx4 v[26:29], v[8:9], off
	global_load_dwordx4 v[22:25], v[8:9], off offset:2048
	v_lshl_add_u64 v[8:9], v[4:5], 0, v[14:15]
	v_lshl_add_u64 v[4:5], v[4:5], 0, v[16:17]
	;; [unrolled: 1-line block ×4, first 2 shown]
	global_load_dwordx4 v[18:21], v[8:9], off
	global_load_dwordx4 v[10:13], v[4:5], off
	s_nop 0
	global_load_dwordx4 v[6:9], v[2:3], off
	s_nop 0
	global_load_dwordx4 v[2:5], v[2:3], off offset:2048
	v_lshl_add_u64 v[16:17], v[34:35], 0, v[16:17]
	global_load_dwordx4 v[38:41], v[14:15], off
	global_load_dwordx4 v[34:37], v[16:17], off
	v_add_u32_e32 v14, -9, v84
	v_cmp_gt_u32_e32 vcc, 9, v84
	v_and_b32_e32 v85, 63, v0
	v_mov_b32_e32 v89, 0
	v_cndmask_b32_e32 v14, v14, v84, vcc
	v_lshl_add_u32 v42, v14, 5, v86
	ds_read_b128 v[14:17], v42
	ds_read_b128 v[50:53], v42 offset:2048
	ds_read_b128 v[46:49], v42 offset:4096
	;; [unrolled: 1-line block ×3, first 2 shown]
	s_and_saveexec_b64 s[10:11], vcc
	s_cbranch_execz .LBB696_15
; %bb.14:
	s_load_dwordx2 s[14:15], s[0:1], 0x40
	v_add_u32_e32 v90, s40, v84
	v_ashrrev_i32_e32 v91, 31, v90
	s_waitcnt lgkmcnt(0)
	v_lshl_add_u64 v[90:91], v[90:91], 2, s[14:15]
	global_load_dword v89, v[90:91], off
.LBB696_15:
	s_or_b64 exec, exec, s[10:11]
	s_waitcnt vmcnt(15) lgkmcnt(3)
	v_mfma_f32_16x16x16_bf16 v[90:93], v[66:67], v[14:15], 0
	s_ashr_i32 s8, s18, 31
	s_lshr_b32 s8, s8, 27
	s_add_u32 s4, s12, s4
	v_mfma_f32_16x16x16_bf16 v[66:69], v[68:69], v[16:17], v[90:93]
	s_addc_u32 s5, s13, s5
	s_mov_b32 s33, 0xff7fffff
	s_waitcnt vmcnt(14) lgkmcnt(2)
	v_mfma_f32_16x16x16_bf16 v[66:69], v[62:63], v[50:51], v[66:69]
	v_lshl_or_b32 v90, v88, 4, v84
	v_mfma_f32_16x16x16_bf16 v[62:65], v[64:65], v[52:53], v[66:69]
	s_waitcnt vmcnt(13) lgkmcnt(1)
	v_mfma_f32_16x16x16_bf16 v[62:65], v[78:79], v[46:47], v[62:65]
	v_mfma_f32_16x16x16_bf16 v[62:65], v[80:81], v[48:49], v[62:65]
	s_waitcnt vmcnt(12) lgkmcnt(0)
	v_mfma_f32_16x16x16_bf16 v[62:65], v[74:75], v[42:43], v[62:65]
	v_and_or_b32 v74, v0, 48, s18
	v_add_u32_e32 v66, s8, v74
	v_ashrrev_i32_e32 v75, 5, v66
	s_waitcnt vmcnt(11)
	v_mfma_f32_16x16x16_bf16 v[66:69], v[70:71], v[14:15], 0
	v_cmp_gt_i32_e32 vcc, s27, v74
	v_mfma_f32_16x16x16_bf16 v[66:69], v[72:73], v[16:17], v[66:69]
	v_or_b32_e32 v72, 64, v74
	v_add_u32_e32 v73, s8, v72
	s_waitcnt vmcnt(10)
	v_mfma_f32_16x16x16_bf16 v[66:69], v[58:59], v[50:51], v[66:69]
	v_ashrrev_i32_e32 v58, 5, v73
	v_mfma_f32_16x16x16_bf16 v[62:65], v[76:77], v[44:45], v[62:65]
	v_mov_b32_e32 v76, s19
	v_cndmask_b32_e32 v70, v76, v75, vcc
	v_cmp_gt_i32_e32 vcc, s27, v72
	v_ashrrev_i32_e32 v71, 31, v70
	v_lshl_add_u64 v[70:71], v[70:71], 2, s[6:7]
	v_cndmask_b32_e32 v72, v76, v58, vcc
	v_mfma_f32_16x16x16_bf16 v[58:61], v[60:61], v[52:53], v[66:69]
	v_ashrrev_i32_e32 v73, 31, v72
	s_waitcnt vmcnt(9)
	v_mfma_f32_16x16x16_bf16 v[58:61], v[54:55], v[46:47], v[58:61]
	v_lshl_add_u64 v[66:67], v[72:73], 2, s[6:7]
	global_load_dword v68, v[70:71], off
	s_nop 0
	global_load_dword v66, v[66:67], off
	v_or_b32_e32 v67, 0x80, v74
	v_add_u32_e32 v69, s8, v67
	v_mfma_f32_16x16x16_bf16 v[54:57], v[56:57], v[48:49], v[58:61]
	v_cmp_gt_i32_e32 vcc, s27, v67
	s_nop 1
	v_ashrrev_i32_e32 v58, 5, v69
	v_cndmask_b32_e32 v58, v76, v58, vcc
	v_ashrrev_i32_e32 v59, 31, v58
	s_waitcnt vmcnt(10)
	v_mfma_f32_16x16x16_bf16 v[54:57], v[30:31], v[42:43], v[54:57]
	v_lshl_add_u64 v[30:31], v[58:59], 2, s[6:7]
	global_load_dword v70, v[30:31], off
	v_mfma_f32_16x16x16_bf16 v[58:61], v[32:33], v[44:45], v[54:57]
	s_nop 3
	v_or_b32_e32 v54, 0xc0, v74
	v_add_u32_e32 v30, s8, v54
	v_ashrrev_i32_e32 v55, 5, v30
	v_cmp_gt_i32_e32 vcc, s27, v54
	s_waitcnt vmcnt(10)
	v_mfma_f32_16x16x16_bf16 v[30:33], v[26:27], v[14:15], 0
	v_cndmask_b32_e32 v26, v76, v55, vcc
	v_ashrrev_i32_e32 v27, 31, v26
	v_lshl_add_u64 v[54:55], v[26:27], 2, s[6:7]
	global_load_dword v71, v[54:55], off
	v_mfma_f32_16x16x16_bf16 v[26:29], v[28:29], v[16:17], v[30:33]
	s_load_dword s6, s[0:1], 0x1c
	s_waitcnt vmcnt(10)
	v_mfma_f32_16x16x16_bf16 v[26:29], v[22:23], v[50:51], v[26:29]
	v_and_b32_e32 v30, 16, v0
	v_lshlrev_b32_e32 v86, 1, v30
	v_lshl_add_u64 v[74:75], s[4:5], 0, v[86:87]
	v_mfma_f32_16x16x16_bf16 v[22:25], v[24:25], v[52:53], v[26:29]
	v_lshlrev_b32_e32 v86, 6, v90
	v_lshl_add_u64 v[76:77], v[74:75], 0, v[86:87]
	v_or_b32_e32 v86, 0x1000, v86
	s_waitcnt vmcnt(9)
	v_mfma_f32_16x16x16_bf16 v[22:25], v[18:19], v[46:47], v[22:25]
	v_lshl_add_u64 v[80:81], v[74:75], 0, v[86:87]
	s_waitcnt lgkmcnt(0)
	v_pk_mul_f32 v[74:75], s[6:7], v[60:61] op_sel_hi:[0,1]
	v_mfma_f32_16x16x16_bf16 v[18:21], v[20:21], v[48:49], v[22:25]
	s_waitcnt vmcnt(8)
	v_mfma_f32_16x16x16_bf16 v[18:21], v[10:11], v[42:43], v[18:21]
	s_waitcnt vmcnt(3)
	v_mad_i64_i32 v[22:23], s[4:5], v68, s9, 0
	s_waitcnt vmcnt(2)
	v_mad_i64_i32 v[10:11], s[4:5], v66, s9, 0
	v_lshlrev_b64 v[78:79], 1, v[22:23]
	v_lshlrev_b64 v[54:55], 1, v[10:11]
	v_lshl_add_u64 v[22:23], v[76:77], 0, v[78:79]
	v_lshl_add_u64 v[10:11], v[76:77], 0, v[54:55]
	global_load_dwordx4 v[30:33], v[22:23], off
	global_load_dwordx4 v[26:29], v[22:23], off offset:16
	v_mfma_f32_16x16x16_bf16 v[66:69], v[12:13], v[44:45], v[18:21]
	global_load_dwordx4 v[22:25], v[10:11], off
	s_nop 1
	global_load_dwordx4 v[18:21], v[10:11], off offset:16
	v_mfma_f32_16x16x16_bf16 v[10:13], v[6:7], v[14:15], 0
	s_waitcnt vmcnt(5)
	v_mad_i64_i32 v[6:7], s[4:5], v70, s9, 0
	v_lshlrev_b64 v[56:57], 1, v[6:7]
	v_mfma_f32_16x16x16_bf16 v[6:9], v[8:9], v[16:17], v[10:13]
	v_mfma_f32_16x16x16_bf16 v[6:9], v[2:3], v[50:51], v[6:9]
	s_nop 1
	v_lshl_add_u64 v[10:11], v[76:77], 0, v[56:57]
	global_load_dwordx4 v[14:17], v[10:11], off
	s_nop 0
	global_load_dwordx4 v[10:13], v[10:11], off offset:16
	s_waitcnt vmcnt(6)
	v_mad_i64_i32 v[2:3], s[4:5], v71, s9, 0
	v_mfma_f32_16x16x16_bf16 v[70:73], v[4:5], v[52:53], v[6:9]
	v_pk_mul_f32 v[52:53], s[6:7], v[62:63] op_sel_hi:[0,1]
	v_lshlrev_b64 v[50:51], 1, v[2:3]
	v_lshl_add_u64 v[2:3], v[76:77], 0, v[50:51]
	v_mfma_f32_16x16x16_bf16 v[70:73], v[38:39], v[46:47], v[70:73]
	v_lshl_add_u64 v[38:39], v[80:81], 0, v[78:79]
	v_pk_mul_f32 v[78:79], s[6:7], v[64:65] op_sel_hi:[0,1]
	v_pk_mul_f32 v[76:77], s[6:7], v[58:59] op_sel_hi:[0,1]
	v_mfma_f32_16x16x16_bf16 v[46:49], v[40:41], v[48:49], v[70:73]
	v_lshl_add_u64 v[50:51], v[80:81], 0, v[50:51]
	global_load_dwordx4 v[6:9], v[2:3], off
	s_nop 0
	global_load_dwordx4 v[2:5], v[2:3], off offset:16
	v_pk_mul_f32 v[70:71], s[6:7], v[68:69] op_sel_hi:[0,1]
	v_mfma_f32_16x16x16_bf16 v[40:43], v[34:35], v[42:43], v[46:49]
	v_pk_mul_f32 v[72:73], s[6:7], v[66:67] op_sel_hi:[0,1]
	v_mfma_f32_16x16x16_bf16 v[34:37], v[36:37], v[44:45], v[40:43]
	s_nop 6
	v_pk_mul_f32 v[68:69], s[6:7], v[34:35] op_sel_hi:[0,1]
	v_and_b32_e32 v34, 0xc0, v0
	v_add_u32_e32 v34, s18, v34
	v_lshl_or_b32 v34, v1, 2, v34
	v_or_b32_e32 v35, 1, v34
	v_pk_mul_f32 v[66:67], s[6:7], v[36:37] op_sel_hi:[0,1]
	v_subrev_u32_e32 v36, s27, v35
	v_add_u32_e32 v40, 1, v36
	v_add_u32_e32 v41, 2, v36
	v_cvt_f32_i32_e32 v37, v36
	v_cvt_f32_i32_e32 v40, v40
	v_cvt_f32_i32_e32 v41, v41
	v_add_u32_e32 v42, 3, v36
	v_fma_f32 v52, v89, v37, v52
	v_fmac_f32_e32 v53, v89, v40
	v_fma_f32 v78, v89, v41, v78
	v_add_u32_e32 v37, 16, v36
	v_add_u32_e32 v40, 17, v36
	;; [unrolled: 1-line block ×3, first 2 shown]
	v_cvt_f32_i32_e32 v42, v42
	v_cvt_f32_i32_e32 v37, v37
	;; [unrolled: 1-line block ×4, first 2 shown]
	v_fmac_f32_e32 v79, v89, v42
	v_add_u32_e32 v42, 19, v36
	v_fma_f32 v76, v89, v37, v76
	v_fmac_f32_e32 v77, v89, v40
	v_fma_f32 v74, v89, v41, v74
	v_add_u32_e32 v37, 32, v36
	v_add_u32_e32 v40, 33, v36
	;; [unrolled: 1-line block ×3, first 2 shown]
	v_cvt_f32_i32_e32 v42, v42
	v_cvt_f32_i32_e32 v37, v37
	v_cvt_f32_i32_e32 v40, v40
	v_cvt_f32_i32_e32 v41, v41
	v_fmac_f32_e32 v75, v89, v42
	v_add_u32_e32 v42, 35, v36
	v_fma_f32 v72, v89, v37, v72
	v_fmac_f32_e32 v73, v89, v40
	v_fma_f32 v70, v89, v41, v70
	v_add_u32_e32 v37, 48, v36
	v_add_u32_e32 v40, 49, v36
	;; [unrolled: 1-line block ×4, first 2 shown]
	v_cvt_f32_i32_e32 v36, v36
	v_cvt_f32_i32_e32 v37, v37
	;; [unrolled: 1-line block ×3, first 2 shown]
	v_cmp_gt_i32_e64 s[28:29], s27, v34
	v_fmac_f32_e32 v67, v89, v36
	v_mov_b32_e32 v36, 0xff7fffff
	v_cmp_gt_i32_e64 s[30:31], s27, v35
	v_fma_f32 v68, v89, v37, v68
	v_cndmask_b32_e64 v37, v36, v52, s[28:29]
	v_cndmask_b32_e64 v35, v36, v53, s[30:31]
	v_fmac_f32_e32 v69, v89, v40
	v_max3_f32 v35, v37, s33, v35
	v_or_b32_e32 v37, 2, v34
	v_or_b32_e32 v40, 3, v34
	v_cmp_gt_i32_e64 s[34:35], s27, v37
	v_cmp_gt_i32_e64 s[36:37], s27, v40
	v_cvt_f32_i32_e32 v42, v42
	v_cndmask_b32_e64 v37, v36, v78, s[34:35]
	v_cndmask_b32_e64 v40, v36, v79, s[36:37]
	v_max3_f32 v35, v35, v37, v40
	v_or_b32_e32 v37, 16, v34
	v_or_b32_e32 v40, 17, v34
	v_cmp_gt_i32_e64 s[22:23], s27, v37
	v_cmp_gt_i32_e64 s[24:25], s27, v40
	v_fmac_f32_e32 v71, v89, v42
	v_cndmask_b32_e64 v37, v36, v76, s[22:23]
	v_cndmask_b32_e64 v40, v36, v77, s[24:25]
	v_max3_f32 v35, v35, v37, v40
	v_or_b32_e32 v37, 18, v34
	v_or_b32_e32 v40, 19, v34
	v_cmp_gt_i32_e64 s[18:19], s27, v37
	v_cmp_gt_i32_e64 s[20:21], s27, v40
	v_cvt_f32_i32_e32 v41, v41
	v_cndmask_b32_e64 v37, v36, v74, s[18:19]
	v_cndmask_b32_e64 v40, v36, v75, s[20:21]
	v_max3_f32 v35, v35, v37, v40
	v_or_b32_e32 v37, 32, v34
	v_or_b32_e32 v40, 33, v34
	v_cmp_gt_i32_e64 s[14:15], s27, v37
	v_cmp_gt_i32_e64 s[16:17], s27, v40
	v_fma_f32 v66, v89, v41, v66
	v_cndmask_b32_e64 v37, v36, v72, s[14:15]
	v_cndmask_b32_e64 v40, v36, v73, s[16:17]
	v_max3_f32 v35, v35, v37, v40
	v_or_b32_e32 v37, 34, v34
	v_or_b32_e32 v40, 35, v34
	v_cmp_gt_i32_e64 s[10:11], s27, v37
	v_cmp_gt_i32_e64 s[12:13], s27, v40
	s_nop 0
	v_cndmask_b32_e64 v37, v36, v70, s[10:11]
	v_cndmask_b32_e64 v40, v36, v71, s[12:13]
	v_max3_f32 v35, v35, v37, v40
	v_or_b32_e32 v37, 48, v34
	v_or_b32_e32 v40, 49, v34
	v_cmp_gt_i32_e64 s[6:7], s27, v37
	v_cmp_gt_i32_e64 s[8:9], s27, v40
	s_nop 0
	v_cndmask_b32_e64 v37, v36, v68, s[6:7]
	v_cndmask_b32_e64 v40, v36, v69, s[8:9]
	v_max3_f32 v35, v35, v37, v40
	v_or_b32_e32 v37, 50, v34
	v_or_b32_e32 v34, 51, v34
	v_cmp_gt_i32_e32 vcc, s27, v37
	v_cmp_gt_i32_e64 s[4:5], s27, v34
	global_load_dwordx4 v[46:49], v[38:39], off
	s_nop 0
	global_load_dwordx4 v[38:41], v[38:39], off offset:16
	v_cndmask_b32_e32 v37, v36, v66, vcc
	v_cndmask_b32_e64 v34, v36, v67, s[4:5]
	v_max3_f32 v58, v35, v37, v34
	v_mbcnt_lo_u32_b32 v34, -1, 0
	v_mbcnt_hi_u32_b32 v59, -1, v34
	v_and_b32_e32 v34, 64, v59
	v_add_u32_e32 v60, 64, v34
	v_xor_b32_e32 v34, 32, v59
	v_cmp_lt_i32_e64 s[38:39], v34, v60
	s_nop 1
	v_cndmask_b32_e64 v34, v59, v34, s[38:39]
	v_lshlrev_b32_e32 v87, 2, v34
	ds_bpermute_b32 v61, v87, v58
	v_lshl_add_u64 v[34:35], v[80:81], 0, v[54:55]
	global_load_dwordx4 v[42:45], v[34:35], off
	s_nop 0
	global_load_dwordx4 v[34:37], v[34:35], off offset:16
	s_waitcnt lgkmcnt(0)
	v_max_f32_e32 v54, v61, v61
	v_max_f32_e32 v62, v58, v54
	v_xor_b32_e32 v54, 16, v59
	v_cmp_lt_i32_e64 s[38:39], v54, v60
	s_nop 1
	v_cndmask_b32_e64 v54, v59, v54, s[38:39]
	v_lshlrev_b32_e32 v89, 2, v54
	ds_bpermute_b32 v63, v89, v62
	v_lshl_add_u64 v[54:55], v[80:81], 0, v[56:57]
	global_load_dwordx4 v[58:61], v[54:55], off
	s_nop 0
	global_load_dwordx4 v[54:57], v[54:55], off offset:16
	s_waitcnt lgkmcnt(0)
	v_max_f32_e32 v63, v63, v63
	v_max_f32_e32 v86, v62, v63
	v_sub_f32_e32 v52, v52, v86
	v_mul_f32_e32 v52, 0x3fb8aa3b, v52
	v_exp_f32_e32 v80, v52
	v_sub_f32_e32 v52, v53, v86
	v_mul_f32_e32 v52, 0x3fb8aa3b, v52
	v_exp_f32_e32 v81, v52
	global_load_dwordx4 v[62:65], v[50:51], off
	s_nop 0
	global_load_dwordx4 v[50:53], v[50:51], off offset:16
	v_sub_f32_e32 v78, v78, v86
	v_mul_f32_e32 v78, 0x3fb8aa3b, v78
	v_sub_f32_e32 v79, v79, v86
	v_exp_f32_e32 v78, v78
	v_mul_f32_e32 v79, 0x3fb8aa3b, v79
	v_sub_f32_e32 v76, v76, v86
	v_exp_f32_e32 v79, v79
	v_mul_f32_e32 v76, 0x3fb8aa3b, v76
	v_sub_f32_e32 v77, v77, v86
	v_cndmask_b32_e64 v80, 0, v80, s[28:29]
	v_exp_f32_e32 v76, v76
	v_mul_f32_e32 v77, 0x3fb8aa3b, v77
	v_sub_f32_e32 v74, v74, v86
	v_add_f32_e32 v91, 0, v80
	v_cndmask_b32_e64 v81, 0, v81, s[30:31]
	v_exp_f32_e32 v77, v77
	v_mul_f32_e32 v74, 0x3fb8aa3b, v74
	v_sub_f32_e32 v75, v75, v86
	v_add_f32_e32 v91, v91, v81
	;; [unrolled: 5-line block ×10, first 2 shown]
	v_cndmask_b32_e64 v70, 0, v70, s[10:11]
	v_exp_f32_e32 v66, v66
	v_mul_f32_e32 v67, 0x3fb8aa3b, v67
	v_add_f32_e32 v91, v91, v70
	v_cndmask_b32_e64 v71, 0, v71, s[12:13]
	v_exp_f32_e32 v67, v67
	v_add_f32_e32 v91, v91, v71
	v_cndmask_b32_e64 v68, 0, v68, s[6:7]
	v_add_f32_e32 v91, v91, v68
	v_cndmask_b32_e64 v69, 0, v69, s[8:9]
	v_add_f32_e32 v91, v91, v69
	v_cndmask_b32_e32 v66, 0, v66, vcc
	v_add_f32_e32 v91, v91, v66
	v_cndmask_b32_e64 v67, 0, v67, s[4:5]
	v_add_f32_e32 v91, v91, v67
	ds_bpermute_b32 v87, v87, v91
	s_load_dword s9, s[0:1], 0x98
	v_cmp_gt_u32_e64 s[4:5], 16, v85
	s_waitcnt lgkmcnt(0)
	s_barrier
	v_add_f32_e32 v87, v91, v87
	ds_bpermute_b32 v89, v89, v87
	s_waitcnt lgkmcnt(0)
	s_and_saveexec_b64 s[6:7], s[4:5]
	s_cbranch_execz .LBB696_17
; %bb.16:
	v_add_f32_e32 v85, v87, v89
	v_lshlrev_b32_e32 v87, 2, v90
	ds_write2st64_b32 v87, v86, v85 offset1:1
.LBB696_17:
	s_or_b64 exec, exec, s[6:7]
	v_lshlrev_b32_e32 v85, 2, v84
	s_load_dword s8, s[0:1], 0x94
	s_waitcnt lgkmcnt(0)
	s_barrier
	ds_read2_b32 v[90:91], v85 offset1:16
	ds_read2_b32 v[92:93], v85 offset0:32 offset1:48
	ds_read2_b32 v[94:95], v85 offset0:64 offset1:80
	s_movk_i32 s10, 0x7fff
	s_mov_b32 s11, 0x7060302
	s_waitcnt lgkmcnt(2)
	v_max3_f32 v86, v90, s33, v91
	s_waitcnt lgkmcnt(1)
	v_max3_f32 v86, v86, v92, v93
	v_sub_f32_e32 v87, v90, v86
	v_mul_f32_e32 v87, 0x3fb8aa3b, v87
	v_exp_f32_e32 v89, v87
	v_sub_f32_e32 v87, v91, v86
	v_mul_f32_e32 v87, 0x3fb8aa3b, v87
	v_exp_f32_e32 v88, v87
	v_sub_f32_e32 v87, v92, v86
	v_mul_f32_e32 v87, 0x3fb8aa3b, v87
	ds_read2_b32 v[90:91], v85 offset0:96 offset1:112
	v_sub_f32_e32 v85, v93, v86
	v_exp_f32_e32 v92, v87
	v_mul_f32_e32 v85, 0x3fb8aa3b, v85
	v_exp_f32_e32 v85, v85
	s_waitcnt lgkmcnt(1)
	v_fma_f32 v87, v89, v94, 0
	v_fmac_f32_e32 v87, v88, v95
	s_waitcnt lgkmcnt(0)
	v_fmac_f32_e32 v87, v92, v90
	v_fmac_f32_e32 v87, v85, v91
	v_add_f32_e32 v90, 0x358637bd, v87
	v_div_scale_f32 v91, s[6:7], v90, v90, 1.0
	v_rcp_f32_e32 v93, v91
	s_mul_i32 s9, s9, 9
	s_barrier
	v_fma_f32 v94, -v91, v93, 1.0
	v_fmac_f32_e32 v93, v94, v93
	v_div_scale_f32 v94, vcc, 1.0, v90, 1.0
	v_mul_f32_e32 v95, v94, v93
	v_fma_f32 v1, -v91, v95, v94
	v_fmac_f32_e32 v95, v1, v93
	v_fma_f32 v1, -v91, v95, v94
	v_lshrrev_b32_e32 v91, 6, v0
	v_div_fmas_f32 v1, v1, v93, v95
	v_cmp_eq_u32_e32 vcc, 1, v91
	v_div_fixup_f32 v1, v1, v90, 1.0
	s_nop 0
	v_cndmask_b32_e32 v88, v89, v88, vcc
	v_cmp_eq_u32_e32 vcc, 2, v91
	s_nop 1
	v_cndmask_b32_e32 v88, v88, v92, vcc
	v_cmp_eq_u32_e32 vcc, 3, v91
	s_nop 1
	v_cndmask_b32_e32 v85, v88, v85, vcc
	v_mul_f32_e32 v90, v85, v1
	v_pk_mul_f32 v[80:81], v[90:91], v[80:81] op_sel_hi:[0,1]
	v_bfe_u32 v1, v81, 16, 1
	v_bfe_u32 v85, v80, 16, 1
	v_pk_mul_f32 v[78:79], v[90:91], v[78:79] op_sel_hi:[0,1]
	v_add3_u32 v80, v80, v85, s10
	v_add3_u32 v1, v81, v1, s10
	v_perm_b32 v80, v1, v80, s11
	v_bfe_u32 v1, v79, 16, 1
	v_bfe_u32 v81, v78, 16, 1
	v_add3_u32 v78, v78, v81, s10
	v_add3_u32 v1, v79, v1, s10
	v_bfe_u32 v88, v0, 4, 2
	v_perm_b32 v81, v1, v78, s11
	v_lshlrev_b32_e32 v1, 3, v88
	v_lshlrev_b32_e32 v78, 5, v84
	v_lshlrev_b32_e32 v79, 11, v91
	v_pk_mul_f32 v[76:77], v[90:91], v[76:77] op_sel_hi:[0,1]
	v_or3_b32 v1, v79, v78, v1
	v_bfe_u32 v79, v77, 16, 1
	v_bfe_u32 v85, v76, 16, 1
	v_pk_mul_f32 v[74:75], v[90:91], v[74:75] op_sel_hi:[0,1]
	v_add3_u32 v76, v76, v85, s10
	v_add3_u32 v77, v77, v79, s10
	v_perm_b32 v76, v77, v76, s11
	v_bfe_u32 v77, v75, 16, 1
	v_bfe_u32 v79, v74, 16, 1
	v_add3_u32 v74, v74, v79, s10
	v_add3_u32 v75, v75, v77, s10
	v_pk_mul_f32 v[72:73], v[90:91], v[72:73] op_sel_hi:[0,1]
	v_perm_b32 v77, v75, v74, s11
	v_bfe_u32 v74, v73, 16, 1
	v_bfe_u32 v75, v72, 16, 1
	v_pk_mul_f32 v[70:71], v[90:91], v[70:71] op_sel_hi:[0,1]
	v_add3_u32 v72, v72, v75, s10
	v_add3_u32 v73, v73, v74, s10
	v_perm_b32 v72, v73, v72, s11
	v_bfe_u32 v73, v71, 16, 1
	v_bfe_u32 v74, v70, 16, 1
	v_add3_u32 v70, v70, v74, s10
	v_add3_u32 v71, v71, v73, s10
	v_pk_mul_f32 v[68:69], v[90:91], v[68:69] op_sel_hi:[0,1]
	v_perm_b32 v73, v71, v70, s11
	v_bfe_u32 v70, v69, 16, 1
	v_bfe_u32 v71, v68, 16, 1
	v_pk_mul_f32 v[66:67], v[90:91], v[66:67] op_sel_hi:[0,1]
	v_add3_u32 v68, v68, v71, s10
	v_add3_u32 v69, v69, v70, s10
	v_perm_b32 v68, v69, v68, s11
	v_bfe_u32 v69, v67, 16, 1
	v_bfe_u32 v70, v66, 16, 1
	v_add3_u32 v66, v66, v70, s10
	v_add3_u32 v67, v67, v69, s10
	v_perm_b32 v69, v67, v66, s11
	v_cmp_gt_u32_e32 vcc, 9, v0
	ds_write2st64_b64 v1, v[80:81], v[76:77] offset1:1
	ds_write2st64_b64 v1, v[72:73], v[68:69] offset0:2 offset1:3
	s_and_saveexec_b64 s[6:7], vcc
	s_cbranch_execz .LBB696_19
; %bb.18:
	s_mov_b32 s41, 0
	v_mov_b32_e32 v85, 0
	v_lshl_add_u64 v[66:67], s[40:41], 0, v[84:85]
	v_mov_b32_e32 v68, s9
	v_mad_u64_u32 v[66:67], s[16:17], s2, v68, v[66:67]
	s_mul_i32 s3, s3, s9
	v_mov_b32_e32 v68, s26
	v_mov_b32_e32 v69, v85
	s_load_dwordx4 s[12:15], s[0:1], 0x58
	v_add_u32_e32 v70, s3, v67
	v_mad_u64_u32 v[66:67], s[16:17], v66, s8, v[68:69]
	v_mov_b32_e32 v68, v67
	v_mad_u64_u32 v[68:69], s[16:17], v70, s8, v[68:69]
	v_mov_b32_e32 v67, v68
	v_lshlrev_b64 v[66:67], 2, v[66:67]
	s_waitcnt lgkmcnt(0)
	v_lshl_add_u64 v[68:69], s[14:15], 0, v[66:67]
	v_lshl_add_u64 v[66:67], s[12:13], 0, v[66:67]
	global_store_dword v[68:69], v86, off
	global_store_dword v[66:67], v87, off
.LBB696_19:
	s_or_b64 exec, exec, s[6:7]
	v_lshl_or_b32 v78, v88, 9, v78
	s_waitcnt lgkmcnt(0)
	s_barrier
	ds_read_b128 v[70:73], v78
	ds_read_b128 v[66:69], v78 offset:16
	s_waitcnt vmcnt(15) lgkmcnt(1)
	v_mfma_f32_16x16x16_bf16 v[74:77], v[30:31], v[70:71], 0
	s_mov_b32 s3, 0
	v_cmp_gt_u32_e32 vcc, 64, v0
	v_mfma_f32_16x16x16_bf16 v[30:33], v[32:33], v[72:73], v[74:77]
	s_waitcnt vmcnt(14) lgkmcnt(0)
	v_mfma_f32_16x16x16_bf16 v[30:33], v[26:27], v[66:67], v[30:33]
	v_mfma_f32_16x16x16_bf16 v[26:29], v[28:29], v[68:69], v[30:33]
	s_nop 5
	ds_read_b128 v[30:33], v78 offset:2048
	ds_read_b128 v[74:77], v78 offset:2064
	s_waitcnt vmcnt(13) lgkmcnt(1)
	v_mfma_f32_16x16x16_bf16 v[26:29], v[22:23], v[30:31], v[26:29]
	v_mfma_f32_16x16x16_bf16 v[22:25], v[24:25], v[32:33], v[26:29]
	s_waitcnt vmcnt(12) lgkmcnt(0)
	v_mfma_f32_16x16x16_bf16 v[22:25], v[18:19], v[74:75], v[22:25]
	v_mfma_f32_16x16x16_bf16 v[18:21], v[20:21], v[76:77], v[22:25]
	s_nop 5
	ds_read_b128 v[22:25], v78 offset:4096
	ds_read_b128 v[26:29], v78 offset:4112
	s_waitcnt vmcnt(11) lgkmcnt(1)
	v_mfma_f32_16x16x16_bf16 v[18:21], v[14:15], v[22:23], v[18:21]
	v_mfma_f32_16x16x16_bf16 v[14:17], v[16:17], v[24:25], v[18:21]
	s_waitcnt vmcnt(10) lgkmcnt(0)
	v_mfma_f32_16x16x16_bf16 v[14:17], v[10:11], v[26:27], v[14:17]
	v_mfma_f32_16x16x16_bf16 v[10:13], v[12:13], v[28:29], v[14:17]
	s_nop 5
	ds_read_b128 v[14:17], v78 offset:6144
	ds_read_b128 v[18:21], v78 offset:6160
	s_waitcnt lgkmcnt(0)
	s_barrier
	s_waitcnt vmcnt(9)
	v_mfma_f32_16x16x16_bf16 v[10:13], v[6:7], v[14:15], v[10:13]
	v_mfma_f32_16x16x16_bf16 v[6:9], v[8:9], v[16:17], v[10:13]
	s_waitcnt vmcnt(8)
	v_mfma_f32_16x16x16_bf16 v[6:9], v[2:3], v[18:19], v[6:9]
	v_mfma_f32_16x16x16_bf16 v[2:5], v[4:5], v[20:21], v[6:9]
	;; [unrolled: 3-line block ×3, first 2 shown]
	s_nop 3
	v_bfe_u32 v10, v3, 16, 1
	v_bfe_u32 v11, v2, 16, 1
	v_add3_u32 v2, v2, v11, s10
	s_waitcnt vmcnt(6)
	v_mfma_f32_16x16x16_bf16 v[6:9], v[38:39], v[66:67], v[6:9]
	v_add3_u32 v3, v3, v10, s10
	v_perm_b32 v10, v3, v2, s11
	v_bfe_u32 v2, v5, 16, 1
	v_mfma_f32_16x16x16_bf16 v[6:9], v[40:41], v[68:69], v[6:9]
	v_bfe_u32 v3, v4, 16, 1
	v_add3_u32 v3, v4, v3, s10
	v_add3_u32 v2, v5, v2, s10
	s_waitcnt vmcnt(5)
	v_mfma_f32_16x16x16_bf16 v[6:9], v[42:43], v[30:31], v[6:9]
	v_perm_b32 v11, v2, v3, s11
	v_mfma_f32_16x16x16_bf16 v[6:9], v[44:45], v[32:33], v[6:9]
	s_waitcnt vmcnt(4)
	v_mfma_f32_16x16x16_bf16 v[6:9], v[34:35], v[74:75], v[6:9]
	v_mfma_f32_16x16x16_bf16 v[6:9], v[36:37], v[76:77], v[6:9]
	s_waitcnt vmcnt(3)
	v_mfma_f32_16x16x16_bf16 v[6:9], v[58:59], v[22:23], v[6:9]
	v_mfma_f32_16x16x16_bf16 v[6:9], v[60:61], v[24:25], v[6:9]
	s_waitcnt vmcnt(2)
	v_mfma_f32_16x16x16_bf16 v[6:9], v[54:55], v[26:27], v[6:9]
	v_mfma_f32_16x16x16_bf16 v[6:9], v[56:57], v[28:29], v[6:9]
	s_waitcnt vmcnt(1)
	v_mfma_f32_16x16x16_bf16 v[6:9], v[62:63], v[14:15], v[6:9]
	v_mfma_f32_16x16x16_bf16 v[6:9], v[64:65], v[16:17], v[6:9]
	s_waitcnt vmcnt(0)
	v_mfma_f32_16x16x16_bf16 v[6:9], v[50:51], v[18:19], v[6:9]
	v_mfma_f32_16x16x16_bf16 v[2:5], v[52:53], v[20:21], v[6:9]
	s_nop 6
	v_bfe_u32 v6, v3, 16, 1
	v_bfe_u32 v7, v2, 16, 1
	v_add3_u32 v2, v2, v7, s10
	v_add3_u32 v3, v3, v6, s10
	v_perm_b32 v2, v3, v2, s11
	v_bfe_u32 v3, v5, 16, 1
	v_bfe_u32 v6, v4, 16, 1
	v_add3_u32 v4, v4, v6, s10
	v_add3_u32 v3, v5, v3, s10
	v_perm_b32 v3, v3, v4, s11
	ds_write2st64_b64 v1, v[10:11], v[2:3] offset1:1
	s_waitcnt lgkmcnt(0)
	s_barrier
	s_and_saveexec_b64 s[6:7], vcc
	s_cbranch_execz .LBB696_22
; %bb.20:
	s_load_dwordx2 s[6:7], s[0:1], 0x68
	s_lshl_b32 s0, s8, 7
	s_mul_i32 s1, s9, s2
	v_lshlrev_b32_e32 v3, 6, v84
	s_mul_hi_u32 s9, s1, s0
	s_mul_i32 s8, s1, s0
	v_lshlrev_b32_e32 v2, 4, v0
	v_lshl_or_b32 v0, v0, 10, v3
	s_lshl_b64 s[8:9], s[8:9], 1
	v_lshlrev_b32_e32 v1, 5, v88
	v_and_b32_e32 v2, 16, v2
	v_and_b32_e32 v0, 0x1a00, v0
	s_waitcnt lgkmcnt(0)
	s_add_u32 s1, s6, s8
	v_or3_b32 v2, v0, v1, v2
	s_addc_u32 s6, s7, s9
	s_lshl_b32 s2, s26, 7
	s_lshl_b64 s[2:3], s[2:3], 1
	ds_read_b128 v[4:7], v2 offset:128
	ds_read_b128 v[8:11], v2
	s_add_u32 s2, s1, s2
	s_addc_u32 s3, s6, s3
	v_add_u32_e32 v3, s40, v88
	v_lshl_add_u64 v[0:1], v[82:83], 1, s[2:3]
	v_mad_u64_u32 v[12:13], s[2:3], v3, s0, 0
	v_lshl_add_u64 v[12:13], v[12:13], 1, v[0:1]
	v_add_u32_e32 v3, 4, v3
	s_waitcnt lgkmcnt(0)
	global_store_dwordx4 v[12:13], v[8:11], off
	s_nop 1
	v_mad_u64_u32 v[8:9], s[2:3], v3, s0, 0
	v_lshl_add_u64 v[8:9], v[8:9], 1, v[0:1]
	global_store_dwordx4 v[8:9], v[4:7], off
	s_and_b64 exec, exec, s[4:5]
	s_cbranch_execz .LBB696_22
; %bb.21:
	ds_read_b128 v[2:5], v2 offset:256
	v_add3_u32 v6, s40, v88, 8
	v_mad_u64_u32 v[6:7], s[0:1], v6, s0, 0
	v_lshl_add_u64 v[0:1], v[6:7], 1, v[0:1]
	s_waitcnt lgkmcnt(0)
	global_store_dwordx4 v[0:1], v[2:5], off
.LBB696_22:
	s_endpgm
	.section	.rodata,"a",@progbits
	.p2align	6, 0x0
	.amdhsa_kernel _Z39paged_attention_ll4mi_QKV_mfma16_kernelI14__hip_bfloat16S0_LN4vllm18Fp8KVCacheDataTypeE0EhLi32ELi128ELi256ELb1ELi9EEvPKT_PKT0_S8_ifPKiSA_SA_iPKfiiiPfSD_PS3_PT2_iSC_SC_
		.amdhsa_group_segment_fixed_size 8192
		.amdhsa_private_segment_fixed_size 0
		.amdhsa_kernarg_size 400
		.amdhsa_user_sgpr_count 2
		.amdhsa_user_sgpr_dispatch_ptr 0
		.amdhsa_user_sgpr_queue_ptr 0
		.amdhsa_user_sgpr_kernarg_segment_ptr 1
		.amdhsa_user_sgpr_dispatch_id 0
		.amdhsa_user_sgpr_kernarg_preload_length 0
		.amdhsa_user_sgpr_kernarg_preload_offset 0
		.amdhsa_user_sgpr_private_segment_size 0
		.amdhsa_uses_dynamic_stack 0
		.amdhsa_enable_private_segment 0
		.amdhsa_system_sgpr_workgroup_id_x 1
		.amdhsa_system_sgpr_workgroup_id_y 1
		.amdhsa_system_sgpr_workgroup_id_z 1
		.amdhsa_system_sgpr_workgroup_info 0
		.amdhsa_system_vgpr_workitem_id 0
		.amdhsa_next_free_vgpr 96
		.amdhsa_next_free_sgpr 42
		.amdhsa_accum_offset 96
		.amdhsa_reserve_vcc 1
		.amdhsa_float_round_mode_32 0
		.amdhsa_float_round_mode_16_64 0
		.amdhsa_float_denorm_mode_32 3
		.amdhsa_float_denorm_mode_16_64 3
		.amdhsa_dx10_clamp 1
		.amdhsa_ieee_mode 1
		.amdhsa_fp16_overflow 0
		.amdhsa_tg_split 0
		.amdhsa_exception_fp_ieee_invalid_op 0
		.amdhsa_exception_fp_denorm_src 0
		.amdhsa_exception_fp_ieee_div_zero 0
		.amdhsa_exception_fp_ieee_overflow 0
		.amdhsa_exception_fp_ieee_underflow 0
		.amdhsa_exception_fp_ieee_inexact 0
		.amdhsa_exception_int_div_zero 0
	.end_amdhsa_kernel
	.section	.text._Z39paged_attention_ll4mi_QKV_mfma16_kernelI14__hip_bfloat16S0_LN4vllm18Fp8KVCacheDataTypeE0EhLi32ELi128ELi256ELb1ELi9EEvPKT_PKT0_S8_ifPKiSA_SA_iPKfiiiPfSD_PS3_PT2_iSC_SC_,"axG",@progbits,_Z39paged_attention_ll4mi_QKV_mfma16_kernelI14__hip_bfloat16S0_LN4vllm18Fp8KVCacheDataTypeE0EhLi32ELi128ELi256ELb1ELi9EEvPKT_PKT0_S8_ifPKiSA_SA_iPKfiiiPfSD_PS3_PT2_iSC_SC_,comdat
.Lfunc_end696:
	.size	_Z39paged_attention_ll4mi_QKV_mfma16_kernelI14__hip_bfloat16S0_LN4vllm18Fp8KVCacheDataTypeE0EhLi32ELi128ELi256ELb1ELi9EEvPKT_PKT0_S8_ifPKiSA_SA_iPKfiiiPfSD_PS3_PT2_iSC_SC_, .Lfunc_end696-_Z39paged_attention_ll4mi_QKV_mfma16_kernelI14__hip_bfloat16S0_LN4vllm18Fp8KVCacheDataTypeE0EhLi32ELi128ELi256ELb1ELi9EEvPKT_PKT0_S8_ifPKiSA_SA_iPKfiiiPfSD_PS3_PT2_iSC_SC_
                                        ; -- End function
	.section	.AMDGPU.csdata,"",@progbits
; Kernel info:
; codeLenInByte = 5196
; NumSgprs: 48
; NumVgprs: 96
; NumAgprs: 0
; TotalNumVgprs: 96
; ScratchSize: 0
; MemoryBound: 0
; FloatMode: 240
; IeeeMode: 1
; LDSByteSize: 8192 bytes/workgroup (compile time only)
; SGPRBlocks: 5
; VGPRBlocks: 11
; NumSGPRsForWavesPerEU: 48
; NumVGPRsForWavesPerEU: 96
; AccumOffset: 96
; Occupancy: 5
; WaveLimiterHint : 1
; COMPUTE_PGM_RSRC2:SCRATCH_EN: 0
; COMPUTE_PGM_RSRC2:USER_SGPR: 2
; COMPUTE_PGM_RSRC2:TRAP_HANDLER: 0
; COMPUTE_PGM_RSRC2:TGID_X_EN: 1
; COMPUTE_PGM_RSRC2:TGID_Y_EN: 1
; COMPUTE_PGM_RSRC2:TGID_Z_EN: 1
; COMPUTE_PGM_RSRC2:TIDIG_COMP_CNT: 0
; COMPUTE_PGM_RSRC3_GFX90A:ACCUM_OFFSET: 23
; COMPUTE_PGM_RSRC3_GFX90A:TG_SPLIT: 0
	.section	.text._Z39paged_attention_ll4mi_QKV_mfma16_kernelI14__hip_bfloat16S0_LN4vllm18Fp8KVCacheDataTypeE0EhLi32ELi128ELi256ELb1ELi10EEvPKT_PKT0_S8_ifPKiSA_SA_iPKfiiiPfSD_PS3_PT2_iSC_SC_,"axG",@progbits,_Z39paged_attention_ll4mi_QKV_mfma16_kernelI14__hip_bfloat16S0_LN4vllm18Fp8KVCacheDataTypeE0EhLi32ELi128ELi256ELb1ELi10EEvPKT_PKT0_S8_ifPKiSA_SA_iPKfiiiPfSD_PS3_PT2_iSC_SC_,comdat
	.protected	_Z39paged_attention_ll4mi_QKV_mfma16_kernelI14__hip_bfloat16S0_LN4vllm18Fp8KVCacheDataTypeE0EhLi32ELi128ELi256ELb1ELi10EEvPKT_PKT0_S8_ifPKiSA_SA_iPKfiiiPfSD_PS3_PT2_iSC_SC_ ; -- Begin function _Z39paged_attention_ll4mi_QKV_mfma16_kernelI14__hip_bfloat16S0_LN4vllm18Fp8KVCacheDataTypeE0EhLi32ELi128ELi256ELb1ELi10EEvPKT_PKT0_S8_ifPKiSA_SA_iPKfiiiPfSD_PS3_PT2_iSC_SC_
	.globl	_Z39paged_attention_ll4mi_QKV_mfma16_kernelI14__hip_bfloat16S0_LN4vllm18Fp8KVCacheDataTypeE0EhLi32ELi128ELi256ELb1ELi10EEvPKT_PKT0_S8_ifPKiSA_SA_iPKfiiiPfSD_PS3_PT2_iSC_SC_
	.p2align	8
	.type	_Z39paged_attention_ll4mi_QKV_mfma16_kernelI14__hip_bfloat16S0_LN4vllm18Fp8KVCacheDataTypeE0EhLi32ELi128ELi256ELb1ELi10EEvPKT_PKT0_S8_ifPKiSA_SA_iPKfiiiPfSD_PS3_PT2_iSC_SC_,@function
_Z39paged_attention_ll4mi_QKV_mfma16_kernelI14__hip_bfloat16S0_LN4vllm18Fp8KVCacheDataTypeE0EhLi32ELi128ELi256ELb1ELi10EEvPKT_PKT0_S8_ifPKiSA_SA_iPKfiiiPfSD_PS3_PT2_iSC_SC_: ; @_Z39paged_attention_ll4mi_QKV_mfma16_kernelI14__hip_bfloat16S0_LN4vllm18Fp8KVCacheDataTypeE0EhLi32ELi128ELi256ELb1ELi10EEvPKT_PKT0_S8_ifPKiSA_SA_iPKfiiiPfSD_PS3_PT2_iSC_SC_
; %bb.0:
	s_load_dwordx2 s[8:9], s[0:1], 0x30
	s_mov_b32 s26, s3
	s_mov_b64 s[6:7], 0
	s_waitcnt lgkmcnt(0)
	s_cmp_lg_u64 s[8:9], 0
	s_cselect_b64 s[10:11], -1, 0
	s_and_b64 vcc, exec, s[10:11]
	s_cbranch_vccz .LBB697_7
; %bb.1:
	s_add_i32 s12, s2, 1
	s_mov_b32 s13, 0
	s_lshl_b64 s[14:15], s[12:13], 2
	s_add_u32 s14, s8, s14
	s_mov_b32 s3, s13
	s_addc_u32 s15, s9, s15
	s_lshl_b64 s[12:13], s[2:3], 2
	s_add_u32 s12, s8, s12
	s_addc_u32 s13, s9, s13
	s_load_dword s5, s[14:15], 0x0
	s_load_dword s16, s[12:13], 0x0
	s_waitcnt lgkmcnt(0)
	s_sub_i32 s5, s5, s16
	s_cmp_eq_u32 s5, 1
	s_cselect_b64 s[12:13], -1, 0
	s_andn2_b64 vcc, exec, s[6:7]
	s_cbranch_vccnz .LBB697_3
.LBB697_2:
	s_mov_b32 s3, 0
	s_mov_b64 s[12:13], -1
.LBB697_3:
	s_andn2_b64 vcc, exec, s[12:13]
	s_cbranch_vccnz .LBB697_22
; %bb.4:
	s_load_dwordx2 s[6:7], s[0:1], 0x28
	s_lshl_b64 s[12:13], s[2:3], 2
	s_waitcnt lgkmcnt(0)
	s_add_u32 s6, s6, s12
	s_addc_u32 s7, s7, s13
	s_load_dword s27, s[6:7], 0x0
	s_lshl_b32 s18, s26, 8
	s_waitcnt lgkmcnt(0)
	s_cmp_ge_i32 s18, s27
	s_cbranch_scc1 .LBB697_22
; %bb.5:
	s_load_dwordx2 s[6:7], s[0:1], 0x20
	s_load_dword s5, s[0:1], 0x38
	s_add_i32 s14, s27, 31
	s_ashr_i32 s15, s14, 31
	v_and_b32_e32 v1, 0xcf, v0
	s_lshr_b32 s15, s15, 27
	v_add_u32_e32 v1, s18, v1
	s_add_i32 s14, s14, s15
	v_ashrrev_i32_e32 v2, 31, v1
	s_ashr_i32 s19, s14, 5
	v_lshrrev_b32_e32 v4, 27, v2
	s_add_i32 s19, s19, -1
	s_waitcnt lgkmcnt(0)
	s_mul_i32 s14, s2, s5
	s_mov_b32 s15, 0
	v_add_u32_e32 v2, v1, v4
	s_lshl_b64 s[14:15], s[14:15], 2
	v_ashrrev_i32_e32 v2, 5, v2
	v_mov_b32_e32 v5, s19
	v_cmp_gt_i32_e32 vcc, s27, v1
	s_add_u32 s6, s6, s14
	s_addc_u32 s7, s7, s15
	v_cndmask_b32_e32 v2, v5, v2, vcc
	v_ashrrev_i32_e32 v3, 31, v2
	v_lshl_add_u64 v[6:7], v[2:3], 2, s[6:7]
	v_or_b32_e32 v2, 16, v1
	v_add_u32_e32 v3, v2, v4
	v_ashrrev_i32_e32 v3, 5, v3
	v_cmp_gt_i32_e32 vcc, s27, v2
	s_nop 1
	v_cndmask_b32_e32 v2, v5, v3, vcc
	v_ashrrev_i32_e32 v3, 31, v2
	v_lshl_add_u64 v[8:9], v[2:3], 2, s[6:7]
	v_or_b32_e32 v2, 32, v1
	v_add_u32_e32 v3, v2, v4
	v_ashrrev_i32_e32 v3, 5, v3
	v_cmp_gt_i32_e32 vcc, s27, v2
	v_or_b32_e32 v1, 48, v1
	s_nop 0
	v_cndmask_b32_e32 v2, v5, v3, vcc
	v_ashrrev_i32_e32 v3, 31, v2
	v_lshl_add_u64 v[10:11], v[2:3], 2, s[6:7]
	v_add_u32_e32 v2, v1, v4
	v_ashrrev_i32_e32 v2, 5, v2
	v_cmp_gt_i32_e32 vcc, s27, v1
	s_nop 1
	v_cndmask_b32_e32 v2, v5, v2, vcc
	v_ashrrev_i32_e32 v3, 31, v2
	v_lshl_add_u64 v[12:13], v[2:3], 2, s[6:7]
	global_load_dword v5, v[6:7], off
	global_load_dword v4, v[8:9], off
	;; [unrolled: 1-line block ×4, first 2 shown]
	s_andn2_b64 vcc, exec, s[10:11]
	s_cbranch_vccnz .LBB697_8
; %bb.6:
	s_add_u32 s8, s8, s12
	s_addc_u32 s9, s9, s13
	s_load_dword s5, s[8:9], 0x0
	s_branch .LBB697_9
.LBB697_7:
	s_mov_b64 s[12:13], 0
	s_branch .LBB697_2
.LBB697_8:
	s_mov_b32 s5, s2
.LBB697_9:
	s_load_dwordx2 s[14:15], s[0:1], 0x8
	s_load_dwordx4 s[8:11], s[0:1], 0x48
	v_lshrrev_b32_e32 v88, 6, v0
	v_bfe_u32 v1, v0, 4, 2
	v_lshl_or_b32 v6, v88, 2, v1
	v_and_b32_e32 v84, 15, v0
	v_lshlrev_b32_e32 v82, 3, v84
	v_cmp_lt_u32_e32 vcc, 9, v6
	s_and_saveexec_b64 s[12:13], vcc
	s_xor_b64 s[12:13], exec, s[12:13]
; %bb.10:
	v_mov_b32_e32 v83, 0
                                        ; implicit-def: $vgpr6
; %bb.11:
	s_or_saveexec_b64 s[16:17], s[12:13]
	s_load_dwordx2 s[12:13], s[0:1], 0x10
	s_mul_i32 s40, s4, 10
	s_xor_b64 exec, exec, s[16:17]
	s_cbranch_execz .LBB697_13
; %bb.12:
	s_load_dwordx2 s[20:21], s[0:1], 0x0
	s_waitcnt lgkmcnt(0)
	s_ashr_i32 s11, s8, 31
	s_mul_hi_u32 s22, s5, s8
	s_mul_i32 s11, s5, s11
	s_add_i32 s23, s22, s11
	s_mul_i32 s22, s5, s8
	s_lshl_b64 s[22:23], s[22:23], 1
	s_add_u32 s20, s20, s22
	v_add_lshl_u32 v8, v6, s40, 7
	s_addc_u32 s21, s21, s23
	v_ashrrev_i32_e32 v9, 31, v8
	v_mov_b32_e32 v83, 0
	v_lshl_add_u64 v[8:9], v[8:9], 1, s[20:21]
	v_lshlrev_b32_e32 v10, 1, v82
	v_mov_b32_e32 v11, v83
	v_lshl_add_u64 v[8:9], v[8:9], 0, v[10:11]
	global_load_dwordx4 v[8:11], v[8:9], off
	v_and_b32_e32 v7, 3, v0
	v_lshlrev_b32_e32 v12, 9, v84
	v_lshlrev_b32_e32 v6, 5, v6
	;; [unrolled: 1-line block ×3, first 2 shown]
	v_and_b32_e32 v12, 0x1800, v12
	v_or3_b32 v6, v12, v7, v6
	s_waitcnt vmcnt(0)
	ds_write_b128 v6, v[8:11]
.LBB697_13:
	s_or_b64 exec, exec, s[16:17]
	s_waitcnt lgkmcnt(0)
	s_mul_i32 s4, s4, s10
	s_mov_b32 s5, 0
	s_lshl_b64 s[4:5], s[4:5], 1
	s_add_u32 s10, s14, s4
	s_addc_u32 s11, s15, s5
	s_waitcnt vmcnt(3)
	v_mad_i64_i32 v[6:7], s[14:15], v5, s9, 0
	v_lshl_add_u64 v[6:7], v[6:7], 1, s[10:11]
	v_lshlrev_b64 v[8:9], 1, v[82:83]
	v_lshlrev_b32_e32 v86, 9, v1
	v_lshl_add_u64 v[6:7], v[6:7], 0, v[8:9]
	v_mov_b32_e32 v87, 0
	v_lshl_add_u64 v[10:11], v[6:7], 0, v[86:87]
	v_or_b32_e32 v14, 0x1000, v86
	v_mov_b32_e32 v15, v87
	v_or_b32_e32 v16, 0x1800, v86
	v_mov_b32_e32 v17, v87
	s_barrier
	global_load_dwordx4 v[66:69], v[10:11], off
	global_load_dwordx4 v[62:65], v[10:11], off offset:2048
	v_lshl_add_u64 v[10:11], v[6:7], 0, v[14:15]
	v_lshl_add_u64 v[6:7], v[6:7], 0, v[16:17]
	global_load_dwordx4 v[78:81], v[10:11], off
	global_load_dwordx4 v[74:77], v[6:7], off
	s_waitcnt vmcnt(6)
	v_mad_i64_i32 v[4:5], s[14:15], v4, s9, 0
	v_mov_b32_e32 v6, 0x100
	v_lshl_add_u64 v[4:5], v[4:5], 1, s[10:11]
	v_lshl_or_b32 v6, v84, 4, v6
	v_mov_b32_e32 v7, v87
	v_lshl_add_u64 v[4:5], v[4:5], 0, v[6:7]
	v_lshl_add_u64 v[10:11], v[4:5], 0, v[86:87]
	global_load_dwordx4 v[70:73], v[10:11], off
	global_load_dwordx4 v[58:61], v[10:11], off offset:2048
	v_lshl_add_u64 v[10:11], v[4:5], 0, v[14:15]
	v_lshl_add_u64 v[4:5], v[4:5], 0, v[16:17]
	global_load_dwordx4 v[54:57], v[10:11], off
	global_load_dwordx4 v[30:33], v[4:5], off
	s_waitcnt vmcnt(9)
	v_mad_i64_i32 v[4:5], s[14:15], v3, s9, 0
	v_lshl_add_u64 v[4:5], v[4:5], 1, s[10:11]
	s_waitcnt vmcnt(8)
	v_mad_i64_i32 v[2:3], s[14:15], v2, s9, 0
	v_lshl_add_u64 v[4:5], v[4:5], 0, v[8:9]
	v_lshl_add_u64 v[2:3], v[2:3], 1, s[10:11]
	;; [unrolled: 1-line block ×4, first 2 shown]
	global_load_dwordx4 v[26:29], v[8:9], off
	global_load_dwordx4 v[22:25], v[8:9], off offset:2048
	v_lshl_add_u64 v[8:9], v[4:5], 0, v[14:15]
	v_lshl_add_u64 v[4:5], v[4:5], 0, v[16:17]
	v_lshl_add_u64 v[2:3], v[34:35], 0, v[86:87]
	v_lshl_add_u64 v[14:15], v[34:35], 0, v[14:15]
	global_load_dwordx4 v[18:21], v[8:9], off
	global_load_dwordx4 v[10:13], v[4:5], off
	s_nop 0
	global_load_dwordx4 v[6:9], v[2:3], off
	s_nop 0
	global_load_dwordx4 v[2:5], v[2:3], off offset:2048
	v_lshl_add_u64 v[16:17], v[34:35], 0, v[16:17]
	global_load_dwordx4 v[38:41], v[14:15], off
	global_load_dwordx4 v[34:37], v[16:17], off
	v_add_u32_e32 v14, -10, v84
	v_cmp_gt_u32_e32 vcc, 10, v84
	v_and_b32_e32 v85, 63, v0
	v_mov_b32_e32 v89, 0
	v_cndmask_b32_e32 v14, v14, v84, vcc
	v_lshl_add_u32 v42, v14, 5, v86
	ds_read_b128 v[14:17], v42
	ds_read_b128 v[50:53], v42 offset:2048
	ds_read_b128 v[46:49], v42 offset:4096
	;; [unrolled: 1-line block ×3, first 2 shown]
	s_and_saveexec_b64 s[10:11], vcc
	s_cbranch_execz .LBB697_15
; %bb.14:
	s_load_dwordx2 s[14:15], s[0:1], 0x40
	v_add_u32_e32 v90, s40, v84
	v_ashrrev_i32_e32 v91, 31, v90
	s_waitcnt lgkmcnt(0)
	v_lshl_add_u64 v[90:91], v[90:91], 2, s[14:15]
	global_load_dword v89, v[90:91], off
.LBB697_15:
	s_or_b64 exec, exec, s[10:11]
	s_waitcnt vmcnt(15) lgkmcnt(3)
	v_mfma_f32_16x16x16_bf16 v[90:93], v[66:67], v[14:15], 0
	s_ashr_i32 s8, s18, 31
	s_lshr_b32 s8, s8, 27
	s_add_u32 s4, s12, s4
	v_mfma_f32_16x16x16_bf16 v[66:69], v[68:69], v[16:17], v[90:93]
	s_addc_u32 s5, s13, s5
	s_mov_b32 s33, 0xff7fffff
	s_waitcnt vmcnt(14) lgkmcnt(2)
	v_mfma_f32_16x16x16_bf16 v[66:69], v[62:63], v[50:51], v[66:69]
	v_lshl_or_b32 v90, v88, 4, v84
	v_mfma_f32_16x16x16_bf16 v[62:65], v[64:65], v[52:53], v[66:69]
	s_waitcnt vmcnt(13) lgkmcnt(1)
	v_mfma_f32_16x16x16_bf16 v[62:65], v[78:79], v[46:47], v[62:65]
	v_mfma_f32_16x16x16_bf16 v[62:65], v[80:81], v[48:49], v[62:65]
	s_waitcnt vmcnt(12) lgkmcnt(0)
	v_mfma_f32_16x16x16_bf16 v[62:65], v[74:75], v[42:43], v[62:65]
	v_and_or_b32 v74, v0, 48, s18
	v_add_u32_e32 v66, s8, v74
	v_ashrrev_i32_e32 v75, 5, v66
	s_waitcnt vmcnt(11)
	v_mfma_f32_16x16x16_bf16 v[66:69], v[70:71], v[14:15], 0
	v_cmp_gt_i32_e32 vcc, s27, v74
	v_mfma_f32_16x16x16_bf16 v[66:69], v[72:73], v[16:17], v[66:69]
	v_or_b32_e32 v72, 64, v74
	v_add_u32_e32 v73, s8, v72
	s_waitcnt vmcnt(10)
	v_mfma_f32_16x16x16_bf16 v[66:69], v[58:59], v[50:51], v[66:69]
	v_ashrrev_i32_e32 v58, 5, v73
	v_mfma_f32_16x16x16_bf16 v[62:65], v[76:77], v[44:45], v[62:65]
	v_mov_b32_e32 v76, s19
	v_cndmask_b32_e32 v70, v76, v75, vcc
	v_cmp_gt_i32_e32 vcc, s27, v72
	v_ashrrev_i32_e32 v71, 31, v70
	v_lshl_add_u64 v[70:71], v[70:71], 2, s[6:7]
	v_cndmask_b32_e32 v72, v76, v58, vcc
	v_mfma_f32_16x16x16_bf16 v[58:61], v[60:61], v[52:53], v[66:69]
	v_ashrrev_i32_e32 v73, 31, v72
	s_waitcnt vmcnt(9)
	v_mfma_f32_16x16x16_bf16 v[58:61], v[54:55], v[46:47], v[58:61]
	v_lshl_add_u64 v[66:67], v[72:73], 2, s[6:7]
	global_load_dword v68, v[70:71], off
	s_nop 0
	global_load_dword v66, v[66:67], off
	v_or_b32_e32 v67, 0x80, v74
	v_add_u32_e32 v69, s8, v67
	v_mfma_f32_16x16x16_bf16 v[54:57], v[56:57], v[48:49], v[58:61]
	v_cmp_gt_i32_e32 vcc, s27, v67
	s_nop 1
	v_ashrrev_i32_e32 v58, 5, v69
	v_cndmask_b32_e32 v58, v76, v58, vcc
	v_ashrrev_i32_e32 v59, 31, v58
	s_waitcnt vmcnt(10)
	v_mfma_f32_16x16x16_bf16 v[54:57], v[30:31], v[42:43], v[54:57]
	v_lshl_add_u64 v[30:31], v[58:59], 2, s[6:7]
	global_load_dword v70, v[30:31], off
	v_mfma_f32_16x16x16_bf16 v[58:61], v[32:33], v[44:45], v[54:57]
	s_nop 3
	v_or_b32_e32 v54, 0xc0, v74
	v_add_u32_e32 v30, s8, v54
	v_ashrrev_i32_e32 v55, 5, v30
	v_cmp_gt_i32_e32 vcc, s27, v54
	s_waitcnt vmcnt(10)
	v_mfma_f32_16x16x16_bf16 v[30:33], v[26:27], v[14:15], 0
	v_cndmask_b32_e32 v26, v76, v55, vcc
	v_ashrrev_i32_e32 v27, 31, v26
	v_lshl_add_u64 v[54:55], v[26:27], 2, s[6:7]
	global_load_dword v71, v[54:55], off
	v_mfma_f32_16x16x16_bf16 v[26:29], v[28:29], v[16:17], v[30:33]
	s_load_dword s6, s[0:1], 0x1c
	s_waitcnt vmcnt(10)
	v_mfma_f32_16x16x16_bf16 v[26:29], v[22:23], v[50:51], v[26:29]
	v_and_b32_e32 v30, 16, v0
	v_lshlrev_b32_e32 v86, 1, v30
	v_lshl_add_u64 v[74:75], s[4:5], 0, v[86:87]
	v_mfma_f32_16x16x16_bf16 v[22:25], v[24:25], v[52:53], v[26:29]
	v_lshlrev_b32_e32 v86, 6, v90
	v_lshl_add_u64 v[76:77], v[74:75], 0, v[86:87]
	v_or_b32_e32 v86, 0x1000, v86
	s_waitcnt vmcnt(9)
	v_mfma_f32_16x16x16_bf16 v[22:25], v[18:19], v[46:47], v[22:25]
	v_lshl_add_u64 v[80:81], v[74:75], 0, v[86:87]
	s_waitcnt lgkmcnt(0)
	v_pk_mul_f32 v[74:75], s[6:7], v[60:61] op_sel_hi:[0,1]
	v_mfma_f32_16x16x16_bf16 v[18:21], v[20:21], v[48:49], v[22:25]
	s_waitcnt vmcnt(8)
	v_mfma_f32_16x16x16_bf16 v[18:21], v[10:11], v[42:43], v[18:21]
	s_waitcnt vmcnt(3)
	v_mad_i64_i32 v[22:23], s[4:5], v68, s9, 0
	s_waitcnt vmcnt(2)
	v_mad_i64_i32 v[10:11], s[4:5], v66, s9, 0
	v_lshlrev_b64 v[78:79], 1, v[22:23]
	v_lshlrev_b64 v[54:55], 1, v[10:11]
	v_lshl_add_u64 v[22:23], v[76:77], 0, v[78:79]
	v_lshl_add_u64 v[10:11], v[76:77], 0, v[54:55]
	global_load_dwordx4 v[30:33], v[22:23], off
	global_load_dwordx4 v[26:29], v[22:23], off offset:16
	v_mfma_f32_16x16x16_bf16 v[66:69], v[12:13], v[44:45], v[18:21]
	global_load_dwordx4 v[22:25], v[10:11], off
	s_nop 1
	global_load_dwordx4 v[18:21], v[10:11], off offset:16
	v_mfma_f32_16x16x16_bf16 v[10:13], v[6:7], v[14:15], 0
	s_waitcnt vmcnt(5)
	v_mad_i64_i32 v[6:7], s[4:5], v70, s9, 0
	v_lshlrev_b64 v[56:57], 1, v[6:7]
	v_mfma_f32_16x16x16_bf16 v[6:9], v[8:9], v[16:17], v[10:13]
	v_mfma_f32_16x16x16_bf16 v[6:9], v[2:3], v[50:51], v[6:9]
	s_nop 1
	v_lshl_add_u64 v[10:11], v[76:77], 0, v[56:57]
	global_load_dwordx4 v[14:17], v[10:11], off
	s_nop 0
	global_load_dwordx4 v[10:13], v[10:11], off offset:16
	s_waitcnt vmcnt(6)
	v_mad_i64_i32 v[2:3], s[4:5], v71, s9, 0
	v_mfma_f32_16x16x16_bf16 v[70:73], v[4:5], v[52:53], v[6:9]
	v_pk_mul_f32 v[52:53], s[6:7], v[62:63] op_sel_hi:[0,1]
	v_lshlrev_b64 v[50:51], 1, v[2:3]
	v_lshl_add_u64 v[2:3], v[76:77], 0, v[50:51]
	v_mfma_f32_16x16x16_bf16 v[70:73], v[38:39], v[46:47], v[70:73]
	v_lshl_add_u64 v[38:39], v[80:81], 0, v[78:79]
	v_pk_mul_f32 v[78:79], s[6:7], v[64:65] op_sel_hi:[0,1]
	v_pk_mul_f32 v[76:77], s[6:7], v[58:59] op_sel_hi:[0,1]
	v_mfma_f32_16x16x16_bf16 v[46:49], v[40:41], v[48:49], v[70:73]
	v_lshl_add_u64 v[50:51], v[80:81], 0, v[50:51]
	global_load_dwordx4 v[6:9], v[2:3], off
	s_nop 0
	global_load_dwordx4 v[2:5], v[2:3], off offset:16
	v_pk_mul_f32 v[70:71], s[6:7], v[68:69] op_sel_hi:[0,1]
	v_mfma_f32_16x16x16_bf16 v[40:43], v[34:35], v[42:43], v[46:49]
	v_pk_mul_f32 v[72:73], s[6:7], v[66:67] op_sel_hi:[0,1]
	v_mfma_f32_16x16x16_bf16 v[34:37], v[36:37], v[44:45], v[40:43]
	s_nop 6
	v_pk_mul_f32 v[68:69], s[6:7], v[34:35] op_sel_hi:[0,1]
	v_and_b32_e32 v34, 0xc0, v0
	v_add_u32_e32 v34, s18, v34
	v_lshl_or_b32 v34, v1, 2, v34
	v_or_b32_e32 v35, 1, v34
	v_pk_mul_f32 v[66:67], s[6:7], v[36:37] op_sel_hi:[0,1]
	v_subrev_u32_e32 v36, s27, v35
	v_add_u32_e32 v40, 1, v36
	v_add_u32_e32 v41, 2, v36
	v_cvt_f32_i32_e32 v37, v36
	v_cvt_f32_i32_e32 v40, v40
	;; [unrolled: 1-line block ×3, first 2 shown]
	v_add_u32_e32 v42, 3, v36
	v_fma_f32 v52, v89, v37, v52
	v_fmac_f32_e32 v53, v89, v40
	v_fma_f32 v78, v89, v41, v78
	v_add_u32_e32 v37, 16, v36
	v_add_u32_e32 v40, 17, v36
	;; [unrolled: 1-line block ×3, first 2 shown]
	v_cvt_f32_i32_e32 v42, v42
	v_cvt_f32_i32_e32 v37, v37
	;; [unrolled: 1-line block ×4, first 2 shown]
	v_fmac_f32_e32 v79, v89, v42
	v_add_u32_e32 v42, 19, v36
	v_fma_f32 v76, v89, v37, v76
	v_fmac_f32_e32 v77, v89, v40
	v_fma_f32 v74, v89, v41, v74
	v_add_u32_e32 v37, 32, v36
	v_add_u32_e32 v40, 33, v36
	;; [unrolled: 1-line block ×3, first 2 shown]
	v_cvt_f32_i32_e32 v42, v42
	v_cvt_f32_i32_e32 v37, v37
	;; [unrolled: 1-line block ×4, first 2 shown]
	v_fmac_f32_e32 v75, v89, v42
	v_add_u32_e32 v42, 35, v36
	v_fma_f32 v72, v89, v37, v72
	v_fmac_f32_e32 v73, v89, v40
	v_fma_f32 v70, v89, v41, v70
	v_add_u32_e32 v37, 48, v36
	v_add_u32_e32 v40, 49, v36
	;; [unrolled: 1-line block ×4, first 2 shown]
	v_cvt_f32_i32_e32 v36, v36
	v_cvt_f32_i32_e32 v37, v37
	;; [unrolled: 1-line block ×3, first 2 shown]
	v_cmp_gt_i32_e64 s[28:29], s27, v34
	v_fmac_f32_e32 v67, v89, v36
	v_mov_b32_e32 v36, 0xff7fffff
	v_cmp_gt_i32_e64 s[30:31], s27, v35
	v_fma_f32 v68, v89, v37, v68
	v_cndmask_b32_e64 v37, v36, v52, s[28:29]
	v_cndmask_b32_e64 v35, v36, v53, s[30:31]
	v_fmac_f32_e32 v69, v89, v40
	v_max3_f32 v35, v37, s33, v35
	v_or_b32_e32 v37, 2, v34
	v_or_b32_e32 v40, 3, v34
	v_cmp_gt_i32_e64 s[34:35], s27, v37
	v_cmp_gt_i32_e64 s[36:37], s27, v40
	v_cvt_f32_i32_e32 v42, v42
	v_cndmask_b32_e64 v37, v36, v78, s[34:35]
	v_cndmask_b32_e64 v40, v36, v79, s[36:37]
	v_max3_f32 v35, v35, v37, v40
	v_or_b32_e32 v37, 16, v34
	v_or_b32_e32 v40, 17, v34
	v_cmp_gt_i32_e64 s[22:23], s27, v37
	v_cmp_gt_i32_e64 s[24:25], s27, v40
	v_fmac_f32_e32 v71, v89, v42
	v_cndmask_b32_e64 v37, v36, v76, s[22:23]
	v_cndmask_b32_e64 v40, v36, v77, s[24:25]
	v_max3_f32 v35, v35, v37, v40
	v_or_b32_e32 v37, 18, v34
	v_or_b32_e32 v40, 19, v34
	v_cmp_gt_i32_e64 s[18:19], s27, v37
	v_cmp_gt_i32_e64 s[20:21], s27, v40
	v_cvt_f32_i32_e32 v41, v41
	v_cndmask_b32_e64 v37, v36, v74, s[18:19]
	v_cndmask_b32_e64 v40, v36, v75, s[20:21]
	v_max3_f32 v35, v35, v37, v40
	v_or_b32_e32 v37, 32, v34
	v_or_b32_e32 v40, 33, v34
	v_cmp_gt_i32_e64 s[14:15], s27, v37
	v_cmp_gt_i32_e64 s[16:17], s27, v40
	v_fma_f32 v66, v89, v41, v66
	v_cndmask_b32_e64 v37, v36, v72, s[14:15]
	v_cndmask_b32_e64 v40, v36, v73, s[16:17]
	v_max3_f32 v35, v35, v37, v40
	v_or_b32_e32 v37, 34, v34
	v_or_b32_e32 v40, 35, v34
	v_cmp_gt_i32_e64 s[10:11], s27, v37
	v_cmp_gt_i32_e64 s[12:13], s27, v40
	s_nop 0
	v_cndmask_b32_e64 v37, v36, v70, s[10:11]
	v_cndmask_b32_e64 v40, v36, v71, s[12:13]
	v_max3_f32 v35, v35, v37, v40
	v_or_b32_e32 v37, 48, v34
	v_or_b32_e32 v40, 49, v34
	v_cmp_gt_i32_e64 s[6:7], s27, v37
	v_cmp_gt_i32_e64 s[8:9], s27, v40
	s_nop 0
	v_cndmask_b32_e64 v37, v36, v68, s[6:7]
	v_cndmask_b32_e64 v40, v36, v69, s[8:9]
	v_max3_f32 v35, v35, v37, v40
	v_or_b32_e32 v37, 50, v34
	v_or_b32_e32 v34, 51, v34
	v_cmp_gt_i32_e32 vcc, s27, v37
	v_cmp_gt_i32_e64 s[4:5], s27, v34
	global_load_dwordx4 v[46:49], v[38:39], off
	s_nop 0
	global_load_dwordx4 v[38:41], v[38:39], off offset:16
	v_cndmask_b32_e32 v37, v36, v66, vcc
	v_cndmask_b32_e64 v34, v36, v67, s[4:5]
	v_max3_f32 v58, v35, v37, v34
	v_mbcnt_lo_u32_b32 v34, -1, 0
	v_mbcnt_hi_u32_b32 v59, -1, v34
	v_and_b32_e32 v34, 64, v59
	v_add_u32_e32 v60, 64, v34
	v_xor_b32_e32 v34, 32, v59
	v_cmp_lt_i32_e64 s[38:39], v34, v60
	s_nop 1
	v_cndmask_b32_e64 v34, v59, v34, s[38:39]
	v_lshlrev_b32_e32 v87, 2, v34
	ds_bpermute_b32 v61, v87, v58
	v_lshl_add_u64 v[34:35], v[80:81], 0, v[54:55]
	global_load_dwordx4 v[42:45], v[34:35], off
	s_nop 0
	global_load_dwordx4 v[34:37], v[34:35], off offset:16
	s_waitcnt lgkmcnt(0)
	v_max_f32_e32 v54, v61, v61
	v_max_f32_e32 v62, v58, v54
	v_xor_b32_e32 v54, 16, v59
	v_cmp_lt_i32_e64 s[38:39], v54, v60
	s_nop 1
	v_cndmask_b32_e64 v54, v59, v54, s[38:39]
	v_lshlrev_b32_e32 v89, 2, v54
	ds_bpermute_b32 v63, v89, v62
	v_lshl_add_u64 v[54:55], v[80:81], 0, v[56:57]
	global_load_dwordx4 v[58:61], v[54:55], off
	s_nop 0
	global_load_dwordx4 v[54:57], v[54:55], off offset:16
	s_waitcnt lgkmcnt(0)
	v_max_f32_e32 v63, v63, v63
	v_max_f32_e32 v86, v62, v63
	v_sub_f32_e32 v52, v52, v86
	v_mul_f32_e32 v52, 0x3fb8aa3b, v52
	v_exp_f32_e32 v80, v52
	v_sub_f32_e32 v52, v53, v86
	v_mul_f32_e32 v52, 0x3fb8aa3b, v52
	v_exp_f32_e32 v81, v52
	global_load_dwordx4 v[62:65], v[50:51], off
	s_nop 0
	global_load_dwordx4 v[50:53], v[50:51], off offset:16
	v_sub_f32_e32 v78, v78, v86
	v_mul_f32_e32 v78, 0x3fb8aa3b, v78
	v_sub_f32_e32 v79, v79, v86
	v_exp_f32_e32 v78, v78
	v_mul_f32_e32 v79, 0x3fb8aa3b, v79
	v_sub_f32_e32 v76, v76, v86
	v_exp_f32_e32 v79, v79
	v_mul_f32_e32 v76, 0x3fb8aa3b, v76
	v_sub_f32_e32 v77, v77, v86
	v_cndmask_b32_e64 v80, 0, v80, s[28:29]
	v_exp_f32_e32 v76, v76
	v_mul_f32_e32 v77, 0x3fb8aa3b, v77
	v_sub_f32_e32 v74, v74, v86
	v_add_f32_e32 v91, 0, v80
	v_cndmask_b32_e64 v81, 0, v81, s[30:31]
	v_exp_f32_e32 v77, v77
	v_mul_f32_e32 v74, 0x3fb8aa3b, v74
	v_sub_f32_e32 v75, v75, v86
	v_add_f32_e32 v91, v91, v81
	;; [unrolled: 5-line block ×10, first 2 shown]
	v_cndmask_b32_e64 v70, 0, v70, s[10:11]
	v_exp_f32_e32 v66, v66
	v_mul_f32_e32 v67, 0x3fb8aa3b, v67
	v_add_f32_e32 v91, v91, v70
	v_cndmask_b32_e64 v71, 0, v71, s[12:13]
	v_exp_f32_e32 v67, v67
	v_add_f32_e32 v91, v91, v71
	v_cndmask_b32_e64 v68, 0, v68, s[6:7]
	v_add_f32_e32 v91, v91, v68
	v_cndmask_b32_e64 v69, 0, v69, s[8:9]
	v_add_f32_e32 v91, v91, v69
	v_cndmask_b32_e32 v66, 0, v66, vcc
	v_add_f32_e32 v91, v91, v66
	v_cndmask_b32_e64 v67, 0, v67, s[4:5]
	v_add_f32_e32 v91, v91, v67
	ds_bpermute_b32 v87, v87, v91
	s_load_dword s7, s[0:1], 0x98
	v_cmp_gt_u32_e32 vcc, 16, v85
	s_waitcnt lgkmcnt(0)
	s_barrier
	v_add_f32_e32 v87, v91, v87
	ds_bpermute_b32 v89, v89, v87
	s_waitcnt lgkmcnt(0)
	s_and_saveexec_b64 s[4:5], vcc
	s_cbranch_execz .LBB697_17
; %bb.16:
	v_add_f32_e32 v85, v87, v89
	v_lshlrev_b32_e32 v87, 2, v90
	ds_write2st64_b32 v87, v86, v85 offset1:1
.LBB697_17:
	s_or_b64 exec, exec, s[4:5]
	v_lshlrev_b32_e32 v85, 2, v84
	s_load_dword s6, s[0:1], 0x94
	s_waitcnt lgkmcnt(0)
	s_barrier
	ds_read2_b32 v[90:91], v85 offset1:16
	ds_read2_b32 v[92:93], v85 offset0:32 offset1:48
	ds_read2_b32 v[94:95], v85 offset0:64 offset1:80
	s_movk_i32 s8, 0x7fff
	s_mov_b32 s9, 0x7060302
	s_waitcnt lgkmcnt(2)
	v_max3_f32 v86, v90, s33, v91
	s_waitcnt lgkmcnt(1)
	v_max3_f32 v86, v86, v92, v93
	v_sub_f32_e32 v87, v90, v86
	v_mul_f32_e32 v87, 0x3fb8aa3b, v87
	v_exp_f32_e32 v89, v87
	v_sub_f32_e32 v87, v91, v86
	v_mul_f32_e32 v87, 0x3fb8aa3b, v87
	v_exp_f32_e32 v88, v87
	v_sub_f32_e32 v87, v92, v86
	v_mul_f32_e32 v87, 0x3fb8aa3b, v87
	ds_read2_b32 v[90:91], v85 offset0:96 offset1:112
	v_sub_f32_e32 v85, v93, v86
	v_exp_f32_e32 v92, v87
	v_mul_f32_e32 v85, 0x3fb8aa3b, v85
	v_exp_f32_e32 v85, v85
	s_waitcnt lgkmcnt(1)
	v_fma_f32 v87, v89, v94, 0
	v_fmac_f32_e32 v87, v88, v95
	s_waitcnt lgkmcnt(0)
	v_fmac_f32_e32 v87, v92, v90
	v_fmac_f32_e32 v87, v85, v91
	v_add_f32_e32 v90, 0x358637bd, v87
	v_div_scale_f32 v91, s[4:5], v90, v90, 1.0
	v_rcp_f32_e32 v93, v91
	s_mul_i32 s7, s7, 10
	s_barrier
	v_fma_f32 v94, -v91, v93, 1.0
	v_fmac_f32_e32 v93, v94, v93
	v_div_scale_f32 v94, vcc, 1.0, v90, 1.0
	v_mul_f32_e32 v95, v94, v93
	v_fma_f32 v1, -v91, v95, v94
	v_fmac_f32_e32 v95, v1, v93
	v_fma_f32 v1, -v91, v95, v94
	v_lshrrev_b32_e32 v91, 6, v0
	v_div_fmas_f32 v1, v1, v93, v95
	v_cmp_eq_u32_e32 vcc, 1, v91
	v_div_fixup_f32 v1, v1, v90, 1.0
	s_nop 0
	v_cndmask_b32_e32 v88, v89, v88, vcc
	v_cmp_eq_u32_e32 vcc, 2, v91
	s_nop 1
	v_cndmask_b32_e32 v88, v88, v92, vcc
	v_cmp_eq_u32_e32 vcc, 3, v91
	s_nop 1
	v_cndmask_b32_e32 v85, v88, v85, vcc
	v_mul_f32_e32 v90, v85, v1
	v_pk_mul_f32 v[80:81], v[90:91], v[80:81] op_sel_hi:[0,1]
	v_bfe_u32 v1, v81, 16, 1
	v_bfe_u32 v85, v80, 16, 1
	v_pk_mul_f32 v[78:79], v[90:91], v[78:79] op_sel_hi:[0,1]
	v_add3_u32 v80, v80, v85, s8
	v_add3_u32 v1, v81, v1, s8
	v_perm_b32 v80, v1, v80, s9
	v_bfe_u32 v1, v79, 16, 1
	v_bfe_u32 v81, v78, 16, 1
	v_add3_u32 v78, v78, v81, s8
	v_add3_u32 v1, v79, v1, s8
	v_bfe_u32 v88, v0, 4, 2
	v_perm_b32 v81, v1, v78, s9
	v_lshlrev_b32_e32 v1, 3, v88
	v_lshlrev_b32_e32 v78, 5, v84
	;; [unrolled: 1-line block ×3, first 2 shown]
	v_pk_mul_f32 v[76:77], v[90:91], v[76:77] op_sel_hi:[0,1]
	v_or3_b32 v1, v79, v78, v1
	v_bfe_u32 v79, v77, 16, 1
	v_bfe_u32 v85, v76, 16, 1
	v_pk_mul_f32 v[74:75], v[90:91], v[74:75] op_sel_hi:[0,1]
	v_add3_u32 v76, v76, v85, s8
	v_add3_u32 v77, v77, v79, s8
	v_perm_b32 v76, v77, v76, s9
	v_bfe_u32 v77, v75, 16, 1
	v_bfe_u32 v79, v74, 16, 1
	v_add3_u32 v74, v74, v79, s8
	v_add3_u32 v75, v75, v77, s8
	v_pk_mul_f32 v[72:73], v[90:91], v[72:73] op_sel_hi:[0,1]
	v_perm_b32 v77, v75, v74, s9
	v_bfe_u32 v74, v73, 16, 1
	v_bfe_u32 v75, v72, 16, 1
	v_pk_mul_f32 v[70:71], v[90:91], v[70:71] op_sel_hi:[0,1]
	v_add3_u32 v72, v72, v75, s8
	v_add3_u32 v73, v73, v74, s8
	v_perm_b32 v72, v73, v72, s9
	v_bfe_u32 v73, v71, 16, 1
	v_bfe_u32 v74, v70, 16, 1
	v_add3_u32 v70, v70, v74, s8
	v_add3_u32 v71, v71, v73, s8
	v_pk_mul_f32 v[68:69], v[90:91], v[68:69] op_sel_hi:[0,1]
	v_perm_b32 v73, v71, v70, s9
	v_bfe_u32 v70, v69, 16, 1
	v_bfe_u32 v71, v68, 16, 1
	v_pk_mul_f32 v[66:67], v[90:91], v[66:67] op_sel_hi:[0,1]
	v_add3_u32 v68, v68, v71, s8
	v_add3_u32 v69, v69, v70, s8
	v_perm_b32 v68, v69, v68, s9
	v_bfe_u32 v69, v67, 16, 1
	v_bfe_u32 v70, v66, 16, 1
	v_add3_u32 v66, v66, v70, s8
	v_add3_u32 v67, v67, v69, s8
	v_perm_b32 v69, v67, v66, s9
	v_cmp_gt_u32_e32 vcc, 10, v0
	ds_write2st64_b64 v1, v[80:81], v[76:77] offset1:1
	ds_write2st64_b64 v1, v[72:73], v[68:69] offset0:2 offset1:3
	s_and_saveexec_b64 s[4:5], vcc
	s_cbranch_execz .LBB697_19
; %bb.18:
	s_mov_b32 s41, 0
	v_mov_b32_e32 v85, 0
	v_lshl_add_u64 v[66:67], s[40:41], 0, v[84:85]
	v_mov_b32_e32 v68, s7
	v_mad_u64_u32 v[66:67], s[10:11], s2, v68, v[66:67]
	s_mul_i32 s3, s3, s7
	v_mov_b32_e32 v68, s26
	v_mov_b32_e32 v69, v85
	s_load_dwordx4 s[12:15], s[0:1], 0x58
	v_add_u32_e32 v70, s3, v67
	v_mad_u64_u32 v[66:67], s[10:11], v66, s6, v[68:69]
	v_mov_b32_e32 v68, v67
	v_mad_u64_u32 v[68:69], s[10:11], v70, s6, v[68:69]
	v_mov_b32_e32 v67, v68
	v_lshlrev_b64 v[66:67], 2, v[66:67]
	s_waitcnt lgkmcnt(0)
	v_lshl_add_u64 v[68:69], s[14:15], 0, v[66:67]
	v_lshl_add_u64 v[66:67], s[12:13], 0, v[66:67]
	global_store_dword v[68:69], v86, off
	global_store_dword v[66:67], v87, off
.LBB697_19:
	s_or_b64 exec, exec, s[4:5]
	v_lshl_or_b32 v78, v88, 9, v78
	s_waitcnt lgkmcnt(0)
	s_barrier
	ds_read_b128 v[70:73], v78
	ds_read_b128 v[66:69], v78 offset:16
	s_waitcnt vmcnt(15) lgkmcnt(1)
	v_mfma_f32_16x16x16_bf16 v[74:77], v[30:31], v[70:71], 0
	s_mov_b32 s3, 0
	v_cmp_gt_u32_e32 vcc, 64, v0
	v_mfma_f32_16x16x16_bf16 v[30:33], v[32:33], v[72:73], v[74:77]
	s_waitcnt vmcnt(14) lgkmcnt(0)
	v_mfma_f32_16x16x16_bf16 v[30:33], v[26:27], v[66:67], v[30:33]
	v_mfma_f32_16x16x16_bf16 v[26:29], v[28:29], v[68:69], v[30:33]
	s_nop 5
	ds_read_b128 v[30:33], v78 offset:2048
	ds_read_b128 v[74:77], v78 offset:2064
	s_waitcnt vmcnt(13) lgkmcnt(1)
	v_mfma_f32_16x16x16_bf16 v[26:29], v[22:23], v[30:31], v[26:29]
	v_mfma_f32_16x16x16_bf16 v[22:25], v[24:25], v[32:33], v[26:29]
	s_waitcnt vmcnt(12) lgkmcnt(0)
	v_mfma_f32_16x16x16_bf16 v[22:25], v[18:19], v[74:75], v[22:25]
	v_mfma_f32_16x16x16_bf16 v[18:21], v[20:21], v[76:77], v[22:25]
	s_nop 5
	ds_read_b128 v[22:25], v78 offset:4096
	ds_read_b128 v[26:29], v78 offset:4112
	s_waitcnt vmcnt(11) lgkmcnt(1)
	v_mfma_f32_16x16x16_bf16 v[18:21], v[14:15], v[22:23], v[18:21]
	v_mfma_f32_16x16x16_bf16 v[14:17], v[16:17], v[24:25], v[18:21]
	s_waitcnt vmcnt(10) lgkmcnt(0)
	v_mfma_f32_16x16x16_bf16 v[14:17], v[10:11], v[26:27], v[14:17]
	v_mfma_f32_16x16x16_bf16 v[10:13], v[12:13], v[28:29], v[14:17]
	s_nop 5
	ds_read_b128 v[14:17], v78 offset:6144
	ds_read_b128 v[18:21], v78 offset:6160
	s_waitcnt lgkmcnt(0)
	s_barrier
	s_waitcnt vmcnt(9)
	v_mfma_f32_16x16x16_bf16 v[10:13], v[6:7], v[14:15], v[10:13]
	v_mfma_f32_16x16x16_bf16 v[6:9], v[8:9], v[16:17], v[10:13]
	s_waitcnt vmcnt(8)
	v_mfma_f32_16x16x16_bf16 v[6:9], v[2:3], v[18:19], v[6:9]
	v_mfma_f32_16x16x16_bf16 v[2:5], v[4:5], v[20:21], v[6:9]
	;; [unrolled: 3-line block ×3, first 2 shown]
	s_nop 3
	v_bfe_u32 v10, v3, 16, 1
	v_bfe_u32 v11, v2, 16, 1
	v_add3_u32 v2, v2, v11, s8
	s_waitcnt vmcnt(6)
	v_mfma_f32_16x16x16_bf16 v[6:9], v[38:39], v[66:67], v[6:9]
	v_add3_u32 v3, v3, v10, s8
	v_perm_b32 v10, v3, v2, s9
	v_bfe_u32 v2, v5, 16, 1
	v_mfma_f32_16x16x16_bf16 v[6:9], v[40:41], v[68:69], v[6:9]
	v_bfe_u32 v3, v4, 16, 1
	v_add3_u32 v3, v4, v3, s8
	v_add3_u32 v2, v5, v2, s8
	s_waitcnt vmcnt(5)
	v_mfma_f32_16x16x16_bf16 v[6:9], v[42:43], v[30:31], v[6:9]
	v_perm_b32 v11, v2, v3, s9
	v_mfma_f32_16x16x16_bf16 v[6:9], v[44:45], v[32:33], v[6:9]
	s_waitcnt vmcnt(4)
	v_mfma_f32_16x16x16_bf16 v[6:9], v[34:35], v[74:75], v[6:9]
	v_mfma_f32_16x16x16_bf16 v[6:9], v[36:37], v[76:77], v[6:9]
	s_waitcnt vmcnt(3)
	v_mfma_f32_16x16x16_bf16 v[6:9], v[58:59], v[22:23], v[6:9]
	v_mfma_f32_16x16x16_bf16 v[6:9], v[60:61], v[24:25], v[6:9]
	s_waitcnt vmcnt(2)
	v_mfma_f32_16x16x16_bf16 v[6:9], v[54:55], v[26:27], v[6:9]
	v_mfma_f32_16x16x16_bf16 v[6:9], v[56:57], v[28:29], v[6:9]
	s_waitcnt vmcnt(1)
	v_mfma_f32_16x16x16_bf16 v[6:9], v[62:63], v[14:15], v[6:9]
	v_mfma_f32_16x16x16_bf16 v[6:9], v[64:65], v[16:17], v[6:9]
	s_waitcnt vmcnt(0)
	v_mfma_f32_16x16x16_bf16 v[6:9], v[50:51], v[18:19], v[6:9]
	v_mfma_f32_16x16x16_bf16 v[2:5], v[52:53], v[20:21], v[6:9]
	s_nop 6
	v_bfe_u32 v6, v3, 16, 1
	v_bfe_u32 v7, v2, 16, 1
	v_add3_u32 v2, v2, v7, s8
	v_add3_u32 v3, v3, v6, s8
	v_perm_b32 v2, v3, v2, s9
	v_bfe_u32 v3, v5, 16, 1
	v_bfe_u32 v6, v4, 16, 1
	v_add3_u32 v4, v4, v6, s8
	v_add3_u32 v3, v5, v3, s8
	v_perm_b32 v3, v3, v4, s9
	ds_write2st64_b64 v1, v[10:11], v[2:3] offset1:1
	s_waitcnt lgkmcnt(0)
	s_barrier
	s_and_saveexec_b64 s[4:5], vcc
	s_cbranch_execz .LBB697_22
; %bb.20:
	s_load_dwordx2 s[4:5], s[0:1], 0x68
	s_lshl_b32 s0, s6, 7
	s_mul_i32 s1, s7, s2
	v_lshlrev_b32_e32 v3, 6, v84
	s_mul_hi_u32 s7, s1, s0
	s_mul_i32 s6, s1, s0
	v_lshlrev_b32_e32 v2, 4, v0
	v_lshl_or_b32 v0, v0, 10, v3
	s_lshl_b64 s[6:7], s[6:7], 1
	v_lshlrev_b32_e32 v1, 5, v88
	v_and_b32_e32 v2, 16, v2
	v_and_b32_e32 v0, 0x1a00, v0
	s_waitcnt lgkmcnt(0)
	s_add_u32 s1, s4, s6
	v_or3_b32 v2, v0, v1, v2
	s_addc_u32 s4, s5, s7
	s_lshl_b32 s2, s26, 7
	s_lshl_b64 s[2:3], s[2:3], 1
	ds_read_b128 v[4:7], v2 offset:128
	ds_read_b128 v[8:11], v2
	s_add_u32 s2, s1, s2
	s_addc_u32 s3, s4, s3
	v_add_u32_e32 v14, s40, v88
	v_lshl_add_u64 v[0:1], v[82:83], 1, s[2:3]
	v_mad_u64_u32 v[12:13], s[2:3], v14, s0, 0
	v_lshl_add_u64 v[12:13], v[12:13], 1, v[0:1]
	s_waitcnt lgkmcnt(0)
	global_store_dwordx4 v[12:13], v[8:11], off
	v_or_b32_e32 v3, 8, v88
	v_cmp_gt_u32_e32 vcc, 10, v3
	v_add_u32_e32 v8, 4, v14
	v_mad_u64_u32 v[8:9], s[2:3], v8, s0, 0
	v_lshl_add_u64 v[8:9], v[8:9], 1, v[0:1]
	global_store_dwordx4 v[8:9], v[4:7], off
	s_and_b64 exec, exec, vcc
	s_cbranch_execz .LBB697_22
; %bb.21:
	ds_read_b128 v[4:7], v2 offset:256
	v_add_u32_e32 v2, s40, v3
	v_mad_u64_u32 v[2:3], s[0:1], v2, s0, 0
	v_lshl_add_u64 v[0:1], v[2:3], 1, v[0:1]
	s_waitcnt lgkmcnt(0)
	global_store_dwordx4 v[0:1], v[4:7], off
.LBB697_22:
	s_endpgm
	.section	.rodata,"a",@progbits
	.p2align	6, 0x0
	.amdhsa_kernel _Z39paged_attention_ll4mi_QKV_mfma16_kernelI14__hip_bfloat16S0_LN4vllm18Fp8KVCacheDataTypeE0EhLi32ELi128ELi256ELb1ELi10EEvPKT_PKT0_S8_ifPKiSA_SA_iPKfiiiPfSD_PS3_PT2_iSC_SC_
		.amdhsa_group_segment_fixed_size 8192
		.amdhsa_private_segment_fixed_size 0
		.amdhsa_kernarg_size 400
		.amdhsa_user_sgpr_count 2
		.amdhsa_user_sgpr_dispatch_ptr 0
		.amdhsa_user_sgpr_queue_ptr 0
		.amdhsa_user_sgpr_kernarg_segment_ptr 1
		.amdhsa_user_sgpr_dispatch_id 0
		.amdhsa_user_sgpr_kernarg_preload_length 0
		.amdhsa_user_sgpr_kernarg_preload_offset 0
		.amdhsa_user_sgpr_private_segment_size 0
		.amdhsa_uses_dynamic_stack 0
		.amdhsa_enable_private_segment 0
		.amdhsa_system_sgpr_workgroup_id_x 1
		.amdhsa_system_sgpr_workgroup_id_y 1
		.amdhsa_system_sgpr_workgroup_id_z 1
		.amdhsa_system_sgpr_workgroup_info 0
		.amdhsa_system_vgpr_workitem_id 0
		.amdhsa_next_free_vgpr 96
		.amdhsa_next_free_sgpr 42
		.amdhsa_accum_offset 96
		.amdhsa_reserve_vcc 1
		.amdhsa_float_round_mode_32 0
		.amdhsa_float_round_mode_16_64 0
		.amdhsa_float_denorm_mode_32 3
		.amdhsa_float_denorm_mode_16_64 3
		.amdhsa_dx10_clamp 1
		.amdhsa_ieee_mode 1
		.amdhsa_fp16_overflow 0
		.amdhsa_tg_split 0
		.amdhsa_exception_fp_ieee_invalid_op 0
		.amdhsa_exception_fp_denorm_src 0
		.amdhsa_exception_fp_ieee_div_zero 0
		.amdhsa_exception_fp_ieee_overflow 0
		.amdhsa_exception_fp_ieee_underflow 0
		.amdhsa_exception_fp_ieee_inexact 0
		.amdhsa_exception_int_div_zero 0
	.end_amdhsa_kernel
	.section	.text._Z39paged_attention_ll4mi_QKV_mfma16_kernelI14__hip_bfloat16S0_LN4vllm18Fp8KVCacheDataTypeE0EhLi32ELi128ELi256ELb1ELi10EEvPKT_PKT0_S8_ifPKiSA_SA_iPKfiiiPfSD_PS3_PT2_iSC_SC_,"axG",@progbits,_Z39paged_attention_ll4mi_QKV_mfma16_kernelI14__hip_bfloat16S0_LN4vllm18Fp8KVCacheDataTypeE0EhLi32ELi128ELi256ELb1ELi10EEvPKT_PKT0_S8_ifPKiSA_SA_iPKfiiiPfSD_PS3_PT2_iSC_SC_,comdat
.Lfunc_end697:
	.size	_Z39paged_attention_ll4mi_QKV_mfma16_kernelI14__hip_bfloat16S0_LN4vllm18Fp8KVCacheDataTypeE0EhLi32ELi128ELi256ELb1ELi10EEvPKT_PKT0_S8_ifPKiSA_SA_iPKfiiiPfSD_PS3_PT2_iSC_SC_, .Lfunc_end697-_Z39paged_attention_ll4mi_QKV_mfma16_kernelI14__hip_bfloat16S0_LN4vllm18Fp8KVCacheDataTypeE0EhLi32ELi128ELi256ELb1ELi10EEvPKT_PKT0_S8_ifPKiSA_SA_iPKfiiiPfSD_PS3_PT2_iSC_SC_
                                        ; -- End function
	.section	.AMDGPU.csdata,"",@progbits
; Kernel info:
; codeLenInByte = 5192
; NumSgprs: 48
; NumVgprs: 96
; NumAgprs: 0
; TotalNumVgprs: 96
; ScratchSize: 0
; MemoryBound: 0
; FloatMode: 240
; IeeeMode: 1
; LDSByteSize: 8192 bytes/workgroup (compile time only)
; SGPRBlocks: 5
; VGPRBlocks: 11
; NumSGPRsForWavesPerEU: 48
; NumVGPRsForWavesPerEU: 96
; AccumOffset: 96
; Occupancy: 5
; WaveLimiterHint : 1
; COMPUTE_PGM_RSRC2:SCRATCH_EN: 0
; COMPUTE_PGM_RSRC2:USER_SGPR: 2
; COMPUTE_PGM_RSRC2:TRAP_HANDLER: 0
; COMPUTE_PGM_RSRC2:TGID_X_EN: 1
; COMPUTE_PGM_RSRC2:TGID_Y_EN: 1
; COMPUTE_PGM_RSRC2:TGID_Z_EN: 1
; COMPUTE_PGM_RSRC2:TIDIG_COMP_CNT: 0
; COMPUTE_PGM_RSRC3_GFX90A:ACCUM_OFFSET: 23
; COMPUTE_PGM_RSRC3_GFX90A:TG_SPLIT: 0
	.section	.text._Z39paged_attention_ll4mi_QKV_mfma16_kernelI14__hip_bfloat16S0_LN4vllm18Fp8KVCacheDataTypeE0EhLi32ELi128ELi256ELb1ELi11EEvPKT_PKT0_S8_ifPKiSA_SA_iPKfiiiPfSD_PS3_PT2_iSC_SC_,"axG",@progbits,_Z39paged_attention_ll4mi_QKV_mfma16_kernelI14__hip_bfloat16S0_LN4vllm18Fp8KVCacheDataTypeE0EhLi32ELi128ELi256ELb1ELi11EEvPKT_PKT0_S8_ifPKiSA_SA_iPKfiiiPfSD_PS3_PT2_iSC_SC_,comdat
	.protected	_Z39paged_attention_ll4mi_QKV_mfma16_kernelI14__hip_bfloat16S0_LN4vllm18Fp8KVCacheDataTypeE0EhLi32ELi128ELi256ELb1ELi11EEvPKT_PKT0_S8_ifPKiSA_SA_iPKfiiiPfSD_PS3_PT2_iSC_SC_ ; -- Begin function _Z39paged_attention_ll4mi_QKV_mfma16_kernelI14__hip_bfloat16S0_LN4vllm18Fp8KVCacheDataTypeE0EhLi32ELi128ELi256ELb1ELi11EEvPKT_PKT0_S8_ifPKiSA_SA_iPKfiiiPfSD_PS3_PT2_iSC_SC_
	.globl	_Z39paged_attention_ll4mi_QKV_mfma16_kernelI14__hip_bfloat16S0_LN4vllm18Fp8KVCacheDataTypeE0EhLi32ELi128ELi256ELb1ELi11EEvPKT_PKT0_S8_ifPKiSA_SA_iPKfiiiPfSD_PS3_PT2_iSC_SC_
	.p2align	8
	.type	_Z39paged_attention_ll4mi_QKV_mfma16_kernelI14__hip_bfloat16S0_LN4vllm18Fp8KVCacheDataTypeE0EhLi32ELi128ELi256ELb1ELi11EEvPKT_PKT0_S8_ifPKiSA_SA_iPKfiiiPfSD_PS3_PT2_iSC_SC_,@function
_Z39paged_attention_ll4mi_QKV_mfma16_kernelI14__hip_bfloat16S0_LN4vllm18Fp8KVCacheDataTypeE0EhLi32ELi128ELi256ELb1ELi11EEvPKT_PKT0_S8_ifPKiSA_SA_iPKfiiiPfSD_PS3_PT2_iSC_SC_: ; @_Z39paged_attention_ll4mi_QKV_mfma16_kernelI14__hip_bfloat16S0_LN4vllm18Fp8KVCacheDataTypeE0EhLi32ELi128ELi256ELb1ELi11EEvPKT_PKT0_S8_ifPKiSA_SA_iPKfiiiPfSD_PS3_PT2_iSC_SC_
; %bb.0:
	s_load_dwordx2 s[8:9], s[0:1], 0x30
	s_mov_b32 s26, s3
	s_mov_b64 s[6:7], 0
	s_waitcnt lgkmcnt(0)
	s_cmp_lg_u64 s[8:9], 0
	s_cselect_b64 s[10:11], -1, 0
	s_and_b64 vcc, exec, s[10:11]
	s_cbranch_vccz .LBB698_7
; %bb.1:
	s_add_i32 s12, s2, 1
	s_mov_b32 s13, 0
	s_lshl_b64 s[14:15], s[12:13], 2
	s_add_u32 s14, s8, s14
	s_mov_b32 s3, s13
	s_addc_u32 s15, s9, s15
	s_lshl_b64 s[12:13], s[2:3], 2
	s_add_u32 s12, s8, s12
	s_addc_u32 s13, s9, s13
	s_load_dword s5, s[14:15], 0x0
	s_load_dword s16, s[12:13], 0x0
	s_waitcnt lgkmcnt(0)
	s_sub_i32 s5, s5, s16
	s_cmp_eq_u32 s5, 1
	s_cselect_b64 s[12:13], -1, 0
	s_andn2_b64 vcc, exec, s[6:7]
	s_cbranch_vccnz .LBB698_3
.LBB698_2:
	s_mov_b32 s3, 0
	s_mov_b64 s[12:13], -1
.LBB698_3:
	s_andn2_b64 vcc, exec, s[12:13]
	s_cbranch_vccnz .LBB698_22
; %bb.4:
	s_load_dwordx2 s[6:7], s[0:1], 0x28
	s_lshl_b64 s[12:13], s[2:3], 2
	s_waitcnt lgkmcnt(0)
	s_add_u32 s6, s6, s12
	s_addc_u32 s7, s7, s13
	s_load_dword s27, s[6:7], 0x0
	s_lshl_b32 s18, s26, 8
	s_waitcnt lgkmcnt(0)
	s_cmp_ge_i32 s18, s27
	s_cbranch_scc1 .LBB698_22
; %bb.5:
	s_load_dwordx2 s[6:7], s[0:1], 0x20
	s_load_dword s5, s[0:1], 0x38
	s_add_i32 s14, s27, 31
	s_ashr_i32 s15, s14, 31
	v_and_b32_e32 v1, 0xcf, v0
	s_lshr_b32 s15, s15, 27
	v_add_u32_e32 v1, s18, v1
	s_add_i32 s14, s14, s15
	v_ashrrev_i32_e32 v2, 31, v1
	s_ashr_i32 s19, s14, 5
	v_lshrrev_b32_e32 v4, 27, v2
	s_add_i32 s19, s19, -1
	s_waitcnt lgkmcnt(0)
	s_mul_i32 s14, s2, s5
	s_mov_b32 s15, 0
	v_add_u32_e32 v2, v1, v4
	s_lshl_b64 s[14:15], s[14:15], 2
	v_ashrrev_i32_e32 v2, 5, v2
	v_mov_b32_e32 v5, s19
	v_cmp_gt_i32_e32 vcc, s27, v1
	s_add_u32 s6, s6, s14
	s_addc_u32 s7, s7, s15
	v_cndmask_b32_e32 v2, v5, v2, vcc
	v_ashrrev_i32_e32 v3, 31, v2
	v_lshl_add_u64 v[6:7], v[2:3], 2, s[6:7]
	v_or_b32_e32 v2, 16, v1
	v_add_u32_e32 v3, v2, v4
	v_ashrrev_i32_e32 v3, 5, v3
	v_cmp_gt_i32_e32 vcc, s27, v2
	s_nop 1
	v_cndmask_b32_e32 v2, v5, v3, vcc
	v_ashrrev_i32_e32 v3, 31, v2
	v_lshl_add_u64 v[8:9], v[2:3], 2, s[6:7]
	v_or_b32_e32 v2, 32, v1
	v_add_u32_e32 v3, v2, v4
	v_ashrrev_i32_e32 v3, 5, v3
	v_cmp_gt_i32_e32 vcc, s27, v2
	v_or_b32_e32 v1, 48, v1
	s_nop 0
	v_cndmask_b32_e32 v2, v5, v3, vcc
	v_ashrrev_i32_e32 v3, 31, v2
	v_lshl_add_u64 v[10:11], v[2:3], 2, s[6:7]
	v_add_u32_e32 v2, v1, v4
	v_ashrrev_i32_e32 v2, 5, v2
	v_cmp_gt_i32_e32 vcc, s27, v1
	s_nop 1
	v_cndmask_b32_e32 v2, v5, v2, vcc
	v_ashrrev_i32_e32 v3, 31, v2
	v_lshl_add_u64 v[12:13], v[2:3], 2, s[6:7]
	global_load_dword v5, v[6:7], off
	global_load_dword v4, v[8:9], off
	;; [unrolled: 1-line block ×4, first 2 shown]
	s_andn2_b64 vcc, exec, s[10:11]
	s_cbranch_vccnz .LBB698_8
; %bb.6:
	s_add_u32 s8, s8, s12
	s_addc_u32 s9, s9, s13
	s_load_dword s5, s[8:9], 0x0
	s_branch .LBB698_9
.LBB698_7:
	s_mov_b64 s[12:13], 0
	s_branch .LBB698_2
.LBB698_8:
	s_mov_b32 s5, s2
.LBB698_9:
	s_load_dwordx2 s[14:15], s[0:1], 0x8
	s_load_dwordx4 s[8:11], s[0:1], 0x48
	v_lshrrev_b32_e32 v88, 6, v0
	v_bfe_u32 v1, v0, 4, 2
	v_lshl_or_b32 v6, v88, 2, v1
	v_and_b32_e32 v84, 15, v0
	v_lshlrev_b32_e32 v82, 3, v84
	v_cmp_lt_u32_e32 vcc, 10, v6
	s_and_saveexec_b64 s[12:13], vcc
	s_xor_b64 s[12:13], exec, s[12:13]
; %bb.10:
	v_mov_b32_e32 v83, 0
                                        ; implicit-def: $vgpr6
; %bb.11:
	s_or_saveexec_b64 s[16:17], s[12:13]
	s_load_dwordx2 s[12:13], s[0:1], 0x10
	s_mul_i32 s40, s4, 11
	s_xor_b64 exec, exec, s[16:17]
	s_cbranch_execz .LBB698_13
; %bb.12:
	s_load_dwordx2 s[20:21], s[0:1], 0x0
	s_waitcnt lgkmcnt(0)
	s_ashr_i32 s11, s8, 31
	s_mul_hi_u32 s22, s5, s8
	s_mul_i32 s11, s5, s11
	s_add_i32 s23, s22, s11
	s_mul_i32 s22, s5, s8
	s_lshl_b64 s[22:23], s[22:23], 1
	s_add_u32 s20, s20, s22
	v_add_lshl_u32 v8, v6, s40, 7
	s_addc_u32 s21, s21, s23
	v_ashrrev_i32_e32 v9, 31, v8
	v_mov_b32_e32 v83, 0
	v_lshl_add_u64 v[8:9], v[8:9], 1, s[20:21]
	v_lshlrev_b32_e32 v10, 1, v82
	v_mov_b32_e32 v11, v83
	v_lshl_add_u64 v[8:9], v[8:9], 0, v[10:11]
	global_load_dwordx4 v[8:11], v[8:9], off
	v_and_b32_e32 v7, 3, v0
	v_lshlrev_b32_e32 v12, 9, v84
	v_lshlrev_b32_e32 v6, 5, v6
	;; [unrolled: 1-line block ×3, first 2 shown]
	v_and_b32_e32 v12, 0x1800, v12
	v_or3_b32 v6, v12, v7, v6
	s_waitcnt vmcnt(0)
	ds_write_b128 v6, v[8:11]
.LBB698_13:
	s_or_b64 exec, exec, s[16:17]
	s_waitcnt lgkmcnt(0)
	s_mul_i32 s4, s4, s10
	s_mov_b32 s5, 0
	s_lshl_b64 s[4:5], s[4:5], 1
	s_add_u32 s10, s14, s4
	s_addc_u32 s11, s15, s5
	s_waitcnt vmcnt(3)
	v_mad_i64_i32 v[6:7], s[14:15], v5, s9, 0
	v_lshl_add_u64 v[6:7], v[6:7], 1, s[10:11]
	v_lshlrev_b64 v[8:9], 1, v[82:83]
	v_lshlrev_b32_e32 v86, 9, v1
	v_lshl_add_u64 v[6:7], v[6:7], 0, v[8:9]
	v_mov_b32_e32 v87, 0
	v_lshl_add_u64 v[10:11], v[6:7], 0, v[86:87]
	v_or_b32_e32 v14, 0x1000, v86
	v_mov_b32_e32 v15, v87
	v_or_b32_e32 v16, 0x1800, v86
	v_mov_b32_e32 v17, v87
	s_barrier
	global_load_dwordx4 v[66:69], v[10:11], off
	global_load_dwordx4 v[62:65], v[10:11], off offset:2048
	v_lshl_add_u64 v[10:11], v[6:7], 0, v[14:15]
	v_lshl_add_u64 v[6:7], v[6:7], 0, v[16:17]
	global_load_dwordx4 v[78:81], v[10:11], off
	global_load_dwordx4 v[74:77], v[6:7], off
	s_waitcnt vmcnt(6)
	v_mad_i64_i32 v[4:5], s[14:15], v4, s9, 0
	v_mov_b32_e32 v6, 0x100
	v_lshl_add_u64 v[4:5], v[4:5], 1, s[10:11]
	v_lshl_or_b32 v6, v84, 4, v6
	v_mov_b32_e32 v7, v87
	v_lshl_add_u64 v[4:5], v[4:5], 0, v[6:7]
	v_lshl_add_u64 v[10:11], v[4:5], 0, v[86:87]
	global_load_dwordx4 v[70:73], v[10:11], off
	global_load_dwordx4 v[58:61], v[10:11], off offset:2048
	v_lshl_add_u64 v[10:11], v[4:5], 0, v[14:15]
	v_lshl_add_u64 v[4:5], v[4:5], 0, v[16:17]
	global_load_dwordx4 v[54:57], v[10:11], off
	global_load_dwordx4 v[30:33], v[4:5], off
	s_waitcnt vmcnt(9)
	v_mad_i64_i32 v[4:5], s[14:15], v3, s9, 0
	v_lshl_add_u64 v[4:5], v[4:5], 1, s[10:11]
	s_waitcnt vmcnt(8)
	v_mad_i64_i32 v[2:3], s[14:15], v2, s9, 0
	v_lshl_add_u64 v[4:5], v[4:5], 0, v[8:9]
	v_lshl_add_u64 v[2:3], v[2:3], 1, s[10:11]
	;; [unrolled: 1-line block ×4, first 2 shown]
	global_load_dwordx4 v[26:29], v[8:9], off
	global_load_dwordx4 v[22:25], v[8:9], off offset:2048
	v_lshl_add_u64 v[8:9], v[4:5], 0, v[14:15]
	v_lshl_add_u64 v[4:5], v[4:5], 0, v[16:17]
	;; [unrolled: 1-line block ×4, first 2 shown]
	global_load_dwordx4 v[18:21], v[8:9], off
	global_load_dwordx4 v[10:13], v[4:5], off
	s_nop 0
	global_load_dwordx4 v[6:9], v[2:3], off
	s_nop 0
	global_load_dwordx4 v[2:5], v[2:3], off offset:2048
	v_lshl_add_u64 v[16:17], v[34:35], 0, v[16:17]
	global_load_dwordx4 v[38:41], v[14:15], off
	global_load_dwordx4 v[34:37], v[16:17], off
	v_add_u32_e32 v14, -11, v84
	v_cmp_gt_u32_e32 vcc, 11, v84
	v_and_b32_e32 v85, 63, v0
	v_mov_b32_e32 v89, 0
	v_cndmask_b32_e32 v14, v14, v84, vcc
	v_lshl_add_u32 v42, v14, 5, v86
	ds_read_b128 v[14:17], v42
	ds_read_b128 v[50:53], v42 offset:2048
	ds_read_b128 v[46:49], v42 offset:4096
	;; [unrolled: 1-line block ×3, first 2 shown]
	s_and_saveexec_b64 s[10:11], vcc
	s_cbranch_execz .LBB698_15
; %bb.14:
	s_load_dwordx2 s[14:15], s[0:1], 0x40
	v_add_u32_e32 v90, s40, v84
	v_ashrrev_i32_e32 v91, 31, v90
	s_waitcnt lgkmcnt(0)
	v_lshl_add_u64 v[90:91], v[90:91], 2, s[14:15]
	global_load_dword v89, v[90:91], off
.LBB698_15:
	s_or_b64 exec, exec, s[10:11]
	s_waitcnt vmcnt(15) lgkmcnt(3)
	v_mfma_f32_16x16x16_bf16 v[90:93], v[66:67], v[14:15], 0
	s_ashr_i32 s8, s18, 31
	s_lshr_b32 s8, s8, 27
	s_add_u32 s4, s12, s4
	v_mfma_f32_16x16x16_bf16 v[66:69], v[68:69], v[16:17], v[90:93]
	s_addc_u32 s5, s13, s5
	s_mov_b32 s33, 0xff7fffff
	s_waitcnt vmcnt(14) lgkmcnt(2)
	v_mfma_f32_16x16x16_bf16 v[66:69], v[62:63], v[50:51], v[66:69]
	v_lshl_or_b32 v90, v88, 4, v84
	v_mfma_f32_16x16x16_bf16 v[62:65], v[64:65], v[52:53], v[66:69]
	s_waitcnt vmcnt(13) lgkmcnt(1)
	v_mfma_f32_16x16x16_bf16 v[62:65], v[78:79], v[46:47], v[62:65]
	v_mfma_f32_16x16x16_bf16 v[62:65], v[80:81], v[48:49], v[62:65]
	s_waitcnt vmcnt(12) lgkmcnt(0)
	v_mfma_f32_16x16x16_bf16 v[62:65], v[74:75], v[42:43], v[62:65]
	v_and_or_b32 v74, v0, 48, s18
	v_add_u32_e32 v66, s8, v74
	v_ashrrev_i32_e32 v75, 5, v66
	s_waitcnt vmcnt(11)
	v_mfma_f32_16x16x16_bf16 v[66:69], v[70:71], v[14:15], 0
	v_cmp_gt_i32_e32 vcc, s27, v74
	v_mfma_f32_16x16x16_bf16 v[66:69], v[72:73], v[16:17], v[66:69]
	v_or_b32_e32 v72, 64, v74
	v_add_u32_e32 v73, s8, v72
	s_waitcnt vmcnt(10)
	v_mfma_f32_16x16x16_bf16 v[66:69], v[58:59], v[50:51], v[66:69]
	v_ashrrev_i32_e32 v58, 5, v73
	v_mfma_f32_16x16x16_bf16 v[62:65], v[76:77], v[44:45], v[62:65]
	v_mov_b32_e32 v76, s19
	v_cndmask_b32_e32 v70, v76, v75, vcc
	v_cmp_gt_i32_e32 vcc, s27, v72
	v_ashrrev_i32_e32 v71, 31, v70
	v_lshl_add_u64 v[70:71], v[70:71], 2, s[6:7]
	v_cndmask_b32_e32 v72, v76, v58, vcc
	v_mfma_f32_16x16x16_bf16 v[58:61], v[60:61], v[52:53], v[66:69]
	v_ashrrev_i32_e32 v73, 31, v72
	s_waitcnt vmcnt(9)
	v_mfma_f32_16x16x16_bf16 v[58:61], v[54:55], v[46:47], v[58:61]
	v_lshl_add_u64 v[66:67], v[72:73], 2, s[6:7]
	global_load_dword v68, v[70:71], off
	s_nop 0
	global_load_dword v66, v[66:67], off
	v_or_b32_e32 v67, 0x80, v74
	v_add_u32_e32 v69, s8, v67
	v_mfma_f32_16x16x16_bf16 v[54:57], v[56:57], v[48:49], v[58:61]
	v_cmp_gt_i32_e32 vcc, s27, v67
	s_nop 1
	v_ashrrev_i32_e32 v58, 5, v69
	v_cndmask_b32_e32 v58, v76, v58, vcc
	v_ashrrev_i32_e32 v59, 31, v58
	s_waitcnt vmcnt(10)
	v_mfma_f32_16x16x16_bf16 v[54:57], v[30:31], v[42:43], v[54:57]
	v_lshl_add_u64 v[30:31], v[58:59], 2, s[6:7]
	global_load_dword v70, v[30:31], off
	v_mfma_f32_16x16x16_bf16 v[58:61], v[32:33], v[44:45], v[54:57]
	s_nop 3
	v_or_b32_e32 v54, 0xc0, v74
	v_add_u32_e32 v30, s8, v54
	v_ashrrev_i32_e32 v55, 5, v30
	v_cmp_gt_i32_e32 vcc, s27, v54
	s_waitcnt vmcnt(10)
	v_mfma_f32_16x16x16_bf16 v[30:33], v[26:27], v[14:15], 0
	v_cndmask_b32_e32 v26, v76, v55, vcc
	v_ashrrev_i32_e32 v27, 31, v26
	v_lshl_add_u64 v[54:55], v[26:27], 2, s[6:7]
	global_load_dword v71, v[54:55], off
	v_mfma_f32_16x16x16_bf16 v[26:29], v[28:29], v[16:17], v[30:33]
	s_load_dword s6, s[0:1], 0x1c
	s_waitcnt vmcnt(10)
	v_mfma_f32_16x16x16_bf16 v[26:29], v[22:23], v[50:51], v[26:29]
	v_and_b32_e32 v30, 16, v0
	v_lshlrev_b32_e32 v86, 1, v30
	v_lshl_add_u64 v[74:75], s[4:5], 0, v[86:87]
	v_mfma_f32_16x16x16_bf16 v[22:25], v[24:25], v[52:53], v[26:29]
	v_lshlrev_b32_e32 v86, 6, v90
	v_lshl_add_u64 v[76:77], v[74:75], 0, v[86:87]
	v_or_b32_e32 v86, 0x1000, v86
	s_waitcnt vmcnt(9)
	v_mfma_f32_16x16x16_bf16 v[22:25], v[18:19], v[46:47], v[22:25]
	v_lshl_add_u64 v[80:81], v[74:75], 0, v[86:87]
	s_waitcnt lgkmcnt(0)
	v_pk_mul_f32 v[74:75], s[6:7], v[60:61] op_sel_hi:[0,1]
	v_mfma_f32_16x16x16_bf16 v[18:21], v[20:21], v[48:49], v[22:25]
	s_waitcnt vmcnt(8)
	v_mfma_f32_16x16x16_bf16 v[18:21], v[10:11], v[42:43], v[18:21]
	s_waitcnt vmcnt(3)
	v_mad_i64_i32 v[22:23], s[4:5], v68, s9, 0
	s_waitcnt vmcnt(2)
	v_mad_i64_i32 v[10:11], s[4:5], v66, s9, 0
	v_lshlrev_b64 v[78:79], 1, v[22:23]
	v_lshlrev_b64 v[54:55], 1, v[10:11]
	v_lshl_add_u64 v[22:23], v[76:77], 0, v[78:79]
	v_lshl_add_u64 v[10:11], v[76:77], 0, v[54:55]
	global_load_dwordx4 v[30:33], v[22:23], off
	global_load_dwordx4 v[26:29], v[22:23], off offset:16
	v_mfma_f32_16x16x16_bf16 v[66:69], v[12:13], v[44:45], v[18:21]
	global_load_dwordx4 v[22:25], v[10:11], off
	s_nop 1
	global_load_dwordx4 v[18:21], v[10:11], off offset:16
	v_mfma_f32_16x16x16_bf16 v[10:13], v[6:7], v[14:15], 0
	s_waitcnt vmcnt(5)
	v_mad_i64_i32 v[6:7], s[4:5], v70, s9, 0
	v_lshlrev_b64 v[56:57], 1, v[6:7]
	v_mfma_f32_16x16x16_bf16 v[6:9], v[8:9], v[16:17], v[10:13]
	v_mfma_f32_16x16x16_bf16 v[6:9], v[2:3], v[50:51], v[6:9]
	s_nop 1
	v_lshl_add_u64 v[10:11], v[76:77], 0, v[56:57]
	global_load_dwordx4 v[14:17], v[10:11], off
	s_nop 0
	global_load_dwordx4 v[10:13], v[10:11], off offset:16
	s_waitcnt vmcnt(6)
	v_mad_i64_i32 v[2:3], s[4:5], v71, s9, 0
	v_mfma_f32_16x16x16_bf16 v[70:73], v[4:5], v[52:53], v[6:9]
	v_pk_mul_f32 v[52:53], s[6:7], v[62:63] op_sel_hi:[0,1]
	v_lshlrev_b64 v[50:51], 1, v[2:3]
	v_lshl_add_u64 v[2:3], v[76:77], 0, v[50:51]
	v_mfma_f32_16x16x16_bf16 v[70:73], v[38:39], v[46:47], v[70:73]
	v_lshl_add_u64 v[38:39], v[80:81], 0, v[78:79]
	v_pk_mul_f32 v[78:79], s[6:7], v[64:65] op_sel_hi:[0,1]
	v_pk_mul_f32 v[76:77], s[6:7], v[58:59] op_sel_hi:[0,1]
	v_mfma_f32_16x16x16_bf16 v[46:49], v[40:41], v[48:49], v[70:73]
	v_lshl_add_u64 v[50:51], v[80:81], 0, v[50:51]
	global_load_dwordx4 v[6:9], v[2:3], off
	s_nop 0
	global_load_dwordx4 v[2:5], v[2:3], off offset:16
	v_pk_mul_f32 v[70:71], s[6:7], v[68:69] op_sel_hi:[0,1]
	v_mfma_f32_16x16x16_bf16 v[40:43], v[34:35], v[42:43], v[46:49]
	v_pk_mul_f32 v[72:73], s[6:7], v[66:67] op_sel_hi:[0,1]
	v_mfma_f32_16x16x16_bf16 v[34:37], v[36:37], v[44:45], v[40:43]
	s_nop 6
	v_pk_mul_f32 v[68:69], s[6:7], v[34:35] op_sel_hi:[0,1]
	v_and_b32_e32 v34, 0xc0, v0
	v_add_u32_e32 v34, s18, v34
	v_lshl_or_b32 v34, v1, 2, v34
	v_or_b32_e32 v35, 1, v34
	v_pk_mul_f32 v[66:67], s[6:7], v[36:37] op_sel_hi:[0,1]
	v_subrev_u32_e32 v36, s27, v35
	v_add_u32_e32 v40, 1, v36
	v_add_u32_e32 v41, 2, v36
	v_cvt_f32_i32_e32 v37, v36
	v_cvt_f32_i32_e32 v40, v40
	;; [unrolled: 1-line block ×3, first 2 shown]
	v_add_u32_e32 v42, 3, v36
	v_fma_f32 v52, v89, v37, v52
	v_fmac_f32_e32 v53, v89, v40
	v_fma_f32 v78, v89, v41, v78
	v_add_u32_e32 v37, 16, v36
	v_add_u32_e32 v40, 17, v36
	;; [unrolled: 1-line block ×3, first 2 shown]
	v_cvt_f32_i32_e32 v42, v42
	v_cvt_f32_i32_e32 v37, v37
	;; [unrolled: 1-line block ×4, first 2 shown]
	v_fmac_f32_e32 v79, v89, v42
	v_add_u32_e32 v42, 19, v36
	v_fma_f32 v76, v89, v37, v76
	v_fmac_f32_e32 v77, v89, v40
	v_fma_f32 v74, v89, v41, v74
	v_add_u32_e32 v37, 32, v36
	v_add_u32_e32 v40, 33, v36
	;; [unrolled: 1-line block ×3, first 2 shown]
	v_cvt_f32_i32_e32 v42, v42
	v_cvt_f32_i32_e32 v37, v37
	;; [unrolled: 1-line block ×4, first 2 shown]
	v_fmac_f32_e32 v75, v89, v42
	v_add_u32_e32 v42, 35, v36
	v_fma_f32 v72, v89, v37, v72
	v_fmac_f32_e32 v73, v89, v40
	v_fma_f32 v70, v89, v41, v70
	v_add_u32_e32 v37, 48, v36
	v_add_u32_e32 v40, 49, v36
	;; [unrolled: 1-line block ×4, first 2 shown]
	v_cvt_f32_i32_e32 v36, v36
	v_cvt_f32_i32_e32 v37, v37
	;; [unrolled: 1-line block ×3, first 2 shown]
	v_cmp_gt_i32_e64 s[28:29], s27, v34
	v_fmac_f32_e32 v67, v89, v36
	v_mov_b32_e32 v36, 0xff7fffff
	v_cmp_gt_i32_e64 s[30:31], s27, v35
	v_fma_f32 v68, v89, v37, v68
	v_cndmask_b32_e64 v37, v36, v52, s[28:29]
	v_cndmask_b32_e64 v35, v36, v53, s[30:31]
	v_fmac_f32_e32 v69, v89, v40
	v_max3_f32 v35, v37, s33, v35
	v_or_b32_e32 v37, 2, v34
	v_or_b32_e32 v40, 3, v34
	v_cmp_gt_i32_e64 s[34:35], s27, v37
	v_cmp_gt_i32_e64 s[36:37], s27, v40
	v_cvt_f32_i32_e32 v42, v42
	v_cndmask_b32_e64 v37, v36, v78, s[34:35]
	v_cndmask_b32_e64 v40, v36, v79, s[36:37]
	v_max3_f32 v35, v35, v37, v40
	v_or_b32_e32 v37, 16, v34
	v_or_b32_e32 v40, 17, v34
	v_cmp_gt_i32_e64 s[22:23], s27, v37
	v_cmp_gt_i32_e64 s[24:25], s27, v40
	v_fmac_f32_e32 v71, v89, v42
	v_cndmask_b32_e64 v37, v36, v76, s[22:23]
	v_cndmask_b32_e64 v40, v36, v77, s[24:25]
	v_max3_f32 v35, v35, v37, v40
	v_or_b32_e32 v37, 18, v34
	v_or_b32_e32 v40, 19, v34
	v_cmp_gt_i32_e64 s[18:19], s27, v37
	v_cmp_gt_i32_e64 s[20:21], s27, v40
	v_cvt_f32_i32_e32 v41, v41
	v_cndmask_b32_e64 v37, v36, v74, s[18:19]
	v_cndmask_b32_e64 v40, v36, v75, s[20:21]
	v_max3_f32 v35, v35, v37, v40
	v_or_b32_e32 v37, 32, v34
	v_or_b32_e32 v40, 33, v34
	v_cmp_gt_i32_e64 s[14:15], s27, v37
	v_cmp_gt_i32_e64 s[16:17], s27, v40
	v_fma_f32 v66, v89, v41, v66
	v_cndmask_b32_e64 v37, v36, v72, s[14:15]
	v_cndmask_b32_e64 v40, v36, v73, s[16:17]
	v_max3_f32 v35, v35, v37, v40
	v_or_b32_e32 v37, 34, v34
	v_or_b32_e32 v40, 35, v34
	v_cmp_gt_i32_e64 s[10:11], s27, v37
	v_cmp_gt_i32_e64 s[12:13], s27, v40
	s_nop 0
	v_cndmask_b32_e64 v37, v36, v70, s[10:11]
	v_cndmask_b32_e64 v40, v36, v71, s[12:13]
	v_max3_f32 v35, v35, v37, v40
	v_or_b32_e32 v37, 48, v34
	v_or_b32_e32 v40, 49, v34
	v_cmp_gt_i32_e64 s[6:7], s27, v37
	v_cmp_gt_i32_e64 s[8:9], s27, v40
	s_nop 0
	v_cndmask_b32_e64 v37, v36, v68, s[6:7]
	v_cndmask_b32_e64 v40, v36, v69, s[8:9]
	v_max3_f32 v35, v35, v37, v40
	v_or_b32_e32 v37, 50, v34
	v_or_b32_e32 v34, 51, v34
	v_cmp_gt_i32_e32 vcc, s27, v37
	v_cmp_gt_i32_e64 s[4:5], s27, v34
	global_load_dwordx4 v[46:49], v[38:39], off
	s_nop 0
	global_load_dwordx4 v[38:41], v[38:39], off offset:16
	v_cndmask_b32_e32 v37, v36, v66, vcc
	v_cndmask_b32_e64 v34, v36, v67, s[4:5]
	v_max3_f32 v58, v35, v37, v34
	v_mbcnt_lo_u32_b32 v34, -1, 0
	v_mbcnt_hi_u32_b32 v59, -1, v34
	v_and_b32_e32 v34, 64, v59
	v_add_u32_e32 v60, 64, v34
	v_xor_b32_e32 v34, 32, v59
	v_cmp_lt_i32_e64 s[38:39], v34, v60
	s_nop 1
	v_cndmask_b32_e64 v34, v59, v34, s[38:39]
	v_lshlrev_b32_e32 v87, 2, v34
	ds_bpermute_b32 v61, v87, v58
	v_lshl_add_u64 v[34:35], v[80:81], 0, v[54:55]
	global_load_dwordx4 v[42:45], v[34:35], off
	s_nop 0
	global_load_dwordx4 v[34:37], v[34:35], off offset:16
	s_waitcnt lgkmcnt(0)
	v_max_f32_e32 v54, v61, v61
	v_max_f32_e32 v62, v58, v54
	v_xor_b32_e32 v54, 16, v59
	v_cmp_lt_i32_e64 s[38:39], v54, v60
	s_nop 1
	v_cndmask_b32_e64 v54, v59, v54, s[38:39]
	v_lshlrev_b32_e32 v89, 2, v54
	ds_bpermute_b32 v63, v89, v62
	v_lshl_add_u64 v[54:55], v[80:81], 0, v[56:57]
	global_load_dwordx4 v[58:61], v[54:55], off
	s_nop 0
	global_load_dwordx4 v[54:57], v[54:55], off offset:16
	s_waitcnt lgkmcnt(0)
	v_max_f32_e32 v63, v63, v63
	v_max_f32_e32 v86, v62, v63
	v_sub_f32_e32 v52, v52, v86
	v_mul_f32_e32 v52, 0x3fb8aa3b, v52
	v_exp_f32_e32 v80, v52
	v_sub_f32_e32 v52, v53, v86
	v_mul_f32_e32 v52, 0x3fb8aa3b, v52
	v_exp_f32_e32 v81, v52
	global_load_dwordx4 v[62:65], v[50:51], off
	s_nop 0
	global_load_dwordx4 v[50:53], v[50:51], off offset:16
	v_sub_f32_e32 v78, v78, v86
	v_mul_f32_e32 v78, 0x3fb8aa3b, v78
	v_sub_f32_e32 v79, v79, v86
	v_exp_f32_e32 v78, v78
	v_mul_f32_e32 v79, 0x3fb8aa3b, v79
	v_sub_f32_e32 v76, v76, v86
	v_exp_f32_e32 v79, v79
	v_mul_f32_e32 v76, 0x3fb8aa3b, v76
	v_sub_f32_e32 v77, v77, v86
	v_cndmask_b32_e64 v80, 0, v80, s[28:29]
	v_exp_f32_e32 v76, v76
	v_mul_f32_e32 v77, 0x3fb8aa3b, v77
	v_sub_f32_e32 v74, v74, v86
	v_add_f32_e32 v91, 0, v80
	v_cndmask_b32_e64 v81, 0, v81, s[30:31]
	v_exp_f32_e32 v77, v77
	v_mul_f32_e32 v74, 0x3fb8aa3b, v74
	v_sub_f32_e32 v75, v75, v86
	v_add_f32_e32 v91, v91, v81
	;; [unrolled: 5-line block ×10, first 2 shown]
	v_cndmask_b32_e64 v70, 0, v70, s[10:11]
	v_exp_f32_e32 v66, v66
	v_mul_f32_e32 v67, 0x3fb8aa3b, v67
	v_add_f32_e32 v91, v91, v70
	v_cndmask_b32_e64 v71, 0, v71, s[12:13]
	v_exp_f32_e32 v67, v67
	v_add_f32_e32 v91, v91, v71
	v_cndmask_b32_e64 v68, 0, v68, s[6:7]
	v_add_f32_e32 v91, v91, v68
	v_cndmask_b32_e64 v69, 0, v69, s[8:9]
	v_add_f32_e32 v91, v91, v69
	v_cndmask_b32_e32 v66, 0, v66, vcc
	v_add_f32_e32 v91, v91, v66
	v_cndmask_b32_e64 v67, 0, v67, s[4:5]
	v_add_f32_e32 v91, v91, v67
	ds_bpermute_b32 v87, v87, v91
	s_load_dword s7, s[0:1], 0x98
	v_cmp_gt_u32_e32 vcc, 16, v85
	s_waitcnt lgkmcnt(0)
	s_barrier
	v_add_f32_e32 v87, v91, v87
	ds_bpermute_b32 v89, v89, v87
	s_waitcnt lgkmcnt(0)
	s_and_saveexec_b64 s[4:5], vcc
	s_cbranch_execz .LBB698_17
; %bb.16:
	v_add_f32_e32 v85, v87, v89
	v_lshlrev_b32_e32 v87, 2, v90
	ds_write2st64_b32 v87, v86, v85 offset1:1
.LBB698_17:
	s_or_b64 exec, exec, s[4:5]
	v_lshlrev_b32_e32 v85, 2, v84
	s_load_dword s6, s[0:1], 0x94
	s_waitcnt lgkmcnt(0)
	s_barrier
	ds_read2_b32 v[90:91], v85 offset1:16
	ds_read2_b32 v[92:93], v85 offset0:32 offset1:48
	ds_read2_b32 v[94:95], v85 offset0:64 offset1:80
	s_movk_i32 s8, 0x7fff
	s_mov_b32 s9, 0x7060302
	s_waitcnt lgkmcnt(2)
	v_max3_f32 v86, v90, s33, v91
	s_waitcnt lgkmcnt(1)
	v_max3_f32 v86, v86, v92, v93
	v_sub_f32_e32 v87, v90, v86
	v_mul_f32_e32 v87, 0x3fb8aa3b, v87
	v_exp_f32_e32 v89, v87
	v_sub_f32_e32 v87, v91, v86
	v_mul_f32_e32 v87, 0x3fb8aa3b, v87
	v_exp_f32_e32 v88, v87
	v_sub_f32_e32 v87, v92, v86
	v_mul_f32_e32 v87, 0x3fb8aa3b, v87
	ds_read2_b32 v[90:91], v85 offset0:96 offset1:112
	v_sub_f32_e32 v85, v93, v86
	v_exp_f32_e32 v92, v87
	v_mul_f32_e32 v85, 0x3fb8aa3b, v85
	v_exp_f32_e32 v85, v85
	s_waitcnt lgkmcnt(1)
	v_fma_f32 v87, v89, v94, 0
	v_fmac_f32_e32 v87, v88, v95
	s_waitcnt lgkmcnt(0)
	v_fmac_f32_e32 v87, v92, v90
	v_fmac_f32_e32 v87, v85, v91
	v_add_f32_e32 v90, 0x358637bd, v87
	v_div_scale_f32 v91, s[4:5], v90, v90, 1.0
	v_rcp_f32_e32 v93, v91
	s_mul_i32 s7, s7, 11
	s_barrier
	v_fma_f32 v94, -v91, v93, 1.0
	v_fmac_f32_e32 v93, v94, v93
	v_div_scale_f32 v94, vcc, 1.0, v90, 1.0
	v_mul_f32_e32 v95, v94, v93
	v_fma_f32 v1, -v91, v95, v94
	v_fmac_f32_e32 v95, v1, v93
	v_fma_f32 v1, -v91, v95, v94
	v_lshrrev_b32_e32 v91, 6, v0
	v_div_fmas_f32 v1, v1, v93, v95
	v_cmp_eq_u32_e32 vcc, 1, v91
	v_div_fixup_f32 v1, v1, v90, 1.0
	s_nop 0
	v_cndmask_b32_e32 v88, v89, v88, vcc
	v_cmp_eq_u32_e32 vcc, 2, v91
	s_nop 1
	v_cndmask_b32_e32 v88, v88, v92, vcc
	v_cmp_eq_u32_e32 vcc, 3, v91
	s_nop 1
	v_cndmask_b32_e32 v85, v88, v85, vcc
	v_mul_f32_e32 v90, v85, v1
	v_pk_mul_f32 v[80:81], v[90:91], v[80:81] op_sel_hi:[0,1]
	v_bfe_u32 v1, v81, 16, 1
	v_bfe_u32 v85, v80, 16, 1
	v_pk_mul_f32 v[78:79], v[90:91], v[78:79] op_sel_hi:[0,1]
	v_add3_u32 v80, v80, v85, s8
	v_add3_u32 v1, v81, v1, s8
	v_perm_b32 v80, v1, v80, s9
	v_bfe_u32 v1, v79, 16, 1
	v_bfe_u32 v81, v78, 16, 1
	v_add3_u32 v78, v78, v81, s8
	v_add3_u32 v1, v79, v1, s8
	v_bfe_u32 v88, v0, 4, 2
	v_perm_b32 v81, v1, v78, s9
	v_lshlrev_b32_e32 v1, 3, v88
	v_lshlrev_b32_e32 v78, 5, v84
	;; [unrolled: 1-line block ×3, first 2 shown]
	v_pk_mul_f32 v[76:77], v[90:91], v[76:77] op_sel_hi:[0,1]
	v_or3_b32 v1, v79, v78, v1
	v_bfe_u32 v79, v77, 16, 1
	v_bfe_u32 v85, v76, 16, 1
	v_pk_mul_f32 v[74:75], v[90:91], v[74:75] op_sel_hi:[0,1]
	v_add3_u32 v76, v76, v85, s8
	v_add3_u32 v77, v77, v79, s8
	v_perm_b32 v76, v77, v76, s9
	v_bfe_u32 v77, v75, 16, 1
	v_bfe_u32 v79, v74, 16, 1
	v_add3_u32 v74, v74, v79, s8
	v_add3_u32 v75, v75, v77, s8
	v_pk_mul_f32 v[72:73], v[90:91], v[72:73] op_sel_hi:[0,1]
	v_perm_b32 v77, v75, v74, s9
	v_bfe_u32 v74, v73, 16, 1
	v_bfe_u32 v75, v72, 16, 1
	v_pk_mul_f32 v[70:71], v[90:91], v[70:71] op_sel_hi:[0,1]
	v_add3_u32 v72, v72, v75, s8
	v_add3_u32 v73, v73, v74, s8
	v_perm_b32 v72, v73, v72, s9
	v_bfe_u32 v73, v71, 16, 1
	v_bfe_u32 v74, v70, 16, 1
	v_add3_u32 v70, v70, v74, s8
	v_add3_u32 v71, v71, v73, s8
	v_pk_mul_f32 v[68:69], v[90:91], v[68:69] op_sel_hi:[0,1]
	v_perm_b32 v73, v71, v70, s9
	v_bfe_u32 v70, v69, 16, 1
	v_bfe_u32 v71, v68, 16, 1
	v_pk_mul_f32 v[66:67], v[90:91], v[66:67] op_sel_hi:[0,1]
	v_add3_u32 v68, v68, v71, s8
	v_add3_u32 v69, v69, v70, s8
	v_perm_b32 v68, v69, v68, s9
	v_bfe_u32 v69, v67, 16, 1
	v_bfe_u32 v70, v66, 16, 1
	v_add3_u32 v66, v66, v70, s8
	v_add3_u32 v67, v67, v69, s8
	v_perm_b32 v69, v67, v66, s9
	v_cmp_gt_u32_e32 vcc, 11, v0
	ds_write2st64_b64 v1, v[80:81], v[76:77] offset1:1
	ds_write2st64_b64 v1, v[72:73], v[68:69] offset0:2 offset1:3
	s_and_saveexec_b64 s[4:5], vcc
	s_cbranch_execz .LBB698_19
; %bb.18:
	s_mov_b32 s41, 0
	v_mov_b32_e32 v85, 0
	v_lshl_add_u64 v[66:67], s[40:41], 0, v[84:85]
	v_mov_b32_e32 v68, s7
	v_mad_u64_u32 v[66:67], s[10:11], s2, v68, v[66:67]
	s_mul_i32 s3, s3, s7
	v_mov_b32_e32 v68, s26
	v_mov_b32_e32 v69, v85
	s_load_dwordx4 s[12:15], s[0:1], 0x58
	v_add_u32_e32 v70, s3, v67
	v_mad_u64_u32 v[66:67], s[10:11], v66, s6, v[68:69]
	v_mov_b32_e32 v68, v67
	v_mad_u64_u32 v[68:69], s[10:11], v70, s6, v[68:69]
	v_mov_b32_e32 v67, v68
	v_lshlrev_b64 v[66:67], 2, v[66:67]
	s_waitcnt lgkmcnt(0)
	v_lshl_add_u64 v[68:69], s[14:15], 0, v[66:67]
	v_lshl_add_u64 v[66:67], s[12:13], 0, v[66:67]
	global_store_dword v[68:69], v86, off
	global_store_dword v[66:67], v87, off
.LBB698_19:
	s_or_b64 exec, exec, s[4:5]
	v_lshl_or_b32 v78, v88, 9, v78
	s_waitcnt lgkmcnt(0)
	s_barrier
	ds_read_b128 v[70:73], v78
	ds_read_b128 v[66:69], v78 offset:16
	s_waitcnt vmcnt(15) lgkmcnt(1)
	v_mfma_f32_16x16x16_bf16 v[74:77], v[30:31], v[70:71], 0
	s_mov_b32 s3, 0
	v_cmp_gt_u32_e32 vcc, 64, v0
	v_mfma_f32_16x16x16_bf16 v[30:33], v[32:33], v[72:73], v[74:77]
	s_waitcnt vmcnt(14) lgkmcnt(0)
	v_mfma_f32_16x16x16_bf16 v[30:33], v[26:27], v[66:67], v[30:33]
	v_mfma_f32_16x16x16_bf16 v[26:29], v[28:29], v[68:69], v[30:33]
	s_nop 5
	ds_read_b128 v[30:33], v78 offset:2048
	ds_read_b128 v[74:77], v78 offset:2064
	s_waitcnt vmcnt(13) lgkmcnt(1)
	v_mfma_f32_16x16x16_bf16 v[26:29], v[22:23], v[30:31], v[26:29]
	v_mfma_f32_16x16x16_bf16 v[22:25], v[24:25], v[32:33], v[26:29]
	s_waitcnt vmcnt(12) lgkmcnt(0)
	v_mfma_f32_16x16x16_bf16 v[22:25], v[18:19], v[74:75], v[22:25]
	v_mfma_f32_16x16x16_bf16 v[18:21], v[20:21], v[76:77], v[22:25]
	s_nop 5
	ds_read_b128 v[22:25], v78 offset:4096
	ds_read_b128 v[26:29], v78 offset:4112
	s_waitcnt vmcnt(11) lgkmcnt(1)
	v_mfma_f32_16x16x16_bf16 v[18:21], v[14:15], v[22:23], v[18:21]
	v_mfma_f32_16x16x16_bf16 v[14:17], v[16:17], v[24:25], v[18:21]
	s_waitcnt vmcnt(10) lgkmcnt(0)
	v_mfma_f32_16x16x16_bf16 v[14:17], v[10:11], v[26:27], v[14:17]
	v_mfma_f32_16x16x16_bf16 v[10:13], v[12:13], v[28:29], v[14:17]
	s_nop 5
	ds_read_b128 v[14:17], v78 offset:6144
	ds_read_b128 v[18:21], v78 offset:6160
	s_waitcnt lgkmcnt(0)
	s_barrier
	s_waitcnt vmcnt(9)
	v_mfma_f32_16x16x16_bf16 v[10:13], v[6:7], v[14:15], v[10:13]
	v_mfma_f32_16x16x16_bf16 v[6:9], v[8:9], v[16:17], v[10:13]
	s_waitcnt vmcnt(8)
	v_mfma_f32_16x16x16_bf16 v[6:9], v[2:3], v[18:19], v[6:9]
	v_mfma_f32_16x16x16_bf16 v[2:5], v[4:5], v[20:21], v[6:9]
	s_waitcnt vmcnt(7)
	v_mfma_f32_16x16x16_bf16 v[6:9], v[46:47], v[70:71], 0
	v_mfma_f32_16x16x16_bf16 v[6:9], v[48:49], v[72:73], v[6:9]
	s_nop 3
	v_bfe_u32 v10, v3, 16, 1
	v_bfe_u32 v11, v2, 16, 1
	v_add3_u32 v2, v2, v11, s8
	s_waitcnt vmcnt(6)
	v_mfma_f32_16x16x16_bf16 v[6:9], v[38:39], v[66:67], v[6:9]
	v_add3_u32 v3, v3, v10, s8
	v_perm_b32 v10, v3, v2, s9
	v_bfe_u32 v2, v5, 16, 1
	v_mfma_f32_16x16x16_bf16 v[6:9], v[40:41], v[68:69], v[6:9]
	v_bfe_u32 v3, v4, 16, 1
	v_add3_u32 v3, v4, v3, s8
	v_add3_u32 v2, v5, v2, s8
	s_waitcnt vmcnt(5)
	v_mfma_f32_16x16x16_bf16 v[6:9], v[42:43], v[30:31], v[6:9]
	v_perm_b32 v11, v2, v3, s9
	v_mfma_f32_16x16x16_bf16 v[6:9], v[44:45], v[32:33], v[6:9]
	s_waitcnt vmcnt(4)
	v_mfma_f32_16x16x16_bf16 v[6:9], v[34:35], v[74:75], v[6:9]
	v_mfma_f32_16x16x16_bf16 v[6:9], v[36:37], v[76:77], v[6:9]
	s_waitcnt vmcnt(3)
	v_mfma_f32_16x16x16_bf16 v[6:9], v[58:59], v[22:23], v[6:9]
	;; [unrolled: 3-line block ×5, first 2 shown]
	v_mfma_f32_16x16x16_bf16 v[2:5], v[52:53], v[20:21], v[6:9]
	s_nop 6
	v_bfe_u32 v6, v3, 16, 1
	v_bfe_u32 v7, v2, 16, 1
	v_add3_u32 v2, v2, v7, s8
	v_add3_u32 v3, v3, v6, s8
	v_perm_b32 v2, v3, v2, s9
	v_bfe_u32 v3, v5, 16, 1
	v_bfe_u32 v6, v4, 16, 1
	v_add3_u32 v4, v4, v6, s8
	v_add3_u32 v3, v5, v3, s8
	v_perm_b32 v3, v3, v4, s9
	ds_write2st64_b64 v1, v[10:11], v[2:3] offset1:1
	s_waitcnt lgkmcnt(0)
	s_barrier
	s_and_saveexec_b64 s[4:5], vcc
	s_cbranch_execz .LBB698_22
; %bb.20:
	s_load_dwordx2 s[4:5], s[0:1], 0x68
	s_lshl_b32 s0, s6, 7
	s_mul_i32 s1, s7, s2
	v_lshlrev_b32_e32 v3, 6, v84
	s_mul_hi_u32 s7, s1, s0
	s_mul_i32 s6, s1, s0
	v_lshlrev_b32_e32 v2, 4, v0
	v_lshl_or_b32 v0, v0, 10, v3
	s_lshl_b64 s[6:7], s[6:7], 1
	v_lshlrev_b32_e32 v1, 5, v88
	v_and_b32_e32 v2, 16, v2
	v_and_b32_e32 v0, 0x1a00, v0
	s_waitcnt lgkmcnt(0)
	s_add_u32 s1, s4, s6
	v_or3_b32 v2, v0, v1, v2
	s_addc_u32 s4, s5, s7
	s_lshl_b32 s2, s26, 7
	s_lshl_b64 s[2:3], s[2:3], 1
	ds_read_b128 v[4:7], v2 offset:128
	ds_read_b128 v[8:11], v2
	s_add_u32 s2, s1, s2
	s_addc_u32 s3, s4, s3
	v_add_u32_e32 v3, s40, v88
	v_lshl_add_u64 v[0:1], v[82:83], 1, s[2:3]
	v_mad_u64_u32 v[12:13], s[2:3], v3, s0, 0
	v_lshl_add_u64 v[12:13], v[12:13], 1, v[0:1]
	v_add_u32_e32 v3, 4, v3
	s_waitcnt lgkmcnt(0)
	global_store_dwordx4 v[12:13], v[8:11], off
	v_cmp_ne_u32_e32 vcc, 3, v88
	s_nop 0
	v_mad_u64_u32 v[8:9], s[2:3], v3, s0, 0
	v_lshl_add_u64 v[8:9], v[8:9], 1, v[0:1]
	global_store_dwordx4 v[8:9], v[4:7], off
	s_and_b64 exec, exec, vcc
	s_cbranch_execz .LBB698_22
; %bb.21:
	ds_read_b128 v[2:5], v2 offset:256
	v_add3_u32 v6, s40, v88, 8
	v_mad_u64_u32 v[6:7], s[0:1], v6, s0, 0
	v_lshl_add_u64 v[0:1], v[6:7], 1, v[0:1]
	s_waitcnt lgkmcnt(0)
	global_store_dwordx4 v[0:1], v[2:5], off
.LBB698_22:
	s_endpgm
	.section	.rodata,"a",@progbits
	.p2align	6, 0x0
	.amdhsa_kernel _Z39paged_attention_ll4mi_QKV_mfma16_kernelI14__hip_bfloat16S0_LN4vllm18Fp8KVCacheDataTypeE0EhLi32ELi128ELi256ELb1ELi11EEvPKT_PKT0_S8_ifPKiSA_SA_iPKfiiiPfSD_PS3_PT2_iSC_SC_
		.amdhsa_group_segment_fixed_size 8192
		.amdhsa_private_segment_fixed_size 0
		.amdhsa_kernarg_size 400
		.amdhsa_user_sgpr_count 2
		.amdhsa_user_sgpr_dispatch_ptr 0
		.amdhsa_user_sgpr_queue_ptr 0
		.amdhsa_user_sgpr_kernarg_segment_ptr 1
		.amdhsa_user_sgpr_dispatch_id 0
		.amdhsa_user_sgpr_kernarg_preload_length 0
		.amdhsa_user_sgpr_kernarg_preload_offset 0
		.amdhsa_user_sgpr_private_segment_size 0
		.amdhsa_uses_dynamic_stack 0
		.amdhsa_enable_private_segment 0
		.amdhsa_system_sgpr_workgroup_id_x 1
		.amdhsa_system_sgpr_workgroup_id_y 1
		.amdhsa_system_sgpr_workgroup_id_z 1
		.amdhsa_system_sgpr_workgroup_info 0
		.amdhsa_system_vgpr_workitem_id 0
		.amdhsa_next_free_vgpr 96
		.amdhsa_next_free_sgpr 42
		.amdhsa_accum_offset 96
		.amdhsa_reserve_vcc 1
		.amdhsa_float_round_mode_32 0
		.amdhsa_float_round_mode_16_64 0
		.amdhsa_float_denorm_mode_32 3
		.amdhsa_float_denorm_mode_16_64 3
		.amdhsa_dx10_clamp 1
		.amdhsa_ieee_mode 1
		.amdhsa_fp16_overflow 0
		.amdhsa_tg_split 0
		.amdhsa_exception_fp_ieee_invalid_op 0
		.amdhsa_exception_fp_denorm_src 0
		.amdhsa_exception_fp_ieee_div_zero 0
		.amdhsa_exception_fp_ieee_overflow 0
		.amdhsa_exception_fp_ieee_underflow 0
		.amdhsa_exception_fp_ieee_inexact 0
		.amdhsa_exception_int_div_zero 0
	.end_amdhsa_kernel
	.section	.text._Z39paged_attention_ll4mi_QKV_mfma16_kernelI14__hip_bfloat16S0_LN4vllm18Fp8KVCacheDataTypeE0EhLi32ELi128ELi256ELb1ELi11EEvPKT_PKT0_S8_ifPKiSA_SA_iPKfiiiPfSD_PS3_PT2_iSC_SC_,"axG",@progbits,_Z39paged_attention_ll4mi_QKV_mfma16_kernelI14__hip_bfloat16S0_LN4vllm18Fp8KVCacheDataTypeE0EhLi32ELi128ELi256ELb1ELi11EEvPKT_PKT0_S8_ifPKiSA_SA_iPKfiiiPfSD_PS3_PT2_iSC_SC_,comdat
.Lfunc_end698:
	.size	_Z39paged_attention_ll4mi_QKV_mfma16_kernelI14__hip_bfloat16S0_LN4vllm18Fp8KVCacheDataTypeE0EhLi32ELi128ELi256ELb1ELi11EEvPKT_PKT0_S8_ifPKiSA_SA_iPKfiiiPfSD_PS3_PT2_iSC_SC_, .Lfunc_end698-_Z39paged_attention_ll4mi_QKV_mfma16_kernelI14__hip_bfloat16S0_LN4vllm18Fp8KVCacheDataTypeE0EhLi32ELi128ELi256ELb1ELi11EEvPKT_PKT0_S8_ifPKiSA_SA_iPKfiiiPfSD_PS3_PT2_iSC_SC_
                                        ; -- End function
	.section	.AMDGPU.csdata,"",@progbits
; Kernel info:
; codeLenInByte = 5196
; NumSgprs: 48
; NumVgprs: 96
; NumAgprs: 0
; TotalNumVgprs: 96
; ScratchSize: 0
; MemoryBound: 0
; FloatMode: 240
; IeeeMode: 1
; LDSByteSize: 8192 bytes/workgroup (compile time only)
; SGPRBlocks: 5
; VGPRBlocks: 11
; NumSGPRsForWavesPerEU: 48
; NumVGPRsForWavesPerEU: 96
; AccumOffset: 96
; Occupancy: 5
; WaveLimiterHint : 1
; COMPUTE_PGM_RSRC2:SCRATCH_EN: 0
; COMPUTE_PGM_RSRC2:USER_SGPR: 2
; COMPUTE_PGM_RSRC2:TRAP_HANDLER: 0
; COMPUTE_PGM_RSRC2:TGID_X_EN: 1
; COMPUTE_PGM_RSRC2:TGID_Y_EN: 1
; COMPUTE_PGM_RSRC2:TGID_Z_EN: 1
; COMPUTE_PGM_RSRC2:TIDIG_COMP_CNT: 0
; COMPUTE_PGM_RSRC3_GFX90A:ACCUM_OFFSET: 23
; COMPUTE_PGM_RSRC3_GFX90A:TG_SPLIT: 0
	.section	.text._Z39paged_attention_ll4mi_QKV_mfma16_kernelI14__hip_bfloat16S0_LN4vllm18Fp8KVCacheDataTypeE0EhLi32ELi128ELi256ELb1ELi12EEvPKT_PKT0_S8_ifPKiSA_SA_iPKfiiiPfSD_PS3_PT2_iSC_SC_,"axG",@progbits,_Z39paged_attention_ll4mi_QKV_mfma16_kernelI14__hip_bfloat16S0_LN4vllm18Fp8KVCacheDataTypeE0EhLi32ELi128ELi256ELb1ELi12EEvPKT_PKT0_S8_ifPKiSA_SA_iPKfiiiPfSD_PS3_PT2_iSC_SC_,comdat
	.protected	_Z39paged_attention_ll4mi_QKV_mfma16_kernelI14__hip_bfloat16S0_LN4vllm18Fp8KVCacheDataTypeE0EhLi32ELi128ELi256ELb1ELi12EEvPKT_PKT0_S8_ifPKiSA_SA_iPKfiiiPfSD_PS3_PT2_iSC_SC_ ; -- Begin function _Z39paged_attention_ll4mi_QKV_mfma16_kernelI14__hip_bfloat16S0_LN4vllm18Fp8KVCacheDataTypeE0EhLi32ELi128ELi256ELb1ELi12EEvPKT_PKT0_S8_ifPKiSA_SA_iPKfiiiPfSD_PS3_PT2_iSC_SC_
	.globl	_Z39paged_attention_ll4mi_QKV_mfma16_kernelI14__hip_bfloat16S0_LN4vllm18Fp8KVCacheDataTypeE0EhLi32ELi128ELi256ELb1ELi12EEvPKT_PKT0_S8_ifPKiSA_SA_iPKfiiiPfSD_PS3_PT2_iSC_SC_
	.p2align	8
	.type	_Z39paged_attention_ll4mi_QKV_mfma16_kernelI14__hip_bfloat16S0_LN4vllm18Fp8KVCacheDataTypeE0EhLi32ELi128ELi256ELb1ELi12EEvPKT_PKT0_S8_ifPKiSA_SA_iPKfiiiPfSD_PS3_PT2_iSC_SC_,@function
_Z39paged_attention_ll4mi_QKV_mfma16_kernelI14__hip_bfloat16S0_LN4vllm18Fp8KVCacheDataTypeE0EhLi32ELi128ELi256ELb1ELi12EEvPKT_PKT0_S8_ifPKiSA_SA_iPKfiiiPfSD_PS3_PT2_iSC_SC_: ; @_Z39paged_attention_ll4mi_QKV_mfma16_kernelI14__hip_bfloat16S0_LN4vllm18Fp8KVCacheDataTypeE0EhLi32ELi128ELi256ELb1ELi12EEvPKT_PKT0_S8_ifPKiSA_SA_iPKfiiiPfSD_PS3_PT2_iSC_SC_
; %bb.0:
	s_load_dwordx2 s[8:9], s[0:1], 0x30
	s_mov_b32 s26, s3
	s_mov_b64 s[6:7], 0
	s_waitcnt lgkmcnt(0)
	s_cmp_lg_u64 s[8:9], 0
	s_cselect_b64 s[10:11], -1, 0
	s_and_b64 vcc, exec, s[10:11]
	s_cbranch_vccz .LBB699_7
; %bb.1:
	s_add_i32 s12, s2, 1
	s_mov_b32 s13, 0
	s_lshl_b64 s[14:15], s[12:13], 2
	s_add_u32 s14, s8, s14
	s_mov_b32 s3, s13
	s_addc_u32 s15, s9, s15
	s_lshl_b64 s[12:13], s[2:3], 2
	s_add_u32 s12, s8, s12
	s_addc_u32 s13, s9, s13
	s_load_dword s5, s[14:15], 0x0
	s_load_dword s16, s[12:13], 0x0
	s_waitcnt lgkmcnt(0)
	s_sub_i32 s5, s5, s16
	s_cmp_eq_u32 s5, 1
	s_cselect_b64 s[12:13], -1, 0
	s_andn2_b64 vcc, exec, s[6:7]
	s_cbranch_vccnz .LBB699_3
.LBB699_2:
	s_mov_b32 s3, 0
	s_mov_b64 s[12:13], -1
.LBB699_3:
	s_andn2_b64 vcc, exec, s[12:13]
	s_cbranch_vccnz .LBB699_21
; %bb.4:
	s_load_dwordx2 s[6:7], s[0:1], 0x28
	s_lshl_b64 s[12:13], s[2:3], 2
	s_waitcnt lgkmcnt(0)
	s_add_u32 s6, s6, s12
	s_addc_u32 s7, s7, s13
	s_load_dword s27, s[6:7], 0x0
	s_lshl_b32 s18, s26, 8
	s_waitcnt lgkmcnt(0)
	s_cmp_ge_i32 s18, s27
	s_cbranch_scc1 .LBB699_21
; %bb.5:
	s_load_dwordx2 s[6:7], s[0:1], 0x20
	s_load_dword s5, s[0:1], 0x38
	s_add_i32 s14, s27, 31
	s_ashr_i32 s15, s14, 31
	v_and_b32_e32 v1, 0xcf, v0
	s_lshr_b32 s15, s15, 27
	v_add_u32_e32 v1, s18, v1
	s_add_i32 s14, s14, s15
	v_ashrrev_i32_e32 v2, 31, v1
	s_ashr_i32 s19, s14, 5
	v_lshrrev_b32_e32 v4, 27, v2
	s_add_i32 s19, s19, -1
	s_waitcnt lgkmcnt(0)
	s_mul_i32 s14, s2, s5
	s_mov_b32 s15, 0
	v_add_u32_e32 v2, v1, v4
	s_lshl_b64 s[14:15], s[14:15], 2
	v_ashrrev_i32_e32 v2, 5, v2
	v_mov_b32_e32 v5, s19
	v_cmp_gt_i32_e32 vcc, s27, v1
	s_add_u32 s6, s6, s14
	s_addc_u32 s7, s7, s15
	v_cndmask_b32_e32 v2, v5, v2, vcc
	v_ashrrev_i32_e32 v3, 31, v2
	v_lshl_add_u64 v[6:7], v[2:3], 2, s[6:7]
	v_or_b32_e32 v2, 16, v1
	v_add_u32_e32 v3, v2, v4
	v_ashrrev_i32_e32 v3, 5, v3
	v_cmp_gt_i32_e32 vcc, s27, v2
	s_nop 1
	v_cndmask_b32_e32 v2, v5, v3, vcc
	v_ashrrev_i32_e32 v3, 31, v2
	v_lshl_add_u64 v[8:9], v[2:3], 2, s[6:7]
	v_or_b32_e32 v2, 32, v1
	v_add_u32_e32 v3, v2, v4
	v_ashrrev_i32_e32 v3, 5, v3
	v_cmp_gt_i32_e32 vcc, s27, v2
	v_or_b32_e32 v1, 48, v1
	s_nop 0
	v_cndmask_b32_e32 v2, v5, v3, vcc
	v_ashrrev_i32_e32 v3, 31, v2
	v_lshl_add_u64 v[10:11], v[2:3], 2, s[6:7]
	v_add_u32_e32 v2, v1, v4
	v_ashrrev_i32_e32 v2, 5, v2
	v_cmp_gt_i32_e32 vcc, s27, v1
	s_nop 1
	v_cndmask_b32_e32 v2, v5, v2, vcc
	v_ashrrev_i32_e32 v3, 31, v2
	v_lshl_add_u64 v[12:13], v[2:3], 2, s[6:7]
	global_load_dword v5, v[6:7], off
	global_load_dword v4, v[8:9], off
	;; [unrolled: 1-line block ×4, first 2 shown]
	s_andn2_b64 vcc, exec, s[10:11]
	s_cbranch_vccnz .LBB699_8
; %bb.6:
	s_add_u32 s8, s8, s12
	s_addc_u32 s9, s9, s13
	s_load_dword s5, s[8:9], 0x0
	s_branch .LBB699_9
.LBB699_7:
	s_mov_b64 s[12:13], 0
	s_branch .LBB699_2
.LBB699_8:
	s_mov_b32 s5, s2
.LBB699_9:
	s_load_dwordx2 s[14:15], s[0:1], 0x8
	s_load_dwordx4 s[8:11], s[0:1], 0x48
	v_and_b32_e32 v84, 15, v0
	s_waitcnt lgkmcnt(0)
	s_movk_i32 s11, 0xbf
	v_lshlrev_b32_e32 v82, 3, v84
	v_cmp_lt_u32_e32 vcc, s11, v0
	s_and_saveexec_b64 s[12:13], vcc
	s_xor_b64 s[12:13], exec, s[12:13]
; %bb.10:
	v_mov_b32_e32 v83, 0
; %bb.11:
	s_or_saveexec_b64 s[16:17], s[12:13]
	s_load_dwordx2 s[12:13], s[0:1], 0x10
	v_lshrrev_b32_e32 v85, 6, v0
	v_bfe_u32 v1, v0, 4, 2
	s_mul_i32 s40, s4, 12
	s_xor_b64 exec, exec, s[16:17]
	s_cbranch_execz .LBB699_13
; %bb.12:
	s_load_dwordx2 s[20:21], s[0:1], 0x0
	s_ashr_i32 s11, s8, 31
	s_mul_hi_u32 s22, s5, s8
	s_mul_i32 s11, s5, s11
	s_add_i32 s23, s22, s11
	s_mul_i32 s22, s5, s8
	v_lshl_or_b32 v10, v85, 2, v1
	s_lshl_b64 s[22:23], s[22:23], 1
	s_waitcnt lgkmcnt(0)
	s_add_u32 s20, s20, s22
	v_add_lshl_u32 v6, v10, s40, 7
	s_addc_u32 s21, s21, s23
	v_ashrrev_i32_e32 v7, 31, v6
	v_mov_b32_e32 v83, 0
	v_lshl_add_u64 v[6:7], v[6:7], 1, s[20:21]
	v_lshlrev_b32_e32 v8, 1, v82
	v_mov_b32_e32 v9, v83
	v_lshl_add_u64 v[6:7], v[6:7], 0, v[8:9]
	global_load_dwordx4 v[6:9], v[6:7], off
	v_and_b32_e32 v11, 3, v0
	v_lshlrev_b32_e32 v12, 9, v84
	v_lshlrev_b32_e32 v10, 5, v10
	;; [unrolled: 1-line block ×3, first 2 shown]
	v_and_b32_e32 v12, 0x1800, v12
	v_or3_b32 v10, v12, v11, v10
	s_waitcnt vmcnt(0)
	ds_write_b128 v10, v[6:9]
.LBB699_13:
	s_or_b64 exec, exec, s[16:17]
	s_mul_i32 s4, s4, s10
	s_mov_b32 s5, 0
	s_lshl_b64 s[4:5], s[4:5], 1
	s_add_u32 s10, s14, s4
	s_addc_u32 s11, s15, s5
	s_waitcnt vmcnt(3)
	v_mad_i64_i32 v[6:7], s[14:15], v5, s9, 0
	v_lshl_add_u64 v[6:7], v[6:7], 1, s[10:11]
	v_lshlrev_b64 v[8:9], 1, v[82:83]
	v_lshlrev_b32_e32 v86, 9, v1
	v_lshl_add_u64 v[6:7], v[6:7], 0, v[8:9]
	v_mov_b32_e32 v87, 0
	v_lshl_add_u64 v[10:11], v[6:7], 0, v[86:87]
	v_or_b32_e32 v14, 0x1000, v86
	v_mov_b32_e32 v15, v87
	v_or_b32_e32 v16, 0x1800, v86
	v_mov_b32_e32 v17, v87
	s_waitcnt lgkmcnt(0)
	s_barrier
	global_load_dwordx4 v[66:69], v[10:11], off
	global_load_dwordx4 v[62:65], v[10:11], off offset:2048
	v_lshl_add_u64 v[10:11], v[6:7], 0, v[14:15]
	v_lshl_add_u64 v[6:7], v[6:7], 0, v[16:17]
	global_load_dwordx4 v[78:81], v[10:11], off
	global_load_dwordx4 v[74:77], v[6:7], off
	s_waitcnt vmcnt(6)
	v_mad_i64_i32 v[4:5], s[14:15], v4, s9, 0
	v_mov_b32_e32 v6, 0x100
	v_lshl_add_u64 v[4:5], v[4:5], 1, s[10:11]
	v_lshl_or_b32 v6, v84, 4, v6
	v_mov_b32_e32 v7, v87
	v_lshl_add_u64 v[4:5], v[4:5], 0, v[6:7]
	v_lshl_add_u64 v[10:11], v[4:5], 0, v[86:87]
	global_load_dwordx4 v[70:73], v[10:11], off
	global_load_dwordx4 v[58:61], v[10:11], off offset:2048
	v_lshl_add_u64 v[10:11], v[4:5], 0, v[14:15]
	v_lshl_add_u64 v[4:5], v[4:5], 0, v[16:17]
	global_load_dwordx4 v[54:57], v[10:11], off
	global_load_dwordx4 v[30:33], v[4:5], off
	s_waitcnt vmcnt(9)
	v_mad_i64_i32 v[4:5], s[14:15], v3, s9, 0
	v_lshl_add_u64 v[4:5], v[4:5], 1, s[10:11]
	s_waitcnt vmcnt(8)
	v_mad_i64_i32 v[2:3], s[14:15], v2, s9, 0
	v_lshl_add_u64 v[4:5], v[4:5], 0, v[8:9]
	v_lshl_add_u64 v[2:3], v[2:3], 1, s[10:11]
	;; [unrolled: 1-line block ×4, first 2 shown]
	global_load_dwordx4 v[26:29], v[8:9], off
	global_load_dwordx4 v[22:25], v[8:9], off offset:2048
	v_lshl_add_u64 v[8:9], v[4:5], 0, v[14:15]
	v_lshl_add_u64 v[4:5], v[4:5], 0, v[16:17]
	;; [unrolled: 1-line block ×4, first 2 shown]
	global_load_dwordx4 v[18:21], v[8:9], off
	global_load_dwordx4 v[10:13], v[4:5], off
	s_nop 0
	global_load_dwordx4 v[6:9], v[2:3], off
	s_nop 0
	global_load_dwordx4 v[2:5], v[2:3], off offset:2048
	v_lshl_add_u64 v[16:17], v[34:35], 0, v[16:17]
	global_load_dwordx4 v[38:41], v[14:15], off
	global_load_dwordx4 v[34:37], v[16:17], off
	v_add_u32_e32 v14, -12, v84
	v_cmp_gt_u32_e32 vcc, 12, v84
	v_and_b32_e32 v88, 63, v0
	v_mov_b32_e32 v89, 0
	v_cndmask_b32_e32 v14, v14, v84, vcc
	v_lshl_add_u32 v42, v14, 5, v86
	ds_read_b128 v[14:17], v42
	ds_read_b128 v[50:53], v42 offset:2048
	ds_read_b128 v[46:49], v42 offset:4096
	;; [unrolled: 1-line block ×3, first 2 shown]
	s_and_saveexec_b64 s[10:11], vcc
	s_cbranch_execz .LBB699_15
; %bb.14:
	s_load_dwordx2 s[14:15], s[0:1], 0x40
	v_add_u32_e32 v90, s40, v84
	v_ashrrev_i32_e32 v91, 31, v90
	s_waitcnt lgkmcnt(0)
	v_lshl_add_u64 v[90:91], v[90:91], 2, s[14:15]
	global_load_dword v89, v[90:91], off
.LBB699_15:
	s_or_b64 exec, exec, s[10:11]
	s_waitcnt vmcnt(15) lgkmcnt(3)
	v_mfma_f32_16x16x16_bf16 v[90:93], v[66:67], v[14:15], 0
	s_ashr_i32 s8, s18, 31
	s_lshr_b32 s8, s8, 27
	s_add_u32 s4, s12, s4
	v_mfma_f32_16x16x16_bf16 v[66:69], v[68:69], v[16:17], v[90:93]
	s_addc_u32 s5, s13, s5
	s_mov_b32 s33, 0xff7fffff
	s_waitcnt vmcnt(14) lgkmcnt(2)
	v_mfma_f32_16x16x16_bf16 v[66:69], v[62:63], v[50:51], v[66:69]
	v_lshl_or_b32 v90, v85, 4, v84
	v_mfma_f32_16x16x16_bf16 v[62:65], v[64:65], v[52:53], v[66:69]
	s_waitcnt vmcnt(13) lgkmcnt(1)
	v_mfma_f32_16x16x16_bf16 v[62:65], v[78:79], v[46:47], v[62:65]
	v_mfma_f32_16x16x16_bf16 v[62:65], v[80:81], v[48:49], v[62:65]
	s_waitcnt vmcnt(12) lgkmcnt(0)
	v_mfma_f32_16x16x16_bf16 v[62:65], v[74:75], v[42:43], v[62:65]
	v_and_or_b32 v74, v0, 48, s18
	v_add_u32_e32 v66, s8, v74
	v_ashrrev_i32_e32 v75, 5, v66
	s_waitcnt vmcnt(11)
	v_mfma_f32_16x16x16_bf16 v[66:69], v[70:71], v[14:15], 0
	v_cmp_gt_i32_e32 vcc, s27, v74
	v_mfma_f32_16x16x16_bf16 v[66:69], v[72:73], v[16:17], v[66:69]
	v_or_b32_e32 v72, 64, v74
	v_add_u32_e32 v73, s8, v72
	s_waitcnt vmcnt(10)
	v_mfma_f32_16x16x16_bf16 v[66:69], v[58:59], v[50:51], v[66:69]
	v_ashrrev_i32_e32 v58, 5, v73
	v_mfma_f32_16x16x16_bf16 v[62:65], v[76:77], v[44:45], v[62:65]
	v_mov_b32_e32 v76, s19
	v_cndmask_b32_e32 v70, v76, v75, vcc
	v_cmp_gt_i32_e32 vcc, s27, v72
	v_ashrrev_i32_e32 v71, 31, v70
	v_lshl_add_u64 v[70:71], v[70:71], 2, s[6:7]
	v_cndmask_b32_e32 v72, v76, v58, vcc
	v_mfma_f32_16x16x16_bf16 v[58:61], v[60:61], v[52:53], v[66:69]
	v_ashrrev_i32_e32 v73, 31, v72
	s_waitcnt vmcnt(9)
	v_mfma_f32_16x16x16_bf16 v[58:61], v[54:55], v[46:47], v[58:61]
	v_lshl_add_u64 v[66:67], v[72:73], 2, s[6:7]
	global_load_dword v68, v[70:71], off
	s_nop 0
	global_load_dword v66, v[66:67], off
	v_or_b32_e32 v67, 0x80, v74
	v_add_u32_e32 v69, s8, v67
	v_mfma_f32_16x16x16_bf16 v[54:57], v[56:57], v[48:49], v[58:61]
	v_cmp_gt_i32_e32 vcc, s27, v67
	s_nop 1
	v_ashrrev_i32_e32 v58, 5, v69
	v_cndmask_b32_e32 v58, v76, v58, vcc
	v_ashrrev_i32_e32 v59, 31, v58
	s_waitcnt vmcnt(10)
	v_mfma_f32_16x16x16_bf16 v[54:57], v[30:31], v[42:43], v[54:57]
	v_lshl_add_u64 v[30:31], v[58:59], 2, s[6:7]
	global_load_dword v70, v[30:31], off
	v_mfma_f32_16x16x16_bf16 v[58:61], v[32:33], v[44:45], v[54:57]
	s_nop 3
	v_or_b32_e32 v54, 0xc0, v74
	v_add_u32_e32 v30, s8, v54
	v_ashrrev_i32_e32 v55, 5, v30
	v_cmp_gt_i32_e32 vcc, s27, v54
	s_waitcnt vmcnt(10)
	v_mfma_f32_16x16x16_bf16 v[30:33], v[26:27], v[14:15], 0
	v_cndmask_b32_e32 v26, v76, v55, vcc
	v_ashrrev_i32_e32 v27, 31, v26
	v_lshl_add_u64 v[54:55], v[26:27], 2, s[6:7]
	global_load_dword v71, v[54:55], off
	v_mfma_f32_16x16x16_bf16 v[26:29], v[28:29], v[16:17], v[30:33]
	s_load_dword s6, s[0:1], 0x1c
	s_waitcnt vmcnt(10)
	v_mfma_f32_16x16x16_bf16 v[26:29], v[22:23], v[50:51], v[26:29]
	v_and_b32_e32 v30, 16, v0
	v_lshlrev_b32_e32 v86, 1, v30
	v_lshl_add_u64 v[74:75], s[4:5], 0, v[86:87]
	v_mfma_f32_16x16x16_bf16 v[22:25], v[24:25], v[52:53], v[26:29]
	v_lshlrev_b32_e32 v86, 6, v90
	v_lshl_add_u64 v[76:77], v[74:75], 0, v[86:87]
	v_or_b32_e32 v86, 0x1000, v86
	s_waitcnt vmcnt(9)
	v_mfma_f32_16x16x16_bf16 v[22:25], v[18:19], v[46:47], v[22:25]
	v_lshl_add_u64 v[80:81], v[74:75], 0, v[86:87]
	s_waitcnt lgkmcnt(0)
	v_pk_mul_f32 v[74:75], s[6:7], v[60:61] op_sel_hi:[0,1]
	v_mfma_f32_16x16x16_bf16 v[18:21], v[20:21], v[48:49], v[22:25]
	s_waitcnt vmcnt(8)
	v_mfma_f32_16x16x16_bf16 v[18:21], v[10:11], v[42:43], v[18:21]
	s_waitcnt vmcnt(3)
	v_mad_i64_i32 v[22:23], s[4:5], v68, s9, 0
	s_waitcnt vmcnt(2)
	v_mad_i64_i32 v[10:11], s[4:5], v66, s9, 0
	v_lshlrev_b64 v[78:79], 1, v[22:23]
	v_lshlrev_b64 v[54:55], 1, v[10:11]
	v_lshl_add_u64 v[22:23], v[76:77], 0, v[78:79]
	v_lshl_add_u64 v[10:11], v[76:77], 0, v[54:55]
	global_load_dwordx4 v[30:33], v[22:23], off
	global_load_dwordx4 v[26:29], v[22:23], off offset:16
	v_mfma_f32_16x16x16_bf16 v[66:69], v[12:13], v[44:45], v[18:21]
	global_load_dwordx4 v[22:25], v[10:11], off
	s_nop 1
	global_load_dwordx4 v[18:21], v[10:11], off offset:16
	v_mfma_f32_16x16x16_bf16 v[10:13], v[6:7], v[14:15], 0
	s_waitcnt vmcnt(5)
	v_mad_i64_i32 v[6:7], s[4:5], v70, s9, 0
	v_lshlrev_b64 v[56:57], 1, v[6:7]
	v_mfma_f32_16x16x16_bf16 v[6:9], v[8:9], v[16:17], v[10:13]
	v_mfma_f32_16x16x16_bf16 v[6:9], v[2:3], v[50:51], v[6:9]
	s_nop 1
	v_lshl_add_u64 v[10:11], v[76:77], 0, v[56:57]
	global_load_dwordx4 v[14:17], v[10:11], off
	s_nop 0
	global_load_dwordx4 v[10:13], v[10:11], off offset:16
	s_waitcnt vmcnt(6)
	v_mad_i64_i32 v[2:3], s[4:5], v71, s9, 0
	v_mfma_f32_16x16x16_bf16 v[70:73], v[4:5], v[52:53], v[6:9]
	v_pk_mul_f32 v[52:53], s[6:7], v[62:63] op_sel_hi:[0,1]
	v_lshlrev_b64 v[50:51], 1, v[2:3]
	v_lshl_add_u64 v[2:3], v[76:77], 0, v[50:51]
	v_mfma_f32_16x16x16_bf16 v[70:73], v[38:39], v[46:47], v[70:73]
	v_lshl_add_u64 v[38:39], v[80:81], 0, v[78:79]
	v_pk_mul_f32 v[78:79], s[6:7], v[64:65] op_sel_hi:[0,1]
	v_pk_mul_f32 v[76:77], s[6:7], v[58:59] op_sel_hi:[0,1]
	v_mfma_f32_16x16x16_bf16 v[46:49], v[40:41], v[48:49], v[70:73]
	v_lshl_add_u64 v[50:51], v[80:81], 0, v[50:51]
	global_load_dwordx4 v[6:9], v[2:3], off
	s_nop 0
	global_load_dwordx4 v[2:5], v[2:3], off offset:16
	v_pk_mul_f32 v[70:71], s[6:7], v[68:69] op_sel_hi:[0,1]
	v_mfma_f32_16x16x16_bf16 v[40:43], v[34:35], v[42:43], v[46:49]
	v_pk_mul_f32 v[72:73], s[6:7], v[66:67] op_sel_hi:[0,1]
	v_mfma_f32_16x16x16_bf16 v[34:37], v[36:37], v[44:45], v[40:43]
	s_nop 6
	v_pk_mul_f32 v[68:69], s[6:7], v[34:35] op_sel_hi:[0,1]
	v_and_b32_e32 v34, 0xc0, v0
	v_add_u32_e32 v34, s18, v34
	v_lshl_or_b32 v34, v1, 2, v34
	v_or_b32_e32 v35, 1, v34
	v_pk_mul_f32 v[66:67], s[6:7], v[36:37] op_sel_hi:[0,1]
	v_subrev_u32_e32 v36, s27, v35
	v_add_u32_e32 v40, 1, v36
	v_add_u32_e32 v41, 2, v36
	v_cvt_f32_i32_e32 v37, v36
	v_cvt_f32_i32_e32 v40, v40
	;; [unrolled: 1-line block ×3, first 2 shown]
	v_add_u32_e32 v42, 3, v36
	v_fma_f32 v52, v89, v37, v52
	v_fmac_f32_e32 v53, v89, v40
	v_fma_f32 v78, v89, v41, v78
	v_add_u32_e32 v37, 16, v36
	v_add_u32_e32 v40, 17, v36
	;; [unrolled: 1-line block ×3, first 2 shown]
	v_cvt_f32_i32_e32 v42, v42
	v_cvt_f32_i32_e32 v37, v37
	;; [unrolled: 1-line block ×4, first 2 shown]
	v_fmac_f32_e32 v79, v89, v42
	v_add_u32_e32 v42, 19, v36
	v_fma_f32 v76, v89, v37, v76
	v_fmac_f32_e32 v77, v89, v40
	v_fma_f32 v74, v89, v41, v74
	v_add_u32_e32 v37, 32, v36
	v_add_u32_e32 v40, 33, v36
	;; [unrolled: 1-line block ×3, first 2 shown]
	v_cvt_f32_i32_e32 v42, v42
	v_cvt_f32_i32_e32 v37, v37
	;; [unrolled: 1-line block ×4, first 2 shown]
	v_fmac_f32_e32 v75, v89, v42
	v_add_u32_e32 v42, 35, v36
	v_fma_f32 v72, v89, v37, v72
	v_fmac_f32_e32 v73, v89, v40
	v_fma_f32 v70, v89, v41, v70
	v_add_u32_e32 v37, 48, v36
	v_add_u32_e32 v40, 49, v36
	;; [unrolled: 1-line block ×4, first 2 shown]
	v_cvt_f32_i32_e32 v36, v36
	v_cvt_f32_i32_e32 v37, v37
	;; [unrolled: 1-line block ×3, first 2 shown]
	v_cmp_gt_i32_e64 s[28:29], s27, v34
	v_fmac_f32_e32 v67, v89, v36
	v_mov_b32_e32 v36, 0xff7fffff
	v_cmp_gt_i32_e64 s[30:31], s27, v35
	v_fma_f32 v68, v89, v37, v68
	v_cndmask_b32_e64 v37, v36, v52, s[28:29]
	v_cndmask_b32_e64 v35, v36, v53, s[30:31]
	v_fmac_f32_e32 v69, v89, v40
	v_max3_f32 v35, v37, s33, v35
	v_or_b32_e32 v37, 2, v34
	v_or_b32_e32 v40, 3, v34
	v_cmp_gt_i32_e64 s[34:35], s27, v37
	v_cmp_gt_i32_e64 s[36:37], s27, v40
	v_cvt_f32_i32_e32 v42, v42
	v_cndmask_b32_e64 v37, v36, v78, s[34:35]
	v_cndmask_b32_e64 v40, v36, v79, s[36:37]
	v_max3_f32 v35, v35, v37, v40
	v_or_b32_e32 v37, 16, v34
	v_or_b32_e32 v40, 17, v34
	v_cmp_gt_i32_e64 s[22:23], s27, v37
	v_cmp_gt_i32_e64 s[24:25], s27, v40
	v_fmac_f32_e32 v71, v89, v42
	v_cndmask_b32_e64 v37, v36, v76, s[22:23]
	v_cndmask_b32_e64 v40, v36, v77, s[24:25]
	v_max3_f32 v35, v35, v37, v40
	v_or_b32_e32 v37, 18, v34
	v_or_b32_e32 v40, 19, v34
	v_cmp_gt_i32_e64 s[18:19], s27, v37
	v_cmp_gt_i32_e64 s[20:21], s27, v40
	v_cvt_f32_i32_e32 v41, v41
	v_cndmask_b32_e64 v37, v36, v74, s[18:19]
	v_cndmask_b32_e64 v40, v36, v75, s[20:21]
	v_max3_f32 v35, v35, v37, v40
	v_or_b32_e32 v37, 32, v34
	v_or_b32_e32 v40, 33, v34
	v_cmp_gt_i32_e64 s[14:15], s27, v37
	v_cmp_gt_i32_e64 s[16:17], s27, v40
	v_fma_f32 v66, v89, v41, v66
	v_cndmask_b32_e64 v37, v36, v72, s[14:15]
	v_cndmask_b32_e64 v40, v36, v73, s[16:17]
	v_max3_f32 v35, v35, v37, v40
	v_or_b32_e32 v37, 34, v34
	v_or_b32_e32 v40, 35, v34
	v_cmp_gt_i32_e64 s[10:11], s27, v37
	v_cmp_gt_i32_e64 s[12:13], s27, v40
	s_nop 0
	v_cndmask_b32_e64 v37, v36, v70, s[10:11]
	v_cndmask_b32_e64 v40, v36, v71, s[12:13]
	v_max3_f32 v35, v35, v37, v40
	v_or_b32_e32 v37, 48, v34
	v_or_b32_e32 v40, 49, v34
	v_cmp_gt_i32_e64 s[6:7], s27, v37
	v_cmp_gt_i32_e64 s[8:9], s27, v40
	s_nop 0
	v_cndmask_b32_e64 v37, v36, v68, s[6:7]
	v_cndmask_b32_e64 v40, v36, v69, s[8:9]
	v_max3_f32 v35, v35, v37, v40
	v_or_b32_e32 v37, 50, v34
	v_or_b32_e32 v34, 51, v34
	v_cmp_gt_i32_e32 vcc, s27, v37
	v_cmp_gt_i32_e64 s[4:5], s27, v34
	global_load_dwordx4 v[46:49], v[38:39], off
	s_nop 0
	global_load_dwordx4 v[38:41], v[38:39], off offset:16
	v_cndmask_b32_e32 v37, v36, v66, vcc
	v_cndmask_b32_e64 v34, v36, v67, s[4:5]
	v_max3_f32 v58, v35, v37, v34
	v_mbcnt_lo_u32_b32 v34, -1, 0
	v_mbcnt_hi_u32_b32 v59, -1, v34
	v_and_b32_e32 v34, 64, v59
	v_add_u32_e32 v60, 64, v34
	v_xor_b32_e32 v34, 32, v59
	v_cmp_lt_i32_e64 s[38:39], v34, v60
	s_nop 1
	v_cndmask_b32_e64 v34, v59, v34, s[38:39]
	v_lshlrev_b32_e32 v87, 2, v34
	ds_bpermute_b32 v61, v87, v58
	v_lshl_add_u64 v[34:35], v[80:81], 0, v[54:55]
	global_load_dwordx4 v[42:45], v[34:35], off
	s_nop 0
	global_load_dwordx4 v[34:37], v[34:35], off offset:16
	s_waitcnt lgkmcnt(0)
	v_max_f32_e32 v54, v61, v61
	v_max_f32_e32 v62, v58, v54
	v_xor_b32_e32 v54, 16, v59
	v_cmp_lt_i32_e64 s[38:39], v54, v60
	s_nop 1
	v_cndmask_b32_e64 v54, v59, v54, s[38:39]
	v_lshlrev_b32_e32 v89, 2, v54
	ds_bpermute_b32 v63, v89, v62
	v_lshl_add_u64 v[54:55], v[80:81], 0, v[56:57]
	global_load_dwordx4 v[58:61], v[54:55], off
	s_nop 0
	global_load_dwordx4 v[54:57], v[54:55], off offset:16
	s_waitcnt lgkmcnt(0)
	v_max_f32_e32 v63, v63, v63
	v_max_f32_e32 v86, v62, v63
	v_sub_f32_e32 v52, v52, v86
	v_mul_f32_e32 v52, 0x3fb8aa3b, v52
	v_exp_f32_e32 v80, v52
	v_sub_f32_e32 v52, v53, v86
	v_mul_f32_e32 v52, 0x3fb8aa3b, v52
	v_exp_f32_e32 v81, v52
	global_load_dwordx4 v[62:65], v[50:51], off
	s_nop 0
	global_load_dwordx4 v[50:53], v[50:51], off offset:16
	v_sub_f32_e32 v78, v78, v86
	v_mul_f32_e32 v78, 0x3fb8aa3b, v78
	v_sub_f32_e32 v79, v79, v86
	v_exp_f32_e32 v78, v78
	v_mul_f32_e32 v79, 0x3fb8aa3b, v79
	v_sub_f32_e32 v76, v76, v86
	v_exp_f32_e32 v79, v79
	v_mul_f32_e32 v76, 0x3fb8aa3b, v76
	v_sub_f32_e32 v77, v77, v86
	v_cndmask_b32_e64 v80, 0, v80, s[28:29]
	v_exp_f32_e32 v76, v76
	v_mul_f32_e32 v77, 0x3fb8aa3b, v77
	v_sub_f32_e32 v74, v74, v86
	v_add_f32_e32 v91, 0, v80
	v_cndmask_b32_e64 v81, 0, v81, s[30:31]
	v_exp_f32_e32 v77, v77
	v_mul_f32_e32 v74, 0x3fb8aa3b, v74
	v_sub_f32_e32 v75, v75, v86
	v_add_f32_e32 v91, v91, v81
	;; [unrolled: 5-line block ×10, first 2 shown]
	v_cndmask_b32_e64 v70, 0, v70, s[10:11]
	v_exp_f32_e32 v66, v66
	v_mul_f32_e32 v67, 0x3fb8aa3b, v67
	v_add_f32_e32 v91, v91, v70
	v_cndmask_b32_e64 v71, 0, v71, s[12:13]
	v_exp_f32_e32 v67, v67
	v_add_f32_e32 v91, v91, v71
	v_cndmask_b32_e64 v68, 0, v68, s[6:7]
	v_add_f32_e32 v91, v91, v68
	v_cndmask_b32_e64 v69, 0, v69, s[8:9]
	v_add_f32_e32 v91, v91, v69
	v_cndmask_b32_e32 v66, 0, v66, vcc
	v_add_f32_e32 v91, v91, v66
	v_cndmask_b32_e64 v67, 0, v67, s[4:5]
	v_add_f32_e32 v91, v91, v67
	ds_bpermute_b32 v87, v87, v91
	s_load_dword s7, s[0:1], 0x98
	v_cmp_gt_u32_e32 vcc, 16, v88
	s_waitcnt lgkmcnt(0)
	s_barrier
	v_add_f32_e32 v87, v91, v87
	ds_bpermute_b32 v89, v89, v87
	s_waitcnt lgkmcnt(0)
	s_and_saveexec_b64 s[4:5], vcc
	s_cbranch_execz .LBB699_17
; %bb.16:
	v_add_f32_e32 v87, v87, v89
	v_lshlrev_b32_e32 v88, 2, v90
	ds_write2st64_b32 v88, v86, v87 offset1:1
.LBB699_17:
	s_or_b64 exec, exec, s[4:5]
	v_lshlrev_b32_e32 v87, 2, v84
	s_load_dword s6, s[0:1], 0x94
	s_waitcnt lgkmcnt(0)
	s_barrier
	ds_read2_b32 v[88:89], v87 offset1:16
	ds_read2_b32 v[90:91], v87 offset0:32 offset1:48
	ds_read2_b32 v[92:93], v87 offset0:64 offset1:80
	s_movk_i32 s8, 0x7fff
	s_mov_b32 s9, 0x7060302
	s_waitcnt lgkmcnt(2)
	v_max3_f32 v86, v88, s33, v89
	s_waitcnt lgkmcnt(1)
	v_max3_f32 v86, v86, v90, v91
	v_sub_f32_e32 v88, v88, v86
	v_mul_f32_e32 v88, 0x3fb8aa3b, v88
	v_exp_f32_e32 v94, v88
	v_sub_f32_e32 v88, v89, v86
	v_mul_f32_e32 v88, 0x3fb8aa3b, v88
	v_exp_f32_e32 v95, v88
	;; [unrolled: 3-line block ×3, first 2 shown]
	ds_read2_b32 v[88:89], v87 offset0:96 offset1:112
	v_sub_f32_e32 v87, v91, v86
	v_mul_f32_e32 v87, 0x3fb8aa3b, v87
	v_exp_f32_e32 v91, v87
	s_waitcnt lgkmcnt(1)
	v_fma_f32 v87, v94, v92, 0
	v_fmac_f32_e32 v87, v95, v93
	s_waitcnt lgkmcnt(0)
	v_fmac_f32_e32 v87, v90, v88
	v_fmac_f32_e32 v87, v91, v89
	v_add_f32_e32 v88, 0x358637bd, v87
	v_div_scale_f32 v89, s[4:5], v88, v88, 1.0
	v_rcp_f32_e32 v92, v89
	s_mul_i32 s7, s7, 12
	s_barrier
	v_fma_f32 v93, -v89, v92, 1.0
	v_fmac_f32_e32 v92, v93, v92
	v_div_scale_f32 v93, vcc, 1.0, v88, 1.0
	v_mul_f32_e32 v1, v93, v92
	v_fma_f32 v85, -v89, v1, v93
	v_fmac_f32_e32 v1, v85, v92
	v_fma_f32 v85, -v89, v1, v93
	v_div_fmas_f32 v1, v85, v92, v1
	v_lshrrev_b32_e32 v92, 6, v0
	v_cmp_eq_u32_e32 vcc, 1, v92
	v_div_fixup_f32 v1, v1, v88, 1.0
	s_nop 0
	v_cndmask_b32_e32 v85, v94, v95, vcc
	v_cmp_eq_u32_e32 vcc, 2, v92
	s_nop 1
	v_cndmask_b32_e32 v85, v85, v90, vcc
	v_cmp_eq_u32_e32 vcc, 3, v92
	s_nop 1
	v_cndmask_b32_e32 v85, v85, v91, vcc
	v_mul_f32_e32 v88, v85, v1
	v_pk_mul_f32 v[80:81], v[88:89], v[80:81] op_sel_hi:[0,1]
	v_bfe_u32 v1, v81, 16, 1
	v_bfe_u32 v85, v80, 16, 1
	v_pk_mul_f32 v[78:79], v[88:89], v[78:79] op_sel_hi:[0,1]
	v_add3_u32 v80, v80, v85, s8
	v_add3_u32 v1, v81, v1, s8
	v_perm_b32 v80, v1, v80, s9
	v_bfe_u32 v1, v79, 16, 1
	v_bfe_u32 v81, v78, 16, 1
	v_add3_u32 v78, v78, v81, s8
	v_add3_u32 v1, v79, v1, s8
	v_bfe_u32 v89, v0, 4, 2
	v_perm_b32 v81, v1, v78, s9
	v_lshlrev_b32_e32 v1, 3, v89
	v_lshlrev_b32_e32 v79, 5, v84
	;; [unrolled: 1-line block ×3, first 2 shown]
	v_pk_mul_f32 v[76:77], v[88:89], v[76:77] op_sel_hi:[0,1]
	v_or3_b32 v78, v78, v79, v1
	v_bfe_u32 v1, v77, 16, 1
	v_bfe_u32 v85, v76, 16, 1
	v_pk_mul_f32 v[74:75], v[88:89], v[74:75] op_sel_hi:[0,1]
	v_add3_u32 v76, v76, v85, s8
	v_add3_u32 v1, v77, v1, s8
	v_perm_b32 v76, v1, v76, s9
	v_bfe_u32 v1, v75, 16, 1
	v_bfe_u32 v77, v74, 16, 1
	v_add3_u32 v74, v74, v77, s8
	v_add3_u32 v1, v75, v1, s8
	v_pk_mul_f32 v[72:73], v[88:89], v[72:73] op_sel_hi:[0,1]
	v_perm_b32 v77, v1, v74, s9
	v_bfe_u32 v1, v73, 16, 1
	v_bfe_u32 v74, v72, 16, 1
	v_pk_mul_f32 v[70:71], v[88:89], v[70:71] op_sel_hi:[0,1]
	v_add3_u32 v72, v72, v74, s8
	v_add3_u32 v1, v73, v1, s8
	v_perm_b32 v72, v1, v72, s9
	v_bfe_u32 v1, v71, 16, 1
	v_bfe_u32 v73, v70, 16, 1
	v_add3_u32 v70, v70, v73, s8
	v_add3_u32 v1, v71, v1, s8
	v_pk_mul_f32 v[68:69], v[88:89], v[68:69] op_sel_hi:[0,1]
	v_perm_b32 v73, v1, v70, s9
	v_bfe_u32 v1, v69, 16, 1
	v_bfe_u32 v70, v68, 16, 1
	v_pk_mul_f32 v[66:67], v[88:89], v[66:67] op_sel_hi:[0,1]
	v_add3_u32 v68, v68, v70, s8
	v_add3_u32 v1, v69, v1, s8
	v_perm_b32 v68, v1, v68, s9
	v_bfe_u32 v1, v67, 16, 1
	v_bfe_u32 v69, v66, 16, 1
	v_add3_u32 v66, v66, v69, s8
	v_add3_u32 v1, v67, v1, s8
	v_perm_b32 v69, v1, v66, s9
	v_cmp_gt_u32_e32 vcc, 12, v0
	ds_write2st64_b64 v78, v[80:81], v[76:77] offset1:1
	ds_write2st64_b64 v78, v[72:73], v[68:69] offset0:2 offset1:3
	s_and_saveexec_b64 s[4:5], vcc
	s_cbranch_execz .LBB699_19
; %bb.18:
	s_mov_b32 s41, 0
	v_mov_b32_e32 v85, 0
	v_lshl_add_u64 v[66:67], s[40:41], 0, v[84:85]
	v_mov_b32_e32 v1, s7
	v_mad_u64_u32 v[66:67], s[10:11], s2, v1, v[66:67]
	s_mul_i32 s3, s3, s7
	v_mov_b32_e32 v68, s26
	v_mov_b32_e32 v69, v85
	s_load_dwordx4 s[12:15], s[0:1], 0x58
	v_add_u32_e32 v1, s3, v67
	v_mad_u64_u32 v[66:67], s[10:11], v66, s6, v[68:69]
	v_mov_b32_e32 v68, v67
	v_mad_u64_u32 v[68:69], s[10:11], v1, s6, v[68:69]
	v_mov_b32_e32 v67, v68
	v_lshlrev_b64 v[66:67], 2, v[66:67]
	s_waitcnt lgkmcnt(0)
	v_lshl_add_u64 v[68:69], s[14:15], 0, v[66:67]
	v_lshl_add_u64 v[66:67], s[12:13], 0, v[66:67]
	global_store_dword v[68:69], v86, off
	global_store_dword v[66:67], v87, off
.LBB699_19:
	s_or_b64 exec, exec, s[4:5]
	v_lshl_or_b32 v1, v89, 9, v79
	s_waitcnt lgkmcnt(0)
	s_barrier
	ds_read_b128 v[70:73], v1
	ds_read_b128 v[66:69], v1 offset:16
	s_waitcnt vmcnt(15) lgkmcnt(1)
	v_mfma_f32_16x16x16_bf16 v[74:77], v[30:31], v[70:71], 0
	s_mov_b32 s3, 0
	v_cmp_gt_u32_e32 vcc, 64, v0
	v_mfma_f32_16x16x16_bf16 v[30:33], v[32:33], v[72:73], v[74:77]
	s_waitcnt vmcnt(14) lgkmcnt(0)
	v_mfma_f32_16x16x16_bf16 v[30:33], v[26:27], v[66:67], v[30:33]
	v_mfma_f32_16x16x16_bf16 v[26:29], v[28:29], v[68:69], v[30:33]
	s_nop 5
	ds_read_b128 v[30:33], v1 offset:2048
	ds_read_b128 v[74:77], v1 offset:2064
	s_waitcnt vmcnt(13) lgkmcnt(1)
	v_mfma_f32_16x16x16_bf16 v[26:29], v[22:23], v[30:31], v[26:29]
	v_mfma_f32_16x16x16_bf16 v[22:25], v[24:25], v[32:33], v[26:29]
	s_waitcnt vmcnt(12) lgkmcnt(0)
	v_mfma_f32_16x16x16_bf16 v[22:25], v[18:19], v[74:75], v[22:25]
	v_mfma_f32_16x16x16_bf16 v[18:21], v[20:21], v[76:77], v[22:25]
	s_nop 5
	ds_read_b128 v[22:25], v1 offset:4096
	ds_read_b128 v[26:29], v1 offset:4112
	s_waitcnt vmcnt(11) lgkmcnt(1)
	v_mfma_f32_16x16x16_bf16 v[18:21], v[14:15], v[22:23], v[18:21]
	v_mfma_f32_16x16x16_bf16 v[14:17], v[16:17], v[24:25], v[18:21]
	s_waitcnt vmcnt(10) lgkmcnt(0)
	v_mfma_f32_16x16x16_bf16 v[14:17], v[10:11], v[26:27], v[14:17]
	v_mfma_f32_16x16x16_bf16 v[10:13], v[12:13], v[28:29], v[14:17]
	s_nop 5
	ds_read_b128 v[14:17], v1 offset:6144
	ds_read_b128 v[18:21], v1 offset:6160
	s_waitcnt lgkmcnt(0)
	s_barrier
	s_waitcnt vmcnt(9)
	v_mfma_f32_16x16x16_bf16 v[10:13], v[6:7], v[14:15], v[10:13]
	v_mfma_f32_16x16x16_bf16 v[6:9], v[8:9], v[16:17], v[10:13]
	s_waitcnt vmcnt(8)
	v_mfma_f32_16x16x16_bf16 v[6:9], v[2:3], v[18:19], v[6:9]
	v_mfma_f32_16x16x16_bf16 v[2:5], v[4:5], v[20:21], v[6:9]
	;; [unrolled: 3-line block ×3, first 2 shown]
	s_nop 3
	v_bfe_u32 v1, v3, 16, 1
	v_bfe_u32 v10, v2, 16, 1
	v_add3_u32 v2, v2, v10, s8
	s_waitcnt vmcnt(6)
	v_mfma_f32_16x16x16_bf16 v[6:9], v[38:39], v[66:67], v[6:9]
	v_add3_u32 v1, v3, v1, s8
	v_perm_b32 v10, v1, v2, s9
	v_bfe_u32 v1, v5, 16, 1
	v_mfma_f32_16x16x16_bf16 v[6:9], v[40:41], v[68:69], v[6:9]
	v_bfe_u32 v2, v4, 16, 1
	v_add3_u32 v2, v4, v2, s8
	v_add3_u32 v1, v5, v1, s8
	s_waitcnt vmcnt(5)
	v_mfma_f32_16x16x16_bf16 v[6:9], v[42:43], v[30:31], v[6:9]
	v_perm_b32 v11, v1, v2, s9
	v_mfma_f32_16x16x16_bf16 v[6:9], v[44:45], v[32:33], v[6:9]
	s_waitcnt vmcnt(4)
	v_mfma_f32_16x16x16_bf16 v[6:9], v[34:35], v[74:75], v[6:9]
	v_mfma_f32_16x16x16_bf16 v[6:9], v[36:37], v[76:77], v[6:9]
	s_waitcnt vmcnt(3)
	v_mfma_f32_16x16x16_bf16 v[6:9], v[58:59], v[22:23], v[6:9]
	;; [unrolled: 3-line block ×5, first 2 shown]
	v_mfma_f32_16x16x16_bf16 v[2:5], v[52:53], v[20:21], v[6:9]
	s_nop 6
	v_bfe_u32 v1, v3, 16, 1
	v_bfe_u32 v6, v2, 16, 1
	v_add3_u32 v2, v2, v6, s8
	v_add3_u32 v1, v3, v1, s8
	v_perm_b32 v2, v1, v2, s9
	v_bfe_u32 v1, v5, 16, 1
	v_bfe_u32 v3, v4, 16, 1
	v_add3_u32 v3, v4, v3, s8
	v_add3_u32 v1, v5, v1, s8
	v_perm_b32 v3, v1, v3, s9
	ds_write2st64_b64 v78, v[10:11], v[2:3] offset1:1
	s_waitcnt lgkmcnt(0)
	s_barrier
	s_and_saveexec_b64 s[4:5], vcc
	s_cbranch_execz .LBB699_21
; %bb.20:
	s_load_dwordx2 s[0:1], s[0:1], 0x68
	s_lshl_b32 s6, s6, 7
	s_mul_i32 s2, s7, s2
	s_mul_hi_u32 s5, s2, s6
	s_mul_i32 s4, s2, s6
	s_lshl_b64 s[4:5], s[4:5], 1
	v_lshlrev_b32_e32 v3, 6, v84
	s_waitcnt lgkmcnt(0)
	s_add_u32 s4, s0, s4
	v_lshlrev_b32_e32 v2, 4, v0
	v_lshl_or_b32 v0, v0, 10, v3
	s_addc_u32 s5, s1, s5
	s_lshl_b32 s2, s26, 7
	v_lshlrev_b32_e32 v1, 5, v89
	v_and_b32_e32 v2, 16, v2
	v_and_b32_e32 v0, 0x1a00, v0
	s_lshl_b64 s[0:1], s[2:3], 1
	v_or3_b32 v0, v0, v1, v2
	s_add_u32 s0, s4, s0
	ds_read_b128 v[2:5], v0
	ds_read_b128 v[6:9], v0 offset:128
	ds_read_b128 v[10:13], v0 offset:256
	s_addc_u32 s1, s5, s1
	v_or_b32_e32 v16, s40, v89
	v_lshl_add_u64 v[0:1], v[82:83], 1, s[0:1]
	v_mad_u64_u32 v[14:15], s[0:1], v16, s6, 0
	v_lshl_add_u64 v[14:15], v[14:15], 1, v[0:1]
	s_waitcnt lgkmcnt(2)
	global_store_dwordx4 v[14:15], v[2:5], off
	s_nop 1
	v_add_u32_e32 v2, 4, v16
	v_mad_u64_u32 v[2:3], s[0:1], v2, s6, 0
	v_lshl_add_u64 v[2:3], v[2:3], 1, v[0:1]
	s_waitcnt lgkmcnt(1)
	global_store_dwordx4 v[2:3], v[6:9], off
	v_add_u32_e32 v2, 8, v16
	v_mad_u64_u32 v[2:3], s[0:1], v2, s6, 0
	v_lshl_add_u64 v[0:1], v[2:3], 1, v[0:1]
	s_waitcnt lgkmcnt(0)
	global_store_dwordx4 v[0:1], v[10:13], off
.LBB699_21:
	s_endpgm
	.section	.rodata,"a",@progbits
	.p2align	6, 0x0
	.amdhsa_kernel _Z39paged_attention_ll4mi_QKV_mfma16_kernelI14__hip_bfloat16S0_LN4vllm18Fp8KVCacheDataTypeE0EhLi32ELi128ELi256ELb1ELi12EEvPKT_PKT0_S8_ifPKiSA_SA_iPKfiiiPfSD_PS3_PT2_iSC_SC_
		.amdhsa_group_segment_fixed_size 8192
		.amdhsa_private_segment_fixed_size 0
		.amdhsa_kernarg_size 400
		.amdhsa_user_sgpr_count 2
		.amdhsa_user_sgpr_dispatch_ptr 0
		.amdhsa_user_sgpr_queue_ptr 0
		.amdhsa_user_sgpr_kernarg_segment_ptr 1
		.amdhsa_user_sgpr_dispatch_id 0
		.amdhsa_user_sgpr_kernarg_preload_length 0
		.amdhsa_user_sgpr_kernarg_preload_offset 0
		.amdhsa_user_sgpr_private_segment_size 0
		.amdhsa_uses_dynamic_stack 0
		.amdhsa_enable_private_segment 0
		.amdhsa_system_sgpr_workgroup_id_x 1
		.amdhsa_system_sgpr_workgroup_id_y 1
		.amdhsa_system_sgpr_workgroup_id_z 1
		.amdhsa_system_sgpr_workgroup_info 0
		.amdhsa_system_vgpr_workitem_id 0
		.amdhsa_next_free_vgpr 96
		.amdhsa_next_free_sgpr 42
		.amdhsa_accum_offset 96
		.amdhsa_reserve_vcc 1
		.amdhsa_float_round_mode_32 0
		.amdhsa_float_round_mode_16_64 0
		.amdhsa_float_denorm_mode_32 3
		.amdhsa_float_denorm_mode_16_64 3
		.amdhsa_dx10_clamp 1
		.amdhsa_ieee_mode 1
		.amdhsa_fp16_overflow 0
		.amdhsa_tg_split 0
		.amdhsa_exception_fp_ieee_invalid_op 0
		.amdhsa_exception_fp_denorm_src 0
		.amdhsa_exception_fp_ieee_div_zero 0
		.amdhsa_exception_fp_ieee_overflow 0
		.amdhsa_exception_fp_ieee_underflow 0
		.amdhsa_exception_fp_ieee_inexact 0
		.amdhsa_exception_int_div_zero 0
	.end_amdhsa_kernel
	.section	.text._Z39paged_attention_ll4mi_QKV_mfma16_kernelI14__hip_bfloat16S0_LN4vllm18Fp8KVCacheDataTypeE0EhLi32ELi128ELi256ELb1ELi12EEvPKT_PKT0_S8_ifPKiSA_SA_iPKfiiiPfSD_PS3_PT2_iSC_SC_,"axG",@progbits,_Z39paged_attention_ll4mi_QKV_mfma16_kernelI14__hip_bfloat16S0_LN4vllm18Fp8KVCacheDataTypeE0EhLi32ELi128ELi256ELb1ELi12EEvPKT_PKT0_S8_ifPKiSA_SA_iPKfiiiPfSD_PS3_PT2_iSC_SC_,comdat
.Lfunc_end699:
	.size	_Z39paged_attention_ll4mi_QKV_mfma16_kernelI14__hip_bfloat16S0_LN4vllm18Fp8KVCacheDataTypeE0EhLi32ELi128ELi256ELb1ELi12EEvPKT_PKT0_S8_ifPKiSA_SA_iPKfiiiPfSD_PS3_PT2_iSC_SC_, .Lfunc_end699-_Z39paged_attention_ll4mi_QKV_mfma16_kernelI14__hip_bfloat16S0_LN4vllm18Fp8KVCacheDataTypeE0EhLi32ELi128ELi256ELb1ELi12EEvPKT_PKT0_S8_ifPKiSA_SA_iPKfiiiPfSD_PS3_PT2_iSC_SC_
                                        ; -- End function
	.section	.AMDGPU.csdata,"",@progbits
; Kernel info:
; codeLenInByte = 5192
; NumSgprs: 48
; NumVgprs: 96
; NumAgprs: 0
; TotalNumVgprs: 96
; ScratchSize: 0
; MemoryBound: 0
; FloatMode: 240
; IeeeMode: 1
; LDSByteSize: 8192 bytes/workgroup (compile time only)
; SGPRBlocks: 5
; VGPRBlocks: 11
; NumSGPRsForWavesPerEU: 48
; NumVGPRsForWavesPerEU: 96
; AccumOffset: 96
; Occupancy: 5
; WaveLimiterHint : 1
; COMPUTE_PGM_RSRC2:SCRATCH_EN: 0
; COMPUTE_PGM_RSRC2:USER_SGPR: 2
; COMPUTE_PGM_RSRC2:TRAP_HANDLER: 0
; COMPUTE_PGM_RSRC2:TGID_X_EN: 1
; COMPUTE_PGM_RSRC2:TGID_Y_EN: 1
; COMPUTE_PGM_RSRC2:TGID_Z_EN: 1
; COMPUTE_PGM_RSRC2:TIDIG_COMP_CNT: 0
; COMPUTE_PGM_RSRC3_GFX90A:ACCUM_OFFSET: 23
; COMPUTE_PGM_RSRC3_GFX90A:TG_SPLIT: 0
	.section	.text._Z39paged_attention_ll4mi_QKV_mfma16_kernelI14__hip_bfloat16S0_LN4vllm18Fp8KVCacheDataTypeE0EhLi32ELi128ELi256ELb1ELi13EEvPKT_PKT0_S8_ifPKiSA_SA_iPKfiiiPfSD_PS3_PT2_iSC_SC_,"axG",@progbits,_Z39paged_attention_ll4mi_QKV_mfma16_kernelI14__hip_bfloat16S0_LN4vllm18Fp8KVCacheDataTypeE0EhLi32ELi128ELi256ELb1ELi13EEvPKT_PKT0_S8_ifPKiSA_SA_iPKfiiiPfSD_PS3_PT2_iSC_SC_,comdat
	.protected	_Z39paged_attention_ll4mi_QKV_mfma16_kernelI14__hip_bfloat16S0_LN4vllm18Fp8KVCacheDataTypeE0EhLi32ELi128ELi256ELb1ELi13EEvPKT_PKT0_S8_ifPKiSA_SA_iPKfiiiPfSD_PS3_PT2_iSC_SC_ ; -- Begin function _Z39paged_attention_ll4mi_QKV_mfma16_kernelI14__hip_bfloat16S0_LN4vllm18Fp8KVCacheDataTypeE0EhLi32ELi128ELi256ELb1ELi13EEvPKT_PKT0_S8_ifPKiSA_SA_iPKfiiiPfSD_PS3_PT2_iSC_SC_
	.globl	_Z39paged_attention_ll4mi_QKV_mfma16_kernelI14__hip_bfloat16S0_LN4vllm18Fp8KVCacheDataTypeE0EhLi32ELi128ELi256ELb1ELi13EEvPKT_PKT0_S8_ifPKiSA_SA_iPKfiiiPfSD_PS3_PT2_iSC_SC_
	.p2align	8
	.type	_Z39paged_attention_ll4mi_QKV_mfma16_kernelI14__hip_bfloat16S0_LN4vllm18Fp8KVCacheDataTypeE0EhLi32ELi128ELi256ELb1ELi13EEvPKT_PKT0_S8_ifPKiSA_SA_iPKfiiiPfSD_PS3_PT2_iSC_SC_,@function
_Z39paged_attention_ll4mi_QKV_mfma16_kernelI14__hip_bfloat16S0_LN4vllm18Fp8KVCacheDataTypeE0EhLi32ELi128ELi256ELb1ELi13EEvPKT_PKT0_S8_ifPKiSA_SA_iPKfiiiPfSD_PS3_PT2_iSC_SC_: ; @_Z39paged_attention_ll4mi_QKV_mfma16_kernelI14__hip_bfloat16S0_LN4vllm18Fp8KVCacheDataTypeE0EhLi32ELi128ELi256ELb1ELi13EEvPKT_PKT0_S8_ifPKiSA_SA_iPKfiiiPfSD_PS3_PT2_iSC_SC_
; %bb.0:
	s_load_dwordx2 s[8:9], s[0:1], 0x30
	s_mov_b32 s26, s3
	s_mov_b64 s[6:7], 0
	s_waitcnt lgkmcnt(0)
	s_cmp_lg_u64 s[8:9], 0
	s_cselect_b64 s[10:11], -1, 0
	s_and_b64 vcc, exec, s[10:11]
	s_cbranch_vccz .LBB700_7
; %bb.1:
	s_add_i32 s12, s2, 1
	s_mov_b32 s13, 0
	s_lshl_b64 s[14:15], s[12:13], 2
	s_add_u32 s14, s8, s14
	s_mov_b32 s3, s13
	s_addc_u32 s15, s9, s15
	s_lshl_b64 s[12:13], s[2:3], 2
	s_add_u32 s12, s8, s12
	s_addc_u32 s13, s9, s13
	s_load_dword s5, s[14:15], 0x0
	s_load_dword s16, s[12:13], 0x0
	s_waitcnt lgkmcnt(0)
	s_sub_i32 s5, s5, s16
	s_cmp_eq_u32 s5, 1
	s_cselect_b64 s[12:13], -1, 0
	s_andn2_b64 vcc, exec, s[6:7]
	s_cbranch_vccnz .LBB700_3
.LBB700_2:
	s_mov_b32 s3, 0
	s_mov_b64 s[12:13], -1
.LBB700_3:
	s_andn2_b64 vcc, exec, s[12:13]
	s_cbranch_vccnz .LBB700_22
; %bb.4:
	s_load_dwordx2 s[6:7], s[0:1], 0x28
	s_lshl_b64 s[12:13], s[2:3], 2
	s_waitcnt lgkmcnt(0)
	s_add_u32 s6, s6, s12
	s_addc_u32 s7, s7, s13
	s_load_dword s27, s[6:7], 0x0
	s_lshl_b32 s18, s26, 8
	s_waitcnt lgkmcnt(0)
	s_cmp_ge_i32 s18, s27
	s_cbranch_scc1 .LBB700_22
; %bb.5:
	s_load_dwordx2 s[6:7], s[0:1], 0x20
	s_load_dword s5, s[0:1], 0x38
	s_add_i32 s14, s27, 31
	s_ashr_i32 s15, s14, 31
	v_and_b32_e32 v1, 0xcf, v0
	s_lshr_b32 s15, s15, 27
	v_add_u32_e32 v1, s18, v1
	s_add_i32 s14, s14, s15
	v_ashrrev_i32_e32 v2, 31, v1
	s_ashr_i32 s19, s14, 5
	v_lshrrev_b32_e32 v4, 27, v2
	s_add_i32 s19, s19, -1
	s_waitcnt lgkmcnt(0)
	s_mul_i32 s14, s2, s5
	s_mov_b32 s15, 0
	v_add_u32_e32 v2, v1, v4
	s_lshl_b64 s[14:15], s[14:15], 2
	v_ashrrev_i32_e32 v2, 5, v2
	v_mov_b32_e32 v5, s19
	v_cmp_gt_i32_e32 vcc, s27, v1
	s_add_u32 s6, s6, s14
	s_addc_u32 s7, s7, s15
	v_cndmask_b32_e32 v2, v5, v2, vcc
	v_ashrrev_i32_e32 v3, 31, v2
	v_lshl_add_u64 v[6:7], v[2:3], 2, s[6:7]
	v_or_b32_e32 v2, 16, v1
	v_add_u32_e32 v3, v2, v4
	v_ashrrev_i32_e32 v3, 5, v3
	v_cmp_gt_i32_e32 vcc, s27, v2
	s_nop 1
	v_cndmask_b32_e32 v2, v5, v3, vcc
	v_ashrrev_i32_e32 v3, 31, v2
	v_lshl_add_u64 v[8:9], v[2:3], 2, s[6:7]
	v_or_b32_e32 v2, 32, v1
	v_add_u32_e32 v3, v2, v4
	v_ashrrev_i32_e32 v3, 5, v3
	v_cmp_gt_i32_e32 vcc, s27, v2
	v_or_b32_e32 v1, 48, v1
	s_nop 0
	v_cndmask_b32_e32 v2, v5, v3, vcc
	v_ashrrev_i32_e32 v3, 31, v2
	v_lshl_add_u64 v[10:11], v[2:3], 2, s[6:7]
	v_add_u32_e32 v2, v1, v4
	v_ashrrev_i32_e32 v2, 5, v2
	v_cmp_gt_i32_e32 vcc, s27, v1
	s_nop 1
	v_cndmask_b32_e32 v2, v5, v2, vcc
	v_ashrrev_i32_e32 v3, 31, v2
	v_lshl_add_u64 v[12:13], v[2:3], 2, s[6:7]
	global_load_dword v5, v[6:7], off
	global_load_dword v4, v[8:9], off
	;; [unrolled: 1-line block ×4, first 2 shown]
	s_andn2_b64 vcc, exec, s[10:11]
	s_cbranch_vccnz .LBB700_8
; %bb.6:
	s_add_u32 s8, s8, s12
	s_addc_u32 s9, s9, s13
	s_load_dword s5, s[8:9], 0x0
	s_branch .LBB700_9
.LBB700_7:
	s_mov_b64 s[12:13], 0
	s_branch .LBB700_2
.LBB700_8:
	s_mov_b32 s5, s2
.LBB700_9:
	s_load_dwordx2 s[14:15], s[0:1], 0x8
	s_load_dwordx4 s[8:11], s[0:1], 0x48
	v_lshrrev_b32_e32 v88, 6, v0
	v_bfe_u32 v1, v0, 4, 2
	v_lshl_or_b32 v6, v88, 2, v1
	v_and_b32_e32 v84, 15, v0
	v_lshlrev_b32_e32 v82, 3, v84
	v_cmp_lt_u32_e32 vcc, 12, v6
	s_and_saveexec_b64 s[12:13], vcc
	s_xor_b64 s[12:13], exec, s[12:13]
; %bb.10:
	v_mov_b32_e32 v83, 0
                                        ; implicit-def: $vgpr6
; %bb.11:
	s_or_saveexec_b64 s[16:17], s[12:13]
	s_load_dwordx2 s[12:13], s[0:1], 0x10
	s_mul_i32 s40, s4, 13
	s_xor_b64 exec, exec, s[16:17]
	s_cbranch_execz .LBB700_13
; %bb.12:
	s_load_dwordx2 s[20:21], s[0:1], 0x0
	s_waitcnt lgkmcnt(0)
	s_ashr_i32 s11, s8, 31
	s_mul_hi_u32 s22, s5, s8
	s_mul_i32 s11, s5, s11
	s_add_i32 s23, s22, s11
	s_mul_i32 s22, s5, s8
	s_lshl_b64 s[22:23], s[22:23], 1
	s_add_u32 s20, s20, s22
	v_add_lshl_u32 v8, v6, s40, 7
	s_addc_u32 s21, s21, s23
	v_ashrrev_i32_e32 v9, 31, v8
	v_mov_b32_e32 v83, 0
	v_lshl_add_u64 v[8:9], v[8:9], 1, s[20:21]
	v_lshlrev_b32_e32 v10, 1, v82
	v_mov_b32_e32 v11, v83
	v_lshl_add_u64 v[8:9], v[8:9], 0, v[10:11]
	global_load_dwordx4 v[8:11], v[8:9], off
	v_and_b32_e32 v7, 3, v0
	v_lshlrev_b32_e32 v12, 9, v84
	v_lshlrev_b32_e32 v6, 5, v6
	;; [unrolled: 1-line block ×3, first 2 shown]
	v_and_b32_e32 v12, 0x1800, v12
	v_or3_b32 v6, v12, v7, v6
	s_waitcnt vmcnt(0)
	ds_write_b128 v6, v[8:11]
.LBB700_13:
	s_or_b64 exec, exec, s[16:17]
	s_waitcnt lgkmcnt(0)
	s_mul_i32 s4, s4, s10
	s_mov_b32 s5, 0
	s_lshl_b64 s[4:5], s[4:5], 1
	s_add_u32 s10, s14, s4
	s_addc_u32 s11, s15, s5
	s_waitcnt vmcnt(3)
	v_mad_i64_i32 v[6:7], s[14:15], v5, s9, 0
	v_lshl_add_u64 v[6:7], v[6:7], 1, s[10:11]
	v_lshlrev_b64 v[8:9], 1, v[82:83]
	v_lshlrev_b32_e32 v86, 9, v1
	v_lshl_add_u64 v[6:7], v[6:7], 0, v[8:9]
	v_mov_b32_e32 v87, 0
	v_lshl_add_u64 v[10:11], v[6:7], 0, v[86:87]
	v_or_b32_e32 v14, 0x1000, v86
	v_mov_b32_e32 v15, v87
	v_or_b32_e32 v16, 0x1800, v86
	v_mov_b32_e32 v17, v87
	s_barrier
	global_load_dwordx4 v[66:69], v[10:11], off
	global_load_dwordx4 v[62:65], v[10:11], off offset:2048
	v_lshl_add_u64 v[10:11], v[6:7], 0, v[14:15]
	v_lshl_add_u64 v[6:7], v[6:7], 0, v[16:17]
	global_load_dwordx4 v[78:81], v[10:11], off
	global_load_dwordx4 v[74:77], v[6:7], off
	s_waitcnt vmcnt(6)
	v_mad_i64_i32 v[4:5], s[14:15], v4, s9, 0
	v_mov_b32_e32 v6, 0x100
	v_lshl_add_u64 v[4:5], v[4:5], 1, s[10:11]
	v_lshl_or_b32 v6, v84, 4, v6
	v_mov_b32_e32 v7, v87
	v_lshl_add_u64 v[4:5], v[4:5], 0, v[6:7]
	v_lshl_add_u64 v[10:11], v[4:5], 0, v[86:87]
	global_load_dwordx4 v[70:73], v[10:11], off
	global_load_dwordx4 v[58:61], v[10:11], off offset:2048
	v_lshl_add_u64 v[10:11], v[4:5], 0, v[14:15]
	v_lshl_add_u64 v[4:5], v[4:5], 0, v[16:17]
	global_load_dwordx4 v[54:57], v[10:11], off
	global_load_dwordx4 v[30:33], v[4:5], off
	s_waitcnt vmcnt(9)
	v_mad_i64_i32 v[4:5], s[14:15], v3, s9, 0
	v_lshl_add_u64 v[4:5], v[4:5], 1, s[10:11]
	s_waitcnt vmcnt(8)
	v_mad_i64_i32 v[2:3], s[14:15], v2, s9, 0
	v_lshl_add_u64 v[4:5], v[4:5], 0, v[8:9]
	v_lshl_add_u64 v[2:3], v[2:3], 1, s[10:11]
	v_lshl_add_u64 v[8:9], v[4:5], 0, v[86:87]
	v_lshl_add_u64 v[34:35], v[2:3], 0, v[6:7]
	global_load_dwordx4 v[26:29], v[8:9], off
	global_load_dwordx4 v[22:25], v[8:9], off offset:2048
	v_lshl_add_u64 v[8:9], v[4:5], 0, v[14:15]
	v_lshl_add_u64 v[4:5], v[4:5], 0, v[16:17]
	;; [unrolled: 1-line block ×4, first 2 shown]
	global_load_dwordx4 v[18:21], v[8:9], off
	global_load_dwordx4 v[10:13], v[4:5], off
	s_nop 0
	global_load_dwordx4 v[6:9], v[2:3], off
	s_nop 0
	global_load_dwordx4 v[2:5], v[2:3], off offset:2048
	v_lshl_add_u64 v[16:17], v[34:35], 0, v[16:17]
	global_load_dwordx4 v[38:41], v[14:15], off
	global_load_dwordx4 v[34:37], v[16:17], off
	v_add_u32_e32 v14, -13, v84
	v_cmp_gt_u32_e32 vcc, 13, v84
	v_and_b32_e32 v85, 63, v0
	v_mov_b32_e32 v89, 0
	v_cndmask_b32_e32 v14, v14, v84, vcc
	v_lshl_add_u32 v42, v14, 5, v86
	ds_read_b128 v[14:17], v42
	ds_read_b128 v[50:53], v42 offset:2048
	ds_read_b128 v[46:49], v42 offset:4096
	;; [unrolled: 1-line block ×3, first 2 shown]
	s_and_saveexec_b64 s[10:11], vcc
	s_cbranch_execz .LBB700_15
; %bb.14:
	s_load_dwordx2 s[14:15], s[0:1], 0x40
	v_add_u32_e32 v90, s40, v84
	v_ashrrev_i32_e32 v91, 31, v90
	s_waitcnt lgkmcnt(0)
	v_lshl_add_u64 v[90:91], v[90:91], 2, s[14:15]
	global_load_dword v89, v[90:91], off
.LBB700_15:
	s_or_b64 exec, exec, s[10:11]
	s_waitcnt vmcnt(15) lgkmcnt(3)
	v_mfma_f32_16x16x16_bf16 v[90:93], v[66:67], v[14:15], 0
	s_ashr_i32 s8, s18, 31
	s_lshr_b32 s8, s8, 27
	s_add_u32 s4, s12, s4
	v_mfma_f32_16x16x16_bf16 v[66:69], v[68:69], v[16:17], v[90:93]
	s_addc_u32 s5, s13, s5
	s_mov_b32 s33, 0xff7fffff
	s_waitcnt vmcnt(14) lgkmcnt(2)
	v_mfma_f32_16x16x16_bf16 v[66:69], v[62:63], v[50:51], v[66:69]
	v_lshl_or_b32 v90, v88, 4, v84
	v_mfma_f32_16x16x16_bf16 v[62:65], v[64:65], v[52:53], v[66:69]
	s_waitcnt vmcnt(13) lgkmcnt(1)
	v_mfma_f32_16x16x16_bf16 v[62:65], v[78:79], v[46:47], v[62:65]
	v_mfma_f32_16x16x16_bf16 v[62:65], v[80:81], v[48:49], v[62:65]
	s_waitcnt vmcnt(12) lgkmcnt(0)
	v_mfma_f32_16x16x16_bf16 v[62:65], v[74:75], v[42:43], v[62:65]
	v_and_or_b32 v74, v0, 48, s18
	v_add_u32_e32 v66, s8, v74
	v_ashrrev_i32_e32 v75, 5, v66
	s_waitcnt vmcnt(11)
	v_mfma_f32_16x16x16_bf16 v[66:69], v[70:71], v[14:15], 0
	v_cmp_gt_i32_e32 vcc, s27, v74
	v_mfma_f32_16x16x16_bf16 v[66:69], v[72:73], v[16:17], v[66:69]
	v_or_b32_e32 v72, 64, v74
	v_add_u32_e32 v73, s8, v72
	s_waitcnt vmcnt(10)
	v_mfma_f32_16x16x16_bf16 v[66:69], v[58:59], v[50:51], v[66:69]
	v_ashrrev_i32_e32 v58, 5, v73
	v_mfma_f32_16x16x16_bf16 v[62:65], v[76:77], v[44:45], v[62:65]
	v_mov_b32_e32 v76, s19
	v_cndmask_b32_e32 v70, v76, v75, vcc
	v_cmp_gt_i32_e32 vcc, s27, v72
	v_ashrrev_i32_e32 v71, 31, v70
	v_lshl_add_u64 v[70:71], v[70:71], 2, s[6:7]
	v_cndmask_b32_e32 v72, v76, v58, vcc
	v_mfma_f32_16x16x16_bf16 v[58:61], v[60:61], v[52:53], v[66:69]
	v_ashrrev_i32_e32 v73, 31, v72
	s_waitcnt vmcnt(9)
	v_mfma_f32_16x16x16_bf16 v[58:61], v[54:55], v[46:47], v[58:61]
	v_lshl_add_u64 v[66:67], v[72:73], 2, s[6:7]
	global_load_dword v68, v[70:71], off
	s_nop 0
	global_load_dword v66, v[66:67], off
	v_or_b32_e32 v67, 0x80, v74
	v_add_u32_e32 v69, s8, v67
	v_mfma_f32_16x16x16_bf16 v[54:57], v[56:57], v[48:49], v[58:61]
	v_cmp_gt_i32_e32 vcc, s27, v67
	s_nop 1
	v_ashrrev_i32_e32 v58, 5, v69
	v_cndmask_b32_e32 v58, v76, v58, vcc
	v_ashrrev_i32_e32 v59, 31, v58
	s_waitcnt vmcnt(10)
	v_mfma_f32_16x16x16_bf16 v[54:57], v[30:31], v[42:43], v[54:57]
	v_lshl_add_u64 v[30:31], v[58:59], 2, s[6:7]
	global_load_dword v70, v[30:31], off
	v_mfma_f32_16x16x16_bf16 v[58:61], v[32:33], v[44:45], v[54:57]
	s_nop 3
	v_or_b32_e32 v54, 0xc0, v74
	v_add_u32_e32 v30, s8, v54
	v_ashrrev_i32_e32 v55, 5, v30
	v_cmp_gt_i32_e32 vcc, s27, v54
	s_waitcnt vmcnt(10)
	v_mfma_f32_16x16x16_bf16 v[30:33], v[26:27], v[14:15], 0
	v_cndmask_b32_e32 v26, v76, v55, vcc
	v_ashrrev_i32_e32 v27, 31, v26
	v_lshl_add_u64 v[54:55], v[26:27], 2, s[6:7]
	global_load_dword v71, v[54:55], off
	v_mfma_f32_16x16x16_bf16 v[26:29], v[28:29], v[16:17], v[30:33]
	s_load_dword s6, s[0:1], 0x1c
	s_waitcnt vmcnt(10)
	v_mfma_f32_16x16x16_bf16 v[26:29], v[22:23], v[50:51], v[26:29]
	v_and_b32_e32 v30, 16, v0
	v_lshlrev_b32_e32 v86, 1, v30
	v_lshl_add_u64 v[74:75], s[4:5], 0, v[86:87]
	v_mfma_f32_16x16x16_bf16 v[22:25], v[24:25], v[52:53], v[26:29]
	v_lshlrev_b32_e32 v86, 6, v90
	v_lshl_add_u64 v[76:77], v[74:75], 0, v[86:87]
	v_or_b32_e32 v86, 0x1000, v86
	s_waitcnt vmcnt(9)
	v_mfma_f32_16x16x16_bf16 v[22:25], v[18:19], v[46:47], v[22:25]
	v_lshl_add_u64 v[80:81], v[74:75], 0, v[86:87]
	s_waitcnt lgkmcnt(0)
	v_pk_mul_f32 v[74:75], s[6:7], v[60:61] op_sel_hi:[0,1]
	v_mfma_f32_16x16x16_bf16 v[18:21], v[20:21], v[48:49], v[22:25]
	s_waitcnt vmcnt(8)
	v_mfma_f32_16x16x16_bf16 v[18:21], v[10:11], v[42:43], v[18:21]
	s_waitcnt vmcnt(3)
	v_mad_i64_i32 v[22:23], s[4:5], v68, s9, 0
	s_waitcnt vmcnt(2)
	v_mad_i64_i32 v[10:11], s[4:5], v66, s9, 0
	v_lshlrev_b64 v[78:79], 1, v[22:23]
	v_lshlrev_b64 v[54:55], 1, v[10:11]
	v_lshl_add_u64 v[22:23], v[76:77], 0, v[78:79]
	v_lshl_add_u64 v[10:11], v[76:77], 0, v[54:55]
	global_load_dwordx4 v[30:33], v[22:23], off
	global_load_dwordx4 v[26:29], v[22:23], off offset:16
	v_mfma_f32_16x16x16_bf16 v[66:69], v[12:13], v[44:45], v[18:21]
	global_load_dwordx4 v[22:25], v[10:11], off
	s_nop 1
	global_load_dwordx4 v[18:21], v[10:11], off offset:16
	v_mfma_f32_16x16x16_bf16 v[10:13], v[6:7], v[14:15], 0
	s_waitcnt vmcnt(5)
	v_mad_i64_i32 v[6:7], s[4:5], v70, s9, 0
	v_lshlrev_b64 v[56:57], 1, v[6:7]
	v_mfma_f32_16x16x16_bf16 v[6:9], v[8:9], v[16:17], v[10:13]
	v_mfma_f32_16x16x16_bf16 v[6:9], v[2:3], v[50:51], v[6:9]
	s_nop 1
	v_lshl_add_u64 v[10:11], v[76:77], 0, v[56:57]
	global_load_dwordx4 v[14:17], v[10:11], off
	s_nop 0
	global_load_dwordx4 v[10:13], v[10:11], off offset:16
	s_waitcnt vmcnt(6)
	v_mad_i64_i32 v[2:3], s[4:5], v71, s9, 0
	v_mfma_f32_16x16x16_bf16 v[70:73], v[4:5], v[52:53], v[6:9]
	v_pk_mul_f32 v[52:53], s[6:7], v[62:63] op_sel_hi:[0,1]
	v_lshlrev_b64 v[50:51], 1, v[2:3]
	v_lshl_add_u64 v[2:3], v[76:77], 0, v[50:51]
	v_mfma_f32_16x16x16_bf16 v[70:73], v[38:39], v[46:47], v[70:73]
	v_lshl_add_u64 v[38:39], v[80:81], 0, v[78:79]
	v_pk_mul_f32 v[78:79], s[6:7], v[64:65] op_sel_hi:[0,1]
	v_pk_mul_f32 v[76:77], s[6:7], v[58:59] op_sel_hi:[0,1]
	v_mfma_f32_16x16x16_bf16 v[46:49], v[40:41], v[48:49], v[70:73]
	v_lshl_add_u64 v[50:51], v[80:81], 0, v[50:51]
	global_load_dwordx4 v[6:9], v[2:3], off
	s_nop 0
	global_load_dwordx4 v[2:5], v[2:3], off offset:16
	v_pk_mul_f32 v[70:71], s[6:7], v[68:69] op_sel_hi:[0,1]
	v_mfma_f32_16x16x16_bf16 v[40:43], v[34:35], v[42:43], v[46:49]
	v_pk_mul_f32 v[72:73], s[6:7], v[66:67] op_sel_hi:[0,1]
	v_mfma_f32_16x16x16_bf16 v[34:37], v[36:37], v[44:45], v[40:43]
	s_nop 6
	v_pk_mul_f32 v[68:69], s[6:7], v[34:35] op_sel_hi:[0,1]
	v_and_b32_e32 v34, 0xc0, v0
	v_add_u32_e32 v34, s18, v34
	v_lshl_or_b32 v34, v1, 2, v34
	v_or_b32_e32 v35, 1, v34
	v_pk_mul_f32 v[66:67], s[6:7], v[36:37] op_sel_hi:[0,1]
	v_subrev_u32_e32 v36, s27, v35
	v_add_u32_e32 v40, 1, v36
	v_add_u32_e32 v41, 2, v36
	v_cvt_f32_i32_e32 v37, v36
	v_cvt_f32_i32_e32 v40, v40
	;; [unrolled: 1-line block ×3, first 2 shown]
	v_add_u32_e32 v42, 3, v36
	v_fma_f32 v52, v89, v37, v52
	v_fmac_f32_e32 v53, v89, v40
	v_fma_f32 v78, v89, v41, v78
	v_add_u32_e32 v37, 16, v36
	v_add_u32_e32 v40, 17, v36
	;; [unrolled: 1-line block ×3, first 2 shown]
	v_cvt_f32_i32_e32 v42, v42
	v_cvt_f32_i32_e32 v37, v37
	;; [unrolled: 1-line block ×4, first 2 shown]
	v_fmac_f32_e32 v79, v89, v42
	v_add_u32_e32 v42, 19, v36
	v_fma_f32 v76, v89, v37, v76
	v_fmac_f32_e32 v77, v89, v40
	v_fma_f32 v74, v89, v41, v74
	v_add_u32_e32 v37, 32, v36
	v_add_u32_e32 v40, 33, v36
	;; [unrolled: 1-line block ×3, first 2 shown]
	v_cvt_f32_i32_e32 v42, v42
	v_cvt_f32_i32_e32 v37, v37
	;; [unrolled: 1-line block ×4, first 2 shown]
	v_fmac_f32_e32 v75, v89, v42
	v_add_u32_e32 v42, 35, v36
	v_fma_f32 v72, v89, v37, v72
	v_fmac_f32_e32 v73, v89, v40
	v_fma_f32 v70, v89, v41, v70
	v_add_u32_e32 v37, 48, v36
	v_add_u32_e32 v40, 49, v36
	;; [unrolled: 1-line block ×4, first 2 shown]
	v_cvt_f32_i32_e32 v36, v36
	v_cvt_f32_i32_e32 v37, v37
	;; [unrolled: 1-line block ×3, first 2 shown]
	v_cmp_gt_i32_e64 s[28:29], s27, v34
	v_fmac_f32_e32 v67, v89, v36
	v_mov_b32_e32 v36, 0xff7fffff
	v_cmp_gt_i32_e64 s[30:31], s27, v35
	v_fma_f32 v68, v89, v37, v68
	v_cndmask_b32_e64 v37, v36, v52, s[28:29]
	v_cndmask_b32_e64 v35, v36, v53, s[30:31]
	v_fmac_f32_e32 v69, v89, v40
	v_max3_f32 v35, v37, s33, v35
	v_or_b32_e32 v37, 2, v34
	v_or_b32_e32 v40, 3, v34
	v_cmp_gt_i32_e64 s[34:35], s27, v37
	v_cmp_gt_i32_e64 s[36:37], s27, v40
	v_cvt_f32_i32_e32 v42, v42
	v_cndmask_b32_e64 v37, v36, v78, s[34:35]
	v_cndmask_b32_e64 v40, v36, v79, s[36:37]
	v_max3_f32 v35, v35, v37, v40
	v_or_b32_e32 v37, 16, v34
	v_or_b32_e32 v40, 17, v34
	v_cmp_gt_i32_e64 s[22:23], s27, v37
	v_cmp_gt_i32_e64 s[24:25], s27, v40
	v_fmac_f32_e32 v71, v89, v42
	v_cndmask_b32_e64 v37, v36, v76, s[22:23]
	v_cndmask_b32_e64 v40, v36, v77, s[24:25]
	v_max3_f32 v35, v35, v37, v40
	v_or_b32_e32 v37, 18, v34
	v_or_b32_e32 v40, 19, v34
	v_cmp_gt_i32_e64 s[18:19], s27, v37
	v_cmp_gt_i32_e64 s[20:21], s27, v40
	v_cvt_f32_i32_e32 v41, v41
	v_cndmask_b32_e64 v37, v36, v74, s[18:19]
	v_cndmask_b32_e64 v40, v36, v75, s[20:21]
	v_max3_f32 v35, v35, v37, v40
	v_or_b32_e32 v37, 32, v34
	v_or_b32_e32 v40, 33, v34
	v_cmp_gt_i32_e64 s[14:15], s27, v37
	v_cmp_gt_i32_e64 s[16:17], s27, v40
	v_fma_f32 v66, v89, v41, v66
	v_cndmask_b32_e64 v37, v36, v72, s[14:15]
	v_cndmask_b32_e64 v40, v36, v73, s[16:17]
	v_max3_f32 v35, v35, v37, v40
	v_or_b32_e32 v37, 34, v34
	v_or_b32_e32 v40, 35, v34
	v_cmp_gt_i32_e64 s[10:11], s27, v37
	v_cmp_gt_i32_e64 s[12:13], s27, v40
	s_nop 0
	v_cndmask_b32_e64 v37, v36, v70, s[10:11]
	v_cndmask_b32_e64 v40, v36, v71, s[12:13]
	v_max3_f32 v35, v35, v37, v40
	v_or_b32_e32 v37, 48, v34
	v_or_b32_e32 v40, 49, v34
	v_cmp_gt_i32_e64 s[6:7], s27, v37
	v_cmp_gt_i32_e64 s[8:9], s27, v40
	s_nop 0
	v_cndmask_b32_e64 v37, v36, v68, s[6:7]
	v_cndmask_b32_e64 v40, v36, v69, s[8:9]
	v_max3_f32 v35, v35, v37, v40
	v_or_b32_e32 v37, 50, v34
	v_or_b32_e32 v34, 51, v34
	v_cmp_gt_i32_e32 vcc, s27, v37
	v_cmp_gt_i32_e64 s[4:5], s27, v34
	global_load_dwordx4 v[46:49], v[38:39], off
	s_nop 0
	global_load_dwordx4 v[38:41], v[38:39], off offset:16
	v_cndmask_b32_e32 v37, v36, v66, vcc
	v_cndmask_b32_e64 v34, v36, v67, s[4:5]
	v_max3_f32 v58, v35, v37, v34
	v_mbcnt_lo_u32_b32 v34, -1, 0
	v_mbcnt_hi_u32_b32 v59, -1, v34
	v_and_b32_e32 v34, 64, v59
	v_add_u32_e32 v60, 64, v34
	v_xor_b32_e32 v34, 32, v59
	v_cmp_lt_i32_e64 s[38:39], v34, v60
	s_nop 1
	v_cndmask_b32_e64 v34, v59, v34, s[38:39]
	v_lshlrev_b32_e32 v87, 2, v34
	ds_bpermute_b32 v61, v87, v58
	v_lshl_add_u64 v[34:35], v[80:81], 0, v[54:55]
	global_load_dwordx4 v[42:45], v[34:35], off
	s_nop 0
	global_load_dwordx4 v[34:37], v[34:35], off offset:16
	s_waitcnt lgkmcnt(0)
	v_max_f32_e32 v54, v61, v61
	v_max_f32_e32 v62, v58, v54
	v_xor_b32_e32 v54, 16, v59
	v_cmp_lt_i32_e64 s[38:39], v54, v60
	s_nop 1
	v_cndmask_b32_e64 v54, v59, v54, s[38:39]
	v_lshlrev_b32_e32 v89, 2, v54
	ds_bpermute_b32 v63, v89, v62
	v_lshl_add_u64 v[54:55], v[80:81], 0, v[56:57]
	global_load_dwordx4 v[58:61], v[54:55], off
	s_nop 0
	global_load_dwordx4 v[54:57], v[54:55], off offset:16
	s_waitcnt lgkmcnt(0)
	v_max_f32_e32 v63, v63, v63
	v_max_f32_e32 v86, v62, v63
	v_sub_f32_e32 v52, v52, v86
	v_mul_f32_e32 v52, 0x3fb8aa3b, v52
	v_exp_f32_e32 v80, v52
	v_sub_f32_e32 v52, v53, v86
	v_mul_f32_e32 v52, 0x3fb8aa3b, v52
	v_exp_f32_e32 v81, v52
	global_load_dwordx4 v[62:65], v[50:51], off
	s_nop 0
	global_load_dwordx4 v[50:53], v[50:51], off offset:16
	v_sub_f32_e32 v78, v78, v86
	v_mul_f32_e32 v78, 0x3fb8aa3b, v78
	v_sub_f32_e32 v79, v79, v86
	v_exp_f32_e32 v78, v78
	v_mul_f32_e32 v79, 0x3fb8aa3b, v79
	v_sub_f32_e32 v76, v76, v86
	v_exp_f32_e32 v79, v79
	v_mul_f32_e32 v76, 0x3fb8aa3b, v76
	v_sub_f32_e32 v77, v77, v86
	v_cndmask_b32_e64 v80, 0, v80, s[28:29]
	v_exp_f32_e32 v76, v76
	v_mul_f32_e32 v77, 0x3fb8aa3b, v77
	v_sub_f32_e32 v74, v74, v86
	v_add_f32_e32 v91, 0, v80
	v_cndmask_b32_e64 v81, 0, v81, s[30:31]
	v_exp_f32_e32 v77, v77
	v_mul_f32_e32 v74, 0x3fb8aa3b, v74
	v_sub_f32_e32 v75, v75, v86
	v_add_f32_e32 v91, v91, v81
	v_cndmask_b32_e64 v78, 0, v78, s[34:35]
	v_exp_f32_e32 v74, v74
	v_mul_f32_e32 v75, 0x3fb8aa3b, v75
	v_sub_f32_e32 v72, v72, v86
	v_add_f32_e32 v91, v91, v78
	v_cndmask_b32_e64 v79, 0, v79, s[36:37]
	v_exp_f32_e32 v75, v75
	v_mul_f32_e32 v72, 0x3fb8aa3b, v72
	v_sub_f32_e32 v73, v73, v86
	v_add_f32_e32 v91, v91, v79
	v_cndmask_b32_e64 v76, 0, v76, s[22:23]
	v_exp_f32_e32 v72, v72
	v_mul_f32_e32 v73, 0x3fb8aa3b, v73
	v_sub_f32_e32 v70, v70, v86
	v_add_f32_e32 v91, v91, v76
	v_cndmask_b32_e64 v77, 0, v77, s[24:25]
	v_exp_f32_e32 v73, v73
	v_mul_f32_e32 v70, 0x3fb8aa3b, v70
	v_sub_f32_e32 v71, v71, v86
	v_add_f32_e32 v91, v91, v77
	v_cndmask_b32_e64 v74, 0, v74, s[18:19]
	v_exp_f32_e32 v70, v70
	v_mul_f32_e32 v71, 0x3fb8aa3b, v71
	v_sub_f32_e32 v68, v68, v86
	v_add_f32_e32 v91, v91, v74
	v_cndmask_b32_e64 v75, 0, v75, s[20:21]
	v_exp_f32_e32 v71, v71
	v_mul_f32_e32 v68, 0x3fb8aa3b, v68
	v_sub_f32_e32 v69, v69, v86
	v_add_f32_e32 v91, v91, v75
	v_cndmask_b32_e64 v72, 0, v72, s[14:15]
	v_exp_f32_e32 v68, v68
	v_mul_f32_e32 v69, 0x3fb8aa3b, v69
	v_sub_f32_e32 v66, v66, v86
	v_add_f32_e32 v91, v91, v72
	v_cndmask_b32_e64 v73, 0, v73, s[16:17]
	v_exp_f32_e32 v69, v69
	v_mul_f32_e32 v66, 0x3fb8aa3b, v66
	v_sub_f32_e32 v67, v67, v86
	v_add_f32_e32 v91, v91, v73
	v_cndmask_b32_e64 v70, 0, v70, s[10:11]
	v_exp_f32_e32 v66, v66
	v_mul_f32_e32 v67, 0x3fb8aa3b, v67
	v_add_f32_e32 v91, v91, v70
	v_cndmask_b32_e64 v71, 0, v71, s[12:13]
	v_exp_f32_e32 v67, v67
	v_add_f32_e32 v91, v91, v71
	v_cndmask_b32_e64 v68, 0, v68, s[6:7]
	v_add_f32_e32 v91, v91, v68
	v_cndmask_b32_e64 v69, 0, v69, s[8:9]
	v_add_f32_e32 v91, v91, v69
	v_cndmask_b32_e32 v66, 0, v66, vcc
	v_add_f32_e32 v91, v91, v66
	v_cndmask_b32_e64 v67, 0, v67, s[4:5]
	v_add_f32_e32 v91, v91, v67
	ds_bpermute_b32 v87, v87, v91
	s_load_dword s9, s[0:1], 0x98
	v_cmp_gt_u32_e64 s[4:5], 16, v85
	s_waitcnt lgkmcnt(0)
	s_barrier
	v_add_f32_e32 v87, v91, v87
	ds_bpermute_b32 v89, v89, v87
	s_waitcnt lgkmcnt(0)
	s_and_saveexec_b64 s[6:7], s[4:5]
	s_cbranch_execz .LBB700_17
; %bb.16:
	v_add_f32_e32 v85, v87, v89
	v_lshlrev_b32_e32 v87, 2, v90
	ds_write2st64_b32 v87, v86, v85 offset1:1
.LBB700_17:
	s_or_b64 exec, exec, s[6:7]
	v_lshlrev_b32_e32 v85, 2, v84
	s_load_dword s8, s[0:1], 0x94
	s_waitcnt lgkmcnt(0)
	s_barrier
	ds_read2_b32 v[90:91], v85 offset1:16
	ds_read2_b32 v[92:93], v85 offset0:32 offset1:48
	ds_read2_b32 v[94:95], v85 offset0:64 offset1:80
	s_movk_i32 s10, 0x7fff
	s_mov_b32 s11, 0x7060302
	s_waitcnt lgkmcnt(2)
	v_max3_f32 v86, v90, s33, v91
	s_waitcnt lgkmcnt(1)
	v_max3_f32 v86, v86, v92, v93
	v_sub_f32_e32 v87, v90, v86
	v_mul_f32_e32 v87, 0x3fb8aa3b, v87
	v_exp_f32_e32 v89, v87
	v_sub_f32_e32 v87, v91, v86
	v_mul_f32_e32 v87, 0x3fb8aa3b, v87
	v_exp_f32_e32 v88, v87
	v_sub_f32_e32 v87, v92, v86
	v_mul_f32_e32 v87, 0x3fb8aa3b, v87
	ds_read2_b32 v[90:91], v85 offset0:96 offset1:112
	v_sub_f32_e32 v85, v93, v86
	v_exp_f32_e32 v92, v87
	v_mul_f32_e32 v85, 0x3fb8aa3b, v85
	v_exp_f32_e32 v85, v85
	s_waitcnt lgkmcnt(1)
	v_fma_f32 v87, v89, v94, 0
	v_fmac_f32_e32 v87, v88, v95
	s_waitcnt lgkmcnt(0)
	v_fmac_f32_e32 v87, v92, v90
	v_fmac_f32_e32 v87, v85, v91
	v_add_f32_e32 v90, 0x358637bd, v87
	v_div_scale_f32 v91, s[6:7], v90, v90, 1.0
	v_rcp_f32_e32 v93, v91
	s_mul_i32 s9, s9, 13
	s_barrier
	v_fma_f32 v94, -v91, v93, 1.0
	v_fmac_f32_e32 v93, v94, v93
	v_div_scale_f32 v94, vcc, 1.0, v90, 1.0
	v_mul_f32_e32 v95, v94, v93
	v_fma_f32 v1, -v91, v95, v94
	v_fmac_f32_e32 v95, v1, v93
	v_fma_f32 v1, -v91, v95, v94
	v_lshrrev_b32_e32 v91, 6, v0
	v_div_fmas_f32 v1, v1, v93, v95
	v_cmp_eq_u32_e32 vcc, 1, v91
	v_div_fixup_f32 v1, v1, v90, 1.0
	s_nop 0
	v_cndmask_b32_e32 v88, v89, v88, vcc
	v_cmp_eq_u32_e32 vcc, 2, v91
	s_nop 1
	v_cndmask_b32_e32 v88, v88, v92, vcc
	v_cmp_eq_u32_e32 vcc, 3, v91
	s_nop 1
	v_cndmask_b32_e32 v85, v88, v85, vcc
	v_mul_f32_e32 v90, v85, v1
	v_pk_mul_f32 v[80:81], v[90:91], v[80:81] op_sel_hi:[0,1]
	v_bfe_u32 v1, v81, 16, 1
	v_bfe_u32 v85, v80, 16, 1
	v_pk_mul_f32 v[78:79], v[90:91], v[78:79] op_sel_hi:[0,1]
	v_add3_u32 v80, v80, v85, s10
	v_add3_u32 v1, v81, v1, s10
	v_perm_b32 v80, v1, v80, s11
	v_bfe_u32 v1, v79, 16, 1
	v_bfe_u32 v81, v78, 16, 1
	v_add3_u32 v78, v78, v81, s10
	v_add3_u32 v1, v79, v1, s10
	v_bfe_u32 v88, v0, 4, 2
	v_perm_b32 v81, v1, v78, s11
	v_lshlrev_b32_e32 v1, 3, v88
	v_lshlrev_b32_e32 v78, 5, v84
	;; [unrolled: 1-line block ×3, first 2 shown]
	v_pk_mul_f32 v[76:77], v[90:91], v[76:77] op_sel_hi:[0,1]
	v_or3_b32 v1, v79, v78, v1
	v_bfe_u32 v79, v77, 16, 1
	v_bfe_u32 v85, v76, 16, 1
	v_pk_mul_f32 v[74:75], v[90:91], v[74:75] op_sel_hi:[0,1]
	v_add3_u32 v76, v76, v85, s10
	v_add3_u32 v77, v77, v79, s10
	v_perm_b32 v76, v77, v76, s11
	v_bfe_u32 v77, v75, 16, 1
	v_bfe_u32 v79, v74, 16, 1
	v_add3_u32 v74, v74, v79, s10
	v_add3_u32 v75, v75, v77, s10
	v_pk_mul_f32 v[72:73], v[90:91], v[72:73] op_sel_hi:[0,1]
	v_perm_b32 v77, v75, v74, s11
	v_bfe_u32 v74, v73, 16, 1
	v_bfe_u32 v75, v72, 16, 1
	v_pk_mul_f32 v[70:71], v[90:91], v[70:71] op_sel_hi:[0,1]
	v_add3_u32 v72, v72, v75, s10
	v_add3_u32 v73, v73, v74, s10
	v_perm_b32 v72, v73, v72, s11
	v_bfe_u32 v73, v71, 16, 1
	v_bfe_u32 v74, v70, 16, 1
	v_add3_u32 v70, v70, v74, s10
	v_add3_u32 v71, v71, v73, s10
	v_pk_mul_f32 v[68:69], v[90:91], v[68:69] op_sel_hi:[0,1]
	v_perm_b32 v73, v71, v70, s11
	v_bfe_u32 v70, v69, 16, 1
	v_bfe_u32 v71, v68, 16, 1
	v_pk_mul_f32 v[66:67], v[90:91], v[66:67] op_sel_hi:[0,1]
	v_add3_u32 v68, v68, v71, s10
	v_add3_u32 v69, v69, v70, s10
	v_perm_b32 v68, v69, v68, s11
	v_bfe_u32 v69, v67, 16, 1
	v_bfe_u32 v70, v66, 16, 1
	v_add3_u32 v66, v66, v70, s10
	v_add3_u32 v67, v67, v69, s10
	v_perm_b32 v69, v67, v66, s11
	v_cmp_gt_u32_e32 vcc, 13, v0
	ds_write2st64_b64 v1, v[80:81], v[76:77] offset1:1
	ds_write2st64_b64 v1, v[72:73], v[68:69] offset0:2 offset1:3
	s_and_saveexec_b64 s[6:7], vcc
	s_cbranch_execz .LBB700_19
; %bb.18:
	s_mov_b32 s41, 0
	v_mov_b32_e32 v85, 0
	v_lshl_add_u64 v[66:67], s[40:41], 0, v[84:85]
	v_mov_b32_e32 v68, s9
	v_mad_u64_u32 v[66:67], s[16:17], s2, v68, v[66:67]
	s_mul_i32 s3, s3, s9
	v_mov_b32_e32 v68, s26
	v_mov_b32_e32 v69, v85
	s_load_dwordx4 s[12:15], s[0:1], 0x58
	v_add_u32_e32 v70, s3, v67
	v_mad_u64_u32 v[66:67], s[16:17], v66, s8, v[68:69]
	v_mov_b32_e32 v68, v67
	v_mad_u64_u32 v[68:69], s[16:17], v70, s8, v[68:69]
	v_mov_b32_e32 v67, v68
	v_lshlrev_b64 v[66:67], 2, v[66:67]
	s_waitcnt lgkmcnt(0)
	v_lshl_add_u64 v[68:69], s[14:15], 0, v[66:67]
	v_lshl_add_u64 v[66:67], s[12:13], 0, v[66:67]
	global_store_dword v[68:69], v86, off
	global_store_dword v[66:67], v87, off
.LBB700_19:
	s_or_b64 exec, exec, s[6:7]
	v_lshl_or_b32 v78, v88, 9, v78
	s_waitcnt lgkmcnt(0)
	s_barrier
	ds_read_b128 v[70:73], v78
	ds_read_b128 v[66:69], v78 offset:16
	s_waitcnt vmcnt(15) lgkmcnt(1)
	v_mfma_f32_16x16x16_bf16 v[74:77], v[30:31], v[70:71], 0
	s_mov_b32 s3, 0
	v_cmp_gt_u32_e32 vcc, 64, v0
	v_mfma_f32_16x16x16_bf16 v[30:33], v[32:33], v[72:73], v[74:77]
	s_waitcnt vmcnt(14) lgkmcnt(0)
	v_mfma_f32_16x16x16_bf16 v[30:33], v[26:27], v[66:67], v[30:33]
	v_mfma_f32_16x16x16_bf16 v[26:29], v[28:29], v[68:69], v[30:33]
	s_nop 5
	ds_read_b128 v[30:33], v78 offset:2048
	ds_read_b128 v[74:77], v78 offset:2064
	s_waitcnt vmcnt(13) lgkmcnt(1)
	v_mfma_f32_16x16x16_bf16 v[26:29], v[22:23], v[30:31], v[26:29]
	v_mfma_f32_16x16x16_bf16 v[22:25], v[24:25], v[32:33], v[26:29]
	s_waitcnt vmcnt(12) lgkmcnt(0)
	v_mfma_f32_16x16x16_bf16 v[22:25], v[18:19], v[74:75], v[22:25]
	v_mfma_f32_16x16x16_bf16 v[18:21], v[20:21], v[76:77], v[22:25]
	s_nop 5
	ds_read_b128 v[22:25], v78 offset:4096
	ds_read_b128 v[26:29], v78 offset:4112
	s_waitcnt vmcnt(11) lgkmcnt(1)
	v_mfma_f32_16x16x16_bf16 v[18:21], v[14:15], v[22:23], v[18:21]
	v_mfma_f32_16x16x16_bf16 v[14:17], v[16:17], v[24:25], v[18:21]
	s_waitcnt vmcnt(10) lgkmcnt(0)
	v_mfma_f32_16x16x16_bf16 v[14:17], v[10:11], v[26:27], v[14:17]
	v_mfma_f32_16x16x16_bf16 v[10:13], v[12:13], v[28:29], v[14:17]
	s_nop 5
	ds_read_b128 v[14:17], v78 offset:6144
	ds_read_b128 v[18:21], v78 offset:6160
	s_waitcnt lgkmcnt(0)
	s_barrier
	s_waitcnt vmcnt(9)
	v_mfma_f32_16x16x16_bf16 v[10:13], v[6:7], v[14:15], v[10:13]
	v_mfma_f32_16x16x16_bf16 v[6:9], v[8:9], v[16:17], v[10:13]
	s_waitcnt vmcnt(8)
	v_mfma_f32_16x16x16_bf16 v[6:9], v[2:3], v[18:19], v[6:9]
	v_mfma_f32_16x16x16_bf16 v[2:5], v[4:5], v[20:21], v[6:9]
	;; [unrolled: 3-line block ×3, first 2 shown]
	s_nop 3
	v_bfe_u32 v10, v3, 16, 1
	v_bfe_u32 v11, v2, 16, 1
	v_add3_u32 v2, v2, v11, s10
	s_waitcnt vmcnt(6)
	v_mfma_f32_16x16x16_bf16 v[6:9], v[38:39], v[66:67], v[6:9]
	v_add3_u32 v3, v3, v10, s10
	v_perm_b32 v10, v3, v2, s11
	v_bfe_u32 v2, v5, 16, 1
	v_mfma_f32_16x16x16_bf16 v[6:9], v[40:41], v[68:69], v[6:9]
	v_bfe_u32 v3, v4, 16, 1
	v_add3_u32 v3, v4, v3, s10
	v_add3_u32 v2, v5, v2, s10
	s_waitcnt vmcnt(5)
	v_mfma_f32_16x16x16_bf16 v[6:9], v[42:43], v[30:31], v[6:9]
	v_perm_b32 v11, v2, v3, s11
	v_mfma_f32_16x16x16_bf16 v[6:9], v[44:45], v[32:33], v[6:9]
	s_waitcnt vmcnt(4)
	v_mfma_f32_16x16x16_bf16 v[6:9], v[34:35], v[74:75], v[6:9]
	v_mfma_f32_16x16x16_bf16 v[6:9], v[36:37], v[76:77], v[6:9]
	s_waitcnt vmcnt(3)
	v_mfma_f32_16x16x16_bf16 v[6:9], v[58:59], v[22:23], v[6:9]
	;; [unrolled: 3-line block ×5, first 2 shown]
	v_mfma_f32_16x16x16_bf16 v[2:5], v[52:53], v[20:21], v[6:9]
	s_nop 6
	v_bfe_u32 v6, v3, 16, 1
	v_bfe_u32 v7, v2, 16, 1
	v_add3_u32 v2, v2, v7, s10
	v_add3_u32 v3, v3, v6, s10
	v_perm_b32 v2, v3, v2, s11
	v_bfe_u32 v3, v5, 16, 1
	v_bfe_u32 v6, v4, 16, 1
	v_add3_u32 v4, v4, v6, s10
	v_add3_u32 v3, v5, v3, s10
	v_perm_b32 v3, v3, v4, s11
	ds_write2st64_b64 v1, v[10:11], v[2:3] offset1:1
	s_waitcnt lgkmcnt(0)
	s_barrier
	s_and_saveexec_b64 s[6:7], vcc
	s_cbranch_execz .LBB700_22
; %bb.20:
	s_load_dwordx2 s[6:7], s[0:1], 0x68
	s_lshl_b32 s0, s8, 7
	s_mul_i32 s1, s9, s2
	v_lshlrev_b32_e32 v3, 6, v84
	s_mul_hi_u32 s9, s1, s0
	s_mul_i32 s8, s1, s0
	v_lshlrev_b32_e32 v2, 4, v0
	v_lshl_or_b32 v0, v0, 10, v3
	s_lshl_b64 s[8:9], s[8:9], 1
	v_lshlrev_b32_e32 v1, 5, v88
	v_and_b32_e32 v2, 16, v2
	v_and_b32_e32 v0, 0x1a00, v0
	s_waitcnt lgkmcnt(0)
	s_add_u32 s1, s6, s8
	v_or3_b32 v2, v0, v1, v2
	s_addc_u32 s6, s7, s9
	s_lshl_b32 s2, s26, 7
	ds_read_b128 v[4:7], v2 offset:256
	s_lshl_b64 s[2:3], s[2:3], 1
	ds_read_b128 v[8:11], v2 offset:128
	ds_read_b128 v[12:15], v2
	s_add_u32 s2, s1, s2
	s_addc_u32 s3, s6, s3
	v_add_u32_e32 v3, s40, v88
	v_lshl_add_u64 v[0:1], v[82:83], 1, s[2:3]
	v_mad_u64_u32 v[16:17], s[2:3], v3, s0, 0
	v_lshl_add_u64 v[16:17], v[16:17], 1, v[0:1]
	s_waitcnt lgkmcnt(0)
	global_store_dwordx4 v[16:17], v[12:15], off
	s_nop 1
	v_add_u32_e32 v12, 4, v3
	v_mad_u64_u32 v[12:13], s[2:3], v12, s0, 0
	v_lshl_add_u64 v[12:13], v[12:13], 1, v[0:1]
	v_add_u32_e32 v3, 8, v3
	global_store_dwordx4 v[12:13], v[8:11], off
	s_nop 1
	v_mad_u64_u32 v[8:9], s[2:3], v3, s0, 0
	v_lshl_add_u64 v[8:9], v[8:9], 1, v[0:1]
	global_store_dwordx4 v[8:9], v[4:7], off
	s_and_b64 exec, exec, s[4:5]
	s_cbranch_execz .LBB700_22
; %bb.21:
	ds_read_b128 v[2:5], v2 offset:384
	v_add3_u32 v6, s40, v88, 12
	v_mad_u64_u32 v[6:7], s[0:1], v6, s0, 0
	v_lshl_add_u64 v[0:1], v[6:7], 1, v[0:1]
	s_waitcnt lgkmcnt(0)
	global_store_dwordx4 v[0:1], v[2:5], off
.LBB700_22:
	s_endpgm
	.section	.rodata,"a",@progbits
	.p2align	6, 0x0
	.amdhsa_kernel _Z39paged_attention_ll4mi_QKV_mfma16_kernelI14__hip_bfloat16S0_LN4vllm18Fp8KVCacheDataTypeE0EhLi32ELi128ELi256ELb1ELi13EEvPKT_PKT0_S8_ifPKiSA_SA_iPKfiiiPfSD_PS3_PT2_iSC_SC_
		.amdhsa_group_segment_fixed_size 8192
		.amdhsa_private_segment_fixed_size 0
		.amdhsa_kernarg_size 400
		.amdhsa_user_sgpr_count 2
		.amdhsa_user_sgpr_dispatch_ptr 0
		.amdhsa_user_sgpr_queue_ptr 0
		.amdhsa_user_sgpr_kernarg_segment_ptr 1
		.amdhsa_user_sgpr_dispatch_id 0
		.amdhsa_user_sgpr_kernarg_preload_length 0
		.amdhsa_user_sgpr_kernarg_preload_offset 0
		.amdhsa_user_sgpr_private_segment_size 0
		.amdhsa_uses_dynamic_stack 0
		.amdhsa_enable_private_segment 0
		.amdhsa_system_sgpr_workgroup_id_x 1
		.amdhsa_system_sgpr_workgroup_id_y 1
		.amdhsa_system_sgpr_workgroup_id_z 1
		.amdhsa_system_sgpr_workgroup_info 0
		.amdhsa_system_vgpr_workitem_id 0
		.amdhsa_next_free_vgpr 96
		.amdhsa_next_free_sgpr 42
		.amdhsa_accum_offset 96
		.amdhsa_reserve_vcc 1
		.amdhsa_float_round_mode_32 0
		.amdhsa_float_round_mode_16_64 0
		.amdhsa_float_denorm_mode_32 3
		.amdhsa_float_denorm_mode_16_64 3
		.amdhsa_dx10_clamp 1
		.amdhsa_ieee_mode 1
		.amdhsa_fp16_overflow 0
		.amdhsa_tg_split 0
		.amdhsa_exception_fp_ieee_invalid_op 0
		.amdhsa_exception_fp_denorm_src 0
		.amdhsa_exception_fp_ieee_div_zero 0
		.amdhsa_exception_fp_ieee_overflow 0
		.amdhsa_exception_fp_ieee_underflow 0
		.amdhsa_exception_fp_ieee_inexact 0
		.amdhsa_exception_int_div_zero 0
	.end_amdhsa_kernel
	.section	.text._Z39paged_attention_ll4mi_QKV_mfma16_kernelI14__hip_bfloat16S0_LN4vllm18Fp8KVCacheDataTypeE0EhLi32ELi128ELi256ELb1ELi13EEvPKT_PKT0_S8_ifPKiSA_SA_iPKfiiiPfSD_PS3_PT2_iSC_SC_,"axG",@progbits,_Z39paged_attention_ll4mi_QKV_mfma16_kernelI14__hip_bfloat16S0_LN4vllm18Fp8KVCacheDataTypeE0EhLi32ELi128ELi256ELb1ELi13EEvPKT_PKT0_S8_ifPKiSA_SA_iPKfiiiPfSD_PS3_PT2_iSC_SC_,comdat
.Lfunc_end700:
	.size	_Z39paged_attention_ll4mi_QKV_mfma16_kernelI14__hip_bfloat16S0_LN4vllm18Fp8KVCacheDataTypeE0EhLi32ELi128ELi256ELb1ELi13EEvPKT_PKT0_S8_ifPKiSA_SA_iPKfiiiPfSD_PS3_PT2_iSC_SC_, .Lfunc_end700-_Z39paged_attention_ll4mi_QKV_mfma16_kernelI14__hip_bfloat16S0_LN4vllm18Fp8KVCacheDataTypeE0EhLi32ELi128ELi256ELb1ELi13EEvPKT_PKT0_S8_ifPKiSA_SA_iPKfiiiPfSD_PS3_PT2_iSC_SC_
                                        ; -- End function
	.section	.AMDGPU.csdata,"",@progbits
; Kernel info:
; codeLenInByte = 5236
; NumSgprs: 48
; NumVgprs: 96
; NumAgprs: 0
; TotalNumVgprs: 96
; ScratchSize: 0
; MemoryBound: 0
; FloatMode: 240
; IeeeMode: 1
; LDSByteSize: 8192 bytes/workgroup (compile time only)
; SGPRBlocks: 5
; VGPRBlocks: 11
; NumSGPRsForWavesPerEU: 48
; NumVGPRsForWavesPerEU: 96
; AccumOffset: 96
; Occupancy: 5
; WaveLimiterHint : 1
; COMPUTE_PGM_RSRC2:SCRATCH_EN: 0
; COMPUTE_PGM_RSRC2:USER_SGPR: 2
; COMPUTE_PGM_RSRC2:TRAP_HANDLER: 0
; COMPUTE_PGM_RSRC2:TGID_X_EN: 1
; COMPUTE_PGM_RSRC2:TGID_Y_EN: 1
; COMPUTE_PGM_RSRC2:TGID_Z_EN: 1
; COMPUTE_PGM_RSRC2:TIDIG_COMP_CNT: 0
; COMPUTE_PGM_RSRC3_GFX90A:ACCUM_OFFSET: 23
; COMPUTE_PGM_RSRC3_GFX90A:TG_SPLIT: 0
	.section	.text._Z39paged_attention_ll4mi_QKV_mfma16_kernelI14__hip_bfloat16S0_LN4vllm18Fp8KVCacheDataTypeE0EhLi32ELi128ELi256ELb1ELi14EEvPKT_PKT0_S8_ifPKiSA_SA_iPKfiiiPfSD_PS3_PT2_iSC_SC_,"axG",@progbits,_Z39paged_attention_ll4mi_QKV_mfma16_kernelI14__hip_bfloat16S0_LN4vllm18Fp8KVCacheDataTypeE0EhLi32ELi128ELi256ELb1ELi14EEvPKT_PKT0_S8_ifPKiSA_SA_iPKfiiiPfSD_PS3_PT2_iSC_SC_,comdat
	.protected	_Z39paged_attention_ll4mi_QKV_mfma16_kernelI14__hip_bfloat16S0_LN4vllm18Fp8KVCacheDataTypeE0EhLi32ELi128ELi256ELb1ELi14EEvPKT_PKT0_S8_ifPKiSA_SA_iPKfiiiPfSD_PS3_PT2_iSC_SC_ ; -- Begin function _Z39paged_attention_ll4mi_QKV_mfma16_kernelI14__hip_bfloat16S0_LN4vllm18Fp8KVCacheDataTypeE0EhLi32ELi128ELi256ELb1ELi14EEvPKT_PKT0_S8_ifPKiSA_SA_iPKfiiiPfSD_PS3_PT2_iSC_SC_
	.globl	_Z39paged_attention_ll4mi_QKV_mfma16_kernelI14__hip_bfloat16S0_LN4vllm18Fp8KVCacheDataTypeE0EhLi32ELi128ELi256ELb1ELi14EEvPKT_PKT0_S8_ifPKiSA_SA_iPKfiiiPfSD_PS3_PT2_iSC_SC_
	.p2align	8
	.type	_Z39paged_attention_ll4mi_QKV_mfma16_kernelI14__hip_bfloat16S0_LN4vllm18Fp8KVCacheDataTypeE0EhLi32ELi128ELi256ELb1ELi14EEvPKT_PKT0_S8_ifPKiSA_SA_iPKfiiiPfSD_PS3_PT2_iSC_SC_,@function
_Z39paged_attention_ll4mi_QKV_mfma16_kernelI14__hip_bfloat16S0_LN4vllm18Fp8KVCacheDataTypeE0EhLi32ELi128ELi256ELb1ELi14EEvPKT_PKT0_S8_ifPKiSA_SA_iPKfiiiPfSD_PS3_PT2_iSC_SC_: ; @_Z39paged_attention_ll4mi_QKV_mfma16_kernelI14__hip_bfloat16S0_LN4vllm18Fp8KVCacheDataTypeE0EhLi32ELi128ELi256ELb1ELi14EEvPKT_PKT0_S8_ifPKiSA_SA_iPKfiiiPfSD_PS3_PT2_iSC_SC_
; %bb.0:
	s_load_dwordx2 s[8:9], s[0:1], 0x30
	s_mov_b32 s26, s3
	s_mov_b64 s[6:7], 0
	s_waitcnt lgkmcnt(0)
	s_cmp_lg_u64 s[8:9], 0
	s_cselect_b64 s[10:11], -1, 0
	s_and_b64 vcc, exec, s[10:11]
	s_cbranch_vccz .LBB701_7
; %bb.1:
	s_add_i32 s12, s2, 1
	s_mov_b32 s13, 0
	s_lshl_b64 s[14:15], s[12:13], 2
	s_add_u32 s14, s8, s14
	s_mov_b32 s3, s13
	s_addc_u32 s15, s9, s15
	s_lshl_b64 s[12:13], s[2:3], 2
	s_add_u32 s12, s8, s12
	s_addc_u32 s13, s9, s13
	s_load_dword s5, s[14:15], 0x0
	s_load_dword s16, s[12:13], 0x0
	s_waitcnt lgkmcnt(0)
	s_sub_i32 s5, s5, s16
	s_cmp_eq_u32 s5, 1
	s_cselect_b64 s[12:13], -1, 0
	s_andn2_b64 vcc, exec, s[6:7]
	s_cbranch_vccnz .LBB701_3
.LBB701_2:
	s_mov_b32 s3, 0
	s_mov_b64 s[12:13], -1
.LBB701_3:
	s_andn2_b64 vcc, exec, s[12:13]
	s_cbranch_vccnz .LBB701_22
; %bb.4:
	s_load_dwordx2 s[6:7], s[0:1], 0x28
	s_lshl_b64 s[12:13], s[2:3], 2
	s_waitcnt lgkmcnt(0)
	s_add_u32 s6, s6, s12
	s_addc_u32 s7, s7, s13
	s_load_dword s27, s[6:7], 0x0
	s_lshl_b32 s18, s26, 8
	s_waitcnt lgkmcnt(0)
	s_cmp_ge_i32 s18, s27
	s_cbranch_scc1 .LBB701_22
; %bb.5:
	s_load_dwordx2 s[6:7], s[0:1], 0x20
	s_load_dword s5, s[0:1], 0x38
	s_add_i32 s14, s27, 31
	s_ashr_i32 s15, s14, 31
	v_and_b32_e32 v1, 0xcf, v0
	s_lshr_b32 s15, s15, 27
	v_add_u32_e32 v1, s18, v1
	s_add_i32 s14, s14, s15
	v_ashrrev_i32_e32 v2, 31, v1
	s_ashr_i32 s19, s14, 5
	v_lshrrev_b32_e32 v4, 27, v2
	s_add_i32 s19, s19, -1
	s_waitcnt lgkmcnt(0)
	s_mul_i32 s14, s2, s5
	s_mov_b32 s15, 0
	v_add_u32_e32 v2, v1, v4
	s_lshl_b64 s[14:15], s[14:15], 2
	v_ashrrev_i32_e32 v2, 5, v2
	v_mov_b32_e32 v5, s19
	v_cmp_gt_i32_e32 vcc, s27, v1
	s_add_u32 s6, s6, s14
	s_addc_u32 s7, s7, s15
	v_cndmask_b32_e32 v2, v5, v2, vcc
	v_ashrrev_i32_e32 v3, 31, v2
	v_lshl_add_u64 v[6:7], v[2:3], 2, s[6:7]
	v_or_b32_e32 v2, 16, v1
	v_add_u32_e32 v3, v2, v4
	v_ashrrev_i32_e32 v3, 5, v3
	v_cmp_gt_i32_e32 vcc, s27, v2
	s_nop 1
	v_cndmask_b32_e32 v2, v5, v3, vcc
	v_ashrrev_i32_e32 v3, 31, v2
	v_lshl_add_u64 v[8:9], v[2:3], 2, s[6:7]
	v_or_b32_e32 v2, 32, v1
	v_add_u32_e32 v3, v2, v4
	v_ashrrev_i32_e32 v3, 5, v3
	v_cmp_gt_i32_e32 vcc, s27, v2
	v_or_b32_e32 v1, 48, v1
	s_nop 0
	v_cndmask_b32_e32 v2, v5, v3, vcc
	v_ashrrev_i32_e32 v3, 31, v2
	v_lshl_add_u64 v[10:11], v[2:3], 2, s[6:7]
	v_add_u32_e32 v2, v1, v4
	v_ashrrev_i32_e32 v2, 5, v2
	v_cmp_gt_i32_e32 vcc, s27, v1
	s_nop 1
	v_cndmask_b32_e32 v2, v5, v2, vcc
	v_ashrrev_i32_e32 v3, 31, v2
	v_lshl_add_u64 v[12:13], v[2:3], 2, s[6:7]
	global_load_dword v5, v[6:7], off
	global_load_dword v4, v[8:9], off
	;; [unrolled: 1-line block ×4, first 2 shown]
	s_andn2_b64 vcc, exec, s[10:11]
	s_cbranch_vccnz .LBB701_8
; %bb.6:
	s_add_u32 s8, s8, s12
	s_addc_u32 s9, s9, s13
	s_load_dword s5, s[8:9], 0x0
	s_branch .LBB701_9
.LBB701_7:
	s_mov_b64 s[12:13], 0
	s_branch .LBB701_2
.LBB701_8:
	s_mov_b32 s5, s2
.LBB701_9:
	s_load_dwordx2 s[14:15], s[0:1], 0x8
	s_load_dwordx4 s[8:11], s[0:1], 0x48
	v_lshrrev_b32_e32 v88, 6, v0
	v_bfe_u32 v1, v0, 4, 2
	v_lshl_or_b32 v6, v88, 2, v1
	v_and_b32_e32 v84, 15, v0
	v_lshlrev_b32_e32 v82, 3, v84
	v_cmp_lt_u32_e32 vcc, 13, v6
	s_and_saveexec_b64 s[12:13], vcc
	s_xor_b64 s[12:13], exec, s[12:13]
; %bb.10:
	v_mov_b32_e32 v83, 0
                                        ; implicit-def: $vgpr6
; %bb.11:
	s_or_saveexec_b64 s[16:17], s[12:13]
	s_load_dwordx2 s[12:13], s[0:1], 0x10
	s_mul_i32 s40, s4, 14
	s_xor_b64 exec, exec, s[16:17]
	s_cbranch_execz .LBB701_13
; %bb.12:
	s_load_dwordx2 s[20:21], s[0:1], 0x0
	s_waitcnt lgkmcnt(0)
	s_ashr_i32 s11, s8, 31
	s_mul_hi_u32 s22, s5, s8
	s_mul_i32 s11, s5, s11
	s_add_i32 s23, s22, s11
	s_mul_i32 s22, s5, s8
	s_lshl_b64 s[22:23], s[22:23], 1
	s_add_u32 s20, s20, s22
	v_add_lshl_u32 v8, v6, s40, 7
	s_addc_u32 s21, s21, s23
	v_ashrrev_i32_e32 v9, 31, v8
	v_mov_b32_e32 v83, 0
	v_lshl_add_u64 v[8:9], v[8:9], 1, s[20:21]
	v_lshlrev_b32_e32 v10, 1, v82
	v_mov_b32_e32 v11, v83
	v_lshl_add_u64 v[8:9], v[8:9], 0, v[10:11]
	global_load_dwordx4 v[8:11], v[8:9], off
	v_and_b32_e32 v7, 3, v0
	v_lshlrev_b32_e32 v12, 9, v84
	v_lshlrev_b32_e32 v6, 5, v6
	;; [unrolled: 1-line block ×3, first 2 shown]
	v_and_b32_e32 v12, 0x1800, v12
	v_or3_b32 v6, v12, v7, v6
	s_waitcnt vmcnt(0)
	ds_write_b128 v6, v[8:11]
.LBB701_13:
	s_or_b64 exec, exec, s[16:17]
	s_waitcnt lgkmcnt(0)
	s_mul_i32 s4, s4, s10
	s_mov_b32 s5, 0
	s_lshl_b64 s[4:5], s[4:5], 1
	s_add_u32 s10, s14, s4
	s_addc_u32 s11, s15, s5
	s_waitcnt vmcnt(3)
	v_mad_i64_i32 v[6:7], s[14:15], v5, s9, 0
	v_lshl_add_u64 v[6:7], v[6:7], 1, s[10:11]
	v_lshlrev_b64 v[8:9], 1, v[82:83]
	v_lshlrev_b32_e32 v86, 9, v1
	v_lshl_add_u64 v[6:7], v[6:7], 0, v[8:9]
	v_mov_b32_e32 v87, 0
	v_lshl_add_u64 v[10:11], v[6:7], 0, v[86:87]
	v_or_b32_e32 v14, 0x1000, v86
	v_mov_b32_e32 v15, v87
	v_or_b32_e32 v16, 0x1800, v86
	v_mov_b32_e32 v17, v87
	s_barrier
	global_load_dwordx4 v[66:69], v[10:11], off
	global_load_dwordx4 v[62:65], v[10:11], off offset:2048
	v_lshl_add_u64 v[10:11], v[6:7], 0, v[14:15]
	v_lshl_add_u64 v[6:7], v[6:7], 0, v[16:17]
	global_load_dwordx4 v[78:81], v[10:11], off
	global_load_dwordx4 v[74:77], v[6:7], off
	s_waitcnt vmcnt(6)
	v_mad_i64_i32 v[4:5], s[14:15], v4, s9, 0
	v_mov_b32_e32 v6, 0x100
	v_lshl_add_u64 v[4:5], v[4:5], 1, s[10:11]
	v_lshl_or_b32 v6, v84, 4, v6
	v_mov_b32_e32 v7, v87
	v_lshl_add_u64 v[4:5], v[4:5], 0, v[6:7]
	v_lshl_add_u64 v[10:11], v[4:5], 0, v[86:87]
	global_load_dwordx4 v[70:73], v[10:11], off
	global_load_dwordx4 v[58:61], v[10:11], off offset:2048
	v_lshl_add_u64 v[10:11], v[4:5], 0, v[14:15]
	v_lshl_add_u64 v[4:5], v[4:5], 0, v[16:17]
	global_load_dwordx4 v[54:57], v[10:11], off
	global_load_dwordx4 v[30:33], v[4:5], off
	s_waitcnt vmcnt(9)
	v_mad_i64_i32 v[4:5], s[14:15], v3, s9, 0
	v_lshl_add_u64 v[4:5], v[4:5], 1, s[10:11]
	s_waitcnt vmcnt(8)
	v_mad_i64_i32 v[2:3], s[14:15], v2, s9, 0
	v_lshl_add_u64 v[4:5], v[4:5], 0, v[8:9]
	v_lshl_add_u64 v[2:3], v[2:3], 1, s[10:11]
	;; [unrolled: 1-line block ×4, first 2 shown]
	global_load_dwordx4 v[26:29], v[8:9], off
	global_load_dwordx4 v[22:25], v[8:9], off offset:2048
	v_lshl_add_u64 v[8:9], v[4:5], 0, v[14:15]
	v_lshl_add_u64 v[4:5], v[4:5], 0, v[16:17]
	;; [unrolled: 1-line block ×4, first 2 shown]
	global_load_dwordx4 v[18:21], v[8:9], off
	global_load_dwordx4 v[10:13], v[4:5], off
	s_nop 0
	global_load_dwordx4 v[6:9], v[2:3], off
	s_nop 0
	global_load_dwordx4 v[2:5], v[2:3], off offset:2048
	v_lshl_add_u64 v[16:17], v[34:35], 0, v[16:17]
	global_load_dwordx4 v[38:41], v[14:15], off
	global_load_dwordx4 v[34:37], v[16:17], off
	v_add_u32_e32 v14, -14, v84
	v_cmp_gt_u32_e32 vcc, 14, v84
	v_and_b32_e32 v85, 63, v0
	v_mov_b32_e32 v89, 0
	v_cndmask_b32_e32 v14, v14, v84, vcc
	v_lshl_add_u32 v42, v14, 5, v86
	ds_read_b128 v[14:17], v42
	ds_read_b128 v[50:53], v42 offset:2048
	ds_read_b128 v[46:49], v42 offset:4096
	ds_read_b128 v[42:45], v42 offset:6144
	s_and_saveexec_b64 s[10:11], vcc
	s_cbranch_execz .LBB701_15
; %bb.14:
	s_load_dwordx2 s[14:15], s[0:1], 0x40
	v_add_u32_e32 v90, s40, v84
	v_ashrrev_i32_e32 v91, 31, v90
	s_waitcnt lgkmcnt(0)
	v_lshl_add_u64 v[90:91], v[90:91], 2, s[14:15]
	global_load_dword v89, v[90:91], off
.LBB701_15:
	s_or_b64 exec, exec, s[10:11]
	s_waitcnt vmcnt(15) lgkmcnt(3)
	v_mfma_f32_16x16x16_bf16 v[90:93], v[66:67], v[14:15], 0
	s_ashr_i32 s8, s18, 31
	s_lshr_b32 s8, s8, 27
	s_add_u32 s4, s12, s4
	v_mfma_f32_16x16x16_bf16 v[66:69], v[68:69], v[16:17], v[90:93]
	s_addc_u32 s5, s13, s5
	s_mov_b32 s33, 0xff7fffff
	s_waitcnt vmcnt(14) lgkmcnt(2)
	v_mfma_f32_16x16x16_bf16 v[66:69], v[62:63], v[50:51], v[66:69]
	v_lshl_or_b32 v90, v88, 4, v84
	v_mfma_f32_16x16x16_bf16 v[62:65], v[64:65], v[52:53], v[66:69]
	s_waitcnt vmcnt(13) lgkmcnt(1)
	v_mfma_f32_16x16x16_bf16 v[62:65], v[78:79], v[46:47], v[62:65]
	v_mfma_f32_16x16x16_bf16 v[62:65], v[80:81], v[48:49], v[62:65]
	s_waitcnt vmcnt(12) lgkmcnt(0)
	v_mfma_f32_16x16x16_bf16 v[62:65], v[74:75], v[42:43], v[62:65]
	v_and_or_b32 v74, v0, 48, s18
	v_add_u32_e32 v66, s8, v74
	v_ashrrev_i32_e32 v75, 5, v66
	s_waitcnt vmcnt(11)
	v_mfma_f32_16x16x16_bf16 v[66:69], v[70:71], v[14:15], 0
	v_cmp_gt_i32_e32 vcc, s27, v74
	v_mfma_f32_16x16x16_bf16 v[66:69], v[72:73], v[16:17], v[66:69]
	v_or_b32_e32 v72, 64, v74
	v_add_u32_e32 v73, s8, v72
	s_waitcnt vmcnt(10)
	v_mfma_f32_16x16x16_bf16 v[66:69], v[58:59], v[50:51], v[66:69]
	v_ashrrev_i32_e32 v58, 5, v73
	v_mfma_f32_16x16x16_bf16 v[62:65], v[76:77], v[44:45], v[62:65]
	v_mov_b32_e32 v76, s19
	v_cndmask_b32_e32 v70, v76, v75, vcc
	v_cmp_gt_i32_e32 vcc, s27, v72
	v_ashrrev_i32_e32 v71, 31, v70
	v_lshl_add_u64 v[70:71], v[70:71], 2, s[6:7]
	v_cndmask_b32_e32 v72, v76, v58, vcc
	v_mfma_f32_16x16x16_bf16 v[58:61], v[60:61], v[52:53], v[66:69]
	v_ashrrev_i32_e32 v73, 31, v72
	s_waitcnt vmcnt(9)
	v_mfma_f32_16x16x16_bf16 v[58:61], v[54:55], v[46:47], v[58:61]
	v_lshl_add_u64 v[66:67], v[72:73], 2, s[6:7]
	global_load_dword v68, v[70:71], off
	s_nop 0
	global_load_dword v66, v[66:67], off
	v_or_b32_e32 v67, 0x80, v74
	v_add_u32_e32 v69, s8, v67
	v_mfma_f32_16x16x16_bf16 v[54:57], v[56:57], v[48:49], v[58:61]
	v_cmp_gt_i32_e32 vcc, s27, v67
	s_nop 1
	v_ashrrev_i32_e32 v58, 5, v69
	v_cndmask_b32_e32 v58, v76, v58, vcc
	v_ashrrev_i32_e32 v59, 31, v58
	s_waitcnt vmcnt(10)
	v_mfma_f32_16x16x16_bf16 v[54:57], v[30:31], v[42:43], v[54:57]
	v_lshl_add_u64 v[30:31], v[58:59], 2, s[6:7]
	global_load_dword v70, v[30:31], off
	v_mfma_f32_16x16x16_bf16 v[58:61], v[32:33], v[44:45], v[54:57]
	s_nop 3
	v_or_b32_e32 v54, 0xc0, v74
	v_add_u32_e32 v30, s8, v54
	v_ashrrev_i32_e32 v55, 5, v30
	v_cmp_gt_i32_e32 vcc, s27, v54
	s_waitcnt vmcnt(10)
	v_mfma_f32_16x16x16_bf16 v[30:33], v[26:27], v[14:15], 0
	v_cndmask_b32_e32 v26, v76, v55, vcc
	v_ashrrev_i32_e32 v27, 31, v26
	v_lshl_add_u64 v[54:55], v[26:27], 2, s[6:7]
	global_load_dword v71, v[54:55], off
	v_mfma_f32_16x16x16_bf16 v[26:29], v[28:29], v[16:17], v[30:33]
	s_load_dword s6, s[0:1], 0x1c
	s_waitcnt vmcnt(10)
	v_mfma_f32_16x16x16_bf16 v[26:29], v[22:23], v[50:51], v[26:29]
	v_and_b32_e32 v30, 16, v0
	v_lshlrev_b32_e32 v86, 1, v30
	v_lshl_add_u64 v[74:75], s[4:5], 0, v[86:87]
	v_mfma_f32_16x16x16_bf16 v[22:25], v[24:25], v[52:53], v[26:29]
	v_lshlrev_b32_e32 v86, 6, v90
	v_lshl_add_u64 v[76:77], v[74:75], 0, v[86:87]
	v_or_b32_e32 v86, 0x1000, v86
	s_waitcnt vmcnt(9)
	v_mfma_f32_16x16x16_bf16 v[22:25], v[18:19], v[46:47], v[22:25]
	v_lshl_add_u64 v[80:81], v[74:75], 0, v[86:87]
	s_waitcnt lgkmcnt(0)
	v_pk_mul_f32 v[74:75], s[6:7], v[60:61] op_sel_hi:[0,1]
	v_mfma_f32_16x16x16_bf16 v[18:21], v[20:21], v[48:49], v[22:25]
	s_waitcnt vmcnt(8)
	v_mfma_f32_16x16x16_bf16 v[18:21], v[10:11], v[42:43], v[18:21]
	s_waitcnt vmcnt(3)
	v_mad_i64_i32 v[22:23], s[4:5], v68, s9, 0
	s_waitcnt vmcnt(2)
	v_mad_i64_i32 v[10:11], s[4:5], v66, s9, 0
	v_lshlrev_b64 v[78:79], 1, v[22:23]
	v_lshlrev_b64 v[54:55], 1, v[10:11]
	v_lshl_add_u64 v[22:23], v[76:77], 0, v[78:79]
	v_lshl_add_u64 v[10:11], v[76:77], 0, v[54:55]
	global_load_dwordx4 v[30:33], v[22:23], off
	global_load_dwordx4 v[26:29], v[22:23], off offset:16
	v_mfma_f32_16x16x16_bf16 v[66:69], v[12:13], v[44:45], v[18:21]
	global_load_dwordx4 v[22:25], v[10:11], off
	s_nop 1
	global_load_dwordx4 v[18:21], v[10:11], off offset:16
	v_mfma_f32_16x16x16_bf16 v[10:13], v[6:7], v[14:15], 0
	s_waitcnt vmcnt(5)
	v_mad_i64_i32 v[6:7], s[4:5], v70, s9, 0
	v_lshlrev_b64 v[56:57], 1, v[6:7]
	v_mfma_f32_16x16x16_bf16 v[6:9], v[8:9], v[16:17], v[10:13]
	v_mfma_f32_16x16x16_bf16 v[6:9], v[2:3], v[50:51], v[6:9]
	s_nop 1
	v_lshl_add_u64 v[10:11], v[76:77], 0, v[56:57]
	global_load_dwordx4 v[14:17], v[10:11], off
	s_nop 0
	global_load_dwordx4 v[10:13], v[10:11], off offset:16
	s_waitcnt vmcnt(6)
	v_mad_i64_i32 v[2:3], s[4:5], v71, s9, 0
	v_mfma_f32_16x16x16_bf16 v[70:73], v[4:5], v[52:53], v[6:9]
	v_pk_mul_f32 v[52:53], s[6:7], v[62:63] op_sel_hi:[0,1]
	v_lshlrev_b64 v[50:51], 1, v[2:3]
	v_lshl_add_u64 v[2:3], v[76:77], 0, v[50:51]
	v_mfma_f32_16x16x16_bf16 v[70:73], v[38:39], v[46:47], v[70:73]
	v_lshl_add_u64 v[38:39], v[80:81], 0, v[78:79]
	v_pk_mul_f32 v[78:79], s[6:7], v[64:65] op_sel_hi:[0,1]
	v_pk_mul_f32 v[76:77], s[6:7], v[58:59] op_sel_hi:[0,1]
	v_mfma_f32_16x16x16_bf16 v[46:49], v[40:41], v[48:49], v[70:73]
	v_lshl_add_u64 v[50:51], v[80:81], 0, v[50:51]
	global_load_dwordx4 v[6:9], v[2:3], off
	s_nop 0
	global_load_dwordx4 v[2:5], v[2:3], off offset:16
	v_pk_mul_f32 v[70:71], s[6:7], v[68:69] op_sel_hi:[0,1]
	v_mfma_f32_16x16x16_bf16 v[40:43], v[34:35], v[42:43], v[46:49]
	v_pk_mul_f32 v[72:73], s[6:7], v[66:67] op_sel_hi:[0,1]
	v_mfma_f32_16x16x16_bf16 v[34:37], v[36:37], v[44:45], v[40:43]
	s_nop 6
	v_pk_mul_f32 v[68:69], s[6:7], v[34:35] op_sel_hi:[0,1]
	v_and_b32_e32 v34, 0xc0, v0
	v_add_u32_e32 v34, s18, v34
	v_lshl_or_b32 v34, v1, 2, v34
	v_or_b32_e32 v35, 1, v34
	v_pk_mul_f32 v[66:67], s[6:7], v[36:37] op_sel_hi:[0,1]
	v_subrev_u32_e32 v36, s27, v35
	v_add_u32_e32 v40, 1, v36
	v_add_u32_e32 v41, 2, v36
	v_cvt_f32_i32_e32 v37, v36
	v_cvt_f32_i32_e32 v40, v40
	;; [unrolled: 1-line block ×3, first 2 shown]
	v_add_u32_e32 v42, 3, v36
	v_fma_f32 v52, v89, v37, v52
	v_fmac_f32_e32 v53, v89, v40
	v_fma_f32 v78, v89, v41, v78
	v_add_u32_e32 v37, 16, v36
	v_add_u32_e32 v40, 17, v36
	;; [unrolled: 1-line block ×3, first 2 shown]
	v_cvt_f32_i32_e32 v42, v42
	v_cvt_f32_i32_e32 v37, v37
	;; [unrolled: 1-line block ×4, first 2 shown]
	v_fmac_f32_e32 v79, v89, v42
	v_add_u32_e32 v42, 19, v36
	v_fma_f32 v76, v89, v37, v76
	v_fmac_f32_e32 v77, v89, v40
	v_fma_f32 v74, v89, v41, v74
	v_add_u32_e32 v37, 32, v36
	v_add_u32_e32 v40, 33, v36
	;; [unrolled: 1-line block ×3, first 2 shown]
	v_cvt_f32_i32_e32 v42, v42
	v_cvt_f32_i32_e32 v37, v37
	;; [unrolled: 1-line block ×4, first 2 shown]
	v_fmac_f32_e32 v75, v89, v42
	v_add_u32_e32 v42, 35, v36
	v_fma_f32 v72, v89, v37, v72
	v_fmac_f32_e32 v73, v89, v40
	v_fma_f32 v70, v89, v41, v70
	v_add_u32_e32 v37, 48, v36
	v_add_u32_e32 v40, 49, v36
	;; [unrolled: 1-line block ×4, first 2 shown]
	v_cvt_f32_i32_e32 v36, v36
	v_cvt_f32_i32_e32 v37, v37
	;; [unrolled: 1-line block ×3, first 2 shown]
	v_cmp_gt_i32_e64 s[28:29], s27, v34
	v_fmac_f32_e32 v67, v89, v36
	v_mov_b32_e32 v36, 0xff7fffff
	v_cmp_gt_i32_e64 s[30:31], s27, v35
	v_fma_f32 v68, v89, v37, v68
	v_cndmask_b32_e64 v37, v36, v52, s[28:29]
	v_cndmask_b32_e64 v35, v36, v53, s[30:31]
	v_fmac_f32_e32 v69, v89, v40
	v_max3_f32 v35, v37, s33, v35
	v_or_b32_e32 v37, 2, v34
	v_or_b32_e32 v40, 3, v34
	v_cmp_gt_i32_e64 s[34:35], s27, v37
	v_cmp_gt_i32_e64 s[36:37], s27, v40
	v_cvt_f32_i32_e32 v42, v42
	v_cndmask_b32_e64 v37, v36, v78, s[34:35]
	v_cndmask_b32_e64 v40, v36, v79, s[36:37]
	v_max3_f32 v35, v35, v37, v40
	v_or_b32_e32 v37, 16, v34
	v_or_b32_e32 v40, 17, v34
	v_cmp_gt_i32_e64 s[22:23], s27, v37
	v_cmp_gt_i32_e64 s[24:25], s27, v40
	v_fmac_f32_e32 v71, v89, v42
	v_cndmask_b32_e64 v37, v36, v76, s[22:23]
	v_cndmask_b32_e64 v40, v36, v77, s[24:25]
	v_max3_f32 v35, v35, v37, v40
	v_or_b32_e32 v37, 18, v34
	v_or_b32_e32 v40, 19, v34
	v_cmp_gt_i32_e64 s[18:19], s27, v37
	v_cmp_gt_i32_e64 s[20:21], s27, v40
	v_cvt_f32_i32_e32 v41, v41
	v_cndmask_b32_e64 v37, v36, v74, s[18:19]
	v_cndmask_b32_e64 v40, v36, v75, s[20:21]
	v_max3_f32 v35, v35, v37, v40
	v_or_b32_e32 v37, 32, v34
	v_or_b32_e32 v40, 33, v34
	v_cmp_gt_i32_e64 s[14:15], s27, v37
	v_cmp_gt_i32_e64 s[16:17], s27, v40
	v_fma_f32 v66, v89, v41, v66
	v_cndmask_b32_e64 v37, v36, v72, s[14:15]
	v_cndmask_b32_e64 v40, v36, v73, s[16:17]
	v_max3_f32 v35, v35, v37, v40
	v_or_b32_e32 v37, 34, v34
	v_or_b32_e32 v40, 35, v34
	v_cmp_gt_i32_e64 s[10:11], s27, v37
	v_cmp_gt_i32_e64 s[12:13], s27, v40
	s_nop 0
	v_cndmask_b32_e64 v37, v36, v70, s[10:11]
	v_cndmask_b32_e64 v40, v36, v71, s[12:13]
	v_max3_f32 v35, v35, v37, v40
	v_or_b32_e32 v37, 48, v34
	v_or_b32_e32 v40, 49, v34
	v_cmp_gt_i32_e64 s[6:7], s27, v37
	v_cmp_gt_i32_e64 s[8:9], s27, v40
	s_nop 0
	v_cndmask_b32_e64 v37, v36, v68, s[6:7]
	v_cndmask_b32_e64 v40, v36, v69, s[8:9]
	v_max3_f32 v35, v35, v37, v40
	v_or_b32_e32 v37, 50, v34
	v_or_b32_e32 v34, 51, v34
	v_cmp_gt_i32_e32 vcc, s27, v37
	v_cmp_gt_i32_e64 s[4:5], s27, v34
	global_load_dwordx4 v[46:49], v[38:39], off
	s_nop 0
	global_load_dwordx4 v[38:41], v[38:39], off offset:16
	v_cndmask_b32_e32 v37, v36, v66, vcc
	v_cndmask_b32_e64 v34, v36, v67, s[4:5]
	v_max3_f32 v58, v35, v37, v34
	v_mbcnt_lo_u32_b32 v34, -1, 0
	v_mbcnt_hi_u32_b32 v59, -1, v34
	v_and_b32_e32 v34, 64, v59
	v_add_u32_e32 v60, 64, v34
	v_xor_b32_e32 v34, 32, v59
	v_cmp_lt_i32_e64 s[38:39], v34, v60
	s_nop 1
	v_cndmask_b32_e64 v34, v59, v34, s[38:39]
	v_lshlrev_b32_e32 v87, 2, v34
	ds_bpermute_b32 v61, v87, v58
	v_lshl_add_u64 v[34:35], v[80:81], 0, v[54:55]
	global_load_dwordx4 v[42:45], v[34:35], off
	s_nop 0
	global_load_dwordx4 v[34:37], v[34:35], off offset:16
	s_waitcnt lgkmcnt(0)
	v_max_f32_e32 v54, v61, v61
	v_max_f32_e32 v62, v58, v54
	v_xor_b32_e32 v54, 16, v59
	v_cmp_lt_i32_e64 s[38:39], v54, v60
	s_nop 1
	v_cndmask_b32_e64 v54, v59, v54, s[38:39]
	v_lshlrev_b32_e32 v89, 2, v54
	ds_bpermute_b32 v63, v89, v62
	v_lshl_add_u64 v[54:55], v[80:81], 0, v[56:57]
	global_load_dwordx4 v[58:61], v[54:55], off
	s_nop 0
	global_load_dwordx4 v[54:57], v[54:55], off offset:16
	s_waitcnt lgkmcnt(0)
	v_max_f32_e32 v63, v63, v63
	v_max_f32_e32 v86, v62, v63
	v_sub_f32_e32 v52, v52, v86
	v_mul_f32_e32 v52, 0x3fb8aa3b, v52
	v_exp_f32_e32 v80, v52
	v_sub_f32_e32 v52, v53, v86
	v_mul_f32_e32 v52, 0x3fb8aa3b, v52
	v_exp_f32_e32 v81, v52
	global_load_dwordx4 v[62:65], v[50:51], off
	s_nop 0
	global_load_dwordx4 v[50:53], v[50:51], off offset:16
	v_sub_f32_e32 v78, v78, v86
	v_mul_f32_e32 v78, 0x3fb8aa3b, v78
	v_sub_f32_e32 v79, v79, v86
	v_exp_f32_e32 v78, v78
	v_mul_f32_e32 v79, 0x3fb8aa3b, v79
	v_sub_f32_e32 v76, v76, v86
	v_exp_f32_e32 v79, v79
	v_mul_f32_e32 v76, 0x3fb8aa3b, v76
	v_sub_f32_e32 v77, v77, v86
	v_cndmask_b32_e64 v80, 0, v80, s[28:29]
	v_exp_f32_e32 v76, v76
	v_mul_f32_e32 v77, 0x3fb8aa3b, v77
	v_sub_f32_e32 v74, v74, v86
	v_add_f32_e32 v91, 0, v80
	v_cndmask_b32_e64 v81, 0, v81, s[30:31]
	v_exp_f32_e32 v77, v77
	v_mul_f32_e32 v74, 0x3fb8aa3b, v74
	v_sub_f32_e32 v75, v75, v86
	v_add_f32_e32 v91, v91, v81
	;; [unrolled: 5-line block ×10, first 2 shown]
	v_cndmask_b32_e64 v70, 0, v70, s[10:11]
	v_exp_f32_e32 v66, v66
	v_mul_f32_e32 v67, 0x3fb8aa3b, v67
	v_add_f32_e32 v91, v91, v70
	v_cndmask_b32_e64 v71, 0, v71, s[12:13]
	v_exp_f32_e32 v67, v67
	v_add_f32_e32 v91, v91, v71
	v_cndmask_b32_e64 v68, 0, v68, s[6:7]
	v_add_f32_e32 v91, v91, v68
	v_cndmask_b32_e64 v69, 0, v69, s[8:9]
	v_add_f32_e32 v91, v91, v69
	v_cndmask_b32_e32 v66, 0, v66, vcc
	v_add_f32_e32 v91, v91, v66
	v_cndmask_b32_e64 v67, 0, v67, s[4:5]
	v_add_f32_e32 v91, v91, v67
	ds_bpermute_b32 v87, v87, v91
	s_load_dword s7, s[0:1], 0x98
	v_cmp_gt_u32_e32 vcc, 16, v85
	s_waitcnt lgkmcnt(0)
	s_barrier
	v_add_f32_e32 v87, v91, v87
	ds_bpermute_b32 v89, v89, v87
	s_waitcnt lgkmcnt(0)
	s_and_saveexec_b64 s[4:5], vcc
	s_cbranch_execz .LBB701_17
; %bb.16:
	v_add_f32_e32 v85, v87, v89
	v_lshlrev_b32_e32 v87, 2, v90
	ds_write2st64_b32 v87, v86, v85 offset1:1
.LBB701_17:
	s_or_b64 exec, exec, s[4:5]
	v_lshlrev_b32_e32 v85, 2, v84
	s_load_dword s6, s[0:1], 0x94
	s_waitcnt lgkmcnt(0)
	s_barrier
	ds_read2_b32 v[90:91], v85 offset1:16
	ds_read2_b32 v[92:93], v85 offset0:32 offset1:48
	ds_read2_b32 v[94:95], v85 offset0:64 offset1:80
	s_movk_i32 s8, 0x7fff
	s_mov_b32 s9, 0x7060302
	s_waitcnt lgkmcnt(2)
	v_max3_f32 v86, v90, s33, v91
	s_waitcnt lgkmcnt(1)
	v_max3_f32 v86, v86, v92, v93
	v_sub_f32_e32 v87, v90, v86
	v_mul_f32_e32 v87, 0x3fb8aa3b, v87
	v_exp_f32_e32 v89, v87
	v_sub_f32_e32 v87, v91, v86
	v_mul_f32_e32 v87, 0x3fb8aa3b, v87
	v_exp_f32_e32 v88, v87
	v_sub_f32_e32 v87, v92, v86
	v_mul_f32_e32 v87, 0x3fb8aa3b, v87
	ds_read2_b32 v[90:91], v85 offset0:96 offset1:112
	v_sub_f32_e32 v85, v93, v86
	v_exp_f32_e32 v92, v87
	v_mul_f32_e32 v85, 0x3fb8aa3b, v85
	v_exp_f32_e32 v85, v85
	s_waitcnt lgkmcnt(1)
	v_fma_f32 v87, v89, v94, 0
	v_fmac_f32_e32 v87, v88, v95
	s_waitcnt lgkmcnt(0)
	v_fmac_f32_e32 v87, v92, v90
	v_fmac_f32_e32 v87, v85, v91
	v_add_f32_e32 v90, 0x358637bd, v87
	v_div_scale_f32 v91, s[4:5], v90, v90, 1.0
	v_rcp_f32_e32 v93, v91
	s_mul_i32 s7, s7, 14
	s_barrier
	v_fma_f32 v94, -v91, v93, 1.0
	v_fmac_f32_e32 v93, v94, v93
	v_div_scale_f32 v94, vcc, 1.0, v90, 1.0
	v_mul_f32_e32 v95, v94, v93
	v_fma_f32 v1, -v91, v95, v94
	v_fmac_f32_e32 v95, v1, v93
	v_fma_f32 v1, -v91, v95, v94
	v_lshrrev_b32_e32 v91, 6, v0
	v_div_fmas_f32 v1, v1, v93, v95
	v_cmp_eq_u32_e32 vcc, 1, v91
	v_div_fixup_f32 v1, v1, v90, 1.0
	s_nop 0
	v_cndmask_b32_e32 v88, v89, v88, vcc
	v_cmp_eq_u32_e32 vcc, 2, v91
	s_nop 1
	v_cndmask_b32_e32 v88, v88, v92, vcc
	v_cmp_eq_u32_e32 vcc, 3, v91
	s_nop 1
	v_cndmask_b32_e32 v85, v88, v85, vcc
	v_mul_f32_e32 v90, v85, v1
	v_pk_mul_f32 v[80:81], v[90:91], v[80:81] op_sel_hi:[0,1]
	v_bfe_u32 v1, v81, 16, 1
	v_bfe_u32 v85, v80, 16, 1
	v_pk_mul_f32 v[78:79], v[90:91], v[78:79] op_sel_hi:[0,1]
	v_add3_u32 v80, v80, v85, s8
	v_add3_u32 v1, v81, v1, s8
	v_perm_b32 v80, v1, v80, s9
	v_bfe_u32 v1, v79, 16, 1
	v_bfe_u32 v81, v78, 16, 1
	v_add3_u32 v78, v78, v81, s8
	v_add3_u32 v1, v79, v1, s8
	v_bfe_u32 v88, v0, 4, 2
	v_perm_b32 v81, v1, v78, s9
	v_lshlrev_b32_e32 v1, 3, v88
	v_lshlrev_b32_e32 v78, 5, v84
	;; [unrolled: 1-line block ×3, first 2 shown]
	v_pk_mul_f32 v[76:77], v[90:91], v[76:77] op_sel_hi:[0,1]
	v_or3_b32 v1, v79, v78, v1
	v_bfe_u32 v79, v77, 16, 1
	v_bfe_u32 v85, v76, 16, 1
	v_pk_mul_f32 v[74:75], v[90:91], v[74:75] op_sel_hi:[0,1]
	v_add3_u32 v76, v76, v85, s8
	v_add3_u32 v77, v77, v79, s8
	v_perm_b32 v76, v77, v76, s9
	v_bfe_u32 v77, v75, 16, 1
	v_bfe_u32 v79, v74, 16, 1
	v_add3_u32 v74, v74, v79, s8
	v_add3_u32 v75, v75, v77, s8
	v_pk_mul_f32 v[72:73], v[90:91], v[72:73] op_sel_hi:[0,1]
	v_perm_b32 v77, v75, v74, s9
	v_bfe_u32 v74, v73, 16, 1
	v_bfe_u32 v75, v72, 16, 1
	v_pk_mul_f32 v[70:71], v[90:91], v[70:71] op_sel_hi:[0,1]
	v_add3_u32 v72, v72, v75, s8
	v_add3_u32 v73, v73, v74, s8
	v_perm_b32 v72, v73, v72, s9
	v_bfe_u32 v73, v71, 16, 1
	v_bfe_u32 v74, v70, 16, 1
	v_add3_u32 v70, v70, v74, s8
	v_add3_u32 v71, v71, v73, s8
	v_pk_mul_f32 v[68:69], v[90:91], v[68:69] op_sel_hi:[0,1]
	v_perm_b32 v73, v71, v70, s9
	v_bfe_u32 v70, v69, 16, 1
	v_bfe_u32 v71, v68, 16, 1
	v_pk_mul_f32 v[66:67], v[90:91], v[66:67] op_sel_hi:[0,1]
	v_add3_u32 v68, v68, v71, s8
	v_add3_u32 v69, v69, v70, s8
	v_perm_b32 v68, v69, v68, s9
	v_bfe_u32 v69, v67, 16, 1
	v_bfe_u32 v70, v66, 16, 1
	v_add3_u32 v66, v66, v70, s8
	v_add3_u32 v67, v67, v69, s8
	v_perm_b32 v69, v67, v66, s9
	v_cmp_gt_u32_e32 vcc, 14, v0
	ds_write2st64_b64 v1, v[80:81], v[76:77] offset1:1
	ds_write2st64_b64 v1, v[72:73], v[68:69] offset0:2 offset1:3
	s_and_saveexec_b64 s[4:5], vcc
	s_cbranch_execz .LBB701_19
; %bb.18:
	s_mov_b32 s41, 0
	v_mov_b32_e32 v85, 0
	v_lshl_add_u64 v[66:67], s[40:41], 0, v[84:85]
	v_mov_b32_e32 v68, s7
	v_mad_u64_u32 v[66:67], s[10:11], s2, v68, v[66:67]
	s_mul_i32 s3, s3, s7
	v_mov_b32_e32 v68, s26
	v_mov_b32_e32 v69, v85
	s_load_dwordx4 s[12:15], s[0:1], 0x58
	v_add_u32_e32 v70, s3, v67
	v_mad_u64_u32 v[66:67], s[10:11], v66, s6, v[68:69]
	v_mov_b32_e32 v68, v67
	v_mad_u64_u32 v[68:69], s[10:11], v70, s6, v[68:69]
	v_mov_b32_e32 v67, v68
	v_lshlrev_b64 v[66:67], 2, v[66:67]
	s_waitcnt lgkmcnt(0)
	v_lshl_add_u64 v[68:69], s[14:15], 0, v[66:67]
	v_lshl_add_u64 v[66:67], s[12:13], 0, v[66:67]
	global_store_dword v[68:69], v86, off
	global_store_dword v[66:67], v87, off
.LBB701_19:
	s_or_b64 exec, exec, s[4:5]
	v_lshl_or_b32 v78, v88, 9, v78
	s_waitcnt lgkmcnt(0)
	s_barrier
	ds_read_b128 v[70:73], v78
	ds_read_b128 v[66:69], v78 offset:16
	s_waitcnt vmcnt(15) lgkmcnt(1)
	v_mfma_f32_16x16x16_bf16 v[74:77], v[30:31], v[70:71], 0
	s_mov_b32 s3, 0
	v_cmp_gt_u32_e32 vcc, 64, v0
	v_mfma_f32_16x16x16_bf16 v[30:33], v[32:33], v[72:73], v[74:77]
	s_waitcnt vmcnt(14) lgkmcnt(0)
	v_mfma_f32_16x16x16_bf16 v[30:33], v[26:27], v[66:67], v[30:33]
	v_mfma_f32_16x16x16_bf16 v[26:29], v[28:29], v[68:69], v[30:33]
	s_nop 5
	ds_read_b128 v[30:33], v78 offset:2048
	ds_read_b128 v[74:77], v78 offset:2064
	s_waitcnt vmcnt(13) lgkmcnt(1)
	v_mfma_f32_16x16x16_bf16 v[26:29], v[22:23], v[30:31], v[26:29]
	v_mfma_f32_16x16x16_bf16 v[22:25], v[24:25], v[32:33], v[26:29]
	s_waitcnt vmcnt(12) lgkmcnt(0)
	v_mfma_f32_16x16x16_bf16 v[22:25], v[18:19], v[74:75], v[22:25]
	v_mfma_f32_16x16x16_bf16 v[18:21], v[20:21], v[76:77], v[22:25]
	s_nop 5
	ds_read_b128 v[22:25], v78 offset:4096
	ds_read_b128 v[26:29], v78 offset:4112
	s_waitcnt vmcnt(11) lgkmcnt(1)
	v_mfma_f32_16x16x16_bf16 v[18:21], v[14:15], v[22:23], v[18:21]
	v_mfma_f32_16x16x16_bf16 v[14:17], v[16:17], v[24:25], v[18:21]
	s_waitcnt vmcnt(10) lgkmcnt(0)
	v_mfma_f32_16x16x16_bf16 v[14:17], v[10:11], v[26:27], v[14:17]
	v_mfma_f32_16x16x16_bf16 v[10:13], v[12:13], v[28:29], v[14:17]
	s_nop 5
	ds_read_b128 v[14:17], v78 offset:6144
	ds_read_b128 v[18:21], v78 offset:6160
	s_waitcnt lgkmcnt(0)
	s_barrier
	s_waitcnt vmcnt(9)
	v_mfma_f32_16x16x16_bf16 v[10:13], v[6:7], v[14:15], v[10:13]
	v_mfma_f32_16x16x16_bf16 v[6:9], v[8:9], v[16:17], v[10:13]
	s_waitcnt vmcnt(8)
	v_mfma_f32_16x16x16_bf16 v[6:9], v[2:3], v[18:19], v[6:9]
	v_mfma_f32_16x16x16_bf16 v[2:5], v[4:5], v[20:21], v[6:9]
	s_waitcnt vmcnt(7)
	v_mfma_f32_16x16x16_bf16 v[6:9], v[46:47], v[70:71], 0
	v_mfma_f32_16x16x16_bf16 v[6:9], v[48:49], v[72:73], v[6:9]
	s_nop 3
	v_bfe_u32 v10, v3, 16, 1
	v_bfe_u32 v11, v2, 16, 1
	v_add3_u32 v2, v2, v11, s8
	s_waitcnt vmcnt(6)
	v_mfma_f32_16x16x16_bf16 v[6:9], v[38:39], v[66:67], v[6:9]
	v_add3_u32 v3, v3, v10, s8
	v_perm_b32 v10, v3, v2, s9
	v_bfe_u32 v2, v5, 16, 1
	v_mfma_f32_16x16x16_bf16 v[6:9], v[40:41], v[68:69], v[6:9]
	v_bfe_u32 v3, v4, 16, 1
	v_add3_u32 v3, v4, v3, s8
	v_add3_u32 v2, v5, v2, s8
	s_waitcnt vmcnt(5)
	v_mfma_f32_16x16x16_bf16 v[6:9], v[42:43], v[30:31], v[6:9]
	v_perm_b32 v11, v2, v3, s9
	v_mfma_f32_16x16x16_bf16 v[6:9], v[44:45], v[32:33], v[6:9]
	s_waitcnt vmcnt(4)
	v_mfma_f32_16x16x16_bf16 v[6:9], v[34:35], v[74:75], v[6:9]
	v_mfma_f32_16x16x16_bf16 v[6:9], v[36:37], v[76:77], v[6:9]
	s_waitcnt vmcnt(3)
	v_mfma_f32_16x16x16_bf16 v[6:9], v[58:59], v[22:23], v[6:9]
	;; [unrolled: 3-line block ×5, first 2 shown]
	v_mfma_f32_16x16x16_bf16 v[2:5], v[52:53], v[20:21], v[6:9]
	s_nop 6
	v_bfe_u32 v6, v3, 16, 1
	v_bfe_u32 v7, v2, 16, 1
	v_add3_u32 v2, v2, v7, s8
	v_add3_u32 v3, v3, v6, s8
	v_perm_b32 v2, v3, v2, s9
	v_bfe_u32 v3, v5, 16, 1
	v_bfe_u32 v6, v4, 16, 1
	v_add3_u32 v4, v4, v6, s8
	v_add3_u32 v3, v5, v3, s8
	v_perm_b32 v3, v3, v4, s9
	ds_write2st64_b64 v1, v[10:11], v[2:3] offset1:1
	s_waitcnt lgkmcnt(0)
	s_barrier
	s_and_saveexec_b64 s[4:5], vcc
	s_cbranch_execz .LBB701_22
; %bb.20:
	s_load_dwordx2 s[4:5], s[0:1], 0x68
	s_lshl_b32 s0, s6, 7
	s_mul_i32 s1, s7, s2
	v_lshlrev_b32_e32 v3, 6, v84
	s_mul_hi_u32 s7, s1, s0
	s_mul_i32 s6, s1, s0
	v_lshlrev_b32_e32 v2, 4, v0
	v_lshl_or_b32 v0, v0, 10, v3
	s_lshl_b64 s[6:7], s[6:7], 1
	v_lshlrev_b32_e32 v1, 5, v88
	v_and_b32_e32 v2, 16, v2
	v_and_b32_e32 v0, 0x1a00, v0
	s_waitcnt lgkmcnt(0)
	s_add_u32 s1, s4, s6
	v_or3_b32 v2, v0, v1, v2
	s_addc_u32 s4, s5, s7
	s_lshl_b32 s2, s26, 7
	ds_read_b128 v[4:7], v2 offset:256
	s_lshl_b64 s[2:3], s[2:3], 1
	ds_read_b128 v[8:11], v2 offset:128
	ds_read_b128 v[12:15], v2
	s_add_u32 s2, s1, s2
	s_addc_u32 s3, s4, s3
	v_add_u32_e32 v18, s40, v88
	v_lshl_add_u64 v[0:1], v[82:83], 1, s[2:3]
	v_mad_u64_u32 v[16:17], s[2:3], v18, s0, 0
	v_lshl_add_u64 v[16:17], v[16:17], 1, v[0:1]
	s_waitcnt lgkmcnt(0)
	global_store_dwordx4 v[16:17], v[12:15], off
	v_or_b32_e32 v3, 12, v88
	v_cmp_gt_u32_e32 vcc, 14, v3
	v_add_u32_e32 v12, 4, v18
	v_mad_u64_u32 v[12:13], s[2:3], v12, s0, 0
	v_lshl_add_u64 v[12:13], v[12:13], 1, v[0:1]
	global_store_dwordx4 v[12:13], v[8:11], off
	s_nop 1
	v_add_u32_e32 v8, 8, v18
	v_mad_u64_u32 v[8:9], s[2:3], v8, s0, 0
	v_lshl_add_u64 v[8:9], v[8:9], 1, v[0:1]
	global_store_dwordx4 v[8:9], v[4:7], off
	s_and_b64 exec, exec, vcc
	s_cbranch_execz .LBB701_22
; %bb.21:
	ds_read_b128 v[4:7], v2 offset:384
	v_add_u32_e32 v2, s40, v3
	v_mad_u64_u32 v[2:3], s[0:1], v2, s0, 0
	v_lshl_add_u64 v[0:1], v[2:3], 1, v[0:1]
	s_waitcnt lgkmcnt(0)
	global_store_dwordx4 v[0:1], v[4:7], off
.LBB701_22:
	s_endpgm
	.section	.rodata,"a",@progbits
	.p2align	6, 0x0
	.amdhsa_kernel _Z39paged_attention_ll4mi_QKV_mfma16_kernelI14__hip_bfloat16S0_LN4vllm18Fp8KVCacheDataTypeE0EhLi32ELi128ELi256ELb1ELi14EEvPKT_PKT0_S8_ifPKiSA_SA_iPKfiiiPfSD_PS3_PT2_iSC_SC_
		.amdhsa_group_segment_fixed_size 8192
		.amdhsa_private_segment_fixed_size 0
		.amdhsa_kernarg_size 400
		.amdhsa_user_sgpr_count 2
		.amdhsa_user_sgpr_dispatch_ptr 0
		.amdhsa_user_sgpr_queue_ptr 0
		.amdhsa_user_sgpr_kernarg_segment_ptr 1
		.amdhsa_user_sgpr_dispatch_id 0
		.amdhsa_user_sgpr_kernarg_preload_length 0
		.amdhsa_user_sgpr_kernarg_preload_offset 0
		.amdhsa_user_sgpr_private_segment_size 0
		.amdhsa_uses_dynamic_stack 0
		.amdhsa_enable_private_segment 0
		.amdhsa_system_sgpr_workgroup_id_x 1
		.amdhsa_system_sgpr_workgroup_id_y 1
		.amdhsa_system_sgpr_workgroup_id_z 1
		.amdhsa_system_sgpr_workgroup_info 0
		.amdhsa_system_vgpr_workitem_id 0
		.amdhsa_next_free_vgpr 96
		.amdhsa_next_free_sgpr 42
		.amdhsa_accum_offset 96
		.amdhsa_reserve_vcc 1
		.amdhsa_float_round_mode_32 0
		.amdhsa_float_round_mode_16_64 0
		.amdhsa_float_denorm_mode_32 3
		.amdhsa_float_denorm_mode_16_64 3
		.amdhsa_dx10_clamp 1
		.amdhsa_ieee_mode 1
		.amdhsa_fp16_overflow 0
		.amdhsa_tg_split 0
		.amdhsa_exception_fp_ieee_invalid_op 0
		.amdhsa_exception_fp_denorm_src 0
		.amdhsa_exception_fp_ieee_div_zero 0
		.amdhsa_exception_fp_ieee_overflow 0
		.amdhsa_exception_fp_ieee_underflow 0
		.amdhsa_exception_fp_ieee_inexact 0
		.amdhsa_exception_int_div_zero 0
	.end_amdhsa_kernel
	.section	.text._Z39paged_attention_ll4mi_QKV_mfma16_kernelI14__hip_bfloat16S0_LN4vllm18Fp8KVCacheDataTypeE0EhLi32ELi128ELi256ELb1ELi14EEvPKT_PKT0_S8_ifPKiSA_SA_iPKfiiiPfSD_PS3_PT2_iSC_SC_,"axG",@progbits,_Z39paged_attention_ll4mi_QKV_mfma16_kernelI14__hip_bfloat16S0_LN4vllm18Fp8KVCacheDataTypeE0EhLi32ELi128ELi256ELb1ELi14EEvPKT_PKT0_S8_ifPKiSA_SA_iPKfiiiPfSD_PS3_PT2_iSC_SC_,comdat
.Lfunc_end701:
	.size	_Z39paged_attention_ll4mi_QKV_mfma16_kernelI14__hip_bfloat16S0_LN4vllm18Fp8KVCacheDataTypeE0EhLi32ELi128ELi256ELb1ELi14EEvPKT_PKT0_S8_ifPKiSA_SA_iPKfiiiPfSD_PS3_PT2_iSC_SC_, .Lfunc_end701-_Z39paged_attention_ll4mi_QKV_mfma16_kernelI14__hip_bfloat16S0_LN4vllm18Fp8KVCacheDataTypeE0EhLi32ELi128ELi256ELb1ELi14EEvPKT_PKT0_S8_ifPKiSA_SA_iPKfiiiPfSD_PS3_PT2_iSC_SC_
                                        ; -- End function
	.section	.AMDGPU.csdata,"",@progbits
; Kernel info:
; codeLenInByte = 5232
; NumSgprs: 48
; NumVgprs: 96
; NumAgprs: 0
; TotalNumVgprs: 96
; ScratchSize: 0
; MemoryBound: 0
; FloatMode: 240
; IeeeMode: 1
; LDSByteSize: 8192 bytes/workgroup (compile time only)
; SGPRBlocks: 5
; VGPRBlocks: 11
; NumSGPRsForWavesPerEU: 48
; NumVGPRsForWavesPerEU: 96
; AccumOffset: 96
; Occupancy: 5
; WaveLimiterHint : 1
; COMPUTE_PGM_RSRC2:SCRATCH_EN: 0
; COMPUTE_PGM_RSRC2:USER_SGPR: 2
; COMPUTE_PGM_RSRC2:TRAP_HANDLER: 0
; COMPUTE_PGM_RSRC2:TGID_X_EN: 1
; COMPUTE_PGM_RSRC2:TGID_Y_EN: 1
; COMPUTE_PGM_RSRC2:TGID_Z_EN: 1
; COMPUTE_PGM_RSRC2:TIDIG_COMP_CNT: 0
; COMPUTE_PGM_RSRC3_GFX90A:ACCUM_OFFSET: 23
; COMPUTE_PGM_RSRC3_GFX90A:TG_SPLIT: 0
	.section	.text._Z39paged_attention_ll4mi_QKV_mfma16_kernelI14__hip_bfloat16S0_LN4vllm18Fp8KVCacheDataTypeE0EhLi32ELi128ELi256ELb1ELi15EEvPKT_PKT0_S8_ifPKiSA_SA_iPKfiiiPfSD_PS3_PT2_iSC_SC_,"axG",@progbits,_Z39paged_attention_ll4mi_QKV_mfma16_kernelI14__hip_bfloat16S0_LN4vllm18Fp8KVCacheDataTypeE0EhLi32ELi128ELi256ELb1ELi15EEvPKT_PKT0_S8_ifPKiSA_SA_iPKfiiiPfSD_PS3_PT2_iSC_SC_,comdat
	.protected	_Z39paged_attention_ll4mi_QKV_mfma16_kernelI14__hip_bfloat16S0_LN4vllm18Fp8KVCacheDataTypeE0EhLi32ELi128ELi256ELb1ELi15EEvPKT_PKT0_S8_ifPKiSA_SA_iPKfiiiPfSD_PS3_PT2_iSC_SC_ ; -- Begin function _Z39paged_attention_ll4mi_QKV_mfma16_kernelI14__hip_bfloat16S0_LN4vllm18Fp8KVCacheDataTypeE0EhLi32ELi128ELi256ELb1ELi15EEvPKT_PKT0_S8_ifPKiSA_SA_iPKfiiiPfSD_PS3_PT2_iSC_SC_
	.globl	_Z39paged_attention_ll4mi_QKV_mfma16_kernelI14__hip_bfloat16S0_LN4vllm18Fp8KVCacheDataTypeE0EhLi32ELi128ELi256ELb1ELi15EEvPKT_PKT0_S8_ifPKiSA_SA_iPKfiiiPfSD_PS3_PT2_iSC_SC_
	.p2align	8
	.type	_Z39paged_attention_ll4mi_QKV_mfma16_kernelI14__hip_bfloat16S0_LN4vllm18Fp8KVCacheDataTypeE0EhLi32ELi128ELi256ELb1ELi15EEvPKT_PKT0_S8_ifPKiSA_SA_iPKfiiiPfSD_PS3_PT2_iSC_SC_,@function
_Z39paged_attention_ll4mi_QKV_mfma16_kernelI14__hip_bfloat16S0_LN4vllm18Fp8KVCacheDataTypeE0EhLi32ELi128ELi256ELb1ELi15EEvPKT_PKT0_S8_ifPKiSA_SA_iPKfiiiPfSD_PS3_PT2_iSC_SC_: ; @_Z39paged_attention_ll4mi_QKV_mfma16_kernelI14__hip_bfloat16S0_LN4vllm18Fp8KVCacheDataTypeE0EhLi32ELi128ELi256ELb1ELi15EEvPKT_PKT0_S8_ifPKiSA_SA_iPKfiiiPfSD_PS3_PT2_iSC_SC_
; %bb.0:
	s_load_dwordx2 s[8:9], s[0:1], 0x30
	s_mov_b32 s26, s3
	s_mov_b64 s[6:7], 0
	s_waitcnt lgkmcnt(0)
	s_cmp_lg_u64 s[8:9], 0
	s_cselect_b64 s[10:11], -1, 0
	s_and_b64 vcc, exec, s[10:11]
	s_cbranch_vccz .LBB702_7
; %bb.1:
	s_add_i32 s12, s2, 1
	s_mov_b32 s13, 0
	s_lshl_b64 s[14:15], s[12:13], 2
	s_add_u32 s14, s8, s14
	s_mov_b32 s3, s13
	s_addc_u32 s15, s9, s15
	s_lshl_b64 s[12:13], s[2:3], 2
	s_add_u32 s12, s8, s12
	s_addc_u32 s13, s9, s13
	s_load_dword s5, s[14:15], 0x0
	s_load_dword s16, s[12:13], 0x0
	s_waitcnt lgkmcnt(0)
	s_sub_i32 s5, s5, s16
	s_cmp_eq_u32 s5, 1
	s_cselect_b64 s[12:13], -1, 0
	s_andn2_b64 vcc, exec, s[6:7]
	s_cbranch_vccnz .LBB702_3
.LBB702_2:
	s_mov_b32 s3, 0
	s_mov_b64 s[12:13], -1
.LBB702_3:
	s_andn2_b64 vcc, exec, s[12:13]
	s_cbranch_vccnz .LBB702_22
; %bb.4:
	s_load_dwordx2 s[6:7], s[0:1], 0x28
	s_lshl_b64 s[12:13], s[2:3], 2
	s_waitcnt lgkmcnt(0)
	s_add_u32 s6, s6, s12
	s_addc_u32 s7, s7, s13
	s_load_dword s27, s[6:7], 0x0
	s_lshl_b32 s18, s26, 8
	s_waitcnt lgkmcnt(0)
	s_cmp_ge_i32 s18, s27
	s_cbranch_scc1 .LBB702_22
; %bb.5:
	s_load_dwordx2 s[6:7], s[0:1], 0x20
	s_load_dword s5, s[0:1], 0x38
	s_add_i32 s14, s27, 31
	s_ashr_i32 s15, s14, 31
	v_and_b32_e32 v1, 0xcf, v0
	s_lshr_b32 s15, s15, 27
	v_add_u32_e32 v1, s18, v1
	s_add_i32 s14, s14, s15
	v_ashrrev_i32_e32 v2, 31, v1
	s_ashr_i32 s19, s14, 5
	v_lshrrev_b32_e32 v4, 27, v2
	s_add_i32 s19, s19, -1
	s_waitcnt lgkmcnt(0)
	s_mul_i32 s14, s2, s5
	s_mov_b32 s15, 0
	v_add_u32_e32 v2, v1, v4
	s_lshl_b64 s[14:15], s[14:15], 2
	v_ashrrev_i32_e32 v2, 5, v2
	v_mov_b32_e32 v5, s19
	v_cmp_gt_i32_e32 vcc, s27, v1
	s_add_u32 s6, s6, s14
	s_addc_u32 s7, s7, s15
	v_cndmask_b32_e32 v2, v5, v2, vcc
	v_ashrrev_i32_e32 v3, 31, v2
	v_lshl_add_u64 v[6:7], v[2:3], 2, s[6:7]
	v_or_b32_e32 v2, 16, v1
	v_add_u32_e32 v3, v2, v4
	v_ashrrev_i32_e32 v3, 5, v3
	v_cmp_gt_i32_e32 vcc, s27, v2
	s_nop 1
	v_cndmask_b32_e32 v2, v5, v3, vcc
	v_ashrrev_i32_e32 v3, 31, v2
	v_lshl_add_u64 v[8:9], v[2:3], 2, s[6:7]
	v_or_b32_e32 v2, 32, v1
	v_add_u32_e32 v3, v2, v4
	v_ashrrev_i32_e32 v3, 5, v3
	v_cmp_gt_i32_e32 vcc, s27, v2
	v_or_b32_e32 v1, 48, v1
	s_nop 0
	v_cndmask_b32_e32 v2, v5, v3, vcc
	v_ashrrev_i32_e32 v3, 31, v2
	v_lshl_add_u64 v[10:11], v[2:3], 2, s[6:7]
	v_add_u32_e32 v2, v1, v4
	v_ashrrev_i32_e32 v2, 5, v2
	v_cmp_gt_i32_e32 vcc, s27, v1
	s_nop 1
	v_cndmask_b32_e32 v2, v5, v2, vcc
	v_ashrrev_i32_e32 v3, 31, v2
	v_lshl_add_u64 v[12:13], v[2:3], 2, s[6:7]
	global_load_dword v5, v[6:7], off
	global_load_dword v4, v[8:9], off
	;; [unrolled: 1-line block ×4, first 2 shown]
	s_andn2_b64 vcc, exec, s[10:11]
	s_cbranch_vccnz .LBB702_8
; %bb.6:
	s_add_u32 s8, s8, s12
	s_addc_u32 s9, s9, s13
	s_load_dword s5, s[8:9], 0x0
	s_branch .LBB702_9
.LBB702_7:
	s_mov_b64 s[12:13], 0
	s_branch .LBB702_2
.LBB702_8:
	s_mov_b32 s5, s2
.LBB702_9:
	s_load_dwordx2 s[14:15], s[0:1], 0x8
	s_load_dwordx4 s[8:11], s[0:1], 0x48
	v_lshrrev_b32_e32 v88, 6, v0
	v_bfe_u32 v1, v0, 4, 2
	v_lshl_or_b32 v6, v88, 2, v1
	v_and_b32_e32 v84, 15, v0
	v_lshlrev_b32_e32 v82, 3, v84
	v_cmp_lt_u32_e32 vcc, 14, v6
	s_and_saveexec_b64 s[12:13], vcc
	s_xor_b64 s[12:13], exec, s[12:13]
; %bb.10:
	v_mov_b32_e32 v83, 0
                                        ; implicit-def: $vgpr6
; %bb.11:
	s_or_saveexec_b64 s[16:17], s[12:13]
	s_load_dwordx2 s[12:13], s[0:1], 0x10
	s_mul_i32 s40, s4, 15
	s_xor_b64 exec, exec, s[16:17]
	s_cbranch_execz .LBB702_13
; %bb.12:
	s_load_dwordx2 s[20:21], s[0:1], 0x0
	s_waitcnt lgkmcnt(0)
	s_ashr_i32 s11, s8, 31
	s_mul_hi_u32 s22, s5, s8
	s_mul_i32 s11, s5, s11
	s_add_i32 s23, s22, s11
	s_mul_i32 s22, s5, s8
	s_lshl_b64 s[22:23], s[22:23], 1
	s_add_u32 s20, s20, s22
	v_add_lshl_u32 v8, v6, s40, 7
	s_addc_u32 s21, s21, s23
	v_ashrrev_i32_e32 v9, 31, v8
	v_mov_b32_e32 v83, 0
	v_lshl_add_u64 v[8:9], v[8:9], 1, s[20:21]
	v_lshlrev_b32_e32 v10, 1, v82
	v_mov_b32_e32 v11, v83
	v_lshl_add_u64 v[8:9], v[8:9], 0, v[10:11]
	global_load_dwordx4 v[8:11], v[8:9], off
	v_and_b32_e32 v7, 3, v0
	v_lshlrev_b32_e32 v12, 9, v84
	v_lshlrev_b32_e32 v6, 5, v6
	;; [unrolled: 1-line block ×3, first 2 shown]
	v_and_b32_e32 v12, 0x1800, v12
	v_or3_b32 v6, v12, v7, v6
	s_waitcnt vmcnt(0)
	ds_write_b128 v6, v[8:11]
.LBB702_13:
	s_or_b64 exec, exec, s[16:17]
	s_waitcnt lgkmcnt(0)
	s_mov_b32 s5, 0
	s_mul_i32 s4, s4, s10
	s_lshl_b64 s[4:5], s[4:5], 1
	s_add_u32 s10, s14, s4
	s_addc_u32 s11, s15, s5
	s_waitcnt vmcnt(3)
	v_mad_i64_i32 v[6:7], s[14:15], v5, s9, 0
	v_lshl_add_u64 v[6:7], v[6:7], 1, s[10:11]
	v_lshlrev_b64 v[8:9], 1, v[82:83]
	v_mov_b32_e32 v87, 0
	v_lshlrev_b32_e32 v86, 9, v1
	v_lshl_add_u64 v[6:7], v[6:7], 0, v[8:9]
	v_lshl_add_u64 v[10:11], v[6:7], 0, v[86:87]
	v_or_b32_e32 v14, 0x1000, v86
	v_mov_b32_e32 v15, v87
	v_or_b32_e32 v16, 0x1800, v86
	v_mov_b32_e32 v17, v87
	s_barrier
	global_load_dwordx4 v[66:69], v[10:11], off
	global_load_dwordx4 v[62:65], v[10:11], off offset:2048
	v_lshl_add_u64 v[10:11], v[6:7], 0, v[14:15]
	v_lshl_add_u64 v[6:7], v[6:7], 0, v[16:17]
	global_load_dwordx4 v[78:81], v[10:11], off
	global_load_dwordx4 v[74:77], v[6:7], off
	s_waitcnt vmcnt(6)
	v_mad_i64_i32 v[4:5], s[14:15], v4, s9, 0
	v_mov_b32_e32 v6, 0x100
	v_lshl_add_u64 v[4:5], v[4:5], 1, s[10:11]
	v_lshl_or_b32 v6, v84, 4, v6
	v_mov_b32_e32 v7, v87
	v_lshl_add_u64 v[4:5], v[4:5], 0, v[6:7]
	v_lshl_add_u64 v[10:11], v[4:5], 0, v[86:87]
	global_load_dwordx4 v[70:73], v[10:11], off
	global_load_dwordx4 v[58:61], v[10:11], off offset:2048
	v_lshl_add_u64 v[10:11], v[4:5], 0, v[14:15]
	v_lshl_add_u64 v[4:5], v[4:5], 0, v[16:17]
	global_load_dwordx4 v[54:57], v[10:11], off
	global_load_dwordx4 v[30:33], v[4:5], off
	s_waitcnt vmcnt(9)
	v_mad_i64_i32 v[4:5], s[14:15], v3, s9, 0
	v_lshl_add_u64 v[4:5], v[4:5], 1, s[10:11]
	s_waitcnt vmcnt(8)
	v_mad_i64_i32 v[2:3], s[14:15], v2, s9, 0
	v_lshl_add_u64 v[4:5], v[4:5], 0, v[8:9]
	v_lshl_add_u64 v[2:3], v[2:3], 1, s[10:11]
	;; [unrolled: 1-line block ×4, first 2 shown]
	global_load_dwordx4 v[26:29], v[8:9], off
	global_load_dwordx4 v[22:25], v[8:9], off offset:2048
	v_lshl_add_u64 v[8:9], v[4:5], 0, v[14:15]
	v_lshl_add_u64 v[4:5], v[4:5], 0, v[16:17]
	;; [unrolled: 1-line block ×4, first 2 shown]
	global_load_dwordx4 v[18:21], v[8:9], off
	global_load_dwordx4 v[10:13], v[4:5], off
	s_nop 0
	global_load_dwordx4 v[6:9], v[2:3], off
	s_nop 0
	global_load_dwordx4 v[2:5], v[2:3], off offset:2048
	v_lshl_add_u64 v[16:17], v[34:35], 0, v[16:17]
	global_load_dwordx4 v[42:45], v[14:15], off
	global_load_dwordx4 v[34:37], v[16:17], off
	v_cmp_ne_u32_e32 vcc, 15, v84
	v_and_b32_e32 v85, 63, v0
	v_mov_b32_e32 v89, 0
	v_cndmask_b32_e32 v14, 0, v84, vcc
	v_lshl_or_b32 v38, v14, 5, v86
	ds_read_b128 v[14:17], v38
	ds_read_b128 v[50:53], v38 offset:2048
	ds_read_b128 v[46:49], v38 offset:4096
	;; [unrolled: 1-line block ×3, first 2 shown]
	s_and_saveexec_b64 s[10:11], vcc
	s_cbranch_execz .LBB702_15
; %bb.14:
	s_load_dwordx2 s[14:15], s[0:1], 0x40
	v_add_u32_e32 v90, s40, v84
	v_ashrrev_i32_e32 v91, 31, v90
	s_waitcnt lgkmcnt(0)
	v_lshl_add_u64 v[90:91], v[90:91], 2, s[14:15]
	global_load_dword v89, v[90:91], off
.LBB702_15:
	s_or_b64 exec, exec, s[10:11]
	s_waitcnt vmcnt(15) lgkmcnt(3)
	v_mfma_f32_16x16x16_bf16 v[90:93], v[66:67], v[14:15], 0
	s_ashr_i32 s8, s18, 31
	s_lshr_b32 s8, s8, 27
	s_add_u32 s4, s12, s4
	v_mfma_f32_16x16x16_bf16 v[66:69], v[68:69], v[16:17], v[90:93]
	s_addc_u32 s5, s13, s5
	s_mov_b32 s33, 0xff7fffff
	s_waitcnt vmcnt(14) lgkmcnt(2)
	v_mfma_f32_16x16x16_bf16 v[66:69], v[62:63], v[50:51], v[66:69]
	v_lshl_or_b32 v90, v88, 4, v84
	v_mfma_f32_16x16x16_bf16 v[62:65], v[64:65], v[52:53], v[66:69]
	s_waitcnt vmcnt(13) lgkmcnt(1)
	v_mfma_f32_16x16x16_bf16 v[62:65], v[78:79], v[46:47], v[62:65]
	v_mfma_f32_16x16x16_bf16 v[62:65], v[80:81], v[48:49], v[62:65]
	s_waitcnt vmcnt(12) lgkmcnt(0)
	v_mfma_f32_16x16x16_bf16 v[62:65], v[74:75], v[38:39], v[62:65]
	v_and_or_b32 v74, v0, 48, s18
	v_add_u32_e32 v66, s8, v74
	v_ashrrev_i32_e32 v75, 5, v66
	s_waitcnt vmcnt(11)
	v_mfma_f32_16x16x16_bf16 v[66:69], v[70:71], v[14:15], 0
	v_cmp_gt_i32_e32 vcc, s27, v74
	v_mfma_f32_16x16x16_bf16 v[66:69], v[72:73], v[16:17], v[66:69]
	v_or_b32_e32 v72, 64, v74
	v_add_u32_e32 v73, s8, v72
	s_waitcnt vmcnt(10)
	v_mfma_f32_16x16x16_bf16 v[66:69], v[58:59], v[50:51], v[66:69]
	v_ashrrev_i32_e32 v58, 5, v73
	v_mfma_f32_16x16x16_bf16 v[62:65], v[76:77], v[40:41], v[62:65]
	v_mov_b32_e32 v76, s19
	v_cndmask_b32_e32 v70, v76, v75, vcc
	v_cmp_gt_i32_e32 vcc, s27, v72
	v_ashrrev_i32_e32 v71, 31, v70
	v_lshl_add_u64 v[70:71], v[70:71], 2, s[6:7]
	v_cndmask_b32_e32 v72, v76, v58, vcc
	v_mfma_f32_16x16x16_bf16 v[58:61], v[60:61], v[52:53], v[66:69]
	v_ashrrev_i32_e32 v73, 31, v72
	s_waitcnt vmcnt(9)
	v_mfma_f32_16x16x16_bf16 v[58:61], v[54:55], v[46:47], v[58:61]
	v_lshl_add_u64 v[66:67], v[72:73], 2, s[6:7]
	global_load_dword v68, v[70:71], off
	s_nop 0
	global_load_dword v66, v[66:67], off
	v_or_b32_e32 v67, 0x80, v74
	v_add_u32_e32 v69, s8, v67
	v_mfma_f32_16x16x16_bf16 v[54:57], v[56:57], v[48:49], v[58:61]
	v_cmp_gt_i32_e32 vcc, s27, v67
	s_nop 1
	v_ashrrev_i32_e32 v58, 5, v69
	v_cndmask_b32_e32 v58, v76, v58, vcc
	v_ashrrev_i32_e32 v59, 31, v58
	s_waitcnt vmcnt(10)
	v_mfma_f32_16x16x16_bf16 v[54:57], v[30:31], v[38:39], v[54:57]
	v_lshl_add_u64 v[30:31], v[58:59], 2, s[6:7]
	global_load_dword v70, v[30:31], off
	v_mfma_f32_16x16x16_bf16 v[58:61], v[32:33], v[40:41], v[54:57]
	s_nop 3
	v_or_b32_e32 v54, 0xc0, v74
	v_add_u32_e32 v30, s8, v54
	v_ashrrev_i32_e32 v55, 5, v30
	v_cmp_gt_i32_e32 vcc, s27, v54
	s_waitcnt vmcnt(10)
	v_mfma_f32_16x16x16_bf16 v[30:33], v[26:27], v[14:15], 0
	v_cndmask_b32_e32 v26, v76, v55, vcc
	v_ashrrev_i32_e32 v27, 31, v26
	v_lshl_add_u64 v[54:55], v[26:27], 2, s[6:7]
	global_load_dword v71, v[54:55], off
	v_mfma_f32_16x16x16_bf16 v[26:29], v[28:29], v[16:17], v[30:33]
	s_load_dword s6, s[0:1], 0x1c
	s_waitcnt vmcnt(10)
	v_mfma_f32_16x16x16_bf16 v[26:29], v[22:23], v[50:51], v[26:29]
	v_and_b32_e32 v30, 16, v0
	v_lshlrev_b32_e32 v86, 1, v30
	v_lshl_add_u64 v[74:75], s[4:5], 0, v[86:87]
	v_mfma_f32_16x16x16_bf16 v[22:25], v[24:25], v[52:53], v[26:29]
	v_lshlrev_b32_e32 v86, 6, v90
	v_lshl_add_u64 v[76:77], v[74:75], 0, v[86:87]
	v_or_b32_e32 v86, 0x1000, v86
	s_waitcnt vmcnt(9)
	v_mfma_f32_16x16x16_bf16 v[22:25], v[18:19], v[46:47], v[22:25]
	v_lshl_add_u64 v[80:81], v[74:75], 0, v[86:87]
	s_waitcnt lgkmcnt(0)
	v_pk_mul_f32 v[74:75], s[6:7], v[60:61] op_sel_hi:[0,1]
	v_mfma_f32_16x16x16_bf16 v[18:21], v[20:21], v[48:49], v[22:25]
	s_waitcnt vmcnt(8)
	v_mfma_f32_16x16x16_bf16 v[18:21], v[10:11], v[38:39], v[18:21]
	s_waitcnt vmcnt(3)
	v_mad_i64_i32 v[22:23], s[4:5], v68, s9, 0
	s_waitcnt vmcnt(2)
	v_mad_i64_i32 v[10:11], s[4:5], v66, s9, 0
	v_lshlrev_b64 v[78:79], 1, v[22:23]
	v_lshlrev_b64 v[54:55], 1, v[10:11]
	v_lshl_add_u64 v[22:23], v[76:77], 0, v[78:79]
	v_lshl_add_u64 v[10:11], v[76:77], 0, v[54:55]
	global_load_dwordx4 v[30:33], v[22:23], off
	global_load_dwordx4 v[26:29], v[22:23], off offset:16
	v_mfma_f32_16x16x16_bf16 v[66:69], v[12:13], v[40:41], v[18:21]
	global_load_dwordx4 v[22:25], v[10:11], off
	s_nop 1
	global_load_dwordx4 v[18:21], v[10:11], off offset:16
	v_mfma_f32_16x16x16_bf16 v[10:13], v[6:7], v[14:15], 0
	s_waitcnt vmcnt(5)
	v_mad_i64_i32 v[6:7], s[4:5], v70, s9, 0
	v_lshlrev_b64 v[56:57], 1, v[6:7]
	v_mfma_f32_16x16x16_bf16 v[6:9], v[8:9], v[16:17], v[10:13]
	v_mfma_f32_16x16x16_bf16 v[6:9], v[2:3], v[50:51], v[6:9]
	s_nop 1
	v_lshl_add_u64 v[10:11], v[76:77], 0, v[56:57]
	global_load_dwordx4 v[14:17], v[10:11], off
	s_nop 0
	global_load_dwordx4 v[10:13], v[10:11], off offset:16
	s_waitcnt vmcnt(6)
	v_mad_i64_i32 v[2:3], s[4:5], v71, s9, 0
	v_mfma_f32_16x16x16_bf16 v[70:73], v[4:5], v[52:53], v[6:9]
	v_pk_mul_f32 v[52:53], s[6:7], v[62:63] op_sel_hi:[0,1]
	v_lshlrev_b64 v[50:51], 1, v[2:3]
	v_lshl_add_u64 v[2:3], v[76:77], 0, v[50:51]
	v_mfma_f32_16x16x16_bf16 v[70:73], v[42:43], v[46:47], v[70:73]
	v_lshl_add_u64 v[42:43], v[80:81], 0, v[78:79]
	v_pk_mul_f32 v[78:79], s[6:7], v[64:65] op_sel_hi:[0,1]
	v_pk_mul_f32 v[76:77], s[6:7], v[58:59] op_sel_hi:[0,1]
	v_mfma_f32_16x16x16_bf16 v[44:47], v[44:45], v[48:49], v[70:73]
	v_lshl_add_u64 v[50:51], v[80:81], 0, v[50:51]
	global_load_dwordx4 v[6:9], v[2:3], off
	s_nop 0
	global_load_dwordx4 v[2:5], v[2:3], off offset:16
	v_pk_mul_f32 v[70:71], s[6:7], v[68:69] op_sel_hi:[0,1]
	v_mfma_f32_16x16x16_bf16 v[44:47], v[34:35], v[38:39], v[44:47]
	v_pk_mul_f32 v[72:73], s[6:7], v[66:67] op_sel_hi:[0,1]
	v_mfma_f32_16x16x16_bf16 v[34:37], v[36:37], v[40:41], v[44:47]
	s_nop 6
	v_pk_mul_f32 v[68:69], s[6:7], v[34:35] op_sel_hi:[0,1]
	v_and_b32_e32 v34, 0xc0, v0
	v_add_u32_e32 v34, s18, v34
	v_lshl_or_b32 v34, v1, 2, v34
	v_or_b32_e32 v35, 1, v34
	v_pk_mul_f32 v[66:67], s[6:7], v[36:37] op_sel_hi:[0,1]
	v_subrev_u32_e32 v36, s27, v35
	v_add_u32_e32 v38, 1, v36
	v_add_u32_e32 v39, 2, v36
	v_cvt_f32_i32_e32 v37, v36
	v_cvt_f32_i32_e32 v38, v38
	;; [unrolled: 1-line block ×3, first 2 shown]
	v_add_u32_e32 v40, 3, v36
	v_fma_f32 v52, v89, v37, v52
	v_fmac_f32_e32 v53, v89, v38
	v_fma_f32 v78, v89, v39, v78
	v_add_u32_e32 v37, 16, v36
	v_add_u32_e32 v38, 17, v36
	;; [unrolled: 1-line block ×3, first 2 shown]
	v_cvt_f32_i32_e32 v40, v40
	v_cvt_f32_i32_e32 v37, v37
	;; [unrolled: 1-line block ×4, first 2 shown]
	v_fmac_f32_e32 v79, v89, v40
	v_add_u32_e32 v40, 19, v36
	v_fma_f32 v76, v89, v37, v76
	v_fmac_f32_e32 v77, v89, v38
	v_fma_f32 v74, v89, v39, v74
	v_add_u32_e32 v37, 32, v36
	v_add_u32_e32 v38, 33, v36
	;; [unrolled: 1-line block ×3, first 2 shown]
	v_cvt_f32_i32_e32 v40, v40
	v_cvt_f32_i32_e32 v37, v37
	;; [unrolled: 1-line block ×4, first 2 shown]
	v_fmac_f32_e32 v75, v89, v40
	v_add_u32_e32 v40, 35, v36
	v_fma_f32 v72, v89, v37, v72
	v_fmac_f32_e32 v73, v89, v38
	v_fma_f32 v70, v89, v39, v70
	v_add_u32_e32 v37, 48, v36
	v_add_u32_e32 v38, 49, v36
	;; [unrolled: 1-line block ×4, first 2 shown]
	v_cvt_f32_i32_e32 v36, v36
	v_cvt_f32_i32_e32 v37, v37
	;; [unrolled: 1-line block ×3, first 2 shown]
	v_cmp_gt_i32_e64 s[28:29], s27, v34
	v_fmac_f32_e32 v67, v89, v36
	v_mov_b32_e32 v36, 0xff7fffff
	v_cmp_gt_i32_e64 s[30:31], s27, v35
	v_fma_f32 v68, v89, v37, v68
	v_cndmask_b32_e64 v37, v36, v52, s[28:29]
	v_cndmask_b32_e64 v35, v36, v53, s[30:31]
	v_fmac_f32_e32 v69, v89, v38
	v_max3_f32 v35, v37, s33, v35
	v_or_b32_e32 v37, 2, v34
	v_or_b32_e32 v38, 3, v34
	v_cmp_gt_i32_e64 s[34:35], s27, v37
	v_cmp_gt_i32_e64 s[36:37], s27, v38
	v_cvt_f32_i32_e32 v40, v40
	v_cndmask_b32_e64 v37, v36, v78, s[34:35]
	v_cndmask_b32_e64 v38, v36, v79, s[36:37]
	v_max3_f32 v35, v35, v37, v38
	v_or_b32_e32 v37, 16, v34
	v_or_b32_e32 v38, 17, v34
	v_cmp_gt_i32_e64 s[22:23], s27, v37
	v_cmp_gt_i32_e64 s[24:25], s27, v38
	v_fmac_f32_e32 v71, v89, v40
	v_cndmask_b32_e64 v37, v36, v76, s[22:23]
	v_cndmask_b32_e64 v38, v36, v77, s[24:25]
	v_max3_f32 v35, v35, v37, v38
	v_or_b32_e32 v37, 18, v34
	v_or_b32_e32 v38, 19, v34
	v_cmp_gt_i32_e64 s[18:19], s27, v37
	v_cmp_gt_i32_e64 s[20:21], s27, v38
	v_cvt_f32_i32_e32 v39, v39
	v_cndmask_b32_e64 v37, v36, v74, s[18:19]
	v_cndmask_b32_e64 v38, v36, v75, s[20:21]
	v_max3_f32 v35, v35, v37, v38
	v_or_b32_e32 v37, 32, v34
	v_or_b32_e32 v38, 33, v34
	v_cmp_gt_i32_e64 s[14:15], s27, v37
	v_cmp_gt_i32_e64 s[16:17], s27, v38
	v_fma_f32 v66, v89, v39, v66
	v_cndmask_b32_e64 v37, v36, v72, s[14:15]
	v_cndmask_b32_e64 v38, v36, v73, s[16:17]
	v_max3_f32 v35, v35, v37, v38
	v_or_b32_e32 v37, 34, v34
	v_or_b32_e32 v38, 35, v34
	v_cmp_gt_i32_e64 s[10:11], s27, v37
	v_cmp_gt_i32_e64 s[12:13], s27, v38
	s_nop 0
	v_cndmask_b32_e64 v37, v36, v70, s[10:11]
	v_cndmask_b32_e64 v38, v36, v71, s[12:13]
	v_max3_f32 v35, v35, v37, v38
	v_or_b32_e32 v37, 48, v34
	v_or_b32_e32 v38, 49, v34
	v_cmp_gt_i32_e64 s[6:7], s27, v37
	v_cmp_gt_i32_e64 s[8:9], s27, v38
	s_nop 0
	v_cndmask_b32_e64 v37, v36, v68, s[6:7]
	v_cndmask_b32_e64 v38, v36, v69, s[8:9]
	v_max3_f32 v35, v35, v37, v38
	v_or_b32_e32 v37, 50, v34
	v_or_b32_e32 v34, 51, v34
	v_cmp_gt_i32_e32 vcc, s27, v37
	v_cmp_gt_i32_e64 s[4:5], s27, v34
	global_load_dwordx4 v[46:49], v[42:43], off
	global_load_dwordx4 v[38:41], v[42:43], off offset:16
	v_cndmask_b32_e32 v37, v36, v66, vcc
	v_cndmask_b32_e64 v34, v36, v67, s[4:5]
	v_max3_f32 v58, v35, v37, v34
	v_mbcnt_lo_u32_b32 v34, -1, 0
	v_mbcnt_hi_u32_b32 v59, -1, v34
	v_and_b32_e32 v34, 64, v59
	v_add_u32_e32 v60, 64, v34
	v_xor_b32_e32 v34, 32, v59
	v_cmp_lt_i32_e64 s[38:39], v34, v60
	s_nop 1
	v_cndmask_b32_e64 v34, v59, v34, s[38:39]
	v_lshlrev_b32_e32 v87, 2, v34
	ds_bpermute_b32 v61, v87, v58
	v_lshl_add_u64 v[34:35], v[80:81], 0, v[54:55]
	global_load_dwordx4 v[42:45], v[34:35], off
	s_nop 0
	global_load_dwordx4 v[34:37], v[34:35], off offset:16
	s_waitcnt lgkmcnt(0)
	v_max_f32_e32 v54, v61, v61
	v_max_f32_e32 v62, v58, v54
	v_xor_b32_e32 v54, 16, v59
	v_cmp_lt_i32_e64 s[38:39], v54, v60
	s_nop 1
	v_cndmask_b32_e64 v54, v59, v54, s[38:39]
	v_lshlrev_b32_e32 v89, 2, v54
	ds_bpermute_b32 v63, v89, v62
	v_lshl_add_u64 v[54:55], v[80:81], 0, v[56:57]
	global_load_dwordx4 v[58:61], v[54:55], off
	s_nop 0
	global_load_dwordx4 v[54:57], v[54:55], off offset:16
	s_waitcnt lgkmcnt(0)
	v_max_f32_e32 v63, v63, v63
	v_max_f32_e32 v86, v62, v63
	v_sub_f32_e32 v52, v52, v86
	v_mul_f32_e32 v52, 0x3fb8aa3b, v52
	v_exp_f32_e32 v80, v52
	v_sub_f32_e32 v52, v53, v86
	v_mul_f32_e32 v52, 0x3fb8aa3b, v52
	v_exp_f32_e32 v81, v52
	global_load_dwordx4 v[62:65], v[50:51], off
	s_nop 0
	global_load_dwordx4 v[50:53], v[50:51], off offset:16
	v_sub_f32_e32 v78, v78, v86
	v_mul_f32_e32 v78, 0x3fb8aa3b, v78
	v_sub_f32_e32 v79, v79, v86
	v_exp_f32_e32 v78, v78
	v_mul_f32_e32 v79, 0x3fb8aa3b, v79
	v_sub_f32_e32 v76, v76, v86
	v_exp_f32_e32 v79, v79
	v_mul_f32_e32 v76, 0x3fb8aa3b, v76
	v_sub_f32_e32 v77, v77, v86
	v_cndmask_b32_e64 v80, 0, v80, s[28:29]
	v_exp_f32_e32 v76, v76
	v_mul_f32_e32 v77, 0x3fb8aa3b, v77
	v_sub_f32_e32 v74, v74, v86
	v_add_f32_e32 v91, 0, v80
	v_cndmask_b32_e64 v81, 0, v81, s[30:31]
	v_exp_f32_e32 v77, v77
	v_mul_f32_e32 v74, 0x3fb8aa3b, v74
	v_sub_f32_e32 v75, v75, v86
	v_add_f32_e32 v91, v91, v81
	;; [unrolled: 5-line block ×10, first 2 shown]
	v_cndmask_b32_e64 v70, 0, v70, s[10:11]
	v_exp_f32_e32 v66, v66
	v_mul_f32_e32 v67, 0x3fb8aa3b, v67
	v_add_f32_e32 v91, v91, v70
	v_cndmask_b32_e64 v71, 0, v71, s[12:13]
	v_exp_f32_e32 v67, v67
	v_add_f32_e32 v91, v91, v71
	v_cndmask_b32_e64 v68, 0, v68, s[6:7]
	v_add_f32_e32 v91, v91, v68
	v_cndmask_b32_e64 v69, 0, v69, s[8:9]
	v_add_f32_e32 v91, v91, v69
	v_cndmask_b32_e32 v66, 0, v66, vcc
	v_add_f32_e32 v91, v91, v66
	v_cndmask_b32_e64 v67, 0, v67, s[4:5]
	v_add_f32_e32 v91, v91, v67
	ds_bpermute_b32 v87, v87, v91
	s_load_dword s7, s[0:1], 0x98
	v_cmp_gt_u32_e32 vcc, 16, v85
	s_waitcnt lgkmcnt(0)
	s_barrier
	v_add_f32_e32 v87, v91, v87
	ds_bpermute_b32 v89, v89, v87
	s_waitcnt lgkmcnt(0)
	s_and_saveexec_b64 s[4:5], vcc
	s_cbranch_execz .LBB702_17
; %bb.16:
	v_add_f32_e32 v85, v87, v89
	v_lshlrev_b32_e32 v87, 2, v90
	ds_write2st64_b32 v87, v86, v85 offset1:1
.LBB702_17:
	s_or_b64 exec, exec, s[4:5]
	v_lshlrev_b32_e32 v85, 2, v84
	s_load_dword s6, s[0:1], 0x94
	s_waitcnt lgkmcnt(0)
	s_barrier
	ds_read2_b32 v[90:91], v85 offset1:16
	ds_read2_b32 v[92:93], v85 offset0:32 offset1:48
	ds_read2_b32 v[94:95], v85 offset0:64 offset1:80
	s_movk_i32 s8, 0x7fff
	s_mov_b32 s9, 0x7060302
	s_waitcnt lgkmcnt(2)
	v_max3_f32 v86, v90, s33, v91
	s_waitcnt lgkmcnt(1)
	v_max3_f32 v86, v86, v92, v93
	v_sub_f32_e32 v87, v90, v86
	v_mul_f32_e32 v87, 0x3fb8aa3b, v87
	v_exp_f32_e32 v89, v87
	v_sub_f32_e32 v87, v91, v86
	v_mul_f32_e32 v87, 0x3fb8aa3b, v87
	v_exp_f32_e32 v88, v87
	v_sub_f32_e32 v87, v92, v86
	v_mul_f32_e32 v87, 0x3fb8aa3b, v87
	ds_read2_b32 v[90:91], v85 offset0:96 offset1:112
	v_sub_f32_e32 v85, v93, v86
	v_exp_f32_e32 v92, v87
	v_mul_f32_e32 v85, 0x3fb8aa3b, v85
	v_exp_f32_e32 v85, v85
	s_waitcnt lgkmcnt(1)
	v_fma_f32 v87, v89, v94, 0
	v_fmac_f32_e32 v87, v88, v95
	s_waitcnt lgkmcnt(0)
	v_fmac_f32_e32 v87, v92, v90
	v_fmac_f32_e32 v87, v85, v91
	v_add_f32_e32 v90, 0x358637bd, v87
	v_div_scale_f32 v91, s[4:5], v90, v90, 1.0
	v_rcp_f32_e32 v93, v91
	s_mul_i32 s7, s7, 15
	s_barrier
	v_fma_f32 v94, -v91, v93, 1.0
	v_fmac_f32_e32 v93, v94, v93
	v_div_scale_f32 v94, vcc, 1.0, v90, 1.0
	v_mul_f32_e32 v95, v94, v93
	v_fma_f32 v1, -v91, v95, v94
	v_fmac_f32_e32 v95, v1, v93
	v_fma_f32 v1, -v91, v95, v94
	v_lshrrev_b32_e32 v91, 6, v0
	v_div_fmas_f32 v1, v1, v93, v95
	v_cmp_eq_u32_e32 vcc, 1, v91
	v_div_fixup_f32 v1, v1, v90, 1.0
	s_nop 0
	v_cndmask_b32_e32 v88, v89, v88, vcc
	v_cmp_eq_u32_e32 vcc, 2, v91
	s_nop 1
	v_cndmask_b32_e32 v88, v88, v92, vcc
	v_cmp_eq_u32_e32 vcc, 3, v91
	s_nop 1
	v_cndmask_b32_e32 v85, v88, v85, vcc
	v_mul_f32_e32 v90, v85, v1
	v_pk_mul_f32 v[80:81], v[90:91], v[80:81] op_sel_hi:[0,1]
	v_bfe_u32 v1, v81, 16, 1
	v_bfe_u32 v85, v80, 16, 1
	v_pk_mul_f32 v[78:79], v[90:91], v[78:79] op_sel_hi:[0,1]
	v_add3_u32 v80, v80, v85, s8
	v_add3_u32 v1, v81, v1, s8
	v_perm_b32 v80, v1, v80, s9
	v_bfe_u32 v1, v79, 16, 1
	v_bfe_u32 v81, v78, 16, 1
	v_add3_u32 v78, v78, v81, s8
	v_add3_u32 v1, v79, v1, s8
	v_bfe_u32 v88, v0, 4, 2
	v_perm_b32 v81, v1, v78, s9
	v_lshlrev_b32_e32 v1, 3, v88
	v_lshlrev_b32_e32 v78, 5, v84
	;; [unrolled: 1-line block ×3, first 2 shown]
	v_pk_mul_f32 v[76:77], v[90:91], v[76:77] op_sel_hi:[0,1]
	v_or3_b32 v1, v79, v78, v1
	v_bfe_u32 v79, v77, 16, 1
	v_bfe_u32 v85, v76, 16, 1
	v_pk_mul_f32 v[74:75], v[90:91], v[74:75] op_sel_hi:[0,1]
	v_add3_u32 v76, v76, v85, s8
	v_add3_u32 v77, v77, v79, s8
	v_perm_b32 v76, v77, v76, s9
	v_bfe_u32 v77, v75, 16, 1
	v_bfe_u32 v79, v74, 16, 1
	v_add3_u32 v74, v74, v79, s8
	v_add3_u32 v75, v75, v77, s8
	v_pk_mul_f32 v[72:73], v[90:91], v[72:73] op_sel_hi:[0,1]
	v_perm_b32 v77, v75, v74, s9
	v_bfe_u32 v74, v73, 16, 1
	v_bfe_u32 v75, v72, 16, 1
	v_pk_mul_f32 v[70:71], v[90:91], v[70:71] op_sel_hi:[0,1]
	v_add3_u32 v72, v72, v75, s8
	v_add3_u32 v73, v73, v74, s8
	v_perm_b32 v72, v73, v72, s9
	v_bfe_u32 v73, v71, 16, 1
	v_bfe_u32 v74, v70, 16, 1
	v_add3_u32 v70, v70, v74, s8
	v_add3_u32 v71, v71, v73, s8
	v_pk_mul_f32 v[68:69], v[90:91], v[68:69] op_sel_hi:[0,1]
	v_perm_b32 v73, v71, v70, s9
	v_bfe_u32 v70, v69, 16, 1
	v_bfe_u32 v71, v68, 16, 1
	v_pk_mul_f32 v[66:67], v[90:91], v[66:67] op_sel_hi:[0,1]
	v_add3_u32 v68, v68, v71, s8
	v_add3_u32 v69, v69, v70, s8
	v_perm_b32 v68, v69, v68, s9
	v_bfe_u32 v69, v67, 16, 1
	v_bfe_u32 v70, v66, 16, 1
	v_add3_u32 v66, v66, v70, s8
	v_add3_u32 v67, v67, v69, s8
	v_perm_b32 v69, v67, v66, s9
	v_cmp_gt_u32_e32 vcc, 15, v0
	ds_write2st64_b64 v1, v[80:81], v[76:77] offset1:1
	ds_write2st64_b64 v1, v[72:73], v[68:69] offset0:2 offset1:3
	s_and_saveexec_b64 s[4:5], vcc
	s_cbranch_execz .LBB702_19
; %bb.18:
	s_mov_b32 s41, 0
	v_mov_b32_e32 v85, 0
	v_lshl_add_u64 v[66:67], s[40:41], 0, v[84:85]
	v_mov_b32_e32 v68, s7
	v_mad_u64_u32 v[66:67], s[10:11], s2, v68, v[66:67]
	s_mul_i32 s3, s3, s7
	v_mov_b32_e32 v68, s26
	v_mov_b32_e32 v69, v85
	s_load_dwordx4 s[12:15], s[0:1], 0x58
	v_add_u32_e32 v70, s3, v67
	v_mad_u64_u32 v[66:67], s[10:11], v66, s6, v[68:69]
	v_mov_b32_e32 v68, v67
	v_mad_u64_u32 v[68:69], s[10:11], v70, s6, v[68:69]
	v_mov_b32_e32 v67, v68
	v_lshlrev_b64 v[66:67], 2, v[66:67]
	s_waitcnt lgkmcnt(0)
	v_lshl_add_u64 v[68:69], s[14:15], 0, v[66:67]
	v_lshl_add_u64 v[66:67], s[12:13], 0, v[66:67]
	global_store_dword v[68:69], v86, off
	global_store_dword v[66:67], v87, off
.LBB702_19:
	s_or_b64 exec, exec, s[4:5]
	v_lshl_or_b32 v78, v88, 9, v78
	s_waitcnt lgkmcnt(0)
	s_barrier
	ds_read_b128 v[70:73], v78
	ds_read_b128 v[66:69], v78 offset:16
	s_waitcnt vmcnt(15) lgkmcnt(1)
	v_mfma_f32_16x16x16_bf16 v[74:77], v[30:31], v[70:71], 0
	s_mov_b32 s3, 0
	v_cmp_gt_u32_e32 vcc, 64, v0
	v_mfma_f32_16x16x16_bf16 v[30:33], v[32:33], v[72:73], v[74:77]
	s_waitcnt vmcnt(14) lgkmcnt(0)
	v_mfma_f32_16x16x16_bf16 v[30:33], v[26:27], v[66:67], v[30:33]
	v_mfma_f32_16x16x16_bf16 v[26:29], v[28:29], v[68:69], v[30:33]
	s_nop 5
	ds_read_b128 v[30:33], v78 offset:2048
	ds_read_b128 v[74:77], v78 offset:2064
	s_waitcnt vmcnt(13) lgkmcnt(1)
	v_mfma_f32_16x16x16_bf16 v[26:29], v[22:23], v[30:31], v[26:29]
	v_mfma_f32_16x16x16_bf16 v[22:25], v[24:25], v[32:33], v[26:29]
	s_waitcnt vmcnt(12) lgkmcnt(0)
	v_mfma_f32_16x16x16_bf16 v[22:25], v[18:19], v[74:75], v[22:25]
	v_mfma_f32_16x16x16_bf16 v[18:21], v[20:21], v[76:77], v[22:25]
	s_nop 5
	ds_read_b128 v[22:25], v78 offset:4096
	ds_read_b128 v[26:29], v78 offset:4112
	s_waitcnt vmcnt(11) lgkmcnt(1)
	v_mfma_f32_16x16x16_bf16 v[18:21], v[14:15], v[22:23], v[18:21]
	v_mfma_f32_16x16x16_bf16 v[14:17], v[16:17], v[24:25], v[18:21]
	s_waitcnt vmcnt(10) lgkmcnt(0)
	v_mfma_f32_16x16x16_bf16 v[14:17], v[10:11], v[26:27], v[14:17]
	v_mfma_f32_16x16x16_bf16 v[10:13], v[12:13], v[28:29], v[14:17]
	s_nop 5
	ds_read_b128 v[14:17], v78 offset:6144
	ds_read_b128 v[18:21], v78 offset:6160
	s_waitcnt lgkmcnt(0)
	s_barrier
	s_waitcnt vmcnt(9)
	v_mfma_f32_16x16x16_bf16 v[10:13], v[6:7], v[14:15], v[10:13]
	v_mfma_f32_16x16x16_bf16 v[6:9], v[8:9], v[16:17], v[10:13]
	s_waitcnt vmcnt(8)
	v_mfma_f32_16x16x16_bf16 v[6:9], v[2:3], v[18:19], v[6:9]
	v_mfma_f32_16x16x16_bf16 v[2:5], v[4:5], v[20:21], v[6:9]
	s_waitcnt vmcnt(7)
	v_mfma_f32_16x16x16_bf16 v[6:9], v[46:47], v[70:71], 0
	v_mfma_f32_16x16x16_bf16 v[6:9], v[48:49], v[72:73], v[6:9]
	s_nop 3
	v_bfe_u32 v10, v3, 16, 1
	v_bfe_u32 v11, v2, 16, 1
	v_add3_u32 v2, v2, v11, s8
	s_waitcnt vmcnt(6)
	v_mfma_f32_16x16x16_bf16 v[6:9], v[38:39], v[66:67], v[6:9]
	v_add3_u32 v3, v3, v10, s8
	v_perm_b32 v10, v3, v2, s9
	v_bfe_u32 v2, v5, 16, 1
	v_mfma_f32_16x16x16_bf16 v[6:9], v[40:41], v[68:69], v[6:9]
	v_bfe_u32 v3, v4, 16, 1
	v_add3_u32 v3, v4, v3, s8
	v_add3_u32 v2, v5, v2, s8
	s_waitcnt vmcnt(5)
	v_mfma_f32_16x16x16_bf16 v[6:9], v[42:43], v[30:31], v[6:9]
	v_perm_b32 v11, v2, v3, s9
	v_mfma_f32_16x16x16_bf16 v[6:9], v[44:45], v[32:33], v[6:9]
	s_waitcnt vmcnt(4)
	v_mfma_f32_16x16x16_bf16 v[6:9], v[34:35], v[74:75], v[6:9]
	v_mfma_f32_16x16x16_bf16 v[6:9], v[36:37], v[76:77], v[6:9]
	s_waitcnt vmcnt(3)
	v_mfma_f32_16x16x16_bf16 v[6:9], v[58:59], v[22:23], v[6:9]
	v_mfma_f32_16x16x16_bf16 v[6:9], v[60:61], v[24:25], v[6:9]
	s_waitcnt vmcnt(2)
	v_mfma_f32_16x16x16_bf16 v[6:9], v[54:55], v[26:27], v[6:9]
	v_mfma_f32_16x16x16_bf16 v[6:9], v[56:57], v[28:29], v[6:9]
	s_waitcnt vmcnt(1)
	v_mfma_f32_16x16x16_bf16 v[6:9], v[62:63], v[14:15], v[6:9]
	v_mfma_f32_16x16x16_bf16 v[6:9], v[64:65], v[16:17], v[6:9]
	s_waitcnt vmcnt(0)
	v_mfma_f32_16x16x16_bf16 v[6:9], v[50:51], v[18:19], v[6:9]
	v_mfma_f32_16x16x16_bf16 v[2:5], v[52:53], v[20:21], v[6:9]
	s_nop 6
	v_bfe_u32 v6, v3, 16, 1
	v_bfe_u32 v7, v2, 16, 1
	v_add3_u32 v2, v2, v7, s8
	v_add3_u32 v3, v3, v6, s8
	v_perm_b32 v2, v3, v2, s9
	v_bfe_u32 v3, v5, 16, 1
	v_bfe_u32 v6, v4, 16, 1
	v_add3_u32 v4, v4, v6, s8
	v_add3_u32 v3, v5, v3, s8
	v_perm_b32 v3, v3, v4, s9
	ds_write2st64_b64 v1, v[10:11], v[2:3] offset1:1
	s_waitcnt lgkmcnt(0)
	s_barrier
	s_and_saveexec_b64 s[4:5], vcc
	s_cbranch_execz .LBB702_22
; %bb.20:
	s_load_dwordx2 s[4:5], s[0:1], 0x68
	s_lshl_b32 s0, s6, 7
	s_mul_i32 s1, s7, s2
	v_lshlrev_b32_e32 v3, 6, v84
	s_mul_hi_u32 s7, s1, s0
	s_mul_i32 s6, s1, s0
	v_lshlrev_b32_e32 v2, 4, v0
	v_lshl_or_b32 v0, v0, 10, v3
	s_lshl_b64 s[6:7], s[6:7], 1
	v_lshlrev_b32_e32 v1, 5, v88
	v_and_b32_e32 v2, 16, v2
	v_and_b32_e32 v0, 0x1a00, v0
	s_waitcnt lgkmcnt(0)
	s_add_u32 s1, s4, s6
	v_or3_b32 v2, v0, v1, v2
	s_addc_u32 s4, s5, s7
	s_lshl_b32 s2, s26, 7
	ds_read_b128 v[4:7], v2 offset:256
	s_lshl_b64 s[2:3], s[2:3], 1
	ds_read_b128 v[8:11], v2 offset:128
	ds_read_b128 v[12:15], v2
	s_add_u32 s2, s1, s2
	s_addc_u32 s3, s4, s3
	v_add_u32_e32 v3, s40, v88
	v_lshl_add_u64 v[0:1], v[82:83], 1, s[2:3]
	v_mad_u64_u32 v[16:17], s[2:3], v3, s0, 0
	v_lshl_add_u64 v[16:17], v[16:17], 1, v[0:1]
	s_waitcnt lgkmcnt(0)
	global_store_dwordx4 v[16:17], v[12:15], off
	v_cmp_ne_u32_e32 vcc, 3, v88
	s_nop 0
	v_add_u32_e32 v12, 4, v3
	v_mad_u64_u32 v[12:13], s[2:3], v12, s0, 0
	v_lshl_add_u64 v[12:13], v[12:13], 1, v[0:1]
	v_add_u32_e32 v3, 8, v3
	global_store_dwordx4 v[12:13], v[8:11], off
	s_nop 1
	v_mad_u64_u32 v[8:9], s[2:3], v3, s0, 0
	v_lshl_add_u64 v[8:9], v[8:9], 1, v[0:1]
	global_store_dwordx4 v[8:9], v[4:7], off
	s_and_b64 exec, exec, vcc
	s_cbranch_execz .LBB702_22
; %bb.21:
	ds_read_b128 v[2:5], v2 offset:384
	v_add3_u32 v6, s40, v88, 12
	v_mad_u64_u32 v[6:7], s[0:1], v6, s0, 0
	v_lshl_add_u64 v[0:1], v[6:7], 1, v[0:1]
	s_waitcnt lgkmcnt(0)
	global_store_dwordx4 v[0:1], v[2:5], off
.LBB702_22:
	s_endpgm
	.section	.rodata,"a",@progbits
	.p2align	6, 0x0
	.amdhsa_kernel _Z39paged_attention_ll4mi_QKV_mfma16_kernelI14__hip_bfloat16S0_LN4vllm18Fp8KVCacheDataTypeE0EhLi32ELi128ELi256ELb1ELi15EEvPKT_PKT0_S8_ifPKiSA_SA_iPKfiiiPfSD_PS3_PT2_iSC_SC_
		.amdhsa_group_segment_fixed_size 8192
		.amdhsa_private_segment_fixed_size 0
		.amdhsa_kernarg_size 400
		.amdhsa_user_sgpr_count 2
		.amdhsa_user_sgpr_dispatch_ptr 0
		.amdhsa_user_sgpr_queue_ptr 0
		.amdhsa_user_sgpr_kernarg_segment_ptr 1
		.amdhsa_user_sgpr_dispatch_id 0
		.amdhsa_user_sgpr_kernarg_preload_length 0
		.amdhsa_user_sgpr_kernarg_preload_offset 0
		.amdhsa_user_sgpr_private_segment_size 0
		.amdhsa_uses_dynamic_stack 0
		.amdhsa_enable_private_segment 0
		.amdhsa_system_sgpr_workgroup_id_x 1
		.amdhsa_system_sgpr_workgroup_id_y 1
		.amdhsa_system_sgpr_workgroup_id_z 1
		.amdhsa_system_sgpr_workgroup_info 0
		.amdhsa_system_vgpr_workitem_id 0
		.amdhsa_next_free_vgpr 96
		.amdhsa_next_free_sgpr 42
		.amdhsa_accum_offset 96
		.amdhsa_reserve_vcc 1
		.amdhsa_float_round_mode_32 0
		.amdhsa_float_round_mode_16_64 0
		.amdhsa_float_denorm_mode_32 3
		.amdhsa_float_denorm_mode_16_64 3
		.amdhsa_dx10_clamp 1
		.amdhsa_ieee_mode 1
		.amdhsa_fp16_overflow 0
		.amdhsa_tg_split 0
		.amdhsa_exception_fp_ieee_invalid_op 0
		.amdhsa_exception_fp_denorm_src 0
		.amdhsa_exception_fp_ieee_div_zero 0
		.amdhsa_exception_fp_ieee_overflow 0
		.amdhsa_exception_fp_ieee_underflow 0
		.amdhsa_exception_fp_ieee_inexact 0
		.amdhsa_exception_int_div_zero 0
	.end_amdhsa_kernel
	.section	.text._Z39paged_attention_ll4mi_QKV_mfma16_kernelI14__hip_bfloat16S0_LN4vllm18Fp8KVCacheDataTypeE0EhLi32ELi128ELi256ELb1ELi15EEvPKT_PKT0_S8_ifPKiSA_SA_iPKfiiiPfSD_PS3_PT2_iSC_SC_,"axG",@progbits,_Z39paged_attention_ll4mi_QKV_mfma16_kernelI14__hip_bfloat16S0_LN4vllm18Fp8KVCacheDataTypeE0EhLi32ELi128ELi256ELb1ELi15EEvPKT_PKT0_S8_ifPKiSA_SA_iPKfiiiPfSD_PS3_PT2_iSC_SC_,comdat
.Lfunc_end702:
	.size	_Z39paged_attention_ll4mi_QKV_mfma16_kernelI14__hip_bfloat16S0_LN4vllm18Fp8KVCacheDataTypeE0EhLi32ELi128ELi256ELb1ELi15EEvPKT_PKT0_S8_ifPKiSA_SA_iPKfiiiPfSD_PS3_PT2_iSC_SC_, .Lfunc_end702-_Z39paged_attention_ll4mi_QKV_mfma16_kernelI14__hip_bfloat16S0_LN4vllm18Fp8KVCacheDataTypeE0EhLi32ELi128ELi256ELb1ELi15EEvPKT_PKT0_S8_ifPKiSA_SA_iPKfiiiPfSD_PS3_PT2_iSC_SC_
                                        ; -- End function
	.section	.AMDGPU.csdata,"",@progbits
; Kernel info:
; codeLenInByte = 5228
; NumSgprs: 48
; NumVgprs: 96
; NumAgprs: 0
; TotalNumVgprs: 96
; ScratchSize: 0
; MemoryBound: 0
; FloatMode: 240
; IeeeMode: 1
; LDSByteSize: 8192 bytes/workgroup (compile time only)
; SGPRBlocks: 5
; VGPRBlocks: 11
; NumSGPRsForWavesPerEU: 48
; NumVGPRsForWavesPerEU: 96
; AccumOffset: 96
; Occupancy: 5
; WaveLimiterHint : 1
; COMPUTE_PGM_RSRC2:SCRATCH_EN: 0
; COMPUTE_PGM_RSRC2:USER_SGPR: 2
; COMPUTE_PGM_RSRC2:TRAP_HANDLER: 0
; COMPUTE_PGM_RSRC2:TGID_X_EN: 1
; COMPUTE_PGM_RSRC2:TGID_Y_EN: 1
; COMPUTE_PGM_RSRC2:TGID_Z_EN: 1
; COMPUTE_PGM_RSRC2:TIDIG_COMP_CNT: 0
; COMPUTE_PGM_RSRC3_GFX90A:ACCUM_OFFSET: 23
; COMPUTE_PGM_RSRC3_GFX90A:TG_SPLIT: 0
	.section	.text._Z39paged_attention_ll4mi_QKV_mfma16_kernelI14__hip_bfloat16S0_LN4vllm18Fp8KVCacheDataTypeE0EhLi32ELi128ELi256ELb1ELi16EEvPKT_PKT0_S8_ifPKiSA_SA_iPKfiiiPfSD_PS3_PT2_iSC_SC_,"axG",@progbits,_Z39paged_attention_ll4mi_QKV_mfma16_kernelI14__hip_bfloat16S0_LN4vllm18Fp8KVCacheDataTypeE0EhLi32ELi128ELi256ELb1ELi16EEvPKT_PKT0_S8_ifPKiSA_SA_iPKfiiiPfSD_PS3_PT2_iSC_SC_,comdat
	.protected	_Z39paged_attention_ll4mi_QKV_mfma16_kernelI14__hip_bfloat16S0_LN4vllm18Fp8KVCacheDataTypeE0EhLi32ELi128ELi256ELb1ELi16EEvPKT_PKT0_S8_ifPKiSA_SA_iPKfiiiPfSD_PS3_PT2_iSC_SC_ ; -- Begin function _Z39paged_attention_ll4mi_QKV_mfma16_kernelI14__hip_bfloat16S0_LN4vllm18Fp8KVCacheDataTypeE0EhLi32ELi128ELi256ELb1ELi16EEvPKT_PKT0_S8_ifPKiSA_SA_iPKfiiiPfSD_PS3_PT2_iSC_SC_
	.globl	_Z39paged_attention_ll4mi_QKV_mfma16_kernelI14__hip_bfloat16S0_LN4vllm18Fp8KVCacheDataTypeE0EhLi32ELi128ELi256ELb1ELi16EEvPKT_PKT0_S8_ifPKiSA_SA_iPKfiiiPfSD_PS3_PT2_iSC_SC_
	.p2align	8
	.type	_Z39paged_attention_ll4mi_QKV_mfma16_kernelI14__hip_bfloat16S0_LN4vllm18Fp8KVCacheDataTypeE0EhLi32ELi128ELi256ELb1ELi16EEvPKT_PKT0_S8_ifPKiSA_SA_iPKfiiiPfSD_PS3_PT2_iSC_SC_,@function
_Z39paged_attention_ll4mi_QKV_mfma16_kernelI14__hip_bfloat16S0_LN4vllm18Fp8KVCacheDataTypeE0EhLi32ELi128ELi256ELb1ELi16EEvPKT_PKT0_S8_ifPKiSA_SA_iPKfiiiPfSD_PS3_PT2_iSC_SC_: ; @_Z39paged_attention_ll4mi_QKV_mfma16_kernelI14__hip_bfloat16S0_LN4vllm18Fp8KVCacheDataTypeE0EhLi32ELi128ELi256ELb1ELi16EEvPKT_PKT0_S8_ifPKiSA_SA_iPKfiiiPfSD_PS3_PT2_iSC_SC_
; %bb.0:
	s_load_dwordx2 s[8:9], s[0:1], 0x30
	s_mov_b32 s26, s3
	s_mov_b64 s[6:7], 0
	s_waitcnt lgkmcnt(0)
	s_cmp_lg_u64 s[8:9], 0
	s_cselect_b64 s[10:11], -1, 0
	s_and_b64 vcc, exec, s[10:11]
	s_cbranch_vccz .LBB703_7
; %bb.1:
	s_add_i32 s12, s2, 1
	s_mov_b32 s13, 0
	s_lshl_b64 s[14:15], s[12:13], 2
	s_add_u32 s14, s8, s14
	s_mov_b32 s3, s13
	s_addc_u32 s15, s9, s15
	s_lshl_b64 s[12:13], s[2:3], 2
	s_add_u32 s12, s8, s12
	s_addc_u32 s13, s9, s13
	s_load_dword s5, s[14:15], 0x0
	s_load_dword s16, s[12:13], 0x0
	s_waitcnt lgkmcnt(0)
	s_sub_i32 s5, s5, s16
	s_cmp_eq_u32 s5, 1
	s_cselect_b64 s[12:13], -1, 0
	s_andn2_b64 vcc, exec, s[6:7]
	s_cbranch_vccnz .LBB703_3
.LBB703_2:
	s_mov_b32 s3, 0
	s_mov_b64 s[12:13], -1
.LBB703_3:
	s_andn2_b64 vcc, exec, s[12:13]
	s_cbranch_vccnz .LBB703_19
; %bb.4:
	s_load_dwordx2 s[6:7], s[0:1], 0x28
	s_lshl_b64 s[12:13], s[2:3], 2
	s_waitcnt lgkmcnt(0)
	s_add_u32 s6, s6, s12
	s_addc_u32 s7, s7, s13
	s_load_dword s38, s[6:7], 0x0
	s_lshl_b32 s20, s26, 8
	s_waitcnt lgkmcnt(0)
	s_cmp_ge_i32 s20, s38
	s_cbranch_scc1 .LBB703_19
; %bb.5:
	s_load_dwordx2 s[6:7], s[0:1], 0x20
	s_load_dword s5, s[0:1], 0x38
	s_add_i32 s14, s38, 31
	s_ashr_i32 s15, s14, 31
	v_and_b32_e32 v1, 0xcf, v0
	s_lshr_b32 s15, s15, 27
	v_add_u32_e32 v1, s20, v1
	s_add_i32 s14, s14, s15
	v_ashrrev_i32_e32 v2, 31, v1
	s_ashr_i32 s21, s14, 5
	v_lshrrev_b32_e32 v10, 27, v2
	s_add_i32 s21, s21, -1
	s_waitcnt lgkmcnt(0)
	s_mul_i32 s14, s2, s5
	s_mov_b32 s15, 0
	v_add_u32_e32 v2, v1, v10
	s_lshl_b64 s[14:15], s[14:15], 2
	v_ashrrev_i32_e32 v2, 5, v2
	v_mov_b32_e32 v11, s21
	v_cmp_gt_i32_e32 vcc, s38, v1
	s_add_u32 s6, s6, s14
	s_addc_u32 s7, s7, s15
	v_cndmask_b32_e32 v2, v11, v2, vcc
	v_ashrrev_i32_e32 v3, 31, v2
	v_lshl_add_u64 v[4:5], v[2:3], 2, s[6:7]
	v_or_b32_e32 v2, 16, v1
	v_add_u32_e32 v3, v2, v10
	v_ashrrev_i32_e32 v3, 5, v3
	v_cmp_gt_i32_e32 vcc, s38, v2
	s_nop 1
	v_cndmask_b32_e32 v2, v11, v3, vcc
	v_ashrrev_i32_e32 v3, 31, v2
	v_lshl_add_u64 v[6:7], v[2:3], 2, s[6:7]
	v_or_b32_e32 v2, 32, v1
	v_add_u32_e32 v3, v2, v10
	v_ashrrev_i32_e32 v3, 5, v3
	v_cmp_gt_i32_e32 vcc, s38, v2
	v_or_b32_e32 v1, 48, v1
	s_nop 0
	v_cndmask_b32_e32 v2, v11, v3, vcc
	v_ashrrev_i32_e32 v3, 31, v2
	v_lshl_add_u64 v[8:9], v[2:3], 2, s[6:7]
	v_add_u32_e32 v2, v1, v10
	v_ashrrev_i32_e32 v2, 5, v2
	v_cmp_gt_i32_e32 vcc, s38, v1
	s_nop 1
	v_cndmask_b32_e32 v2, v11, v2, vcc
	v_ashrrev_i32_e32 v3, 31, v2
	v_lshl_add_u64 v[10:11], v[2:3], 2, s[6:7]
	global_load_dword v3, v[4:5], off
	global_load_dword v2, v[6:7], off
	;; [unrolled: 1-line block ×4, first 2 shown]
	s_andn2_b64 vcc, exec, s[10:11]
	s_cbranch_vccnz .LBB703_8
; %bb.6:
	s_add_u32 s8, s8, s12
	s_addc_u32 s9, s9, s13
	s_load_dword s5, s[8:9], 0x0
	s_branch .LBB703_9
.LBB703_7:
	s_mov_b64 s[12:13], 0
	s_branch .LBB703_2
.LBB703_8:
	s_mov_b32 s5, s2
.LBB703_9:
	s_load_dwordx2 s[16:17], s[0:1], 0x40
	s_load_dwordx4 s[12:15], s[0:1], 0x8
	s_load_dwordx4 s[8:11], s[0:1], 0x48
	v_and_b32_e32 v75, 15, v0
	s_waitcnt lgkmcnt(0)
	s_movk_i32 s11, 0xff
	v_lshlrev_b32_e32 v12, 3, v75
	v_cmp_lt_u32_e32 vcc, s11, v0
	s_and_saveexec_b64 s[18:19], vcc
	s_xor_b64 s[18:19], exec, s[18:19]
; %bb.10:
	v_mov_b32_e32 v13, 0
; %bb.11:
	s_or_saveexec_b64 s[18:19], s[18:19]
	v_lshrrev_b32_e32 v74, 6, v0
	v_and_b32_e32 v95, 63, v0
	s_lshl_b32 s27, s4, 4
	v_bfe_u32 v1, v0, 4, 2
	s_xor_b64 exec, exec, s[18:19]
	s_cbranch_execz .LBB703_13
; %bb.12:
	s_load_dwordx2 s[22:23], s[0:1], 0x0
	s_ashr_i32 s11, s8, 31
	s_mul_hi_u32 s24, s5, s8
	s_mul_i32 s11, s5, s11
	s_add_i32 s25, s24, s11
	s_mul_i32 s24, s5, s8
	v_lshl_or_b32 v8, v74, 2, v1
	s_lshl_b64 s[24:25], s[24:25], 1
	s_waitcnt lgkmcnt(0)
	s_add_u32 s22, s22, s24
	v_add_lshl_u32 v4, v8, s27, 7
	s_addc_u32 s23, s23, s25
	v_ashrrev_i32_e32 v5, 31, v4
	v_mov_b32_e32 v13, 0
	v_lshl_add_u64 v[4:5], v[4:5], 1, s[22:23]
	v_lshlrev_b32_e32 v6, 1, v12
	v_mov_b32_e32 v7, v13
	v_lshl_add_u64 v[4:5], v[4:5], 0, v[6:7]
	global_load_dwordx4 v[4:7], v[4:5], off
	v_and_b32_e32 v9, 3, v0
	v_lshlrev_b32_e32 v10, 9, v75
	v_lshlrev_b32_e32 v8, 5, v8
	;; [unrolled: 1-line block ×3, first 2 shown]
	v_and_b32_e32 v10, 0x1800, v10
	v_or3_b32 v8, v10, v9, v8
	s_waitcnt vmcnt(0)
	ds_write_b128 v8, v[4:7]
.LBB703_13:
	s_or_b64 exec, exec, s[18:19]
	s_mul_i32 s4, s4, s10
	s_mov_b32 s5, 0
	s_lshl_b64 s[4:5], s[4:5], 1
	s_add_u32 s10, s12, s4
	s_addc_u32 s11, s13, s5
	s_waitcnt vmcnt(3)
	v_mad_i64_i32 v[4:5], s[12:13], v3, s9, 0
	v_lshl_add_u64 v[4:5], v[4:5], 1, s[10:11]
	v_lshlrev_b64 v[58:59], 1, v[12:13]
	v_lshlrev_b32_e32 v50, 9, v1
	v_lshl_add_u64 v[4:5], v[4:5], 0, v[58:59]
	v_mov_b32_e32 v51, 0
	v_lshl_add_u64 v[6:7], v[4:5], 0, v[50:51]
	s_load_dword s33, s[0:1], 0x98
	s_load_dword s8, s[0:1], 0x1c
	s_waitcnt lgkmcnt(0)
	s_barrier
	global_load_dwordx4 v[26:29], v[6:7], off
	s_waitcnt vmcnt(3)
	v_mad_i64_i32 v[2:3], s[12:13], v2, s9, 0
	v_mov_b32_e32 v8, 0x100
	v_lshl_add_u64 v[2:3], v[2:3], 1, s[10:11]
	v_lshl_or_b32 v54, v75, 4, v8
	v_mov_b32_e32 v55, v51
	v_lshl_add_u64 v[14:15], v[2:3], 0, v[54:55]
	scratch_store_dwordx2 off, v[12:13], off ; 8-byte Folded Spill
	v_lshl_add_u64 v[2:3], v[14:15], 0, v[50:51]
	global_load_dwordx4 v[30:33], v[2:3], off
	global_load_dwordx4 v[10:13], v[6:7], off offset:2048
	global_load_dwordx4 v[18:21], v[2:3], off offset:2048
	v_or_b32_e32 v56, 0x1000, v50
	v_mov_b32_e32 v57, v51
	v_lshl_add_u64 v[2:3], v[4:5], 0, v[56:57]
	global_load_dwordx4 v[6:9], v[2:3], off
	v_or_b32_e32 v52, 0x1800, v50
	v_mov_b32_e32 v53, v51
	v_lshl_add_u64 v[2:3], v[14:15], 0, v[56:57]
	v_lshl_add_u64 v[14:15], v[14:15], 0, v[52:53]
	global_load_dwordx4 v[22:25], v[2:3], off
	s_waitcnt vmcnt(8)
	v_mad_i64_i32 v[62:63], s[12:13], v35, s9, 0
	global_load_dwordx4 v[14:17], v[14:15], off
	v_lshl_add_u64 v[2:3], v[4:5], 0, v[52:53]
	global_load_dwordx4 v[2:5], v[2:3], off
	v_lshl_add_u64 v[62:63], v[62:63], 1, s[10:11]
	v_lshl_add_u64 v[70:71], v[62:63], 0, v[58:59]
	v_lshl_or_b32 v88, v75, 5, v50
	v_lshl_add_u64 v[72:73], v[70:71], 0, v[50:51]
	s_waitcnt vmcnt(9)
	v_mad_i64_i32 v[60:61], s[12:13], v34, s9, 0
	ds_read_b128 v[46:49], v88
	ds_read_b128 v[42:45], v88 offset:2048
	ds_read_b128 v[38:41], v88 offset:4096
	;; [unrolled: 1-line block ×3, first 2 shown]
	global_load_dwordx4 v[66:69], v[72:73], off
	s_ashr_i32 s12, s20, 31
	v_and_or_b32 v78, v0, 48, s20
	v_mov_b32_e32 v79, s21
	v_cmp_gt_i32_e32 vcc, s38, v78
	v_or_b32_e32 v82, 64, v78
	v_or_b32_e32 v83, 0x80, v78
	;; [unrolled: 1-line block ×3, first 2 shown]
	s_mov_b32 s40, 0xff7fffff
	s_waitcnt vmcnt(9) lgkmcnt(3)
	v_mfma_f32_16x16x16_bf16 v[62:65], v[26:27], v[46:47], 0
	v_lshl_add_u64 v[26:27], v[60:61], 1, s[10:11]
	v_lshl_add_u64 v[80:81], v[26:27], 0, v[54:55]
	;; [unrolled: 1-line block ×3, first 2 shown]
	s_waitcnt vmcnt(7)
	v_mfma_f32_16x16x16_bf16 v[58:61], v[30:31], v[46:47], 0
	s_lshr_b32 s10, s12, 27
	v_add_u32_e32 v85, s10, v78
	v_add_u32_e32 v86, s10, v82
	v_mfma_f32_16x16x16_bf16 v[26:29], v[28:29], v[48:49], v[62:65]
	v_lshl_add_u64 v[76:77], v[80:81], 0, v[56:57]
	v_add_u32_e32 v87, s10, v83
	v_add_u32_e32 v90, s10, v84
	v_mfma_f32_16x16x16_bf16 v[30:33], v[32:33], v[48:49], v[58:61]
	v_lshl_add_u64 v[64:65], v[80:81], 0, v[50:51]
	v_ashrrev_i32_e32 v50, 5, v85
	v_lshl_add_u64 v[62:63], v[70:71], 0, v[52:53]
	global_load_dwordx4 v[58:61], v[72:73], off offset:2048
	s_waitcnt vmcnt(7) lgkmcnt(2)
	v_mfma_f32_16x16x16_bf16 v[26:29], v[10:11], v[42:43], v[26:29]
	v_ashrrev_i32_e32 v70, 5, v86
	v_ashrrev_i32_e32 v71, 5, v87
	s_add_u32 s4, s14, s4
	v_mfma_f32_16x16x16_bf16 v[10:13], v[12:13], v[44:45], v[26:29]
	s_addc_u32 s5, s15, s5
	s_nop 1
	global_load_dwordx4 v[26:29], v[54:55], off
	s_waitcnt vmcnt(7)
	v_mfma_f32_16x16x16_bf16 v[30:33], v[18:19], v[42:43], v[30:33]
	v_cndmask_b32_e32 v54, v79, v50, vcc
	v_ashrrev_i32_e32 v55, 31, v54
	v_cmp_gt_i32_e32 vcc, s38, v82
	v_mfma_f32_16x16x16_bf16 v[18:21], v[20:21], v[44:45], v[30:33]
	s_nop 2
	v_lshl_add_u64 v[30:31], v[54:55], 2, s[6:7]
	global_load_dwordx4 v[54:57], v[62:63], off
	s_waitcnt vmcnt(7) lgkmcnt(1)
	v_mfma_f32_16x16x16_bf16 v[10:13], v[6:7], v[38:39], v[10:13]
	v_cndmask_b32_e32 v6, v79, v70, vcc
	global_load_dword v30, v[30:31], off
	v_ashrrev_i32_e32 v7, 31, v6
	v_lshl_add_u64 v[6:7], v[6:7], 2, s[6:7]
	global_load_dword v82, v[6:7], off
	v_mfma_f32_16x16x16_bf16 v[6:9], v[8:9], v[40:41], v[10:13]
	v_cmp_gt_i32_e32 vcc, s38, v83
	s_nop 1
	global_load_dwordx4 v[10:13], v[64:65], off
	s_waitcnt vmcnt(9)
	v_mfma_f32_16x16x16_bf16 v[18:21], v[22:23], v[38:39], v[18:21]
	global_load_dwordx4 v[62:65], v[64:65], off offset:2048
	v_ashrrev_i32_e32 v72, 5, v90
	v_cndmask_b32_e32 v22, v79, v71, vcc
	v_cmp_gt_i32_e32 vcc, s38, v84
	s_waitcnt vmcnt(8) lgkmcnt(0)
	v_mfma_f32_16x16x16_bf16 v[6:9], v[2:3], v[34:35], v[6:9]
	v_ashrrev_i32_e32 v23, 31, v22
	v_cndmask_b32_e32 v2, v79, v72, vcc
	global_load_dwordx4 v[76:79], v[76:77], off
	v_ashrrev_i32_e32 v3, 31, v2
	v_lshl_add_u64 v[22:23], v[22:23], 2, s[6:7]
	v_lshl_add_u64 v[2:3], v[2:3], 2, s[6:7]
	global_load_dword v83, v[22:23], off
	global_load_dword v89, v[2:3], off
	v_lshl_add_u64 v[2:3], v[80:81], 0, v[52:53]
	global_load_dwordx4 v[84:87], v[2:3], off
	v_mfma_f32_16x16x16_bf16 v[70:73], v[4:5], v[36:37], v[6:9]
	s_waitcnt vmcnt(11)
	v_mfma_f32_16x16x16_bf16 v[2:5], v[66:67], v[46:47], 0
	v_or_b32_e32 v66, s27, v75
	v_ashrrev_i32_e32 v67, 31, v66
	v_lshl_add_u64 v[6:7], v[66:67], 2, s[16:17]
	global_load_dword v94, v[6:7], off
	v_mfma_f32_16x16x16_bf16 v[2:5], v[68:69], v[48:49], v[2:5]
	v_and_b32_e32 v6, 16, v0
	v_lshlrev_b32_e32 v50, 1, v6
	v_lshl_or_b32 v67, v74, 4, v75
	v_mfma_f32_16x16x16_bf16 v[18:21], v[24:25], v[40:41], v[18:21]
	v_lshl_add_u64 v[68:69], s[4:5], 0, v[50:51]
	v_lshlrev_b32_e32 v50, 6, v67
	v_lshl_add_u64 v[6:7], v[68:69], 0, v[50:51]
	s_waitcnt vmcnt(11)
	v_mfma_f32_16x16x16_bf16 v[2:5], v[58:59], v[42:43], v[2:5]
	v_or_b32_e32 v50, 0x1000, v50
	s_waitcnt vmcnt(8)
	v_mad_i64_i32 v[8:9], s[4:5], v30, s9, 0
	v_mfma_f32_16x16x16_bf16 v[2:5], v[60:61], v[44:45], v[2:5]
	v_lshlrev_b64 v[60:61], 1, v[8:9]
	v_lshl_add_u64 v[8:9], v[6:7], 0, v[60:61]
	v_mfma_f32_16x16x16_bf16 v[2:5], v[26:27], v[38:39], v[2:5]
	v_mfma_f32_16x16x16_bf16 v[2:5], v[28:29], v[40:41], v[2:5]
	global_load_dwordx4 v[30:33], v[8:9], off
	global_load_dwordx4 v[26:29], v[8:9], off offset:16
	s_waitcnt vmcnt(9)
	v_mad_i64_i32 v[8:9], s[4:5], v82, s9, 0
	v_mfma_f32_16x16x16_bf16 v[2:5], v[54:55], v[34:35], v[2:5]
	v_lshlrev_b64 v[52:53], 1, v[8:9]
	s_waitcnt vmcnt(5)
	v_mad_i64_i32 v[8:9], s[4:5], v83, s9, 0
	v_mfma_f32_16x16x16_bf16 v[18:21], v[14:15], v[34:35], v[18:21]
	v_pk_mul_f32 v[82:83], s[8:9], v[72:73] op_sel_hi:[0,1]
	v_lshlrev_b64 v[54:55], 1, v[8:9]
	v_lshl_add_u64 v[8:9], v[6:7], 0, v[54:55]
	v_mfma_f32_16x16x16_bf16 v[56:59], v[56:57], v[36:37], v[2:5]
	s_nop 2
	v_lshl_add_u64 v[2:3], v[6:7], 0, v[52:53]
	v_mfma_f32_16x16x16_bf16 v[90:93], v[16:17], v[36:37], v[18:21]
	global_load_dwordx4 v[22:25], v[2:3], off
	s_nop 1
	global_load_dwordx4 v[18:21], v[2:3], off offset:16
	v_pk_mul_f32 v[72:73], s[8:9], v[58:59] op_sel_hi:[0,1]
	s_nop 1
	v_pk_mul_f32 v[80:81], s[8:9], v[90:91] op_sel_hi:[0,1]
	v_mfma_f32_16x16x16_bf16 v[2:5], v[10:11], v[46:47], 0
	v_mfma_f32_16x16x16_bf16 v[2:5], v[12:13], v[48:49], v[2:5]
	global_load_dwordx4 v[14:17], v[8:9], off
	global_load_dwordx4 v[10:13], v[8:9], off offset:16
	s_waitcnt vmcnt(8)
	v_mad_i64_i32 v[8:9], s[4:5], v89, s9, 0
	v_mfma_f32_16x16x16_bf16 v[2:5], v[62:63], v[42:43], v[2:5]
	v_lshlrev_b64 v[62:63], 1, v[8:9]
	v_mfma_f32_16x16x16_bf16 v[42:45], v[64:65], v[44:45], v[2:5]
	v_lshl_add_u64 v[64:65], v[68:69], 0, v[50:51]
	v_pk_mul_f32 v[50:51], s[8:9], v[70:71] op_sel_hi:[0,1]
	v_mfma_f32_16x16x16_bf16 v[42:45], v[76:77], v[38:39], v[42:45]
	v_pk_mul_f32 v[76:77], s[8:9], v[56:57] op_sel_hi:[0,1]
	s_nop 0
	v_lshl_add_u64 v[2:3], v[6:7], 0, v[62:63]
	v_lshl_add_u64 v[38:39], v[64:65], 0, v[60:61]
	v_mfma_f32_16x16x16_bf16 v[40:43], v[78:79], v[40:41], v[42:45]
	v_pk_mul_f32 v[78:79], s[8:9], v[92:93] op_sel_hi:[0,1]
	global_load_dwordx4 v[6:9], v[2:3], off
	s_nop 0
	global_load_dwordx4 v[2:5], v[2:3], off offset:16
	s_waitcnt vmcnt(9)
	v_mfma_f32_16x16x16_bf16 v[40:43], v[84:85], v[34:35], v[40:43]
	v_mfma_f32_16x16x16_bf16 v[34:37], v[86:87], v[36:37], v[40:43]
	s_nop 6
	v_pk_mul_f32 v[70:71], s[8:9], v[34:35] op_sel_hi:[0,1]
	v_and_b32_e32 v34, 0xc0, v0
	v_add_u32_e32 v34, s20, v34
	v_lshl_or_b32 v34, v1, 2, v34
	v_or_b32_e32 v35, 1, v34
	v_pk_mul_f32 v[68:69], s[8:9], v[36:37] op_sel_hi:[0,1]
	v_subrev_u32_e32 v36, s38, v35
	v_add_u32_e32 v40, 1, v36
	v_add_u32_e32 v41, 2, v36
	v_cvt_f32_i32_e32 v37, v36
	v_cvt_f32_i32_e32 v40, v40
	;; [unrolled: 1-line block ×3, first 2 shown]
	v_add_u32_e32 v42, 3, v36
	s_waitcnt vmcnt(8)
	v_fma_f32 v50, v94, v37, v50
	v_fmac_f32_e32 v51, v94, v40
	v_fma_f32 v82, v94, v41, v82
	v_add_u32_e32 v37, 16, v36
	v_add_u32_e32 v40, 17, v36
	;; [unrolled: 1-line block ×3, first 2 shown]
	v_cvt_f32_i32_e32 v42, v42
	v_cvt_f32_i32_e32 v37, v37
	v_cvt_f32_i32_e32 v40, v40
	v_cvt_f32_i32_e32 v41, v41
	v_fmac_f32_e32 v83, v94, v42
	v_add_u32_e32 v42, 19, v36
	v_fma_f32 v80, v94, v37, v80
	v_fmac_f32_e32 v81, v94, v40
	v_fma_f32 v78, v94, v41, v78
	v_add_u32_e32 v37, 32, v36
	v_add_u32_e32 v40, 33, v36
	;; [unrolled: 1-line block ×3, first 2 shown]
	v_cvt_f32_i32_e32 v42, v42
	v_cvt_f32_i32_e32 v37, v37
	;; [unrolled: 1-line block ×4, first 2 shown]
	v_fmac_f32_e32 v79, v94, v42
	v_add_u32_e32 v42, 35, v36
	v_fma_f32 v76, v94, v37, v76
	v_fmac_f32_e32 v77, v94, v40
	v_fma_f32 v72, v94, v41, v72
	v_add_u32_e32 v37, 48, v36
	v_add_u32_e32 v40, 49, v36
	;; [unrolled: 1-line block ×4, first 2 shown]
	v_cvt_f32_i32_e32 v36, v36
	v_cvt_f32_i32_e32 v37, v37
	;; [unrolled: 1-line block ×3, first 2 shown]
	v_cmp_gt_i32_e64 s[28:29], s38, v34
	v_fmac_f32_e32 v69, v94, v36
	v_mov_b32_e32 v36, 0xff7fffff
	v_cmp_gt_i32_e64 s[30:31], s38, v35
	v_fma_f32 v70, v94, v37, v70
	v_cndmask_b32_e64 v37, v36, v50, s[28:29]
	v_cndmask_b32_e64 v35, v36, v51, s[30:31]
	v_fmac_f32_e32 v71, v94, v40
	v_max3_f32 v35, v37, s40, v35
	v_or_b32_e32 v37, 2, v34
	v_or_b32_e32 v40, 3, v34
	v_cmp_gt_i32_e64 s[34:35], s38, v37
	v_cmp_gt_i32_e64 s[36:37], s38, v40
	v_cvt_f32_i32_e32 v42, v42
	v_cndmask_b32_e64 v37, v36, v82, s[34:35]
	v_cndmask_b32_e64 v40, v36, v83, s[36:37]
	v_max3_f32 v35, v35, v37, v40
	v_or_b32_e32 v37, 16, v34
	v_or_b32_e32 v40, 17, v34
	v_cmp_gt_i32_e64 s[22:23], s38, v37
	v_cmp_gt_i32_e64 s[24:25], s38, v40
	v_fmac_f32_e32 v73, v94, v42
	v_cndmask_b32_e64 v37, v36, v80, s[22:23]
	v_cndmask_b32_e64 v40, v36, v81, s[24:25]
	v_max3_f32 v35, v35, v37, v40
	v_or_b32_e32 v37, 18, v34
	v_or_b32_e32 v40, 19, v34
	v_cmp_gt_i32_e64 s[18:19], s38, v37
	v_cmp_gt_i32_e64 s[20:21], s38, v40
	v_cvt_f32_i32_e32 v41, v41
	v_cndmask_b32_e64 v37, v36, v78, s[18:19]
	v_cndmask_b32_e64 v40, v36, v79, s[20:21]
	v_max3_f32 v35, v35, v37, v40
	v_or_b32_e32 v37, 32, v34
	v_or_b32_e32 v40, 33, v34
	v_cmp_gt_i32_e64 s[14:15], s38, v37
	v_cmp_gt_i32_e64 s[16:17], s38, v40
	v_fma_f32 v68, v94, v41, v68
	v_cndmask_b32_e64 v37, v36, v76, s[14:15]
	v_cndmask_b32_e64 v40, v36, v77, s[16:17]
	v_max3_f32 v35, v35, v37, v40
	v_or_b32_e32 v37, 34, v34
	v_or_b32_e32 v40, 35, v34
	v_cmp_gt_i32_e64 s[10:11], s38, v37
	v_cmp_gt_i32_e64 s[12:13], s38, v40
	s_nop 0
	v_cndmask_b32_e64 v37, v36, v72, s[10:11]
	v_cndmask_b32_e64 v40, v36, v73, s[12:13]
	v_max3_f32 v35, v35, v37, v40
	v_or_b32_e32 v37, 48, v34
	v_or_b32_e32 v40, 49, v34
	v_cmp_gt_i32_e64 s[6:7], s38, v37
	v_cmp_gt_i32_e64 s[8:9], s38, v40
	s_nop 0
	v_cndmask_b32_e64 v37, v36, v70, s[6:7]
	v_cndmask_b32_e64 v40, v36, v71, s[8:9]
	v_max3_f32 v35, v35, v37, v40
	v_or_b32_e32 v37, 50, v34
	v_or_b32_e32 v34, 51, v34
	v_cmp_gt_i32_e32 vcc, s38, v37
	v_cmp_gt_i32_e64 s[4:5], s38, v34
	global_load_dwordx4 v[46:49], v[38:39], off
	s_nop 0
	global_load_dwordx4 v[38:41], v[38:39], off offset:16
	v_cndmask_b32_e32 v37, v36, v68, vcc
	v_cndmask_b32_e64 v34, v36, v69, s[4:5]
	v_max3_f32 v56, v35, v37, v34
	v_mbcnt_lo_u32_b32 v34, -1, 0
	v_mbcnt_hi_u32_b32 v57, -1, v34
	v_and_b32_e32 v34, 64, v57
	v_add_u32_e32 v58, 64, v34
	v_xor_b32_e32 v34, 32, v57
	v_cmp_lt_i32_e64 s[38:39], v34, v58
	s_nop 1
	v_cndmask_b32_e64 v34, v57, v34, s[38:39]
	v_lshlrev_b32_e32 v86, 2, v34
	ds_bpermute_b32 v59, v86, v56
	v_lshl_add_u64 v[34:35], v[64:65], 0, v[52:53]
	global_load_dwordx4 v[42:45], v[34:35], off
	s_nop 0
	global_load_dwordx4 v[34:37], v[34:35], off offset:16
	s_waitcnt lgkmcnt(0)
	v_max_f32_e32 v52, v59, v59
	v_max_f32_e32 v84, v56, v52
	v_xor_b32_e32 v52, 16, v57
	v_cmp_lt_i32_e64 s[38:39], v52, v58
	s_nop 1
	v_cndmask_b32_e64 v52, v57, v52, s[38:39]
	v_lshlrev_b32_e32 v87, 2, v52
	ds_bpermute_b32 v85, v87, v84
	v_lshl_add_u64 v[52:53], v[64:65], 0, v[54:55]
	global_load_dwordx4 v[58:61], v[52:53], off
	global_load_dwordx4 v[54:57], v[52:53], off offset:16
	v_lshl_add_u64 v[52:53], v[64:65], 0, v[62:63]
	s_waitcnt lgkmcnt(0)
	v_max_f32_e32 v62, v85, v85
	v_max_f32_e32 v90, v84, v62
	v_sub_f32_e32 v50, v50, v90
	v_mul_f32_e32 v50, 0x3fb8aa3b, v50
	v_exp_f32_e32 v84, v50
	v_sub_f32_e32 v50, v51, v90
	v_mul_f32_e32 v50, 0x3fb8aa3b, v50
	v_exp_f32_e32 v85, v50
	global_load_dwordx4 v[62:65], v[52:53], off
	s_nop 0
	global_load_dwordx4 v[50:53], v[52:53], off offset:16
	v_sub_f32_e32 v82, v82, v90
	v_mul_f32_e32 v82, 0x3fb8aa3b, v82
	v_sub_f32_e32 v83, v83, v90
	v_exp_f32_e32 v82, v82
	v_mul_f32_e32 v83, 0x3fb8aa3b, v83
	v_sub_f32_e32 v80, v80, v90
	v_exp_f32_e32 v83, v83
	v_mul_f32_e32 v80, 0x3fb8aa3b, v80
	v_sub_f32_e32 v81, v81, v90
	v_cndmask_b32_e64 v84, 0, v84, s[28:29]
	v_exp_f32_e32 v80, v80
	v_mul_f32_e32 v81, 0x3fb8aa3b, v81
	v_sub_f32_e32 v78, v78, v90
	v_add_f32_e32 v89, 0, v84
	v_cndmask_b32_e64 v85, 0, v85, s[30:31]
	v_exp_f32_e32 v81, v81
	v_mul_f32_e32 v78, 0x3fb8aa3b, v78
	v_sub_f32_e32 v79, v79, v90
	v_add_f32_e32 v89, v89, v85
	v_cndmask_b32_e64 v82, 0, v82, s[34:35]
	v_exp_f32_e32 v78, v78
	v_mul_f32_e32 v79, 0x3fb8aa3b, v79
	v_sub_f32_e32 v76, v76, v90
	v_add_f32_e32 v89, v89, v82
	v_cndmask_b32_e64 v83, 0, v83, s[36:37]
	v_exp_f32_e32 v79, v79
	v_mul_f32_e32 v76, 0x3fb8aa3b, v76
	v_sub_f32_e32 v77, v77, v90
	v_add_f32_e32 v89, v89, v83
	v_cndmask_b32_e64 v80, 0, v80, s[22:23]
	v_exp_f32_e32 v76, v76
	v_mul_f32_e32 v77, 0x3fb8aa3b, v77
	v_sub_f32_e32 v72, v72, v90
	v_add_f32_e32 v89, v89, v80
	v_cndmask_b32_e64 v81, 0, v81, s[24:25]
	v_exp_f32_e32 v77, v77
	v_mul_f32_e32 v72, 0x3fb8aa3b, v72
	v_sub_f32_e32 v73, v73, v90
	v_add_f32_e32 v89, v89, v81
	v_cndmask_b32_e64 v78, 0, v78, s[18:19]
	v_exp_f32_e32 v72, v72
	v_mul_f32_e32 v73, 0x3fb8aa3b, v73
	v_sub_f32_e32 v70, v70, v90
	v_add_f32_e32 v89, v89, v78
	v_cndmask_b32_e64 v79, 0, v79, s[20:21]
	v_exp_f32_e32 v73, v73
	v_mul_f32_e32 v70, 0x3fb8aa3b, v70
	v_sub_f32_e32 v71, v71, v90
	v_add_f32_e32 v89, v89, v79
	v_cndmask_b32_e64 v76, 0, v76, s[14:15]
	v_exp_f32_e32 v70, v70
	v_mul_f32_e32 v71, 0x3fb8aa3b, v71
	v_sub_f32_e32 v68, v68, v90
	v_add_f32_e32 v89, v89, v76
	v_cndmask_b32_e64 v77, 0, v77, s[16:17]
	v_exp_f32_e32 v71, v71
	v_mul_f32_e32 v68, 0x3fb8aa3b, v68
	v_sub_f32_e32 v69, v69, v90
	v_add_f32_e32 v89, v89, v77
	v_cndmask_b32_e64 v72, 0, v72, s[10:11]
	v_exp_f32_e32 v68, v68
	v_mul_f32_e32 v69, 0x3fb8aa3b, v69
	v_add_f32_e32 v89, v89, v72
	v_cndmask_b32_e64 v73, 0, v73, s[12:13]
	v_exp_f32_e32 v69, v69
	v_add_f32_e32 v89, v89, v73
	v_cndmask_b32_e64 v70, 0, v70, s[6:7]
	v_add_f32_e32 v89, v89, v70
	v_cndmask_b32_e64 v71, 0, v71, s[8:9]
	v_add_f32_e32 v89, v89, v71
	v_cndmask_b32_e32 v68, 0, v68, vcc
	v_add_f32_e32 v89, v89, v68
	v_cndmask_b32_e64 v69, 0, v69, s[4:5]
	v_add_f32_e32 v89, v89, v69
	ds_bpermute_b32 v86, v86, v89
	v_cmp_gt_u32_e32 vcc, 16, v95
	s_waitcnt lgkmcnt(0)
	s_barrier
	v_add_f32_e32 v91, v89, v86
	ds_bpermute_b32 v92, v87, v91
	s_and_saveexec_b64 s[4:5], vcc
	s_cbranch_execz .LBB703_15
; %bb.14:
	s_waitcnt lgkmcnt(0)
	v_add_f32_e32 v86, v91, v92
	v_lshlrev_b32_e32 v67, 2, v67
	ds_write2st64_b32 v67, v90, v86 offset1:1
.LBB703_15:
	s_or_b64 exec, exec, s[4:5]
	v_lshlrev_b32_e32 v67, 2, v75
	s_load_dword s6, s[0:1], 0x94
	s_waitcnt lgkmcnt(0)
	s_barrier
	ds_read2_b32 v[86:87], v67 offset1:16
	ds_read2_b32 v[90:91], v67 offset0:32 offset1:48
	ds_read2_b32 v[92:93], v67 offset0:64 offset1:80
	s_movk_i32 s8, 0x7fff
	s_mov_b32 s9, 0x7060302
	s_waitcnt lgkmcnt(2)
	v_max3_f32 v89, v86, s40, v87
	s_waitcnt lgkmcnt(1)
	v_max3_f32 v89, v89, v90, v91
	v_sub_f32_e32 v86, v86, v89
	v_mul_f32_e32 v86, 0x3fb8aa3b, v86
	v_exp_f32_e32 v94, v86
	v_sub_f32_e32 v86, v87, v89
	v_mul_f32_e32 v86, 0x3fb8aa3b, v86
	v_exp_f32_e32 v1, v86
	;; [unrolled: 3-line block ×3, first 2 shown]
	ds_read2_b32 v[86:87], v67 offset0:96 offset1:112
	v_sub_f32_e32 v67, v91, v89
	v_mul_f32_e32 v67, 0x3fb8aa3b, v67
	v_exp_f32_e32 v67, v67
	s_waitcnt lgkmcnt(1)
	v_fma_f32 v90, v94, v92, 0
	v_fmac_f32_e32 v90, v1, v93
	s_waitcnt lgkmcnt(0)
	v_fmac_f32_e32 v90, v95, v86
	v_fmac_f32_e32 v90, v67, v87
	v_add_f32_e32 v86, 0x358637bd, v90
	v_div_scale_f32 v87, s[4:5], v86, v86, 1.0
	v_rcp_f32_e32 v91, v87
	s_lshl_b32 s7, s33, 4
	s_barrier
	v_fma_f32 v92, -v87, v91, 1.0
	v_fmac_f32_e32 v91, v92, v91
	v_div_scale_f32 v92, vcc, 1.0, v86, 1.0
	v_mul_f32_e32 v93, v92, v91
	v_fma_f32 v74, -v87, v93, v92
	v_fmac_f32_e32 v93, v74, v91
	v_fma_f32 v74, -v87, v93, v92
	v_lshrrev_b32_e32 v87, 6, v0
	v_div_fmas_f32 v74, v74, v91, v93
	v_cmp_eq_u32_e32 vcc, 1, v87
	v_div_fixup_f32 v74, v74, v86, 1.0
	s_nop 0
	v_cndmask_b32_e32 v1, v94, v1, vcc
	v_cmp_eq_u32_e32 vcc, 2, v87
	s_nop 1
	v_cndmask_b32_e32 v1, v1, v95, vcc
	v_cmp_eq_u32_e32 vcc, 3, v87
	s_nop 1
	v_cndmask_b32_e32 v1, v1, v67, vcc
	v_mul_f32_e32 v86, v1, v74
	v_pk_mul_f32 v[84:85], v[86:87], v[84:85] op_sel_hi:[0,1]
	v_bfe_u32 v1, v85, 16, 1
	v_bfe_u32 v67, v84, 16, 1
	v_pk_mul_f32 v[82:83], v[86:87], v[82:83] op_sel_hi:[0,1]
	v_add3_u32 v67, v84, v67, s8
	v_add3_u32 v1, v85, v1, s8
	v_perm_b32 v84, v1, v67, s9
	v_bfe_u32 v1, v83, 16, 1
	v_bfe_u32 v67, v82, 16, 1
	v_add3_u32 v67, v82, v67, s8
	v_add3_u32 v1, v83, v1, s8
	v_bfe_u32 v83, v0, 4, 2
	v_perm_b32 v85, v1, v67, s9
	v_lshlrev_b32_e32 v1, 3, v83
	v_lshlrev_b32_e32 v67, 5, v75
	;; [unrolled: 1-line block ×3, first 2 shown]
	v_pk_mul_f32 v[80:81], v[86:87], v[80:81] op_sel_hi:[0,1]
	v_or3_b32 v82, v74, v67, v1
	v_bfe_u32 v1, v81, 16, 1
	v_bfe_u32 v67, v80, 16, 1
	v_pk_mul_f32 v[78:79], v[86:87], v[78:79] op_sel_hi:[0,1]
	v_add3_u32 v67, v80, v67, s8
	v_add3_u32 v1, v81, v1, s8
	v_perm_b32 v80, v1, v67, s9
	v_bfe_u32 v1, v79, 16, 1
	v_bfe_u32 v67, v78, 16, 1
	v_add3_u32 v67, v78, v67, s8
	v_add3_u32 v1, v79, v1, s8
	v_pk_mul_f32 v[76:77], v[86:87], v[76:77] op_sel_hi:[0,1]
	v_perm_b32 v81, v1, v67, s9
	v_bfe_u32 v1, v77, 16, 1
	v_bfe_u32 v67, v76, 16, 1
	v_pk_mul_f32 v[72:73], v[86:87], v[72:73] op_sel_hi:[0,1]
	v_add3_u32 v67, v76, v67, s8
	v_add3_u32 v1, v77, v1, s8
	v_perm_b32 v76, v1, v67, s9
	v_bfe_u32 v1, v73, 16, 1
	v_bfe_u32 v67, v72, 16, 1
	v_add3_u32 v67, v72, v67, s8
	v_add3_u32 v1, v73, v1, s8
	v_pk_mul_f32 v[70:71], v[86:87], v[70:71] op_sel_hi:[0,1]
	v_perm_b32 v77, v1, v67, s9
	v_bfe_u32 v1, v71, 16, 1
	v_bfe_u32 v67, v70, 16, 1
	v_pk_mul_f32 v[68:69], v[86:87], v[68:69] op_sel_hi:[0,1]
	v_add3_u32 v67, v70, v67, s8
	v_add3_u32 v1, v71, v1, s8
	v_perm_b32 v70, v1, v67, s9
	v_bfe_u32 v1, v69, 16, 1
	v_bfe_u32 v67, v68, 16, 1
	v_add3_u32 v67, v68, v67, s8
	v_add3_u32 v1, v69, v1, s8
	v_perm_b32 v71, v1, v67, s9
	v_cmp_gt_u32_e32 vcc, 16, v0
	ds_write2st64_b64 v82, v[84:85], v[80:81] offset1:1
	ds_write2st64_b64 v82, v[76:77], v[70:71] offset0:2 offset1:3
	s_and_saveexec_b64 s[4:5], vcc
	s_cbranch_execz .LBB703_17
; %bb.16:
	v_mov_b32_e32 v67, 0
	v_mov_b32_e32 v1, s7
	v_mad_u64_u32 v[68:69], s[10:11], s2, v1, v[66:67]
	v_mov_b32_e32 v66, s26
	s_load_dwordx4 s[12:15], s[0:1], 0x58
	s_mul_i32 s3, s3, s7
	v_mad_u64_u32 v[66:67], s[10:11], v68, s6, v[66:67]
	v_add_u32_e32 v1, s3, v69
	v_mov_b32_e32 v68, v67
	v_mad_u64_u32 v[68:69], s[10:11], v1, s6, v[68:69]
	v_mov_b32_e32 v67, v68
	v_lshlrev_b64 v[66:67], 2, v[66:67]
	s_waitcnt lgkmcnt(0)
	v_lshl_add_u64 v[68:69], s[14:15], 0, v[66:67]
	v_lshl_add_u64 v[66:67], s[12:13], 0, v[66:67]
	global_store_dword v[68:69], v89, off
	global_store_dword v[66:67], v90, off
.LBB703_17:
	s_or_b64 exec, exec, s[4:5]
	s_waitcnt lgkmcnt(0)
	s_barrier
	ds_read_b128 v[70:73], v88
	ds_read_b128 v[66:69], v88 offset:16
	s_waitcnt vmcnt(15) lgkmcnt(1)
	v_mfma_f32_16x16x16_bf16 v[76:79], v[30:31], v[70:71], 0
	s_mov_b32 s3, 0
	v_cmp_gt_u32_e32 vcc, 64, v0
	v_mfma_f32_16x16x16_bf16 v[30:33], v[32:33], v[72:73], v[76:79]
	s_waitcnt vmcnt(14) lgkmcnt(0)
	v_mfma_f32_16x16x16_bf16 v[30:33], v[26:27], v[66:67], v[30:33]
	v_mfma_f32_16x16x16_bf16 v[26:29], v[28:29], v[68:69], v[30:33]
	s_nop 5
	ds_read_b128 v[30:33], v88 offset:2048
	ds_read_b128 v[76:79], v88 offset:2064
	s_waitcnt vmcnt(13) lgkmcnt(1)
	v_mfma_f32_16x16x16_bf16 v[26:29], v[22:23], v[30:31], v[26:29]
	v_mfma_f32_16x16x16_bf16 v[22:25], v[24:25], v[32:33], v[26:29]
	s_waitcnt vmcnt(12) lgkmcnt(0)
	v_mfma_f32_16x16x16_bf16 v[22:25], v[18:19], v[76:77], v[22:25]
	v_mfma_f32_16x16x16_bf16 v[18:21], v[20:21], v[78:79], v[22:25]
	s_nop 5
	ds_read_b128 v[22:25], v88 offset:4096
	ds_read_b128 v[26:29], v88 offset:4112
	s_waitcnt vmcnt(11) lgkmcnt(1)
	v_mfma_f32_16x16x16_bf16 v[18:21], v[14:15], v[22:23], v[18:21]
	v_mfma_f32_16x16x16_bf16 v[14:17], v[16:17], v[24:25], v[18:21]
	s_waitcnt vmcnt(10) lgkmcnt(0)
	v_mfma_f32_16x16x16_bf16 v[14:17], v[10:11], v[26:27], v[14:17]
	v_mfma_f32_16x16x16_bf16 v[10:13], v[12:13], v[28:29], v[14:17]
	s_nop 5
	ds_read_b128 v[14:17], v88 offset:6144
	ds_read_b128 v[18:21], v88 offset:6160
	s_waitcnt lgkmcnt(0)
	s_barrier
	s_waitcnt vmcnt(9)
	v_mfma_f32_16x16x16_bf16 v[10:13], v[6:7], v[14:15], v[10:13]
	v_mfma_f32_16x16x16_bf16 v[6:9], v[8:9], v[16:17], v[10:13]
	s_waitcnt vmcnt(8)
	v_mfma_f32_16x16x16_bf16 v[6:9], v[2:3], v[18:19], v[6:9]
	v_mfma_f32_16x16x16_bf16 v[2:5], v[4:5], v[20:21], v[6:9]
	;; [unrolled: 3-line block ×3, first 2 shown]
	s_nop 3
	v_bfe_u32 v1, v3, 16, 1
	v_bfe_u32 v10, v2, 16, 1
	v_add3_u32 v2, v2, v10, s8
	s_waitcnt vmcnt(6)
	v_mfma_f32_16x16x16_bf16 v[6:9], v[38:39], v[66:67], v[6:9]
	v_add3_u32 v1, v3, v1, s8
	v_perm_b32 v10, v1, v2, s9
	v_bfe_u32 v1, v5, 16, 1
	v_mfma_f32_16x16x16_bf16 v[6:9], v[40:41], v[68:69], v[6:9]
	v_bfe_u32 v2, v4, 16, 1
	v_add3_u32 v2, v4, v2, s8
	v_add3_u32 v1, v5, v1, s8
	s_waitcnt vmcnt(5)
	v_mfma_f32_16x16x16_bf16 v[6:9], v[42:43], v[30:31], v[6:9]
	v_perm_b32 v11, v1, v2, s9
	v_mfma_f32_16x16x16_bf16 v[6:9], v[44:45], v[32:33], v[6:9]
	s_waitcnt vmcnt(4)
	v_mfma_f32_16x16x16_bf16 v[6:9], v[34:35], v[76:77], v[6:9]
	v_mfma_f32_16x16x16_bf16 v[6:9], v[36:37], v[78:79], v[6:9]
	s_waitcnt vmcnt(3)
	v_mfma_f32_16x16x16_bf16 v[6:9], v[58:59], v[22:23], v[6:9]
	;; [unrolled: 3-line block ×5, first 2 shown]
	v_mfma_f32_16x16x16_bf16 v[2:5], v[52:53], v[20:21], v[6:9]
	s_nop 6
	v_bfe_u32 v1, v3, 16, 1
	v_bfe_u32 v6, v2, 16, 1
	v_add3_u32 v2, v2, v6, s8
	v_add3_u32 v1, v3, v1, s8
	v_perm_b32 v2, v1, v2, s9
	v_bfe_u32 v1, v5, 16, 1
	v_bfe_u32 v3, v4, 16, 1
	v_add3_u32 v3, v4, v3, s8
	v_add3_u32 v1, v5, v1, s8
	v_perm_b32 v3, v1, v3, s9
	ds_write2st64_b64 v82, v[10:11], v[2:3] offset1:1
	s_waitcnt lgkmcnt(0)
	s_barrier
	s_and_saveexec_b64 s[4:5], vcc
	s_cbranch_execz .LBB703_19
; %bb.18:
	v_lshlrev_b32_e32 v3, 6, v75
	v_lshlrev_b32_e32 v2, 4, v0
	v_lshl_or_b32 v0, v0, 10, v3
	v_lshlrev_b32_e32 v1, 5, v83
	v_and_b32_e32 v2, 16, v2
	v_and_b32_e32 v0, 0x1a00, v0
	v_or3_b32 v12, v0, v1, v2
	ds_read_b128 v[0:3], v12
	ds_read_b128 v[4:7], v12 offset:128
	ds_read_b128 v[8:11], v12 offset:256
	;; [unrolled: 1-line block ×3, first 2 shown]
	scratch_load_dwordx2 v[16:17], off, off ; 8-byte Folded Reload
	s_load_dwordx2 s[0:1], s[0:1], 0x68
	s_lshl_b32 s6, s6, 7
	s_mul_i32 s2, s7, s2
	s_mul_hi_u32 s5, s2, s6
	s_mul_i32 s4, s2, s6
	s_lshl_b64 s[4:5], s[4:5], 1
	s_waitcnt lgkmcnt(0)
	s_add_u32 s4, s0, s4
	s_addc_u32 s5, s1, s5
	s_lshl_b32 s2, s26, 7
	s_lshl_b64 s[0:1], s[2:3], 1
	s_add_u32 s0, s4, s0
	s_addc_u32 s1, s5, s1
	v_or_b32_e32 v20, s27, v83
	s_waitcnt vmcnt(0)
	v_lshl_add_u64 v[16:17], v[16:17], 1, s[0:1]
	v_mad_u64_u32 v[18:19], s[0:1], v20, s6, 0
	v_lshl_add_u64 v[18:19], v[18:19], 1, v[16:17]
	global_store_dwordx4 v[18:19], v[0:3], off
	s_nop 1
	v_or_b32_e32 v0, 4, v20
	v_mad_u64_u32 v[0:1], s[0:1], v0, s6, 0
	v_lshl_add_u64 v[0:1], v[0:1], 1, v[16:17]
	global_store_dwordx4 v[0:1], v[4:7], off
	v_or_b32_e32 v0, 8, v20
	v_mad_u64_u32 v[0:1], s[0:1], v0, s6, 0
	v_lshl_add_u64 v[0:1], v[0:1], 1, v[16:17]
	global_store_dwordx4 v[0:1], v[8:11], off
	;; [unrolled: 4-line block ×3, first 2 shown]
.LBB703_19:
	s_endpgm
	.section	.rodata,"a",@progbits
	.p2align	6, 0x0
	.amdhsa_kernel _Z39paged_attention_ll4mi_QKV_mfma16_kernelI14__hip_bfloat16S0_LN4vllm18Fp8KVCacheDataTypeE0EhLi32ELi128ELi256ELb1ELi16EEvPKT_PKT0_S8_ifPKiSA_SA_iPKfiiiPfSD_PS3_PT2_iSC_SC_
		.amdhsa_group_segment_fixed_size 8192
		.amdhsa_private_segment_fixed_size 12
		.amdhsa_kernarg_size 400
		.amdhsa_user_sgpr_count 2
		.amdhsa_user_sgpr_dispatch_ptr 0
		.amdhsa_user_sgpr_queue_ptr 0
		.amdhsa_user_sgpr_kernarg_segment_ptr 1
		.amdhsa_user_sgpr_dispatch_id 0
		.amdhsa_user_sgpr_kernarg_preload_length 0
		.amdhsa_user_sgpr_kernarg_preload_offset 0
		.amdhsa_user_sgpr_private_segment_size 0
		.amdhsa_uses_dynamic_stack 0
		.amdhsa_enable_private_segment 1
		.amdhsa_system_sgpr_workgroup_id_x 1
		.amdhsa_system_sgpr_workgroup_id_y 1
		.amdhsa_system_sgpr_workgroup_id_z 1
		.amdhsa_system_sgpr_workgroup_info 0
		.amdhsa_system_vgpr_workitem_id 0
		.amdhsa_next_free_vgpr 96
		.amdhsa_next_free_sgpr 41
		.amdhsa_accum_offset 96
		.amdhsa_reserve_vcc 1
		.amdhsa_float_round_mode_32 0
		.amdhsa_float_round_mode_16_64 0
		.amdhsa_float_denorm_mode_32 3
		.amdhsa_float_denorm_mode_16_64 3
		.amdhsa_dx10_clamp 1
		.amdhsa_ieee_mode 1
		.amdhsa_fp16_overflow 0
		.amdhsa_tg_split 0
		.amdhsa_exception_fp_ieee_invalid_op 0
		.amdhsa_exception_fp_denorm_src 0
		.amdhsa_exception_fp_ieee_div_zero 0
		.amdhsa_exception_fp_ieee_overflow 0
		.amdhsa_exception_fp_ieee_underflow 0
		.amdhsa_exception_fp_ieee_inexact 0
		.amdhsa_exception_int_div_zero 0
	.end_amdhsa_kernel
	.section	.text._Z39paged_attention_ll4mi_QKV_mfma16_kernelI14__hip_bfloat16S0_LN4vllm18Fp8KVCacheDataTypeE0EhLi32ELi128ELi256ELb1ELi16EEvPKT_PKT0_S8_ifPKiSA_SA_iPKfiiiPfSD_PS3_PT2_iSC_SC_,"axG",@progbits,_Z39paged_attention_ll4mi_QKV_mfma16_kernelI14__hip_bfloat16S0_LN4vllm18Fp8KVCacheDataTypeE0EhLi32ELi128ELi256ELb1ELi16EEvPKT_PKT0_S8_ifPKiSA_SA_iPKfiiiPfSD_PS3_PT2_iSC_SC_,comdat
.Lfunc_end703:
	.size	_Z39paged_attention_ll4mi_QKV_mfma16_kernelI14__hip_bfloat16S0_LN4vllm18Fp8KVCacheDataTypeE0EhLi32ELi128ELi256ELb1ELi16EEvPKT_PKT0_S8_ifPKiSA_SA_iPKfiiiPfSD_PS3_PT2_iSC_SC_, .Lfunc_end703-_Z39paged_attention_ll4mi_QKV_mfma16_kernelI14__hip_bfloat16S0_LN4vllm18Fp8KVCacheDataTypeE0EhLi32ELi128ELi256ELb1ELi16EEvPKT_PKT0_S8_ifPKiSA_SA_iPKfiiiPfSD_PS3_PT2_iSC_SC_
                                        ; -- End function
	.section	.AMDGPU.csdata,"",@progbits
; Kernel info:
; codeLenInByte = 5156
; NumSgprs: 47
; NumVgprs: 96
; NumAgprs: 0
; TotalNumVgprs: 96
; ScratchSize: 12
; MemoryBound: 0
; FloatMode: 240
; IeeeMode: 1
; LDSByteSize: 8192 bytes/workgroup (compile time only)
; SGPRBlocks: 5
; VGPRBlocks: 11
; NumSGPRsForWavesPerEU: 47
; NumVGPRsForWavesPerEU: 96
; AccumOffset: 96
; Occupancy: 5
; WaveLimiterHint : 1
; COMPUTE_PGM_RSRC2:SCRATCH_EN: 1
; COMPUTE_PGM_RSRC2:USER_SGPR: 2
; COMPUTE_PGM_RSRC2:TRAP_HANDLER: 0
; COMPUTE_PGM_RSRC2:TGID_X_EN: 1
; COMPUTE_PGM_RSRC2:TGID_Y_EN: 1
; COMPUTE_PGM_RSRC2:TGID_Z_EN: 1
; COMPUTE_PGM_RSRC2:TIDIG_COMP_CNT: 0
; COMPUTE_PGM_RSRC3_GFX90A:ACCUM_OFFSET: 23
; COMPUTE_PGM_RSRC3_GFX90A:TG_SPLIT: 0
	.section	.text._Z39paged_attention_ll4mi_QKV_mfma16_kernelI14__hip_bfloat16S0_LN4vllm18Fp8KVCacheDataTypeE0EhLi32ELi128ELi256ELb1ELi1EEvPKT_PKT0_S8_ifPKiSA_SA_iPKfiiiPfSD_PS3_PT2_iSC_SC_,"axG",@progbits,_Z39paged_attention_ll4mi_QKV_mfma16_kernelI14__hip_bfloat16S0_LN4vllm18Fp8KVCacheDataTypeE0EhLi32ELi128ELi256ELb1ELi1EEvPKT_PKT0_S8_ifPKiSA_SA_iPKfiiiPfSD_PS3_PT2_iSC_SC_,comdat
	.protected	_Z39paged_attention_ll4mi_QKV_mfma16_kernelI14__hip_bfloat16S0_LN4vllm18Fp8KVCacheDataTypeE0EhLi32ELi128ELi256ELb1ELi1EEvPKT_PKT0_S8_ifPKiSA_SA_iPKfiiiPfSD_PS3_PT2_iSC_SC_ ; -- Begin function _Z39paged_attention_ll4mi_QKV_mfma16_kernelI14__hip_bfloat16S0_LN4vllm18Fp8KVCacheDataTypeE0EhLi32ELi128ELi256ELb1ELi1EEvPKT_PKT0_S8_ifPKiSA_SA_iPKfiiiPfSD_PS3_PT2_iSC_SC_
	.globl	_Z39paged_attention_ll4mi_QKV_mfma16_kernelI14__hip_bfloat16S0_LN4vllm18Fp8KVCacheDataTypeE0EhLi32ELi128ELi256ELb1ELi1EEvPKT_PKT0_S8_ifPKiSA_SA_iPKfiiiPfSD_PS3_PT2_iSC_SC_
	.p2align	8
	.type	_Z39paged_attention_ll4mi_QKV_mfma16_kernelI14__hip_bfloat16S0_LN4vllm18Fp8KVCacheDataTypeE0EhLi32ELi128ELi256ELb1ELi1EEvPKT_PKT0_S8_ifPKiSA_SA_iPKfiiiPfSD_PS3_PT2_iSC_SC_,@function
_Z39paged_attention_ll4mi_QKV_mfma16_kernelI14__hip_bfloat16S0_LN4vllm18Fp8KVCacheDataTypeE0EhLi32ELi128ELi256ELb1ELi1EEvPKT_PKT0_S8_ifPKiSA_SA_iPKfiiiPfSD_PS3_PT2_iSC_SC_: ; @_Z39paged_attention_ll4mi_QKV_mfma16_kernelI14__hip_bfloat16S0_LN4vllm18Fp8KVCacheDataTypeE0EhLi32ELi128ELi256ELb1ELi1EEvPKT_PKT0_S8_ifPKiSA_SA_iPKfiiiPfSD_PS3_PT2_iSC_SC_
; %bb.0:
	s_load_dwordx2 s[8:9], s[0:1], 0x30
	s_mov_b32 s28, s3
	s_mov_b64 s[6:7], 0
	s_waitcnt lgkmcnt(0)
	s_cmp_lg_u64 s[8:9], 0
	s_cselect_b64 s[10:11], -1, 0
	s_and_b64 vcc, exec, s[10:11]
	s_cbranch_vccz .LBB704_7
; %bb.1:
	s_add_i32 s12, s2, 1
	s_mov_b32 s13, 0
	s_lshl_b64 s[14:15], s[12:13], 2
	s_add_u32 s14, s8, s14
	s_mov_b32 s3, s13
	s_addc_u32 s15, s9, s15
	s_lshl_b64 s[12:13], s[2:3], 2
	s_add_u32 s12, s8, s12
	s_addc_u32 s13, s9, s13
	s_load_dword s5, s[14:15], 0x0
	s_load_dword s16, s[12:13], 0x0
	s_waitcnt lgkmcnt(0)
	s_sub_i32 s5, s5, s16
	s_cmp_eq_u32 s5, 1
	s_cselect_b64 s[12:13], -1, 0
	s_andn2_b64 vcc, exec, s[6:7]
	s_cbranch_vccnz .LBB704_3
.LBB704_2:
	s_mov_b32 s3, 0
	s_mov_b64 s[12:13], -1
.LBB704_3:
	s_andn2_b64 vcc, exec, s[12:13]
	s_cbranch_vccnz .LBB704_21
; %bb.4:
	s_load_dwordx2 s[6:7], s[0:1], 0x28
	s_lshl_b64 s[12:13], s[2:3], 2
	s_waitcnt lgkmcnt(0)
	s_add_u32 s6, s6, s12
	s_addc_u32 s7, s7, s13
	s_load_dword s29, s[6:7], 0x0
	s_lshl_b32 s18, s28, 8
	s_waitcnt lgkmcnt(0)
	s_cmp_ge_i32 s18, s29
	s_cbranch_scc1 .LBB704_21
; %bb.5:
	s_load_dwordx2 s[6:7], s[0:1], 0x20
	s_load_dword s5, s[0:1], 0x38
	s_add_i32 s14, s29, 31
	s_ashr_i32 s15, s14, 31
	v_and_b32_e32 v1, 0xcf, v0
	s_lshr_b32 s15, s15, 27
	v_add_u32_e32 v1, s18, v1
	s_add_i32 s14, s14, s15
	v_ashrrev_i32_e32 v2, 31, v1
	s_ashr_i32 s19, s14, 5
	v_lshrrev_b32_e32 v4, 27, v2
	s_add_i32 s19, s19, -1
	s_waitcnt lgkmcnt(0)
	s_mul_i32 s14, s2, s5
	s_mov_b32 s15, 0
	v_add_u32_e32 v2, v1, v4
	s_lshl_b64 s[14:15], s[14:15], 2
	v_ashrrev_i32_e32 v2, 5, v2
	v_mov_b32_e32 v5, s19
	v_cmp_gt_i32_e32 vcc, s29, v1
	s_add_u32 s6, s6, s14
	s_addc_u32 s7, s7, s15
	v_cndmask_b32_e32 v2, v5, v2, vcc
	v_ashrrev_i32_e32 v3, 31, v2
	v_lshl_add_u64 v[6:7], v[2:3], 2, s[6:7]
	v_or_b32_e32 v2, 16, v1
	v_add_u32_e32 v3, v2, v4
	v_ashrrev_i32_e32 v3, 5, v3
	v_cmp_gt_i32_e32 vcc, s29, v2
	s_nop 1
	v_cndmask_b32_e32 v2, v5, v3, vcc
	v_ashrrev_i32_e32 v3, 31, v2
	v_lshl_add_u64 v[8:9], v[2:3], 2, s[6:7]
	v_or_b32_e32 v2, 32, v1
	v_add_u32_e32 v3, v2, v4
	v_ashrrev_i32_e32 v3, 5, v3
	v_cmp_gt_i32_e32 vcc, s29, v2
	v_or_b32_e32 v1, 48, v1
	s_nop 0
	v_cndmask_b32_e32 v2, v5, v3, vcc
	v_ashrrev_i32_e32 v3, 31, v2
	v_lshl_add_u64 v[10:11], v[2:3], 2, s[6:7]
	v_add_u32_e32 v2, v1, v4
	v_ashrrev_i32_e32 v2, 5, v2
	v_cmp_gt_i32_e32 vcc, s29, v1
	s_nop 1
	v_cndmask_b32_e32 v2, v5, v2, vcc
	v_ashrrev_i32_e32 v3, 31, v2
	v_lshl_add_u64 v[12:13], v[2:3], 2, s[6:7]
	global_load_dword v5, v[6:7], off
	global_load_dword v4, v[8:9], off
	;; [unrolled: 1-line block ×4, first 2 shown]
	s_andn2_b64 vcc, exec, s[10:11]
	s_cbranch_vccnz .LBB704_8
; %bb.6:
	s_add_u32 s8, s8, s12
	s_addc_u32 s9, s9, s13
	s_load_dword s5, s[8:9], 0x0
	s_branch .LBB704_9
.LBB704_7:
	s_mov_b64 s[12:13], 0
	s_branch .LBB704_2
.LBB704_8:
	s_mov_b32 s5, s2
.LBB704_9:
	s_load_dwordx2 s[14:15], s[0:1], 0x8
	s_load_dwordx4 s[8:11], s[0:1], 0x48
	v_lshrrev_b32_e32 v83, 6, v0
	v_bfe_u32 v1, v0, 4, 2
	v_lshl_or_b32 v6, v83, 2, v1
	v_and_b32_e32 v82, 15, v0
	v_lshlrev_b32_e32 v12, 3, v82
	v_cmp_ne_u32_e32 vcc, 0, v6
	s_and_saveexec_b64 s[12:13], vcc
	s_xor_b64 s[12:13], exec, s[12:13]
; %bb.10:
	v_mov_b32_e32 v13, 0
; %bb.11:
	s_or_saveexec_b64 s[16:17], s[12:13]
	s_load_dwordx2 s[12:13], s[0:1], 0x10
	s_xor_b64 exec, exec, s[16:17]
	s_cbranch_execz .LBB704_13
; %bb.12:
	s_load_dwordx2 s[20:21], s[0:1], 0x0
	s_waitcnt lgkmcnt(0)
	s_ashr_i32 s11, s8, 31
	s_mul_hi_u32 s22, s5, s8
	s_mul_i32 s11, s5, s11
	s_add_i32 s23, s22, s11
	s_mul_i32 s22, s5, s8
	s_lshl_b64 s[22:23], s[22:23], 1
	s_add_u32 s5, s20, s22
	s_addc_u32 s8, s21, s23
	s_lshl_b32 s20, s4, 7
	s_ashr_i32 s21, s20, 31
	s_lshl_b64 s[20:21], s[20:21], 1
	s_add_u32 s20, s5, s20
	s_addc_u32 s21, s8, s21
	v_lshlrev_b32_e32 v6, 1, v12
	global_load_dwordx4 v[6:9], v6, s[20:21]
	v_and_b32_e32 v10, 3, v0
	v_lshlrev_b32_e32 v11, 9, v82
	v_lshlrev_b32_e32 v10, 9, v10
	s_movk_i32 s5, 0x1800
	v_mov_b32_e32 v13, 0
	v_and_or_b32 v10, v11, s5, v10
	s_waitcnt vmcnt(0)
	ds_write_b128 v10, v[6:9]
.LBB704_13:
	s_or_b64 exec, exec, s[16:17]
	s_waitcnt lgkmcnt(0)
	s_mul_i32 s10, s4, s10
	s_mov_b32 s11, 0
	s_lshl_b64 s[10:11], s[10:11], 1
	s_add_u32 s14, s14, s10
	s_addc_u32 s15, s15, s11
	s_waitcnt vmcnt(3)
	v_mad_i64_i32 v[6:7], s[16:17], v5, s9, 0
	v_lshl_add_u64 v[6:7], v[6:7], 1, s[14:15]
	v_lshlrev_b64 v[8:9], 1, v[12:13]
	v_lshlrev_b32_e32 v84, 9, v1
	v_lshl_add_u64 v[6:7], v[6:7], 0, v[8:9]
	v_mov_b32_e32 v85, 0
	s_barrier
	scratch_store_dwordx2 off, v[12:13], off ; 8-byte Folded Spill
	v_lshl_add_u64 v[10:11], v[6:7], 0, v[84:85]
	v_or_b32_e32 v14, 0x1000, v84
	v_mov_b32_e32 v15, v85
	v_or_b32_e32 v16, 0x1800, v84
	v_mov_b32_e32 v17, v85
	global_load_dwordx4 v[66:69], v[10:11], off
	global_load_dwordx4 v[62:65], v[10:11], off offset:2048
	v_lshl_add_u64 v[10:11], v[6:7], 0, v[14:15]
	v_lshl_add_u64 v[6:7], v[6:7], 0, v[16:17]
	global_load_dwordx4 v[78:81], v[10:11], off
	global_load_dwordx4 v[74:77], v[6:7], off
	s_waitcnt vmcnt(7)
	v_mad_i64_i32 v[4:5], s[16:17], v4, s9, 0
	v_mov_b32_e32 v6, 0x100
	v_lshl_add_u64 v[4:5], v[4:5], 1, s[14:15]
	v_lshl_or_b32 v6, v82, 4, v6
	v_mov_b32_e32 v7, v85
	v_lshl_add_u64 v[4:5], v[4:5], 0, v[6:7]
	v_lshl_add_u64 v[10:11], v[4:5], 0, v[84:85]
	global_load_dwordx4 v[70:73], v[10:11], off
	global_load_dwordx4 v[58:61], v[10:11], off offset:2048
	v_lshl_add_u64 v[10:11], v[4:5], 0, v[14:15]
	v_lshl_add_u64 v[4:5], v[4:5], 0, v[16:17]
	global_load_dwordx4 v[54:57], v[10:11], off
	global_load_dwordx4 v[30:33], v[4:5], off
	s_waitcnt vmcnt(10)
	v_mad_i64_i32 v[4:5], s[16:17], v3, s9, 0
	v_lshl_add_u64 v[4:5], v[4:5], 1, s[14:15]
	s_waitcnt vmcnt(9)
	v_mad_i64_i32 v[2:3], s[16:17], v2, s9, 0
	v_lshl_add_u64 v[4:5], v[4:5], 0, v[8:9]
	v_lshl_add_u64 v[2:3], v[2:3], 1, s[14:15]
	;; [unrolled: 1-line block ×4, first 2 shown]
	global_load_dwordx4 v[26:29], v[8:9], off
	global_load_dwordx4 v[22:25], v[8:9], off offset:2048
	v_lshl_add_u64 v[8:9], v[4:5], 0, v[14:15]
	v_lshl_add_u64 v[4:5], v[4:5], 0, v[16:17]
	;; [unrolled: 1-line block ×4, first 2 shown]
	global_load_dwordx4 v[18:21], v[8:9], off
	global_load_dwordx4 v[10:13], v[4:5], off
	s_nop 0
	global_load_dwordx4 v[6:9], v[2:3], off
	s_nop 0
	global_load_dwordx4 v[2:5], v[2:3], off offset:2048
	v_lshl_add_u64 v[16:17], v[34:35], 0, v[16:17]
	global_load_dwordx4 v[42:45], v[14:15], off
	global_load_dwordx4 v[34:37], v[16:17], off
	ds_read_b128 v[14:17], v84
	ds_read_b128 v[50:53], v84 offset:2048
	ds_read_b128 v[46:49], v84 offset:4096
	ds_read_b128 v[38:41], v84 offset:6144
	v_and_b32_e32 v88, 63, v0
	v_cmp_eq_u32_e32 vcc, 0, v82
	v_mov_b32_e32 v89, 0
	s_and_saveexec_b64 s[14:15], vcc
	s_cbranch_execz .LBB704_15
; %bb.14:
	s_load_dwordx2 s[16:17], s[0:1], 0x40
	s_ashr_i32 s5, s4, 31
	s_lshl_b64 s[20:21], s[4:5], 2
	s_waitcnt lgkmcnt(0)
	s_add_u32 s16, s16, s20
	s_addc_u32 s17, s17, s21
	s_load_dword s5, s[16:17], 0x0
	s_waitcnt lgkmcnt(0)
	v_mov_b32_e32 v89, s5
.LBB704_15:
	s_or_b64 exec, exec, s[14:15]
	s_waitcnt vmcnt(15) lgkmcnt(3)
	v_mfma_f32_16x16x16_bf16 v[90:93], v[66:67], v[14:15], 0
	s_ashr_i32 s5, s18, 31
	s_lshr_b32 s5, s5, 27
	s_add_u32 s10, s12, s10
	v_mfma_f32_16x16x16_bf16 v[66:69], v[68:69], v[16:17], v[90:93]
	s_addc_u32 s11, s13, s11
	s_waitcnt vmcnt(14) lgkmcnt(2)
	v_mfma_f32_16x16x16_bf16 v[66:69], v[62:63], v[50:51], v[66:69]
	v_lshl_or_b32 v90, v83, 4, v82
	v_mfma_f32_16x16x16_bf16 v[62:65], v[64:65], v[52:53], v[66:69]
	s_waitcnt vmcnt(13) lgkmcnt(1)
	v_mfma_f32_16x16x16_bf16 v[62:65], v[78:79], v[46:47], v[62:65]
	v_mfma_f32_16x16x16_bf16 v[62:65], v[80:81], v[48:49], v[62:65]
	s_waitcnt vmcnt(12) lgkmcnt(0)
	v_mfma_f32_16x16x16_bf16 v[62:65], v[74:75], v[38:39], v[62:65]
	v_and_or_b32 v74, v0, 48, s18
	v_add_u32_e32 v66, s5, v74
	v_ashrrev_i32_e32 v75, 5, v66
	s_waitcnt vmcnt(11)
	v_mfma_f32_16x16x16_bf16 v[66:69], v[70:71], v[14:15], 0
	v_cmp_gt_i32_e32 vcc, s29, v74
	v_mfma_f32_16x16x16_bf16 v[66:69], v[72:73], v[16:17], v[66:69]
	v_or_b32_e32 v72, 64, v74
	v_add_u32_e32 v73, s5, v72
	s_waitcnt vmcnt(10)
	v_mfma_f32_16x16x16_bf16 v[66:69], v[58:59], v[50:51], v[66:69]
	v_ashrrev_i32_e32 v58, 5, v73
	v_mfma_f32_16x16x16_bf16 v[62:65], v[76:77], v[40:41], v[62:65]
	v_mov_b32_e32 v76, s19
	v_cndmask_b32_e32 v70, v76, v75, vcc
	v_cmp_gt_i32_e32 vcc, s29, v72
	v_ashrrev_i32_e32 v71, 31, v70
	v_lshl_add_u64 v[70:71], v[70:71], 2, s[6:7]
	v_cndmask_b32_e32 v72, v76, v58, vcc
	v_mfma_f32_16x16x16_bf16 v[58:61], v[60:61], v[52:53], v[66:69]
	v_ashrrev_i32_e32 v73, 31, v72
	s_waitcnt vmcnt(9)
	v_mfma_f32_16x16x16_bf16 v[58:61], v[54:55], v[46:47], v[58:61]
	v_lshl_add_u64 v[66:67], v[72:73], 2, s[6:7]
	global_load_dword v68, v[70:71], off
	s_nop 0
	global_load_dword v66, v[66:67], off
	v_or_b32_e32 v67, 0x80, v74
	v_add_u32_e32 v69, s5, v67
	v_mfma_f32_16x16x16_bf16 v[54:57], v[56:57], v[48:49], v[58:61]
	v_cmp_gt_i32_e32 vcc, s29, v67
	s_nop 1
	v_ashrrev_i32_e32 v58, 5, v69
	v_cndmask_b32_e32 v58, v76, v58, vcc
	v_ashrrev_i32_e32 v59, 31, v58
	s_waitcnt vmcnt(10)
	v_mfma_f32_16x16x16_bf16 v[54:57], v[30:31], v[38:39], v[54:57]
	v_lshl_add_u64 v[30:31], v[58:59], 2, s[6:7]
	global_load_dword v70, v[30:31], off
	v_mfma_f32_16x16x16_bf16 v[58:61], v[32:33], v[40:41], v[54:57]
	s_nop 3
	v_or_b32_e32 v54, 0xc0, v74
	v_add_u32_e32 v30, s5, v54
	v_ashrrev_i32_e32 v55, 5, v30
	v_cmp_gt_i32_e32 vcc, s29, v54
	s_waitcnt vmcnt(10)
	v_mfma_f32_16x16x16_bf16 v[30:33], v[26:27], v[14:15], 0
	s_mov_b32 s5, 0xff7fffff
	v_cndmask_b32_e32 v26, v76, v55, vcc
	v_ashrrev_i32_e32 v27, 31, v26
	v_lshl_add_u64 v[54:55], v[26:27], 2, s[6:7]
	global_load_dword v71, v[54:55], off
	v_mfma_f32_16x16x16_bf16 v[26:29], v[28:29], v[16:17], v[30:33]
	s_load_dword s6, s[0:1], 0x1c
	s_waitcnt vmcnt(10)
	v_mfma_f32_16x16x16_bf16 v[26:29], v[22:23], v[50:51], v[26:29]
	v_and_b32_e32 v30, 16, v0
	v_lshlrev_b32_e32 v84, 1, v30
	v_lshl_add_u64 v[74:75], s[10:11], 0, v[84:85]
	v_mfma_f32_16x16x16_bf16 v[22:25], v[24:25], v[52:53], v[26:29]
	v_lshlrev_b32_e32 v84, 6, v90
	v_lshl_add_u64 v[76:77], v[74:75], 0, v[84:85]
	v_or_b32_e32 v84, 0x1000, v84
	s_waitcnt vmcnt(9)
	v_mfma_f32_16x16x16_bf16 v[22:25], v[18:19], v[46:47], v[22:25]
	v_lshl_add_u64 v[80:81], v[74:75], 0, v[84:85]
	s_waitcnt lgkmcnt(0)
	v_pk_mul_f32 v[74:75], s[6:7], v[60:61] op_sel_hi:[0,1]
	v_mfma_f32_16x16x16_bf16 v[18:21], v[20:21], v[48:49], v[22:25]
	s_waitcnt vmcnt(8)
	v_mfma_f32_16x16x16_bf16 v[18:21], v[10:11], v[38:39], v[18:21]
	s_waitcnt vmcnt(3)
	v_mad_i64_i32 v[22:23], s[10:11], v68, s9, 0
	s_waitcnt vmcnt(2)
	v_mad_i64_i32 v[10:11], s[10:11], v66, s9, 0
	v_lshlrev_b64 v[78:79], 1, v[22:23]
	v_lshlrev_b64 v[54:55], 1, v[10:11]
	v_lshl_add_u64 v[22:23], v[76:77], 0, v[78:79]
	v_lshl_add_u64 v[10:11], v[76:77], 0, v[54:55]
	global_load_dwordx4 v[30:33], v[22:23], off
	global_load_dwordx4 v[26:29], v[22:23], off offset:16
	v_mfma_f32_16x16x16_bf16 v[66:69], v[12:13], v[40:41], v[18:21]
	global_load_dwordx4 v[22:25], v[10:11], off
	s_nop 1
	global_load_dwordx4 v[18:21], v[10:11], off offset:16
	v_mfma_f32_16x16x16_bf16 v[10:13], v[6:7], v[14:15], 0
	s_waitcnt vmcnt(5)
	v_mad_i64_i32 v[6:7], s[10:11], v70, s9, 0
	v_lshlrev_b64 v[56:57], 1, v[6:7]
	v_mfma_f32_16x16x16_bf16 v[6:9], v[8:9], v[16:17], v[10:13]
	v_mfma_f32_16x16x16_bf16 v[6:9], v[2:3], v[50:51], v[6:9]
	s_nop 1
	v_lshl_add_u64 v[10:11], v[76:77], 0, v[56:57]
	global_load_dwordx4 v[14:17], v[10:11], off
	s_nop 0
	global_load_dwordx4 v[10:13], v[10:11], off offset:16
	s_waitcnt vmcnt(6)
	v_mad_i64_i32 v[2:3], s[8:9], v71, s9, 0
	v_mfma_f32_16x16x16_bf16 v[70:73], v[4:5], v[52:53], v[6:9]
	v_pk_mul_f32 v[52:53], s[6:7], v[62:63] op_sel_hi:[0,1]
	v_lshlrev_b64 v[50:51], 1, v[2:3]
	v_lshl_add_u64 v[2:3], v[76:77], 0, v[50:51]
	v_mfma_f32_16x16x16_bf16 v[70:73], v[42:43], v[46:47], v[70:73]
	v_lshl_add_u64 v[42:43], v[80:81], 0, v[78:79]
	v_pk_mul_f32 v[78:79], s[6:7], v[64:65] op_sel_hi:[0,1]
	v_pk_mul_f32 v[76:77], s[6:7], v[58:59] op_sel_hi:[0,1]
	v_mfma_f32_16x16x16_bf16 v[44:47], v[44:45], v[48:49], v[70:73]
	v_lshl_add_u64 v[50:51], v[80:81], 0, v[50:51]
	global_load_dwordx4 v[6:9], v[2:3], off
	s_nop 0
	global_load_dwordx4 v[2:5], v[2:3], off offset:16
	v_pk_mul_f32 v[70:71], s[6:7], v[68:69] op_sel_hi:[0,1]
	v_mfma_f32_16x16x16_bf16 v[44:47], v[34:35], v[38:39], v[44:47]
	v_pk_mul_f32 v[72:73], s[6:7], v[66:67] op_sel_hi:[0,1]
	v_mfma_f32_16x16x16_bf16 v[34:37], v[36:37], v[40:41], v[44:47]
	s_nop 6
	v_pk_mul_f32 v[68:69], s[6:7], v[34:35] op_sel_hi:[0,1]
	v_and_b32_e32 v34, 0xc0, v0
	v_add_u32_e32 v34, s18, v34
	v_lshl_or_b32 v34, v1, 2, v34
	v_or_b32_e32 v35, 1, v34
	v_pk_mul_f32 v[66:67], s[6:7], v[36:37] op_sel_hi:[0,1]
	v_subrev_u32_e32 v36, s29, v35
	v_add_u32_e32 v38, 1, v36
	v_add_u32_e32 v39, 2, v36
	v_cvt_f32_i32_e32 v37, v36
	v_cvt_f32_i32_e32 v38, v38
	;; [unrolled: 1-line block ×3, first 2 shown]
	v_add_u32_e32 v40, 3, v36
	v_fma_f32 v52, v89, v37, v52
	v_fmac_f32_e32 v53, v89, v38
	v_fma_f32 v78, v89, v39, v78
	v_add_u32_e32 v37, 16, v36
	v_add_u32_e32 v38, 17, v36
	;; [unrolled: 1-line block ×3, first 2 shown]
	v_cvt_f32_i32_e32 v40, v40
	v_cvt_f32_i32_e32 v37, v37
	;; [unrolled: 1-line block ×4, first 2 shown]
	v_fmac_f32_e32 v79, v89, v40
	v_add_u32_e32 v40, 19, v36
	v_fma_f32 v76, v89, v37, v76
	v_fmac_f32_e32 v77, v89, v38
	v_fma_f32 v74, v89, v39, v74
	v_add_u32_e32 v37, 32, v36
	v_add_u32_e32 v38, 33, v36
	;; [unrolled: 1-line block ×3, first 2 shown]
	v_cvt_f32_i32_e32 v40, v40
	v_cvt_f32_i32_e32 v37, v37
	;; [unrolled: 1-line block ×4, first 2 shown]
	v_fmac_f32_e32 v75, v89, v40
	v_add_u32_e32 v40, 35, v36
	v_fma_f32 v72, v89, v37, v72
	v_fmac_f32_e32 v73, v89, v38
	v_fma_f32 v70, v89, v39, v70
	v_add_u32_e32 v37, 48, v36
	v_add_u32_e32 v38, 49, v36
	;; [unrolled: 1-line block ×4, first 2 shown]
	v_cvt_f32_i32_e32 v36, v36
	v_cvt_f32_i32_e32 v37, v37
	;; [unrolled: 1-line block ×3, first 2 shown]
	v_cmp_gt_i32_e64 s[30:31], s29, v34
	v_fmac_f32_e32 v67, v89, v36
	v_mov_b32_e32 v36, 0xff7fffff
	v_cmp_gt_i32_e64 s[34:35], s29, v35
	v_fma_f32 v68, v89, v37, v68
	v_cndmask_b32_e64 v37, v36, v52, s[30:31]
	v_cndmask_b32_e64 v35, v36, v53, s[34:35]
	v_fmac_f32_e32 v69, v89, v38
	v_max3_f32 v35, v37, s5, v35
	v_or_b32_e32 v37, 2, v34
	v_or_b32_e32 v38, 3, v34
	v_cmp_gt_i32_e64 s[36:37], s29, v37
	v_cmp_gt_i32_e64 s[38:39], s29, v38
	v_cvt_f32_i32_e32 v40, v40
	v_cndmask_b32_e64 v37, v36, v78, s[36:37]
	v_cndmask_b32_e64 v38, v36, v79, s[38:39]
	v_max3_f32 v35, v35, v37, v38
	v_or_b32_e32 v37, 16, v34
	v_or_b32_e32 v38, 17, v34
	v_cmp_gt_i32_e64 s[24:25], s29, v37
	v_cmp_gt_i32_e64 s[26:27], s29, v38
	v_fmac_f32_e32 v71, v89, v40
	v_cndmask_b32_e64 v37, v36, v76, s[24:25]
	v_cndmask_b32_e64 v38, v36, v77, s[26:27]
	v_max3_f32 v35, v35, v37, v38
	v_or_b32_e32 v37, 18, v34
	v_or_b32_e32 v38, 19, v34
	v_cmp_gt_i32_e64 s[20:21], s29, v37
	v_cmp_gt_i32_e64 s[22:23], s29, v38
	v_cvt_f32_i32_e32 v39, v39
	v_cndmask_b32_e64 v37, v36, v74, s[20:21]
	v_cndmask_b32_e64 v38, v36, v75, s[22:23]
	v_max3_f32 v35, v35, v37, v38
	v_or_b32_e32 v37, 32, v34
	v_or_b32_e32 v38, 33, v34
	v_cmp_gt_i32_e64 s[16:17], s29, v37
	v_cmp_gt_i32_e64 s[18:19], s29, v38
	v_fma_f32 v66, v89, v39, v66
	v_cndmask_b32_e64 v37, v36, v72, s[16:17]
	v_cndmask_b32_e64 v38, v36, v73, s[18:19]
	v_max3_f32 v35, v35, v37, v38
	v_or_b32_e32 v37, 34, v34
	v_or_b32_e32 v38, 35, v34
	v_cmp_gt_i32_e64 s[12:13], s29, v37
	v_cmp_gt_i32_e64 s[14:15], s29, v38
	s_nop 0
	v_cndmask_b32_e64 v37, v36, v70, s[12:13]
	v_cndmask_b32_e64 v38, v36, v71, s[14:15]
	v_max3_f32 v35, v35, v37, v38
	v_or_b32_e32 v37, 48, v34
	v_or_b32_e32 v38, 49, v34
	v_cmp_gt_i32_e64 s[8:9], s29, v37
	v_cmp_gt_i32_e64 s[10:11], s29, v38
	s_nop 0
	v_cndmask_b32_e64 v37, v36, v68, s[8:9]
	v_cndmask_b32_e64 v38, v36, v69, s[10:11]
	v_max3_f32 v35, v35, v37, v38
	v_or_b32_e32 v37, 50, v34
	v_or_b32_e32 v34, 51, v34
	v_cmp_gt_i32_e32 vcc, s29, v37
	v_cmp_gt_i32_e64 s[6:7], s29, v34
	global_load_dwordx4 v[46:49], v[42:43], off
	global_load_dwordx4 v[38:41], v[42:43], off offset:16
	v_cndmask_b32_e32 v37, v36, v66, vcc
	v_cndmask_b32_e64 v34, v36, v67, s[6:7]
	v_max3_f32 v58, v35, v37, v34
	v_mbcnt_lo_u32_b32 v34, -1, 0
	v_mbcnt_hi_u32_b32 v59, -1, v34
	v_and_b32_e32 v34, 64, v59
	v_add_u32_e32 v60, 64, v34
	v_xor_b32_e32 v34, 32, v59
	v_cmp_lt_i32_e64 s[40:41], v34, v60
	s_nop 1
	v_cndmask_b32_e64 v34, v59, v34, s[40:41]
	v_lshlrev_b32_e32 v85, 2, v34
	ds_bpermute_b32 v61, v85, v58
	v_lshl_add_u64 v[34:35], v[80:81], 0, v[54:55]
	global_load_dwordx4 v[42:45], v[34:35], off
	s_nop 0
	global_load_dwordx4 v[34:37], v[34:35], off offset:16
	s_waitcnt lgkmcnt(0)
	v_max_f32_e32 v54, v61, v61
	v_max_f32_e32 v62, v58, v54
	v_xor_b32_e32 v54, 16, v59
	v_cmp_lt_i32_e64 s[40:41], v54, v60
	s_nop 1
	v_cndmask_b32_e64 v54, v59, v54, s[40:41]
	v_lshlrev_b32_e32 v89, 2, v54
	ds_bpermute_b32 v63, v89, v62
	v_lshl_add_u64 v[54:55], v[80:81], 0, v[56:57]
	global_load_dwordx4 v[58:61], v[54:55], off
	s_nop 0
	global_load_dwordx4 v[54:57], v[54:55], off offset:16
	s_waitcnt lgkmcnt(0)
	v_max_f32_e32 v63, v63, v63
	v_max_f32_e32 v84, v62, v63
	v_sub_f32_e32 v52, v52, v84
	v_mul_f32_e32 v52, 0x3fb8aa3b, v52
	v_exp_f32_e32 v80, v52
	v_sub_f32_e32 v52, v53, v84
	v_mul_f32_e32 v52, 0x3fb8aa3b, v52
	v_exp_f32_e32 v81, v52
	global_load_dwordx4 v[62:65], v[50:51], off
	s_nop 0
	global_load_dwordx4 v[50:53], v[50:51], off offset:16
	v_sub_f32_e32 v78, v78, v84
	v_mul_f32_e32 v78, 0x3fb8aa3b, v78
	v_sub_f32_e32 v79, v79, v84
	v_exp_f32_e32 v78, v78
	v_mul_f32_e32 v79, 0x3fb8aa3b, v79
	v_sub_f32_e32 v76, v76, v84
	v_exp_f32_e32 v79, v79
	v_mul_f32_e32 v76, 0x3fb8aa3b, v76
	v_sub_f32_e32 v77, v77, v84
	v_cndmask_b32_e64 v80, 0, v80, s[30:31]
	v_exp_f32_e32 v76, v76
	v_mul_f32_e32 v77, 0x3fb8aa3b, v77
	v_sub_f32_e32 v74, v74, v84
	v_add_f32_e32 v91, 0, v80
	v_cndmask_b32_e64 v81, 0, v81, s[34:35]
	v_exp_f32_e32 v77, v77
	v_mul_f32_e32 v74, 0x3fb8aa3b, v74
	v_sub_f32_e32 v75, v75, v84
	v_add_f32_e32 v91, v91, v81
	;; [unrolled: 5-line block ×10, first 2 shown]
	v_cndmask_b32_e64 v70, 0, v70, s[12:13]
	v_exp_f32_e32 v66, v66
	v_mul_f32_e32 v67, 0x3fb8aa3b, v67
	v_add_f32_e32 v91, v91, v70
	v_cndmask_b32_e64 v71, 0, v71, s[14:15]
	v_exp_f32_e32 v67, v67
	v_add_f32_e32 v91, v91, v71
	v_cndmask_b32_e64 v68, 0, v68, s[8:9]
	v_add_f32_e32 v91, v91, v68
	v_cndmask_b32_e64 v69, 0, v69, s[10:11]
	v_add_f32_e32 v91, v91, v69
	v_cndmask_b32_e32 v66, 0, v66, vcc
	v_add_f32_e32 v91, v91, v66
	v_cndmask_b32_e64 v67, 0, v67, s[6:7]
	v_add_f32_e32 v91, v91, v67
	ds_bpermute_b32 v85, v85, v91
	v_cmp_lt_u32_e64 s[6:7], 15, v88
	v_cmp_gt_u32_e32 vcc, 16, v88
	s_waitcnt lgkmcnt(0)
	s_barrier
	v_add_f32_e32 v85, v91, v85
	ds_bpermute_b32 v89, v89, v85
	s_waitcnt lgkmcnt(0)
	s_and_saveexec_b64 s[8:9], vcc
	s_cbranch_execz .LBB704_17
; %bb.16:
	v_add_f32_e32 v85, v85, v89
	v_lshlrev_b32_e32 v88, 2, v90
	ds_write2st64_b32 v88, v84, v85 offset1:1
.LBB704_17:
	s_or_b64 exec, exec, s[8:9]
	v_lshlrev_b32_e32 v85, 2, v82
	s_load_dwordx2 s[8:9], s[0:1], 0x94
	s_waitcnt lgkmcnt(0)
	s_barrier
	ds_read2_b32 v[88:89], v85 offset1:16
	ds_read2_b32 v[90:91], v85 offset0:32 offset1:48
	ds_read2_b32 v[92:93], v85 offset0:64 offset1:80
	s_mov_b32 s12, 0x7060302
	s_waitcnt lgkmcnt(2)
	v_max3_f32 v84, v88, s5, v89
	s_waitcnt lgkmcnt(1)
	v_max3_f32 v84, v84, v90, v91
	v_sub_f32_e32 v88, v88, v84
	v_mul_f32_e32 v88, 0x3fb8aa3b, v88
	v_exp_f32_e32 v94, v88
	v_sub_f32_e32 v88, v89, v84
	v_mul_f32_e32 v88, 0x3fb8aa3b, v88
	v_exp_f32_e32 v95, v88
	;; [unrolled: 3-line block ×3, first 2 shown]
	ds_read2_b32 v[88:89], v85 offset0:96 offset1:112
	v_sub_f32_e32 v85, v91, v84
	v_mul_f32_e32 v85, 0x3fb8aa3b, v85
	v_exp_f32_e32 v91, v85
	s_waitcnt lgkmcnt(1)
	v_fma_f32 v85, v94, v92, 0
	v_fmac_f32_e32 v85, v95, v93
	s_waitcnt lgkmcnt(0)
	v_fmac_f32_e32 v85, v90, v88
	v_fmac_f32_e32 v85, v91, v89
	v_add_f32_e32 v89, 0x358637bd, v85
	v_div_scale_f32 v92, s[10:11], v89, v89, 1.0
	v_rcp_f32_e32 v93, v92
	s_movk_i32 s5, 0x7fff
	v_mov_b32_e32 v88, 0
	v_fma_f32 v1, -v92, v93, 1.0
	v_fmac_f32_e32 v93, v1, v93
	v_div_scale_f32 v1, vcc, 1.0, v89, 1.0
	v_mul_f32_e32 v86, v1, v93
	v_fma_f32 v87, -v92, v86, v1
	v_fmac_f32_e32 v86, v87, v93
	v_fma_f32 v1, -v92, v86, v1
	v_div_fmas_f32 v1, v1, v93, v86
	v_cmp_eq_u32_e32 vcc, 1, v83
	v_div_fixup_f32 v1, v1, v89, 1.0
	v_bfe_u32 v87, v0, 4, 2
	v_cndmask_b32_e32 v86, v94, v95, vcc
	v_cmp_eq_u32_e32 vcc, 2, v83
	s_barrier
	s_nop 0
	v_cndmask_b32_e32 v86, v86, v90, vcc
	v_cmp_eq_u32_e32 vcc, 3, v83
	s_nop 1
	v_cndmask_b32_e32 v86, v86, v91, vcc
	v_mul_f32_e32 v90, v86, v1
	v_pk_mul_f32 v[80:81], v[90:91], v[80:81] op_sel_hi:[0,1]
	v_bfe_u32 v1, v81, 16, 1
	v_bfe_u32 v86, v80, 16, 1
	v_pk_mul_f32 v[78:79], v[90:91], v[78:79] op_sel_hi:[0,1]
	v_add3_u32 v80, v80, v86, s5
	v_add3_u32 v1, v81, v1, s5
	v_perm_b32 v80, v1, v80, s12
	v_bfe_u32 v1, v79, 16, 1
	v_bfe_u32 v81, v78, 16, 1
	v_add3_u32 v78, v78, v81, s5
	v_add3_u32 v1, v79, v1, s5
	v_perm_b32 v81, v1, v78, s12
	v_lshlrev_b32_e32 v1, 3, v87
	v_lshlrev_b32_e32 v79, 5, v82
	;; [unrolled: 1-line block ×3, first 2 shown]
	v_pk_mul_f32 v[76:77], v[90:91], v[76:77] op_sel_hi:[0,1]
	v_or3_b32 v78, v78, v79, v1
	v_bfe_u32 v1, v77, 16, 1
	v_bfe_u32 v86, v76, 16, 1
	v_pk_mul_f32 v[74:75], v[90:91], v[74:75] op_sel_hi:[0,1]
	v_add3_u32 v76, v76, v86, s5
	v_add3_u32 v1, v77, v1, s5
	v_perm_b32 v76, v1, v76, s12
	v_bfe_u32 v1, v75, 16, 1
	v_bfe_u32 v77, v74, 16, 1
	v_add3_u32 v74, v74, v77, s5
	v_add3_u32 v1, v75, v1, s5
	v_pk_mul_f32 v[72:73], v[90:91], v[72:73] op_sel_hi:[0,1]
	v_perm_b32 v77, v1, v74, s12
	v_bfe_u32 v1, v73, 16, 1
	v_bfe_u32 v74, v72, 16, 1
	v_pk_mul_f32 v[70:71], v[90:91], v[70:71] op_sel_hi:[0,1]
	v_add3_u32 v72, v72, v74, s5
	v_add3_u32 v1, v73, v1, s5
	v_perm_b32 v72, v1, v72, s12
	v_bfe_u32 v1, v71, 16, 1
	v_bfe_u32 v73, v70, 16, 1
	v_add3_u32 v70, v70, v73, s5
	v_add3_u32 v1, v71, v1, s5
	v_pk_mul_f32 v[68:69], v[90:91], v[68:69] op_sel_hi:[0,1]
	v_perm_b32 v73, v1, v70, s12
	v_bfe_u32 v1, v69, 16, 1
	v_bfe_u32 v70, v68, 16, 1
	v_pk_mul_f32 v[66:67], v[90:91], v[66:67] op_sel_hi:[0,1]
	v_add3_u32 v68, v68, v70, s5
	v_add3_u32 v1, v69, v1, s5
	v_perm_b32 v68, v1, v68, s12
	v_bfe_u32 v1, v67, 16, 1
	v_bfe_u32 v69, v66, 16, 1
	v_add3_u32 v66, v66, v69, s5
	v_add3_u32 v1, v67, v1, s5
	v_perm_b32 v69, v1, v66, s12
	v_cmp_eq_u32_e32 vcc, 0, v0
	ds_write2st64_b64 v78, v[80:81], v[76:77] offset1:1
	ds_write2st64_b64 v78, v[72:73], v[68:69] offset0:2 offset1:3
	s_and_saveexec_b64 s[10:11], vcc
	s_cbranch_execz .LBB704_19
; %bb.18:
	s_mul_i32 s3, s3, s9
	s_mul_hi_u32 s13, s2, s9
	s_add_i32 s13, s13, s3
	s_mul_i32 s3, s2, s9
	s_add_u32 s3, s3, s4
	s_addc_u32 s13, s13, 0
	s_load_dwordx4 s[16:19], s[0:1], 0x58
	s_mul_i32 s13, s13, s8
	s_mul_hi_u32 s14, s3, s8
	s_add_i32 s13, s14, s13
	s_mul_i32 s3, s3, s8
	s_add_u32 s14, s3, s28
	s_addc_u32 s15, s13, 0
	s_lshl_b64 s[14:15], s[14:15], 2
	s_waitcnt lgkmcnt(0)
	s_add_u32 s18, s18, s14
	s_addc_u32 s19, s19, s15
	s_add_u32 s14, s16, s14
	s_addc_u32 s15, s17, s15
	global_store_dword v88, v84, s[18:19]
	global_store_dword v88, v85, s[14:15]
.LBB704_19:
	s_or_b64 exec, exec, s[10:11]
	v_lshl_or_b32 v1, v87, 9, v79
	s_waitcnt lgkmcnt(0)
	s_barrier
	ds_read_b128 v[70:73], v1
	ds_read_b128 v[66:69], v1 offset:16
	s_waitcnt vmcnt(15) lgkmcnt(1)
	v_mfma_f32_16x16x16_bf16 v[74:77], v[30:31], v[70:71], 0
	v_cmp_gt_u32_e32 vcc, 64, v0
	s_xor_b64 s[6:7], s[6:7], -1
	s_mov_b32 s3, 0
	v_mfma_f32_16x16x16_bf16 v[30:33], v[32:33], v[72:73], v[74:77]
	s_and_b64 s[6:7], vcc, s[6:7]
	s_waitcnt vmcnt(14) lgkmcnt(0)
	v_mfma_f32_16x16x16_bf16 v[30:33], v[26:27], v[66:67], v[30:33]
	v_mfma_f32_16x16x16_bf16 v[26:29], v[28:29], v[68:69], v[30:33]
	s_nop 5
	ds_read_b128 v[30:33], v1 offset:2048
	ds_read_b128 v[74:77], v1 offset:2064
	s_waitcnt vmcnt(13) lgkmcnt(1)
	v_mfma_f32_16x16x16_bf16 v[26:29], v[22:23], v[30:31], v[26:29]
	v_mfma_f32_16x16x16_bf16 v[22:25], v[24:25], v[32:33], v[26:29]
	s_waitcnt vmcnt(12) lgkmcnt(0)
	v_mfma_f32_16x16x16_bf16 v[22:25], v[18:19], v[74:75], v[22:25]
	v_mfma_f32_16x16x16_bf16 v[18:21], v[20:21], v[76:77], v[22:25]
	s_nop 5
	ds_read_b128 v[22:25], v1 offset:4096
	ds_read_b128 v[26:29], v1 offset:4112
	s_waitcnt vmcnt(11) lgkmcnt(1)
	v_mfma_f32_16x16x16_bf16 v[18:21], v[14:15], v[22:23], v[18:21]
	v_mfma_f32_16x16x16_bf16 v[14:17], v[16:17], v[24:25], v[18:21]
	s_waitcnt vmcnt(10) lgkmcnt(0)
	v_mfma_f32_16x16x16_bf16 v[14:17], v[10:11], v[26:27], v[14:17]
	v_mfma_f32_16x16x16_bf16 v[10:13], v[12:13], v[28:29], v[14:17]
	s_nop 5
	ds_read_b128 v[14:17], v1 offset:6144
	ds_read_b128 v[18:21], v1 offset:6160
	s_waitcnt lgkmcnt(0)
	s_barrier
	s_waitcnt vmcnt(9)
	v_mfma_f32_16x16x16_bf16 v[10:13], v[6:7], v[14:15], v[10:13]
	v_mfma_f32_16x16x16_bf16 v[6:9], v[8:9], v[16:17], v[10:13]
	s_waitcnt vmcnt(8)
	v_mfma_f32_16x16x16_bf16 v[6:9], v[2:3], v[18:19], v[6:9]
	v_mfma_f32_16x16x16_bf16 v[2:5], v[4:5], v[20:21], v[6:9]
	;; [unrolled: 3-line block ×3, first 2 shown]
	s_nop 3
	v_bfe_u32 v1, v3, 16, 1
	v_bfe_u32 v10, v2, 16, 1
	v_add3_u32 v2, v2, v10, s5
	s_waitcnt vmcnt(6)
	v_mfma_f32_16x16x16_bf16 v[6:9], v[38:39], v[66:67], v[6:9]
	v_add3_u32 v1, v3, v1, s5
	v_perm_b32 v10, v1, v2, s12
	v_bfe_u32 v1, v5, 16, 1
	v_mfma_f32_16x16x16_bf16 v[6:9], v[40:41], v[68:69], v[6:9]
	v_bfe_u32 v2, v4, 16, 1
	v_add3_u32 v2, v4, v2, s5
	v_add3_u32 v1, v5, v1, s5
	s_waitcnt vmcnt(5)
	v_mfma_f32_16x16x16_bf16 v[6:9], v[42:43], v[30:31], v[6:9]
	v_perm_b32 v11, v1, v2, s12
	v_mfma_f32_16x16x16_bf16 v[6:9], v[44:45], v[32:33], v[6:9]
	s_waitcnt vmcnt(4)
	v_mfma_f32_16x16x16_bf16 v[6:9], v[34:35], v[74:75], v[6:9]
	v_mfma_f32_16x16x16_bf16 v[6:9], v[36:37], v[76:77], v[6:9]
	s_waitcnt vmcnt(3)
	v_mfma_f32_16x16x16_bf16 v[6:9], v[58:59], v[22:23], v[6:9]
	;; [unrolled: 3-line block ×5, first 2 shown]
	v_mfma_f32_16x16x16_bf16 v[2:5], v[52:53], v[20:21], v[6:9]
	s_nop 6
	v_bfe_u32 v1, v3, 16, 1
	v_bfe_u32 v6, v2, 16, 1
	v_add3_u32 v2, v2, v6, s5
	v_add3_u32 v1, v3, v1, s5
	v_perm_b32 v2, v1, v2, s12
	v_bfe_u32 v1, v5, 16, 1
	v_bfe_u32 v3, v4, 16, 1
	v_add3_u32 v3, v4, v3, s5
	v_add3_u32 v1, v5, v1, s5
	v_perm_b32 v3, v1, v3, s12
	ds_write2st64_b64 v78, v[10:11], v[2:3] offset1:1
	s_waitcnt lgkmcnt(0)
	s_barrier
	s_and_saveexec_b64 s[10:11], s[6:7]
	s_cbranch_execz .LBB704_21
; %bb.20:
	scratch_load_dwordx2 v[4:5], off, off   ; 8-byte Folded Reload
	s_load_dwordx2 s[0:1], s[0:1], 0x68
	s_mul_i32 s2, s9, s2
	s_lshl_b32 s5, s8, 7
	s_mul_hi_u32 s7, s2, s5
	s_mul_i32 s6, s2, s5
	s_lshl_b64 s[6:7], s[6:7], 1
	v_lshlrev_b32_e32 v3, 6, v82
	s_waitcnt lgkmcnt(0)
	s_add_u32 s6, s0, s6
	v_lshlrev_b32_e32 v2, 4, v0
	v_lshl_or_b32 v0, v0, 10, v3
	s_addc_u32 s7, s1, s7
	s_lshl_b32 s2, s28, 7
	v_lshlrev_b32_e32 v1, 5, v87
	v_and_b32_e32 v2, 16, v2
	v_and_b32_e32 v0, 0x1a00, v0
	s_lshl_b64 s[0:1], s[2:3], 1
	v_or3_b32 v0, v0, v1, v2
	s_add_u32 s2, s6, s0
	ds_read_b128 v[0:3], v0
	s_addc_u32 s3, s7, s1
	s_mul_hi_u32 s1, s5, s4
	s_mul_i32 s0, s5, s4
	s_lshl_b64 s[0:1], s[0:1], 1
	s_add_u32 s0, s2, s0
	s_addc_u32 s1, s3, s1
	s_waitcnt vmcnt(0)
	v_lshl_add_u64 v[4:5], v[4:5], 1, s[0:1]
	s_waitcnt lgkmcnt(0)
	global_store_dwordx4 v[4:5], v[0:3], off
.LBB704_21:
	s_endpgm
	.section	.rodata,"a",@progbits
	.p2align	6, 0x0
	.amdhsa_kernel _Z39paged_attention_ll4mi_QKV_mfma16_kernelI14__hip_bfloat16S0_LN4vllm18Fp8KVCacheDataTypeE0EhLi32ELi128ELi256ELb1ELi1EEvPKT_PKT0_S8_ifPKiSA_SA_iPKfiiiPfSD_PS3_PT2_iSC_SC_
		.amdhsa_group_segment_fixed_size 8192
		.amdhsa_private_segment_fixed_size 12
		.amdhsa_kernarg_size 400
		.amdhsa_user_sgpr_count 2
		.amdhsa_user_sgpr_dispatch_ptr 0
		.amdhsa_user_sgpr_queue_ptr 0
		.amdhsa_user_sgpr_kernarg_segment_ptr 1
		.amdhsa_user_sgpr_dispatch_id 0
		.amdhsa_user_sgpr_kernarg_preload_length 0
		.amdhsa_user_sgpr_kernarg_preload_offset 0
		.amdhsa_user_sgpr_private_segment_size 0
		.amdhsa_uses_dynamic_stack 0
		.amdhsa_enable_private_segment 1
		.amdhsa_system_sgpr_workgroup_id_x 1
		.amdhsa_system_sgpr_workgroup_id_y 1
		.amdhsa_system_sgpr_workgroup_id_z 1
		.amdhsa_system_sgpr_workgroup_info 0
		.amdhsa_system_vgpr_workitem_id 0
		.amdhsa_next_free_vgpr 96
		.amdhsa_next_free_sgpr 42
		.amdhsa_accum_offset 96
		.amdhsa_reserve_vcc 1
		.amdhsa_float_round_mode_32 0
		.amdhsa_float_round_mode_16_64 0
		.amdhsa_float_denorm_mode_32 3
		.amdhsa_float_denorm_mode_16_64 3
		.amdhsa_dx10_clamp 1
		.amdhsa_ieee_mode 1
		.amdhsa_fp16_overflow 0
		.amdhsa_tg_split 0
		.amdhsa_exception_fp_ieee_invalid_op 0
		.amdhsa_exception_fp_denorm_src 0
		.amdhsa_exception_fp_ieee_div_zero 0
		.amdhsa_exception_fp_ieee_overflow 0
		.amdhsa_exception_fp_ieee_underflow 0
		.amdhsa_exception_fp_ieee_inexact 0
		.amdhsa_exception_int_div_zero 0
	.end_amdhsa_kernel
	.section	.text._Z39paged_attention_ll4mi_QKV_mfma16_kernelI14__hip_bfloat16S0_LN4vllm18Fp8KVCacheDataTypeE0EhLi32ELi128ELi256ELb1ELi1EEvPKT_PKT0_S8_ifPKiSA_SA_iPKfiiiPfSD_PS3_PT2_iSC_SC_,"axG",@progbits,_Z39paged_attention_ll4mi_QKV_mfma16_kernelI14__hip_bfloat16S0_LN4vllm18Fp8KVCacheDataTypeE0EhLi32ELi128ELi256ELb1ELi1EEvPKT_PKT0_S8_ifPKiSA_SA_iPKfiiiPfSD_PS3_PT2_iSC_SC_,comdat
.Lfunc_end704:
	.size	_Z39paged_attention_ll4mi_QKV_mfma16_kernelI14__hip_bfloat16S0_LN4vllm18Fp8KVCacheDataTypeE0EhLi32ELi128ELi256ELb1ELi1EEvPKT_PKT0_S8_ifPKiSA_SA_iPKfiiiPfSD_PS3_PT2_iSC_SC_, .Lfunc_end704-_Z39paged_attention_ll4mi_QKV_mfma16_kernelI14__hip_bfloat16S0_LN4vllm18Fp8KVCacheDataTypeE0EhLi32ELi128ELi256ELb1ELi1EEvPKT_PKT0_S8_ifPKiSA_SA_iPKfiiiPfSD_PS3_PT2_iSC_SC_
                                        ; -- End function
	.section	.AMDGPU.csdata,"",@progbits
; Kernel info:
; codeLenInByte = 5060
; NumSgprs: 48
; NumVgprs: 96
; NumAgprs: 0
; TotalNumVgprs: 96
; ScratchSize: 12
; MemoryBound: 0
; FloatMode: 240
; IeeeMode: 1
; LDSByteSize: 8192 bytes/workgroup (compile time only)
; SGPRBlocks: 5
; VGPRBlocks: 11
; NumSGPRsForWavesPerEU: 48
; NumVGPRsForWavesPerEU: 96
; AccumOffset: 96
; Occupancy: 5
; WaveLimiterHint : 1
; COMPUTE_PGM_RSRC2:SCRATCH_EN: 1
; COMPUTE_PGM_RSRC2:USER_SGPR: 2
; COMPUTE_PGM_RSRC2:TRAP_HANDLER: 0
; COMPUTE_PGM_RSRC2:TGID_X_EN: 1
; COMPUTE_PGM_RSRC2:TGID_Y_EN: 1
; COMPUTE_PGM_RSRC2:TGID_Z_EN: 1
; COMPUTE_PGM_RSRC2:TIDIG_COMP_CNT: 0
; COMPUTE_PGM_RSRC3_GFX90A:ACCUM_OFFSET: 23
; COMPUTE_PGM_RSRC3_GFX90A:TG_SPLIT: 0
	.section	.text._Z39paged_attention_ll4mi_QKV_mfma16_kernelI14__hip_bfloat16S0_LN4vllm18Fp8KVCacheDataTypeE0EhLi32ELi128ELi256ELb1ELi2EEvPKT_PKT0_S8_ifPKiSA_SA_iPKfiiiPfSD_PS3_PT2_iSC_SC_,"axG",@progbits,_Z39paged_attention_ll4mi_QKV_mfma16_kernelI14__hip_bfloat16S0_LN4vllm18Fp8KVCacheDataTypeE0EhLi32ELi128ELi256ELb1ELi2EEvPKT_PKT0_S8_ifPKiSA_SA_iPKfiiiPfSD_PS3_PT2_iSC_SC_,comdat
	.protected	_Z39paged_attention_ll4mi_QKV_mfma16_kernelI14__hip_bfloat16S0_LN4vllm18Fp8KVCacheDataTypeE0EhLi32ELi128ELi256ELb1ELi2EEvPKT_PKT0_S8_ifPKiSA_SA_iPKfiiiPfSD_PS3_PT2_iSC_SC_ ; -- Begin function _Z39paged_attention_ll4mi_QKV_mfma16_kernelI14__hip_bfloat16S0_LN4vllm18Fp8KVCacheDataTypeE0EhLi32ELi128ELi256ELb1ELi2EEvPKT_PKT0_S8_ifPKiSA_SA_iPKfiiiPfSD_PS3_PT2_iSC_SC_
	.globl	_Z39paged_attention_ll4mi_QKV_mfma16_kernelI14__hip_bfloat16S0_LN4vllm18Fp8KVCacheDataTypeE0EhLi32ELi128ELi256ELb1ELi2EEvPKT_PKT0_S8_ifPKiSA_SA_iPKfiiiPfSD_PS3_PT2_iSC_SC_
	.p2align	8
	.type	_Z39paged_attention_ll4mi_QKV_mfma16_kernelI14__hip_bfloat16S0_LN4vllm18Fp8KVCacheDataTypeE0EhLi32ELi128ELi256ELb1ELi2EEvPKT_PKT0_S8_ifPKiSA_SA_iPKfiiiPfSD_PS3_PT2_iSC_SC_,@function
_Z39paged_attention_ll4mi_QKV_mfma16_kernelI14__hip_bfloat16S0_LN4vllm18Fp8KVCacheDataTypeE0EhLi32ELi128ELi256ELb1ELi2EEvPKT_PKT0_S8_ifPKiSA_SA_iPKfiiiPfSD_PS3_PT2_iSC_SC_: ; @_Z39paged_attention_ll4mi_QKV_mfma16_kernelI14__hip_bfloat16S0_LN4vllm18Fp8KVCacheDataTypeE0EhLi32ELi128ELi256ELb1ELi2EEvPKT_PKT0_S8_ifPKiSA_SA_iPKfiiiPfSD_PS3_PT2_iSC_SC_
; %bb.0:
	s_load_dwordx2 s[8:9], s[0:1], 0x30
	s_mov_b32 s26, s3
	s_mov_b64 s[6:7], 0
	s_waitcnt lgkmcnt(0)
	s_cmp_lg_u64 s[8:9], 0
	s_cselect_b64 s[10:11], -1, 0
	s_and_b64 vcc, exec, s[10:11]
	s_cbranch_vccz .LBB705_7
; %bb.1:
	s_add_i32 s12, s2, 1
	s_mov_b32 s13, 0
	s_lshl_b64 s[14:15], s[12:13], 2
	s_add_u32 s14, s8, s14
	s_mov_b32 s3, s13
	s_addc_u32 s15, s9, s15
	s_lshl_b64 s[12:13], s[2:3], 2
	s_add_u32 s12, s8, s12
	s_addc_u32 s13, s9, s13
	s_load_dword s5, s[14:15], 0x0
	s_load_dword s16, s[12:13], 0x0
	s_waitcnt lgkmcnt(0)
	s_sub_i32 s5, s5, s16
	s_cmp_eq_u32 s5, 1
	s_cselect_b64 s[12:13], -1, 0
	s_andn2_b64 vcc, exec, s[6:7]
	s_cbranch_vccnz .LBB705_3
.LBB705_2:
	s_mov_b32 s3, 0
	s_mov_b64 s[12:13], -1
.LBB705_3:
	s_andn2_b64 vcc, exec, s[12:13]
	s_cbranch_vccnz .LBB705_21
; %bb.4:
	s_load_dwordx2 s[6:7], s[0:1], 0x28
	s_lshl_b64 s[12:13], s[2:3], 2
	s_waitcnt lgkmcnt(0)
	s_add_u32 s6, s6, s12
	s_addc_u32 s7, s7, s13
	s_load_dword s33, s[6:7], 0x0
	s_lshl_b32 s18, s26, 8
	s_waitcnt lgkmcnt(0)
	s_cmp_ge_i32 s18, s33
	s_cbranch_scc1 .LBB705_21
; %bb.5:
	s_load_dwordx2 s[6:7], s[0:1], 0x20
	s_load_dword s5, s[0:1], 0x38
	s_add_i32 s14, s33, 31
	s_ashr_i32 s15, s14, 31
	v_and_b32_e32 v1, 0xcf, v0
	s_lshr_b32 s15, s15, 27
	v_add_u32_e32 v1, s18, v1
	s_add_i32 s14, s14, s15
	v_ashrrev_i32_e32 v2, 31, v1
	s_ashr_i32 s19, s14, 5
	v_lshrrev_b32_e32 v4, 27, v2
	s_add_i32 s19, s19, -1
	s_waitcnt lgkmcnt(0)
	s_mul_i32 s14, s2, s5
	s_mov_b32 s15, 0
	v_add_u32_e32 v2, v1, v4
	s_lshl_b64 s[14:15], s[14:15], 2
	v_ashrrev_i32_e32 v2, 5, v2
	v_mov_b32_e32 v5, s19
	v_cmp_gt_i32_e32 vcc, s33, v1
	s_add_u32 s6, s6, s14
	s_addc_u32 s7, s7, s15
	v_cndmask_b32_e32 v2, v5, v2, vcc
	v_ashrrev_i32_e32 v3, 31, v2
	v_lshl_add_u64 v[6:7], v[2:3], 2, s[6:7]
	v_or_b32_e32 v2, 16, v1
	v_add_u32_e32 v3, v2, v4
	v_ashrrev_i32_e32 v3, 5, v3
	v_cmp_gt_i32_e32 vcc, s33, v2
	s_nop 1
	v_cndmask_b32_e32 v2, v5, v3, vcc
	v_ashrrev_i32_e32 v3, 31, v2
	v_lshl_add_u64 v[8:9], v[2:3], 2, s[6:7]
	v_or_b32_e32 v2, 32, v1
	v_add_u32_e32 v3, v2, v4
	v_ashrrev_i32_e32 v3, 5, v3
	v_cmp_gt_i32_e32 vcc, s33, v2
	v_or_b32_e32 v1, 48, v1
	s_nop 0
	v_cndmask_b32_e32 v2, v5, v3, vcc
	v_ashrrev_i32_e32 v3, 31, v2
	v_lshl_add_u64 v[10:11], v[2:3], 2, s[6:7]
	v_add_u32_e32 v2, v1, v4
	v_ashrrev_i32_e32 v2, 5, v2
	v_cmp_gt_i32_e32 vcc, s33, v1
	s_nop 1
	v_cndmask_b32_e32 v2, v5, v2, vcc
	v_ashrrev_i32_e32 v3, 31, v2
	v_lshl_add_u64 v[12:13], v[2:3], 2, s[6:7]
	global_load_dword v5, v[6:7], off
	global_load_dword v4, v[8:9], off
	;; [unrolled: 1-line block ×4, first 2 shown]
	s_andn2_b64 vcc, exec, s[10:11]
	s_cbranch_vccnz .LBB705_8
; %bb.6:
	s_add_u32 s8, s8, s12
	s_addc_u32 s9, s9, s13
	s_load_dword s5, s[8:9], 0x0
	s_branch .LBB705_9
.LBB705_7:
	s_mov_b64 s[12:13], 0
	s_branch .LBB705_2
.LBB705_8:
	s_mov_b32 s5, s2
.LBB705_9:
	s_load_dwordx2 s[14:15], s[0:1], 0x8
	s_load_dwordx4 s[8:11], s[0:1], 0x48
	v_lshrrev_b32_e32 v87, 6, v0
	v_bfe_u32 v1, v0, 4, 2
	v_lshl_or_b32 v6, v87, 2, v1
	v_and_b32_e32 v88, 15, v0
	v_lshlrev_b32_e32 v82, 3, v88
	v_cmp_lt_u32_e32 vcc, 1, v6
	s_and_saveexec_b64 s[12:13], vcc
	s_xor_b64 s[12:13], exec, s[12:13]
; %bb.10:
	v_mov_b32_e32 v83, 0
                                        ; implicit-def: $vgpr6
; %bb.11:
	s_or_saveexec_b64 s[16:17], s[12:13]
	s_load_dwordx2 s[12:13], s[0:1], 0x10
	s_lshl_b32 s27, s4, 1
	s_xor_b64 exec, exec, s[16:17]
	s_cbranch_execz .LBB705_13
; %bb.12:
	s_load_dwordx2 s[20:21], s[0:1], 0x0
	s_waitcnt lgkmcnt(0)
	s_ashr_i32 s11, s8, 31
	s_mul_hi_u32 s22, s5, s8
	s_mul_i32 s11, s5, s11
	s_add_i32 s23, s22, s11
	s_mul_i32 s22, s5, s8
	s_lshl_b64 s[22:23], s[22:23], 1
	s_add_u32 s20, s20, s22
	v_add_lshl_u32 v8, v1, s27, 7
	s_addc_u32 s21, s21, s23
	v_ashrrev_i32_e32 v9, 31, v8
	v_mov_b32_e32 v83, 0
	v_lshl_add_u64 v[8:9], v[8:9], 1, s[20:21]
	v_lshlrev_b32_e32 v10, 1, v82
	v_mov_b32_e32 v11, v83
	v_lshl_add_u64 v[8:9], v[8:9], 0, v[10:11]
	global_load_dwordx4 v[8:11], v[8:9], off
	v_and_b32_e32 v7, 3, v0
	v_lshlrev_b32_e32 v12, 9, v88
	v_lshlrev_b32_e32 v6, 5, v6
	;; [unrolled: 1-line block ×3, first 2 shown]
	v_and_b32_e32 v12, 0x1800, v12
	v_or3_b32 v6, v12, v7, v6
	s_waitcnt vmcnt(0)
	ds_write_b128 v6, v[8:11]
.LBB705_13:
	s_or_b64 exec, exec, s[16:17]
	s_waitcnt lgkmcnt(0)
	s_mul_i32 s4, s4, s10
	s_mov_b32 s5, 0
	s_lshl_b64 s[4:5], s[4:5], 1
	s_add_u32 s10, s14, s4
	s_addc_u32 s11, s15, s5
	s_waitcnt vmcnt(3)
	v_mad_i64_i32 v[6:7], s[14:15], v5, s9, 0
	v_lshl_add_u64 v[6:7], v[6:7], 1, s[10:11]
	v_lshlrev_b64 v[8:9], 1, v[82:83]
	v_lshlrev_b32_e32 v84, 9, v1
	v_lshl_add_u64 v[6:7], v[6:7], 0, v[8:9]
	v_mov_b32_e32 v85, 0
	v_lshl_add_u64 v[10:11], v[6:7], 0, v[84:85]
	v_or_b32_e32 v14, 0x1000, v84
	v_mov_b32_e32 v15, v85
	v_or_b32_e32 v16, 0x1800, v84
	v_mov_b32_e32 v17, v85
	s_barrier
	global_load_dwordx4 v[66:69], v[10:11], off
	global_load_dwordx4 v[62:65], v[10:11], off offset:2048
	v_lshl_add_u64 v[10:11], v[6:7], 0, v[14:15]
	v_lshl_add_u64 v[6:7], v[6:7], 0, v[16:17]
	global_load_dwordx4 v[78:81], v[10:11], off
	global_load_dwordx4 v[74:77], v[6:7], off
	s_waitcnt vmcnt(6)
	v_mad_i64_i32 v[4:5], s[14:15], v4, s9, 0
	v_mov_b32_e32 v6, 0x100
	v_lshl_add_u64 v[4:5], v[4:5], 1, s[10:11]
	v_lshl_or_b32 v6, v88, 4, v6
	v_mov_b32_e32 v7, v85
	v_lshl_add_u64 v[4:5], v[4:5], 0, v[6:7]
	v_lshl_add_u64 v[10:11], v[4:5], 0, v[84:85]
	global_load_dwordx4 v[70:73], v[10:11], off
	global_load_dwordx4 v[58:61], v[10:11], off offset:2048
	v_lshl_add_u64 v[10:11], v[4:5], 0, v[14:15]
	v_lshl_add_u64 v[4:5], v[4:5], 0, v[16:17]
	global_load_dwordx4 v[54:57], v[10:11], off
	global_load_dwordx4 v[30:33], v[4:5], off
	s_waitcnt vmcnt(9)
	v_mad_i64_i32 v[4:5], s[14:15], v3, s9, 0
	v_lshl_add_u64 v[4:5], v[4:5], 1, s[10:11]
	s_waitcnt vmcnt(8)
	v_mad_i64_i32 v[2:3], s[14:15], v2, s9, 0
	v_lshl_add_u64 v[4:5], v[4:5], 0, v[8:9]
	v_lshl_add_u64 v[2:3], v[2:3], 1, s[10:11]
	;; [unrolled: 1-line block ×4, first 2 shown]
	global_load_dwordx4 v[26:29], v[8:9], off
	global_load_dwordx4 v[22:25], v[8:9], off offset:2048
	v_lshl_add_u64 v[8:9], v[4:5], 0, v[14:15]
	v_lshl_add_u64 v[4:5], v[4:5], 0, v[16:17]
	;; [unrolled: 1-line block ×4, first 2 shown]
	global_load_dwordx4 v[18:21], v[8:9], off
	global_load_dwordx4 v[10:13], v[4:5], off
	s_nop 0
	global_load_dwordx4 v[6:9], v[2:3], off
	s_nop 0
	global_load_dwordx4 v[2:5], v[2:3], off offset:2048
	v_lshl_add_u64 v[16:17], v[34:35], 0, v[16:17]
	global_load_dwordx4 v[42:45], v[14:15], off
	global_load_dwordx4 v[34:37], v[16:17], off
	v_and_b32_e32 v14, 1, v0
	v_lshl_or_b32 v38, v14, 5, v84
	ds_read_b128 v[14:17], v38
	ds_read_b128 v[50:53], v38 offset:2048
	ds_read_b128 v[46:49], v38 offset:4096
	;; [unrolled: 1-line block ×3, first 2 shown]
	v_cmp_gt_u32_e32 vcc, 2, v88
	v_mov_b32_e32 v89, 0
	s_and_saveexec_b64 s[10:11], vcc
	s_cbranch_execz .LBB705_15
; %bb.14:
	s_load_dwordx2 s[14:15], s[0:1], 0x40
	v_or_b32_e32 v90, s27, v88
	v_ashrrev_i32_e32 v91, 31, v90
	s_waitcnt lgkmcnt(0)
	v_lshl_add_u64 v[90:91], v[90:91], 2, s[14:15]
	global_load_dword v89, v[90:91], off
.LBB705_15:
	s_or_b64 exec, exec, s[10:11]
	s_waitcnt vmcnt(15) lgkmcnt(3)
	v_mfma_f32_16x16x16_bf16 v[90:93], v[66:67], v[14:15], 0
	s_ashr_i32 s8, s18, 31
	s_lshr_b32 s8, s8, 27
	s_add_u32 s4, s12, s4
	v_mfma_f32_16x16x16_bf16 v[66:69], v[68:69], v[16:17], v[90:93]
	s_addc_u32 s5, s13, s5
	s_mov_b32 s40, 0xff7fffff
	s_waitcnt vmcnt(14) lgkmcnt(2)
	v_mfma_f32_16x16x16_bf16 v[66:69], v[62:63], v[50:51], v[66:69]
	v_lshl_or_b32 v90, v87, 4, v88
	v_mfma_f32_16x16x16_bf16 v[62:65], v[64:65], v[52:53], v[66:69]
	s_waitcnt vmcnt(13) lgkmcnt(1)
	v_mfma_f32_16x16x16_bf16 v[62:65], v[78:79], v[46:47], v[62:65]
	v_mfma_f32_16x16x16_bf16 v[62:65], v[80:81], v[48:49], v[62:65]
	s_waitcnt vmcnt(12) lgkmcnt(0)
	v_mfma_f32_16x16x16_bf16 v[62:65], v[74:75], v[38:39], v[62:65]
	v_and_or_b32 v74, v0, 48, s18
	v_add_u32_e32 v66, s8, v74
	v_ashrrev_i32_e32 v75, 5, v66
	s_waitcnt vmcnt(11)
	v_mfma_f32_16x16x16_bf16 v[66:69], v[70:71], v[14:15], 0
	v_cmp_gt_i32_e32 vcc, s33, v74
	v_mfma_f32_16x16x16_bf16 v[66:69], v[72:73], v[16:17], v[66:69]
	v_or_b32_e32 v72, 64, v74
	v_add_u32_e32 v73, s8, v72
	s_waitcnt vmcnt(10)
	v_mfma_f32_16x16x16_bf16 v[66:69], v[58:59], v[50:51], v[66:69]
	v_ashrrev_i32_e32 v58, 5, v73
	v_mfma_f32_16x16x16_bf16 v[62:65], v[76:77], v[40:41], v[62:65]
	v_mov_b32_e32 v76, s19
	v_cndmask_b32_e32 v70, v76, v75, vcc
	v_cmp_gt_i32_e32 vcc, s33, v72
	v_ashrrev_i32_e32 v71, 31, v70
	v_lshl_add_u64 v[70:71], v[70:71], 2, s[6:7]
	v_cndmask_b32_e32 v72, v76, v58, vcc
	v_mfma_f32_16x16x16_bf16 v[58:61], v[60:61], v[52:53], v[66:69]
	v_ashrrev_i32_e32 v73, 31, v72
	s_waitcnt vmcnt(9)
	v_mfma_f32_16x16x16_bf16 v[58:61], v[54:55], v[46:47], v[58:61]
	v_lshl_add_u64 v[66:67], v[72:73], 2, s[6:7]
	global_load_dword v68, v[70:71], off
	s_nop 0
	global_load_dword v66, v[66:67], off
	v_or_b32_e32 v67, 0x80, v74
	v_add_u32_e32 v69, s8, v67
	v_mfma_f32_16x16x16_bf16 v[54:57], v[56:57], v[48:49], v[58:61]
	v_cmp_gt_i32_e32 vcc, s33, v67
	s_nop 1
	v_ashrrev_i32_e32 v58, 5, v69
	v_cndmask_b32_e32 v58, v76, v58, vcc
	v_ashrrev_i32_e32 v59, 31, v58
	s_waitcnt vmcnt(10)
	v_mfma_f32_16x16x16_bf16 v[54:57], v[30:31], v[38:39], v[54:57]
	v_lshl_add_u64 v[30:31], v[58:59], 2, s[6:7]
	global_load_dword v70, v[30:31], off
	v_mfma_f32_16x16x16_bf16 v[58:61], v[32:33], v[40:41], v[54:57]
	s_nop 3
	v_or_b32_e32 v54, 0xc0, v74
	v_add_u32_e32 v30, s8, v54
	v_ashrrev_i32_e32 v55, 5, v30
	v_cmp_gt_i32_e32 vcc, s33, v54
	s_waitcnt vmcnt(10)
	v_mfma_f32_16x16x16_bf16 v[30:33], v[26:27], v[14:15], 0
	v_cndmask_b32_e32 v26, v76, v55, vcc
	v_ashrrev_i32_e32 v27, 31, v26
	v_lshl_add_u64 v[54:55], v[26:27], 2, s[6:7]
	global_load_dword v71, v[54:55], off
	v_mfma_f32_16x16x16_bf16 v[26:29], v[28:29], v[16:17], v[30:33]
	s_load_dword s6, s[0:1], 0x1c
	s_waitcnt vmcnt(10)
	v_mfma_f32_16x16x16_bf16 v[26:29], v[22:23], v[50:51], v[26:29]
	v_and_b32_e32 v30, 16, v0
	v_lshlrev_b32_e32 v84, 1, v30
	v_lshl_add_u64 v[74:75], s[4:5], 0, v[84:85]
	v_mfma_f32_16x16x16_bf16 v[22:25], v[24:25], v[52:53], v[26:29]
	v_lshlrev_b32_e32 v84, 6, v90
	v_lshl_add_u64 v[76:77], v[74:75], 0, v[84:85]
	v_or_b32_e32 v84, 0x1000, v84
	s_waitcnt vmcnt(9)
	v_mfma_f32_16x16x16_bf16 v[22:25], v[18:19], v[46:47], v[22:25]
	v_lshl_add_u64 v[80:81], v[74:75], 0, v[84:85]
	s_waitcnt lgkmcnt(0)
	v_pk_mul_f32 v[74:75], s[6:7], v[60:61] op_sel_hi:[0,1]
	v_mfma_f32_16x16x16_bf16 v[18:21], v[20:21], v[48:49], v[22:25]
	s_waitcnt vmcnt(8)
	v_mfma_f32_16x16x16_bf16 v[18:21], v[10:11], v[38:39], v[18:21]
	s_waitcnt vmcnt(3)
	v_mad_i64_i32 v[22:23], s[4:5], v68, s9, 0
	s_waitcnt vmcnt(2)
	v_mad_i64_i32 v[10:11], s[4:5], v66, s9, 0
	v_lshlrev_b64 v[78:79], 1, v[22:23]
	v_lshlrev_b64 v[54:55], 1, v[10:11]
	v_lshl_add_u64 v[22:23], v[76:77], 0, v[78:79]
	v_lshl_add_u64 v[10:11], v[76:77], 0, v[54:55]
	global_load_dwordx4 v[30:33], v[22:23], off
	global_load_dwordx4 v[26:29], v[22:23], off offset:16
	v_mfma_f32_16x16x16_bf16 v[66:69], v[12:13], v[40:41], v[18:21]
	global_load_dwordx4 v[22:25], v[10:11], off
	s_nop 1
	global_load_dwordx4 v[18:21], v[10:11], off offset:16
	v_mfma_f32_16x16x16_bf16 v[10:13], v[6:7], v[14:15], 0
	s_waitcnt vmcnt(5)
	v_mad_i64_i32 v[6:7], s[4:5], v70, s9, 0
	v_lshlrev_b64 v[56:57], 1, v[6:7]
	v_mfma_f32_16x16x16_bf16 v[6:9], v[8:9], v[16:17], v[10:13]
	v_mfma_f32_16x16x16_bf16 v[6:9], v[2:3], v[50:51], v[6:9]
	s_nop 1
	v_lshl_add_u64 v[10:11], v[76:77], 0, v[56:57]
	global_load_dwordx4 v[14:17], v[10:11], off
	s_nop 0
	global_load_dwordx4 v[10:13], v[10:11], off offset:16
	s_waitcnt vmcnt(6)
	v_mad_i64_i32 v[2:3], s[4:5], v71, s9, 0
	v_mfma_f32_16x16x16_bf16 v[70:73], v[4:5], v[52:53], v[6:9]
	v_pk_mul_f32 v[52:53], s[6:7], v[62:63] op_sel_hi:[0,1]
	v_lshlrev_b64 v[50:51], 1, v[2:3]
	v_lshl_add_u64 v[2:3], v[76:77], 0, v[50:51]
	v_mfma_f32_16x16x16_bf16 v[70:73], v[42:43], v[46:47], v[70:73]
	v_lshl_add_u64 v[42:43], v[80:81], 0, v[78:79]
	v_pk_mul_f32 v[78:79], s[6:7], v[64:65] op_sel_hi:[0,1]
	v_pk_mul_f32 v[76:77], s[6:7], v[58:59] op_sel_hi:[0,1]
	v_mfma_f32_16x16x16_bf16 v[44:47], v[44:45], v[48:49], v[70:73]
	v_lshl_add_u64 v[50:51], v[80:81], 0, v[50:51]
	global_load_dwordx4 v[6:9], v[2:3], off
	s_nop 0
	global_load_dwordx4 v[2:5], v[2:3], off offset:16
	v_pk_mul_f32 v[70:71], s[6:7], v[68:69] op_sel_hi:[0,1]
	v_mfma_f32_16x16x16_bf16 v[44:47], v[34:35], v[38:39], v[44:47]
	v_pk_mul_f32 v[72:73], s[6:7], v[66:67] op_sel_hi:[0,1]
	v_mfma_f32_16x16x16_bf16 v[34:37], v[36:37], v[40:41], v[44:47]
	s_nop 6
	v_pk_mul_f32 v[68:69], s[6:7], v[34:35] op_sel_hi:[0,1]
	v_and_b32_e32 v34, 0xc0, v0
	v_add_u32_e32 v34, s18, v34
	v_lshl_or_b32 v34, v1, 2, v34
	v_or_b32_e32 v35, 1, v34
	v_pk_mul_f32 v[66:67], s[6:7], v[36:37] op_sel_hi:[0,1]
	v_subrev_u32_e32 v36, s33, v35
	v_add_u32_e32 v38, 1, v36
	v_add_u32_e32 v39, 2, v36
	v_cvt_f32_i32_e32 v37, v36
	v_cvt_f32_i32_e32 v38, v38
	;; [unrolled: 1-line block ×3, first 2 shown]
	v_add_u32_e32 v40, 3, v36
	v_fma_f32 v52, v89, v37, v52
	v_fmac_f32_e32 v53, v89, v38
	v_fma_f32 v78, v89, v39, v78
	v_add_u32_e32 v37, 16, v36
	v_add_u32_e32 v38, 17, v36
	v_add_u32_e32 v39, 18, v36
	v_cvt_f32_i32_e32 v40, v40
	v_cvt_f32_i32_e32 v37, v37
	;; [unrolled: 1-line block ×4, first 2 shown]
	v_fmac_f32_e32 v79, v89, v40
	v_add_u32_e32 v40, 19, v36
	v_fma_f32 v76, v89, v37, v76
	v_fmac_f32_e32 v77, v89, v38
	v_fma_f32 v74, v89, v39, v74
	v_add_u32_e32 v37, 32, v36
	v_add_u32_e32 v38, 33, v36
	;; [unrolled: 1-line block ×3, first 2 shown]
	v_cvt_f32_i32_e32 v40, v40
	v_cvt_f32_i32_e32 v37, v37
	;; [unrolled: 1-line block ×4, first 2 shown]
	v_fmac_f32_e32 v75, v89, v40
	v_add_u32_e32 v40, 35, v36
	v_fma_f32 v72, v89, v37, v72
	v_fmac_f32_e32 v73, v89, v38
	v_fma_f32 v70, v89, v39, v70
	v_add_u32_e32 v37, 48, v36
	v_add_u32_e32 v38, 49, v36
	;; [unrolled: 1-line block ×4, first 2 shown]
	v_cvt_f32_i32_e32 v36, v36
	v_cvt_f32_i32_e32 v37, v37
	;; [unrolled: 1-line block ×3, first 2 shown]
	v_cmp_gt_i32_e64 s[28:29], s33, v34
	v_fmac_f32_e32 v67, v89, v36
	v_mov_b32_e32 v36, 0xff7fffff
	v_cmp_gt_i32_e64 s[30:31], s33, v35
	v_fma_f32 v68, v89, v37, v68
	v_cndmask_b32_e64 v37, v36, v52, s[28:29]
	v_cndmask_b32_e64 v35, v36, v53, s[30:31]
	v_fmac_f32_e32 v69, v89, v38
	v_max3_f32 v35, v37, s40, v35
	v_or_b32_e32 v37, 2, v34
	v_or_b32_e32 v38, 3, v34
	v_cmp_gt_i32_e64 s[34:35], s33, v37
	v_cmp_gt_i32_e64 s[36:37], s33, v38
	v_cvt_f32_i32_e32 v40, v40
	v_cndmask_b32_e64 v37, v36, v78, s[34:35]
	v_cndmask_b32_e64 v38, v36, v79, s[36:37]
	v_max3_f32 v35, v35, v37, v38
	v_or_b32_e32 v37, 16, v34
	v_or_b32_e32 v38, 17, v34
	v_cmp_gt_i32_e64 s[22:23], s33, v37
	v_cmp_gt_i32_e64 s[24:25], s33, v38
	v_fmac_f32_e32 v71, v89, v40
	v_cndmask_b32_e64 v37, v36, v76, s[22:23]
	v_cndmask_b32_e64 v38, v36, v77, s[24:25]
	v_max3_f32 v35, v35, v37, v38
	v_or_b32_e32 v37, 18, v34
	v_or_b32_e32 v38, 19, v34
	v_cmp_gt_i32_e64 s[18:19], s33, v37
	v_cmp_gt_i32_e64 s[20:21], s33, v38
	v_cvt_f32_i32_e32 v39, v39
	v_cndmask_b32_e64 v37, v36, v74, s[18:19]
	v_cndmask_b32_e64 v38, v36, v75, s[20:21]
	v_max3_f32 v35, v35, v37, v38
	v_or_b32_e32 v37, 32, v34
	v_or_b32_e32 v38, 33, v34
	v_cmp_gt_i32_e64 s[14:15], s33, v37
	v_cmp_gt_i32_e64 s[16:17], s33, v38
	v_fma_f32 v66, v89, v39, v66
	v_cndmask_b32_e64 v37, v36, v72, s[14:15]
	v_cndmask_b32_e64 v38, v36, v73, s[16:17]
	v_max3_f32 v35, v35, v37, v38
	v_or_b32_e32 v37, 34, v34
	v_or_b32_e32 v38, 35, v34
	v_cmp_gt_i32_e64 s[10:11], s33, v37
	v_cmp_gt_i32_e64 s[12:13], s33, v38
	v_and_b32_e32 v1, 63, v0
	v_cndmask_b32_e64 v37, v36, v70, s[10:11]
	v_cndmask_b32_e64 v38, v36, v71, s[12:13]
	v_max3_f32 v35, v35, v37, v38
	v_or_b32_e32 v37, 48, v34
	v_or_b32_e32 v38, 49, v34
	v_cmp_gt_i32_e64 s[6:7], s33, v37
	v_cmp_gt_i32_e64 s[8:9], s33, v38
	s_nop 0
	v_cndmask_b32_e64 v37, v36, v68, s[6:7]
	v_cndmask_b32_e64 v38, v36, v69, s[8:9]
	v_max3_f32 v35, v35, v37, v38
	v_or_b32_e32 v37, 50, v34
	v_or_b32_e32 v34, 51, v34
	v_cmp_gt_i32_e32 vcc, s33, v37
	v_cmp_gt_i32_e64 s[4:5], s33, v34
	global_load_dwordx4 v[46:49], v[42:43], off
	global_load_dwordx4 v[38:41], v[42:43], off offset:16
	v_cndmask_b32_e32 v37, v36, v66, vcc
	v_cndmask_b32_e64 v34, v36, v67, s[4:5]
	v_max3_f32 v58, v35, v37, v34
	v_mbcnt_lo_u32_b32 v34, -1, 0
	v_mbcnt_hi_u32_b32 v59, -1, v34
	v_and_b32_e32 v34, 64, v59
	v_add_u32_e32 v60, 64, v34
	v_xor_b32_e32 v34, 32, v59
	v_cmp_lt_i32_e64 s[38:39], v34, v60
	s_nop 1
	v_cndmask_b32_e64 v34, v59, v34, s[38:39]
	v_lshlrev_b32_e32 v85, 2, v34
	ds_bpermute_b32 v61, v85, v58
	v_lshl_add_u64 v[34:35], v[80:81], 0, v[54:55]
	global_load_dwordx4 v[42:45], v[34:35], off
	s_nop 0
	global_load_dwordx4 v[34:37], v[34:35], off offset:16
	s_waitcnt lgkmcnt(0)
	v_max_f32_e32 v54, v61, v61
	v_max_f32_e32 v62, v58, v54
	v_xor_b32_e32 v54, 16, v59
	v_cmp_lt_i32_e64 s[38:39], v54, v60
	s_nop 1
	v_cndmask_b32_e64 v54, v59, v54, s[38:39]
	v_lshlrev_b32_e32 v89, 2, v54
	ds_bpermute_b32 v63, v89, v62
	v_lshl_add_u64 v[54:55], v[80:81], 0, v[56:57]
	global_load_dwordx4 v[58:61], v[54:55], off
	s_nop 0
	global_load_dwordx4 v[54:57], v[54:55], off offset:16
	s_waitcnt lgkmcnt(0)
	v_max_f32_e32 v63, v63, v63
	v_max_f32_e32 v84, v62, v63
	v_sub_f32_e32 v52, v52, v84
	v_mul_f32_e32 v52, 0x3fb8aa3b, v52
	v_exp_f32_e32 v80, v52
	v_sub_f32_e32 v52, v53, v84
	v_mul_f32_e32 v52, 0x3fb8aa3b, v52
	v_exp_f32_e32 v81, v52
	global_load_dwordx4 v[62:65], v[50:51], off
	s_nop 0
	global_load_dwordx4 v[50:53], v[50:51], off offset:16
	v_sub_f32_e32 v78, v78, v84
	v_mul_f32_e32 v78, 0x3fb8aa3b, v78
	v_sub_f32_e32 v79, v79, v84
	v_exp_f32_e32 v78, v78
	v_mul_f32_e32 v79, 0x3fb8aa3b, v79
	v_sub_f32_e32 v76, v76, v84
	v_exp_f32_e32 v79, v79
	v_mul_f32_e32 v76, 0x3fb8aa3b, v76
	v_sub_f32_e32 v77, v77, v84
	v_cndmask_b32_e64 v80, 0, v80, s[28:29]
	v_exp_f32_e32 v76, v76
	v_mul_f32_e32 v77, 0x3fb8aa3b, v77
	v_sub_f32_e32 v74, v74, v84
	v_add_f32_e32 v91, 0, v80
	v_cndmask_b32_e64 v81, 0, v81, s[30:31]
	v_exp_f32_e32 v77, v77
	v_mul_f32_e32 v74, 0x3fb8aa3b, v74
	v_sub_f32_e32 v75, v75, v84
	v_add_f32_e32 v91, v91, v81
	;; [unrolled: 5-line block ×10, first 2 shown]
	v_cndmask_b32_e64 v70, 0, v70, s[10:11]
	v_exp_f32_e32 v66, v66
	v_mul_f32_e32 v67, 0x3fb8aa3b, v67
	v_add_f32_e32 v91, v91, v70
	v_cndmask_b32_e64 v71, 0, v71, s[12:13]
	v_exp_f32_e32 v67, v67
	v_add_f32_e32 v91, v91, v71
	v_cndmask_b32_e64 v68, 0, v68, s[6:7]
	v_add_f32_e32 v91, v91, v68
	v_cndmask_b32_e64 v69, 0, v69, s[8:9]
	v_add_f32_e32 v91, v91, v69
	v_cndmask_b32_e32 v66, 0, v66, vcc
	v_add_f32_e32 v91, v91, v66
	v_cndmask_b32_e64 v67, 0, v67, s[4:5]
	v_add_f32_e32 v91, v91, v67
	ds_bpermute_b32 v85, v85, v91
	s_load_dword s7, s[0:1], 0x98
	v_cmp_gt_u32_e32 vcc, 16, v1
	s_waitcnt lgkmcnt(0)
	s_barrier
	v_add_f32_e32 v85, v91, v85
	ds_bpermute_b32 v89, v89, v85
	s_waitcnt lgkmcnt(0)
	s_and_saveexec_b64 s[4:5], vcc
	s_cbranch_execz .LBB705_17
; %bb.16:
	v_add_f32_e32 v85, v85, v89
	v_lshlrev_b32_e32 v89, 2, v90
	ds_write2st64_b32 v89, v84, v85 offset1:1
.LBB705_17:
	s_or_b64 exec, exec, s[4:5]
	v_lshlrev_b32_e32 v85, 2, v88
	s_load_dword s6, s[0:1], 0x94
	s_waitcnt lgkmcnt(0)
	s_barrier
	ds_read2_b32 v[90:91], v85 offset1:16
	ds_read2_b32 v[92:93], v85 offset0:32 offset1:48
	ds_read2_b32 v[94:95], v85 offset0:64 offset1:80
	s_movk_i32 s8, 0x7fff
	s_mov_b32 s9, 0x7060302
	s_waitcnt lgkmcnt(2)
	v_max3_f32 v84, v90, s40, v91
	s_waitcnt lgkmcnt(1)
	v_max3_f32 v84, v84, v92, v93
	v_sub_f32_e32 v89, v90, v84
	v_sub_f32_e32 v90, v91, v84
	v_mul_f32_e32 v90, 0x3fb8aa3b, v90
	v_mul_f32_e32 v89, 0x3fb8aa3b, v89
	v_exp_f32_e32 v87, v90
	v_sub_f32_e32 v90, v92, v84
	v_exp_f32_e32 v89, v89
	v_mul_f32_e32 v90, 0x3fb8aa3b, v90
	v_exp_f32_e32 v92, v90
	ds_read2_b32 v[90:91], v85 offset0:96 offset1:112
	v_sub_f32_e32 v85, v93, v84
	v_mul_f32_e32 v85, 0x3fb8aa3b, v85
	v_exp_f32_e32 v93, v85
	s_waitcnt lgkmcnt(1)
	v_fma_f32 v85, v89, v94, 0
	v_fmac_f32_e32 v85, v87, v95
	s_waitcnt lgkmcnt(0)
	v_fmac_f32_e32 v85, v92, v90
	v_fmac_f32_e32 v85, v93, v91
	v_add_f32_e32 v90, 0x358637bd, v85
	v_div_scale_f32 v91, s[4:5], v90, v90, 1.0
	v_rcp_f32_e32 v94, v91
	s_lshl_b32 s7, s7, 1
	s_barrier
	v_fma_f32 v95, -v91, v94, 1.0
	v_fmac_f32_e32 v94, v95, v94
	v_div_scale_f32 v95, vcc, 1.0, v90, 1.0
	v_mul_f32_e32 v1, v95, v94
	v_fma_f32 v86, -v91, v1, v95
	v_fmac_f32_e32 v1, v86, v94
	v_fma_f32 v86, -v91, v1, v95
	v_mov_b32_e32 v91, v88
	v_lshrrev_b32_e32 v88, 6, v0
	v_div_fmas_f32 v1, v86, v94, v1
	v_cmp_eq_u32_e32 vcc, 1, v88
	v_div_fixup_f32 v1, v1, v90, 1.0
	s_nop 0
	v_cndmask_b32_e32 v86, v89, v87, vcc
	v_cmp_eq_u32_e32 vcc, 2, v88
	v_bfe_u32 v87, v0, 4, 2
	s_nop 0
	v_cndmask_b32_e32 v86, v86, v92, vcc
	v_cmp_eq_u32_e32 vcc, 3, v88
	s_nop 1
	v_cndmask_b32_e32 v86, v86, v93, vcc
	v_mul_f32_e32 v90, v86, v1
	v_pk_mul_f32 v[80:81], v[90:91], v[80:81] op_sel_hi:[0,1]
	v_bfe_u32 v1, v81, 16, 1
	v_bfe_u32 v86, v80, 16, 1
	v_pk_mul_f32 v[78:79], v[90:91], v[78:79] op_sel_hi:[0,1]
	v_add3_u32 v80, v80, v86, s8
	v_add3_u32 v1, v81, v1, s8
	v_perm_b32 v80, v1, v80, s9
	v_bfe_u32 v1, v79, 16, 1
	v_bfe_u32 v81, v78, 16, 1
	v_add3_u32 v78, v78, v81, s8
	v_add3_u32 v1, v79, v1, s8
	v_perm_b32 v81, v1, v78, s9
	v_lshlrev_b32_e32 v1, 3, v87
	v_lshlrev_b32_e32 v79, 5, v91
	;; [unrolled: 1-line block ×3, first 2 shown]
	v_pk_mul_f32 v[76:77], v[90:91], v[76:77] op_sel_hi:[0,1]
	v_or3_b32 v78, v78, v79, v1
	v_bfe_u32 v1, v77, 16, 1
	v_bfe_u32 v86, v76, 16, 1
	v_pk_mul_f32 v[74:75], v[90:91], v[74:75] op_sel_hi:[0,1]
	v_add3_u32 v76, v76, v86, s8
	v_add3_u32 v1, v77, v1, s8
	v_perm_b32 v76, v1, v76, s9
	v_bfe_u32 v1, v75, 16, 1
	v_bfe_u32 v77, v74, 16, 1
	v_add3_u32 v74, v74, v77, s8
	v_add3_u32 v1, v75, v1, s8
	v_pk_mul_f32 v[72:73], v[90:91], v[72:73] op_sel_hi:[0,1]
	v_perm_b32 v77, v1, v74, s9
	v_bfe_u32 v1, v73, 16, 1
	v_bfe_u32 v74, v72, 16, 1
	v_pk_mul_f32 v[70:71], v[90:91], v[70:71] op_sel_hi:[0,1]
	v_add3_u32 v72, v72, v74, s8
	v_add3_u32 v1, v73, v1, s8
	v_perm_b32 v72, v1, v72, s9
	v_bfe_u32 v1, v71, 16, 1
	v_bfe_u32 v73, v70, 16, 1
	v_add3_u32 v70, v70, v73, s8
	v_add3_u32 v1, v71, v1, s8
	v_pk_mul_f32 v[68:69], v[90:91], v[68:69] op_sel_hi:[0,1]
	v_perm_b32 v73, v1, v70, s9
	v_bfe_u32 v1, v69, 16, 1
	v_bfe_u32 v70, v68, 16, 1
	v_pk_mul_f32 v[66:67], v[90:91], v[66:67] op_sel_hi:[0,1]
	v_add3_u32 v68, v68, v70, s8
	v_add3_u32 v1, v69, v1, s8
	v_perm_b32 v68, v1, v68, s9
	v_bfe_u32 v1, v67, 16, 1
	v_bfe_u32 v69, v66, 16, 1
	v_add3_u32 v66, v66, v69, s8
	v_add3_u32 v1, v67, v1, s8
	v_perm_b32 v69, v1, v66, s9
	v_cmp_gt_u32_e32 vcc, 2, v0
	ds_write2st64_b64 v78, v[80:81], v[76:77] offset1:1
	ds_write2st64_b64 v78, v[72:73], v[68:69] offset0:2 offset1:3
	s_and_saveexec_b64 s[4:5], vcc
	s_cbranch_execz .LBB705_19
; %bb.18:
	v_or_b32_e32 v66, s27, v0
	v_mov_b32_e32 v67, 0
	v_mov_b32_e32 v1, s7
	v_mad_u64_u32 v[68:69], s[10:11], s2, v1, v[66:67]
	v_mov_b32_e32 v66, s26
	s_load_dwordx4 s[12:15], s[0:1], 0x58
	s_mul_i32 s3, s3, s7
	v_mad_u64_u32 v[66:67], s[10:11], v68, s6, v[66:67]
	v_add_u32_e32 v1, s3, v69
	v_mov_b32_e32 v68, v67
	v_mad_u64_u32 v[68:69], s[10:11], v1, s6, v[68:69]
	v_mov_b32_e32 v67, v68
	v_lshlrev_b64 v[66:67], 2, v[66:67]
	s_waitcnt lgkmcnt(0)
	v_lshl_add_u64 v[68:69], s[14:15], 0, v[66:67]
	v_lshl_add_u64 v[66:67], s[12:13], 0, v[66:67]
	global_store_dword v[68:69], v84, off
	global_store_dword v[66:67], v85, off
.LBB705_19:
	s_or_b64 exec, exec, s[4:5]
	v_lshl_or_b32 v1, v87, 9, v79
	s_waitcnt lgkmcnt(0)
	s_barrier
	ds_read_b128 v[70:73], v1
	ds_read_b128 v[66:69], v1 offset:16
	s_waitcnt vmcnt(15) lgkmcnt(1)
	v_mfma_f32_16x16x16_bf16 v[74:77], v[30:31], v[70:71], 0
	v_cmp_gt_u32_e32 vcc, 64, v0
	s_mov_b32 s3, 0
	v_mfma_f32_16x16x16_bf16 v[30:33], v[32:33], v[72:73], v[74:77]
	s_waitcnt vmcnt(14) lgkmcnt(0)
	v_mfma_f32_16x16x16_bf16 v[30:33], v[26:27], v[66:67], v[30:33]
	v_mfma_f32_16x16x16_bf16 v[26:29], v[28:29], v[68:69], v[30:33]
	s_nop 5
	ds_read_b128 v[30:33], v1 offset:2048
	ds_read_b128 v[74:77], v1 offset:2064
	s_waitcnt vmcnt(13) lgkmcnt(1)
	v_mfma_f32_16x16x16_bf16 v[26:29], v[22:23], v[30:31], v[26:29]
	v_mfma_f32_16x16x16_bf16 v[22:25], v[24:25], v[32:33], v[26:29]
	s_waitcnt vmcnt(12) lgkmcnt(0)
	v_mfma_f32_16x16x16_bf16 v[22:25], v[18:19], v[74:75], v[22:25]
	v_mfma_f32_16x16x16_bf16 v[18:21], v[20:21], v[76:77], v[22:25]
	s_nop 5
	ds_read_b128 v[22:25], v1 offset:4096
	ds_read_b128 v[26:29], v1 offset:4112
	s_waitcnt vmcnt(11) lgkmcnt(1)
	v_mfma_f32_16x16x16_bf16 v[18:21], v[14:15], v[22:23], v[18:21]
	v_mfma_f32_16x16x16_bf16 v[14:17], v[16:17], v[24:25], v[18:21]
	s_waitcnt vmcnt(10) lgkmcnt(0)
	v_mfma_f32_16x16x16_bf16 v[14:17], v[10:11], v[26:27], v[14:17]
	v_mfma_f32_16x16x16_bf16 v[10:13], v[12:13], v[28:29], v[14:17]
	s_nop 5
	ds_read_b128 v[14:17], v1 offset:6144
	ds_read_b128 v[18:21], v1 offset:6160
	s_waitcnt lgkmcnt(0)
	s_barrier
	s_waitcnt vmcnt(9)
	v_mfma_f32_16x16x16_bf16 v[10:13], v[6:7], v[14:15], v[10:13]
	v_mfma_f32_16x16x16_bf16 v[6:9], v[8:9], v[16:17], v[10:13]
	s_waitcnt vmcnt(8)
	v_mfma_f32_16x16x16_bf16 v[6:9], v[2:3], v[18:19], v[6:9]
	v_mfma_f32_16x16x16_bf16 v[2:5], v[4:5], v[20:21], v[6:9]
	;; [unrolled: 3-line block ×3, first 2 shown]
	s_nop 3
	v_bfe_u32 v1, v3, 16, 1
	v_bfe_u32 v10, v2, 16, 1
	v_add3_u32 v2, v2, v10, s8
	s_waitcnt vmcnt(6)
	v_mfma_f32_16x16x16_bf16 v[6:9], v[38:39], v[66:67], v[6:9]
	v_add3_u32 v1, v3, v1, s8
	v_perm_b32 v10, v1, v2, s9
	v_bfe_u32 v1, v5, 16, 1
	v_mfma_f32_16x16x16_bf16 v[6:9], v[40:41], v[68:69], v[6:9]
	v_bfe_u32 v2, v4, 16, 1
	v_add3_u32 v2, v4, v2, s8
	v_add3_u32 v1, v5, v1, s8
	s_waitcnt vmcnt(5)
	v_mfma_f32_16x16x16_bf16 v[6:9], v[42:43], v[30:31], v[6:9]
	v_perm_b32 v11, v1, v2, s9
	v_mfma_f32_16x16x16_bf16 v[6:9], v[44:45], v[32:33], v[6:9]
	s_waitcnt vmcnt(4)
	v_mfma_f32_16x16x16_bf16 v[6:9], v[34:35], v[74:75], v[6:9]
	v_mfma_f32_16x16x16_bf16 v[6:9], v[36:37], v[76:77], v[6:9]
	s_waitcnt vmcnt(3)
	v_mfma_f32_16x16x16_bf16 v[6:9], v[58:59], v[22:23], v[6:9]
	;; [unrolled: 3-line block ×5, first 2 shown]
	v_mfma_f32_16x16x16_bf16 v[2:5], v[52:53], v[20:21], v[6:9]
	s_nop 6
	v_bfe_u32 v1, v3, 16, 1
	v_bfe_u32 v6, v2, 16, 1
	v_add3_u32 v2, v2, v6, s8
	v_add3_u32 v1, v3, v1, s8
	v_perm_b32 v2, v1, v2, s9
	v_bfe_u32 v1, v5, 16, 1
	v_bfe_u32 v3, v4, 16, 1
	v_add3_u32 v3, v4, v3, s8
	v_add3_u32 v1, v5, v1, s8
	v_perm_b32 v3, v1, v3, s9
	v_and_b32_e32 v1, 63, v0
	v_cmp_gt_u32_e64 s[4:5], 32, v1
	s_and_b64 s[4:5], vcc, s[4:5]
	ds_write2st64_b64 v78, v[10:11], v[2:3] offset1:1
	s_waitcnt lgkmcnt(0)
	s_barrier
	s_and_saveexec_b64 s[8:9], s[4:5]
	s_cbranch_execz .LBB705_21
; %bb.20:
	s_load_dwordx2 s[0:1], s[0:1], 0x68
	s_mul_i32 s2, s7, s2
	s_lshl_b32 s6, s6, 7
	v_lshlrev_b32_e32 v3, 6, v91
	s_mul_hi_u32 s5, s2, s6
	s_mul_i32 s4, s2, s6
	v_lshlrev_b32_e32 v2, 4, v0
	v_lshl_or_b32 v0, v0, 10, v3
	s_lshl_b64 s[4:5], s[4:5], 1
	v_lshlrev_b32_e32 v1, 5, v87
	v_and_b32_e32 v2, 16, v2
	v_and_b32_e32 v0, 0x1a00, v0
	s_waitcnt lgkmcnt(0)
	s_add_u32 s4, s0, s4
	v_or3_b32 v0, v0, v1, v2
	s_addc_u32 s5, s1, s5
	s_lshl_b32 s2, s26, 7
	ds_read_b128 v[2:5], v0
	s_lshl_b64 s[0:1], s[2:3], 1
	s_add_u32 s0, s4, s0
	v_or_b32_e32 v0, s27, v87
	s_addc_u32 s1, s5, s1
	v_mad_u64_u32 v[0:1], s[2:3], s6, v0, 0
	v_lshl_add_u64 v[0:1], v[0:1], 1, s[0:1]
	v_lshl_add_u64 v[0:1], v[82:83], 1, v[0:1]
	s_waitcnt lgkmcnt(0)
	global_store_dwordx4 v[0:1], v[2:5], off
.LBB705_21:
	s_endpgm
	.section	.rodata,"a",@progbits
	.p2align	6, 0x0
	.amdhsa_kernel _Z39paged_attention_ll4mi_QKV_mfma16_kernelI14__hip_bfloat16S0_LN4vllm18Fp8KVCacheDataTypeE0EhLi32ELi128ELi256ELb1ELi2EEvPKT_PKT0_S8_ifPKiSA_SA_iPKfiiiPfSD_PS3_PT2_iSC_SC_
		.amdhsa_group_segment_fixed_size 8192
		.amdhsa_private_segment_fixed_size 0
		.amdhsa_kernarg_size 400
		.amdhsa_user_sgpr_count 2
		.amdhsa_user_sgpr_dispatch_ptr 0
		.amdhsa_user_sgpr_queue_ptr 0
		.amdhsa_user_sgpr_kernarg_segment_ptr 1
		.amdhsa_user_sgpr_dispatch_id 0
		.amdhsa_user_sgpr_kernarg_preload_length 0
		.amdhsa_user_sgpr_kernarg_preload_offset 0
		.amdhsa_user_sgpr_private_segment_size 0
		.amdhsa_uses_dynamic_stack 0
		.amdhsa_enable_private_segment 0
		.amdhsa_system_sgpr_workgroup_id_x 1
		.amdhsa_system_sgpr_workgroup_id_y 1
		.amdhsa_system_sgpr_workgroup_id_z 1
		.amdhsa_system_sgpr_workgroup_info 0
		.amdhsa_system_vgpr_workitem_id 0
		.amdhsa_next_free_vgpr 96
		.amdhsa_next_free_sgpr 41
		.amdhsa_accum_offset 96
		.amdhsa_reserve_vcc 1
		.amdhsa_float_round_mode_32 0
		.amdhsa_float_round_mode_16_64 0
		.amdhsa_float_denorm_mode_32 3
		.amdhsa_float_denorm_mode_16_64 3
		.amdhsa_dx10_clamp 1
		.amdhsa_ieee_mode 1
		.amdhsa_fp16_overflow 0
		.amdhsa_tg_split 0
		.amdhsa_exception_fp_ieee_invalid_op 0
		.amdhsa_exception_fp_denorm_src 0
		.amdhsa_exception_fp_ieee_div_zero 0
		.amdhsa_exception_fp_ieee_overflow 0
		.amdhsa_exception_fp_ieee_underflow 0
		.amdhsa_exception_fp_ieee_inexact 0
		.amdhsa_exception_int_div_zero 0
	.end_amdhsa_kernel
	.section	.text._Z39paged_attention_ll4mi_QKV_mfma16_kernelI14__hip_bfloat16S0_LN4vllm18Fp8KVCacheDataTypeE0EhLi32ELi128ELi256ELb1ELi2EEvPKT_PKT0_S8_ifPKiSA_SA_iPKfiiiPfSD_PS3_PT2_iSC_SC_,"axG",@progbits,_Z39paged_attention_ll4mi_QKV_mfma16_kernelI14__hip_bfloat16S0_LN4vllm18Fp8KVCacheDataTypeE0EhLi32ELi128ELi256ELb1ELi2EEvPKT_PKT0_S8_ifPKiSA_SA_iPKfiiiPfSD_PS3_PT2_iSC_SC_,comdat
.Lfunc_end705:
	.size	_Z39paged_attention_ll4mi_QKV_mfma16_kernelI14__hip_bfloat16S0_LN4vllm18Fp8KVCacheDataTypeE0EhLi32ELi128ELi256ELb1ELi2EEvPKT_PKT0_S8_ifPKiSA_SA_iPKfiiiPfSD_PS3_PT2_iSC_SC_, .Lfunc_end705-_Z39paged_attention_ll4mi_QKV_mfma16_kernelI14__hip_bfloat16S0_LN4vllm18Fp8KVCacheDataTypeE0EhLi32ELi128ELi256ELb1ELi2EEvPKT_PKT0_S8_ifPKiSA_SA_iPKfiiiPfSD_PS3_PT2_iSC_SC_
                                        ; -- End function
	.section	.AMDGPU.csdata,"",@progbits
; Kernel info:
; codeLenInByte = 5096
; NumSgprs: 47
; NumVgprs: 96
; NumAgprs: 0
; TotalNumVgprs: 96
; ScratchSize: 0
; MemoryBound: 0
; FloatMode: 240
; IeeeMode: 1
; LDSByteSize: 8192 bytes/workgroup (compile time only)
; SGPRBlocks: 5
; VGPRBlocks: 11
; NumSGPRsForWavesPerEU: 47
; NumVGPRsForWavesPerEU: 96
; AccumOffset: 96
; Occupancy: 5
; WaveLimiterHint : 1
; COMPUTE_PGM_RSRC2:SCRATCH_EN: 0
; COMPUTE_PGM_RSRC2:USER_SGPR: 2
; COMPUTE_PGM_RSRC2:TRAP_HANDLER: 0
; COMPUTE_PGM_RSRC2:TGID_X_EN: 1
; COMPUTE_PGM_RSRC2:TGID_Y_EN: 1
; COMPUTE_PGM_RSRC2:TGID_Z_EN: 1
; COMPUTE_PGM_RSRC2:TIDIG_COMP_CNT: 0
; COMPUTE_PGM_RSRC3_GFX90A:ACCUM_OFFSET: 23
; COMPUTE_PGM_RSRC3_GFX90A:TG_SPLIT: 0
	.section	.text._Z39paged_attention_ll4mi_QKV_mfma16_kernelI14__hip_bfloat16S0_LN4vllm18Fp8KVCacheDataTypeE0EhLi32ELi128ELi256ELb1ELi3EEvPKT_PKT0_S8_ifPKiSA_SA_iPKfiiiPfSD_PS3_PT2_iSC_SC_,"axG",@progbits,_Z39paged_attention_ll4mi_QKV_mfma16_kernelI14__hip_bfloat16S0_LN4vllm18Fp8KVCacheDataTypeE0EhLi32ELi128ELi256ELb1ELi3EEvPKT_PKT0_S8_ifPKiSA_SA_iPKfiiiPfSD_PS3_PT2_iSC_SC_,comdat
	.protected	_Z39paged_attention_ll4mi_QKV_mfma16_kernelI14__hip_bfloat16S0_LN4vllm18Fp8KVCacheDataTypeE0EhLi32ELi128ELi256ELb1ELi3EEvPKT_PKT0_S8_ifPKiSA_SA_iPKfiiiPfSD_PS3_PT2_iSC_SC_ ; -- Begin function _Z39paged_attention_ll4mi_QKV_mfma16_kernelI14__hip_bfloat16S0_LN4vllm18Fp8KVCacheDataTypeE0EhLi32ELi128ELi256ELb1ELi3EEvPKT_PKT0_S8_ifPKiSA_SA_iPKfiiiPfSD_PS3_PT2_iSC_SC_
	.globl	_Z39paged_attention_ll4mi_QKV_mfma16_kernelI14__hip_bfloat16S0_LN4vllm18Fp8KVCacheDataTypeE0EhLi32ELi128ELi256ELb1ELi3EEvPKT_PKT0_S8_ifPKiSA_SA_iPKfiiiPfSD_PS3_PT2_iSC_SC_
	.p2align	8
	.type	_Z39paged_attention_ll4mi_QKV_mfma16_kernelI14__hip_bfloat16S0_LN4vllm18Fp8KVCacheDataTypeE0EhLi32ELi128ELi256ELb1ELi3EEvPKT_PKT0_S8_ifPKiSA_SA_iPKfiiiPfSD_PS3_PT2_iSC_SC_,@function
_Z39paged_attention_ll4mi_QKV_mfma16_kernelI14__hip_bfloat16S0_LN4vllm18Fp8KVCacheDataTypeE0EhLi32ELi128ELi256ELb1ELi3EEvPKT_PKT0_S8_ifPKiSA_SA_iPKfiiiPfSD_PS3_PT2_iSC_SC_: ; @_Z39paged_attention_ll4mi_QKV_mfma16_kernelI14__hip_bfloat16S0_LN4vllm18Fp8KVCacheDataTypeE0EhLi32ELi128ELi256ELb1ELi3EEvPKT_PKT0_S8_ifPKiSA_SA_iPKfiiiPfSD_PS3_PT2_iSC_SC_
; %bb.0:
	s_load_dwordx2 s[8:9], s[0:1], 0x30
	s_mov_b32 s26, s3
	s_mov_b64 s[6:7], 0
	s_waitcnt lgkmcnt(0)
	s_cmp_lg_u64 s[8:9], 0
	s_cselect_b64 s[10:11], -1, 0
	s_and_b64 vcc, exec, s[10:11]
	s_cbranch_vccz .LBB706_7
; %bb.1:
	s_add_i32 s12, s2, 1
	s_mov_b32 s13, 0
	s_lshl_b64 s[14:15], s[12:13], 2
	s_add_u32 s14, s8, s14
	s_mov_b32 s3, s13
	s_addc_u32 s15, s9, s15
	s_lshl_b64 s[12:13], s[2:3], 2
	s_add_u32 s12, s8, s12
	s_addc_u32 s13, s9, s13
	s_load_dword s5, s[14:15], 0x0
	s_load_dword s16, s[12:13], 0x0
	s_waitcnt lgkmcnt(0)
	s_sub_i32 s5, s5, s16
	s_cmp_eq_u32 s5, 1
	s_cselect_b64 s[12:13], -1, 0
	s_andn2_b64 vcc, exec, s[6:7]
	s_cbranch_vccnz .LBB706_3
.LBB706_2:
	s_mov_b32 s3, 0
	s_mov_b64 s[12:13], -1
.LBB706_3:
	s_andn2_b64 vcc, exec, s[12:13]
	s_cbranch_vccnz .LBB706_21
; %bb.4:
	s_load_dwordx2 s[6:7], s[0:1], 0x28
	s_lshl_b64 s[12:13], s[2:3], 2
	s_waitcnt lgkmcnt(0)
	s_add_u32 s6, s6, s12
	s_addc_u32 s7, s7, s13
	s_load_dword s27, s[6:7], 0x0
	s_lshl_b32 s18, s26, 8
	s_waitcnt lgkmcnt(0)
	s_cmp_ge_i32 s18, s27
	s_cbranch_scc1 .LBB706_21
; %bb.5:
	s_load_dwordx2 s[6:7], s[0:1], 0x20
	s_load_dword s5, s[0:1], 0x38
	s_add_i32 s14, s27, 31
	s_ashr_i32 s15, s14, 31
	v_and_b32_e32 v1, 0xcf, v0
	s_lshr_b32 s15, s15, 27
	v_add_u32_e32 v1, s18, v1
	s_add_i32 s14, s14, s15
	v_ashrrev_i32_e32 v2, 31, v1
	s_ashr_i32 s19, s14, 5
	v_lshrrev_b32_e32 v4, 27, v2
	s_add_i32 s19, s19, -1
	s_waitcnt lgkmcnt(0)
	s_mul_i32 s14, s2, s5
	s_mov_b32 s15, 0
	v_add_u32_e32 v2, v1, v4
	s_lshl_b64 s[14:15], s[14:15], 2
	v_ashrrev_i32_e32 v2, 5, v2
	v_mov_b32_e32 v5, s19
	v_cmp_gt_i32_e32 vcc, s27, v1
	s_add_u32 s6, s6, s14
	s_addc_u32 s7, s7, s15
	v_cndmask_b32_e32 v2, v5, v2, vcc
	v_ashrrev_i32_e32 v3, 31, v2
	v_lshl_add_u64 v[6:7], v[2:3], 2, s[6:7]
	v_or_b32_e32 v2, 16, v1
	v_add_u32_e32 v3, v2, v4
	v_ashrrev_i32_e32 v3, 5, v3
	v_cmp_gt_i32_e32 vcc, s27, v2
	s_nop 1
	v_cndmask_b32_e32 v2, v5, v3, vcc
	v_ashrrev_i32_e32 v3, 31, v2
	v_lshl_add_u64 v[8:9], v[2:3], 2, s[6:7]
	v_or_b32_e32 v2, 32, v1
	v_add_u32_e32 v3, v2, v4
	v_ashrrev_i32_e32 v3, 5, v3
	v_cmp_gt_i32_e32 vcc, s27, v2
	v_or_b32_e32 v1, 48, v1
	s_nop 0
	v_cndmask_b32_e32 v2, v5, v3, vcc
	v_ashrrev_i32_e32 v3, 31, v2
	v_lshl_add_u64 v[10:11], v[2:3], 2, s[6:7]
	v_add_u32_e32 v2, v1, v4
	v_ashrrev_i32_e32 v2, 5, v2
	v_cmp_gt_i32_e32 vcc, s27, v1
	s_nop 1
	v_cndmask_b32_e32 v2, v5, v2, vcc
	v_ashrrev_i32_e32 v3, 31, v2
	v_lshl_add_u64 v[12:13], v[2:3], 2, s[6:7]
	global_load_dword v5, v[6:7], off
	global_load_dword v4, v[8:9], off
	;; [unrolled: 1-line block ×4, first 2 shown]
	s_andn2_b64 vcc, exec, s[10:11]
	s_cbranch_vccnz .LBB706_8
; %bb.6:
	s_add_u32 s8, s8, s12
	s_addc_u32 s9, s9, s13
	s_load_dword s5, s[8:9], 0x0
	s_branch .LBB706_9
.LBB706_7:
	s_mov_b64 s[12:13], 0
	s_branch .LBB706_2
.LBB706_8:
	s_mov_b32 s5, s2
.LBB706_9:
	s_load_dwordx2 s[14:15], s[0:1], 0x8
	s_load_dwordx4 s[8:11], s[0:1], 0x48
	v_lshrrev_b32_e32 v85, 6, v0
	v_bfe_u32 v1, v0, 4, 2
	v_lshl_or_b32 v6, v85, 2, v1
	v_and_b32_e32 v84, 15, v0
	s_mul_i32 s40, s4, 3
	v_lshlrev_b32_e32 v82, 3, v84
	v_cmp_lt_u32_e32 vcc, 2, v6
	s_and_saveexec_b64 s[12:13], vcc
	s_xor_b64 s[12:13], exec, s[12:13]
; %bb.10:
	v_mov_b32_e32 v83, 0
                                        ; implicit-def: $vgpr6
; %bb.11:
	s_or_saveexec_b64 s[16:17], s[12:13]
	s_load_dwordx2 s[12:13], s[0:1], 0x10
	v_add_u32_e32 v7, s40, v1
	scratch_store_dword off, v7, off        ; 4-byte Folded Spill
	s_xor_b64 exec, exec, s[16:17]
	s_cbranch_execz .LBB706_13
; %bb.12:
	scratch_load_dword v7, off, off         ; 4-byte Folded Reload
	s_load_dwordx2 s[20:21], s[0:1], 0x0
	s_waitcnt lgkmcnt(0)
	s_ashr_i32 s11, s8, 31
	s_mul_hi_u32 s22, s5, s8
	s_mul_i32 s11, s5, s11
	s_add_i32 s23, s22, s11
	s_mul_i32 s22, s5, s8
	s_lshl_b64 s[22:23], s[22:23], 1
	s_add_u32 s20, s20, s22
	s_addc_u32 s21, s21, s23
	v_mov_b32_e32 v83, 0
	v_lshlrev_b32_e32 v10, 1, v82
	v_mov_b32_e32 v11, v83
	v_lshlrev_b32_e32 v12, 9, v84
	v_lshlrev_b32_e32 v6, 5, v6
	v_and_b32_e32 v12, 0x1800, v12
	s_waitcnt vmcnt(0)
	v_lshlrev_b32_e32 v8, 7, v7
	v_ashrrev_i32_e32 v9, 31, v8
	v_lshl_add_u64 v[8:9], v[8:9], 1, s[20:21]
	v_lshl_add_u64 v[8:9], v[8:9], 0, v[10:11]
	global_load_dwordx4 v[8:11], v[8:9], off
	v_and_b32_e32 v7, 3, v0
	v_lshlrev_b32_e32 v7, 9, v7
	v_or3_b32 v6, v12, v7, v6
	s_waitcnt vmcnt(0)
	ds_write_b128 v6, v[8:11]
.LBB706_13:
	s_or_b64 exec, exec, s[16:17]
	s_waitcnt lgkmcnt(0)
	s_mul_i32 s4, s4, s10
	s_mov_b32 s5, 0
	s_lshl_b64 s[4:5], s[4:5], 1
	s_add_u32 s10, s14, s4
	s_addc_u32 s11, s15, s5
	s_waitcnt vmcnt(4)
	v_mad_i64_i32 v[6:7], s[14:15], v5, s9, 0
	v_lshl_add_u64 v[6:7], v[6:7], 1, s[10:11]
	v_lshlrev_b64 v[8:9], 1, v[82:83]
	v_lshlrev_b32_e32 v86, 9, v1
	v_lshl_add_u64 v[6:7], v[6:7], 0, v[8:9]
	v_mov_b32_e32 v87, 0
	v_lshl_add_u64 v[10:11], v[6:7], 0, v[86:87]
	v_or_b32_e32 v14, 0x1000, v86
	v_mov_b32_e32 v15, v87
	v_or_b32_e32 v16, 0x1800, v86
	v_mov_b32_e32 v17, v87
	s_barrier
	global_load_dwordx4 v[66:69], v[10:11], off
	global_load_dwordx4 v[62:65], v[10:11], off offset:2048
	v_lshl_add_u64 v[10:11], v[6:7], 0, v[14:15]
	v_lshl_add_u64 v[6:7], v[6:7], 0, v[16:17]
	global_load_dwordx4 v[78:81], v[10:11], off
	global_load_dwordx4 v[74:77], v[6:7], off
	s_waitcnt vmcnt(7)
	v_mad_i64_i32 v[4:5], s[14:15], v4, s9, 0
	v_mov_b32_e32 v6, 0x100
	v_lshl_add_u64 v[4:5], v[4:5], 1, s[10:11]
	v_lshl_or_b32 v6, v84, 4, v6
	v_mov_b32_e32 v7, v87
	v_lshl_add_u64 v[4:5], v[4:5], 0, v[6:7]
	v_lshl_add_u64 v[10:11], v[4:5], 0, v[86:87]
	global_load_dwordx4 v[70:73], v[10:11], off
	global_load_dwordx4 v[58:61], v[10:11], off offset:2048
	v_lshl_add_u64 v[10:11], v[4:5], 0, v[14:15]
	v_lshl_add_u64 v[4:5], v[4:5], 0, v[16:17]
	global_load_dwordx4 v[54:57], v[10:11], off
	global_load_dwordx4 v[30:33], v[4:5], off
	s_waitcnt vmcnt(10)
	v_mad_i64_i32 v[4:5], s[14:15], v3, s9, 0
	v_lshl_add_u64 v[4:5], v[4:5], 1, s[10:11]
	s_waitcnt vmcnt(9)
	v_mad_i64_i32 v[2:3], s[14:15], v2, s9, 0
	v_lshl_add_u64 v[4:5], v[4:5], 0, v[8:9]
	v_lshl_add_u64 v[2:3], v[2:3], 1, s[10:11]
	;; [unrolled: 1-line block ×4, first 2 shown]
	global_load_dwordx4 v[26:29], v[8:9], off
	global_load_dwordx4 v[22:25], v[8:9], off offset:2048
	v_lshl_add_u64 v[8:9], v[4:5], 0, v[14:15]
	v_lshl_add_u64 v[4:5], v[4:5], 0, v[16:17]
	;; [unrolled: 1-line block ×4, first 2 shown]
	global_load_dwordx4 v[18:21], v[8:9], off
	global_load_dwordx4 v[10:13], v[4:5], off
	s_nop 0
	global_load_dwordx4 v[6:9], v[2:3], off
	s_nop 0
	global_load_dwordx4 v[2:5], v[2:3], off offset:2048
	v_lshl_add_u64 v[16:17], v[34:35], 0, v[16:17]
	global_load_dwordx4 v[38:41], v[14:15], off
	global_load_dwordx4 v[34:37], v[16:17], off
	v_mul_lo_u16_e32 v14, 0x56, v84
	v_mov_b32_e32 v15, 3
	v_mul_lo_u16_sdwa v14, v14, v15 dst_sel:DWORD dst_unused:UNUSED_PAD src0_sel:BYTE_1 src1_sel:DWORD
	v_sub_u16_e32 v14, v84, v14
	v_and_b32_e32 v14, 0xff, v14
	v_lshl_add_u32 v42, v14, 5, v86
	ds_read_b128 v[14:17], v42
	ds_read_b128 v[50:53], v42 offset:2048
	ds_read_b128 v[46:49], v42 offset:4096
	;; [unrolled: 1-line block ×3, first 2 shown]
	v_and_b32_e32 v89, 63, v0
	v_cmp_gt_u32_e32 vcc, 3, v84
	v_mov_b32_e32 v90, 0
	s_and_saveexec_b64 s[10:11], vcc
	s_cbranch_execz .LBB706_15
; %bb.14:
	s_load_dwordx2 s[14:15], s[0:1], 0x40
	v_add_u32_e32 v90, s40, v84
	v_ashrrev_i32_e32 v91, 31, v90
	s_waitcnt lgkmcnt(0)
	v_lshl_add_u64 v[90:91], v[90:91], 2, s[14:15]
	global_load_dword v90, v[90:91], off
.LBB706_15:
	s_or_b64 exec, exec, s[10:11]
	s_waitcnt vmcnt(15) lgkmcnt(3)
	v_mfma_f32_16x16x16_bf16 v[92:95], v[66:67], v[14:15], 0
	s_ashr_i32 s8, s18, 31
	s_lshr_b32 s8, s8, 27
	s_add_u32 s4, s12, s4
	v_mfma_f32_16x16x16_bf16 v[66:69], v[68:69], v[16:17], v[92:95]
	s_addc_u32 s5, s13, s5
	v_lshl_or_b32 v91, v85, 4, v84
	s_mov_b32 s33, 0xff7fffff
	s_waitcnt vmcnt(14) lgkmcnt(2)
	v_mfma_f32_16x16x16_bf16 v[66:69], v[62:63], v[50:51], v[66:69]
	v_mfma_f32_16x16x16_bf16 v[62:65], v[64:65], v[52:53], v[66:69]
	s_waitcnt vmcnt(13) lgkmcnt(1)
	v_mfma_f32_16x16x16_bf16 v[62:65], v[78:79], v[46:47], v[62:65]
	v_mfma_f32_16x16x16_bf16 v[62:65], v[80:81], v[48:49], v[62:65]
	s_waitcnt vmcnt(12) lgkmcnt(0)
	v_mfma_f32_16x16x16_bf16 v[62:65], v[74:75], v[42:43], v[62:65]
	v_and_or_b32 v74, v0, 48, s18
	v_add_u32_e32 v66, s8, v74
	v_ashrrev_i32_e32 v75, 5, v66
	s_waitcnt vmcnt(11)
	v_mfma_f32_16x16x16_bf16 v[66:69], v[70:71], v[14:15], 0
	v_cmp_gt_i32_e32 vcc, s27, v74
	v_mfma_f32_16x16x16_bf16 v[66:69], v[72:73], v[16:17], v[66:69]
	v_or_b32_e32 v72, 64, v74
	v_add_u32_e32 v73, s8, v72
	s_waitcnt vmcnt(10)
	v_mfma_f32_16x16x16_bf16 v[66:69], v[58:59], v[50:51], v[66:69]
	v_ashrrev_i32_e32 v58, 5, v73
	v_mfma_f32_16x16x16_bf16 v[62:65], v[76:77], v[44:45], v[62:65]
	v_mov_b32_e32 v76, s19
	v_cndmask_b32_e32 v70, v76, v75, vcc
	v_cmp_gt_i32_e32 vcc, s27, v72
	v_ashrrev_i32_e32 v71, 31, v70
	v_lshl_add_u64 v[70:71], v[70:71], 2, s[6:7]
	v_cndmask_b32_e32 v72, v76, v58, vcc
	v_mfma_f32_16x16x16_bf16 v[58:61], v[60:61], v[52:53], v[66:69]
	v_ashrrev_i32_e32 v73, 31, v72
	s_waitcnt vmcnt(9)
	v_mfma_f32_16x16x16_bf16 v[58:61], v[54:55], v[46:47], v[58:61]
	v_lshl_add_u64 v[66:67], v[72:73], 2, s[6:7]
	global_load_dword v68, v[70:71], off
	s_nop 0
	global_load_dword v66, v[66:67], off
	v_or_b32_e32 v67, 0x80, v74
	v_add_u32_e32 v69, s8, v67
	v_mfma_f32_16x16x16_bf16 v[54:57], v[56:57], v[48:49], v[58:61]
	v_cmp_gt_i32_e32 vcc, s27, v67
	s_nop 1
	v_ashrrev_i32_e32 v58, 5, v69
	v_cndmask_b32_e32 v58, v76, v58, vcc
	v_ashrrev_i32_e32 v59, 31, v58
	s_waitcnt vmcnt(10)
	v_mfma_f32_16x16x16_bf16 v[54:57], v[30:31], v[42:43], v[54:57]
	v_lshl_add_u64 v[30:31], v[58:59], 2, s[6:7]
	global_load_dword v70, v[30:31], off
	v_mfma_f32_16x16x16_bf16 v[58:61], v[32:33], v[44:45], v[54:57]
	s_nop 3
	v_or_b32_e32 v54, 0xc0, v74
	v_add_u32_e32 v30, s8, v54
	v_ashrrev_i32_e32 v55, 5, v30
	v_cmp_gt_i32_e32 vcc, s27, v54
	s_waitcnt vmcnt(10)
	v_mfma_f32_16x16x16_bf16 v[30:33], v[26:27], v[14:15], 0
	v_cndmask_b32_e32 v26, v76, v55, vcc
	v_ashrrev_i32_e32 v27, 31, v26
	v_lshl_add_u64 v[54:55], v[26:27], 2, s[6:7]
	global_load_dword v71, v[54:55], off
	v_mfma_f32_16x16x16_bf16 v[26:29], v[28:29], v[16:17], v[30:33]
	s_load_dword s6, s[0:1], 0x1c
	s_waitcnt vmcnt(10)
	v_mfma_f32_16x16x16_bf16 v[26:29], v[22:23], v[50:51], v[26:29]
	v_and_b32_e32 v30, 16, v0
	v_lshlrev_b32_e32 v86, 1, v30
	v_lshl_add_u64 v[74:75], s[4:5], 0, v[86:87]
	v_mfma_f32_16x16x16_bf16 v[22:25], v[24:25], v[52:53], v[26:29]
	v_lshlrev_b32_e32 v86, 6, v91
	v_lshl_add_u64 v[76:77], v[74:75], 0, v[86:87]
	v_or_b32_e32 v86, 0x1000, v86
	s_waitcnt vmcnt(9)
	v_mfma_f32_16x16x16_bf16 v[22:25], v[18:19], v[46:47], v[22:25]
	v_lshl_add_u64 v[80:81], v[74:75], 0, v[86:87]
	s_waitcnt lgkmcnt(0)
	v_pk_mul_f32 v[74:75], s[6:7], v[60:61] op_sel_hi:[0,1]
	v_mfma_f32_16x16x16_bf16 v[18:21], v[20:21], v[48:49], v[22:25]
	s_waitcnt vmcnt(8)
	v_mfma_f32_16x16x16_bf16 v[18:21], v[10:11], v[42:43], v[18:21]
	s_waitcnt vmcnt(3)
	v_mad_i64_i32 v[22:23], s[4:5], v68, s9, 0
	s_waitcnt vmcnt(2)
	v_mad_i64_i32 v[10:11], s[4:5], v66, s9, 0
	v_lshlrev_b64 v[78:79], 1, v[22:23]
	v_lshlrev_b64 v[54:55], 1, v[10:11]
	v_lshl_add_u64 v[22:23], v[76:77], 0, v[78:79]
	v_lshl_add_u64 v[10:11], v[76:77], 0, v[54:55]
	global_load_dwordx4 v[30:33], v[22:23], off
	global_load_dwordx4 v[26:29], v[22:23], off offset:16
	v_mfma_f32_16x16x16_bf16 v[66:69], v[12:13], v[44:45], v[18:21]
	global_load_dwordx4 v[22:25], v[10:11], off
	s_nop 1
	global_load_dwordx4 v[18:21], v[10:11], off offset:16
	v_mfma_f32_16x16x16_bf16 v[10:13], v[6:7], v[14:15], 0
	s_waitcnt vmcnt(5)
	v_mad_i64_i32 v[6:7], s[4:5], v70, s9, 0
	v_lshlrev_b64 v[56:57], 1, v[6:7]
	v_mfma_f32_16x16x16_bf16 v[6:9], v[8:9], v[16:17], v[10:13]
	v_mfma_f32_16x16x16_bf16 v[6:9], v[2:3], v[50:51], v[6:9]
	s_nop 1
	v_lshl_add_u64 v[10:11], v[76:77], 0, v[56:57]
	global_load_dwordx4 v[14:17], v[10:11], off
	s_nop 0
	global_load_dwordx4 v[10:13], v[10:11], off offset:16
	s_waitcnt vmcnt(6)
	v_mad_i64_i32 v[2:3], s[4:5], v71, s9, 0
	v_mfma_f32_16x16x16_bf16 v[70:73], v[4:5], v[52:53], v[6:9]
	v_pk_mul_f32 v[52:53], s[6:7], v[62:63] op_sel_hi:[0,1]
	v_lshlrev_b64 v[50:51], 1, v[2:3]
	v_lshl_add_u64 v[2:3], v[76:77], 0, v[50:51]
	v_mfma_f32_16x16x16_bf16 v[70:73], v[38:39], v[46:47], v[70:73]
	v_lshl_add_u64 v[38:39], v[80:81], 0, v[78:79]
	v_pk_mul_f32 v[78:79], s[6:7], v[64:65] op_sel_hi:[0,1]
	v_pk_mul_f32 v[76:77], s[6:7], v[58:59] op_sel_hi:[0,1]
	v_mfma_f32_16x16x16_bf16 v[46:49], v[40:41], v[48:49], v[70:73]
	v_lshl_add_u64 v[50:51], v[80:81], 0, v[50:51]
	global_load_dwordx4 v[6:9], v[2:3], off
	s_nop 0
	global_load_dwordx4 v[2:5], v[2:3], off offset:16
	v_pk_mul_f32 v[70:71], s[6:7], v[68:69] op_sel_hi:[0,1]
	v_mfma_f32_16x16x16_bf16 v[40:43], v[34:35], v[42:43], v[46:49]
	v_pk_mul_f32 v[72:73], s[6:7], v[66:67] op_sel_hi:[0,1]
	v_mfma_f32_16x16x16_bf16 v[34:37], v[36:37], v[44:45], v[40:43]
	s_nop 6
	v_pk_mul_f32 v[68:69], s[6:7], v[34:35] op_sel_hi:[0,1]
	v_and_b32_e32 v34, 0xc0, v0
	v_add_u32_e32 v34, s18, v34
	v_lshl_or_b32 v34, v1, 2, v34
	v_or_b32_e32 v35, 1, v34
	v_pk_mul_f32 v[66:67], s[6:7], v[36:37] op_sel_hi:[0,1]
	v_subrev_u32_e32 v36, s27, v35
	v_add_u32_e32 v40, 1, v36
	v_add_u32_e32 v41, 2, v36
	v_cvt_f32_i32_e32 v37, v36
	v_cvt_f32_i32_e32 v40, v40
	;; [unrolled: 1-line block ×3, first 2 shown]
	v_add_u32_e32 v42, 3, v36
	v_fma_f32 v52, v90, v37, v52
	v_fmac_f32_e32 v53, v90, v40
	v_fma_f32 v78, v90, v41, v78
	v_add_u32_e32 v37, 16, v36
	v_add_u32_e32 v40, 17, v36
	;; [unrolled: 1-line block ×3, first 2 shown]
	v_cvt_f32_i32_e32 v42, v42
	v_cvt_f32_i32_e32 v37, v37
	;; [unrolled: 1-line block ×4, first 2 shown]
	v_fmac_f32_e32 v79, v90, v42
	v_add_u32_e32 v42, 19, v36
	v_fma_f32 v76, v90, v37, v76
	v_fmac_f32_e32 v77, v90, v40
	v_fma_f32 v74, v90, v41, v74
	v_add_u32_e32 v37, 32, v36
	v_add_u32_e32 v40, 33, v36
	;; [unrolled: 1-line block ×3, first 2 shown]
	v_cvt_f32_i32_e32 v42, v42
	v_cvt_f32_i32_e32 v37, v37
	;; [unrolled: 1-line block ×4, first 2 shown]
	v_fmac_f32_e32 v75, v90, v42
	v_add_u32_e32 v42, 35, v36
	v_fma_f32 v72, v90, v37, v72
	v_fmac_f32_e32 v73, v90, v40
	v_fma_f32 v70, v90, v41, v70
	v_add_u32_e32 v37, 48, v36
	v_add_u32_e32 v40, 49, v36
	;; [unrolled: 1-line block ×4, first 2 shown]
	v_cvt_f32_i32_e32 v36, v36
	v_cvt_f32_i32_e32 v37, v37
	v_cvt_f32_i32_e32 v40, v40
	v_cmp_gt_i32_e64 s[28:29], s27, v34
	v_fmac_f32_e32 v67, v90, v36
	v_mov_b32_e32 v36, 0xff7fffff
	v_cmp_gt_i32_e64 s[30:31], s27, v35
	v_fma_f32 v68, v90, v37, v68
	v_cndmask_b32_e64 v37, v36, v52, s[28:29]
	v_cndmask_b32_e64 v35, v36, v53, s[30:31]
	v_fmac_f32_e32 v69, v90, v40
	v_max3_f32 v35, v37, s33, v35
	v_or_b32_e32 v37, 2, v34
	v_or_b32_e32 v40, 3, v34
	v_cmp_gt_i32_e64 s[34:35], s27, v37
	v_cmp_gt_i32_e64 s[36:37], s27, v40
	v_cvt_f32_i32_e32 v42, v42
	v_cndmask_b32_e64 v37, v36, v78, s[34:35]
	v_cndmask_b32_e64 v40, v36, v79, s[36:37]
	v_max3_f32 v35, v35, v37, v40
	v_or_b32_e32 v37, 16, v34
	v_or_b32_e32 v40, 17, v34
	v_cmp_gt_i32_e64 s[22:23], s27, v37
	v_cmp_gt_i32_e64 s[24:25], s27, v40
	v_fmac_f32_e32 v71, v90, v42
	v_cndmask_b32_e64 v37, v36, v76, s[22:23]
	v_cndmask_b32_e64 v40, v36, v77, s[24:25]
	v_max3_f32 v35, v35, v37, v40
	v_or_b32_e32 v37, 18, v34
	v_or_b32_e32 v40, 19, v34
	v_cmp_gt_i32_e64 s[18:19], s27, v37
	v_cmp_gt_i32_e64 s[20:21], s27, v40
	v_cvt_f32_i32_e32 v41, v41
	v_cndmask_b32_e64 v37, v36, v74, s[18:19]
	v_cndmask_b32_e64 v40, v36, v75, s[20:21]
	v_max3_f32 v35, v35, v37, v40
	v_or_b32_e32 v37, 32, v34
	v_or_b32_e32 v40, 33, v34
	v_cmp_gt_i32_e64 s[14:15], s27, v37
	v_cmp_gt_i32_e64 s[16:17], s27, v40
	v_fma_f32 v66, v90, v41, v66
	v_cndmask_b32_e64 v37, v36, v72, s[14:15]
	v_cndmask_b32_e64 v40, v36, v73, s[16:17]
	v_max3_f32 v35, v35, v37, v40
	v_or_b32_e32 v37, 34, v34
	v_or_b32_e32 v40, 35, v34
	v_cmp_gt_i32_e64 s[10:11], s27, v37
	v_cmp_gt_i32_e64 s[12:13], s27, v40
	s_nop 0
	v_cndmask_b32_e64 v37, v36, v70, s[10:11]
	v_cndmask_b32_e64 v40, v36, v71, s[12:13]
	v_max3_f32 v35, v35, v37, v40
	v_or_b32_e32 v37, 48, v34
	v_or_b32_e32 v40, 49, v34
	v_cmp_gt_i32_e64 s[6:7], s27, v37
	v_cmp_gt_i32_e64 s[8:9], s27, v40
	s_nop 0
	v_cndmask_b32_e64 v37, v36, v68, s[6:7]
	v_cndmask_b32_e64 v40, v36, v69, s[8:9]
	v_max3_f32 v35, v35, v37, v40
	v_or_b32_e32 v37, 50, v34
	v_or_b32_e32 v34, 51, v34
	v_cmp_gt_i32_e32 vcc, s27, v37
	v_cmp_gt_i32_e64 s[4:5], s27, v34
	global_load_dwordx4 v[46:49], v[38:39], off
	s_nop 0
	global_load_dwordx4 v[38:41], v[38:39], off offset:16
	v_cndmask_b32_e32 v37, v36, v66, vcc
	v_cndmask_b32_e64 v34, v36, v67, s[4:5]
	v_max3_f32 v58, v35, v37, v34
	v_mbcnt_lo_u32_b32 v34, -1, 0
	v_mbcnt_hi_u32_b32 v59, -1, v34
	v_and_b32_e32 v34, 64, v59
	v_add_u32_e32 v60, 64, v34
	v_xor_b32_e32 v34, 32, v59
	v_cmp_lt_i32_e64 s[38:39], v34, v60
	s_nop 1
	v_cndmask_b32_e64 v34, v59, v34, s[38:39]
	v_lshlrev_b32_e32 v87, 2, v34
	ds_bpermute_b32 v61, v87, v58
	v_lshl_add_u64 v[34:35], v[80:81], 0, v[54:55]
	global_load_dwordx4 v[42:45], v[34:35], off
	s_nop 0
	global_load_dwordx4 v[34:37], v[34:35], off offset:16
	s_waitcnt lgkmcnt(0)
	v_max_f32_e32 v54, v61, v61
	v_max_f32_e32 v62, v58, v54
	v_xor_b32_e32 v54, 16, v59
	v_cmp_lt_i32_e64 s[38:39], v54, v60
	s_nop 1
	v_cndmask_b32_e64 v54, v59, v54, s[38:39]
	v_lshlrev_b32_e32 v90, 2, v54
	ds_bpermute_b32 v63, v90, v62
	v_lshl_add_u64 v[54:55], v[80:81], 0, v[56:57]
	global_load_dwordx4 v[58:61], v[54:55], off
	s_nop 0
	global_load_dwordx4 v[54:57], v[54:55], off offset:16
	s_waitcnt lgkmcnt(0)
	v_max_f32_e32 v63, v63, v63
	v_max_f32_e32 v86, v62, v63
	v_sub_f32_e32 v52, v52, v86
	v_mul_f32_e32 v52, 0x3fb8aa3b, v52
	v_exp_f32_e32 v80, v52
	v_sub_f32_e32 v52, v53, v86
	v_mul_f32_e32 v52, 0x3fb8aa3b, v52
	v_exp_f32_e32 v81, v52
	global_load_dwordx4 v[62:65], v[50:51], off
	s_nop 0
	global_load_dwordx4 v[50:53], v[50:51], off offset:16
	v_sub_f32_e32 v78, v78, v86
	v_mul_f32_e32 v78, 0x3fb8aa3b, v78
	v_sub_f32_e32 v79, v79, v86
	v_exp_f32_e32 v78, v78
	v_mul_f32_e32 v79, 0x3fb8aa3b, v79
	v_sub_f32_e32 v76, v76, v86
	v_exp_f32_e32 v79, v79
	v_mul_f32_e32 v76, 0x3fb8aa3b, v76
	v_sub_f32_e32 v77, v77, v86
	v_cndmask_b32_e64 v80, 0, v80, s[28:29]
	v_exp_f32_e32 v76, v76
	v_mul_f32_e32 v77, 0x3fb8aa3b, v77
	v_sub_f32_e32 v74, v74, v86
	v_add_f32_e32 v92, 0, v80
	v_cndmask_b32_e64 v81, 0, v81, s[30:31]
	v_exp_f32_e32 v77, v77
	v_mul_f32_e32 v74, 0x3fb8aa3b, v74
	v_sub_f32_e32 v75, v75, v86
	v_add_f32_e32 v92, v92, v81
	;; [unrolled: 5-line block ×10, first 2 shown]
	v_cndmask_b32_e64 v70, 0, v70, s[10:11]
	v_exp_f32_e32 v66, v66
	v_mul_f32_e32 v67, 0x3fb8aa3b, v67
	v_add_f32_e32 v92, v92, v70
	v_cndmask_b32_e64 v71, 0, v71, s[12:13]
	v_exp_f32_e32 v67, v67
	v_add_f32_e32 v92, v92, v71
	v_cndmask_b32_e64 v68, 0, v68, s[6:7]
	v_add_f32_e32 v92, v92, v68
	v_cndmask_b32_e64 v69, 0, v69, s[8:9]
	v_add_f32_e32 v92, v92, v69
	v_cndmask_b32_e32 v66, 0, v66, vcc
	v_add_f32_e32 v92, v92, v66
	v_cndmask_b32_e64 v67, 0, v67, s[4:5]
	v_add_f32_e32 v92, v92, v67
	ds_bpermute_b32 v87, v87, v92
	s_load_dword s7, s[0:1], 0x98
	v_cmp_gt_u32_e32 vcc, 16, v89
	s_waitcnt lgkmcnt(0)
	s_barrier
	v_add_f32_e32 v87, v92, v87
	ds_bpermute_b32 v90, v90, v87
	s_waitcnt lgkmcnt(0)
	s_and_saveexec_b64 s[4:5], vcc
	s_cbranch_execz .LBB706_17
; %bb.16:
	v_add_f32_e32 v87, v87, v90
	v_lshlrev_b32_e32 v89, 2, v91
	ds_write2st64_b32 v89, v86, v87 offset1:1
.LBB706_17:
	s_or_b64 exec, exec, s[4:5]
	v_lshlrev_b32_e32 v87, 2, v84
	s_load_dword s6, s[0:1], 0x94
	s_waitcnt lgkmcnt(0)
	s_barrier
	ds_read2_b32 v[90:91], v87 offset1:16
	ds_read2_b32 v[92:93], v87 offset0:32 offset1:48
	ds_read2_b32 v[94:95], v87 offset0:64 offset1:80
	s_movk_i32 s8, 0x7fff
	s_mov_b32 s9, 0x7060302
	s_waitcnt lgkmcnt(2)
	v_max3_f32 v86, v90, s33, v91
	s_waitcnt lgkmcnt(1)
	v_max3_f32 v86, v86, v92, v93
	v_sub_f32_e32 v89, v90, v86
	v_sub_f32_e32 v90, v91, v86
	v_mul_f32_e32 v90, 0x3fb8aa3b, v90
	v_mul_f32_e32 v89, 0x3fb8aa3b, v89
	v_exp_f32_e32 v88, v90
	v_sub_f32_e32 v90, v92, v86
	v_exp_f32_e32 v89, v89
	v_mul_f32_e32 v90, 0x3fb8aa3b, v90
	v_exp_f32_e32 v92, v90
	ds_read2_b32 v[90:91], v87 offset0:96 offset1:112
	v_sub_f32_e32 v87, v93, v86
	v_mul_f32_e32 v87, 0x3fb8aa3b, v87
	v_exp_f32_e32 v93, v87
	s_waitcnt lgkmcnt(1)
	v_fma_f32 v87, v89, v94, 0
	v_fmac_f32_e32 v87, v88, v95
	s_waitcnt lgkmcnt(0)
	v_fmac_f32_e32 v87, v92, v90
	v_fmac_f32_e32 v87, v93, v91
	v_add_f32_e32 v90, 0x358637bd, v87
	v_div_scale_f32 v91, s[4:5], v90, v90, 1.0
	v_rcp_f32_e32 v94, v91
	s_mul_i32 s7, s7, 3
	s_barrier
	v_fma_f32 v95, -v91, v94, 1.0
	v_fmac_f32_e32 v94, v95, v94
	v_div_scale_f32 v95, vcc, 1.0, v90, 1.0
	v_mul_f32_e32 v1, v95, v94
	v_fma_f32 v85, -v91, v1, v95
	v_fmac_f32_e32 v1, v85, v94
	v_fma_f32 v85, -v91, v1, v95
	v_lshrrev_b32_e32 v91, 6, v0
	v_div_fmas_f32 v1, v85, v94, v1
	v_cmp_eq_u32_e32 vcc, 1, v91
	v_div_fixup_f32 v1, v1, v90, 1.0
	s_nop 0
	v_cndmask_b32_e32 v85, v89, v88, vcc
	v_cmp_eq_u32_e32 vcc, 2, v91
	v_bfe_u32 v88, v0, 4, 2
	s_nop 0
	v_cndmask_b32_e32 v85, v85, v92, vcc
	v_cmp_eq_u32_e32 vcc, 3, v91
	s_nop 1
	v_cndmask_b32_e32 v85, v85, v93, vcc
	v_mul_f32_e32 v90, v85, v1
	v_pk_mul_f32 v[80:81], v[90:91], v[80:81] op_sel_hi:[0,1]
	v_bfe_u32 v1, v81, 16, 1
	v_bfe_u32 v85, v80, 16, 1
	v_pk_mul_f32 v[78:79], v[90:91], v[78:79] op_sel_hi:[0,1]
	v_add3_u32 v80, v80, v85, s8
	v_add3_u32 v1, v81, v1, s8
	v_perm_b32 v80, v1, v80, s9
	v_bfe_u32 v1, v79, 16, 1
	v_bfe_u32 v81, v78, 16, 1
	v_add3_u32 v78, v78, v81, s8
	v_add3_u32 v1, v79, v1, s8
	v_perm_b32 v81, v1, v78, s9
	v_lshlrev_b32_e32 v1, 3, v88
	v_lshlrev_b32_e32 v79, 5, v84
	;; [unrolled: 1-line block ×3, first 2 shown]
	v_pk_mul_f32 v[76:77], v[90:91], v[76:77] op_sel_hi:[0,1]
	v_or3_b32 v78, v78, v79, v1
	v_bfe_u32 v1, v77, 16, 1
	v_bfe_u32 v85, v76, 16, 1
	v_pk_mul_f32 v[74:75], v[90:91], v[74:75] op_sel_hi:[0,1]
	v_add3_u32 v76, v76, v85, s8
	v_add3_u32 v1, v77, v1, s8
	v_perm_b32 v76, v1, v76, s9
	v_bfe_u32 v1, v75, 16, 1
	v_bfe_u32 v77, v74, 16, 1
	v_add3_u32 v74, v74, v77, s8
	v_add3_u32 v1, v75, v1, s8
	v_pk_mul_f32 v[72:73], v[90:91], v[72:73] op_sel_hi:[0,1]
	v_perm_b32 v77, v1, v74, s9
	v_bfe_u32 v1, v73, 16, 1
	v_bfe_u32 v74, v72, 16, 1
	v_pk_mul_f32 v[70:71], v[90:91], v[70:71] op_sel_hi:[0,1]
	v_add3_u32 v72, v72, v74, s8
	v_add3_u32 v1, v73, v1, s8
	v_perm_b32 v72, v1, v72, s9
	v_bfe_u32 v1, v71, 16, 1
	v_bfe_u32 v73, v70, 16, 1
	v_add3_u32 v70, v70, v73, s8
	v_add3_u32 v1, v71, v1, s8
	v_pk_mul_f32 v[68:69], v[90:91], v[68:69] op_sel_hi:[0,1]
	v_perm_b32 v73, v1, v70, s9
	v_bfe_u32 v1, v69, 16, 1
	v_bfe_u32 v70, v68, 16, 1
	v_pk_mul_f32 v[66:67], v[90:91], v[66:67] op_sel_hi:[0,1]
	v_add3_u32 v68, v68, v70, s8
	v_add3_u32 v1, v69, v1, s8
	v_perm_b32 v68, v1, v68, s9
	v_bfe_u32 v1, v67, 16, 1
	v_bfe_u32 v69, v66, 16, 1
	v_add3_u32 v66, v66, v69, s8
	v_add3_u32 v1, v67, v1, s8
	v_perm_b32 v69, v1, v66, s9
	v_cmp_gt_u32_e32 vcc, 3, v0
	ds_write2st64_b64 v78, v[80:81], v[76:77] offset1:1
	ds_write2st64_b64 v78, v[72:73], v[68:69] offset0:2 offset1:3
	s_and_saveexec_b64 s[4:5], vcc
	s_cbranch_execz .LBB706_19
; %bb.18:
	s_mov_b32 s41, 0
	v_mov_b32_e32 v85, 0
	v_lshl_add_u64 v[66:67], s[40:41], 0, v[84:85]
	v_mov_b32_e32 v1, s7
	v_mad_u64_u32 v[66:67], s[10:11], s2, v1, v[66:67]
	s_mul_i32 s3, s3, s7
	v_mov_b32_e32 v68, s26
	v_mov_b32_e32 v69, v85
	s_load_dwordx4 s[12:15], s[0:1], 0x58
	v_add_u32_e32 v1, s3, v67
	v_mad_u64_u32 v[66:67], s[10:11], v66, s6, v[68:69]
	v_mov_b32_e32 v68, v67
	v_mad_u64_u32 v[68:69], s[10:11], v1, s6, v[68:69]
	v_mov_b32_e32 v67, v68
	v_lshlrev_b64 v[66:67], 2, v[66:67]
	s_waitcnt lgkmcnt(0)
	v_lshl_add_u64 v[68:69], s[14:15], 0, v[66:67]
	v_lshl_add_u64 v[66:67], s[12:13], 0, v[66:67]
	global_store_dword v[68:69], v86, off
	global_store_dword v[66:67], v87, off
.LBB706_19:
	s_or_b64 exec, exec, s[4:5]
	v_lshl_or_b32 v1, v88, 9, v79
	s_waitcnt lgkmcnt(0)
	s_barrier
	ds_read_b128 v[70:73], v1
	ds_read_b128 v[66:69], v1 offset:16
	s_waitcnt vmcnt(15) lgkmcnt(1)
	v_mfma_f32_16x16x16_bf16 v[74:77], v[30:31], v[70:71], 0
	v_cmp_gt_u32_e32 vcc, 64, v0
	v_cmp_ne_u32_e64 s[4:5], 3, v88
	s_mov_b32 s3, 0
	v_mfma_f32_16x16x16_bf16 v[30:33], v[32:33], v[72:73], v[74:77]
	s_and_b64 s[4:5], vcc, s[4:5]
	s_waitcnt vmcnt(14) lgkmcnt(0)
	v_mfma_f32_16x16x16_bf16 v[30:33], v[26:27], v[66:67], v[30:33]
	v_mfma_f32_16x16x16_bf16 v[26:29], v[28:29], v[68:69], v[30:33]
	s_nop 5
	ds_read_b128 v[30:33], v1 offset:2048
	ds_read_b128 v[74:77], v1 offset:2064
	s_waitcnt vmcnt(13) lgkmcnt(1)
	v_mfma_f32_16x16x16_bf16 v[26:29], v[22:23], v[30:31], v[26:29]
	v_mfma_f32_16x16x16_bf16 v[22:25], v[24:25], v[32:33], v[26:29]
	s_waitcnt vmcnt(12) lgkmcnt(0)
	v_mfma_f32_16x16x16_bf16 v[22:25], v[18:19], v[74:75], v[22:25]
	v_mfma_f32_16x16x16_bf16 v[18:21], v[20:21], v[76:77], v[22:25]
	s_nop 5
	ds_read_b128 v[22:25], v1 offset:4096
	ds_read_b128 v[26:29], v1 offset:4112
	s_waitcnt vmcnt(11) lgkmcnt(1)
	v_mfma_f32_16x16x16_bf16 v[18:21], v[14:15], v[22:23], v[18:21]
	v_mfma_f32_16x16x16_bf16 v[14:17], v[16:17], v[24:25], v[18:21]
	s_waitcnt vmcnt(10) lgkmcnt(0)
	v_mfma_f32_16x16x16_bf16 v[14:17], v[10:11], v[26:27], v[14:17]
	v_mfma_f32_16x16x16_bf16 v[10:13], v[12:13], v[28:29], v[14:17]
	s_nop 5
	ds_read_b128 v[14:17], v1 offset:6144
	ds_read_b128 v[18:21], v1 offset:6160
	s_waitcnt lgkmcnt(0)
	s_barrier
	s_waitcnt vmcnt(9)
	v_mfma_f32_16x16x16_bf16 v[10:13], v[6:7], v[14:15], v[10:13]
	v_mfma_f32_16x16x16_bf16 v[6:9], v[8:9], v[16:17], v[10:13]
	s_waitcnt vmcnt(8)
	v_mfma_f32_16x16x16_bf16 v[6:9], v[2:3], v[18:19], v[6:9]
	v_mfma_f32_16x16x16_bf16 v[2:5], v[4:5], v[20:21], v[6:9]
	;; [unrolled: 3-line block ×3, first 2 shown]
	s_nop 3
	v_bfe_u32 v1, v3, 16, 1
	v_bfe_u32 v10, v2, 16, 1
	v_add3_u32 v2, v2, v10, s8
	s_waitcnt vmcnt(6)
	v_mfma_f32_16x16x16_bf16 v[6:9], v[38:39], v[66:67], v[6:9]
	v_add3_u32 v1, v3, v1, s8
	v_perm_b32 v10, v1, v2, s9
	v_bfe_u32 v1, v5, 16, 1
	v_mfma_f32_16x16x16_bf16 v[6:9], v[40:41], v[68:69], v[6:9]
	v_bfe_u32 v2, v4, 16, 1
	v_add3_u32 v2, v4, v2, s8
	v_add3_u32 v1, v5, v1, s8
	s_waitcnt vmcnt(5)
	v_mfma_f32_16x16x16_bf16 v[6:9], v[42:43], v[30:31], v[6:9]
	v_perm_b32 v11, v1, v2, s9
	v_mfma_f32_16x16x16_bf16 v[6:9], v[44:45], v[32:33], v[6:9]
	s_waitcnt vmcnt(4)
	v_mfma_f32_16x16x16_bf16 v[6:9], v[34:35], v[74:75], v[6:9]
	v_mfma_f32_16x16x16_bf16 v[6:9], v[36:37], v[76:77], v[6:9]
	s_waitcnt vmcnt(3)
	v_mfma_f32_16x16x16_bf16 v[6:9], v[58:59], v[22:23], v[6:9]
	;; [unrolled: 3-line block ×5, first 2 shown]
	v_mfma_f32_16x16x16_bf16 v[2:5], v[52:53], v[20:21], v[6:9]
	s_nop 6
	v_bfe_u32 v1, v3, 16, 1
	v_bfe_u32 v6, v2, 16, 1
	v_add3_u32 v2, v2, v6, s8
	v_add3_u32 v1, v3, v1, s8
	v_perm_b32 v2, v1, v2, s9
	v_bfe_u32 v1, v5, 16, 1
	v_bfe_u32 v3, v4, 16, 1
	v_add3_u32 v3, v4, v3, s8
	v_add3_u32 v1, v5, v1, s8
	v_perm_b32 v3, v1, v3, s9
	ds_write2st64_b64 v78, v[10:11], v[2:3] offset1:1
	s_waitcnt lgkmcnt(0)
	s_barrier
	s_and_saveexec_b64 s[8:9], s[4:5]
	s_cbranch_execz .LBB706_21
; %bb.20:
	scratch_load_dword v4, off, off         ; 4-byte Folded Reload
	s_load_dwordx2 s[0:1], s[0:1], 0x68
	s_mul_i32 s2, s7, s2
	s_lshl_b32 s6, s6, 7
	v_lshlrev_b32_e32 v3, 6, v84
	s_mul_hi_u32 s5, s2, s6
	s_mul_i32 s4, s2, s6
	v_lshlrev_b32_e32 v2, 4, v0
	v_lshl_or_b32 v0, v0, 10, v3
	s_lshl_b64 s[4:5], s[4:5], 1
	v_lshlrev_b32_e32 v1, 5, v88
	v_and_b32_e32 v2, 16, v2
	v_and_b32_e32 v0, 0x1a00, v0
	s_waitcnt lgkmcnt(0)
	s_add_u32 s4, s0, s4
	v_or3_b32 v0, v0, v1, v2
	s_addc_u32 s5, s1, s5
	s_lshl_b32 s2, s26, 7
	ds_read_b128 v[0:3], v0
	s_lshl_b64 s[0:1], s[2:3], 1
	s_add_u32 s0, s4, s0
	s_addc_u32 s1, s5, s1
	s_waitcnt vmcnt(0)
	v_mad_u64_u32 v[4:5], s[2:3], s6, v4, 0
	v_lshl_add_u64 v[4:5], v[4:5], 1, s[0:1]
	v_lshl_add_u64 v[4:5], v[82:83], 1, v[4:5]
	s_waitcnt lgkmcnt(0)
	global_store_dwordx4 v[4:5], v[0:3], off
.LBB706_21:
	s_endpgm
	.section	.rodata,"a",@progbits
	.p2align	6, 0x0
	.amdhsa_kernel _Z39paged_attention_ll4mi_QKV_mfma16_kernelI14__hip_bfloat16S0_LN4vllm18Fp8KVCacheDataTypeE0EhLi32ELi128ELi256ELb1ELi3EEvPKT_PKT0_S8_ifPKiSA_SA_iPKfiiiPfSD_PS3_PT2_iSC_SC_
		.amdhsa_group_segment_fixed_size 8192
		.amdhsa_private_segment_fixed_size 8
		.amdhsa_kernarg_size 400
		.amdhsa_user_sgpr_count 2
		.amdhsa_user_sgpr_dispatch_ptr 0
		.amdhsa_user_sgpr_queue_ptr 0
		.amdhsa_user_sgpr_kernarg_segment_ptr 1
		.amdhsa_user_sgpr_dispatch_id 0
		.amdhsa_user_sgpr_kernarg_preload_length 0
		.amdhsa_user_sgpr_kernarg_preload_offset 0
		.amdhsa_user_sgpr_private_segment_size 0
		.amdhsa_uses_dynamic_stack 0
		.amdhsa_enable_private_segment 1
		.amdhsa_system_sgpr_workgroup_id_x 1
		.amdhsa_system_sgpr_workgroup_id_y 1
		.amdhsa_system_sgpr_workgroup_id_z 1
		.amdhsa_system_sgpr_workgroup_info 0
		.amdhsa_system_vgpr_workitem_id 0
		.amdhsa_next_free_vgpr 96
		.amdhsa_next_free_sgpr 42
		.amdhsa_accum_offset 96
		.amdhsa_reserve_vcc 1
		.amdhsa_float_round_mode_32 0
		.amdhsa_float_round_mode_16_64 0
		.amdhsa_float_denorm_mode_32 3
		.amdhsa_float_denorm_mode_16_64 3
		.amdhsa_dx10_clamp 1
		.amdhsa_ieee_mode 1
		.amdhsa_fp16_overflow 0
		.amdhsa_tg_split 0
		.amdhsa_exception_fp_ieee_invalid_op 0
		.amdhsa_exception_fp_denorm_src 0
		.amdhsa_exception_fp_ieee_div_zero 0
		.amdhsa_exception_fp_ieee_overflow 0
		.amdhsa_exception_fp_ieee_underflow 0
		.amdhsa_exception_fp_ieee_inexact 0
		.amdhsa_exception_int_div_zero 0
	.end_amdhsa_kernel
	.section	.text._Z39paged_attention_ll4mi_QKV_mfma16_kernelI14__hip_bfloat16S0_LN4vllm18Fp8KVCacheDataTypeE0EhLi32ELi128ELi256ELb1ELi3EEvPKT_PKT0_S8_ifPKiSA_SA_iPKfiiiPfSD_PS3_PT2_iSC_SC_,"axG",@progbits,_Z39paged_attention_ll4mi_QKV_mfma16_kernelI14__hip_bfloat16S0_LN4vllm18Fp8KVCacheDataTypeE0EhLi32ELi128ELi256ELb1ELi3EEvPKT_PKT0_S8_ifPKiSA_SA_iPKfiiiPfSD_PS3_PT2_iSC_SC_,comdat
.Lfunc_end706:
	.size	_Z39paged_attention_ll4mi_QKV_mfma16_kernelI14__hip_bfloat16S0_LN4vllm18Fp8KVCacheDataTypeE0EhLi32ELi128ELi256ELb1ELi3EEvPKT_PKT0_S8_ifPKiSA_SA_iPKfiiiPfSD_PS3_PT2_iSC_SC_, .Lfunc_end706-_Z39paged_attention_ll4mi_QKV_mfma16_kernelI14__hip_bfloat16S0_LN4vllm18Fp8KVCacheDataTypeE0EhLi32ELi128ELi256ELb1ELi3EEvPKT_PKT0_S8_ifPKiSA_SA_iPKfiiiPfSD_PS3_PT2_iSC_SC_
                                        ; -- End function
	.section	.AMDGPU.csdata,"",@progbits
; Kernel info:
; codeLenInByte = 5164
; NumSgprs: 48
; NumVgprs: 96
; NumAgprs: 0
; TotalNumVgprs: 96
; ScratchSize: 8
; MemoryBound: 0
; FloatMode: 240
; IeeeMode: 1
; LDSByteSize: 8192 bytes/workgroup (compile time only)
; SGPRBlocks: 5
; VGPRBlocks: 11
; NumSGPRsForWavesPerEU: 48
; NumVGPRsForWavesPerEU: 96
; AccumOffset: 96
; Occupancy: 5
; WaveLimiterHint : 1
; COMPUTE_PGM_RSRC2:SCRATCH_EN: 1
; COMPUTE_PGM_RSRC2:USER_SGPR: 2
; COMPUTE_PGM_RSRC2:TRAP_HANDLER: 0
; COMPUTE_PGM_RSRC2:TGID_X_EN: 1
; COMPUTE_PGM_RSRC2:TGID_Y_EN: 1
; COMPUTE_PGM_RSRC2:TGID_Z_EN: 1
; COMPUTE_PGM_RSRC2:TIDIG_COMP_CNT: 0
; COMPUTE_PGM_RSRC3_GFX90A:ACCUM_OFFSET: 23
; COMPUTE_PGM_RSRC3_GFX90A:TG_SPLIT: 0
	.section	.text._Z39paged_attention_ll4mi_QKV_mfma16_kernelI14__hip_bfloat16S0_LN4vllm18Fp8KVCacheDataTypeE0EhLi32ELi128ELi256ELb1ELi4EEvPKT_PKT0_S8_ifPKiSA_SA_iPKfiiiPfSD_PS3_PT2_iSC_SC_,"axG",@progbits,_Z39paged_attention_ll4mi_QKV_mfma16_kernelI14__hip_bfloat16S0_LN4vllm18Fp8KVCacheDataTypeE0EhLi32ELi128ELi256ELb1ELi4EEvPKT_PKT0_S8_ifPKiSA_SA_iPKfiiiPfSD_PS3_PT2_iSC_SC_,comdat
	.protected	_Z39paged_attention_ll4mi_QKV_mfma16_kernelI14__hip_bfloat16S0_LN4vllm18Fp8KVCacheDataTypeE0EhLi32ELi128ELi256ELb1ELi4EEvPKT_PKT0_S8_ifPKiSA_SA_iPKfiiiPfSD_PS3_PT2_iSC_SC_ ; -- Begin function _Z39paged_attention_ll4mi_QKV_mfma16_kernelI14__hip_bfloat16S0_LN4vllm18Fp8KVCacheDataTypeE0EhLi32ELi128ELi256ELb1ELi4EEvPKT_PKT0_S8_ifPKiSA_SA_iPKfiiiPfSD_PS3_PT2_iSC_SC_
	.globl	_Z39paged_attention_ll4mi_QKV_mfma16_kernelI14__hip_bfloat16S0_LN4vllm18Fp8KVCacheDataTypeE0EhLi32ELi128ELi256ELb1ELi4EEvPKT_PKT0_S8_ifPKiSA_SA_iPKfiiiPfSD_PS3_PT2_iSC_SC_
	.p2align	8
	.type	_Z39paged_attention_ll4mi_QKV_mfma16_kernelI14__hip_bfloat16S0_LN4vllm18Fp8KVCacheDataTypeE0EhLi32ELi128ELi256ELb1ELi4EEvPKT_PKT0_S8_ifPKiSA_SA_iPKfiiiPfSD_PS3_PT2_iSC_SC_,@function
_Z39paged_attention_ll4mi_QKV_mfma16_kernelI14__hip_bfloat16S0_LN4vllm18Fp8KVCacheDataTypeE0EhLi32ELi128ELi256ELb1ELi4EEvPKT_PKT0_S8_ifPKiSA_SA_iPKfiiiPfSD_PS3_PT2_iSC_SC_: ; @_Z39paged_attention_ll4mi_QKV_mfma16_kernelI14__hip_bfloat16S0_LN4vllm18Fp8KVCacheDataTypeE0EhLi32ELi128ELi256ELb1ELi4EEvPKT_PKT0_S8_ifPKiSA_SA_iPKfiiiPfSD_PS3_PT2_iSC_SC_
; %bb.0:
	s_load_dwordx2 s[8:9], s[0:1], 0x30
	s_mov_b32 s20, s3
	s_mov_b64 s[6:7], 0
	s_waitcnt lgkmcnt(0)
	s_cmp_lg_u64 s[8:9], 0
	s_cselect_b64 s[10:11], -1, 0
	s_and_b64 vcc, exec, s[10:11]
	s_cbranch_vccz .LBB707_7
; %bb.1:
	s_add_i32 s12, s2, 1
	s_mov_b32 s13, 0
	s_lshl_b64 s[14:15], s[12:13], 2
	s_add_u32 s14, s8, s14
	s_mov_b32 s3, s13
	s_addc_u32 s15, s9, s15
	s_lshl_b64 s[12:13], s[2:3], 2
	s_add_u32 s12, s8, s12
	s_addc_u32 s13, s9, s13
	s_load_dword s5, s[14:15], 0x0
	s_load_dword s16, s[12:13], 0x0
	s_waitcnt lgkmcnt(0)
	s_sub_i32 s5, s5, s16
	s_cmp_eq_u32 s5, 1
	s_cselect_b64 s[12:13], -1, 0
	s_andn2_b64 vcc, exec, s[6:7]
	s_cbranch_vccnz .LBB707_3
.LBB707_2:
	s_mov_b32 s3, 0
	s_mov_b64 s[12:13], -1
.LBB707_3:
	s_andn2_b64 vcc, exec, s[12:13]
	s_cbranch_vccnz .LBB707_21
; %bb.4:
	s_load_dwordx2 s[6:7], s[0:1], 0x28
	s_lshl_b64 s[12:13], s[2:3], 2
	s_waitcnt lgkmcnt(0)
	s_add_u32 s6, s6, s12
	s_addc_u32 s7, s7, s13
	s_load_dword s33, s[6:7], 0x0
	s_lshl_b32 s18, s20, 8
	s_waitcnt lgkmcnt(0)
	s_cmp_ge_i32 s18, s33
	s_cbranch_scc1 .LBB707_21
; %bb.5:
	s_load_dwordx2 s[6:7], s[0:1], 0x20
	s_load_dword s5, s[0:1], 0x38
	s_add_i32 s14, s33, 31
	s_ashr_i32 s15, s14, 31
	v_and_b32_e32 v1, 0xcf, v0
	s_lshr_b32 s15, s15, 27
	v_add_u32_e32 v1, s18, v1
	s_add_i32 s14, s14, s15
	v_ashrrev_i32_e32 v2, 31, v1
	s_ashr_i32 s19, s14, 5
	v_lshrrev_b32_e32 v4, 27, v2
	s_add_i32 s19, s19, -1
	s_waitcnt lgkmcnt(0)
	s_mul_i32 s14, s2, s5
	s_mov_b32 s15, 0
	v_add_u32_e32 v2, v1, v4
	s_lshl_b64 s[14:15], s[14:15], 2
	v_ashrrev_i32_e32 v2, 5, v2
	v_mov_b32_e32 v5, s19
	v_cmp_gt_i32_e32 vcc, s33, v1
	s_add_u32 s6, s6, s14
	s_addc_u32 s7, s7, s15
	v_cndmask_b32_e32 v2, v5, v2, vcc
	v_ashrrev_i32_e32 v3, 31, v2
	v_lshl_add_u64 v[6:7], v[2:3], 2, s[6:7]
	v_or_b32_e32 v2, 16, v1
	v_add_u32_e32 v3, v2, v4
	v_ashrrev_i32_e32 v3, 5, v3
	v_cmp_gt_i32_e32 vcc, s33, v2
	s_nop 1
	v_cndmask_b32_e32 v2, v5, v3, vcc
	v_ashrrev_i32_e32 v3, 31, v2
	v_lshl_add_u64 v[8:9], v[2:3], 2, s[6:7]
	v_or_b32_e32 v2, 32, v1
	v_add_u32_e32 v3, v2, v4
	v_ashrrev_i32_e32 v3, 5, v3
	v_cmp_gt_i32_e32 vcc, s33, v2
	v_or_b32_e32 v1, 48, v1
	s_nop 0
	v_cndmask_b32_e32 v2, v5, v3, vcc
	v_ashrrev_i32_e32 v3, 31, v2
	v_lshl_add_u64 v[10:11], v[2:3], 2, s[6:7]
	v_add_u32_e32 v2, v1, v4
	v_ashrrev_i32_e32 v2, 5, v2
	v_cmp_gt_i32_e32 vcc, s33, v1
	s_nop 1
	v_cndmask_b32_e32 v2, v5, v2, vcc
	v_ashrrev_i32_e32 v3, 31, v2
	v_lshl_add_u64 v[12:13], v[2:3], 2, s[6:7]
	global_load_dword v5, v[6:7], off
	global_load_dword v4, v[8:9], off
	global_load_dword v3, v[10:11], off
	global_load_dword v2, v[12:13], off
	s_andn2_b64 vcc, exec, s[10:11]
	s_cbranch_vccnz .LBB707_8
; %bb.6:
	s_add_u32 s8, s8, s12
	s_addc_u32 s9, s9, s13
	s_load_dword s5, s[8:9], 0x0
	s_branch .LBB707_9
.LBB707_7:
	s_mov_b64 s[12:13], 0
	s_branch .LBB707_2
.LBB707_8:
	s_mov_b32 s5, s2
.LBB707_9:
	s_load_dwordx2 s[14:15], s[0:1], 0x8
	s_load_dwordx4 s[8:11], s[0:1], 0x48
	v_and_b32_e32 v1, 15, v0
	v_bfe_u32 v90, v0, 4, 2
	s_lshl_b32 s21, s4, 2
	v_lshlrev_b32_e32 v82, 3, v1
	v_cmp_gt_u32_e64 s[22:23], 64, v0
	v_cmp_lt_u32_e32 vcc, 63, v0
	s_and_saveexec_b64 s[12:13], vcc
	s_xor_b64 s[12:13], exec, s[12:13]
; %bb.10:
	v_mov_b32_e32 v83, 0
; %bb.11:
	s_or_saveexec_b64 s[16:17], s[12:13]
	s_load_dwordx2 s[12:13], s[0:1], 0x10
	v_or_b32_e32 v6, s21, v90
	v_lshrrev_b32_e32 v91, 6, v0
	scratch_store_dword off, v6, off        ; 4-byte Folded Spill
	v_and_b32_e32 v14, 3, v0
	v_lshlrev_b32_e32 v6, 5, v90
	scratch_store_dword off, v6, off offset:4 ; 4-byte Folded Spill
	s_xor_b64 exec, exec, s[16:17]
	s_cbranch_execz .LBB707_13
; %bb.12:
	scratch_load_dword v6, off, off         ; 4-byte Folded Reload
	s_load_dwordx2 s[24:25], s[0:1], 0x0
	s_waitcnt lgkmcnt(0)
	s_ashr_i32 s11, s8, 31
	s_mul_hi_u32 s26, s5, s8
	s_mul_i32 s11, s5, s11
	s_add_i32 s27, s26, s11
	s_mul_i32 s26, s5, s8
	s_lshl_b64 s[26:27], s[26:27], 1
	s_add_u32 s24, s24, s26
	s_addc_u32 s25, s25, s27
	v_mov_b32_e32 v83, 0
	v_lshlrev_b32_e32 v8, 1, v82
	v_mov_b32_e32 v9, v83
	v_lshlrev_b32_e32 v10, 5, v90
	v_lshlrev_b32_e32 v12, 9, v1
	v_lshl_or_b32 v10, v91, 7, v10
	v_lshlrev_b32_e32 v11, 9, v14
	v_and_b32_e32 v12, 0x1800, v12
	v_or3_b32 v10, v12, v11, v10
	s_waitcnt vmcnt(0)
	v_lshlrev_b32_e32 v6, 7, v6
	v_ashrrev_i32_e32 v7, 31, v6
	v_lshl_add_u64 v[6:7], v[6:7], 1, s[24:25]
	v_lshl_add_u64 v[6:7], v[6:7], 0, v[8:9]
	global_load_dwordx4 v[6:9], v[6:7], off
	s_waitcnt vmcnt(0)
	ds_write_b128 v10, v[6:9]
.LBB707_13:
	s_or_b64 exec, exec, s[16:17]
	s_waitcnt lgkmcnt(0)
	s_mul_i32 s4, s4, s10
	s_mov_b32 s5, 0
	s_lshl_b64 s[4:5], s[4:5], 1
	s_add_u32 s10, s14, s4
	s_addc_u32 s11, s15, s5
	s_waitcnt vmcnt(5)
	v_mad_i64_i32 v[6:7], s[14:15], v5, s9, 0
	v_lshl_add_u64 v[6:7], v[6:7], 1, s[10:11]
	v_lshlrev_b64 v[8:9], 1, v[82:83]
	v_lshlrev_b32_e32 v84, 9, v90
	v_lshl_add_u64 v[6:7], v[6:7], 0, v[8:9]
	v_mov_b32_e32 v85, 0
	v_lshl_add_u64 v[10:11], v[6:7], 0, v[84:85]
	v_or_b32_e32 v16, 0x1000, v84
	v_mov_b32_e32 v17, v85
	v_or_b32_e32 v34, 0x1800, v84
	v_mov_b32_e32 v35, v85
	s_barrier
	global_load_dwordx4 v[74:77], v[10:11], off
	global_load_dwordx4 v[66:69], v[10:11], off offset:2048
	v_lshl_add_u64 v[10:11], v[6:7], 0, v[16:17]
	v_lshl_add_u64 v[6:7], v[6:7], 0, v[34:35]
	global_load_dwordx4 v[78:81], v[10:11], off
	global_load_dwordx4 v[70:73], v[6:7], off
	s_waitcnt vmcnt(8)
	v_mad_i64_i32 v[4:5], s[14:15], v4, s9, 0
	v_mov_b32_e32 v6, 0x100
	v_lshl_add_u64 v[4:5], v[4:5], 1, s[10:11]
	v_lshl_or_b32 v6, v1, 4, v6
	v_mov_b32_e32 v7, v85
	v_lshl_add_u64 v[4:5], v[4:5], 0, v[6:7]
	v_lshl_add_u64 v[10:11], v[4:5], 0, v[84:85]
	global_load_dwordx4 v[62:65], v[10:11], off
	global_load_dwordx4 v[58:61], v[10:11], off offset:2048
	v_lshl_add_u64 v[10:11], v[4:5], 0, v[16:17]
	v_lshl_add_u64 v[4:5], v[4:5], 0, v[34:35]
	global_load_dwordx4 v[54:57], v[10:11], off
	global_load_dwordx4 v[30:33], v[4:5], off
	s_waitcnt vmcnt(11)
	v_mad_i64_i32 v[4:5], s[14:15], v3, s9, 0
	v_lshl_add_u64 v[4:5], v[4:5], 1, s[10:11]
	s_waitcnt vmcnt(10)
	v_mad_i64_i32 v[2:3], s[14:15], v2, s9, 0
	v_lshl_add_u64 v[4:5], v[4:5], 0, v[8:9]
	v_lshl_add_u64 v[2:3], v[2:3], 1, s[10:11]
	;; [unrolled: 1-line block ×4, first 2 shown]
	global_load_dwordx4 v[26:29], v[8:9], off
	global_load_dwordx4 v[22:25], v[8:9], off offset:2048
	v_lshl_add_u64 v[8:9], v[4:5], 0, v[16:17]
	v_lshl_add_u64 v[4:5], v[4:5], 0, v[34:35]
	;; [unrolled: 1-line block ×5, first 2 shown]
	global_load_dwordx4 v[18:21], v[8:9], off
	global_load_dwordx4 v[10:13], v[4:5], off
	s_nop 0
	global_load_dwordx4 v[6:9], v[2:3], off
	s_nop 0
	global_load_dwordx4 v[2:5], v[2:3], off offset:2048
	s_nop 0
	global_load_dwordx4 v[42:45], v[16:17], off
	s_nop 0
	global_load_dwordx4 v[34:37], v[34:35], off
	v_lshl_or_b32 v38, v14, 5, v84
	ds_read_b128 v[14:17], v38
	ds_read_b128 v[50:53], v38 offset:2048
	ds_read_b128 v[46:49], v38 offset:4096
	;; [unrolled: 1-line block ×3, first 2 shown]
	v_and_b32_e32 v94, 63, v0
	v_cmp_gt_u32_e32 vcc, 4, v1
	v_mov_b32_e32 v92, 0
	s_and_saveexec_b64 s[10:11], vcc
	s_cbranch_execz .LBB707_15
; %bb.14:
	s_load_dwordx2 s[14:15], s[0:1], 0x40
	v_or_b32_e32 v86, s21, v1
	v_ashrrev_i32_e32 v87, 31, v86
	s_waitcnt lgkmcnt(0)
	v_lshl_add_u64 v[86:87], v[86:87], 2, s[14:15]
	global_load_dword v92, v[86:87], off
.LBB707_15:
	s_or_b64 exec, exec, s[10:11]
	s_waitcnt vmcnt(15) lgkmcnt(3)
	v_mfma_f32_16x16x16_bf16 v[86:89], v[74:75], v[14:15], 0
	s_ashr_i32 s8, s18, 31
	s_lshr_b32 s8, s8, 27
	s_add_u32 s4, s12, s4
	v_mfma_f32_16x16x16_bf16 v[74:77], v[76:77], v[16:17], v[86:89]
	s_addc_u32 s5, s13, s5
	s_mov_b32 s42, 0xff7fffff
	s_waitcnt vmcnt(14) lgkmcnt(2)
	v_mfma_f32_16x16x16_bf16 v[74:77], v[66:67], v[50:51], v[74:77]
	v_lshl_or_b32 v86, v91, 4, v1
	v_mfma_f32_16x16x16_bf16 v[66:69], v[68:69], v[52:53], v[74:77]
	s_waitcnt vmcnt(13) lgkmcnt(1)
	v_mfma_f32_16x16x16_bf16 v[66:69], v[78:79], v[46:47], v[66:69]
	s_nop 2
	v_and_or_b32 v76, v0, 48, s18
	v_mov_b32_e32 v77, s19
	v_cmp_gt_i32_e32 vcc, s33, v76
	v_mfma_f32_16x16x16_bf16 v[66:69], v[80:81], v[48:49], v[66:69]
	s_waitcnt vmcnt(12) lgkmcnt(0)
	v_mfma_f32_16x16x16_bf16 v[66:69], v[70:71], v[38:39], v[66:69]
	v_add_u32_e32 v70, s8, v76
	v_ashrrev_i32_e32 v74, 5, v70
	v_cndmask_b32_e32 v74, v77, v74, vcc
	v_mfma_f32_16x16x16_bf16 v[66:69], v[72:73], v[40:41], v[66:69]
	v_ashrrev_i32_e32 v75, 31, v74
	s_waitcnt vmcnt(11)
	v_mfma_f32_16x16x16_bf16 v[70:73], v[62:63], v[14:15], 0
	v_mfma_f32_16x16x16_bf16 v[62:65], v[64:65], v[16:17], v[70:73]
	s_waitcnt vmcnt(10)
	v_mfma_f32_16x16x16_bf16 v[62:65], v[58:59], v[50:51], v[62:65]
	s_nop 3
	v_or_b32_e32 v72, 64, v76
	v_add_u32_e32 v73, s8, v72
	v_ashrrev_i32_e32 v58, 5, v73
	v_cmp_gt_i32_e32 vcc, s33, v72
	v_lshl_add_u64 v[70:71], v[74:75], 2, s[6:7]
	s_nop 0
	v_cndmask_b32_e32 v72, v77, v58, vcc
	v_mfma_f32_16x16x16_bf16 v[58:61], v[60:61], v[52:53], v[62:65]
	v_ashrrev_i32_e32 v73, 31, v72
	s_waitcnt vmcnt(9)
	v_mfma_f32_16x16x16_bf16 v[58:61], v[54:55], v[46:47], v[58:61]
	v_lshl_add_u64 v[62:63], v[72:73], 2, s[6:7]
	global_load_dword v64, v[70:71], off
	s_nop 0
	global_load_dword v62, v[62:63], off
	v_or_b32_e32 v63, 0x80, v76
	v_add_u32_e32 v65, s8, v63
	v_mfma_f32_16x16x16_bf16 v[54:57], v[56:57], v[48:49], v[58:61]
	v_cmp_gt_i32_e32 vcc, s33, v63
	s_nop 1
	v_ashrrev_i32_e32 v58, 5, v65
	v_cndmask_b32_e32 v58, v77, v58, vcc
	v_ashrrev_i32_e32 v59, 31, v58
	s_waitcnt vmcnt(10)
	v_mfma_f32_16x16x16_bf16 v[54:57], v[30:31], v[38:39], v[54:57]
	v_lshl_add_u64 v[30:31], v[58:59], 2, s[6:7]
	global_load_dword v60, v[30:31], off
	v_or_b32_e32 v58, 0xc0, v76
	v_add_u32_e32 v30, s8, v58
	v_ashrrev_i32_e32 v59, 5, v30
	v_cmp_gt_i32_e32 vcc, s33, v58
	v_mfma_f32_16x16x16_bf16 v[54:57], v[32:33], v[40:41], v[54:57]
	s_waitcnt vmcnt(10)
	v_mfma_f32_16x16x16_bf16 v[30:33], v[26:27], v[14:15], 0
	v_cndmask_b32_e32 v26, v77, v59, vcc
	v_ashrrev_i32_e32 v27, 31, v26
	v_lshl_add_u64 v[58:59], v[26:27], 2, s[6:7]
	global_load_dword v63, v[58:59], off
	v_mfma_f32_16x16x16_bf16 v[26:29], v[28:29], v[16:17], v[30:33]
	s_load_dword s6, s[0:1], 0x1c
	s_waitcnt vmcnt(10)
	v_mfma_f32_16x16x16_bf16 v[26:29], v[22:23], v[50:51], v[26:29]
	v_and_b32_e32 v30, 16, v0
	v_lshlrev_b32_e32 v84, 1, v30
	v_lshl_add_u64 v[78:79], s[4:5], 0, v[84:85]
	v_mfma_f32_16x16x16_bf16 v[22:25], v[24:25], v[52:53], v[26:29]
	v_lshlrev_b32_e32 v84, 6, v86
	v_lshl_add_u64 v[74:75], v[78:79], 0, v[84:85]
	v_or_b32_e32 v84, 0x1000, v84
	s_waitcnt vmcnt(9)
	v_mfma_f32_16x16x16_bf16 v[22:25], v[18:19], v[46:47], v[22:25]
	v_mfma_f32_16x16x16_bf16 v[18:21], v[20:21], v[48:49], v[22:25]
	s_waitcnt vmcnt(8)
	v_mfma_f32_16x16x16_bf16 v[18:21], v[10:11], v[38:39], v[18:21]
	s_waitcnt vmcnt(3)
	s_nop 2
	v_mad_i64_i32 v[22:23], s[4:5], v64, s9, 0
	s_waitcnt vmcnt(2)
	v_mad_i64_i32 v[10:11], s[4:5], v62, s9, 0
	v_lshlrev_b64 v[80:81], 1, v[22:23]
	v_lshlrev_b64 v[58:59], 1, v[10:11]
	v_lshl_add_u64 v[22:23], v[74:75], 0, v[80:81]
	v_lshl_add_u64 v[10:11], v[74:75], 0, v[58:59]
	global_load_dwordx4 v[30:33], v[22:23], off
	global_load_dwordx4 v[26:29], v[22:23], off offset:16
	v_mfma_f32_16x16x16_bf16 v[70:73], v[12:13], v[40:41], v[18:21]
	global_load_dwordx4 v[22:25], v[10:11], off
	s_nop 1
	global_load_dwordx4 v[18:21], v[10:11], off offset:16
	v_mfma_f32_16x16x16_bf16 v[10:13], v[6:7], v[14:15], 0
	s_waitcnt vmcnt(5)
	v_mad_i64_i32 v[6:7], s[4:5], v60, s9, 0
	v_lshlrev_b64 v[60:61], 1, v[6:7]
	v_mfma_f32_16x16x16_bf16 v[6:9], v[8:9], v[16:17], v[10:13]
	v_mfma_f32_16x16x16_bf16 v[6:9], v[2:3], v[50:51], v[6:9]
	s_nop 1
	v_lshl_add_u64 v[10:11], v[74:75], 0, v[60:61]
	global_load_dwordx4 v[14:17], v[10:11], off
	s_nop 0
	global_load_dwordx4 v[10:13], v[10:11], off offset:16
	s_waitcnt vmcnt(6)
	v_mad_i64_i32 v[2:3], s[4:5], v63, s9, 0
	v_mfma_f32_16x16x16_bf16 v[62:65], v[4:5], v[52:53], v[6:9]
	v_lshlrev_b64 v[50:51], 1, v[2:3]
	v_lshl_add_u64 v[2:3], v[74:75], 0, v[50:51]
	s_waitcnt lgkmcnt(0)
	v_pk_mul_f32 v[52:53], s[6:7], v[66:67] op_sel_hi:[0,1]
	v_mfma_f32_16x16x16_bf16 v[74:77], v[42:43], v[46:47], v[62:65]
	v_pk_mul_f32 v[66:67], s[6:7], v[54:55] op_sel_hi:[0,1]
	global_load_dwordx4 v[6:9], v[2:3], off
	s_nop 0
	global_load_dwordx4 v[2:5], v[2:3], off offset:16
	v_lshl_add_u64 v[62:63], v[78:79], 0, v[84:85]
	v_mfma_f32_16x16x16_bf16 v[44:47], v[44:45], v[48:49], v[74:77]
	v_lshl_add_u64 v[42:43], v[62:63], 0, v[80:81]
	v_pk_mul_f32 v[80:81], s[6:7], v[68:69] op_sel_hi:[0,1]
	v_pk_mul_f32 v[68:69], s[6:7], v[70:71] op_sel_hi:[0,1]
	v_mfma_f32_16x16x16_bf16 v[44:47], v[34:35], v[38:39], v[44:47]
	v_pk_mul_f32 v[74:75], s[6:7], v[56:57] op_sel_hi:[0,1]
	v_pk_mul_f32 v[76:77], s[6:7], v[72:73] op_sel_hi:[0,1]
	v_lshl_add_u64 v[50:51], v[62:63], 0, v[50:51]
	v_mfma_f32_16x16x16_bf16 v[34:37], v[36:37], v[40:41], v[44:47]
	s_nop 6
	v_pk_mul_f32 v[70:71], s[6:7], v[34:35] op_sel_hi:[0,1]
	v_and_b32_e32 v34, 0xc0, v0
	v_add_u32_e32 v34, s18, v34
	v_lshl_or_b32 v34, v90, 2, v34
	v_or_b32_e32 v35, 1, v34
	v_pk_mul_f32 v[78:79], s[6:7], v[36:37] op_sel_hi:[0,1]
	v_subrev_u32_e32 v36, s33, v35
	v_add_u32_e32 v38, 1, v36
	v_add_u32_e32 v39, 2, v36
	v_cvt_f32_i32_e32 v37, v36
	v_cvt_f32_i32_e32 v38, v38
	;; [unrolled: 1-line block ×3, first 2 shown]
	v_add_u32_e32 v40, 3, v36
	v_fma_f32 v52, v92, v37, v52
	v_fmac_f32_e32 v53, v92, v38
	v_fma_f32 v80, v92, v39, v80
	v_add_u32_e32 v37, 16, v36
	v_add_u32_e32 v38, 17, v36
	;; [unrolled: 1-line block ×3, first 2 shown]
	v_cvt_f32_i32_e32 v40, v40
	v_cvt_f32_i32_e32 v37, v37
	;; [unrolled: 1-line block ×4, first 2 shown]
	v_fmac_f32_e32 v81, v92, v40
	v_add_u32_e32 v40, 19, v36
	v_fma_f32 v66, v92, v37, v66
	v_fmac_f32_e32 v67, v92, v38
	v_fma_f32 v74, v92, v39, v74
	v_add_u32_e32 v37, 32, v36
	v_add_u32_e32 v38, 33, v36
	;; [unrolled: 1-line block ×3, first 2 shown]
	v_cvt_f32_i32_e32 v40, v40
	v_cvt_f32_i32_e32 v37, v37
	;; [unrolled: 1-line block ×4, first 2 shown]
	v_fmac_f32_e32 v75, v92, v40
	v_add_u32_e32 v40, 35, v36
	v_fma_f32 v68, v92, v37, v68
	v_fmac_f32_e32 v69, v92, v38
	v_fma_f32 v76, v92, v39, v76
	v_add_u32_e32 v37, 48, v36
	v_add_u32_e32 v38, 49, v36
	;; [unrolled: 1-line block ×4, first 2 shown]
	v_cvt_f32_i32_e32 v36, v36
	v_cvt_f32_i32_e32 v37, v37
	;; [unrolled: 1-line block ×3, first 2 shown]
	v_cmp_gt_i32_e64 s[4:5], s33, v34
	v_fmac_f32_e32 v79, v92, v36
	v_mov_b32_e32 v36, 0xff7fffff
	v_cmp_gt_i32_e64 s[24:25], s33, v35
	v_fma_f32 v70, v92, v37, v70
	v_cndmask_b32_e64 v37, v36, v52, s[4:5]
	v_cndmask_b32_e64 v35, v36, v53, s[24:25]
	v_fmac_f32_e32 v71, v92, v38
	v_max3_f32 v35, v37, s42, v35
	v_or_b32_e32 v37, 2, v34
	v_or_b32_e32 v38, 3, v34
	v_cmp_gt_i32_e64 s[26:27], s33, v37
	v_cmp_gt_i32_e64 s[28:29], s33, v38
	v_cvt_f32_i32_e32 v40, v40
	v_cndmask_b32_e64 v37, v36, v80, s[26:27]
	v_cndmask_b32_e64 v38, v36, v81, s[28:29]
	v_max3_f32 v35, v35, v37, v38
	v_or_b32_e32 v37, 16, v34
	v_or_b32_e32 v38, 17, v34
	v_cmp_gt_i32_e64 s[30:31], s33, v37
	v_cmp_gt_i32_e64 s[34:35], s33, v38
	v_fmac_f32_e32 v77, v92, v40
	v_cndmask_b32_e64 v37, v36, v66, s[30:31]
	v_cndmask_b32_e64 v38, v36, v67, s[34:35]
	v_max3_f32 v35, v35, v37, v38
	v_or_b32_e32 v37, 18, v34
	v_or_b32_e32 v38, 19, v34
	v_cmp_gt_i32_e64 s[36:37], s33, v37
	v_cmp_gt_i32_e64 s[38:39], s33, v38
	v_cvt_f32_i32_e32 v39, v39
	v_cndmask_b32_e64 v37, v36, v74, s[36:37]
	v_cndmask_b32_e64 v38, v36, v75, s[38:39]
	v_max3_f32 v35, v35, v37, v38
	v_or_b32_e32 v37, 32, v34
	v_or_b32_e32 v38, 33, v34
	v_cmp_gt_i32_e64 s[16:17], s33, v37
	v_cmp_gt_i32_e64 s[18:19], s33, v38
	v_fma_f32 v78, v92, v39, v78
	v_cndmask_b32_e64 v37, v36, v68, s[16:17]
	v_cndmask_b32_e64 v38, v36, v69, s[18:19]
	v_max3_f32 v35, v35, v37, v38
	v_or_b32_e32 v37, 34, v34
	v_or_b32_e32 v38, 35, v34
	v_cmp_gt_i32_e64 s[12:13], s33, v37
	v_cmp_gt_i32_e64 s[14:15], s33, v38
	s_nop 0
	v_cndmask_b32_e64 v37, v36, v76, s[12:13]
	v_cndmask_b32_e64 v38, v36, v77, s[14:15]
	v_max3_f32 v35, v35, v37, v38
	v_or_b32_e32 v37, 48, v34
	v_or_b32_e32 v38, 49, v34
	v_cmp_gt_i32_e64 s[8:9], s33, v37
	v_cmp_gt_i32_e64 s[10:11], s33, v38
	s_nop 0
	v_cndmask_b32_e64 v37, v36, v70, s[8:9]
	v_cndmask_b32_e64 v38, v36, v71, s[10:11]
	v_max3_f32 v35, v35, v37, v38
	v_or_b32_e32 v37, 50, v34
	v_or_b32_e32 v34, 51, v34
	v_cmp_gt_i32_e32 vcc, s33, v37
	v_cmp_gt_i32_e64 s[6:7], s33, v34
	global_load_dwordx4 v[46:49], v[42:43], off
	global_load_dwordx4 v[38:41], v[42:43], off offset:16
	v_cndmask_b32_e32 v37, v36, v78, vcc
	v_cndmask_b32_e64 v34, v36, v79, s[6:7]
	v_max3_f32 v54, v35, v37, v34
	v_mbcnt_lo_u32_b32 v34, -1, 0
	v_mbcnt_hi_u32_b32 v55, -1, v34
	v_and_b32_e32 v34, 64, v55
	v_add_u32_e32 v56, 64, v34
	v_xor_b32_e32 v34, 32, v55
	v_cmp_lt_i32_e64 s[40:41], v34, v56
	s_nop 1
	v_cndmask_b32_e64 v34, v55, v34, s[40:41]
	v_lshlrev_b32_e32 v87, 2, v34
	ds_bpermute_b32 v57, v87, v54
	v_lshl_add_u64 v[34:35], v[62:63], 0, v[58:59]
	global_load_dwordx4 v[42:45], v[34:35], off
	s_nop 0
	global_load_dwordx4 v[34:37], v[34:35], off offset:16
	s_waitcnt lgkmcnt(0)
	v_max_f32_e32 v57, v57, v57
	v_max_f32_e32 v64, v54, v57
	v_xor_b32_e32 v54, 16, v55
	v_cmp_lt_i32_e64 s[40:41], v54, v56
	s_nop 1
	v_cndmask_b32_e64 v54, v55, v54, s[40:41]
	v_lshlrev_b32_e32 v85, 2, v54
	ds_bpermute_b32 v65, v85, v64
	v_lshl_add_u64 v[54:55], v[62:63], 0, v[60:61]
	global_load_dwordx4 v[58:61], v[54:55], off
	s_nop 0
	global_load_dwordx4 v[54:57], v[54:55], off offset:16
	s_waitcnt lgkmcnt(0)
	v_max_f32_e32 v62, v65, v65
	v_max_f32_e32 v84, v64, v62
	v_sub_f32_e32 v52, v52, v84
	v_mul_f32_e32 v52, 0x3fb8aa3b, v52
	v_exp_f32_e32 v72, v52
	v_sub_f32_e32 v52, v53, v84
	v_mul_f32_e32 v52, 0x3fb8aa3b, v52
	v_exp_f32_e32 v73, v52
	global_load_dwordx4 v[62:65], v[50:51], off
	s_nop 0
	global_load_dwordx4 v[50:53], v[50:51], off offset:16
	v_sub_f32_e32 v80, v80, v84
	v_mul_f32_e32 v80, 0x3fb8aa3b, v80
	v_sub_f32_e32 v81, v81, v84
	v_exp_f32_e32 v80, v80
	v_mul_f32_e32 v81, 0x3fb8aa3b, v81
	v_sub_f32_e32 v66, v66, v84
	v_exp_f32_e32 v81, v81
	v_mul_f32_e32 v66, 0x3fb8aa3b, v66
	v_sub_f32_e32 v67, v67, v84
	v_cndmask_b32_e64 v72, 0, v72, s[4:5]
	v_exp_f32_e32 v66, v66
	v_mul_f32_e32 v67, 0x3fb8aa3b, v67
	v_sub_f32_e32 v74, v74, v84
	v_add_f32_e32 v88, 0, v72
	v_cndmask_b32_e64 v73, 0, v73, s[24:25]
	v_exp_f32_e32 v67, v67
	v_mul_f32_e32 v74, 0x3fb8aa3b, v74
	v_sub_f32_e32 v75, v75, v84
	v_add_f32_e32 v88, v88, v73
	;; [unrolled: 5-line block ×10, first 2 shown]
	v_cndmask_b32_e64 v76, 0, v76, s[12:13]
	v_exp_f32_e32 v78, v78
	v_mul_f32_e32 v79, 0x3fb8aa3b, v79
	v_add_f32_e32 v88, v88, v76
	v_cndmask_b32_e64 v77, 0, v77, s[14:15]
	v_exp_f32_e32 v79, v79
	v_add_f32_e32 v88, v88, v77
	v_cndmask_b32_e64 v70, 0, v70, s[8:9]
	v_add_f32_e32 v88, v88, v70
	v_cndmask_b32_e64 v71, 0, v71, s[10:11]
	v_add_f32_e32 v88, v88, v71
	v_cndmask_b32_e32 v78, 0, v78, vcc
	v_add_f32_e32 v88, v88, v78
	v_cndmask_b32_e64 v79, 0, v79, s[6:7]
	v_add_f32_e32 v92, v88, v79
	ds_bpermute_b32 v93, v87, v92
	s_load_dword s7, s[0:1], 0x98
	v_cmp_gt_u32_e32 vcc, 16, v94
	s_waitcnt lgkmcnt(0)
	s_barrier
	v_add_f32_e32 v92, v92, v93
	ds_bpermute_b32 v85, v85, v92
	s_waitcnt lgkmcnt(0)
	s_and_saveexec_b64 s[4:5], vcc
	s_cbranch_execz .LBB707_17
; %bb.16:
	v_add_f32_e32 v85, v92, v85
	v_lshlrev_b32_e32 v86, 2, v86
	ds_write2st64_b32 v86, v84, v85 offset1:1
.LBB707_17:
	s_or_b64 exec, exec, s[4:5]
	v_lshlrev_b32_e32 v85, 2, v1
	s_load_dword s6, s[0:1], 0x94
	s_waitcnt lgkmcnt(0)
	s_barrier
	ds_read2_b32 v[86:87], v85 offset1:16
	ds_read2_b32 v[88:89], v85 offset0:32 offset1:48
	ds_read2_b32 v[92:93], v85 offset0:64 offset1:80
	s_movk_i32 s8, 0x7fff
	s_mov_b32 s9, 0x7060302
	s_waitcnt lgkmcnt(2)
	v_max3_f32 v84, v86, s42, v87
	s_waitcnt lgkmcnt(1)
	v_max3_f32 v84, v84, v88, v89
	v_sub_f32_e32 v86, v86, v84
	v_mul_f32_e32 v86, 0x3fb8aa3b, v86
	v_exp_f32_e32 v94, v86
	v_sub_f32_e32 v86, v87, v84
	v_mul_f32_e32 v86, 0x3fb8aa3b, v86
	v_exp_f32_e32 v95, v86
	;; [unrolled: 3-line block ×3, first 2 shown]
	ds_read2_b32 v[86:87], v85 offset0:96 offset1:112
	v_sub_f32_e32 v85, v89, v84
	v_mul_f32_e32 v85, 0x3fb8aa3b, v85
	v_exp_f32_e32 v89, v85
	s_waitcnt lgkmcnt(1)
	v_fma_f32 v85, v94, v92, 0
	v_fmac_f32_e32 v85, v95, v93
	s_waitcnt lgkmcnt(0)
	v_fmac_f32_e32 v85, v88, v86
	v_fmac_f32_e32 v85, v89, v87
	v_add_f32_e32 v86, 0x358637bd, v85
	v_div_scale_f32 v87, s[4:5], v86, v86, 1.0
	v_rcp_f32_e32 v92, v87
	s_barrier
	v_fma_f32 v93, -v87, v92, 1.0
	v_fmac_f32_e32 v92, v93, v92
	v_div_scale_f32 v93, vcc, 1.0, v86, 1.0
	v_mul_f32_e32 v90, v93, v92
	v_fma_f32 v91, -v87, v90, v93
	v_fmac_f32_e32 v90, v91, v92
	v_fma_f32 v87, -v87, v90, v93
	v_div_fmas_f32 v87, v87, v92, v90
	v_lshrrev_b32_e32 v90, 6, v0
	v_cmp_eq_u32_e32 vcc, 1, v90
	v_div_fixup_f32 v86, v87, v86, 1.0
	s_lshl_b32 s7, s7, 2
	v_cndmask_b32_e32 v87, v94, v95, vcc
	v_cmp_eq_u32_e32 vcc, 2, v90
	s_nop 1
	v_cndmask_b32_e32 v87, v87, v88, vcc
	v_cmp_eq_u32_e32 vcc, 3, v90
	s_nop 1
	v_cndmask_b32_e32 v87, v87, v89, vcc
	v_mul_f32_e32 v86, v87, v86
	v_pk_mul_f32 v[72:73], v[86:87], v[72:73] op_sel_hi:[0,1]
	v_pk_mul_f32 v[80:81], v[86:87], v[80:81] op_sel_hi:[0,1]
	v_bfe_u32 v87, v73, 16, 1
	v_bfe_u32 v88, v72, 16, 1
	v_add3_u32 v72, v72, v88, s8
	v_add3_u32 v73, v73, v87, s8
	v_perm_b32 v88, v73, v72, s9
	v_bfe_u32 v72, v81, 16, 1
	v_bfe_u32 v73, v80, 16, 1
	v_add3_u32 v73, v80, v73, s8
	v_add3_u32 v72, v81, v72, s8
	v_bfe_u32 v87, v0, 4, 2
	v_perm_b32 v89, v72, v73, s9
	v_lshlrev_b32_e32 v73, 3, v87
	v_lshlrev_b32_e32 v72, 5, v1
	v_lshlrev_b32_e32 v80, 11, v90
	v_pk_mul_f32 v[66:67], v[86:87], v[66:67] op_sel_hi:[0,1]
	v_or3_b32 v80, v80, v72, v73
	v_bfe_u32 v73, v67, 16, 1
	v_bfe_u32 v81, v66, 16, 1
	v_pk_mul_f32 v[74:75], v[86:87], v[74:75] op_sel_hi:[0,1]
	v_add3_u32 v66, v66, v81, s8
	v_add3_u32 v67, v67, v73, s8
	v_perm_b32 v66, v67, v66, s9
	v_bfe_u32 v67, v75, 16, 1
	v_bfe_u32 v73, v74, 16, 1
	v_add3_u32 v73, v74, v73, s8
	v_add3_u32 v67, v75, v67, s8
	v_pk_mul_f32 v[68:69], v[86:87], v[68:69] op_sel_hi:[0,1]
	v_perm_b32 v67, v67, v73, s9
	v_bfe_u32 v73, v69, 16, 1
	v_bfe_u32 v74, v68, 16, 1
	ds_write2st64_b64 v80, v[88:89], v[66:67] offset1:1
	v_pk_mul_f32 v[66:67], v[86:87], v[76:77] op_sel_hi:[0,1]
	v_add3_u32 v68, v68, v74, s8
	v_add3_u32 v69, v69, v73, s8
	v_perm_b32 v68, v69, v68, s9
	v_bfe_u32 v69, v67, 16, 1
	v_bfe_u32 v73, v66, 16, 1
	v_pk_mul_f32 v[70:71], v[86:87], v[70:71] op_sel_hi:[0,1]
	v_add3_u32 v66, v66, v73, s8
	v_add3_u32 v67, v67, v69, s8
	v_bfe_u32 v73, v71, 16, 1
	v_bfe_u32 v74, v70, 16, 1
	v_perm_b32 v69, v67, v66, s9
	v_pk_mul_f32 v[66:67], v[86:87], v[78:79] op_sel_hi:[0,1]
	v_add3_u32 v70, v70, v74, s8
	v_add3_u32 v71, v71, v73, s8
	v_perm_b32 v70, v71, v70, s9
	v_bfe_u32 v71, v67, 16, 1
	v_bfe_u32 v73, v66, 16, 1
	v_add3_u32 v66, v66, v73, s8
	v_add3_u32 v67, v67, v71, s8
	v_perm_b32 v71, v67, v66, s9
	v_cmp_gt_u32_e32 vcc, 4, v0
	ds_write2st64_b64 v80, v[68:69], v[70:71] offset0:2 offset1:3
	s_and_saveexec_b64 s[4:5], vcc
	s_cbranch_execz .LBB707_19
; %bb.18:
	v_or_b32_e32 v66, s21, v0
	v_mov_b32_e32 v67, 0
	v_mov_b32_e32 v68, s7
	v_mad_u64_u32 v[68:69], s[10:11], s2, v68, v[66:67]
	v_mov_b32_e32 v66, s20
	s_load_dwordx4 s[12:15], s[0:1], 0x58
	s_mul_i32 s3, s3, s7
	v_mad_u64_u32 v[66:67], s[10:11], v68, s6, v[66:67]
	v_add_u32_e32 v69, s3, v69
	v_mov_b32_e32 v68, v67
	v_mad_u64_u32 v[68:69], s[10:11], v69, s6, v[68:69]
	v_mov_b32_e32 v67, v68
	v_lshlrev_b64 v[66:67], 2, v[66:67]
	s_waitcnt lgkmcnt(0)
	v_lshl_add_u64 v[68:69], s[14:15], 0, v[66:67]
	v_lshl_add_u64 v[66:67], s[12:13], 0, v[66:67]
	global_store_dword v[68:69], v84, off
	global_store_dword v[66:67], v85, off
.LBB707_19:
	s_or_b64 exec, exec, s[4:5]
	v_lshl_or_b32 v78, v87, 9, v72
	s_waitcnt lgkmcnt(0)
	s_barrier
	ds_read_b128 v[70:73], v78
	ds_read_b128 v[66:69], v78 offset:16
	s_waitcnt vmcnt(15) lgkmcnt(1)
	v_mfma_f32_16x16x16_bf16 v[74:77], v[30:31], v[70:71], 0
	s_mov_b32 s3, 0
	v_mfma_f32_16x16x16_bf16 v[30:33], v[32:33], v[72:73], v[74:77]
	s_waitcnt vmcnt(14) lgkmcnt(0)
	v_mfma_f32_16x16x16_bf16 v[30:33], v[26:27], v[66:67], v[30:33]
	v_mfma_f32_16x16x16_bf16 v[26:29], v[28:29], v[68:69], v[30:33]
	s_nop 5
	ds_read_b128 v[30:33], v78 offset:2048
	ds_read_b128 v[74:77], v78 offset:2064
	s_waitcnt vmcnt(13) lgkmcnt(1)
	v_mfma_f32_16x16x16_bf16 v[26:29], v[22:23], v[30:31], v[26:29]
	v_mfma_f32_16x16x16_bf16 v[22:25], v[24:25], v[32:33], v[26:29]
	s_waitcnt vmcnt(12) lgkmcnt(0)
	v_mfma_f32_16x16x16_bf16 v[22:25], v[18:19], v[74:75], v[22:25]
	v_mfma_f32_16x16x16_bf16 v[18:21], v[20:21], v[76:77], v[22:25]
	s_nop 5
	ds_read_b128 v[22:25], v78 offset:4096
	ds_read_b128 v[26:29], v78 offset:4112
	s_waitcnt vmcnt(11) lgkmcnt(1)
	v_mfma_f32_16x16x16_bf16 v[18:21], v[14:15], v[22:23], v[18:21]
	v_mfma_f32_16x16x16_bf16 v[14:17], v[16:17], v[24:25], v[18:21]
	s_waitcnt vmcnt(10) lgkmcnt(0)
	v_mfma_f32_16x16x16_bf16 v[14:17], v[10:11], v[26:27], v[14:17]
	v_mfma_f32_16x16x16_bf16 v[10:13], v[12:13], v[28:29], v[14:17]
	s_nop 5
	ds_read_b128 v[14:17], v78 offset:6144
	ds_read_b128 v[18:21], v78 offset:6160
	s_waitcnt lgkmcnt(0)
	s_barrier
	s_waitcnt vmcnt(9)
	v_mfma_f32_16x16x16_bf16 v[10:13], v[6:7], v[14:15], v[10:13]
	v_mfma_f32_16x16x16_bf16 v[6:9], v[8:9], v[16:17], v[10:13]
	s_waitcnt vmcnt(8)
	v_mfma_f32_16x16x16_bf16 v[6:9], v[2:3], v[18:19], v[6:9]
	v_mfma_f32_16x16x16_bf16 v[2:5], v[4:5], v[20:21], v[6:9]
	;; [unrolled: 3-line block ×3, first 2 shown]
	s_nop 3
	v_bfe_u32 v10, v3, 16, 1
	v_bfe_u32 v11, v2, 16, 1
	v_add3_u32 v2, v2, v11, s8
	s_waitcnt vmcnt(6)
	v_mfma_f32_16x16x16_bf16 v[6:9], v[38:39], v[66:67], v[6:9]
	v_add3_u32 v3, v3, v10, s8
	v_perm_b32 v10, v3, v2, s9
	v_bfe_u32 v2, v5, 16, 1
	v_mfma_f32_16x16x16_bf16 v[6:9], v[40:41], v[68:69], v[6:9]
	v_bfe_u32 v3, v4, 16, 1
	v_add3_u32 v3, v4, v3, s8
	v_add3_u32 v2, v5, v2, s8
	s_waitcnt vmcnt(5)
	v_mfma_f32_16x16x16_bf16 v[6:9], v[42:43], v[30:31], v[6:9]
	v_perm_b32 v11, v2, v3, s9
	v_mfma_f32_16x16x16_bf16 v[6:9], v[44:45], v[32:33], v[6:9]
	s_waitcnt vmcnt(4)
	v_mfma_f32_16x16x16_bf16 v[6:9], v[34:35], v[74:75], v[6:9]
	v_mfma_f32_16x16x16_bf16 v[6:9], v[36:37], v[76:77], v[6:9]
	s_waitcnt vmcnt(3)
	v_mfma_f32_16x16x16_bf16 v[6:9], v[58:59], v[22:23], v[6:9]
	v_mfma_f32_16x16x16_bf16 v[6:9], v[60:61], v[24:25], v[6:9]
	s_waitcnt vmcnt(2)
	v_mfma_f32_16x16x16_bf16 v[6:9], v[54:55], v[26:27], v[6:9]
	v_mfma_f32_16x16x16_bf16 v[6:9], v[56:57], v[28:29], v[6:9]
	s_waitcnt vmcnt(1)
	v_mfma_f32_16x16x16_bf16 v[6:9], v[62:63], v[14:15], v[6:9]
	v_mfma_f32_16x16x16_bf16 v[6:9], v[64:65], v[16:17], v[6:9]
	s_waitcnt vmcnt(0)
	v_mfma_f32_16x16x16_bf16 v[6:9], v[50:51], v[18:19], v[6:9]
	v_mfma_f32_16x16x16_bf16 v[2:5], v[52:53], v[20:21], v[6:9]
	s_nop 6
	v_bfe_u32 v6, v3, 16, 1
	v_bfe_u32 v7, v2, 16, 1
	v_add3_u32 v2, v2, v7, s8
	v_add3_u32 v3, v3, v6, s8
	v_perm_b32 v2, v3, v2, s9
	v_bfe_u32 v3, v5, 16, 1
	v_bfe_u32 v6, v4, 16, 1
	v_add3_u32 v4, v4, v6, s8
	v_add3_u32 v3, v5, v3, s8
	v_perm_b32 v3, v3, v4, s9
	ds_write2st64_b64 v80, v[10:11], v[2:3] offset1:1
	s_waitcnt lgkmcnt(0)
	s_barrier
	s_and_saveexec_b64 s[4:5], s[22:23]
	s_cbranch_execz .LBB707_21
; %bb.20:
	v_lshlrev_b32_e32 v1, 6, v1
	v_lshlrev_b32_e32 v2, 4, v0
	v_lshl_or_b32 v0, v0, 10, v1
	scratch_load_dword v1, off, off offset:4 ; 4-byte Folded Reload
	scratch_load_dword v4, off, off         ; 4-byte Folded Reload
	s_load_dwordx2 s[0:1], s[0:1], 0x68
	s_lshl_b32 s6, s6, 7
	s_mul_i32 s2, s7, s2
	s_mul_hi_u32 s5, s2, s6
	s_mul_i32 s4, s2, s6
	s_lshl_b64 s[4:5], s[4:5], 1
	v_and_b32_e32 v2, 16, v2
	v_and_b32_e32 v0, 0x1a00, v0
	s_waitcnt lgkmcnt(0)
	s_add_u32 s4, s0, s4
	s_addc_u32 s5, s1, s5
	s_lshl_b32 s2, s20, 7
	s_lshl_b64 s[0:1], s[2:3], 1
	s_add_u32 s0, s4, s0
	s_addc_u32 s1, s5, s1
	s_waitcnt vmcnt(1)
	v_or3_b32 v0, v0, v1, v2
	ds_read_b128 v[0:3], v0
	s_waitcnt vmcnt(0)
	v_mad_u64_u32 v[4:5], s[2:3], s6, v4, 0
	v_lshl_add_u64 v[4:5], v[4:5], 1, s[0:1]
	v_lshl_add_u64 v[4:5], v[82:83], 1, v[4:5]
	s_waitcnt lgkmcnt(0)
	global_store_dwordx4 v[4:5], v[0:3], off
.LBB707_21:
	s_endpgm
	.section	.rodata,"a",@progbits
	.p2align	6, 0x0
	.amdhsa_kernel _Z39paged_attention_ll4mi_QKV_mfma16_kernelI14__hip_bfloat16S0_LN4vllm18Fp8KVCacheDataTypeE0EhLi32ELi128ELi256ELb1ELi4EEvPKT_PKT0_S8_ifPKiSA_SA_iPKfiiiPfSD_PS3_PT2_iSC_SC_
		.amdhsa_group_segment_fixed_size 8192
		.amdhsa_private_segment_fixed_size 12
		.amdhsa_kernarg_size 400
		.amdhsa_user_sgpr_count 2
		.amdhsa_user_sgpr_dispatch_ptr 0
		.amdhsa_user_sgpr_queue_ptr 0
		.amdhsa_user_sgpr_kernarg_segment_ptr 1
		.amdhsa_user_sgpr_dispatch_id 0
		.amdhsa_user_sgpr_kernarg_preload_length 0
		.amdhsa_user_sgpr_kernarg_preload_offset 0
		.amdhsa_user_sgpr_private_segment_size 0
		.amdhsa_uses_dynamic_stack 0
		.amdhsa_enable_private_segment 1
		.amdhsa_system_sgpr_workgroup_id_x 1
		.amdhsa_system_sgpr_workgroup_id_y 1
		.amdhsa_system_sgpr_workgroup_id_z 1
		.amdhsa_system_sgpr_workgroup_info 0
		.amdhsa_system_vgpr_workitem_id 0
		.amdhsa_next_free_vgpr 96
		.amdhsa_next_free_sgpr 43
		.amdhsa_accum_offset 96
		.amdhsa_reserve_vcc 1
		.amdhsa_float_round_mode_32 0
		.amdhsa_float_round_mode_16_64 0
		.amdhsa_float_denorm_mode_32 3
		.amdhsa_float_denorm_mode_16_64 3
		.amdhsa_dx10_clamp 1
		.amdhsa_ieee_mode 1
		.amdhsa_fp16_overflow 0
		.amdhsa_tg_split 0
		.amdhsa_exception_fp_ieee_invalid_op 0
		.amdhsa_exception_fp_denorm_src 0
		.amdhsa_exception_fp_ieee_div_zero 0
		.amdhsa_exception_fp_ieee_overflow 0
		.amdhsa_exception_fp_ieee_underflow 0
		.amdhsa_exception_fp_ieee_inexact 0
		.amdhsa_exception_int_div_zero 0
	.end_amdhsa_kernel
	.section	.text._Z39paged_attention_ll4mi_QKV_mfma16_kernelI14__hip_bfloat16S0_LN4vllm18Fp8KVCacheDataTypeE0EhLi32ELi128ELi256ELb1ELi4EEvPKT_PKT0_S8_ifPKiSA_SA_iPKfiiiPfSD_PS3_PT2_iSC_SC_,"axG",@progbits,_Z39paged_attention_ll4mi_QKV_mfma16_kernelI14__hip_bfloat16S0_LN4vllm18Fp8KVCacheDataTypeE0EhLi32ELi128ELi256ELb1ELi4EEvPKT_PKT0_S8_ifPKiSA_SA_iPKfiiiPfSD_PS3_PT2_iSC_SC_,comdat
.Lfunc_end707:
	.size	_Z39paged_attention_ll4mi_QKV_mfma16_kernelI14__hip_bfloat16S0_LN4vllm18Fp8KVCacheDataTypeE0EhLi32ELi128ELi256ELb1ELi4EEvPKT_PKT0_S8_ifPKiSA_SA_iPKfiiiPfSD_PS3_PT2_iSC_SC_, .Lfunc_end707-_Z39paged_attention_ll4mi_QKV_mfma16_kernelI14__hip_bfloat16S0_LN4vllm18Fp8KVCacheDataTypeE0EhLi32ELi128ELi256ELb1ELi4EEvPKT_PKT0_S8_ifPKiSA_SA_iPKfiiiPfSD_PS3_PT2_iSC_SC_
                                        ; -- End function
	.section	.AMDGPU.csdata,"",@progbits
; Kernel info:
; codeLenInByte = 5144
; NumSgprs: 49
; NumVgprs: 96
; NumAgprs: 0
; TotalNumVgprs: 96
; ScratchSize: 12
; MemoryBound: 0
; FloatMode: 240
; IeeeMode: 1
; LDSByteSize: 8192 bytes/workgroup (compile time only)
; SGPRBlocks: 6
; VGPRBlocks: 11
; NumSGPRsForWavesPerEU: 49
; NumVGPRsForWavesPerEU: 96
; AccumOffset: 96
; Occupancy: 5
; WaveLimiterHint : 1
; COMPUTE_PGM_RSRC2:SCRATCH_EN: 1
; COMPUTE_PGM_RSRC2:USER_SGPR: 2
; COMPUTE_PGM_RSRC2:TRAP_HANDLER: 0
; COMPUTE_PGM_RSRC2:TGID_X_EN: 1
; COMPUTE_PGM_RSRC2:TGID_Y_EN: 1
; COMPUTE_PGM_RSRC2:TGID_Z_EN: 1
; COMPUTE_PGM_RSRC2:TIDIG_COMP_CNT: 0
; COMPUTE_PGM_RSRC3_GFX90A:ACCUM_OFFSET: 23
; COMPUTE_PGM_RSRC3_GFX90A:TG_SPLIT: 0
	.section	.text._Z38paged_attention_ll4mi_QKV_mfma4_kernelI14__hip_bfloat16S0_LN4vllm18Fp8KVCacheDataTypeE0EhLi32ELi128ELi256ELb0ELi1EEvPKT_PKT0_S8_ifPKiSA_SA_iPKfiiiPfSD_PS3_PT2_iSC_SC_,"axG",@progbits,_Z38paged_attention_ll4mi_QKV_mfma4_kernelI14__hip_bfloat16S0_LN4vllm18Fp8KVCacheDataTypeE0EhLi32ELi128ELi256ELb0ELi1EEvPKT_PKT0_S8_ifPKiSA_SA_iPKfiiiPfSD_PS3_PT2_iSC_SC_,comdat
	.protected	_Z38paged_attention_ll4mi_QKV_mfma4_kernelI14__hip_bfloat16S0_LN4vllm18Fp8KVCacheDataTypeE0EhLi32ELi128ELi256ELb0ELi1EEvPKT_PKT0_S8_ifPKiSA_SA_iPKfiiiPfSD_PS3_PT2_iSC_SC_ ; -- Begin function _Z38paged_attention_ll4mi_QKV_mfma4_kernelI14__hip_bfloat16S0_LN4vllm18Fp8KVCacheDataTypeE0EhLi32ELi128ELi256ELb0ELi1EEvPKT_PKT0_S8_ifPKiSA_SA_iPKfiiiPfSD_PS3_PT2_iSC_SC_
	.globl	_Z38paged_attention_ll4mi_QKV_mfma4_kernelI14__hip_bfloat16S0_LN4vllm18Fp8KVCacheDataTypeE0EhLi32ELi128ELi256ELb0ELi1EEvPKT_PKT0_S8_ifPKiSA_SA_iPKfiiiPfSD_PS3_PT2_iSC_SC_
	.p2align	8
	.type	_Z38paged_attention_ll4mi_QKV_mfma4_kernelI14__hip_bfloat16S0_LN4vllm18Fp8KVCacheDataTypeE0EhLi32ELi128ELi256ELb0ELi1EEvPKT_PKT0_S8_ifPKiSA_SA_iPKfiiiPfSD_PS3_PT2_iSC_SC_,@function
_Z38paged_attention_ll4mi_QKV_mfma4_kernelI14__hip_bfloat16S0_LN4vllm18Fp8KVCacheDataTypeE0EhLi32ELi128ELi256ELb0ELi1EEvPKT_PKT0_S8_ifPKiSA_SA_iPKfiiiPfSD_PS3_PT2_iSC_SC_: ; @_Z38paged_attention_ll4mi_QKV_mfma4_kernelI14__hip_bfloat16S0_LN4vllm18Fp8KVCacheDataTypeE0EhLi32ELi128ELi256ELb0ELi1EEvPKT_PKT0_S8_ifPKiSA_SA_iPKfiiiPfSD_PS3_PT2_iSC_SC_
; %bb.0:
	s_load_dwordx2 s[16:17], s[0:1], 0x30
	s_mov_b32 s20, s3
	s_mov_b64 s[6:7], 0
	s_waitcnt lgkmcnt(0)
	s_cmp_lg_u64 s[16:17], 0
	s_cselect_b64 s[18:19], -1, 0
	s_and_b64 vcc, exec, s[18:19]
	s_cbranch_vccz .LBB708_10
; %bb.1:
	s_add_i32 s8, s2, 1
	s_mov_b32 s9, 0
	s_lshl_b64 s[10:11], s[8:9], 2
	s_add_u32 s10, s16, s10
	s_mov_b32 s3, s9
	s_addc_u32 s11, s17, s11
	s_lshl_b64 s[8:9], s[2:3], 2
	s_add_u32 s8, s16, s8
	s_addc_u32 s9, s17, s9
	s_load_dword s5, s[10:11], 0x0
	s_load_dword s12, s[8:9], 0x0
	s_waitcnt lgkmcnt(0)
	s_sub_i32 s5, s5, s12
	s_cmp_eq_u32 s5, 1
	s_cselect_b64 s[8:9], -1, 0
	s_andn2_b64 vcc, exec, s[6:7]
	s_cbranch_vccnz .LBB708_3
.LBB708_2:
	s_mov_b32 s3, 0
	s_mov_b64 s[8:9], -1
.LBB708_3:
	s_andn2_b64 vcc, exec, s[8:9]
	s_cbranch_vccnz .LBB708_25
; %bb.4:
	s_load_dword s5, s[0:1], 0x9c
	s_load_dwordx2 s[6:7], s[0:1], 0x28
	s_add_u32 s24, s0, 0x90
	s_addc_u32 s25, s1, 0
	s_lshl_b64 s[28:29], s[2:3], 2
	s_waitcnt lgkmcnt(0)
	s_and_b32 s5, s5, 0xffff
	s_add_u32 s6, s6, s28
	s_addc_u32 s7, s7, s29
	s_load_dword s3, s[6:7], 0x0
	s_mul_i32 s10, s20, s5
	s_waitcnt lgkmcnt(0)
	s_cmp_ge_i32 s10, s3
	s_cbranch_scc1 .LBB708_25
; %bb.5:
	v_and_b32_e32 v1, 0xc0, v0
	v_add_u32_e32 v2, s10, v1
	v_lshrrev_b32_e32 v70, 6, v0
	v_cmp_le_i32_e64 s[6:7], s3, v2
                                        ; implicit-def: $sgpr21
                                        ; implicit-def: $sgpr11
	s_and_saveexec_b64 s[8:9], s[6:7]
	s_xor_b64 s[8:9], exec, s[8:9]
	s_cbranch_execz .LBB708_7
; %bb.6:
	v_mul_u32_u24_e32 v1, 20, v70
	v_or_b32_e32 v1, 0x1400, v1
	v_mov_b32_e32 v2, 0x1450
	v_mov_b32_e32 v3, 0xff7fffff
	v_mad_u32_u24 v2, v70, 20, v2
	ds_write2_b32 v1, v3, v3 offset1:1
	v_mov_b32_e32 v1, 0
	ds_write2_b32 v2, v1, v1 offset1:1
	v_mov_b32_e32 v2, 0x1408
	s_mov_b32 s11, 0xff7fffff
	s_mov_b32 s21, 0
	v_mad_u32_u24 v2, v70, 20, v2
	v_mov_b32_e32 v4, 0x1458
	v_mad_u32_u24 v4, v70, 20, v4
	ds_write2_b32 v2, v3, v3 offset1:1
	ds_write2_b32 v4, v1, v1 offset1:1
                                        ; implicit-def: $vgpr2
.LBB708_7:
	s_or_saveexec_b64 s[26:27], s[8:9]
	s_load_dwordx2 s[22:23], s[0:1], 0x68
	s_load_dwordx4 s[12:15], s[0:1], 0x58
	s_load_dword s5, s[24:25], 0x4
	v_and_b32_e32 v1, 63, v0
	v_and_b32_e32 v71, 3, v0
	v_mov_b32_e32 v67, s21
	v_mov_b32_e32 v72, s11
	;; [unrolled: 1-line block ×5, first 2 shown]
                                        ; implicit-def: $vgpr35
                                        ; implicit-def: $vgpr39
                                        ; implicit-def: $vgpr47
                                        ; implicit-def: $vgpr59
                                        ; implicit-def: $vgpr15
                                        ; implicit-def: $vgpr3
                                        ; implicit-def: $vgpr7
                                        ; implicit-def: $vgpr11
                                        ; implicit-def: $vgpr55
                                        ; implicit-def: $vgpr43
                                        ; implicit-def: $vgpr51
                                        ; implicit-def: $vgpr63
                                        ; implicit-def: $vgpr19
                                        ; implicit-def: $vgpr23
                                        ; implicit-def: $vgpr27
                                        ; implicit-def: $vgpr31
	s_xor_b64 exec, exec, s[26:27]
	s_cbranch_execz .LBB708_17
; %bb.8:
	s_add_i32 s21, s3, 31
	s_load_dwordx2 s[8:9], s[0:1], 0x20
	s_load_dword s11, s[0:1], 0x38
	s_ashr_i32 s30, s21, 31
	s_lshr_b32 s30, s30, 27
	v_add_u32_e32 v72, s10, v0
	s_add_i32 s21, s21, s30
	v_ashrrev_i32_e32 v3, 31, v72
	s_ashr_i32 s21, s21, 5
	v_lshrrev_b32_e32 v3, 27, v3
	s_add_i32 s21, s21, -1
	v_add_u32_e32 v3, v72, v3
	s_waitcnt lgkmcnt(0)
	s_mul_i32 s30, s2, s11
	s_mov_b32 s31, 0
	v_ashrrev_i32_e32 v3, 5, v3
	v_mov_b32_e32 v4, s21
	v_cmp_gt_i32_e32 vcc, s3, v72
	s_lshl_b64 s[30:31], s[30:31], 2
	s_add_u32 s8, s8, s30
	v_cndmask_b32_e32 v4, v4, v3, vcc
	v_ashrrev_i32_e32 v3, 31, v2
	v_lshrrev_b32_e32 v3, 27, v3
	s_addc_u32 s9, s9, s31
	v_ashrrev_i32_e32 v5, 31, v4
	v_add_u32_e32 v2, v2, v3
	v_lshl_add_u64 v[6:7], v[4:5], 2, s[8:9]
	v_ashrrev_i32_e32 v4, 5, v2
	v_min_i32_e32 v2, s21, v4
	v_ashrrev_i32_e32 v3, 31, v2
	v_lshl_add_u64 v[8:9], v[2:3], 2, s[8:9]
	v_add_u32_e32 v2, 1, v4
	v_min_i32_e32 v2, s21, v2
	v_ashrrev_i32_e32 v3, 31, v2
	v_lshl_add_u64 v[10:11], v[2:3], 2, s[8:9]
	global_load_dword v4, v[6:7], off
	global_load_dword v2, v[8:9], off
	;; [unrolled: 1-line block ×3, first 2 shown]
	s_load_dwordx4 s[8:11], s[0:1], 0x8
	s_andn2_b64 vcc, exec, s[18:19]
	s_cbranch_vccnz .LBB708_11
; %bb.9:
	s_add_u32 s16, s16, s28
	s_addc_u32 s17, s17, s29
	s_load_dword s21, s[16:17], 0x0
	s_branch .LBB708_12
.LBB708_10:
	s_mov_b64 s[8:9], 0
	s_branch .LBB708_2
.LBB708_11:
	s_mov_b32 s21, s2
.LBB708_12:
	s_load_dwordx4 s[16:19], s[0:1], 0x48
	v_cmp_eq_u32_e32 vcc, 0, v71
	s_mov_b32 s29, 0
	v_mov_b32_e32 v73, 0
	v_mov_b32_e32 v35, 0
	;; [unrolled: 1-line block ×6, first 2 shown]
	s_and_saveexec_b64 s[30:31], vcc
	s_cbranch_execz .LBB708_14
; %bb.13:
	s_load_dwordx2 s[34:35], s[0:1], 0x0
	s_waitcnt lgkmcnt(0)
	s_ashr_i32 s19, s16, 31
	s_mul_hi_u32 s28, s21, s16
	s_mul_i32 s19, s21, s19
	s_add_i32 s37, s28, s19
	s_mul_i32 s36, s21, s16
	s_lshl_b64 s[36:37], s[36:37], 1
	s_add_u32 s16, s34, s36
	s_addc_u32 s19, s35, s37
	s_lshl_b32 s28, s4, 7
	s_lshl_b64 s[34:35], s[28:29], 1
	s_add_u32 s34, s16, s34
	s_addc_u32 s35, s19, s35
	v_lshlrev_b32_e32 v5, 2, v1
	global_load_dwordx4 v[66:69], v5, s[34:35]
	v_mov_b32_e32 v73, 1.0
.LBB708_14:
	s_or_b64 exec, exec, s[30:31]
	s_waitcnt lgkmcnt(0)
	s_mul_i32 s28, s4, s18
	s_lshl_b64 s[18:19], s[28:29], 1
	s_add_u32 s8, s18, s8
	s_waitcnt vmcnt(2)
	v_mad_i64_i32 v[4:5], s[30:31], v4, s17, 0
	s_addc_u32 s9, s19, s9
	v_lshl_add_u64 v[32:33], v[4:5], 1, s[8:9]
	v_and_b32_e32 v4, 31, v0
	v_lshlrev_b32_e32 v34, 4, v4
	v_lshl_add_u64 v[40:41], v[32:33], 0, v[34:35]
	global_load_dwordx4 v[4:7], v[40:41], off
	global_load_dwordx4 v[8:11], v[40:41], off offset:512
	global_load_dwordx4 v[12:15], v[40:41], off offset:1024
	;; [unrolled: 1-line block ×7, first 2 shown]
	v_mov_b32_e32 v41, v35
	v_or_b32_e32 v40, 0x1000, v34
	v_lshl_add_u64 v[40:41], v[32:33], 0, v[40:41]
	global_load_dwordx4 v[40:43], v[40:41], off
	v_mov_b32_e32 v45, v35
	v_or_b32_e32 v44, 0x1200, v34
	v_lshl_add_u64 v[44:45], v[32:33], 0, v[44:45]
	global_load_dwordx4 v[44:47], v[44:45], off
	;; [unrolled: 4-line block ×6, first 2 shown]
	v_or_b32_e32 v34, 0x1c00, v34
	v_lshl_add_u64 v[64:65], v[32:33], 0, v[34:35]
	global_load_dwordx4 v[74:77], v[64:65], off
	v_mov_b32_e32 v78, 0x1e00
	v_lshl_or_b32 v34, v0, 4, v78
	v_lshl_add_u64 v[32:33], v[32:33], 0, v[34:35]
	global_load_dwordx4 v[78:81], v[32:33], off
	s_waitcnt vmcnt(16)
	v_mul_hi_i32 v32, v3, s17
	v_mul_hi_i32 v64, v2, s17
	v_mov_b32_e32 v33, v35
	v_mov_b32_e32 v65, v35
	s_load_dword s0, s[0:1], 0x1c
	v_cmp_eq_u32_e32 vcc, 1, v71
	v_and_b32_e32 v87, -4, v72
	v_lshlrev_b32_e32 v88, 2, v0
	v_cndmask_b32_e64 v84, 0, 1.0, vcc
	v_cmp_eq_u32_e32 vcc, 2, v71
	v_or_b32_e32 v72, 3, v72
	s_waitcnt vmcnt(15)
	v_mfma_f32_4x4x4_16b_bf16 a[0:3], v[66:67], v[4:5], 0 cbsz:4
	v_ashrrev_i32_e32 v4, 31, v32
	s_nop 0
	v_mfma_f32_4x4x4_16b_bf16 a[0:3], v[68:69], v[6:7], a[0:3] cbsz:4
	v_lshrrev_b32_e32 v32, 29, v4
	v_ashrrev_i32_e32 v6, 31, v64
	s_waitcnt vmcnt(14)
	v_mfma_f32_4x4x4_16b_bf16 a[0:3], v[66:67], v[8:9], a[0:3] cbsz:4 abid:1
	v_mad_i64_i32 v[4:5], s[8:9], v3, s17, v[32:33]
	s_nop 0
	v_mfma_f32_4x4x4_16b_bf16 a[0:3], v[68:69], v[10:11], a[0:3] cbsz:4 abid:1
	s_add_u32 s8, s10, s18
	v_lshrrev_b32_e32 v34, 29, v6
	s_waitcnt vmcnt(13)
	v_mfma_f32_4x4x4_16b_bf16 a[0:3], v[66:67], v[12:13], a[0:3] cbsz:4 abid:2
	s_addc_u32 s9, s11, s19
	v_mad_i64_i32 v[2:3], s[10:11], v2, s17, v[34:35]
	v_mfma_f32_4x4x4_16b_bf16 a[0:3], v[68:69], v[14:15], a[0:3] cbsz:4 abid:2
	v_lshlrev_b64 v[4:5], 1, v[4:5]
	v_and_b32_e32 v4, -16, v4
	s_waitcnt vmcnt(12)
	v_mfma_f32_4x4x4_16b_bf16 a[0:3], v[66:67], v[16:17], a[0:3] cbsz:4 abid:3
	v_lshlrev_b32_e32 v34, 6, v1
	v_or_b32_e32 v64, 0x1000, v34
	v_mfma_f32_4x4x4_16b_bf16 a[0:3], v[68:69], v[18:19], a[0:3] cbsz:4 abid:3
	v_lshl_add_u64 v[18:19], s[8:9], 0, v[4:5]
	v_cndmask_b32_e64 v85, 0, 1.0, vcc
	s_waitcnt vmcnt(11)
	v_mfma_f32_4x4x4_16b_bf16 a[0:3], v[66:67], v[20:21], a[0:3] cbsz:4 abid:4
	v_lshlrev_b64 v[20:21], 1, v[2:3]
	v_and_b32_e32 v20, -16, v20
	v_mfma_f32_4x4x4_16b_bf16 a[0:3], v[68:69], v[22:23], a[0:3] cbsz:4 abid:4
	v_lshl_add_u64 v[22:23], v[18:19], 0, v[34:35]
	global_load_dwordx4 v[14:17], v[22:23], off
	global_load_dwordx4 v[2:5], v[22:23], off offset:16
	s_waitcnt vmcnt(12)
	v_mfma_f32_4x4x4_16b_bf16 a[0:3], v[66:67], v[24:25], a[0:3] cbsz:4 abid:5
	global_load_dwordx4 v[6:9], v[22:23], off offset:32
	global_load_dwordx4 v[10:13], v[22:23], off offset:48
	v_mfma_f32_4x4x4_16b_bf16 a[0:3], v[68:69], v[26:27], a[0:3] cbsz:4 abid:5
	v_cmp_eq_u32_e32 vcc, 3, v71
	v_cmp_gt_i32_e64 s[10:11], s3, v72
	s_waitcnt vmcnt(13)
	v_mfma_f32_4x4x4_16b_bf16 a[0:3], v[66:67], v[28:29], a[0:3] cbsz:4 abid:6
	v_cndmask_b32_e64 v86, 0, 1.0, vcc
	v_cmp_gt_i32_e32 vcc, s3, v87
	v_mfma_f32_4x4x4_16b_bf16 a[0:3], v[68:69], v[30:31], a[0:3] cbsz:4 abid:6
	s_waitcnt vmcnt(12)
	s_nop 0
	v_mfma_f32_4x4x4_16b_bf16 a[0:3], v[66:67], v[36:37], a[0:3] cbsz:4 abid:7
	v_lshl_add_u64 v[36:37], v[18:19], 0, v[64:65]
	s_nop 0
	v_mfma_f32_4x4x4_16b_bf16 a[0:3], v[68:69], v[38:39], a[0:3] cbsz:4 abid:7
	v_lshl_add_u64 v[38:39], s[8:9], 0, v[20:21]
	v_lshl_add_u64 v[82:83], v[38:39], 0, v[64:65]
	s_waitcnt vmcnt(11)
	v_mfma_f32_4x4x4_16b_bf16 a[0:3], v[66:67], v[40:41], a[0:3] cbsz:4 abid:8
	global_load_dwordx4 v[18:21], v[36:37], off
	global_load_dwordx4 v[22:25], v[36:37], off offset:16
	v_mfma_f32_4x4x4_16b_bf16 a[0:3], v[68:69], v[42:43], a[0:3] cbsz:4 abid:8
	v_lshl_add_u64 v[42:43], v[38:39], 0, v[34:35]
	global_load_dwordx4 v[26:29], v[36:37], off offset:32
	global_load_dwordx4 v[30:33], v[36:37], off offset:48
	s_waitcnt vmcnt(14)
	v_mfma_f32_4x4x4_16b_bf16 a[0:3], v[66:67], v[44:45], a[0:3] cbsz:4 abid:9
	global_load_dwordx4 v[34:37], v[42:43], off
	global_load_dwordx4 v[38:41], v[42:43], off offset:16
	v_mfma_f32_4x4x4_16b_bf16 a[0:3], v[68:69], v[46:47], a[0:3] cbsz:4 abid:9
	s_waitcnt vmcnt(15)
	s_nop 0
	v_mfma_f32_4x4x4_16b_bf16 a[0:3], v[66:67], v[48:49], a[0:3] cbsz:4 abid:10
	s_nop 1
	v_mfma_f32_4x4x4_16b_bf16 a[0:3], v[68:69], v[50:51], a[0:3] cbsz:4 abid:10
	s_waitcnt vmcnt(14)
	s_nop 0
	v_mfma_f32_4x4x4_16b_bf16 a[0:3], v[66:67], v[52:53], a[0:3] cbsz:4 abid:11
	s_nop 1
	;; [unrolled: 5-line block ×3, first 2 shown]
	v_mfma_f32_4x4x4_16b_bf16 a[0:3], v[68:69], v[58:59], a[0:3] cbsz:4 abid:12
	s_waitcnt vmcnt(12)
	s_nop 0
	v_mfma_f32_4x4x4_16b_bf16 a[0:3], v[66:67], v[60:61], a[0:3] cbsz:4 abid:13
	global_load_dwordx4 v[46:49], v[42:43], off offset:32
	global_load_dwordx4 v[58:61], v[42:43], off offset:48
	v_mfma_f32_4x4x4_16b_bf16 a[0:3], v[68:69], v[62:63], a[0:3] cbsz:4 abid:13
	global_load_dwordx4 v[54:57], v[82:83], off
	global_load_dwordx4 v[42:45], v[82:83], off offset:16
	global_load_dwordx4 v[50:53], v[82:83], off offset:32
	;; [unrolled: 1-line block ×3, first 2 shown]
	s_waitcnt vmcnt(17)
	v_mfma_f32_4x4x4_16b_bf16 a[0:3], v[66:67], v[74:75], a[0:3] cbsz:4 abid:14
	v_mov_b32_e32 v74, 0xff7fffff
	v_and_or_b32 v75, v88, 48, v71
	v_mfma_f32_4x4x4_16b_bf16 a[0:3], v[68:69], v[76:77], a[0:3] cbsz:4 abid:14
	s_waitcnt vmcnt(16)
	s_nop 0
	v_mfma_f32_4x4x4_16b_bf16 a[0:3], v[66:67], v[78:79], a[0:3] cbsz:4 abid:15
	s_nop 1
	v_mfma_f32_4x4x4_16b_bf16 a[0:3], v[68:69], v[80:81], a[0:3] cbsz:4 abid:15
	s_nop 4
	v_accvgpr_read_b32 v67, a1
	v_accvgpr_read_b32 v66, a0
	s_waitcnt lgkmcnt(0)
	v_pk_mul_f32 v[66:67], s[0:1], v[66:67] op_sel_hi:[0,1]
	v_accvgpr_read_b32 v69, a3
	v_accvgpr_read_b32 v68, a2
	v_pk_mul_f32 v[68:69], s[0:1], v[68:69] op_sel_hi:[0,1]
	v_mfma_f32_4x4x1_16b_f32 a[0:3], v66, v73, 0
	v_or_b32_e32 v66, 1, v87
	s_nop 0
	v_mfma_f32_4x4x1_16b_f32 a[0:3], v67, v84, a[0:3]
	v_lshlrev_b32_e32 v73, 2, v75
	v_cmp_gt_i32_e64 s[0:1], s3, v66
	v_mfma_f32_4x4x1_16b_f32 a[0:3], v68, v85, a[0:3]
	v_or_b32_e32 v67, 2, v87
	v_cmp_gt_i32_e64 s[8:9], s3, v67
	v_mfma_f32_4x4x1_16b_f32 a[0:3], v69, v86, a[0:3]
	s_nop 3
	v_accvgpr_read_b32 v68, a0
	v_max_f32_e32 v77, v68, v68
	v_accvgpr_read_b32 v69, a1
	v_max_f32_e32 v77, 0xff7fffff, v77
	v_max_f32_e32 v78, v69, v69
	v_cndmask_b32_e32 v74, v74, v77, vcc
	v_accvgpr_read_b32 v75, a2
	v_max_f32_e32 v77, v74, v78
	v_max_f32_e32 v79, v75, v75
	v_cndmask_b32_e64 v66, v74, v77, s[0:1]
	v_accvgpr_read_b32 v76, a3
	v_max_f32_e32 v74, v66, v79
	v_max_f32_e32 v80, v76, v76
	v_cndmask_b32_e64 v66, v66, v74, s[8:9]
	v_max_f32_e32 v67, v66, v80
	v_cndmask_b32_e64 v66, v66, v67, s[10:11]
	;;#ASMSTART
	v_nop
 v_nop
 v_max_f32_dpp v66, v66, v66 row_ror:4
	;;#ASMEND
	s_nop 0
	;;#ASMSTART
	v_nop
 v_nop
 v_max_f32_dpp v66, v66, v66 row_ror:8
	;;#ASMEND
	ds_bpermute_b32 v66, v73, v66
	s_waitcnt lgkmcnt(0)
	;;#ASMSTART
	v_nop
 v_nop
 v_max_f32_dpp v66, v66, v66 row_ror:4
	;;#ASMEND
	s_nop 0
	;;#ASMSTART
	v_nop
 v_nop
 v_max_f32_dpp v72, v66, v66 row_ror:8
	;;#ASMEND
	s_nop 0
	v_sub_f32_e32 v66, v68, v72
	v_sub_f32_e32 v67, v69, v72
	;; [unrolled: 1-line block ×3, first 2 shown]
	v_mul_f32_e32 v66, 0x3fb8aa3b, v66
	v_mul_f32_e32 v67, 0x3fb8aa3b, v67
	v_mul_f32_e32 v68, 0x3fb8aa3b, v68
	v_exp_f32_e32 v66, v66
	v_sub_f32_e32 v69, v76, v72
	v_exp_f32_e32 v67, v67
	v_exp_f32_e32 v74, v68
	v_mul_f32_e32 v69, 0x3fb8aa3b, v69
	v_exp_f32_e32 v75, v69
	v_cndmask_b32_e32 v68, 0, v66, vcc
	v_cndmask_b32_e64 v69, 0, v67, s[0:1]
	v_cndmask_b32_e64 v66, 0, v74, s[8:9]
	v_add_f32_e32 v74, 0, v68
	v_add_f32_e32 v74, v74, v69
	v_cndmask_b32_e64 v67, 0, v75, s[10:11]
	v_add_f32_e32 v74, v74, v66
	v_add_f32_e32 v74, v74, v67
	;;#ASMSTART
	v_nop
 v_nop
 v_add_f32_dpp v74, v74, v74 row_ror:4
	;;#ASMEND
	v_cmp_gt_u32_e32 vcc, 4, v1
	;;#ASMSTART
	v_nop
 v_nop
 v_add_f32_dpp v74, v74, v74 row_ror:8
	;;#ASMEND
	ds_bpermute_b32 v73, v73, v74
	s_waitcnt lgkmcnt(0)
	;;#ASMSTART
	v_nop
 v_nop
 v_add_f32_dpp v73, v73, v73 row_ror:4
	;;#ASMEND
	s_nop 0
	;;#ASMSTART
	v_nop
 v_nop
 v_add_f32_dpp v73, v73, v73 row_ror:8
	;;#ASMEND
	s_and_saveexec_b64 s[0:1], vcc
	s_cbranch_execz .LBB708_16
; %bb.15:
	v_mul_u32_u24_e32 v74, 20, v70
	v_lshl_add_u32 v74, v71, 2, v74
	v_add_u32_e32 v74, 0x1400, v74
	ds_write2_b32 v74, v72, v73 offset1:20
.LBB708_16:
	s_or_b64 exec, exec, s[0:1]
.LBB708_17:
	s_or_b64 exec, exec, s[26:27]
	s_waitcnt lgkmcnt(0)
	s_barrier
	s_load_dword s0, s[24:25], 0x8
	v_lshlrev_b32_e32 v73, 2, v71
	v_add_u32_e32 v75, 0x1400, v73
	ds_read2_b32 v[76:77], v75 offset1:5
	ds_read2_b32 v[78:79], v75 offset0:10 offset1:15
	s_mul_i32 s1, s5, s2
	s_waitcnt lgkmcnt(0)
	s_mul_i32 s0, s1, s0
	s_mov_b32 s1, 0xff7fffff
	v_max3_f32 v73, v76, s1, v77
	v_max3_f32 v74, v73, v78, v79
	v_sub_f32_e32 v73, v76, v74
	v_sub_f32_e32 v76, v77, v74
	v_mul_f32_e32 v76, 0x3fb8aa3b, v76
	ds_read2_b32 v[80:81], v75 offset0:20 offset1:25
	v_mul_f32_e32 v73, 0x3fb8aa3b, v73
	v_exp_f32_e32 v83, v76
	ds_read2_b32 v[76:77], v75 offset0:30 offset1:35
	v_sub_f32_e32 v75, v78, v74
	v_exp_f32_e32 v82, v73
	v_mul_f32_e32 v75, 0x3fb8aa3b, v75
	v_exp_f32_e32 v78, v75
	v_sub_f32_e32 v75, v79, v74
	v_mul_f32_e32 v75, 0x3fb8aa3b, v75
	v_exp_f32_e32 v79, v75
	s_waitcnt lgkmcnt(1)
	v_fma_f32 v75, v82, v80, 0
	v_fmac_f32_e32 v75, v83, v81
	s_waitcnt lgkmcnt(0)
	v_fmac_f32_e32 v75, v78, v76
	v_mov_b32_e32 v73, 0
	v_fmac_f32_e32 v75, v79, v77
	s_mov_b32 s1, 0
	v_cmp_eq_u32_e32 vcc, 0, v71
	s_and_saveexec_b64 s[2:3], vcc
	s_cbranch_execz .LBB708_19
; %bb.18:
	s_lshl_b64 s[8:9], s[0:1], 2
	s_add_u32 s12, s12, s8
	s_mov_b32 s21, s1
	s_addc_u32 s13, s13, s9
	s_lshl_b64 s[10:11], s[20:21], 2
	s_add_u32 s12, s12, s10
	s_addc_u32 s13, s13, s11
	s_add_u32 s8, s14, s8
	s_addc_u32 s9, s15, s9
	;; [unrolled: 2-line block ×3, first 2 shown]
	s_mul_i32 s8, s5, s4
	s_mov_b32 s9, s1
	s_lshl_b64 s[8:9], s[8:9], 2
	s_add_u32 s10, s12, s8
	s_addc_u32 s11, s13, s9
	s_add_u32 s8, s14, s8
	s_addc_u32 s9, s15, s9
	global_store_dword v73, v74, s[8:9]
	global_store_dword v73, v75, s[10:11]
.LBB708_19:
	s_or_b64 exec, exec, s[2:3]
	v_lshlrev_b32_e32 v73, 3, v70
                                        ; implicit-def: $sgpr1
	s_and_saveexec_b64 s[2:3], s[6:7]
	s_xor_b64 s[2:3], exec, s[2:3]
	s_cbranch_execz .LBB708_21
; %bb.20:
	s_waitcnt vmcnt(14)
	v_mov_b32_e32 v2, 0
	v_mad_u32_u24 v4, v1, 40, v73
	s_mov_b32 s1, 0
	v_mov_b32_e32 v3, v2
	ds_write_b64 v4, v[2:3]
                                        ; implicit-def: $vgpr67
                                        ; implicit-def: $vgpr69
                                        ; implicit-def: $vgpr35
                                        ; implicit-def: $vgpr39
                                        ; implicit-def: $vgpr47
                                        ; implicit-def: $vgpr59
                                        ; implicit-def: $vgpr15
                                        ; implicit-def: $vgpr3
                                        ; implicit-def: $vgpr7
                                        ; implicit-def: $vgpr11
                                        ; implicit-def: $vgpr55
                                        ; implicit-def: $vgpr43
                                        ; implicit-def: $vgpr51
                                        ; implicit-def: $vgpr63
                                        ; implicit-def: $vgpr19
                                        ; implicit-def: $vgpr23
                                        ; implicit-def: $vgpr27
                                        ; implicit-def: $vgpr31
                                        ; implicit-def: $vgpr72
                                        ; implicit-def: $vgpr74
                                        ; implicit-def: $vgpr75
.LBB708_21:
	s_or_saveexec_b64 s[2:3], s[2:3]
	v_mov_b32_e32 v70, s1
	v_mov_b32_e32 v71, s1
	s_xor_b64 exec, exec, s[2:3]
	s_cbranch_execz .LBB708_23
; %bb.22:
	v_add_f32_e32 v70, 0x358637bd, v75
	v_div_scale_f32 v71, s[6:7], v70, v70, 1.0
	v_rcp_f32_e32 v75, v71
	v_sub_f32_e32 v72, v72, v74
	v_mul_f32_e32 v72, 0x3fb8aa3b, v72
	v_exp_f32_e32 v72, v72
	v_fma_f32 v74, -v71, v75, 1.0
	v_fmac_f32_e32 v75, v74, v75
	v_div_scale_f32 v74, vcc, 1.0, v70, 1.0
	v_mul_f32_e32 v76, v74, v75
	v_fma_f32 v77, -v71, v76, v74
	v_fmac_f32_e32 v76, v77, v75
	v_fma_f32 v71, -v71, v76, v74
	v_div_fmas_f32 v71, v71, v75, v76
	v_div_fixup_f32 v70, v71, v70, 1.0
	v_mul_f32_e32 v70, v72, v70
	v_pk_mul_f32 v[68:69], v[68:69], v[70:71] op_sel_hi:[1,0]
	v_pk_mul_f32 v[66:67], v[66:67], v[70:71] op_sel_hi:[1,0]
	v_bfe_u32 v70, v69, 16, 1
	v_bfe_u32 v71, v68, 16, 1
	s_movk_i32 s1, 0x7fff
	v_add3_u32 v68, v68, v71, s1
	v_add3_u32 v69, v69, v70, s1
	s_mov_b32 s6, 0x7060302
	v_perm_b32 v68, v69, v68, s6
	v_bfe_u32 v69, v67, 16, 1
	v_bfe_u32 v70, v66, 16, 1
	v_add3_u32 v66, v66, v70, s1
	v_add3_u32 v67, v67, v69, s1
	v_perm_b32 v69, v67, v66, s6
	s_waitcnt vmcnt(7)
	s_nop 0
	v_mfma_f32_4x4x4_16b_bf16 a[0:3], v[68:69], v[34:35], 0 cbsz:4
	s_nop 1
	v_mfma_f32_4x4x4_16b_bf16 a[0:3], v[68:69], v[36:37], a[0:3] cbsz:4 abid:1
	s_waitcnt vmcnt(3)
	v_mfma_f32_4x4x4_16b_bf16 a[4:7], v[68:69], v[54:55], 0 cbsz:4
	v_mfma_f32_4x4x4_16b_bf16 a[0:3], v[68:69], v[38:39], a[0:3] cbsz:4 abid:2
	s_nop 0
	v_mfma_f32_4x4x4_16b_bf16 a[4:7], v[68:69], v[56:57], a[4:7] cbsz:4 abid:1
	v_mfma_f32_4x4x4_16b_bf16 a[0:3], v[68:69], v[40:41], a[0:3] cbsz:4 abid:3
	s_waitcnt vmcnt(2)
	v_mfma_f32_4x4x4_16b_bf16 a[4:7], v[68:69], v[42:43], a[4:7] cbsz:4 abid:2
	v_mfma_f32_4x4x4_16b_bf16 a[0:3], v[68:69], v[46:47], a[0:3] cbsz:4 abid:4
	s_nop 1
	v_mfma_f32_4x4x4_16b_bf16 a[0:3], v[68:69], v[48:49], a[0:3] cbsz:4 abid:5
	s_nop 1
	;; [unrolled: 2-line block ×12, first 2 shown]
	v_accvgpr_read_b32 v3, a2
	v_accvgpr_read_b32 v4, a3
	;; [unrolled: 1-line block ×4, first 2 shown]
	v_mfma_f32_4x4x4_16b_bf16 a[0:3], v[68:69], v[44:45], a[4:7] cbsz:4 abid:3
	v_bfe_u32 v6, v5, 16, 1
	v_bfe_u32 v7, v2, 16, 1
	s_waitcnt vmcnt(1)
	v_mfma_f32_4x4x4_16b_bf16 a[0:3], v[68:69], v[50:51], a[0:3] cbsz:4 abid:4
	v_add3_u32 v2, v2, v7, s1
	v_add3_u32 v5, v5, v6, s1
	v_mfma_f32_4x4x4_16b_bf16 a[0:3], v[68:69], v[52:53], a[0:3] cbsz:4 abid:5
	v_perm_b32 v2, v5, v2, s6
	v_bfe_u32 v5, v4, 16, 1
	s_waitcnt vmcnt(0)
	v_mfma_f32_4x4x4_16b_bf16 a[0:3], v[68:69], v[62:63], a[0:3] cbsz:4 abid:6
	v_bfe_u32 v6, v3, 16, 1
	v_add3_u32 v3, v3, v6, s1
	v_mfma_f32_4x4x4_16b_bf16 a[0:3], v[68:69], v[64:65], a[0:3] cbsz:4 abid:7
	v_add3_u32 v4, v4, v5, s1
	v_perm_b32 v3, v4, v3, s6
	v_mfma_f32_4x4x4_16b_bf16 a[0:3], v[68:69], v[18:19], a[0:3] cbsz:4 abid:8
	v_mad_u32_u24 v4, v1, 40, v73
	ds_write_b64 v4, v[2:3]
	v_mfma_f32_4x4x4_16b_bf16 a[0:3], v[68:69], v[20:21], a[0:3] cbsz:4 abid:9
	s_nop 1
	v_mfma_f32_4x4x4_16b_bf16 a[0:3], v[68:69], v[22:23], a[0:3] cbsz:4 abid:10
	s_nop 1
	v_mfma_f32_4x4x4_16b_bf16 a[0:3], v[68:69], v[24:25], a[0:3] cbsz:4 abid:11
	s_nop 1
	v_mfma_f32_4x4x4_16b_bf16 a[0:3], v[68:69], v[26:27], a[0:3] cbsz:4 abid:12
	s_nop 1
	v_mfma_f32_4x4x4_16b_bf16 a[0:3], v[68:69], v[28:29], a[0:3] cbsz:4 abid:13
	s_nop 1
	v_mfma_f32_4x4x4_16b_bf16 a[0:3], v[68:69], v[30:31], a[0:3] cbsz:4 abid:14
	s_nop 1
	v_mfma_f32_4x4x4_16b_bf16 a[0:3], v[68:69], v[32:33], a[0:3] cbsz:4 abid:15
	s_nop 4
	v_accvgpr_read_b32 v4, a0
	v_accvgpr_read_b32 v5, a1
	;; [unrolled: 1-line block ×4, first 2 shown]
	v_bfe_u32 v6, v5, 16, 1
	v_bfe_u32 v7, v4, 16, 1
	v_add3_u32 v4, v4, v7, s1
	v_add3_u32 v5, v5, v6, s1
	v_bfe_u32 v6, v3, 16, 1
	v_bfe_u32 v7, v2, 16, 1
	v_add3_u32 v2, v2, v7, s1
	v_add3_u32 v3, v3, v6, s1
	v_perm_b32 v71, v3, v2, s6
	v_perm_b32 v70, v5, v4, s6
.LBB708_23:
	s_or_b64 exec, exec, s[2:3]
	s_waitcnt vmcnt(14)
	v_mad_u32_u24 v2, v1, 40, v73
	v_cmp_gt_u32_e32 vcc, 64, v0
	ds_write_b64 v2, v[70:71] offset:2560
	s_waitcnt lgkmcnt(0)
	s_barrier
	s_and_saveexec_b64 s[2:3], vcc
	s_cbranch_execz .LBB708_25
; %bb.24:
	v_mov_b32_e32 v2, 0xa00
	v_mad_u32_u24 v2, v1, 40, v2
	ds_read2_b64 v[2:5], v2 offset1:1
	s_waitcnt lgkmcnt(0)
	v_mov_b32_e32 v3, 0xa10
	s_waitcnt vmcnt(12)
	v_mul_u32_u24_e32 v10, 40, v1
	v_mad_u32_u24 v1, v1, 40, v3
	ds_read2_b64 v[6:9], v1 offset1:1
	v_lshlrev_b32_e32 v1, 16, v2
	v_add_f32_e32 v1, 0, v1
	v_and_b32_e32 v1, 0xffff0000, v1
	v_lshlrev_b32_e32 v2, 16, v4
	v_add_f32_e32 v1, v1, v2
	v_and_b32_e32 v1, 0xffff0000, v1
	s_waitcnt lgkmcnt(0)
	v_lshlrev_b32_e32 v2, 16, v6
	v_add_f32_e32 v1, v1, v2
	v_and_b32_e32 v1, 0xffff0000, v1
	v_lshlrev_b32_e32 v2, 16, v8
	v_add_f32_e32 v11, v1, v2
	ds_read2_b64 v[2:5], v10 offset1:1
	ds_read2_b64 v[6:9], v10 offset0:2 offset1:3
	s_mov_b32 s1, 0
	s_lshl_b32 s0, s0, 7
	s_lshl_b64 s[2:3], s[0:1], 1
	s_waitcnt lgkmcnt(1)
	v_lshlrev_b32_e32 v2, 16, v2
	v_add_f32_e32 v2, 0, v2
	s_add_u32 s2, s22, s2
	v_and_b32_e32 v2, 0xffff0000, v2
	v_lshlrev_b32_e32 v3, 16, v4
	s_addc_u32 s3, s23, s3
	s_lshl_b32 s0, s20, 7
	v_add_f32_e32 v2, v2, v3
	s_lshl_b64 s[0:1], s[0:1], 1
	v_and_b32_e32 v2, 0xffff0000, v2
	s_waitcnt lgkmcnt(0)
	v_lshlrev_b32_e32 v3, 16, v6
	s_add_u32 s0, s2, s0
	s_mul_i32 s4, s4, s5
	v_add_f32_e32 v2, v2, v3
	s_addc_u32 s1, s3, s1
	v_lshl_or_b32 v0, s4, 7, v0
	v_mov_b32_e32 v1, 0
	v_and_b32_e32 v2, 0xffff0000, v2
	v_lshlrev_b32_e32 v3, 16, v8
	v_lshl_add_u64 v[0:1], v[0:1], 1, s[0:1]
	v_add_f32_e32 v2, v2, v3
	global_store_short_d16_hi v[0:1], v2, off
	global_store_short_d16_hi v[0:1], v11, off offset:128
.LBB708_25:
	s_endpgm
	.section	.rodata,"a",@progbits
	.p2align	6, 0x0
	.amdhsa_kernel _Z38paged_attention_ll4mi_QKV_mfma4_kernelI14__hip_bfloat16S0_LN4vllm18Fp8KVCacheDataTypeE0EhLi32ELi128ELi256ELb0ELi1EEvPKT_PKT0_S8_ifPKiSA_SA_iPKfiiiPfSD_PS3_PT2_iSC_SC_
		.amdhsa_group_segment_fixed_size 5280
		.amdhsa_private_segment_fixed_size 0
		.amdhsa_kernarg_size 400
		.amdhsa_user_sgpr_count 2
		.amdhsa_user_sgpr_dispatch_ptr 0
		.amdhsa_user_sgpr_queue_ptr 0
		.amdhsa_user_sgpr_kernarg_segment_ptr 1
		.amdhsa_user_sgpr_dispatch_id 0
		.amdhsa_user_sgpr_kernarg_preload_length 0
		.amdhsa_user_sgpr_kernarg_preload_offset 0
		.amdhsa_user_sgpr_private_segment_size 0
		.amdhsa_uses_dynamic_stack 0
		.amdhsa_enable_private_segment 0
		.amdhsa_system_sgpr_workgroup_id_x 1
		.amdhsa_system_sgpr_workgroup_id_y 1
		.amdhsa_system_sgpr_workgroup_id_z 1
		.amdhsa_system_sgpr_workgroup_info 0
		.amdhsa_system_vgpr_workitem_id 0
		.amdhsa_next_free_vgpr 100
		.amdhsa_next_free_sgpr 38
		.amdhsa_accum_offset 92
		.amdhsa_reserve_vcc 1
		.amdhsa_float_round_mode_32 0
		.amdhsa_float_round_mode_16_64 0
		.amdhsa_float_denorm_mode_32 3
		.amdhsa_float_denorm_mode_16_64 3
		.amdhsa_dx10_clamp 1
		.amdhsa_ieee_mode 1
		.amdhsa_fp16_overflow 0
		.amdhsa_tg_split 0
		.amdhsa_exception_fp_ieee_invalid_op 0
		.amdhsa_exception_fp_denorm_src 0
		.amdhsa_exception_fp_ieee_div_zero 0
		.amdhsa_exception_fp_ieee_overflow 0
		.amdhsa_exception_fp_ieee_underflow 0
		.amdhsa_exception_fp_ieee_inexact 0
		.amdhsa_exception_int_div_zero 0
	.end_amdhsa_kernel
	.section	.text._Z38paged_attention_ll4mi_QKV_mfma4_kernelI14__hip_bfloat16S0_LN4vllm18Fp8KVCacheDataTypeE0EhLi32ELi128ELi256ELb0ELi1EEvPKT_PKT0_S8_ifPKiSA_SA_iPKfiiiPfSD_PS3_PT2_iSC_SC_,"axG",@progbits,_Z38paged_attention_ll4mi_QKV_mfma4_kernelI14__hip_bfloat16S0_LN4vllm18Fp8KVCacheDataTypeE0EhLi32ELi128ELi256ELb0ELi1EEvPKT_PKT0_S8_ifPKiSA_SA_iPKfiiiPfSD_PS3_PT2_iSC_SC_,comdat
.Lfunc_end708:
	.size	_Z38paged_attention_ll4mi_QKV_mfma4_kernelI14__hip_bfloat16S0_LN4vllm18Fp8KVCacheDataTypeE0EhLi32ELi128ELi256ELb0ELi1EEvPKT_PKT0_S8_ifPKiSA_SA_iPKfiiiPfSD_PS3_PT2_iSC_SC_, .Lfunc_end708-_Z38paged_attention_ll4mi_QKV_mfma4_kernelI14__hip_bfloat16S0_LN4vllm18Fp8KVCacheDataTypeE0EhLi32ELi128ELi256ELb0ELi1EEvPKT_PKT0_S8_ifPKiSA_SA_iPKfiiiPfSD_PS3_PT2_iSC_SC_
                                        ; -- End function
	.section	.AMDGPU.csdata,"",@progbits
; Kernel info:
; codeLenInByte = 3972
; NumSgprs: 44
; NumVgprs: 89
; NumAgprs: 8
; TotalNumVgprs: 100
; ScratchSize: 0
; MemoryBound: 0
; FloatMode: 240
; IeeeMode: 1
; LDSByteSize: 5280 bytes/workgroup (compile time only)
; SGPRBlocks: 5
; VGPRBlocks: 12
; NumSGPRsForWavesPerEU: 44
; NumVGPRsForWavesPerEU: 100
; AccumOffset: 92
; Occupancy: 4
; WaveLimiterHint : 1
; COMPUTE_PGM_RSRC2:SCRATCH_EN: 0
; COMPUTE_PGM_RSRC2:USER_SGPR: 2
; COMPUTE_PGM_RSRC2:TRAP_HANDLER: 0
; COMPUTE_PGM_RSRC2:TGID_X_EN: 1
; COMPUTE_PGM_RSRC2:TGID_Y_EN: 1
; COMPUTE_PGM_RSRC2:TGID_Z_EN: 1
; COMPUTE_PGM_RSRC2:TIDIG_COMP_CNT: 0
; COMPUTE_PGM_RSRC3_GFX90A:ACCUM_OFFSET: 22
; COMPUTE_PGM_RSRC3_GFX90A:TG_SPLIT: 0
	.section	.text._Z38paged_attention_ll4mi_QKV_mfma4_kernelI14__hip_bfloat16S0_LN4vllm18Fp8KVCacheDataTypeE0EhLi32ELi128ELi256ELb0ELi2EEvPKT_PKT0_S8_ifPKiSA_SA_iPKfiiiPfSD_PS3_PT2_iSC_SC_,"axG",@progbits,_Z38paged_attention_ll4mi_QKV_mfma4_kernelI14__hip_bfloat16S0_LN4vllm18Fp8KVCacheDataTypeE0EhLi32ELi128ELi256ELb0ELi2EEvPKT_PKT0_S8_ifPKiSA_SA_iPKfiiiPfSD_PS3_PT2_iSC_SC_,comdat
	.protected	_Z38paged_attention_ll4mi_QKV_mfma4_kernelI14__hip_bfloat16S0_LN4vllm18Fp8KVCacheDataTypeE0EhLi32ELi128ELi256ELb0ELi2EEvPKT_PKT0_S8_ifPKiSA_SA_iPKfiiiPfSD_PS3_PT2_iSC_SC_ ; -- Begin function _Z38paged_attention_ll4mi_QKV_mfma4_kernelI14__hip_bfloat16S0_LN4vllm18Fp8KVCacheDataTypeE0EhLi32ELi128ELi256ELb0ELi2EEvPKT_PKT0_S8_ifPKiSA_SA_iPKfiiiPfSD_PS3_PT2_iSC_SC_
	.globl	_Z38paged_attention_ll4mi_QKV_mfma4_kernelI14__hip_bfloat16S0_LN4vllm18Fp8KVCacheDataTypeE0EhLi32ELi128ELi256ELb0ELi2EEvPKT_PKT0_S8_ifPKiSA_SA_iPKfiiiPfSD_PS3_PT2_iSC_SC_
	.p2align	8
	.type	_Z38paged_attention_ll4mi_QKV_mfma4_kernelI14__hip_bfloat16S0_LN4vllm18Fp8KVCacheDataTypeE0EhLi32ELi128ELi256ELb0ELi2EEvPKT_PKT0_S8_ifPKiSA_SA_iPKfiiiPfSD_PS3_PT2_iSC_SC_,@function
_Z38paged_attention_ll4mi_QKV_mfma4_kernelI14__hip_bfloat16S0_LN4vllm18Fp8KVCacheDataTypeE0EhLi32ELi128ELi256ELb0ELi2EEvPKT_PKT0_S8_ifPKiSA_SA_iPKfiiiPfSD_PS3_PT2_iSC_SC_: ; @_Z38paged_attention_ll4mi_QKV_mfma4_kernelI14__hip_bfloat16S0_LN4vllm18Fp8KVCacheDataTypeE0EhLi32ELi128ELi256ELb0ELi2EEvPKT_PKT0_S8_ifPKiSA_SA_iPKfiiiPfSD_PS3_PT2_iSC_SC_
; %bb.0:
	s_load_dwordx2 s[16:17], s[0:1], 0x30
	s_mov_b32 s20, s3
	s_mov_b64 s[6:7], 0
	s_waitcnt lgkmcnt(0)
	s_cmp_lg_u64 s[16:17], 0
	s_cselect_b64 s[18:19], -1, 0
	s_and_b64 vcc, exec, s[18:19]
	s_cbranch_vccz .LBB709_10
; %bb.1:
	s_add_i32 s8, s2, 1
	s_mov_b32 s9, 0
	s_lshl_b64 s[10:11], s[8:9], 2
	s_add_u32 s10, s16, s10
	s_mov_b32 s3, s9
	s_addc_u32 s11, s17, s11
	s_lshl_b64 s[8:9], s[2:3], 2
	s_add_u32 s8, s16, s8
	s_addc_u32 s9, s17, s9
	s_load_dword s5, s[10:11], 0x0
	s_load_dword s12, s[8:9], 0x0
	s_waitcnt lgkmcnt(0)
	s_sub_i32 s5, s5, s12
	s_cmp_eq_u32 s5, 1
	s_cselect_b64 s[8:9], -1, 0
	s_andn2_b64 vcc, exec, s[6:7]
	s_cbranch_vccnz .LBB709_3
.LBB709_2:
	s_mov_b32 s3, 0
	s_mov_b64 s[8:9], -1
.LBB709_3:
	s_andn2_b64 vcc, exec, s[8:9]
	s_cbranch_vccnz .LBB709_25
; %bb.4:
	s_load_dword s5, s[0:1], 0x9c
	s_load_dwordx2 s[6:7], s[0:1], 0x28
	s_add_u32 s24, s0, 0x90
	s_addc_u32 s25, s1, 0
	s_lshl_b64 s[28:29], s[2:3], 2
	s_waitcnt lgkmcnt(0)
	s_and_b32 s5, s5, 0xffff
	s_add_u32 s6, s6, s28
	s_addc_u32 s7, s7, s29
	s_load_dword s3, s[6:7], 0x0
	s_mul_i32 s10, s20, s5
	s_waitcnt lgkmcnt(0)
	s_cmp_ge_i32 s10, s3
	s_cbranch_scc1 .LBB709_25
; %bb.5:
	v_and_b32_e32 v1, 0xc0, v0
	v_add_u32_e32 v2, s10, v1
	v_lshrrev_b32_e32 v70, 6, v0
	v_cmp_le_i32_e64 s[6:7], s3, v2
                                        ; implicit-def: $sgpr21
                                        ; implicit-def: $sgpr11
	s_and_saveexec_b64 s[8:9], s[6:7]
	s_xor_b64 s[8:9], exec, s[8:9]
	s_cbranch_execz .LBB709_7
; %bb.6:
	v_mul_u32_u24_e32 v1, 20, v70
	v_or_b32_e32 v1, 0x1400, v1
	v_mov_b32_e32 v2, 0x1450
	v_mov_b32_e32 v3, 0xff7fffff
	v_mad_u32_u24 v2, v70, 20, v2
	ds_write2_b32 v1, v3, v3 offset1:1
	v_mov_b32_e32 v1, 0
	ds_write2_b32 v2, v1, v1 offset1:1
	v_mov_b32_e32 v2, 0x1408
	s_mov_b32 s11, 0xff7fffff
	s_mov_b32 s21, 0
	v_mad_u32_u24 v2, v70, 20, v2
	v_mov_b32_e32 v4, 0x1458
	v_mad_u32_u24 v4, v70, 20, v4
	ds_write2_b32 v2, v3, v3 offset1:1
	ds_write2_b32 v4, v1, v1 offset1:1
                                        ; implicit-def: $vgpr2
.LBB709_7:
	s_or_saveexec_b64 s[26:27], s[8:9]
	s_load_dwordx2 s[22:23], s[0:1], 0x68
	s_load_dwordx4 s[12:15], s[0:1], 0x58
	s_load_dword s5, s[24:25], 0x4
	v_and_b32_e32 v1, 63, v0
	v_and_b32_e32 v71, 3, v0
	v_mov_b32_e32 v67, s21
	v_mov_b32_e32 v72, s11
	;; [unrolled: 1-line block ×5, first 2 shown]
                                        ; implicit-def: $vgpr35
                                        ; implicit-def: $vgpr39
                                        ; implicit-def: $vgpr47
                                        ; implicit-def: $vgpr59
                                        ; implicit-def: $vgpr15
                                        ; implicit-def: $vgpr3
                                        ; implicit-def: $vgpr7
                                        ; implicit-def: $vgpr11
                                        ; implicit-def: $vgpr55
                                        ; implicit-def: $vgpr43
                                        ; implicit-def: $vgpr51
                                        ; implicit-def: $vgpr63
                                        ; implicit-def: $vgpr19
                                        ; implicit-def: $vgpr23
                                        ; implicit-def: $vgpr27
                                        ; implicit-def: $vgpr31
	s_xor_b64 exec, exec, s[26:27]
	s_cbranch_execz .LBB709_17
; %bb.8:
	s_add_i32 s21, s3, 31
	s_load_dwordx2 s[8:9], s[0:1], 0x20
	s_load_dword s11, s[0:1], 0x38
	s_ashr_i32 s30, s21, 31
	s_lshr_b32 s30, s30, 27
	v_add_u32_e32 v72, s10, v0
	s_add_i32 s21, s21, s30
	v_ashrrev_i32_e32 v3, 31, v72
	s_ashr_i32 s21, s21, 5
	v_lshrrev_b32_e32 v3, 27, v3
	s_add_i32 s21, s21, -1
	v_add_u32_e32 v3, v72, v3
	s_waitcnt lgkmcnt(0)
	s_mul_i32 s30, s2, s11
	s_mov_b32 s31, 0
	v_ashrrev_i32_e32 v3, 5, v3
	v_mov_b32_e32 v4, s21
	v_cmp_gt_i32_e32 vcc, s3, v72
	s_lshl_b64 s[30:31], s[30:31], 2
	s_add_u32 s8, s8, s30
	v_cndmask_b32_e32 v4, v4, v3, vcc
	v_ashrrev_i32_e32 v3, 31, v2
	v_lshrrev_b32_e32 v3, 27, v3
	s_addc_u32 s9, s9, s31
	v_ashrrev_i32_e32 v5, 31, v4
	v_add_u32_e32 v2, v2, v3
	v_lshl_add_u64 v[6:7], v[4:5], 2, s[8:9]
	v_ashrrev_i32_e32 v4, 5, v2
	v_min_i32_e32 v2, s21, v4
	v_ashrrev_i32_e32 v3, 31, v2
	v_lshl_add_u64 v[8:9], v[2:3], 2, s[8:9]
	v_add_u32_e32 v2, 1, v4
	v_min_i32_e32 v2, s21, v2
	v_ashrrev_i32_e32 v3, 31, v2
	v_lshl_add_u64 v[10:11], v[2:3], 2, s[8:9]
	global_load_dword v4, v[6:7], off
	global_load_dword v2, v[8:9], off
	;; [unrolled: 1-line block ×3, first 2 shown]
	s_load_dwordx4 s[8:11], s[0:1], 0x8
	s_andn2_b64 vcc, exec, s[18:19]
	s_cbranch_vccnz .LBB709_11
; %bb.9:
	s_add_u32 s16, s16, s28
	s_addc_u32 s17, s17, s29
	s_load_dword s21, s[16:17], 0x0
	s_branch .LBB709_12
.LBB709_10:
	s_mov_b64 s[8:9], 0
	s_branch .LBB709_2
.LBB709_11:
	s_mov_b32 s21, s2
.LBB709_12:
	s_load_dwordx4 s[16:19], s[0:1], 0x48
	v_cmp_gt_u32_e32 vcc, 2, v71
	s_mov_b32 s29, 0
	v_mov_b32_e32 v35, 0
	v_mov_b32_e32 v66, 0
	;; [unrolled: 1-line block ×5, first 2 shown]
	s_and_saveexec_b64 s[30:31], vcc
	s_cbranch_execz .LBB709_14
; %bb.13:
	s_load_dwordx2 s[34:35], s[0:1], 0x0
	s_waitcnt lgkmcnt(0)
	s_ashr_i32 s19, s16, 31
	s_mul_hi_u32 s28, s21, s16
	s_mul_i32 s19, s21, s19
	s_add_i32 s37, s28, s19
	s_mul_i32 s36, s21, s16
	s_lshl_b64 s[36:37], s[36:37], 1
	s_add_u32 s16, s34, s36
	s_addc_u32 s19, s35, s37
	s_lshl_b32 s28, s4, 8
	s_lshl_b64 s[34:35], s[28:29], 1
	v_lshlrev_b32_e32 v5, 2, v1
	s_add_u32 s34, s16, s34
	v_and_b32_e32 v5, 0xf0, v5
	s_addc_u32 s35, s19, s35
	v_lshl_or_b32 v5, v71, 8, v5
	global_load_dwordx4 v[66:69], v5, s[34:35]
.LBB709_14:
	s_or_b64 exec, exec, s[30:31]
	s_waitcnt lgkmcnt(0)
	s_mul_i32 s28, s4, s18
	s_lshl_b64 s[18:19], s[28:29], 1
	s_add_u32 s8, s18, s8
	s_waitcnt vmcnt(2)
	v_mad_i64_i32 v[4:5], s[30:31], v4, s17, 0
	s_addc_u32 s9, s19, s9
	v_lshl_add_u64 v[32:33], v[4:5], 1, s[8:9]
	v_and_b32_e32 v4, 31, v0
	v_lshlrev_b32_e32 v34, 4, v4
	v_lshl_add_u64 v[40:41], v[32:33], 0, v[34:35]
	global_load_dwordx4 v[4:7], v[40:41], off
	global_load_dwordx4 v[8:11], v[40:41], off offset:512
	global_load_dwordx4 v[12:15], v[40:41], off offset:1024
	;; [unrolled: 1-line block ×7, first 2 shown]
	v_mov_b32_e32 v41, v35
	v_or_b32_e32 v40, 0x1000, v34
	v_lshl_add_u64 v[40:41], v[32:33], 0, v[40:41]
	global_load_dwordx4 v[40:43], v[40:41], off
	v_mov_b32_e32 v45, v35
	v_or_b32_e32 v44, 0x1200, v34
	v_lshl_add_u64 v[44:45], v[32:33], 0, v[44:45]
	global_load_dwordx4 v[44:47], v[44:45], off
	;; [unrolled: 4-line block ×6, first 2 shown]
	v_or_b32_e32 v34, 0x1c00, v34
	v_lshl_add_u64 v[74:75], v[32:33], 0, v[34:35]
	global_load_dwordx4 v[74:77], v[74:75], off
	v_mov_b32_e32 v64, 0x1e00
	v_lshl_or_b32 v34, v0, 4, v64
	v_lshl_add_u64 v[32:33], v[32:33], 0, v[34:35]
	global_load_dwordx4 v[78:81], v[32:33], off
	s_waitcnt vmcnt(16)
	v_mul_hi_i32 v82, v3, s17
	v_mul_hi_i32 v73, v2, s17
	v_mov_b32_e32 v83, v35
	v_mov_b32_e32 v65, v35
	s_load_dword s0, s[0:1], 0x1c
	v_cmp_eq_u32_e32 vcc, 0, v71
	v_and_b32_e32 v88, -4, v72
	v_or_b32_e32 v72, 3, v72
	v_cndmask_b32_e64 v84, 0, 1.0, vcc
	v_cmp_eq_u32_e32 vcc, 1, v71
	v_lshlrev_b32_e32 v89, 2, v0
	s_waitcnt vmcnt(15)
	v_mfma_f32_4x4x4_16b_bf16 a[0:3], v[66:67], v[4:5], 0 cbsz:4
	v_ashrrev_i32_e32 v4, 31, v82
	s_nop 0
	v_mfma_f32_4x4x4_16b_bf16 a[0:3], v[68:69], v[6:7], a[0:3] cbsz:4
	v_lshrrev_b32_e32 v82, 29, v4
	v_ashrrev_i32_e32 v6, 31, v73
	s_waitcnt vmcnt(14)
	v_mfma_f32_4x4x4_16b_bf16 a[0:3], v[66:67], v[8:9], a[0:3] cbsz:4 abid:1
	v_mad_i64_i32 v[4:5], s[8:9], v3, s17, v[82:83]
	s_nop 0
	v_mfma_f32_4x4x4_16b_bf16 a[0:3], v[68:69], v[10:11], a[0:3] cbsz:4 abid:1
	s_add_u32 s8, s10, s18
	v_lshrrev_b32_e32 v34, 29, v6
	s_waitcnt vmcnt(13)
	v_mfma_f32_4x4x4_16b_bf16 a[0:3], v[66:67], v[12:13], a[0:3] cbsz:4 abid:2
	s_addc_u32 s9, s11, s19
	v_mad_i64_i32 v[2:3], s[10:11], v2, s17, v[34:35]
	v_mfma_f32_4x4x4_16b_bf16 a[0:3], v[68:69], v[14:15], a[0:3] cbsz:4 abid:2
	v_lshlrev_b64 v[4:5], 1, v[4:5]
	v_and_b32_e32 v4, -16, v4
	s_waitcnt vmcnt(12)
	v_mfma_f32_4x4x4_16b_bf16 a[0:3], v[66:67], v[16:17], a[0:3] cbsz:4 abid:3
	v_lshlrev_b32_e32 v34, 6, v1
	v_or_b32_e32 v64, 0x1000, v34
	v_mfma_f32_4x4x4_16b_bf16 a[0:3], v[68:69], v[18:19], a[0:3] cbsz:4 abid:3
	v_lshl_add_u64 v[18:19], s[8:9], 0, v[4:5]
	v_cndmask_b32_e64 v85, 0, 1.0, vcc
	s_waitcnt vmcnt(11)
	v_mfma_f32_4x4x4_16b_bf16 a[0:3], v[66:67], v[20:21], a[0:3] cbsz:4 abid:4
	v_lshlrev_b64 v[20:21], 1, v[2:3]
	v_and_b32_e32 v20, -16, v20
	v_mfma_f32_4x4x4_16b_bf16 a[0:3], v[68:69], v[22:23], a[0:3] cbsz:4 abid:4
	v_lshl_add_u64 v[22:23], v[18:19], 0, v[34:35]
	global_load_dwordx4 v[14:17], v[22:23], off
	global_load_dwordx4 v[2:5], v[22:23], off offset:16
	s_waitcnt vmcnt(12)
	v_mfma_f32_4x4x4_16b_bf16 a[0:3], v[66:67], v[24:25], a[0:3] cbsz:4 abid:5
	global_load_dwordx4 v[6:9], v[22:23], off offset:32
	global_load_dwordx4 v[10:13], v[22:23], off offset:48
	v_mfma_f32_4x4x4_16b_bf16 a[0:3], v[68:69], v[26:27], a[0:3] cbsz:4 abid:5
	v_cmp_eq_u32_e32 vcc, 2, v71
	v_mov_b32_e32 v73, 0xff7fffff
	s_waitcnt vmcnt(13)
	v_mfma_f32_4x4x4_16b_bf16 a[0:3], v[66:67], v[28:29], a[0:3] cbsz:4 abid:6
	v_cndmask_b32_e64 v86, 0, 1.0, vcc
	v_cmp_eq_u32_e32 vcc, 3, v71
	v_mfma_f32_4x4x4_16b_bf16 a[0:3], v[68:69], v[30:31], a[0:3] cbsz:4 abid:6
	v_cmp_gt_i32_e64 s[10:11], s3, v72
	v_cndmask_b32_e64 v87, 0, 1.0, vcc
	s_waitcnt vmcnt(12)
	v_mfma_f32_4x4x4_16b_bf16 a[0:3], v[66:67], v[36:37], a[0:3] cbsz:4 abid:7
	v_lshl_add_u64 v[36:37], v[18:19], 0, v[64:65]
	v_cmp_gt_i32_e32 vcc, s3, v88
	v_mfma_f32_4x4x4_16b_bf16 a[0:3], v[68:69], v[38:39], a[0:3] cbsz:4 abid:7
	v_lshl_add_u64 v[38:39], s[8:9], 0, v[20:21]
	v_lshl_add_u64 v[82:83], v[38:39], 0, v[64:65]
	s_waitcnt vmcnt(11)
	v_mfma_f32_4x4x4_16b_bf16 a[0:3], v[66:67], v[40:41], a[0:3] cbsz:4 abid:8
	global_load_dwordx4 v[18:21], v[36:37], off
	global_load_dwordx4 v[22:25], v[36:37], off offset:16
	v_mfma_f32_4x4x4_16b_bf16 a[0:3], v[68:69], v[42:43], a[0:3] cbsz:4 abid:8
	v_lshl_add_u64 v[42:43], v[38:39], 0, v[34:35]
	global_load_dwordx4 v[26:29], v[36:37], off offset:32
	global_load_dwordx4 v[30:33], v[36:37], off offset:48
	s_waitcnt vmcnt(14)
	v_mfma_f32_4x4x4_16b_bf16 a[0:3], v[66:67], v[44:45], a[0:3] cbsz:4 abid:9
	global_load_dwordx4 v[34:37], v[42:43], off
	global_load_dwordx4 v[38:41], v[42:43], off offset:16
	v_mfma_f32_4x4x4_16b_bf16 a[0:3], v[68:69], v[46:47], a[0:3] cbsz:4 abid:9
	s_waitcnt vmcnt(15)
	s_nop 0
	v_mfma_f32_4x4x4_16b_bf16 a[0:3], v[66:67], v[48:49], a[0:3] cbsz:4 abid:10
	s_nop 1
	v_mfma_f32_4x4x4_16b_bf16 a[0:3], v[68:69], v[50:51], a[0:3] cbsz:4 abid:10
	s_waitcnt vmcnt(14)
	s_nop 0
	v_mfma_f32_4x4x4_16b_bf16 a[0:3], v[66:67], v[52:53], a[0:3] cbsz:4 abid:11
	s_nop 1
	;; [unrolled: 5-line block ×3, first 2 shown]
	v_mfma_f32_4x4x4_16b_bf16 a[0:3], v[68:69], v[58:59], a[0:3] cbsz:4 abid:12
	s_waitcnt vmcnt(12)
	s_nop 0
	v_mfma_f32_4x4x4_16b_bf16 a[0:3], v[66:67], v[60:61], a[0:3] cbsz:4 abid:13
	global_load_dwordx4 v[46:49], v[42:43], off offset:32
	global_load_dwordx4 v[58:61], v[42:43], off offset:48
	v_mfma_f32_4x4x4_16b_bf16 a[0:3], v[68:69], v[62:63], a[0:3] cbsz:4 abid:13
	global_load_dwordx4 v[54:57], v[82:83], off
	global_load_dwordx4 v[42:45], v[82:83], off offset:16
	global_load_dwordx4 v[50:53], v[82:83], off offset:32
	;; [unrolled: 1-line block ×3, first 2 shown]
	s_waitcnt vmcnt(17)
	v_mfma_f32_4x4x4_16b_bf16 a[0:3], v[66:67], v[74:75], a[0:3] cbsz:4 abid:14
	v_and_or_b32 v74, v89, 48, v71
	v_lshlrev_b32_e32 v74, 2, v74
	v_mfma_f32_4x4x4_16b_bf16 a[0:3], v[68:69], v[76:77], a[0:3] cbsz:4 abid:14
	s_waitcnt vmcnt(16)
	s_nop 0
	v_mfma_f32_4x4x4_16b_bf16 a[0:3], v[66:67], v[78:79], a[0:3] cbsz:4 abid:15
	s_nop 1
	v_mfma_f32_4x4x4_16b_bf16 a[0:3], v[68:69], v[80:81], a[0:3] cbsz:4 abid:15
	s_nop 4
	v_accvgpr_read_b32 v67, a1
	v_accvgpr_read_b32 v66, a0
	s_waitcnt lgkmcnt(0)
	v_pk_mul_f32 v[66:67], s[0:1], v[66:67] op_sel_hi:[0,1]
	v_accvgpr_read_b32 v69, a3
	v_accvgpr_read_b32 v68, a2
	v_pk_mul_f32 v[68:69], s[0:1], v[68:69] op_sel_hi:[0,1]
	v_mfma_f32_4x4x1_16b_f32 a[0:3], v66, v84, 0
	v_or_b32_e32 v66, 1, v88
	s_nop 0
	v_mfma_f32_4x4x1_16b_f32 a[0:3], v67, v85, a[0:3]
	v_cmp_gt_i32_e64 s[0:1], s3, v66
	v_or_b32_e32 v67, 2, v88
	v_mfma_f32_4x4x1_16b_f32 a[0:3], v68, v86, a[0:3]
	v_cmp_gt_i32_e64 s[8:9], s3, v67
	s_nop 0
	v_mfma_f32_4x4x1_16b_f32 a[0:3], v69, v87, a[0:3]
	s_nop 3
	v_accvgpr_read_b32 v68, a0
	v_max_f32_e32 v77, v68, v68
	v_accvgpr_read_b32 v69, a1
	v_max_f32_e32 v77, 0xff7fffff, v77
	v_max_f32_e32 v78, v69, v69
	v_cndmask_b32_e32 v73, v73, v77, vcc
	v_accvgpr_read_b32 v75, a2
	v_max_f32_e32 v77, v73, v78
	v_max_f32_e32 v79, v75, v75
	v_cndmask_b32_e64 v66, v73, v77, s[0:1]
	v_accvgpr_read_b32 v76, a3
	v_max_f32_e32 v73, v66, v79
	v_max_f32_e32 v80, v76, v76
	v_cndmask_b32_e64 v66, v66, v73, s[8:9]
	v_max_f32_e32 v67, v66, v80
	v_cndmask_b32_e64 v66, v66, v67, s[10:11]
	;;#ASMSTART
	v_nop
 v_nop
 v_max_f32_dpp v66, v66, v66 row_ror:4
	;;#ASMEND
	s_nop 0
	;;#ASMSTART
	v_nop
 v_nop
 v_max_f32_dpp v66, v66, v66 row_ror:8
	;;#ASMEND
	ds_bpermute_b32 v66, v74, v66
	s_waitcnt lgkmcnt(0)
	;;#ASMSTART
	v_nop
 v_nop
 v_max_f32_dpp v66, v66, v66 row_ror:4
	;;#ASMEND
	s_nop 0
	;;#ASMSTART
	v_nop
 v_nop
 v_max_f32_dpp v72, v66, v66 row_ror:8
	;;#ASMEND
	s_nop 0
	v_sub_f32_e32 v66, v68, v72
	v_sub_f32_e32 v67, v69, v72
	v_sub_f32_e32 v68, v75, v72
	v_mul_f32_e32 v66, 0x3fb8aa3b, v66
	v_mul_f32_e32 v67, 0x3fb8aa3b, v67
	;; [unrolled: 1-line block ×3, first 2 shown]
	v_exp_f32_e32 v66, v66
	v_sub_f32_e32 v69, v76, v72
	v_exp_f32_e32 v67, v67
	v_exp_f32_e32 v73, v68
	v_mul_f32_e32 v69, 0x3fb8aa3b, v69
	v_exp_f32_e32 v75, v69
	v_cndmask_b32_e32 v68, 0, v66, vcc
	v_cndmask_b32_e64 v69, 0, v67, s[0:1]
	v_cndmask_b32_e64 v66, 0, v73, s[8:9]
	v_add_f32_e32 v73, 0, v68
	v_add_f32_e32 v73, v73, v69
	v_cndmask_b32_e64 v67, 0, v75, s[10:11]
	v_add_f32_e32 v73, v73, v66
	v_add_f32_e32 v73, v73, v67
	;;#ASMSTART
	v_nop
 v_nop
 v_add_f32_dpp v73, v73, v73 row_ror:4
	;;#ASMEND
	v_cmp_gt_u32_e32 vcc, 4, v1
	;;#ASMSTART
	v_nop
 v_nop
 v_add_f32_dpp v73, v73, v73 row_ror:8
	;;#ASMEND
	ds_bpermute_b32 v73, v74, v73
	s_waitcnt lgkmcnt(0)
	;;#ASMSTART
	v_nop
 v_nop
 v_add_f32_dpp v73, v73, v73 row_ror:4
	;;#ASMEND
	s_nop 0
	;;#ASMSTART
	v_nop
 v_nop
 v_add_f32_dpp v73, v73, v73 row_ror:8
	;;#ASMEND
	s_and_saveexec_b64 s[0:1], vcc
	s_cbranch_execz .LBB709_16
; %bb.15:
	v_mul_u32_u24_e32 v74, 20, v70
	v_lshl_add_u32 v74, v71, 2, v74
	v_add_u32_e32 v74, 0x1400, v74
	ds_write2_b32 v74, v72, v73 offset1:20
.LBB709_16:
	s_or_b64 exec, exec, s[0:1]
.LBB709_17:
	s_or_b64 exec, exec, s[26:27]
	s_waitcnt lgkmcnt(0)
	s_barrier
	s_load_dword s0, s[24:25], 0x8
	v_lshlrev_b32_e32 v73, 2, v71
	v_add_u32_e32 v73, 0x1400, v73
	ds_read2_b32 v[76:77], v73 offset1:5
	ds_read2_b32 v[78:79], v73 offset0:10 offset1:15
	s_mul_i32 s1, s2, s5
	s_waitcnt lgkmcnt(0)
	s_mul_i32 s1, s1, s0
	s_lshl_b32 s0, s1, 1
	s_mov_b32 s1, 0xff7fffff
	v_max3_f32 v74, v76, s1, v77
	v_max3_f32 v74, v74, v78, v79
	v_sub_f32_e32 v75, v76, v74
	v_sub_f32_e32 v76, v77, v74
	ds_read2_b32 v[80:81], v73 offset0:20 offset1:25
	v_mul_f32_e32 v75, 0x3fb8aa3b, v75
	v_mul_f32_e32 v76, 0x3fb8aa3b, v76
	v_exp_f32_e32 v75, v75
	v_exp_f32_e32 v82, v76
	ds_read2_b32 v[76:77], v73 offset0:30 offset1:35
	v_sub_f32_e32 v73, v78, v74
	v_mul_f32_e32 v73, 0x3fb8aa3b, v73
	v_sub_f32_e32 v78, v79, v74
	v_exp_f32_e32 v73, v73
	v_mul_f32_e32 v78, 0x3fb8aa3b, v78
	v_exp_f32_e32 v78, v78
	s_waitcnt lgkmcnt(1)
	v_fma_f32 v75, v75, v80, 0
	v_fmac_f32_e32 v75, v82, v81
	s_waitcnt lgkmcnt(0)
	v_fmac_f32_e32 v75, v73, v76
	s_lshl_b32 s4, s4, 1
	v_fmac_f32_e32 v75, v78, v77
	v_cmp_gt_u32_e32 vcc, 2, v71
	s_and_saveexec_b64 s[2:3], vcc
	s_cbranch_execz .LBB709_19
; %bb.18:
	s_mov_b32 s1, 0
	s_lshl_b64 s[8:9], s[0:1], 2
	s_add_u32 s12, s12, s8
	s_mov_b32 s21, s1
	s_addc_u32 s13, s13, s9
	s_lshl_b64 s[10:11], s[20:21], 2
	s_add_u32 s12, s12, s10
	s_addc_u32 s13, s13, s11
	s_add_u32 s1, s14, s8
	s_addc_u32 s9, s15, s9
	v_or_b32_e32 v71, s4, v71
	s_add_u32 s8, s1, s10
	v_mul_lo_u32 v76, s5, v71
	v_mov_b32_e32 v77, 0
	s_addc_u32 s9, s9, s11
	v_lshlrev_b64 v[76:77], 2, v[76:77]
	v_lshl_add_u64 v[78:79], s[12:13], 0, v[76:77]
	v_lshl_add_u64 v[76:77], s[8:9], 0, v[76:77]
	global_store_dword v[76:77], v74, off
	global_store_dword v[78:79], v75, off
.LBB709_19:
	s_or_b64 exec, exec, s[2:3]
	v_lshlrev_b32_e32 v73, 3, v70
                                        ; implicit-def: $sgpr1
	s_and_saveexec_b64 s[2:3], s[6:7]
	s_xor_b64 s[2:3], exec, s[2:3]
	s_cbranch_execz .LBB709_21
; %bb.20:
	s_waitcnt vmcnt(14)
	v_mov_b32_e32 v2, 0
	v_mad_u32_u24 v4, v1, 40, v73
	s_mov_b32 s1, 0
	v_mov_b32_e32 v3, v2
	ds_write_b64 v4, v[2:3]
                                        ; implicit-def: $vgpr67
                                        ; implicit-def: $vgpr69
                                        ; implicit-def: $vgpr35
                                        ; implicit-def: $vgpr39
                                        ; implicit-def: $vgpr47
                                        ; implicit-def: $vgpr59
                                        ; implicit-def: $vgpr15
                                        ; implicit-def: $vgpr3
                                        ; implicit-def: $vgpr7
                                        ; implicit-def: $vgpr11
                                        ; implicit-def: $vgpr55
                                        ; implicit-def: $vgpr43
                                        ; implicit-def: $vgpr51
                                        ; implicit-def: $vgpr63
                                        ; implicit-def: $vgpr19
                                        ; implicit-def: $vgpr23
                                        ; implicit-def: $vgpr27
                                        ; implicit-def: $vgpr31
                                        ; implicit-def: $vgpr72
                                        ; implicit-def: $vgpr74
                                        ; implicit-def: $vgpr75
.LBB709_21:
	s_or_saveexec_b64 s[2:3], s[2:3]
	v_mov_b32_e32 v70, s1
	v_mov_b32_e32 v71, s1
	s_xor_b64 exec, exec, s[2:3]
	s_cbranch_execz .LBB709_23
; %bb.22:
	v_add_f32_e32 v70, 0x358637bd, v75
	v_div_scale_f32 v71, s[6:7], v70, v70, 1.0
	v_rcp_f32_e32 v75, v71
	v_sub_f32_e32 v72, v72, v74
	v_mul_f32_e32 v72, 0x3fb8aa3b, v72
	v_exp_f32_e32 v72, v72
	v_fma_f32 v74, -v71, v75, 1.0
	v_fmac_f32_e32 v75, v74, v75
	v_div_scale_f32 v74, vcc, 1.0, v70, 1.0
	v_mul_f32_e32 v76, v74, v75
	v_fma_f32 v77, -v71, v76, v74
	v_fmac_f32_e32 v76, v77, v75
	v_fma_f32 v71, -v71, v76, v74
	v_div_fmas_f32 v71, v71, v75, v76
	v_div_fixup_f32 v70, v71, v70, 1.0
	v_mul_f32_e32 v70, v72, v70
	v_pk_mul_f32 v[68:69], v[68:69], v[70:71] op_sel_hi:[1,0]
	v_pk_mul_f32 v[66:67], v[66:67], v[70:71] op_sel_hi:[1,0]
	v_bfe_u32 v70, v69, 16, 1
	v_bfe_u32 v71, v68, 16, 1
	s_movk_i32 s1, 0x7fff
	v_add3_u32 v68, v68, v71, s1
	v_add3_u32 v69, v69, v70, s1
	s_mov_b32 s6, 0x7060302
	v_perm_b32 v68, v69, v68, s6
	v_bfe_u32 v69, v67, 16, 1
	v_bfe_u32 v70, v66, 16, 1
	v_add3_u32 v66, v66, v70, s1
	v_add3_u32 v67, v67, v69, s1
	v_perm_b32 v69, v67, v66, s6
	s_waitcnt vmcnt(7)
	s_nop 0
	v_mfma_f32_4x4x4_16b_bf16 a[0:3], v[68:69], v[34:35], 0 cbsz:4
	s_nop 1
	v_mfma_f32_4x4x4_16b_bf16 a[0:3], v[68:69], v[36:37], a[0:3] cbsz:4 abid:1
	s_waitcnt vmcnt(3)
	v_mfma_f32_4x4x4_16b_bf16 a[4:7], v[68:69], v[54:55], 0 cbsz:4
	v_mfma_f32_4x4x4_16b_bf16 a[0:3], v[68:69], v[38:39], a[0:3] cbsz:4 abid:2
	s_nop 0
	v_mfma_f32_4x4x4_16b_bf16 a[4:7], v[68:69], v[56:57], a[4:7] cbsz:4 abid:1
	v_mfma_f32_4x4x4_16b_bf16 a[0:3], v[68:69], v[40:41], a[0:3] cbsz:4 abid:3
	s_waitcnt vmcnt(2)
	v_mfma_f32_4x4x4_16b_bf16 a[4:7], v[68:69], v[42:43], a[4:7] cbsz:4 abid:2
	v_mfma_f32_4x4x4_16b_bf16 a[0:3], v[68:69], v[46:47], a[0:3] cbsz:4 abid:4
	s_nop 1
	v_mfma_f32_4x4x4_16b_bf16 a[0:3], v[68:69], v[48:49], a[0:3] cbsz:4 abid:5
	s_nop 1
	v_mfma_f32_4x4x4_16b_bf16 a[0:3], v[68:69], v[58:59], a[0:3] cbsz:4 abid:6
	s_nop 1
	v_mfma_f32_4x4x4_16b_bf16 a[0:3], v[68:69], v[60:61], a[0:3] cbsz:4 abid:7
	s_nop 1
	v_mfma_f32_4x4x4_16b_bf16 a[0:3], v[68:69], v[14:15], a[0:3] cbsz:4 abid:8
	s_nop 1
	v_mfma_f32_4x4x4_16b_bf16 a[0:3], v[68:69], v[16:17], a[0:3] cbsz:4 abid:9
	s_nop 1
	v_mfma_f32_4x4x4_16b_bf16 a[0:3], v[68:69], v[2:3], a[0:3] cbsz:4 abid:10
	s_nop 1
	v_mfma_f32_4x4x4_16b_bf16 a[0:3], v[68:69], v[4:5], a[0:3] cbsz:4 abid:11
	s_nop 1
	v_mfma_f32_4x4x4_16b_bf16 a[0:3], v[68:69], v[6:7], a[0:3] cbsz:4 abid:12
	s_nop 1
	v_mfma_f32_4x4x4_16b_bf16 a[0:3], v[68:69], v[8:9], a[0:3] cbsz:4 abid:13
	s_nop 1
	v_mfma_f32_4x4x4_16b_bf16 a[0:3], v[68:69], v[10:11], a[0:3] cbsz:4 abid:14
	s_nop 1
	v_mfma_f32_4x4x4_16b_bf16 a[0:3], v[68:69], v[12:13], a[0:3] cbsz:4 abid:15
	s_nop 4
	v_accvgpr_read_b32 v3, a2
	v_accvgpr_read_b32 v4, a3
	;; [unrolled: 1-line block ×4, first 2 shown]
	v_mfma_f32_4x4x4_16b_bf16 a[0:3], v[68:69], v[44:45], a[4:7] cbsz:4 abid:3
	v_bfe_u32 v6, v5, 16, 1
	v_bfe_u32 v7, v2, 16, 1
	s_waitcnt vmcnt(1)
	v_mfma_f32_4x4x4_16b_bf16 a[0:3], v[68:69], v[50:51], a[0:3] cbsz:4 abid:4
	v_add3_u32 v2, v2, v7, s1
	v_add3_u32 v5, v5, v6, s1
	v_mfma_f32_4x4x4_16b_bf16 a[0:3], v[68:69], v[52:53], a[0:3] cbsz:4 abid:5
	v_perm_b32 v2, v5, v2, s6
	v_bfe_u32 v5, v4, 16, 1
	s_waitcnt vmcnt(0)
	v_mfma_f32_4x4x4_16b_bf16 a[0:3], v[68:69], v[62:63], a[0:3] cbsz:4 abid:6
	v_bfe_u32 v6, v3, 16, 1
	v_add3_u32 v3, v3, v6, s1
	v_mfma_f32_4x4x4_16b_bf16 a[0:3], v[68:69], v[64:65], a[0:3] cbsz:4 abid:7
	v_add3_u32 v4, v4, v5, s1
	v_perm_b32 v3, v4, v3, s6
	v_mfma_f32_4x4x4_16b_bf16 a[0:3], v[68:69], v[18:19], a[0:3] cbsz:4 abid:8
	v_mad_u32_u24 v4, v1, 40, v73
	ds_write_b64 v4, v[2:3]
	v_mfma_f32_4x4x4_16b_bf16 a[0:3], v[68:69], v[20:21], a[0:3] cbsz:4 abid:9
	s_nop 1
	v_mfma_f32_4x4x4_16b_bf16 a[0:3], v[68:69], v[22:23], a[0:3] cbsz:4 abid:10
	s_nop 1
	;; [unrolled: 2-line block ×7, first 2 shown]
	v_accvgpr_read_b32 v4, a0
	v_accvgpr_read_b32 v5, a1
	;; [unrolled: 1-line block ×4, first 2 shown]
	v_bfe_u32 v6, v5, 16, 1
	v_bfe_u32 v7, v4, 16, 1
	v_add3_u32 v4, v4, v7, s1
	v_add3_u32 v5, v5, v6, s1
	v_bfe_u32 v6, v3, 16, 1
	v_bfe_u32 v7, v2, 16, 1
	v_add3_u32 v2, v2, v7, s1
	v_add3_u32 v3, v3, v6, s1
	v_perm_b32 v71, v3, v2, s6
	v_perm_b32 v70, v5, v4, s6
.LBB709_23:
	s_or_b64 exec, exec, s[2:3]
	s_waitcnt vmcnt(14)
	v_mad_u32_u24 v2, v1, 40, v73
	v_cmp_gt_u32_e32 vcc, 64, v0
	ds_write_b64 v2, v[70:71] offset:2560
	s_waitcnt lgkmcnt(0)
	s_barrier
	s_and_saveexec_b64 s[2:3], vcc
	s_cbranch_execz .LBB709_25
; %bb.24:
	s_waitcnt vmcnt(13)
	v_mul_u32_u24_e32 v6, 40, v1
	ds_read2_b64 v[2:5], v6 offset1:1
	ds_read2_b64 v[6:9], v6 offset0:2 offset1:3
	s_mov_b32 s1, 0
	s_lshl_b32 s0, s0, 7
	s_lshl_b64 s[2:3], s[0:1], 1
	s_waitcnt lgkmcnt(1)
	v_and_b32_e32 v3, 0xffff0000, v2
	v_add_f32_e32 v3, 0, v3
	v_and_b32_e32 v5, 0xffff0000, v4
	v_and_b32_e32 v3, 0xffff0000, v3
	v_add_f32_e32 v3, v3, v5
	s_waitcnt lgkmcnt(0)
	v_and_b32_e32 v7, 0xffff0000, v6
	v_and_b32_e32 v3, 0xffff0000, v3
	v_add_f32_e32 v3, v3, v7
	v_mov_b32_e32 v7, 0xa00
	v_mad_u32_u24 v7, v1, 40, v7
	s_waitcnt vmcnt(12)
	ds_read2_b64 v[10:13], v7 offset1:1
	v_and_b32_e32 v3, 0xffff0000, v3
	v_and_b32_e32 v5, 0xffff0000, v8
	v_add_f32_e32 v7, v3, v5
	v_mov_b32_e32 v3, 0xa10
	v_mad_u32_u24 v1, v1, 40, v3
	ds_read2_b64 v[14:17], v1 offset1:1
	s_waitcnt lgkmcnt(1)
	v_lshlrev_b32_e32 v1, 16, v10
	v_add_f32_e32 v1, 0, v1
	v_and_b32_e32 v3, 0xffff0000, v10
	v_and_b32_e32 v1, 0xffff0000, v1
	v_add_f32_e32 v3, 0, v3
	v_lshlrev_b32_e32 v5, 16, v12
	v_and_b32_e32 v3, 0xffff0000, v3
	v_add_f32_e32 v1, v1, v5
	v_and_b32_e32 v5, 0xffff0000, v12
	v_and_b32_e32 v1, 0xffff0000, v1
	v_add_f32_e32 v3, v3, v5
	s_waitcnt lgkmcnt(0)
	v_lshlrev_b32_e32 v5, 16, v14
	v_and_b32_e32 v3, 0xffff0000, v3
	v_add_f32_e32 v1, v1, v5
	v_and_b32_e32 v5, 0xffff0000, v14
	v_and_b32_e32 v1, 0xffff0000, v1
	v_add_f32_e32 v3, v3, v5
	v_lshlrev_b32_e32 v5, 16, v16
	v_and_b32_e32 v3, 0xffff0000, v3
	v_add_f32_e32 v9, v1, v5
	v_and_b32_e32 v1, 0xffff0000, v16
	v_add_f32_e32 v10, v3, v1
	v_lshlrev_b32_e32 v1, 16, v2
	s_add_u32 s2, s22, s2
	v_add_f32_e32 v1, 0, v1
	s_addc_u32 s3, s23, s3
	s_lshl_b32 s0, s20, 7
	v_and_b32_e32 v1, 0xffff0000, v1
	v_lshlrev_b32_e32 v2, 16, v4
	s_lshl_b64 s[0:1], s[0:1], 1
	v_add_f32_e32 v1, v1, v2
	s_add_u32 s0, s2, s0
	v_and_b32_e32 v1, 0xffff0000, v1
	v_lshlrev_b32_e32 v2, 16, v6
	s_addc_u32 s1, s3, s1
	s_lshl_b32 s2, s5, 7
	v_add_f32_e32 v1, v1, v2
	v_and_b32_e32 v1, 0xffff0000, v1
	v_lshlrev_b32_e32 v2, 16, v8
	s_mul_i32 s3, s2, s4
	v_add_f32_e32 v1, v1, v2
	v_or_b32_e32 v2, s3, v0
	v_mov_b32_e32 v3, 0
	s_add_i32 s3, s3, s2
	v_lshl_add_u64 v[4:5], v[2:3], 1, s[0:1]
	v_or_b32_e32 v2, s3, v0
	global_store_short_d16_hi v[4:5], v1, off
	v_lshl_add_u64 v[0:1], v[2:3], 1, s[0:1]
	global_store_short_d16_hi v[0:1], v7, off
	global_store_short_d16_hi v[4:5], v9, off offset:128
	global_store_short_d16_hi v[0:1], v10, off offset:128
.LBB709_25:
	s_endpgm
	.section	.rodata,"a",@progbits
	.p2align	6, 0x0
	.amdhsa_kernel _Z38paged_attention_ll4mi_QKV_mfma4_kernelI14__hip_bfloat16S0_LN4vllm18Fp8KVCacheDataTypeE0EhLi32ELi128ELi256ELb0ELi2EEvPKT_PKT0_S8_ifPKiSA_SA_iPKfiiiPfSD_PS3_PT2_iSC_SC_
		.amdhsa_group_segment_fixed_size 5280
		.amdhsa_private_segment_fixed_size 0
		.amdhsa_kernarg_size 400
		.amdhsa_user_sgpr_count 2
		.amdhsa_user_sgpr_dispatch_ptr 0
		.amdhsa_user_sgpr_queue_ptr 0
		.amdhsa_user_sgpr_kernarg_segment_ptr 1
		.amdhsa_user_sgpr_dispatch_id 0
		.amdhsa_user_sgpr_kernarg_preload_length 0
		.amdhsa_user_sgpr_kernarg_preload_offset 0
		.amdhsa_user_sgpr_private_segment_size 0
		.amdhsa_uses_dynamic_stack 0
		.amdhsa_enable_private_segment 0
		.amdhsa_system_sgpr_workgroup_id_x 1
		.amdhsa_system_sgpr_workgroup_id_y 1
		.amdhsa_system_sgpr_workgroup_id_z 1
		.amdhsa_system_sgpr_workgroup_info 0
		.amdhsa_system_vgpr_workitem_id 0
		.amdhsa_next_free_vgpr 100
		.amdhsa_next_free_sgpr 38
		.amdhsa_accum_offset 92
		.amdhsa_reserve_vcc 1
		.amdhsa_float_round_mode_32 0
		.amdhsa_float_round_mode_16_64 0
		.amdhsa_float_denorm_mode_32 3
		.amdhsa_float_denorm_mode_16_64 3
		.amdhsa_dx10_clamp 1
		.amdhsa_ieee_mode 1
		.amdhsa_fp16_overflow 0
		.amdhsa_tg_split 0
		.amdhsa_exception_fp_ieee_invalid_op 0
		.amdhsa_exception_fp_denorm_src 0
		.amdhsa_exception_fp_ieee_div_zero 0
		.amdhsa_exception_fp_ieee_overflow 0
		.amdhsa_exception_fp_ieee_underflow 0
		.amdhsa_exception_fp_ieee_inexact 0
		.amdhsa_exception_int_div_zero 0
	.end_amdhsa_kernel
	.section	.text._Z38paged_attention_ll4mi_QKV_mfma4_kernelI14__hip_bfloat16S0_LN4vllm18Fp8KVCacheDataTypeE0EhLi32ELi128ELi256ELb0ELi2EEvPKT_PKT0_S8_ifPKiSA_SA_iPKfiiiPfSD_PS3_PT2_iSC_SC_,"axG",@progbits,_Z38paged_attention_ll4mi_QKV_mfma4_kernelI14__hip_bfloat16S0_LN4vllm18Fp8KVCacheDataTypeE0EhLi32ELi128ELi256ELb0ELi2EEvPKT_PKT0_S8_ifPKiSA_SA_iPKfiiiPfSD_PS3_PT2_iSC_SC_,comdat
.Lfunc_end709:
	.size	_Z38paged_attention_ll4mi_QKV_mfma4_kernelI14__hip_bfloat16S0_LN4vllm18Fp8KVCacheDataTypeE0EhLi32ELi128ELi256ELb0ELi2EEvPKT_PKT0_S8_ifPKiSA_SA_iPKfiiiPfSD_PS3_PT2_iSC_SC_, .Lfunc_end709-_Z38paged_attention_ll4mi_QKV_mfma4_kernelI14__hip_bfloat16S0_LN4vllm18Fp8KVCacheDataTypeE0EhLi32ELi128ELi256ELb0ELi2EEvPKT_PKT0_S8_ifPKiSA_SA_iPKfiiiPfSD_PS3_PT2_iSC_SC_
                                        ; -- End function
	.section	.AMDGPU.csdata,"",@progbits
; Kernel info:
; codeLenInByte = 4184
; NumSgprs: 44
; NumVgprs: 90
; NumAgprs: 8
; TotalNumVgprs: 100
; ScratchSize: 0
; MemoryBound: 0
; FloatMode: 240
; IeeeMode: 1
; LDSByteSize: 5280 bytes/workgroup (compile time only)
; SGPRBlocks: 5
; VGPRBlocks: 12
; NumSGPRsForWavesPerEU: 44
; NumVGPRsForWavesPerEU: 100
; AccumOffset: 92
; Occupancy: 4
; WaveLimiterHint : 1
; COMPUTE_PGM_RSRC2:SCRATCH_EN: 0
; COMPUTE_PGM_RSRC2:USER_SGPR: 2
; COMPUTE_PGM_RSRC2:TRAP_HANDLER: 0
; COMPUTE_PGM_RSRC2:TGID_X_EN: 1
; COMPUTE_PGM_RSRC2:TGID_Y_EN: 1
; COMPUTE_PGM_RSRC2:TGID_Z_EN: 1
; COMPUTE_PGM_RSRC2:TIDIG_COMP_CNT: 0
; COMPUTE_PGM_RSRC3_GFX90A:ACCUM_OFFSET: 22
; COMPUTE_PGM_RSRC3_GFX90A:TG_SPLIT: 0
	.section	.text._Z38paged_attention_ll4mi_QKV_mfma4_kernelI14__hip_bfloat16S0_LN4vllm18Fp8KVCacheDataTypeE0EhLi32ELi128ELi256ELb0ELi3EEvPKT_PKT0_S8_ifPKiSA_SA_iPKfiiiPfSD_PS3_PT2_iSC_SC_,"axG",@progbits,_Z38paged_attention_ll4mi_QKV_mfma4_kernelI14__hip_bfloat16S0_LN4vllm18Fp8KVCacheDataTypeE0EhLi32ELi128ELi256ELb0ELi3EEvPKT_PKT0_S8_ifPKiSA_SA_iPKfiiiPfSD_PS3_PT2_iSC_SC_,comdat
	.protected	_Z38paged_attention_ll4mi_QKV_mfma4_kernelI14__hip_bfloat16S0_LN4vllm18Fp8KVCacheDataTypeE0EhLi32ELi128ELi256ELb0ELi3EEvPKT_PKT0_S8_ifPKiSA_SA_iPKfiiiPfSD_PS3_PT2_iSC_SC_ ; -- Begin function _Z38paged_attention_ll4mi_QKV_mfma4_kernelI14__hip_bfloat16S0_LN4vllm18Fp8KVCacheDataTypeE0EhLi32ELi128ELi256ELb0ELi3EEvPKT_PKT0_S8_ifPKiSA_SA_iPKfiiiPfSD_PS3_PT2_iSC_SC_
	.globl	_Z38paged_attention_ll4mi_QKV_mfma4_kernelI14__hip_bfloat16S0_LN4vllm18Fp8KVCacheDataTypeE0EhLi32ELi128ELi256ELb0ELi3EEvPKT_PKT0_S8_ifPKiSA_SA_iPKfiiiPfSD_PS3_PT2_iSC_SC_
	.p2align	8
	.type	_Z38paged_attention_ll4mi_QKV_mfma4_kernelI14__hip_bfloat16S0_LN4vllm18Fp8KVCacheDataTypeE0EhLi32ELi128ELi256ELb0ELi3EEvPKT_PKT0_S8_ifPKiSA_SA_iPKfiiiPfSD_PS3_PT2_iSC_SC_,@function
_Z38paged_attention_ll4mi_QKV_mfma4_kernelI14__hip_bfloat16S0_LN4vllm18Fp8KVCacheDataTypeE0EhLi32ELi128ELi256ELb0ELi3EEvPKT_PKT0_S8_ifPKiSA_SA_iPKfiiiPfSD_PS3_PT2_iSC_SC_: ; @_Z38paged_attention_ll4mi_QKV_mfma4_kernelI14__hip_bfloat16S0_LN4vllm18Fp8KVCacheDataTypeE0EhLi32ELi128ELi256ELb0ELi3EEvPKT_PKT0_S8_ifPKiSA_SA_iPKfiiiPfSD_PS3_PT2_iSC_SC_
; %bb.0:
	s_load_dwordx2 s[16:17], s[0:1], 0x30
	s_mov_b32 s20, s3
	s_mov_b64 s[6:7], 0
	s_waitcnt lgkmcnt(0)
	s_cmp_lg_u64 s[16:17], 0
	s_cselect_b64 s[18:19], -1, 0
	s_and_b64 vcc, exec, s[18:19]
	s_cbranch_vccz .LBB710_10
; %bb.1:
	s_add_i32 s8, s2, 1
	s_mov_b32 s9, 0
	s_lshl_b64 s[10:11], s[8:9], 2
	s_add_u32 s10, s16, s10
	s_mov_b32 s3, s9
	s_addc_u32 s11, s17, s11
	s_lshl_b64 s[8:9], s[2:3], 2
	s_add_u32 s8, s16, s8
	s_addc_u32 s9, s17, s9
	s_load_dword s5, s[10:11], 0x0
	s_load_dword s12, s[8:9], 0x0
	s_waitcnt lgkmcnt(0)
	s_sub_i32 s5, s5, s12
	s_cmp_eq_u32 s5, 1
	s_cselect_b64 s[8:9], -1, 0
	s_andn2_b64 vcc, exec, s[6:7]
	s_cbranch_vccnz .LBB710_3
.LBB710_2:
	s_mov_b32 s3, 0
	s_mov_b64 s[8:9], -1
.LBB710_3:
	s_andn2_b64 vcc, exec, s[8:9]
	s_cbranch_vccnz .LBB710_25
; %bb.4:
	s_load_dword s5, s[0:1], 0x9c
	s_load_dwordx2 s[6:7], s[0:1], 0x28
	s_add_u32 s24, s0, 0x90
	s_addc_u32 s25, s1, 0
	s_lshl_b64 s[28:29], s[2:3], 2
	s_waitcnt lgkmcnt(0)
	s_and_b32 s5, s5, 0xffff
	s_add_u32 s6, s6, s28
	s_addc_u32 s7, s7, s29
	s_load_dword s3, s[6:7], 0x0
	s_mul_i32 s10, s20, s5
	s_waitcnt lgkmcnt(0)
	s_cmp_ge_i32 s10, s3
	s_cbranch_scc1 .LBB710_25
; %bb.5:
	v_and_b32_e32 v1, 0xc0, v0
	v_add_u32_e32 v2, s10, v1
	v_lshrrev_b32_e32 v70, 6, v0
	v_cmp_le_i32_e64 s[6:7], s3, v2
                                        ; implicit-def: $sgpr21
                                        ; implicit-def: $sgpr11
	s_and_saveexec_b64 s[8:9], s[6:7]
	s_xor_b64 s[8:9], exec, s[8:9]
	s_cbranch_execz .LBB710_7
; %bb.6:
	v_mul_u32_u24_e32 v1, 20, v70
	v_or_b32_e32 v1, 0x1400, v1
	v_mov_b32_e32 v2, 0x1450
	v_mov_b32_e32 v3, 0xff7fffff
	v_mad_u32_u24 v2, v70, 20, v2
	ds_write2_b32 v1, v3, v3 offset1:1
	v_mov_b32_e32 v1, 0
	ds_write2_b32 v2, v1, v1 offset1:1
	v_mov_b32_e32 v2, 0x1408
	s_mov_b32 s11, 0xff7fffff
	s_mov_b32 s21, 0
	v_mad_u32_u24 v2, v70, 20, v2
	v_mov_b32_e32 v4, 0x1458
	v_mad_u32_u24 v4, v70, 20, v4
	ds_write2_b32 v2, v3, v3 offset1:1
	ds_write2_b32 v4, v1, v1 offset1:1
                                        ; implicit-def: $vgpr2
.LBB710_7:
	s_or_saveexec_b64 s[26:27], s[8:9]
	s_load_dwordx2 s[22:23], s[0:1], 0x68
	s_load_dwordx4 s[12:15], s[0:1], 0x58
	s_load_dword s5, s[24:25], 0x4
	v_and_b32_e32 v1, 63, v0
	v_and_b32_e32 v71, 3, v0
	v_mov_b32_e32 v67, s21
	v_mov_b32_e32 v72, s11
	;; [unrolled: 1-line block ×5, first 2 shown]
                                        ; implicit-def: $vgpr35
                                        ; implicit-def: $vgpr39
                                        ; implicit-def: $vgpr47
                                        ; implicit-def: $vgpr59
                                        ; implicit-def: $vgpr15
                                        ; implicit-def: $vgpr3
                                        ; implicit-def: $vgpr7
                                        ; implicit-def: $vgpr11
                                        ; implicit-def: $vgpr55
                                        ; implicit-def: $vgpr43
                                        ; implicit-def: $vgpr51
                                        ; implicit-def: $vgpr63
                                        ; implicit-def: $vgpr19
                                        ; implicit-def: $vgpr23
                                        ; implicit-def: $vgpr27
                                        ; implicit-def: $vgpr31
	s_xor_b64 exec, exec, s[26:27]
	s_cbranch_execz .LBB710_17
; %bb.8:
	s_add_i32 s21, s3, 31
	s_load_dwordx2 s[8:9], s[0:1], 0x20
	s_load_dword s11, s[0:1], 0x38
	s_ashr_i32 s30, s21, 31
	s_lshr_b32 s30, s30, 27
	v_add_u32_e32 v72, s10, v0
	s_add_i32 s21, s21, s30
	v_ashrrev_i32_e32 v3, 31, v72
	s_ashr_i32 s21, s21, 5
	v_lshrrev_b32_e32 v3, 27, v3
	s_add_i32 s21, s21, -1
	v_add_u32_e32 v3, v72, v3
	s_waitcnt lgkmcnt(0)
	s_mul_i32 s30, s2, s11
	s_mov_b32 s31, 0
	v_ashrrev_i32_e32 v3, 5, v3
	v_mov_b32_e32 v4, s21
	v_cmp_gt_i32_e32 vcc, s3, v72
	s_lshl_b64 s[30:31], s[30:31], 2
	s_add_u32 s8, s8, s30
	v_cndmask_b32_e32 v4, v4, v3, vcc
	v_ashrrev_i32_e32 v3, 31, v2
	v_lshrrev_b32_e32 v3, 27, v3
	s_addc_u32 s9, s9, s31
	v_ashrrev_i32_e32 v5, 31, v4
	v_add_u32_e32 v2, v2, v3
	v_lshl_add_u64 v[6:7], v[4:5], 2, s[8:9]
	v_ashrrev_i32_e32 v4, 5, v2
	v_min_i32_e32 v2, s21, v4
	v_ashrrev_i32_e32 v3, 31, v2
	v_lshl_add_u64 v[8:9], v[2:3], 2, s[8:9]
	v_add_u32_e32 v2, 1, v4
	v_min_i32_e32 v2, s21, v2
	v_ashrrev_i32_e32 v3, 31, v2
	v_lshl_add_u64 v[10:11], v[2:3], 2, s[8:9]
	global_load_dword v4, v[6:7], off
	global_load_dword v2, v[8:9], off
	;; [unrolled: 1-line block ×3, first 2 shown]
	s_load_dwordx4 s[8:11], s[0:1], 0x8
	s_andn2_b64 vcc, exec, s[18:19]
	s_cbranch_vccnz .LBB710_11
; %bb.9:
	s_add_u32 s16, s16, s28
	s_addc_u32 s17, s17, s29
	s_load_dword s21, s[16:17], 0x0
	s_branch .LBB710_12
.LBB710_10:
	s_mov_b64 s[8:9], 0
	s_branch .LBB710_2
.LBB710_11:
	s_mov_b32 s21, s2
.LBB710_12:
	s_load_dwordx4 s[16:19], s[0:1], 0x48
	v_cmp_ne_u32_e32 vcc, 3, v71
	s_mov_b32 s29, 0
	v_mov_b32_e32 v73, 1.0
	v_mov_b32_e32 v35, 0
	v_mov_b32_e32 v66, 0
	;; [unrolled: 1-line block ×5, first 2 shown]
	s_and_saveexec_b64 s[30:31], vcc
	s_cbranch_execz .LBB710_14
; %bb.13:
	s_load_dwordx2 s[34:35], s[0:1], 0x0
	s_waitcnt lgkmcnt(0)
	s_ashr_i32 s19, s16, 31
	s_mul_hi_u32 s28, s21, s16
	s_mul_i32 s19, s21, s19
	s_add_i32 s37, s28, s19
	s_mul_i32 s36, s21, s16
	s_lshl_b64 s[36:37], s[36:37], 1
	s_add_u32 s16, s34, s36
	s_mul_i32 s28, s4, 0x180
	s_addc_u32 s19, s35, s37
	s_lshl_b64 s[34:35], s[28:29], 1
	v_lshlrev_b32_e32 v5, 2, v1
	s_add_u32 s34, s16, s34
	v_and_b32_e32 v5, 0xf0, v5
	s_addc_u32 s35, s19, s35
	v_lshl_or_b32 v5, v71, 8, v5
	global_load_dwordx4 v[66:69], v5, s[34:35]
	v_mov_b32_e32 v73, 0
.LBB710_14:
	s_or_b64 exec, exec, s[30:31]
	s_waitcnt lgkmcnt(0)
	s_mul_i32 s28, s4, s18
	s_lshl_b64 s[18:19], s[28:29], 1
	s_add_u32 s8, s18, s8
	s_waitcnt vmcnt(2)
	v_mad_i64_i32 v[4:5], s[30:31], v4, s17, 0
	s_addc_u32 s9, s19, s9
	v_lshl_add_u64 v[32:33], v[4:5], 1, s[8:9]
	v_and_b32_e32 v4, 31, v0
	v_lshlrev_b32_e32 v34, 4, v4
	v_lshl_add_u64 v[40:41], v[32:33], 0, v[34:35]
	global_load_dwordx4 v[4:7], v[40:41], off
	global_load_dwordx4 v[8:11], v[40:41], off offset:512
	global_load_dwordx4 v[12:15], v[40:41], off offset:1024
	;; [unrolled: 1-line block ×7, first 2 shown]
	v_mov_b32_e32 v41, v35
	v_or_b32_e32 v40, 0x1000, v34
	v_lshl_add_u64 v[40:41], v[32:33], 0, v[40:41]
	global_load_dwordx4 v[40:43], v[40:41], off
	v_mov_b32_e32 v45, v35
	v_or_b32_e32 v44, 0x1200, v34
	v_lshl_add_u64 v[44:45], v[32:33], 0, v[44:45]
	global_load_dwordx4 v[44:47], v[44:45], off
	;; [unrolled: 4-line block ×6, first 2 shown]
	v_or_b32_e32 v34, 0x1c00, v34
	v_lshl_add_u64 v[64:65], v[32:33], 0, v[34:35]
	global_load_dwordx4 v[74:77], v[64:65], off
	v_mov_b32_e32 v78, 0x1e00
	v_lshl_or_b32 v34, v0, 4, v78
	v_lshl_add_u64 v[32:33], v[32:33], 0, v[34:35]
	global_load_dwordx4 v[78:81], v[32:33], off
	s_waitcnt vmcnt(16)
	v_mul_hi_i32 v32, v3, s17
	v_mul_hi_i32 v64, v2, s17
	v_mov_b32_e32 v33, v35
	v_mov_b32_e32 v65, v35
	s_load_dword s0, s[0:1], 0x1c
	v_cmp_eq_u32_e32 vcc, 0, v71
	v_and_b32_e32 v87, -4, v72
	v_or_b32_e32 v72, 3, v72
	v_cndmask_b32_e64 v84, 0, 1.0, vcc
	v_cmp_eq_u32_e32 vcc, 1, v71
	v_lshlrev_b32_e32 v88, 2, v0
	s_waitcnt vmcnt(15)
	v_mfma_f32_4x4x4_16b_bf16 a[0:3], v[66:67], v[4:5], 0 cbsz:4
	v_ashrrev_i32_e32 v4, 31, v32
	s_nop 0
	v_mfma_f32_4x4x4_16b_bf16 a[0:3], v[68:69], v[6:7], a[0:3] cbsz:4
	v_lshrrev_b32_e32 v32, 29, v4
	v_ashrrev_i32_e32 v6, 31, v64
	s_waitcnt vmcnt(14)
	v_mfma_f32_4x4x4_16b_bf16 a[0:3], v[66:67], v[8:9], a[0:3] cbsz:4 abid:1
	v_mad_i64_i32 v[4:5], s[8:9], v3, s17, v[32:33]
	s_nop 0
	v_mfma_f32_4x4x4_16b_bf16 a[0:3], v[68:69], v[10:11], a[0:3] cbsz:4 abid:1
	s_add_u32 s8, s10, s18
	v_lshrrev_b32_e32 v34, 29, v6
	s_waitcnt vmcnt(13)
	v_mfma_f32_4x4x4_16b_bf16 a[0:3], v[66:67], v[12:13], a[0:3] cbsz:4 abid:2
	s_addc_u32 s9, s11, s19
	v_mad_i64_i32 v[2:3], s[10:11], v2, s17, v[34:35]
	v_mfma_f32_4x4x4_16b_bf16 a[0:3], v[68:69], v[14:15], a[0:3] cbsz:4 abid:2
	v_lshlrev_b64 v[4:5], 1, v[4:5]
	v_and_b32_e32 v4, -16, v4
	s_waitcnt vmcnt(12)
	v_mfma_f32_4x4x4_16b_bf16 a[0:3], v[66:67], v[16:17], a[0:3] cbsz:4 abid:3
	v_lshlrev_b32_e32 v34, 6, v1
	v_or_b32_e32 v64, 0x1000, v34
	v_mfma_f32_4x4x4_16b_bf16 a[0:3], v[68:69], v[18:19], a[0:3] cbsz:4 abid:3
	v_lshl_add_u64 v[18:19], s[8:9], 0, v[4:5]
	v_cndmask_b32_e64 v85, 0, 1.0, vcc
	s_waitcnt vmcnt(11)
	v_mfma_f32_4x4x4_16b_bf16 a[0:3], v[66:67], v[20:21], a[0:3] cbsz:4 abid:4
	v_lshlrev_b64 v[20:21], 1, v[2:3]
	v_and_b32_e32 v20, -16, v20
	v_mfma_f32_4x4x4_16b_bf16 a[0:3], v[68:69], v[22:23], a[0:3] cbsz:4 abid:4
	v_lshl_add_u64 v[22:23], v[18:19], 0, v[34:35]
	global_load_dwordx4 v[14:17], v[22:23], off
	global_load_dwordx4 v[2:5], v[22:23], off offset:16
	s_waitcnt vmcnt(12)
	v_mfma_f32_4x4x4_16b_bf16 a[0:3], v[66:67], v[24:25], a[0:3] cbsz:4 abid:5
	global_load_dwordx4 v[6:9], v[22:23], off offset:32
	global_load_dwordx4 v[10:13], v[22:23], off offset:48
	v_mfma_f32_4x4x4_16b_bf16 a[0:3], v[68:69], v[26:27], a[0:3] cbsz:4 abid:5
	v_cmp_eq_u32_e32 vcc, 2, v71
	v_cmp_gt_i32_e64 s[10:11], s3, v72
	s_waitcnt vmcnt(13)
	v_mfma_f32_4x4x4_16b_bf16 a[0:3], v[66:67], v[28:29], a[0:3] cbsz:4 abid:6
	v_cndmask_b32_e64 v86, 0, 1.0, vcc
	v_cmp_gt_i32_e32 vcc, s3, v87
	v_mfma_f32_4x4x4_16b_bf16 a[0:3], v[68:69], v[30:31], a[0:3] cbsz:4 abid:6
	s_waitcnt vmcnt(12)
	s_nop 0
	v_mfma_f32_4x4x4_16b_bf16 a[0:3], v[66:67], v[36:37], a[0:3] cbsz:4 abid:7
	v_lshl_add_u64 v[36:37], v[18:19], 0, v[64:65]
	s_nop 0
	v_mfma_f32_4x4x4_16b_bf16 a[0:3], v[68:69], v[38:39], a[0:3] cbsz:4 abid:7
	v_lshl_add_u64 v[38:39], s[8:9], 0, v[20:21]
	v_lshl_add_u64 v[82:83], v[38:39], 0, v[64:65]
	s_waitcnt vmcnt(11)
	v_mfma_f32_4x4x4_16b_bf16 a[0:3], v[66:67], v[40:41], a[0:3] cbsz:4 abid:8
	global_load_dwordx4 v[18:21], v[36:37], off
	global_load_dwordx4 v[22:25], v[36:37], off offset:16
	v_mfma_f32_4x4x4_16b_bf16 a[0:3], v[68:69], v[42:43], a[0:3] cbsz:4 abid:8
	v_lshl_add_u64 v[42:43], v[38:39], 0, v[34:35]
	global_load_dwordx4 v[26:29], v[36:37], off offset:32
	global_load_dwordx4 v[30:33], v[36:37], off offset:48
	s_waitcnt vmcnt(14)
	v_mfma_f32_4x4x4_16b_bf16 a[0:3], v[66:67], v[44:45], a[0:3] cbsz:4 abid:9
	global_load_dwordx4 v[34:37], v[42:43], off
	global_load_dwordx4 v[38:41], v[42:43], off offset:16
	v_mfma_f32_4x4x4_16b_bf16 a[0:3], v[68:69], v[46:47], a[0:3] cbsz:4 abid:9
	s_waitcnt vmcnt(15)
	s_nop 0
	v_mfma_f32_4x4x4_16b_bf16 a[0:3], v[66:67], v[48:49], a[0:3] cbsz:4 abid:10
	s_nop 1
	v_mfma_f32_4x4x4_16b_bf16 a[0:3], v[68:69], v[50:51], a[0:3] cbsz:4 abid:10
	s_waitcnt vmcnt(14)
	s_nop 0
	v_mfma_f32_4x4x4_16b_bf16 a[0:3], v[66:67], v[52:53], a[0:3] cbsz:4 abid:11
	s_nop 1
	;; [unrolled: 5-line block ×3, first 2 shown]
	v_mfma_f32_4x4x4_16b_bf16 a[0:3], v[68:69], v[58:59], a[0:3] cbsz:4 abid:12
	s_waitcnt vmcnt(12)
	s_nop 0
	v_mfma_f32_4x4x4_16b_bf16 a[0:3], v[66:67], v[60:61], a[0:3] cbsz:4 abid:13
	global_load_dwordx4 v[46:49], v[42:43], off offset:32
	global_load_dwordx4 v[58:61], v[42:43], off offset:48
	v_mfma_f32_4x4x4_16b_bf16 a[0:3], v[68:69], v[62:63], a[0:3] cbsz:4 abid:13
	global_load_dwordx4 v[54:57], v[82:83], off
	global_load_dwordx4 v[42:45], v[82:83], off offset:16
	global_load_dwordx4 v[50:53], v[82:83], off offset:32
	;; [unrolled: 1-line block ×3, first 2 shown]
	s_waitcnt vmcnt(17)
	v_mfma_f32_4x4x4_16b_bf16 a[0:3], v[66:67], v[74:75], a[0:3] cbsz:4 abid:14
	v_mov_b32_e32 v74, 0xff7fffff
	v_and_or_b32 v75, v88, 48, v71
	v_mfma_f32_4x4x4_16b_bf16 a[0:3], v[68:69], v[76:77], a[0:3] cbsz:4 abid:14
	v_lshlrev_b32_e32 v75, 2, v75
	s_waitcnt vmcnt(16)
	v_mfma_f32_4x4x4_16b_bf16 a[0:3], v[66:67], v[78:79], a[0:3] cbsz:4 abid:15
	s_nop 1
	v_mfma_f32_4x4x4_16b_bf16 a[0:3], v[68:69], v[80:81], a[0:3] cbsz:4 abid:15
	s_nop 4
	v_accvgpr_read_b32 v67, a1
	v_accvgpr_read_b32 v66, a0
	s_waitcnt lgkmcnt(0)
	v_pk_mul_f32 v[66:67], s[0:1], v[66:67] op_sel_hi:[0,1]
	v_accvgpr_read_b32 v69, a3
	v_accvgpr_read_b32 v68, a2
	v_pk_mul_f32 v[68:69], s[0:1], v[68:69] op_sel_hi:[0,1]
	v_mfma_f32_4x4x1_16b_f32 a[0:3], v66, v84, 0
	v_or_b32_e32 v66, 1, v87
	s_nop 0
	v_mfma_f32_4x4x1_16b_f32 a[0:3], v67, v85, a[0:3]
	v_cmp_gt_i32_e64 s[0:1], s3, v66
	v_or_b32_e32 v67, 2, v87
	v_mfma_f32_4x4x1_16b_f32 a[0:3], v68, v86, a[0:3]
	v_cmp_gt_i32_e64 s[8:9], s3, v67
	s_nop 0
	v_mfma_f32_4x4x1_16b_f32 a[0:3], v69, v73, a[0:3]
	s_nop 3
	v_accvgpr_read_b32 v68, a0
	v_max_f32_e32 v77, v68, v68
	v_accvgpr_read_b32 v69, a1
	v_max_f32_e32 v77, 0xff7fffff, v77
	v_max_f32_e32 v78, v69, v69
	v_cndmask_b32_e32 v74, v74, v77, vcc
	v_accvgpr_read_b32 v73, a2
	v_max_f32_e32 v77, v74, v78
	v_max_f32_e32 v79, v73, v73
	v_cndmask_b32_e64 v66, v74, v77, s[0:1]
	v_accvgpr_read_b32 v76, a3
	v_max_f32_e32 v74, v66, v79
	v_max_f32_e32 v80, v76, v76
	v_cndmask_b32_e64 v66, v66, v74, s[8:9]
	v_max_f32_e32 v67, v66, v80
	v_cndmask_b32_e64 v66, v66, v67, s[10:11]
	;;#ASMSTART
	v_nop
 v_nop
 v_max_f32_dpp v66, v66, v66 row_ror:4
	;;#ASMEND
	s_nop 0
	;;#ASMSTART
	v_nop
 v_nop
 v_max_f32_dpp v66, v66, v66 row_ror:8
	;;#ASMEND
	ds_bpermute_b32 v66, v75, v66
	s_waitcnt lgkmcnt(0)
	;;#ASMSTART
	v_nop
 v_nop
 v_max_f32_dpp v66, v66, v66 row_ror:4
	;;#ASMEND
	s_nop 0
	;;#ASMSTART
	v_nop
 v_nop
 v_max_f32_dpp v72, v66, v66 row_ror:8
	;;#ASMEND
	s_nop 0
	v_sub_f32_e32 v66, v68, v72
	v_sub_f32_e32 v67, v69, v72
	;; [unrolled: 1-line block ×3, first 2 shown]
	v_mul_f32_e32 v66, 0x3fb8aa3b, v66
	v_mul_f32_e32 v67, 0x3fb8aa3b, v67
	;; [unrolled: 1-line block ×3, first 2 shown]
	v_exp_f32_e32 v66, v66
	v_sub_f32_e32 v69, v76, v72
	v_exp_f32_e32 v67, v67
	v_exp_f32_e32 v73, v68
	v_mul_f32_e32 v69, 0x3fb8aa3b, v69
	v_exp_f32_e32 v74, v69
	v_cndmask_b32_e32 v68, 0, v66, vcc
	v_cndmask_b32_e64 v69, 0, v67, s[0:1]
	v_cndmask_b32_e64 v66, 0, v73, s[8:9]
	v_add_f32_e32 v73, 0, v68
	v_add_f32_e32 v73, v73, v69
	v_cndmask_b32_e64 v67, 0, v74, s[10:11]
	v_add_f32_e32 v73, v73, v66
	v_add_f32_e32 v73, v73, v67
	;;#ASMSTART
	v_nop
 v_nop
 v_add_f32_dpp v73, v73, v73 row_ror:4
	;;#ASMEND
	v_cmp_gt_u32_e32 vcc, 4, v1
	;;#ASMSTART
	v_nop
 v_nop
 v_add_f32_dpp v73, v73, v73 row_ror:8
	;;#ASMEND
	ds_bpermute_b32 v73, v75, v73
	s_waitcnt lgkmcnt(0)
	;;#ASMSTART
	v_nop
 v_nop
 v_add_f32_dpp v73, v73, v73 row_ror:4
	;;#ASMEND
	s_nop 0
	;;#ASMSTART
	v_nop
 v_nop
 v_add_f32_dpp v73, v73, v73 row_ror:8
	;;#ASMEND
	s_and_saveexec_b64 s[0:1], vcc
	s_cbranch_execz .LBB710_16
; %bb.15:
	v_mul_u32_u24_e32 v74, 20, v70
	v_lshl_add_u32 v74, v71, 2, v74
	v_add_u32_e32 v74, 0x1400, v74
	ds_write2_b32 v74, v72, v73 offset1:20
.LBB710_16:
	s_or_b64 exec, exec, s[0:1]
.LBB710_17:
	s_or_b64 exec, exec, s[26:27]
	s_waitcnt lgkmcnt(0)
	s_barrier
	s_load_dword s0, s[24:25], 0x8
	v_lshlrev_b32_e32 v73, 2, v71
	v_add_u32_e32 v73, 0x1400, v73
	ds_read2_b32 v[76:77], v73 offset1:5
	ds_read2_b32 v[78:79], v73 offset0:10 offset1:15
	s_mul_i32 s1, s2, s5
	s_waitcnt lgkmcnt(0)
	s_mul_i32 s0, s1, s0
	s_mov_b32 s1, 0xff7fffff
	v_max3_f32 v74, v76, s1, v77
	v_max3_f32 v74, v74, v78, v79
	v_sub_f32_e32 v75, v76, v74
	v_sub_f32_e32 v76, v77, v74
	ds_read2_b32 v[80:81], v73 offset0:20 offset1:25
	v_mul_f32_e32 v75, 0x3fb8aa3b, v75
	v_mul_f32_e32 v76, 0x3fb8aa3b, v76
	v_exp_f32_e32 v75, v75
	v_exp_f32_e32 v82, v76
	ds_read2_b32 v[76:77], v73 offset0:30 offset1:35
	v_sub_f32_e32 v73, v78, v74
	v_mul_f32_e32 v73, 0x3fb8aa3b, v73
	v_sub_f32_e32 v78, v79, v74
	v_exp_f32_e32 v73, v73
	v_mul_f32_e32 v78, 0x3fb8aa3b, v78
	v_exp_f32_e32 v78, v78
	s_waitcnt lgkmcnt(1)
	v_fma_f32 v75, v75, v80, 0
	v_fmac_f32_e32 v75, v82, v81
	s_waitcnt lgkmcnt(0)
	v_fmac_f32_e32 v75, v73, v76
	s_mul_i32 s4, s4, 3
	s_mul_i32 s0, s0, 3
	v_fmac_f32_e32 v75, v78, v77
	v_cmp_ne_u32_e32 vcc, 3, v71
	s_and_saveexec_b64 s[2:3], vcc
	s_cbranch_execz .LBB710_19
; %bb.18:
	s_mov_b32 s1, 0
	s_lshl_b64 s[8:9], s[0:1], 2
	s_add_u32 s12, s12, s8
	s_mov_b32 s21, s1
	s_addc_u32 s13, s13, s9
	s_lshl_b64 s[10:11], s[20:21], 2
	s_add_u32 s12, s12, s10
	s_addc_u32 s13, s13, s11
	s_add_u32 s1, s14, s8
	s_addc_u32 s9, s15, s9
	v_add_u32_e32 v71, s4, v71
	s_add_u32 s8, s1, s10
	v_mul_lo_u32 v76, s5, v71
	v_mov_b32_e32 v77, 0
	s_addc_u32 s9, s9, s11
	v_lshlrev_b64 v[76:77], 2, v[76:77]
	v_lshl_add_u64 v[78:79], s[12:13], 0, v[76:77]
	v_lshl_add_u64 v[76:77], s[8:9], 0, v[76:77]
	global_store_dword v[76:77], v74, off
	global_store_dword v[78:79], v75, off
.LBB710_19:
	s_or_b64 exec, exec, s[2:3]
	v_lshlrev_b32_e32 v73, 3, v70
                                        ; implicit-def: $sgpr1
	s_and_saveexec_b64 s[2:3], s[6:7]
	s_xor_b64 s[2:3], exec, s[2:3]
	s_cbranch_execz .LBB710_21
; %bb.20:
	s_waitcnt vmcnt(14)
	v_mov_b32_e32 v2, 0
	v_mad_u32_u24 v4, v1, 40, v73
	s_mov_b32 s1, 0
	v_mov_b32_e32 v3, v2
	ds_write_b64 v4, v[2:3]
                                        ; implicit-def: $vgpr67
                                        ; implicit-def: $vgpr69
                                        ; implicit-def: $vgpr35
                                        ; implicit-def: $vgpr39
                                        ; implicit-def: $vgpr47
                                        ; implicit-def: $vgpr59
                                        ; implicit-def: $vgpr15
                                        ; implicit-def: $vgpr3
                                        ; implicit-def: $vgpr7
                                        ; implicit-def: $vgpr11
                                        ; implicit-def: $vgpr55
                                        ; implicit-def: $vgpr43
                                        ; implicit-def: $vgpr51
                                        ; implicit-def: $vgpr63
                                        ; implicit-def: $vgpr19
                                        ; implicit-def: $vgpr23
                                        ; implicit-def: $vgpr27
                                        ; implicit-def: $vgpr31
                                        ; implicit-def: $vgpr72
                                        ; implicit-def: $vgpr74
                                        ; implicit-def: $vgpr75
.LBB710_21:
	s_or_saveexec_b64 s[2:3], s[2:3]
	v_mov_b32_e32 v70, s1
	v_mov_b32_e32 v71, s1
	s_xor_b64 exec, exec, s[2:3]
	s_cbranch_execz .LBB710_23
; %bb.22:
	v_add_f32_e32 v70, 0x358637bd, v75
	v_div_scale_f32 v71, s[6:7], v70, v70, 1.0
	v_rcp_f32_e32 v75, v71
	v_sub_f32_e32 v72, v72, v74
	v_mul_f32_e32 v72, 0x3fb8aa3b, v72
	v_exp_f32_e32 v72, v72
	v_fma_f32 v74, -v71, v75, 1.0
	v_fmac_f32_e32 v75, v74, v75
	v_div_scale_f32 v74, vcc, 1.0, v70, 1.0
	v_mul_f32_e32 v76, v74, v75
	v_fma_f32 v77, -v71, v76, v74
	v_fmac_f32_e32 v76, v77, v75
	v_fma_f32 v71, -v71, v76, v74
	v_div_fmas_f32 v71, v71, v75, v76
	v_div_fixup_f32 v70, v71, v70, 1.0
	v_mul_f32_e32 v70, v72, v70
	v_pk_mul_f32 v[68:69], v[68:69], v[70:71] op_sel_hi:[1,0]
	v_pk_mul_f32 v[66:67], v[66:67], v[70:71] op_sel_hi:[1,0]
	v_bfe_u32 v70, v69, 16, 1
	v_bfe_u32 v71, v68, 16, 1
	s_movk_i32 s1, 0x7fff
	v_add3_u32 v68, v68, v71, s1
	v_add3_u32 v69, v69, v70, s1
	s_mov_b32 s6, 0x7060302
	v_perm_b32 v68, v69, v68, s6
	v_bfe_u32 v69, v67, 16, 1
	v_bfe_u32 v70, v66, 16, 1
	v_add3_u32 v66, v66, v70, s1
	v_add3_u32 v67, v67, v69, s1
	v_perm_b32 v69, v67, v66, s6
	s_waitcnt vmcnt(7)
	s_nop 0
	v_mfma_f32_4x4x4_16b_bf16 a[0:3], v[68:69], v[34:35], 0 cbsz:4
	s_nop 1
	v_mfma_f32_4x4x4_16b_bf16 a[0:3], v[68:69], v[36:37], a[0:3] cbsz:4 abid:1
	s_waitcnt vmcnt(3)
	v_mfma_f32_4x4x4_16b_bf16 a[4:7], v[68:69], v[54:55], 0 cbsz:4
	v_mfma_f32_4x4x4_16b_bf16 a[0:3], v[68:69], v[38:39], a[0:3] cbsz:4 abid:2
	s_nop 0
	v_mfma_f32_4x4x4_16b_bf16 a[4:7], v[68:69], v[56:57], a[4:7] cbsz:4 abid:1
	v_mfma_f32_4x4x4_16b_bf16 a[0:3], v[68:69], v[40:41], a[0:3] cbsz:4 abid:3
	s_waitcnt vmcnt(2)
	v_mfma_f32_4x4x4_16b_bf16 a[4:7], v[68:69], v[42:43], a[4:7] cbsz:4 abid:2
	v_mfma_f32_4x4x4_16b_bf16 a[0:3], v[68:69], v[46:47], a[0:3] cbsz:4 abid:4
	s_nop 1
	v_mfma_f32_4x4x4_16b_bf16 a[0:3], v[68:69], v[48:49], a[0:3] cbsz:4 abid:5
	s_nop 1
	;; [unrolled: 2-line block ×12, first 2 shown]
	v_accvgpr_read_b32 v3, a2
	v_accvgpr_read_b32 v4, a3
	;; [unrolled: 1-line block ×4, first 2 shown]
	v_mfma_f32_4x4x4_16b_bf16 a[0:3], v[68:69], v[44:45], a[4:7] cbsz:4 abid:3
	v_bfe_u32 v6, v5, 16, 1
	v_bfe_u32 v7, v2, 16, 1
	s_waitcnt vmcnt(1)
	v_mfma_f32_4x4x4_16b_bf16 a[0:3], v[68:69], v[50:51], a[0:3] cbsz:4 abid:4
	v_add3_u32 v2, v2, v7, s1
	v_add3_u32 v5, v5, v6, s1
	v_mfma_f32_4x4x4_16b_bf16 a[0:3], v[68:69], v[52:53], a[0:3] cbsz:4 abid:5
	v_perm_b32 v2, v5, v2, s6
	v_bfe_u32 v5, v4, 16, 1
	s_waitcnt vmcnt(0)
	v_mfma_f32_4x4x4_16b_bf16 a[0:3], v[68:69], v[62:63], a[0:3] cbsz:4 abid:6
	v_bfe_u32 v6, v3, 16, 1
	v_add3_u32 v3, v3, v6, s1
	v_mfma_f32_4x4x4_16b_bf16 a[0:3], v[68:69], v[64:65], a[0:3] cbsz:4 abid:7
	v_add3_u32 v4, v4, v5, s1
	v_perm_b32 v3, v4, v3, s6
	v_mfma_f32_4x4x4_16b_bf16 a[0:3], v[68:69], v[18:19], a[0:3] cbsz:4 abid:8
	v_mad_u32_u24 v4, v1, 40, v73
	ds_write_b64 v4, v[2:3]
	v_mfma_f32_4x4x4_16b_bf16 a[0:3], v[68:69], v[20:21], a[0:3] cbsz:4 abid:9
	s_nop 1
	v_mfma_f32_4x4x4_16b_bf16 a[0:3], v[68:69], v[22:23], a[0:3] cbsz:4 abid:10
	s_nop 1
	;; [unrolled: 2-line block ×7, first 2 shown]
	v_accvgpr_read_b32 v4, a0
	v_accvgpr_read_b32 v5, a1
	v_accvgpr_read_b32 v2, a2
	v_accvgpr_read_b32 v3, a3
	v_bfe_u32 v6, v5, 16, 1
	v_bfe_u32 v7, v4, 16, 1
	v_add3_u32 v4, v4, v7, s1
	v_add3_u32 v5, v5, v6, s1
	v_bfe_u32 v6, v3, 16, 1
	v_bfe_u32 v7, v2, 16, 1
	v_add3_u32 v2, v2, v7, s1
	v_add3_u32 v3, v3, v6, s1
	v_perm_b32 v71, v3, v2, s6
	v_perm_b32 v70, v5, v4, s6
.LBB710_23:
	s_or_b64 exec, exec, s[2:3]
	s_waitcnt vmcnt(14)
	v_mad_u32_u24 v2, v1, 40, v73
	v_cmp_gt_u32_e32 vcc, 64, v0
	ds_write_b64 v2, v[70:71] offset:2560
	s_waitcnt lgkmcnt(0)
	s_barrier
	s_and_saveexec_b64 s[2:3], vcc
	s_cbranch_execz .LBB710_25
; %bb.24:
	s_waitcnt vmcnt(13)
	v_mul_u32_u24_e32 v6, 40, v1
	ds_read2_b64 v[2:5], v6 offset1:1
	ds_read2_b64 v[6:9], v6 offset0:2 offset1:3
	s_mov_b32 s1, 0
	s_lshl_b32 s0, s0, 7
	s_lshl_b64 s[2:3], s[0:1], 1
	s_waitcnt vmcnt(12) lgkmcnt(1)
	v_and_b32_e32 v10, 0xffff0000, v2
	v_lshlrev_b32_e32 v3, 16, v3
	v_add_f32_e32 v10, 0, v10
	v_add_f32_e32 v3, 0, v3
	v_and_b32_e32 v10, 0xffff0000, v10
	v_and_b32_e32 v11, 0xffff0000, v4
	;; [unrolled: 1-line block ×3, first 2 shown]
	v_add_f32_e32 v10, v10, v11
	v_lshlrev_b32_e32 v5, 16, v5
	v_and_b32_e32 v10, 0xffff0000, v10
	v_add_f32_e32 v3, v3, v5
	s_waitcnt lgkmcnt(0)
	v_and_b32_e32 v5, 0xffff0000, v6
	v_and_b32_e32 v3, 0xffff0000, v3
	v_add_f32_e32 v5, v10, v5
	v_lshlrev_b32_e32 v7, 16, v7
	v_and_b32_e32 v5, 0xffff0000, v5
	v_add_f32_e32 v3, v3, v7
	v_and_b32_e32 v7, 0xffff0000, v8
	s_waitcnt vmcnt(11)
	v_add_f32_e32 v18, v5, v7
	v_mov_b32_e32 v7, 0xa00
	v_mad_u32_u24 v7, v1, 40, v7
	ds_read2_b64 v[10:13], v7 offset1:1
	v_and_b32_e32 v3, 0xffff0000, v3
	v_lshlrev_b32_e32 v5, 16, v9
	v_add_f32_e32 v9, v3, v5
	v_mov_b32_e32 v3, 0xa10
	v_mad_u32_u24 v1, v1, 40, v3
	ds_read2_b64 v[14:17], v1 offset1:1
	s_waitcnt lgkmcnt(1)
	v_lshlrev_b32_e32 v1, 16, v10
	v_add_f32_e32 v1, 0, v1
	v_and_b32_e32 v3, 0xffff0000, v10
	v_and_b32_e32 v1, 0xffff0000, v1
	v_add_f32_e32 v3, 0, v3
	v_lshlrev_b32_e32 v5, 16, v11
	v_lshlrev_b32_e32 v7, 16, v12
	v_and_b32_e32 v3, 0xffff0000, v3
	v_add_f32_e32 v5, 0, v5
	v_add_f32_e32 v1, v1, v7
	v_and_b32_e32 v7, 0xffff0000, v12
	v_and_b32_e32 v5, 0xffff0000, v5
	v_add_f32_e32 v3, v3, v7
	v_lshlrev_b32_e32 v7, 16, v13
	v_and_b32_e32 v1, 0xffff0000, v1
	v_add_f32_e32 v5, v5, v7
	s_waitcnt lgkmcnt(0)
	v_lshlrev_b32_e32 v7, 16, v14
	v_and_b32_e32 v3, 0xffff0000, v3
	v_add_f32_e32 v1, v1, v7
	v_and_b32_e32 v7, 0xffff0000, v14
	v_and_b32_e32 v5, 0xffff0000, v5
	v_add_f32_e32 v3, v3, v7
	v_lshlrev_b32_e32 v7, 16, v15
	v_and_b32_e32 v1, 0xffff0000, v1
	v_add_f32_e32 v5, v5, v7
	v_lshlrev_b32_e32 v7, 16, v16
	v_and_b32_e32 v3, 0xffff0000, v3
	v_add_f32_e32 v10, v1, v7
	v_and_b32_e32 v1, 0xffff0000, v16
	v_and_b32_e32 v5, 0xffff0000, v5
	v_add_f32_e32 v11, v3, v1
	v_lshlrev_b32_e32 v1, 16, v17
	v_add_f32_e32 v12, v5, v1
	v_lshlrev_b32_e32 v1, 16, v2
	s_add_u32 s2, s22, s2
	v_add_f32_e32 v1, 0, v1
	s_addc_u32 s3, s23, s3
	s_lshl_b32 s0, s20, 7
	v_and_b32_e32 v1, 0xffff0000, v1
	v_lshlrev_b32_e32 v2, 16, v4
	s_lshl_b64 s[0:1], s[0:1], 1
	v_add_f32_e32 v1, v1, v2
	s_add_u32 s0, s2, s0
	v_and_b32_e32 v1, 0xffff0000, v1
	v_lshlrev_b32_e32 v2, 16, v6
	s_addc_u32 s1, s3, s1
	s_lshl_b32 s2, s5, 7
	v_add_f32_e32 v1, v1, v2
	v_and_b32_e32 v1, 0xffff0000, v1
	v_lshlrev_b32_e32 v2, 16, v8
	s_mul_i32 s3, s2, s4
	v_add_f32_e32 v1, v1, v2
	v_or_b32_e32 v2, s3, v0
	v_mov_b32_e32 v3, 0
	s_add_i32 s3, s3, s2
	v_lshl_add_u64 v[4:5], v[2:3], 1, s[0:1]
	v_or_b32_e32 v2, s3, v0
	s_add_i32 s3, s3, s2
	v_lshl_add_u64 v[6:7], v[2:3], 1, s[0:1]
	v_or_b32_e32 v2, s3, v0
	global_store_short_d16_hi v[4:5], v1, off
	v_lshl_add_u64 v[0:1], v[2:3], 1, s[0:1]
	global_store_short_d16_hi v[6:7], v18, off
	global_store_short_d16_hi v[0:1], v9, off
	global_store_short_d16_hi v[4:5], v10, off offset:128
	global_store_short_d16_hi v[6:7], v11, off offset:128
	;; [unrolled: 1-line block ×3, first 2 shown]
.LBB710_25:
	s_endpgm
	.section	.rodata,"a",@progbits
	.p2align	6, 0x0
	.amdhsa_kernel _Z38paged_attention_ll4mi_QKV_mfma4_kernelI14__hip_bfloat16S0_LN4vllm18Fp8KVCacheDataTypeE0EhLi32ELi128ELi256ELb0ELi3EEvPKT_PKT0_S8_ifPKiSA_SA_iPKfiiiPfSD_PS3_PT2_iSC_SC_
		.amdhsa_group_segment_fixed_size 5280
		.amdhsa_private_segment_fixed_size 0
		.amdhsa_kernarg_size 400
		.amdhsa_user_sgpr_count 2
		.amdhsa_user_sgpr_dispatch_ptr 0
		.amdhsa_user_sgpr_queue_ptr 0
		.amdhsa_user_sgpr_kernarg_segment_ptr 1
		.amdhsa_user_sgpr_dispatch_id 0
		.amdhsa_user_sgpr_kernarg_preload_length 0
		.amdhsa_user_sgpr_kernarg_preload_offset 0
		.amdhsa_user_sgpr_private_segment_size 0
		.amdhsa_uses_dynamic_stack 0
		.amdhsa_enable_private_segment 0
		.amdhsa_system_sgpr_workgroup_id_x 1
		.amdhsa_system_sgpr_workgroup_id_y 1
		.amdhsa_system_sgpr_workgroup_id_z 1
		.amdhsa_system_sgpr_workgroup_info 0
		.amdhsa_system_vgpr_workitem_id 0
		.amdhsa_next_free_vgpr 100
		.amdhsa_next_free_sgpr 38
		.amdhsa_accum_offset 92
		.amdhsa_reserve_vcc 1
		.amdhsa_float_round_mode_32 0
		.amdhsa_float_round_mode_16_64 0
		.amdhsa_float_denorm_mode_32 3
		.amdhsa_float_denorm_mode_16_64 3
		.amdhsa_dx10_clamp 1
		.amdhsa_ieee_mode 1
		.amdhsa_fp16_overflow 0
		.amdhsa_tg_split 0
		.amdhsa_exception_fp_ieee_invalid_op 0
		.amdhsa_exception_fp_denorm_src 0
		.amdhsa_exception_fp_ieee_div_zero 0
		.amdhsa_exception_fp_ieee_overflow 0
		.amdhsa_exception_fp_ieee_underflow 0
		.amdhsa_exception_fp_ieee_inexact 0
		.amdhsa_exception_int_div_zero 0
	.end_amdhsa_kernel
	.section	.text._Z38paged_attention_ll4mi_QKV_mfma4_kernelI14__hip_bfloat16S0_LN4vllm18Fp8KVCacheDataTypeE0EhLi32ELi128ELi256ELb0ELi3EEvPKT_PKT0_S8_ifPKiSA_SA_iPKfiiiPfSD_PS3_PT2_iSC_SC_,"axG",@progbits,_Z38paged_attention_ll4mi_QKV_mfma4_kernelI14__hip_bfloat16S0_LN4vllm18Fp8KVCacheDataTypeE0EhLi32ELi128ELi256ELb0ELi3EEvPKT_PKT0_S8_ifPKiSA_SA_iPKfiiiPfSD_PS3_PT2_iSC_SC_,comdat
.Lfunc_end710:
	.size	_Z38paged_attention_ll4mi_QKV_mfma4_kernelI14__hip_bfloat16S0_LN4vllm18Fp8KVCacheDataTypeE0EhLi32ELi128ELi256ELb0ELi3EEvPKT_PKT0_S8_ifPKiSA_SA_iPKfiiiPfSD_PS3_PT2_iSC_SC_, .Lfunc_end710-_Z38paged_attention_ll4mi_QKV_mfma4_kernelI14__hip_bfloat16S0_LN4vllm18Fp8KVCacheDataTypeE0EhLi32ELi128ELi256ELb0ELi3EEvPKT_PKT0_S8_ifPKiSA_SA_iPKfiiiPfSD_PS3_PT2_iSC_SC_
                                        ; -- End function
	.section	.AMDGPU.csdata,"",@progbits
; Kernel info:
; codeLenInByte = 4332
; NumSgprs: 44
; NumVgprs: 89
; NumAgprs: 8
; TotalNumVgprs: 100
; ScratchSize: 0
; MemoryBound: 0
; FloatMode: 240
; IeeeMode: 1
; LDSByteSize: 5280 bytes/workgroup (compile time only)
; SGPRBlocks: 5
; VGPRBlocks: 12
; NumSGPRsForWavesPerEU: 44
; NumVGPRsForWavesPerEU: 100
; AccumOffset: 92
; Occupancy: 4
; WaveLimiterHint : 1
; COMPUTE_PGM_RSRC2:SCRATCH_EN: 0
; COMPUTE_PGM_RSRC2:USER_SGPR: 2
; COMPUTE_PGM_RSRC2:TRAP_HANDLER: 0
; COMPUTE_PGM_RSRC2:TGID_X_EN: 1
; COMPUTE_PGM_RSRC2:TGID_Y_EN: 1
; COMPUTE_PGM_RSRC2:TGID_Z_EN: 1
; COMPUTE_PGM_RSRC2:TIDIG_COMP_CNT: 0
; COMPUTE_PGM_RSRC3_GFX90A:ACCUM_OFFSET: 22
; COMPUTE_PGM_RSRC3_GFX90A:TG_SPLIT: 0
	.section	.text._Z38paged_attention_ll4mi_QKV_mfma4_kernelI14__hip_bfloat16S0_LN4vllm18Fp8KVCacheDataTypeE0EhLi32ELi128ELi256ELb0ELi4EEvPKT_PKT0_S8_ifPKiSA_SA_iPKfiiiPfSD_PS3_PT2_iSC_SC_,"axG",@progbits,_Z38paged_attention_ll4mi_QKV_mfma4_kernelI14__hip_bfloat16S0_LN4vllm18Fp8KVCacheDataTypeE0EhLi32ELi128ELi256ELb0ELi4EEvPKT_PKT0_S8_ifPKiSA_SA_iPKfiiiPfSD_PS3_PT2_iSC_SC_,comdat
	.protected	_Z38paged_attention_ll4mi_QKV_mfma4_kernelI14__hip_bfloat16S0_LN4vllm18Fp8KVCacheDataTypeE0EhLi32ELi128ELi256ELb0ELi4EEvPKT_PKT0_S8_ifPKiSA_SA_iPKfiiiPfSD_PS3_PT2_iSC_SC_ ; -- Begin function _Z38paged_attention_ll4mi_QKV_mfma4_kernelI14__hip_bfloat16S0_LN4vllm18Fp8KVCacheDataTypeE0EhLi32ELi128ELi256ELb0ELi4EEvPKT_PKT0_S8_ifPKiSA_SA_iPKfiiiPfSD_PS3_PT2_iSC_SC_
	.globl	_Z38paged_attention_ll4mi_QKV_mfma4_kernelI14__hip_bfloat16S0_LN4vllm18Fp8KVCacheDataTypeE0EhLi32ELi128ELi256ELb0ELi4EEvPKT_PKT0_S8_ifPKiSA_SA_iPKfiiiPfSD_PS3_PT2_iSC_SC_
	.p2align	8
	.type	_Z38paged_attention_ll4mi_QKV_mfma4_kernelI14__hip_bfloat16S0_LN4vllm18Fp8KVCacheDataTypeE0EhLi32ELi128ELi256ELb0ELi4EEvPKT_PKT0_S8_ifPKiSA_SA_iPKfiiiPfSD_PS3_PT2_iSC_SC_,@function
_Z38paged_attention_ll4mi_QKV_mfma4_kernelI14__hip_bfloat16S0_LN4vllm18Fp8KVCacheDataTypeE0EhLi32ELi128ELi256ELb0ELi4EEvPKT_PKT0_S8_ifPKiSA_SA_iPKfiiiPfSD_PS3_PT2_iSC_SC_: ; @_Z38paged_attention_ll4mi_QKV_mfma4_kernelI14__hip_bfloat16S0_LN4vllm18Fp8KVCacheDataTypeE0EhLi32ELi128ELi256ELb0ELi4EEvPKT_PKT0_S8_ifPKiSA_SA_iPKfiiiPfSD_PS3_PT2_iSC_SC_
; %bb.0:
	s_load_dwordx2 s[8:9], s[0:1], 0x30
	s_mov_b32 s20, s3
	s_mov_b64 s[6:7], 0
	s_waitcnt lgkmcnt(0)
	s_cmp_lg_u64 s[8:9], 0
	s_cselect_b64 s[10:11], -1, 0
	s_and_b64 vcc, exec, s[10:11]
	s_cbranch_vccz .LBB711_20
; %bb.1:
	s_add_i32 s12, s2, 1
	s_mov_b32 s13, 0
	s_lshl_b64 s[14:15], s[12:13], 2
	s_add_u32 s14, s8, s14
	s_mov_b32 s3, s13
	s_addc_u32 s15, s9, s15
	s_lshl_b64 s[12:13], s[2:3], 2
	s_add_u32 s12, s8, s12
	s_addc_u32 s13, s9, s13
	s_load_dword s5, s[14:15], 0x0
	s_load_dword s16, s[12:13], 0x0
	s_mov_b64 s[30:31], s[2:3]
	s_waitcnt lgkmcnt(0)
	s_sub_i32 s5, s5, s16
	s_cmp_eq_u32 s5, 1
	s_cselect_b64 s[12:13], -1, 0
	s_andn2_b64 vcc, exec, s[6:7]
	s_cbranch_vccnz .LBB711_3
.LBB711_2:
	s_mov_b32 s3, 0
	s_mov_b64 s[12:13], -1
	s_mov_b64 s[30:31], s[2:3]
.LBB711_3:
	s_andn2_b64 vcc, exec, s[12:13]
	s_cbranch_vccnz .LBB711_19
; %bb.4:
	s_load_dword s3, s[0:1], 0x9c
	s_load_dwordx2 s[6:7], s[0:1], 0x28
	s_add_u32 s24, s0, 0x90
	s_addc_u32 s25, s1, 0
	s_lshl_b64 s[34:35], s[30:31], 2
	s_waitcnt lgkmcnt(0)
	s_and_b32 s5, s3, 0xffff
	s_add_u32 s6, s6, s34
	s_addc_u32 s7, s7, s35
	s_load_dword s3, s[6:7], 0x0
	s_mul_i32 s16, s20, s5
	s_waitcnt lgkmcnt(0)
	s_cmp_ge_i32 s16, s3
	s_cbranch_scc1 .LBB711_19
; %bb.5:
	v_and_b32_e32 v1, 0xc0, v0
	v_add_u32_e32 v2, s16, v1
	v_lshrrev_b32_e32 v72, 6, v0
	v_cmp_le_i32_e64 s[6:7], s3, v2
                                        ; implicit-def: $sgpr18
                                        ; implicit-def: $sgpr17
	s_and_saveexec_b64 s[12:13], s[6:7]
	s_xor_b64 s[12:13], exec, s[12:13]
	s_cbranch_execz .LBB711_7
; %bb.6:
	v_mul_u32_u24_e32 v1, 20, v72
	v_or_b32_e32 v1, 0x1400, v1
	v_mov_b32_e32 v2, 0x1450
	v_mov_b32_e32 v3, 0xff7fffff
	v_mad_u32_u24 v2, v72, 20, v2
	ds_write2_b32 v1, v3, v3 offset1:1
	v_mov_b32_e32 v1, 0
	ds_write2_b32 v2, v1, v1 offset1:1
	v_mov_b32_e32 v2, 0x1408
	s_mov_b32 s17, 0xff7fffff
	s_mov_b32 s18, 0
	v_mad_u32_u24 v2, v72, 20, v2
	v_mov_b32_e32 v4, 0x1458
	v_mad_u32_u24 v4, v72, 20, v4
	ds_write2_b32 v2, v3, v3 offset1:1
	ds_write2_b32 v4, v1, v1 offset1:1
                                        ; implicit-def: $vgpr2
.LBB711_7:
	s_or_saveexec_b64 s[26:27], s[12:13]
	s_load_dwordx2 s[22:23], s[0:1], 0x68
	s_load_dwordx4 s[12:15], s[0:1], 0x58
	s_load_dword s5, s[24:25], 0x4
	v_and_b32_e32 v1, 63, v0
	v_and_b32_e32 v70, 3, v0
	v_mov_b32_e32 v69, s18
	v_mov_b32_e32 v73, s17
	;; [unrolled: 1-line block ×5, first 2 shown]
                                        ; implicit-def: $vgpr35
                                        ; implicit-def: $vgpr39
                                        ; implicit-def: $vgpr47
                                        ; implicit-def: $vgpr59
                                        ; implicit-def: $vgpr15
                                        ; implicit-def: $vgpr3
                                        ; implicit-def: $vgpr7
                                        ; implicit-def: $vgpr11
                                        ; implicit-def: $vgpr55
                                        ; implicit-def: $vgpr43
                                        ; implicit-def: $vgpr51
                                        ; implicit-def: $vgpr63
                                        ; implicit-def: $vgpr19
                                        ; implicit-def: $vgpr23
                                        ; implicit-def: $vgpr27
                                        ; implicit-def: $vgpr31
	s_xor_b64 exec, exec, s[26:27]
	s_cbranch_execz .LBB711_13
; %bb.8:
	s_add_i32 s21, s3, 31
	s_load_dwordx2 s[18:19], s[0:1], 0x20
	s_load_dword s17, s[0:1], 0x38
	s_ashr_i32 s28, s21, 31
	s_lshr_b32 s28, s28, 27
	v_add_u32_e32 v66, s16, v0
	s_add_i32 s21, s21, s28
	v_ashrrev_i32_e32 v3, 31, v66
	s_ashr_i32 s21, s21, 5
	v_lshrrev_b32_e32 v3, 27, v3
	s_add_i32 s21, s21, -1
	v_add_u32_e32 v3, v66, v3
	s_waitcnt lgkmcnt(0)
	s_mul_i32 s36, s2, s17
	s_mov_b32 s37, 0
	v_ashrrev_i32_e32 v3, 5, v3
	v_mov_b32_e32 v4, s21
	v_cmp_gt_i32_e32 vcc, s3, v66
	s_lshl_b64 s[28:29], s[36:37], 2
	s_add_u32 s18, s18, s28
	v_cndmask_b32_e32 v4, v4, v3, vcc
	v_ashrrev_i32_e32 v3, 31, v2
	v_lshrrev_b32_e32 v3, 27, v3
	s_addc_u32 s19, s19, s29
	v_ashrrev_i32_e32 v5, 31, v4
	v_add_u32_e32 v2, v2, v3
	v_lshl_add_u64 v[6:7], v[4:5], 2, s[18:19]
	v_ashrrev_i32_e32 v4, 5, v2
	v_min_i32_e32 v2, s21, v4
	v_ashrrev_i32_e32 v3, 31, v2
	v_lshl_add_u64 v[8:9], v[2:3], 2, s[18:19]
	v_add_u32_e32 v2, 1, v4
	v_min_i32_e32 v2, s21, v2
	v_ashrrev_i32_e32 v3, 31, v2
	v_lshl_add_u64 v[10:11], v[2:3], 2, s[18:19]
	global_load_dword v2, v[6:7], off
	global_load_dword v4, v[8:9], off
	;; [unrolled: 1-line block ×3, first 2 shown]
	s_load_dwordx4 s[16:19], s[0:1], 0x0
	s_load_dwordx2 s[28:29], s[0:1], 0x10
	s_andn2_b64 vcc, exec, s[10:11]
	s_cbranch_vccnz .LBB711_10
; %bb.9:
	s_add_u32 s8, s8, s34
	s_addc_u32 s9, s9, s35
	s_load_dword s36, s[8:9], 0x0
	s_waitcnt lgkmcnt(0)
	s_mov_b64 s[30:31], s[36:37]
.LBB711_10:
	s_load_dwordx4 s[8:11], s[0:1], 0x48
	v_lshlrev_b32_e32 v3, 2, v1
	v_and_b32_e32 v3, 0xf0, v3
	v_lshl_or_b32 v3, v70, 8, v3
	v_and_b32_e32 v6, 31, v0
	s_waitcnt lgkmcnt(0)
	s_ashr_i32 s11, s8, 31
	s_mul_hi_u32 s21, s30, s8
	s_mul_i32 s31, s31, s8
	s_mul_i32 s34, s30, s8
	;; [unrolled: 1-line block ×3, first 2 shown]
	s_add_i32 s8, s21, s8
	s_add_i32 s35, s8, s31
	s_lshl_b64 s[30:31], s[34:35], 1
	s_add_u32 s8, s16, s30
	s_addc_u32 s11, s17, s31
	s_lshl_b32 s36, s4, 9
	s_lshl_b64 s[16:17], s[36:37], 1
	s_add_u32 s16, s8, s16
	s_addc_u32 s17, s11, s17
	global_load_dwordx4 v[74:77], v3, s[16:17]
	s_mul_i32 s36, s4, s10
	s_waitcnt vmcnt(3)
	v_mad_i64_i32 v[2:3], s[16:17], v2, s9, 0
	s_lshl_b64 s[10:11], s[36:37], 1
	s_add_u32 s16, s10, s18
	s_addc_u32 s17, s11, s19
	v_lshl_add_u64 v[2:3], v[2:3], 1, s[16:17]
	v_lshlrev_b32_e32 v34, 4, v6
	v_mov_b32_e32 v35, 0
	v_lshl_add_u64 v[40:41], v[2:3], 0, v[34:35]
	global_load_dwordx4 v[6:9], v[40:41], off
	global_load_dwordx4 v[10:13], v[40:41], off offset:512
	global_load_dwordx4 v[14:17], v[40:41], off offset:1024
	;; [unrolled: 1-line block ×7, first 2 shown]
	v_mov_b32_e32 v41, v35
	v_or_b32_e32 v40, 0x1000, v34
	v_lshl_add_u64 v[40:41], v[2:3], 0, v[40:41]
	global_load_dwordx4 v[40:43], v[40:41], off
	v_mov_b32_e32 v45, v35
	v_or_b32_e32 v44, 0x1200, v34
	v_lshl_add_u64 v[44:45], v[2:3], 0, v[44:45]
	global_load_dwordx4 v[44:47], v[44:45], off
	;; [unrolled: 4-line block ×6, first 2 shown]
	v_or_b32_e32 v34, 0x1c00, v34
	v_lshl_add_u64 v[64:65], v[2:3], 0, v[34:35]
	global_load_dwordx4 v[78:81], v[64:65], off
	v_mov_b32_e32 v67, 0x1e00
	v_lshl_or_b32 v34, v0, 4, v67
	v_lshl_add_u64 v[2:3], v[2:3], 0, v[34:35]
	global_load_dwordx4 v[82:85], v[2:3], off
	s_waitcnt vmcnt(18)
	v_mul_hi_i32 v2, v4, s9
	v_mov_b32_e32 v3, v35
	s_add_u32 s10, s28, s10
	s_addc_u32 s11, s29, s11
	v_mov_b32_e32 v65, v35
	s_load_dword s0, s[0:1], 0x1c
	v_cmp_eq_u32_e32 vcc, 0, v70
	v_and_b32_e32 v88, -4, v66
	v_lshlrev_b32_e32 v89, 2, v0
	v_cndmask_b32_e64 v71, 0, 1.0, vcc
	v_cmp_eq_u32_e32 vcc, 1, v70
	s_waitcnt vmcnt(15)
	v_mfma_f32_4x4x4_16b_bf16 a[0:3], v[74:75], v[6:7], 0 cbsz:4
	v_mul_hi_i32 v6, v5, s9
	s_nop 0
	v_mfma_f32_4x4x4_16b_bf16 a[0:3], v[76:77], v[8:9], a[0:3] cbsz:4
	v_ashrrev_i32_e32 v7, 31, v2
	v_ashrrev_i32_e32 v2, 31, v6
	s_waitcnt vmcnt(14)
	v_mfma_f32_4x4x4_16b_bf16 a[0:3], v[74:75], v[10:11], a[0:3] cbsz:4 abid:1
	v_lshrrev_b32_e32 v2, 29, v2
	v_mad_i64_i32 v[2:3], s[16:17], v5, s9, v[2:3]
	v_mfma_f32_4x4x4_16b_bf16 a[0:3], v[76:77], v[12:13], a[0:3] cbsz:4 abid:1
	v_lshlrev_b64 v[2:3], 1, v[2:3]
	v_and_b32_e32 v2, -16, v2
	s_waitcnt vmcnt(13)
	v_mfma_f32_4x4x4_16b_bf16 a[0:3], v[74:75], v[14:15], a[0:3] cbsz:4 abid:2
	v_lshrrev_b32_e32 v34, 29, v7
	v_cndmask_b32_e64 v73, 0, 1.0, vcc
	v_mfma_f32_4x4x4_16b_bf16 a[0:3], v[76:77], v[16:17], a[0:3] cbsz:4 abid:2
	v_cmp_eq_u32_e32 vcc, 2, v70
	s_waitcnt vmcnt(12)
	v_mfma_f32_4x4x4_16b_bf16 a[0:3], v[74:75], v[18:19], a[0:3] cbsz:4 abid:3
	v_lshl_add_u64 v[18:19], s[10:11], 0, v[2:3]
	v_mad_i64_i32 v[2:3], s[8:9], v4, s9, v[34:35]
	v_mfma_f32_4x4x4_16b_bf16 a[0:3], v[76:77], v[20:21], a[0:3] cbsz:4 abid:3
	v_lshlrev_b64 v[20:21], 1, v[2:3]
	v_lshlrev_b32_e32 v34, 6, v1
	s_waitcnt vmcnt(11)
	v_mfma_f32_4x4x4_16b_bf16 a[0:3], v[74:75], v[22:23], a[0:3] cbsz:4 abid:4
	v_and_b32_e32 v20, -16, v20
	v_or_b32_e32 v64, 0x1000, v34
	v_mfma_f32_4x4x4_16b_bf16 a[0:3], v[76:77], v[24:25], a[0:3] cbsz:4 abid:4
	v_lshl_add_u64 v[22:23], v[18:19], 0, v[34:35]
	global_load_dwordx4 v[14:17], v[22:23], off
	global_load_dwordx4 v[2:5], v[22:23], off offset:16
	s_waitcnt vmcnt(12)
	v_mfma_f32_4x4x4_16b_bf16 a[0:3], v[74:75], v[26:27], a[0:3] cbsz:4 abid:5
	global_load_dwordx4 v[6:9], v[22:23], off offset:32
	global_load_dwordx4 v[10:13], v[22:23], off offset:48
	v_mfma_f32_4x4x4_16b_bf16 a[0:3], v[76:77], v[28:29], a[0:3] cbsz:4 abid:5
	v_cndmask_b32_e64 v86, 0, 1.0, vcc
	v_cmp_eq_u32_e32 vcc, 3, v70
	s_waitcnt vmcnt(13)
	v_mfma_f32_4x4x4_16b_bf16 a[0:3], v[74:75], v[30:31], a[0:3] cbsz:4 abid:6
	v_cndmask_b32_e64 v87, 0, 1.0, vcc
	s_nop 0
	v_mfma_f32_4x4x4_16b_bf16 a[0:3], v[76:77], v[32:33], a[0:3] cbsz:4 abid:6
	v_cmp_gt_i32_e32 vcc, s3, v88
	s_waitcnt vmcnt(12)
	v_mfma_f32_4x4x4_16b_bf16 a[0:3], v[74:75], v[36:37], a[0:3] cbsz:4 abid:7
	v_lshl_add_u64 v[36:37], v[18:19], 0, v[64:65]
	s_nop 0
	v_mfma_f32_4x4x4_16b_bf16 a[0:3], v[76:77], v[38:39], a[0:3] cbsz:4 abid:7
	v_lshl_add_u64 v[38:39], s[10:11], 0, v[20:21]
	v_lshl_add_u64 v[68:69], v[38:39], 0, v[64:65]
	s_waitcnt vmcnt(11)
	v_mfma_f32_4x4x4_16b_bf16 a[0:3], v[74:75], v[40:41], a[0:3] cbsz:4 abid:8
	global_load_dwordx4 v[18:21], v[36:37], off
	global_load_dwordx4 v[22:25], v[36:37], off offset:16
	v_mfma_f32_4x4x4_16b_bf16 a[0:3], v[76:77], v[42:43], a[0:3] cbsz:4 abid:8
	v_lshl_add_u64 v[42:43], v[38:39], 0, v[34:35]
	global_load_dwordx4 v[26:29], v[36:37], off offset:32
	global_load_dwordx4 v[30:33], v[36:37], off offset:48
	s_waitcnt vmcnt(14)
	v_mfma_f32_4x4x4_16b_bf16 a[0:3], v[74:75], v[44:45], a[0:3] cbsz:4 abid:9
	global_load_dwordx4 v[34:37], v[42:43], off
	global_load_dwordx4 v[38:41], v[42:43], off offset:16
	v_mfma_f32_4x4x4_16b_bf16 a[0:3], v[76:77], v[46:47], a[0:3] cbsz:4 abid:9
	s_waitcnt vmcnt(15)
	s_nop 0
	v_mfma_f32_4x4x4_16b_bf16 a[0:3], v[74:75], v[48:49], a[0:3] cbsz:4 abid:10
	s_nop 1
	v_mfma_f32_4x4x4_16b_bf16 a[0:3], v[76:77], v[50:51], a[0:3] cbsz:4 abid:10
	s_waitcnt vmcnt(14)
	s_nop 0
	v_mfma_f32_4x4x4_16b_bf16 a[0:3], v[74:75], v[52:53], a[0:3] cbsz:4 abid:11
	s_nop 1
	;; [unrolled: 5-line block ×3, first 2 shown]
	v_mfma_f32_4x4x4_16b_bf16 a[0:3], v[76:77], v[58:59], a[0:3] cbsz:4 abid:12
	s_waitcnt vmcnt(12)
	s_nop 0
	v_mfma_f32_4x4x4_16b_bf16 a[0:3], v[74:75], v[60:61], a[0:3] cbsz:4 abid:13
	global_load_dwordx4 v[46:49], v[42:43], off offset:32
	global_load_dwordx4 v[58:61], v[42:43], off offset:48
	v_mfma_f32_4x4x4_16b_bf16 a[0:3], v[76:77], v[62:63], a[0:3] cbsz:4 abid:13
	global_load_dwordx4 v[54:57], v[68:69], off
	global_load_dwordx4 v[42:45], v[68:69], off offset:16
	global_load_dwordx4 v[50:53], v[68:69], off offset:32
	;; [unrolled: 1-line block ×3, first 2 shown]
	s_waitcnt vmcnt(17)
	v_mfma_f32_4x4x4_16b_bf16 a[0:3], v[74:75], v[78:79], a[0:3] cbsz:4 abid:14
	s_nop 1
	v_mfma_f32_4x4x4_16b_bf16 a[0:3], v[76:77], v[80:81], a[0:3] cbsz:4 abid:14
	s_waitcnt vmcnt(16)
	s_nop 0
	v_mfma_f32_4x4x4_16b_bf16 a[0:3], v[74:75], v[82:83], a[0:3] cbsz:4 abid:15
	v_or_b32_e32 v75, 3, v66
	v_mov_b32_e32 v74, 0xff7fffff
	v_mfma_f32_4x4x4_16b_bf16 a[0:3], v[76:77], v[84:85], a[0:3] cbsz:4 abid:15
	v_cmp_gt_i32_e64 s[10:11], s3, v75
	s_nop 3
	v_accvgpr_read_b32 v69, a1
	v_accvgpr_read_b32 v68, a0
	s_waitcnt lgkmcnt(0)
	v_pk_mul_f32 v[68:69], s[0:1], v[68:69] op_sel_hi:[0,1]
	v_accvgpr_read_b32 v67, a3
	v_accvgpr_read_b32 v66, a2
	v_pk_mul_f32 v[66:67], s[0:1], v[66:67] op_sel_hi:[0,1]
	v_mfma_f32_4x4x1_16b_f32 a[0:3], v68, v71, 0
	v_and_or_b32 v68, v89, 48, v70
	s_nop 0
	v_mfma_f32_4x4x1_16b_f32 a[0:3], v69, v73, a[0:3]
	v_or_b32_e32 v69, 1, v88
	v_cmp_gt_i32_e64 s[0:1], s3, v69
	v_mfma_f32_4x4x1_16b_f32 a[0:3], v66, v86, a[0:3]
	v_or_b32_e32 v66, 2, v88
	v_cmp_gt_i32_e64 s[8:9], s3, v66
	v_mfma_f32_4x4x1_16b_f32 a[0:3], v67, v87, a[0:3]
	s_nop 3
	v_accvgpr_read_b32 v67, a0
	v_max_f32_e32 v73, v67, v67
	v_accvgpr_read_b32 v71, a1
	v_max_f32_e32 v73, 0xff7fffff, v73
	v_max_f32_e32 v78, v71, v71
	v_cndmask_b32_e32 v73, v74, v73, vcc
	v_accvgpr_read_b32 v76, a2
	v_max_f32_e32 v74, v73, v78
	v_max_f32_e32 v79, v76, v76
	v_cndmask_b32_e64 v69, v73, v74, s[0:1]
	v_accvgpr_read_b32 v77, a3
	v_max_f32_e32 v73, v69, v79
	v_max_f32_e32 v80, v77, v77
	v_cndmask_b32_e64 v66, v69, v73, s[8:9]
	v_max_f32_e32 v69, v66, v80
	v_cndmask_b32_e64 v66, v66, v69, s[10:11]
	;;#ASMSTART
	v_nop
 v_nop
 v_max_f32_dpp v66, v66, v66 row_ror:4
	;;#ASMEND
	v_lshlrev_b32_e32 v74, 2, v68
	;;#ASMSTART
	v_nop
 v_nop
 v_max_f32_dpp v66, v66, v66 row_ror:8
	;;#ASMEND
	ds_bpermute_b32 v66, v74, v66
	s_waitcnt lgkmcnt(0)
	;;#ASMSTART
	v_nop
 v_nop
 v_max_f32_dpp v66, v66, v66 row_ror:4
	;;#ASMEND
	s_nop 0
	;;#ASMSTART
	v_nop
 v_nop
 v_max_f32_dpp v73, v66, v66 row_ror:8
	;;#ASMEND
	s_nop 0
	v_sub_f32_e32 v66, v67, v73
	v_sub_f32_e32 v67, v71, v73
	v_mul_f32_e32 v66, 0x3fb8aa3b, v66
	v_mul_f32_e32 v67, 0x3fb8aa3b, v67
	v_exp_f32_e32 v66, v66
	v_sub_f32_e32 v68, v76, v73
	v_exp_f32_e32 v67, v67
	v_mul_f32_e32 v68, 0x3fb8aa3b, v68
	v_sub_f32_e32 v71, v77, v73
	v_exp_f32_e32 v68, v68
	v_mul_f32_e32 v71, 0x3fb8aa3b, v71
	v_exp_f32_e32 v71, v71
	v_cndmask_b32_e32 v66, 0, v66, vcc
	v_cndmask_b32_e64 v67, 0, v67, s[0:1]
	v_add_f32_e32 v69, 0, v66
	v_add_f32_e32 v69, v69, v67
	v_cndmask_b32_e64 v68, 0, v68, s[8:9]
	v_add_f32_e32 v75, v69, v68
	v_cndmask_b32_e64 v69, 0, v71, s[10:11]
	v_add_f32_e32 v71, v75, v69
	;;#ASMSTART
	v_nop
 v_nop
 v_add_f32_dpp v71, v71, v71 row_ror:4
	;;#ASMEND
	v_cmp_gt_u32_e32 vcc, 4, v1
	;;#ASMSTART
	v_nop
 v_nop
 v_add_f32_dpp v71, v71, v71 row_ror:8
	;;#ASMEND
	ds_bpermute_b32 v71, v74, v71
	s_waitcnt lgkmcnt(0)
	;;#ASMSTART
	v_nop
 v_nop
 v_add_f32_dpp v71, v71, v71 row_ror:4
	;;#ASMEND
	s_nop 0
	;;#ASMSTART
	v_nop
 v_nop
 v_add_f32_dpp v71, v71, v71 row_ror:8
	;;#ASMEND
	s_and_saveexec_b64 s[0:1], vcc
	s_cbranch_execz .LBB711_12
; %bb.11:
	v_mul_u32_u24_e32 v74, 20, v72
	v_lshl_add_u32 v74, v70, 2, v74
	v_add_u32_e32 v74, 0x1400, v74
	ds_write2_b32 v74, v73, v71 offset1:20
.LBB711_12:
	s_or_b64 exec, exec, s[0:1]
.LBB711_13:
	s_or_b64 exec, exec, s[26:27]
	v_lshlrev_b32_e32 v71, 2, v70
	v_add_u32_e32 v71, 0x1400, v71
	s_waitcnt lgkmcnt(0)
	s_barrier
	s_load_dword s0, s[24:25], 0x8
	ds_read2_b32 v[76:77], v71 offset1:5
	ds_read2_b32 v[78:79], v71 offset0:10 offset1:15
	s_mov_b32 s8, 0xff7fffff
	s_mul_i32 s1, s2, s5
	s_lshl_b32 s4, s4, 2
	s_waitcnt lgkmcnt(0)
	v_max3_f32 v74, v76, s8, v77
	s_mul_i32 s1, s1, s0
	v_max3_f32 v74, v74, v78, v79
	s_lshl_b32 s0, s1, 2
	s_mov_b32 s1, 0
	v_sub_f32_e32 v75, v76, v74
	v_sub_f32_e32 v76, v77, v74
	s_lshl_b64 s[2:3], s[0:1], 2
	ds_read2_b32 v[80:81], v71 offset0:20 offset1:25
	v_mul_f32_e32 v75, 0x3fb8aa3b, v75
	v_mul_f32_e32 v76, 0x3fb8aa3b, v76
	s_add_u32 s10, s12, s2
	v_exp_f32_e32 v75, v75
	v_exp_f32_e32 v82, v76
	ds_read2_b32 v[76:77], v71 offset0:30 offset1:35
	v_sub_f32_e32 v71, v78, v74
	s_addc_u32 s11, s13, s3
	v_mul_f32_e32 v71, 0x3fb8aa3b, v71
	v_sub_f32_e32 v78, v79, v74
	s_mov_b32 s21, s1
	s_add_u32 s8, s14, s2
	v_exp_f32_e32 v71, v71
	v_mul_f32_e32 v78, 0x3fb8aa3b, v78
	s_addc_u32 s9, s15, s3
	s_lshl_b64 s[2:3], s[20:21], 2
	v_exp_f32_e32 v78, v78
	s_add_u32 s8, s8, s2
	s_waitcnt lgkmcnt(1)
	v_fma_f32 v75, v75, v80, 0
	s_addc_u32 s9, s9, s3
	v_fmac_f32_e32 v75, v82, v81
	v_or_b32_e32 v70, s4, v70
	s_waitcnt lgkmcnt(0)
	v_fmac_f32_e32 v75, v71, v76
	s_add_u32 s2, s10, s2
	v_mul_lo_u32 v70, s5, v70
	v_mov_b32_e32 v71, 0
	v_fmac_f32_e32 v75, v78, v77
	s_addc_u32 s3, s11, s3
	v_lshlrev_b64 v[76:77], 2, v[70:71]
	v_lshl_add_u64 v[78:79], s[8:9], 0, v[76:77]
	v_lshl_add_u64 v[76:77], s[2:3], 0, v[76:77]
	v_lshlrev_b32_e32 v72, 3, v72
	global_store_dword v[78:79], v74, off
	global_store_dword v[76:77], v75, off
	s_and_saveexec_b64 s[2:3], s[6:7]
	s_xor_b64 s[2:3], exec, s[2:3]
	s_cbranch_execz .LBB711_15
; %bb.14:
	s_waitcnt vmcnt(16)
	v_mad_u32_u24 v2, v1, 40, v72
	v_mov_b32_e32 v70, v71
	ds_write_b64 v2, v[70:71]
                                        ; implicit-def: $vgpr69
                                        ; implicit-def: $vgpr67
                                        ; implicit-def: $vgpr35
                                        ; implicit-def: $vgpr39
                                        ; implicit-def: $vgpr47
                                        ; implicit-def: $vgpr59
                                        ; implicit-def: $vgpr15
                                        ; implicit-def: $vgpr3
                                        ; implicit-def: $vgpr7
                                        ; implicit-def: $vgpr11
                                        ; implicit-def: $vgpr55
                                        ; implicit-def: $vgpr43
                                        ; implicit-def: $vgpr51
                                        ; implicit-def: $vgpr63
                                        ; implicit-def: $vgpr19
                                        ; implicit-def: $vgpr23
                                        ; implicit-def: $vgpr27
                                        ; implicit-def: $vgpr31
                                        ; implicit-def: $vgpr73
                                        ; implicit-def: $vgpr74
                                        ; implicit-def: $vgpr75
.LBB711_15:
	s_or_saveexec_b64 s[2:3], s[2:3]
	v_mov_b32_e32 v70, s1
	v_mov_b32_e32 v71, s1
	s_xor_b64 exec, exec, s[2:3]
	s_cbranch_execz .LBB711_17
; %bb.16:
	v_add_f32_e32 v70, 0x358637bd, v75
	v_div_scale_f32 v71, s[6:7], v70, v70, 1.0
	v_rcp_f32_e32 v75, v71
	v_sub_f32_e32 v73, v73, v74
	v_mul_f32_e32 v73, 0x3fb8aa3b, v73
	v_exp_f32_e32 v73, v73
	v_fma_f32 v74, -v71, v75, 1.0
	v_fmac_f32_e32 v75, v74, v75
	v_div_scale_f32 v74, vcc, 1.0, v70, 1.0
	v_mul_f32_e32 v76, v74, v75
	v_fma_f32 v77, -v71, v76, v74
	v_fmac_f32_e32 v76, v77, v75
	v_fma_f32 v71, -v71, v76, v74
	v_div_fmas_f32 v71, v71, v75, v76
	v_div_fixup_f32 v70, v71, v70, 1.0
	v_mul_f32_e32 v70, v73, v70
	v_pk_mul_f32 v[66:67], v[66:67], v[70:71] op_sel_hi:[1,0]
	v_pk_mul_f32 v[68:69], v[68:69], v[70:71] op_sel_hi:[1,0]
	v_bfe_u32 v70, v67, 16, 1
	v_bfe_u32 v71, v66, 16, 1
	s_movk_i32 s1, 0x7fff
	v_add3_u32 v66, v66, v71, s1
	v_add3_u32 v67, v67, v70, s1
	s_mov_b32 s6, 0x7060302
	v_perm_b32 v66, v67, v66, s6
	v_bfe_u32 v67, v69, 16, 1
	v_bfe_u32 v70, v68, 16, 1
	v_add3_u32 v68, v68, v70, s1
	v_add3_u32 v67, v69, v67, s1
	v_perm_b32 v67, v67, v68, s6
	s_waitcnt vmcnt(9)
	s_nop 0
	v_mfma_f32_4x4x4_16b_bf16 a[0:3], v[66:67], v[34:35], 0 cbsz:4
	s_nop 1
	v_mfma_f32_4x4x4_16b_bf16 a[0:3], v[66:67], v[36:37], a[0:3] cbsz:4 abid:1
	s_waitcnt vmcnt(5)
	v_mfma_f32_4x4x4_16b_bf16 a[4:7], v[66:67], v[54:55], 0 cbsz:4
	v_mfma_f32_4x4x4_16b_bf16 a[0:3], v[66:67], v[38:39], a[0:3] cbsz:4 abid:2
	s_nop 0
	v_mfma_f32_4x4x4_16b_bf16 a[4:7], v[66:67], v[56:57], a[4:7] cbsz:4 abid:1
	v_mfma_f32_4x4x4_16b_bf16 a[0:3], v[66:67], v[40:41], a[0:3] cbsz:4 abid:3
	s_waitcnt vmcnt(4)
	v_mfma_f32_4x4x4_16b_bf16 a[4:7], v[66:67], v[42:43], a[4:7] cbsz:4 abid:2
	v_mfma_f32_4x4x4_16b_bf16 a[0:3], v[66:67], v[46:47], a[0:3] cbsz:4 abid:4
	s_nop 1
	v_mfma_f32_4x4x4_16b_bf16 a[0:3], v[66:67], v[48:49], a[0:3] cbsz:4 abid:5
	s_nop 1
	;; [unrolled: 2-line block ×12, first 2 shown]
	v_accvgpr_read_b32 v3, a2
	v_accvgpr_read_b32 v4, a3
	;; [unrolled: 1-line block ×4, first 2 shown]
	v_mfma_f32_4x4x4_16b_bf16 a[0:3], v[66:67], v[44:45], a[4:7] cbsz:4 abid:3
	v_bfe_u32 v6, v5, 16, 1
	v_bfe_u32 v7, v2, 16, 1
	s_waitcnt vmcnt(3)
	v_mfma_f32_4x4x4_16b_bf16 a[0:3], v[66:67], v[50:51], a[0:3] cbsz:4 abid:4
	v_add3_u32 v2, v2, v7, s1
	v_add3_u32 v5, v5, v6, s1
	v_mfma_f32_4x4x4_16b_bf16 a[0:3], v[66:67], v[52:53], a[0:3] cbsz:4 abid:5
	v_perm_b32 v2, v5, v2, s6
	v_bfe_u32 v5, v4, 16, 1
	s_waitcnt vmcnt(2)
	v_mfma_f32_4x4x4_16b_bf16 a[0:3], v[66:67], v[62:63], a[0:3] cbsz:4 abid:6
	v_bfe_u32 v6, v3, 16, 1
	v_add3_u32 v3, v3, v6, s1
	v_mfma_f32_4x4x4_16b_bf16 a[0:3], v[66:67], v[64:65], a[0:3] cbsz:4 abid:7
	v_add3_u32 v4, v4, v5, s1
	v_perm_b32 v3, v4, v3, s6
	v_mfma_f32_4x4x4_16b_bf16 a[0:3], v[66:67], v[18:19], a[0:3] cbsz:4 abid:8
	v_mad_u32_u24 v4, v1, 40, v72
	ds_write_b64 v4, v[2:3]
	v_mfma_f32_4x4x4_16b_bf16 a[0:3], v[66:67], v[20:21], a[0:3] cbsz:4 abid:9
	s_nop 1
	v_mfma_f32_4x4x4_16b_bf16 a[0:3], v[66:67], v[22:23], a[0:3] cbsz:4 abid:10
	s_nop 1
	;; [unrolled: 2-line block ×7, first 2 shown]
	v_accvgpr_read_b32 v4, a0
	v_accvgpr_read_b32 v5, a1
	;; [unrolled: 1-line block ×4, first 2 shown]
	v_bfe_u32 v6, v5, 16, 1
	v_bfe_u32 v7, v4, 16, 1
	v_add3_u32 v4, v4, v7, s1
	v_add3_u32 v5, v5, v6, s1
	v_bfe_u32 v6, v3, 16, 1
	v_bfe_u32 v7, v2, 16, 1
	v_add3_u32 v2, v2, v7, s1
	v_add3_u32 v3, v3, v6, s1
	v_perm_b32 v71, v3, v2, s6
	v_perm_b32 v70, v5, v4, s6
.LBB711_17:
	s_or_b64 exec, exec, s[2:3]
	s_waitcnt vmcnt(16)
	v_mad_u32_u24 v2, v1, 40, v72
	v_cmp_gt_u32_e32 vcc, 64, v0
	ds_write_b64 v2, v[70:71] offset:2560
	s_waitcnt lgkmcnt(0)
	s_barrier
	s_and_saveexec_b64 s[2:3], vcc
	s_cbranch_execz .LBB711_19
; %bb.18:
	s_waitcnt vmcnt(15)
	v_mul_u32_u24_e32 v6, 40, v1
	ds_read2_b64 v[2:5], v6 offset1:1
	ds_read2_b64 v[6:9], v6 offset0:2 offset1:3
	s_mov_b32 s1, 0
	s_lshl_b32 s0, s0, 7
	s_lshl_b64 s[2:3], s[0:1], 1
	s_waitcnt vmcnt(14) lgkmcnt(1)
	v_lshlrev_b32_e32 v10, 16, v2
	v_and_b32_e32 v2, 0xffff0000, v2
	v_add_f32_e32 v2, 0, v2
	v_lshlrev_b32_e32 v11, 16, v3
	v_and_b32_e32 v3, 0xffff0000, v3
	v_and_b32_e32 v2, 0xffff0000, v2
	v_add_f32_e32 v11, 0, v11
	v_add_f32_e32 v3, 0, v3
	v_lshlrev_b32_e32 v12, 16, v4
	v_and_b32_e32 v4, 0xffff0000, v4
	v_add_f32_e32 v10, 0, v10
	v_and_b32_e32 v11, 0xffff0000, v11
	v_and_b32_e32 v3, 0xffff0000, v3
	v_add_f32_e32 v2, v2, v4
	v_lshlrev_b32_e32 v4, 16, v5
	v_and_b32_e32 v5, 0xffff0000, v5
	v_and_b32_e32 v10, 0xffff0000, v10
	;; [unrolled: 1-line block ×3, first 2 shown]
	v_add_f32_e32 v4, v11, v4
	v_add_f32_e32 v3, v3, v5
	s_waitcnt lgkmcnt(0)
	v_lshlrev_b32_e32 v5, 16, v6
	v_and_b32_e32 v6, 0xffff0000, v6
	v_add_f32_e32 v10, v10, v12
	v_and_b32_e32 v4, 0xffff0000, v4
	v_add_f32_e32 v2, v2, v6
	v_lshlrev_b32_e32 v6, 16, v7
	v_and_b32_e32 v10, 0xffff0000, v10
	v_and_b32_e32 v3, 0xffff0000, v3
	v_add_f32_e32 v4, v4, v6
	v_and_b32_e32 v6, 0xffff0000, v7
	v_add_f32_e32 v5, v10, v5
	v_add_f32_e32 v3, v3, v6
	v_and_b32_e32 v5, 0xffff0000, v5
	v_and_b32_e32 v6, 0xffff0000, v3
	v_lshlrev_b32_e32 v3, 16, v8
	v_and_b32_e32 v2, 0xffff0000, v2
	v_add_f32_e32 v10, v5, v3
	v_and_b32_e32 v3, 0xffff0000, v8
	v_and_b32_e32 v4, 0xffff0000, v4
	v_add_f32_e32 v11, v2, v3
	v_lshlrev_b32_e32 v2, 16, v9
	v_add_f32_e32 v12, v4, v2
	v_mov_b32_e32 v2, 0xa00
	v_mad_u32_u24 v2, v1, 40, v2
	ds_read2_b64 v[2:5], v2 offset1:1
	v_and_b32_e32 v7, 0xffff0000, v9
	v_add_f32_e32 v13, v6, v7
	v_mov_b32_e32 v6, 0xa10
	v_mad_u32_u24 v1, v1, 40, v6
	ds_read2_b64 v[6:9], v1 offset1:1
	s_waitcnt lgkmcnt(1)
	v_lshlrev_b32_e32 v1, 16, v2
	v_and_b32_e32 v2, 0xffff0000, v2
	v_add_f32_e32 v1, 0, v1
	v_add_f32_e32 v2, 0, v2
	v_lshlrev_b32_e32 v14, 16, v3
	v_and_b32_e32 v3, 0xffff0000, v3
	v_and_b32_e32 v1, 0xffff0000, v1
	;; [unrolled: 1-line block ×3, first 2 shown]
	v_add_f32_e32 v3, 0, v3
	v_lshlrev_b32_e32 v15, 16, v4
	v_and_b32_e32 v4, 0xffff0000, v4
	v_add_f32_e32 v14, 0, v14
	v_and_b32_e32 v3, 0xffff0000, v3
	v_add_f32_e32 v1, v1, v15
	v_add_f32_e32 v2, v2, v4
	v_lshlrev_b32_e32 v4, 16, v5
	v_and_b32_e32 v5, 0xffff0000, v5
	v_and_b32_e32 v14, 0xffff0000, v14
	;; [unrolled: 1-line block ×3, first 2 shown]
	v_add_f32_e32 v3, v3, v5
	s_waitcnt lgkmcnt(0)
	v_lshlrev_b32_e32 v5, 16, v6
	v_and_b32_e32 v2, 0xffff0000, v2
	v_add_f32_e32 v4, v14, v4
	v_add_f32_e32 v1, v1, v5
	v_and_b32_e32 v5, 0xffff0000, v6
	v_and_b32_e32 v4, 0xffff0000, v4
	v_add_f32_e32 v2, v2, v5
	v_lshlrev_b32_e32 v5, 16, v7
	s_add_u32 s2, s22, s2
	v_and_b32_e32 v3, 0xffff0000, v3
	v_add_f32_e32 v4, v4, v5
	v_and_b32_e32 v5, 0xffff0000, v7
	s_addc_u32 s3, s23, s3
	s_lshl_b32 s0, s20, 7
	v_and_b32_e32 v1, 0xffff0000, v1
	v_add_f32_e32 v3, v3, v5
	v_lshlrev_b32_e32 v5, 16, v8
	s_lshl_b64 s[0:1], s[0:1], 1
	v_and_b32_e32 v2, 0xffff0000, v2
	v_add_f32_e32 v14, v1, v5
	v_and_b32_e32 v1, 0xffff0000, v8
	s_add_u32 s0, s2, s0
	v_and_b32_e32 v4, 0xffff0000, v4
	v_add_f32_e32 v15, v2, v1
	v_lshlrev_b32_e32 v1, 16, v9
	s_addc_u32 s1, s3, s1
	s_lshl_b32 s2, s5, 7
	v_and_b32_e32 v3, 0xffff0000, v3
	v_add_f32_e32 v16, v4, v1
	v_and_b32_e32 v1, 0xffff0000, v9
	s_mul_i32 s3, s2, s4
	v_add_f32_e32 v17, v3, v1
	v_or_b32_e32 v2, s3, v0
	v_mov_b32_e32 v3, 0
	s_add_i32 s3, s3, s2
	v_lshl_add_u64 v[4:5], v[2:3], 1, s[0:1]
	v_or_b32_e32 v2, s3, v0
	s_add_i32 s3, s3, s2
	v_lshl_add_u64 v[6:7], v[2:3], 1, s[0:1]
	v_or_b32_e32 v2, s3, v0
	;; [unrolled: 3-line block ×3, first 2 shown]
	v_lshl_add_u64 v[0:1], v[2:3], 1, s[0:1]
	global_store_short_d16_hi v[4:5], v10, off
	global_store_short_d16_hi v[6:7], v11, off
	;; [unrolled: 1-line block ×4, first 2 shown]
	global_store_short_d16_hi v[4:5], v14, off offset:128
	global_store_short_d16_hi v[6:7], v15, off offset:128
	global_store_short_d16_hi v[8:9], v16, off offset:128
	global_store_short_d16_hi v[0:1], v17, off offset:128
.LBB711_19:
	s_endpgm
.LBB711_20:
	s_mov_b64 s[12:13], 0
                                        ; implicit-def: $sgpr30_sgpr31
	s_branch .LBB711_2
	.section	.rodata,"a",@progbits
	.p2align	6, 0x0
	.amdhsa_kernel _Z38paged_attention_ll4mi_QKV_mfma4_kernelI14__hip_bfloat16S0_LN4vllm18Fp8KVCacheDataTypeE0EhLi32ELi128ELi256ELb0ELi4EEvPKT_PKT0_S8_ifPKiSA_SA_iPKfiiiPfSD_PS3_PT2_iSC_SC_
		.amdhsa_group_segment_fixed_size 5280
		.amdhsa_private_segment_fixed_size 0
		.amdhsa_kernarg_size 400
		.amdhsa_user_sgpr_count 2
		.amdhsa_user_sgpr_dispatch_ptr 0
		.amdhsa_user_sgpr_queue_ptr 0
		.amdhsa_user_sgpr_kernarg_segment_ptr 1
		.amdhsa_user_sgpr_dispatch_id 0
		.amdhsa_user_sgpr_kernarg_preload_length 0
		.amdhsa_user_sgpr_kernarg_preload_offset 0
		.amdhsa_user_sgpr_private_segment_size 0
		.amdhsa_uses_dynamic_stack 0
		.amdhsa_enable_private_segment 0
		.amdhsa_system_sgpr_workgroup_id_x 1
		.amdhsa_system_sgpr_workgroup_id_y 1
		.amdhsa_system_sgpr_workgroup_id_z 1
		.amdhsa_system_sgpr_workgroup_info 0
		.amdhsa_system_vgpr_workitem_id 0
		.amdhsa_next_free_vgpr 100
		.amdhsa_next_free_sgpr 38
		.amdhsa_accum_offset 92
		.amdhsa_reserve_vcc 1
		.amdhsa_float_round_mode_32 0
		.amdhsa_float_round_mode_16_64 0
		.amdhsa_float_denorm_mode_32 3
		.amdhsa_float_denorm_mode_16_64 3
		.amdhsa_dx10_clamp 1
		.amdhsa_ieee_mode 1
		.amdhsa_fp16_overflow 0
		.amdhsa_tg_split 0
		.amdhsa_exception_fp_ieee_invalid_op 0
		.amdhsa_exception_fp_denorm_src 0
		.amdhsa_exception_fp_ieee_div_zero 0
		.amdhsa_exception_fp_ieee_overflow 0
		.amdhsa_exception_fp_ieee_underflow 0
		.amdhsa_exception_fp_ieee_inexact 0
		.amdhsa_exception_int_div_zero 0
	.end_amdhsa_kernel
	.section	.text._Z38paged_attention_ll4mi_QKV_mfma4_kernelI14__hip_bfloat16S0_LN4vllm18Fp8KVCacheDataTypeE0EhLi32ELi128ELi256ELb0ELi4EEvPKT_PKT0_S8_ifPKiSA_SA_iPKfiiiPfSD_PS3_PT2_iSC_SC_,"axG",@progbits,_Z38paged_attention_ll4mi_QKV_mfma4_kernelI14__hip_bfloat16S0_LN4vllm18Fp8KVCacheDataTypeE0EhLi32ELi128ELi256ELb0ELi4EEvPKT_PKT0_S8_ifPKiSA_SA_iPKfiiiPfSD_PS3_PT2_iSC_SC_,comdat
.Lfunc_end711:
	.size	_Z38paged_attention_ll4mi_QKV_mfma4_kernelI14__hip_bfloat16S0_LN4vllm18Fp8KVCacheDataTypeE0EhLi32ELi128ELi256ELb0ELi4EEvPKT_PKT0_S8_ifPKiSA_SA_iPKfiiiPfSD_PS3_PT2_iSC_SC_, .Lfunc_end711-_Z38paged_attention_ll4mi_QKV_mfma4_kernelI14__hip_bfloat16S0_LN4vllm18Fp8KVCacheDataTypeE0EhLi32ELi128ELi256ELb0ELi4EEvPKT_PKT0_S8_ifPKiSA_SA_iPKfiiiPfSD_PS3_PT2_iSC_SC_
                                        ; -- End function
	.section	.AMDGPU.csdata,"",@progbits
; Kernel info:
; codeLenInByte = 4448
; NumSgprs: 44
; NumVgprs: 90
; NumAgprs: 8
; TotalNumVgprs: 100
; ScratchSize: 0
; MemoryBound: 0
; FloatMode: 240
; IeeeMode: 1
; LDSByteSize: 5280 bytes/workgroup (compile time only)
; SGPRBlocks: 5
; VGPRBlocks: 12
; NumSGPRsForWavesPerEU: 44
; NumVGPRsForWavesPerEU: 100
; AccumOffset: 92
; Occupancy: 4
; WaveLimiterHint : 1
; COMPUTE_PGM_RSRC2:SCRATCH_EN: 0
; COMPUTE_PGM_RSRC2:USER_SGPR: 2
; COMPUTE_PGM_RSRC2:TRAP_HANDLER: 0
; COMPUTE_PGM_RSRC2:TGID_X_EN: 1
; COMPUTE_PGM_RSRC2:TGID_Y_EN: 1
; COMPUTE_PGM_RSRC2:TGID_Z_EN: 1
; COMPUTE_PGM_RSRC2:TIDIG_COMP_CNT: 0
; COMPUTE_PGM_RSRC3_GFX90A:ACCUM_OFFSET: 22
; COMPUTE_PGM_RSRC3_GFX90A:TG_SPLIT: 0
	.section	.text._Z39paged_attention_ll4mi_QKV_mfma16_kernelI14__hip_bfloat16S0_LN4vllm18Fp8KVCacheDataTypeE0EhLi32ELi128ELi256ELb0ELi5EEvPKT_PKT0_S8_ifPKiSA_SA_iPKfiiiPfSD_PS3_PT2_iSC_SC_,"axG",@progbits,_Z39paged_attention_ll4mi_QKV_mfma16_kernelI14__hip_bfloat16S0_LN4vllm18Fp8KVCacheDataTypeE0EhLi32ELi128ELi256ELb0ELi5EEvPKT_PKT0_S8_ifPKiSA_SA_iPKfiiiPfSD_PS3_PT2_iSC_SC_,comdat
	.protected	_Z39paged_attention_ll4mi_QKV_mfma16_kernelI14__hip_bfloat16S0_LN4vllm18Fp8KVCacheDataTypeE0EhLi32ELi128ELi256ELb0ELi5EEvPKT_PKT0_S8_ifPKiSA_SA_iPKfiiiPfSD_PS3_PT2_iSC_SC_ ; -- Begin function _Z39paged_attention_ll4mi_QKV_mfma16_kernelI14__hip_bfloat16S0_LN4vllm18Fp8KVCacheDataTypeE0EhLi32ELi128ELi256ELb0ELi5EEvPKT_PKT0_S8_ifPKiSA_SA_iPKfiiiPfSD_PS3_PT2_iSC_SC_
	.globl	_Z39paged_attention_ll4mi_QKV_mfma16_kernelI14__hip_bfloat16S0_LN4vllm18Fp8KVCacheDataTypeE0EhLi32ELi128ELi256ELb0ELi5EEvPKT_PKT0_S8_ifPKiSA_SA_iPKfiiiPfSD_PS3_PT2_iSC_SC_
	.p2align	8
	.type	_Z39paged_attention_ll4mi_QKV_mfma16_kernelI14__hip_bfloat16S0_LN4vllm18Fp8KVCacheDataTypeE0EhLi32ELi128ELi256ELb0ELi5EEvPKT_PKT0_S8_ifPKiSA_SA_iPKfiiiPfSD_PS3_PT2_iSC_SC_,@function
_Z39paged_attention_ll4mi_QKV_mfma16_kernelI14__hip_bfloat16S0_LN4vllm18Fp8KVCacheDataTypeE0EhLi32ELi128ELi256ELb0ELi5EEvPKT_PKT0_S8_ifPKiSA_SA_iPKfiiiPfSD_PS3_PT2_iSC_SC_: ; @_Z39paged_attention_ll4mi_QKV_mfma16_kernelI14__hip_bfloat16S0_LN4vllm18Fp8KVCacheDataTypeE0EhLi32ELi128ELi256ELb0ELi5EEvPKT_PKT0_S8_ifPKiSA_SA_iPKfiiiPfSD_PS3_PT2_iSC_SC_
; %bb.0:
	s_load_dwordx2 s[8:9], s[0:1], 0x30
	s_mov_b32 s26, s3
	s_mov_b64 s[6:7], 0
	s_waitcnt lgkmcnt(0)
	s_cmp_lg_u64 s[8:9], 0
	s_cselect_b64 s[10:11], -1, 0
	s_and_b64 vcc, exec, s[10:11]
	s_cbranch_vccz .LBB712_7
; %bb.1:
	s_add_i32 s12, s2, 1
	s_mov_b32 s13, 0
	s_lshl_b64 s[14:15], s[12:13], 2
	s_add_u32 s14, s8, s14
	s_mov_b32 s3, s13
	s_addc_u32 s15, s9, s15
	s_lshl_b64 s[12:13], s[2:3], 2
	s_add_u32 s12, s8, s12
	s_addc_u32 s13, s9, s13
	s_load_dword s5, s[14:15], 0x0
	s_load_dword s16, s[12:13], 0x0
	s_waitcnt lgkmcnt(0)
	s_sub_i32 s5, s5, s16
	s_cmp_eq_u32 s5, 1
	s_cselect_b64 s[12:13], -1, 0
	s_andn2_b64 vcc, exec, s[6:7]
	s_cbranch_vccnz .LBB712_3
.LBB712_2:
	s_mov_b32 s3, 0
	s_mov_b64 s[12:13], -1
.LBB712_3:
	s_andn2_b64 vcc, exec, s[12:13]
	s_cbranch_vccnz .LBB712_20
; %bb.4:
	s_load_dwordx2 s[6:7], s[0:1], 0x28
	s_lshl_b64 s[12:13], s[2:3], 2
	s_waitcnt lgkmcnt(0)
	s_add_u32 s6, s6, s12
	s_addc_u32 s7, s7, s13
	s_load_dword s33, s[6:7], 0x0
	s_lshl_b32 s18, s26, 8
	s_waitcnt lgkmcnt(0)
	s_cmp_ge_i32 s18, s33
	s_cbranch_scc1 .LBB712_20
; %bb.5:
	s_load_dwordx2 s[6:7], s[0:1], 0x20
	s_load_dword s5, s[0:1], 0x38
	s_add_i32 s14, s33, 31
	s_ashr_i32 s15, s14, 31
	v_and_b32_e32 v1, 0xcf, v0
	s_lshr_b32 s15, s15, 27
	v_add_u32_e32 v1, s18, v1
	s_add_i32 s14, s14, s15
	v_ashrrev_i32_e32 v2, 31, v1
	s_ashr_i32 s19, s14, 5
	v_lshrrev_b32_e32 v4, 27, v2
	s_add_i32 s19, s19, -1
	s_waitcnt lgkmcnt(0)
	s_mul_i32 s14, s2, s5
	s_mov_b32 s15, 0
	v_add_u32_e32 v2, v1, v4
	s_lshl_b64 s[14:15], s[14:15], 2
	v_ashrrev_i32_e32 v2, 5, v2
	v_mov_b32_e32 v5, s19
	v_cmp_gt_i32_e32 vcc, s33, v1
	s_add_u32 s6, s6, s14
	s_addc_u32 s7, s7, s15
	v_cndmask_b32_e32 v2, v5, v2, vcc
	v_ashrrev_i32_e32 v3, 31, v2
	v_lshl_add_u64 v[6:7], v[2:3], 2, s[6:7]
	v_or_b32_e32 v2, 16, v1
	v_add_u32_e32 v3, v2, v4
	v_ashrrev_i32_e32 v3, 5, v3
	v_cmp_gt_i32_e32 vcc, s33, v2
	s_nop 1
	v_cndmask_b32_e32 v2, v5, v3, vcc
	v_ashrrev_i32_e32 v3, 31, v2
	v_lshl_add_u64 v[8:9], v[2:3], 2, s[6:7]
	v_or_b32_e32 v2, 32, v1
	v_add_u32_e32 v3, v2, v4
	v_ashrrev_i32_e32 v3, 5, v3
	v_cmp_gt_i32_e32 vcc, s33, v2
	v_or_b32_e32 v1, 48, v1
	s_nop 0
	v_cndmask_b32_e32 v2, v5, v3, vcc
	v_ashrrev_i32_e32 v3, 31, v2
	v_lshl_add_u64 v[10:11], v[2:3], 2, s[6:7]
	v_add_u32_e32 v2, v1, v4
	v_ashrrev_i32_e32 v2, 5, v2
	v_cmp_gt_i32_e32 vcc, s33, v1
	s_nop 1
	v_cndmask_b32_e32 v2, v5, v2, vcc
	v_ashrrev_i32_e32 v3, 31, v2
	v_lshl_add_u64 v[12:13], v[2:3], 2, s[6:7]
	global_load_dword v2, v[6:7], off
	global_load_dword v5, v[8:9], off
	;; [unrolled: 1-line block ×4, first 2 shown]
	s_andn2_b64 vcc, exec, s[10:11]
	s_cbranch_vccnz .LBB712_8
; %bb.6:
	s_add_u32 s8, s8, s12
	s_addc_u32 s9, s9, s13
	s_load_dword s5, s[8:9], 0x0
	s_branch .LBB712_9
.LBB712_7:
	s_mov_b64 s[12:13], 0
	s_branch .LBB712_2
.LBB712_8:
	s_mov_b32 s5, s2
.LBB712_9:
	s_load_dwordx4 s[12:15], s[0:1], 0x8
	s_load_dwordx4 s[8:11], s[0:1], 0x48
	v_lshrrev_b32_e32 v86, 6, v0
	v_bfe_u32 v1, v0, 4, 2
	v_lshl_or_b32 v3, v86, 2, v1
	v_and_b32_e32 v76, 15, v0
	v_lshlrev_b32_e32 v74, 3, v76
	v_cmp_lt_u32_e32 vcc, 4, v3
	s_and_saveexec_b64 s[16:17], vcc
	s_xor_b64 s[16:17], exec, s[16:17]
; %bb.10:
	v_mov_b32_e32 v75, 0
                                        ; implicit-def: $vgpr3
; %bb.11:
	s_or_saveexec_b64 s[16:17], s[16:17]
	v_and_b32_e32 v77, 63, v0
	s_mul_i32 s40, s4, 5
	s_xor_b64 exec, exec, s[16:17]
	s_cbranch_execz .LBB712_13
; %bb.12:
	s_load_dwordx2 s[20:21], s[0:1], 0x0
	s_waitcnt lgkmcnt(0)
	s_ashr_i32 s11, s8, 31
	s_mul_hi_u32 s22, s5, s8
	s_mul_i32 s11, s5, s11
	s_add_i32 s23, s22, s11
	s_mul_i32 s22, s5, s8
	s_lshl_b64 s[22:23], s[22:23], 1
	s_add_u32 s20, s20, s22
	v_add_lshl_u32 v6, v3, s40, 7
	s_addc_u32 s21, s21, s23
	v_ashrrev_i32_e32 v7, 31, v6
	v_mov_b32_e32 v75, 0
	v_lshl_add_u64 v[6:7], v[6:7], 1, s[20:21]
	v_lshlrev_b32_e32 v8, 1, v74
	v_mov_b32_e32 v9, v75
	v_lshl_add_u64 v[6:7], v[6:7], 0, v[8:9]
	global_load_dwordx4 v[6:9], v[6:7], off
	v_and_b32_e32 v10, 3, v0
	v_lshlrev_b32_e32 v11, 9, v76
	v_lshlrev_b32_e32 v3, 5, v3
	;; [unrolled: 1-line block ×3, first 2 shown]
	v_and_b32_e32 v11, 0x1800, v11
	v_or3_b32 v3, v11, v10, v3
	s_waitcnt vmcnt(0)
	ds_write_b128 v3, v[6:9]
.LBB712_13:
	s_or_b64 exec, exec, s[16:17]
	s_waitcnt lgkmcnt(0)
	s_mul_i32 s4, s4, s10
	s_mov_b32 s5, 0
	s_lshl_b64 s[4:5], s[4:5], 1
	s_add_u32 s10, s12, s4
	s_addc_u32 s11, s13, s5
	s_waitcnt vmcnt(3)
	v_mad_i64_i32 v[2:3], s[12:13], v2, s9, 0
	v_lshl_add_u64 v[6:7], v[2:3], 1, s[10:11]
	v_lshlrev_b64 v[2:3], 1, v[74:75]
	v_lshlrev_b32_e32 v46, 9, v1
	v_lshl_add_u64 v[6:7], v[6:7], 0, v[2:3]
	v_mov_b32_e32 v47, 0
	v_lshl_add_u64 v[8:9], v[6:7], 0, v[46:47]
	s_load_dword s27, s[0:1], 0x98
	s_load_dword s8, s[0:1], 0x1c
	s_waitcnt lgkmcnt(0)
	s_barrier
	global_load_dwordx4 v[38:41], v[8:9], off
	s_waitcnt vmcnt(3)
	v_mad_i64_i32 v[10:11], s[12:13], v5, s9, 0
	v_mov_b32_e32 v5, 0x100
	v_lshl_add_u64 v[10:11], v[10:11], 1, s[10:11]
	v_lshl_or_b32 v50, v76, 4, v5
	v_mov_b32_e32 v51, v47
	v_lshl_add_u64 v[22:23], v[10:11], 0, v[50:51]
	v_lshl_add_u64 v[10:11], v[22:23], 0, v[46:47]
	global_load_dwordx4 v[42:45], v[10:11], off
	global_load_dwordx4 v[18:21], v[8:9], off offset:2048
	global_load_dwordx4 v[26:29], v[10:11], off offset:2048
	v_or_b32_e32 v52, 0x1000, v46
	v_mov_b32_e32 v53, v47
	v_or_b32_e32 v48, 0x1800, v46
	v_mov_b32_e32 v49, v47
	v_lshl_add_u64 v[8:9], v[6:7], 0, v[52:53]
	v_lshl_add_u64 v[6:7], v[6:7], 0, v[48:49]
	global_load_dwordx4 v[14:17], v[8:9], off
	global_load_dwordx4 v[10:13], v[6:7], off
	v_lshl_add_u64 v[8:9], v[22:23], 0, v[52:53]
	global_load_dwordx4 v[30:33], v[8:9], off
	s_waitcnt vmcnt(8)
	v_mad_i64_i32 v[4:5], s[12:13], v4, s9, 0
	v_lshl_add_u64 v[4:5], v[4:5], 1, s[10:11]
	v_lshl_add_u64 v[56:57], v[4:5], 0, v[2:3]
	v_mul_lo_u16_e32 v2, 52, v76
	v_mov_b32_e32 v3, 5
	v_mul_lo_u16_sdwa v2, v2, v3 dst_sel:DWORD dst_unused:UNUSED_PAD src0_sel:BYTE_1 src1_sel:DWORD
	v_sub_u16_e32 v2, v76, v2
	v_and_b32_e32 v2, 0xff, v2
	v_lshl_add_u64 v[6:7], v[22:23], 0, v[48:49]
	global_load_dwordx4 v[22:25], v[6:7], off
	v_lshl_add_u64 v[54:55], v[56:57], 0, v[46:47]
	v_lshl_add_u32 v59, v2, 5, v46
	global_load_dwordx4 v[34:37], v[54:55], off
	ds_read_b128 v[6:9], v59
	ds_read_b128 v[2:5], v59 offset:2048
	v_and_or_b32 v72, v0, 48, s18
	v_or_b32_e32 v80, 64, v72
	v_mov_b32_e32 v73, s19
	v_cmp_gt_i32_e32 vcc, s33, v72
	v_or_b32_e32 v81, 0x80, v72
	v_or_b32_e32 v84, 0xc0, v72
	s_mov_b32 s41, 0xff7fffff
	s_waitcnt vmcnt(7) lgkmcnt(1)
	v_mfma_f32_16x16x16_bf16 v[64:67], v[42:43], v[6:7], 0
	v_mfma_f32_16x16x16_bf16 v[60:63], v[38:39], v[6:7], 0
	v_mad_i64_i32 v[38:39], s[12:13], v58, s9, 0
	v_lshl_add_u64 v[68:69], v[38:39], 1, s[10:11]
	v_mfma_f32_16x16x16_bf16 v[60:63], v[40:41], v[8:9], v[60:63]
	v_lshl_add_u64 v[82:83], v[68:69], 0, v[50:51]
	v_lshl_add_u64 v[50:51], v[56:57], 0, v[52:53]
	s_ashr_i32 s12, s18, 31
	v_mfma_f32_16x16x16_bf16 v[64:67], v[44:45], v[8:9], v[64:67]
	ds_read_b128 v[42:45], v59 offset:4096
	ds_read_b128 v[38:41], v59 offset:6144
	v_lshl_add_u64 v[78:79], v[82:83], 0, v[52:53]
	global_load_dwordx4 v[50:53], v[50:51], off
	s_waitcnt vmcnt(7) lgkmcnt(2)
	v_mfma_f32_16x16x16_bf16 v[58:61], v[18:19], v[2:3], v[60:63]
	s_lshr_b32 s10, s12, 27
	v_add_u32_e32 v68, s10, v72
	v_add_u32_e32 v69, s10, v80
	s_waitcnt vmcnt(6)
	v_mfma_f32_16x16x16_bf16 v[62:65], v[26:27], v[2:3], v[64:67]
	v_lshl_add_u64 v[70:71], v[82:83], 0, v[46:47]
	v_ashrrev_i32_e32 v46, 5, v68
	v_add_u32_e32 v85, s10, v81
	v_lshl_add_u64 v[66:67], v[56:57], 0, v[48:49]
	global_load_dwordx4 v[54:57], v[54:55], off offset:2048
	v_mfma_f32_16x16x16_bf16 v[18:21], v[20:21], v[4:5], v[58:61]
	v_add_u32_e32 v87, s10, v84
	s_add_u32 s4, s14, s4
	s_addc_u32 s5, s15, s5
	v_mfma_f32_16x16x16_bf16 v[26:29], v[28:29], v[4:5], v[62:65]
	v_ashrrev_i32_e32 v58, 5, v69
	s_waitcnt vmcnt(6) lgkmcnt(1)
	v_mfma_f32_16x16x16_bf16 v[18:21], v[14:15], v[42:43], v[18:21]
	v_cndmask_b32_e32 v14, v73, v46, vcc
	v_cmp_gt_i32_e32 vcc, s33, v80
	v_ashrrev_i32_e32 v15, 31, v14
	s_waitcnt vmcnt(4)
	v_mfma_f32_16x16x16_bf16 v[26:29], v[30:31], v[42:43], v[26:29]
	v_cndmask_b32_e32 v30, v73, v58, vcc
	v_ashrrev_i32_e32 v31, 31, v30
	v_lshl_add_u64 v[14:15], v[14:15], 2, s[6:7]
	v_lshl_add_u64 v[30:31], v[30:31], 2, s[6:7]
	global_load_dword v92, v[14:15], off
	global_load_dword v93, v[30:31], off
	v_mfma_f32_16x16x16_bf16 v[14:17], v[16:17], v[44:45], v[18:21]
	global_load_dwordx4 v[58:61], v[70:71], off
	v_ashrrev_i32_e32 v62, 5, v85
	v_cmp_gt_i32_e32 vcc, s33, v81
	global_load_dwordx4 v[18:21], v[66:67], off
	s_waitcnt lgkmcnt(0)
	v_mfma_f32_16x16x16_bf16 v[14:17], v[10:11], v[38:39], v[14:17]
	v_cndmask_b32_e32 v10, v73, v62, vcc
	global_load_dwordx4 v[62:65], v[70:71], off offset:2048
	v_ashrrev_i32_e32 v11, 31, v10
	v_lshl_add_u64 v[10:11], v[10:11], 2, s[6:7]
	global_load_dword v94, v[10:11], off
	v_mfma_f32_16x16x16_bf16 v[66:69], v[12:13], v[40:41], v[14:17]
	global_load_dwordx4 v[78:81], v[78:79], off
	v_ashrrev_i32_e32 v85, 5, v87
	v_cmp_gt_i32_e32 vcc, s33, v84
	v_lshl_add_u64 v[14:15], v[82:83], 0, v[48:49]
	global_load_dwordx4 v[88:91], v[14:15], off
	v_cndmask_b32_e32 v10, v73, v85, vcc
	v_ashrrev_i32_e32 v11, 31, v10
	v_lshl_add_u64 v[10:11], v[10:11], 2, s[6:7]
	global_load_dword v84, v[10:11], off
	s_waitcnt vmcnt(11)
	v_mfma_f32_16x16x16_bf16 v[10:13], v[34:35], v[6:7], 0
	v_and_b32_e32 v14, 16, v0
	v_lshlrev_b32_e32 v46, 1, v14
	v_lshl_or_b32 v87, v86, 4, v76
	v_mfma_f32_16x16x16_bf16 v[10:13], v[36:37], v[8:9], v[10:13]
	v_lshl_add_u64 v[36:37], s[4:5], 0, v[46:47]
	v_lshlrev_b32_e32 v46, 6, v87
	v_lshl_add_u64 v[48:49], v[36:37], 0, v[46:47]
	v_mfma_f32_16x16x16_bf16 v[26:29], v[32:33], v[44:45], v[26:29]
	v_or_b32_e32 v46, 0x1000, v46
	s_waitcnt vmcnt(8)
	v_mad_i64_i32 v[14:15], s[4:5], v92, s9, 0
	v_mfma_f32_16x16x16_bf16 v[10:13], v[54:55], v[2:3], v[10:13]
	v_lshlrev_b64 v[82:83], 1, v[14:15]
	v_lshl_add_u64 v[14:15], v[48:49], 0, v[82:83]
	v_mfma_f32_16x16x16_bf16 v[10:13], v[56:57], v[4:5], v[10:13]
	v_mfma_f32_16x16x16_bf16 v[10:13], v[50:51], v[42:43], v[10:13]
	;; [unrolled: 1-line block ×4, first 2 shown]
	s_waitcnt vmcnt(5)
	v_mfma_f32_16x16x16_bf16 v[10:13], v[18:19], v[38:39], v[10:13]
	v_mfma_f32_16x16x16_bf16 v[70:73], v[24:25], v[40:41], v[26:29]
	global_load_dwordx4 v[30:33], v[14:15], off
	s_nop 2
	global_load_dwordx4 v[26:29], v[14:15], off offset:16
	v_mad_i64_i32 v[14:15], s[4:5], v93, s9, 0
	v_lshlrev_b64 v[34:35], 1, v[14:15]
	v_mfma_f32_16x16x16_bf16 v[54:57], v[20:21], v[40:41], v[10:13]
	v_pk_mul_f32 v[70:71], s[8:9], v[70:71] op_sel_hi:[0,1]
	s_nop 1
	v_lshl_add_u64 v[10:11], v[48:49], 0, v[34:35]
	global_load_dwordx4 v[22:25], v[10:11], off
	global_load_dwordx4 v[18:21], v[10:11], off offset:16
	v_mfma_f32_16x16x16_bf16 v[10:13], v[58:59], v[6:7], 0
	s_waitcnt vmcnt(7)
	v_mad_i64_i32 v[6:7], s[4:5], v94, s9, 0
	v_lshlrev_b64 v[50:51], 1, v[6:7]
	v_mfma_f32_16x16x16_bf16 v[6:9], v[60:61], v[8:9], v[10:13]
	v_mfma_f32_16x16x16_bf16 v[6:9], v[62:63], v[2:3], v[6:9]
	s_waitcnt vmcnt(4)
	v_mad_i64_i32 v[2:3], s[4:5], v84, s9, 0
	v_pk_mul_f32 v[84:85], s[8:9], v[72:73] op_sel_hi:[0,1]
	v_mfma_f32_16x16x16_bf16 v[58:61], v[64:65], v[4:5], v[6:9]
	v_lshl_add_u64 v[64:65], v[36:37], 0, v[46:47]
	v_pk_mul_f32 v[62:63], s[8:9], v[66:67] op_sel_hi:[0,1]
	v_lshl_add_u64 v[92:93], v[64:65], 0, v[82:83]
	v_mfma_f32_16x16x16_bf16 v[58:61], v[78:79], v[42:43], v[58:61]
	v_pk_mul_f32 v[82:83], s[8:9], v[68:69] op_sel_hi:[0,1]
	v_pk_mul_f32 v[78:79], s[8:9], v[54:55] op_sel_hi:[0,1]
	v_lshlrev_b64 v[52:53], 1, v[2:3]
	v_mfma_f32_16x16x16_bf16 v[42:45], v[80:81], v[44:45], v[58:61]
	v_pk_mul_f32 v[80:81], s[8:9], v[56:57] op_sel_hi:[0,1]
	v_lshl_add_u64 v[10:11], v[48:49], 0, v[50:51]
	v_lshl_add_u64 v[2:3], v[48:49], 0, v[52:53]
	v_mfma_f32_16x16x16_bf16 v[36:39], v[88:89], v[38:39], v[42:45]
	v_lshl_add_u64 v[34:35], v[64:65], 0, v[34:35]
	v_lshl_add_u64 v[50:51], v[64:65], 0, v[50:51]
	global_load_dwordx4 v[14:17], v[10:11], off
	s_nop 0
	global_load_dwordx4 v[10:13], v[10:11], off offset:16
	v_mfma_f32_16x16x16_bf16 v[36:39], v[90:91], v[40:41], v[36:39]
	global_load_dwordx4 v[6:9], v[2:3], off
	s_nop 0
	global_load_dwordx4 v[2:5], v[2:3], off offset:16
	s_nop 3
	v_pk_mul_f32 v[72:73], s[8:9], v[36:37] op_sel_hi:[0,1]
	v_and_b32_e32 v36, 0xc0, v0
	v_add_u32_e32 v36, s18, v36
	v_lshl_or_b32 v36, v1, 2, v36
	v_pk_mul_f32 v[66:67], s[8:9], v[38:39] op_sel_hi:[0,1]
	v_or_b32_e32 v39, 1, v36
	v_mov_b32_e32 v37, 0xff7fffff
	v_cmp_gt_i32_e64 s[28:29], s33, v36
	v_cmp_gt_i32_e64 s[30:31], s33, v39
	v_or_b32_e32 v40, 3, v36
	v_cndmask_b32_e64 v38, v37, v62, s[28:29]
	v_cndmask_b32_e64 v39, v37, v63, s[30:31]
	v_max3_f32 v38, v38, s41, v39
	v_or_b32_e32 v39, 2, v36
	v_cmp_gt_i32_e64 s[34:35], s33, v39
	v_cmp_gt_i32_e64 s[36:37], s33, v40
	s_nop 0
	v_cndmask_b32_e64 v39, v37, v82, s[34:35]
	v_cndmask_b32_e64 v40, v37, v83, s[36:37]
	v_max3_f32 v38, v38, v39, v40
	v_or_b32_e32 v39, 16, v36
	v_or_b32_e32 v40, 17, v36
	v_cmp_gt_i32_e64 s[22:23], s33, v39
	v_cmp_gt_i32_e64 s[24:25], s33, v40
	s_nop 0
	v_cndmask_b32_e64 v39, v37, v70, s[22:23]
	v_cndmask_b32_e64 v40, v37, v71, s[24:25]
	v_max3_f32 v38, v38, v39, v40
	v_or_b32_e32 v39, 18, v36
	;; [unrolled: 8-line block ×6, first 2 shown]
	v_or_b32_e32 v36, 51, v36
	v_cmp_gt_i32_e32 vcc, s33, v39
	v_cmp_gt_i32_e64 s[4:5], s33, v36
	s_nop 0
	v_cndmask_b32_e32 v39, v37, v66, vcc
	v_cndmask_b32_e64 v36, v37, v67, s[4:5]
	v_max3_f32 v54, v38, v39, v36
	v_mbcnt_lo_u32_b32 v36, -1, 0
	v_mbcnt_hi_u32_b32 v55, -1, v36
	v_and_b32_e32 v36, 64, v55
	v_add_u32_e32 v56, 64, v36
	v_xor_b32_e32 v36, 32, v55
	v_cmp_lt_i32_e64 s[38:39], v36, v56
	global_load_dwordx4 v[46:49], v[92:93], off
	global_load_dwordx4 v[38:41], v[92:93], off offset:16
	v_cndmask_b32_e64 v36, v55, v36, s[38:39]
	v_lshlrev_b32_e32 v89, 2, v36
	ds_bpermute_b32 v57, v89, v54
	global_load_dwordx4 v[42:45], v[34:35], off
	s_nop 0
	global_load_dwordx4 v[34:37], v[34:35], off offset:16
	s_waitcnt lgkmcnt(0)
	v_max_f32_e32 v57, v57, v57
	v_max_f32_e32 v68, v54, v57
	v_xor_b32_e32 v54, 16, v55
	v_cmp_lt_i32_e64 s[38:39], v54, v56
	s_nop 1
	v_cndmask_b32_e64 v54, v55, v54, s[38:39]
	v_lshlrev_b32_e32 v90, 2, v54
	ds_bpermute_b32 v69, v90, v68
	global_load_dwordx4 v[58:61], v[50:51], off
	global_load_dwordx4 v[54:57], v[50:51], off offset:16
	v_lshl_add_u64 v[50:51], v[64:65], 0, v[52:53]
	s_waitcnt lgkmcnt(0)
	v_max_f32_e32 v52, v69, v69
	v_max_f32_e32 v88, v68, v52
	v_sub_f32_e32 v52, v62, v88
	v_mul_f32_e32 v52, 0x3fb8aa3b, v52
	v_exp_f32_e32 v68, v52
	v_sub_f32_e32 v52, v63, v88
	v_mul_f32_e32 v52, 0x3fb8aa3b, v52
	v_exp_f32_e32 v69, v52
	global_load_dwordx4 v[62:65], v[50:51], off
	s_nop 0
	global_load_dwordx4 v[50:53], v[50:51], off offset:16
	v_sub_f32_e32 v82, v82, v88
	v_mul_f32_e32 v82, 0x3fb8aa3b, v82
	v_sub_f32_e32 v83, v83, v88
	v_exp_f32_e32 v82, v82
	v_mul_f32_e32 v83, 0x3fb8aa3b, v83
	v_sub_f32_e32 v70, v70, v88
	v_exp_f32_e32 v83, v83
	v_mul_f32_e32 v70, 0x3fb8aa3b, v70
	v_sub_f32_e32 v71, v71, v88
	v_cndmask_b32_e64 v68, 0, v68, s[28:29]
	v_exp_f32_e32 v70, v70
	v_mul_f32_e32 v71, 0x3fb8aa3b, v71
	v_sub_f32_e32 v84, v84, v88
	v_add_f32_e32 v91, 0, v68
	v_cndmask_b32_e64 v69, 0, v69, s[30:31]
	v_exp_f32_e32 v71, v71
	v_mul_f32_e32 v84, 0x3fb8aa3b, v84
	v_sub_f32_e32 v85, v85, v88
	v_add_f32_e32 v91, v91, v69
	v_cndmask_b32_e64 v82, 0, v82, s[34:35]
	v_exp_f32_e32 v84, v84
	v_mul_f32_e32 v85, 0x3fb8aa3b, v85
	v_sub_f32_e32 v78, v78, v88
	v_add_f32_e32 v91, v91, v82
	v_cndmask_b32_e64 v83, 0, v83, s[36:37]
	v_exp_f32_e32 v85, v85
	v_mul_f32_e32 v78, 0x3fb8aa3b, v78
	v_sub_f32_e32 v79, v79, v88
	v_add_f32_e32 v91, v91, v83
	v_cndmask_b32_e64 v70, 0, v70, s[22:23]
	v_exp_f32_e32 v78, v78
	v_mul_f32_e32 v79, 0x3fb8aa3b, v79
	v_sub_f32_e32 v80, v80, v88
	v_add_f32_e32 v91, v91, v70
	v_cndmask_b32_e64 v71, 0, v71, s[24:25]
	v_exp_f32_e32 v79, v79
	v_mul_f32_e32 v80, 0x3fb8aa3b, v80
	v_sub_f32_e32 v81, v81, v88
	v_add_f32_e32 v91, v91, v71
	v_cndmask_b32_e64 v84, 0, v84, s[18:19]
	v_exp_f32_e32 v80, v80
	v_mul_f32_e32 v81, 0x3fb8aa3b, v81
	v_sub_f32_e32 v72, v72, v88
	v_add_f32_e32 v91, v91, v84
	v_cndmask_b32_e64 v85, 0, v85, s[20:21]
	v_exp_f32_e32 v81, v81
	v_mul_f32_e32 v72, 0x3fb8aa3b, v72
	v_sub_f32_e32 v73, v73, v88
	v_add_f32_e32 v91, v91, v85
	v_cndmask_b32_e64 v78, 0, v78, s[14:15]
	v_exp_f32_e32 v72, v72
	v_mul_f32_e32 v73, 0x3fb8aa3b, v73
	v_sub_f32_e32 v66, v66, v88
	v_add_f32_e32 v91, v91, v78
	v_cndmask_b32_e64 v79, 0, v79, s[16:17]
	v_exp_f32_e32 v73, v73
	v_mul_f32_e32 v66, 0x3fb8aa3b, v66
	v_sub_f32_e32 v67, v67, v88
	v_add_f32_e32 v91, v91, v79
	v_cndmask_b32_e64 v80, 0, v80, s[10:11]
	v_exp_f32_e32 v66, v66
	v_mul_f32_e32 v67, 0x3fb8aa3b, v67
	v_add_f32_e32 v91, v91, v80
	v_cndmask_b32_e64 v81, 0, v81, s[12:13]
	v_exp_f32_e32 v67, v67
	v_add_f32_e32 v91, v91, v81
	v_cndmask_b32_e64 v72, 0, v72, s[6:7]
	v_add_f32_e32 v91, v91, v72
	v_cndmask_b32_e64 v73, 0, v73, s[8:9]
	v_add_f32_e32 v91, v91, v73
	v_cndmask_b32_e32 v66, 0, v66, vcc
	v_add_f32_e32 v91, v91, v66
	v_cndmask_b32_e64 v67, 0, v67, s[4:5]
	v_add_f32_e32 v91, v91, v67
	ds_bpermute_b32 v89, v89, v91
	v_cmp_gt_u32_e64 s[4:5], 16, v77
	s_waitcnt lgkmcnt(0)
	s_barrier
	v_add_f32_e32 v89, v91, v89
	ds_bpermute_b32 v90, v90, v89
	s_and_saveexec_b64 s[6:7], s[4:5]
	s_cbranch_execz .LBB712_15
; %bb.14:
	s_waitcnt lgkmcnt(0)
	v_add_f32_e32 v77, v89, v90
	v_lshlrev_b32_e32 v87, 2, v87
	ds_write2st64_b32 v87, v88, v77 offset1:1
.LBB712_15:
	s_or_b64 exec, exec, s[6:7]
	v_lshlrev_b32_e32 v77, 2, v76
	s_load_dword s8, s[0:1], 0x94
	s_waitcnt lgkmcnt(0)
	s_barrier
	ds_read2_b32 v[88:89], v77 offset1:16
	ds_read2_b32 v[90:91], v77 offset0:32 offset1:48
	ds_read2_b32 v[92:93], v77 offset0:64 offset1:80
	;; [unrolled: 1-line block ×3, first 2 shown]
	s_movk_i32 s10, 0x7fff
	s_waitcnt lgkmcnt(3)
	v_max3_f32 v87, v88, s41, v89
	s_waitcnt lgkmcnt(2)
	v_max3_f32 v87, v87, v90, v91
	v_sub_f32_e32 v88, v88, v87
	v_mul_f32_e32 v88, 0x3fb8aa3b, v88
	v_exp_f32_e32 v86, v88
	v_sub_f32_e32 v88, v89, v87
	v_mul_f32_e32 v88, 0x3fb8aa3b, v88
	v_exp_f32_e32 v89, v88
	v_sub_f32_e32 v88, v90, v87
	v_mul_f32_e32 v88, 0x3fb8aa3b, v88
	v_sub_f32_e32 v77, v91, v87
	v_exp_f32_e32 v90, v88
	v_mul_f32_e32 v77, 0x3fb8aa3b, v77
	v_exp_f32_e32 v77, v77
	s_waitcnt lgkmcnt(1)
	v_fma_f32 v88, v86, v92, 0
	v_fmac_f32_e32 v88, v89, v93
	s_waitcnt lgkmcnt(0)
	v_fmac_f32_e32 v88, v90, v94
	v_fmac_f32_e32 v88, v77, v95
	v_add_f32_e32 v91, 0x358637bd, v88
	v_div_scale_f32 v92, s[6:7], v91, v91, 1.0
	v_rcp_f32_e32 v93, v92
	s_mov_b32 s11, 0x7060302
	s_barrier
	v_fma_f32 v94, -v92, v93, 1.0
	v_fmac_f32_e32 v93, v94, v93
	v_div_scale_f32 v94, vcc, 1.0, v91, 1.0
	v_mul_f32_e32 v95, v94, v93
	v_fma_f32 v1, -v92, v95, v94
	v_fmac_f32_e32 v95, v1, v93
	v_fma_f32 v1, -v92, v95, v94
	v_div_fmas_f32 v1, v1, v93, v95
	v_div_fixup_f32 v1, v1, v91, 1.0
	v_lshrrev_b32_e32 v91, 6, v0
	v_cmp_eq_u32_e32 vcc, 1, v91
	s_mul_i32 s9, s27, 5
	s_nop 0
	v_cndmask_b32_e32 v86, v86, v89, vcc
	v_cmp_eq_u32_e32 vcc, 2, v91
	s_nop 1
	v_cndmask_b32_e32 v86, v86, v90, vcc
	v_cmp_eq_u32_e32 vcc, 3, v91
	s_nop 1
	v_cndmask_b32_e32 v77, v86, v77, vcc
	v_mul_f32_e32 v90, v77, v1
	v_pk_mul_f32 v[68:69], v[90:91], v[68:69] op_sel_hi:[0,1]
	v_bfe_u32 v1, v69, 16, 1
	v_bfe_u32 v77, v68, 16, 1
	v_pk_mul_f32 v[82:83], v[90:91], v[82:83] op_sel_hi:[0,1]
	v_add3_u32 v68, v68, v77, s10
	v_add3_u32 v1, v69, v1, s10
	v_perm_b32 v92, v1, v68, s11
	v_bfe_u32 v1, v83, 16, 1
	v_bfe_u32 v68, v82, 16, 1
	v_add3_u32 v68, v82, v68, s10
	v_add3_u32 v1, v83, v1, s10
	v_bfe_u32 v86, v0, 4, 2
	v_perm_b32 v93, v1, v68, s11
	v_lshlrev_b32_e32 v1, 3, v86
	v_lshlrev_b32_e32 v68, 5, v76
	;; [unrolled: 1-line block ×3, first 2 shown]
	v_pk_mul_f32 v[70:71], v[90:91], v[70:71] op_sel_hi:[0,1]
	v_or3_b32 v1, v69, v68, v1
	v_bfe_u32 v69, v71, 16, 1
	v_bfe_u32 v77, v70, 16, 1
	v_pk_mul_f32 v[82:83], v[90:91], v[84:85] op_sel_hi:[0,1]
	v_add3_u32 v70, v70, v77, s10
	v_add3_u32 v69, v71, v69, s10
	v_perm_b32 v70, v69, v70, s11
	v_bfe_u32 v69, v83, 16, 1
	v_bfe_u32 v71, v82, 16, 1
	v_add3_u32 v71, v82, v71, s10
	v_add3_u32 v69, v83, v69, s10
	v_pk_mul_f32 v[78:79], v[90:91], v[78:79] op_sel_hi:[0,1]
	v_perm_b32 v71, v69, v71, s11
	v_bfe_u32 v69, v79, 16, 1
	v_bfe_u32 v77, v78, 16, 1
	ds_write2st64_b64 v1, v[92:93], v[70:71] offset1:1
	v_pk_mul_f32 v[70:71], v[90:91], v[80:81] op_sel_hi:[0,1]
	v_add3_u32 v77, v78, v77, s10
	v_add3_u32 v69, v79, v69, s10
	v_perm_b32 v78, v69, v77, s11
	v_bfe_u32 v69, v71, 16, 1
	v_bfe_u32 v77, v70, 16, 1
	v_add3_u32 v70, v70, v77, s10
	v_add3_u32 v69, v71, v69, s10
	v_perm_b32 v79, v69, v70, s11
	v_pk_mul_f32 v[70:71], v[90:91], v[72:73] op_sel_hi:[0,1]
	v_bfe_u32 v69, v71, 16, 1
	v_bfe_u32 v72, v70, 16, 1
	v_pk_mul_f32 v[66:67], v[90:91], v[66:67] op_sel_hi:[0,1]
	v_add3_u32 v70, v70, v72, s10
	v_add3_u32 v69, v71, v69, s10
	v_perm_b32 v70, v69, v70, s11
	v_bfe_u32 v69, v67, 16, 1
	v_bfe_u32 v71, v66, 16, 1
	v_add3_u32 v66, v66, v71, s10
	v_add3_u32 v67, v67, v69, s10
	v_perm_b32 v71, v67, v66, s11
	v_cmp_gt_u32_e32 vcc, 5, v0
	ds_write2st64_b64 v1, v[78:79], v[70:71] offset0:2 offset1:3
	s_and_saveexec_b64 s[6:7], vcc
	s_cbranch_execz .LBB712_17
; %bb.16:
	s_mov_b32 s41, 0
	v_mov_b32_e32 v77, 0
	v_lshl_add_u64 v[66:67], s[40:41], 0, v[76:77]
	v_mov_b32_e32 v69, s9
	v_mad_u64_u32 v[66:67], s[16:17], s2, v69, v[66:67]
	s_mul_i32 s3, s3, s9
	v_mov_b32_e32 v70, s26
	v_mov_b32_e32 v71, v77
	s_load_dwordx4 s[12:15], s[0:1], 0x58
	v_add_u32_e32 v69, s3, v67
	v_mad_u64_u32 v[66:67], s[16:17], v66, s8, v[70:71]
	v_mov_b32_e32 v70, v67
	v_mad_u64_u32 v[70:71], s[16:17], v69, s8, v[70:71]
	v_mov_b32_e32 v67, v70
	v_lshlrev_b64 v[66:67], 2, v[66:67]
	s_waitcnt lgkmcnt(0)
	v_lshl_add_u64 v[70:71], s[14:15], 0, v[66:67]
	v_lshl_add_u64 v[66:67], s[12:13], 0, v[66:67]
	global_store_dword v[70:71], v87, off
	global_store_dword v[66:67], v88, off
.LBB712_17:
	s_or_b64 exec, exec, s[6:7]
	v_lshl_or_b32 v77, v86, 9, v68
	s_waitcnt lgkmcnt(0)
	s_barrier
	ds_read_b128 v[70:73], v77
	ds_read_b128 v[66:69], v77 offset:16
	s_waitcnt vmcnt(15) lgkmcnt(1)
	v_mfma_f32_16x16x16_bf16 v[78:81], v[30:31], v[70:71], 0
	s_mov_b32 s3, 0
	v_cmp_gt_u32_e32 vcc, 64, v0
	v_mfma_f32_16x16x16_bf16 v[30:33], v[32:33], v[72:73], v[78:81]
	s_waitcnt vmcnt(14) lgkmcnt(0)
	v_mfma_f32_16x16x16_bf16 v[30:33], v[26:27], v[66:67], v[30:33]
	v_mfma_f32_16x16x16_bf16 v[26:29], v[28:29], v[68:69], v[30:33]
	s_nop 5
	ds_read_b128 v[30:33], v77 offset:2048
	ds_read_b128 v[78:81], v77 offset:2064
	s_waitcnt vmcnt(13) lgkmcnt(1)
	v_mfma_f32_16x16x16_bf16 v[26:29], v[22:23], v[30:31], v[26:29]
	v_mfma_f32_16x16x16_bf16 v[22:25], v[24:25], v[32:33], v[26:29]
	s_waitcnt vmcnt(12) lgkmcnt(0)
	v_mfma_f32_16x16x16_bf16 v[22:25], v[18:19], v[78:79], v[22:25]
	v_mfma_f32_16x16x16_bf16 v[18:21], v[20:21], v[80:81], v[22:25]
	s_nop 5
	ds_read_b128 v[22:25], v77 offset:4096
	ds_read_b128 v[26:29], v77 offset:4112
	s_waitcnt vmcnt(11) lgkmcnt(1)
	v_mfma_f32_16x16x16_bf16 v[18:21], v[14:15], v[22:23], v[18:21]
	v_mfma_f32_16x16x16_bf16 v[14:17], v[16:17], v[24:25], v[18:21]
	s_waitcnt vmcnt(10) lgkmcnt(0)
	v_mfma_f32_16x16x16_bf16 v[14:17], v[10:11], v[26:27], v[14:17]
	v_mfma_f32_16x16x16_bf16 v[10:13], v[12:13], v[28:29], v[14:17]
	s_nop 5
	ds_read_b128 v[14:17], v77 offset:6144
	ds_read_b128 v[18:21], v77 offset:6160
	s_waitcnt lgkmcnt(0)
	s_barrier
	s_waitcnt vmcnt(9)
	v_mfma_f32_16x16x16_bf16 v[10:13], v[6:7], v[14:15], v[10:13]
	v_mfma_f32_16x16x16_bf16 v[6:9], v[8:9], v[16:17], v[10:13]
	s_waitcnt vmcnt(8)
	v_mfma_f32_16x16x16_bf16 v[6:9], v[2:3], v[18:19], v[6:9]
	v_mfma_f32_16x16x16_bf16 v[2:5], v[4:5], v[20:21], v[6:9]
	;; [unrolled: 3-line block ×3, first 2 shown]
	s_nop 3
	v_bfe_u32 v10, v3, 16, 1
	v_bfe_u32 v11, v2, 16, 1
	v_add3_u32 v2, v2, v11, s10
	s_waitcnt vmcnt(6)
	v_mfma_f32_16x16x16_bf16 v[6:9], v[38:39], v[66:67], v[6:9]
	v_add3_u32 v3, v3, v10, s10
	v_perm_b32 v10, v3, v2, s11
	v_bfe_u32 v2, v5, 16, 1
	v_mfma_f32_16x16x16_bf16 v[6:9], v[40:41], v[68:69], v[6:9]
	v_bfe_u32 v3, v4, 16, 1
	v_add3_u32 v3, v4, v3, s10
	v_add3_u32 v2, v5, v2, s10
	s_waitcnt vmcnt(5)
	v_mfma_f32_16x16x16_bf16 v[6:9], v[42:43], v[30:31], v[6:9]
	v_perm_b32 v11, v2, v3, s11
	v_mfma_f32_16x16x16_bf16 v[6:9], v[44:45], v[32:33], v[6:9]
	s_waitcnt vmcnt(4)
	v_mfma_f32_16x16x16_bf16 v[6:9], v[34:35], v[78:79], v[6:9]
	v_mfma_f32_16x16x16_bf16 v[6:9], v[36:37], v[80:81], v[6:9]
	s_waitcnt vmcnt(3)
	v_mfma_f32_16x16x16_bf16 v[6:9], v[58:59], v[22:23], v[6:9]
	;; [unrolled: 3-line block ×5, first 2 shown]
	v_mfma_f32_16x16x16_bf16 v[2:5], v[52:53], v[20:21], v[6:9]
	s_nop 6
	v_bfe_u32 v6, v3, 16, 1
	v_bfe_u32 v7, v2, 16, 1
	v_add3_u32 v2, v2, v7, s10
	v_add3_u32 v3, v3, v6, s10
	v_perm_b32 v2, v3, v2, s11
	v_bfe_u32 v3, v5, 16, 1
	v_bfe_u32 v6, v4, 16, 1
	v_add3_u32 v4, v4, v6, s10
	v_add3_u32 v3, v5, v3, s10
	v_perm_b32 v3, v3, v4, s11
	ds_write2st64_b64 v1, v[10:11], v[2:3] offset1:1
	s_waitcnt lgkmcnt(0)
	s_barrier
	s_and_saveexec_b64 s[6:7], vcc
	s_cbranch_execz .LBB712_20
; %bb.18:
	s_load_dwordx2 s[6:7], s[0:1], 0x68
	s_lshl_b32 s0, s8, 7
	s_mul_i32 s1, s9, s2
	v_lshlrev_b32_e32 v3, 6, v76
	s_mul_hi_u32 s9, s1, s0
	s_mul_i32 s8, s1, s0
	v_lshlrev_b32_e32 v2, 4, v0
	v_lshl_or_b32 v0, v0, 10, v3
	s_lshl_b64 s[8:9], s[8:9], 1
	v_lshlrev_b32_e32 v1, 5, v86
	v_and_b32_e32 v2, 16, v2
	v_and_b32_e32 v0, 0x1a00, v0
	s_waitcnt lgkmcnt(0)
	s_add_u32 s1, s6, s8
	v_or3_b32 v2, v0, v1, v2
	s_addc_u32 s6, s7, s9
	s_lshl_b32 s2, s26, 7
	s_lshl_b64 s[2:3], s[2:3], 1
	ds_read_b128 v[4:7], v2
	s_add_u32 s2, s1, s2
	s_addc_u32 s3, s6, s3
	v_add_u32_e32 v3, s40, v86
	v_lshl_add_u64 v[0:1], v[74:75], 1, s[2:3]
	v_mad_u64_u32 v[8:9], s[2:3], v3, s0, 0
	v_lshl_add_u64 v[8:9], v[8:9], 1, v[0:1]
	s_waitcnt lgkmcnt(0)
	global_store_dwordx4 v[8:9], v[4:7], off
	s_and_b64 exec, exec, s[4:5]
	s_cbranch_execz .LBB712_20
; %bb.19:
	ds_read_b128 v[2:5], v2 offset:128
	v_add3_u32 v6, s40, v86, 4
	v_mad_u64_u32 v[6:7], s[0:1], v6, s0, 0
	v_lshl_add_u64 v[0:1], v[6:7], 1, v[0:1]
	s_waitcnt lgkmcnt(0)
	global_store_dwordx4 v[0:1], v[2:5], off
.LBB712_20:
	s_endpgm
	.section	.rodata,"a",@progbits
	.p2align	6, 0x0
	.amdhsa_kernel _Z39paged_attention_ll4mi_QKV_mfma16_kernelI14__hip_bfloat16S0_LN4vllm18Fp8KVCacheDataTypeE0EhLi32ELi128ELi256ELb0ELi5EEvPKT_PKT0_S8_ifPKiSA_SA_iPKfiiiPfSD_PS3_PT2_iSC_SC_
		.amdhsa_group_segment_fixed_size 8192
		.amdhsa_private_segment_fixed_size 0
		.amdhsa_kernarg_size 400
		.amdhsa_user_sgpr_count 2
		.amdhsa_user_sgpr_dispatch_ptr 0
		.amdhsa_user_sgpr_queue_ptr 0
		.amdhsa_user_sgpr_kernarg_segment_ptr 1
		.amdhsa_user_sgpr_dispatch_id 0
		.amdhsa_user_sgpr_kernarg_preload_length 0
		.amdhsa_user_sgpr_kernarg_preload_offset 0
		.amdhsa_user_sgpr_private_segment_size 0
		.amdhsa_uses_dynamic_stack 0
		.amdhsa_enable_private_segment 0
		.amdhsa_system_sgpr_workgroup_id_x 1
		.amdhsa_system_sgpr_workgroup_id_y 1
		.amdhsa_system_sgpr_workgroup_id_z 1
		.amdhsa_system_sgpr_workgroup_info 0
		.amdhsa_system_vgpr_workitem_id 0
		.amdhsa_next_free_vgpr 96
		.amdhsa_next_free_sgpr 42
		.amdhsa_accum_offset 96
		.amdhsa_reserve_vcc 1
		.amdhsa_float_round_mode_32 0
		.amdhsa_float_round_mode_16_64 0
		.amdhsa_float_denorm_mode_32 3
		.amdhsa_float_denorm_mode_16_64 3
		.amdhsa_dx10_clamp 1
		.amdhsa_ieee_mode 1
		.amdhsa_fp16_overflow 0
		.amdhsa_tg_split 0
		.amdhsa_exception_fp_ieee_invalid_op 0
		.amdhsa_exception_fp_denorm_src 0
		.amdhsa_exception_fp_ieee_div_zero 0
		.amdhsa_exception_fp_ieee_overflow 0
		.amdhsa_exception_fp_ieee_underflow 0
		.amdhsa_exception_fp_ieee_inexact 0
		.amdhsa_exception_int_div_zero 0
	.end_amdhsa_kernel
	.section	.text._Z39paged_attention_ll4mi_QKV_mfma16_kernelI14__hip_bfloat16S0_LN4vllm18Fp8KVCacheDataTypeE0EhLi32ELi128ELi256ELb0ELi5EEvPKT_PKT0_S8_ifPKiSA_SA_iPKfiiiPfSD_PS3_PT2_iSC_SC_,"axG",@progbits,_Z39paged_attention_ll4mi_QKV_mfma16_kernelI14__hip_bfloat16S0_LN4vllm18Fp8KVCacheDataTypeE0EhLi32ELi128ELi256ELb0ELi5EEvPKT_PKT0_S8_ifPKiSA_SA_iPKfiiiPfSD_PS3_PT2_iSC_SC_,comdat
.Lfunc_end712:
	.size	_Z39paged_attention_ll4mi_QKV_mfma16_kernelI14__hip_bfloat16S0_LN4vllm18Fp8KVCacheDataTypeE0EhLi32ELi128ELi256ELb0ELi5EEvPKT_PKT0_S8_ifPKiSA_SA_iPKfiiiPfSD_PS3_PT2_iSC_SC_, .Lfunc_end712-_Z39paged_attention_ll4mi_QKV_mfma16_kernelI14__hip_bfloat16S0_LN4vllm18Fp8KVCacheDataTypeE0EhLi32ELi128ELi256ELb0ELi5EEvPKT_PKT0_S8_ifPKiSA_SA_iPKfiiiPfSD_PS3_PT2_iSC_SC_
                                        ; -- End function
	.section	.AMDGPU.csdata,"",@progbits
; Kernel info:
; codeLenInByte = 4852
; NumSgprs: 48
; NumVgprs: 96
; NumAgprs: 0
; TotalNumVgprs: 96
; ScratchSize: 0
; MemoryBound: 0
; FloatMode: 240
; IeeeMode: 1
; LDSByteSize: 8192 bytes/workgroup (compile time only)
; SGPRBlocks: 5
; VGPRBlocks: 11
; NumSGPRsForWavesPerEU: 48
; NumVGPRsForWavesPerEU: 96
; AccumOffset: 96
; Occupancy: 5
; WaveLimiterHint : 1
; COMPUTE_PGM_RSRC2:SCRATCH_EN: 0
; COMPUTE_PGM_RSRC2:USER_SGPR: 2
; COMPUTE_PGM_RSRC2:TRAP_HANDLER: 0
; COMPUTE_PGM_RSRC2:TGID_X_EN: 1
; COMPUTE_PGM_RSRC2:TGID_Y_EN: 1
; COMPUTE_PGM_RSRC2:TGID_Z_EN: 1
; COMPUTE_PGM_RSRC2:TIDIG_COMP_CNT: 0
; COMPUTE_PGM_RSRC3_GFX90A:ACCUM_OFFSET: 23
; COMPUTE_PGM_RSRC3_GFX90A:TG_SPLIT: 0
	.section	.text._Z39paged_attention_ll4mi_QKV_mfma16_kernelI14__hip_bfloat16S0_LN4vllm18Fp8KVCacheDataTypeE0EhLi32ELi128ELi256ELb0ELi6EEvPKT_PKT0_S8_ifPKiSA_SA_iPKfiiiPfSD_PS3_PT2_iSC_SC_,"axG",@progbits,_Z39paged_attention_ll4mi_QKV_mfma16_kernelI14__hip_bfloat16S0_LN4vllm18Fp8KVCacheDataTypeE0EhLi32ELi128ELi256ELb0ELi6EEvPKT_PKT0_S8_ifPKiSA_SA_iPKfiiiPfSD_PS3_PT2_iSC_SC_,comdat
	.protected	_Z39paged_attention_ll4mi_QKV_mfma16_kernelI14__hip_bfloat16S0_LN4vllm18Fp8KVCacheDataTypeE0EhLi32ELi128ELi256ELb0ELi6EEvPKT_PKT0_S8_ifPKiSA_SA_iPKfiiiPfSD_PS3_PT2_iSC_SC_ ; -- Begin function _Z39paged_attention_ll4mi_QKV_mfma16_kernelI14__hip_bfloat16S0_LN4vllm18Fp8KVCacheDataTypeE0EhLi32ELi128ELi256ELb0ELi6EEvPKT_PKT0_S8_ifPKiSA_SA_iPKfiiiPfSD_PS3_PT2_iSC_SC_
	.globl	_Z39paged_attention_ll4mi_QKV_mfma16_kernelI14__hip_bfloat16S0_LN4vllm18Fp8KVCacheDataTypeE0EhLi32ELi128ELi256ELb0ELi6EEvPKT_PKT0_S8_ifPKiSA_SA_iPKfiiiPfSD_PS3_PT2_iSC_SC_
	.p2align	8
	.type	_Z39paged_attention_ll4mi_QKV_mfma16_kernelI14__hip_bfloat16S0_LN4vllm18Fp8KVCacheDataTypeE0EhLi32ELi128ELi256ELb0ELi6EEvPKT_PKT0_S8_ifPKiSA_SA_iPKfiiiPfSD_PS3_PT2_iSC_SC_,@function
_Z39paged_attention_ll4mi_QKV_mfma16_kernelI14__hip_bfloat16S0_LN4vllm18Fp8KVCacheDataTypeE0EhLi32ELi128ELi256ELb0ELi6EEvPKT_PKT0_S8_ifPKiSA_SA_iPKfiiiPfSD_PS3_PT2_iSC_SC_: ; @_Z39paged_attention_ll4mi_QKV_mfma16_kernelI14__hip_bfloat16S0_LN4vllm18Fp8KVCacheDataTypeE0EhLi32ELi128ELi256ELb0ELi6EEvPKT_PKT0_S8_ifPKiSA_SA_iPKfiiiPfSD_PS3_PT2_iSC_SC_
; %bb.0:
	s_load_dwordx2 s[8:9], s[0:1], 0x30
	s_mov_b32 s26, s3
	s_mov_b64 s[6:7], 0
	s_waitcnt lgkmcnt(0)
	s_cmp_lg_u64 s[8:9], 0
	s_cselect_b64 s[10:11], -1, 0
	s_and_b64 vcc, exec, s[10:11]
	s_cbranch_vccz .LBB713_7
; %bb.1:
	s_add_i32 s12, s2, 1
	s_mov_b32 s13, 0
	s_lshl_b64 s[14:15], s[12:13], 2
	s_add_u32 s14, s8, s14
	s_mov_b32 s3, s13
	s_addc_u32 s15, s9, s15
	s_lshl_b64 s[12:13], s[2:3], 2
	s_add_u32 s12, s8, s12
	s_addc_u32 s13, s9, s13
	s_load_dword s5, s[14:15], 0x0
	s_load_dword s16, s[12:13], 0x0
	s_waitcnt lgkmcnt(0)
	s_sub_i32 s5, s5, s16
	s_cmp_eq_u32 s5, 1
	s_cselect_b64 s[12:13], -1, 0
	s_andn2_b64 vcc, exec, s[6:7]
	s_cbranch_vccnz .LBB713_3
.LBB713_2:
	s_mov_b32 s3, 0
	s_mov_b64 s[12:13], -1
.LBB713_3:
	s_andn2_b64 vcc, exec, s[12:13]
	s_cbranch_vccnz .LBB713_20
; %bb.4:
	s_load_dwordx2 s[6:7], s[0:1], 0x28
	s_lshl_b64 s[12:13], s[2:3], 2
	s_waitcnt lgkmcnt(0)
	s_add_u32 s6, s6, s12
	s_addc_u32 s7, s7, s13
	s_load_dword s33, s[6:7], 0x0
	s_lshl_b32 s18, s26, 8
	s_waitcnt lgkmcnt(0)
	s_cmp_ge_i32 s18, s33
	s_cbranch_scc1 .LBB713_20
; %bb.5:
	s_load_dwordx2 s[6:7], s[0:1], 0x20
	s_load_dword s5, s[0:1], 0x38
	s_add_i32 s14, s33, 31
	s_ashr_i32 s15, s14, 31
	v_and_b32_e32 v1, 0xcf, v0
	s_lshr_b32 s15, s15, 27
	v_add_u32_e32 v1, s18, v1
	s_add_i32 s14, s14, s15
	v_ashrrev_i32_e32 v2, 31, v1
	s_ashr_i32 s19, s14, 5
	v_lshrrev_b32_e32 v4, 27, v2
	s_add_i32 s19, s19, -1
	s_waitcnt lgkmcnt(0)
	s_mul_i32 s14, s2, s5
	s_mov_b32 s15, 0
	v_add_u32_e32 v2, v1, v4
	s_lshl_b64 s[14:15], s[14:15], 2
	v_ashrrev_i32_e32 v2, 5, v2
	v_mov_b32_e32 v5, s19
	v_cmp_gt_i32_e32 vcc, s33, v1
	s_add_u32 s6, s6, s14
	s_addc_u32 s7, s7, s15
	v_cndmask_b32_e32 v2, v5, v2, vcc
	v_ashrrev_i32_e32 v3, 31, v2
	v_lshl_add_u64 v[6:7], v[2:3], 2, s[6:7]
	v_or_b32_e32 v2, 16, v1
	v_add_u32_e32 v3, v2, v4
	v_ashrrev_i32_e32 v3, 5, v3
	v_cmp_gt_i32_e32 vcc, s33, v2
	s_nop 1
	v_cndmask_b32_e32 v2, v5, v3, vcc
	v_ashrrev_i32_e32 v3, 31, v2
	v_lshl_add_u64 v[8:9], v[2:3], 2, s[6:7]
	v_or_b32_e32 v2, 32, v1
	v_add_u32_e32 v3, v2, v4
	v_ashrrev_i32_e32 v3, 5, v3
	v_cmp_gt_i32_e32 vcc, s33, v2
	v_or_b32_e32 v1, 48, v1
	s_nop 0
	v_cndmask_b32_e32 v2, v5, v3, vcc
	v_ashrrev_i32_e32 v3, 31, v2
	v_lshl_add_u64 v[10:11], v[2:3], 2, s[6:7]
	v_add_u32_e32 v2, v1, v4
	v_ashrrev_i32_e32 v2, 5, v2
	v_cmp_gt_i32_e32 vcc, s33, v1
	s_nop 1
	v_cndmask_b32_e32 v2, v5, v2, vcc
	v_ashrrev_i32_e32 v3, 31, v2
	v_lshl_add_u64 v[12:13], v[2:3], 2, s[6:7]
	global_load_dword v2, v[6:7], off
	global_load_dword v5, v[8:9], off
	;; [unrolled: 1-line block ×4, first 2 shown]
	s_andn2_b64 vcc, exec, s[10:11]
	s_cbranch_vccnz .LBB713_8
; %bb.6:
	s_add_u32 s8, s8, s12
	s_addc_u32 s9, s9, s13
	s_load_dword s5, s[8:9], 0x0
	s_branch .LBB713_9
.LBB713_7:
	s_mov_b64 s[12:13], 0
	s_branch .LBB713_2
.LBB713_8:
	s_mov_b32 s5, s2
.LBB713_9:
	s_load_dwordx4 s[12:15], s[0:1], 0x8
	s_load_dwordx4 s[8:11], s[0:1], 0x48
	v_lshrrev_b32_e32 v86, 6, v0
	v_bfe_u32 v1, v0, 4, 2
	v_lshl_or_b32 v3, v86, 2, v1
	v_and_b32_e32 v76, 15, v0
	v_lshlrev_b32_e32 v74, 3, v76
	v_cmp_lt_u32_e32 vcc, 5, v3
	s_and_saveexec_b64 s[16:17], vcc
	s_xor_b64 s[16:17], exec, s[16:17]
; %bb.10:
	v_mov_b32_e32 v75, 0
                                        ; implicit-def: $vgpr3
; %bb.11:
	s_or_saveexec_b64 s[16:17], s[16:17]
	v_and_b32_e32 v77, 63, v0
	s_mul_i32 s40, s4, 6
	s_xor_b64 exec, exec, s[16:17]
	s_cbranch_execz .LBB713_13
; %bb.12:
	s_load_dwordx2 s[20:21], s[0:1], 0x0
	s_waitcnt lgkmcnt(0)
	s_ashr_i32 s11, s8, 31
	s_mul_hi_u32 s22, s5, s8
	s_mul_i32 s11, s5, s11
	s_add_i32 s23, s22, s11
	s_mul_i32 s22, s5, s8
	s_lshl_b64 s[22:23], s[22:23], 1
	s_add_u32 s20, s20, s22
	v_add_lshl_u32 v6, v3, s40, 7
	s_addc_u32 s21, s21, s23
	v_ashrrev_i32_e32 v7, 31, v6
	v_mov_b32_e32 v75, 0
	v_lshl_add_u64 v[6:7], v[6:7], 1, s[20:21]
	v_lshlrev_b32_e32 v8, 1, v74
	v_mov_b32_e32 v9, v75
	v_lshl_add_u64 v[6:7], v[6:7], 0, v[8:9]
	global_load_dwordx4 v[6:9], v[6:7], off
	v_and_b32_e32 v10, 3, v0
	v_lshlrev_b32_e32 v11, 9, v76
	v_lshlrev_b32_e32 v3, 5, v3
	;; [unrolled: 1-line block ×3, first 2 shown]
	v_and_b32_e32 v11, 0x1800, v11
	v_or3_b32 v3, v11, v10, v3
	s_waitcnt vmcnt(0)
	ds_write_b128 v3, v[6:9]
.LBB713_13:
	s_or_b64 exec, exec, s[16:17]
	s_waitcnt lgkmcnt(0)
	s_mul_i32 s4, s4, s10
	s_mov_b32 s5, 0
	s_lshl_b64 s[4:5], s[4:5], 1
	s_add_u32 s10, s12, s4
	s_addc_u32 s11, s13, s5
	s_waitcnt vmcnt(3)
	v_mad_i64_i32 v[2:3], s[12:13], v2, s9, 0
	v_lshl_add_u64 v[6:7], v[2:3], 1, s[10:11]
	v_lshlrev_b64 v[2:3], 1, v[74:75]
	v_lshlrev_b32_e32 v46, 9, v1
	v_lshl_add_u64 v[6:7], v[6:7], 0, v[2:3]
	v_mov_b32_e32 v47, 0
	v_lshl_add_u64 v[8:9], v[6:7], 0, v[46:47]
	s_load_dword s27, s[0:1], 0x98
	s_load_dword s8, s[0:1], 0x1c
	s_waitcnt lgkmcnt(0)
	s_barrier
	global_load_dwordx4 v[38:41], v[8:9], off
	s_waitcnt vmcnt(3)
	v_mad_i64_i32 v[10:11], s[12:13], v5, s9, 0
	v_mov_b32_e32 v5, 0x100
	v_lshl_add_u64 v[10:11], v[10:11], 1, s[10:11]
	v_lshl_or_b32 v50, v76, 4, v5
	v_mov_b32_e32 v51, v47
	v_lshl_add_u64 v[22:23], v[10:11], 0, v[50:51]
	v_lshl_add_u64 v[10:11], v[22:23], 0, v[46:47]
	global_load_dwordx4 v[42:45], v[10:11], off
	global_load_dwordx4 v[18:21], v[8:9], off offset:2048
	global_load_dwordx4 v[26:29], v[10:11], off offset:2048
	v_or_b32_e32 v52, 0x1000, v46
	v_mov_b32_e32 v53, v47
	v_or_b32_e32 v48, 0x1800, v46
	v_mov_b32_e32 v49, v47
	v_lshl_add_u64 v[8:9], v[6:7], 0, v[52:53]
	v_lshl_add_u64 v[6:7], v[6:7], 0, v[48:49]
	global_load_dwordx4 v[14:17], v[8:9], off
	global_load_dwordx4 v[10:13], v[6:7], off
	v_lshl_add_u64 v[8:9], v[22:23], 0, v[52:53]
	global_load_dwordx4 v[30:33], v[8:9], off
	s_waitcnt vmcnt(8)
	v_mad_i64_i32 v[4:5], s[12:13], v4, s9, 0
	v_lshl_add_u64 v[4:5], v[4:5], 1, s[10:11]
	v_lshl_add_u64 v[56:57], v[4:5], 0, v[2:3]
	v_mul_lo_u16_e32 v2, 43, v76
	v_mov_b32_e32 v3, 6
	v_mul_lo_u16_sdwa v2, v2, v3 dst_sel:DWORD dst_unused:UNUSED_PAD src0_sel:BYTE_1 src1_sel:DWORD
	v_sub_u16_e32 v2, v76, v2
	v_and_b32_e32 v2, 0xff, v2
	v_lshl_add_u64 v[6:7], v[22:23], 0, v[48:49]
	global_load_dwordx4 v[22:25], v[6:7], off
	v_lshl_add_u64 v[54:55], v[56:57], 0, v[46:47]
	v_lshl_add_u32 v59, v2, 5, v46
	global_load_dwordx4 v[34:37], v[54:55], off
	ds_read_b128 v[6:9], v59
	ds_read_b128 v[2:5], v59 offset:2048
	v_and_or_b32 v72, v0, 48, s18
	v_or_b32_e32 v80, 64, v72
	v_mov_b32_e32 v73, s19
	v_cmp_gt_i32_e32 vcc, s33, v72
	v_or_b32_e32 v81, 0x80, v72
	v_or_b32_e32 v84, 0xc0, v72
	s_mov_b32 s41, 0xff7fffff
	s_waitcnt vmcnt(7) lgkmcnt(1)
	v_mfma_f32_16x16x16_bf16 v[64:67], v[42:43], v[6:7], 0
	v_mfma_f32_16x16x16_bf16 v[60:63], v[38:39], v[6:7], 0
	v_mad_i64_i32 v[38:39], s[12:13], v58, s9, 0
	v_lshl_add_u64 v[68:69], v[38:39], 1, s[10:11]
	v_mfma_f32_16x16x16_bf16 v[60:63], v[40:41], v[8:9], v[60:63]
	v_lshl_add_u64 v[82:83], v[68:69], 0, v[50:51]
	v_lshl_add_u64 v[50:51], v[56:57], 0, v[52:53]
	s_ashr_i32 s12, s18, 31
	v_mfma_f32_16x16x16_bf16 v[64:67], v[44:45], v[8:9], v[64:67]
	ds_read_b128 v[42:45], v59 offset:4096
	ds_read_b128 v[38:41], v59 offset:6144
	v_lshl_add_u64 v[78:79], v[82:83], 0, v[52:53]
	global_load_dwordx4 v[50:53], v[50:51], off
	s_waitcnt vmcnt(7) lgkmcnt(2)
	v_mfma_f32_16x16x16_bf16 v[58:61], v[18:19], v[2:3], v[60:63]
	s_lshr_b32 s10, s12, 27
	v_add_u32_e32 v68, s10, v72
	v_add_u32_e32 v69, s10, v80
	s_waitcnt vmcnt(6)
	v_mfma_f32_16x16x16_bf16 v[62:65], v[26:27], v[2:3], v[64:67]
	v_lshl_add_u64 v[70:71], v[82:83], 0, v[46:47]
	v_ashrrev_i32_e32 v46, 5, v68
	v_add_u32_e32 v85, s10, v81
	v_lshl_add_u64 v[66:67], v[56:57], 0, v[48:49]
	global_load_dwordx4 v[54:57], v[54:55], off offset:2048
	v_mfma_f32_16x16x16_bf16 v[18:21], v[20:21], v[4:5], v[58:61]
	v_add_u32_e32 v87, s10, v84
	s_add_u32 s4, s14, s4
	s_addc_u32 s5, s15, s5
	v_mfma_f32_16x16x16_bf16 v[26:29], v[28:29], v[4:5], v[62:65]
	v_ashrrev_i32_e32 v58, 5, v69
	s_waitcnt vmcnt(6) lgkmcnt(1)
	v_mfma_f32_16x16x16_bf16 v[18:21], v[14:15], v[42:43], v[18:21]
	v_cndmask_b32_e32 v14, v73, v46, vcc
	v_cmp_gt_i32_e32 vcc, s33, v80
	v_ashrrev_i32_e32 v15, 31, v14
	s_waitcnt vmcnt(4)
	v_mfma_f32_16x16x16_bf16 v[26:29], v[30:31], v[42:43], v[26:29]
	v_cndmask_b32_e32 v30, v73, v58, vcc
	v_ashrrev_i32_e32 v31, 31, v30
	v_lshl_add_u64 v[14:15], v[14:15], 2, s[6:7]
	v_lshl_add_u64 v[30:31], v[30:31], 2, s[6:7]
	global_load_dword v92, v[14:15], off
	global_load_dword v93, v[30:31], off
	v_mfma_f32_16x16x16_bf16 v[14:17], v[16:17], v[44:45], v[18:21]
	global_load_dwordx4 v[58:61], v[70:71], off
	v_ashrrev_i32_e32 v62, 5, v85
	v_cmp_gt_i32_e32 vcc, s33, v81
	global_load_dwordx4 v[18:21], v[66:67], off
	s_waitcnt lgkmcnt(0)
	v_mfma_f32_16x16x16_bf16 v[14:17], v[10:11], v[38:39], v[14:17]
	v_cndmask_b32_e32 v10, v73, v62, vcc
	global_load_dwordx4 v[62:65], v[70:71], off offset:2048
	v_ashrrev_i32_e32 v11, 31, v10
	v_lshl_add_u64 v[10:11], v[10:11], 2, s[6:7]
	global_load_dword v94, v[10:11], off
	v_mfma_f32_16x16x16_bf16 v[66:69], v[12:13], v[40:41], v[14:17]
	global_load_dwordx4 v[78:81], v[78:79], off
	v_ashrrev_i32_e32 v85, 5, v87
	v_cmp_gt_i32_e32 vcc, s33, v84
	v_lshl_add_u64 v[14:15], v[82:83], 0, v[48:49]
	global_load_dwordx4 v[88:91], v[14:15], off
	v_cndmask_b32_e32 v10, v73, v85, vcc
	v_ashrrev_i32_e32 v11, 31, v10
	v_lshl_add_u64 v[10:11], v[10:11], 2, s[6:7]
	global_load_dword v84, v[10:11], off
	s_waitcnt vmcnt(11)
	v_mfma_f32_16x16x16_bf16 v[10:13], v[34:35], v[6:7], 0
	v_and_b32_e32 v14, 16, v0
	v_lshlrev_b32_e32 v46, 1, v14
	v_lshl_or_b32 v87, v86, 4, v76
	v_mfma_f32_16x16x16_bf16 v[10:13], v[36:37], v[8:9], v[10:13]
	v_lshl_add_u64 v[36:37], s[4:5], 0, v[46:47]
	v_lshlrev_b32_e32 v46, 6, v87
	v_lshl_add_u64 v[48:49], v[36:37], 0, v[46:47]
	v_mfma_f32_16x16x16_bf16 v[26:29], v[32:33], v[44:45], v[26:29]
	v_or_b32_e32 v46, 0x1000, v46
	s_waitcnt vmcnt(8)
	v_mad_i64_i32 v[14:15], s[4:5], v92, s9, 0
	v_mfma_f32_16x16x16_bf16 v[10:13], v[54:55], v[2:3], v[10:13]
	v_lshlrev_b64 v[82:83], 1, v[14:15]
	v_lshl_add_u64 v[14:15], v[48:49], 0, v[82:83]
	v_mfma_f32_16x16x16_bf16 v[10:13], v[56:57], v[4:5], v[10:13]
	v_mfma_f32_16x16x16_bf16 v[10:13], v[50:51], v[42:43], v[10:13]
	;; [unrolled: 1-line block ×4, first 2 shown]
	s_waitcnt vmcnt(5)
	v_mfma_f32_16x16x16_bf16 v[10:13], v[18:19], v[38:39], v[10:13]
	v_mfma_f32_16x16x16_bf16 v[70:73], v[24:25], v[40:41], v[26:29]
	global_load_dwordx4 v[30:33], v[14:15], off
	s_nop 2
	global_load_dwordx4 v[26:29], v[14:15], off offset:16
	v_mad_i64_i32 v[14:15], s[4:5], v93, s9, 0
	v_lshlrev_b64 v[34:35], 1, v[14:15]
	v_mfma_f32_16x16x16_bf16 v[54:57], v[20:21], v[40:41], v[10:13]
	v_pk_mul_f32 v[70:71], s[8:9], v[70:71] op_sel_hi:[0,1]
	s_nop 1
	v_lshl_add_u64 v[10:11], v[48:49], 0, v[34:35]
	global_load_dwordx4 v[22:25], v[10:11], off
	global_load_dwordx4 v[18:21], v[10:11], off offset:16
	v_mfma_f32_16x16x16_bf16 v[10:13], v[58:59], v[6:7], 0
	s_waitcnt vmcnt(7)
	v_mad_i64_i32 v[6:7], s[4:5], v94, s9, 0
	v_lshlrev_b64 v[50:51], 1, v[6:7]
	v_mfma_f32_16x16x16_bf16 v[6:9], v[60:61], v[8:9], v[10:13]
	v_mfma_f32_16x16x16_bf16 v[6:9], v[62:63], v[2:3], v[6:9]
	s_waitcnt vmcnt(4)
	v_mad_i64_i32 v[2:3], s[4:5], v84, s9, 0
	v_pk_mul_f32 v[84:85], s[8:9], v[72:73] op_sel_hi:[0,1]
	v_mfma_f32_16x16x16_bf16 v[58:61], v[64:65], v[4:5], v[6:9]
	v_lshl_add_u64 v[64:65], v[36:37], 0, v[46:47]
	v_pk_mul_f32 v[62:63], s[8:9], v[66:67] op_sel_hi:[0,1]
	v_lshl_add_u64 v[92:93], v[64:65], 0, v[82:83]
	v_mfma_f32_16x16x16_bf16 v[58:61], v[78:79], v[42:43], v[58:61]
	v_pk_mul_f32 v[82:83], s[8:9], v[68:69] op_sel_hi:[0,1]
	v_pk_mul_f32 v[78:79], s[8:9], v[54:55] op_sel_hi:[0,1]
	v_lshlrev_b64 v[52:53], 1, v[2:3]
	v_mfma_f32_16x16x16_bf16 v[42:45], v[80:81], v[44:45], v[58:61]
	v_pk_mul_f32 v[80:81], s[8:9], v[56:57] op_sel_hi:[0,1]
	v_lshl_add_u64 v[10:11], v[48:49], 0, v[50:51]
	v_lshl_add_u64 v[2:3], v[48:49], 0, v[52:53]
	v_mfma_f32_16x16x16_bf16 v[36:39], v[88:89], v[38:39], v[42:45]
	v_lshl_add_u64 v[34:35], v[64:65], 0, v[34:35]
	v_lshl_add_u64 v[50:51], v[64:65], 0, v[50:51]
	global_load_dwordx4 v[14:17], v[10:11], off
	s_nop 0
	global_load_dwordx4 v[10:13], v[10:11], off offset:16
	v_mfma_f32_16x16x16_bf16 v[36:39], v[90:91], v[40:41], v[36:39]
	global_load_dwordx4 v[6:9], v[2:3], off
	s_nop 0
	global_load_dwordx4 v[2:5], v[2:3], off offset:16
	s_nop 3
	v_pk_mul_f32 v[72:73], s[8:9], v[36:37] op_sel_hi:[0,1]
	v_and_b32_e32 v36, 0xc0, v0
	v_add_u32_e32 v36, s18, v36
	v_lshl_or_b32 v36, v1, 2, v36
	v_pk_mul_f32 v[66:67], s[8:9], v[38:39] op_sel_hi:[0,1]
	v_or_b32_e32 v39, 1, v36
	v_mov_b32_e32 v37, 0xff7fffff
	v_cmp_gt_i32_e64 s[28:29], s33, v36
	v_cmp_gt_i32_e64 s[30:31], s33, v39
	v_or_b32_e32 v40, 3, v36
	v_cndmask_b32_e64 v38, v37, v62, s[28:29]
	v_cndmask_b32_e64 v39, v37, v63, s[30:31]
	v_max3_f32 v38, v38, s41, v39
	v_or_b32_e32 v39, 2, v36
	v_cmp_gt_i32_e64 s[34:35], s33, v39
	v_cmp_gt_i32_e64 s[36:37], s33, v40
	s_nop 0
	v_cndmask_b32_e64 v39, v37, v82, s[34:35]
	v_cndmask_b32_e64 v40, v37, v83, s[36:37]
	v_max3_f32 v38, v38, v39, v40
	v_or_b32_e32 v39, 16, v36
	v_or_b32_e32 v40, 17, v36
	v_cmp_gt_i32_e64 s[22:23], s33, v39
	v_cmp_gt_i32_e64 s[24:25], s33, v40
	s_nop 0
	v_cndmask_b32_e64 v39, v37, v70, s[22:23]
	v_cndmask_b32_e64 v40, v37, v71, s[24:25]
	v_max3_f32 v38, v38, v39, v40
	v_or_b32_e32 v39, 18, v36
	;; [unrolled: 8-line block ×6, first 2 shown]
	v_or_b32_e32 v36, 51, v36
	v_cmp_gt_i32_e32 vcc, s33, v39
	v_cmp_gt_i32_e64 s[4:5], s33, v36
	s_nop 0
	v_cndmask_b32_e32 v39, v37, v66, vcc
	v_cndmask_b32_e64 v36, v37, v67, s[4:5]
	v_max3_f32 v54, v38, v39, v36
	v_mbcnt_lo_u32_b32 v36, -1, 0
	v_mbcnt_hi_u32_b32 v55, -1, v36
	v_and_b32_e32 v36, 64, v55
	v_add_u32_e32 v56, 64, v36
	v_xor_b32_e32 v36, 32, v55
	v_cmp_lt_i32_e64 s[38:39], v36, v56
	global_load_dwordx4 v[46:49], v[92:93], off
	global_load_dwordx4 v[38:41], v[92:93], off offset:16
	v_cndmask_b32_e64 v36, v55, v36, s[38:39]
	v_lshlrev_b32_e32 v89, 2, v36
	ds_bpermute_b32 v57, v89, v54
	global_load_dwordx4 v[42:45], v[34:35], off
	s_nop 0
	global_load_dwordx4 v[34:37], v[34:35], off offset:16
	s_waitcnt lgkmcnt(0)
	v_max_f32_e32 v57, v57, v57
	v_max_f32_e32 v68, v54, v57
	v_xor_b32_e32 v54, 16, v55
	v_cmp_lt_i32_e64 s[38:39], v54, v56
	s_nop 1
	v_cndmask_b32_e64 v54, v55, v54, s[38:39]
	v_lshlrev_b32_e32 v90, 2, v54
	ds_bpermute_b32 v69, v90, v68
	global_load_dwordx4 v[58:61], v[50:51], off
	global_load_dwordx4 v[54:57], v[50:51], off offset:16
	v_lshl_add_u64 v[50:51], v[64:65], 0, v[52:53]
	s_waitcnt lgkmcnt(0)
	v_max_f32_e32 v52, v69, v69
	v_max_f32_e32 v88, v68, v52
	v_sub_f32_e32 v52, v62, v88
	v_mul_f32_e32 v52, 0x3fb8aa3b, v52
	v_exp_f32_e32 v68, v52
	v_sub_f32_e32 v52, v63, v88
	v_mul_f32_e32 v52, 0x3fb8aa3b, v52
	v_exp_f32_e32 v69, v52
	global_load_dwordx4 v[62:65], v[50:51], off
	s_nop 0
	global_load_dwordx4 v[50:53], v[50:51], off offset:16
	v_sub_f32_e32 v82, v82, v88
	v_mul_f32_e32 v82, 0x3fb8aa3b, v82
	v_sub_f32_e32 v83, v83, v88
	v_exp_f32_e32 v82, v82
	v_mul_f32_e32 v83, 0x3fb8aa3b, v83
	v_sub_f32_e32 v70, v70, v88
	v_exp_f32_e32 v83, v83
	v_mul_f32_e32 v70, 0x3fb8aa3b, v70
	v_sub_f32_e32 v71, v71, v88
	v_cndmask_b32_e64 v68, 0, v68, s[28:29]
	v_exp_f32_e32 v70, v70
	v_mul_f32_e32 v71, 0x3fb8aa3b, v71
	v_sub_f32_e32 v84, v84, v88
	v_add_f32_e32 v91, 0, v68
	v_cndmask_b32_e64 v69, 0, v69, s[30:31]
	v_exp_f32_e32 v71, v71
	v_mul_f32_e32 v84, 0x3fb8aa3b, v84
	v_sub_f32_e32 v85, v85, v88
	v_add_f32_e32 v91, v91, v69
	;; [unrolled: 5-line block ×10, first 2 shown]
	v_cndmask_b32_e64 v80, 0, v80, s[10:11]
	v_exp_f32_e32 v66, v66
	v_mul_f32_e32 v67, 0x3fb8aa3b, v67
	v_add_f32_e32 v91, v91, v80
	v_cndmask_b32_e64 v81, 0, v81, s[12:13]
	v_exp_f32_e32 v67, v67
	v_add_f32_e32 v91, v91, v81
	v_cndmask_b32_e64 v72, 0, v72, s[6:7]
	v_add_f32_e32 v91, v91, v72
	v_cndmask_b32_e64 v73, 0, v73, s[8:9]
	v_add_f32_e32 v91, v91, v73
	v_cndmask_b32_e32 v66, 0, v66, vcc
	v_add_f32_e32 v91, v91, v66
	v_cndmask_b32_e64 v67, 0, v67, s[4:5]
	v_add_f32_e32 v91, v91, v67
	ds_bpermute_b32 v89, v89, v91
	v_cmp_gt_u32_e32 vcc, 16, v77
	s_waitcnt lgkmcnt(0)
	s_barrier
	v_add_f32_e32 v89, v91, v89
	ds_bpermute_b32 v90, v90, v89
	s_and_saveexec_b64 s[4:5], vcc
	s_cbranch_execz .LBB713_15
; %bb.14:
	s_waitcnt lgkmcnt(0)
	v_add_f32_e32 v77, v89, v90
	v_lshlrev_b32_e32 v87, 2, v87
	ds_write2st64_b32 v87, v88, v77 offset1:1
.LBB713_15:
	s_or_b64 exec, exec, s[4:5]
	v_lshlrev_b32_e32 v77, 2, v76
	s_load_dword s6, s[0:1], 0x94
	s_waitcnt lgkmcnt(0)
	s_barrier
	ds_read2_b32 v[88:89], v77 offset1:16
	ds_read2_b32 v[90:91], v77 offset0:32 offset1:48
	ds_read2_b32 v[92:93], v77 offset0:64 offset1:80
	;; [unrolled: 1-line block ×3, first 2 shown]
	s_movk_i32 s8, 0x7fff
	s_waitcnt lgkmcnt(3)
	v_max3_f32 v87, v88, s41, v89
	s_waitcnt lgkmcnt(2)
	v_max3_f32 v87, v87, v90, v91
	v_sub_f32_e32 v88, v88, v87
	v_mul_f32_e32 v88, 0x3fb8aa3b, v88
	v_exp_f32_e32 v86, v88
	v_sub_f32_e32 v88, v89, v87
	v_mul_f32_e32 v88, 0x3fb8aa3b, v88
	v_exp_f32_e32 v89, v88
	v_sub_f32_e32 v88, v90, v87
	v_mul_f32_e32 v88, 0x3fb8aa3b, v88
	v_sub_f32_e32 v77, v91, v87
	v_exp_f32_e32 v90, v88
	v_mul_f32_e32 v77, 0x3fb8aa3b, v77
	v_exp_f32_e32 v77, v77
	s_waitcnt lgkmcnt(1)
	v_fma_f32 v88, v86, v92, 0
	v_fmac_f32_e32 v88, v89, v93
	s_waitcnt lgkmcnt(0)
	v_fmac_f32_e32 v88, v90, v94
	v_fmac_f32_e32 v88, v77, v95
	v_add_f32_e32 v91, 0x358637bd, v88
	v_div_scale_f32 v92, s[4:5], v91, v91, 1.0
	v_rcp_f32_e32 v93, v92
	s_mov_b32 s9, 0x7060302
	s_barrier
	v_fma_f32 v94, -v92, v93, 1.0
	v_fmac_f32_e32 v93, v94, v93
	v_div_scale_f32 v94, vcc, 1.0, v91, 1.0
	v_mul_f32_e32 v95, v94, v93
	v_fma_f32 v1, -v92, v95, v94
	v_fmac_f32_e32 v95, v1, v93
	v_fma_f32 v1, -v92, v95, v94
	v_div_fmas_f32 v1, v1, v93, v95
	v_div_fixup_f32 v1, v1, v91, 1.0
	v_lshrrev_b32_e32 v91, 6, v0
	v_cmp_eq_u32_e32 vcc, 1, v91
	s_mul_i32 s7, s27, 6
	s_nop 0
	v_cndmask_b32_e32 v86, v86, v89, vcc
	v_cmp_eq_u32_e32 vcc, 2, v91
	s_nop 1
	v_cndmask_b32_e32 v86, v86, v90, vcc
	v_cmp_eq_u32_e32 vcc, 3, v91
	s_nop 1
	v_cndmask_b32_e32 v77, v86, v77, vcc
	v_mul_f32_e32 v90, v77, v1
	v_pk_mul_f32 v[68:69], v[90:91], v[68:69] op_sel_hi:[0,1]
	v_bfe_u32 v1, v69, 16, 1
	v_bfe_u32 v77, v68, 16, 1
	v_pk_mul_f32 v[82:83], v[90:91], v[82:83] op_sel_hi:[0,1]
	v_add3_u32 v68, v68, v77, s8
	v_add3_u32 v1, v69, v1, s8
	v_perm_b32 v92, v1, v68, s9
	v_bfe_u32 v1, v83, 16, 1
	v_bfe_u32 v68, v82, 16, 1
	v_add3_u32 v68, v82, v68, s8
	v_add3_u32 v1, v83, v1, s8
	v_bfe_u32 v86, v0, 4, 2
	v_perm_b32 v93, v1, v68, s9
	v_lshlrev_b32_e32 v1, 3, v86
	v_lshlrev_b32_e32 v68, 5, v76
	v_lshlrev_b32_e32 v69, 11, v91
	v_pk_mul_f32 v[70:71], v[90:91], v[70:71] op_sel_hi:[0,1]
	v_or3_b32 v1, v69, v68, v1
	v_bfe_u32 v69, v71, 16, 1
	v_bfe_u32 v77, v70, 16, 1
	v_pk_mul_f32 v[82:83], v[90:91], v[84:85] op_sel_hi:[0,1]
	v_add3_u32 v70, v70, v77, s8
	v_add3_u32 v69, v71, v69, s8
	v_perm_b32 v70, v69, v70, s9
	v_bfe_u32 v69, v83, 16, 1
	v_bfe_u32 v71, v82, 16, 1
	v_add3_u32 v71, v82, v71, s8
	v_add3_u32 v69, v83, v69, s8
	v_pk_mul_f32 v[78:79], v[90:91], v[78:79] op_sel_hi:[0,1]
	v_perm_b32 v71, v69, v71, s9
	v_bfe_u32 v69, v79, 16, 1
	v_bfe_u32 v77, v78, 16, 1
	ds_write2st64_b64 v1, v[92:93], v[70:71] offset1:1
	v_pk_mul_f32 v[70:71], v[90:91], v[80:81] op_sel_hi:[0,1]
	v_add3_u32 v77, v78, v77, s8
	v_add3_u32 v69, v79, v69, s8
	v_perm_b32 v78, v69, v77, s9
	v_bfe_u32 v69, v71, 16, 1
	v_bfe_u32 v77, v70, 16, 1
	v_add3_u32 v70, v70, v77, s8
	v_add3_u32 v69, v71, v69, s8
	v_perm_b32 v79, v69, v70, s9
	v_pk_mul_f32 v[70:71], v[90:91], v[72:73] op_sel_hi:[0,1]
	v_bfe_u32 v69, v71, 16, 1
	v_bfe_u32 v72, v70, 16, 1
	v_pk_mul_f32 v[66:67], v[90:91], v[66:67] op_sel_hi:[0,1]
	v_add3_u32 v70, v70, v72, s8
	v_add3_u32 v69, v71, v69, s8
	v_perm_b32 v70, v69, v70, s9
	v_bfe_u32 v69, v67, 16, 1
	v_bfe_u32 v71, v66, 16, 1
	v_add3_u32 v66, v66, v71, s8
	v_add3_u32 v67, v67, v69, s8
	v_perm_b32 v71, v67, v66, s9
	v_cmp_gt_u32_e32 vcc, 6, v0
	ds_write2st64_b64 v1, v[78:79], v[70:71] offset0:2 offset1:3
	s_and_saveexec_b64 s[4:5], vcc
	s_cbranch_execz .LBB713_17
; %bb.16:
	s_mov_b32 s41, 0
	v_mov_b32_e32 v77, 0
	v_lshl_add_u64 v[66:67], s[40:41], 0, v[76:77]
	v_mov_b32_e32 v69, s7
	v_mad_u64_u32 v[66:67], s[10:11], s2, v69, v[66:67]
	s_mul_i32 s3, s3, s7
	v_mov_b32_e32 v70, s26
	v_mov_b32_e32 v71, v77
	s_load_dwordx4 s[12:15], s[0:1], 0x58
	v_add_u32_e32 v69, s3, v67
	v_mad_u64_u32 v[66:67], s[10:11], v66, s6, v[70:71]
	v_mov_b32_e32 v70, v67
	v_mad_u64_u32 v[70:71], s[10:11], v69, s6, v[70:71]
	v_mov_b32_e32 v67, v70
	v_lshlrev_b64 v[66:67], 2, v[66:67]
	s_waitcnt lgkmcnt(0)
	v_lshl_add_u64 v[70:71], s[14:15], 0, v[66:67]
	v_lshl_add_u64 v[66:67], s[12:13], 0, v[66:67]
	global_store_dword v[70:71], v87, off
	global_store_dword v[66:67], v88, off
.LBB713_17:
	s_or_b64 exec, exec, s[4:5]
	v_lshl_or_b32 v77, v86, 9, v68
	s_waitcnt lgkmcnt(0)
	s_barrier
	ds_read_b128 v[70:73], v77
	ds_read_b128 v[66:69], v77 offset:16
	s_waitcnt vmcnt(15) lgkmcnt(1)
	v_mfma_f32_16x16x16_bf16 v[78:81], v[30:31], v[70:71], 0
	s_mov_b32 s3, 0
	v_cmp_gt_u32_e32 vcc, 64, v0
	v_mfma_f32_16x16x16_bf16 v[30:33], v[32:33], v[72:73], v[78:81]
	s_waitcnt vmcnt(14) lgkmcnt(0)
	v_mfma_f32_16x16x16_bf16 v[30:33], v[26:27], v[66:67], v[30:33]
	v_mfma_f32_16x16x16_bf16 v[26:29], v[28:29], v[68:69], v[30:33]
	s_nop 5
	ds_read_b128 v[30:33], v77 offset:2048
	ds_read_b128 v[78:81], v77 offset:2064
	s_waitcnt vmcnt(13) lgkmcnt(1)
	v_mfma_f32_16x16x16_bf16 v[26:29], v[22:23], v[30:31], v[26:29]
	v_mfma_f32_16x16x16_bf16 v[22:25], v[24:25], v[32:33], v[26:29]
	s_waitcnt vmcnt(12) lgkmcnt(0)
	v_mfma_f32_16x16x16_bf16 v[22:25], v[18:19], v[78:79], v[22:25]
	v_mfma_f32_16x16x16_bf16 v[18:21], v[20:21], v[80:81], v[22:25]
	s_nop 5
	ds_read_b128 v[22:25], v77 offset:4096
	ds_read_b128 v[26:29], v77 offset:4112
	s_waitcnt vmcnt(11) lgkmcnt(1)
	v_mfma_f32_16x16x16_bf16 v[18:21], v[14:15], v[22:23], v[18:21]
	v_mfma_f32_16x16x16_bf16 v[14:17], v[16:17], v[24:25], v[18:21]
	s_waitcnt vmcnt(10) lgkmcnt(0)
	v_mfma_f32_16x16x16_bf16 v[14:17], v[10:11], v[26:27], v[14:17]
	v_mfma_f32_16x16x16_bf16 v[10:13], v[12:13], v[28:29], v[14:17]
	s_nop 5
	ds_read_b128 v[14:17], v77 offset:6144
	ds_read_b128 v[18:21], v77 offset:6160
	s_waitcnt lgkmcnt(0)
	s_barrier
	s_waitcnt vmcnt(9)
	v_mfma_f32_16x16x16_bf16 v[10:13], v[6:7], v[14:15], v[10:13]
	v_mfma_f32_16x16x16_bf16 v[6:9], v[8:9], v[16:17], v[10:13]
	s_waitcnt vmcnt(8)
	v_mfma_f32_16x16x16_bf16 v[6:9], v[2:3], v[18:19], v[6:9]
	v_mfma_f32_16x16x16_bf16 v[2:5], v[4:5], v[20:21], v[6:9]
	;; [unrolled: 3-line block ×3, first 2 shown]
	s_nop 3
	v_bfe_u32 v10, v3, 16, 1
	v_bfe_u32 v11, v2, 16, 1
	v_add3_u32 v2, v2, v11, s8
	s_waitcnt vmcnt(6)
	v_mfma_f32_16x16x16_bf16 v[6:9], v[38:39], v[66:67], v[6:9]
	v_add3_u32 v3, v3, v10, s8
	v_perm_b32 v10, v3, v2, s9
	v_bfe_u32 v2, v5, 16, 1
	v_mfma_f32_16x16x16_bf16 v[6:9], v[40:41], v[68:69], v[6:9]
	v_bfe_u32 v3, v4, 16, 1
	v_add3_u32 v3, v4, v3, s8
	v_add3_u32 v2, v5, v2, s8
	s_waitcnt vmcnt(5)
	v_mfma_f32_16x16x16_bf16 v[6:9], v[42:43], v[30:31], v[6:9]
	v_perm_b32 v11, v2, v3, s9
	v_mfma_f32_16x16x16_bf16 v[6:9], v[44:45], v[32:33], v[6:9]
	s_waitcnt vmcnt(4)
	v_mfma_f32_16x16x16_bf16 v[6:9], v[34:35], v[78:79], v[6:9]
	v_mfma_f32_16x16x16_bf16 v[6:9], v[36:37], v[80:81], v[6:9]
	s_waitcnt vmcnt(3)
	v_mfma_f32_16x16x16_bf16 v[6:9], v[58:59], v[22:23], v[6:9]
	;; [unrolled: 3-line block ×5, first 2 shown]
	v_mfma_f32_16x16x16_bf16 v[2:5], v[52:53], v[20:21], v[6:9]
	s_nop 6
	v_bfe_u32 v6, v3, 16, 1
	v_bfe_u32 v7, v2, 16, 1
	v_add3_u32 v2, v2, v7, s8
	v_add3_u32 v3, v3, v6, s8
	v_perm_b32 v2, v3, v2, s9
	v_bfe_u32 v3, v5, 16, 1
	v_bfe_u32 v6, v4, 16, 1
	v_add3_u32 v4, v4, v6, s8
	v_add3_u32 v3, v5, v3, s8
	v_perm_b32 v3, v3, v4, s9
	ds_write2st64_b64 v1, v[10:11], v[2:3] offset1:1
	s_waitcnt lgkmcnt(0)
	s_barrier
	s_and_saveexec_b64 s[4:5], vcc
	s_cbranch_execz .LBB713_20
; %bb.18:
	s_load_dwordx2 s[4:5], s[0:1], 0x68
	s_lshl_b32 s0, s6, 7
	s_mul_i32 s1, s7, s2
	v_lshlrev_b32_e32 v4, 6, v76
	s_mul_hi_u32 s7, s1, s0
	s_mul_i32 s6, s1, s0
	v_lshlrev_b32_e32 v3, 4, v0
	v_lshl_or_b32 v0, v0, 10, v4
	s_lshl_b64 s[6:7], s[6:7], 1
	v_lshlrev_b32_e32 v1, 5, v86
	v_and_b32_e32 v3, 16, v3
	v_and_b32_e32 v0, 0x1a00, v0
	s_waitcnt lgkmcnt(0)
	s_add_u32 s1, s4, s6
	v_or3_b32 v3, v0, v1, v3
	s_addc_u32 s4, s5, s7
	s_lshl_b32 s2, s26, 7
	s_lshl_b64 s[2:3], s[2:3], 1
	ds_read_b128 v[4:7], v3
	s_add_u32 s2, s1, s2
	s_addc_u32 s3, s4, s3
	v_add_u32_e32 v8, s40, v86
	v_or_b32_e32 v2, 4, v86
	v_lshl_add_u64 v[0:1], v[74:75], 1, s[2:3]
	v_mad_u64_u32 v[8:9], s[2:3], v8, s0, 0
	v_lshl_add_u64 v[8:9], v[8:9], 1, v[0:1]
	v_cmp_gt_u32_e32 vcc, 6, v2
	s_waitcnt lgkmcnt(0)
	global_store_dwordx4 v[8:9], v[4:7], off
	s_and_b64 exec, exec, vcc
	s_cbranch_execz .LBB713_20
; %bb.19:
	ds_read_b128 v[4:7], v3 offset:128
	v_add_u32_e32 v2, s40, v2
	v_mad_u64_u32 v[2:3], s[0:1], v2, s0, 0
	v_lshl_add_u64 v[0:1], v[2:3], 1, v[0:1]
	s_waitcnt lgkmcnt(0)
	global_store_dwordx4 v[0:1], v[4:7], off
.LBB713_20:
	s_endpgm
	.section	.rodata,"a",@progbits
	.p2align	6, 0x0
	.amdhsa_kernel _Z39paged_attention_ll4mi_QKV_mfma16_kernelI14__hip_bfloat16S0_LN4vllm18Fp8KVCacheDataTypeE0EhLi32ELi128ELi256ELb0ELi6EEvPKT_PKT0_S8_ifPKiSA_SA_iPKfiiiPfSD_PS3_PT2_iSC_SC_
		.amdhsa_group_segment_fixed_size 8192
		.amdhsa_private_segment_fixed_size 0
		.amdhsa_kernarg_size 400
		.amdhsa_user_sgpr_count 2
		.amdhsa_user_sgpr_dispatch_ptr 0
		.amdhsa_user_sgpr_queue_ptr 0
		.amdhsa_user_sgpr_kernarg_segment_ptr 1
		.amdhsa_user_sgpr_dispatch_id 0
		.amdhsa_user_sgpr_kernarg_preload_length 0
		.amdhsa_user_sgpr_kernarg_preload_offset 0
		.amdhsa_user_sgpr_private_segment_size 0
		.amdhsa_uses_dynamic_stack 0
		.amdhsa_enable_private_segment 0
		.amdhsa_system_sgpr_workgroup_id_x 1
		.amdhsa_system_sgpr_workgroup_id_y 1
		.amdhsa_system_sgpr_workgroup_id_z 1
		.amdhsa_system_sgpr_workgroup_info 0
		.amdhsa_system_vgpr_workitem_id 0
		.amdhsa_next_free_vgpr 96
		.amdhsa_next_free_sgpr 42
		.amdhsa_accum_offset 96
		.amdhsa_reserve_vcc 1
		.amdhsa_float_round_mode_32 0
		.amdhsa_float_round_mode_16_64 0
		.amdhsa_float_denorm_mode_32 3
		.amdhsa_float_denorm_mode_16_64 3
		.amdhsa_dx10_clamp 1
		.amdhsa_ieee_mode 1
		.amdhsa_fp16_overflow 0
		.amdhsa_tg_split 0
		.amdhsa_exception_fp_ieee_invalid_op 0
		.amdhsa_exception_fp_denorm_src 0
		.amdhsa_exception_fp_ieee_div_zero 0
		.amdhsa_exception_fp_ieee_overflow 0
		.amdhsa_exception_fp_ieee_underflow 0
		.amdhsa_exception_fp_ieee_inexact 0
		.amdhsa_exception_int_div_zero 0
	.end_amdhsa_kernel
	.section	.text._Z39paged_attention_ll4mi_QKV_mfma16_kernelI14__hip_bfloat16S0_LN4vllm18Fp8KVCacheDataTypeE0EhLi32ELi128ELi256ELb0ELi6EEvPKT_PKT0_S8_ifPKiSA_SA_iPKfiiiPfSD_PS3_PT2_iSC_SC_,"axG",@progbits,_Z39paged_attention_ll4mi_QKV_mfma16_kernelI14__hip_bfloat16S0_LN4vllm18Fp8KVCacheDataTypeE0EhLi32ELi128ELi256ELb0ELi6EEvPKT_PKT0_S8_ifPKiSA_SA_iPKfiiiPfSD_PS3_PT2_iSC_SC_,comdat
.Lfunc_end713:
	.size	_Z39paged_attention_ll4mi_QKV_mfma16_kernelI14__hip_bfloat16S0_LN4vllm18Fp8KVCacheDataTypeE0EhLi32ELi128ELi256ELb0ELi6EEvPKT_PKT0_S8_ifPKiSA_SA_iPKfiiiPfSD_PS3_PT2_iSC_SC_, .Lfunc_end713-_Z39paged_attention_ll4mi_QKV_mfma16_kernelI14__hip_bfloat16S0_LN4vllm18Fp8KVCacheDataTypeE0EhLi32ELi128ELi256ELb0ELi6EEvPKT_PKT0_S8_ifPKiSA_SA_iPKfiiiPfSD_PS3_PT2_iSC_SC_
                                        ; -- End function
	.section	.AMDGPU.csdata,"",@progbits
; Kernel info:
; codeLenInByte = 4852
; NumSgprs: 48
; NumVgprs: 96
; NumAgprs: 0
; TotalNumVgprs: 96
; ScratchSize: 0
; MemoryBound: 0
; FloatMode: 240
; IeeeMode: 1
; LDSByteSize: 8192 bytes/workgroup (compile time only)
; SGPRBlocks: 5
; VGPRBlocks: 11
; NumSGPRsForWavesPerEU: 48
; NumVGPRsForWavesPerEU: 96
; AccumOffset: 96
; Occupancy: 5
; WaveLimiterHint : 1
; COMPUTE_PGM_RSRC2:SCRATCH_EN: 0
; COMPUTE_PGM_RSRC2:USER_SGPR: 2
; COMPUTE_PGM_RSRC2:TRAP_HANDLER: 0
; COMPUTE_PGM_RSRC2:TGID_X_EN: 1
; COMPUTE_PGM_RSRC2:TGID_Y_EN: 1
; COMPUTE_PGM_RSRC2:TGID_Z_EN: 1
; COMPUTE_PGM_RSRC2:TIDIG_COMP_CNT: 0
; COMPUTE_PGM_RSRC3_GFX90A:ACCUM_OFFSET: 23
; COMPUTE_PGM_RSRC3_GFX90A:TG_SPLIT: 0
	.section	.text._Z39paged_attention_ll4mi_QKV_mfma16_kernelI14__hip_bfloat16S0_LN4vllm18Fp8KVCacheDataTypeE0EhLi32ELi128ELi256ELb0ELi7EEvPKT_PKT0_S8_ifPKiSA_SA_iPKfiiiPfSD_PS3_PT2_iSC_SC_,"axG",@progbits,_Z39paged_attention_ll4mi_QKV_mfma16_kernelI14__hip_bfloat16S0_LN4vllm18Fp8KVCacheDataTypeE0EhLi32ELi128ELi256ELb0ELi7EEvPKT_PKT0_S8_ifPKiSA_SA_iPKfiiiPfSD_PS3_PT2_iSC_SC_,comdat
	.protected	_Z39paged_attention_ll4mi_QKV_mfma16_kernelI14__hip_bfloat16S0_LN4vllm18Fp8KVCacheDataTypeE0EhLi32ELi128ELi256ELb0ELi7EEvPKT_PKT0_S8_ifPKiSA_SA_iPKfiiiPfSD_PS3_PT2_iSC_SC_ ; -- Begin function _Z39paged_attention_ll4mi_QKV_mfma16_kernelI14__hip_bfloat16S0_LN4vllm18Fp8KVCacheDataTypeE0EhLi32ELi128ELi256ELb0ELi7EEvPKT_PKT0_S8_ifPKiSA_SA_iPKfiiiPfSD_PS3_PT2_iSC_SC_
	.globl	_Z39paged_attention_ll4mi_QKV_mfma16_kernelI14__hip_bfloat16S0_LN4vllm18Fp8KVCacheDataTypeE0EhLi32ELi128ELi256ELb0ELi7EEvPKT_PKT0_S8_ifPKiSA_SA_iPKfiiiPfSD_PS3_PT2_iSC_SC_
	.p2align	8
	.type	_Z39paged_attention_ll4mi_QKV_mfma16_kernelI14__hip_bfloat16S0_LN4vllm18Fp8KVCacheDataTypeE0EhLi32ELi128ELi256ELb0ELi7EEvPKT_PKT0_S8_ifPKiSA_SA_iPKfiiiPfSD_PS3_PT2_iSC_SC_,@function
_Z39paged_attention_ll4mi_QKV_mfma16_kernelI14__hip_bfloat16S0_LN4vllm18Fp8KVCacheDataTypeE0EhLi32ELi128ELi256ELb0ELi7EEvPKT_PKT0_S8_ifPKiSA_SA_iPKfiiiPfSD_PS3_PT2_iSC_SC_: ; @_Z39paged_attention_ll4mi_QKV_mfma16_kernelI14__hip_bfloat16S0_LN4vllm18Fp8KVCacheDataTypeE0EhLi32ELi128ELi256ELb0ELi7EEvPKT_PKT0_S8_ifPKiSA_SA_iPKfiiiPfSD_PS3_PT2_iSC_SC_
; %bb.0:
	s_load_dwordx2 s[8:9], s[0:1], 0x30
	s_mov_b32 s26, s3
	s_mov_b64 s[6:7], 0
	s_waitcnt lgkmcnt(0)
	s_cmp_lg_u64 s[8:9], 0
	s_cselect_b64 s[10:11], -1, 0
	s_and_b64 vcc, exec, s[10:11]
	s_cbranch_vccz .LBB714_7
; %bb.1:
	s_add_i32 s12, s2, 1
	s_mov_b32 s13, 0
	s_lshl_b64 s[14:15], s[12:13], 2
	s_add_u32 s14, s8, s14
	s_mov_b32 s3, s13
	s_addc_u32 s15, s9, s15
	s_lshl_b64 s[12:13], s[2:3], 2
	s_add_u32 s12, s8, s12
	s_addc_u32 s13, s9, s13
	s_load_dword s5, s[14:15], 0x0
	s_load_dword s16, s[12:13], 0x0
	s_waitcnt lgkmcnt(0)
	s_sub_i32 s5, s5, s16
	s_cmp_eq_u32 s5, 1
	s_cselect_b64 s[12:13], -1, 0
	s_andn2_b64 vcc, exec, s[6:7]
	s_cbranch_vccnz .LBB714_3
.LBB714_2:
	s_mov_b32 s3, 0
	s_mov_b64 s[12:13], -1
.LBB714_3:
	s_andn2_b64 vcc, exec, s[12:13]
	s_cbranch_vccnz .LBB714_20
; %bb.4:
	s_load_dwordx2 s[6:7], s[0:1], 0x28
	s_lshl_b64 s[12:13], s[2:3], 2
	s_waitcnt lgkmcnt(0)
	s_add_u32 s6, s6, s12
	s_addc_u32 s7, s7, s13
	s_load_dword s33, s[6:7], 0x0
	s_lshl_b32 s18, s26, 8
	s_waitcnt lgkmcnt(0)
	s_cmp_ge_i32 s18, s33
	s_cbranch_scc1 .LBB714_20
; %bb.5:
	s_load_dwordx2 s[6:7], s[0:1], 0x20
	s_load_dword s5, s[0:1], 0x38
	s_add_i32 s14, s33, 31
	s_ashr_i32 s15, s14, 31
	v_and_b32_e32 v1, 0xcf, v0
	s_lshr_b32 s15, s15, 27
	v_add_u32_e32 v1, s18, v1
	s_add_i32 s14, s14, s15
	v_ashrrev_i32_e32 v2, 31, v1
	s_ashr_i32 s19, s14, 5
	v_lshrrev_b32_e32 v4, 27, v2
	s_add_i32 s19, s19, -1
	s_waitcnt lgkmcnt(0)
	s_mul_i32 s14, s2, s5
	s_mov_b32 s15, 0
	v_add_u32_e32 v2, v1, v4
	s_lshl_b64 s[14:15], s[14:15], 2
	v_ashrrev_i32_e32 v2, 5, v2
	v_mov_b32_e32 v5, s19
	v_cmp_gt_i32_e32 vcc, s33, v1
	s_add_u32 s6, s6, s14
	s_addc_u32 s7, s7, s15
	v_cndmask_b32_e32 v2, v5, v2, vcc
	v_ashrrev_i32_e32 v3, 31, v2
	v_lshl_add_u64 v[6:7], v[2:3], 2, s[6:7]
	v_or_b32_e32 v2, 16, v1
	v_add_u32_e32 v3, v2, v4
	v_ashrrev_i32_e32 v3, 5, v3
	v_cmp_gt_i32_e32 vcc, s33, v2
	s_nop 1
	v_cndmask_b32_e32 v2, v5, v3, vcc
	v_ashrrev_i32_e32 v3, 31, v2
	v_lshl_add_u64 v[8:9], v[2:3], 2, s[6:7]
	v_or_b32_e32 v2, 32, v1
	v_add_u32_e32 v3, v2, v4
	v_ashrrev_i32_e32 v3, 5, v3
	v_cmp_gt_i32_e32 vcc, s33, v2
	v_or_b32_e32 v1, 48, v1
	s_nop 0
	v_cndmask_b32_e32 v2, v5, v3, vcc
	v_ashrrev_i32_e32 v3, 31, v2
	v_lshl_add_u64 v[10:11], v[2:3], 2, s[6:7]
	v_add_u32_e32 v2, v1, v4
	v_ashrrev_i32_e32 v2, 5, v2
	v_cmp_gt_i32_e32 vcc, s33, v1
	s_nop 1
	v_cndmask_b32_e32 v2, v5, v2, vcc
	v_ashrrev_i32_e32 v3, 31, v2
	v_lshl_add_u64 v[12:13], v[2:3], 2, s[6:7]
	global_load_dword v2, v[6:7], off
	global_load_dword v5, v[8:9], off
	;; [unrolled: 1-line block ×4, first 2 shown]
	s_andn2_b64 vcc, exec, s[10:11]
	s_cbranch_vccnz .LBB714_8
; %bb.6:
	s_add_u32 s8, s8, s12
	s_addc_u32 s9, s9, s13
	s_load_dword s5, s[8:9], 0x0
	s_branch .LBB714_9
.LBB714_7:
	s_mov_b64 s[12:13], 0
	s_branch .LBB714_2
.LBB714_8:
	s_mov_b32 s5, s2
.LBB714_9:
	s_load_dwordx4 s[12:15], s[0:1], 0x8
	s_load_dwordx4 s[8:11], s[0:1], 0x48
	v_lshrrev_b32_e32 v86, 6, v0
	v_bfe_u32 v1, v0, 4, 2
	v_lshl_or_b32 v3, v86, 2, v1
	v_and_b32_e32 v76, 15, v0
	v_lshlrev_b32_e32 v74, 3, v76
	v_cmp_lt_u32_e32 vcc, 6, v3
	s_and_saveexec_b64 s[16:17], vcc
	s_xor_b64 s[16:17], exec, s[16:17]
; %bb.10:
	v_mov_b32_e32 v75, 0
                                        ; implicit-def: $vgpr3
; %bb.11:
	s_or_saveexec_b64 s[16:17], s[16:17]
	v_and_b32_e32 v77, 63, v0
	s_mul_i32 s40, s4, 7
	s_xor_b64 exec, exec, s[16:17]
	s_cbranch_execz .LBB714_13
; %bb.12:
	s_load_dwordx2 s[20:21], s[0:1], 0x0
	s_waitcnt lgkmcnt(0)
	s_ashr_i32 s11, s8, 31
	s_mul_hi_u32 s22, s5, s8
	s_mul_i32 s11, s5, s11
	s_add_i32 s23, s22, s11
	s_mul_i32 s22, s5, s8
	s_lshl_b64 s[22:23], s[22:23], 1
	s_add_u32 s20, s20, s22
	v_add_lshl_u32 v6, v3, s40, 7
	s_addc_u32 s21, s21, s23
	v_ashrrev_i32_e32 v7, 31, v6
	v_mov_b32_e32 v75, 0
	v_lshl_add_u64 v[6:7], v[6:7], 1, s[20:21]
	v_lshlrev_b32_e32 v8, 1, v74
	v_mov_b32_e32 v9, v75
	v_lshl_add_u64 v[6:7], v[6:7], 0, v[8:9]
	global_load_dwordx4 v[6:9], v[6:7], off
	v_and_b32_e32 v10, 3, v0
	v_lshlrev_b32_e32 v11, 9, v76
	v_lshlrev_b32_e32 v3, 5, v3
	;; [unrolled: 1-line block ×3, first 2 shown]
	v_and_b32_e32 v11, 0x1800, v11
	v_or3_b32 v3, v11, v10, v3
	s_waitcnt vmcnt(0)
	ds_write_b128 v3, v[6:9]
.LBB714_13:
	s_or_b64 exec, exec, s[16:17]
	s_waitcnt lgkmcnt(0)
	s_mul_i32 s4, s4, s10
	s_mov_b32 s5, 0
	s_lshl_b64 s[4:5], s[4:5], 1
	s_add_u32 s10, s12, s4
	s_addc_u32 s11, s13, s5
	s_waitcnt vmcnt(3)
	v_mad_i64_i32 v[2:3], s[12:13], v2, s9, 0
	v_lshl_add_u64 v[6:7], v[2:3], 1, s[10:11]
	v_lshlrev_b64 v[2:3], 1, v[74:75]
	v_lshlrev_b32_e32 v46, 9, v1
	v_lshl_add_u64 v[6:7], v[6:7], 0, v[2:3]
	v_mov_b32_e32 v47, 0
	v_lshl_add_u64 v[8:9], v[6:7], 0, v[46:47]
	s_load_dword s27, s[0:1], 0x98
	s_load_dword s8, s[0:1], 0x1c
	s_waitcnt lgkmcnt(0)
	s_barrier
	global_load_dwordx4 v[38:41], v[8:9], off
	s_waitcnt vmcnt(3)
	v_mad_i64_i32 v[10:11], s[12:13], v5, s9, 0
	v_mov_b32_e32 v5, 0x100
	v_lshl_add_u64 v[10:11], v[10:11], 1, s[10:11]
	v_lshl_or_b32 v50, v76, 4, v5
	v_mov_b32_e32 v51, v47
	v_lshl_add_u64 v[22:23], v[10:11], 0, v[50:51]
	v_lshl_add_u64 v[10:11], v[22:23], 0, v[46:47]
	global_load_dwordx4 v[42:45], v[10:11], off
	global_load_dwordx4 v[18:21], v[8:9], off offset:2048
	global_load_dwordx4 v[26:29], v[10:11], off offset:2048
	v_or_b32_e32 v52, 0x1000, v46
	v_mov_b32_e32 v53, v47
	v_or_b32_e32 v48, 0x1800, v46
	v_mov_b32_e32 v49, v47
	v_lshl_add_u64 v[8:9], v[6:7], 0, v[52:53]
	v_lshl_add_u64 v[6:7], v[6:7], 0, v[48:49]
	global_load_dwordx4 v[14:17], v[8:9], off
	global_load_dwordx4 v[10:13], v[6:7], off
	v_lshl_add_u64 v[8:9], v[22:23], 0, v[52:53]
	global_load_dwordx4 v[30:33], v[8:9], off
	s_waitcnt vmcnt(8)
	v_mad_i64_i32 v[4:5], s[12:13], v4, s9, 0
	v_lshl_add_u64 v[4:5], v[4:5], 1, s[10:11]
	v_lshl_add_u64 v[56:57], v[4:5], 0, v[2:3]
	v_mul_lo_u16_e32 v2, 37, v76
	v_mov_b32_e32 v3, 7
	v_mul_lo_u16_sdwa v2, v2, v3 dst_sel:DWORD dst_unused:UNUSED_PAD src0_sel:BYTE_1 src1_sel:DWORD
	v_sub_u16_e32 v2, v76, v2
	v_and_b32_e32 v2, 0xff, v2
	v_lshl_add_u64 v[6:7], v[22:23], 0, v[48:49]
	global_load_dwordx4 v[22:25], v[6:7], off
	v_lshl_add_u64 v[54:55], v[56:57], 0, v[46:47]
	v_lshl_add_u32 v59, v2, 5, v46
	global_load_dwordx4 v[34:37], v[54:55], off
	ds_read_b128 v[6:9], v59
	ds_read_b128 v[2:5], v59 offset:2048
	v_and_or_b32 v72, v0, 48, s18
	v_or_b32_e32 v80, 64, v72
	v_mov_b32_e32 v73, s19
	v_cmp_gt_i32_e32 vcc, s33, v72
	v_or_b32_e32 v81, 0x80, v72
	v_or_b32_e32 v84, 0xc0, v72
	s_mov_b32 s41, 0xff7fffff
	s_waitcnt vmcnt(7) lgkmcnt(1)
	v_mfma_f32_16x16x16_bf16 v[64:67], v[42:43], v[6:7], 0
	v_mfma_f32_16x16x16_bf16 v[60:63], v[38:39], v[6:7], 0
	v_mad_i64_i32 v[38:39], s[12:13], v58, s9, 0
	v_lshl_add_u64 v[68:69], v[38:39], 1, s[10:11]
	v_mfma_f32_16x16x16_bf16 v[60:63], v[40:41], v[8:9], v[60:63]
	v_lshl_add_u64 v[82:83], v[68:69], 0, v[50:51]
	v_lshl_add_u64 v[50:51], v[56:57], 0, v[52:53]
	s_ashr_i32 s12, s18, 31
	v_mfma_f32_16x16x16_bf16 v[64:67], v[44:45], v[8:9], v[64:67]
	ds_read_b128 v[42:45], v59 offset:4096
	ds_read_b128 v[38:41], v59 offset:6144
	v_lshl_add_u64 v[78:79], v[82:83], 0, v[52:53]
	global_load_dwordx4 v[50:53], v[50:51], off
	s_waitcnt vmcnt(7) lgkmcnt(2)
	v_mfma_f32_16x16x16_bf16 v[58:61], v[18:19], v[2:3], v[60:63]
	s_lshr_b32 s10, s12, 27
	v_add_u32_e32 v68, s10, v72
	v_add_u32_e32 v69, s10, v80
	s_waitcnt vmcnt(6)
	v_mfma_f32_16x16x16_bf16 v[62:65], v[26:27], v[2:3], v[64:67]
	v_lshl_add_u64 v[70:71], v[82:83], 0, v[46:47]
	v_ashrrev_i32_e32 v46, 5, v68
	v_add_u32_e32 v85, s10, v81
	v_lshl_add_u64 v[66:67], v[56:57], 0, v[48:49]
	global_load_dwordx4 v[54:57], v[54:55], off offset:2048
	v_mfma_f32_16x16x16_bf16 v[18:21], v[20:21], v[4:5], v[58:61]
	v_add_u32_e32 v87, s10, v84
	s_add_u32 s4, s14, s4
	s_addc_u32 s5, s15, s5
	v_mfma_f32_16x16x16_bf16 v[26:29], v[28:29], v[4:5], v[62:65]
	v_ashrrev_i32_e32 v58, 5, v69
	s_waitcnt vmcnt(6) lgkmcnt(1)
	v_mfma_f32_16x16x16_bf16 v[18:21], v[14:15], v[42:43], v[18:21]
	v_cndmask_b32_e32 v14, v73, v46, vcc
	v_cmp_gt_i32_e32 vcc, s33, v80
	v_ashrrev_i32_e32 v15, 31, v14
	s_waitcnt vmcnt(4)
	v_mfma_f32_16x16x16_bf16 v[26:29], v[30:31], v[42:43], v[26:29]
	v_cndmask_b32_e32 v30, v73, v58, vcc
	v_ashrrev_i32_e32 v31, 31, v30
	v_lshl_add_u64 v[14:15], v[14:15], 2, s[6:7]
	v_lshl_add_u64 v[30:31], v[30:31], 2, s[6:7]
	global_load_dword v92, v[14:15], off
	global_load_dword v93, v[30:31], off
	v_mfma_f32_16x16x16_bf16 v[14:17], v[16:17], v[44:45], v[18:21]
	global_load_dwordx4 v[58:61], v[70:71], off
	v_ashrrev_i32_e32 v62, 5, v85
	v_cmp_gt_i32_e32 vcc, s33, v81
	global_load_dwordx4 v[18:21], v[66:67], off
	s_waitcnt lgkmcnt(0)
	v_mfma_f32_16x16x16_bf16 v[14:17], v[10:11], v[38:39], v[14:17]
	v_cndmask_b32_e32 v10, v73, v62, vcc
	global_load_dwordx4 v[62:65], v[70:71], off offset:2048
	v_ashrrev_i32_e32 v11, 31, v10
	v_lshl_add_u64 v[10:11], v[10:11], 2, s[6:7]
	global_load_dword v94, v[10:11], off
	v_mfma_f32_16x16x16_bf16 v[66:69], v[12:13], v[40:41], v[14:17]
	global_load_dwordx4 v[78:81], v[78:79], off
	v_ashrrev_i32_e32 v85, 5, v87
	v_cmp_gt_i32_e32 vcc, s33, v84
	v_lshl_add_u64 v[14:15], v[82:83], 0, v[48:49]
	global_load_dwordx4 v[88:91], v[14:15], off
	v_cndmask_b32_e32 v10, v73, v85, vcc
	v_ashrrev_i32_e32 v11, 31, v10
	v_lshl_add_u64 v[10:11], v[10:11], 2, s[6:7]
	global_load_dword v84, v[10:11], off
	s_waitcnt vmcnt(11)
	v_mfma_f32_16x16x16_bf16 v[10:13], v[34:35], v[6:7], 0
	v_and_b32_e32 v14, 16, v0
	v_lshlrev_b32_e32 v46, 1, v14
	v_lshl_or_b32 v87, v86, 4, v76
	v_mfma_f32_16x16x16_bf16 v[10:13], v[36:37], v[8:9], v[10:13]
	v_lshl_add_u64 v[36:37], s[4:5], 0, v[46:47]
	v_lshlrev_b32_e32 v46, 6, v87
	v_lshl_add_u64 v[48:49], v[36:37], 0, v[46:47]
	v_mfma_f32_16x16x16_bf16 v[26:29], v[32:33], v[44:45], v[26:29]
	v_or_b32_e32 v46, 0x1000, v46
	s_waitcnt vmcnt(8)
	v_mad_i64_i32 v[14:15], s[4:5], v92, s9, 0
	v_mfma_f32_16x16x16_bf16 v[10:13], v[54:55], v[2:3], v[10:13]
	v_lshlrev_b64 v[82:83], 1, v[14:15]
	v_lshl_add_u64 v[14:15], v[48:49], 0, v[82:83]
	v_mfma_f32_16x16x16_bf16 v[10:13], v[56:57], v[4:5], v[10:13]
	v_mfma_f32_16x16x16_bf16 v[10:13], v[50:51], v[42:43], v[10:13]
	;; [unrolled: 1-line block ×4, first 2 shown]
	s_waitcnt vmcnt(5)
	v_mfma_f32_16x16x16_bf16 v[10:13], v[18:19], v[38:39], v[10:13]
	v_mfma_f32_16x16x16_bf16 v[70:73], v[24:25], v[40:41], v[26:29]
	global_load_dwordx4 v[30:33], v[14:15], off
	s_nop 2
	global_load_dwordx4 v[26:29], v[14:15], off offset:16
	v_mad_i64_i32 v[14:15], s[4:5], v93, s9, 0
	v_lshlrev_b64 v[34:35], 1, v[14:15]
	v_mfma_f32_16x16x16_bf16 v[54:57], v[20:21], v[40:41], v[10:13]
	v_pk_mul_f32 v[70:71], s[8:9], v[70:71] op_sel_hi:[0,1]
	s_nop 1
	v_lshl_add_u64 v[10:11], v[48:49], 0, v[34:35]
	global_load_dwordx4 v[22:25], v[10:11], off
	global_load_dwordx4 v[18:21], v[10:11], off offset:16
	v_mfma_f32_16x16x16_bf16 v[10:13], v[58:59], v[6:7], 0
	s_waitcnt vmcnt(7)
	v_mad_i64_i32 v[6:7], s[4:5], v94, s9, 0
	v_lshlrev_b64 v[50:51], 1, v[6:7]
	v_mfma_f32_16x16x16_bf16 v[6:9], v[60:61], v[8:9], v[10:13]
	v_mfma_f32_16x16x16_bf16 v[6:9], v[62:63], v[2:3], v[6:9]
	s_waitcnt vmcnt(4)
	v_mad_i64_i32 v[2:3], s[4:5], v84, s9, 0
	v_pk_mul_f32 v[84:85], s[8:9], v[72:73] op_sel_hi:[0,1]
	v_mfma_f32_16x16x16_bf16 v[58:61], v[64:65], v[4:5], v[6:9]
	v_lshl_add_u64 v[64:65], v[36:37], 0, v[46:47]
	v_pk_mul_f32 v[62:63], s[8:9], v[66:67] op_sel_hi:[0,1]
	v_lshl_add_u64 v[92:93], v[64:65], 0, v[82:83]
	v_mfma_f32_16x16x16_bf16 v[58:61], v[78:79], v[42:43], v[58:61]
	v_pk_mul_f32 v[82:83], s[8:9], v[68:69] op_sel_hi:[0,1]
	v_pk_mul_f32 v[78:79], s[8:9], v[54:55] op_sel_hi:[0,1]
	v_lshlrev_b64 v[52:53], 1, v[2:3]
	v_mfma_f32_16x16x16_bf16 v[42:45], v[80:81], v[44:45], v[58:61]
	v_pk_mul_f32 v[80:81], s[8:9], v[56:57] op_sel_hi:[0,1]
	v_lshl_add_u64 v[10:11], v[48:49], 0, v[50:51]
	v_lshl_add_u64 v[2:3], v[48:49], 0, v[52:53]
	v_mfma_f32_16x16x16_bf16 v[36:39], v[88:89], v[38:39], v[42:45]
	v_lshl_add_u64 v[34:35], v[64:65], 0, v[34:35]
	v_lshl_add_u64 v[50:51], v[64:65], 0, v[50:51]
	global_load_dwordx4 v[14:17], v[10:11], off
	s_nop 0
	global_load_dwordx4 v[10:13], v[10:11], off offset:16
	v_mfma_f32_16x16x16_bf16 v[36:39], v[90:91], v[40:41], v[36:39]
	global_load_dwordx4 v[6:9], v[2:3], off
	s_nop 0
	global_load_dwordx4 v[2:5], v[2:3], off offset:16
	s_nop 3
	v_pk_mul_f32 v[72:73], s[8:9], v[36:37] op_sel_hi:[0,1]
	v_and_b32_e32 v36, 0xc0, v0
	v_add_u32_e32 v36, s18, v36
	v_lshl_or_b32 v36, v1, 2, v36
	v_pk_mul_f32 v[66:67], s[8:9], v[38:39] op_sel_hi:[0,1]
	v_or_b32_e32 v39, 1, v36
	v_mov_b32_e32 v37, 0xff7fffff
	v_cmp_gt_i32_e64 s[28:29], s33, v36
	v_cmp_gt_i32_e64 s[30:31], s33, v39
	v_or_b32_e32 v40, 3, v36
	v_cndmask_b32_e64 v38, v37, v62, s[28:29]
	v_cndmask_b32_e64 v39, v37, v63, s[30:31]
	v_max3_f32 v38, v38, s41, v39
	v_or_b32_e32 v39, 2, v36
	v_cmp_gt_i32_e64 s[34:35], s33, v39
	v_cmp_gt_i32_e64 s[36:37], s33, v40
	s_nop 0
	v_cndmask_b32_e64 v39, v37, v82, s[34:35]
	v_cndmask_b32_e64 v40, v37, v83, s[36:37]
	v_max3_f32 v38, v38, v39, v40
	v_or_b32_e32 v39, 16, v36
	v_or_b32_e32 v40, 17, v36
	v_cmp_gt_i32_e64 s[22:23], s33, v39
	v_cmp_gt_i32_e64 s[24:25], s33, v40
	s_nop 0
	v_cndmask_b32_e64 v39, v37, v70, s[22:23]
	v_cndmask_b32_e64 v40, v37, v71, s[24:25]
	v_max3_f32 v38, v38, v39, v40
	v_or_b32_e32 v39, 18, v36
	;; [unrolled: 8-line block ×6, first 2 shown]
	v_or_b32_e32 v36, 51, v36
	v_cmp_gt_i32_e32 vcc, s33, v39
	v_cmp_gt_i32_e64 s[4:5], s33, v36
	s_nop 0
	v_cndmask_b32_e32 v39, v37, v66, vcc
	v_cndmask_b32_e64 v36, v37, v67, s[4:5]
	v_max3_f32 v54, v38, v39, v36
	v_mbcnt_lo_u32_b32 v36, -1, 0
	v_mbcnt_hi_u32_b32 v55, -1, v36
	v_and_b32_e32 v36, 64, v55
	v_add_u32_e32 v56, 64, v36
	v_xor_b32_e32 v36, 32, v55
	v_cmp_lt_i32_e64 s[38:39], v36, v56
	global_load_dwordx4 v[46:49], v[92:93], off
	global_load_dwordx4 v[38:41], v[92:93], off offset:16
	v_cndmask_b32_e64 v36, v55, v36, s[38:39]
	v_lshlrev_b32_e32 v89, 2, v36
	ds_bpermute_b32 v57, v89, v54
	global_load_dwordx4 v[42:45], v[34:35], off
	s_nop 0
	global_load_dwordx4 v[34:37], v[34:35], off offset:16
	s_waitcnt lgkmcnt(0)
	v_max_f32_e32 v57, v57, v57
	v_max_f32_e32 v68, v54, v57
	v_xor_b32_e32 v54, 16, v55
	v_cmp_lt_i32_e64 s[38:39], v54, v56
	s_nop 1
	v_cndmask_b32_e64 v54, v55, v54, s[38:39]
	v_lshlrev_b32_e32 v90, 2, v54
	ds_bpermute_b32 v69, v90, v68
	global_load_dwordx4 v[58:61], v[50:51], off
	global_load_dwordx4 v[54:57], v[50:51], off offset:16
	v_lshl_add_u64 v[50:51], v[64:65], 0, v[52:53]
	s_waitcnt lgkmcnt(0)
	v_max_f32_e32 v52, v69, v69
	v_max_f32_e32 v88, v68, v52
	v_sub_f32_e32 v52, v62, v88
	v_mul_f32_e32 v52, 0x3fb8aa3b, v52
	v_exp_f32_e32 v68, v52
	v_sub_f32_e32 v52, v63, v88
	v_mul_f32_e32 v52, 0x3fb8aa3b, v52
	v_exp_f32_e32 v69, v52
	global_load_dwordx4 v[62:65], v[50:51], off
	s_nop 0
	global_load_dwordx4 v[50:53], v[50:51], off offset:16
	v_sub_f32_e32 v82, v82, v88
	v_mul_f32_e32 v82, 0x3fb8aa3b, v82
	v_sub_f32_e32 v83, v83, v88
	v_exp_f32_e32 v82, v82
	v_mul_f32_e32 v83, 0x3fb8aa3b, v83
	v_sub_f32_e32 v70, v70, v88
	v_exp_f32_e32 v83, v83
	v_mul_f32_e32 v70, 0x3fb8aa3b, v70
	v_sub_f32_e32 v71, v71, v88
	v_cndmask_b32_e64 v68, 0, v68, s[28:29]
	v_exp_f32_e32 v70, v70
	v_mul_f32_e32 v71, 0x3fb8aa3b, v71
	v_sub_f32_e32 v84, v84, v88
	v_add_f32_e32 v91, 0, v68
	v_cndmask_b32_e64 v69, 0, v69, s[30:31]
	v_exp_f32_e32 v71, v71
	v_mul_f32_e32 v84, 0x3fb8aa3b, v84
	v_sub_f32_e32 v85, v85, v88
	v_add_f32_e32 v91, v91, v69
	;; [unrolled: 5-line block ×10, first 2 shown]
	v_cndmask_b32_e64 v80, 0, v80, s[10:11]
	v_exp_f32_e32 v66, v66
	v_mul_f32_e32 v67, 0x3fb8aa3b, v67
	v_add_f32_e32 v91, v91, v80
	v_cndmask_b32_e64 v81, 0, v81, s[12:13]
	v_exp_f32_e32 v67, v67
	v_add_f32_e32 v91, v91, v81
	v_cndmask_b32_e64 v72, 0, v72, s[6:7]
	v_add_f32_e32 v91, v91, v72
	v_cndmask_b32_e64 v73, 0, v73, s[8:9]
	v_add_f32_e32 v91, v91, v73
	v_cndmask_b32_e32 v66, 0, v66, vcc
	v_add_f32_e32 v91, v91, v66
	v_cndmask_b32_e64 v67, 0, v67, s[4:5]
	v_add_f32_e32 v91, v91, v67
	ds_bpermute_b32 v89, v89, v91
	v_cmp_gt_u32_e32 vcc, 16, v77
	s_waitcnt lgkmcnt(0)
	s_barrier
	v_add_f32_e32 v89, v91, v89
	ds_bpermute_b32 v90, v90, v89
	s_and_saveexec_b64 s[4:5], vcc
	s_cbranch_execz .LBB714_15
; %bb.14:
	s_waitcnt lgkmcnt(0)
	v_add_f32_e32 v77, v89, v90
	v_lshlrev_b32_e32 v87, 2, v87
	ds_write2st64_b32 v87, v88, v77 offset1:1
.LBB714_15:
	s_or_b64 exec, exec, s[4:5]
	v_lshlrev_b32_e32 v77, 2, v76
	s_load_dword s6, s[0:1], 0x94
	s_waitcnt lgkmcnt(0)
	s_barrier
	ds_read2_b32 v[88:89], v77 offset1:16
	ds_read2_b32 v[90:91], v77 offset0:32 offset1:48
	ds_read2_b32 v[92:93], v77 offset0:64 offset1:80
	;; [unrolled: 1-line block ×3, first 2 shown]
	s_movk_i32 s8, 0x7fff
	s_waitcnt lgkmcnt(3)
	v_max3_f32 v87, v88, s41, v89
	s_waitcnt lgkmcnt(2)
	v_max3_f32 v87, v87, v90, v91
	v_sub_f32_e32 v88, v88, v87
	v_mul_f32_e32 v88, 0x3fb8aa3b, v88
	v_exp_f32_e32 v86, v88
	v_sub_f32_e32 v88, v89, v87
	v_mul_f32_e32 v88, 0x3fb8aa3b, v88
	v_exp_f32_e32 v89, v88
	v_sub_f32_e32 v88, v90, v87
	v_mul_f32_e32 v88, 0x3fb8aa3b, v88
	v_sub_f32_e32 v77, v91, v87
	v_exp_f32_e32 v90, v88
	v_mul_f32_e32 v77, 0x3fb8aa3b, v77
	v_exp_f32_e32 v77, v77
	s_waitcnt lgkmcnt(1)
	v_fma_f32 v88, v86, v92, 0
	v_fmac_f32_e32 v88, v89, v93
	s_waitcnt lgkmcnt(0)
	v_fmac_f32_e32 v88, v90, v94
	v_fmac_f32_e32 v88, v77, v95
	v_add_f32_e32 v91, 0x358637bd, v88
	v_div_scale_f32 v92, s[4:5], v91, v91, 1.0
	v_rcp_f32_e32 v93, v92
	s_mov_b32 s9, 0x7060302
	s_barrier
	v_fma_f32 v94, -v92, v93, 1.0
	v_fmac_f32_e32 v93, v94, v93
	v_div_scale_f32 v94, vcc, 1.0, v91, 1.0
	v_mul_f32_e32 v95, v94, v93
	v_fma_f32 v1, -v92, v95, v94
	v_fmac_f32_e32 v95, v1, v93
	v_fma_f32 v1, -v92, v95, v94
	v_div_fmas_f32 v1, v1, v93, v95
	v_div_fixup_f32 v1, v1, v91, 1.0
	v_lshrrev_b32_e32 v91, 6, v0
	v_cmp_eq_u32_e32 vcc, 1, v91
	s_mul_i32 s7, s27, 7
	s_nop 0
	v_cndmask_b32_e32 v86, v86, v89, vcc
	v_cmp_eq_u32_e32 vcc, 2, v91
	s_nop 1
	v_cndmask_b32_e32 v86, v86, v90, vcc
	v_cmp_eq_u32_e32 vcc, 3, v91
	s_nop 1
	v_cndmask_b32_e32 v77, v86, v77, vcc
	v_mul_f32_e32 v90, v77, v1
	v_pk_mul_f32 v[68:69], v[90:91], v[68:69] op_sel_hi:[0,1]
	v_bfe_u32 v1, v69, 16, 1
	v_bfe_u32 v77, v68, 16, 1
	v_pk_mul_f32 v[82:83], v[90:91], v[82:83] op_sel_hi:[0,1]
	v_add3_u32 v68, v68, v77, s8
	v_add3_u32 v1, v69, v1, s8
	v_perm_b32 v92, v1, v68, s9
	v_bfe_u32 v1, v83, 16, 1
	v_bfe_u32 v68, v82, 16, 1
	v_add3_u32 v68, v82, v68, s8
	v_add3_u32 v1, v83, v1, s8
	v_bfe_u32 v86, v0, 4, 2
	v_perm_b32 v93, v1, v68, s9
	v_lshlrev_b32_e32 v1, 3, v86
	v_lshlrev_b32_e32 v68, 5, v76
	;; [unrolled: 1-line block ×3, first 2 shown]
	v_pk_mul_f32 v[70:71], v[90:91], v[70:71] op_sel_hi:[0,1]
	v_or3_b32 v1, v69, v68, v1
	v_bfe_u32 v69, v71, 16, 1
	v_bfe_u32 v77, v70, 16, 1
	v_pk_mul_f32 v[82:83], v[90:91], v[84:85] op_sel_hi:[0,1]
	v_add3_u32 v70, v70, v77, s8
	v_add3_u32 v69, v71, v69, s8
	v_perm_b32 v70, v69, v70, s9
	v_bfe_u32 v69, v83, 16, 1
	v_bfe_u32 v71, v82, 16, 1
	v_add3_u32 v71, v82, v71, s8
	v_add3_u32 v69, v83, v69, s8
	v_pk_mul_f32 v[78:79], v[90:91], v[78:79] op_sel_hi:[0,1]
	v_perm_b32 v71, v69, v71, s9
	v_bfe_u32 v69, v79, 16, 1
	v_bfe_u32 v77, v78, 16, 1
	ds_write2st64_b64 v1, v[92:93], v[70:71] offset1:1
	v_pk_mul_f32 v[70:71], v[90:91], v[80:81] op_sel_hi:[0,1]
	v_add3_u32 v77, v78, v77, s8
	v_add3_u32 v69, v79, v69, s8
	v_perm_b32 v78, v69, v77, s9
	v_bfe_u32 v69, v71, 16, 1
	v_bfe_u32 v77, v70, 16, 1
	v_add3_u32 v70, v70, v77, s8
	v_add3_u32 v69, v71, v69, s8
	v_perm_b32 v79, v69, v70, s9
	v_pk_mul_f32 v[70:71], v[90:91], v[72:73] op_sel_hi:[0,1]
	v_bfe_u32 v69, v71, 16, 1
	v_bfe_u32 v72, v70, 16, 1
	v_pk_mul_f32 v[66:67], v[90:91], v[66:67] op_sel_hi:[0,1]
	v_add3_u32 v70, v70, v72, s8
	v_add3_u32 v69, v71, v69, s8
	v_perm_b32 v70, v69, v70, s9
	v_bfe_u32 v69, v67, 16, 1
	v_bfe_u32 v71, v66, 16, 1
	v_add3_u32 v66, v66, v71, s8
	v_add3_u32 v67, v67, v69, s8
	v_perm_b32 v71, v67, v66, s9
	v_cmp_gt_u32_e32 vcc, 7, v0
	ds_write2st64_b64 v1, v[78:79], v[70:71] offset0:2 offset1:3
	s_and_saveexec_b64 s[4:5], vcc
	s_cbranch_execz .LBB714_17
; %bb.16:
	s_mov_b32 s41, 0
	v_mov_b32_e32 v77, 0
	v_lshl_add_u64 v[66:67], s[40:41], 0, v[76:77]
	v_mov_b32_e32 v69, s7
	v_mad_u64_u32 v[66:67], s[10:11], s2, v69, v[66:67]
	s_mul_i32 s3, s3, s7
	v_mov_b32_e32 v70, s26
	v_mov_b32_e32 v71, v77
	s_load_dwordx4 s[12:15], s[0:1], 0x58
	v_add_u32_e32 v69, s3, v67
	v_mad_u64_u32 v[66:67], s[10:11], v66, s6, v[70:71]
	v_mov_b32_e32 v70, v67
	v_mad_u64_u32 v[70:71], s[10:11], v69, s6, v[70:71]
	v_mov_b32_e32 v67, v70
	v_lshlrev_b64 v[66:67], 2, v[66:67]
	s_waitcnt lgkmcnt(0)
	v_lshl_add_u64 v[70:71], s[14:15], 0, v[66:67]
	v_lshl_add_u64 v[66:67], s[12:13], 0, v[66:67]
	global_store_dword v[70:71], v87, off
	global_store_dword v[66:67], v88, off
.LBB714_17:
	s_or_b64 exec, exec, s[4:5]
	v_lshl_or_b32 v77, v86, 9, v68
	s_waitcnt lgkmcnt(0)
	s_barrier
	ds_read_b128 v[70:73], v77
	ds_read_b128 v[66:69], v77 offset:16
	s_waitcnt vmcnt(15) lgkmcnt(1)
	v_mfma_f32_16x16x16_bf16 v[78:81], v[30:31], v[70:71], 0
	s_mov_b32 s3, 0
	v_cmp_gt_u32_e32 vcc, 64, v0
	v_mfma_f32_16x16x16_bf16 v[30:33], v[32:33], v[72:73], v[78:81]
	s_waitcnt vmcnt(14) lgkmcnt(0)
	v_mfma_f32_16x16x16_bf16 v[30:33], v[26:27], v[66:67], v[30:33]
	v_mfma_f32_16x16x16_bf16 v[26:29], v[28:29], v[68:69], v[30:33]
	s_nop 5
	ds_read_b128 v[30:33], v77 offset:2048
	ds_read_b128 v[78:81], v77 offset:2064
	s_waitcnt vmcnt(13) lgkmcnt(1)
	v_mfma_f32_16x16x16_bf16 v[26:29], v[22:23], v[30:31], v[26:29]
	v_mfma_f32_16x16x16_bf16 v[22:25], v[24:25], v[32:33], v[26:29]
	s_waitcnt vmcnt(12) lgkmcnt(0)
	v_mfma_f32_16x16x16_bf16 v[22:25], v[18:19], v[78:79], v[22:25]
	v_mfma_f32_16x16x16_bf16 v[18:21], v[20:21], v[80:81], v[22:25]
	s_nop 5
	ds_read_b128 v[22:25], v77 offset:4096
	ds_read_b128 v[26:29], v77 offset:4112
	s_waitcnt vmcnt(11) lgkmcnt(1)
	v_mfma_f32_16x16x16_bf16 v[18:21], v[14:15], v[22:23], v[18:21]
	v_mfma_f32_16x16x16_bf16 v[14:17], v[16:17], v[24:25], v[18:21]
	s_waitcnt vmcnt(10) lgkmcnt(0)
	v_mfma_f32_16x16x16_bf16 v[14:17], v[10:11], v[26:27], v[14:17]
	v_mfma_f32_16x16x16_bf16 v[10:13], v[12:13], v[28:29], v[14:17]
	s_nop 5
	ds_read_b128 v[14:17], v77 offset:6144
	ds_read_b128 v[18:21], v77 offset:6160
	s_waitcnt lgkmcnt(0)
	s_barrier
	s_waitcnt vmcnt(9)
	v_mfma_f32_16x16x16_bf16 v[10:13], v[6:7], v[14:15], v[10:13]
	v_mfma_f32_16x16x16_bf16 v[6:9], v[8:9], v[16:17], v[10:13]
	s_waitcnt vmcnt(8)
	v_mfma_f32_16x16x16_bf16 v[6:9], v[2:3], v[18:19], v[6:9]
	v_mfma_f32_16x16x16_bf16 v[2:5], v[4:5], v[20:21], v[6:9]
	;; [unrolled: 3-line block ×3, first 2 shown]
	s_nop 3
	v_bfe_u32 v10, v3, 16, 1
	v_bfe_u32 v11, v2, 16, 1
	v_add3_u32 v2, v2, v11, s8
	s_waitcnt vmcnt(6)
	v_mfma_f32_16x16x16_bf16 v[6:9], v[38:39], v[66:67], v[6:9]
	v_add3_u32 v3, v3, v10, s8
	v_perm_b32 v10, v3, v2, s9
	v_bfe_u32 v2, v5, 16, 1
	v_mfma_f32_16x16x16_bf16 v[6:9], v[40:41], v[68:69], v[6:9]
	v_bfe_u32 v3, v4, 16, 1
	v_add3_u32 v3, v4, v3, s8
	v_add3_u32 v2, v5, v2, s8
	s_waitcnt vmcnt(5)
	v_mfma_f32_16x16x16_bf16 v[6:9], v[42:43], v[30:31], v[6:9]
	v_perm_b32 v11, v2, v3, s9
	v_mfma_f32_16x16x16_bf16 v[6:9], v[44:45], v[32:33], v[6:9]
	s_waitcnt vmcnt(4)
	v_mfma_f32_16x16x16_bf16 v[6:9], v[34:35], v[78:79], v[6:9]
	v_mfma_f32_16x16x16_bf16 v[6:9], v[36:37], v[80:81], v[6:9]
	s_waitcnt vmcnt(3)
	v_mfma_f32_16x16x16_bf16 v[6:9], v[58:59], v[22:23], v[6:9]
	;; [unrolled: 3-line block ×5, first 2 shown]
	v_mfma_f32_16x16x16_bf16 v[2:5], v[52:53], v[20:21], v[6:9]
	s_nop 6
	v_bfe_u32 v6, v3, 16, 1
	v_bfe_u32 v7, v2, 16, 1
	v_add3_u32 v2, v2, v7, s8
	v_add3_u32 v3, v3, v6, s8
	v_perm_b32 v2, v3, v2, s9
	v_bfe_u32 v3, v5, 16, 1
	v_bfe_u32 v6, v4, 16, 1
	v_add3_u32 v4, v4, v6, s8
	v_add3_u32 v3, v5, v3, s8
	v_perm_b32 v3, v3, v4, s9
	ds_write2st64_b64 v1, v[10:11], v[2:3] offset1:1
	s_waitcnt lgkmcnt(0)
	s_barrier
	s_and_saveexec_b64 s[4:5], vcc
	s_cbranch_execz .LBB714_20
; %bb.18:
	s_load_dwordx2 s[4:5], s[0:1], 0x68
	s_lshl_b32 s0, s6, 7
	s_mul_i32 s1, s7, s2
	v_lshlrev_b32_e32 v3, 6, v76
	s_mul_hi_u32 s7, s1, s0
	s_mul_i32 s6, s1, s0
	v_lshlrev_b32_e32 v2, 4, v0
	v_lshl_or_b32 v0, v0, 10, v3
	s_lshl_b64 s[6:7], s[6:7], 1
	v_lshlrev_b32_e32 v1, 5, v86
	v_and_b32_e32 v2, 16, v2
	v_and_b32_e32 v0, 0x1a00, v0
	s_waitcnt lgkmcnt(0)
	s_add_u32 s1, s4, s6
	v_or3_b32 v2, v0, v1, v2
	s_addc_u32 s4, s5, s7
	s_lshl_b32 s2, s26, 7
	s_lshl_b64 s[2:3], s[2:3], 1
	ds_read_b128 v[4:7], v2
	s_add_u32 s2, s1, s2
	s_addc_u32 s3, s4, s3
	v_add_u32_e32 v3, s40, v86
	v_lshl_add_u64 v[0:1], v[74:75], 1, s[2:3]
	v_mad_u64_u32 v[8:9], s[2:3], v3, s0, 0
	v_lshl_add_u64 v[8:9], v[8:9], 1, v[0:1]
	v_cmp_ne_u32_e32 vcc, 3, v86
	s_waitcnt lgkmcnt(0)
	global_store_dwordx4 v[8:9], v[4:7], off
	s_and_b64 exec, exec, vcc
	s_cbranch_execz .LBB714_20
; %bb.19:
	ds_read_b128 v[2:5], v2 offset:128
	v_add3_u32 v6, s40, v86, 4
	v_mad_u64_u32 v[6:7], s[0:1], v6, s0, 0
	v_lshl_add_u64 v[0:1], v[6:7], 1, v[0:1]
	s_waitcnt lgkmcnt(0)
	global_store_dwordx4 v[0:1], v[2:5], off
.LBB714_20:
	s_endpgm
	.section	.rodata,"a",@progbits
	.p2align	6, 0x0
	.amdhsa_kernel _Z39paged_attention_ll4mi_QKV_mfma16_kernelI14__hip_bfloat16S0_LN4vllm18Fp8KVCacheDataTypeE0EhLi32ELi128ELi256ELb0ELi7EEvPKT_PKT0_S8_ifPKiSA_SA_iPKfiiiPfSD_PS3_PT2_iSC_SC_
		.amdhsa_group_segment_fixed_size 8192
		.amdhsa_private_segment_fixed_size 0
		.amdhsa_kernarg_size 400
		.amdhsa_user_sgpr_count 2
		.amdhsa_user_sgpr_dispatch_ptr 0
		.amdhsa_user_sgpr_queue_ptr 0
		.amdhsa_user_sgpr_kernarg_segment_ptr 1
		.amdhsa_user_sgpr_dispatch_id 0
		.amdhsa_user_sgpr_kernarg_preload_length 0
		.amdhsa_user_sgpr_kernarg_preload_offset 0
		.amdhsa_user_sgpr_private_segment_size 0
		.amdhsa_uses_dynamic_stack 0
		.amdhsa_enable_private_segment 0
		.amdhsa_system_sgpr_workgroup_id_x 1
		.amdhsa_system_sgpr_workgroup_id_y 1
		.amdhsa_system_sgpr_workgroup_id_z 1
		.amdhsa_system_sgpr_workgroup_info 0
		.amdhsa_system_vgpr_workitem_id 0
		.amdhsa_next_free_vgpr 96
		.amdhsa_next_free_sgpr 42
		.amdhsa_accum_offset 96
		.amdhsa_reserve_vcc 1
		.amdhsa_float_round_mode_32 0
		.amdhsa_float_round_mode_16_64 0
		.amdhsa_float_denorm_mode_32 3
		.amdhsa_float_denorm_mode_16_64 3
		.amdhsa_dx10_clamp 1
		.amdhsa_ieee_mode 1
		.amdhsa_fp16_overflow 0
		.amdhsa_tg_split 0
		.amdhsa_exception_fp_ieee_invalid_op 0
		.amdhsa_exception_fp_denorm_src 0
		.amdhsa_exception_fp_ieee_div_zero 0
		.amdhsa_exception_fp_ieee_overflow 0
		.amdhsa_exception_fp_ieee_underflow 0
		.amdhsa_exception_fp_ieee_inexact 0
		.amdhsa_exception_int_div_zero 0
	.end_amdhsa_kernel
	.section	.text._Z39paged_attention_ll4mi_QKV_mfma16_kernelI14__hip_bfloat16S0_LN4vllm18Fp8KVCacheDataTypeE0EhLi32ELi128ELi256ELb0ELi7EEvPKT_PKT0_S8_ifPKiSA_SA_iPKfiiiPfSD_PS3_PT2_iSC_SC_,"axG",@progbits,_Z39paged_attention_ll4mi_QKV_mfma16_kernelI14__hip_bfloat16S0_LN4vllm18Fp8KVCacheDataTypeE0EhLi32ELi128ELi256ELb0ELi7EEvPKT_PKT0_S8_ifPKiSA_SA_iPKfiiiPfSD_PS3_PT2_iSC_SC_,comdat
.Lfunc_end714:
	.size	_Z39paged_attention_ll4mi_QKV_mfma16_kernelI14__hip_bfloat16S0_LN4vllm18Fp8KVCacheDataTypeE0EhLi32ELi128ELi256ELb0ELi7EEvPKT_PKT0_S8_ifPKiSA_SA_iPKfiiiPfSD_PS3_PT2_iSC_SC_, .Lfunc_end714-_Z39paged_attention_ll4mi_QKV_mfma16_kernelI14__hip_bfloat16S0_LN4vllm18Fp8KVCacheDataTypeE0EhLi32ELi128ELi256ELb0ELi7EEvPKT_PKT0_S8_ifPKiSA_SA_iPKfiiiPfSD_PS3_PT2_iSC_SC_
                                        ; -- End function
	.section	.AMDGPU.csdata,"",@progbits
; Kernel info:
; codeLenInByte = 4852
; NumSgprs: 48
; NumVgprs: 96
; NumAgprs: 0
; TotalNumVgprs: 96
; ScratchSize: 0
; MemoryBound: 0
; FloatMode: 240
; IeeeMode: 1
; LDSByteSize: 8192 bytes/workgroup (compile time only)
; SGPRBlocks: 5
; VGPRBlocks: 11
; NumSGPRsForWavesPerEU: 48
; NumVGPRsForWavesPerEU: 96
; AccumOffset: 96
; Occupancy: 5
; WaveLimiterHint : 1
; COMPUTE_PGM_RSRC2:SCRATCH_EN: 0
; COMPUTE_PGM_RSRC2:USER_SGPR: 2
; COMPUTE_PGM_RSRC2:TRAP_HANDLER: 0
; COMPUTE_PGM_RSRC2:TGID_X_EN: 1
; COMPUTE_PGM_RSRC2:TGID_Y_EN: 1
; COMPUTE_PGM_RSRC2:TGID_Z_EN: 1
; COMPUTE_PGM_RSRC2:TIDIG_COMP_CNT: 0
; COMPUTE_PGM_RSRC3_GFX90A:ACCUM_OFFSET: 23
; COMPUTE_PGM_RSRC3_GFX90A:TG_SPLIT: 0
	.section	.text._Z39paged_attention_ll4mi_QKV_mfma16_kernelI14__hip_bfloat16S0_LN4vllm18Fp8KVCacheDataTypeE0EhLi32ELi128ELi256ELb0ELi8EEvPKT_PKT0_S8_ifPKiSA_SA_iPKfiiiPfSD_PS3_PT2_iSC_SC_,"axG",@progbits,_Z39paged_attention_ll4mi_QKV_mfma16_kernelI14__hip_bfloat16S0_LN4vllm18Fp8KVCacheDataTypeE0EhLi32ELi128ELi256ELb0ELi8EEvPKT_PKT0_S8_ifPKiSA_SA_iPKfiiiPfSD_PS3_PT2_iSC_SC_,comdat
	.protected	_Z39paged_attention_ll4mi_QKV_mfma16_kernelI14__hip_bfloat16S0_LN4vllm18Fp8KVCacheDataTypeE0EhLi32ELi128ELi256ELb0ELi8EEvPKT_PKT0_S8_ifPKiSA_SA_iPKfiiiPfSD_PS3_PT2_iSC_SC_ ; -- Begin function _Z39paged_attention_ll4mi_QKV_mfma16_kernelI14__hip_bfloat16S0_LN4vllm18Fp8KVCacheDataTypeE0EhLi32ELi128ELi256ELb0ELi8EEvPKT_PKT0_S8_ifPKiSA_SA_iPKfiiiPfSD_PS3_PT2_iSC_SC_
	.globl	_Z39paged_attention_ll4mi_QKV_mfma16_kernelI14__hip_bfloat16S0_LN4vllm18Fp8KVCacheDataTypeE0EhLi32ELi128ELi256ELb0ELi8EEvPKT_PKT0_S8_ifPKiSA_SA_iPKfiiiPfSD_PS3_PT2_iSC_SC_
	.p2align	8
	.type	_Z39paged_attention_ll4mi_QKV_mfma16_kernelI14__hip_bfloat16S0_LN4vllm18Fp8KVCacheDataTypeE0EhLi32ELi128ELi256ELb0ELi8EEvPKT_PKT0_S8_ifPKiSA_SA_iPKfiiiPfSD_PS3_PT2_iSC_SC_,@function
_Z39paged_attention_ll4mi_QKV_mfma16_kernelI14__hip_bfloat16S0_LN4vllm18Fp8KVCacheDataTypeE0EhLi32ELi128ELi256ELb0ELi8EEvPKT_PKT0_S8_ifPKiSA_SA_iPKfiiiPfSD_PS3_PT2_iSC_SC_: ; @_Z39paged_attention_ll4mi_QKV_mfma16_kernelI14__hip_bfloat16S0_LN4vllm18Fp8KVCacheDataTypeE0EhLi32ELi128ELi256ELb0ELi8EEvPKT_PKT0_S8_ifPKiSA_SA_iPKfiiiPfSD_PS3_PT2_iSC_SC_
; %bb.0:
	s_load_dwordx2 s[8:9], s[0:1], 0x30
	s_mov_b32 s26, s3
	s_mov_b64 s[6:7], 0
	s_waitcnt lgkmcnt(0)
	s_cmp_lg_u64 s[8:9], 0
	s_cselect_b64 s[10:11], -1, 0
	s_and_b64 vcc, exec, s[10:11]
	s_cbranch_vccz .LBB715_7
; %bb.1:
	s_add_i32 s12, s2, 1
	s_mov_b32 s13, 0
	s_lshl_b64 s[14:15], s[12:13], 2
	s_add_u32 s14, s8, s14
	s_mov_b32 s3, s13
	s_addc_u32 s15, s9, s15
	s_lshl_b64 s[12:13], s[2:3], 2
	s_add_u32 s12, s8, s12
	s_addc_u32 s13, s9, s13
	s_load_dword s5, s[14:15], 0x0
	s_load_dword s16, s[12:13], 0x0
	s_waitcnt lgkmcnt(0)
	s_sub_i32 s5, s5, s16
	s_cmp_eq_u32 s5, 1
	s_cselect_b64 s[12:13], -1, 0
	s_andn2_b64 vcc, exec, s[6:7]
	s_cbranch_vccnz .LBB715_3
.LBB715_2:
	s_mov_b32 s3, 0
	s_mov_b64 s[12:13], -1
.LBB715_3:
	s_andn2_b64 vcc, exec, s[12:13]
	s_cbranch_vccnz .LBB715_19
; %bb.4:
	s_load_dwordx2 s[6:7], s[0:1], 0x28
	s_lshl_b64 s[12:13], s[2:3], 2
	s_waitcnt lgkmcnt(0)
	s_add_u32 s6, s6, s12
	s_addc_u32 s7, s7, s13
	s_load_dword s38, s[6:7], 0x0
	s_lshl_b32 s18, s26, 8
	s_waitcnt lgkmcnt(0)
	s_cmp_ge_i32 s18, s38
	s_cbranch_scc1 .LBB715_19
; %bb.5:
	s_load_dwordx2 s[6:7], s[0:1], 0x20
	s_load_dword s5, s[0:1], 0x38
	s_add_i32 s14, s38, 31
	s_ashr_i32 s15, s14, 31
	v_and_b32_e32 v1, 0xcf, v0
	s_lshr_b32 s15, s15, 27
	v_add_u32_e32 v1, s18, v1
	s_add_i32 s14, s14, s15
	v_ashrrev_i32_e32 v2, 31, v1
	s_ashr_i32 s19, s14, 5
	v_lshrrev_b32_e32 v8, 27, v2
	s_add_i32 s19, s19, -1
	s_waitcnt lgkmcnt(0)
	s_mul_i32 s14, s2, s5
	s_mov_b32 s15, 0
	v_add_u32_e32 v2, v1, v8
	s_lshl_b64 s[14:15], s[14:15], 2
	v_ashrrev_i32_e32 v2, 5, v2
	v_mov_b32_e32 v9, s19
	v_cmp_gt_i32_e32 vcc, s38, v1
	s_add_u32 s6, s6, s14
	s_addc_u32 s7, s7, s15
	v_cndmask_b32_e32 v2, v9, v2, vcc
	v_ashrrev_i32_e32 v3, 31, v2
	v_lshl_add_u64 v[4:5], v[2:3], 2, s[6:7]
	v_or_b32_e32 v2, 16, v1
	v_add_u32_e32 v3, v2, v8
	v_ashrrev_i32_e32 v3, 5, v3
	v_cmp_gt_i32_e32 vcc, s38, v2
	s_nop 1
	v_cndmask_b32_e32 v2, v9, v3, vcc
	v_ashrrev_i32_e32 v3, 31, v2
	v_lshl_add_u64 v[6:7], v[2:3], 2, s[6:7]
	v_or_b32_e32 v2, 32, v1
	v_add_u32_e32 v3, v2, v8
	v_ashrrev_i32_e32 v3, 5, v3
	v_cmp_gt_i32_e32 vcc, s38, v2
	v_or_b32_e32 v1, 48, v1
	s_nop 0
	v_cndmask_b32_e32 v2, v9, v3, vcc
	v_ashrrev_i32_e32 v3, 31, v2
	v_lshl_add_u64 v[10:11], v[2:3], 2, s[6:7]
	v_add_u32_e32 v2, v1, v8
	v_ashrrev_i32_e32 v2, 5, v2
	v_cmp_gt_i32_e32 vcc, s38, v1
	s_nop 1
	v_cndmask_b32_e32 v2, v9, v2, vcc
	v_ashrrev_i32_e32 v3, 31, v2
	v_lshl_add_u64 v[12:13], v[2:3], 2, s[6:7]
	global_load_dword v2, v[4:5], off
	global_load_dword v9, v[6:7], off
	;; [unrolled: 1-line block ×4, first 2 shown]
	s_andn2_b64 vcc, exec, s[10:11]
	s_cbranch_vccnz .LBB715_8
; %bb.6:
	s_add_u32 s8, s8, s12
	s_addc_u32 s9, s9, s13
	s_load_dword s5, s[8:9], 0x0
	s_branch .LBB715_9
.LBB715_7:
	s_mov_b64 s[12:13], 0
	s_branch .LBB715_2
.LBB715_8:
	s_mov_b32 s5, s2
.LBB715_9:
	s_load_dwordx4 s[12:15], s[0:1], 0x8
	s_load_dwordx4 s[8:11], s[0:1], 0x48
	v_and_b32_e32 v1, 15, v0
	s_waitcnt lgkmcnt(0)
	s_movk_i32 s11, 0x7f
	v_lshlrev_b32_e32 v84, 3, v1
	v_cmp_lt_u32_e32 vcc, s11, v0
	s_and_saveexec_b64 s[16:17], vcc
	s_xor_b64 s[16:17], exec, s[16:17]
; %bb.10:
	v_mov_b32_e32 v85, 0
; %bb.11:
	s_or_saveexec_b64 s[16:17], s[16:17]
	v_lshrrev_b32_e32 v1, 6, v0
	s_lshl_b32 s27, s4, 3
	v_bfe_u32 v49, v0, 4, 2
	s_xor_b64 exec, exec, s[16:17]
	s_cbranch_execz .LBB715_13
; %bb.12:
	s_load_dwordx2 s[20:21], s[0:1], 0x0
	s_ashr_i32 s11, s8, 31
	s_mul_hi_u32 s22, s5, s8
	s_mul_i32 s11, s5, s11
	s_add_i32 s23, s22, s11
	s_mul_i32 s22, s5, s8
	v_lshl_or_b32 v3, v1, 2, v49
	s_lshl_b64 s[22:23], s[22:23], 1
	s_waitcnt lgkmcnt(0)
	s_add_u32 s20, s20, s22
	v_add_lshl_u32 v4, v3, s27, 7
	s_addc_u32 s21, s21, s23
	v_ashrrev_i32_e32 v5, 31, v4
	v_mov_b32_e32 v85, 0
	v_lshl_add_u64 v[4:5], v[4:5], 1, s[20:21]
	v_lshlrev_b32_e32 v6, 1, v84
	v_mov_b32_e32 v7, v85
	v_lshl_add_u64 v[4:5], v[4:5], 0, v[6:7]
	global_load_dwordx4 v[4:7], v[4:5], off
	v_and_b32_e32 v1, 15, v0
	v_and_b32_e32 v10, 3, v0
	v_lshlrev_b32_e32 v11, 9, v1
	v_lshlrev_b32_e32 v3, 5, v3
	v_lshlrev_b32_e32 v10, 9, v10
	v_and_b32_e32 v11, 0x1800, v11
	v_or3_b32 v3, v11, v10, v3
	s_waitcnt vmcnt(0)
	ds_write_b128 v3, v[4:7]
.LBB715_13:
	s_or_b64 exec, exec, s[16:17]
	s_mul_i32 s4, s4, s10
	s_mov_b32 s5, 0
	s_lshl_b64 s[4:5], s[4:5], 1
	s_add_u32 s10, s12, s4
	s_addc_u32 s11, s13, s5
	s_waitcnt vmcnt(3)
	v_mad_i64_i32 v[2:3], s[12:13], v2, s9, 0
	v_mov_b32_e32 v55, 0
	s_waitcnt vmcnt(2)
	v_mad_i64_i32 v[10:11], s[12:13], v9, s9, 0
	v_mov_b32_e32 v9, 0x100
	v_and_b32_e32 v1, 15, v0
	v_lshl_add_u64 v[2:3], v[2:3], 1, s[10:11]
	v_lshlrev_b64 v[6:7], 1, v[84:85]
	v_lshl_add_u64 v[10:11], v[10:11], 1, s[10:11]
	v_lshl_or_b32 v56, v1, 4, v9
	v_mov_b32_e32 v57, v55
	v_lshlrev_b32_e32 v54, 9, v49
	v_lshl_add_u64 v[2:3], v[2:3], 0, v[6:7]
	v_lshl_add_u64 v[18:19], v[10:11], 0, v[56:57]
	;; [unrolled: 1-line block ×4, first 2 shown]
	s_load_dword s33, s[0:1], 0x98
	s_load_dword s8, s[0:1], 0x1c
	s_waitcnt lgkmcnt(0)
	s_barrier
	global_load_dwordx4 v[14:17], v[4:5], off
	global_load_dwordx4 v[10:13], v[20:21], off
	s_waitcnt vmcnt(3)
	v_mad_i64_i32 v[8:9], s[12:13], v8, s9, 0
	v_lshl_add_u64 v[8:9], v[8:9], 1, s[10:11]
	v_lshl_add_u64 v[60:61], v[8:9], 0, v[6:7]
	;; [unrolled: 1-line block ×3, first 2 shown]
	global_load_dwordx4 v[6:9], v[46:47], off
	global_load_dwordx4 v[42:45], v[4:5], off offset:2048
	global_load_dwordx4 v[38:41], v[20:21], off offset:2048
	v_or_b32_e32 v62, 0x1000, v54
	v_mov_b32_e32 v63, v55
	v_lshl_add_u64 v[4:5], v[2:3], 0, v[62:63]
	global_load_dwordx4 v[30:33], v[4:5], off
	v_or_b32_e32 v58, 0x1800, v54
	v_mov_b32_e32 v59, v55
	v_lshl_add_u64 v[2:3], v[2:3], 0, v[58:59]
	global_load_dwordx4 v[22:25], v[2:3], off
	v_lshl_add_u64 v[4:5], v[18:19], 0, v[62:63]
	global_load_dwordx4 v[26:29], v[4:5], off
	;; [unrolled: 2-line block ×3, first 2 shown]
	v_and_b32_e32 v2, 7, v0
	v_lshl_or_b32 v48, v2, 5, v54
	ds_read_b128 v[2:5], v48
	s_waitcnt vmcnt(9)
	v_mad_i64_i32 v[64:65], s[12:13], v34, s9, 0
	ds_read_b128 v[34:37], v48 offset:2048
	global_load_dwordx4 v[76:79], v[46:47], off offset:2048
	v_mov_b32_e32 v1, v49
	ds_read_b128 v[50:53], v48 offset:4096
	ds_read_b128 v[46:49], v48 offset:6144
	s_ashr_i32 s12, s18, 31
	v_and_or_b32 v74, v0, 48, s18
	v_mov_b32_e32 v75, s19
	v_cmp_gt_i32_e32 vcc, s38, v74
	v_or_b32_e32 v87, 64, v74
	v_or_b32_e32 v88, 0x80, v74
	;; [unrolled: 1-line block ×3, first 2 shown]
	s_mov_b32 s40, 0xff7fffff
	s_waitcnt vmcnt(7) lgkmcnt(3)
	v_mfma_f32_16x16x16_bf16 v[80:83], v[6:7], v[2:3], 0
	v_lshl_add_u64 v[6:7], v[64:65], 1, s[10:11]
	s_lshr_b32 s10, s12, 27
	v_lshl_add_u64 v[6:7], v[6:7], 0, v[56:57]
	v_mfma_f32_16x16x16_bf16 v[70:73], v[10:11], v[2:3], 0
	v_lshl_add_u64 v[64:65], v[6:7], 0, v[54:55]
	v_lshl_add_u64 v[56:57], v[60:61], 0, v[58:59]
	s_add_u32 s4, s14, s4
	v_mfma_f32_16x16x16_bf16 v[66:69], v[14:15], v[2:3], 0
	s_addc_u32 s5, s15, s5
	v_mfma_f32_16x16x16_bf16 v[10:13], v[12:13], v[4:5], v[70:73]
	v_mfma_f32_16x16x16_bf16 v[14:17], v[16:17], v[4:5], v[66:69]
	s_nop 1
	v_lshl_add_u64 v[72:73], v[6:7], 0, v[62:63]
	global_load_dwordx4 v[92:95], v[72:73], off
	s_waitcnt vmcnt(6) lgkmcnt(2)
	v_mfma_f32_16x16x16_bf16 v[10:13], v[38:39], v[34:35], v[10:13]
	v_add_u32_e32 v66, s10, v74
	v_ashrrev_i32_e32 v54, 5, v66
	v_add_u32_e32 v67, s10, v87
	v_mfma_f32_16x16x16_bf16 v[14:17], v[42:43], v[34:35], v[14:17]
	v_lshl_add_u64 v[42:43], v[60:61], 0, v[62:63]
	v_ashrrev_i32_e32 v60, 5, v67
	v_add_u32_e32 v68, s10, v88
	v_mfma_f32_16x16x16_bf16 v[10:13], v[40:41], v[36:37], v[10:13]
	global_load_dwordx4 v[38:41], v[42:43], off
	v_cndmask_b32_e32 v42, v75, v54, vcc
	v_ashrrev_i32_e32 v43, 31, v42
	v_mfma_f32_16x16x16_bf16 v[14:17], v[44:45], v[36:37], v[14:17]
	v_cmp_gt_i32_e32 vcc, s38, v87
	v_ashrrev_i32_e32 v66, 5, v68
	v_add_u32_e32 v69, s10, v89
	s_waitcnt vmcnt(6) lgkmcnt(1)
	v_mfma_f32_16x16x16_bf16 v[14:17], v[30:31], v[50:51], v[14:17]
	v_lshl_add_u64 v[30:31], v[42:43], 2, s[6:7]
	global_load_dwordx4 v[42:45], v[56:57], off
	v_ashrrev_i32_e32 v68, 5, v69
	global_load_dword v30, v[30:31], off
	s_waitcnt vmcnt(6)
	v_mfma_f32_16x16x16_bf16 v[10:13], v[26:27], v[50:51], v[10:13]
	v_cndmask_b32_e32 v26, v75, v60, vcc
	v_ashrrev_i32_e32 v27, 31, v26
	v_lshl_add_u64 v[26:27], v[26:27], 2, s[6:7]
	global_load_dwordx4 v[60:63], v[64:65], off
	global_load_dword v56, v[26:27], off
	v_mfma_f32_16x16x16_bf16 v[14:17], v[32:33], v[52:53], v[14:17]
	v_cmp_gt_i32_e32 vcc, s38, v88
	s_nop 1
	v_cndmask_b32_e32 v26, v75, v66, vcc
	v_ashrrev_i32_e32 v27, 31, v26
	s_waitcnt lgkmcnt(0)
	v_mfma_f32_16x16x16_bf16 v[14:17], v[22:23], v[46:47], v[14:17]
	v_lshl_add_u64 v[22:23], v[26:27], 2, s[6:7]
	global_load_dword v57, v[22:23], off
	v_cmp_gt_i32_e32 vcc, s38, v89
	global_load_dwordx4 v[64:67], v[64:65], off offset:2048
	v_mfma_f32_16x16x16_bf16 v[10:13], v[28:29], v[52:53], v[10:13]
	s_waitcnt vmcnt(9)
	v_mfma_f32_16x16x16_bf16 v[10:13], v[18:19], v[46:47], v[10:13]
	v_cndmask_b32_e32 v18, v75, v68, vcc
	v_ashrrev_i32_e32 v19, 31, v18
	v_mfma_f32_16x16x16_bf16 v[88:91], v[20:21], v[48:49], v[10:13]
	s_nop 3
	v_lshl_add_u64 v[10:11], v[6:7], 0, v[58:59]
	global_load_dwordx4 v[72:75], v[10:11], off
	v_mfma_f32_16x16x16_bf16 v[68:71], v[24:25], v[48:49], v[14:17]
	v_and_b32_e32 v10, 16, v0
	v_lshlrev_b32_e32 v54, 1, v10
	v_and_b32_e32 v10, 15, v0
	v_lshl_add_u64 v[14:15], v[18:19], 2, s[6:7]
	global_load_dword v86, v[14:15], off
	v_mfma_f32_16x16x16_bf16 v[6:9], v[8:9], v[4:5], v[80:83]
	v_lshrrev_b32_e32 v11, 6, v0
	v_lshl_or_b32 v87, v11, 4, v10
	v_lshl_add_u64 v[58:59], s[4:5], 0, v[54:55]
	s_waitcnt vmcnt(10)
	v_mfma_f32_16x16x16_bf16 v[6:9], v[76:77], v[34:35], v[6:9]
	v_lshlrev_b32_e32 v54, 6, v87
	v_lshl_add_u64 v[76:77], v[58:59], 0, v[54:55]
	v_pk_mul_f32 v[80:81], s[8:9], v[70:71] op_sel_hi:[0,1]
	v_mfma_f32_16x16x16_bf16 v[6:9], v[78:79], v[36:37], v[6:9]
	v_pk_mul_f32 v[70:71], s[8:9], v[88:89] op_sel_hi:[0,1]
	v_pk_mul_f32 v[82:83], s[8:9], v[90:91] op_sel_hi:[0,1]
	v_or_b32_e32 v54, 0x1000, v54
	s_waitcnt vmcnt(8)
	v_mfma_f32_16x16x16_bf16 v[6:9], v[38:39], v[50:51], v[6:9]
	s_waitcnt vmcnt(6)
	v_mad_i64_i32 v[10:11], s[4:5], v30, s9, 0
	v_mfma_f32_16x16x16_bf16 v[6:9], v[40:41], v[52:53], v[6:9]
	v_lshlrev_b64 v[78:79], 1, v[10:11]
	v_lshl_add_u64 v[10:11], v[76:77], 0, v[78:79]
	global_load_dwordx4 v[30:33], v[10:11], off
	global_load_dwordx4 v[26:29], v[10:11], off offset:16
	v_mfma_f32_16x16x16_bf16 v[6:9], v[42:43], v[46:47], v[6:9]
	s_waitcnt vmcnt(6)
	v_mad_i64_i32 v[10:11], s[4:5], v56, s9, 0
	v_lshlrev_b64 v[42:43], 1, v[10:11]
	v_mfma_f32_16x16x16_bf16 v[38:41], v[44:45], v[48:49], v[6:9]
	s_nop 2
	v_lshl_add_u64 v[6:7], v[76:77], 0, v[42:43]
	global_load_dwordx4 v[22:25], v[6:7], off
	global_load_dwordx4 v[18:21], v[6:7], off offset:16
	v_mfma_f32_16x16x16_bf16 v[6:9], v[60:61], v[2:3], 0
	s_waitcnt vmcnt(7)
	v_mad_i64_i32 v[2:3], s[4:5], v57, s9, 0
	v_lshlrev_b64 v[56:57], 1, v[2:3]
	v_mfma_f32_16x16x16_bf16 v[2:5], v[62:63], v[4:5], v[6:9]
	s_waitcnt vmcnt(6)
	v_mfma_f32_16x16x16_bf16 v[2:5], v[64:65], v[34:35], v[2:5]
	s_nop 0
	v_lshl_add_u64 v[6:7], v[76:77], 0, v[56:57]
	global_load_dwordx4 v[14:17], v[6:7], off
	global_load_dwordx4 v[10:13], v[6:7], off offset:16
	v_lshl_add_u64 v[64:65], v[58:59], 0, v[54:55]
	v_mfma_f32_16x16x16_bf16 v[34:37], v[66:67], v[36:37], v[2:5]
	v_lshl_add_u64 v[44:45], v[64:65], 0, v[78:79]
	v_pk_mul_f32 v[78:79], s[8:9], v[40:41] op_sel_hi:[0,1]
	s_waitcnt vmcnt(6)
	v_mad_i64_i32 v[6:7], s[4:5], v86, s9, 0
	v_mfma_f32_16x16x16_bf16 v[34:37], v[92:93], v[50:51], v[34:37]
	v_pk_mul_f32 v[50:51], s[8:9], v[68:69] op_sel_hi:[0,1]
	v_lshlrev_b64 v[62:63], 1, v[6:7]
	v_lshl_add_u64 v[2:3], v[76:77], 0, v[62:63]
	v_mfma_f32_16x16x16_bf16 v[34:37], v[94:95], v[52:53], v[34:37]
	v_pk_mul_f32 v[76:77], s[8:9], v[38:39] op_sel_hi:[0,1]
	global_load_dwordx4 v[6:9], v[2:3], off
	s_nop 0
	global_load_dwordx4 v[2:5], v[2:3], off offset:16
	v_mfma_f32_16x16x16_bf16 v[34:37], v[72:73], v[46:47], v[34:37]
	v_mfma_f32_16x16x16_bf16 v[34:37], v[74:75], v[48:49], v[34:37]
	s_nop 6
	v_pk_mul_f32 v[72:73], s[8:9], v[34:35] op_sel_hi:[0,1]
	v_and_b32_e32 v34, 0xc0, v0
	v_add_u32_e32 v34, s18, v34
	v_lshl_or_b32 v34, v1, 2, v34
	v_pk_mul_f32 v[66:67], s[8:9], v[36:37] op_sel_hi:[0,1]
	v_or_b32_e32 v37, 1, v34
	v_mov_b32_e32 v35, 0xff7fffff
	v_cmp_gt_i32_e64 s[28:29], s38, v34
	v_cmp_gt_i32_e64 s[30:31], s38, v37
	v_or_b32_e32 v38, 3, v34
	v_cndmask_b32_e64 v36, v35, v50, s[28:29]
	v_cndmask_b32_e64 v37, v35, v51, s[30:31]
	v_max3_f32 v36, v36, s40, v37
	v_or_b32_e32 v37, 2, v34
	v_cmp_gt_i32_e64 s[34:35], s38, v37
	v_cmp_gt_i32_e64 s[36:37], s38, v38
	v_and_b32_e32 v1, 63, v0
	v_cndmask_b32_e64 v37, v35, v80, s[34:35]
	v_cndmask_b32_e64 v38, v35, v81, s[36:37]
	v_max3_f32 v36, v36, v37, v38
	v_or_b32_e32 v37, 16, v34
	v_or_b32_e32 v38, 17, v34
	v_cmp_gt_i32_e64 s[22:23], s38, v37
	v_cmp_gt_i32_e64 s[24:25], s38, v38
	s_nop 0
	v_cndmask_b32_e64 v37, v35, v70, s[22:23]
	v_cndmask_b32_e64 v38, v35, v71, s[24:25]
	v_max3_f32 v36, v36, v37, v38
	v_or_b32_e32 v37, 18, v34
	v_or_b32_e32 v38, 19, v34
	v_cmp_gt_i32_e64 s[18:19], s38, v37
	v_cmp_gt_i32_e64 s[20:21], s38, v38
	s_nop 0
	;; [unrolled: 8-line block ×5, first 2 shown]
	v_cndmask_b32_e64 v37, v35, v72, s[6:7]
	v_cndmask_b32_e64 v38, v35, v73, s[8:9]
	v_max3_f32 v36, v36, v37, v38
	v_or_b32_e32 v37, 50, v34
	v_or_b32_e32 v34, 51, v34
	v_cmp_gt_i32_e32 vcc, s38, v37
	v_cmp_gt_i32_e64 s[4:5], s38, v34
	global_load_dwordx4 v[46:49], v[44:45], off
	global_load_dwordx4 v[38:41], v[44:45], off offset:16
	v_cndmask_b32_e32 v37, v35, v66, vcc
	v_cndmask_b32_e64 v34, v35, v67, s[4:5]
	v_max3_f32 v52, v36, v37, v34
	v_mbcnt_lo_u32_b32 v34, -1, 0
	v_mbcnt_hi_u32_b32 v53, -1, v34
	v_and_b32_e32 v34, 64, v53
	v_add_u32_e32 v54, 64, v34
	v_xor_b32_e32 v34, 32, v53
	v_cmp_lt_i32_e64 s[38:39], v34, v54
	s_nop 1
	v_cndmask_b32_e64 v34, v53, v34, s[38:39]
	v_lshlrev_b32_e32 v74, 2, v34
	ds_bpermute_b32 v55, v74, v52
	v_lshl_add_u64 v[34:35], v[64:65], 0, v[42:43]
	global_load_dwordx4 v[42:45], v[34:35], off
	s_nop 0
	global_load_dwordx4 v[34:37], v[34:35], off offset:16
	s_waitcnt lgkmcnt(0)
	v_max_f32_e32 v55, v55, v55
	v_max_f32_e32 v68, v52, v55
	v_xor_b32_e32 v52, 16, v53
	v_cmp_lt_i32_e64 s[38:39], v52, v54
	s_nop 1
	v_cndmask_b32_e64 v52, v53, v52, s[38:39]
	v_lshlrev_b32_e32 v75, 2, v52
	ds_bpermute_b32 v69, v75, v68
	v_lshl_add_u64 v[52:53], v[64:65], 0, v[56:57]
	global_load_dwordx4 v[58:61], v[52:53], off
	global_load_dwordx4 v[54:57], v[52:53], off offset:16
	v_lshl_add_u64 v[52:53], v[64:65], 0, v[62:63]
	s_waitcnt lgkmcnt(0)
	v_max_f32_e32 v62, v69, v69
	v_max_f32_e32 v88, v68, v62
	v_sub_f32_e32 v50, v50, v88
	v_mul_f32_e32 v50, 0x3fb8aa3b, v50
	v_exp_f32_e32 v68, v50
	v_sub_f32_e32 v50, v51, v88
	v_mul_f32_e32 v50, 0x3fb8aa3b, v50
	v_exp_f32_e32 v69, v50
	global_load_dwordx4 v[62:65], v[52:53], off
	s_nop 0
	global_load_dwordx4 v[50:53], v[52:53], off offset:16
	v_sub_f32_e32 v80, v80, v88
	v_mul_f32_e32 v80, 0x3fb8aa3b, v80
	v_sub_f32_e32 v81, v81, v88
	v_exp_f32_e32 v80, v80
	v_mul_f32_e32 v81, 0x3fb8aa3b, v81
	v_sub_f32_e32 v70, v70, v88
	v_exp_f32_e32 v81, v81
	v_mul_f32_e32 v70, 0x3fb8aa3b, v70
	v_sub_f32_e32 v71, v71, v88
	v_cndmask_b32_e64 v68, 0, v68, s[28:29]
	v_exp_f32_e32 v70, v70
	v_mul_f32_e32 v71, 0x3fb8aa3b, v71
	v_sub_f32_e32 v82, v82, v88
	v_add_f32_e32 v86, 0, v68
	v_cndmask_b32_e64 v69, 0, v69, s[30:31]
	v_exp_f32_e32 v71, v71
	v_mul_f32_e32 v82, 0x3fb8aa3b, v82
	v_sub_f32_e32 v83, v83, v88
	v_add_f32_e32 v86, v86, v69
	;; [unrolled: 5-line block ×10, first 2 shown]
	v_cndmask_b32_e64 v78, 0, v78, s[10:11]
	v_exp_f32_e32 v66, v66
	v_mul_f32_e32 v67, 0x3fb8aa3b, v67
	v_add_f32_e32 v86, v86, v78
	v_cndmask_b32_e64 v79, 0, v79, s[12:13]
	v_exp_f32_e32 v67, v67
	v_add_f32_e32 v86, v86, v79
	v_cndmask_b32_e64 v72, 0, v72, s[6:7]
	v_add_f32_e32 v86, v86, v72
	v_cndmask_b32_e64 v73, 0, v73, s[8:9]
	v_add_f32_e32 v86, v86, v73
	v_cndmask_b32_e32 v66, 0, v66, vcc
	v_add_f32_e32 v86, v86, v66
	v_cndmask_b32_e64 v67, 0, v67, s[4:5]
	v_add_f32_e32 v86, v86, v67
	ds_bpermute_b32 v74, v74, v86
	v_cmp_gt_u32_e32 vcc, 16, v1
	s_waitcnt lgkmcnt(0)
	s_barrier
	v_add_f32_e32 v89, v86, v74
	ds_bpermute_b32 v90, v75, v89
	s_and_saveexec_b64 s[4:5], vcc
	s_cbranch_execz .LBB715_15
; %bb.14:
	s_waitcnt lgkmcnt(0)
	v_add_f32_e32 v74, v89, v90
	v_lshlrev_b32_e32 v75, 2, v87
	ds_write2st64_b32 v75, v88, v74 offset1:1
.LBB715_15:
	s_or_b64 exec, exec, s[4:5]
	v_and_b32_e32 v1, 15, v0
	v_lshlrev_b32_e32 v87, 2, v1
	s_load_dword s6, s[0:1], 0x94
	s_waitcnt lgkmcnt(0)
	s_barrier
	ds_read2_b32 v[74:75], v87 offset1:16
	ds_read2_b32 v[88:89], v87 offset0:32 offset1:48
	ds_read2_b32 v[90:91], v87 offset0:64 offset1:80
	s_movk_i32 s8, 0x7fff
	s_mov_b32 s9, 0x7060302
	s_waitcnt lgkmcnt(2)
	v_max3_f32 v86, v74, s40, v75
	s_waitcnt lgkmcnt(1)
	v_max3_f32 v86, v86, v88, v89
	v_sub_f32_e32 v74, v74, v86
	v_mul_f32_e32 v74, 0x3fb8aa3b, v74
	v_exp_f32_e32 v92, v74
	v_sub_f32_e32 v74, v75, v86
	v_mul_f32_e32 v74, 0x3fb8aa3b, v74
	v_exp_f32_e32 v93, v74
	;; [unrolled: 3-line block ×3, first 2 shown]
	ds_read2_b32 v[74:75], v87 offset0:96 offset1:112
	v_sub_f32_e32 v87, v89, v86
	v_mul_f32_e32 v87, 0x3fb8aa3b, v87
	v_exp_f32_e32 v89, v87
	s_waitcnt lgkmcnt(1)
	v_fma_f32 v87, v92, v90, 0
	v_fmac_f32_e32 v87, v93, v91
	s_waitcnt lgkmcnt(0)
	v_fmac_f32_e32 v87, v88, v74
	v_fmac_f32_e32 v87, v89, v75
	v_add_f32_e32 v74, 0x358637bd, v87
	v_div_scale_f32 v75, s[4:5], v74, v74, 1.0
	v_rcp_f32_e32 v90, v75
	s_barrier
	v_fma_f32 v91, -v75, v90, 1.0
	v_fmac_f32_e32 v90, v91, v90
	v_div_scale_f32 v91, vcc, 1.0, v74, 1.0
	v_mul_f32_e32 v94, v91, v90
	v_fma_f32 v95, -v75, v94, v91
	v_fmac_f32_e32 v94, v95, v90
	v_fma_f32 v75, -v75, v94, v91
	v_div_fmas_f32 v75, v75, v90, v94
	v_lshrrev_b32_e32 v90, 6, v0
	v_cmp_eq_u32_e32 vcc, 1, v90
	v_div_fixup_f32 v74, v75, v74, 1.0
	s_lshl_b32 s7, s33, 3
	v_cndmask_b32_e32 v75, v92, v93, vcc
	v_cmp_eq_u32_e32 vcc, 2, v90
	s_nop 1
	v_cndmask_b32_e32 v75, v75, v88, vcc
	v_cmp_eq_u32_e32 vcc, 3, v90
	s_nop 1
	v_cndmask_b32_e32 v75, v75, v89, vcc
	v_mul_f32_e32 v74, v75, v74
	v_pk_mul_f32 v[68:69], v[74:75], v[68:69] op_sel_hi:[0,1]
	v_pk_mul_f32 v[80:81], v[74:75], v[80:81] op_sel_hi:[0,1]
	v_bfe_u32 v75, v69, 16, 1
	v_bfe_u32 v88, v68, 16, 1
	v_add3_u32 v68, v68, v88, s8
	v_add3_u32 v69, v69, v75, s8
	v_perm_b32 v88, v69, v68, s9
	v_bfe_u32 v68, v81, 16, 1
	v_bfe_u32 v69, v80, 16, 1
	v_add3_u32 v69, v80, v69, s8
	v_add3_u32 v68, v81, v68, s8
	v_bfe_u32 v81, v0, 4, 2
	v_perm_b32 v89, v68, v69, s9
	v_lshlrev_b32_e32 v69, 3, v81
	v_lshlrev_b32_e32 v68, 5, v1
	;; [unrolled: 1-line block ×3, first 2 shown]
	v_pk_mul_f32 v[70:71], v[74:75], v[70:71] op_sel_hi:[0,1]
	v_or3_b32 v80, v1, v68, v69
	v_bfe_u32 v1, v71, 16, 1
	v_bfe_u32 v69, v70, 16, 1
	v_pk_mul_f32 v[82:83], v[74:75], v[82:83] op_sel_hi:[0,1]
	v_add3_u32 v69, v70, v69, s8
	v_add3_u32 v1, v71, v1, s8
	v_perm_b32 v70, v1, v69, s9
	v_bfe_u32 v1, v83, 16, 1
	v_bfe_u32 v69, v82, 16, 1
	v_add3_u32 v69, v82, v69, s8
	v_add3_u32 v1, v83, v1, s8
	v_pk_mul_f32 v[76:77], v[74:75], v[76:77] op_sel_hi:[0,1]
	v_perm_b32 v71, v1, v69, s9
	v_bfe_u32 v1, v77, 16, 1
	v_bfe_u32 v69, v76, 16, 1
	ds_write2st64_b64 v80, v[88:89], v[70:71] offset1:1
	v_pk_mul_f32 v[70:71], v[74:75], v[78:79] op_sel_hi:[0,1]
	v_add3_u32 v69, v76, v69, s8
	v_add3_u32 v1, v77, v1, s8
	v_perm_b32 v76, v1, v69, s9
	v_bfe_u32 v1, v71, 16, 1
	v_bfe_u32 v69, v70, 16, 1
	v_add3_u32 v69, v70, v69, s8
	v_add3_u32 v1, v71, v1, s8
	v_pk_mul_f32 v[70:71], v[74:75], v[72:73] op_sel_hi:[0,1]
	v_perm_b32 v77, v1, v69, s9
	v_bfe_u32 v1, v71, 16, 1
	v_bfe_u32 v69, v70, 16, 1
	v_pk_mul_f32 v[66:67], v[74:75], v[66:67] op_sel_hi:[0,1]
	v_add3_u32 v69, v70, v69, s8
	v_add3_u32 v1, v71, v1, s8
	v_perm_b32 v70, v1, v69, s9
	v_bfe_u32 v1, v67, 16, 1
	v_bfe_u32 v69, v66, 16, 1
	v_add3_u32 v66, v66, v69, s8
	v_add3_u32 v1, v67, v1, s8
	v_perm_b32 v71, v1, v66, s9
	v_cmp_gt_u32_e32 vcc, 8, v0
	ds_write2st64_b64 v80, v[76:77], v[70:71] offset0:2 offset1:3
	s_and_saveexec_b64 s[4:5], vcc
	s_cbranch_execz .LBB715_17
; %bb.16:
	v_or_b32_e32 v66, s27, v0
	v_mov_b32_e32 v67, 0
	v_mov_b32_e32 v1, s7
	v_mad_u64_u32 v[70:71], s[10:11], s2, v1, v[66:67]
	v_mov_b32_e32 v66, s26
	s_load_dwordx4 s[12:15], s[0:1], 0x58
	s_mul_i32 s3, s3, s7
	v_mad_u64_u32 v[66:67], s[10:11], v70, s6, v[66:67]
	v_add_u32_e32 v1, s3, v71
	v_mov_b32_e32 v70, v67
	v_mad_u64_u32 v[70:71], s[10:11], v1, s6, v[70:71]
	v_mov_b32_e32 v67, v70
	v_lshlrev_b64 v[66:67], 2, v[66:67]
	s_waitcnt lgkmcnt(0)
	v_lshl_add_u64 v[70:71], s[14:15], 0, v[66:67]
	v_lshl_add_u64 v[66:67], s[12:13], 0, v[66:67]
	global_store_dword v[70:71], v86, off
	global_store_dword v[66:67], v87, off
.LBB715_17:
	s_or_b64 exec, exec, s[4:5]
	v_lshl_or_b32 v1, v81, 9, v68
	s_waitcnt lgkmcnt(0)
	s_barrier
	ds_read_b128 v[70:73], v1
	ds_read_b128 v[66:69], v1 offset:16
	s_waitcnt vmcnt(15) lgkmcnt(1)
	v_mfma_f32_16x16x16_bf16 v[74:77], v[30:31], v[70:71], 0
	s_mov_b32 s3, 0
	v_cmp_gt_u32_e32 vcc, 64, v0
	v_mfma_f32_16x16x16_bf16 v[30:33], v[32:33], v[72:73], v[74:77]
	s_waitcnt vmcnt(14) lgkmcnt(0)
	v_mfma_f32_16x16x16_bf16 v[30:33], v[26:27], v[66:67], v[30:33]
	v_mfma_f32_16x16x16_bf16 v[26:29], v[28:29], v[68:69], v[30:33]
	s_nop 5
	ds_read_b128 v[30:33], v1 offset:2048
	ds_read_b128 v[74:77], v1 offset:2064
	s_waitcnt vmcnt(13) lgkmcnt(1)
	v_mfma_f32_16x16x16_bf16 v[26:29], v[22:23], v[30:31], v[26:29]
	v_mfma_f32_16x16x16_bf16 v[22:25], v[24:25], v[32:33], v[26:29]
	s_waitcnt vmcnt(12) lgkmcnt(0)
	v_mfma_f32_16x16x16_bf16 v[22:25], v[18:19], v[74:75], v[22:25]
	v_mfma_f32_16x16x16_bf16 v[18:21], v[20:21], v[76:77], v[22:25]
	s_nop 5
	ds_read_b128 v[22:25], v1 offset:4096
	ds_read_b128 v[26:29], v1 offset:4112
	s_waitcnt vmcnt(11) lgkmcnt(1)
	v_mfma_f32_16x16x16_bf16 v[18:21], v[14:15], v[22:23], v[18:21]
	v_mfma_f32_16x16x16_bf16 v[14:17], v[16:17], v[24:25], v[18:21]
	s_waitcnt vmcnt(10) lgkmcnt(0)
	v_mfma_f32_16x16x16_bf16 v[14:17], v[10:11], v[26:27], v[14:17]
	v_mfma_f32_16x16x16_bf16 v[10:13], v[12:13], v[28:29], v[14:17]
	s_nop 5
	ds_read_b128 v[14:17], v1 offset:6144
	ds_read_b128 v[18:21], v1 offset:6160
	s_waitcnt lgkmcnt(0)
	s_barrier
	s_waitcnt vmcnt(9)
	v_mfma_f32_16x16x16_bf16 v[10:13], v[6:7], v[14:15], v[10:13]
	v_mfma_f32_16x16x16_bf16 v[6:9], v[8:9], v[16:17], v[10:13]
	s_waitcnt vmcnt(8)
	v_mfma_f32_16x16x16_bf16 v[6:9], v[2:3], v[18:19], v[6:9]
	v_mfma_f32_16x16x16_bf16 v[2:5], v[4:5], v[20:21], v[6:9]
	;; [unrolled: 3-line block ×3, first 2 shown]
	s_nop 3
	v_bfe_u32 v1, v3, 16, 1
	v_bfe_u32 v10, v2, 16, 1
	v_add3_u32 v2, v2, v10, s8
	s_waitcnt vmcnt(6)
	v_mfma_f32_16x16x16_bf16 v[6:9], v[38:39], v[66:67], v[6:9]
	v_add3_u32 v1, v3, v1, s8
	v_perm_b32 v10, v1, v2, s9
	v_bfe_u32 v1, v5, 16, 1
	v_mfma_f32_16x16x16_bf16 v[6:9], v[40:41], v[68:69], v[6:9]
	v_bfe_u32 v2, v4, 16, 1
	v_add3_u32 v2, v4, v2, s8
	v_add3_u32 v1, v5, v1, s8
	s_waitcnt vmcnt(5)
	v_mfma_f32_16x16x16_bf16 v[6:9], v[42:43], v[30:31], v[6:9]
	v_perm_b32 v11, v1, v2, s9
	v_mfma_f32_16x16x16_bf16 v[6:9], v[44:45], v[32:33], v[6:9]
	s_waitcnt vmcnt(4)
	v_mfma_f32_16x16x16_bf16 v[6:9], v[34:35], v[74:75], v[6:9]
	v_mfma_f32_16x16x16_bf16 v[6:9], v[36:37], v[76:77], v[6:9]
	s_waitcnt vmcnt(3)
	v_mfma_f32_16x16x16_bf16 v[6:9], v[58:59], v[22:23], v[6:9]
	;; [unrolled: 3-line block ×5, first 2 shown]
	v_mfma_f32_16x16x16_bf16 v[2:5], v[52:53], v[20:21], v[6:9]
	s_nop 6
	v_bfe_u32 v1, v3, 16, 1
	v_bfe_u32 v6, v2, 16, 1
	v_add3_u32 v2, v2, v6, s8
	v_add3_u32 v1, v3, v1, s8
	v_perm_b32 v2, v1, v2, s9
	v_bfe_u32 v1, v5, 16, 1
	v_bfe_u32 v3, v4, 16, 1
	v_add3_u32 v3, v4, v3, s8
	v_add3_u32 v1, v5, v1, s8
	v_perm_b32 v3, v1, v3, s9
	ds_write2st64_b64 v80, v[10:11], v[2:3] offset1:1
	s_waitcnt lgkmcnt(0)
	s_barrier
	s_and_saveexec_b64 s[4:5], vcc
	s_cbranch_execz .LBB715_19
; %bb.18:
	s_load_dwordx2 s[0:1], s[0:1], 0x68
	s_lshl_b32 s6, s6, 7
	s_mul_i32 s2, s7, s2
	v_and_b32_e32 v3, 15, v0
	s_mul_hi_u32 s5, s2, s6
	s_mul_i32 s4, s2, s6
	v_lshlrev_b32_e32 v3, 6, v3
	s_lshl_b64 s[4:5], s[4:5], 1
	v_lshlrev_b32_e32 v2, 4, v0
	v_lshl_or_b32 v0, v0, 10, v3
	s_waitcnt lgkmcnt(0)
	s_add_u32 s4, s0, s4
	v_lshlrev_b32_e32 v1, 5, v81
	v_and_b32_e32 v2, 16, v2
	v_and_b32_e32 v0, 0x1a00, v0
	s_addc_u32 s5, s1, s5
	s_lshl_b32 s2, s26, 7
	v_or3_b32 v4, v0, v1, v2
	s_lshl_b64 s[0:1], s[2:3], 1
	ds_read_b128 v[0:3], v4
	ds_read_b128 v[4:7], v4 offset:128
	s_add_u32 s0, s4, s0
	s_addc_u32 s1, s5, s1
	v_or_b32_e32 v12, s27, v81
	v_lshl_add_u64 v[8:9], v[84:85], 1, s[0:1]
	v_mad_u64_u32 v[10:11], s[0:1], v12, s6, 0
	v_lshl_add_u64 v[10:11], v[10:11], 1, v[8:9]
	s_waitcnt lgkmcnt(1)
	global_store_dwordx4 v[10:11], v[0:3], off
	s_nop 1
	v_or_b32_e32 v0, 4, v12
	v_mad_u64_u32 v[0:1], s[0:1], v0, s6, 0
	v_lshl_add_u64 v[0:1], v[0:1], 1, v[8:9]
	s_waitcnt lgkmcnt(0)
	global_store_dwordx4 v[0:1], v[4:7], off
.LBB715_19:
	s_endpgm
	.section	.rodata,"a",@progbits
	.p2align	6, 0x0
	.amdhsa_kernel _Z39paged_attention_ll4mi_QKV_mfma16_kernelI14__hip_bfloat16S0_LN4vllm18Fp8KVCacheDataTypeE0EhLi32ELi128ELi256ELb0ELi8EEvPKT_PKT0_S8_ifPKiSA_SA_iPKfiiiPfSD_PS3_PT2_iSC_SC_
		.amdhsa_group_segment_fixed_size 8192
		.amdhsa_private_segment_fixed_size 0
		.amdhsa_kernarg_size 400
		.amdhsa_user_sgpr_count 2
		.amdhsa_user_sgpr_dispatch_ptr 0
		.amdhsa_user_sgpr_queue_ptr 0
		.amdhsa_user_sgpr_kernarg_segment_ptr 1
		.amdhsa_user_sgpr_dispatch_id 0
		.amdhsa_user_sgpr_kernarg_preload_length 0
		.amdhsa_user_sgpr_kernarg_preload_offset 0
		.amdhsa_user_sgpr_private_segment_size 0
		.amdhsa_uses_dynamic_stack 0
		.amdhsa_enable_private_segment 0
		.amdhsa_system_sgpr_workgroup_id_x 1
		.amdhsa_system_sgpr_workgroup_id_y 1
		.amdhsa_system_sgpr_workgroup_id_z 1
		.amdhsa_system_sgpr_workgroup_info 0
		.amdhsa_system_vgpr_workitem_id 0
		.amdhsa_next_free_vgpr 96
		.amdhsa_next_free_sgpr 41
		.amdhsa_accum_offset 96
		.amdhsa_reserve_vcc 1
		.amdhsa_float_round_mode_32 0
		.amdhsa_float_round_mode_16_64 0
		.amdhsa_float_denorm_mode_32 3
		.amdhsa_float_denorm_mode_16_64 3
		.amdhsa_dx10_clamp 1
		.amdhsa_ieee_mode 1
		.amdhsa_fp16_overflow 0
		.amdhsa_tg_split 0
		.amdhsa_exception_fp_ieee_invalid_op 0
		.amdhsa_exception_fp_denorm_src 0
		.amdhsa_exception_fp_ieee_div_zero 0
		.amdhsa_exception_fp_ieee_overflow 0
		.amdhsa_exception_fp_ieee_underflow 0
		.amdhsa_exception_fp_ieee_inexact 0
		.amdhsa_exception_int_div_zero 0
	.end_amdhsa_kernel
	.section	.text._Z39paged_attention_ll4mi_QKV_mfma16_kernelI14__hip_bfloat16S0_LN4vllm18Fp8KVCacheDataTypeE0EhLi32ELi128ELi256ELb0ELi8EEvPKT_PKT0_S8_ifPKiSA_SA_iPKfiiiPfSD_PS3_PT2_iSC_SC_,"axG",@progbits,_Z39paged_attention_ll4mi_QKV_mfma16_kernelI14__hip_bfloat16S0_LN4vllm18Fp8KVCacheDataTypeE0EhLi32ELi128ELi256ELb0ELi8EEvPKT_PKT0_S8_ifPKiSA_SA_iPKfiiiPfSD_PS3_PT2_iSC_SC_,comdat
.Lfunc_end715:
	.size	_Z39paged_attention_ll4mi_QKV_mfma16_kernelI14__hip_bfloat16S0_LN4vllm18Fp8KVCacheDataTypeE0EhLi32ELi128ELi256ELb0ELi8EEvPKT_PKT0_S8_ifPKiSA_SA_iPKfiiiPfSD_PS3_PT2_iSC_SC_, .Lfunc_end715-_Z39paged_attention_ll4mi_QKV_mfma16_kernelI14__hip_bfloat16S0_LN4vllm18Fp8KVCacheDataTypeE0EhLi32ELi128ELi256ELb0ELi8EEvPKT_PKT0_S8_ifPKiSA_SA_iPKfiiiPfSD_PS3_PT2_iSC_SC_
                                        ; -- End function
	.section	.AMDGPU.csdata,"",@progbits
; Kernel info:
; codeLenInByte = 4848
; NumSgprs: 47
; NumVgprs: 96
; NumAgprs: 0
; TotalNumVgprs: 96
; ScratchSize: 0
; MemoryBound: 0
; FloatMode: 240
; IeeeMode: 1
; LDSByteSize: 8192 bytes/workgroup (compile time only)
; SGPRBlocks: 5
; VGPRBlocks: 11
; NumSGPRsForWavesPerEU: 47
; NumVGPRsForWavesPerEU: 96
; AccumOffset: 96
; Occupancy: 5
; WaveLimiterHint : 1
; COMPUTE_PGM_RSRC2:SCRATCH_EN: 0
; COMPUTE_PGM_RSRC2:USER_SGPR: 2
; COMPUTE_PGM_RSRC2:TRAP_HANDLER: 0
; COMPUTE_PGM_RSRC2:TGID_X_EN: 1
; COMPUTE_PGM_RSRC2:TGID_Y_EN: 1
; COMPUTE_PGM_RSRC2:TGID_Z_EN: 1
; COMPUTE_PGM_RSRC2:TIDIG_COMP_CNT: 0
; COMPUTE_PGM_RSRC3_GFX90A:ACCUM_OFFSET: 23
; COMPUTE_PGM_RSRC3_GFX90A:TG_SPLIT: 0
	.section	.text._Z39paged_attention_ll4mi_QKV_mfma16_kernelI14__hip_bfloat16S0_LN4vllm18Fp8KVCacheDataTypeE0EhLi32ELi128ELi256ELb0ELi9EEvPKT_PKT0_S8_ifPKiSA_SA_iPKfiiiPfSD_PS3_PT2_iSC_SC_,"axG",@progbits,_Z39paged_attention_ll4mi_QKV_mfma16_kernelI14__hip_bfloat16S0_LN4vllm18Fp8KVCacheDataTypeE0EhLi32ELi128ELi256ELb0ELi9EEvPKT_PKT0_S8_ifPKiSA_SA_iPKfiiiPfSD_PS3_PT2_iSC_SC_,comdat
	.protected	_Z39paged_attention_ll4mi_QKV_mfma16_kernelI14__hip_bfloat16S0_LN4vllm18Fp8KVCacheDataTypeE0EhLi32ELi128ELi256ELb0ELi9EEvPKT_PKT0_S8_ifPKiSA_SA_iPKfiiiPfSD_PS3_PT2_iSC_SC_ ; -- Begin function _Z39paged_attention_ll4mi_QKV_mfma16_kernelI14__hip_bfloat16S0_LN4vllm18Fp8KVCacheDataTypeE0EhLi32ELi128ELi256ELb0ELi9EEvPKT_PKT0_S8_ifPKiSA_SA_iPKfiiiPfSD_PS3_PT2_iSC_SC_
	.globl	_Z39paged_attention_ll4mi_QKV_mfma16_kernelI14__hip_bfloat16S0_LN4vllm18Fp8KVCacheDataTypeE0EhLi32ELi128ELi256ELb0ELi9EEvPKT_PKT0_S8_ifPKiSA_SA_iPKfiiiPfSD_PS3_PT2_iSC_SC_
	.p2align	8
	.type	_Z39paged_attention_ll4mi_QKV_mfma16_kernelI14__hip_bfloat16S0_LN4vllm18Fp8KVCacheDataTypeE0EhLi32ELi128ELi256ELb0ELi9EEvPKT_PKT0_S8_ifPKiSA_SA_iPKfiiiPfSD_PS3_PT2_iSC_SC_,@function
_Z39paged_attention_ll4mi_QKV_mfma16_kernelI14__hip_bfloat16S0_LN4vllm18Fp8KVCacheDataTypeE0EhLi32ELi128ELi256ELb0ELi9EEvPKT_PKT0_S8_ifPKiSA_SA_iPKfiiiPfSD_PS3_PT2_iSC_SC_: ; @_Z39paged_attention_ll4mi_QKV_mfma16_kernelI14__hip_bfloat16S0_LN4vllm18Fp8KVCacheDataTypeE0EhLi32ELi128ELi256ELb0ELi9EEvPKT_PKT0_S8_ifPKiSA_SA_iPKfiiiPfSD_PS3_PT2_iSC_SC_
; %bb.0:
	s_load_dwordx2 s[8:9], s[0:1], 0x30
	s_mov_b32 s26, s3
	s_mov_b64 s[6:7], 0
	s_waitcnt lgkmcnt(0)
	s_cmp_lg_u64 s[8:9], 0
	s_cselect_b64 s[10:11], -1, 0
	s_and_b64 vcc, exec, s[10:11]
	s_cbranch_vccz .LBB716_7
; %bb.1:
	s_add_i32 s12, s2, 1
	s_mov_b32 s13, 0
	s_lshl_b64 s[14:15], s[12:13], 2
	s_add_u32 s14, s8, s14
	s_mov_b32 s3, s13
	s_addc_u32 s15, s9, s15
	s_lshl_b64 s[12:13], s[2:3], 2
	s_add_u32 s12, s8, s12
	s_addc_u32 s13, s9, s13
	s_load_dword s5, s[14:15], 0x0
	s_load_dword s16, s[12:13], 0x0
	s_waitcnt lgkmcnt(0)
	s_sub_i32 s5, s5, s16
	s_cmp_eq_u32 s5, 1
	s_cselect_b64 s[12:13], -1, 0
	s_andn2_b64 vcc, exec, s[6:7]
	s_cbranch_vccnz .LBB716_3
.LBB716_2:
	s_mov_b32 s3, 0
	s_mov_b64 s[12:13], -1
.LBB716_3:
	s_andn2_b64 vcc, exec, s[12:13]
	s_cbranch_vccnz .LBB716_20
; %bb.4:
	s_load_dwordx2 s[6:7], s[0:1], 0x28
	s_lshl_b64 s[12:13], s[2:3], 2
	s_waitcnt lgkmcnt(0)
	s_add_u32 s6, s6, s12
	s_addc_u32 s7, s7, s13
	s_load_dword s33, s[6:7], 0x0
	s_lshl_b32 s18, s26, 8
	s_waitcnt lgkmcnt(0)
	s_cmp_ge_i32 s18, s33
	s_cbranch_scc1 .LBB716_20
; %bb.5:
	s_load_dwordx2 s[6:7], s[0:1], 0x20
	s_load_dword s5, s[0:1], 0x38
	s_add_i32 s14, s33, 31
	s_ashr_i32 s15, s14, 31
	v_and_b32_e32 v1, 0xcf, v0
	s_lshr_b32 s15, s15, 27
	v_add_u32_e32 v1, s18, v1
	s_add_i32 s14, s14, s15
	v_ashrrev_i32_e32 v2, 31, v1
	s_ashr_i32 s19, s14, 5
	v_lshrrev_b32_e32 v4, 27, v2
	s_add_i32 s19, s19, -1
	s_waitcnt lgkmcnt(0)
	s_mul_i32 s14, s2, s5
	s_mov_b32 s15, 0
	v_add_u32_e32 v2, v1, v4
	s_lshl_b64 s[14:15], s[14:15], 2
	v_ashrrev_i32_e32 v2, 5, v2
	v_mov_b32_e32 v5, s19
	v_cmp_gt_i32_e32 vcc, s33, v1
	s_add_u32 s6, s6, s14
	s_addc_u32 s7, s7, s15
	v_cndmask_b32_e32 v2, v5, v2, vcc
	v_ashrrev_i32_e32 v3, 31, v2
	v_lshl_add_u64 v[6:7], v[2:3], 2, s[6:7]
	v_or_b32_e32 v2, 16, v1
	v_add_u32_e32 v3, v2, v4
	v_ashrrev_i32_e32 v3, 5, v3
	v_cmp_gt_i32_e32 vcc, s33, v2
	s_nop 1
	v_cndmask_b32_e32 v2, v5, v3, vcc
	v_ashrrev_i32_e32 v3, 31, v2
	v_lshl_add_u64 v[8:9], v[2:3], 2, s[6:7]
	v_or_b32_e32 v2, 32, v1
	v_add_u32_e32 v3, v2, v4
	v_ashrrev_i32_e32 v3, 5, v3
	v_cmp_gt_i32_e32 vcc, s33, v2
	v_or_b32_e32 v1, 48, v1
	s_nop 0
	v_cndmask_b32_e32 v2, v5, v3, vcc
	v_ashrrev_i32_e32 v3, 31, v2
	v_lshl_add_u64 v[10:11], v[2:3], 2, s[6:7]
	v_add_u32_e32 v2, v1, v4
	v_ashrrev_i32_e32 v2, 5, v2
	v_cmp_gt_i32_e32 vcc, s33, v1
	s_nop 1
	v_cndmask_b32_e32 v2, v5, v2, vcc
	v_ashrrev_i32_e32 v3, 31, v2
	v_lshl_add_u64 v[12:13], v[2:3], 2, s[6:7]
	global_load_dword v2, v[6:7], off
	global_load_dword v5, v[8:9], off
	;; [unrolled: 1-line block ×4, first 2 shown]
	s_andn2_b64 vcc, exec, s[10:11]
	s_cbranch_vccnz .LBB716_8
; %bb.6:
	s_add_u32 s8, s8, s12
	s_addc_u32 s9, s9, s13
	s_load_dword s5, s[8:9], 0x0
	s_branch .LBB716_9
.LBB716_7:
	s_mov_b64 s[12:13], 0
	s_branch .LBB716_2
.LBB716_8:
	s_mov_b32 s5, s2
.LBB716_9:
	s_load_dwordx4 s[12:15], s[0:1], 0x8
	s_load_dwordx4 s[8:11], s[0:1], 0x48
	v_lshrrev_b32_e32 v86, 6, v0
	v_bfe_u32 v1, v0, 4, 2
	v_lshl_or_b32 v3, v86, 2, v1
	v_and_b32_e32 v76, 15, v0
	v_lshlrev_b32_e32 v74, 3, v76
	v_cmp_lt_u32_e32 vcc, 8, v3
	s_and_saveexec_b64 s[16:17], vcc
	s_xor_b64 s[16:17], exec, s[16:17]
; %bb.10:
	v_mov_b32_e32 v75, 0
                                        ; implicit-def: $vgpr3
; %bb.11:
	s_or_saveexec_b64 s[16:17], s[16:17]
	v_and_b32_e32 v77, 63, v0
	s_mul_i32 s40, s4, 9
	s_xor_b64 exec, exec, s[16:17]
	s_cbranch_execz .LBB716_13
; %bb.12:
	s_load_dwordx2 s[20:21], s[0:1], 0x0
	s_waitcnt lgkmcnt(0)
	s_ashr_i32 s11, s8, 31
	s_mul_hi_u32 s22, s5, s8
	s_mul_i32 s11, s5, s11
	s_add_i32 s23, s22, s11
	s_mul_i32 s22, s5, s8
	s_lshl_b64 s[22:23], s[22:23], 1
	s_add_u32 s20, s20, s22
	v_add_lshl_u32 v6, v3, s40, 7
	s_addc_u32 s21, s21, s23
	v_ashrrev_i32_e32 v7, 31, v6
	v_mov_b32_e32 v75, 0
	v_lshl_add_u64 v[6:7], v[6:7], 1, s[20:21]
	v_lshlrev_b32_e32 v8, 1, v74
	v_mov_b32_e32 v9, v75
	v_lshl_add_u64 v[6:7], v[6:7], 0, v[8:9]
	global_load_dwordx4 v[6:9], v[6:7], off
	v_and_b32_e32 v10, 3, v0
	v_lshlrev_b32_e32 v11, 9, v76
	v_lshlrev_b32_e32 v3, 5, v3
	v_lshlrev_b32_e32 v10, 9, v10
	v_and_b32_e32 v11, 0x1800, v11
	v_or3_b32 v3, v11, v10, v3
	s_waitcnt vmcnt(0)
	ds_write_b128 v3, v[6:9]
.LBB716_13:
	s_or_b64 exec, exec, s[16:17]
	s_waitcnt lgkmcnt(0)
	s_mul_i32 s4, s4, s10
	s_mov_b32 s5, 0
	s_lshl_b64 s[4:5], s[4:5], 1
	s_add_u32 s10, s12, s4
	s_addc_u32 s11, s13, s5
	s_waitcnt vmcnt(3)
	v_mad_i64_i32 v[2:3], s[12:13], v2, s9, 0
	v_lshl_add_u64 v[6:7], v[2:3], 1, s[10:11]
	v_lshlrev_b64 v[2:3], 1, v[74:75]
	v_lshlrev_b32_e32 v50, 9, v1
	v_lshl_add_u64 v[6:7], v[6:7], 0, v[2:3]
	v_mov_b32_e32 v51, 0
	v_lshl_add_u64 v[8:9], v[6:7], 0, v[50:51]
	s_load_dword s27, s[0:1], 0x98
	s_load_dword s8, s[0:1], 0x1c
	s_waitcnt lgkmcnt(0)
	s_barrier
	global_load_dwordx4 v[38:41], v[8:9], off
	s_waitcnt vmcnt(3)
	v_mad_i64_i32 v[10:11], s[12:13], v5, s9, 0
	v_mov_b32_e32 v5, 0x100
	v_lshl_add_u64 v[10:11], v[10:11], 1, s[10:11]
	v_lshl_or_b32 v54, v76, 4, v5
	v_mov_b32_e32 v55, v51
	v_lshl_add_u64 v[22:23], v[10:11], 0, v[54:55]
	v_lshl_add_u64 v[10:11], v[22:23], 0, v[50:51]
	global_load_dwordx4 v[42:45], v[10:11], off
	global_load_dwordx4 v[18:21], v[8:9], off offset:2048
	global_load_dwordx4 v[26:29], v[10:11], off offset:2048
	v_or_b32_e32 v56, 0x1000, v50
	v_mov_b32_e32 v57, v51
	v_or_b32_e32 v52, 0x1800, v50
	v_mov_b32_e32 v53, v51
	v_lshl_add_u64 v[8:9], v[6:7], 0, v[56:57]
	v_lshl_add_u64 v[6:7], v[6:7], 0, v[52:53]
	global_load_dwordx4 v[14:17], v[8:9], off
	global_load_dwordx4 v[10:13], v[6:7], off
	v_lshl_add_u64 v[8:9], v[22:23], 0, v[56:57]
	global_load_dwordx4 v[30:33], v[8:9], off
	s_waitcnt vmcnt(8)
	v_mad_i64_i32 v[4:5], s[12:13], v4, s9, 0
	v_lshl_add_u64 v[4:5], v[4:5], 1, s[10:11]
	v_lshl_add_u64 v[60:61], v[4:5], 0, v[2:3]
	v_add_u32_e32 v2, -9, v76
	v_cmp_gt_u32_e32 vcc, 9, v76
	v_lshl_add_u64 v[6:7], v[22:23], 0, v[52:53]
	global_load_dwordx4 v[22:25], v[6:7], off
	v_cndmask_b32_e32 v2, v2, v76, vcc
	v_lshl_add_u64 v[58:59], v[60:61], 0, v[50:51]
	v_lshl_add_u32 v62, v2, 5, v50
	global_load_dwordx4 v[34:37], v[58:59], off
	ds_read_b128 v[6:9], v62
	ds_read_b128 v[2:5], v62 offset:2048
	s_waitcnt vmcnt(9)
	v_mad_i64_i32 v[72:73], s[12:13], v46, s9, 0
	s_ashr_i32 s12, s18, 31
	v_and_or_b32 v80, v0, 48, s18
	v_or_b32_e32 v84, 64, v80
	v_mov_b32_e32 v81, s19
	v_cmp_gt_i32_e32 vcc, s33, v80
	v_or_b32_e32 v85, 0x80, v80
	v_or_b32_e32 v87, 0xc0, v80
	s_mov_b32 s41, 0xff7fffff
	s_waitcnt vmcnt(7) lgkmcnt(1)
	v_mfma_f32_16x16x16_bf16 v[68:71], v[42:43], v[6:7], 0
	v_mfma_f32_16x16x16_bf16 v[64:67], v[38:39], v[6:7], 0
	;; [unrolled: 1-line block ×3, first 2 shown]
	ds_read_b128 v[46:49], v62 offset:4096
	ds_read_b128 v[38:41], v62 offset:6144
	v_lshl_add_u64 v[62:63], v[72:73], 1, s[10:11]
	v_lshl_add_u64 v[82:83], v[62:63], 0, v[54:55]
	v_mfma_f32_16x16x16_bf16 v[42:45], v[44:45], v[8:9], v[68:71]
	v_lshl_add_u64 v[54:55], v[60:61], 0, v[56:57]
	s_lshr_b32 s10, s12, 27
	v_lshl_add_u64 v[78:79], v[82:83], 0, v[56:57]
	s_waitcnt vmcnt(6) lgkmcnt(2)
	v_mfma_f32_16x16x16_bf16 v[62:65], v[18:19], v[2:3], v[64:67]
	v_add_u32_e32 v68, s10, v80
	v_add_u32_e32 v69, s10, v84
	v_lshl_add_u64 v[70:71], v[82:83], 0, v[50:51]
	v_lshl_add_u64 v[66:67], v[60:61], 0, v[52:53]
	global_load_dwordx4 v[58:61], v[58:59], off offset:2048
	s_waitcnt vmcnt(6)
	v_mfma_f32_16x16x16_bf16 v[42:45], v[26:27], v[2:3], v[42:45]
	v_ashrrev_i32_e32 v50, 5, v68
	v_ashrrev_i32_e32 v56, 5, v69
	v_add_u32_e32 v72, s10, v85
	v_mfma_f32_16x16x16_bf16 v[18:21], v[20:21], v[4:5], v[62:65]
	v_add_u32_e32 v73, s10, v87
	s_add_u32 s4, s14, s4
	s_addc_u32 s5, s15, s5
	v_mfma_f32_16x16x16_bf16 v[26:29], v[28:29], v[4:5], v[42:45]
	v_ashrrev_i32_e32 v62, 5, v72
	v_ashrrev_i32_e32 v72, 5, v73
	s_waitcnt vmcnt(5) lgkmcnt(1)
	v_mfma_f32_16x16x16_bf16 v[18:21], v[14:15], v[46:47], v[18:21]
	global_load_dwordx4 v[42:45], v[54:55], off
	v_cndmask_b32_e32 v14, v81, v50, vcc
	v_cmp_gt_i32_e32 vcc, s33, v84
	s_waitcnt vmcnt(4)
	v_mfma_f32_16x16x16_bf16 v[26:29], v[30:31], v[46:47], v[26:29]
	v_ashrrev_i32_e32 v15, 31, v14
	v_cndmask_b32_e32 v30, v81, v56, vcc
	v_ashrrev_i32_e32 v31, 31, v30
	v_lshl_add_u64 v[14:15], v[14:15], 2, s[6:7]
	v_lshl_add_u64 v[30:31], v[30:31], 2, s[6:7]
	global_load_dword v92, v[14:15], off
	global_load_dword v84, v[30:31], off
	v_mfma_f32_16x16x16_bf16 v[14:17], v[16:17], v[48:49], v[18:21]
	v_cmp_gt_i32_e32 vcc, s33, v85
	s_nop 1
	global_load_dwordx4 v[18:21], v[66:67], off
	s_waitcnt lgkmcnt(0)
	v_mfma_f32_16x16x16_bf16 v[14:17], v[10:11], v[38:39], v[14:17]
	v_cndmask_b32_e32 v10, v81, v62, vcc
	v_ashrrev_i32_e32 v11, 31, v10
	v_lshl_add_u64 v[10:11], v[10:11], 2, s[6:7]
	v_mfma_f32_16x16x16_bf16 v[66:69], v[12:13], v[40:41], v[14:17]
	global_load_dword v85, v[10:11], off
	global_load_dwordx4 v[62:65], v[70:71], off offset:2048
	v_cmp_gt_i32_e32 vcc, s33, v87
	v_lshl_add_u64 v[14:15], v[82:83], 0, v[52:53]
	global_load_dwordx4 v[88:91], v[14:15], off
	global_load_dwordx4 v[54:57], v[70:71], off
	v_cndmask_b32_e32 v10, v81, v72, vcc
	global_load_dwordx4 v[78:81], v[78:79], off
	v_ashrrev_i32_e32 v11, 31, v10
	v_lshl_add_u64 v[10:11], v[10:11], 2, s[6:7]
	global_load_dword v93, v[10:11], off
	s_waitcnt vmcnt(11)
	v_mfma_f32_16x16x16_bf16 v[10:13], v[34:35], v[6:7], 0
	v_and_b32_e32 v14, 16, v0
	v_lshlrev_b32_e32 v50, 1, v14
	v_lshl_or_b32 v87, v86, 4, v76
	v_mfma_f32_16x16x16_bf16 v[10:13], v[36:37], v[8:9], v[10:13]
	v_lshl_add_u64 v[36:37], s[4:5], 0, v[50:51]
	v_lshlrev_b32_e32 v50, 6, v87
	v_pk_mul_f32 v[82:83], s[8:9], v[68:69] op_sel_hi:[0,1]
	v_mfma_f32_16x16x16_bf16 v[26:29], v[32:33], v[48:49], v[26:29]
	s_waitcnt vmcnt(8)
	v_mad_i64_i32 v[14:15], s[4:5], v92, s9, 0
	v_mfma_f32_16x16x16_bf16 v[10:13], v[58:59], v[2:3], v[10:13]
	v_lshl_add_u64 v[58:59], v[36:37], 0, v[50:51]
	v_or_b32_e32 v50, 0x1000, v50
	v_mfma_f32_16x16x16_bf16 v[10:13], v[60:61], v[4:5], v[10:13]
	v_lshlrev_b64 v[60:61], 1, v[14:15]
	v_lshl_add_u64 v[14:15], v[58:59], 0, v[60:61]
	v_mfma_f32_16x16x16_bf16 v[10:13], v[42:43], v[46:47], v[10:13]
	v_mfma_f32_16x16x16_bf16 v[10:13], v[44:45], v[48:49], v[10:13]
	;; [unrolled: 1-line block ×3, first 2 shown]
	s_waitcnt vmcnt(6)
	v_mfma_f32_16x16x16_bf16 v[10:13], v[18:19], v[38:39], v[10:13]
	v_mfma_f32_16x16x16_bf16 v[70:73], v[24:25], v[40:41], v[26:29]
	global_load_dwordx4 v[30:33], v[14:15], off
	s_nop 2
	global_load_dwordx4 v[26:29], v[14:15], off offset:16
	v_mad_i64_i32 v[14:15], s[4:5], v84, s9, 0
	v_lshlrev_b64 v[34:35], 1, v[14:15]
	v_mfma_f32_16x16x16_bf16 v[42:45], v[20:21], v[40:41], v[10:13]
	v_pk_mul_f32 v[70:71], s[8:9], v[70:71] op_sel_hi:[0,1]
	s_nop 1
	v_lshl_add_u64 v[10:11], v[58:59], 0, v[34:35]
	global_load_dwordx4 v[22:25], v[10:11], off
	global_load_dwordx4 v[18:21], v[10:11], off offset:16
	s_waitcnt vmcnt(6)
	v_mfma_f32_16x16x16_bf16 v[10:13], v[54:55], v[6:7], 0
	v_mad_i64_i32 v[6:7], s[4:5], v85, s9, 0
	v_lshlrev_b64 v[52:53], 1, v[6:7]
	v_mfma_f32_16x16x16_bf16 v[6:9], v[56:57], v[8:9], v[10:13]
	v_pk_mul_f32 v[84:85], s[8:9], v[72:73] op_sel_hi:[0,1]
	v_mfma_f32_16x16x16_bf16 v[6:9], v[62:63], v[2:3], v[6:9]
	s_waitcnt vmcnt(4)
	v_mad_i64_i32 v[2:3], s[4:5], v93, s9, 0
	v_lshlrev_b64 v[62:63], 1, v[2:3]
	v_mfma_f32_16x16x16_bf16 v[54:57], v[64:65], v[4:5], v[6:9]
	v_lshl_add_u64 v[64:65], v[36:37], 0, v[50:51]
	v_pk_mul_f32 v[50:51], s[8:9], v[66:67] op_sel_hi:[0,1]
	v_lshl_add_u64 v[10:11], v[58:59], 0, v[52:53]
	v_mfma_f32_16x16x16_bf16 v[54:57], v[78:79], v[46:47], v[54:57]
	v_pk_mul_f32 v[78:79], s[8:9], v[42:43] op_sel_hi:[0,1]
	v_lshl_add_u64 v[2:3], v[58:59], 0, v[62:63]
	v_lshl_add_u64 v[58:59], v[64:65], 0, v[60:61]
	v_mfma_f32_16x16x16_bf16 v[46:49], v[80:81], v[48:49], v[54:57]
	v_pk_mul_f32 v[80:81], s[8:9], v[44:45] op_sel_hi:[0,1]
	v_lshl_add_u64 v[34:35], v[64:65], 0, v[34:35]
	v_lshl_add_u64 v[52:53], v[64:65], 0, v[52:53]
	v_mfma_f32_16x16x16_bf16 v[36:39], v[88:89], v[38:39], v[46:49]
	global_load_dwordx4 v[14:17], v[10:11], off
	s_nop 0
	global_load_dwordx4 v[10:13], v[10:11], off offset:16
	s_nop 0
	global_load_dwordx4 v[6:9], v[2:3], off
	s_nop 0
	global_load_dwordx4 v[2:5], v[2:3], off offset:16
	v_mfma_f32_16x16x16_bf16 v[36:39], v[90:91], v[40:41], v[36:39]
	s_nop 6
	v_pk_mul_f32 v[72:73], s[8:9], v[36:37] op_sel_hi:[0,1]
	v_and_b32_e32 v36, 0xc0, v0
	v_add_u32_e32 v36, s18, v36
	v_lshl_or_b32 v36, v1, 2, v36
	v_pk_mul_f32 v[66:67], s[8:9], v[38:39] op_sel_hi:[0,1]
	v_or_b32_e32 v39, 1, v36
	v_mov_b32_e32 v37, 0xff7fffff
	v_cmp_gt_i32_e64 s[28:29], s33, v36
	v_cmp_gt_i32_e64 s[30:31], s33, v39
	v_or_b32_e32 v40, 3, v36
	v_cndmask_b32_e64 v38, v37, v50, s[28:29]
	v_cndmask_b32_e64 v39, v37, v51, s[30:31]
	v_max3_f32 v38, v38, s41, v39
	v_or_b32_e32 v39, 2, v36
	v_cmp_gt_i32_e64 s[34:35], s33, v39
	v_cmp_gt_i32_e64 s[36:37], s33, v40
	s_nop 0
	v_cndmask_b32_e64 v39, v37, v82, s[34:35]
	v_cndmask_b32_e64 v40, v37, v83, s[36:37]
	v_max3_f32 v38, v38, v39, v40
	v_or_b32_e32 v39, 16, v36
	v_or_b32_e32 v40, 17, v36
	v_cmp_gt_i32_e64 s[22:23], s33, v39
	v_cmp_gt_i32_e64 s[24:25], s33, v40
	s_nop 0
	v_cndmask_b32_e64 v39, v37, v70, s[22:23]
	v_cndmask_b32_e64 v40, v37, v71, s[24:25]
	v_max3_f32 v38, v38, v39, v40
	v_or_b32_e32 v39, 18, v36
	;; [unrolled: 8-line block ×6, first 2 shown]
	v_or_b32_e32 v36, 51, v36
	v_cmp_gt_i32_e32 vcc, s33, v39
	v_cmp_gt_i32_e64 s[4:5], s33, v36
	s_nop 0
	v_cndmask_b32_e32 v39, v37, v66, vcc
	v_cndmask_b32_e64 v36, v37, v67, s[4:5]
	v_max3_f32 v54, v38, v39, v36
	v_mbcnt_lo_u32_b32 v36, -1, 0
	v_mbcnt_hi_u32_b32 v55, -1, v36
	v_and_b32_e32 v36, 64, v55
	v_add_u32_e32 v56, 64, v36
	v_xor_b32_e32 v36, 32, v55
	v_cmp_lt_i32_e64 s[38:39], v36, v56
	global_load_dwordx4 v[46:49], v[58:59], off
	global_load_dwordx4 v[38:41], v[58:59], off offset:16
	v_cndmask_b32_e64 v36, v55, v36, s[38:39]
	v_lshlrev_b32_e32 v89, 2, v36
	ds_bpermute_b32 v57, v89, v54
	global_load_dwordx4 v[42:45], v[34:35], off
	s_nop 0
	global_load_dwordx4 v[34:37], v[34:35], off offset:16
	s_waitcnt lgkmcnt(0)
	v_max_f32_e32 v57, v57, v57
	v_max_f32_e32 v68, v54, v57
	v_xor_b32_e32 v54, 16, v55
	v_cmp_lt_i32_e64 s[38:39], v54, v56
	s_nop 1
	v_cndmask_b32_e64 v54, v55, v54, s[38:39]
	v_lshlrev_b32_e32 v90, 2, v54
	ds_bpermute_b32 v69, v90, v68
	global_load_dwordx4 v[58:61], v[52:53], off
	global_load_dwordx4 v[54:57], v[52:53], off offset:16
	v_lshl_add_u64 v[52:53], v[64:65], 0, v[62:63]
	s_waitcnt lgkmcnt(0)
	v_max_f32_e32 v62, v69, v69
	v_max_f32_e32 v88, v68, v62
	v_sub_f32_e32 v50, v50, v88
	v_mul_f32_e32 v50, 0x3fb8aa3b, v50
	v_exp_f32_e32 v68, v50
	v_sub_f32_e32 v50, v51, v88
	v_mul_f32_e32 v50, 0x3fb8aa3b, v50
	v_exp_f32_e32 v69, v50
	global_load_dwordx4 v[62:65], v[52:53], off
	s_nop 0
	global_load_dwordx4 v[50:53], v[52:53], off offset:16
	v_sub_f32_e32 v82, v82, v88
	v_mul_f32_e32 v82, 0x3fb8aa3b, v82
	v_sub_f32_e32 v83, v83, v88
	v_exp_f32_e32 v82, v82
	v_mul_f32_e32 v83, 0x3fb8aa3b, v83
	v_sub_f32_e32 v70, v70, v88
	v_exp_f32_e32 v83, v83
	v_mul_f32_e32 v70, 0x3fb8aa3b, v70
	v_sub_f32_e32 v71, v71, v88
	v_cndmask_b32_e64 v68, 0, v68, s[28:29]
	v_exp_f32_e32 v70, v70
	v_mul_f32_e32 v71, 0x3fb8aa3b, v71
	v_sub_f32_e32 v84, v84, v88
	v_add_f32_e32 v91, 0, v68
	v_cndmask_b32_e64 v69, 0, v69, s[30:31]
	v_exp_f32_e32 v71, v71
	v_mul_f32_e32 v84, 0x3fb8aa3b, v84
	v_sub_f32_e32 v85, v85, v88
	v_add_f32_e32 v91, v91, v69
	;; [unrolled: 5-line block ×10, first 2 shown]
	v_cndmask_b32_e64 v80, 0, v80, s[10:11]
	v_exp_f32_e32 v66, v66
	v_mul_f32_e32 v67, 0x3fb8aa3b, v67
	v_add_f32_e32 v91, v91, v80
	v_cndmask_b32_e64 v81, 0, v81, s[12:13]
	v_exp_f32_e32 v67, v67
	v_add_f32_e32 v91, v91, v81
	v_cndmask_b32_e64 v72, 0, v72, s[6:7]
	v_add_f32_e32 v91, v91, v72
	v_cndmask_b32_e64 v73, 0, v73, s[8:9]
	v_add_f32_e32 v91, v91, v73
	v_cndmask_b32_e32 v66, 0, v66, vcc
	v_add_f32_e32 v91, v91, v66
	v_cndmask_b32_e64 v67, 0, v67, s[4:5]
	v_add_f32_e32 v91, v91, v67
	ds_bpermute_b32 v89, v89, v91
	v_cmp_gt_u32_e64 s[4:5], 16, v77
	s_waitcnt lgkmcnt(0)
	s_barrier
	v_add_f32_e32 v89, v91, v89
	ds_bpermute_b32 v90, v90, v89
	s_and_saveexec_b64 s[6:7], s[4:5]
	s_cbranch_execz .LBB716_15
; %bb.14:
	s_waitcnt lgkmcnt(0)
	v_add_f32_e32 v77, v89, v90
	v_lshlrev_b32_e32 v87, 2, v87
	ds_write2st64_b32 v87, v88, v77 offset1:1
.LBB716_15:
	s_or_b64 exec, exec, s[6:7]
	v_lshlrev_b32_e32 v77, 2, v76
	s_load_dword s8, s[0:1], 0x94
	s_waitcnt lgkmcnt(0)
	s_barrier
	ds_read2_b32 v[88:89], v77 offset1:16
	ds_read2_b32 v[90:91], v77 offset0:32 offset1:48
	ds_read2_b32 v[92:93], v77 offset0:64 offset1:80
	;; [unrolled: 1-line block ×3, first 2 shown]
	s_movk_i32 s10, 0x7fff
	s_waitcnt lgkmcnt(3)
	v_max3_f32 v87, v88, s41, v89
	s_waitcnt lgkmcnt(2)
	v_max3_f32 v87, v87, v90, v91
	v_sub_f32_e32 v88, v88, v87
	v_mul_f32_e32 v88, 0x3fb8aa3b, v88
	v_exp_f32_e32 v86, v88
	v_sub_f32_e32 v88, v89, v87
	v_mul_f32_e32 v88, 0x3fb8aa3b, v88
	v_exp_f32_e32 v89, v88
	v_sub_f32_e32 v88, v90, v87
	v_mul_f32_e32 v88, 0x3fb8aa3b, v88
	v_sub_f32_e32 v77, v91, v87
	v_exp_f32_e32 v90, v88
	v_mul_f32_e32 v77, 0x3fb8aa3b, v77
	v_exp_f32_e32 v77, v77
	s_waitcnt lgkmcnt(1)
	v_fma_f32 v88, v86, v92, 0
	v_fmac_f32_e32 v88, v89, v93
	s_waitcnt lgkmcnt(0)
	v_fmac_f32_e32 v88, v90, v94
	v_fmac_f32_e32 v88, v77, v95
	v_add_f32_e32 v91, 0x358637bd, v88
	v_div_scale_f32 v92, s[6:7], v91, v91, 1.0
	v_rcp_f32_e32 v93, v92
	s_mov_b32 s11, 0x7060302
	s_barrier
	v_fma_f32 v94, -v92, v93, 1.0
	v_fmac_f32_e32 v93, v94, v93
	v_div_scale_f32 v94, vcc, 1.0, v91, 1.0
	v_mul_f32_e32 v95, v94, v93
	v_fma_f32 v1, -v92, v95, v94
	v_fmac_f32_e32 v95, v1, v93
	v_fma_f32 v1, -v92, v95, v94
	v_div_fmas_f32 v1, v1, v93, v95
	v_div_fixup_f32 v1, v1, v91, 1.0
	v_lshrrev_b32_e32 v91, 6, v0
	v_cmp_eq_u32_e32 vcc, 1, v91
	s_mul_i32 s9, s27, 9
	s_nop 0
	v_cndmask_b32_e32 v86, v86, v89, vcc
	v_cmp_eq_u32_e32 vcc, 2, v91
	s_nop 1
	v_cndmask_b32_e32 v86, v86, v90, vcc
	v_cmp_eq_u32_e32 vcc, 3, v91
	s_nop 1
	v_cndmask_b32_e32 v77, v86, v77, vcc
	v_mul_f32_e32 v90, v77, v1
	v_pk_mul_f32 v[68:69], v[90:91], v[68:69] op_sel_hi:[0,1]
	v_bfe_u32 v1, v69, 16, 1
	v_bfe_u32 v77, v68, 16, 1
	v_pk_mul_f32 v[82:83], v[90:91], v[82:83] op_sel_hi:[0,1]
	v_add3_u32 v68, v68, v77, s10
	v_add3_u32 v1, v69, v1, s10
	v_perm_b32 v92, v1, v68, s11
	v_bfe_u32 v1, v83, 16, 1
	v_bfe_u32 v68, v82, 16, 1
	v_add3_u32 v68, v82, v68, s10
	v_add3_u32 v1, v83, v1, s10
	v_bfe_u32 v86, v0, 4, 2
	v_perm_b32 v93, v1, v68, s11
	v_lshlrev_b32_e32 v1, 3, v86
	v_lshlrev_b32_e32 v68, 5, v76
	;; [unrolled: 1-line block ×3, first 2 shown]
	v_pk_mul_f32 v[70:71], v[90:91], v[70:71] op_sel_hi:[0,1]
	v_or3_b32 v1, v69, v68, v1
	v_bfe_u32 v69, v71, 16, 1
	v_bfe_u32 v77, v70, 16, 1
	v_pk_mul_f32 v[82:83], v[90:91], v[84:85] op_sel_hi:[0,1]
	v_add3_u32 v70, v70, v77, s10
	v_add3_u32 v69, v71, v69, s10
	v_perm_b32 v70, v69, v70, s11
	v_bfe_u32 v69, v83, 16, 1
	v_bfe_u32 v71, v82, 16, 1
	v_add3_u32 v71, v82, v71, s10
	v_add3_u32 v69, v83, v69, s10
	v_pk_mul_f32 v[78:79], v[90:91], v[78:79] op_sel_hi:[0,1]
	v_perm_b32 v71, v69, v71, s11
	v_bfe_u32 v69, v79, 16, 1
	v_bfe_u32 v77, v78, 16, 1
	ds_write2st64_b64 v1, v[92:93], v[70:71] offset1:1
	v_pk_mul_f32 v[70:71], v[90:91], v[80:81] op_sel_hi:[0,1]
	v_add3_u32 v77, v78, v77, s10
	v_add3_u32 v69, v79, v69, s10
	v_perm_b32 v78, v69, v77, s11
	v_bfe_u32 v69, v71, 16, 1
	v_bfe_u32 v77, v70, 16, 1
	v_add3_u32 v70, v70, v77, s10
	v_add3_u32 v69, v71, v69, s10
	v_perm_b32 v79, v69, v70, s11
	v_pk_mul_f32 v[70:71], v[90:91], v[72:73] op_sel_hi:[0,1]
	v_bfe_u32 v69, v71, 16, 1
	v_bfe_u32 v72, v70, 16, 1
	v_pk_mul_f32 v[66:67], v[90:91], v[66:67] op_sel_hi:[0,1]
	v_add3_u32 v70, v70, v72, s10
	v_add3_u32 v69, v71, v69, s10
	v_perm_b32 v70, v69, v70, s11
	v_bfe_u32 v69, v67, 16, 1
	v_bfe_u32 v71, v66, 16, 1
	v_add3_u32 v66, v66, v71, s10
	v_add3_u32 v67, v67, v69, s10
	v_perm_b32 v71, v67, v66, s11
	v_cmp_gt_u32_e32 vcc, 9, v0
	ds_write2st64_b64 v1, v[78:79], v[70:71] offset0:2 offset1:3
	s_and_saveexec_b64 s[6:7], vcc
	s_cbranch_execz .LBB716_17
; %bb.16:
	s_mov_b32 s41, 0
	v_mov_b32_e32 v77, 0
	v_lshl_add_u64 v[66:67], s[40:41], 0, v[76:77]
	v_mov_b32_e32 v69, s9
	v_mad_u64_u32 v[66:67], s[16:17], s2, v69, v[66:67]
	s_mul_i32 s3, s3, s9
	v_mov_b32_e32 v70, s26
	v_mov_b32_e32 v71, v77
	s_load_dwordx4 s[12:15], s[0:1], 0x58
	v_add_u32_e32 v69, s3, v67
	v_mad_u64_u32 v[66:67], s[16:17], v66, s8, v[70:71]
	v_mov_b32_e32 v70, v67
	v_mad_u64_u32 v[70:71], s[16:17], v69, s8, v[70:71]
	v_mov_b32_e32 v67, v70
	v_lshlrev_b64 v[66:67], 2, v[66:67]
	s_waitcnt lgkmcnt(0)
	v_lshl_add_u64 v[70:71], s[14:15], 0, v[66:67]
	v_lshl_add_u64 v[66:67], s[12:13], 0, v[66:67]
	global_store_dword v[70:71], v87, off
	global_store_dword v[66:67], v88, off
.LBB716_17:
	s_or_b64 exec, exec, s[6:7]
	v_lshl_or_b32 v77, v86, 9, v68
	s_waitcnt lgkmcnt(0)
	s_barrier
	ds_read_b128 v[70:73], v77
	ds_read_b128 v[66:69], v77 offset:16
	s_waitcnt vmcnt(15) lgkmcnt(1)
	v_mfma_f32_16x16x16_bf16 v[78:81], v[30:31], v[70:71], 0
	s_mov_b32 s3, 0
	v_cmp_gt_u32_e32 vcc, 64, v0
	v_mfma_f32_16x16x16_bf16 v[30:33], v[32:33], v[72:73], v[78:81]
	s_waitcnt vmcnt(14) lgkmcnt(0)
	v_mfma_f32_16x16x16_bf16 v[30:33], v[26:27], v[66:67], v[30:33]
	v_mfma_f32_16x16x16_bf16 v[26:29], v[28:29], v[68:69], v[30:33]
	s_nop 5
	ds_read_b128 v[30:33], v77 offset:2048
	ds_read_b128 v[78:81], v77 offset:2064
	s_waitcnt vmcnt(13) lgkmcnt(1)
	v_mfma_f32_16x16x16_bf16 v[26:29], v[22:23], v[30:31], v[26:29]
	v_mfma_f32_16x16x16_bf16 v[22:25], v[24:25], v[32:33], v[26:29]
	s_waitcnt vmcnt(12) lgkmcnt(0)
	v_mfma_f32_16x16x16_bf16 v[22:25], v[18:19], v[78:79], v[22:25]
	v_mfma_f32_16x16x16_bf16 v[18:21], v[20:21], v[80:81], v[22:25]
	s_nop 5
	ds_read_b128 v[22:25], v77 offset:4096
	ds_read_b128 v[26:29], v77 offset:4112
	s_waitcnt vmcnt(11) lgkmcnt(1)
	v_mfma_f32_16x16x16_bf16 v[18:21], v[14:15], v[22:23], v[18:21]
	v_mfma_f32_16x16x16_bf16 v[14:17], v[16:17], v[24:25], v[18:21]
	s_waitcnt vmcnt(10) lgkmcnt(0)
	v_mfma_f32_16x16x16_bf16 v[14:17], v[10:11], v[26:27], v[14:17]
	v_mfma_f32_16x16x16_bf16 v[10:13], v[12:13], v[28:29], v[14:17]
	s_nop 5
	ds_read_b128 v[14:17], v77 offset:6144
	ds_read_b128 v[18:21], v77 offset:6160
	s_waitcnt lgkmcnt(0)
	s_barrier
	s_waitcnt vmcnt(9)
	v_mfma_f32_16x16x16_bf16 v[10:13], v[6:7], v[14:15], v[10:13]
	v_mfma_f32_16x16x16_bf16 v[6:9], v[8:9], v[16:17], v[10:13]
	s_waitcnt vmcnt(8)
	v_mfma_f32_16x16x16_bf16 v[6:9], v[2:3], v[18:19], v[6:9]
	v_mfma_f32_16x16x16_bf16 v[2:5], v[4:5], v[20:21], v[6:9]
	s_waitcnt vmcnt(7)
	v_mfma_f32_16x16x16_bf16 v[6:9], v[46:47], v[70:71], 0
	v_mfma_f32_16x16x16_bf16 v[6:9], v[48:49], v[72:73], v[6:9]
	s_nop 3
	v_bfe_u32 v10, v3, 16, 1
	v_bfe_u32 v11, v2, 16, 1
	v_add3_u32 v2, v2, v11, s10
	s_waitcnt vmcnt(6)
	v_mfma_f32_16x16x16_bf16 v[6:9], v[38:39], v[66:67], v[6:9]
	v_add3_u32 v3, v3, v10, s10
	v_perm_b32 v10, v3, v2, s11
	v_bfe_u32 v2, v5, 16, 1
	v_mfma_f32_16x16x16_bf16 v[6:9], v[40:41], v[68:69], v[6:9]
	v_bfe_u32 v3, v4, 16, 1
	v_add3_u32 v3, v4, v3, s10
	v_add3_u32 v2, v5, v2, s10
	s_waitcnt vmcnt(5)
	v_mfma_f32_16x16x16_bf16 v[6:9], v[42:43], v[30:31], v[6:9]
	v_perm_b32 v11, v2, v3, s11
	v_mfma_f32_16x16x16_bf16 v[6:9], v[44:45], v[32:33], v[6:9]
	s_waitcnt vmcnt(4)
	v_mfma_f32_16x16x16_bf16 v[6:9], v[34:35], v[78:79], v[6:9]
	v_mfma_f32_16x16x16_bf16 v[6:9], v[36:37], v[80:81], v[6:9]
	s_waitcnt vmcnt(3)
	v_mfma_f32_16x16x16_bf16 v[6:9], v[58:59], v[22:23], v[6:9]
	;; [unrolled: 3-line block ×5, first 2 shown]
	v_mfma_f32_16x16x16_bf16 v[2:5], v[52:53], v[20:21], v[6:9]
	s_nop 6
	v_bfe_u32 v6, v3, 16, 1
	v_bfe_u32 v7, v2, 16, 1
	v_add3_u32 v2, v2, v7, s10
	v_add3_u32 v3, v3, v6, s10
	v_perm_b32 v2, v3, v2, s11
	v_bfe_u32 v3, v5, 16, 1
	v_bfe_u32 v6, v4, 16, 1
	v_add3_u32 v4, v4, v6, s10
	v_add3_u32 v3, v5, v3, s10
	v_perm_b32 v3, v3, v4, s11
	ds_write2st64_b64 v1, v[10:11], v[2:3] offset1:1
	s_waitcnt lgkmcnt(0)
	s_barrier
	s_and_saveexec_b64 s[6:7], vcc
	s_cbranch_execz .LBB716_20
; %bb.18:
	s_load_dwordx2 s[6:7], s[0:1], 0x68
	s_lshl_b32 s0, s8, 7
	s_mul_i32 s1, s9, s2
	v_lshlrev_b32_e32 v3, 6, v76
	s_mul_hi_u32 s9, s1, s0
	s_mul_i32 s8, s1, s0
	v_lshlrev_b32_e32 v2, 4, v0
	v_lshl_or_b32 v0, v0, 10, v3
	s_lshl_b64 s[8:9], s[8:9], 1
	v_lshlrev_b32_e32 v1, 5, v86
	v_and_b32_e32 v2, 16, v2
	v_and_b32_e32 v0, 0x1a00, v0
	s_waitcnt lgkmcnt(0)
	s_add_u32 s1, s6, s8
	v_or3_b32 v2, v0, v1, v2
	s_addc_u32 s6, s7, s9
	s_lshl_b32 s2, s26, 7
	s_lshl_b64 s[2:3], s[2:3], 1
	ds_read_b128 v[4:7], v2 offset:128
	ds_read_b128 v[8:11], v2
	s_add_u32 s2, s1, s2
	s_addc_u32 s3, s6, s3
	v_add_u32_e32 v3, s40, v86
	v_lshl_add_u64 v[0:1], v[74:75], 1, s[2:3]
	v_mad_u64_u32 v[12:13], s[2:3], v3, s0, 0
	v_lshl_add_u64 v[12:13], v[12:13], 1, v[0:1]
	v_add_u32_e32 v3, 4, v3
	s_waitcnt lgkmcnt(0)
	global_store_dwordx4 v[12:13], v[8:11], off
	s_nop 1
	v_mad_u64_u32 v[8:9], s[2:3], v3, s0, 0
	v_lshl_add_u64 v[8:9], v[8:9], 1, v[0:1]
	global_store_dwordx4 v[8:9], v[4:7], off
	s_and_b64 exec, exec, s[4:5]
	s_cbranch_execz .LBB716_20
; %bb.19:
	ds_read_b128 v[2:5], v2 offset:256
	v_add3_u32 v6, s40, v86, 8
	v_mad_u64_u32 v[6:7], s[0:1], v6, s0, 0
	v_lshl_add_u64 v[0:1], v[6:7], 1, v[0:1]
	s_waitcnt lgkmcnt(0)
	global_store_dwordx4 v[0:1], v[2:5], off
.LBB716_20:
	s_endpgm
	.section	.rodata,"a",@progbits
	.p2align	6, 0x0
	.amdhsa_kernel _Z39paged_attention_ll4mi_QKV_mfma16_kernelI14__hip_bfloat16S0_LN4vllm18Fp8KVCacheDataTypeE0EhLi32ELi128ELi256ELb0ELi9EEvPKT_PKT0_S8_ifPKiSA_SA_iPKfiiiPfSD_PS3_PT2_iSC_SC_
		.amdhsa_group_segment_fixed_size 8192
		.amdhsa_private_segment_fixed_size 0
		.amdhsa_kernarg_size 400
		.amdhsa_user_sgpr_count 2
		.amdhsa_user_sgpr_dispatch_ptr 0
		.amdhsa_user_sgpr_queue_ptr 0
		.amdhsa_user_sgpr_kernarg_segment_ptr 1
		.amdhsa_user_sgpr_dispatch_id 0
		.amdhsa_user_sgpr_kernarg_preload_length 0
		.amdhsa_user_sgpr_kernarg_preload_offset 0
		.amdhsa_user_sgpr_private_segment_size 0
		.amdhsa_uses_dynamic_stack 0
		.amdhsa_enable_private_segment 0
		.amdhsa_system_sgpr_workgroup_id_x 1
		.amdhsa_system_sgpr_workgroup_id_y 1
		.amdhsa_system_sgpr_workgroup_id_z 1
		.amdhsa_system_sgpr_workgroup_info 0
		.amdhsa_system_vgpr_workitem_id 0
		.amdhsa_next_free_vgpr 96
		.amdhsa_next_free_sgpr 42
		.amdhsa_accum_offset 96
		.amdhsa_reserve_vcc 1
		.amdhsa_float_round_mode_32 0
		.amdhsa_float_round_mode_16_64 0
		.amdhsa_float_denorm_mode_32 3
		.amdhsa_float_denorm_mode_16_64 3
		.amdhsa_dx10_clamp 1
		.amdhsa_ieee_mode 1
		.amdhsa_fp16_overflow 0
		.amdhsa_tg_split 0
		.amdhsa_exception_fp_ieee_invalid_op 0
		.amdhsa_exception_fp_denorm_src 0
		.amdhsa_exception_fp_ieee_div_zero 0
		.amdhsa_exception_fp_ieee_overflow 0
		.amdhsa_exception_fp_ieee_underflow 0
		.amdhsa_exception_fp_ieee_inexact 0
		.amdhsa_exception_int_div_zero 0
	.end_amdhsa_kernel
	.section	.text._Z39paged_attention_ll4mi_QKV_mfma16_kernelI14__hip_bfloat16S0_LN4vllm18Fp8KVCacheDataTypeE0EhLi32ELi128ELi256ELb0ELi9EEvPKT_PKT0_S8_ifPKiSA_SA_iPKfiiiPfSD_PS3_PT2_iSC_SC_,"axG",@progbits,_Z39paged_attention_ll4mi_QKV_mfma16_kernelI14__hip_bfloat16S0_LN4vllm18Fp8KVCacheDataTypeE0EhLi32ELi128ELi256ELb0ELi9EEvPKT_PKT0_S8_ifPKiSA_SA_iPKfiiiPfSD_PS3_PT2_iSC_SC_,comdat
.Lfunc_end716:
	.size	_Z39paged_attention_ll4mi_QKV_mfma16_kernelI14__hip_bfloat16S0_LN4vllm18Fp8KVCacheDataTypeE0EhLi32ELi128ELi256ELb0ELi9EEvPKT_PKT0_S8_ifPKiSA_SA_iPKfiiiPfSD_PS3_PT2_iSC_SC_, .Lfunc_end716-_Z39paged_attention_ll4mi_QKV_mfma16_kernelI14__hip_bfloat16S0_LN4vllm18Fp8KVCacheDataTypeE0EhLi32ELi128ELi256ELb0ELi9EEvPKT_PKT0_S8_ifPKiSA_SA_iPKfiiiPfSD_PS3_PT2_iSC_SC_
                                        ; -- End function
	.section	.AMDGPU.csdata,"",@progbits
; Kernel info:
; codeLenInByte = 4888
; NumSgprs: 48
; NumVgprs: 96
; NumAgprs: 0
; TotalNumVgprs: 96
; ScratchSize: 0
; MemoryBound: 0
; FloatMode: 240
; IeeeMode: 1
; LDSByteSize: 8192 bytes/workgroup (compile time only)
; SGPRBlocks: 5
; VGPRBlocks: 11
; NumSGPRsForWavesPerEU: 48
; NumVGPRsForWavesPerEU: 96
; AccumOffset: 96
; Occupancy: 5
; WaveLimiterHint : 1
; COMPUTE_PGM_RSRC2:SCRATCH_EN: 0
; COMPUTE_PGM_RSRC2:USER_SGPR: 2
; COMPUTE_PGM_RSRC2:TRAP_HANDLER: 0
; COMPUTE_PGM_RSRC2:TGID_X_EN: 1
; COMPUTE_PGM_RSRC2:TGID_Y_EN: 1
; COMPUTE_PGM_RSRC2:TGID_Z_EN: 1
; COMPUTE_PGM_RSRC2:TIDIG_COMP_CNT: 0
; COMPUTE_PGM_RSRC3_GFX90A:ACCUM_OFFSET: 23
; COMPUTE_PGM_RSRC3_GFX90A:TG_SPLIT: 0
	.section	.text._Z39paged_attention_ll4mi_QKV_mfma16_kernelI14__hip_bfloat16S0_LN4vllm18Fp8KVCacheDataTypeE0EhLi32ELi128ELi256ELb0ELi10EEvPKT_PKT0_S8_ifPKiSA_SA_iPKfiiiPfSD_PS3_PT2_iSC_SC_,"axG",@progbits,_Z39paged_attention_ll4mi_QKV_mfma16_kernelI14__hip_bfloat16S0_LN4vllm18Fp8KVCacheDataTypeE0EhLi32ELi128ELi256ELb0ELi10EEvPKT_PKT0_S8_ifPKiSA_SA_iPKfiiiPfSD_PS3_PT2_iSC_SC_,comdat
	.protected	_Z39paged_attention_ll4mi_QKV_mfma16_kernelI14__hip_bfloat16S0_LN4vllm18Fp8KVCacheDataTypeE0EhLi32ELi128ELi256ELb0ELi10EEvPKT_PKT0_S8_ifPKiSA_SA_iPKfiiiPfSD_PS3_PT2_iSC_SC_ ; -- Begin function _Z39paged_attention_ll4mi_QKV_mfma16_kernelI14__hip_bfloat16S0_LN4vllm18Fp8KVCacheDataTypeE0EhLi32ELi128ELi256ELb0ELi10EEvPKT_PKT0_S8_ifPKiSA_SA_iPKfiiiPfSD_PS3_PT2_iSC_SC_
	.globl	_Z39paged_attention_ll4mi_QKV_mfma16_kernelI14__hip_bfloat16S0_LN4vllm18Fp8KVCacheDataTypeE0EhLi32ELi128ELi256ELb0ELi10EEvPKT_PKT0_S8_ifPKiSA_SA_iPKfiiiPfSD_PS3_PT2_iSC_SC_
	.p2align	8
	.type	_Z39paged_attention_ll4mi_QKV_mfma16_kernelI14__hip_bfloat16S0_LN4vllm18Fp8KVCacheDataTypeE0EhLi32ELi128ELi256ELb0ELi10EEvPKT_PKT0_S8_ifPKiSA_SA_iPKfiiiPfSD_PS3_PT2_iSC_SC_,@function
_Z39paged_attention_ll4mi_QKV_mfma16_kernelI14__hip_bfloat16S0_LN4vllm18Fp8KVCacheDataTypeE0EhLi32ELi128ELi256ELb0ELi10EEvPKT_PKT0_S8_ifPKiSA_SA_iPKfiiiPfSD_PS3_PT2_iSC_SC_: ; @_Z39paged_attention_ll4mi_QKV_mfma16_kernelI14__hip_bfloat16S0_LN4vllm18Fp8KVCacheDataTypeE0EhLi32ELi128ELi256ELb0ELi10EEvPKT_PKT0_S8_ifPKiSA_SA_iPKfiiiPfSD_PS3_PT2_iSC_SC_
; %bb.0:
	s_load_dwordx2 s[8:9], s[0:1], 0x30
	s_mov_b32 s26, s3
	s_mov_b64 s[6:7], 0
	s_waitcnt lgkmcnt(0)
	s_cmp_lg_u64 s[8:9], 0
	s_cselect_b64 s[10:11], -1, 0
	s_and_b64 vcc, exec, s[10:11]
	s_cbranch_vccz .LBB717_7
; %bb.1:
	s_add_i32 s12, s2, 1
	s_mov_b32 s13, 0
	s_lshl_b64 s[14:15], s[12:13], 2
	s_add_u32 s14, s8, s14
	s_mov_b32 s3, s13
	s_addc_u32 s15, s9, s15
	s_lshl_b64 s[12:13], s[2:3], 2
	s_add_u32 s12, s8, s12
	s_addc_u32 s13, s9, s13
	s_load_dword s5, s[14:15], 0x0
	s_load_dword s16, s[12:13], 0x0
	s_waitcnt lgkmcnt(0)
	s_sub_i32 s5, s5, s16
	s_cmp_eq_u32 s5, 1
	s_cselect_b64 s[12:13], -1, 0
	s_andn2_b64 vcc, exec, s[6:7]
	s_cbranch_vccnz .LBB717_3
.LBB717_2:
	s_mov_b32 s3, 0
	s_mov_b64 s[12:13], -1
.LBB717_3:
	s_andn2_b64 vcc, exec, s[12:13]
	s_cbranch_vccnz .LBB717_20
; %bb.4:
	s_load_dwordx2 s[6:7], s[0:1], 0x28
	s_lshl_b64 s[12:13], s[2:3], 2
	s_waitcnt lgkmcnt(0)
	s_add_u32 s6, s6, s12
	s_addc_u32 s7, s7, s13
	s_load_dword s33, s[6:7], 0x0
	s_lshl_b32 s18, s26, 8
	s_waitcnt lgkmcnt(0)
	s_cmp_ge_i32 s18, s33
	s_cbranch_scc1 .LBB717_20
; %bb.5:
	s_load_dwordx2 s[6:7], s[0:1], 0x20
	s_load_dword s5, s[0:1], 0x38
	s_add_i32 s14, s33, 31
	s_ashr_i32 s15, s14, 31
	v_and_b32_e32 v1, 0xcf, v0
	s_lshr_b32 s15, s15, 27
	v_add_u32_e32 v1, s18, v1
	s_add_i32 s14, s14, s15
	v_ashrrev_i32_e32 v2, 31, v1
	s_ashr_i32 s19, s14, 5
	v_lshrrev_b32_e32 v4, 27, v2
	s_add_i32 s19, s19, -1
	s_waitcnt lgkmcnt(0)
	s_mul_i32 s14, s2, s5
	s_mov_b32 s15, 0
	v_add_u32_e32 v2, v1, v4
	s_lshl_b64 s[14:15], s[14:15], 2
	v_ashrrev_i32_e32 v2, 5, v2
	v_mov_b32_e32 v5, s19
	v_cmp_gt_i32_e32 vcc, s33, v1
	s_add_u32 s6, s6, s14
	s_addc_u32 s7, s7, s15
	v_cndmask_b32_e32 v2, v5, v2, vcc
	v_ashrrev_i32_e32 v3, 31, v2
	v_lshl_add_u64 v[6:7], v[2:3], 2, s[6:7]
	v_or_b32_e32 v2, 16, v1
	v_add_u32_e32 v3, v2, v4
	v_ashrrev_i32_e32 v3, 5, v3
	v_cmp_gt_i32_e32 vcc, s33, v2
	s_nop 1
	v_cndmask_b32_e32 v2, v5, v3, vcc
	v_ashrrev_i32_e32 v3, 31, v2
	v_lshl_add_u64 v[8:9], v[2:3], 2, s[6:7]
	v_or_b32_e32 v2, 32, v1
	v_add_u32_e32 v3, v2, v4
	v_ashrrev_i32_e32 v3, 5, v3
	v_cmp_gt_i32_e32 vcc, s33, v2
	v_or_b32_e32 v1, 48, v1
	s_nop 0
	v_cndmask_b32_e32 v2, v5, v3, vcc
	v_ashrrev_i32_e32 v3, 31, v2
	v_lshl_add_u64 v[10:11], v[2:3], 2, s[6:7]
	v_add_u32_e32 v2, v1, v4
	v_ashrrev_i32_e32 v2, 5, v2
	v_cmp_gt_i32_e32 vcc, s33, v1
	s_nop 1
	v_cndmask_b32_e32 v2, v5, v2, vcc
	v_ashrrev_i32_e32 v3, 31, v2
	v_lshl_add_u64 v[12:13], v[2:3], 2, s[6:7]
	global_load_dword v2, v[6:7], off
	global_load_dword v5, v[8:9], off
	;; [unrolled: 1-line block ×4, first 2 shown]
	s_andn2_b64 vcc, exec, s[10:11]
	s_cbranch_vccnz .LBB717_8
; %bb.6:
	s_add_u32 s8, s8, s12
	s_addc_u32 s9, s9, s13
	s_load_dword s5, s[8:9], 0x0
	s_branch .LBB717_9
.LBB717_7:
	s_mov_b64 s[12:13], 0
	s_branch .LBB717_2
.LBB717_8:
	s_mov_b32 s5, s2
.LBB717_9:
	s_load_dwordx4 s[12:15], s[0:1], 0x8
	s_load_dwordx4 s[8:11], s[0:1], 0x48
	v_lshrrev_b32_e32 v86, 6, v0
	v_bfe_u32 v1, v0, 4, 2
	v_lshl_or_b32 v3, v86, 2, v1
	v_and_b32_e32 v76, 15, v0
	v_lshlrev_b32_e32 v74, 3, v76
	v_cmp_lt_u32_e32 vcc, 9, v3
	s_and_saveexec_b64 s[16:17], vcc
	s_xor_b64 s[16:17], exec, s[16:17]
; %bb.10:
	v_mov_b32_e32 v75, 0
                                        ; implicit-def: $vgpr3
; %bb.11:
	s_or_saveexec_b64 s[16:17], s[16:17]
	v_and_b32_e32 v77, 63, v0
	s_mul_i32 s40, s4, 10
	s_xor_b64 exec, exec, s[16:17]
	s_cbranch_execz .LBB717_13
; %bb.12:
	s_load_dwordx2 s[20:21], s[0:1], 0x0
	s_waitcnt lgkmcnt(0)
	s_ashr_i32 s11, s8, 31
	s_mul_hi_u32 s22, s5, s8
	s_mul_i32 s11, s5, s11
	s_add_i32 s23, s22, s11
	s_mul_i32 s22, s5, s8
	s_lshl_b64 s[22:23], s[22:23], 1
	s_add_u32 s20, s20, s22
	v_add_lshl_u32 v6, v3, s40, 7
	s_addc_u32 s21, s21, s23
	v_ashrrev_i32_e32 v7, 31, v6
	v_mov_b32_e32 v75, 0
	v_lshl_add_u64 v[6:7], v[6:7], 1, s[20:21]
	v_lshlrev_b32_e32 v8, 1, v74
	v_mov_b32_e32 v9, v75
	v_lshl_add_u64 v[6:7], v[6:7], 0, v[8:9]
	global_load_dwordx4 v[6:9], v[6:7], off
	v_and_b32_e32 v10, 3, v0
	v_lshlrev_b32_e32 v11, 9, v76
	v_lshlrev_b32_e32 v3, 5, v3
	;; [unrolled: 1-line block ×3, first 2 shown]
	v_and_b32_e32 v11, 0x1800, v11
	v_or3_b32 v3, v11, v10, v3
	s_waitcnt vmcnt(0)
	ds_write_b128 v3, v[6:9]
.LBB717_13:
	s_or_b64 exec, exec, s[16:17]
	s_waitcnt lgkmcnt(0)
	s_mul_i32 s4, s4, s10
	s_mov_b32 s5, 0
	s_lshl_b64 s[4:5], s[4:5], 1
	s_add_u32 s10, s12, s4
	s_addc_u32 s11, s13, s5
	s_waitcnt vmcnt(3)
	v_mad_i64_i32 v[2:3], s[12:13], v2, s9, 0
	v_lshl_add_u64 v[6:7], v[2:3], 1, s[10:11]
	v_lshlrev_b64 v[2:3], 1, v[74:75]
	v_lshlrev_b32_e32 v50, 9, v1
	v_lshl_add_u64 v[6:7], v[6:7], 0, v[2:3]
	v_mov_b32_e32 v51, 0
	v_lshl_add_u64 v[8:9], v[6:7], 0, v[50:51]
	s_load_dword s27, s[0:1], 0x98
	s_load_dword s8, s[0:1], 0x1c
	s_waitcnt lgkmcnt(0)
	s_barrier
	global_load_dwordx4 v[38:41], v[8:9], off
	s_waitcnt vmcnt(3)
	v_mad_i64_i32 v[10:11], s[12:13], v5, s9, 0
	v_mov_b32_e32 v5, 0x100
	v_lshl_add_u64 v[10:11], v[10:11], 1, s[10:11]
	v_lshl_or_b32 v54, v76, 4, v5
	v_mov_b32_e32 v55, v51
	v_lshl_add_u64 v[22:23], v[10:11], 0, v[54:55]
	v_lshl_add_u64 v[10:11], v[22:23], 0, v[50:51]
	global_load_dwordx4 v[42:45], v[10:11], off
	global_load_dwordx4 v[18:21], v[8:9], off offset:2048
	global_load_dwordx4 v[26:29], v[10:11], off offset:2048
	v_or_b32_e32 v56, 0x1000, v50
	v_mov_b32_e32 v57, v51
	v_or_b32_e32 v52, 0x1800, v50
	v_mov_b32_e32 v53, v51
	v_lshl_add_u64 v[8:9], v[6:7], 0, v[56:57]
	v_lshl_add_u64 v[6:7], v[6:7], 0, v[52:53]
	global_load_dwordx4 v[14:17], v[8:9], off
	global_load_dwordx4 v[10:13], v[6:7], off
	v_lshl_add_u64 v[8:9], v[22:23], 0, v[56:57]
	global_load_dwordx4 v[30:33], v[8:9], off
	s_waitcnt vmcnt(8)
	v_mad_i64_i32 v[4:5], s[12:13], v4, s9, 0
	v_lshl_add_u64 v[4:5], v[4:5], 1, s[10:11]
	v_lshl_add_u64 v[60:61], v[4:5], 0, v[2:3]
	v_add_u32_e32 v2, -10, v76
	v_cmp_gt_u32_e32 vcc, 10, v76
	v_lshl_add_u64 v[6:7], v[22:23], 0, v[52:53]
	global_load_dwordx4 v[22:25], v[6:7], off
	v_cndmask_b32_e32 v2, v2, v76, vcc
	v_lshl_add_u64 v[58:59], v[60:61], 0, v[50:51]
	v_lshl_add_u32 v62, v2, 5, v50
	global_load_dwordx4 v[34:37], v[58:59], off
	ds_read_b128 v[6:9], v62
	ds_read_b128 v[2:5], v62 offset:2048
	s_waitcnt vmcnt(9)
	v_mad_i64_i32 v[72:73], s[12:13], v46, s9, 0
	s_ashr_i32 s12, s18, 31
	v_and_or_b32 v80, v0, 48, s18
	v_or_b32_e32 v84, 64, v80
	v_mov_b32_e32 v81, s19
	v_cmp_gt_i32_e32 vcc, s33, v80
	v_or_b32_e32 v85, 0x80, v80
	v_or_b32_e32 v87, 0xc0, v80
	s_mov_b32 s41, 0xff7fffff
	s_waitcnt vmcnt(7) lgkmcnt(1)
	v_mfma_f32_16x16x16_bf16 v[68:71], v[42:43], v[6:7], 0
	v_mfma_f32_16x16x16_bf16 v[64:67], v[38:39], v[6:7], 0
	;; [unrolled: 1-line block ×3, first 2 shown]
	ds_read_b128 v[46:49], v62 offset:4096
	ds_read_b128 v[38:41], v62 offset:6144
	v_lshl_add_u64 v[62:63], v[72:73], 1, s[10:11]
	v_lshl_add_u64 v[82:83], v[62:63], 0, v[54:55]
	v_mfma_f32_16x16x16_bf16 v[42:45], v[44:45], v[8:9], v[68:71]
	v_lshl_add_u64 v[54:55], v[60:61], 0, v[56:57]
	s_lshr_b32 s10, s12, 27
	v_lshl_add_u64 v[78:79], v[82:83], 0, v[56:57]
	s_waitcnt vmcnt(6) lgkmcnt(2)
	v_mfma_f32_16x16x16_bf16 v[62:65], v[18:19], v[2:3], v[64:67]
	v_add_u32_e32 v68, s10, v80
	v_add_u32_e32 v69, s10, v84
	v_lshl_add_u64 v[70:71], v[82:83], 0, v[50:51]
	v_lshl_add_u64 v[66:67], v[60:61], 0, v[52:53]
	global_load_dwordx4 v[58:61], v[58:59], off offset:2048
	s_waitcnt vmcnt(6)
	v_mfma_f32_16x16x16_bf16 v[42:45], v[26:27], v[2:3], v[42:45]
	v_ashrrev_i32_e32 v50, 5, v68
	v_ashrrev_i32_e32 v56, 5, v69
	v_add_u32_e32 v72, s10, v85
	v_mfma_f32_16x16x16_bf16 v[18:21], v[20:21], v[4:5], v[62:65]
	v_add_u32_e32 v73, s10, v87
	s_add_u32 s4, s14, s4
	s_addc_u32 s5, s15, s5
	v_mfma_f32_16x16x16_bf16 v[26:29], v[28:29], v[4:5], v[42:45]
	v_ashrrev_i32_e32 v62, 5, v72
	v_ashrrev_i32_e32 v72, 5, v73
	s_waitcnt vmcnt(5) lgkmcnt(1)
	v_mfma_f32_16x16x16_bf16 v[18:21], v[14:15], v[46:47], v[18:21]
	global_load_dwordx4 v[42:45], v[54:55], off
	v_cndmask_b32_e32 v14, v81, v50, vcc
	v_cmp_gt_i32_e32 vcc, s33, v84
	s_waitcnt vmcnt(4)
	v_mfma_f32_16x16x16_bf16 v[26:29], v[30:31], v[46:47], v[26:29]
	v_ashrrev_i32_e32 v15, 31, v14
	v_cndmask_b32_e32 v30, v81, v56, vcc
	v_ashrrev_i32_e32 v31, 31, v30
	v_lshl_add_u64 v[14:15], v[14:15], 2, s[6:7]
	v_lshl_add_u64 v[30:31], v[30:31], 2, s[6:7]
	global_load_dword v92, v[14:15], off
	global_load_dword v84, v[30:31], off
	v_mfma_f32_16x16x16_bf16 v[14:17], v[16:17], v[48:49], v[18:21]
	v_cmp_gt_i32_e32 vcc, s33, v85
	s_nop 1
	global_load_dwordx4 v[18:21], v[66:67], off
	s_waitcnt lgkmcnt(0)
	v_mfma_f32_16x16x16_bf16 v[14:17], v[10:11], v[38:39], v[14:17]
	v_cndmask_b32_e32 v10, v81, v62, vcc
	v_ashrrev_i32_e32 v11, 31, v10
	v_lshl_add_u64 v[10:11], v[10:11], 2, s[6:7]
	v_mfma_f32_16x16x16_bf16 v[66:69], v[12:13], v[40:41], v[14:17]
	global_load_dword v85, v[10:11], off
	global_load_dwordx4 v[62:65], v[70:71], off offset:2048
	v_cmp_gt_i32_e32 vcc, s33, v87
	v_lshl_add_u64 v[14:15], v[82:83], 0, v[52:53]
	global_load_dwordx4 v[88:91], v[14:15], off
	global_load_dwordx4 v[54:57], v[70:71], off
	v_cndmask_b32_e32 v10, v81, v72, vcc
	global_load_dwordx4 v[78:81], v[78:79], off
	v_ashrrev_i32_e32 v11, 31, v10
	v_lshl_add_u64 v[10:11], v[10:11], 2, s[6:7]
	global_load_dword v93, v[10:11], off
	s_waitcnt vmcnt(11)
	v_mfma_f32_16x16x16_bf16 v[10:13], v[34:35], v[6:7], 0
	v_and_b32_e32 v14, 16, v0
	v_lshlrev_b32_e32 v50, 1, v14
	v_lshl_or_b32 v87, v86, 4, v76
	v_mfma_f32_16x16x16_bf16 v[10:13], v[36:37], v[8:9], v[10:13]
	v_lshl_add_u64 v[36:37], s[4:5], 0, v[50:51]
	v_lshlrev_b32_e32 v50, 6, v87
	v_pk_mul_f32 v[82:83], s[8:9], v[68:69] op_sel_hi:[0,1]
	v_mfma_f32_16x16x16_bf16 v[26:29], v[32:33], v[48:49], v[26:29]
	s_waitcnt vmcnt(8)
	v_mad_i64_i32 v[14:15], s[4:5], v92, s9, 0
	v_mfma_f32_16x16x16_bf16 v[10:13], v[58:59], v[2:3], v[10:13]
	v_lshl_add_u64 v[58:59], v[36:37], 0, v[50:51]
	v_or_b32_e32 v50, 0x1000, v50
	v_mfma_f32_16x16x16_bf16 v[10:13], v[60:61], v[4:5], v[10:13]
	v_lshlrev_b64 v[60:61], 1, v[14:15]
	v_lshl_add_u64 v[14:15], v[58:59], 0, v[60:61]
	v_mfma_f32_16x16x16_bf16 v[10:13], v[42:43], v[46:47], v[10:13]
	v_mfma_f32_16x16x16_bf16 v[10:13], v[44:45], v[48:49], v[10:13]
	;; [unrolled: 1-line block ×3, first 2 shown]
	s_waitcnt vmcnt(6)
	v_mfma_f32_16x16x16_bf16 v[10:13], v[18:19], v[38:39], v[10:13]
	v_mfma_f32_16x16x16_bf16 v[70:73], v[24:25], v[40:41], v[26:29]
	global_load_dwordx4 v[30:33], v[14:15], off
	s_nop 2
	global_load_dwordx4 v[26:29], v[14:15], off offset:16
	v_mad_i64_i32 v[14:15], s[4:5], v84, s9, 0
	v_lshlrev_b64 v[34:35], 1, v[14:15]
	v_mfma_f32_16x16x16_bf16 v[42:45], v[20:21], v[40:41], v[10:13]
	v_pk_mul_f32 v[70:71], s[8:9], v[70:71] op_sel_hi:[0,1]
	s_nop 1
	v_lshl_add_u64 v[10:11], v[58:59], 0, v[34:35]
	global_load_dwordx4 v[22:25], v[10:11], off
	global_load_dwordx4 v[18:21], v[10:11], off offset:16
	s_waitcnt vmcnt(6)
	v_mfma_f32_16x16x16_bf16 v[10:13], v[54:55], v[6:7], 0
	v_mad_i64_i32 v[6:7], s[4:5], v85, s9, 0
	v_lshlrev_b64 v[52:53], 1, v[6:7]
	v_mfma_f32_16x16x16_bf16 v[6:9], v[56:57], v[8:9], v[10:13]
	v_pk_mul_f32 v[84:85], s[8:9], v[72:73] op_sel_hi:[0,1]
	v_mfma_f32_16x16x16_bf16 v[6:9], v[62:63], v[2:3], v[6:9]
	s_waitcnt vmcnt(4)
	v_mad_i64_i32 v[2:3], s[4:5], v93, s9, 0
	v_lshlrev_b64 v[62:63], 1, v[2:3]
	v_mfma_f32_16x16x16_bf16 v[54:57], v[64:65], v[4:5], v[6:9]
	v_lshl_add_u64 v[64:65], v[36:37], 0, v[50:51]
	v_pk_mul_f32 v[50:51], s[8:9], v[66:67] op_sel_hi:[0,1]
	v_lshl_add_u64 v[10:11], v[58:59], 0, v[52:53]
	v_mfma_f32_16x16x16_bf16 v[54:57], v[78:79], v[46:47], v[54:57]
	v_pk_mul_f32 v[78:79], s[8:9], v[42:43] op_sel_hi:[0,1]
	v_lshl_add_u64 v[2:3], v[58:59], 0, v[62:63]
	v_lshl_add_u64 v[58:59], v[64:65], 0, v[60:61]
	v_mfma_f32_16x16x16_bf16 v[46:49], v[80:81], v[48:49], v[54:57]
	v_pk_mul_f32 v[80:81], s[8:9], v[44:45] op_sel_hi:[0,1]
	v_lshl_add_u64 v[34:35], v[64:65], 0, v[34:35]
	v_lshl_add_u64 v[52:53], v[64:65], 0, v[52:53]
	v_mfma_f32_16x16x16_bf16 v[36:39], v[88:89], v[38:39], v[46:49]
	global_load_dwordx4 v[14:17], v[10:11], off
	s_nop 0
	global_load_dwordx4 v[10:13], v[10:11], off offset:16
	s_nop 0
	global_load_dwordx4 v[6:9], v[2:3], off
	s_nop 0
	global_load_dwordx4 v[2:5], v[2:3], off offset:16
	v_mfma_f32_16x16x16_bf16 v[36:39], v[90:91], v[40:41], v[36:39]
	s_nop 6
	v_pk_mul_f32 v[72:73], s[8:9], v[36:37] op_sel_hi:[0,1]
	v_and_b32_e32 v36, 0xc0, v0
	v_add_u32_e32 v36, s18, v36
	v_lshl_or_b32 v36, v1, 2, v36
	v_pk_mul_f32 v[66:67], s[8:9], v[38:39] op_sel_hi:[0,1]
	v_or_b32_e32 v39, 1, v36
	v_mov_b32_e32 v37, 0xff7fffff
	v_cmp_gt_i32_e64 s[28:29], s33, v36
	v_cmp_gt_i32_e64 s[30:31], s33, v39
	v_or_b32_e32 v40, 3, v36
	v_cndmask_b32_e64 v38, v37, v50, s[28:29]
	v_cndmask_b32_e64 v39, v37, v51, s[30:31]
	v_max3_f32 v38, v38, s41, v39
	v_or_b32_e32 v39, 2, v36
	v_cmp_gt_i32_e64 s[34:35], s33, v39
	v_cmp_gt_i32_e64 s[36:37], s33, v40
	s_nop 0
	v_cndmask_b32_e64 v39, v37, v82, s[34:35]
	v_cndmask_b32_e64 v40, v37, v83, s[36:37]
	v_max3_f32 v38, v38, v39, v40
	v_or_b32_e32 v39, 16, v36
	v_or_b32_e32 v40, 17, v36
	v_cmp_gt_i32_e64 s[22:23], s33, v39
	v_cmp_gt_i32_e64 s[24:25], s33, v40
	s_nop 0
	v_cndmask_b32_e64 v39, v37, v70, s[22:23]
	v_cndmask_b32_e64 v40, v37, v71, s[24:25]
	v_max3_f32 v38, v38, v39, v40
	v_or_b32_e32 v39, 18, v36
	;; [unrolled: 8-line block ×6, first 2 shown]
	v_or_b32_e32 v36, 51, v36
	v_cmp_gt_i32_e32 vcc, s33, v39
	v_cmp_gt_i32_e64 s[4:5], s33, v36
	s_nop 0
	v_cndmask_b32_e32 v39, v37, v66, vcc
	v_cndmask_b32_e64 v36, v37, v67, s[4:5]
	v_max3_f32 v54, v38, v39, v36
	v_mbcnt_lo_u32_b32 v36, -1, 0
	v_mbcnt_hi_u32_b32 v55, -1, v36
	v_and_b32_e32 v36, 64, v55
	v_add_u32_e32 v56, 64, v36
	v_xor_b32_e32 v36, 32, v55
	v_cmp_lt_i32_e64 s[38:39], v36, v56
	global_load_dwordx4 v[46:49], v[58:59], off
	global_load_dwordx4 v[38:41], v[58:59], off offset:16
	v_cndmask_b32_e64 v36, v55, v36, s[38:39]
	v_lshlrev_b32_e32 v89, 2, v36
	ds_bpermute_b32 v57, v89, v54
	global_load_dwordx4 v[42:45], v[34:35], off
	s_nop 0
	global_load_dwordx4 v[34:37], v[34:35], off offset:16
	s_waitcnt lgkmcnt(0)
	v_max_f32_e32 v57, v57, v57
	v_max_f32_e32 v68, v54, v57
	v_xor_b32_e32 v54, 16, v55
	v_cmp_lt_i32_e64 s[38:39], v54, v56
	s_nop 1
	v_cndmask_b32_e64 v54, v55, v54, s[38:39]
	v_lshlrev_b32_e32 v90, 2, v54
	ds_bpermute_b32 v69, v90, v68
	global_load_dwordx4 v[58:61], v[52:53], off
	global_load_dwordx4 v[54:57], v[52:53], off offset:16
	v_lshl_add_u64 v[52:53], v[64:65], 0, v[62:63]
	s_waitcnt lgkmcnt(0)
	v_max_f32_e32 v62, v69, v69
	v_max_f32_e32 v88, v68, v62
	v_sub_f32_e32 v50, v50, v88
	v_mul_f32_e32 v50, 0x3fb8aa3b, v50
	v_exp_f32_e32 v68, v50
	v_sub_f32_e32 v50, v51, v88
	v_mul_f32_e32 v50, 0x3fb8aa3b, v50
	v_exp_f32_e32 v69, v50
	global_load_dwordx4 v[62:65], v[52:53], off
	s_nop 0
	global_load_dwordx4 v[50:53], v[52:53], off offset:16
	v_sub_f32_e32 v82, v82, v88
	v_mul_f32_e32 v82, 0x3fb8aa3b, v82
	v_sub_f32_e32 v83, v83, v88
	v_exp_f32_e32 v82, v82
	v_mul_f32_e32 v83, 0x3fb8aa3b, v83
	v_sub_f32_e32 v70, v70, v88
	v_exp_f32_e32 v83, v83
	v_mul_f32_e32 v70, 0x3fb8aa3b, v70
	v_sub_f32_e32 v71, v71, v88
	v_cndmask_b32_e64 v68, 0, v68, s[28:29]
	v_exp_f32_e32 v70, v70
	v_mul_f32_e32 v71, 0x3fb8aa3b, v71
	v_sub_f32_e32 v84, v84, v88
	v_add_f32_e32 v91, 0, v68
	v_cndmask_b32_e64 v69, 0, v69, s[30:31]
	v_exp_f32_e32 v71, v71
	v_mul_f32_e32 v84, 0x3fb8aa3b, v84
	v_sub_f32_e32 v85, v85, v88
	v_add_f32_e32 v91, v91, v69
	;; [unrolled: 5-line block ×10, first 2 shown]
	v_cndmask_b32_e64 v80, 0, v80, s[10:11]
	v_exp_f32_e32 v66, v66
	v_mul_f32_e32 v67, 0x3fb8aa3b, v67
	v_add_f32_e32 v91, v91, v80
	v_cndmask_b32_e64 v81, 0, v81, s[12:13]
	v_exp_f32_e32 v67, v67
	v_add_f32_e32 v91, v91, v81
	v_cndmask_b32_e64 v72, 0, v72, s[6:7]
	v_add_f32_e32 v91, v91, v72
	v_cndmask_b32_e64 v73, 0, v73, s[8:9]
	v_add_f32_e32 v91, v91, v73
	v_cndmask_b32_e32 v66, 0, v66, vcc
	v_add_f32_e32 v91, v91, v66
	v_cndmask_b32_e64 v67, 0, v67, s[4:5]
	v_add_f32_e32 v91, v91, v67
	ds_bpermute_b32 v89, v89, v91
	v_cmp_gt_u32_e32 vcc, 16, v77
	s_waitcnt lgkmcnt(0)
	s_barrier
	v_add_f32_e32 v89, v91, v89
	ds_bpermute_b32 v90, v90, v89
	s_and_saveexec_b64 s[4:5], vcc
	s_cbranch_execz .LBB717_15
; %bb.14:
	s_waitcnt lgkmcnt(0)
	v_add_f32_e32 v77, v89, v90
	v_lshlrev_b32_e32 v87, 2, v87
	ds_write2st64_b32 v87, v88, v77 offset1:1
.LBB717_15:
	s_or_b64 exec, exec, s[4:5]
	v_lshlrev_b32_e32 v77, 2, v76
	s_load_dword s6, s[0:1], 0x94
	s_waitcnt lgkmcnt(0)
	s_barrier
	ds_read2_b32 v[88:89], v77 offset1:16
	ds_read2_b32 v[90:91], v77 offset0:32 offset1:48
	ds_read2_b32 v[92:93], v77 offset0:64 offset1:80
	;; [unrolled: 1-line block ×3, first 2 shown]
	s_movk_i32 s8, 0x7fff
	s_waitcnt lgkmcnt(3)
	v_max3_f32 v87, v88, s41, v89
	s_waitcnt lgkmcnt(2)
	v_max3_f32 v87, v87, v90, v91
	v_sub_f32_e32 v88, v88, v87
	v_mul_f32_e32 v88, 0x3fb8aa3b, v88
	v_exp_f32_e32 v86, v88
	v_sub_f32_e32 v88, v89, v87
	v_mul_f32_e32 v88, 0x3fb8aa3b, v88
	v_exp_f32_e32 v89, v88
	v_sub_f32_e32 v88, v90, v87
	v_mul_f32_e32 v88, 0x3fb8aa3b, v88
	v_sub_f32_e32 v77, v91, v87
	v_exp_f32_e32 v90, v88
	v_mul_f32_e32 v77, 0x3fb8aa3b, v77
	v_exp_f32_e32 v77, v77
	s_waitcnt lgkmcnt(1)
	v_fma_f32 v88, v86, v92, 0
	v_fmac_f32_e32 v88, v89, v93
	s_waitcnt lgkmcnt(0)
	v_fmac_f32_e32 v88, v90, v94
	v_fmac_f32_e32 v88, v77, v95
	v_add_f32_e32 v91, 0x358637bd, v88
	v_div_scale_f32 v92, s[4:5], v91, v91, 1.0
	v_rcp_f32_e32 v93, v92
	s_mov_b32 s9, 0x7060302
	s_barrier
	v_fma_f32 v94, -v92, v93, 1.0
	v_fmac_f32_e32 v93, v94, v93
	v_div_scale_f32 v94, vcc, 1.0, v91, 1.0
	v_mul_f32_e32 v95, v94, v93
	v_fma_f32 v1, -v92, v95, v94
	v_fmac_f32_e32 v95, v1, v93
	v_fma_f32 v1, -v92, v95, v94
	v_div_fmas_f32 v1, v1, v93, v95
	v_div_fixup_f32 v1, v1, v91, 1.0
	v_lshrrev_b32_e32 v91, 6, v0
	v_cmp_eq_u32_e32 vcc, 1, v91
	s_mul_i32 s7, s27, 10
	s_nop 0
	v_cndmask_b32_e32 v86, v86, v89, vcc
	v_cmp_eq_u32_e32 vcc, 2, v91
	s_nop 1
	v_cndmask_b32_e32 v86, v86, v90, vcc
	v_cmp_eq_u32_e32 vcc, 3, v91
	s_nop 1
	v_cndmask_b32_e32 v77, v86, v77, vcc
	v_mul_f32_e32 v90, v77, v1
	v_pk_mul_f32 v[68:69], v[90:91], v[68:69] op_sel_hi:[0,1]
	v_bfe_u32 v1, v69, 16, 1
	v_bfe_u32 v77, v68, 16, 1
	v_pk_mul_f32 v[82:83], v[90:91], v[82:83] op_sel_hi:[0,1]
	v_add3_u32 v68, v68, v77, s8
	v_add3_u32 v1, v69, v1, s8
	v_perm_b32 v92, v1, v68, s9
	v_bfe_u32 v1, v83, 16, 1
	v_bfe_u32 v68, v82, 16, 1
	v_add3_u32 v68, v82, v68, s8
	v_add3_u32 v1, v83, v1, s8
	v_bfe_u32 v86, v0, 4, 2
	v_perm_b32 v93, v1, v68, s9
	v_lshlrev_b32_e32 v1, 3, v86
	v_lshlrev_b32_e32 v68, 5, v76
	;; [unrolled: 1-line block ×3, first 2 shown]
	v_pk_mul_f32 v[70:71], v[90:91], v[70:71] op_sel_hi:[0,1]
	v_or3_b32 v1, v69, v68, v1
	v_bfe_u32 v69, v71, 16, 1
	v_bfe_u32 v77, v70, 16, 1
	v_pk_mul_f32 v[82:83], v[90:91], v[84:85] op_sel_hi:[0,1]
	v_add3_u32 v70, v70, v77, s8
	v_add3_u32 v69, v71, v69, s8
	v_perm_b32 v70, v69, v70, s9
	v_bfe_u32 v69, v83, 16, 1
	v_bfe_u32 v71, v82, 16, 1
	v_add3_u32 v71, v82, v71, s8
	v_add3_u32 v69, v83, v69, s8
	v_pk_mul_f32 v[78:79], v[90:91], v[78:79] op_sel_hi:[0,1]
	v_perm_b32 v71, v69, v71, s9
	v_bfe_u32 v69, v79, 16, 1
	v_bfe_u32 v77, v78, 16, 1
	ds_write2st64_b64 v1, v[92:93], v[70:71] offset1:1
	v_pk_mul_f32 v[70:71], v[90:91], v[80:81] op_sel_hi:[0,1]
	v_add3_u32 v77, v78, v77, s8
	v_add3_u32 v69, v79, v69, s8
	v_perm_b32 v78, v69, v77, s9
	v_bfe_u32 v69, v71, 16, 1
	v_bfe_u32 v77, v70, 16, 1
	v_add3_u32 v70, v70, v77, s8
	v_add3_u32 v69, v71, v69, s8
	v_perm_b32 v79, v69, v70, s9
	v_pk_mul_f32 v[70:71], v[90:91], v[72:73] op_sel_hi:[0,1]
	v_bfe_u32 v69, v71, 16, 1
	v_bfe_u32 v72, v70, 16, 1
	v_pk_mul_f32 v[66:67], v[90:91], v[66:67] op_sel_hi:[0,1]
	v_add3_u32 v70, v70, v72, s8
	v_add3_u32 v69, v71, v69, s8
	v_perm_b32 v70, v69, v70, s9
	v_bfe_u32 v69, v67, 16, 1
	v_bfe_u32 v71, v66, 16, 1
	v_add3_u32 v66, v66, v71, s8
	v_add3_u32 v67, v67, v69, s8
	v_perm_b32 v71, v67, v66, s9
	v_cmp_gt_u32_e32 vcc, 10, v0
	ds_write2st64_b64 v1, v[78:79], v[70:71] offset0:2 offset1:3
	s_and_saveexec_b64 s[4:5], vcc
	s_cbranch_execz .LBB717_17
; %bb.16:
	s_mov_b32 s41, 0
	v_mov_b32_e32 v77, 0
	v_lshl_add_u64 v[66:67], s[40:41], 0, v[76:77]
	v_mov_b32_e32 v69, s7
	v_mad_u64_u32 v[66:67], s[10:11], s2, v69, v[66:67]
	s_mul_i32 s3, s3, s7
	v_mov_b32_e32 v70, s26
	v_mov_b32_e32 v71, v77
	s_load_dwordx4 s[12:15], s[0:1], 0x58
	v_add_u32_e32 v69, s3, v67
	v_mad_u64_u32 v[66:67], s[10:11], v66, s6, v[70:71]
	v_mov_b32_e32 v70, v67
	v_mad_u64_u32 v[70:71], s[10:11], v69, s6, v[70:71]
	v_mov_b32_e32 v67, v70
	v_lshlrev_b64 v[66:67], 2, v[66:67]
	s_waitcnt lgkmcnt(0)
	v_lshl_add_u64 v[70:71], s[14:15], 0, v[66:67]
	v_lshl_add_u64 v[66:67], s[12:13], 0, v[66:67]
	global_store_dword v[70:71], v87, off
	global_store_dword v[66:67], v88, off
.LBB717_17:
	s_or_b64 exec, exec, s[4:5]
	v_lshl_or_b32 v77, v86, 9, v68
	s_waitcnt lgkmcnt(0)
	s_barrier
	ds_read_b128 v[70:73], v77
	ds_read_b128 v[66:69], v77 offset:16
	s_waitcnt vmcnt(15) lgkmcnt(1)
	v_mfma_f32_16x16x16_bf16 v[78:81], v[30:31], v[70:71], 0
	s_mov_b32 s3, 0
	v_cmp_gt_u32_e32 vcc, 64, v0
	v_mfma_f32_16x16x16_bf16 v[30:33], v[32:33], v[72:73], v[78:81]
	s_waitcnt vmcnt(14) lgkmcnt(0)
	v_mfma_f32_16x16x16_bf16 v[30:33], v[26:27], v[66:67], v[30:33]
	v_mfma_f32_16x16x16_bf16 v[26:29], v[28:29], v[68:69], v[30:33]
	s_nop 5
	ds_read_b128 v[30:33], v77 offset:2048
	ds_read_b128 v[78:81], v77 offset:2064
	s_waitcnt vmcnt(13) lgkmcnt(1)
	v_mfma_f32_16x16x16_bf16 v[26:29], v[22:23], v[30:31], v[26:29]
	v_mfma_f32_16x16x16_bf16 v[22:25], v[24:25], v[32:33], v[26:29]
	s_waitcnt vmcnt(12) lgkmcnt(0)
	v_mfma_f32_16x16x16_bf16 v[22:25], v[18:19], v[78:79], v[22:25]
	v_mfma_f32_16x16x16_bf16 v[18:21], v[20:21], v[80:81], v[22:25]
	s_nop 5
	ds_read_b128 v[22:25], v77 offset:4096
	ds_read_b128 v[26:29], v77 offset:4112
	s_waitcnt vmcnt(11) lgkmcnt(1)
	v_mfma_f32_16x16x16_bf16 v[18:21], v[14:15], v[22:23], v[18:21]
	v_mfma_f32_16x16x16_bf16 v[14:17], v[16:17], v[24:25], v[18:21]
	s_waitcnt vmcnt(10) lgkmcnt(0)
	v_mfma_f32_16x16x16_bf16 v[14:17], v[10:11], v[26:27], v[14:17]
	v_mfma_f32_16x16x16_bf16 v[10:13], v[12:13], v[28:29], v[14:17]
	s_nop 5
	ds_read_b128 v[14:17], v77 offset:6144
	ds_read_b128 v[18:21], v77 offset:6160
	s_waitcnt lgkmcnt(0)
	s_barrier
	s_waitcnt vmcnt(9)
	v_mfma_f32_16x16x16_bf16 v[10:13], v[6:7], v[14:15], v[10:13]
	v_mfma_f32_16x16x16_bf16 v[6:9], v[8:9], v[16:17], v[10:13]
	s_waitcnt vmcnt(8)
	v_mfma_f32_16x16x16_bf16 v[6:9], v[2:3], v[18:19], v[6:9]
	v_mfma_f32_16x16x16_bf16 v[2:5], v[4:5], v[20:21], v[6:9]
	;; [unrolled: 3-line block ×3, first 2 shown]
	s_nop 3
	v_bfe_u32 v10, v3, 16, 1
	v_bfe_u32 v11, v2, 16, 1
	v_add3_u32 v2, v2, v11, s8
	s_waitcnt vmcnt(6)
	v_mfma_f32_16x16x16_bf16 v[6:9], v[38:39], v[66:67], v[6:9]
	v_add3_u32 v3, v3, v10, s8
	v_perm_b32 v10, v3, v2, s9
	v_bfe_u32 v2, v5, 16, 1
	v_mfma_f32_16x16x16_bf16 v[6:9], v[40:41], v[68:69], v[6:9]
	v_bfe_u32 v3, v4, 16, 1
	v_add3_u32 v3, v4, v3, s8
	v_add3_u32 v2, v5, v2, s8
	s_waitcnt vmcnt(5)
	v_mfma_f32_16x16x16_bf16 v[6:9], v[42:43], v[30:31], v[6:9]
	v_perm_b32 v11, v2, v3, s9
	v_mfma_f32_16x16x16_bf16 v[6:9], v[44:45], v[32:33], v[6:9]
	s_waitcnt vmcnt(4)
	v_mfma_f32_16x16x16_bf16 v[6:9], v[34:35], v[78:79], v[6:9]
	v_mfma_f32_16x16x16_bf16 v[6:9], v[36:37], v[80:81], v[6:9]
	s_waitcnt vmcnt(3)
	v_mfma_f32_16x16x16_bf16 v[6:9], v[58:59], v[22:23], v[6:9]
	v_mfma_f32_16x16x16_bf16 v[6:9], v[60:61], v[24:25], v[6:9]
	s_waitcnt vmcnt(2)
	v_mfma_f32_16x16x16_bf16 v[6:9], v[54:55], v[26:27], v[6:9]
	v_mfma_f32_16x16x16_bf16 v[6:9], v[56:57], v[28:29], v[6:9]
	s_waitcnt vmcnt(1)
	v_mfma_f32_16x16x16_bf16 v[6:9], v[62:63], v[14:15], v[6:9]
	v_mfma_f32_16x16x16_bf16 v[6:9], v[64:65], v[16:17], v[6:9]
	s_waitcnt vmcnt(0)
	v_mfma_f32_16x16x16_bf16 v[6:9], v[50:51], v[18:19], v[6:9]
	v_mfma_f32_16x16x16_bf16 v[2:5], v[52:53], v[20:21], v[6:9]
	s_nop 6
	v_bfe_u32 v6, v3, 16, 1
	v_bfe_u32 v7, v2, 16, 1
	v_add3_u32 v2, v2, v7, s8
	v_add3_u32 v3, v3, v6, s8
	v_perm_b32 v2, v3, v2, s9
	v_bfe_u32 v3, v5, 16, 1
	v_bfe_u32 v6, v4, 16, 1
	v_add3_u32 v4, v4, v6, s8
	v_add3_u32 v3, v5, v3, s8
	v_perm_b32 v3, v3, v4, s9
	ds_write2st64_b64 v1, v[10:11], v[2:3] offset1:1
	s_waitcnt lgkmcnt(0)
	s_barrier
	s_and_saveexec_b64 s[4:5], vcc
	s_cbranch_execz .LBB717_20
; %bb.18:
	s_load_dwordx2 s[4:5], s[0:1], 0x68
	s_lshl_b32 s0, s6, 7
	s_mul_i32 s1, s7, s2
	v_lshlrev_b32_e32 v3, 6, v76
	s_mul_hi_u32 s7, s1, s0
	s_mul_i32 s6, s1, s0
	v_lshlrev_b32_e32 v2, 4, v0
	v_lshl_or_b32 v0, v0, 10, v3
	s_lshl_b64 s[6:7], s[6:7], 1
	v_lshlrev_b32_e32 v1, 5, v86
	v_and_b32_e32 v2, 16, v2
	v_and_b32_e32 v0, 0x1a00, v0
	s_waitcnt lgkmcnt(0)
	s_add_u32 s1, s4, s6
	v_or3_b32 v2, v0, v1, v2
	s_addc_u32 s4, s5, s7
	s_lshl_b32 s2, s26, 7
	s_lshl_b64 s[2:3], s[2:3], 1
	ds_read_b128 v[4:7], v2 offset:128
	ds_read_b128 v[8:11], v2
	s_add_u32 s2, s1, s2
	s_addc_u32 s3, s4, s3
	v_add_u32_e32 v14, s40, v86
	v_lshl_add_u64 v[0:1], v[74:75], 1, s[2:3]
	v_mad_u64_u32 v[12:13], s[2:3], v14, s0, 0
	v_lshl_add_u64 v[12:13], v[12:13], 1, v[0:1]
	s_waitcnt lgkmcnt(0)
	global_store_dwordx4 v[12:13], v[8:11], off
	v_or_b32_e32 v3, 8, v86
	v_cmp_gt_u32_e32 vcc, 10, v3
	v_add_u32_e32 v8, 4, v14
	v_mad_u64_u32 v[8:9], s[2:3], v8, s0, 0
	v_lshl_add_u64 v[8:9], v[8:9], 1, v[0:1]
	global_store_dwordx4 v[8:9], v[4:7], off
	s_and_b64 exec, exec, vcc
	s_cbranch_execz .LBB717_20
; %bb.19:
	ds_read_b128 v[4:7], v2 offset:256
	v_add_u32_e32 v2, s40, v3
	v_mad_u64_u32 v[2:3], s[0:1], v2, s0, 0
	v_lshl_add_u64 v[0:1], v[2:3], 1, v[0:1]
	s_waitcnt lgkmcnt(0)
	global_store_dwordx4 v[0:1], v[4:7], off
.LBB717_20:
	s_endpgm
	.section	.rodata,"a",@progbits
	.p2align	6, 0x0
	.amdhsa_kernel _Z39paged_attention_ll4mi_QKV_mfma16_kernelI14__hip_bfloat16S0_LN4vllm18Fp8KVCacheDataTypeE0EhLi32ELi128ELi256ELb0ELi10EEvPKT_PKT0_S8_ifPKiSA_SA_iPKfiiiPfSD_PS3_PT2_iSC_SC_
		.amdhsa_group_segment_fixed_size 8192
		.amdhsa_private_segment_fixed_size 0
		.amdhsa_kernarg_size 400
		.amdhsa_user_sgpr_count 2
		.amdhsa_user_sgpr_dispatch_ptr 0
		.amdhsa_user_sgpr_queue_ptr 0
		.amdhsa_user_sgpr_kernarg_segment_ptr 1
		.amdhsa_user_sgpr_dispatch_id 0
		.amdhsa_user_sgpr_kernarg_preload_length 0
		.amdhsa_user_sgpr_kernarg_preload_offset 0
		.amdhsa_user_sgpr_private_segment_size 0
		.amdhsa_uses_dynamic_stack 0
		.amdhsa_enable_private_segment 0
		.amdhsa_system_sgpr_workgroup_id_x 1
		.amdhsa_system_sgpr_workgroup_id_y 1
		.amdhsa_system_sgpr_workgroup_id_z 1
		.amdhsa_system_sgpr_workgroup_info 0
		.amdhsa_system_vgpr_workitem_id 0
		.amdhsa_next_free_vgpr 96
		.amdhsa_next_free_sgpr 42
		.amdhsa_accum_offset 96
		.amdhsa_reserve_vcc 1
		.amdhsa_float_round_mode_32 0
		.amdhsa_float_round_mode_16_64 0
		.amdhsa_float_denorm_mode_32 3
		.amdhsa_float_denorm_mode_16_64 3
		.amdhsa_dx10_clamp 1
		.amdhsa_ieee_mode 1
		.amdhsa_fp16_overflow 0
		.amdhsa_tg_split 0
		.amdhsa_exception_fp_ieee_invalid_op 0
		.amdhsa_exception_fp_denorm_src 0
		.amdhsa_exception_fp_ieee_div_zero 0
		.amdhsa_exception_fp_ieee_overflow 0
		.amdhsa_exception_fp_ieee_underflow 0
		.amdhsa_exception_fp_ieee_inexact 0
		.amdhsa_exception_int_div_zero 0
	.end_amdhsa_kernel
	.section	.text._Z39paged_attention_ll4mi_QKV_mfma16_kernelI14__hip_bfloat16S0_LN4vllm18Fp8KVCacheDataTypeE0EhLi32ELi128ELi256ELb0ELi10EEvPKT_PKT0_S8_ifPKiSA_SA_iPKfiiiPfSD_PS3_PT2_iSC_SC_,"axG",@progbits,_Z39paged_attention_ll4mi_QKV_mfma16_kernelI14__hip_bfloat16S0_LN4vllm18Fp8KVCacheDataTypeE0EhLi32ELi128ELi256ELb0ELi10EEvPKT_PKT0_S8_ifPKiSA_SA_iPKfiiiPfSD_PS3_PT2_iSC_SC_,comdat
.Lfunc_end717:
	.size	_Z39paged_attention_ll4mi_QKV_mfma16_kernelI14__hip_bfloat16S0_LN4vllm18Fp8KVCacheDataTypeE0EhLi32ELi128ELi256ELb0ELi10EEvPKT_PKT0_S8_ifPKiSA_SA_iPKfiiiPfSD_PS3_PT2_iSC_SC_, .Lfunc_end717-_Z39paged_attention_ll4mi_QKV_mfma16_kernelI14__hip_bfloat16S0_LN4vllm18Fp8KVCacheDataTypeE0EhLi32ELi128ELi256ELb0ELi10EEvPKT_PKT0_S8_ifPKiSA_SA_iPKfiiiPfSD_PS3_PT2_iSC_SC_
                                        ; -- End function
	.section	.AMDGPU.csdata,"",@progbits
; Kernel info:
; codeLenInByte = 4884
; NumSgprs: 48
; NumVgprs: 96
; NumAgprs: 0
; TotalNumVgprs: 96
; ScratchSize: 0
; MemoryBound: 0
; FloatMode: 240
; IeeeMode: 1
; LDSByteSize: 8192 bytes/workgroup (compile time only)
; SGPRBlocks: 5
; VGPRBlocks: 11
; NumSGPRsForWavesPerEU: 48
; NumVGPRsForWavesPerEU: 96
; AccumOffset: 96
; Occupancy: 5
; WaveLimiterHint : 1
; COMPUTE_PGM_RSRC2:SCRATCH_EN: 0
; COMPUTE_PGM_RSRC2:USER_SGPR: 2
; COMPUTE_PGM_RSRC2:TRAP_HANDLER: 0
; COMPUTE_PGM_RSRC2:TGID_X_EN: 1
; COMPUTE_PGM_RSRC2:TGID_Y_EN: 1
; COMPUTE_PGM_RSRC2:TGID_Z_EN: 1
; COMPUTE_PGM_RSRC2:TIDIG_COMP_CNT: 0
; COMPUTE_PGM_RSRC3_GFX90A:ACCUM_OFFSET: 23
; COMPUTE_PGM_RSRC3_GFX90A:TG_SPLIT: 0
	.section	.text._Z39paged_attention_ll4mi_QKV_mfma16_kernelI14__hip_bfloat16S0_LN4vllm18Fp8KVCacheDataTypeE0EhLi32ELi128ELi256ELb0ELi11EEvPKT_PKT0_S8_ifPKiSA_SA_iPKfiiiPfSD_PS3_PT2_iSC_SC_,"axG",@progbits,_Z39paged_attention_ll4mi_QKV_mfma16_kernelI14__hip_bfloat16S0_LN4vllm18Fp8KVCacheDataTypeE0EhLi32ELi128ELi256ELb0ELi11EEvPKT_PKT0_S8_ifPKiSA_SA_iPKfiiiPfSD_PS3_PT2_iSC_SC_,comdat
	.protected	_Z39paged_attention_ll4mi_QKV_mfma16_kernelI14__hip_bfloat16S0_LN4vllm18Fp8KVCacheDataTypeE0EhLi32ELi128ELi256ELb0ELi11EEvPKT_PKT0_S8_ifPKiSA_SA_iPKfiiiPfSD_PS3_PT2_iSC_SC_ ; -- Begin function _Z39paged_attention_ll4mi_QKV_mfma16_kernelI14__hip_bfloat16S0_LN4vllm18Fp8KVCacheDataTypeE0EhLi32ELi128ELi256ELb0ELi11EEvPKT_PKT0_S8_ifPKiSA_SA_iPKfiiiPfSD_PS3_PT2_iSC_SC_
	.globl	_Z39paged_attention_ll4mi_QKV_mfma16_kernelI14__hip_bfloat16S0_LN4vllm18Fp8KVCacheDataTypeE0EhLi32ELi128ELi256ELb0ELi11EEvPKT_PKT0_S8_ifPKiSA_SA_iPKfiiiPfSD_PS3_PT2_iSC_SC_
	.p2align	8
	.type	_Z39paged_attention_ll4mi_QKV_mfma16_kernelI14__hip_bfloat16S0_LN4vllm18Fp8KVCacheDataTypeE0EhLi32ELi128ELi256ELb0ELi11EEvPKT_PKT0_S8_ifPKiSA_SA_iPKfiiiPfSD_PS3_PT2_iSC_SC_,@function
_Z39paged_attention_ll4mi_QKV_mfma16_kernelI14__hip_bfloat16S0_LN4vllm18Fp8KVCacheDataTypeE0EhLi32ELi128ELi256ELb0ELi11EEvPKT_PKT0_S8_ifPKiSA_SA_iPKfiiiPfSD_PS3_PT2_iSC_SC_: ; @_Z39paged_attention_ll4mi_QKV_mfma16_kernelI14__hip_bfloat16S0_LN4vllm18Fp8KVCacheDataTypeE0EhLi32ELi128ELi256ELb0ELi11EEvPKT_PKT0_S8_ifPKiSA_SA_iPKfiiiPfSD_PS3_PT2_iSC_SC_
; %bb.0:
	s_load_dwordx2 s[8:9], s[0:1], 0x30
	s_mov_b32 s26, s3
	s_mov_b64 s[6:7], 0
	s_waitcnt lgkmcnt(0)
	s_cmp_lg_u64 s[8:9], 0
	s_cselect_b64 s[10:11], -1, 0
	s_and_b64 vcc, exec, s[10:11]
	s_cbranch_vccz .LBB718_7
; %bb.1:
	s_add_i32 s12, s2, 1
	s_mov_b32 s13, 0
	s_lshl_b64 s[14:15], s[12:13], 2
	s_add_u32 s14, s8, s14
	s_mov_b32 s3, s13
	s_addc_u32 s15, s9, s15
	s_lshl_b64 s[12:13], s[2:3], 2
	s_add_u32 s12, s8, s12
	s_addc_u32 s13, s9, s13
	s_load_dword s5, s[14:15], 0x0
	s_load_dword s16, s[12:13], 0x0
	s_waitcnt lgkmcnt(0)
	s_sub_i32 s5, s5, s16
	s_cmp_eq_u32 s5, 1
	s_cselect_b64 s[12:13], -1, 0
	s_andn2_b64 vcc, exec, s[6:7]
	s_cbranch_vccnz .LBB718_3
.LBB718_2:
	s_mov_b32 s3, 0
	s_mov_b64 s[12:13], -1
.LBB718_3:
	s_andn2_b64 vcc, exec, s[12:13]
	s_cbranch_vccnz .LBB718_20
; %bb.4:
	s_load_dwordx2 s[6:7], s[0:1], 0x28
	s_lshl_b64 s[12:13], s[2:3], 2
	s_waitcnt lgkmcnt(0)
	s_add_u32 s6, s6, s12
	s_addc_u32 s7, s7, s13
	s_load_dword s33, s[6:7], 0x0
	s_lshl_b32 s18, s26, 8
	s_waitcnt lgkmcnt(0)
	s_cmp_ge_i32 s18, s33
	s_cbranch_scc1 .LBB718_20
; %bb.5:
	s_load_dwordx2 s[6:7], s[0:1], 0x20
	s_load_dword s5, s[0:1], 0x38
	s_add_i32 s14, s33, 31
	s_ashr_i32 s15, s14, 31
	v_and_b32_e32 v1, 0xcf, v0
	s_lshr_b32 s15, s15, 27
	v_add_u32_e32 v1, s18, v1
	s_add_i32 s14, s14, s15
	v_ashrrev_i32_e32 v2, 31, v1
	s_ashr_i32 s19, s14, 5
	v_lshrrev_b32_e32 v4, 27, v2
	s_add_i32 s19, s19, -1
	s_waitcnt lgkmcnt(0)
	s_mul_i32 s14, s2, s5
	s_mov_b32 s15, 0
	v_add_u32_e32 v2, v1, v4
	s_lshl_b64 s[14:15], s[14:15], 2
	v_ashrrev_i32_e32 v2, 5, v2
	v_mov_b32_e32 v5, s19
	v_cmp_gt_i32_e32 vcc, s33, v1
	s_add_u32 s6, s6, s14
	s_addc_u32 s7, s7, s15
	v_cndmask_b32_e32 v2, v5, v2, vcc
	v_ashrrev_i32_e32 v3, 31, v2
	v_lshl_add_u64 v[6:7], v[2:3], 2, s[6:7]
	v_or_b32_e32 v2, 16, v1
	v_add_u32_e32 v3, v2, v4
	v_ashrrev_i32_e32 v3, 5, v3
	v_cmp_gt_i32_e32 vcc, s33, v2
	s_nop 1
	v_cndmask_b32_e32 v2, v5, v3, vcc
	v_ashrrev_i32_e32 v3, 31, v2
	v_lshl_add_u64 v[8:9], v[2:3], 2, s[6:7]
	v_or_b32_e32 v2, 32, v1
	v_add_u32_e32 v3, v2, v4
	v_ashrrev_i32_e32 v3, 5, v3
	v_cmp_gt_i32_e32 vcc, s33, v2
	v_or_b32_e32 v1, 48, v1
	s_nop 0
	v_cndmask_b32_e32 v2, v5, v3, vcc
	v_ashrrev_i32_e32 v3, 31, v2
	v_lshl_add_u64 v[10:11], v[2:3], 2, s[6:7]
	v_add_u32_e32 v2, v1, v4
	v_ashrrev_i32_e32 v2, 5, v2
	v_cmp_gt_i32_e32 vcc, s33, v1
	s_nop 1
	v_cndmask_b32_e32 v2, v5, v2, vcc
	v_ashrrev_i32_e32 v3, 31, v2
	v_lshl_add_u64 v[12:13], v[2:3], 2, s[6:7]
	global_load_dword v2, v[6:7], off
	global_load_dword v5, v[8:9], off
	;; [unrolled: 1-line block ×4, first 2 shown]
	s_andn2_b64 vcc, exec, s[10:11]
	s_cbranch_vccnz .LBB718_8
; %bb.6:
	s_add_u32 s8, s8, s12
	s_addc_u32 s9, s9, s13
	s_load_dword s5, s[8:9], 0x0
	s_branch .LBB718_9
.LBB718_7:
	s_mov_b64 s[12:13], 0
	s_branch .LBB718_2
.LBB718_8:
	s_mov_b32 s5, s2
.LBB718_9:
	s_load_dwordx4 s[12:15], s[0:1], 0x8
	s_load_dwordx4 s[8:11], s[0:1], 0x48
	v_lshrrev_b32_e32 v86, 6, v0
	v_bfe_u32 v1, v0, 4, 2
	v_lshl_or_b32 v3, v86, 2, v1
	v_and_b32_e32 v76, 15, v0
	v_lshlrev_b32_e32 v74, 3, v76
	v_cmp_lt_u32_e32 vcc, 10, v3
	s_and_saveexec_b64 s[16:17], vcc
	s_xor_b64 s[16:17], exec, s[16:17]
; %bb.10:
	v_mov_b32_e32 v75, 0
                                        ; implicit-def: $vgpr3
; %bb.11:
	s_or_saveexec_b64 s[16:17], s[16:17]
	v_and_b32_e32 v77, 63, v0
	s_mul_i32 s40, s4, 11
	s_xor_b64 exec, exec, s[16:17]
	s_cbranch_execz .LBB718_13
; %bb.12:
	s_load_dwordx2 s[20:21], s[0:1], 0x0
	s_waitcnt lgkmcnt(0)
	s_ashr_i32 s11, s8, 31
	s_mul_hi_u32 s22, s5, s8
	s_mul_i32 s11, s5, s11
	s_add_i32 s23, s22, s11
	s_mul_i32 s22, s5, s8
	s_lshl_b64 s[22:23], s[22:23], 1
	s_add_u32 s20, s20, s22
	v_add_lshl_u32 v6, v3, s40, 7
	s_addc_u32 s21, s21, s23
	v_ashrrev_i32_e32 v7, 31, v6
	v_mov_b32_e32 v75, 0
	v_lshl_add_u64 v[6:7], v[6:7], 1, s[20:21]
	v_lshlrev_b32_e32 v8, 1, v74
	v_mov_b32_e32 v9, v75
	v_lshl_add_u64 v[6:7], v[6:7], 0, v[8:9]
	global_load_dwordx4 v[6:9], v[6:7], off
	v_and_b32_e32 v10, 3, v0
	v_lshlrev_b32_e32 v11, 9, v76
	v_lshlrev_b32_e32 v3, 5, v3
	;; [unrolled: 1-line block ×3, first 2 shown]
	v_and_b32_e32 v11, 0x1800, v11
	v_or3_b32 v3, v11, v10, v3
	s_waitcnt vmcnt(0)
	ds_write_b128 v3, v[6:9]
.LBB718_13:
	s_or_b64 exec, exec, s[16:17]
	s_waitcnt lgkmcnt(0)
	s_mul_i32 s4, s4, s10
	s_mov_b32 s5, 0
	s_lshl_b64 s[4:5], s[4:5], 1
	s_add_u32 s10, s12, s4
	s_addc_u32 s11, s13, s5
	s_waitcnt vmcnt(3)
	v_mad_i64_i32 v[2:3], s[12:13], v2, s9, 0
	v_lshl_add_u64 v[6:7], v[2:3], 1, s[10:11]
	v_lshlrev_b64 v[2:3], 1, v[74:75]
	v_lshlrev_b32_e32 v50, 9, v1
	v_lshl_add_u64 v[6:7], v[6:7], 0, v[2:3]
	v_mov_b32_e32 v51, 0
	v_lshl_add_u64 v[8:9], v[6:7], 0, v[50:51]
	s_load_dword s27, s[0:1], 0x98
	s_load_dword s8, s[0:1], 0x1c
	s_waitcnt lgkmcnt(0)
	s_barrier
	global_load_dwordx4 v[38:41], v[8:9], off
	s_waitcnt vmcnt(3)
	v_mad_i64_i32 v[10:11], s[12:13], v5, s9, 0
	v_mov_b32_e32 v5, 0x100
	v_lshl_add_u64 v[10:11], v[10:11], 1, s[10:11]
	v_lshl_or_b32 v54, v76, 4, v5
	v_mov_b32_e32 v55, v51
	v_lshl_add_u64 v[22:23], v[10:11], 0, v[54:55]
	v_lshl_add_u64 v[10:11], v[22:23], 0, v[50:51]
	global_load_dwordx4 v[42:45], v[10:11], off
	global_load_dwordx4 v[18:21], v[8:9], off offset:2048
	global_load_dwordx4 v[26:29], v[10:11], off offset:2048
	v_or_b32_e32 v56, 0x1000, v50
	v_mov_b32_e32 v57, v51
	v_or_b32_e32 v52, 0x1800, v50
	v_mov_b32_e32 v53, v51
	v_lshl_add_u64 v[8:9], v[6:7], 0, v[56:57]
	v_lshl_add_u64 v[6:7], v[6:7], 0, v[52:53]
	global_load_dwordx4 v[14:17], v[8:9], off
	global_load_dwordx4 v[10:13], v[6:7], off
	v_lshl_add_u64 v[8:9], v[22:23], 0, v[56:57]
	global_load_dwordx4 v[30:33], v[8:9], off
	s_waitcnt vmcnt(8)
	v_mad_i64_i32 v[4:5], s[12:13], v4, s9, 0
	v_lshl_add_u64 v[4:5], v[4:5], 1, s[10:11]
	v_lshl_add_u64 v[60:61], v[4:5], 0, v[2:3]
	v_add_u32_e32 v2, -11, v76
	v_cmp_gt_u32_e32 vcc, 11, v76
	v_lshl_add_u64 v[6:7], v[22:23], 0, v[52:53]
	global_load_dwordx4 v[22:25], v[6:7], off
	v_cndmask_b32_e32 v2, v2, v76, vcc
	v_lshl_add_u64 v[58:59], v[60:61], 0, v[50:51]
	v_lshl_add_u32 v62, v2, 5, v50
	global_load_dwordx4 v[34:37], v[58:59], off
	ds_read_b128 v[6:9], v62
	ds_read_b128 v[2:5], v62 offset:2048
	s_waitcnt vmcnt(9)
	v_mad_i64_i32 v[72:73], s[12:13], v46, s9, 0
	s_ashr_i32 s12, s18, 31
	v_and_or_b32 v80, v0, 48, s18
	v_or_b32_e32 v84, 64, v80
	v_mov_b32_e32 v81, s19
	v_cmp_gt_i32_e32 vcc, s33, v80
	v_or_b32_e32 v85, 0x80, v80
	v_or_b32_e32 v87, 0xc0, v80
	s_mov_b32 s41, 0xff7fffff
	s_waitcnt vmcnt(7) lgkmcnt(1)
	v_mfma_f32_16x16x16_bf16 v[68:71], v[42:43], v[6:7], 0
	v_mfma_f32_16x16x16_bf16 v[64:67], v[38:39], v[6:7], 0
	;; [unrolled: 1-line block ×3, first 2 shown]
	ds_read_b128 v[46:49], v62 offset:4096
	ds_read_b128 v[38:41], v62 offset:6144
	v_lshl_add_u64 v[62:63], v[72:73], 1, s[10:11]
	v_lshl_add_u64 v[82:83], v[62:63], 0, v[54:55]
	v_mfma_f32_16x16x16_bf16 v[42:45], v[44:45], v[8:9], v[68:71]
	v_lshl_add_u64 v[54:55], v[60:61], 0, v[56:57]
	s_lshr_b32 s10, s12, 27
	v_lshl_add_u64 v[78:79], v[82:83], 0, v[56:57]
	s_waitcnt vmcnt(6) lgkmcnt(2)
	v_mfma_f32_16x16x16_bf16 v[62:65], v[18:19], v[2:3], v[64:67]
	v_add_u32_e32 v68, s10, v80
	v_add_u32_e32 v69, s10, v84
	v_lshl_add_u64 v[70:71], v[82:83], 0, v[50:51]
	v_lshl_add_u64 v[66:67], v[60:61], 0, v[52:53]
	global_load_dwordx4 v[58:61], v[58:59], off offset:2048
	s_waitcnt vmcnt(6)
	v_mfma_f32_16x16x16_bf16 v[42:45], v[26:27], v[2:3], v[42:45]
	v_ashrrev_i32_e32 v50, 5, v68
	v_ashrrev_i32_e32 v56, 5, v69
	v_add_u32_e32 v72, s10, v85
	v_mfma_f32_16x16x16_bf16 v[18:21], v[20:21], v[4:5], v[62:65]
	v_add_u32_e32 v73, s10, v87
	s_add_u32 s4, s14, s4
	s_addc_u32 s5, s15, s5
	v_mfma_f32_16x16x16_bf16 v[26:29], v[28:29], v[4:5], v[42:45]
	v_ashrrev_i32_e32 v62, 5, v72
	v_ashrrev_i32_e32 v72, 5, v73
	s_waitcnt vmcnt(5) lgkmcnt(1)
	v_mfma_f32_16x16x16_bf16 v[18:21], v[14:15], v[46:47], v[18:21]
	global_load_dwordx4 v[42:45], v[54:55], off
	v_cndmask_b32_e32 v14, v81, v50, vcc
	v_cmp_gt_i32_e32 vcc, s33, v84
	s_waitcnt vmcnt(4)
	v_mfma_f32_16x16x16_bf16 v[26:29], v[30:31], v[46:47], v[26:29]
	v_ashrrev_i32_e32 v15, 31, v14
	v_cndmask_b32_e32 v30, v81, v56, vcc
	v_ashrrev_i32_e32 v31, 31, v30
	v_lshl_add_u64 v[14:15], v[14:15], 2, s[6:7]
	v_lshl_add_u64 v[30:31], v[30:31], 2, s[6:7]
	global_load_dword v92, v[14:15], off
	global_load_dword v84, v[30:31], off
	v_mfma_f32_16x16x16_bf16 v[14:17], v[16:17], v[48:49], v[18:21]
	v_cmp_gt_i32_e32 vcc, s33, v85
	s_nop 1
	global_load_dwordx4 v[18:21], v[66:67], off
	s_waitcnt lgkmcnt(0)
	v_mfma_f32_16x16x16_bf16 v[14:17], v[10:11], v[38:39], v[14:17]
	v_cndmask_b32_e32 v10, v81, v62, vcc
	v_ashrrev_i32_e32 v11, 31, v10
	v_lshl_add_u64 v[10:11], v[10:11], 2, s[6:7]
	v_mfma_f32_16x16x16_bf16 v[66:69], v[12:13], v[40:41], v[14:17]
	global_load_dword v85, v[10:11], off
	global_load_dwordx4 v[62:65], v[70:71], off offset:2048
	v_cmp_gt_i32_e32 vcc, s33, v87
	v_lshl_add_u64 v[14:15], v[82:83], 0, v[52:53]
	global_load_dwordx4 v[88:91], v[14:15], off
	global_load_dwordx4 v[54:57], v[70:71], off
	v_cndmask_b32_e32 v10, v81, v72, vcc
	global_load_dwordx4 v[78:81], v[78:79], off
	v_ashrrev_i32_e32 v11, 31, v10
	v_lshl_add_u64 v[10:11], v[10:11], 2, s[6:7]
	global_load_dword v93, v[10:11], off
	s_waitcnt vmcnt(11)
	v_mfma_f32_16x16x16_bf16 v[10:13], v[34:35], v[6:7], 0
	v_and_b32_e32 v14, 16, v0
	v_lshlrev_b32_e32 v50, 1, v14
	v_lshl_or_b32 v87, v86, 4, v76
	v_mfma_f32_16x16x16_bf16 v[10:13], v[36:37], v[8:9], v[10:13]
	v_lshl_add_u64 v[36:37], s[4:5], 0, v[50:51]
	v_lshlrev_b32_e32 v50, 6, v87
	v_pk_mul_f32 v[82:83], s[8:9], v[68:69] op_sel_hi:[0,1]
	v_mfma_f32_16x16x16_bf16 v[26:29], v[32:33], v[48:49], v[26:29]
	s_waitcnt vmcnt(8)
	v_mad_i64_i32 v[14:15], s[4:5], v92, s9, 0
	v_mfma_f32_16x16x16_bf16 v[10:13], v[58:59], v[2:3], v[10:13]
	v_lshl_add_u64 v[58:59], v[36:37], 0, v[50:51]
	v_or_b32_e32 v50, 0x1000, v50
	v_mfma_f32_16x16x16_bf16 v[10:13], v[60:61], v[4:5], v[10:13]
	v_lshlrev_b64 v[60:61], 1, v[14:15]
	v_lshl_add_u64 v[14:15], v[58:59], 0, v[60:61]
	v_mfma_f32_16x16x16_bf16 v[10:13], v[42:43], v[46:47], v[10:13]
	v_mfma_f32_16x16x16_bf16 v[10:13], v[44:45], v[48:49], v[10:13]
	;; [unrolled: 1-line block ×3, first 2 shown]
	s_waitcnt vmcnt(6)
	v_mfma_f32_16x16x16_bf16 v[10:13], v[18:19], v[38:39], v[10:13]
	v_mfma_f32_16x16x16_bf16 v[70:73], v[24:25], v[40:41], v[26:29]
	global_load_dwordx4 v[30:33], v[14:15], off
	s_nop 2
	global_load_dwordx4 v[26:29], v[14:15], off offset:16
	v_mad_i64_i32 v[14:15], s[4:5], v84, s9, 0
	v_lshlrev_b64 v[34:35], 1, v[14:15]
	v_mfma_f32_16x16x16_bf16 v[42:45], v[20:21], v[40:41], v[10:13]
	v_pk_mul_f32 v[70:71], s[8:9], v[70:71] op_sel_hi:[0,1]
	s_nop 1
	v_lshl_add_u64 v[10:11], v[58:59], 0, v[34:35]
	global_load_dwordx4 v[22:25], v[10:11], off
	global_load_dwordx4 v[18:21], v[10:11], off offset:16
	s_waitcnt vmcnt(6)
	v_mfma_f32_16x16x16_bf16 v[10:13], v[54:55], v[6:7], 0
	v_mad_i64_i32 v[6:7], s[4:5], v85, s9, 0
	v_lshlrev_b64 v[52:53], 1, v[6:7]
	v_mfma_f32_16x16x16_bf16 v[6:9], v[56:57], v[8:9], v[10:13]
	v_pk_mul_f32 v[84:85], s[8:9], v[72:73] op_sel_hi:[0,1]
	v_mfma_f32_16x16x16_bf16 v[6:9], v[62:63], v[2:3], v[6:9]
	s_waitcnt vmcnt(4)
	v_mad_i64_i32 v[2:3], s[4:5], v93, s9, 0
	v_lshlrev_b64 v[62:63], 1, v[2:3]
	v_mfma_f32_16x16x16_bf16 v[54:57], v[64:65], v[4:5], v[6:9]
	v_lshl_add_u64 v[64:65], v[36:37], 0, v[50:51]
	v_pk_mul_f32 v[50:51], s[8:9], v[66:67] op_sel_hi:[0,1]
	v_lshl_add_u64 v[10:11], v[58:59], 0, v[52:53]
	v_mfma_f32_16x16x16_bf16 v[54:57], v[78:79], v[46:47], v[54:57]
	v_pk_mul_f32 v[78:79], s[8:9], v[42:43] op_sel_hi:[0,1]
	v_lshl_add_u64 v[2:3], v[58:59], 0, v[62:63]
	v_lshl_add_u64 v[58:59], v[64:65], 0, v[60:61]
	v_mfma_f32_16x16x16_bf16 v[46:49], v[80:81], v[48:49], v[54:57]
	v_pk_mul_f32 v[80:81], s[8:9], v[44:45] op_sel_hi:[0,1]
	v_lshl_add_u64 v[34:35], v[64:65], 0, v[34:35]
	v_lshl_add_u64 v[52:53], v[64:65], 0, v[52:53]
	v_mfma_f32_16x16x16_bf16 v[36:39], v[88:89], v[38:39], v[46:49]
	global_load_dwordx4 v[14:17], v[10:11], off
	s_nop 0
	global_load_dwordx4 v[10:13], v[10:11], off offset:16
	s_nop 0
	global_load_dwordx4 v[6:9], v[2:3], off
	s_nop 0
	global_load_dwordx4 v[2:5], v[2:3], off offset:16
	v_mfma_f32_16x16x16_bf16 v[36:39], v[90:91], v[40:41], v[36:39]
	s_nop 6
	v_pk_mul_f32 v[72:73], s[8:9], v[36:37] op_sel_hi:[0,1]
	v_and_b32_e32 v36, 0xc0, v0
	v_add_u32_e32 v36, s18, v36
	v_lshl_or_b32 v36, v1, 2, v36
	v_pk_mul_f32 v[66:67], s[8:9], v[38:39] op_sel_hi:[0,1]
	v_or_b32_e32 v39, 1, v36
	v_mov_b32_e32 v37, 0xff7fffff
	v_cmp_gt_i32_e64 s[28:29], s33, v36
	v_cmp_gt_i32_e64 s[30:31], s33, v39
	v_or_b32_e32 v40, 3, v36
	v_cndmask_b32_e64 v38, v37, v50, s[28:29]
	v_cndmask_b32_e64 v39, v37, v51, s[30:31]
	v_max3_f32 v38, v38, s41, v39
	v_or_b32_e32 v39, 2, v36
	v_cmp_gt_i32_e64 s[34:35], s33, v39
	v_cmp_gt_i32_e64 s[36:37], s33, v40
	s_nop 0
	v_cndmask_b32_e64 v39, v37, v82, s[34:35]
	v_cndmask_b32_e64 v40, v37, v83, s[36:37]
	v_max3_f32 v38, v38, v39, v40
	v_or_b32_e32 v39, 16, v36
	v_or_b32_e32 v40, 17, v36
	v_cmp_gt_i32_e64 s[22:23], s33, v39
	v_cmp_gt_i32_e64 s[24:25], s33, v40
	s_nop 0
	v_cndmask_b32_e64 v39, v37, v70, s[22:23]
	v_cndmask_b32_e64 v40, v37, v71, s[24:25]
	v_max3_f32 v38, v38, v39, v40
	v_or_b32_e32 v39, 18, v36
	;; [unrolled: 8-line block ×6, first 2 shown]
	v_or_b32_e32 v36, 51, v36
	v_cmp_gt_i32_e32 vcc, s33, v39
	v_cmp_gt_i32_e64 s[4:5], s33, v36
	s_nop 0
	v_cndmask_b32_e32 v39, v37, v66, vcc
	v_cndmask_b32_e64 v36, v37, v67, s[4:5]
	v_max3_f32 v54, v38, v39, v36
	v_mbcnt_lo_u32_b32 v36, -1, 0
	v_mbcnt_hi_u32_b32 v55, -1, v36
	v_and_b32_e32 v36, 64, v55
	v_add_u32_e32 v56, 64, v36
	v_xor_b32_e32 v36, 32, v55
	v_cmp_lt_i32_e64 s[38:39], v36, v56
	global_load_dwordx4 v[46:49], v[58:59], off
	global_load_dwordx4 v[38:41], v[58:59], off offset:16
	v_cndmask_b32_e64 v36, v55, v36, s[38:39]
	v_lshlrev_b32_e32 v89, 2, v36
	ds_bpermute_b32 v57, v89, v54
	global_load_dwordx4 v[42:45], v[34:35], off
	s_nop 0
	global_load_dwordx4 v[34:37], v[34:35], off offset:16
	s_waitcnt lgkmcnt(0)
	v_max_f32_e32 v57, v57, v57
	v_max_f32_e32 v68, v54, v57
	v_xor_b32_e32 v54, 16, v55
	v_cmp_lt_i32_e64 s[38:39], v54, v56
	s_nop 1
	v_cndmask_b32_e64 v54, v55, v54, s[38:39]
	v_lshlrev_b32_e32 v90, 2, v54
	ds_bpermute_b32 v69, v90, v68
	global_load_dwordx4 v[58:61], v[52:53], off
	global_load_dwordx4 v[54:57], v[52:53], off offset:16
	v_lshl_add_u64 v[52:53], v[64:65], 0, v[62:63]
	s_waitcnt lgkmcnt(0)
	v_max_f32_e32 v62, v69, v69
	v_max_f32_e32 v88, v68, v62
	v_sub_f32_e32 v50, v50, v88
	v_mul_f32_e32 v50, 0x3fb8aa3b, v50
	v_exp_f32_e32 v68, v50
	v_sub_f32_e32 v50, v51, v88
	v_mul_f32_e32 v50, 0x3fb8aa3b, v50
	v_exp_f32_e32 v69, v50
	global_load_dwordx4 v[62:65], v[52:53], off
	s_nop 0
	global_load_dwordx4 v[50:53], v[52:53], off offset:16
	v_sub_f32_e32 v82, v82, v88
	v_mul_f32_e32 v82, 0x3fb8aa3b, v82
	v_sub_f32_e32 v83, v83, v88
	v_exp_f32_e32 v82, v82
	v_mul_f32_e32 v83, 0x3fb8aa3b, v83
	v_sub_f32_e32 v70, v70, v88
	v_exp_f32_e32 v83, v83
	v_mul_f32_e32 v70, 0x3fb8aa3b, v70
	v_sub_f32_e32 v71, v71, v88
	v_cndmask_b32_e64 v68, 0, v68, s[28:29]
	v_exp_f32_e32 v70, v70
	v_mul_f32_e32 v71, 0x3fb8aa3b, v71
	v_sub_f32_e32 v84, v84, v88
	v_add_f32_e32 v91, 0, v68
	v_cndmask_b32_e64 v69, 0, v69, s[30:31]
	v_exp_f32_e32 v71, v71
	v_mul_f32_e32 v84, 0x3fb8aa3b, v84
	v_sub_f32_e32 v85, v85, v88
	v_add_f32_e32 v91, v91, v69
	;; [unrolled: 5-line block ×10, first 2 shown]
	v_cndmask_b32_e64 v80, 0, v80, s[10:11]
	v_exp_f32_e32 v66, v66
	v_mul_f32_e32 v67, 0x3fb8aa3b, v67
	v_add_f32_e32 v91, v91, v80
	v_cndmask_b32_e64 v81, 0, v81, s[12:13]
	v_exp_f32_e32 v67, v67
	v_add_f32_e32 v91, v91, v81
	v_cndmask_b32_e64 v72, 0, v72, s[6:7]
	v_add_f32_e32 v91, v91, v72
	v_cndmask_b32_e64 v73, 0, v73, s[8:9]
	v_add_f32_e32 v91, v91, v73
	v_cndmask_b32_e32 v66, 0, v66, vcc
	v_add_f32_e32 v91, v91, v66
	v_cndmask_b32_e64 v67, 0, v67, s[4:5]
	v_add_f32_e32 v91, v91, v67
	ds_bpermute_b32 v89, v89, v91
	v_cmp_gt_u32_e32 vcc, 16, v77
	s_waitcnt lgkmcnt(0)
	s_barrier
	v_add_f32_e32 v89, v91, v89
	ds_bpermute_b32 v90, v90, v89
	s_and_saveexec_b64 s[4:5], vcc
	s_cbranch_execz .LBB718_15
; %bb.14:
	s_waitcnt lgkmcnt(0)
	v_add_f32_e32 v77, v89, v90
	v_lshlrev_b32_e32 v87, 2, v87
	ds_write2st64_b32 v87, v88, v77 offset1:1
.LBB718_15:
	s_or_b64 exec, exec, s[4:5]
	v_lshlrev_b32_e32 v77, 2, v76
	s_load_dword s6, s[0:1], 0x94
	s_waitcnt lgkmcnt(0)
	s_barrier
	ds_read2_b32 v[88:89], v77 offset1:16
	ds_read2_b32 v[90:91], v77 offset0:32 offset1:48
	ds_read2_b32 v[92:93], v77 offset0:64 offset1:80
	ds_read2_b32 v[94:95], v77 offset0:96 offset1:112
	s_movk_i32 s8, 0x7fff
	s_waitcnt lgkmcnt(3)
	v_max3_f32 v87, v88, s41, v89
	s_waitcnt lgkmcnt(2)
	v_max3_f32 v87, v87, v90, v91
	v_sub_f32_e32 v88, v88, v87
	v_mul_f32_e32 v88, 0x3fb8aa3b, v88
	v_exp_f32_e32 v86, v88
	v_sub_f32_e32 v88, v89, v87
	v_mul_f32_e32 v88, 0x3fb8aa3b, v88
	v_exp_f32_e32 v89, v88
	v_sub_f32_e32 v88, v90, v87
	v_mul_f32_e32 v88, 0x3fb8aa3b, v88
	v_sub_f32_e32 v77, v91, v87
	v_exp_f32_e32 v90, v88
	v_mul_f32_e32 v77, 0x3fb8aa3b, v77
	v_exp_f32_e32 v77, v77
	s_waitcnt lgkmcnt(1)
	v_fma_f32 v88, v86, v92, 0
	v_fmac_f32_e32 v88, v89, v93
	s_waitcnt lgkmcnt(0)
	v_fmac_f32_e32 v88, v90, v94
	v_fmac_f32_e32 v88, v77, v95
	v_add_f32_e32 v91, 0x358637bd, v88
	v_div_scale_f32 v92, s[4:5], v91, v91, 1.0
	v_rcp_f32_e32 v93, v92
	s_mov_b32 s9, 0x7060302
	s_barrier
	v_fma_f32 v94, -v92, v93, 1.0
	v_fmac_f32_e32 v93, v94, v93
	v_div_scale_f32 v94, vcc, 1.0, v91, 1.0
	v_mul_f32_e32 v95, v94, v93
	v_fma_f32 v1, -v92, v95, v94
	v_fmac_f32_e32 v95, v1, v93
	v_fma_f32 v1, -v92, v95, v94
	v_div_fmas_f32 v1, v1, v93, v95
	v_div_fixup_f32 v1, v1, v91, 1.0
	v_lshrrev_b32_e32 v91, 6, v0
	v_cmp_eq_u32_e32 vcc, 1, v91
	s_mul_i32 s7, s27, 11
	s_nop 0
	v_cndmask_b32_e32 v86, v86, v89, vcc
	v_cmp_eq_u32_e32 vcc, 2, v91
	s_nop 1
	v_cndmask_b32_e32 v86, v86, v90, vcc
	v_cmp_eq_u32_e32 vcc, 3, v91
	s_nop 1
	v_cndmask_b32_e32 v77, v86, v77, vcc
	v_mul_f32_e32 v90, v77, v1
	v_pk_mul_f32 v[68:69], v[90:91], v[68:69] op_sel_hi:[0,1]
	v_bfe_u32 v1, v69, 16, 1
	v_bfe_u32 v77, v68, 16, 1
	v_pk_mul_f32 v[82:83], v[90:91], v[82:83] op_sel_hi:[0,1]
	v_add3_u32 v68, v68, v77, s8
	v_add3_u32 v1, v69, v1, s8
	v_perm_b32 v92, v1, v68, s9
	v_bfe_u32 v1, v83, 16, 1
	v_bfe_u32 v68, v82, 16, 1
	v_add3_u32 v68, v82, v68, s8
	v_add3_u32 v1, v83, v1, s8
	v_bfe_u32 v86, v0, 4, 2
	v_perm_b32 v93, v1, v68, s9
	v_lshlrev_b32_e32 v1, 3, v86
	v_lshlrev_b32_e32 v68, 5, v76
	;; [unrolled: 1-line block ×3, first 2 shown]
	v_pk_mul_f32 v[70:71], v[90:91], v[70:71] op_sel_hi:[0,1]
	v_or3_b32 v1, v69, v68, v1
	v_bfe_u32 v69, v71, 16, 1
	v_bfe_u32 v77, v70, 16, 1
	v_pk_mul_f32 v[82:83], v[90:91], v[84:85] op_sel_hi:[0,1]
	v_add3_u32 v70, v70, v77, s8
	v_add3_u32 v69, v71, v69, s8
	v_perm_b32 v70, v69, v70, s9
	v_bfe_u32 v69, v83, 16, 1
	v_bfe_u32 v71, v82, 16, 1
	v_add3_u32 v71, v82, v71, s8
	v_add3_u32 v69, v83, v69, s8
	v_pk_mul_f32 v[78:79], v[90:91], v[78:79] op_sel_hi:[0,1]
	v_perm_b32 v71, v69, v71, s9
	v_bfe_u32 v69, v79, 16, 1
	v_bfe_u32 v77, v78, 16, 1
	ds_write2st64_b64 v1, v[92:93], v[70:71] offset1:1
	v_pk_mul_f32 v[70:71], v[90:91], v[80:81] op_sel_hi:[0,1]
	v_add3_u32 v77, v78, v77, s8
	v_add3_u32 v69, v79, v69, s8
	v_perm_b32 v78, v69, v77, s9
	v_bfe_u32 v69, v71, 16, 1
	v_bfe_u32 v77, v70, 16, 1
	v_add3_u32 v70, v70, v77, s8
	v_add3_u32 v69, v71, v69, s8
	v_perm_b32 v79, v69, v70, s9
	v_pk_mul_f32 v[70:71], v[90:91], v[72:73] op_sel_hi:[0,1]
	v_bfe_u32 v69, v71, 16, 1
	v_bfe_u32 v72, v70, 16, 1
	v_pk_mul_f32 v[66:67], v[90:91], v[66:67] op_sel_hi:[0,1]
	v_add3_u32 v70, v70, v72, s8
	v_add3_u32 v69, v71, v69, s8
	v_perm_b32 v70, v69, v70, s9
	v_bfe_u32 v69, v67, 16, 1
	v_bfe_u32 v71, v66, 16, 1
	v_add3_u32 v66, v66, v71, s8
	v_add3_u32 v67, v67, v69, s8
	v_perm_b32 v71, v67, v66, s9
	v_cmp_gt_u32_e32 vcc, 11, v0
	ds_write2st64_b64 v1, v[78:79], v[70:71] offset0:2 offset1:3
	s_and_saveexec_b64 s[4:5], vcc
	s_cbranch_execz .LBB718_17
; %bb.16:
	s_mov_b32 s41, 0
	v_mov_b32_e32 v77, 0
	v_lshl_add_u64 v[66:67], s[40:41], 0, v[76:77]
	v_mov_b32_e32 v69, s7
	v_mad_u64_u32 v[66:67], s[10:11], s2, v69, v[66:67]
	s_mul_i32 s3, s3, s7
	v_mov_b32_e32 v70, s26
	v_mov_b32_e32 v71, v77
	s_load_dwordx4 s[12:15], s[0:1], 0x58
	v_add_u32_e32 v69, s3, v67
	v_mad_u64_u32 v[66:67], s[10:11], v66, s6, v[70:71]
	v_mov_b32_e32 v70, v67
	v_mad_u64_u32 v[70:71], s[10:11], v69, s6, v[70:71]
	v_mov_b32_e32 v67, v70
	v_lshlrev_b64 v[66:67], 2, v[66:67]
	s_waitcnt lgkmcnt(0)
	v_lshl_add_u64 v[70:71], s[14:15], 0, v[66:67]
	v_lshl_add_u64 v[66:67], s[12:13], 0, v[66:67]
	global_store_dword v[70:71], v87, off
	global_store_dword v[66:67], v88, off
.LBB718_17:
	s_or_b64 exec, exec, s[4:5]
	v_lshl_or_b32 v77, v86, 9, v68
	s_waitcnt lgkmcnt(0)
	s_barrier
	ds_read_b128 v[70:73], v77
	ds_read_b128 v[66:69], v77 offset:16
	s_waitcnt vmcnt(15) lgkmcnt(1)
	v_mfma_f32_16x16x16_bf16 v[78:81], v[30:31], v[70:71], 0
	s_mov_b32 s3, 0
	v_cmp_gt_u32_e32 vcc, 64, v0
	v_mfma_f32_16x16x16_bf16 v[30:33], v[32:33], v[72:73], v[78:81]
	s_waitcnt vmcnt(14) lgkmcnt(0)
	v_mfma_f32_16x16x16_bf16 v[30:33], v[26:27], v[66:67], v[30:33]
	v_mfma_f32_16x16x16_bf16 v[26:29], v[28:29], v[68:69], v[30:33]
	s_nop 5
	ds_read_b128 v[30:33], v77 offset:2048
	ds_read_b128 v[78:81], v77 offset:2064
	s_waitcnt vmcnt(13) lgkmcnt(1)
	v_mfma_f32_16x16x16_bf16 v[26:29], v[22:23], v[30:31], v[26:29]
	v_mfma_f32_16x16x16_bf16 v[22:25], v[24:25], v[32:33], v[26:29]
	s_waitcnt vmcnt(12) lgkmcnt(0)
	v_mfma_f32_16x16x16_bf16 v[22:25], v[18:19], v[78:79], v[22:25]
	v_mfma_f32_16x16x16_bf16 v[18:21], v[20:21], v[80:81], v[22:25]
	s_nop 5
	ds_read_b128 v[22:25], v77 offset:4096
	ds_read_b128 v[26:29], v77 offset:4112
	s_waitcnt vmcnt(11) lgkmcnt(1)
	v_mfma_f32_16x16x16_bf16 v[18:21], v[14:15], v[22:23], v[18:21]
	v_mfma_f32_16x16x16_bf16 v[14:17], v[16:17], v[24:25], v[18:21]
	s_waitcnt vmcnt(10) lgkmcnt(0)
	v_mfma_f32_16x16x16_bf16 v[14:17], v[10:11], v[26:27], v[14:17]
	v_mfma_f32_16x16x16_bf16 v[10:13], v[12:13], v[28:29], v[14:17]
	s_nop 5
	ds_read_b128 v[14:17], v77 offset:6144
	ds_read_b128 v[18:21], v77 offset:6160
	s_waitcnt lgkmcnt(0)
	s_barrier
	s_waitcnt vmcnt(9)
	v_mfma_f32_16x16x16_bf16 v[10:13], v[6:7], v[14:15], v[10:13]
	v_mfma_f32_16x16x16_bf16 v[6:9], v[8:9], v[16:17], v[10:13]
	s_waitcnt vmcnt(8)
	v_mfma_f32_16x16x16_bf16 v[6:9], v[2:3], v[18:19], v[6:9]
	v_mfma_f32_16x16x16_bf16 v[2:5], v[4:5], v[20:21], v[6:9]
	;; [unrolled: 3-line block ×3, first 2 shown]
	s_nop 3
	v_bfe_u32 v10, v3, 16, 1
	v_bfe_u32 v11, v2, 16, 1
	v_add3_u32 v2, v2, v11, s8
	s_waitcnt vmcnt(6)
	v_mfma_f32_16x16x16_bf16 v[6:9], v[38:39], v[66:67], v[6:9]
	v_add3_u32 v3, v3, v10, s8
	v_perm_b32 v10, v3, v2, s9
	v_bfe_u32 v2, v5, 16, 1
	v_mfma_f32_16x16x16_bf16 v[6:9], v[40:41], v[68:69], v[6:9]
	v_bfe_u32 v3, v4, 16, 1
	v_add3_u32 v3, v4, v3, s8
	v_add3_u32 v2, v5, v2, s8
	s_waitcnt vmcnt(5)
	v_mfma_f32_16x16x16_bf16 v[6:9], v[42:43], v[30:31], v[6:9]
	v_perm_b32 v11, v2, v3, s9
	v_mfma_f32_16x16x16_bf16 v[6:9], v[44:45], v[32:33], v[6:9]
	s_waitcnt vmcnt(4)
	v_mfma_f32_16x16x16_bf16 v[6:9], v[34:35], v[78:79], v[6:9]
	v_mfma_f32_16x16x16_bf16 v[6:9], v[36:37], v[80:81], v[6:9]
	s_waitcnt vmcnt(3)
	v_mfma_f32_16x16x16_bf16 v[6:9], v[58:59], v[22:23], v[6:9]
	;; [unrolled: 3-line block ×5, first 2 shown]
	v_mfma_f32_16x16x16_bf16 v[2:5], v[52:53], v[20:21], v[6:9]
	s_nop 6
	v_bfe_u32 v6, v3, 16, 1
	v_bfe_u32 v7, v2, 16, 1
	v_add3_u32 v2, v2, v7, s8
	v_add3_u32 v3, v3, v6, s8
	v_perm_b32 v2, v3, v2, s9
	v_bfe_u32 v3, v5, 16, 1
	v_bfe_u32 v6, v4, 16, 1
	v_add3_u32 v4, v4, v6, s8
	v_add3_u32 v3, v5, v3, s8
	v_perm_b32 v3, v3, v4, s9
	ds_write2st64_b64 v1, v[10:11], v[2:3] offset1:1
	s_waitcnt lgkmcnt(0)
	s_barrier
	s_and_saveexec_b64 s[4:5], vcc
	s_cbranch_execz .LBB718_20
; %bb.18:
	s_load_dwordx2 s[4:5], s[0:1], 0x68
	s_lshl_b32 s0, s6, 7
	s_mul_i32 s1, s7, s2
	v_lshlrev_b32_e32 v3, 6, v76
	s_mul_hi_u32 s7, s1, s0
	s_mul_i32 s6, s1, s0
	v_lshlrev_b32_e32 v2, 4, v0
	v_lshl_or_b32 v0, v0, 10, v3
	s_lshl_b64 s[6:7], s[6:7], 1
	v_lshlrev_b32_e32 v1, 5, v86
	v_and_b32_e32 v2, 16, v2
	v_and_b32_e32 v0, 0x1a00, v0
	s_waitcnt lgkmcnt(0)
	s_add_u32 s1, s4, s6
	v_or3_b32 v2, v0, v1, v2
	s_addc_u32 s4, s5, s7
	s_lshl_b32 s2, s26, 7
	s_lshl_b64 s[2:3], s[2:3], 1
	ds_read_b128 v[4:7], v2 offset:128
	ds_read_b128 v[8:11], v2
	s_add_u32 s2, s1, s2
	s_addc_u32 s3, s4, s3
	v_add_u32_e32 v3, s40, v86
	v_lshl_add_u64 v[0:1], v[74:75], 1, s[2:3]
	v_mad_u64_u32 v[12:13], s[2:3], v3, s0, 0
	v_lshl_add_u64 v[12:13], v[12:13], 1, v[0:1]
	v_add_u32_e32 v3, 4, v3
	s_waitcnt lgkmcnt(0)
	global_store_dwordx4 v[12:13], v[8:11], off
	v_cmp_ne_u32_e32 vcc, 3, v86
	s_nop 0
	v_mad_u64_u32 v[8:9], s[2:3], v3, s0, 0
	v_lshl_add_u64 v[8:9], v[8:9], 1, v[0:1]
	global_store_dwordx4 v[8:9], v[4:7], off
	s_and_b64 exec, exec, vcc
	s_cbranch_execz .LBB718_20
; %bb.19:
	ds_read_b128 v[2:5], v2 offset:256
	v_add3_u32 v6, s40, v86, 8
	v_mad_u64_u32 v[6:7], s[0:1], v6, s0, 0
	v_lshl_add_u64 v[0:1], v[6:7], 1, v[0:1]
	s_waitcnt lgkmcnt(0)
	global_store_dwordx4 v[0:1], v[2:5], off
.LBB718_20:
	s_endpgm
	.section	.rodata,"a",@progbits
	.p2align	6, 0x0
	.amdhsa_kernel _Z39paged_attention_ll4mi_QKV_mfma16_kernelI14__hip_bfloat16S0_LN4vllm18Fp8KVCacheDataTypeE0EhLi32ELi128ELi256ELb0ELi11EEvPKT_PKT0_S8_ifPKiSA_SA_iPKfiiiPfSD_PS3_PT2_iSC_SC_
		.amdhsa_group_segment_fixed_size 8192
		.amdhsa_private_segment_fixed_size 0
		.amdhsa_kernarg_size 400
		.amdhsa_user_sgpr_count 2
		.amdhsa_user_sgpr_dispatch_ptr 0
		.amdhsa_user_sgpr_queue_ptr 0
		.amdhsa_user_sgpr_kernarg_segment_ptr 1
		.amdhsa_user_sgpr_dispatch_id 0
		.amdhsa_user_sgpr_kernarg_preload_length 0
		.amdhsa_user_sgpr_kernarg_preload_offset 0
		.amdhsa_user_sgpr_private_segment_size 0
		.amdhsa_uses_dynamic_stack 0
		.amdhsa_enable_private_segment 0
		.amdhsa_system_sgpr_workgroup_id_x 1
		.amdhsa_system_sgpr_workgroup_id_y 1
		.amdhsa_system_sgpr_workgroup_id_z 1
		.amdhsa_system_sgpr_workgroup_info 0
		.amdhsa_system_vgpr_workitem_id 0
		.amdhsa_next_free_vgpr 96
		.amdhsa_next_free_sgpr 42
		.amdhsa_accum_offset 96
		.amdhsa_reserve_vcc 1
		.amdhsa_float_round_mode_32 0
		.amdhsa_float_round_mode_16_64 0
		.amdhsa_float_denorm_mode_32 3
		.amdhsa_float_denorm_mode_16_64 3
		.amdhsa_dx10_clamp 1
		.amdhsa_ieee_mode 1
		.amdhsa_fp16_overflow 0
		.amdhsa_tg_split 0
		.amdhsa_exception_fp_ieee_invalid_op 0
		.amdhsa_exception_fp_denorm_src 0
		.amdhsa_exception_fp_ieee_div_zero 0
		.amdhsa_exception_fp_ieee_overflow 0
		.amdhsa_exception_fp_ieee_underflow 0
		.amdhsa_exception_fp_ieee_inexact 0
		.amdhsa_exception_int_div_zero 0
	.end_amdhsa_kernel
	.section	.text._Z39paged_attention_ll4mi_QKV_mfma16_kernelI14__hip_bfloat16S0_LN4vllm18Fp8KVCacheDataTypeE0EhLi32ELi128ELi256ELb0ELi11EEvPKT_PKT0_S8_ifPKiSA_SA_iPKfiiiPfSD_PS3_PT2_iSC_SC_,"axG",@progbits,_Z39paged_attention_ll4mi_QKV_mfma16_kernelI14__hip_bfloat16S0_LN4vllm18Fp8KVCacheDataTypeE0EhLi32ELi128ELi256ELb0ELi11EEvPKT_PKT0_S8_ifPKiSA_SA_iPKfiiiPfSD_PS3_PT2_iSC_SC_,comdat
.Lfunc_end718:
	.size	_Z39paged_attention_ll4mi_QKV_mfma16_kernelI14__hip_bfloat16S0_LN4vllm18Fp8KVCacheDataTypeE0EhLi32ELi128ELi256ELb0ELi11EEvPKT_PKT0_S8_ifPKiSA_SA_iPKfiiiPfSD_PS3_PT2_iSC_SC_, .Lfunc_end718-_Z39paged_attention_ll4mi_QKV_mfma16_kernelI14__hip_bfloat16S0_LN4vllm18Fp8KVCacheDataTypeE0EhLi32ELi128ELi256ELb0ELi11EEvPKT_PKT0_S8_ifPKiSA_SA_iPKfiiiPfSD_PS3_PT2_iSC_SC_
                                        ; -- End function
	.section	.AMDGPU.csdata,"",@progbits
; Kernel info:
; codeLenInByte = 4888
; NumSgprs: 48
; NumVgprs: 96
; NumAgprs: 0
; TotalNumVgprs: 96
; ScratchSize: 0
; MemoryBound: 0
; FloatMode: 240
; IeeeMode: 1
; LDSByteSize: 8192 bytes/workgroup (compile time only)
; SGPRBlocks: 5
; VGPRBlocks: 11
; NumSGPRsForWavesPerEU: 48
; NumVGPRsForWavesPerEU: 96
; AccumOffset: 96
; Occupancy: 5
; WaveLimiterHint : 1
; COMPUTE_PGM_RSRC2:SCRATCH_EN: 0
; COMPUTE_PGM_RSRC2:USER_SGPR: 2
; COMPUTE_PGM_RSRC2:TRAP_HANDLER: 0
; COMPUTE_PGM_RSRC2:TGID_X_EN: 1
; COMPUTE_PGM_RSRC2:TGID_Y_EN: 1
; COMPUTE_PGM_RSRC2:TGID_Z_EN: 1
; COMPUTE_PGM_RSRC2:TIDIG_COMP_CNT: 0
; COMPUTE_PGM_RSRC3_GFX90A:ACCUM_OFFSET: 23
; COMPUTE_PGM_RSRC3_GFX90A:TG_SPLIT: 0
	.section	.text._Z39paged_attention_ll4mi_QKV_mfma16_kernelI14__hip_bfloat16S0_LN4vllm18Fp8KVCacheDataTypeE0EhLi32ELi128ELi256ELb0ELi12EEvPKT_PKT0_S8_ifPKiSA_SA_iPKfiiiPfSD_PS3_PT2_iSC_SC_,"axG",@progbits,_Z39paged_attention_ll4mi_QKV_mfma16_kernelI14__hip_bfloat16S0_LN4vllm18Fp8KVCacheDataTypeE0EhLi32ELi128ELi256ELb0ELi12EEvPKT_PKT0_S8_ifPKiSA_SA_iPKfiiiPfSD_PS3_PT2_iSC_SC_,comdat
	.protected	_Z39paged_attention_ll4mi_QKV_mfma16_kernelI14__hip_bfloat16S0_LN4vllm18Fp8KVCacheDataTypeE0EhLi32ELi128ELi256ELb0ELi12EEvPKT_PKT0_S8_ifPKiSA_SA_iPKfiiiPfSD_PS3_PT2_iSC_SC_ ; -- Begin function _Z39paged_attention_ll4mi_QKV_mfma16_kernelI14__hip_bfloat16S0_LN4vllm18Fp8KVCacheDataTypeE0EhLi32ELi128ELi256ELb0ELi12EEvPKT_PKT0_S8_ifPKiSA_SA_iPKfiiiPfSD_PS3_PT2_iSC_SC_
	.globl	_Z39paged_attention_ll4mi_QKV_mfma16_kernelI14__hip_bfloat16S0_LN4vllm18Fp8KVCacheDataTypeE0EhLi32ELi128ELi256ELb0ELi12EEvPKT_PKT0_S8_ifPKiSA_SA_iPKfiiiPfSD_PS3_PT2_iSC_SC_
	.p2align	8
	.type	_Z39paged_attention_ll4mi_QKV_mfma16_kernelI14__hip_bfloat16S0_LN4vllm18Fp8KVCacheDataTypeE0EhLi32ELi128ELi256ELb0ELi12EEvPKT_PKT0_S8_ifPKiSA_SA_iPKfiiiPfSD_PS3_PT2_iSC_SC_,@function
_Z39paged_attention_ll4mi_QKV_mfma16_kernelI14__hip_bfloat16S0_LN4vllm18Fp8KVCacheDataTypeE0EhLi32ELi128ELi256ELb0ELi12EEvPKT_PKT0_S8_ifPKiSA_SA_iPKfiiiPfSD_PS3_PT2_iSC_SC_: ; @_Z39paged_attention_ll4mi_QKV_mfma16_kernelI14__hip_bfloat16S0_LN4vllm18Fp8KVCacheDataTypeE0EhLi32ELi128ELi256ELb0ELi12EEvPKT_PKT0_S8_ifPKiSA_SA_iPKfiiiPfSD_PS3_PT2_iSC_SC_
; %bb.0:
	s_load_dwordx2 s[8:9], s[0:1], 0x30
	s_mov_b32 s26, s3
	s_mov_b64 s[6:7], 0
	s_waitcnt lgkmcnt(0)
	s_cmp_lg_u64 s[8:9], 0
	s_cselect_b64 s[10:11], -1, 0
	s_and_b64 vcc, exec, s[10:11]
	s_cbranch_vccz .LBB719_7
; %bb.1:
	s_add_i32 s12, s2, 1
	s_mov_b32 s13, 0
	s_lshl_b64 s[14:15], s[12:13], 2
	s_add_u32 s14, s8, s14
	s_mov_b32 s3, s13
	s_addc_u32 s15, s9, s15
	s_lshl_b64 s[12:13], s[2:3], 2
	s_add_u32 s12, s8, s12
	s_addc_u32 s13, s9, s13
	s_load_dword s5, s[14:15], 0x0
	s_load_dword s16, s[12:13], 0x0
	s_waitcnt lgkmcnt(0)
	s_sub_i32 s5, s5, s16
	s_cmp_eq_u32 s5, 1
	s_cselect_b64 s[12:13], -1, 0
	s_andn2_b64 vcc, exec, s[6:7]
	s_cbranch_vccnz .LBB719_3
.LBB719_2:
	s_mov_b32 s3, 0
	s_mov_b64 s[12:13], -1
.LBB719_3:
	s_andn2_b64 vcc, exec, s[12:13]
	s_cbranch_vccnz .LBB719_19
; %bb.4:
	s_load_dwordx2 s[6:7], s[0:1], 0x28
	s_lshl_b64 s[12:13], s[2:3], 2
	s_waitcnt lgkmcnt(0)
	s_add_u32 s6, s6, s12
	s_addc_u32 s7, s7, s13
	s_load_dword s33, s[6:7], 0x0
	s_lshl_b32 s18, s26, 8
	s_waitcnt lgkmcnt(0)
	s_cmp_ge_i32 s18, s33
	s_cbranch_scc1 .LBB719_19
; %bb.5:
	s_load_dwordx2 s[6:7], s[0:1], 0x20
	s_load_dword s5, s[0:1], 0x38
	s_add_i32 s14, s33, 31
	s_ashr_i32 s15, s14, 31
	v_and_b32_e32 v1, 0xcf, v0
	s_lshr_b32 s15, s15, 27
	v_add_u32_e32 v1, s18, v1
	s_add_i32 s14, s14, s15
	v_ashrrev_i32_e32 v2, 31, v1
	s_ashr_i32 s19, s14, 5
	v_lshrrev_b32_e32 v4, 27, v2
	s_add_i32 s19, s19, -1
	s_waitcnt lgkmcnt(0)
	s_mul_i32 s14, s2, s5
	s_mov_b32 s15, 0
	v_add_u32_e32 v2, v1, v4
	s_lshl_b64 s[14:15], s[14:15], 2
	v_ashrrev_i32_e32 v2, 5, v2
	v_mov_b32_e32 v5, s19
	v_cmp_gt_i32_e32 vcc, s33, v1
	s_add_u32 s6, s6, s14
	s_addc_u32 s7, s7, s15
	v_cndmask_b32_e32 v2, v5, v2, vcc
	v_ashrrev_i32_e32 v3, 31, v2
	v_lshl_add_u64 v[6:7], v[2:3], 2, s[6:7]
	v_or_b32_e32 v2, 16, v1
	v_add_u32_e32 v3, v2, v4
	v_ashrrev_i32_e32 v3, 5, v3
	v_cmp_gt_i32_e32 vcc, s33, v2
	s_nop 1
	v_cndmask_b32_e32 v2, v5, v3, vcc
	v_ashrrev_i32_e32 v3, 31, v2
	v_lshl_add_u64 v[8:9], v[2:3], 2, s[6:7]
	v_or_b32_e32 v2, 32, v1
	v_add_u32_e32 v3, v2, v4
	v_ashrrev_i32_e32 v3, 5, v3
	v_cmp_gt_i32_e32 vcc, s33, v2
	v_or_b32_e32 v1, 48, v1
	s_nop 0
	v_cndmask_b32_e32 v2, v5, v3, vcc
	v_ashrrev_i32_e32 v3, 31, v2
	v_lshl_add_u64 v[10:11], v[2:3], 2, s[6:7]
	v_add_u32_e32 v2, v1, v4
	v_ashrrev_i32_e32 v2, 5, v2
	v_cmp_gt_i32_e32 vcc, s33, v1
	s_nop 1
	v_cndmask_b32_e32 v2, v5, v2, vcc
	v_ashrrev_i32_e32 v3, 31, v2
	v_lshl_add_u64 v[12:13], v[2:3], 2, s[6:7]
	global_load_dword v2, v[6:7], off
	global_load_dword v5, v[8:9], off
	;; [unrolled: 1-line block ×4, first 2 shown]
	s_andn2_b64 vcc, exec, s[10:11]
	s_cbranch_vccnz .LBB719_8
; %bb.6:
	s_add_u32 s8, s8, s12
	s_addc_u32 s9, s9, s13
	s_load_dword s5, s[8:9], 0x0
	s_branch .LBB719_9
.LBB719_7:
	s_mov_b64 s[12:13], 0
	s_branch .LBB719_2
.LBB719_8:
	s_mov_b32 s5, s2
.LBB719_9:
	s_load_dwordx4 s[12:15], s[0:1], 0x8
	s_load_dwordx4 s[8:11], s[0:1], 0x48
	v_and_b32_e32 v76, 15, v0
	s_waitcnt lgkmcnt(0)
	s_movk_i32 s11, 0xbf
	v_lshlrev_b32_e32 v74, 3, v76
	v_cmp_lt_u32_e32 vcc, s11, v0
	s_and_saveexec_b64 s[16:17], vcc
	s_xor_b64 s[16:17], exec, s[16:17]
; %bb.10:
	v_mov_b32_e32 v75, 0
; %bb.11:
	s_or_saveexec_b64 s[16:17], s[16:17]
	v_lshrrev_b32_e32 v77, 6, v0
	v_and_b32_e32 v86, 63, v0
	v_bfe_u32 v1, v0, 4, 2
	s_mul_i32 s40, s4, 12
	s_xor_b64 exec, exec, s[16:17]
	s_cbranch_execz .LBB719_13
; %bb.12:
	s_load_dwordx2 s[20:21], s[0:1], 0x0
	s_ashr_i32 s11, s8, 31
	s_mul_hi_u32 s22, s5, s8
	s_mul_i32 s11, s5, s11
	s_add_i32 s23, s22, s11
	s_mul_i32 s22, s5, s8
	v_lshl_or_b32 v3, v77, 2, v1
	s_lshl_b64 s[22:23], s[22:23], 1
	s_waitcnt lgkmcnt(0)
	s_add_u32 s20, s20, s22
	v_add_lshl_u32 v6, v3, s40, 7
	s_addc_u32 s21, s21, s23
	v_ashrrev_i32_e32 v7, 31, v6
	v_mov_b32_e32 v75, 0
	v_lshl_add_u64 v[6:7], v[6:7], 1, s[20:21]
	v_lshlrev_b32_e32 v8, 1, v74
	v_mov_b32_e32 v9, v75
	v_lshl_add_u64 v[6:7], v[6:7], 0, v[8:9]
	global_load_dwordx4 v[6:9], v[6:7], off
	v_and_b32_e32 v10, 3, v0
	v_lshlrev_b32_e32 v11, 9, v76
	v_lshlrev_b32_e32 v3, 5, v3
	;; [unrolled: 1-line block ×3, first 2 shown]
	v_and_b32_e32 v11, 0x1800, v11
	v_or3_b32 v3, v11, v10, v3
	s_waitcnt vmcnt(0)
	ds_write_b128 v3, v[6:9]
.LBB719_13:
	s_or_b64 exec, exec, s[16:17]
	s_mul_i32 s4, s4, s10
	s_mov_b32 s5, 0
	s_lshl_b64 s[4:5], s[4:5], 1
	s_add_u32 s10, s12, s4
	s_addc_u32 s11, s13, s5
	s_waitcnt vmcnt(3)
	v_mad_i64_i32 v[2:3], s[12:13], v2, s9, 0
	v_lshl_add_u64 v[6:7], v[2:3], 1, s[10:11]
	v_lshlrev_b64 v[2:3], 1, v[74:75]
	v_lshlrev_b32_e32 v50, 9, v1
	v_lshl_add_u64 v[6:7], v[6:7], 0, v[2:3]
	v_mov_b32_e32 v51, 0
	v_lshl_add_u64 v[8:9], v[6:7], 0, v[50:51]
	s_load_dword s27, s[0:1], 0x98
	s_load_dword s8, s[0:1], 0x1c
	s_waitcnt lgkmcnt(0)
	s_barrier
	global_load_dwordx4 v[38:41], v[8:9], off
	s_waitcnt vmcnt(3)
	v_mad_i64_i32 v[10:11], s[12:13], v5, s9, 0
	v_mov_b32_e32 v5, 0x100
	v_lshl_add_u64 v[10:11], v[10:11], 1, s[10:11]
	v_lshl_or_b32 v54, v76, 4, v5
	v_mov_b32_e32 v55, v51
	v_lshl_add_u64 v[22:23], v[10:11], 0, v[54:55]
	v_lshl_add_u64 v[10:11], v[22:23], 0, v[50:51]
	global_load_dwordx4 v[42:45], v[10:11], off
	global_load_dwordx4 v[18:21], v[8:9], off offset:2048
	global_load_dwordx4 v[26:29], v[10:11], off offset:2048
	v_or_b32_e32 v56, 0x1000, v50
	v_mov_b32_e32 v57, v51
	v_or_b32_e32 v52, 0x1800, v50
	v_mov_b32_e32 v53, v51
	v_lshl_add_u64 v[8:9], v[6:7], 0, v[56:57]
	v_lshl_add_u64 v[6:7], v[6:7], 0, v[52:53]
	global_load_dwordx4 v[14:17], v[8:9], off
	global_load_dwordx4 v[10:13], v[6:7], off
	v_lshl_add_u64 v[8:9], v[22:23], 0, v[56:57]
	global_load_dwordx4 v[30:33], v[8:9], off
	s_waitcnt vmcnt(8)
	v_mad_i64_i32 v[4:5], s[12:13], v4, s9, 0
	v_lshl_add_u64 v[4:5], v[4:5], 1, s[10:11]
	v_lshl_add_u64 v[60:61], v[4:5], 0, v[2:3]
	v_add_u32_e32 v2, -12, v76
	v_cmp_gt_u32_e32 vcc, 12, v76
	v_lshl_add_u64 v[6:7], v[22:23], 0, v[52:53]
	global_load_dwordx4 v[22:25], v[6:7], off
	v_cndmask_b32_e32 v2, v2, v76, vcc
	v_lshl_add_u64 v[58:59], v[60:61], 0, v[50:51]
	v_lshl_add_u32 v62, v2, 5, v50
	global_load_dwordx4 v[34:37], v[58:59], off
	ds_read_b128 v[6:9], v62
	ds_read_b128 v[2:5], v62 offset:2048
	s_waitcnt vmcnt(9)
	v_mad_i64_i32 v[72:73], s[12:13], v46, s9, 0
	s_ashr_i32 s12, s18, 31
	v_and_or_b32 v80, v0, 48, s18
	v_or_b32_e32 v84, 64, v80
	v_mov_b32_e32 v81, s19
	v_cmp_gt_i32_e32 vcc, s33, v80
	v_or_b32_e32 v85, 0x80, v80
	v_or_b32_e32 v87, 0xc0, v80
	s_mov_b32 s41, 0xff7fffff
	s_waitcnt vmcnt(7) lgkmcnt(1)
	v_mfma_f32_16x16x16_bf16 v[68:71], v[42:43], v[6:7], 0
	v_mfma_f32_16x16x16_bf16 v[64:67], v[38:39], v[6:7], 0
	;; [unrolled: 1-line block ×3, first 2 shown]
	ds_read_b128 v[46:49], v62 offset:4096
	ds_read_b128 v[38:41], v62 offset:6144
	v_lshl_add_u64 v[62:63], v[72:73], 1, s[10:11]
	v_lshl_add_u64 v[82:83], v[62:63], 0, v[54:55]
	v_mfma_f32_16x16x16_bf16 v[42:45], v[44:45], v[8:9], v[68:71]
	v_lshl_add_u64 v[54:55], v[60:61], 0, v[56:57]
	s_lshr_b32 s10, s12, 27
	v_lshl_add_u64 v[78:79], v[82:83], 0, v[56:57]
	s_waitcnt vmcnt(6) lgkmcnt(2)
	v_mfma_f32_16x16x16_bf16 v[62:65], v[18:19], v[2:3], v[64:67]
	v_add_u32_e32 v68, s10, v80
	v_add_u32_e32 v69, s10, v84
	v_lshl_add_u64 v[70:71], v[82:83], 0, v[50:51]
	v_lshl_add_u64 v[66:67], v[60:61], 0, v[52:53]
	global_load_dwordx4 v[58:61], v[58:59], off offset:2048
	s_waitcnt vmcnt(6)
	v_mfma_f32_16x16x16_bf16 v[42:45], v[26:27], v[2:3], v[42:45]
	v_ashrrev_i32_e32 v50, 5, v68
	v_ashrrev_i32_e32 v56, 5, v69
	v_add_u32_e32 v72, s10, v85
	v_mfma_f32_16x16x16_bf16 v[18:21], v[20:21], v[4:5], v[62:65]
	v_add_u32_e32 v73, s10, v87
	s_add_u32 s4, s14, s4
	s_addc_u32 s5, s15, s5
	v_mfma_f32_16x16x16_bf16 v[26:29], v[28:29], v[4:5], v[42:45]
	v_ashrrev_i32_e32 v62, 5, v72
	v_ashrrev_i32_e32 v72, 5, v73
	s_waitcnt vmcnt(5) lgkmcnt(1)
	v_mfma_f32_16x16x16_bf16 v[18:21], v[14:15], v[46:47], v[18:21]
	global_load_dwordx4 v[42:45], v[54:55], off
	v_cndmask_b32_e32 v14, v81, v50, vcc
	v_cmp_gt_i32_e32 vcc, s33, v84
	s_waitcnt vmcnt(4)
	v_mfma_f32_16x16x16_bf16 v[26:29], v[30:31], v[46:47], v[26:29]
	v_ashrrev_i32_e32 v15, 31, v14
	v_cndmask_b32_e32 v30, v81, v56, vcc
	v_ashrrev_i32_e32 v31, 31, v30
	v_lshl_add_u64 v[14:15], v[14:15], 2, s[6:7]
	v_lshl_add_u64 v[30:31], v[30:31], 2, s[6:7]
	global_load_dword v92, v[14:15], off
	global_load_dword v84, v[30:31], off
	v_mfma_f32_16x16x16_bf16 v[14:17], v[16:17], v[48:49], v[18:21]
	v_cmp_gt_i32_e32 vcc, s33, v85
	s_nop 1
	global_load_dwordx4 v[18:21], v[66:67], off
	s_waitcnt lgkmcnt(0)
	v_mfma_f32_16x16x16_bf16 v[14:17], v[10:11], v[38:39], v[14:17]
	v_cndmask_b32_e32 v10, v81, v62, vcc
	v_ashrrev_i32_e32 v11, 31, v10
	v_lshl_add_u64 v[10:11], v[10:11], 2, s[6:7]
	v_mfma_f32_16x16x16_bf16 v[66:69], v[12:13], v[40:41], v[14:17]
	global_load_dword v85, v[10:11], off
	global_load_dwordx4 v[62:65], v[70:71], off offset:2048
	v_cmp_gt_i32_e32 vcc, s33, v87
	v_lshl_add_u64 v[14:15], v[82:83], 0, v[52:53]
	global_load_dwordx4 v[88:91], v[14:15], off
	global_load_dwordx4 v[54:57], v[70:71], off
	v_cndmask_b32_e32 v10, v81, v72, vcc
	global_load_dwordx4 v[78:81], v[78:79], off
	v_ashrrev_i32_e32 v11, 31, v10
	v_lshl_add_u64 v[10:11], v[10:11], 2, s[6:7]
	global_load_dword v93, v[10:11], off
	s_waitcnt vmcnt(11)
	v_mfma_f32_16x16x16_bf16 v[10:13], v[34:35], v[6:7], 0
	v_and_b32_e32 v14, 16, v0
	v_lshlrev_b32_e32 v50, 1, v14
	v_lshl_or_b32 v87, v77, 4, v76
	v_mfma_f32_16x16x16_bf16 v[10:13], v[36:37], v[8:9], v[10:13]
	v_lshl_add_u64 v[36:37], s[4:5], 0, v[50:51]
	v_lshlrev_b32_e32 v50, 6, v87
	v_pk_mul_f32 v[82:83], s[8:9], v[68:69] op_sel_hi:[0,1]
	v_mfma_f32_16x16x16_bf16 v[26:29], v[32:33], v[48:49], v[26:29]
	s_waitcnt vmcnt(8)
	v_mad_i64_i32 v[14:15], s[4:5], v92, s9, 0
	v_mfma_f32_16x16x16_bf16 v[10:13], v[58:59], v[2:3], v[10:13]
	v_lshl_add_u64 v[58:59], v[36:37], 0, v[50:51]
	v_or_b32_e32 v50, 0x1000, v50
	v_mfma_f32_16x16x16_bf16 v[10:13], v[60:61], v[4:5], v[10:13]
	v_lshlrev_b64 v[60:61], 1, v[14:15]
	v_lshl_add_u64 v[14:15], v[58:59], 0, v[60:61]
	v_mfma_f32_16x16x16_bf16 v[10:13], v[42:43], v[46:47], v[10:13]
	v_mfma_f32_16x16x16_bf16 v[10:13], v[44:45], v[48:49], v[10:13]
	;; [unrolled: 1-line block ×3, first 2 shown]
	s_waitcnt vmcnt(6)
	v_mfma_f32_16x16x16_bf16 v[10:13], v[18:19], v[38:39], v[10:13]
	v_mfma_f32_16x16x16_bf16 v[70:73], v[24:25], v[40:41], v[26:29]
	global_load_dwordx4 v[30:33], v[14:15], off
	s_nop 2
	global_load_dwordx4 v[26:29], v[14:15], off offset:16
	v_mad_i64_i32 v[14:15], s[4:5], v84, s9, 0
	v_lshlrev_b64 v[34:35], 1, v[14:15]
	v_mfma_f32_16x16x16_bf16 v[42:45], v[20:21], v[40:41], v[10:13]
	v_pk_mul_f32 v[70:71], s[8:9], v[70:71] op_sel_hi:[0,1]
	s_nop 1
	v_lshl_add_u64 v[10:11], v[58:59], 0, v[34:35]
	global_load_dwordx4 v[22:25], v[10:11], off
	global_load_dwordx4 v[18:21], v[10:11], off offset:16
	s_waitcnt vmcnt(6)
	v_mfma_f32_16x16x16_bf16 v[10:13], v[54:55], v[6:7], 0
	v_mad_i64_i32 v[6:7], s[4:5], v85, s9, 0
	v_lshlrev_b64 v[52:53], 1, v[6:7]
	v_mfma_f32_16x16x16_bf16 v[6:9], v[56:57], v[8:9], v[10:13]
	v_pk_mul_f32 v[84:85], s[8:9], v[72:73] op_sel_hi:[0,1]
	v_mfma_f32_16x16x16_bf16 v[6:9], v[62:63], v[2:3], v[6:9]
	s_waitcnt vmcnt(4)
	v_mad_i64_i32 v[2:3], s[4:5], v93, s9, 0
	v_lshlrev_b64 v[62:63], 1, v[2:3]
	v_mfma_f32_16x16x16_bf16 v[54:57], v[64:65], v[4:5], v[6:9]
	v_lshl_add_u64 v[64:65], v[36:37], 0, v[50:51]
	v_pk_mul_f32 v[50:51], s[8:9], v[66:67] op_sel_hi:[0,1]
	v_lshl_add_u64 v[10:11], v[58:59], 0, v[52:53]
	v_mfma_f32_16x16x16_bf16 v[54:57], v[78:79], v[46:47], v[54:57]
	v_pk_mul_f32 v[78:79], s[8:9], v[42:43] op_sel_hi:[0,1]
	v_lshl_add_u64 v[2:3], v[58:59], 0, v[62:63]
	v_lshl_add_u64 v[58:59], v[64:65], 0, v[60:61]
	v_mfma_f32_16x16x16_bf16 v[46:49], v[80:81], v[48:49], v[54:57]
	v_pk_mul_f32 v[80:81], s[8:9], v[44:45] op_sel_hi:[0,1]
	v_lshl_add_u64 v[34:35], v[64:65], 0, v[34:35]
	v_lshl_add_u64 v[52:53], v[64:65], 0, v[52:53]
	v_mfma_f32_16x16x16_bf16 v[36:39], v[88:89], v[38:39], v[46:49]
	global_load_dwordx4 v[14:17], v[10:11], off
	s_nop 0
	global_load_dwordx4 v[10:13], v[10:11], off offset:16
	s_nop 0
	global_load_dwordx4 v[6:9], v[2:3], off
	s_nop 0
	global_load_dwordx4 v[2:5], v[2:3], off offset:16
	v_mfma_f32_16x16x16_bf16 v[36:39], v[90:91], v[40:41], v[36:39]
	s_nop 6
	v_pk_mul_f32 v[72:73], s[8:9], v[36:37] op_sel_hi:[0,1]
	v_and_b32_e32 v36, 0xc0, v0
	v_add_u32_e32 v36, s18, v36
	v_lshl_or_b32 v36, v1, 2, v36
	v_pk_mul_f32 v[66:67], s[8:9], v[38:39] op_sel_hi:[0,1]
	v_or_b32_e32 v39, 1, v36
	v_mov_b32_e32 v37, 0xff7fffff
	v_cmp_gt_i32_e64 s[28:29], s33, v36
	v_cmp_gt_i32_e64 s[30:31], s33, v39
	v_or_b32_e32 v40, 3, v36
	v_cndmask_b32_e64 v38, v37, v50, s[28:29]
	v_cndmask_b32_e64 v39, v37, v51, s[30:31]
	v_max3_f32 v38, v38, s41, v39
	v_or_b32_e32 v39, 2, v36
	v_cmp_gt_i32_e64 s[34:35], s33, v39
	v_cmp_gt_i32_e64 s[36:37], s33, v40
	s_nop 0
	v_cndmask_b32_e64 v39, v37, v82, s[34:35]
	v_cndmask_b32_e64 v40, v37, v83, s[36:37]
	v_max3_f32 v38, v38, v39, v40
	v_or_b32_e32 v39, 16, v36
	v_or_b32_e32 v40, 17, v36
	v_cmp_gt_i32_e64 s[22:23], s33, v39
	v_cmp_gt_i32_e64 s[24:25], s33, v40
	s_nop 0
	v_cndmask_b32_e64 v39, v37, v70, s[22:23]
	v_cndmask_b32_e64 v40, v37, v71, s[24:25]
	v_max3_f32 v38, v38, v39, v40
	v_or_b32_e32 v39, 18, v36
	;; [unrolled: 8-line block ×6, first 2 shown]
	v_or_b32_e32 v36, 51, v36
	v_cmp_gt_i32_e32 vcc, s33, v39
	v_cmp_gt_i32_e64 s[4:5], s33, v36
	s_nop 0
	v_cndmask_b32_e32 v39, v37, v66, vcc
	v_cndmask_b32_e64 v36, v37, v67, s[4:5]
	v_max3_f32 v54, v38, v39, v36
	v_mbcnt_lo_u32_b32 v36, -1, 0
	v_mbcnt_hi_u32_b32 v55, -1, v36
	v_and_b32_e32 v36, 64, v55
	v_add_u32_e32 v56, 64, v36
	v_xor_b32_e32 v36, 32, v55
	v_cmp_lt_i32_e64 s[38:39], v36, v56
	global_load_dwordx4 v[46:49], v[58:59], off
	global_load_dwordx4 v[38:41], v[58:59], off offset:16
	v_cndmask_b32_e64 v36, v55, v36, s[38:39]
	v_lshlrev_b32_e32 v89, 2, v36
	ds_bpermute_b32 v57, v89, v54
	global_load_dwordx4 v[42:45], v[34:35], off
	s_nop 0
	global_load_dwordx4 v[34:37], v[34:35], off offset:16
	s_waitcnt lgkmcnt(0)
	v_max_f32_e32 v57, v57, v57
	v_max_f32_e32 v68, v54, v57
	v_xor_b32_e32 v54, 16, v55
	v_cmp_lt_i32_e64 s[38:39], v54, v56
	s_nop 1
	v_cndmask_b32_e64 v54, v55, v54, s[38:39]
	v_lshlrev_b32_e32 v90, 2, v54
	ds_bpermute_b32 v69, v90, v68
	global_load_dwordx4 v[58:61], v[52:53], off
	global_load_dwordx4 v[54:57], v[52:53], off offset:16
	v_lshl_add_u64 v[52:53], v[64:65], 0, v[62:63]
	s_waitcnt lgkmcnt(0)
	v_max_f32_e32 v62, v69, v69
	v_max_f32_e32 v88, v68, v62
	v_sub_f32_e32 v50, v50, v88
	v_mul_f32_e32 v50, 0x3fb8aa3b, v50
	v_exp_f32_e32 v68, v50
	v_sub_f32_e32 v50, v51, v88
	v_mul_f32_e32 v50, 0x3fb8aa3b, v50
	v_exp_f32_e32 v69, v50
	global_load_dwordx4 v[62:65], v[52:53], off
	s_nop 0
	global_load_dwordx4 v[50:53], v[52:53], off offset:16
	v_sub_f32_e32 v82, v82, v88
	v_mul_f32_e32 v82, 0x3fb8aa3b, v82
	v_sub_f32_e32 v83, v83, v88
	v_exp_f32_e32 v82, v82
	v_mul_f32_e32 v83, 0x3fb8aa3b, v83
	v_sub_f32_e32 v70, v70, v88
	v_exp_f32_e32 v83, v83
	v_mul_f32_e32 v70, 0x3fb8aa3b, v70
	v_sub_f32_e32 v71, v71, v88
	v_cndmask_b32_e64 v68, 0, v68, s[28:29]
	v_exp_f32_e32 v70, v70
	v_mul_f32_e32 v71, 0x3fb8aa3b, v71
	v_sub_f32_e32 v84, v84, v88
	v_add_f32_e32 v91, 0, v68
	v_cndmask_b32_e64 v69, 0, v69, s[30:31]
	v_exp_f32_e32 v71, v71
	v_mul_f32_e32 v84, 0x3fb8aa3b, v84
	v_sub_f32_e32 v85, v85, v88
	v_add_f32_e32 v91, v91, v69
	;; [unrolled: 5-line block ×10, first 2 shown]
	v_cndmask_b32_e64 v80, 0, v80, s[10:11]
	v_exp_f32_e32 v66, v66
	v_mul_f32_e32 v67, 0x3fb8aa3b, v67
	v_add_f32_e32 v91, v91, v80
	v_cndmask_b32_e64 v81, 0, v81, s[12:13]
	v_exp_f32_e32 v67, v67
	v_add_f32_e32 v91, v91, v81
	v_cndmask_b32_e64 v72, 0, v72, s[6:7]
	v_add_f32_e32 v91, v91, v72
	v_cndmask_b32_e64 v73, 0, v73, s[8:9]
	v_add_f32_e32 v91, v91, v73
	v_cndmask_b32_e32 v66, 0, v66, vcc
	v_add_f32_e32 v91, v91, v66
	v_cndmask_b32_e64 v67, 0, v67, s[4:5]
	v_add_f32_e32 v91, v91, v67
	ds_bpermute_b32 v89, v89, v91
	v_cmp_gt_u32_e32 vcc, 16, v86
	s_waitcnt lgkmcnt(0)
	s_barrier
	v_add_f32_e32 v89, v91, v89
	ds_bpermute_b32 v90, v90, v89
	s_and_saveexec_b64 s[4:5], vcc
	s_cbranch_execz .LBB719_15
; %bb.14:
	s_waitcnt lgkmcnt(0)
	v_add_f32_e32 v86, v89, v90
	v_lshlrev_b32_e32 v87, 2, v87
	ds_write2st64_b32 v87, v88, v86 offset1:1
.LBB719_15:
	s_or_b64 exec, exec, s[4:5]
	v_lshlrev_b32_e32 v87, 2, v76
	s_load_dword s6, s[0:1], 0x94
	s_waitcnt lgkmcnt(0)
	s_barrier
	ds_read2_b32 v[88:89], v87 offset1:16
	ds_read2_b32 v[90:91], v87 offset0:32 offset1:48
	ds_read2_b32 v[92:93], v87 offset0:64 offset1:80
	s_movk_i32 s8, 0x7fff
	s_mov_b32 s9, 0x7060302
	s_waitcnt lgkmcnt(2)
	v_max3_f32 v86, v88, s41, v89
	s_waitcnt lgkmcnt(1)
	v_max3_f32 v86, v86, v90, v91
	v_sub_f32_e32 v88, v88, v86
	v_mul_f32_e32 v88, 0x3fb8aa3b, v88
	v_exp_f32_e32 v94, v88
	v_sub_f32_e32 v88, v89, v86
	v_mul_f32_e32 v88, 0x3fb8aa3b, v88
	v_exp_f32_e32 v95, v88
	;; [unrolled: 3-line block ×3, first 2 shown]
	ds_read2_b32 v[88:89], v87 offset0:96 offset1:112
	v_sub_f32_e32 v87, v91, v86
	v_mul_f32_e32 v87, 0x3fb8aa3b, v87
	v_exp_f32_e32 v91, v87
	s_waitcnt lgkmcnt(1)
	v_fma_f32 v87, v94, v92, 0
	v_fmac_f32_e32 v87, v95, v93
	s_waitcnt lgkmcnt(0)
	v_fmac_f32_e32 v87, v90, v88
	v_fmac_f32_e32 v87, v91, v89
	v_add_f32_e32 v88, 0x358637bd, v87
	v_div_scale_f32 v89, s[4:5], v88, v88, 1.0
	v_rcp_f32_e32 v92, v89
	s_barrier
	v_fma_f32 v93, -v89, v92, 1.0
	v_fmac_f32_e32 v92, v93, v92
	v_div_scale_f32 v93, vcc, 1.0, v88, 1.0
	v_mul_f32_e32 v1, v93, v92
	v_fma_f32 v77, -v89, v1, v93
	v_fmac_f32_e32 v1, v77, v92
	v_fma_f32 v77, -v89, v1, v93
	v_lshrrev_b32_e32 v89, 6, v0
	v_div_fmas_f32 v1, v77, v92, v1
	v_cmp_eq_u32_e32 vcc, 1, v89
	v_div_fixup_f32 v1, v1, v88, 1.0
	s_mul_i32 s7, s27, 12
	v_cndmask_b32_e32 v77, v94, v95, vcc
	v_cmp_eq_u32_e32 vcc, 2, v89
	s_nop 1
	v_cndmask_b32_e32 v77, v77, v90, vcc
	v_cmp_eq_u32_e32 vcc, 3, v89
	s_nop 1
	v_cndmask_b32_e32 v77, v77, v91, vcc
	v_mul_f32_e32 v88, v77, v1
	v_pk_mul_f32 v[68:69], v[88:89], v[68:69] op_sel_hi:[0,1]
	v_bfe_u32 v1, v69, 16, 1
	v_bfe_u32 v77, v68, 16, 1
	v_pk_mul_f32 v[82:83], v[88:89], v[82:83] op_sel_hi:[0,1]
	v_add3_u32 v68, v68, v77, s8
	v_add3_u32 v1, v69, v1, s8
	v_perm_b32 v90, v1, v68, s9
	v_bfe_u32 v1, v83, 16, 1
	v_bfe_u32 v68, v82, 16, 1
	v_add3_u32 v68, v82, v68, s8
	v_add3_u32 v1, v83, v1, s8
	v_bfe_u32 v83, v0, 4, 2
	v_perm_b32 v91, v1, v68, s9
	v_lshlrev_b32_e32 v1, 3, v83
	v_lshlrev_b32_e32 v68, 5, v76
	;; [unrolled: 1-line block ×3, first 2 shown]
	v_pk_mul_f32 v[70:71], v[88:89], v[70:71] op_sel_hi:[0,1]
	v_or3_b32 v82, v69, v68, v1
	v_bfe_u32 v1, v71, 16, 1
	v_bfe_u32 v69, v70, 16, 1
	v_pk_mul_f32 v[84:85], v[88:89], v[84:85] op_sel_hi:[0,1]
	v_add3_u32 v69, v70, v69, s8
	v_add3_u32 v1, v71, v1, s8
	v_perm_b32 v70, v1, v69, s9
	v_bfe_u32 v1, v85, 16, 1
	v_bfe_u32 v69, v84, 16, 1
	v_add3_u32 v69, v84, v69, s8
	v_add3_u32 v1, v85, v1, s8
	v_pk_mul_f32 v[78:79], v[88:89], v[78:79] op_sel_hi:[0,1]
	v_perm_b32 v71, v1, v69, s9
	v_bfe_u32 v1, v79, 16, 1
	v_bfe_u32 v69, v78, 16, 1
	ds_write2st64_b64 v82, v[90:91], v[70:71] offset1:1
	v_pk_mul_f32 v[70:71], v[88:89], v[80:81] op_sel_hi:[0,1]
	v_add3_u32 v69, v78, v69, s8
	v_add3_u32 v1, v79, v1, s8
	v_perm_b32 v78, v1, v69, s9
	v_bfe_u32 v1, v71, 16, 1
	v_bfe_u32 v69, v70, 16, 1
	v_add3_u32 v69, v70, v69, s8
	v_add3_u32 v1, v71, v1, s8
	v_pk_mul_f32 v[70:71], v[88:89], v[72:73] op_sel_hi:[0,1]
	v_perm_b32 v79, v1, v69, s9
	v_bfe_u32 v1, v71, 16, 1
	v_bfe_u32 v69, v70, 16, 1
	v_pk_mul_f32 v[66:67], v[88:89], v[66:67] op_sel_hi:[0,1]
	v_add3_u32 v69, v70, v69, s8
	v_add3_u32 v1, v71, v1, s8
	v_perm_b32 v70, v1, v69, s9
	v_bfe_u32 v1, v67, 16, 1
	v_bfe_u32 v69, v66, 16, 1
	v_add3_u32 v66, v66, v69, s8
	v_add3_u32 v1, v67, v1, s8
	v_perm_b32 v71, v1, v66, s9
	v_cmp_gt_u32_e32 vcc, 12, v0
	ds_write2st64_b64 v82, v[78:79], v[70:71] offset0:2 offset1:3
	s_and_saveexec_b64 s[4:5], vcc
	s_cbranch_execz .LBB719_17
; %bb.16:
	s_mov_b32 s41, 0
	v_mov_b32_e32 v77, 0
	v_lshl_add_u64 v[66:67], s[40:41], 0, v[76:77]
	v_mov_b32_e32 v1, s7
	v_mad_u64_u32 v[66:67], s[10:11], s2, v1, v[66:67]
	s_mul_i32 s3, s3, s7
	v_mov_b32_e32 v70, s26
	v_mov_b32_e32 v71, v77
	s_load_dwordx4 s[12:15], s[0:1], 0x58
	v_add_u32_e32 v1, s3, v67
	v_mad_u64_u32 v[66:67], s[10:11], v66, s6, v[70:71]
	v_mov_b32_e32 v70, v67
	v_mad_u64_u32 v[70:71], s[10:11], v1, s6, v[70:71]
	v_mov_b32_e32 v67, v70
	v_lshlrev_b64 v[66:67], 2, v[66:67]
	s_waitcnt lgkmcnt(0)
	v_lshl_add_u64 v[70:71], s[14:15], 0, v[66:67]
	v_lshl_add_u64 v[66:67], s[12:13], 0, v[66:67]
	global_store_dword v[70:71], v86, off
	global_store_dword v[66:67], v87, off
.LBB719_17:
	s_or_b64 exec, exec, s[4:5]
	v_lshl_or_b32 v1, v83, 9, v68
	s_waitcnt lgkmcnt(0)
	s_barrier
	ds_read_b128 v[70:73], v1
	ds_read_b128 v[66:69], v1 offset:16
	s_waitcnt vmcnt(15) lgkmcnt(1)
	v_mfma_f32_16x16x16_bf16 v[78:81], v[30:31], v[70:71], 0
	s_mov_b32 s3, 0
	v_cmp_gt_u32_e32 vcc, 64, v0
	v_mfma_f32_16x16x16_bf16 v[30:33], v[32:33], v[72:73], v[78:81]
	s_waitcnt vmcnt(14) lgkmcnt(0)
	v_mfma_f32_16x16x16_bf16 v[30:33], v[26:27], v[66:67], v[30:33]
	v_mfma_f32_16x16x16_bf16 v[26:29], v[28:29], v[68:69], v[30:33]
	s_nop 5
	ds_read_b128 v[30:33], v1 offset:2048
	ds_read_b128 v[78:81], v1 offset:2064
	s_waitcnt vmcnt(13) lgkmcnt(1)
	v_mfma_f32_16x16x16_bf16 v[26:29], v[22:23], v[30:31], v[26:29]
	v_mfma_f32_16x16x16_bf16 v[22:25], v[24:25], v[32:33], v[26:29]
	s_waitcnt vmcnt(12) lgkmcnt(0)
	v_mfma_f32_16x16x16_bf16 v[22:25], v[18:19], v[78:79], v[22:25]
	v_mfma_f32_16x16x16_bf16 v[18:21], v[20:21], v[80:81], v[22:25]
	s_nop 5
	ds_read_b128 v[22:25], v1 offset:4096
	ds_read_b128 v[26:29], v1 offset:4112
	s_waitcnt vmcnt(11) lgkmcnt(1)
	v_mfma_f32_16x16x16_bf16 v[18:21], v[14:15], v[22:23], v[18:21]
	v_mfma_f32_16x16x16_bf16 v[14:17], v[16:17], v[24:25], v[18:21]
	s_waitcnt vmcnt(10) lgkmcnt(0)
	v_mfma_f32_16x16x16_bf16 v[14:17], v[10:11], v[26:27], v[14:17]
	v_mfma_f32_16x16x16_bf16 v[10:13], v[12:13], v[28:29], v[14:17]
	s_nop 5
	ds_read_b128 v[14:17], v1 offset:6144
	ds_read_b128 v[18:21], v1 offset:6160
	s_waitcnt lgkmcnt(0)
	s_barrier
	s_waitcnt vmcnt(9)
	v_mfma_f32_16x16x16_bf16 v[10:13], v[6:7], v[14:15], v[10:13]
	v_mfma_f32_16x16x16_bf16 v[6:9], v[8:9], v[16:17], v[10:13]
	s_waitcnt vmcnt(8)
	v_mfma_f32_16x16x16_bf16 v[6:9], v[2:3], v[18:19], v[6:9]
	v_mfma_f32_16x16x16_bf16 v[2:5], v[4:5], v[20:21], v[6:9]
	;; [unrolled: 3-line block ×3, first 2 shown]
	s_nop 3
	v_bfe_u32 v1, v3, 16, 1
	v_bfe_u32 v10, v2, 16, 1
	v_add3_u32 v2, v2, v10, s8
	s_waitcnt vmcnt(6)
	v_mfma_f32_16x16x16_bf16 v[6:9], v[38:39], v[66:67], v[6:9]
	v_add3_u32 v1, v3, v1, s8
	v_perm_b32 v10, v1, v2, s9
	v_bfe_u32 v1, v5, 16, 1
	v_mfma_f32_16x16x16_bf16 v[6:9], v[40:41], v[68:69], v[6:9]
	v_bfe_u32 v2, v4, 16, 1
	v_add3_u32 v2, v4, v2, s8
	v_add3_u32 v1, v5, v1, s8
	s_waitcnt vmcnt(5)
	v_mfma_f32_16x16x16_bf16 v[6:9], v[42:43], v[30:31], v[6:9]
	v_perm_b32 v11, v1, v2, s9
	v_mfma_f32_16x16x16_bf16 v[6:9], v[44:45], v[32:33], v[6:9]
	s_waitcnt vmcnt(4)
	v_mfma_f32_16x16x16_bf16 v[6:9], v[34:35], v[78:79], v[6:9]
	v_mfma_f32_16x16x16_bf16 v[6:9], v[36:37], v[80:81], v[6:9]
	s_waitcnt vmcnt(3)
	v_mfma_f32_16x16x16_bf16 v[6:9], v[58:59], v[22:23], v[6:9]
	;; [unrolled: 3-line block ×5, first 2 shown]
	v_mfma_f32_16x16x16_bf16 v[2:5], v[52:53], v[20:21], v[6:9]
	s_nop 6
	v_bfe_u32 v1, v3, 16, 1
	v_bfe_u32 v6, v2, 16, 1
	v_add3_u32 v2, v2, v6, s8
	v_add3_u32 v1, v3, v1, s8
	v_perm_b32 v2, v1, v2, s9
	v_bfe_u32 v1, v5, 16, 1
	v_bfe_u32 v3, v4, 16, 1
	v_add3_u32 v3, v4, v3, s8
	v_add3_u32 v1, v5, v1, s8
	v_perm_b32 v3, v1, v3, s9
	ds_write2st64_b64 v82, v[10:11], v[2:3] offset1:1
	s_waitcnt lgkmcnt(0)
	s_barrier
	s_and_saveexec_b64 s[4:5], vcc
	s_cbranch_execz .LBB719_19
; %bb.18:
	s_load_dwordx2 s[0:1], s[0:1], 0x68
	s_lshl_b32 s6, s6, 7
	s_mul_i32 s2, s7, s2
	s_mul_hi_u32 s5, s2, s6
	s_mul_i32 s4, s2, s6
	s_lshl_b64 s[4:5], s[4:5], 1
	v_lshlrev_b32_e32 v3, 6, v76
	s_waitcnt lgkmcnt(0)
	s_add_u32 s4, s0, s4
	v_lshlrev_b32_e32 v2, 4, v0
	v_lshl_or_b32 v0, v0, 10, v3
	s_addc_u32 s5, s1, s5
	s_lshl_b32 s2, s26, 7
	v_lshlrev_b32_e32 v1, 5, v83
	v_and_b32_e32 v2, 16, v2
	v_and_b32_e32 v0, 0x1a00, v0
	s_lshl_b64 s[0:1], s[2:3], 1
	v_or3_b32 v0, v0, v1, v2
	s_add_u32 s0, s4, s0
	ds_read_b128 v[2:5], v0
	ds_read_b128 v[6:9], v0 offset:128
	ds_read_b128 v[10:13], v0 offset:256
	s_addc_u32 s1, s5, s1
	v_or_b32_e32 v16, s40, v83
	v_lshl_add_u64 v[0:1], v[74:75], 1, s[0:1]
	v_mad_u64_u32 v[14:15], s[0:1], v16, s6, 0
	v_lshl_add_u64 v[14:15], v[14:15], 1, v[0:1]
	s_waitcnt lgkmcnt(2)
	global_store_dwordx4 v[14:15], v[2:5], off
	s_nop 1
	v_add_u32_e32 v2, 4, v16
	v_mad_u64_u32 v[2:3], s[0:1], v2, s6, 0
	v_lshl_add_u64 v[2:3], v[2:3], 1, v[0:1]
	s_waitcnt lgkmcnt(1)
	global_store_dwordx4 v[2:3], v[6:9], off
	v_add_u32_e32 v2, 8, v16
	v_mad_u64_u32 v[2:3], s[0:1], v2, s6, 0
	v_lshl_add_u64 v[0:1], v[2:3], 1, v[0:1]
	s_waitcnt lgkmcnt(0)
	global_store_dwordx4 v[0:1], v[10:13], off
.LBB719_19:
	s_endpgm
	.section	.rodata,"a",@progbits
	.p2align	6, 0x0
	.amdhsa_kernel _Z39paged_attention_ll4mi_QKV_mfma16_kernelI14__hip_bfloat16S0_LN4vllm18Fp8KVCacheDataTypeE0EhLi32ELi128ELi256ELb0ELi12EEvPKT_PKT0_S8_ifPKiSA_SA_iPKfiiiPfSD_PS3_PT2_iSC_SC_
		.amdhsa_group_segment_fixed_size 8192
		.amdhsa_private_segment_fixed_size 0
		.amdhsa_kernarg_size 400
		.amdhsa_user_sgpr_count 2
		.amdhsa_user_sgpr_dispatch_ptr 0
		.amdhsa_user_sgpr_queue_ptr 0
		.amdhsa_user_sgpr_kernarg_segment_ptr 1
		.amdhsa_user_sgpr_dispatch_id 0
		.amdhsa_user_sgpr_kernarg_preload_length 0
		.amdhsa_user_sgpr_kernarg_preload_offset 0
		.amdhsa_user_sgpr_private_segment_size 0
		.amdhsa_uses_dynamic_stack 0
		.amdhsa_enable_private_segment 0
		.amdhsa_system_sgpr_workgroup_id_x 1
		.amdhsa_system_sgpr_workgroup_id_y 1
		.amdhsa_system_sgpr_workgroup_id_z 1
		.amdhsa_system_sgpr_workgroup_info 0
		.amdhsa_system_vgpr_workitem_id 0
		.amdhsa_next_free_vgpr 96
		.amdhsa_next_free_sgpr 42
		.amdhsa_accum_offset 96
		.amdhsa_reserve_vcc 1
		.amdhsa_float_round_mode_32 0
		.amdhsa_float_round_mode_16_64 0
		.amdhsa_float_denorm_mode_32 3
		.amdhsa_float_denorm_mode_16_64 3
		.amdhsa_dx10_clamp 1
		.amdhsa_ieee_mode 1
		.amdhsa_fp16_overflow 0
		.amdhsa_tg_split 0
		.amdhsa_exception_fp_ieee_invalid_op 0
		.amdhsa_exception_fp_denorm_src 0
		.amdhsa_exception_fp_ieee_div_zero 0
		.amdhsa_exception_fp_ieee_overflow 0
		.amdhsa_exception_fp_ieee_underflow 0
		.amdhsa_exception_fp_ieee_inexact 0
		.amdhsa_exception_int_div_zero 0
	.end_amdhsa_kernel
	.section	.text._Z39paged_attention_ll4mi_QKV_mfma16_kernelI14__hip_bfloat16S0_LN4vllm18Fp8KVCacheDataTypeE0EhLi32ELi128ELi256ELb0ELi12EEvPKT_PKT0_S8_ifPKiSA_SA_iPKfiiiPfSD_PS3_PT2_iSC_SC_,"axG",@progbits,_Z39paged_attention_ll4mi_QKV_mfma16_kernelI14__hip_bfloat16S0_LN4vllm18Fp8KVCacheDataTypeE0EhLi32ELi128ELi256ELb0ELi12EEvPKT_PKT0_S8_ifPKiSA_SA_iPKfiiiPfSD_PS3_PT2_iSC_SC_,comdat
.Lfunc_end719:
	.size	_Z39paged_attention_ll4mi_QKV_mfma16_kernelI14__hip_bfloat16S0_LN4vllm18Fp8KVCacheDataTypeE0EhLi32ELi128ELi256ELb0ELi12EEvPKT_PKT0_S8_ifPKiSA_SA_iPKfiiiPfSD_PS3_PT2_iSC_SC_, .Lfunc_end719-_Z39paged_attention_ll4mi_QKV_mfma16_kernelI14__hip_bfloat16S0_LN4vllm18Fp8KVCacheDataTypeE0EhLi32ELi128ELi256ELb0ELi12EEvPKT_PKT0_S8_ifPKiSA_SA_iPKfiiiPfSD_PS3_PT2_iSC_SC_
                                        ; -- End function
	.section	.AMDGPU.csdata,"",@progbits
; Kernel info:
; codeLenInByte = 4876
; NumSgprs: 48
; NumVgprs: 96
; NumAgprs: 0
; TotalNumVgprs: 96
; ScratchSize: 0
; MemoryBound: 0
; FloatMode: 240
; IeeeMode: 1
; LDSByteSize: 8192 bytes/workgroup (compile time only)
; SGPRBlocks: 5
; VGPRBlocks: 11
; NumSGPRsForWavesPerEU: 48
; NumVGPRsForWavesPerEU: 96
; AccumOffset: 96
; Occupancy: 5
; WaveLimiterHint : 1
; COMPUTE_PGM_RSRC2:SCRATCH_EN: 0
; COMPUTE_PGM_RSRC2:USER_SGPR: 2
; COMPUTE_PGM_RSRC2:TRAP_HANDLER: 0
; COMPUTE_PGM_RSRC2:TGID_X_EN: 1
; COMPUTE_PGM_RSRC2:TGID_Y_EN: 1
; COMPUTE_PGM_RSRC2:TGID_Z_EN: 1
; COMPUTE_PGM_RSRC2:TIDIG_COMP_CNT: 0
; COMPUTE_PGM_RSRC3_GFX90A:ACCUM_OFFSET: 23
; COMPUTE_PGM_RSRC3_GFX90A:TG_SPLIT: 0
	.section	.text._Z39paged_attention_ll4mi_QKV_mfma16_kernelI14__hip_bfloat16S0_LN4vllm18Fp8KVCacheDataTypeE0EhLi32ELi128ELi256ELb0ELi13EEvPKT_PKT0_S8_ifPKiSA_SA_iPKfiiiPfSD_PS3_PT2_iSC_SC_,"axG",@progbits,_Z39paged_attention_ll4mi_QKV_mfma16_kernelI14__hip_bfloat16S0_LN4vllm18Fp8KVCacheDataTypeE0EhLi32ELi128ELi256ELb0ELi13EEvPKT_PKT0_S8_ifPKiSA_SA_iPKfiiiPfSD_PS3_PT2_iSC_SC_,comdat
	.protected	_Z39paged_attention_ll4mi_QKV_mfma16_kernelI14__hip_bfloat16S0_LN4vllm18Fp8KVCacheDataTypeE0EhLi32ELi128ELi256ELb0ELi13EEvPKT_PKT0_S8_ifPKiSA_SA_iPKfiiiPfSD_PS3_PT2_iSC_SC_ ; -- Begin function _Z39paged_attention_ll4mi_QKV_mfma16_kernelI14__hip_bfloat16S0_LN4vllm18Fp8KVCacheDataTypeE0EhLi32ELi128ELi256ELb0ELi13EEvPKT_PKT0_S8_ifPKiSA_SA_iPKfiiiPfSD_PS3_PT2_iSC_SC_
	.globl	_Z39paged_attention_ll4mi_QKV_mfma16_kernelI14__hip_bfloat16S0_LN4vllm18Fp8KVCacheDataTypeE0EhLi32ELi128ELi256ELb0ELi13EEvPKT_PKT0_S8_ifPKiSA_SA_iPKfiiiPfSD_PS3_PT2_iSC_SC_
	.p2align	8
	.type	_Z39paged_attention_ll4mi_QKV_mfma16_kernelI14__hip_bfloat16S0_LN4vllm18Fp8KVCacheDataTypeE0EhLi32ELi128ELi256ELb0ELi13EEvPKT_PKT0_S8_ifPKiSA_SA_iPKfiiiPfSD_PS3_PT2_iSC_SC_,@function
_Z39paged_attention_ll4mi_QKV_mfma16_kernelI14__hip_bfloat16S0_LN4vllm18Fp8KVCacheDataTypeE0EhLi32ELi128ELi256ELb0ELi13EEvPKT_PKT0_S8_ifPKiSA_SA_iPKfiiiPfSD_PS3_PT2_iSC_SC_: ; @_Z39paged_attention_ll4mi_QKV_mfma16_kernelI14__hip_bfloat16S0_LN4vllm18Fp8KVCacheDataTypeE0EhLi32ELi128ELi256ELb0ELi13EEvPKT_PKT0_S8_ifPKiSA_SA_iPKfiiiPfSD_PS3_PT2_iSC_SC_
; %bb.0:
	s_load_dwordx2 s[8:9], s[0:1], 0x30
	s_mov_b32 s26, s3
	s_mov_b64 s[6:7], 0
	s_waitcnt lgkmcnt(0)
	s_cmp_lg_u64 s[8:9], 0
	s_cselect_b64 s[10:11], -1, 0
	s_and_b64 vcc, exec, s[10:11]
	s_cbranch_vccz .LBB720_7
; %bb.1:
	s_add_i32 s12, s2, 1
	s_mov_b32 s13, 0
	s_lshl_b64 s[14:15], s[12:13], 2
	s_add_u32 s14, s8, s14
	s_mov_b32 s3, s13
	s_addc_u32 s15, s9, s15
	s_lshl_b64 s[12:13], s[2:3], 2
	s_add_u32 s12, s8, s12
	s_addc_u32 s13, s9, s13
	s_load_dword s5, s[14:15], 0x0
	s_load_dword s16, s[12:13], 0x0
	s_waitcnt lgkmcnt(0)
	s_sub_i32 s5, s5, s16
	s_cmp_eq_u32 s5, 1
	s_cselect_b64 s[12:13], -1, 0
	s_andn2_b64 vcc, exec, s[6:7]
	s_cbranch_vccnz .LBB720_3
.LBB720_2:
	s_mov_b32 s3, 0
	s_mov_b64 s[12:13], -1
.LBB720_3:
	s_andn2_b64 vcc, exec, s[12:13]
	s_cbranch_vccnz .LBB720_20
; %bb.4:
	s_load_dwordx2 s[6:7], s[0:1], 0x28
	s_lshl_b64 s[12:13], s[2:3], 2
	s_waitcnt lgkmcnt(0)
	s_add_u32 s6, s6, s12
	s_addc_u32 s7, s7, s13
	s_load_dword s33, s[6:7], 0x0
	s_lshl_b32 s18, s26, 8
	s_waitcnt lgkmcnt(0)
	s_cmp_ge_i32 s18, s33
	s_cbranch_scc1 .LBB720_20
; %bb.5:
	s_load_dwordx2 s[6:7], s[0:1], 0x20
	s_load_dword s5, s[0:1], 0x38
	s_add_i32 s14, s33, 31
	s_ashr_i32 s15, s14, 31
	v_and_b32_e32 v1, 0xcf, v0
	s_lshr_b32 s15, s15, 27
	v_add_u32_e32 v1, s18, v1
	s_add_i32 s14, s14, s15
	v_ashrrev_i32_e32 v2, 31, v1
	s_ashr_i32 s19, s14, 5
	v_lshrrev_b32_e32 v4, 27, v2
	s_add_i32 s19, s19, -1
	s_waitcnt lgkmcnt(0)
	s_mul_i32 s14, s2, s5
	s_mov_b32 s15, 0
	v_add_u32_e32 v2, v1, v4
	s_lshl_b64 s[14:15], s[14:15], 2
	v_ashrrev_i32_e32 v2, 5, v2
	v_mov_b32_e32 v5, s19
	v_cmp_gt_i32_e32 vcc, s33, v1
	s_add_u32 s6, s6, s14
	s_addc_u32 s7, s7, s15
	v_cndmask_b32_e32 v2, v5, v2, vcc
	v_ashrrev_i32_e32 v3, 31, v2
	v_lshl_add_u64 v[6:7], v[2:3], 2, s[6:7]
	v_or_b32_e32 v2, 16, v1
	v_add_u32_e32 v3, v2, v4
	v_ashrrev_i32_e32 v3, 5, v3
	v_cmp_gt_i32_e32 vcc, s33, v2
	s_nop 1
	v_cndmask_b32_e32 v2, v5, v3, vcc
	v_ashrrev_i32_e32 v3, 31, v2
	v_lshl_add_u64 v[8:9], v[2:3], 2, s[6:7]
	v_or_b32_e32 v2, 32, v1
	v_add_u32_e32 v3, v2, v4
	v_ashrrev_i32_e32 v3, 5, v3
	v_cmp_gt_i32_e32 vcc, s33, v2
	v_or_b32_e32 v1, 48, v1
	s_nop 0
	v_cndmask_b32_e32 v2, v5, v3, vcc
	v_ashrrev_i32_e32 v3, 31, v2
	v_lshl_add_u64 v[10:11], v[2:3], 2, s[6:7]
	v_add_u32_e32 v2, v1, v4
	v_ashrrev_i32_e32 v2, 5, v2
	v_cmp_gt_i32_e32 vcc, s33, v1
	s_nop 1
	v_cndmask_b32_e32 v2, v5, v2, vcc
	v_ashrrev_i32_e32 v3, 31, v2
	v_lshl_add_u64 v[12:13], v[2:3], 2, s[6:7]
	global_load_dword v2, v[6:7], off
	global_load_dword v5, v[8:9], off
	;; [unrolled: 1-line block ×4, first 2 shown]
	s_andn2_b64 vcc, exec, s[10:11]
	s_cbranch_vccnz .LBB720_8
; %bb.6:
	s_add_u32 s8, s8, s12
	s_addc_u32 s9, s9, s13
	s_load_dword s5, s[8:9], 0x0
	s_branch .LBB720_9
.LBB720_7:
	s_mov_b64 s[12:13], 0
	s_branch .LBB720_2
.LBB720_8:
	s_mov_b32 s5, s2
.LBB720_9:
	s_load_dwordx4 s[12:15], s[0:1], 0x8
	s_load_dwordx4 s[8:11], s[0:1], 0x48
	v_lshrrev_b32_e32 v86, 6, v0
	v_bfe_u32 v1, v0, 4, 2
	v_lshl_or_b32 v3, v86, 2, v1
	v_and_b32_e32 v76, 15, v0
	v_lshlrev_b32_e32 v74, 3, v76
	v_cmp_lt_u32_e32 vcc, 12, v3
	s_and_saveexec_b64 s[16:17], vcc
	s_xor_b64 s[16:17], exec, s[16:17]
; %bb.10:
	v_mov_b32_e32 v75, 0
                                        ; implicit-def: $vgpr3
; %bb.11:
	s_or_saveexec_b64 s[16:17], s[16:17]
	v_and_b32_e32 v77, 63, v0
	s_mul_i32 s40, s4, 13
	s_xor_b64 exec, exec, s[16:17]
	s_cbranch_execz .LBB720_13
; %bb.12:
	s_load_dwordx2 s[20:21], s[0:1], 0x0
	s_waitcnt lgkmcnt(0)
	s_ashr_i32 s11, s8, 31
	s_mul_hi_u32 s22, s5, s8
	s_mul_i32 s11, s5, s11
	s_add_i32 s23, s22, s11
	s_mul_i32 s22, s5, s8
	s_lshl_b64 s[22:23], s[22:23], 1
	s_add_u32 s20, s20, s22
	v_add_lshl_u32 v6, v3, s40, 7
	s_addc_u32 s21, s21, s23
	v_ashrrev_i32_e32 v7, 31, v6
	v_mov_b32_e32 v75, 0
	v_lshl_add_u64 v[6:7], v[6:7], 1, s[20:21]
	v_lshlrev_b32_e32 v8, 1, v74
	v_mov_b32_e32 v9, v75
	v_lshl_add_u64 v[6:7], v[6:7], 0, v[8:9]
	global_load_dwordx4 v[6:9], v[6:7], off
	v_and_b32_e32 v10, 3, v0
	v_lshlrev_b32_e32 v11, 9, v76
	v_lshlrev_b32_e32 v3, 5, v3
	;; [unrolled: 1-line block ×3, first 2 shown]
	v_and_b32_e32 v11, 0x1800, v11
	v_or3_b32 v3, v11, v10, v3
	s_waitcnt vmcnt(0)
	ds_write_b128 v3, v[6:9]
.LBB720_13:
	s_or_b64 exec, exec, s[16:17]
	s_waitcnt lgkmcnt(0)
	s_mul_i32 s4, s4, s10
	s_mov_b32 s5, 0
	s_lshl_b64 s[4:5], s[4:5], 1
	s_add_u32 s10, s12, s4
	s_addc_u32 s11, s13, s5
	s_waitcnt vmcnt(3)
	v_mad_i64_i32 v[2:3], s[12:13], v2, s9, 0
	v_lshl_add_u64 v[6:7], v[2:3], 1, s[10:11]
	v_lshlrev_b64 v[2:3], 1, v[74:75]
	v_lshlrev_b32_e32 v50, 9, v1
	v_lshl_add_u64 v[6:7], v[6:7], 0, v[2:3]
	v_mov_b32_e32 v51, 0
	v_lshl_add_u64 v[8:9], v[6:7], 0, v[50:51]
	s_load_dword s27, s[0:1], 0x98
	s_load_dword s8, s[0:1], 0x1c
	s_waitcnt lgkmcnt(0)
	s_barrier
	global_load_dwordx4 v[38:41], v[8:9], off
	s_waitcnt vmcnt(3)
	v_mad_i64_i32 v[10:11], s[12:13], v5, s9, 0
	v_mov_b32_e32 v5, 0x100
	v_lshl_add_u64 v[10:11], v[10:11], 1, s[10:11]
	v_lshl_or_b32 v54, v76, 4, v5
	v_mov_b32_e32 v55, v51
	v_lshl_add_u64 v[22:23], v[10:11], 0, v[54:55]
	v_lshl_add_u64 v[10:11], v[22:23], 0, v[50:51]
	global_load_dwordx4 v[42:45], v[10:11], off
	global_load_dwordx4 v[18:21], v[8:9], off offset:2048
	global_load_dwordx4 v[26:29], v[10:11], off offset:2048
	v_or_b32_e32 v56, 0x1000, v50
	v_mov_b32_e32 v57, v51
	v_or_b32_e32 v52, 0x1800, v50
	v_mov_b32_e32 v53, v51
	v_lshl_add_u64 v[8:9], v[6:7], 0, v[56:57]
	v_lshl_add_u64 v[6:7], v[6:7], 0, v[52:53]
	global_load_dwordx4 v[14:17], v[8:9], off
	global_load_dwordx4 v[10:13], v[6:7], off
	v_lshl_add_u64 v[8:9], v[22:23], 0, v[56:57]
	global_load_dwordx4 v[30:33], v[8:9], off
	s_waitcnt vmcnt(8)
	v_mad_i64_i32 v[4:5], s[12:13], v4, s9, 0
	v_lshl_add_u64 v[4:5], v[4:5], 1, s[10:11]
	v_lshl_add_u64 v[60:61], v[4:5], 0, v[2:3]
	v_add_u32_e32 v2, -13, v76
	v_cmp_gt_u32_e32 vcc, 13, v76
	v_lshl_add_u64 v[6:7], v[22:23], 0, v[52:53]
	global_load_dwordx4 v[22:25], v[6:7], off
	v_cndmask_b32_e32 v2, v2, v76, vcc
	v_lshl_add_u64 v[58:59], v[60:61], 0, v[50:51]
	v_lshl_add_u32 v62, v2, 5, v50
	global_load_dwordx4 v[34:37], v[58:59], off
	ds_read_b128 v[6:9], v62
	ds_read_b128 v[2:5], v62 offset:2048
	s_waitcnt vmcnt(9)
	v_mad_i64_i32 v[72:73], s[12:13], v46, s9, 0
	s_ashr_i32 s12, s18, 31
	v_and_or_b32 v80, v0, 48, s18
	v_or_b32_e32 v84, 64, v80
	v_mov_b32_e32 v81, s19
	v_cmp_gt_i32_e32 vcc, s33, v80
	v_or_b32_e32 v85, 0x80, v80
	v_or_b32_e32 v87, 0xc0, v80
	s_mov_b32 s41, 0xff7fffff
	s_waitcnt vmcnt(7) lgkmcnt(1)
	v_mfma_f32_16x16x16_bf16 v[68:71], v[42:43], v[6:7], 0
	v_mfma_f32_16x16x16_bf16 v[64:67], v[38:39], v[6:7], 0
	;; [unrolled: 1-line block ×3, first 2 shown]
	ds_read_b128 v[46:49], v62 offset:4096
	ds_read_b128 v[38:41], v62 offset:6144
	v_lshl_add_u64 v[62:63], v[72:73], 1, s[10:11]
	v_lshl_add_u64 v[82:83], v[62:63], 0, v[54:55]
	v_mfma_f32_16x16x16_bf16 v[42:45], v[44:45], v[8:9], v[68:71]
	v_lshl_add_u64 v[54:55], v[60:61], 0, v[56:57]
	s_lshr_b32 s10, s12, 27
	v_lshl_add_u64 v[78:79], v[82:83], 0, v[56:57]
	s_waitcnt vmcnt(6) lgkmcnt(2)
	v_mfma_f32_16x16x16_bf16 v[62:65], v[18:19], v[2:3], v[64:67]
	v_add_u32_e32 v68, s10, v80
	v_add_u32_e32 v69, s10, v84
	v_lshl_add_u64 v[70:71], v[82:83], 0, v[50:51]
	v_lshl_add_u64 v[66:67], v[60:61], 0, v[52:53]
	global_load_dwordx4 v[58:61], v[58:59], off offset:2048
	s_waitcnt vmcnt(6)
	v_mfma_f32_16x16x16_bf16 v[42:45], v[26:27], v[2:3], v[42:45]
	v_ashrrev_i32_e32 v50, 5, v68
	v_ashrrev_i32_e32 v56, 5, v69
	v_add_u32_e32 v72, s10, v85
	v_mfma_f32_16x16x16_bf16 v[18:21], v[20:21], v[4:5], v[62:65]
	v_add_u32_e32 v73, s10, v87
	s_add_u32 s4, s14, s4
	s_addc_u32 s5, s15, s5
	v_mfma_f32_16x16x16_bf16 v[26:29], v[28:29], v[4:5], v[42:45]
	v_ashrrev_i32_e32 v62, 5, v72
	v_ashrrev_i32_e32 v72, 5, v73
	s_waitcnt vmcnt(5) lgkmcnt(1)
	v_mfma_f32_16x16x16_bf16 v[18:21], v[14:15], v[46:47], v[18:21]
	global_load_dwordx4 v[42:45], v[54:55], off
	v_cndmask_b32_e32 v14, v81, v50, vcc
	v_cmp_gt_i32_e32 vcc, s33, v84
	s_waitcnt vmcnt(4)
	v_mfma_f32_16x16x16_bf16 v[26:29], v[30:31], v[46:47], v[26:29]
	v_ashrrev_i32_e32 v15, 31, v14
	v_cndmask_b32_e32 v30, v81, v56, vcc
	v_ashrrev_i32_e32 v31, 31, v30
	v_lshl_add_u64 v[14:15], v[14:15], 2, s[6:7]
	v_lshl_add_u64 v[30:31], v[30:31], 2, s[6:7]
	global_load_dword v92, v[14:15], off
	global_load_dword v84, v[30:31], off
	v_mfma_f32_16x16x16_bf16 v[14:17], v[16:17], v[48:49], v[18:21]
	v_cmp_gt_i32_e32 vcc, s33, v85
	s_nop 1
	global_load_dwordx4 v[18:21], v[66:67], off
	s_waitcnt lgkmcnt(0)
	v_mfma_f32_16x16x16_bf16 v[14:17], v[10:11], v[38:39], v[14:17]
	v_cndmask_b32_e32 v10, v81, v62, vcc
	v_ashrrev_i32_e32 v11, 31, v10
	v_lshl_add_u64 v[10:11], v[10:11], 2, s[6:7]
	v_mfma_f32_16x16x16_bf16 v[66:69], v[12:13], v[40:41], v[14:17]
	global_load_dword v85, v[10:11], off
	global_load_dwordx4 v[62:65], v[70:71], off offset:2048
	v_cmp_gt_i32_e32 vcc, s33, v87
	v_lshl_add_u64 v[14:15], v[82:83], 0, v[52:53]
	global_load_dwordx4 v[88:91], v[14:15], off
	global_load_dwordx4 v[54:57], v[70:71], off
	v_cndmask_b32_e32 v10, v81, v72, vcc
	global_load_dwordx4 v[78:81], v[78:79], off
	v_ashrrev_i32_e32 v11, 31, v10
	v_lshl_add_u64 v[10:11], v[10:11], 2, s[6:7]
	global_load_dword v93, v[10:11], off
	s_waitcnt vmcnt(11)
	v_mfma_f32_16x16x16_bf16 v[10:13], v[34:35], v[6:7], 0
	v_and_b32_e32 v14, 16, v0
	v_lshlrev_b32_e32 v50, 1, v14
	v_lshl_or_b32 v87, v86, 4, v76
	v_mfma_f32_16x16x16_bf16 v[10:13], v[36:37], v[8:9], v[10:13]
	v_lshl_add_u64 v[36:37], s[4:5], 0, v[50:51]
	v_lshlrev_b32_e32 v50, 6, v87
	v_pk_mul_f32 v[82:83], s[8:9], v[68:69] op_sel_hi:[0,1]
	v_mfma_f32_16x16x16_bf16 v[26:29], v[32:33], v[48:49], v[26:29]
	s_waitcnt vmcnt(8)
	v_mad_i64_i32 v[14:15], s[4:5], v92, s9, 0
	v_mfma_f32_16x16x16_bf16 v[10:13], v[58:59], v[2:3], v[10:13]
	v_lshl_add_u64 v[58:59], v[36:37], 0, v[50:51]
	v_or_b32_e32 v50, 0x1000, v50
	v_mfma_f32_16x16x16_bf16 v[10:13], v[60:61], v[4:5], v[10:13]
	v_lshlrev_b64 v[60:61], 1, v[14:15]
	v_lshl_add_u64 v[14:15], v[58:59], 0, v[60:61]
	v_mfma_f32_16x16x16_bf16 v[10:13], v[42:43], v[46:47], v[10:13]
	v_mfma_f32_16x16x16_bf16 v[10:13], v[44:45], v[48:49], v[10:13]
	;; [unrolled: 1-line block ×3, first 2 shown]
	s_waitcnt vmcnt(6)
	v_mfma_f32_16x16x16_bf16 v[10:13], v[18:19], v[38:39], v[10:13]
	v_mfma_f32_16x16x16_bf16 v[70:73], v[24:25], v[40:41], v[26:29]
	global_load_dwordx4 v[30:33], v[14:15], off
	s_nop 2
	global_load_dwordx4 v[26:29], v[14:15], off offset:16
	v_mad_i64_i32 v[14:15], s[4:5], v84, s9, 0
	v_lshlrev_b64 v[34:35], 1, v[14:15]
	v_mfma_f32_16x16x16_bf16 v[42:45], v[20:21], v[40:41], v[10:13]
	v_pk_mul_f32 v[70:71], s[8:9], v[70:71] op_sel_hi:[0,1]
	s_nop 1
	v_lshl_add_u64 v[10:11], v[58:59], 0, v[34:35]
	global_load_dwordx4 v[22:25], v[10:11], off
	global_load_dwordx4 v[18:21], v[10:11], off offset:16
	s_waitcnt vmcnt(6)
	v_mfma_f32_16x16x16_bf16 v[10:13], v[54:55], v[6:7], 0
	v_mad_i64_i32 v[6:7], s[4:5], v85, s9, 0
	v_lshlrev_b64 v[52:53], 1, v[6:7]
	v_mfma_f32_16x16x16_bf16 v[6:9], v[56:57], v[8:9], v[10:13]
	v_pk_mul_f32 v[84:85], s[8:9], v[72:73] op_sel_hi:[0,1]
	v_mfma_f32_16x16x16_bf16 v[6:9], v[62:63], v[2:3], v[6:9]
	s_waitcnt vmcnt(4)
	v_mad_i64_i32 v[2:3], s[4:5], v93, s9, 0
	v_lshlrev_b64 v[62:63], 1, v[2:3]
	v_mfma_f32_16x16x16_bf16 v[54:57], v[64:65], v[4:5], v[6:9]
	v_lshl_add_u64 v[64:65], v[36:37], 0, v[50:51]
	v_pk_mul_f32 v[50:51], s[8:9], v[66:67] op_sel_hi:[0,1]
	v_lshl_add_u64 v[10:11], v[58:59], 0, v[52:53]
	v_mfma_f32_16x16x16_bf16 v[54:57], v[78:79], v[46:47], v[54:57]
	v_pk_mul_f32 v[78:79], s[8:9], v[42:43] op_sel_hi:[0,1]
	v_lshl_add_u64 v[2:3], v[58:59], 0, v[62:63]
	v_lshl_add_u64 v[58:59], v[64:65], 0, v[60:61]
	v_mfma_f32_16x16x16_bf16 v[46:49], v[80:81], v[48:49], v[54:57]
	v_pk_mul_f32 v[80:81], s[8:9], v[44:45] op_sel_hi:[0,1]
	v_lshl_add_u64 v[34:35], v[64:65], 0, v[34:35]
	v_lshl_add_u64 v[52:53], v[64:65], 0, v[52:53]
	v_mfma_f32_16x16x16_bf16 v[36:39], v[88:89], v[38:39], v[46:49]
	global_load_dwordx4 v[14:17], v[10:11], off
	s_nop 0
	global_load_dwordx4 v[10:13], v[10:11], off offset:16
	s_nop 0
	global_load_dwordx4 v[6:9], v[2:3], off
	s_nop 0
	global_load_dwordx4 v[2:5], v[2:3], off offset:16
	v_mfma_f32_16x16x16_bf16 v[36:39], v[90:91], v[40:41], v[36:39]
	s_nop 6
	v_pk_mul_f32 v[72:73], s[8:9], v[36:37] op_sel_hi:[0,1]
	v_and_b32_e32 v36, 0xc0, v0
	v_add_u32_e32 v36, s18, v36
	v_lshl_or_b32 v36, v1, 2, v36
	v_pk_mul_f32 v[66:67], s[8:9], v[38:39] op_sel_hi:[0,1]
	v_or_b32_e32 v39, 1, v36
	v_mov_b32_e32 v37, 0xff7fffff
	v_cmp_gt_i32_e64 s[28:29], s33, v36
	v_cmp_gt_i32_e64 s[30:31], s33, v39
	v_or_b32_e32 v40, 3, v36
	v_cndmask_b32_e64 v38, v37, v50, s[28:29]
	v_cndmask_b32_e64 v39, v37, v51, s[30:31]
	v_max3_f32 v38, v38, s41, v39
	v_or_b32_e32 v39, 2, v36
	v_cmp_gt_i32_e64 s[34:35], s33, v39
	v_cmp_gt_i32_e64 s[36:37], s33, v40
	s_nop 0
	v_cndmask_b32_e64 v39, v37, v82, s[34:35]
	v_cndmask_b32_e64 v40, v37, v83, s[36:37]
	v_max3_f32 v38, v38, v39, v40
	v_or_b32_e32 v39, 16, v36
	v_or_b32_e32 v40, 17, v36
	v_cmp_gt_i32_e64 s[22:23], s33, v39
	v_cmp_gt_i32_e64 s[24:25], s33, v40
	s_nop 0
	v_cndmask_b32_e64 v39, v37, v70, s[22:23]
	v_cndmask_b32_e64 v40, v37, v71, s[24:25]
	v_max3_f32 v38, v38, v39, v40
	v_or_b32_e32 v39, 18, v36
	;; [unrolled: 8-line block ×6, first 2 shown]
	v_or_b32_e32 v36, 51, v36
	v_cmp_gt_i32_e32 vcc, s33, v39
	v_cmp_gt_i32_e64 s[4:5], s33, v36
	s_nop 0
	v_cndmask_b32_e32 v39, v37, v66, vcc
	v_cndmask_b32_e64 v36, v37, v67, s[4:5]
	v_max3_f32 v54, v38, v39, v36
	v_mbcnt_lo_u32_b32 v36, -1, 0
	v_mbcnt_hi_u32_b32 v55, -1, v36
	v_and_b32_e32 v36, 64, v55
	v_add_u32_e32 v56, 64, v36
	v_xor_b32_e32 v36, 32, v55
	v_cmp_lt_i32_e64 s[38:39], v36, v56
	global_load_dwordx4 v[46:49], v[58:59], off
	global_load_dwordx4 v[38:41], v[58:59], off offset:16
	v_cndmask_b32_e64 v36, v55, v36, s[38:39]
	v_lshlrev_b32_e32 v89, 2, v36
	ds_bpermute_b32 v57, v89, v54
	global_load_dwordx4 v[42:45], v[34:35], off
	s_nop 0
	global_load_dwordx4 v[34:37], v[34:35], off offset:16
	s_waitcnt lgkmcnt(0)
	v_max_f32_e32 v57, v57, v57
	v_max_f32_e32 v68, v54, v57
	v_xor_b32_e32 v54, 16, v55
	v_cmp_lt_i32_e64 s[38:39], v54, v56
	s_nop 1
	v_cndmask_b32_e64 v54, v55, v54, s[38:39]
	v_lshlrev_b32_e32 v90, 2, v54
	ds_bpermute_b32 v69, v90, v68
	global_load_dwordx4 v[58:61], v[52:53], off
	global_load_dwordx4 v[54:57], v[52:53], off offset:16
	v_lshl_add_u64 v[52:53], v[64:65], 0, v[62:63]
	s_waitcnt lgkmcnt(0)
	v_max_f32_e32 v62, v69, v69
	v_max_f32_e32 v88, v68, v62
	v_sub_f32_e32 v50, v50, v88
	v_mul_f32_e32 v50, 0x3fb8aa3b, v50
	v_exp_f32_e32 v68, v50
	v_sub_f32_e32 v50, v51, v88
	v_mul_f32_e32 v50, 0x3fb8aa3b, v50
	v_exp_f32_e32 v69, v50
	global_load_dwordx4 v[62:65], v[52:53], off
	s_nop 0
	global_load_dwordx4 v[50:53], v[52:53], off offset:16
	v_sub_f32_e32 v82, v82, v88
	v_mul_f32_e32 v82, 0x3fb8aa3b, v82
	v_sub_f32_e32 v83, v83, v88
	v_exp_f32_e32 v82, v82
	v_mul_f32_e32 v83, 0x3fb8aa3b, v83
	v_sub_f32_e32 v70, v70, v88
	v_exp_f32_e32 v83, v83
	v_mul_f32_e32 v70, 0x3fb8aa3b, v70
	v_sub_f32_e32 v71, v71, v88
	v_cndmask_b32_e64 v68, 0, v68, s[28:29]
	v_exp_f32_e32 v70, v70
	v_mul_f32_e32 v71, 0x3fb8aa3b, v71
	v_sub_f32_e32 v84, v84, v88
	v_add_f32_e32 v91, 0, v68
	v_cndmask_b32_e64 v69, 0, v69, s[30:31]
	v_exp_f32_e32 v71, v71
	v_mul_f32_e32 v84, 0x3fb8aa3b, v84
	v_sub_f32_e32 v85, v85, v88
	v_add_f32_e32 v91, v91, v69
	;; [unrolled: 5-line block ×10, first 2 shown]
	v_cndmask_b32_e64 v80, 0, v80, s[10:11]
	v_exp_f32_e32 v66, v66
	v_mul_f32_e32 v67, 0x3fb8aa3b, v67
	v_add_f32_e32 v91, v91, v80
	v_cndmask_b32_e64 v81, 0, v81, s[12:13]
	v_exp_f32_e32 v67, v67
	v_add_f32_e32 v91, v91, v81
	v_cndmask_b32_e64 v72, 0, v72, s[6:7]
	v_add_f32_e32 v91, v91, v72
	v_cndmask_b32_e64 v73, 0, v73, s[8:9]
	v_add_f32_e32 v91, v91, v73
	v_cndmask_b32_e32 v66, 0, v66, vcc
	v_add_f32_e32 v91, v91, v66
	v_cndmask_b32_e64 v67, 0, v67, s[4:5]
	v_add_f32_e32 v91, v91, v67
	ds_bpermute_b32 v89, v89, v91
	v_cmp_gt_u32_e64 s[4:5], 16, v77
	s_waitcnt lgkmcnt(0)
	s_barrier
	v_add_f32_e32 v89, v91, v89
	ds_bpermute_b32 v90, v90, v89
	s_and_saveexec_b64 s[6:7], s[4:5]
	s_cbranch_execz .LBB720_15
; %bb.14:
	s_waitcnt lgkmcnt(0)
	v_add_f32_e32 v77, v89, v90
	v_lshlrev_b32_e32 v87, 2, v87
	ds_write2st64_b32 v87, v88, v77 offset1:1
.LBB720_15:
	s_or_b64 exec, exec, s[6:7]
	v_lshlrev_b32_e32 v77, 2, v76
	s_load_dword s8, s[0:1], 0x94
	s_waitcnt lgkmcnt(0)
	s_barrier
	ds_read2_b32 v[88:89], v77 offset1:16
	ds_read2_b32 v[90:91], v77 offset0:32 offset1:48
	ds_read2_b32 v[92:93], v77 offset0:64 offset1:80
	;; [unrolled: 1-line block ×3, first 2 shown]
	s_movk_i32 s10, 0x7fff
	s_waitcnt lgkmcnt(3)
	v_max3_f32 v87, v88, s41, v89
	s_waitcnt lgkmcnt(2)
	v_max3_f32 v87, v87, v90, v91
	v_sub_f32_e32 v88, v88, v87
	v_mul_f32_e32 v88, 0x3fb8aa3b, v88
	v_exp_f32_e32 v86, v88
	v_sub_f32_e32 v88, v89, v87
	v_mul_f32_e32 v88, 0x3fb8aa3b, v88
	v_exp_f32_e32 v89, v88
	v_sub_f32_e32 v88, v90, v87
	v_mul_f32_e32 v88, 0x3fb8aa3b, v88
	v_sub_f32_e32 v77, v91, v87
	v_exp_f32_e32 v90, v88
	v_mul_f32_e32 v77, 0x3fb8aa3b, v77
	v_exp_f32_e32 v77, v77
	s_waitcnt lgkmcnt(1)
	v_fma_f32 v88, v86, v92, 0
	v_fmac_f32_e32 v88, v89, v93
	s_waitcnt lgkmcnt(0)
	v_fmac_f32_e32 v88, v90, v94
	v_fmac_f32_e32 v88, v77, v95
	v_add_f32_e32 v91, 0x358637bd, v88
	v_div_scale_f32 v92, s[6:7], v91, v91, 1.0
	v_rcp_f32_e32 v93, v92
	s_mov_b32 s11, 0x7060302
	s_barrier
	v_fma_f32 v94, -v92, v93, 1.0
	v_fmac_f32_e32 v93, v94, v93
	v_div_scale_f32 v94, vcc, 1.0, v91, 1.0
	v_mul_f32_e32 v95, v94, v93
	v_fma_f32 v1, -v92, v95, v94
	v_fmac_f32_e32 v95, v1, v93
	v_fma_f32 v1, -v92, v95, v94
	v_div_fmas_f32 v1, v1, v93, v95
	v_div_fixup_f32 v1, v1, v91, 1.0
	v_lshrrev_b32_e32 v91, 6, v0
	v_cmp_eq_u32_e32 vcc, 1, v91
	s_mul_i32 s9, s27, 13
	s_nop 0
	v_cndmask_b32_e32 v86, v86, v89, vcc
	v_cmp_eq_u32_e32 vcc, 2, v91
	s_nop 1
	v_cndmask_b32_e32 v86, v86, v90, vcc
	v_cmp_eq_u32_e32 vcc, 3, v91
	s_nop 1
	v_cndmask_b32_e32 v77, v86, v77, vcc
	v_mul_f32_e32 v90, v77, v1
	v_pk_mul_f32 v[68:69], v[90:91], v[68:69] op_sel_hi:[0,1]
	v_bfe_u32 v1, v69, 16, 1
	v_bfe_u32 v77, v68, 16, 1
	v_pk_mul_f32 v[82:83], v[90:91], v[82:83] op_sel_hi:[0,1]
	v_add3_u32 v68, v68, v77, s10
	v_add3_u32 v1, v69, v1, s10
	v_perm_b32 v92, v1, v68, s11
	v_bfe_u32 v1, v83, 16, 1
	v_bfe_u32 v68, v82, 16, 1
	v_add3_u32 v68, v82, v68, s10
	v_add3_u32 v1, v83, v1, s10
	v_bfe_u32 v86, v0, 4, 2
	v_perm_b32 v93, v1, v68, s11
	v_lshlrev_b32_e32 v1, 3, v86
	v_lshlrev_b32_e32 v68, 5, v76
	;; [unrolled: 1-line block ×3, first 2 shown]
	v_pk_mul_f32 v[70:71], v[90:91], v[70:71] op_sel_hi:[0,1]
	v_or3_b32 v1, v69, v68, v1
	v_bfe_u32 v69, v71, 16, 1
	v_bfe_u32 v77, v70, 16, 1
	v_pk_mul_f32 v[82:83], v[90:91], v[84:85] op_sel_hi:[0,1]
	v_add3_u32 v70, v70, v77, s10
	v_add3_u32 v69, v71, v69, s10
	v_perm_b32 v70, v69, v70, s11
	v_bfe_u32 v69, v83, 16, 1
	v_bfe_u32 v71, v82, 16, 1
	v_add3_u32 v71, v82, v71, s10
	v_add3_u32 v69, v83, v69, s10
	v_pk_mul_f32 v[78:79], v[90:91], v[78:79] op_sel_hi:[0,1]
	v_perm_b32 v71, v69, v71, s11
	v_bfe_u32 v69, v79, 16, 1
	v_bfe_u32 v77, v78, 16, 1
	ds_write2st64_b64 v1, v[92:93], v[70:71] offset1:1
	v_pk_mul_f32 v[70:71], v[90:91], v[80:81] op_sel_hi:[0,1]
	v_add3_u32 v77, v78, v77, s10
	v_add3_u32 v69, v79, v69, s10
	v_perm_b32 v78, v69, v77, s11
	v_bfe_u32 v69, v71, 16, 1
	v_bfe_u32 v77, v70, 16, 1
	v_add3_u32 v70, v70, v77, s10
	v_add3_u32 v69, v71, v69, s10
	v_perm_b32 v79, v69, v70, s11
	v_pk_mul_f32 v[70:71], v[90:91], v[72:73] op_sel_hi:[0,1]
	v_bfe_u32 v69, v71, 16, 1
	v_bfe_u32 v72, v70, 16, 1
	v_pk_mul_f32 v[66:67], v[90:91], v[66:67] op_sel_hi:[0,1]
	v_add3_u32 v70, v70, v72, s10
	v_add3_u32 v69, v71, v69, s10
	v_perm_b32 v70, v69, v70, s11
	v_bfe_u32 v69, v67, 16, 1
	v_bfe_u32 v71, v66, 16, 1
	v_add3_u32 v66, v66, v71, s10
	v_add3_u32 v67, v67, v69, s10
	v_perm_b32 v71, v67, v66, s11
	v_cmp_gt_u32_e32 vcc, 13, v0
	ds_write2st64_b64 v1, v[78:79], v[70:71] offset0:2 offset1:3
	s_and_saveexec_b64 s[6:7], vcc
	s_cbranch_execz .LBB720_17
; %bb.16:
	s_mov_b32 s41, 0
	v_mov_b32_e32 v77, 0
	v_lshl_add_u64 v[66:67], s[40:41], 0, v[76:77]
	v_mov_b32_e32 v69, s9
	v_mad_u64_u32 v[66:67], s[16:17], s2, v69, v[66:67]
	s_mul_i32 s3, s3, s9
	v_mov_b32_e32 v70, s26
	v_mov_b32_e32 v71, v77
	s_load_dwordx4 s[12:15], s[0:1], 0x58
	v_add_u32_e32 v69, s3, v67
	v_mad_u64_u32 v[66:67], s[16:17], v66, s8, v[70:71]
	v_mov_b32_e32 v70, v67
	v_mad_u64_u32 v[70:71], s[16:17], v69, s8, v[70:71]
	v_mov_b32_e32 v67, v70
	v_lshlrev_b64 v[66:67], 2, v[66:67]
	s_waitcnt lgkmcnt(0)
	v_lshl_add_u64 v[70:71], s[14:15], 0, v[66:67]
	v_lshl_add_u64 v[66:67], s[12:13], 0, v[66:67]
	global_store_dword v[70:71], v87, off
	global_store_dword v[66:67], v88, off
.LBB720_17:
	s_or_b64 exec, exec, s[6:7]
	v_lshl_or_b32 v77, v86, 9, v68
	s_waitcnt lgkmcnt(0)
	s_barrier
	ds_read_b128 v[70:73], v77
	ds_read_b128 v[66:69], v77 offset:16
	s_waitcnt vmcnt(15) lgkmcnt(1)
	v_mfma_f32_16x16x16_bf16 v[78:81], v[30:31], v[70:71], 0
	s_mov_b32 s3, 0
	v_cmp_gt_u32_e32 vcc, 64, v0
	v_mfma_f32_16x16x16_bf16 v[30:33], v[32:33], v[72:73], v[78:81]
	s_waitcnt vmcnt(14) lgkmcnt(0)
	v_mfma_f32_16x16x16_bf16 v[30:33], v[26:27], v[66:67], v[30:33]
	v_mfma_f32_16x16x16_bf16 v[26:29], v[28:29], v[68:69], v[30:33]
	s_nop 5
	ds_read_b128 v[30:33], v77 offset:2048
	ds_read_b128 v[78:81], v77 offset:2064
	s_waitcnt vmcnt(13) lgkmcnt(1)
	v_mfma_f32_16x16x16_bf16 v[26:29], v[22:23], v[30:31], v[26:29]
	v_mfma_f32_16x16x16_bf16 v[22:25], v[24:25], v[32:33], v[26:29]
	s_waitcnt vmcnt(12) lgkmcnt(0)
	v_mfma_f32_16x16x16_bf16 v[22:25], v[18:19], v[78:79], v[22:25]
	v_mfma_f32_16x16x16_bf16 v[18:21], v[20:21], v[80:81], v[22:25]
	s_nop 5
	ds_read_b128 v[22:25], v77 offset:4096
	ds_read_b128 v[26:29], v77 offset:4112
	s_waitcnt vmcnt(11) lgkmcnt(1)
	v_mfma_f32_16x16x16_bf16 v[18:21], v[14:15], v[22:23], v[18:21]
	v_mfma_f32_16x16x16_bf16 v[14:17], v[16:17], v[24:25], v[18:21]
	s_waitcnt vmcnt(10) lgkmcnt(0)
	v_mfma_f32_16x16x16_bf16 v[14:17], v[10:11], v[26:27], v[14:17]
	v_mfma_f32_16x16x16_bf16 v[10:13], v[12:13], v[28:29], v[14:17]
	s_nop 5
	ds_read_b128 v[14:17], v77 offset:6144
	ds_read_b128 v[18:21], v77 offset:6160
	s_waitcnt lgkmcnt(0)
	s_barrier
	s_waitcnt vmcnt(9)
	v_mfma_f32_16x16x16_bf16 v[10:13], v[6:7], v[14:15], v[10:13]
	v_mfma_f32_16x16x16_bf16 v[6:9], v[8:9], v[16:17], v[10:13]
	s_waitcnt vmcnt(8)
	v_mfma_f32_16x16x16_bf16 v[6:9], v[2:3], v[18:19], v[6:9]
	v_mfma_f32_16x16x16_bf16 v[2:5], v[4:5], v[20:21], v[6:9]
	;; [unrolled: 3-line block ×3, first 2 shown]
	s_nop 3
	v_bfe_u32 v10, v3, 16, 1
	v_bfe_u32 v11, v2, 16, 1
	v_add3_u32 v2, v2, v11, s10
	s_waitcnt vmcnt(6)
	v_mfma_f32_16x16x16_bf16 v[6:9], v[38:39], v[66:67], v[6:9]
	v_add3_u32 v3, v3, v10, s10
	v_perm_b32 v10, v3, v2, s11
	v_bfe_u32 v2, v5, 16, 1
	v_mfma_f32_16x16x16_bf16 v[6:9], v[40:41], v[68:69], v[6:9]
	v_bfe_u32 v3, v4, 16, 1
	v_add3_u32 v3, v4, v3, s10
	v_add3_u32 v2, v5, v2, s10
	s_waitcnt vmcnt(5)
	v_mfma_f32_16x16x16_bf16 v[6:9], v[42:43], v[30:31], v[6:9]
	v_perm_b32 v11, v2, v3, s11
	v_mfma_f32_16x16x16_bf16 v[6:9], v[44:45], v[32:33], v[6:9]
	s_waitcnt vmcnt(4)
	v_mfma_f32_16x16x16_bf16 v[6:9], v[34:35], v[78:79], v[6:9]
	v_mfma_f32_16x16x16_bf16 v[6:9], v[36:37], v[80:81], v[6:9]
	s_waitcnt vmcnt(3)
	v_mfma_f32_16x16x16_bf16 v[6:9], v[58:59], v[22:23], v[6:9]
	v_mfma_f32_16x16x16_bf16 v[6:9], v[60:61], v[24:25], v[6:9]
	s_waitcnt vmcnt(2)
	v_mfma_f32_16x16x16_bf16 v[6:9], v[54:55], v[26:27], v[6:9]
	v_mfma_f32_16x16x16_bf16 v[6:9], v[56:57], v[28:29], v[6:9]
	s_waitcnt vmcnt(1)
	v_mfma_f32_16x16x16_bf16 v[6:9], v[62:63], v[14:15], v[6:9]
	v_mfma_f32_16x16x16_bf16 v[6:9], v[64:65], v[16:17], v[6:9]
	s_waitcnt vmcnt(0)
	v_mfma_f32_16x16x16_bf16 v[6:9], v[50:51], v[18:19], v[6:9]
	v_mfma_f32_16x16x16_bf16 v[2:5], v[52:53], v[20:21], v[6:9]
	s_nop 6
	v_bfe_u32 v6, v3, 16, 1
	v_bfe_u32 v7, v2, 16, 1
	v_add3_u32 v2, v2, v7, s10
	v_add3_u32 v3, v3, v6, s10
	v_perm_b32 v2, v3, v2, s11
	v_bfe_u32 v3, v5, 16, 1
	v_bfe_u32 v6, v4, 16, 1
	v_add3_u32 v4, v4, v6, s10
	v_add3_u32 v3, v5, v3, s10
	v_perm_b32 v3, v3, v4, s11
	ds_write2st64_b64 v1, v[10:11], v[2:3] offset1:1
	s_waitcnt lgkmcnt(0)
	s_barrier
	s_and_saveexec_b64 s[6:7], vcc
	s_cbranch_execz .LBB720_20
; %bb.18:
	s_load_dwordx2 s[6:7], s[0:1], 0x68
	s_lshl_b32 s0, s8, 7
	s_mul_i32 s1, s9, s2
	v_lshlrev_b32_e32 v3, 6, v76
	s_mul_hi_u32 s9, s1, s0
	s_mul_i32 s8, s1, s0
	v_lshlrev_b32_e32 v2, 4, v0
	v_lshl_or_b32 v0, v0, 10, v3
	s_lshl_b64 s[8:9], s[8:9], 1
	v_lshlrev_b32_e32 v1, 5, v86
	v_and_b32_e32 v2, 16, v2
	v_and_b32_e32 v0, 0x1a00, v0
	s_waitcnt lgkmcnt(0)
	s_add_u32 s1, s6, s8
	v_or3_b32 v2, v0, v1, v2
	s_addc_u32 s6, s7, s9
	s_lshl_b32 s2, s26, 7
	ds_read_b128 v[4:7], v2 offset:256
	s_lshl_b64 s[2:3], s[2:3], 1
	ds_read_b128 v[8:11], v2 offset:128
	ds_read_b128 v[12:15], v2
	s_add_u32 s2, s1, s2
	s_addc_u32 s3, s6, s3
	v_add_u32_e32 v3, s40, v86
	v_lshl_add_u64 v[0:1], v[74:75], 1, s[2:3]
	v_mad_u64_u32 v[16:17], s[2:3], v3, s0, 0
	v_lshl_add_u64 v[16:17], v[16:17], 1, v[0:1]
	s_waitcnt lgkmcnt(0)
	global_store_dwordx4 v[16:17], v[12:15], off
	s_nop 1
	v_add_u32_e32 v12, 4, v3
	v_mad_u64_u32 v[12:13], s[2:3], v12, s0, 0
	v_lshl_add_u64 v[12:13], v[12:13], 1, v[0:1]
	v_add_u32_e32 v3, 8, v3
	global_store_dwordx4 v[12:13], v[8:11], off
	s_nop 1
	v_mad_u64_u32 v[8:9], s[2:3], v3, s0, 0
	v_lshl_add_u64 v[8:9], v[8:9], 1, v[0:1]
	global_store_dwordx4 v[8:9], v[4:7], off
	s_and_b64 exec, exec, s[4:5]
	s_cbranch_execz .LBB720_20
; %bb.19:
	ds_read_b128 v[2:5], v2 offset:384
	v_add3_u32 v6, s40, v86, 12
	v_mad_u64_u32 v[6:7], s[0:1], v6, s0, 0
	v_lshl_add_u64 v[0:1], v[6:7], 1, v[0:1]
	s_waitcnt lgkmcnt(0)
	global_store_dwordx4 v[0:1], v[2:5], off
.LBB720_20:
	s_endpgm
	.section	.rodata,"a",@progbits
	.p2align	6, 0x0
	.amdhsa_kernel _Z39paged_attention_ll4mi_QKV_mfma16_kernelI14__hip_bfloat16S0_LN4vllm18Fp8KVCacheDataTypeE0EhLi32ELi128ELi256ELb0ELi13EEvPKT_PKT0_S8_ifPKiSA_SA_iPKfiiiPfSD_PS3_PT2_iSC_SC_
		.amdhsa_group_segment_fixed_size 8192
		.amdhsa_private_segment_fixed_size 0
		.amdhsa_kernarg_size 400
		.amdhsa_user_sgpr_count 2
		.amdhsa_user_sgpr_dispatch_ptr 0
		.amdhsa_user_sgpr_queue_ptr 0
		.amdhsa_user_sgpr_kernarg_segment_ptr 1
		.amdhsa_user_sgpr_dispatch_id 0
		.amdhsa_user_sgpr_kernarg_preload_length 0
		.amdhsa_user_sgpr_kernarg_preload_offset 0
		.amdhsa_user_sgpr_private_segment_size 0
		.amdhsa_uses_dynamic_stack 0
		.amdhsa_enable_private_segment 0
		.amdhsa_system_sgpr_workgroup_id_x 1
		.amdhsa_system_sgpr_workgroup_id_y 1
		.amdhsa_system_sgpr_workgroup_id_z 1
		.amdhsa_system_sgpr_workgroup_info 0
		.amdhsa_system_vgpr_workitem_id 0
		.amdhsa_next_free_vgpr 96
		.amdhsa_next_free_sgpr 42
		.amdhsa_accum_offset 96
		.amdhsa_reserve_vcc 1
		.amdhsa_float_round_mode_32 0
		.amdhsa_float_round_mode_16_64 0
		.amdhsa_float_denorm_mode_32 3
		.amdhsa_float_denorm_mode_16_64 3
		.amdhsa_dx10_clamp 1
		.amdhsa_ieee_mode 1
		.amdhsa_fp16_overflow 0
		.amdhsa_tg_split 0
		.amdhsa_exception_fp_ieee_invalid_op 0
		.amdhsa_exception_fp_denorm_src 0
		.amdhsa_exception_fp_ieee_div_zero 0
		.amdhsa_exception_fp_ieee_overflow 0
		.amdhsa_exception_fp_ieee_underflow 0
		.amdhsa_exception_fp_ieee_inexact 0
		.amdhsa_exception_int_div_zero 0
	.end_amdhsa_kernel
	.section	.text._Z39paged_attention_ll4mi_QKV_mfma16_kernelI14__hip_bfloat16S0_LN4vllm18Fp8KVCacheDataTypeE0EhLi32ELi128ELi256ELb0ELi13EEvPKT_PKT0_S8_ifPKiSA_SA_iPKfiiiPfSD_PS3_PT2_iSC_SC_,"axG",@progbits,_Z39paged_attention_ll4mi_QKV_mfma16_kernelI14__hip_bfloat16S0_LN4vllm18Fp8KVCacheDataTypeE0EhLi32ELi128ELi256ELb0ELi13EEvPKT_PKT0_S8_ifPKiSA_SA_iPKfiiiPfSD_PS3_PT2_iSC_SC_,comdat
.Lfunc_end720:
	.size	_Z39paged_attention_ll4mi_QKV_mfma16_kernelI14__hip_bfloat16S0_LN4vllm18Fp8KVCacheDataTypeE0EhLi32ELi128ELi256ELb0ELi13EEvPKT_PKT0_S8_ifPKiSA_SA_iPKfiiiPfSD_PS3_PT2_iSC_SC_, .Lfunc_end720-_Z39paged_attention_ll4mi_QKV_mfma16_kernelI14__hip_bfloat16S0_LN4vllm18Fp8KVCacheDataTypeE0EhLi32ELi128ELi256ELb0ELi13EEvPKT_PKT0_S8_ifPKiSA_SA_iPKfiiiPfSD_PS3_PT2_iSC_SC_
                                        ; -- End function
	.section	.AMDGPU.csdata,"",@progbits
; Kernel info:
; codeLenInByte = 4928
; NumSgprs: 48
; NumVgprs: 96
; NumAgprs: 0
; TotalNumVgprs: 96
; ScratchSize: 0
; MemoryBound: 0
; FloatMode: 240
; IeeeMode: 1
; LDSByteSize: 8192 bytes/workgroup (compile time only)
; SGPRBlocks: 5
; VGPRBlocks: 11
; NumSGPRsForWavesPerEU: 48
; NumVGPRsForWavesPerEU: 96
; AccumOffset: 96
; Occupancy: 5
; WaveLimiterHint : 1
; COMPUTE_PGM_RSRC2:SCRATCH_EN: 0
; COMPUTE_PGM_RSRC2:USER_SGPR: 2
; COMPUTE_PGM_RSRC2:TRAP_HANDLER: 0
; COMPUTE_PGM_RSRC2:TGID_X_EN: 1
; COMPUTE_PGM_RSRC2:TGID_Y_EN: 1
; COMPUTE_PGM_RSRC2:TGID_Z_EN: 1
; COMPUTE_PGM_RSRC2:TIDIG_COMP_CNT: 0
; COMPUTE_PGM_RSRC3_GFX90A:ACCUM_OFFSET: 23
; COMPUTE_PGM_RSRC3_GFX90A:TG_SPLIT: 0
	.section	.text._Z39paged_attention_ll4mi_QKV_mfma16_kernelI14__hip_bfloat16S0_LN4vllm18Fp8KVCacheDataTypeE0EhLi32ELi128ELi256ELb0ELi14EEvPKT_PKT0_S8_ifPKiSA_SA_iPKfiiiPfSD_PS3_PT2_iSC_SC_,"axG",@progbits,_Z39paged_attention_ll4mi_QKV_mfma16_kernelI14__hip_bfloat16S0_LN4vllm18Fp8KVCacheDataTypeE0EhLi32ELi128ELi256ELb0ELi14EEvPKT_PKT0_S8_ifPKiSA_SA_iPKfiiiPfSD_PS3_PT2_iSC_SC_,comdat
	.protected	_Z39paged_attention_ll4mi_QKV_mfma16_kernelI14__hip_bfloat16S0_LN4vllm18Fp8KVCacheDataTypeE0EhLi32ELi128ELi256ELb0ELi14EEvPKT_PKT0_S8_ifPKiSA_SA_iPKfiiiPfSD_PS3_PT2_iSC_SC_ ; -- Begin function _Z39paged_attention_ll4mi_QKV_mfma16_kernelI14__hip_bfloat16S0_LN4vllm18Fp8KVCacheDataTypeE0EhLi32ELi128ELi256ELb0ELi14EEvPKT_PKT0_S8_ifPKiSA_SA_iPKfiiiPfSD_PS3_PT2_iSC_SC_
	.globl	_Z39paged_attention_ll4mi_QKV_mfma16_kernelI14__hip_bfloat16S0_LN4vllm18Fp8KVCacheDataTypeE0EhLi32ELi128ELi256ELb0ELi14EEvPKT_PKT0_S8_ifPKiSA_SA_iPKfiiiPfSD_PS3_PT2_iSC_SC_
	.p2align	8
	.type	_Z39paged_attention_ll4mi_QKV_mfma16_kernelI14__hip_bfloat16S0_LN4vllm18Fp8KVCacheDataTypeE0EhLi32ELi128ELi256ELb0ELi14EEvPKT_PKT0_S8_ifPKiSA_SA_iPKfiiiPfSD_PS3_PT2_iSC_SC_,@function
_Z39paged_attention_ll4mi_QKV_mfma16_kernelI14__hip_bfloat16S0_LN4vllm18Fp8KVCacheDataTypeE0EhLi32ELi128ELi256ELb0ELi14EEvPKT_PKT0_S8_ifPKiSA_SA_iPKfiiiPfSD_PS3_PT2_iSC_SC_: ; @_Z39paged_attention_ll4mi_QKV_mfma16_kernelI14__hip_bfloat16S0_LN4vllm18Fp8KVCacheDataTypeE0EhLi32ELi128ELi256ELb0ELi14EEvPKT_PKT0_S8_ifPKiSA_SA_iPKfiiiPfSD_PS3_PT2_iSC_SC_
; %bb.0:
	s_load_dwordx2 s[8:9], s[0:1], 0x30
	s_mov_b32 s26, s3
	s_mov_b64 s[6:7], 0
	s_waitcnt lgkmcnt(0)
	s_cmp_lg_u64 s[8:9], 0
	s_cselect_b64 s[10:11], -1, 0
	s_and_b64 vcc, exec, s[10:11]
	s_cbranch_vccz .LBB721_7
; %bb.1:
	s_add_i32 s12, s2, 1
	s_mov_b32 s13, 0
	s_lshl_b64 s[14:15], s[12:13], 2
	s_add_u32 s14, s8, s14
	s_mov_b32 s3, s13
	s_addc_u32 s15, s9, s15
	s_lshl_b64 s[12:13], s[2:3], 2
	s_add_u32 s12, s8, s12
	s_addc_u32 s13, s9, s13
	s_load_dword s5, s[14:15], 0x0
	s_load_dword s16, s[12:13], 0x0
	s_waitcnt lgkmcnt(0)
	s_sub_i32 s5, s5, s16
	s_cmp_eq_u32 s5, 1
	s_cselect_b64 s[12:13], -1, 0
	s_andn2_b64 vcc, exec, s[6:7]
	s_cbranch_vccnz .LBB721_3
.LBB721_2:
	s_mov_b32 s3, 0
	s_mov_b64 s[12:13], -1
.LBB721_3:
	s_andn2_b64 vcc, exec, s[12:13]
	s_cbranch_vccnz .LBB721_20
; %bb.4:
	s_load_dwordx2 s[6:7], s[0:1], 0x28
	s_lshl_b64 s[12:13], s[2:3], 2
	s_waitcnt lgkmcnt(0)
	s_add_u32 s6, s6, s12
	s_addc_u32 s7, s7, s13
	s_load_dword s33, s[6:7], 0x0
	s_lshl_b32 s18, s26, 8
	s_waitcnt lgkmcnt(0)
	s_cmp_ge_i32 s18, s33
	s_cbranch_scc1 .LBB721_20
; %bb.5:
	s_load_dwordx2 s[6:7], s[0:1], 0x20
	s_load_dword s5, s[0:1], 0x38
	s_add_i32 s14, s33, 31
	s_ashr_i32 s15, s14, 31
	v_and_b32_e32 v1, 0xcf, v0
	s_lshr_b32 s15, s15, 27
	v_add_u32_e32 v1, s18, v1
	s_add_i32 s14, s14, s15
	v_ashrrev_i32_e32 v2, 31, v1
	s_ashr_i32 s19, s14, 5
	v_lshrrev_b32_e32 v4, 27, v2
	s_add_i32 s19, s19, -1
	s_waitcnt lgkmcnt(0)
	s_mul_i32 s14, s2, s5
	s_mov_b32 s15, 0
	v_add_u32_e32 v2, v1, v4
	s_lshl_b64 s[14:15], s[14:15], 2
	v_ashrrev_i32_e32 v2, 5, v2
	v_mov_b32_e32 v5, s19
	v_cmp_gt_i32_e32 vcc, s33, v1
	s_add_u32 s6, s6, s14
	s_addc_u32 s7, s7, s15
	v_cndmask_b32_e32 v2, v5, v2, vcc
	v_ashrrev_i32_e32 v3, 31, v2
	v_lshl_add_u64 v[6:7], v[2:3], 2, s[6:7]
	v_or_b32_e32 v2, 16, v1
	v_add_u32_e32 v3, v2, v4
	v_ashrrev_i32_e32 v3, 5, v3
	v_cmp_gt_i32_e32 vcc, s33, v2
	s_nop 1
	v_cndmask_b32_e32 v2, v5, v3, vcc
	v_ashrrev_i32_e32 v3, 31, v2
	v_lshl_add_u64 v[8:9], v[2:3], 2, s[6:7]
	v_or_b32_e32 v2, 32, v1
	v_add_u32_e32 v3, v2, v4
	v_ashrrev_i32_e32 v3, 5, v3
	v_cmp_gt_i32_e32 vcc, s33, v2
	v_or_b32_e32 v1, 48, v1
	s_nop 0
	v_cndmask_b32_e32 v2, v5, v3, vcc
	v_ashrrev_i32_e32 v3, 31, v2
	v_lshl_add_u64 v[10:11], v[2:3], 2, s[6:7]
	v_add_u32_e32 v2, v1, v4
	v_ashrrev_i32_e32 v2, 5, v2
	v_cmp_gt_i32_e32 vcc, s33, v1
	s_nop 1
	v_cndmask_b32_e32 v2, v5, v2, vcc
	v_ashrrev_i32_e32 v3, 31, v2
	v_lshl_add_u64 v[12:13], v[2:3], 2, s[6:7]
	global_load_dword v2, v[6:7], off
	global_load_dword v5, v[8:9], off
	;; [unrolled: 1-line block ×4, first 2 shown]
	s_andn2_b64 vcc, exec, s[10:11]
	s_cbranch_vccnz .LBB721_8
; %bb.6:
	s_add_u32 s8, s8, s12
	s_addc_u32 s9, s9, s13
	s_load_dword s5, s[8:9], 0x0
	s_branch .LBB721_9
.LBB721_7:
	s_mov_b64 s[12:13], 0
	s_branch .LBB721_2
.LBB721_8:
	s_mov_b32 s5, s2
.LBB721_9:
	s_load_dwordx4 s[12:15], s[0:1], 0x8
	s_load_dwordx4 s[8:11], s[0:1], 0x48
	v_lshrrev_b32_e32 v86, 6, v0
	v_bfe_u32 v1, v0, 4, 2
	v_lshl_or_b32 v3, v86, 2, v1
	v_and_b32_e32 v76, 15, v0
	v_lshlrev_b32_e32 v74, 3, v76
	v_cmp_lt_u32_e32 vcc, 13, v3
	s_and_saveexec_b64 s[16:17], vcc
	s_xor_b64 s[16:17], exec, s[16:17]
; %bb.10:
	v_mov_b32_e32 v75, 0
                                        ; implicit-def: $vgpr3
; %bb.11:
	s_or_saveexec_b64 s[16:17], s[16:17]
	v_and_b32_e32 v77, 63, v0
	s_mul_i32 s40, s4, 14
	s_xor_b64 exec, exec, s[16:17]
	s_cbranch_execz .LBB721_13
; %bb.12:
	s_load_dwordx2 s[20:21], s[0:1], 0x0
	s_waitcnt lgkmcnt(0)
	s_ashr_i32 s11, s8, 31
	s_mul_hi_u32 s22, s5, s8
	s_mul_i32 s11, s5, s11
	s_add_i32 s23, s22, s11
	s_mul_i32 s22, s5, s8
	s_lshl_b64 s[22:23], s[22:23], 1
	s_add_u32 s20, s20, s22
	v_add_lshl_u32 v6, v3, s40, 7
	s_addc_u32 s21, s21, s23
	v_ashrrev_i32_e32 v7, 31, v6
	v_mov_b32_e32 v75, 0
	v_lshl_add_u64 v[6:7], v[6:7], 1, s[20:21]
	v_lshlrev_b32_e32 v8, 1, v74
	v_mov_b32_e32 v9, v75
	v_lshl_add_u64 v[6:7], v[6:7], 0, v[8:9]
	global_load_dwordx4 v[6:9], v[6:7], off
	v_and_b32_e32 v10, 3, v0
	v_lshlrev_b32_e32 v11, 9, v76
	v_lshlrev_b32_e32 v3, 5, v3
	;; [unrolled: 1-line block ×3, first 2 shown]
	v_and_b32_e32 v11, 0x1800, v11
	v_or3_b32 v3, v11, v10, v3
	s_waitcnt vmcnt(0)
	ds_write_b128 v3, v[6:9]
.LBB721_13:
	s_or_b64 exec, exec, s[16:17]
	s_waitcnt lgkmcnt(0)
	s_mul_i32 s4, s4, s10
	s_mov_b32 s5, 0
	s_lshl_b64 s[4:5], s[4:5], 1
	s_add_u32 s10, s12, s4
	s_addc_u32 s11, s13, s5
	s_waitcnt vmcnt(3)
	v_mad_i64_i32 v[2:3], s[12:13], v2, s9, 0
	v_lshl_add_u64 v[6:7], v[2:3], 1, s[10:11]
	v_lshlrev_b64 v[2:3], 1, v[74:75]
	v_lshlrev_b32_e32 v50, 9, v1
	v_lshl_add_u64 v[6:7], v[6:7], 0, v[2:3]
	v_mov_b32_e32 v51, 0
	v_lshl_add_u64 v[8:9], v[6:7], 0, v[50:51]
	s_load_dword s27, s[0:1], 0x98
	s_load_dword s8, s[0:1], 0x1c
	s_waitcnt lgkmcnt(0)
	s_barrier
	global_load_dwordx4 v[38:41], v[8:9], off
	s_waitcnt vmcnt(3)
	v_mad_i64_i32 v[10:11], s[12:13], v5, s9, 0
	v_mov_b32_e32 v5, 0x100
	v_lshl_add_u64 v[10:11], v[10:11], 1, s[10:11]
	v_lshl_or_b32 v54, v76, 4, v5
	v_mov_b32_e32 v55, v51
	v_lshl_add_u64 v[22:23], v[10:11], 0, v[54:55]
	v_lshl_add_u64 v[10:11], v[22:23], 0, v[50:51]
	global_load_dwordx4 v[42:45], v[10:11], off
	global_load_dwordx4 v[18:21], v[8:9], off offset:2048
	global_load_dwordx4 v[26:29], v[10:11], off offset:2048
	v_or_b32_e32 v56, 0x1000, v50
	v_mov_b32_e32 v57, v51
	v_or_b32_e32 v52, 0x1800, v50
	v_mov_b32_e32 v53, v51
	v_lshl_add_u64 v[8:9], v[6:7], 0, v[56:57]
	v_lshl_add_u64 v[6:7], v[6:7], 0, v[52:53]
	global_load_dwordx4 v[14:17], v[8:9], off
	global_load_dwordx4 v[10:13], v[6:7], off
	v_lshl_add_u64 v[8:9], v[22:23], 0, v[56:57]
	global_load_dwordx4 v[30:33], v[8:9], off
	s_waitcnt vmcnt(8)
	v_mad_i64_i32 v[4:5], s[12:13], v4, s9, 0
	v_lshl_add_u64 v[4:5], v[4:5], 1, s[10:11]
	v_lshl_add_u64 v[60:61], v[4:5], 0, v[2:3]
	v_add_u32_e32 v2, -14, v76
	v_cmp_gt_u32_e32 vcc, 14, v76
	v_lshl_add_u64 v[6:7], v[22:23], 0, v[52:53]
	global_load_dwordx4 v[22:25], v[6:7], off
	v_cndmask_b32_e32 v2, v2, v76, vcc
	v_lshl_add_u64 v[58:59], v[60:61], 0, v[50:51]
	v_lshl_add_u32 v62, v2, 5, v50
	global_load_dwordx4 v[34:37], v[58:59], off
	ds_read_b128 v[6:9], v62
	ds_read_b128 v[2:5], v62 offset:2048
	s_waitcnt vmcnt(9)
	v_mad_i64_i32 v[72:73], s[12:13], v46, s9, 0
	s_ashr_i32 s12, s18, 31
	v_and_or_b32 v80, v0, 48, s18
	v_or_b32_e32 v84, 64, v80
	v_mov_b32_e32 v81, s19
	v_cmp_gt_i32_e32 vcc, s33, v80
	v_or_b32_e32 v85, 0x80, v80
	v_or_b32_e32 v87, 0xc0, v80
	s_mov_b32 s41, 0xff7fffff
	s_waitcnt vmcnt(7) lgkmcnt(1)
	v_mfma_f32_16x16x16_bf16 v[68:71], v[42:43], v[6:7], 0
	v_mfma_f32_16x16x16_bf16 v[64:67], v[38:39], v[6:7], 0
	;; [unrolled: 1-line block ×3, first 2 shown]
	ds_read_b128 v[46:49], v62 offset:4096
	ds_read_b128 v[38:41], v62 offset:6144
	v_lshl_add_u64 v[62:63], v[72:73], 1, s[10:11]
	v_lshl_add_u64 v[82:83], v[62:63], 0, v[54:55]
	v_mfma_f32_16x16x16_bf16 v[42:45], v[44:45], v[8:9], v[68:71]
	v_lshl_add_u64 v[54:55], v[60:61], 0, v[56:57]
	s_lshr_b32 s10, s12, 27
	v_lshl_add_u64 v[78:79], v[82:83], 0, v[56:57]
	s_waitcnt vmcnt(6) lgkmcnt(2)
	v_mfma_f32_16x16x16_bf16 v[62:65], v[18:19], v[2:3], v[64:67]
	v_add_u32_e32 v68, s10, v80
	v_add_u32_e32 v69, s10, v84
	v_lshl_add_u64 v[70:71], v[82:83], 0, v[50:51]
	v_lshl_add_u64 v[66:67], v[60:61], 0, v[52:53]
	global_load_dwordx4 v[58:61], v[58:59], off offset:2048
	s_waitcnt vmcnt(6)
	v_mfma_f32_16x16x16_bf16 v[42:45], v[26:27], v[2:3], v[42:45]
	v_ashrrev_i32_e32 v50, 5, v68
	v_ashrrev_i32_e32 v56, 5, v69
	v_add_u32_e32 v72, s10, v85
	v_mfma_f32_16x16x16_bf16 v[18:21], v[20:21], v[4:5], v[62:65]
	v_add_u32_e32 v73, s10, v87
	s_add_u32 s4, s14, s4
	s_addc_u32 s5, s15, s5
	v_mfma_f32_16x16x16_bf16 v[26:29], v[28:29], v[4:5], v[42:45]
	v_ashrrev_i32_e32 v62, 5, v72
	v_ashrrev_i32_e32 v72, 5, v73
	s_waitcnt vmcnt(5) lgkmcnt(1)
	v_mfma_f32_16x16x16_bf16 v[18:21], v[14:15], v[46:47], v[18:21]
	global_load_dwordx4 v[42:45], v[54:55], off
	v_cndmask_b32_e32 v14, v81, v50, vcc
	v_cmp_gt_i32_e32 vcc, s33, v84
	s_waitcnt vmcnt(4)
	v_mfma_f32_16x16x16_bf16 v[26:29], v[30:31], v[46:47], v[26:29]
	v_ashrrev_i32_e32 v15, 31, v14
	v_cndmask_b32_e32 v30, v81, v56, vcc
	v_ashrrev_i32_e32 v31, 31, v30
	v_lshl_add_u64 v[14:15], v[14:15], 2, s[6:7]
	v_lshl_add_u64 v[30:31], v[30:31], 2, s[6:7]
	global_load_dword v92, v[14:15], off
	global_load_dword v84, v[30:31], off
	v_mfma_f32_16x16x16_bf16 v[14:17], v[16:17], v[48:49], v[18:21]
	v_cmp_gt_i32_e32 vcc, s33, v85
	s_nop 1
	global_load_dwordx4 v[18:21], v[66:67], off
	s_waitcnt lgkmcnt(0)
	v_mfma_f32_16x16x16_bf16 v[14:17], v[10:11], v[38:39], v[14:17]
	v_cndmask_b32_e32 v10, v81, v62, vcc
	v_ashrrev_i32_e32 v11, 31, v10
	v_lshl_add_u64 v[10:11], v[10:11], 2, s[6:7]
	v_mfma_f32_16x16x16_bf16 v[66:69], v[12:13], v[40:41], v[14:17]
	global_load_dword v85, v[10:11], off
	global_load_dwordx4 v[62:65], v[70:71], off offset:2048
	v_cmp_gt_i32_e32 vcc, s33, v87
	v_lshl_add_u64 v[14:15], v[82:83], 0, v[52:53]
	global_load_dwordx4 v[88:91], v[14:15], off
	global_load_dwordx4 v[54:57], v[70:71], off
	v_cndmask_b32_e32 v10, v81, v72, vcc
	global_load_dwordx4 v[78:81], v[78:79], off
	v_ashrrev_i32_e32 v11, 31, v10
	v_lshl_add_u64 v[10:11], v[10:11], 2, s[6:7]
	global_load_dword v93, v[10:11], off
	s_waitcnt vmcnt(11)
	v_mfma_f32_16x16x16_bf16 v[10:13], v[34:35], v[6:7], 0
	v_and_b32_e32 v14, 16, v0
	v_lshlrev_b32_e32 v50, 1, v14
	v_lshl_or_b32 v87, v86, 4, v76
	v_mfma_f32_16x16x16_bf16 v[10:13], v[36:37], v[8:9], v[10:13]
	v_lshl_add_u64 v[36:37], s[4:5], 0, v[50:51]
	v_lshlrev_b32_e32 v50, 6, v87
	v_pk_mul_f32 v[82:83], s[8:9], v[68:69] op_sel_hi:[0,1]
	v_mfma_f32_16x16x16_bf16 v[26:29], v[32:33], v[48:49], v[26:29]
	s_waitcnt vmcnt(8)
	v_mad_i64_i32 v[14:15], s[4:5], v92, s9, 0
	v_mfma_f32_16x16x16_bf16 v[10:13], v[58:59], v[2:3], v[10:13]
	v_lshl_add_u64 v[58:59], v[36:37], 0, v[50:51]
	v_or_b32_e32 v50, 0x1000, v50
	v_mfma_f32_16x16x16_bf16 v[10:13], v[60:61], v[4:5], v[10:13]
	v_lshlrev_b64 v[60:61], 1, v[14:15]
	v_lshl_add_u64 v[14:15], v[58:59], 0, v[60:61]
	v_mfma_f32_16x16x16_bf16 v[10:13], v[42:43], v[46:47], v[10:13]
	v_mfma_f32_16x16x16_bf16 v[10:13], v[44:45], v[48:49], v[10:13]
	;; [unrolled: 1-line block ×3, first 2 shown]
	s_waitcnt vmcnt(6)
	v_mfma_f32_16x16x16_bf16 v[10:13], v[18:19], v[38:39], v[10:13]
	v_mfma_f32_16x16x16_bf16 v[70:73], v[24:25], v[40:41], v[26:29]
	global_load_dwordx4 v[30:33], v[14:15], off
	s_nop 2
	global_load_dwordx4 v[26:29], v[14:15], off offset:16
	v_mad_i64_i32 v[14:15], s[4:5], v84, s9, 0
	v_lshlrev_b64 v[34:35], 1, v[14:15]
	v_mfma_f32_16x16x16_bf16 v[42:45], v[20:21], v[40:41], v[10:13]
	v_pk_mul_f32 v[70:71], s[8:9], v[70:71] op_sel_hi:[0,1]
	s_nop 1
	v_lshl_add_u64 v[10:11], v[58:59], 0, v[34:35]
	global_load_dwordx4 v[22:25], v[10:11], off
	global_load_dwordx4 v[18:21], v[10:11], off offset:16
	s_waitcnt vmcnt(6)
	v_mfma_f32_16x16x16_bf16 v[10:13], v[54:55], v[6:7], 0
	v_mad_i64_i32 v[6:7], s[4:5], v85, s9, 0
	v_lshlrev_b64 v[52:53], 1, v[6:7]
	v_mfma_f32_16x16x16_bf16 v[6:9], v[56:57], v[8:9], v[10:13]
	v_pk_mul_f32 v[84:85], s[8:9], v[72:73] op_sel_hi:[0,1]
	v_mfma_f32_16x16x16_bf16 v[6:9], v[62:63], v[2:3], v[6:9]
	s_waitcnt vmcnt(4)
	v_mad_i64_i32 v[2:3], s[4:5], v93, s9, 0
	v_lshlrev_b64 v[62:63], 1, v[2:3]
	v_mfma_f32_16x16x16_bf16 v[54:57], v[64:65], v[4:5], v[6:9]
	v_lshl_add_u64 v[64:65], v[36:37], 0, v[50:51]
	v_pk_mul_f32 v[50:51], s[8:9], v[66:67] op_sel_hi:[0,1]
	v_lshl_add_u64 v[10:11], v[58:59], 0, v[52:53]
	v_mfma_f32_16x16x16_bf16 v[54:57], v[78:79], v[46:47], v[54:57]
	v_pk_mul_f32 v[78:79], s[8:9], v[42:43] op_sel_hi:[0,1]
	v_lshl_add_u64 v[2:3], v[58:59], 0, v[62:63]
	v_lshl_add_u64 v[58:59], v[64:65], 0, v[60:61]
	v_mfma_f32_16x16x16_bf16 v[46:49], v[80:81], v[48:49], v[54:57]
	v_pk_mul_f32 v[80:81], s[8:9], v[44:45] op_sel_hi:[0,1]
	v_lshl_add_u64 v[34:35], v[64:65], 0, v[34:35]
	v_lshl_add_u64 v[52:53], v[64:65], 0, v[52:53]
	v_mfma_f32_16x16x16_bf16 v[36:39], v[88:89], v[38:39], v[46:49]
	global_load_dwordx4 v[14:17], v[10:11], off
	s_nop 0
	global_load_dwordx4 v[10:13], v[10:11], off offset:16
	s_nop 0
	global_load_dwordx4 v[6:9], v[2:3], off
	s_nop 0
	global_load_dwordx4 v[2:5], v[2:3], off offset:16
	v_mfma_f32_16x16x16_bf16 v[36:39], v[90:91], v[40:41], v[36:39]
	s_nop 6
	v_pk_mul_f32 v[72:73], s[8:9], v[36:37] op_sel_hi:[0,1]
	v_and_b32_e32 v36, 0xc0, v0
	v_add_u32_e32 v36, s18, v36
	v_lshl_or_b32 v36, v1, 2, v36
	v_pk_mul_f32 v[66:67], s[8:9], v[38:39] op_sel_hi:[0,1]
	v_or_b32_e32 v39, 1, v36
	v_mov_b32_e32 v37, 0xff7fffff
	v_cmp_gt_i32_e64 s[28:29], s33, v36
	v_cmp_gt_i32_e64 s[30:31], s33, v39
	v_or_b32_e32 v40, 3, v36
	v_cndmask_b32_e64 v38, v37, v50, s[28:29]
	v_cndmask_b32_e64 v39, v37, v51, s[30:31]
	v_max3_f32 v38, v38, s41, v39
	v_or_b32_e32 v39, 2, v36
	v_cmp_gt_i32_e64 s[34:35], s33, v39
	v_cmp_gt_i32_e64 s[36:37], s33, v40
	s_nop 0
	v_cndmask_b32_e64 v39, v37, v82, s[34:35]
	v_cndmask_b32_e64 v40, v37, v83, s[36:37]
	v_max3_f32 v38, v38, v39, v40
	v_or_b32_e32 v39, 16, v36
	v_or_b32_e32 v40, 17, v36
	v_cmp_gt_i32_e64 s[22:23], s33, v39
	v_cmp_gt_i32_e64 s[24:25], s33, v40
	s_nop 0
	v_cndmask_b32_e64 v39, v37, v70, s[22:23]
	v_cndmask_b32_e64 v40, v37, v71, s[24:25]
	v_max3_f32 v38, v38, v39, v40
	v_or_b32_e32 v39, 18, v36
	v_or_b32_e32 v40, 19, v36
	v_cmp_gt_i32_e64 s[18:19], s33, v39
	v_cmp_gt_i32_e64 s[20:21], s33, v40
	s_nop 0
	v_cndmask_b32_e64 v39, v37, v84, s[18:19]
	v_cndmask_b32_e64 v40, v37, v85, s[20:21]
	v_max3_f32 v38, v38, v39, v40
	v_or_b32_e32 v39, 32, v36
	v_or_b32_e32 v40, 33, v36
	v_cmp_gt_i32_e64 s[14:15], s33, v39
	v_cmp_gt_i32_e64 s[16:17], s33, v40
	s_nop 0
	v_cndmask_b32_e64 v39, v37, v78, s[14:15]
	v_cndmask_b32_e64 v40, v37, v79, s[16:17]
	v_max3_f32 v38, v38, v39, v40
	v_or_b32_e32 v39, 34, v36
	v_or_b32_e32 v40, 35, v36
	v_cmp_gt_i32_e64 s[10:11], s33, v39
	v_cmp_gt_i32_e64 s[12:13], s33, v40
	s_nop 0
	v_cndmask_b32_e64 v39, v37, v80, s[10:11]
	v_cndmask_b32_e64 v40, v37, v81, s[12:13]
	v_max3_f32 v38, v38, v39, v40
	v_or_b32_e32 v39, 48, v36
	v_or_b32_e32 v40, 49, v36
	v_cmp_gt_i32_e64 s[6:7], s33, v39
	v_cmp_gt_i32_e64 s[8:9], s33, v40
	s_nop 0
	v_cndmask_b32_e64 v39, v37, v72, s[6:7]
	v_cndmask_b32_e64 v40, v37, v73, s[8:9]
	v_max3_f32 v38, v38, v39, v40
	v_or_b32_e32 v39, 50, v36
	v_or_b32_e32 v36, 51, v36
	v_cmp_gt_i32_e32 vcc, s33, v39
	v_cmp_gt_i32_e64 s[4:5], s33, v36
	s_nop 0
	v_cndmask_b32_e32 v39, v37, v66, vcc
	v_cndmask_b32_e64 v36, v37, v67, s[4:5]
	v_max3_f32 v54, v38, v39, v36
	v_mbcnt_lo_u32_b32 v36, -1, 0
	v_mbcnt_hi_u32_b32 v55, -1, v36
	v_and_b32_e32 v36, 64, v55
	v_add_u32_e32 v56, 64, v36
	v_xor_b32_e32 v36, 32, v55
	v_cmp_lt_i32_e64 s[38:39], v36, v56
	global_load_dwordx4 v[46:49], v[58:59], off
	global_load_dwordx4 v[38:41], v[58:59], off offset:16
	v_cndmask_b32_e64 v36, v55, v36, s[38:39]
	v_lshlrev_b32_e32 v89, 2, v36
	ds_bpermute_b32 v57, v89, v54
	global_load_dwordx4 v[42:45], v[34:35], off
	s_nop 0
	global_load_dwordx4 v[34:37], v[34:35], off offset:16
	s_waitcnt lgkmcnt(0)
	v_max_f32_e32 v57, v57, v57
	v_max_f32_e32 v68, v54, v57
	v_xor_b32_e32 v54, 16, v55
	v_cmp_lt_i32_e64 s[38:39], v54, v56
	s_nop 1
	v_cndmask_b32_e64 v54, v55, v54, s[38:39]
	v_lshlrev_b32_e32 v90, 2, v54
	ds_bpermute_b32 v69, v90, v68
	global_load_dwordx4 v[58:61], v[52:53], off
	global_load_dwordx4 v[54:57], v[52:53], off offset:16
	v_lshl_add_u64 v[52:53], v[64:65], 0, v[62:63]
	s_waitcnt lgkmcnt(0)
	v_max_f32_e32 v62, v69, v69
	v_max_f32_e32 v88, v68, v62
	v_sub_f32_e32 v50, v50, v88
	v_mul_f32_e32 v50, 0x3fb8aa3b, v50
	v_exp_f32_e32 v68, v50
	v_sub_f32_e32 v50, v51, v88
	v_mul_f32_e32 v50, 0x3fb8aa3b, v50
	v_exp_f32_e32 v69, v50
	global_load_dwordx4 v[62:65], v[52:53], off
	s_nop 0
	global_load_dwordx4 v[50:53], v[52:53], off offset:16
	v_sub_f32_e32 v82, v82, v88
	v_mul_f32_e32 v82, 0x3fb8aa3b, v82
	v_sub_f32_e32 v83, v83, v88
	v_exp_f32_e32 v82, v82
	v_mul_f32_e32 v83, 0x3fb8aa3b, v83
	v_sub_f32_e32 v70, v70, v88
	v_exp_f32_e32 v83, v83
	v_mul_f32_e32 v70, 0x3fb8aa3b, v70
	v_sub_f32_e32 v71, v71, v88
	v_cndmask_b32_e64 v68, 0, v68, s[28:29]
	v_exp_f32_e32 v70, v70
	v_mul_f32_e32 v71, 0x3fb8aa3b, v71
	v_sub_f32_e32 v84, v84, v88
	v_add_f32_e32 v91, 0, v68
	v_cndmask_b32_e64 v69, 0, v69, s[30:31]
	v_exp_f32_e32 v71, v71
	v_mul_f32_e32 v84, 0x3fb8aa3b, v84
	v_sub_f32_e32 v85, v85, v88
	v_add_f32_e32 v91, v91, v69
	;; [unrolled: 5-line block ×10, first 2 shown]
	v_cndmask_b32_e64 v80, 0, v80, s[10:11]
	v_exp_f32_e32 v66, v66
	v_mul_f32_e32 v67, 0x3fb8aa3b, v67
	v_add_f32_e32 v91, v91, v80
	v_cndmask_b32_e64 v81, 0, v81, s[12:13]
	v_exp_f32_e32 v67, v67
	v_add_f32_e32 v91, v91, v81
	v_cndmask_b32_e64 v72, 0, v72, s[6:7]
	v_add_f32_e32 v91, v91, v72
	v_cndmask_b32_e64 v73, 0, v73, s[8:9]
	v_add_f32_e32 v91, v91, v73
	v_cndmask_b32_e32 v66, 0, v66, vcc
	v_add_f32_e32 v91, v91, v66
	v_cndmask_b32_e64 v67, 0, v67, s[4:5]
	v_add_f32_e32 v91, v91, v67
	ds_bpermute_b32 v89, v89, v91
	v_cmp_gt_u32_e32 vcc, 16, v77
	s_waitcnt lgkmcnt(0)
	s_barrier
	v_add_f32_e32 v89, v91, v89
	ds_bpermute_b32 v90, v90, v89
	s_and_saveexec_b64 s[4:5], vcc
	s_cbranch_execz .LBB721_15
; %bb.14:
	s_waitcnt lgkmcnt(0)
	v_add_f32_e32 v77, v89, v90
	v_lshlrev_b32_e32 v87, 2, v87
	ds_write2st64_b32 v87, v88, v77 offset1:1
.LBB721_15:
	s_or_b64 exec, exec, s[4:5]
	v_lshlrev_b32_e32 v77, 2, v76
	s_load_dword s6, s[0:1], 0x94
	s_waitcnt lgkmcnt(0)
	s_barrier
	ds_read2_b32 v[88:89], v77 offset1:16
	ds_read2_b32 v[90:91], v77 offset0:32 offset1:48
	ds_read2_b32 v[92:93], v77 offset0:64 offset1:80
	;; [unrolled: 1-line block ×3, first 2 shown]
	s_movk_i32 s8, 0x7fff
	s_waitcnt lgkmcnt(3)
	v_max3_f32 v87, v88, s41, v89
	s_waitcnt lgkmcnt(2)
	v_max3_f32 v87, v87, v90, v91
	v_sub_f32_e32 v88, v88, v87
	v_mul_f32_e32 v88, 0x3fb8aa3b, v88
	v_exp_f32_e32 v86, v88
	v_sub_f32_e32 v88, v89, v87
	v_mul_f32_e32 v88, 0x3fb8aa3b, v88
	v_exp_f32_e32 v89, v88
	v_sub_f32_e32 v88, v90, v87
	v_mul_f32_e32 v88, 0x3fb8aa3b, v88
	v_sub_f32_e32 v77, v91, v87
	v_exp_f32_e32 v90, v88
	v_mul_f32_e32 v77, 0x3fb8aa3b, v77
	v_exp_f32_e32 v77, v77
	s_waitcnt lgkmcnt(1)
	v_fma_f32 v88, v86, v92, 0
	v_fmac_f32_e32 v88, v89, v93
	s_waitcnt lgkmcnt(0)
	v_fmac_f32_e32 v88, v90, v94
	v_fmac_f32_e32 v88, v77, v95
	v_add_f32_e32 v91, 0x358637bd, v88
	v_div_scale_f32 v92, s[4:5], v91, v91, 1.0
	v_rcp_f32_e32 v93, v92
	s_mov_b32 s9, 0x7060302
	s_barrier
	v_fma_f32 v94, -v92, v93, 1.0
	v_fmac_f32_e32 v93, v94, v93
	v_div_scale_f32 v94, vcc, 1.0, v91, 1.0
	v_mul_f32_e32 v95, v94, v93
	v_fma_f32 v1, -v92, v95, v94
	v_fmac_f32_e32 v95, v1, v93
	v_fma_f32 v1, -v92, v95, v94
	v_div_fmas_f32 v1, v1, v93, v95
	v_div_fixup_f32 v1, v1, v91, 1.0
	v_lshrrev_b32_e32 v91, 6, v0
	v_cmp_eq_u32_e32 vcc, 1, v91
	s_mul_i32 s7, s27, 14
	s_nop 0
	v_cndmask_b32_e32 v86, v86, v89, vcc
	v_cmp_eq_u32_e32 vcc, 2, v91
	s_nop 1
	v_cndmask_b32_e32 v86, v86, v90, vcc
	v_cmp_eq_u32_e32 vcc, 3, v91
	s_nop 1
	v_cndmask_b32_e32 v77, v86, v77, vcc
	v_mul_f32_e32 v90, v77, v1
	v_pk_mul_f32 v[68:69], v[90:91], v[68:69] op_sel_hi:[0,1]
	v_bfe_u32 v1, v69, 16, 1
	v_bfe_u32 v77, v68, 16, 1
	v_pk_mul_f32 v[82:83], v[90:91], v[82:83] op_sel_hi:[0,1]
	v_add3_u32 v68, v68, v77, s8
	v_add3_u32 v1, v69, v1, s8
	v_perm_b32 v92, v1, v68, s9
	v_bfe_u32 v1, v83, 16, 1
	v_bfe_u32 v68, v82, 16, 1
	v_add3_u32 v68, v82, v68, s8
	v_add3_u32 v1, v83, v1, s8
	v_bfe_u32 v86, v0, 4, 2
	v_perm_b32 v93, v1, v68, s9
	v_lshlrev_b32_e32 v1, 3, v86
	v_lshlrev_b32_e32 v68, 5, v76
	;; [unrolled: 1-line block ×3, first 2 shown]
	v_pk_mul_f32 v[70:71], v[90:91], v[70:71] op_sel_hi:[0,1]
	v_or3_b32 v1, v69, v68, v1
	v_bfe_u32 v69, v71, 16, 1
	v_bfe_u32 v77, v70, 16, 1
	v_pk_mul_f32 v[82:83], v[90:91], v[84:85] op_sel_hi:[0,1]
	v_add3_u32 v70, v70, v77, s8
	v_add3_u32 v69, v71, v69, s8
	v_perm_b32 v70, v69, v70, s9
	v_bfe_u32 v69, v83, 16, 1
	v_bfe_u32 v71, v82, 16, 1
	v_add3_u32 v71, v82, v71, s8
	v_add3_u32 v69, v83, v69, s8
	v_pk_mul_f32 v[78:79], v[90:91], v[78:79] op_sel_hi:[0,1]
	v_perm_b32 v71, v69, v71, s9
	v_bfe_u32 v69, v79, 16, 1
	v_bfe_u32 v77, v78, 16, 1
	ds_write2st64_b64 v1, v[92:93], v[70:71] offset1:1
	v_pk_mul_f32 v[70:71], v[90:91], v[80:81] op_sel_hi:[0,1]
	v_add3_u32 v77, v78, v77, s8
	v_add3_u32 v69, v79, v69, s8
	v_perm_b32 v78, v69, v77, s9
	v_bfe_u32 v69, v71, 16, 1
	v_bfe_u32 v77, v70, 16, 1
	v_add3_u32 v70, v70, v77, s8
	v_add3_u32 v69, v71, v69, s8
	v_perm_b32 v79, v69, v70, s9
	v_pk_mul_f32 v[70:71], v[90:91], v[72:73] op_sel_hi:[0,1]
	v_bfe_u32 v69, v71, 16, 1
	v_bfe_u32 v72, v70, 16, 1
	v_pk_mul_f32 v[66:67], v[90:91], v[66:67] op_sel_hi:[0,1]
	v_add3_u32 v70, v70, v72, s8
	v_add3_u32 v69, v71, v69, s8
	v_perm_b32 v70, v69, v70, s9
	v_bfe_u32 v69, v67, 16, 1
	v_bfe_u32 v71, v66, 16, 1
	v_add3_u32 v66, v66, v71, s8
	v_add3_u32 v67, v67, v69, s8
	v_perm_b32 v71, v67, v66, s9
	v_cmp_gt_u32_e32 vcc, 14, v0
	ds_write2st64_b64 v1, v[78:79], v[70:71] offset0:2 offset1:3
	s_and_saveexec_b64 s[4:5], vcc
	s_cbranch_execz .LBB721_17
; %bb.16:
	s_mov_b32 s41, 0
	v_mov_b32_e32 v77, 0
	v_lshl_add_u64 v[66:67], s[40:41], 0, v[76:77]
	v_mov_b32_e32 v69, s7
	v_mad_u64_u32 v[66:67], s[10:11], s2, v69, v[66:67]
	s_mul_i32 s3, s3, s7
	v_mov_b32_e32 v70, s26
	v_mov_b32_e32 v71, v77
	s_load_dwordx4 s[12:15], s[0:1], 0x58
	v_add_u32_e32 v69, s3, v67
	v_mad_u64_u32 v[66:67], s[10:11], v66, s6, v[70:71]
	v_mov_b32_e32 v70, v67
	v_mad_u64_u32 v[70:71], s[10:11], v69, s6, v[70:71]
	v_mov_b32_e32 v67, v70
	v_lshlrev_b64 v[66:67], 2, v[66:67]
	s_waitcnt lgkmcnt(0)
	v_lshl_add_u64 v[70:71], s[14:15], 0, v[66:67]
	v_lshl_add_u64 v[66:67], s[12:13], 0, v[66:67]
	global_store_dword v[70:71], v87, off
	global_store_dword v[66:67], v88, off
.LBB721_17:
	s_or_b64 exec, exec, s[4:5]
	v_lshl_or_b32 v77, v86, 9, v68
	s_waitcnt lgkmcnt(0)
	s_barrier
	ds_read_b128 v[70:73], v77
	ds_read_b128 v[66:69], v77 offset:16
	s_waitcnt vmcnt(15) lgkmcnt(1)
	v_mfma_f32_16x16x16_bf16 v[78:81], v[30:31], v[70:71], 0
	s_mov_b32 s3, 0
	v_cmp_gt_u32_e32 vcc, 64, v0
	v_mfma_f32_16x16x16_bf16 v[30:33], v[32:33], v[72:73], v[78:81]
	s_waitcnt vmcnt(14) lgkmcnt(0)
	v_mfma_f32_16x16x16_bf16 v[30:33], v[26:27], v[66:67], v[30:33]
	v_mfma_f32_16x16x16_bf16 v[26:29], v[28:29], v[68:69], v[30:33]
	s_nop 5
	ds_read_b128 v[30:33], v77 offset:2048
	ds_read_b128 v[78:81], v77 offset:2064
	s_waitcnt vmcnt(13) lgkmcnt(1)
	v_mfma_f32_16x16x16_bf16 v[26:29], v[22:23], v[30:31], v[26:29]
	v_mfma_f32_16x16x16_bf16 v[22:25], v[24:25], v[32:33], v[26:29]
	s_waitcnt vmcnt(12) lgkmcnt(0)
	v_mfma_f32_16x16x16_bf16 v[22:25], v[18:19], v[78:79], v[22:25]
	v_mfma_f32_16x16x16_bf16 v[18:21], v[20:21], v[80:81], v[22:25]
	s_nop 5
	ds_read_b128 v[22:25], v77 offset:4096
	ds_read_b128 v[26:29], v77 offset:4112
	s_waitcnt vmcnt(11) lgkmcnt(1)
	v_mfma_f32_16x16x16_bf16 v[18:21], v[14:15], v[22:23], v[18:21]
	v_mfma_f32_16x16x16_bf16 v[14:17], v[16:17], v[24:25], v[18:21]
	s_waitcnt vmcnt(10) lgkmcnt(0)
	v_mfma_f32_16x16x16_bf16 v[14:17], v[10:11], v[26:27], v[14:17]
	v_mfma_f32_16x16x16_bf16 v[10:13], v[12:13], v[28:29], v[14:17]
	s_nop 5
	ds_read_b128 v[14:17], v77 offset:6144
	ds_read_b128 v[18:21], v77 offset:6160
	s_waitcnt lgkmcnt(0)
	s_barrier
	s_waitcnt vmcnt(9)
	v_mfma_f32_16x16x16_bf16 v[10:13], v[6:7], v[14:15], v[10:13]
	v_mfma_f32_16x16x16_bf16 v[6:9], v[8:9], v[16:17], v[10:13]
	s_waitcnt vmcnt(8)
	v_mfma_f32_16x16x16_bf16 v[6:9], v[2:3], v[18:19], v[6:9]
	v_mfma_f32_16x16x16_bf16 v[2:5], v[4:5], v[20:21], v[6:9]
	;; [unrolled: 3-line block ×3, first 2 shown]
	s_nop 3
	v_bfe_u32 v10, v3, 16, 1
	v_bfe_u32 v11, v2, 16, 1
	v_add3_u32 v2, v2, v11, s8
	s_waitcnt vmcnt(6)
	v_mfma_f32_16x16x16_bf16 v[6:9], v[38:39], v[66:67], v[6:9]
	v_add3_u32 v3, v3, v10, s8
	v_perm_b32 v10, v3, v2, s9
	v_bfe_u32 v2, v5, 16, 1
	v_mfma_f32_16x16x16_bf16 v[6:9], v[40:41], v[68:69], v[6:9]
	v_bfe_u32 v3, v4, 16, 1
	v_add3_u32 v3, v4, v3, s8
	v_add3_u32 v2, v5, v2, s8
	s_waitcnt vmcnt(5)
	v_mfma_f32_16x16x16_bf16 v[6:9], v[42:43], v[30:31], v[6:9]
	v_perm_b32 v11, v2, v3, s9
	v_mfma_f32_16x16x16_bf16 v[6:9], v[44:45], v[32:33], v[6:9]
	s_waitcnt vmcnt(4)
	v_mfma_f32_16x16x16_bf16 v[6:9], v[34:35], v[78:79], v[6:9]
	v_mfma_f32_16x16x16_bf16 v[6:9], v[36:37], v[80:81], v[6:9]
	s_waitcnt vmcnt(3)
	v_mfma_f32_16x16x16_bf16 v[6:9], v[58:59], v[22:23], v[6:9]
	;; [unrolled: 3-line block ×5, first 2 shown]
	v_mfma_f32_16x16x16_bf16 v[2:5], v[52:53], v[20:21], v[6:9]
	s_nop 6
	v_bfe_u32 v6, v3, 16, 1
	v_bfe_u32 v7, v2, 16, 1
	v_add3_u32 v2, v2, v7, s8
	v_add3_u32 v3, v3, v6, s8
	v_perm_b32 v2, v3, v2, s9
	v_bfe_u32 v3, v5, 16, 1
	v_bfe_u32 v6, v4, 16, 1
	v_add3_u32 v4, v4, v6, s8
	v_add3_u32 v3, v5, v3, s8
	v_perm_b32 v3, v3, v4, s9
	ds_write2st64_b64 v1, v[10:11], v[2:3] offset1:1
	s_waitcnt lgkmcnt(0)
	s_barrier
	s_and_saveexec_b64 s[4:5], vcc
	s_cbranch_execz .LBB721_20
; %bb.18:
	s_load_dwordx2 s[4:5], s[0:1], 0x68
	s_lshl_b32 s0, s6, 7
	s_mul_i32 s1, s7, s2
	v_lshlrev_b32_e32 v3, 6, v76
	s_mul_hi_u32 s7, s1, s0
	s_mul_i32 s6, s1, s0
	v_lshlrev_b32_e32 v2, 4, v0
	v_lshl_or_b32 v0, v0, 10, v3
	s_lshl_b64 s[6:7], s[6:7], 1
	v_lshlrev_b32_e32 v1, 5, v86
	v_and_b32_e32 v2, 16, v2
	v_and_b32_e32 v0, 0x1a00, v0
	s_waitcnt lgkmcnt(0)
	s_add_u32 s1, s4, s6
	v_or3_b32 v2, v0, v1, v2
	s_addc_u32 s4, s5, s7
	s_lshl_b32 s2, s26, 7
	ds_read_b128 v[4:7], v2 offset:256
	s_lshl_b64 s[2:3], s[2:3], 1
	ds_read_b128 v[8:11], v2 offset:128
	ds_read_b128 v[12:15], v2
	s_add_u32 s2, s1, s2
	s_addc_u32 s3, s4, s3
	v_add_u32_e32 v18, s40, v86
	v_lshl_add_u64 v[0:1], v[74:75], 1, s[2:3]
	v_mad_u64_u32 v[16:17], s[2:3], v18, s0, 0
	v_lshl_add_u64 v[16:17], v[16:17], 1, v[0:1]
	s_waitcnt lgkmcnt(0)
	global_store_dwordx4 v[16:17], v[12:15], off
	v_or_b32_e32 v3, 12, v86
	v_cmp_gt_u32_e32 vcc, 14, v3
	v_add_u32_e32 v12, 4, v18
	v_mad_u64_u32 v[12:13], s[2:3], v12, s0, 0
	v_lshl_add_u64 v[12:13], v[12:13], 1, v[0:1]
	global_store_dwordx4 v[12:13], v[8:11], off
	s_nop 1
	v_add_u32_e32 v8, 8, v18
	v_mad_u64_u32 v[8:9], s[2:3], v8, s0, 0
	v_lshl_add_u64 v[8:9], v[8:9], 1, v[0:1]
	global_store_dwordx4 v[8:9], v[4:7], off
	s_and_b64 exec, exec, vcc
	s_cbranch_execz .LBB721_20
; %bb.19:
	ds_read_b128 v[4:7], v2 offset:384
	v_add_u32_e32 v2, s40, v3
	v_mad_u64_u32 v[2:3], s[0:1], v2, s0, 0
	v_lshl_add_u64 v[0:1], v[2:3], 1, v[0:1]
	s_waitcnt lgkmcnt(0)
	global_store_dwordx4 v[0:1], v[4:7], off
.LBB721_20:
	s_endpgm
	.section	.rodata,"a",@progbits
	.p2align	6, 0x0
	.amdhsa_kernel _Z39paged_attention_ll4mi_QKV_mfma16_kernelI14__hip_bfloat16S0_LN4vllm18Fp8KVCacheDataTypeE0EhLi32ELi128ELi256ELb0ELi14EEvPKT_PKT0_S8_ifPKiSA_SA_iPKfiiiPfSD_PS3_PT2_iSC_SC_
		.amdhsa_group_segment_fixed_size 8192
		.amdhsa_private_segment_fixed_size 0
		.amdhsa_kernarg_size 400
		.amdhsa_user_sgpr_count 2
		.amdhsa_user_sgpr_dispatch_ptr 0
		.amdhsa_user_sgpr_queue_ptr 0
		.amdhsa_user_sgpr_kernarg_segment_ptr 1
		.amdhsa_user_sgpr_dispatch_id 0
		.amdhsa_user_sgpr_kernarg_preload_length 0
		.amdhsa_user_sgpr_kernarg_preload_offset 0
		.amdhsa_user_sgpr_private_segment_size 0
		.amdhsa_uses_dynamic_stack 0
		.amdhsa_enable_private_segment 0
		.amdhsa_system_sgpr_workgroup_id_x 1
		.amdhsa_system_sgpr_workgroup_id_y 1
		.amdhsa_system_sgpr_workgroup_id_z 1
		.amdhsa_system_sgpr_workgroup_info 0
		.amdhsa_system_vgpr_workitem_id 0
		.amdhsa_next_free_vgpr 96
		.amdhsa_next_free_sgpr 42
		.amdhsa_accum_offset 96
		.amdhsa_reserve_vcc 1
		.amdhsa_float_round_mode_32 0
		.amdhsa_float_round_mode_16_64 0
		.amdhsa_float_denorm_mode_32 3
		.amdhsa_float_denorm_mode_16_64 3
		.amdhsa_dx10_clamp 1
		.amdhsa_ieee_mode 1
		.amdhsa_fp16_overflow 0
		.amdhsa_tg_split 0
		.amdhsa_exception_fp_ieee_invalid_op 0
		.amdhsa_exception_fp_denorm_src 0
		.amdhsa_exception_fp_ieee_div_zero 0
		.amdhsa_exception_fp_ieee_overflow 0
		.amdhsa_exception_fp_ieee_underflow 0
		.amdhsa_exception_fp_ieee_inexact 0
		.amdhsa_exception_int_div_zero 0
	.end_amdhsa_kernel
	.section	.text._Z39paged_attention_ll4mi_QKV_mfma16_kernelI14__hip_bfloat16S0_LN4vllm18Fp8KVCacheDataTypeE0EhLi32ELi128ELi256ELb0ELi14EEvPKT_PKT0_S8_ifPKiSA_SA_iPKfiiiPfSD_PS3_PT2_iSC_SC_,"axG",@progbits,_Z39paged_attention_ll4mi_QKV_mfma16_kernelI14__hip_bfloat16S0_LN4vllm18Fp8KVCacheDataTypeE0EhLi32ELi128ELi256ELb0ELi14EEvPKT_PKT0_S8_ifPKiSA_SA_iPKfiiiPfSD_PS3_PT2_iSC_SC_,comdat
.Lfunc_end721:
	.size	_Z39paged_attention_ll4mi_QKV_mfma16_kernelI14__hip_bfloat16S0_LN4vllm18Fp8KVCacheDataTypeE0EhLi32ELi128ELi256ELb0ELi14EEvPKT_PKT0_S8_ifPKiSA_SA_iPKfiiiPfSD_PS3_PT2_iSC_SC_, .Lfunc_end721-_Z39paged_attention_ll4mi_QKV_mfma16_kernelI14__hip_bfloat16S0_LN4vllm18Fp8KVCacheDataTypeE0EhLi32ELi128ELi256ELb0ELi14EEvPKT_PKT0_S8_ifPKiSA_SA_iPKfiiiPfSD_PS3_PT2_iSC_SC_
                                        ; -- End function
	.section	.AMDGPU.csdata,"",@progbits
; Kernel info:
; codeLenInByte = 4924
; NumSgprs: 48
; NumVgprs: 96
; NumAgprs: 0
; TotalNumVgprs: 96
; ScratchSize: 0
; MemoryBound: 0
; FloatMode: 240
; IeeeMode: 1
; LDSByteSize: 8192 bytes/workgroup (compile time only)
; SGPRBlocks: 5
; VGPRBlocks: 11
; NumSGPRsForWavesPerEU: 48
; NumVGPRsForWavesPerEU: 96
; AccumOffset: 96
; Occupancy: 5
; WaveLimiterHint : 1
; COMPUTE_PGM_RSRC2:SCRATCH_EN: 0
; COMPUTE_PGM_RSRC2:USER_SGPR: 2
; COMPUTE_PGM_RSRC2:TRAP_HANDLER: 0
; COMPUTE_PGM_RSRC2:TGID_X_EN: 1
; COMPUTE_PGM_RSRC2:TGID_Y_EN: 1
; COMPUTE_PGM_RSRC2:TGID_Z_EN: 1
; COMPUTE_PGM_RSRC2:TIDIG_COMP_CNT: 0
; COMPUTE_PGM_RSRC3_GFX90A:ACCUM_OFFSET: 23
; COMPUTE_PGM_RSRC3_GFX90A:TG_SPLIT: 0
	.section	.text._Z39paged_attention_ll4mi_QKV_mfma16_kernelI14__hip_bfloat16S0_LN4vllm18Fp8KVCacheDataTypeE0EhLi32ELi128ELi256ELb0ELi15EEvPKT_PKT0_S8_ifPKiSA_SA_iPKfiiiPfSD_PS3_PT2_iSC_SC_,"axG",@progbits,_Z39paged_attention_ll4mi_QKV_mfma16_kernelI14__hip_bfloat16S0_LN4vllm18Fp8KVCacheDataTypeE0EhLi32ELi128ELi256ELb0ELi15EEvPKT_PKT0_S8_ifPKiSA_SA_iPKfiiiPfSD_PS3_PT2_iSC_SC_,comdat
	.protected	_Z39paged_attention_ll4mi_QKV_mfma16_kernelI14__hip_bfloat16S0_LN4vllm18Fp8KVCacheDataTypeE0EhLi32ELi128ELi256ELb0ELi15EEvPKT_PKT0_S8_ifPKiSA_SA_iPKfiiiPfSD_PS3_PT2_iSC_SC_ ; -- Begin function _Z39paged_attention_ll4mi_QKV_mfma16_kernelI14__hip_bfloat16S0_LN4vllm18Fp8KVCacheDataTypeE0EhLi32ELi128ELi256ELb0ELi15EEvPKT_PKT0_S8_ifPKiSA_SA_iPKfiiiPfSD_PS3_PT2_iSC_SC_
	.globl	_Z39paged_attention_ll4mi_QKV_mfma16_kernelI14__hip_bfloat16S0_LN4vllm18Fp8KVCacheDataTypeE0EhLi32ELi128ELi256ELb0ELi15EEvPKT_PKT0_S8_ifPKiSA_SA_iPKfiiiPfSD_PS3_PT2_iSC_SC_
	.p2align	8
	.type	_Z39paged_attention_ll4mi_QKV_mfma16_kernelI14__hip_bfloat16S0_LN4vllm18Fp8KVCacheDataTypeE0EhLi32ELi128ELi256ELb0ELi15EEvPKT_PKT0_S8_ifPKiSA_SA_iPKfiiiPfSD_PS3_PT2_iSC_SC_,@function
_Z39paged_attention_ll4mi_QKV_mfma16_kernelI14__hip_bfloat16S0_LN4vllm18Fp8KVCacheDataTypeE0EhLi32ELi128ELi256ELb0ELi15EEvPKT_PKT0_S8_ifPKiSA_SA_iPKfiiiPfSD_PS3_PT2_iSC_SC_: ; @_Z39paged_attention_ll4mi_QKV_mfma16_kernelI14__hip_bfloat16S0_LN4vllm18Fp8KVCacheDataTypeE0EhLi32ELi128ELi256ELb0ELi15EEvPKT_PKT0_S8_ifPKiSA_SA_iPKfiiiPfSD_PS3_PT2_iSC_SC_
; %bb.0:
	s_load_dwordx2 s[8:9], s[0:1], 0x30
	s_mov_b32 s26, s3
	s_mov_b64 s[6:7], 0
	s_waitcnt lgkmcnt(0)
	s_cmp_lg_u64 s[8:9], 0
	s_cselect_b64 s[10:11], -1, 0
	s_and_b64 vcc, exec, s[10:11]
	s_cbranch_vccz .LBB722_7
; %bb.1:
	s_add_i32 s12, s2, 1
	s_mov_b32 s13, 0
	s_lshl_b64 s[14:15], s[12:13], 2
	s_add_u32 s14, s8, s14
	s_mov_b32 s3, s13
	s_addc_u32 s15, s9, s15
	s_lshl_b64 s[12:13], s[2:3], 2
	s_add_u32 s12, s8, s12
	s_addc_u32 s13, s9, s13
	s_load_dword s5, s[14:15], 0x0
	s_load_dword s16, s[12:13], 0x0
	s_waitcnt lgkmcnt(0)
	s_sub_i32 s5, s5, s16
	s_cmp_eq_u32 s5, 1
	s_cselect_b64 s[12:13], -1, 0
	s_andn2_b64 vcc, exec, s[6:7]
	s_cbranch_vccnz .LBB722_3
.LBB722_2:
	s_mov_b32 s3, 0
	s_mov_b64 s[12:13], -1
.LBB722_3:
	s_andn2_b64 vcc, exec, s[12:13]
	s_cbranch_vccnz .LBB722_20
; %bb.4:
	s_load_dwordx2 s[6:7], s[0:1], 0x28
	s_lshl_b64 s[12:13], s[2:3], 2
	s_waitcnt lgkmcnt(0)
	s_add_u32 s6, s6, s12
	s_addc_u32 s7, s7, s13
	s_load_dword s33, s[6:7], 0x0
	s_lshl_b32 s18, s26, 8
	s_waitcnt lgkmcnt(0)
	s_cmp_ge_i32 s18, s33
	s_cbranch_scc1 .LBB722_20
; %bb.5:
	s_load_dwordx2 s[6:7], s[0:1], 0x20
	s_load_dword s5, s[0:1], 0x38
	s_add_i32 s14, s33, 31
	s_ashr_i32 s15, s14, 31
	v_and_b32_e32 v1, 0xcf, v0
	s_lshr_b32 s15, s15, 27
	v_add_u32_e32 v1, s18, v1
	s_add_i32 s14, s14, s15
	v_ashrrev_i32_e32 v2, 31, v1
	s_ashr_i32 s19, s14, 5
	v_lshrrev_b32_e32 v8, 27, v2
	s_add_i32 s19, s19, -1
	s_waitcnt lgkmcnt(0)
	s_mul_i32 s14, s2, s5
	s_mov_b32 s15, 0
	v_add_u32_e32 v2, v1, v8
	s_lshl_b64 s[14:15], s[14:15], 2
	v_ashrrev_i32_e32 v2, 5, v2
	v_mov_b32_e32 v9, s19
	v_cmp_gt_i32_e32 vcc, s33, v1
	s_add_u32 s6, s6, s14
	s_addc_u32 s7, s7, s15
	v_cndmask_b32_e32 v2, v9, v2, vcc
	v_ashrrev_i32_e32 v3, 31, v2
	v_lshl_add_u64 v[4:5], v[2:3], 2, s[6:7]
	v_or_b32_e32 v2, 16, v1
	v_add_u32_e32 v3, v2, v8
	v_ashrrev_i32_e32 v3, 5, v3
	v_cmp_gt_i32_e32 vcc, s33, v2
	s_nop 1
	v_cndmask_b32_e32 v2, v9, v3, vcc
	v_ashrrev_i32_e32 v3, 31, v2
	v_lshl_add_u64 v[6:7], v[2:3], 2, s[6:7]
	v_or_b32_e32 v2, 32, v1
	v_add_u32_e32 v3, v2, v8
	v_ashrrev_i32_e32 v3, 5, v3
	v_cmp_gt_i32_e32 vcc, s33, v2
	v_or_b32_e32 v1, 48, v1
	s_nop 0
	v_cndmask_b32_e32 v2, v9, v3, vcc
	v_ashrrev_i32_e32 v3, 31, v2
	v_lshl_add_u64 v[10:11], v[2:3], 2, s[6:7]
	v_add_u32_e32 v2, v1, v8
	v_ashrrev_i32_e32 v2, 5, v2
	v_cmp_gt_i32_e32 vcc, s33, v1
	s_nop 1
	v_cndmask_b32_e32 v2, v9, v2, vcc
	v_ashrrev_i32_e32 v3, 31, v2
	v_lshl_add_u64 v[12:13], v[2:3], 2, s[6:7]
	global_load_dword v2, v[4:5], off
	global_load_dword v9, v[6:7], off
	;; [unrolled: 1-line block ×4, first 2 shown]
	s_andn2_b64 vcc, exec, s[10:11]
	s_cbranch_vccnz .LBB722_8
; %bb.6:
	s_add_u32 s8, s8, s12
	s_addc_u32 s9, s9, s13
	s_load_dword s5, s[8:9], 0x0
	s_branch .LBB722_9
.LBB722_7:
	s_mov_b64 s[12:13], 0
	s_branch .LBB722_2
.LBB722_8:
	s_mov_b32 s5, s2
.LBB722_9:
	s_load_dwordx4 s[12:15], s[0:1], 0x8
	s_load_dwordx4 s[8:11], s[0:1], 0x48
	v_lshrrev_b32_e32 v1, 6, v0
	v_bfe_u32 v86, v0, 4, 2
	v_lshl_or_b32 v3, v1, 2, v86
	v_and_b32_e32 v76, 15, v0
	v_lshlrev_b32_e32 v6, 3, v76
	v_cmp_lt_u32_e32 vcc, 14, v3
	s_and_saveexec_b64 s[16:17], vcc
	s_xor_b64 s[16:17], exec, s[16:17]
; %bb.10:
	v_mov_b32_e32 v7, 0
                                        ; implicit-def: $vgpr3
; %bb.11:
	s_or_saveexec_b64 s[16:17], s[16:17]
	s_mul_i32 s40, s4, 15
	s_xor_b64 exec, exec, s[16:17]
	s_cbranch_execz .LBB722_13
; %bb.12:
	s_load_dwordx2 s[20:21], s[0:1], 0x0
	s_waitcnt lgkmcnt(0)
	s_ashr_i32 s11, s8, 31
	s_mul_hi_u32 s22, s5, s8
	s_mul_i32 s11, s5, s11
	s_add_i32 s23, s22, s11
	s_mul_i32 s22, s5, s8
	s_lshl_b64 s[22:23], s[22:23], 1
	s_add_u32 s20, s20, s22
	v_add_lshl_u32 v4, v3, s40, 7
	v_mov_b32_e32 v7, 0
	s_addc_u32 s21, s21, s23
	v_ashrrev_i32_e32 v5, 31, v4
	v_mov_b64_e32 v[12:13], v[6:7]
	v_lshl_add_u64 v[4:5], v[4:5], 1, s[20:21]
	v_lshlrev_b32_e32 v6, 1, v12
	v_mov_b32_e32 v7, v13
	v_lshl_add_u64 v[4:5], v[4:5], 0, v[6:7]
	global_load_dwordx4 v[4:7], v[4:5], off
	v_and_b32_e32 v10, 3, v0
	v_lshlrev_b32_e32 v11, 9, v76
	v_lshlrev_b32_e32 v3, 5, v3
	;; [unrolled: 1-line block ×3, first 2 shown]
	v_and_b32_e32 v11, 0x1800, v11
	v_or3_b32 v3, v11, v10, v3
	s_waitcnt vmcnt(0)
	ds_write_b128 v3, v[4:7]
	v_mov_b64_e32 v[6:7], v[12:13]
.LBB722_13:
	s_or_b64 exec, exec, s[16:17]
	s_waitcnt lgkmcnt(0)
	s_mov_b32 s5, 0
	s_mul_i32 s4, s4, s10
	s_lshl_b64 s[4:5], s[4:5], 1
	s_add_u32 s10, s12, s4
	v_mov_b32_e32 v55, 0
	s_addc_u32 s11, s13, s5
	s_waitcnt vmcnt(3)
	v_mad_i64_i32 v[2:3], s[12:13], v2, s9, 0
	s_waitcnt vmcnt(2)
	v_mad_i64_i32 v[10:11], s[12:13], v9, s9, 0
	v_mov_b32_e32 v9, 0x100
	s_load_dword s27, s[0:1], 0x98
	s_load_dword s8, s[0:1], 0x1c
	s_waitcnt lgkmcnt(0)
	s_barrier
	v_lshl_add_u64 v[2:3], v[2:3], 1, s[10:11]
	scratch_store_dwordx2 off, v[6:7], off  ; 8-byte Folded Spill
	v_lshlrev_b64 v[6:7], 1, v[6:7]
	v_lshl_add_u64 v[10:11], v[10:11], 1, s[10:11]
	v_lshl_or_b32 v56, v76, 4, v9
	v_mov_b32_e32 v57, v55
	v_lshlrev_b32_e32 v54, 9, v86
	v_lshl_add_u64 v[2:3], v[2:3], 0, v[6:7]
	v_lshl_add_u64 v[18:19], v[10:11], 0, v[56:57]
	;; [unrolled: 1-line block ×4, first 2 shown]
	global_load_dwordx4 v[14:17], v[4:5], off
	global_load_dwordx4 v[10:13], v[20:21], off
	s_waitcnt vmcnt(4)
	v_mad_i64_i32 v[8:9], s[12:13], v8, s9, 0
	v_lshl_add_u64 v[8:9], v[8:9], 1, s[10:11]
	v_lshl_add_u64 v[60:61], v[8:9], 0, v[6:7]
	;; [unrolled: 1-line block ×3, first 2 shown]
	global_load_dwordx4 v[6:9], v[46:47], off
	global_load_dwordx4 v[42:45], v[4:5], off offset:2048
	global_load_dwordx4 v[38:41], v[20:21], off offset:2048
	v_or_b32_e32 v62, 0x1000, v54
	v_mov_b32_e32 v63, v55
	v_lshl_add_u64 v[4:5], v[2:3], 0, v[62:63]
	global_load_dwordx4 v[30:33], v[4:5], off
	v_or_b32_e32 v58, 0x1800, v54
	v_mov_b32_e32 v59, v55
	v_lshl_add_u64 v[2:3], v[2:3], 0, v[58:59]
	global_load_dwordx4 v[22:25], v[2:3], off
	v_lshl_add_u64 v[4:5], v[18:19], 0, v[62:63]
	global_load_dwordx4 v[26:29], v[4:5], off
	;; [unrolled: 2-line block ×3, first 2 shown]
	v_cmp_ne_u32_e32 vcc, 15, v76
	s_waitcnt vmcnt(10)
	v_mad_i64_i32 v[64:65], s[12:13], v34, s9, 0
	v_cndmask_b32_e32 v2, 0, v76, vcc
	v_lshl_or_b32 v48, v2, 5, v54
	ds_read_b128 v[2:5], v48
	ds_read_b128 v[34:37], v48 offset:2048
	global_load_dwordx4 v[78:81], v[46:47], off offset:2048
	ds_read_b128 v[50:53], v48 offset:4096
	ds_read_b128 v[46:49], v48 offset:6144
	s_ashr_i32 s12, s18, 31
	v_and_or_b32 v74, v0, 48, s18
	v_mov_b32_e32 v75, s19
	v_cmp_gt_i32_e32 vcc, s33, v74
	v_or_b32_e32 v87, 64, v74
	v_or_b32_e32 v88, 0x80, v74
	;; [unrolled: 1-line block ×3, first 2 shown]
	s_mov_b32 s41, 0xff7fffff
	s_waitcnt vmcnt(7) lgkmcnt(3)
	v_mfma_f32_16x16x16_bf16 v[82:85], v[6:7], v[2:3], 0
	v_lshl_add_u64 v[6:7], v[64:65], 1, s[10:11]
	s_lshr_b32 s10, s12, 27
	v_lshl_add_u64 v[6:7], v[6:7], 0, v[56:57]
	v_mfma_f32_16x16x16_bf16 v[70:73], v[10:11], v[2:3], 0
	v_lshl_add_u64 v[64:65], v[6:7], 0, v[54:55]
	v_lshl_add_u64 v[56:57], v[60:61], 0, v[58:59]
	s_add_u32 s4, s14, s4
	v_mfma_f32_16x16x16_bf16 v[66:69], v[14:15], v[2:3], 0
	s_addc_u32 s5, s15, s5
	v_mfma_f32_16x16x16_bf16 v[10:13], v[12:13], v[4:5], v[70:73]
	v_mfma_f32_16x16x16_bf16 v[14:17], v[16:17], v[4:5], v[66:69]
	s_nop 1
	v_lshl_add_u64 v[72:73], v[6:7], 0, v[62:63]
	global_load_dwordx4 v[92:95], v[72:73], off
	s_waitcnt vmcnt(6) lgkmcnt(2)
	v_mfma_f32_16x16x16_bf16 v[10:13], v[38:39], v[34:35], v[10:13]
	v_add_u32_e32 v66, s10, v74
	v_ashrrev_i32_e32 v54, 5, v66
	v_add_u32_e32 v67, s10, v87
	v_mfma_f32_16x16x16_bf16 v[14:17], v[42:43], v[34:35], v[14:17]
	v_lshl_add_u64 v[42:43], v[60:61], 0, v[62:63]
	v_ashrrev_i32_e32 v60, 5, v67
	v_add_u32_e32 v68, s10, v88
	v_mfma_f32_16x16x16_bf16 v[10:13], v[40:41], v[36:37], v[10:13]
	global_load_dwordx4 v[38:41], v[42:43], off
	v_cndmask_b32_e32 v42, v75, v54, vcc
	v_ashrrev_i32_e32 v43, 31, v42
	v_mfma_f32_16x16x16_bf16 v[14:17], v[44:45], v[36:37], v[14:17]
	v_cmp_gt_i32_e32 vcc, s33, v87
	v_ashrrev_i32_e32 v66, 5, v68
	v_add_u32_e32 v69, s10, v89
	s_waitcnt vmcnt(6) lgkmcnt(1)
	v_mfma_f32_16x16x16_bf16 v[14:17], v[30:31], v[50:51], v[14:17]
	v_lshl_add_u64 v[30:31], v[42:43], 2, s[6:7]
	global_load_dwordx4 v[42:45], v[56:57], off
	v_ashrrev_i32_e32 v68, 5, v69
	global_load_dword v30, v[30:31], off
	s_waitcnt vmcnt(6)
	v_mfma_f32_16x16x16_bf16 v[10:13], v[26:27], v[50:51], v[10:13]
	v_cndmask_b32_e32 v26, v75, v60, vcc
	v_ashrrev_i32_e32 v27, 31, v26
	v_lshl_add_u64 v[26:27], v[26:27], 2, s[6:7]
	global_load_dwordx4 v[60:63], v[64:65], off
	global_load_dword v56, v[26:27], off
	v_mfma_f32_16x16x16_bf16 v[14:17], v[32:33], v[52:53], v[14:17]
	v_cmp_gt_i32_e32 vcc, s33, v88
	v_lshl_or_b32 v87, v1, 4, v76
	s_nop 0
	v_cndmask_b32_e32 v26, v75, v66, vcc
	v_ashrrev_i32_e32 v27, 31, v26
	s_waitcnt lgkmcnt(0)
	v_mfma_f32_16x16x16_bf16 v[14:17], v[22:23], v[46:47], v[14:17]
	v_lshl_add_u64 v[22:23], v[26:27], 2, s[6:7]
	global_load_dword v57, v[22:23], off
	v_cmp_gt_i32_e32 vcc, s33, v89
	global_load_dwordx4 v[64:67], v[64:65], off offset:2048
	v_mfma_f32_16x16x16_bf16 v[10:13], v[28:29], v[52:53], v[10:13]
	s_waitcnt vmcnt(9)
	v_mfma_f32_16x16x16_bf16 v[10:13], v[18:19], v[46:47], v[10:13]
	v_cndmask_b32_e32 v18, v75, v68, vcc
	v_ashrrev_i32_e32 v19, 31, v18
	v_mfma_f32_16x16x16_bf16 v[88:91], v[20:21], v[48:49], v[10:13]
	s_nop 3
	v_lshl_add_u64 v[10:11], v[6:7], 0, v[58:59]
	global_load_dwordx4 v[72:75], v[10:11], off
	v_mfma_f32_16x16x16_bf16 v[68:71], v[24:25], v[48:49], v[14:17]
	v_and_b32_e32 v10, 16, v0
	v_lshlrev_b32_e32 v54, 1, v10
	v_lshl_add_u64 v[58:59], s[4:5], 0, v[54:55]
	v_lshl_add_u64 v[14:15], v[18:19], 2, s[6:7]
	global_load_dword v77, v[14:15], off
	v_mfma_f32_16x16x16_bf16 v[6:9], v[8:9], v[4:5], v[82:85]
	v_lshlrev_b32_e32 v54, 6, v87
	s_waitcnt vmcnt(6)
	v_mad_i64_i32 v[10:11], s[4:5], v30, s9, 0
	v_mfma_f32_16x16x16_bf16 v[6:9], v[78:79], v[34:35], v[6:9]
	v_lshl_add_u64 v[78:79], v[58:59], 0, v[54:55]
	v_pk_mul_f32 v[82:83], s[8:9], v[70:71] op_sel_hi:[0,1]
	v_pk_mul_f32 v[70:71], s[8:9], v[88:89] op_sel_hi:[0,1]
	v_mfma_f32_16x16x16_bf16 v[6:9], v[80:81], v[36:37], v[6:9]
	v_lshlrev_b64 v[80:81], 1, v[10:11]
	v_lshl_add_u64 v[10:11], v[78:79], 0, v[80:81]
	global_load_dwordx4 v[30:33], v[10:11], off
	global_load_dwordx4 v[26:29], v[10:11], off offset:16
	v_mfma_f32_16x16x16_bf16 v[6:9], v[38:39], v[50:51], v[6:9]
	s_waitcnt vmcnt(6)
	v_mad_i64_i32 v[10:11], s[4:5], v56, s9, 0
	v_pk_mul_f32 v[84:85], s[8:9], v[90:91] op_sel_hi:[0,1]
	v_mfma_f32_16x16x16_bf16 v[6:9], v[40:41], v[52:53], v[6:9]
	v_or_b32_e32 v54, 0x1000, v54
	v_mfma_f32_16x16x16_bf16 v[6:9], v[42:43], v[46:47], v[6:9]
	v_lshlrev_b64 v[42:43], 1, v[10:11]
	v_mfma_f32_16x16x16_bf16 v[38:41], v[44:45], v[48:49], v[6:9]
	s_nop 4
	v_lshl_add_u64 v[6:7], v[78:79], 0, v[42:43]
	global_load_dwordx4 v[22:25], v[6:7], off
	global_load_dwordx4 v[18:21], v[6:7], off offset:16
	v_mfma_f32_16x16x16_bf16 v[6:9], v[60:61], v[2:3], 0
	s_waitcnt vmcnt(7)
	v_mad_i64_i32 v[2:3], s[4:5], v57, s9, 0
	v_lshlrev_b64 v[56:57], 1, v[2:3]
	v_mfma_f32_16x16x16_bf16 v[2:5], v[62:63], v[4:5], v[6:9]
	s_waitcnt vmcnt(6)
	v_mfma_f32_16x16x16_bf16 v[2:5], v[64:65], v[34:35], v[2:5]
	s_nop 0
	v_lshl_add_u64 v[6:7], v[78:79], 0, v[56:57]
	global_load_dwordx4 v[14:17], v[6:7], off
	global_load_dwordx4 v[10:13], v[6:7], off offset:16
	s_waitcnt vmcnt(6)
	v_mad_i64_i32 v[6:7], s[4:5], v77, s9, 0
	v_mfma_f32_16x16x16_bf16 v[34:37], v[66:67], v[36:37], v[2:5]
	v_lshlrev_b64 v[62:63], 1, v[6:7]
	v_lshl_add_u64 v[64:65], v[58:59], 0, v[54:55]
	v_lshl_add_u64 v[44:45], v[64:65], 0, v[80:81]
	v_mfma_f32_16x16x16_bf16 v[34:37], v[92:93], v[50:51], v[34:37]
	v_pk_mul_f32 v[50:51], s[8:9], v[68:69] op_sel_hi:[0,1]
	v_lshl_add_u64 v[2:3], v[78:79], 0, v[62:63]
	v_pk_mul_f32 v[78:79], s[8:9], v[38:39] op_sel_hi:[0,1]
	v_mfma_f32_16x16x16_bf16 v[34:37], v[94:95], v[52:53], v[34:37]
	v_pk_mul_f32 v[80:81], s[8:9], v[40:41] op_sel_hi:[0,1]
	global_load_dwordx4 v[6:9], v[2:3], off
	s_nop 0
	global_load_dwordx4 v[2:5], v[2:3], off offset:16
	v_mfma_f32_16x16x16_bf16 v[34:37], v[72:73], v[46:47], v[34:37]
	v_mfma_f32_16x16x16_bf16 v[34:37], v[74:75], v[48:49], v[34:37]
	s_nop 6
	v_pk_mul_f32 v[72:73], s[8:9], v[34:35] op_sel_hi:[0,1]
	v_and_b32_e32 v34, 0xc0, v0
	v_add_u32_e32 v34, s18, v34
	v_lshl_or_b32 v34, v86, 2, v34
	v_pk_mul_f32 v[66:67], s[8:9], v[36:37] op_sel_hi:[0,1]
	v_or_b32_e32 v37, 1, v34
	v_mov_b32_e32 v35, 0xff7fffff
	v_cmp_gt_i32_e64 s[28:29], s33, v34
	v_cmp_gt_i32_e64 s[30:31], s33, v37
	v_or_b32_e32 v38, 3, v34
	v_cndmask_b32_e64 v36, v35, v50, s[28:29]
	v_cndmask_b32_e64 v37, v35, v51, s[30:31]
	v_max3_f32 v36, v36, s41, v37
	v_or_b32_e32 v37, 2, v34
	v_cmp_gt_i32_e64 s[34:35], s33, v37
	v_cmp_gt_i32_e64 s[36:37], s33, v38
	s_nop 0
	v_cndmask_b32_e64 v37, v35, v82, s[34:35]
	v_cndmask_b32_e64 v38, v35, v83, s[36:37]
	v_max3_f32 v36, v36, v37, v38
	v_or_b32_e32 v37, 16, v34
	v_or_b32_e32 v38, 17, v34
	v_cmp_gt_i32_e64 s[22:23], s33, v37
	v_cmp_gt_i32_e64 s[24:25], s33, v38
	s_nop 0
	v_cndmask_b32_e64 v37, v35, v70, s[22:23]
	v_cndmask_b32_e64 v38, v35, v71, s[24:25]
	v_max3_f32 v36, v36, v37, v38
	v_or_b32_e32 v37, 18, v34
	;; [unrolled: 8-line block ×6, first 2 shown]
	v_or_b32_e32 v34, 51, v34
	v_cmp_gt_i32_e32 vcc, s33, v37
	v_cmp_gt_i32_e64 s[4:5], s33, v34
	global_load_dwordx4 v[46:49], v[44:45], off
	global_load_dwordx4 v[38:41], v[44:45], off offset:16
	v_cndmask_b32_e32 v37, v35, v66, vcc
	v_cndmask_b32_e64 v34, v35, v67, s[4:5]
	v_max3_f32 v52, v36, v37, v34
	v_mbcnt_lo_u32_b32 v34, -1, 0
	v_mbcnt_hi_u32_b32 v53, -1, v34
	v_and_b32_e32 v34, 64, v53
	v_add_u32_e32 v54, 64, v34
	v_xor_b32_e32 v34, 32, v53
	v_cmp_lt_i32_e64 s[38:39], v34, v54
	s_nop 1
	v_cndmask_b32_e64 v34, v53, v34, s[38:39]
	v_lshlrev_b32_e32 v74, 2, v34
	ds_bpermute_b32 v55, v74, v52
	v_lshl_add_u64 v[34:35], v[64:65], 0, v[42:43]
	global_load_dwordx4 v[42:45], v[34:35], off
	s_nop 0
	global_load_dwordx4 v[34:37], v[34:35], off offset:16
	s_waitcnt lgkmcnt(0)
	v_max_f32_e32 v55, v55, v55
	v_max_f32_e32 v68, v52, v55
	v_xor_b32_e32 v52, 16, v53
	v_cmp_lt_i32_e64 s[38:39], v52, v54
	s_nop 1
	v_cndmask_b32_e64 v52, v53, v52, s[38:39]
	v_lshlrev_b32_e32 v75, 2, v52
	ds_bpermute_b32 v69, v75, v68
	v_lshl_add_u64 v[52:53], v[64:65], 0, v[56:57]
	global_load_dwordx4 v[58:61], v[52:53], off
	global_load_dwordx4 v[54:57], v[52:53], off offset:16
	v_lshl_add_u64 v[52:53], v[64:65], 0, v[62:63]
	s_waitcnt lgkmcnt(0)
	v_max_f32_e32 v62, v69, v69
	v_max_f32_e32 v88, v68, v62
	v_sub_f32_e32 v50, v50, v88
	v_mul_f32_e32 v50, 0x3fb8aa3b, v50
	v_exp_f32_e32 v68, v50
	v_sub_f32_e32 v50, v51, v88
	v_mul_f32_e32 v50, 0x3fb8aa3b, v50
	v_exp_f32_e32 v69, v50
	global_load_dwordx4 v[62:65], v[52:53], off
	s_nop 0
	global_load_dwordx4 v[50:53], v[52:53], off offset:16
	v_sub_f32_e32 v82, v82, v88
	v_mul_f32_e32 v82, 0x3fb8aa3b, v82
	v_sub_f32_e32 v83, v83, v88
	v_exp_f32_e32 v82, v82
	v_mul_f32_e32 v83, 0x3fb8aa3b, v83
	v_sub_f32_e32 v70, v70, v88
	v_exp_f32_e32 v83, v83
	v_mul_f32_e32 v70, 0x3fb8aa3b, v70
	v_sub_f32_e32 v71, v71, v88
	v_cndmask_b32_e64 v68, 0, v68, s[28:29]
	v_exp_f32_e32 v70, v70
	v_mul_f32_e32 v71, 0x3fb8aa3b, v71
	v_sub_f32_e32 v84, v84, v88
	v_add_f32_e32 v77, 0, v68
	v_cndmask_b32_e64 v69, 0, v69, s[30:31]
	v_exp_f32_e32 v71, v71
	v_mul_f32_e32 v84, 0x3fb8aa3b, v84
	v_sub_f32_e32 v85, v85, v88
	v_add_f32_e32 v77, v77, v69
	;; [unrolled: 5-line block ×10, first 2 shown]
	v_cndmask_b32_e64 v80, 0, v80, s[10:11]
	v_exp_f32_e32 v66, v66
	v_mul_f32_e32 v67, 0x3fb8aa3b, v67
	v_add_f32_e32 v77, v77, v80
	v_cndmask_b32_e64 v81, 0, v81, s[12:13]
	v_exp_f32_e32 v67, v67
	v_add_f32_e32 v77, v77, v81
	v_cndmask_b32_e64 v72, 0, v72, s[6:7]
	v_add_f32_e32 v77, v77, v72
	v_cndmask_b32_e64 v73, 0, v73, s[8:9]
	v_add_f32_e32 v77, v77, v73
	v_cndmask_b32_e32 v66, 0, v66, vcc
	v_add_f32_e32 v77, v77, v66
	v_cndmask_b32_e64 v67, 0, v67, s[4:5]
	v_add_f32_e32 v77, v77, v67
	ds_bpermute_b32 v74, v74, v77
	s_waitcnt lgkmcnt(0)
	s_barrier
	v_add_f32_e32 v89, v77, v74
	ds_bpermute_b32 v90, v75, v89
	v_and_b32_e32 v74, 63, v0
	v_cmp_gt_u32_e32 vcc, 16, v74
	s_and_saveexec_b64 s[4:5], vcc
	s_cbranch_execz .LBB722_15
; %bb.14:
	s_waitcnt lgkmcnt(0)
	v_add_f32_e32 v74, v89, v90
	v_lshlrev_b32_e32 v75, 2, v87
	ds_write2st64_b32 v75, v88, v74 offset1:1
.LBB722_15:
	s_or_b64 exec, exec, s[4:5]
	v_lshlrev_b32_e32 v77, 2, v76
	s_load_dword s6, s[0:1], 0x94
	s_waitcnt lgkmcnt(0)
	s_barrier
	ds_read2_b32 v[74:75], v77 offset1:16
	ds_read2_b32 v[88:89], v77 offset0:32 offset1:48
	ds_read2_b32 v[90:91], v77 offset0:64 offset1:80
	s_movk_i32 s8, 0x7fff
	s_mov_b32 s9, 0x7060302
	s_waitcnt lgkmcnt(2)
	v_max3_f32 v87, v74, s41, v75
	s_waitcnt lgkmcnt(1)
	v_max3_f32 v87, v87, v88, v89
	v_sub_f32_e32 v74, v74, v87
	v_mul_f32_e32 v74, 0x3fb8aa3b, v74
	v_exp_f32_e32 v92, v74
	v_sub_f32_e32 v74, v75, v87
	v_mul_f32_e32 v74, 0x3fb8aa3b, v74
	v_exp_f32_e32 v93, v74
	;; [unrolled: 3-line block ×3, first 2 shown]
	ds_read2_b32 v[74:75], v77 offset0:96 offset1:112
	v_sub_f32_e32 v77, v89, v87
	v_mul_f32_e32 v77, 0x3fb8aa3b, v77
	v_exp_f32_e32 v77, v77
	s_waitcnt lgkmcnt(1)
	v_fma_f32 v88, v92, v90, 0
	v_fmac_f32_e32 v88, v93, v91
	s_waitcnt lgkmcnt(0)
	v_fmac_f32_e32 v88, v94, v74
	v_fmac_f32_e32 v88, v77, v75
	v_add_f32_e32 v74, 0x358637bd, v88
	v_div_scale_f32 v75, s[4:5], v74, v74, 1.0
	v_rcp_f32_e32 v89, v75
	s_barrier
	v_fma_f32 v90, -v75, v89, 1.0
	v_fmac_f32_e32 v89, v90, v89
	v_div_scale_f32 v90, vcc, 1.0, v74, 1.0
	v_mul_f32_e32 v91, v90, v89
	v_fma_f32 v95, -v75, v91, v90
	v_fmac_f32_e32 v91, v95, v89
	v_fma_f32 v75, -v75, v91, v90
	v_div_fmas_f32 v75, v75, v89, v91
	v_cmp_eq_u32_e32 vcc, 1, v1
	v_div_fixup_f32 v74, v75, v74, 1.0
	s_mul_i32 s7, s27, 15
	v_cndmask_b32_e32 v75, v92, v93, vcc
	v_cmp_eq_u32_e32 vcc, 2, v1
	s_nop 1
	v_cndmask_b32_e32 v75, v75, v94, vcc
	v_cmp_eq_u32_e32 vcc, 3, v1
	v_lshlrev_b32_e32 v1, 11, v1
	s_nop 0
	v_cndmask_b32_e32 v75, v75, v77, vcc
	v_mul_f32_e32 v74, v75, v74
	v_pk_mul_f32 v[68:69], v[74:75], v[68:69] op_sel_hi:[0,1]
	v_pk_mul_f32 v[82:83], v[74:75], v[82:83] op_sel_hi:[0,1]
	v_bfe_u32 v75, v69, 16, 1
	v_bfe_u32 v77, v68, 16, 1
	v_add3_u32 v68, v68, v77, s8
	v_add3_u32 v69, v69, v75, s8
	v_perm_b32 v90, v69, v68, s9
	v_bfe_u32 v68, v83, 16, 1
	v_bfe_u32 v69, v82, 16, 1
	v_add3_u32 v69, v82, v69, s8
	v_add3_u32 v68, v83, v68, s8
	v_perm_b32 v91, v68, v69, s9
	v_lshlrev_b32_e32 v69, 3, v86
	v_lshlrev_b32_e32 v68, 5, v76
	v_pk_mul_f32 v[70:71], v[74:75], v[70:71] op_sel_hi:[0,1]
	v_or3_b32 v1, v1, v68, v69
	v_pk_mul_f32 v[82:83], v[74:75], v[84:85] op_sel_hi:[0,1]
	v_bfe_u32 v69, v71, 16, 1
	v_bfe_u32 v75, v70, 16, 1
	v_add3_u32 v70, v70, v75, s8
	v_add3_u32 v69, v71, v69, s8
	v_perm_b32 v70, v69, v70, s9
	v_bfe_u32 v69, v83, 16, 1
	v_bfe_u32 v71, v82, 16, 1
	v_add3_u32 v71, v82, v71, s8
	v_add3_u32 v69, v83, v69, s8
	v_perm_b32 v71, v69, v71, s9
	v_pk_mul_f32 v[78:79], v[74:75], v[78:79] op_sel_hi:[0,1]
	ds_write2st64_b64 v1, v[90:91], v[70:71] offset1:1
	v_pk_mul_f32 v[70:71], v[74:75], v[80:81] op_sel_hi:[0,1]
	v_bfe_u32 v69, v79, 16, 1
	v_bfe_u32 v75, v78, 16, 1
	v_add3_u32 v75, v78, v75, s8
	v_add3_u32 v69, v79, v69, s8
	v_perm_b32 v78, v69, v75, s9
	v_bfe_u32 v69, v71, 16, 1
	v_bfe_u32 v75, v70, 16, 1
	v_add3_u32 v70, v70, v75, s8
	v_add3_u32 v69, v71, v69, s8
	v_perm_b32 v79, v69, v70, s9
	v_pk_mul_f32 v[70:71], v[74:75], v[72:73] op_sel_hi:[0,1]
	v_bfe_u32 v69, v71, 16, 1
	v_bfe_u32 v72, v70, 16, 1
	v_pk_mul_f32 v[66:67], v[74:75], v[66:67] op_sel_hi:[0,1]
	v_add3_u32 v70, v70, v72, s8
	v_add3_u32 v69, v71, v69, s8
	v_perm_b32 v70, v69, v70, s9
	v_bfe_u32 v69, v67, 16, 1
	v_bfe_u32 v71, v66, 16, 1
	v_add3_u32 v66, v66, v71, s8
	v_add3_u32 v67, v67, v69, s8
	v_perm_b32 v71, v67, v66, s9
	v_cmp_gt_u32_e32 vcc, 15, v0
	ds_write2st64_b64 v1, v[78:79], v[70:71] offset0:2 offset1:3
	s_and_saveexec_b64 s[4:5], vcc
	s_cbranch_execz .LBB722_17
; %bb.16:
	s_mov_b32 s41, 0
	v_mov_b32_e32 v77, 0
	v_lshl_add_u64 v[66:67], s[40:41], 0, v[76:77]
	v_mov_b32_e32 v69, s7
	v_mad_u64_u32 v[66:67], s[10:11], s2, v69, v[66:67]
	s_mul_i32 s3, s3, s7
	v_mov_b32_e32 v70, s26
	v_mov_b32_e32 v71, v77
	s_load_dwordx4 s[12:15], s[0:1], 0x58
	v_add_u32_e32 v69, s3, v67
	v_mad_u64_u32 v[66:67], s[10:11], v66, s6, v[70:71]
	v_mov_b32_e32 v70, v67
	v_mad_u64_u32 v[70:71], s[10:11], v69, s6, v[70:71]
	v_mov_b32_e32 v67, v70
	v_lshlrev_b64 v[66:67], 2, v[66:67]
	s_waitcnt lgkmcnt(0)
	v_lshl_add_u64 v[70:71], s[14:15], 0, v[66:67]
	v_lshl_add_u64 v[66:67], s[12:13], 0, v[66:67]
	global_store_dword v[70:71], v87, off
	global_store_dword v[66:67], v88, off
.LBB722_17:
	s_or_b64 exec, exec, s[4:5]
	v_lshl_or_b32 v74, v86, 9, v68
	s_waitcnt lgkmcnt(0)
	s_barrier
	ds_read_b128 v[70:73], v74
	ds_read_b128 v[66:69], v74 offset:16
	s_waitcnt vmcnt(15) lgkmcnt(1)
	v_mfma_f32_16x16x16_bf16 v[78:81], v[30:31], v[70:71], 0
	s_mov_b32 s3, 0
	v_cmp_gt_u32_e32 vcc, 64, v0
	v_mfma_f32_16x16x16_bf16 v[30:33], v[32:33], v[72:73], v[78:81]
	s_waitcnt vmcnt(14) lgkmcnt(0)
	v_mfma_f32_16x16x16_bf16 v[30:33], v[26:27], v[66:67], v[30:33]
	v_mfma_f32_16x16x16_bf16 v[26:29], v[28:29], v[68:69], v[30:33]
	s_nop 5
	ds_read_b128 v[30:33], v74 offset:2048
	ds_read_b128 v[78:81], v74 offset:2064
	s_waitcnt vmcnt(13) lgkmcnt(1)
	v_mfma_f32_16x16x16_bf16 v[26:29], v[22:23], v[30:31], v[26:29]
	v_mfma_f32_16x16x16_bf16 v[22:25], v[24:25], v[32:33], v[26:29]
	s_waitcnt vmcnt(12) lgkmcnt(0)
	v_mfma_f32_16x16x16_bf16 v[22:25], v[18:19], v[78:79], v[22:25]
	v_mfma_f32_16x16x16_bf16 v[18:21], v[20:21], v[80:81], v[22:25]
	s_nop 5
	ds_read_b128 v[22:25], v74 offset:4096
	ds_read_b128 v[26:29], v74 offset:4112
	s_waitcnt vmcnt(11) lgkmcnt(1)
	v_mfma_f32_16x16x16_bf16 v[18:21], v[14:15], v[22:23], v[18:21]
	v_mfma_f32_16x16x16_bf16 v[14:17], v[16:17], v[24:25], v[18:21]
	s_waitcnt vmcnt(10) lgkmcnt(0)
	v_mfma_f32_16x16x16_bf16 v[14:17], v[10:11], v[26:27], v[14:17]
	v_mfma_f32_16x16x16_bf16 v[10:13], v[12:13], v[28:29], v[14:17]
	s_nop 5
	ds_read_b128 v[14:17], v74 offset:6144
	ds_read_b128 v[18:21], v74 offset:6160
	s_waitcnt lgkmcnt(0)
	s_barrier
	s_waitcnt vmcnt(9)
	v_mfma_f32_16x16x16_bf16 v[10:13], v[6:7], v[14:15], v[10:13]
	v_mfma_f32_16x16x16_bf16 v[6:9], v[8:9], v[16:17], v[10:13]
	s_waitcnt vmcnt(8)
	v_mfma_f32_16x16x16_bf16 v[6:9], v[2:3], v[18:19], v[6:9]
	v_mfma_f32_16x16x16_bf16 v[2:5], v[4:5], v[20:21], v[6:9]
	;; [unrolled: 3-line block ×3, first 2 shown]
	s_nop 3
	v_bfe_u32 v10, v3, 16, 1
	v_bfe_u32 v11, v2, 16, 1
	v_add3_u32 v2, v2, v11, s8
	s_waitcnt vmcnt(6)
	v_mfma_f32_16x16x16_bf16 v[6:9], v[38:39], v[66:67], v[6:9]
	v_add3_u32 v3, v3, v10, s8
	v_perm_b32 v10, v3, v2, s9
	v_bfe_u32 v2, v5, 16, 1
	v_mfma_f32_16x16x16_bf16 v[6:9], v[40:41], v[68:69], v[6:9]
	v_bfe_u32 v3, v4, 16, 1
	v_add3_u32 v3, v4, v3, s8
	v_add3_u32 v2, v5, v2, s8
	s_waitcnt vmcnt(5)
	v_mfma_f32_16x16x16_bf16 v[6:9], v[42:43], v[30:31], v[6:9]
	v_perm_b32 v11, v2, v3, s9
	v_mfma_f32_16x16x16_bf16 v[6:9], v[44:45], v[32:33], v[6:9]
	s_waitcnt vmcnt(4)
	v_mfma_f32_16x16x16_bf16 v[6:9], v[34:35], v[78:79], v[6:9]
	v_mfma_f32_16x16x16_bf16 v[6:9], v[36:37], v[80:81], v[6:9]
	s_waitcnt vmcnt(3)
	v_mfma_f32_16x16x16_bf16 v[6:9], v[58:59], v[22:23], v[6:9]
	;; [unrolled: 3-line block ×5, first 2 shown]
	v_mfma_f32_16x16x16_bf16 v[2:5], v[52:53], v[20:21], v[6:9]
	s_nop 6
	v_bfe_u32 v6, v3, 16, 1
	v_bfe_u32 v7, v2, 16, 1
	v_add3_u32 v2, v2, v7, s8
	v_add3_u32 v3, v3, v6, s8
	v_perm_b32 v2, v3, v2, s9
	v_bfe_u32 v3, v5, 16, 1
	v_bfe_u32 v6, v4, 16, 1
	v_add3_u32 v4, v4, v6, s8
	v_add3_u32 v3, v5, v3, s8
	v_perm_b32 v3, v3, v4, s9
	ds_write2st64_b64 v1, v[10:11], v[2:3] offset1:1
	s_waitcnt lgkmcnt(0)
	s_barrier
	s_and_saveexec_b64 s[4:5], vcc
	s_cbranch_execz .LBB722_20
; %bb.18:
	v_lshlrev_b32_e32 v3, 6, v76
	v_lshlrev_b32_e32 v2, 4, v0
	v_lshl_or_b32 v0, v0, 10, v3
	v_lshlrev_b32_e32 v1, 5, v86
	v_and_b32_e32 v2, 16, v2
	v_and_b32_e32 v0, 0x1a00, v0
	v_or3_b32 v2, v0, v1, v2
	scratch_load_dwordx2 v[0:1], off, off   ; 8-byte Folded Reload
	s_load_dwordx2 s[4:5], s[0:1], 0x68
	s_lshl_b32 s0, s6, 7
	s_mul_i32 s1, s7, s2
	s_mul_hi_u32 s7, s1, s0
	s_mul_i32 s6, s1, s0
	s_lshl_b64 s[6:7], s[6:7], 1
	s_waitcnt lgkmcnt(0)
	s_add_u32 s1, s4, s6
	s_addc_u32 s4, s5, s7
	s_lshl_b32 s2, s26, 7
	ds_read_b128 v[4:7], v2 offset:256
	s_lshl_b64 s[2:3], s[2:3], 1
	ds_read_b128 v[8:11], v2 offset:128
	ds_read_b128 v[12:15], v2
	s_add_u32 s2, s1, s2
	s_addc_u32 s3, s4, s3
	v_add_u32_e32 v3, s40, v86
	v_cmp_ne_u32_e32 vcc, 3, v86
	s_waitcnt vmcnt(0)
	v_lshl_add_u64 v[0:1], v[0:1], 1, s[2:3]
	v_mad_u64_u32 v[16:17], s[2:3], v3, s0, 0
	v_lshl_add_u64 v[16:17], v[16:17], 1, v[0:1]
	s_waitcnt lgkmcnt(0)
	global_store_dwordx4 v[16:17], v[12:15], off
	s_nop 1
	v_add_u32_e32 v12, 4, v3
	v_mad_u64_u32 v[12:13], s[2:3], v12, s0, 0
	v_lshl_add_u64 v[12:13], v[12:13], 1, v[0:1]
	v_add_u32_e32 v3, 8, v3
	global_store_dwordx4 v[12:13], v[8:11], off
	s_nop 1
	v_mad_u64_u32 v[8:9], s[2:3], v3, s0, 0
	v_lshl_add_u64 v[8:9], v[8:9], 1, v[0:1]
	global_store_dwordx4 v[8:9], v[4:7], off
	s_and_b64 exec, exec, vcc
	s_cbranch_execz .LBB722_20
; %bb.19:
	ds_read_b128 v[2:5], v2 offset:384
	v_add3_u32 v6, s40, v86, 12
	v_mad_u64_u32 v[6:7], s[0:1], v6, s0, 0
	v_lshl_add_u64 v[0:1], v[6:7], 1, v[0:1]
	s_waitcnt lgkmcnt(0)
	global_store_dwordx4 v[0:1], v[2:5], off
.LBB722_20:
	s_endpgm
	.section	.rodata,"a",@progbits
	.p2align	6, 0x0
	.amdhsa_kernel _Z39paged_attention_ll4mi_QKV_mfma16_kernelI14__hip_bfloat16S0_LN4vllm18Fp8KVCacheDataTypeE0EhLi32ELi128ELi256ELb0ELi15EEvPKT_PKT0_S8_ifPKiSA_SA_iPKfiiiPfSD_PS3_PT2_iSC_SC_
		.amdhsa_group_segment_fixed_size 8192
		.amdhsa_private_segment_fixed_size 12
		.amdhsa_kernarg_size 400
		.amdhsa_user_sgpr_count 2
		.amdhsa_user_sgpr_dispatch_ptr 0
		.amdhsa_user_sgpr_queue_ptr 0
		.amdhsa_user_sgpr_kernarg_segment_ptr 1
		.amdhsa_user_sgpr_dispatch_id 0
		.amdhsa_user_sgpr_kernarg_preload_length 0
		.amdhsa_user_sgpr_kernarg_preload_offset 0
		.amdhsa_user_sgpr_private_segment_size 0
		.amdhsa_uses_dynamic_stack 0
		.amdhsa_enable_private_segment 1
		.amdhsa_system_sgpr_workgroup_id_x 1
		.amdhsa_system_sgpr_workgroup_id_y 1
		.amdhsa_system_sgpr_workgroup_id_z 1
		.amdhsa_system_sgpr_workgroup_info 0
		.amdhsa_system_vgpr_workitem_id 0
		.amdhsa_next_free_vgpr 96
		.amdhsa_next_free_sgpr 42
		.amdhsa_accum_offset 96
		.amdhsa_reserve_vcc 1
		.amdhsa_float_round_mode_32 0
		.amdhsa_float_round_mode_16_64 0
		.amdhsa_float_denorm_mode_32 3
		.amdhsa_float_denorm_mode_16_64 3
		.amdhsa_dx10_clamp 1
		.amdhsa_ieee_mode 1
		.amdhsa_fp16_overflow 0
		.amdhsa_tg_split 0
		.amdhsa_exception_fp_ieee_invalid_op 0
		.amdhsa_exception_fp_denorm_src 0
		.amdhsa_exception_fp_ieee_div_zero 0
		.amdhsa_exception_fp_ieee_overflow 0
		.amdhsa_exception_fp_ieee_underflow 0
		.amdhsa_exception_fp_ieee_inexact 0
		.amdhsa_exception_int_div_zero 0
	.end_amdhsa_kernel
	.section	.text._Z39paged_attention_ll4mi_QKV_mfma16_kernelI14__hip_bfloat16S0_LN4vllm18Fp8KVCacheDataTypeE0EhLi32ELi128ELi256ELb0ELi15EEvPKT_PKT0_S8_ifPKiSA_SA_iPKfiiiPfSD_PS3_PT2_iSC_SC_,"axG",@progbits,_Z39paged_attention_ll4mi_QKV_mfma16_kernelI14__hip_bfloat16S0_LN4vllm18Fp8KVCacheDataTypeE0EhLi32ELi128ELi256ELb0ELi15EEvPKT_PKT0_S8_ifPKiSA_SA_iPKfiiiPfSD_PS3_PT2_iSC_SC_,comdat
.Lfunc_end722:
	.size	_Z39paged_attention_ll4mi_QKV_mfma16_kernelI14__hip_bfloat16S0_LN4vllm18Fp8KVCacheDataTypeE0EhLi32ELi128ELi256ELb0ELi15EEvPKT_PKT0_S8_ifPKiSA_SA_iPKfiiiPfSD_PS3_PT2_iSC_SC_, .Lfunc_end722-_Z39paged_attention_ll4mi_QKV_mfma16_kernelI14__hip_bfloat16S0_LN4vllm18Fp8KVCacheDataTypeE0EhLi32ELi128ELi256ELb0ELi15EEvPKT_PKT0_S8_ifPKiSA_SA_iPKfiiiPfSD_PS3_PT2_iSC_SC_
                                        ; -- End function
	.section	.AMDGPU.csdata,"",@progbits
; Kernel info:
; codeLenInByte = 4936
; NumSgprs: 48
; NumVgprs: 96
; NumAgprs: 0
; TotalNumVgprs: 96
; ScratchSize: 12
; MemoryBound: 0
; FloatMode: 240
; IeeeMode: 1
; LDSByteSize: 8192 bytes/workgroup (compile time only)
; SGPRBlocks: 5
; VGPRBlocks: 11
; NumSGPRsForWavesPerEU: 48
; NumVGPRsForWavesPerEU: 96
; AccumOffset: 96
; Occupancy: 5
; WaveLimiterHint : 1
; COMPUTE_PGM_RSRC2:SCRATCH_EN: 1
; COMPUTE_PGM_RSRC2:USER_SGPR: 2
; COMPUTE_PGM_RSRC2:TRAP_HANDLER: 0
; COMPUTE_PGM_RSRC2:TGID_X_EN: 1
; COMPUTE_PGM_RSRC2:TGID_Y_EN: 1
; COMPUTE_PGM_RSRC2:TGID_Z_EN: 1
; COMPUTE_PGM_RSRC2:TIDIG_COMP_CNT: 0
; COMPUTE_PGM_RSRC3_GFX90A:ACCUM_OFFSET: 23
; COMPUTE_PGM_RSRC3_GFX90A:TG_SPLIT: 0
	.section	.text._Z39paged_attention_ll4mi_QKV_mfma16_kernelI14__hip_bfloat16S0_LN4vllm18Fp8KVCacheDataTypeE0EhLi32ELi128ELi256ELb0ELi16EEvPKT_PKT0_S8_ifPKiSA_SA_iPKfiiiPfSD_PS3_PT2_iSC_SC_,"axG",@progbits,_Z39paged_attention_ll4mi_QKV_mfma16_kernelI14__hip_bfloat16S0_LN4vllm18Fp8KVCacheDataTypeE0EhLi32ELi128ELi256ELb0ELi16EEvPKT_PKT0_S8_ifPKiSA_SA_iPKfiiiPfSD_PS3_PT2_iSC_SC_,comdat
	.protected	_Z39paged_attention_ll4mi_QKV_mfma16_kernelI14__hip_bfloat16S0_LN4vllm18Fp8KVCacheDataTypeE0EhLi32ELi128ELi256ELb0ELi16EEvPKT_PKT0_S8_ifPKiSA_SA_iPKfiiiPfSD_PS3_PT2_iSC_SC_ ; -- Begin function _Z39paged_attention_ll4mi_QKV_mfma16_kernelI14__hip_bfloat16S0_LN4vllm18Fp8KVCacheDataTypeE0EhLi32ELi128ELi256ELb0ELi16EEvPKT_PKT0_S8_ifPKiSA_SA_iPKfiiiPfSD_PS3_PT2_iSC_SC_
	.globl	_Z39paged_attention_ll4mi_QKV_mfma16_kernelI14__hip_bfloat16S0_LN4vllm18Fp8KVCacheDataTypeE0EhLi32ELi128ELi256ELb0ELi16EEvPKT_PKT0_S8_ifPKiSA_SA_iPKfiiiPfSD_PS3_PT2_iSC_SC_
	.p2align	8
	.type	_Z39paged_attention_ll4mi_QKV_mfma16_kernelI14__hip_bfloat16S0_LN4vllm18Fp8KVCacheDataTypeE0EhLi32ELi128ELi256ELb0ELi16EEvPKT_PKT0_S8_ifPKiSA_SA_iPKfiiiPfSD_PS3_PT2_iSC_SC_,@function
_Z39paged_attention_ll4mi_QKV_mfma16_kernelI14__hip_bfloat16S0_LN4vllm18Fp8KVCacheDataTypeE0EhLi32ELi128ELi256ELb0ELi16EEvPKT_PKT0_S8_ifPKiSA_SA_iPKfiiiPfSD_PS3_PT2_iSC_SC_: ; @_Z39paged_attention_ll4mi_QKV_mfma16_kernelI14__hip_bfloat16S0_LN4vllm18Fp8KVCacheDataTypeE0EhLi32ELi128ELi256ELb0ELi16EEvPKT_PKT0_S8_ifPKiSA_SA_iPKfiiiPfSD_PS3_PT2_iSC_SC_
; %bb.0:
	s_load_dwordx2 s[8:9], s[0:1], 0x30
	s_mov_b32 s26, s3
	s_mov_b64 s[6:7], 0
	s_waitcnt lgkmcnt(0)
	s_cmp_lg_u64 s[8:9], 0
	s_cselect_b64 s[10:11], -1, 0
	s_and_b64 vcc, exec, s[10:11]
	s_cbranch_vccz .LBB723_7
; %bb.1:
	s_add_i32 s12, s2, 1
	s_mov_b32 s13, 0
	s_lshl_b64 s[14:15], s[12:13], 2
	s_add_u32 s14, s8, s14
	s_mov_b32 s3, s13
	s_addc_u32 s15, s9, s15
	s_lshl_b64 s[12:13], s[2:3], 2
	s_add_u32 s12, s8, s12
	s_addc_u32 s13, s9, s13
	s_load_dword s5, s[14:15], 0x0
	s_load_dword s16, s[12:13], 0x0
	s_waitcnt lgkmcnt(0)
	s_sub_i32 s5, s5, s16
	s_cmp_eq_u32 s5, 1
	s_cselect_b64 s[12:13], -1, 0
	s_andn2_b64 vcc, exec, s[6:7]
	s_cbranch_vccnz .LBB723_3
.LBB723_2:
	s_mov_b32 s3, 0
	s_mov_b64 s[12:13], -1
.LBB723_3:
	s_andn2_b64 vcc, exec, s[12:13]
	s_cbranch_vccnz .LBB723_19
; %bb.4:
	s_load_dwordx2 s[6:7], s[0:1], 0x28
	s_lshl_b64 s[12:13], s[2:3], 2
	s_waitcnt lgkmcnt(0)
	s_add_u32 s6, s6, s12
	s_addc_u32 s7, s7, s13
	s_load_dword s38, s[6:7], 0x0
	s_lshl_b32 s18, s26, 8
	s_waitcnt lgkmcnt(0)
	s_cmp_ge_i32 s18, s38
	s_cbranch_scc1 .LBB723_19
; %bb.5:
	s_load_dwordx2 s[6:7], s[0:1], 0x20
	s_load_dword s5, s[0:1], 0x38
	s_add_i32 s14, s38, 31
	s_ashr_i32 s15, s14, 31
	v_and_b32_e32 v1, 0xcf, v0
	s_lshr_b32 s15, s15, 27
	v_add_u32_e32 v1, s18, v1
	s_add_i32 s14, s14, s15
	v_ashrrev_i32_e32 v2, 31, v1
	s_ashr_i32 s19, s14, 5
	v_lshrrev_b32_e32 v6, 27, v2
	s_add_i32 s19, s19, -1
	s_waitcnt lgkmcnt(0)
	s_mul_i32 s14, s2, s5
	s_mov_b32 s15, 0
	v_add_u32_e32 v2, v1, v6
	s_lshl_b64 s[14:15], s[14:15], 2
	v_ashrrev_i32_e32 v2, 5, v2
	v_mov_b32_e32 v7, s19
	v_cmp_gt_i32_e32 vcc, s38, v1
	s_add_u32 s6, s6, s14
	s_addc_u32 s7, s7, s15
	v_cndmask_b32_e32 v2, v7, v2, vcc
	v_ashrrev_i32_e32 v3, 31, v2
	v_lshl_add_u64 v[4:5], v[2:3], 2, s[6:7]
	v_or_b32_e32 v2, 16, v1
	v_add_u32_e32 v3, v2, v6
	v_ashrrev_i32_e32 v3, 5, v3
	v_cmp_gt_i32_e32 vcc, s38, v2
	s_nop 1
	v_cndmask_b32_e32 v2, v7, v3, vcc
	v_ashrrev_i32_e32 v3, 31, v2
	v_lshl_add_u64 v[8:9], v[2:3], 2, s[6:7]
	v_or_b32_e32 v2, 32, v1
	v_add_u32_e32 v3, v2, v6
	v_ashrrev_i32_e32 v3, 5, v3
	v_cmp_gt_i32_e32 vcc, s38, v2
	v_or_b32_e32 v1, 48, v1
	s_nop 0
	v_cndmask_b32_e32 v2, v7, v3, vcc
	v_ashrrev_i32_e32 v3, 31, v2
	v_lshl_add_u64 v[10:11], v[2:3], 2, s[6:7]
	v_add_u32_e32 v2, v1, v6
	v_ashrrev_i32_e32 v2, 5, v2
	v_cmp_gt_i32_e32 vcc, s38, v1
	s_nop 1
	v_cndmask_b32_e32 v2, v7, v2, vcc
	v_ashrrev_i32_e32 v3, 31, v2
	v_lshl_add_u64 v[12:13], v[2:3], 2, s[6:7]
	global_load_dword v2, v[4:5], off
	global_load_dword v7, v[8:9], off
	;; [unrolled: 1-line block ×4, first 2 shown]
	s_andn2_b64 vcc, exec, s[10:11]
	s_cbranch_vccnz .LBB723_8
; %bb.6:
	s_add_u32 s8, s8, s12
	s_addc_u32 s9, s9, s13
	s_load_dword s5, s[8:9], 0x0
	s_branch .LBB723_9
.LBB723_7:
	s_mov_b64 s[12:13], 0
	s_branch .LBB723_2
.LBB723_8:
	s_mov_b32 s5, s2
.LBB723_9:
	s_load_dwordx4 s[12:15], s[0:1], 0x8
	s_load_dwordx4 s[8:11], s[0:1], 0x48
	v_and_b32_e32 v1, 15, v0
	s_waitcnt lgkmcnt(0)
	s_movk_i32 s11, 0xff
	v_lshlrev_b32_e32 v12, 3, v1
	v_cmp_lt_u32_e32 vcc, s11, v0
	s_and_saveexec_b64 s[16:17], vcc
	s_xor_b64 s[16:17], exec, s[16:17]
; %bb.10:
	v_mov_b32_e32 v13, 0
; %bb.11:
	s_or_saveexec_b64 s[16:17], s[16:17]
	v_lshrrev_b32_e32 v95, 6, v0
	s_lshl_b32 s27, s4, 4
	v_bfe_u32 v85, v0, 4, 2
	s_xor_b64 exec, exec, s[16:17]
	s_cbranch_execz .LBB723_13
; %bb.12:
	s_load_dwordx2 s[20:21], s[0:1], 0x0
	s_ashr_i32 s11, s8, 31
	s_mul_hi_u32 s22, s5, s8
	s_mul_i32 s11, s5, s11
	s_add_i32 s23, s22, s11
	s_mul_i32 s22, s5, s8
	v_lshl_or_b32 v1, v95, 2, v85
	s_lshl_b64 s[22:23], s[22:23], 1
	s_waitcnt lgkmcnt(0)
	s_add_u32 s20, s20, s22
	v_add_lshl_u32 v4, v1, s27, 7
	s_addc_u32 s21, s21, s23
	v_ashrrev_i32_e32 v5, 31, v4
	v_mov_b32_e32 v13, 0
	v_lshl_add_u64 v[4:5], v[4:5], 1, s[20:21]
	v_lshlrev_b32_e32 v8, 1, v12
	v_mov_b32_e32 v9, v13
	v_lshl_add_u64 v[4:5], v[4:5], 0, v[8:9]
	global_load_dwordx4 v[8:11], v[4:5], off
	v_and_b32_e32 v4, 15, v0
	v_and_b32_e32 v3, 3, v0
	v_lshlrev_b32_e32 v4, 9, v4
	v_lshlrev_b32_e32 v1, 5, v1
	;; [unrolled: 1-line block ×3, first 2 shown]
	v_and_b32_e32 v4, 0x1800, v4
	v_or3_b32 v1, v4, v3, v1
	s_waitcnt vmcnt(0)
	ds_write_b128 v1, v[8:11]
.LBB723_13:
	s_or_b64 exec, exec, s[16:17]
	s_mul_i32 s4, s4, s10
	s_mov_b32 s5, 0
	s_lshl_b64 s[4:5], s[4:5], 1
	s_add_u32 s10, s12, s4
	s_addc_u32 s11, s13, s5
	s_waitcnt vmcnt(3)
	v_mad_i64_i32 v[2:3], s[12:13], v2, s9, 0
	v_mov_b32_e32 v55, 0
	s_waitcnt vmcnt(2)
	v_mad_i64_i32 v[8:9], s[12:13], v7, s9, 0
	v_mov_b32_e32 v1, 0x100
	v_and_b32_e32 v94, 15, v0
	v_lshl_add_u64 v[2:3], v[2:3], 1, s[10:11]
	v_lshlrev_b64 v[4:5], 1, v[12:13]
	v_lshl_add_u64 v[8:9], v[8:9], 1, s[10:11]
	v_lshl_or_b32 v56, v94, 4, v1
	v_mov_b32_e32 v57, v55
	v_lshlrev_b32_e32 v54, 9, v85
	v_lshl_add_u64 v[2:3], v[2:3], 0, v[4:5]
	v_lshl_add_u64 v[20:21], v[8:9], 0, v[56:57]
	;; [unrolled: 1-line block ×4, first 2 shown]
	s_load_dword s33, s[0:1], 0x98
	s_load_dword s8, s[0:1], 0x1c
	s_waitcnt lgkmcnt(0)
	s_barrier
	scratch_store_dwordx2 off, v[12:13], off offset:4 ; 8-byte Folded Spill
	global_load_dwordx4 v[14:17], v[18:19], off
	s_waitcnt vmcnt(3)
	v_mad_i64_i32 v[6:7], s[12:13], v6, s9, 0
	global_load_dwordx4 v[10:13], v[22:23], off
	v_lshl_add_u64 v[6:7], v[6:7], 1, s[10:11]
	v_lshl_add_u64 v[60:61], v[6:7], 0, v[4:5]
	;; [unrolled: 1-line block ×3, first 2 shown]
	global_load_dwordx4 v[6:9], v[46:47], off
	global_load_dwordx4 v[42:45], v[18:19], off offset:2048
	global_load_dwordx4 v[38:41], v[22:23], off offset:2048
	v_or_b32_e32 v62, 0x1000, v54
	v_mov_b32_e32 v63, v55
	v_lshl_add_u64 v[4:5], v[2:3], 0, v[62:63]
	global_load_dwordx4 v[30:33], v[4:5], off
	v_or_b32_e32 v58, 0x1800, v54
	v_mov_b32_e32 v59, v55
	v_lshl_add_u64 v[2:3], v[2:3], 0, v[58:59]
	global_load_dwordx4 v[22:25], v[2:3], off
	v_lshl_add_u64 v[4:5], v[20:21], 0, v[62:63]
	global_load_dwordx4 v[26:29], v[4:5], off
	;; [unrolled: 2-line block ×3, first 2 shown]
	v_lshl_or_b32 v49, v94, 5, v54
	ds_read_b128 v[2:5], v49
	s_waitcnt vmcnt(10)
	v_mad_i64_i32 v[64:65], s[12:13], v34, s9, 0
	ds_read_b128 v[34:37], v49 offset:2048
	global_load_dwordx4 v[76:79], v[46:47], off offset:2048
	s_ashr_i32 s12, s18, 31
	v_and_or_b32 v1, v0, 48, s18
	ds_read_b128 v[50:53], v49 offset:4096
	v_mov_b32_e32 v74, s19
	v_cmp_gt_i32_e32 vcc, s38, v1
	v_or_b32_e32 v75, 64, v1
	v_or_b32_e32 v86, 0x80, v1
	scratch_store_dword off, v49, off       ; 4-byte Folded Spill
	v_or_b32_e32 v87, 0xc0, v1
	s_mov_b32 s40, 0xff7fffff
	s_waitcnt vmcnt(8) lgkmcnt(2)
	v_mfma_f32_16x16x16_bf16 v[80:83], v[6:7], v[2:3], 0
	v_lshl_add_u64 v[6:7], v[64:65], 1, s[10:11]
	s_lshr_b32 s10, s12, 27
	v_lshl_add_u64 v[6:7], v[6:7], 0, v[56:57]
	v_mfma_f32_16x16x16_bf16 v[70:73], v[10:11], v[2:3], 0
	v_lshl_add_u64 v[64:65], v[6:7], 0, v[54:55]
	v_lshl_add_u64 v[56:57], v[60:61], 0, v[58:59]
	s_add_u32 s4, s14, s4
	v_mfma_f32_16x16x16_bf16 v[66:69], v[14:15], v[2:3], 0
	s_addc_u32 s5, s15, s5
	v_mfma_f32_16x16x16_bf16 v[10:13], v[12:13], v[4:5], v[70:73]
	v_mfma_f32_16x16x16_bf16 v[14:17], v[16:17], v[4:5], v[66:69]
	s_nop 1
	v_lshl_add_u64 v[72:73], v[6:7], 0, v[62:63]
	s_waitcnt vmcnt(6) lgkmcnt(1)
	v_mfma_f32_16x16x16_bf16 v[10:13], v[38:39], v[34:35], v[10:13]
	v_add_u32_e32 v66, s10, v1
	v_ashrrev_i32_e32 v54, 5, v66
	v_add_u32_e32 v67, s10, v75
	v_mfma_f32_16x16x16_bf16 v[14:17], v[42:43], v[34:35], v[14:17]
	v_lshl_add_u64 v[42:43], v[60:61], 0, v[62:63]
	v_ashrrev_i32_e32 v60, 5, v67
	v_add_u32_e32 v68, s10, v86
	v_mfma_f32_16x16x16_bf16 v[10:13], v[40:41], v[36:37], v[10:13]
	global_load_dwordx4 v[38:41], v[42:43], off
	v_cndmask_b32_e32 v42, v74, v54, vcc
	v_ashrrev_i32_e32 v43, 31, v42
	v_mfma_f32_16x16x16_bf16 v[14:17], v[44:45], v[36:37], v[14:17]
	v_cmp_gt_i32_e32 vcc, s38, v75
	ds_read_b128 v[46:49], v49 offset:6144
	v_ashrrev_i32_e32 v66, 5, v68
	s_waitcnt vmcnt(6) lgkmcnt(1)
	v_mfma_f32_16x16x16_bf16 v[14:17], v[30:31], v[50:51], v[14:17]
	v_lshl_add_u64 v[30:31], v[42:43], 2, s[6:7]
	global_load_dwordx4 v[42:45], v[56:57], off
	v_add_u32_e32 v69, s10, v87
	global_load_dword v30, v[30:31], off
	s_waitcnt vmcnt(6)
	v_mfma_f32_16x16x16_bf16 v[10:13], v[26:27], v[50:51], v[10:13]
	v_cndmask_b32_e32 v26, v74, v60, vcc
	v_ashrrev_i32_e32 v27, 31, v26
	v_lshl_add_u64 v[26:27], v[26:27], 2, s[6:7]
	global_load_dwordx4 v[60:63], v[64:65], off
	global_load_dword v56, v[26:27], off
	v_mfma_f32_16x16x16_bf16 v[14:17], v[32:33], v[52:53], v[14:17]
	v_cmp_gt_i32_e32 vcc, s38, v86
	v_ashrrev_i32_e32 v68, 5, v69
	v_and_b32_e32 v1, 16, v0
	v_cndmask_b32_e32 v26, v74, v66, vcc
	v_ashrrev_i32_e32 v27, 31, v26
	s_waitcnt lgkmcnt(0)
	v_mfma_f32_16x16x16_bf16 v[14:17], v[22:23], v[46:47], v[14:17]
	v_lshl_add_u64 v[22:23], v[26:27], 2, s[6:7]
	global_load_dword v57, v[22:23], off
	v_cmp_gt_i32_e32 vcc, s38, v87
	global_load_dwordx4 v[64:67], v[64:65], off offset:2048
	v_mfma_f32_16x16x16_bf16 v[10:13], v[28:29], v[52:53], v[10:13]
	v_lshlrev_b32_e32 v54, 1, v1
	v_lshl_or_b32 v1, v95, 4, v94
	s_waitcnt vmcnt(9)
	v_mfma_f32_16x16x16_bf16 v[10:13], v[18:19], v[46:47], v[10:13]
	v_cndmask_b32_e32 v18, v74, v68, vcc
	global_load_dwordx4 v[72:75], v[72:73], off
	v_ashrrev_i32_e32 v19, 31, v18
	v_mfma_f32_16x16x16_bf16 v[90:93], v[20:21], v[48:49], v[10:13]
	s_nop 2
	v_lshl_add_u64 v[10:11], v[6:7], 0, v[58:59]
	global_load_dwordx4 v[86:89], v[10:11], off
	v_mfma_f32_16x16x16_bf16 v[68:71], v[24:25], v[48:49], v[14:17]
	v_lshl_add_u64 v[58:59], s[4:5], 0, v[54:55]
	v_lshlrev_b32_e32 v54, 6, v1
	s_waitcnt vmcnt(6)
	v_mad_i64_i32 v[10:11], s[4:5], v30, s9, 0
	v_lshl_add_u64 v[14:15], v[18:19], 2, s[6:7]
	global_load_dword v84, v[14:15], off
	v_mfma_f32_16x16x16_bf16 v[6:9], v[8:9], v[4:5], v[80:83]
	v_mfma_f32_16x16x16_bf16 v[6:9], v[76:77], v[34:35], v[6:9]
	v_lshl_add_u64 v[76:77], v[58:59], 0, v[54:55]
	s_nop 0
	v_pk_mul_f32 v[80:81], s[8:9], v[70:71] op_sel_hi:[0,1]
	v_pk_mul_f32 v[70:71], s[8:9], v[90:91] op_sel_hi:[0,1]
	v_mfma_f32_16x16x16_bf16 v[6:9], v[78:79], v[36:37], v[6:9]
	v_lshlrev_b64 v[78:79], 1, v[10:11]
	v_lshl_add_u64 v[10:11], v[76:77], 0, v[78:79]
	global_load_dwordx4 v[30:33], v[10:11], off
	global_load_dwordx4 v[26:29], v[10:11], off offset:16
	v_mfma_f32_16x16x16_bf16 v[6:9], v[38:39], v[50:51], v[6:9]
	s_waitcnt vmcnt(7)
	v_mad_i64_i32 v[10:11], s[4:5], v56, s9, 0
	v_pk_mul_f32 v[82:83], s[8:9], v[92:93] op_sel_hi:[0,1]
	v_mfma_f32_16x16x16_bf16 v[6:9], v[40:41], v[52:53], v[6:9]
	v_or_b32_e32 v54, 0x1000, v54
	v_mfma_f32_16x16x16_bf16 v[6:9], v[42:43], v[46:47], v[6:9]
	v_lshlrev_b64 v[42:43], 1, v[10:11]
	v_mfma_f32_16x16x16_bf16 v[38:41], v[44:45], v[48:49], v[6:9]
	s_nop 4
	v_lshl_add_u64 v[6:7], v[76:77], 0, v[42:43]
	global_load_dwordx4 v[22:25], v[6:7], off
	global_load_dwordx4 v[18:21], v[6:7], off offset:16
	v_mfma_f32_16x16x16_bf16 v[6:9], v[60:61], v[2:3], 0
	s_waitcnt vmcnt(8)
	v_mad_i64_i32 v[2:3], s[4:5], v57, s9, 0
	v_lshlrev_b64 v[56:57], 1, v[2:3]
	v_mfma_f32_16x16x16_bf16 v[2:5], v[62:63], v[4:5], v[6:9]
	s_waitcnt vmcnt(7)
	v_mfma_f32_16x16x16_bf16 v[2:5], v[64:65], v[34:35], v[2:5]
	s_nop 0
	v_lshl_add_u64 v[6:7], v[76:77], 0, v[56:57]
	global_load_dwordx4 v[14:17], v[6:7], off
	global_load_dwordx4 v[10:13], v[6:7], off offset:16
	v_lshl_add_u64 v[64:65], v[58:59], 0, v[54:55]
	v_mfma_f32_16x16x16_bf16 v[34:37], v[66:67], v[36:37], v[2:5]
	v_lshl_add_u64 v[44:45], v[64:65], 0, v[78:79]
	v_pk_mul_f32 v[78:79], s[8:9], v[40:41] op_sel_hi:[0,1]
	s_waitcnt vmcnt(6)
	v_mad_i64_i32 v[6:7], s[4:5], v84, s9, 0
	v_mfma_f32_16x16x16_bf16 v[34:37], v[72:73], v[50:51], v[34:37]
	v_pk_mul_f32 v[50:51], s[8:9], v[68:69] op_sel_hi:[0,1]
	v_lshlrev_b64 v[62:63], 1, v[6:7]
	v_lshl_add_u64 v[2:3], v[76:77], 0, v[62:63]
	v_mfma_f32_16x16x16_bf16 v[34:37], v[74:75], v[52:53], v[34:37]
	v_pk_mul_f32 v[76:77], s[8:9], v[38:39] op_sel_hi:[0,1]
	global_load_dwordx4 v[6:9], v[2:3], off
	s_nop 0
	global_load_dwordx4 v[2:5], v[2:3], off offset:16
	v_mfma_f32_16x16x16_bf16 v[34:37], v[86:87], v[46:47], v[34:37]
	v_mfma_f32_16x16x16_bf16 v[34:37], v[88:89], v[48:49], v[34:37]
	s_nop 6
	v_pk_mul_f32 v[72:73], s[8:9], v[34:35] op_sel_hi:[0,1]
	v_and_b32_e32 v34, 0xc0, v0
	v_add_u32_e32 v34, s18, v34
	v_lshl_or_b32 v34, v85, 2, v34
	v_pk_mul_f32 v[66:67], s[8:9], v[36:37] op_sel_hi:[0,1]
	v_or_b32_e32 v37, 1, v34
	v_mov_b32_e32 v35, 0xff7fffff
	v_cmp_gt_i32_e64 s[28:29], s38, v34
	v_cmp_gt_i32_e64 s[30:31], s38, v37
	v_or_b32_e32 v38, 3, v34
	v_cndmask_b32_e64 v36, v35, v50, s[28:29]
	v_cndmask_b32_e64 v37, v35, v51, s[30:31]
	v_max3_f32 v36, v36, s40, v37
	v_or_b32_e32 v37, 2, v34
	v_cmp_gt_i32_e64 s[34:35], s38, v37
	v_cmp_gt_i32_e64 s[36:37], s38, v38
	s_nop 0
	v_cndmask_b32_e64 v37, v35, v80, s[34:35]
	v_cndmask_b32_e64 v38, v35, v81, s[36:37]
	v_max3_f32 v36, v36, v37, v38
	v_or_b32_e32 v37, 16, v34
	v_or_b32_e32 v38, 17, v34
	v_cmp_gt_i32_e64 s[22:23], s38, v37
	v_cmp_gt_i32_e64 s[24:25], s38, v38
	s_nop 0
	v_cndmask_b32_e64 v37, v35, v70, s[22:23]
	v_cndmask_b32_e64 v38, v35, v71, s[24:25]
	v_max3_f32 v36, v36, v37, v38
	v_or_b32_e32 v37, 18, v34
	;; [unrolled: 8-line block ×6, first 2 shown]
	v_or_b32_e32 v34, 51, v34
	v_cmp_gt_i32_e32 vcc, s38, v37
	v_cmp_gt_i32_e64 s[4:5], s38, v34
	global_load_dwordx4 v[46:49], v[44:45], off
	global_load_dwordx4 v[38:41], v[44:45], off offset:16
	v_cndmask_b32_e32 v37, v35, v66, vcc
	v_cndmask_b32_e64 v34, v35, v67, s[4:5]
	v_max3_f32 v52, v36, v37, v34
	v_mbcnt_lo_u32_b32 v34, -1, 0
	v_mbcnt_hi_u32_b32 v53, -1, v34
	v_and_b32_e32 v34, 64, v53
	v_add_u32_e32 v54, 64, v34
	v_xor_b32_e32 v34, 32, v53
	v_cmp_lt_i32_e64 s[38:39], v34, v54
	s_nop 1
	v_cndmask_b32_e64 v34, v53, v34, s[38:39]
	v_lshlrev_b32_e32 v74, 2, v34
	ds_bpermute_b32 v55, v74, v52
	v_lshl_add_u64 v[34:35], v[64:65], 0, v[42:43]
	global_load_dwordx4 v[42:45], v[34:35], off
	s_nop 0
	global_load_dwordx4 v[34:37], v[34:35], off offset:16
	s_waitcnt lgkmcnt(0)
	v_max_f32_e32 v55, v55, v55
	v_max_f32_e32 v68, v52, v55
	v_xor_b32_e32 v52, 16, v53
	v_cmp_lt_i32_e64 s[38:39], v52, v54
	s_nop 1
	v_cndmask_b32_e64 v52, v53, v52, s[38:39]
	v_lshlrev_b32_e32 v75, 2, v52
	ds_bpermute_b32 v69, v75, v68
	v_lshl_add_u64 v[52:53], v[64:65], 0, v[56:57]
	global_load_dwordx4 v[58:61], v[52:53], off
	global_load_dwordx4 v[54:57], v[52:53], off offset:16
	v_lshl_add_u64 v[52:53], v[64:65], 0, v[62:63]
	s_waitcnt lgkmcnt(0)
	v_max_f32_e32 v62, v69, v69
	v_max_f32_e32 v89, v68, v62
	v_sub_f32_e32 v50, v50, v89
	v_mul_f32_e32 v50, 0x3fb8aa3b, v50
	v_exp_f32_e32 v68, v50
	v_sub_f32_e32 v50, v51, v89
	v_mul_f32_e32 v50, 0x3fb8aa3b, v50
	v_exp_f32_e32 v69, v50
	global_load_dwordx4 v[62:65], v[52:53], off
	s_nop 0
	global_load_dwordx4 v[50:53], v[52:53], off offset:16
	v_sub_f32_e32 v80, v80, v89
	v_mul_f32_e32 v80, 0x3fb8aa3b, v80
	v_sub_f32_e32 v81, v81, v89
	v_exp_f32_e32 v80, v80
	v_mul_f32_e32 v81, 0x3fb8aa3b, v81
	v_sub_f32_e32 v70, v70, v89
	v_exp_f32_e32 v81, v81
	v_mul_f32_e32 v70, 0x3fb8aa3b, v70
	v_sub_f32_e32 v71, v71, v89
	v_cndmask_b32_e64 v68, 0, v68, s[28:29]
	v_exp_f32_e32 v70, v70
	v_mul_f32_e32 v71, 0x3fb8aa3b, v71
	v_sub_f32_e32 v82, v82, v89
	v_add_f32_e32 v84, 0, v68
	v_cndmask_b32_e64 v69, 0, v69, s[30:31]
	v_exp_f32_e32 v71, v71
	v_mul_f32_e32 v82, 0x3fb8aa3b, v82
	v_sub_f32_e32 v83, v83, v89
	v_add_f32_e32 v84, v84, v69
	;; [unrolled: 5-line block ×10, first 2 shown]
	v_cndmask_b32_e64 v78, 0, v78, s[10:11]
	v_exp_f32_e32 v66, v66
	v_mul_f32_e32 v67, 0x3fb8aa3b, v67
	v_add_f32_e32 v84, v84, v78
	v_cndmask_b32_e64 v79, 0, v79, s[12:13]
	v_exp_f32_e32 v67, v67
	v_add_f32_e32 v84, v84, v79
	v_cndmask_b32_e64 v72, 0, v72, s[6:7]
	v_add_f32_e32 v84, v84, v72
	v_cndmask_b32_e64 v73, 0, v73, s[8:9]
	v_add_f32_e32 v84, v84, v73
	v_cndmask_b32_e32 v66, 0, v66, vcc
	v_add_f32_e32 v84, v84, v66
	v_cndmask_b32_e64 v67, 0, v67, s[4:5]
	v_add_f32_e32 v84, v84, v67
	ds_bpermute_b32 v74, v74, v84
	s_waitcnt lgkmcnt(0)
	s_barrier
	v_add_f32_e32 v90, v84, v74
	ds_bpermute_b32 v91, v75, v90
	v_and_b32_e32 v74, 63, v0
	v_cmp_gt_u32_e32 vcc, 16, v74
	s_and_saveexec_b64 s[4:5], vcc
	s_cbranch_execz .LBB723_15
; %bb.14:
	s_waitcnt lgkmcnt(0)
	v_add_f32_e32 v74, v90, v91
	v_lshlrev_b32_e32 v1, 2, v1
	ds_write2st64_b32 v1, v89, v74 offset1:1
.LBB723_15:
	s_or_b64 exec, exec, s[4:5]
	v_and_b32_e32 v94, 15, v0
	v_lshlrev_b32_e32 v1, 2, v94
	s_load_dword s6, s[0:1], 0x94
	s_waitcnt lgkmcnt(0)
	s_barrier
	ds_read2_b32 v[74:75], v1 offset1:16
	ds_read2_b32 v[88:89], v1 offset0:32 offset1:48
	ds_read2_b32 v[90:91], v1 offset0:64 offset1:80
	s_movk_i32 s8, 0x7fff
	s_mov_b32 s9, 0x7060302
	s_waitcnt lgkmcnt(2)
	v_max3_f32 v84, v74, s40, v75
	s_waitcnt lgkmcnt(1)
	v_max3_f32 v87, v84, v88, v89
	v_sub_f32_e32 v74, v74, v87
	v_mul_f32_e32 v74, 0x3fb8aa3b, v74
	v_exp_f32_e32 v84, v74
	v_sub_f32_e32 v74, v75, v87
	v_mul_f32_e32 v74, 0x3fb8aa3b, v74
	v_exp_f32_e32 v86, v74
	;; [unrolled: 3-line block ×3, first 2 shown]
	ds_read2_b32 v[74:75], v1 offset0:96 offset1:112
	v_sub_f32_e32 v1, v89, v87
	v_mul_f32_e32 v1, 0x3fb8aa3b, v1
	v_exp_f32_e32 v1, v1
	s_waitcnt lgkmcnt(1)
	v_fma_f32 v88, v84, v90, 0
	v_fmac_f32_e32 v88, v86, v91
	s_waitcnt lgkmcnt(0)
	v_fmac_f32_e32 v88, v92, v74
	v_fmac_f32_e32 v88, v1, v75
	v_add_f32_e32 v74, 0x358637bd, v88
	v_div_scale_f32 v75, s[4:5], v74, v74, 1.0
	v_rcp_f32_e32 v89, v75
	s_barrier
	v_fma_f32 v90, -v75, v89, 1.0
	v_fmac_f32_e32 v89, v90, v89
	v_div_scale_f32 v90, vcc, 1.0, v74, 1.0
	v_mul_f32_e32 v91, v90, v89
	v_fma_f32 v93, -v75, v91, v90
	v_fmac_f32_e32 v91, v93, v89
	v_fma_f32 v75, -v75, v91, v90
	v_div_fmas_f32 v75, v75, v89, v91
	v_lshrrev_b32_e32 v89, 6, v0
	v_cmp_eq_u32_e32 vcc, 1, v89
	v_div_fixup_f32 v74, v75, v74, 1.0
	s_lshl_b32 s7, s33, 4
	v_cndmask_b32_e32 v75, v84, v86, vcc
	v_cmp_eq_u32_e32 vcc, 2, v89
	s_nop 1
	v_cndmask_b32_e32 v75, v75, v92, vcc
	v_cmp_eq_u32_e32 vcc, 3, v89
	s_nop 1
	v_cndmask_b32_e32 v1, v75, v1, vcc
	v_mul_f32_e32 v74, v1, v74
	v_pk_mul_f32 v[68:69], v[74:75], v[68:69] op_sel_hi:[0,1]
	v_pk_mul_f32 v[80:81], v[74:75], v[80:81] op_sel_hi:[0,1]
	v_bfe_u32 v1, v69, 16, 1
	v_bfe_u32 v75, v68, 16, 1
	v_add3_u32 v68, v68, v75, s8
	v_add3_u32 v1, v69, v1, s8
	v_perm_b32 v68, v1, v68, s9
	v_bfe_u32 v1, v81, 16, 1
	v_bfe_u32 v69, v80, 16, 1
	v_add3_u32 v69, v80, v69, s8
	v_add3_u32 v1, v81, v1, s8
	v_bfe_u32 v81, v0, 4, 2
	v_lshlrev_b32_e32 v75, 5, v94
	v_perm_b32 v69, v1, v69, s9
	v_lshlrev_b32_e32 v1, 3, v81
	v_lshlrev_b32_e32 v80, 11, v89
	v_pk_mul_f32 v[70:71], v[74:75], v[70:71] op_sel_hi:[0,1]
	v_or3_b32 v80, v80, v75, v1
	v_pk_mul_f32 v[82:83], v[74:75], v[82:83] op_sel_hi:[0,1]
	v_bfe_u32 v1, v71, 16, 1
	v_bfe_u32 v75, v70, 16, 1
	v_add3_u32 v70, v70, v75, s8
	v_add3_u32 v1, v71, v1, s8
	v_perm_b32 v70, v1, v70, s9
	v_bfe_u32 v1, v83, 16, 1
	v_bfe_u32 v71, v82, 16, 1
	v_add3_u32 v71, v82, v71, s8
	v_add3_u32 v1, v83, v1, s8
	v_perm_b32 v71, v1, v71, s9
	ds_write2st64_b64 v80, v[68:69], v[70:71] offset1:1
	v_pk_mul_f32 v[70:71], v[74:75], v[76:77] op_sel_hi:[0,1]
	v_pk_mul_f32 v[68:69], v[74:75], v[78:79] op_sel_hi:[0,1]
	v_bfe_u32 v1, v71, 16, 1
	v_bfe_u32 v75, v70, 16, 1
	v_add3_u32 v70, v70, v75, s8
	v_add3_u32 v1, v71, v1, s8
	v_perm_b32 v70, v1, v70, s9
	v_bfe_u32 v1, v69, 16, 1
	v_bfe_u32 v71, v68, 16, 1
	v_add3_u32 v68, v68, v71, s8
	v_add3_u32 v1, v69, v1, s8
	v_perm_b32 v71, v1, v68, s9
	v_pk_mul_f32 v[68:69], v[74:75], v[72:73] op_sel_hi:[0,1]
	v_bfe_u32 v1, v69, 16, 1
	v_bfe_u32 v72, v68, 16, 1
	v_pk_mul_f32 v[66:67], v[74:75], v[66:67] op_sel_hi:[0,1]
	v_add3_u32 v68, v68, v72, s8
	v_add3_u32 v1, v69, v1, s8
	v_perm_b32 v68, v1, v68, s9
	v_bfe_u32 v1, v67, 16, 1
	v_bfe_u32 v69, v66, 16, 1
	v_add3_u32 v66, v66, v69, s8
	v_add3_u32 v1, v67, v1, s8
	v_perm_b32 v69, v1, v66, s9
	v_cmp_gt_u32_e32 vcc, 16, v0
	ds_write2st64_b64 v80, v[70:71], v[68:69] offset0:2 offset1:3
	s_and_saveexec_b64 s[4:5], vcc
	s_cbranch_execz .LBB723_17
; %bb.16:
	v_or_b32_e32 v66, s27, v0
	v_mov_b32_e32 v67, 0
	v_mov_b32_e32 v1, s7
	v_mad_u64_u32 v[68:69], s[10:11], s2, v1, v[66:67]
	v_mov_b32_e32 v66, s26
	s_load_dwordx4 s[12:15], s[0:1], 0x58
	s_mul_i32 s3, s3, s7
	v_mad_u64_u32 v[66:67], s[10:11], v68, s6, v[66:67]
	v_add_u32_e32 v1, s3, v69
	v_mov_b32_e32 v68, v67
	v_mad_u64_u32 v[68:69], s[10:11], v1, s6, v[68:69]
	v_mov_b32_e32 v67, v68
	v_lshlrev_b64 v[66:67], 2, v[66:67]
	s_waitcnt lgkmcnt(0)
	v_lshl_add_u64 v[68:69], s[14:15], 0, v[66:67]
	v_lshl_add_u64 v[66:67], s[12:13], 0, v[66:67]
	global_store_dword v[68:69], v87, off
	global_store_dword v[66:67], v88, off
.LBB723_17:
	s_or_b64 exec, exec, s[4:5]
	s_waitcnt lgkmcnt(0)
	s_barrier
	scratch_load_dword v1, off, off         ; 4-byte Folded Reload
	s_mov_b32 s3, 0
	v_cmp_gt_u32_e32 vcc, 64, v0
	s_waitcnt vmcnt(0)
	ds_read_b128 v[70:73], v1
	ds_read_b128 v[66:69], v1 offset:16
	s_waitcnt lgkmcnt(1)
	v_mfma_f32_16x16x16_bf16 v[74:77], v[30:31], v[70:71], 0
	v_mfma_f32_16x16x16_bf16 v[30:33], v[32:33], v[72:73], v[74:77]
	s_waitcnt lgkmcnt(0)
	v_mfma_f32_16x16x16_bf16 v[30:33], v[26:27], v[66:67], v[30:33]
	v_mfma_f32_16x16x16_bf16 v[26:29], v[28:29], v[68:69], v[30:33]
	s_nop 5
	ds_read_b128 v[30:33], v1 offset:2048
	ds_read_b128 v[74:77], v1 offset:2064
	s_waitcnt lgkmcnt(1)
	v_mfma_f32_16x16x16_bf16 v[26:29], v[22:23], v[30:31], v[26:29]
	v_mfma_f32_16x16x16_bf16 v[22:25], v[24:25], v[32:33], v[26:29]
	s_waitcnt lgkmcnt(0)
	v_mfma_f32_16x16x16_bf16 v[22:25], v[18:19], v[74:75], v[22:25]
	v_mfma_f32_16x16x16_bf16 v[18:21], v[20:21], v[76:77], v[22:25]
	s_nop 5
	ds_read_b128 v[22:25], v1 offset:4096
	;; [unrolled: 9-line block ×3, first 2 shown]
	ds_read_b128 v[18:21], v1 offset:6160
	s_waitcnt lgkmcnt(0)
	s_barrier
	v_mfma_f32_16x16x16_bf16 v[10:13], v[6:7], v[14:15], v[10:13]
	v_mfma_f32_16x16x16_bf16 v[6:9], v[8:9], v[16:17], v[10:13]
	;; [unrolled: 1-line block ×6, first 2 shown]
	s_nop 4
	v_bfe_u32 v1, v3, 16, 1
	v_bfe_u32 v10, v2, 16, 1
	v_add3_u32 v2, v2, v10, s8
	v_mfma_f32_16x16x16_bf16 v[6:9], v[38:39], v[66:67], v[6:9]
	v_add3_u32 v1, v3, v1, s8
	v_perm_b32 v10, v1, v2, s9
	v_bfe_u32 v1, v5, 16, 1
	v_mfma_f32_16x16x16_bf16 v[6:9], v[40:41], v[68:69], v[6:9]
	v_bfe_u32 v2, v4, 16, 1
	v_add3_u32 v2, v4, v2, s8
	v_add3_u32 v1, v5, v1, s8
	v_mfma_f32_16x16x16_bf16 v[6:9], v[42:43], v[30:31], v[6:9]
	v_perm_b32 v11, v1, v2, s9
	v_mfma_f32_16x16x16_bf16 v[6:9], v[44:45], v[32:33], v[6:9]
	v_mfma_f32_16x16x16_bf16 v[6:9], v[34:35], v[74:75], v[6:9]
	;; [unrolled: 1-line block ×11, first 2 shown]
	s_nop 6
	v_bfe_u32 v1, v3, 16, 1
	v_bfe_u32 v6, v2, 16, 1
	v_add3_u32 v2, v2, v6, s8
	v_add3_u32 v1, v3, v1, s8
	v_perm_b32 v2, v1, v2, s9
	v_bfe_u32 v1, v5, 16, 1
	v_bfe_u32 v3, v4, 16, 1
	v_add3_u32 v3, v4, v3, s8
	v_add3_u32 v1, v5, v1, s8
	v_perm_b32 v3, v1, v3, s9
	ds_write2st64_b64 v80, v[10:11], v[2:3] offset1:1
	s_waitcnt lgkmcnt(0)
	s_barrier
	s_and_saveexec_b64 s[4:5], vcc
	s_cbranch_execz .LBB723_19
; %bb.18:
	v_and_b32_e32 v3, 15, v0
	v_lshlrev_b32_e32 v3, 6, v3
	v_lshlrev_b32_e32 v2, 4, v0
	v_lshl_or_b32 v0, v0, 10, v3
	v_lshlrev_b32_e32 v1, 5, v81
	v_and_b32_e32 v2, 16, v2
	v_and_b32_e32 v0, 0x1a00, v0
	v_or3_b32 v12, v0, v1, v2
	ds_read_b128 v[0:3], v12
	ds_read_b128 v[4:7], v12 offset:128
	ds_read_b128 v[8:11], v12 offset:256
	;; [unrolled: 1-line block ×3, first 2 shown]
	scratch_load_dwordx2 v[16:17], off, off offset:4 ; 8-byte Folded Reload
	s_load_dwordx2 s[0:1], s[0:1], 0x68
	s_lshl_b32 s6, s6, 7
	s_mul_i32 s2, s7, s2
	s_mul_hi_u32 s5, s2, s6
	s_mul_i32 s4, s2, s6
	s_lshl_b64 s[4:5], s[4:5], 1
	s_waitcnt lgkmcnt(0)
	s_add_u32 s4, s0, s4
	s_addc_u32 s5, s1, s5
	s_lshl_b32 s2, s26, 7
	s_lshl_b64 s[0:1], s[2:3], 1
	s_add_u32 s0, s4, s0
	s_addc_u32 s1, s5, s1
	v_or_b32_e32 v20, s27, v81
	s_waitcnt vmcnt(0)
	v_lshl_add_u64 v[16:17], v[16:17], 1, s[0:1]
	v_mad_u64_u32 v[18:19], s[0:1], v20, s6, 0
	v_lshl_add_u64 v[18:19], v[18:19], 1, v[16:17]
	global_store_dwordx4 v[18:19], v[0:3], off
	s_nop 1
	v_or_b32_e32 v0, 4, v20
	v_mad_u64_u32 v[0:1], s[0:1], v0, s6, 0
	v_lshl_add_u64 v[0:1], v[0:1], 1, v[16:17]
	global_store_dwordx4 v[0:1], v[4:7], off
	v_or_b32_e32 v0, 8, v20
	v_mad_u64_u32 v[0:1], s[0:1], v0, s6, 0
	v_lshl_add_u64 v[0:1], v[0:1], 1, v[16:17]
	global_store_dwordx4 v[0:1], v[8:11], off
	;; [unrolled: 4-line block ×3, first 2 shown]
.LBB723_19:
	s_endpgm
	.section	.rodata,"a",@progbits
	.p2align	6, 0x0
	.amdhsa_kernel _Z39paged_attention_ll4mi_QKV_mfma16_kernelI14__hip_bfloat16S0_LN4vllm18Fp8KVCacheDataTypeE0EhLi32ELi128ELi256ELb0ELi16EEvPKT_PKT0_S8_ifPKiSA_SA_iPKfiiiPfSD_PS3_PT2_iSC_SC_
		.amdhsa_group_segment_fixed_size 8192
		.amdhsa_private_segment_fixed_size 16
		.amdhsa_kernarg_size 400
		.amdhsa_user_sgpr_count 2
		.amdhsa_user_sgpr_dispatch_ptr 0
		.amdhsa_user_sgpr_queue_ptr 0
		.amdhsa_user_sgpr_kernarg_segment_ptr 1
		.amdhsa_user_sgpr_dispatch_id 0
		.amdhsa_user_sgpr_kernarg_preload_length 0
		.amdhsa_user_sgpr_kernarg_preload_offset 0
		.amdhsa_user_sgpr_private_segment_size 0
		.amdhsa_uses_dynamic_stack 0
		.amdhsa_enable_private_segment 1
		.amdhsa_system_sgpr_workgroup_id_x 1
		.amdhsa_system_sgpr_workgroup_id_y 1
		.amdhsa_system_sgpr_workgroup_id_z 1
		.amdhsa_system_sgpr_workgroup_info 0
		.amdhsa_system_vgpr_workitem_id 0
		.amdhsa_next_free_vgpr 96
		.amdhsa_next_free_sgpr 41
		.amdhsa_accum_offset 96
		.amdhsa_reserve_vcc 1
		.amdhsa_float_round_mode_32 0
		.amdhsa_float_round_mode_16_64 0
		.amdhsa_float_denorm_mode_32 3
		.amdhsa_float_denorm_mode_16_64 3
		.amdhsa_dx10_clamp 1
		.amdhsa_ieee_mode 1
		.amdhsa_fp16_overflow 0
		.amdhsa_tg_split 0
		.amdhsa_exception_fp_ieee_invalid_op 0
		.amdhsa_exception_fp_denorm_src 0
		.amdhsa_exception_fp_ieee_div_zero 0
		.amdhsa_exception_fp_ieee_overflow 0
		.amdhsa_exception_fp_ieee_underflow 0
		.amdhsa_exception_fp_ieee_inexact 0
		.amdhsa_exception_int_div_zero 0
	.end_amdhsa_kernel
	.section	.text._Z39paged_attention_ll4mi_QKV_mfma16_kernelI14__hip_bfloat16S0_LN4vllm18Fp8KVCacheDataTypeE0EhLi32ELi128ELi256ELb0ELi16EEvPKT_PKT0_S8_ifPKiSA_SA_iPKfiiiPfSD_PS3_PT2_iSC_SC_,"axG",@progbits,_Z39paged_attention_ll4mi_QKV_mfma16_kernelI14__hip_bfloat16S0_LN4vllm18Fp8KVCacheDataTypeE0EhLi32ELi128ELi256ELb0ELi16EEvPKT_PKT0_S8_ifPKiSA_SA_iPKfiiiPfSD_PS3_PT2_iSC_SC_,comdat
.Lfunc_end723:
	.size	_Z39paged_attention_ll4mi_QKV_mfma16_kernelI14__hip_bfloat16S0_LN4vllm18Fp8KVCacheDataTypeE0EhLi32ELi128ELi256ELb0ELi16EEvPKT_PKT0_S8_ifPKiSA_SA_iPKfiiiPfSD_PS3_PT2_iSC_SC_, .Lfunc_end723-_Z39paged_attention_ll4mi_QKV_mfma16_kernelI14__hip_bfloat16S0_LN4vllm18Fp8KVCacheDataTypeE0EhLi32ELi128ELi256ELb0ELi16EEvPKT_PKT0_S8_ifPKiSA_SA_iPKfiiiPfSD_PS3_PT2_iSC_SC_
                                        ; -- End function
	.section	.AMDGPU.csdata,"",@progbits
; Kernel info:
; codeLenInByte = 4884
; NumSgprs: 47
; NumVgprs: 96
; NumAgprs: 0
; TotalNumVgprs: 96
; ScratchSize: 16
; MemoryBound: 0
; FloatMode: 240
; IeeeMode: 1
; LDSByteSize: 8192 bytes/workgroup (compile time only)
; SGPRBlocks: 5
; VGPRBlocks: 11
; NumSGPRsForWavesPerEU: 47
; NumVGPRsForWavesPerEU: 96
; AccumOffset: 96
; Occupancy: 5
; WaveLimiterHint : 1
; COMPUTE_PGM_RSRC2:SCRATCH_EN: 1
; COMPUTE_PGM_RSRC2:USER_SGPR: 2
; COMPUTE_PGM_RSRC2:TRAP_HANDLER: 0
; COMPUTE_PGM_RSRC2:TGID_X_EN: 1
; COMPUTE_PGM_RSRC2:TGID_Y_EN: 1
; COMPUTE_PGM_RSRC2:TGID_Z_EN: 1
; COMPUTE_PGM_RSRC2:TIDIG_COMP_CNT: 0
; COMPUTE_PGM_RSRC3_GFX90A:ACCUM_OFFSET: 23
; COMPUTE_PGM_RSRC3_GFX90A:TG_SPLIT: 0
	.section	.text._Z39paged_attention_ll4mi_QKV_mfma16_kernelI14__hip_bfloat16S0_LN4vllm18Fp8KVCacheDataTypeE0EhLi32ELi128ELi256ELb0ELi1EEvPKT_PKT0_S8_ifPKiSA_SA_iPKfiiiPfSD_PS3_PT2_iSC_SC_,"axG",@progbits,_Z39paged_attention_ll4mi_QKV_mfma16_kernelI14__hip_bfloat16S0_LN4vllm18Fp8KVCacheDataTypeE0EhLi32ELi128ELi256ELb0ELi1EEvPKT_PKT0_S8_ifPKiSA_SA_iPKfiiiPfSD_PS3_PT2_iSC_SC_,comdat
	.protected	_Z39paged_attention_ll4mi_QKV_mfma16_kernelI14__hip_bfloat16S0_LN4vllm18Fp8KVCacheDataTypeE0EhLi32ELi128ELi256ELb0ELi1EEvPKT_PKT0_S8_ifPKiSA_SA_iPKfiiiPfSD_PS3_PT2_iSC_SC_ ; -- Begin function _Z39paged_attention_ll4mi_QKV_mfma16_kernelI14__hip_bfloat16S0_LN4vllm18Fp8KVCacheDataTypeE0EhLi32ELi128ELi256ELb0ELi1EEvPKT_PKT0_S8_ifPKiSA_SA_iPKfiiiPfSD_PS3_PT2_iSC_SC_
	.globl	_Z39paged_attention_ll4mi_QKV_mfma16_kernelI14__hip_bfloat16S0_LN4vllm18Fp8KVCacheDataTypeE0EhLi32ELi128ELi256ELb0ELi1EEvPKT_PKT0_S8_ifPKiSA_SA_iPKfiiiPfSD_PS3_PT2_iSC_SC_
	.p2align	8
	.type	_Z39paged_attention_ll4mi_QKV_mfma16_kernelI14__hip_bfloat16S0_LN4vllm18Fp8KVCacheDataTypeE0EhLi32ELi128ELi256ELb0ELi1EEvPKT_PKT0_S8_ifPKiSA_SA_iPKfiiiPfSD_PS3_PT2_iSC_SC_,@function
_Z39paged_attention_ll4mi_QKV_mfma16_kernelI14__hip_bfloat16S0_LN4vllm18Fp8KVCacheDataTypeE0EhLi32ELi128ELi256ELb0ELi1EEvPKT_PKT0_S8_ifPKiSA_SA_iPKfiiiPfSD_PS3_PT2_iSC_SC_: ; @_Z39paged_attention_ll4mi_QKV_mfma16_kernelI14__hip_bfloat16S0_LN4vllm18Fp8KVCacheDataTypeE0EhLi32ELi128ELi256ELb0ELi1EEvPKT_PKT0_S8_ifPKiSA_SA_iPKfiiiPfSD_PS3_PT2_iSC_SC_
; %bb.0:
	s_load_dwordx2 s[8:9], s[0:1], 0x30
	s_mov_b32 s5, s3
	s_mov_b64 s[6:7], 0
	s_waitcnt lgkmcnt(0)
	s_cmp_lg_u64 s[8:9], 0
	s_cselect_b64 s[10:11], -1, 0
	s_and_b64 vcc, exec, s[10:11]
	s_cbranch_vccz .LBB724_7
; %bb.1:
	s_add_i32 s12, s2, 1
	s_mov_b32 s13, 0
	s_lshl_b64 s[14:15], s[12:13], 2
	s_add_u32 s14, s8, s14
	s_mov_b32 s3, s13
	s_addc_u32 s15, s9, s15
	s_lshl_b64 s[12:13], s[2:3], 2
	s_add_u32 s12, s8, s12
	s_addc_u32 s13, s9, s13
	s_load_dword s16, s[14:15], 0x0
	s_load_dword s17, s[12:13], 0x0
	s_waitcnt lgkmcnt(0)
	s_sub_i32 s12, s16, s17
	s_cmp_eq_u32 s12, 1
	s_cselect_b64 s[12:13], -1, 0
	s_andn2_b64 vcc, exec, s[6:7]
	s_cbranch_vccnz .LBB724_3
.LBB724_2:
	s_mov_b32 s3, 0
	s_mov_b64 s[12:13], -1
.LBB724_3:
	s_andn2_b64 vcc, exec, s[12:13]
	s_cbranch_vccnz .LBB724_19
; %bb.4:
	s_load_dwordx2 s[6:7], s[0:1], 0x28
	s_lshl_b64 s[12:13], s[2:3], 2
	s_waitcnt lgkmcnt(0)
	s_add_u32 s6, s6, s12
	s_addc_u32 s7, s7, s13
	s_load_dword s26, s[6:7], 0x0
	s_lshl_b32 s18, s5, 8
	s_waitcnt lgkmcnt(0)
	s_cmp_ge_i32 s18, s26
	s_cbranch_scc1 .LBB724_19
; %bb.5:
	s_load_dwordx2 s[6:7], s[0:1], 0x20
	s_load_dword s14, s[0:1], 0x38
	s_add_i32 s15, s26, 31
	s_ashr_i32 s16, s15, 31
	v_and_b32_e32 v1, 0xcf, v0
	s_lshr_b32 s16, s16, 27
	v_add_u32_e32 v1, s18, v1
	s_add_i32 s15, s15, s16
	v_ashrrev_i32_e32 v2, 31, v1
	s_ashr_i32 s19, s15, 5
	v_lshrrev_b32_e32 v6, 27, v2
	s_add_i32 s19, s19, -1
	s_waitcnt lgkmcnt(0)
	s_mul_i32 s14, s2, s14
	s_mov_b32 s15, 0
	v_add_u32_e32 v2, v1, v6
	s_lshl_b64 s[14:15], s[14:15], 2
	v_ashrrev_i32_e32 v2, 5, v2
	v_mov_b32_e32 v7, s19
	v_cmp_gt_i32_e32 vcc, s26, v1
	s_add_u32 s6, s6, s14
	s_addc_u32 s7, s7, s15
	v_cndmask_b32_e32 v2, v7, v2, vcc
	v_ashrrev_i32_e32 v3, 31, v2
	v_lshl_add_u64 v[4:5], v[2:3], 2, s[6:7]
	v_or_b32_e32 v2, 16, v1
	v_add_u32_e32 v3, v2, v6
	v_ashrrev_i32_e32 v3, 5, v3
	v_cmp_gt_i32_e32 vcc, s26, v2
	s_nop 1
	v_cndmask_b32_e32 v2, v7, v3, vcc
	v_ashrrev_i32_e32 v3, 31, v2
	v_lshl_add_u64 v[8:9], v[2:3], 2, s[6:7]
	v_or_b32_e32 v2, 32, v1
	v_add_u32_e32 v3, v2, v6
	v_ashrrev_i32_e32 v3, 5, v3
	v_cmp_gt_i32_e32 vcc, s26, v2
	v_or_b32_e32 v1, 48, v1
	s_nop 0
	v_cndmask_b32_e32 v2, v7, v3, vcc
	v_ashrrev_i32_e32 v3, 31, v2
	v_lshl_add_u64 v[10:11], v[2:3], 2, s[6:7]
	v_add_u32_e32 v2, v1, v6
	v_ashrrev_i32_e32 v2, 5, v2
	v_cmp_gt_i32_e32 vcc, s26, v1
	s_nop 1
	v_cndmask_b32_e32 v2, v7, v2, vcc
	v_ashrrev_i32_e32 v3, 31, v2
	v_lshl_add_u64 v[12:13], v[2:3], 2, s[6:7]
	global_load_dword v2, v[4:5], off
	global_load_dword v6, v[8:9], off
	;; [unrolled: 1-line block ×4, first 2 shown]
	s_andn2_b64 vcc, exec, s[10:11]
	s_cbranch_vccnz .LBB724_8
; %bb.6:
	s_add_u32 s8, s8, s12
	s_addc_u32 s9, s9, s13
	s_load_dword s20, s[8:9], 0x0
	s_branch .LBB724_9
.LBB724_7:
	s_mov_b64 s[12:13], 0
	s_branch .LBB724_2
.LBB724_8:
	s_mov_b32 s20, s2
.LBB724_9:
	s_load_dwordx4 s[12:15], s[0:1], 0x8
	s_load_dwordx4 s[8:11], s[0:1], 0x48
	v_lshrrev_b32_e32 v67, 6, v0
	v_bfe_u32 v87, v0, 4, 2
	v_lshl_or_b32 v1, v67, 2, v87
	v_and_b32_e32 v22, 15, v0
	v_lshlrev_b32_e32 v4, 3, v22
	v_cmp_ne_u32_e32 vcc, 0, v1
	s_and_saveexec_b64 s[16:17], vcc
	s_xor_b64 s[16:17], exec, s[16:17]
; %bb.10:
	v_mov_b32_e32 v5, 0
; %bb.11:
	s_andn2_saveexec_b64 s[16:17], s[16:17]
	s_cbranch_execz .LBB724_13
; %bb.12:
	s_load_dwordx2 s[22:23], s[0:1], 0x0
	s_waitcnt lgkmcnt(0)
	s_ashr_i32 s11, s8, 31
	s_mul_hi_u32 s21, s20, s8
	s_mul_i32 s11, s20, s11
	s_add_i32 s21, s21, s11
	s_mul_i32 s20, s20, s8
	s_lshl_b64 s[20:21], s[20:21], 1
	s_add_u32 s8, s22, s20
	s_addc_u32 s11, s23, s21
	s_lshl_b32 s20, s4, 7
	s_ashr_i32 s21, s20, 31
	s_lshl_b64 s[20:21], s[20:21], 1
	s_add_u32 s20, s8, s20
	s_addc_u32 s21, s11, s21
	v_lshlrev_b32_e32 v1, 1, v4
	global_load_dwordx4 v[8:11], v1, s[20:21]
	v_and_b32_e32 v1, 3, v0
	v_lshlrev_b32_e32 v3, 9, v22
	v_lshlrev_b32_e32 v1, 9, v1
	s_movk_i32 s8, 0x1800
	v_mov_b32_e32 v5, 0
	v_and_or_b32 v1, v3, s8, v1
	s_waitcnt vmcnt(0)
	ds_write_b128 v1, v[8:11]
.LBB724_13:
	s_or_b64 exec, exec, s[16:17]
	s_waitcnt lgkmcnt(0)
	s_mul_i32 s10, s4, s10
	s_mov_b32 s11, 0
	s_lshl_b64 s[10:11], s[10:11], 1
	s_add_u32 s12, s12, s10
	s_addc_u32 s13, s13, s11
	s_waitcnt vmcnt(3)
	v_mad_i64_i32 v[2:3], s[16:17], v2, s9, 0
	v_mov_b32_e32 v25, 0
	s_waitcnt vmcnt(2)
	v_mad_i64_i32 v[6:7], s[16:17], v6, s9, 0
	v_mov_b32_e32 v1, 0x100
	s_waitcnt vmcnt(1)
	v_mad_i64_i32 v[16:17], s[16:17], v16, s9, 0
	s_barrier
	v_lshlrev_b32_e32 v24, 9, v87
	v_lshl_add_u64 v[2:3], v[2:3], 1, s[12:13]
	scratch_store_dwordx2 off, v[4:5], off  ; 8-byte Folded Spill
	v_lshlrev_b64 v[4:5], 1, v[4:5]
	v_lshl_add_u64 v[6:7], v[6:7], 1, s[12:13]
	v_lshl_or_b32 v54, v22, 4, v1
	v_mov_b32_e32 v55, v25
	v_lshl_add_u64 v[16:17], v[16:17], 1, s[12:13]
	v_lshl_add_u64 v[2:3], v[2:3], 0, v[4:5]
	;; [unrolled: 1-line block ×4, first 2 shown]
	v_or_b32_e32 v60, 0x1000, v24
	v_mov_b32_e32 v61, v25
	v_lshl_add_u64 v[14:15], v[2:3], 0, v[24:25]
	v_lshl_add_u64 v[20:21], v[18:19], 0, v[24:25]
	;; [unrolled: 1-line block ×4, first 2 shown]
	v_or_b32_e32 v56, 0x1800, v24
	v_mov_b32_e32 v57, v25
	global_load_dwordx4 v[10:13], v[14:15], off
	global_load_dwordx4 v[6:9], v[20:21], off
	;; [unrolled: 1-line block ×3, first 2 shown]
	global_load_dwordx4 v[34:37], v[14:15], off offset:2048
	global_load_dwordx4 v[30:33], v[20:21], off offset:2048
	global_load_dwordx4 v[26:29], v[4:5], off
	v_lshl_add_u64 v[4:5], v[18:19], 0, v[60:61]
	v_lshl_add_u64 v[2:3], v[2:3], 0, v[56:57]
	global_load_dwordx4 v[14:17], v[4:5], off
	s_waitcnt vmcnt(8)
	v_mad_i64_i32 v[64:65], s[16:17], v42, s9, 0
	global_load_dwordx4 v[2:5], v[2:3], off
	s_ashr_i32 s8, s18, 31
	v_and_or_b32 v1, v0, 48, s18
	s_lshr_b32 s8, s8, 27
	v_mov_b32_e32 v74, s19
	v_cmp_gt_i32_e32 vcc, s26, v1
	v_or_b32_e32 v75, 64, v1
	v_or_b32_e32 v84, 0x80, v1
	v_add_u32_e32 v86, s8, v84
	v_or_b32_e32 v85, 0xc0, v1
	s_add_u32 s10, s14, s10
	s_addc_u32 s11, s15, s11
	s_mov_b32 s33, 0xff7fffff
	ds_read_b128 v[42:45], v24 offset:2048
	s_waitcnt vmcnt(0)
	scratch_store_dwordx4 off, v[2:5], off offset:8 ; 16-byte Folded Spill
	s_nop 1
	v_lshl_add_u64 v[2:3], v[18:19], 0, v[56:57]
	global_load_dwordx4 v[18:21], v[2:3], off
	ds_read_b128 v[2:5], v24
	s_waitcnt lgkmcnt(0)
	v_mfma_f32_16x16x16_bf16 v[76:79], v[6:7], v[2:3], 0
	v_lshl_add_u64 v[6:7], v[64:65], 1, s[12:13]
	v_lshl_add_u64 v[54:55], v[6:7], 0, v[54:55]
	ds_read_b128 v[50:53], v24 offset:4096
	ds_read_b128 v[46:49], v24 offset:6144
	v_mfma_f32_16x16x16_bf16 v[6:9], v[8:9], v[4:5], v[76:79]
	global_load_dwordx4 v[80:83], v[62:63], off offset:2048
	v_lshl_add_u64 v[64:65], v[58:59], 0, v[56:57]
	v_lshl_add_u64 v[72:73], v[54:55], 0, v[60:61]
	v_mfma_f32_16x16x16_bf16 v[6:9], v[30:31], v[42:43], v[6:9]
	v_add_u32_e32 v76, s8, v85
	v_ashrrev_i32_e32 v76, 5, v76
	v_mfma_f32_16x16x16_bf16 v[6:9], v[32:33], v[44:45], v[6:9]
	s_waitcnt lgkmcnt(1)
	v_mfma_f32_16x16x16_bf16 v[6:9], v[14:15], v[50:51], v[6:9]
	v_mfma_f32_16x16x16_bf16 v[6:9], v[16:17], v[52:53], v[6:9]
	scratch_load_dwordx4 v[14:17], off, off offset:8 ; 16-byte Folded Reload
	v_mfma_f32_16x16x16_bf16 v[68:71], v[10:11], v[2:3], 0
	v_mfma_f32_16x16x16_bf16 v[10:13], v[12:13], v[4:5], v[68:71]
	;; [unrolled: 1-line block ×3, first 2 shown]
	s_nop 4
	v_add_u32_e32 v70, s8, v1
	v_ashrrev_i32_e32 v66, 5, v70
	v_cndmask_b32_e32 v30, v74, v66, vcc
	v_mfma_f32_16x16x16_bf16 v[10:13], v[36:37], v[44:45], v[10:13]
	global_load_dwordx4 v[34:37], v[64:65], off
	v_lshl_add_u64 v[62:63], v[58:59], 0, v[60:61]
	global_load_dwordx4 v[58:61], v[62:63], off
	v_add_u32_e32 v71, s8, v75
	v_ashrrev_i32_e32 v31, 31, v30
	v_ashrrev_i32_e32 v70, 5, v71
	v_lshl_add_u64 v[30:31], v[30:31], 2, s[6:7]
	v_cmp_gt_i32_e32 vcc, s26, v75
	v_mfma_f32_16x16x16_bf16 v[10:13], v[26:27], v[50:51], v[10:13]
	global_load_dword v94, v[30:31], off
	v_cndmask_b32_e32 v30, v74, v70, vcc
	v_ashrrev_i32_e32 v71, 5, v86
	v_ashrrev_i32_e32 v31, 31, v30
	v_cmp_gt_i32_e32 vcc, s26, v84
	v_lshl_add_u64 v[26:27], v[30:31], 2, s[6:7]
	v_mov_b32_e32 v30, v22
	v_cndmask_b32_e32 v22, v74, v71, vcc
	v_mfma_f32_16x16x16_bf16 v[10:13], v[28:29], v[52:53], v[10:13]
	v_ashrrev_i32_e32 v23, 31, v22
	v_lshl_add_u64 v[22:23], v[22:23], 2, s[6:7]
	v_cmp_gt_i32_e32 vcc, s26, v85
	global_load_dword v84, v[22:23], off
	v_lshl_add_u64 v[68:69], v[54:55], 0, v[24:25]
	v_cndmask_b32_e32 v22, v74, v76, vcc
	v_ashrrev_i32_e32 v23, 31, v22
	global_load_dword v95, v[26:27], off
	v_mov_b32_e32 v66, v87
	v_mfma_f32_16x16x16_bf16 v[90:93], v[38:39], v[2:3], 0
	v_and_b32_e32 v1, 16, v0
	v_lshlrev_b32_e32 v24, 1, v1
	v_lshl_or_b32 v1, v67, 4, v30
	s_waitcnt vmcnt(5) lgkmcnt(0)
	v_mfma_f32_16x16x16_bf16 v[10:13], v[14:15], v[46:47], v[10:13]
	v_lshl_add_u64 v[14:15], v[22:23], 2, s[6:7]
	global_load_dword v85, v[14:15], off
	v_lshl_add_u64 v[14:15], v[54:55], 0, v[56:57]
	global_load_dwordx4 v[86:89], v[14:15], off
	global_load_dwordx4 v[62:65], v[68:69], off
	;; [unrolled: 1-line block ×3, first 2 shown]
	v_mfma_f32_16x16x16_bf16 v[38:41], v[40:41], v[4:5], v[90:93]
	global_load_dwordx4 v[68:71], v[68:69], off offset:2048
	v_lshl_add_u64 v[56:57], s[10:11], 0, v[24:25]
	v_lshlrev_b32_e32 v24, 6, v1
	v_mfma_f32_16x16x16_bf16 v[6:9], v[18:19], v[46:47], v[6:9]
	v_mov_b32_e32 v22, v30
	s_load_dword s6, s[0:1], 0x1c
	v_and_b32_e32 v23, 63, v0
	v_mfma_f32_16x16x16_bf16 v[72:75], v[20:21], v[48:49], v[6:9]
	v_mfma_f32_16x16x16_bf16 v[6:9], v[80:81], v[42:43], v[38:41]
	v_lshl_add_u64 v[80:81], v[56:57], 0, v[24:25]
	s_waitcnt lgkmcnt(0)
	s_nop 3
	v_pk_mul_f32 v[72:73], s[6:7], v[72:73] op_sel_hi:[0,1]
	v_or_b32_e32 v24, 0x1000, v24
	v_mfma_f32_16x16x16_bf16 v[6:9], v[82:83], v[44:45], v[6:9]
	s_waitcnt vmcnt(8)
	v_mfma_f32_16x16x16_bf16 v[6:9], v[58:59], v[50:51], v[6:9]
	v_mfma_f32_16x16x16_bf16 v[6:9], v[60:61], v[52:53], v[6:9]
	;; [unrolled: 1-line block ×3, first 2 shown]
	s_waitcnt vmcnt(7)
	s_nop 1
	v_mad_i64_i32 v[10:11], s[10:11], v94, s9, 0
	v_lshlrev_b64 v[58:59], 1, v[10:11]
	v_mfma_f32_16x16x16_bf16 v[6:9], v[34:35], v[46:47], v[6:9]
	v_lshl_add_u64 v[10:11], v[80:81], 0, v[58:59]
	global_load_dwordx4 v[30:33], v[10:11], off
	global_load_dwordx4 v[26:29], v[10:11], off offset:16
	s_waitcnt vmcnt(7)
	v_mad_i64_i32 v[10:11], s[10:11], v95, s9, 0
	v_lshlrev_b64 v[34:35], 1, v[10:11]
	v_mfma_f32_16x16x16_bf16 v[36:39], v[36:37], v[48:49], v[6:9]
	v_mov_b32_e32 v94, v66
	v_pk_mul_f32 v[82:83], s[6:7], v[92:93] op_sel_hi:[0,1]
	s_nop 0
	v_lshl_add_u64 v[6:7], v[80:81], 0, v[34:35]
	global_load_dwordx4 v[10:13], v[6:7], off
	global_load_dwordx4 v[18:21], v[6:7], off offset:16
	s_waitcnt vmcnt(6)
	v_mfma_f32_16x16x16_bf16 v[6:9], v[62:63], v[2:3], 0
	v_mad_i64_i32 v[2:3], s[10:11], v84, s9, 0
	v_lshlrev_b64 v[54:55], 1, v[2:3]
	v_mfma_f32_16x16x16_bf16 v[2:5], v[64:65], v[4:5], v[6:9]
	v_lshl_add_u64 v[64:65], v[56:57], 0, v[24:25]
	v_lshl_add_u64 v[34:35], v[64:65], 0, v[34:35]
	s_nop 1
	v_lshl_add_u64 v[6:7], v[80:81], 0, v[54:55]
	global_load_dwordx4 v[14:17], v[6:7], off
	s_nop 0
	global_load_dwordx4 v[6:9], v[6:7], off offset:16
	s_waitcnt vmcnt(6)
	v_mfma_f32_16x16x16_bf16 v[2:5], v[68:69], v[42:43], v[2:5]
	s_waitcnt vmcnt(0)
	scratch_store_dwordx4 off, v[6:9], off offset:8 ; 16-byte Folded Spill
	v_mfma_f32_16x16x16_bf16 v[40:43], v[70:71], v[44:45], v[2:5]
	s_nop 0
	v_mad_i64_i32 v[6:7], s[8:9], v85, s9, 0
	v_lshlrev_b64 v[62:63], 1, v[6:7]
	v_mfma_f32_16x16x16_bf16 v[40:43], v[76:77], v[50:51], v[40:43]
	v_lshl_add_u64 v[2:3], v[80:81], 0, v[62:63]
	v_pk_mul_f32 v[80:81], s[6:7], v[38:39] op_sel_hi:[0,1]
	v_pk_mul_f32 v[50:51], s[6:7], v[90:91] op_sel_hi:[0,1]
	v_mfma_f32_16x16x16_bf16 v[40:43], v[78:79], v[52:53], v[40:43]
	v_pk_mul_f32 v[78:79], s[6:7], v[36:37] op_sel_hi:[0,1]
	v_pk_mul_f32 v[84:85], s[6:7], v[74:75] op_sel_hi:[0,1]
	v_lshl_add_u64 v[44:45], v[64:65], 0, v[58:59]
	v_mfma_f32_16x16x16_bf16 v[40:43], v[86:87], v[46:47], v[40:43]
	global_load_dwordx4 v[6:9], v[2:3], off
	s_nop 0
	global_load_dwordx4 v[2:5], v[2:3], off offset:16
	v_mfma_f32_16x16x16_bf16 v[36:39], v[88:89], v[48:49], v[40:43]
	s_nop 6
	v_pk_mul_f32 v[76:77], s[6:7], v[36:37] op_sel_hi:[0,1]
	v_and_b32_e32 v36, 0xc0, v0
	v_add_u32_e32 v36, s18, v36
	v_lshl_or_b32 v36, v94, 2, v36
	v_pk_mul_f32 v[68:69], s[6:7], v[38:39] op_sel_hi:[0,1]
	v_or_b32_e32 v39, 1, v36
	v_mov_b32_e32 v37, 0xff7fffff
	v_cmp_gt_i32_e64 s[28:29], s26, v36
	v_cmp_gt_i32_e64 s[30:31], s26, v39
	v_or_b32_e32 v40, 3, v36
	v_cndmask_b32_e64 v38, v37, v50, s[28:29]
	v_cndmask_b32_e64 v39, v37, v51, s[30:31]
	v_max3_f32 v38, v38, s33, v39
	v_or_b32_e32 v39, 2, v36
	v_cmp_gt_i32_e64 s[34:35], s26, v39
	v_cmp_gt_i32_e64 s[36:37], s26, v40
	s_nop 0
	v_cndmask_b32_e64 v39, v37, v82, s[34:35]
	v_cndmask_b32_e64 v40, v37, v83, s[36:37]
	v_max3_f32 v38, v38, v39, v40
	v_or_b32_e32 v39, 16, v36
	v_or_b32_e32 v40, 17, v36
	v_cmp_gt_i32_e64 s[22:23], s26, v39
	v_cmp_gt_i32_e64 s[24:25], s26, v40
	s_nop 0
	v_cndmask_b32_e64 v39, v37, v72, s[22:23]
	v_cndmask_b32_e64 v40, v37, v73, s[24:25]
	v_max3_f32 v38, v38, v39, v40
	v_or_b32_e32 v39, 18, v36
	v_or_b32_e32 v40, 19, v36
	v_cmp_gt_i32_e64 s[18:19], s26, v39
	v_cmp_gt_i32_e64 s[20:21], s26, v40
	s_nop 0
	v_cndmask_b32_e64 v39, v37, v84, s[18:19]
	v_cndmask_b32_e64 v40, v37, v85, s[20:21]
	v_max3_f32 v38, v38, v39, v40
	v_or_b32_e32 v39, 32, v36
	v_or_b32_e32 v40, 33, v36
	v_cmp_gt_i32_e64 s[14:15], s26, v39
	v_cmp_gt_i32_e64 s[16:17], s26, v40
	s_nop 0
	v_cndmask_b32_e64 v39, v37, v78, s[14:15]
	v_cndmask_b32_e64 v40, v37, v79, s[16:17]
	v_max3_f32 v38, v38, v39, v40
	v_or_b32_e32 v39, 34, v36
	v_or_b32_e32 v40, 35, v36
	v_cmp_gt_i32_e64 s[10:11], s26, v39
	v_cmp_gt_i32_e64 s[12:13], s26, v40
	s_nop 0
	v_cndmask_b32_e64 v39, v37, v80, s[10:11]
	v_cndmask_b32_e64 v40, v37, v81, s[12:13]
	v_max3_f32 v38, v38, v39, v40
	v_or_b32_e32 v39, 48, v36
	v_or_b32_e32 v40, 49, v36
	v_cmp_gt_i32_e64 s[6:7], s26, v39
	v_cmp_gt_i32_e64 s[8:9], s26, v40
	s_nop 0
	v_cndmask_b32_e64 v39, v37, v76, s[6:7]
	v_cndmask_b32_e64 v40, v37, v77, s[8:9]
	v_max3_f32 v38, v38, v39, v40
	v_or_b32_e32 v39, 50, v36
	v_or_b32_e32 v36, 51, v36
	v_cmp_gt_i32_e32 vcc, s26, v39
	v_cmp_gt_i32_e64 s[26:27], s26, v36
	s_nop 0
	v_cndmask_b32_e32 v39, v37, v68, vcc
	v_cndmask_b32_e64 v36, v37, v69, s[26:27]
	v_max3_f32 v52, v38, v39, v36
	v_mbcnt_lo_u32_b32 v36, -1, 0
	v_mbcnt_hi_u32_b32 v53, -1, v36
	v_and_b32_e32 v36, 64, v53
	v_add_u32_e32 v56, 64, v36
	v_xor_b32_e32 v36, 32, v53
	v_cmp_lt_i32_e64 s[38:39], v36, v56
	global_load_dwordx4 v[46:49], v[44:45], off
	global_load_dwordx4 v[38:41], v[44:45], off offset:16
	v_cndmask_b32_e64 v36, v53, v36, s[38:39]
	v_lshlrev_b32_e32 v74, 2, v36
	ds_bpermute_b32 v57, v74, v52
	global_load_dwordx4 v[42:45], v[34:35], off
	s_nop 0
	global_load_dwordx4 v[34:37], v[34:35], off offset:16
	s_waitcnt lgkmcnt(0)
	v_max_f32_e32 v57, v57, v57
	v_max_f32_e32 v66, v52, v57
	v_xor_b32_e32 v52, 16, v53
	v_cmp_lt_i32_e64 s[38:39], v52, v56
	s_nop 1
	v_cndmask_b32_e64 v52, v53, v52, s[38:39]
	v_lshlrev_b32_e32 v75, 2, v52
	ds_bpermute_b32 v70, v75, v66
	v_lshl_add_u64 v[52:53], v[64:65], 0, v[54:55]
	global_load_dwordx4 v[58:61], v[52:53], off
	global_load_dwordx4 v[54:57], v[52:53], off offset:16
	v_lshl_add_u64 v[52:53], v[64:65], 0, v[62:63]
	s_waitcnt lgkmcnt(0)
	v_max_f32_e32 v62, v70, v70
	v_max_f32_e32 v66, v66, v62
	v_sub_f32_e32 v50, v50, v66
	v_mul_f32_e32 v50, 0x3fb8aa3b, v50
	v_exp_f32_e32 v70, v50
	v_sub_f32_e32 v50, v51, v66
	v_mul_f32_e32 v50, 0x3fb8aa3b, v50
	v_exp_f32_e32 v71, v50
	global_load_dwordx4 v[62:65], v[52:53], off
	s_nop 0
	global_load_dwordx4 v[50:53], v[52:53], off offset:16
	v_sub_f32_e32 v82, v82, v66
	v_mul_f32_e32 v82, 0x3fb8aa3b, v82
	v_sub_f32_e32 v83, v83, v66
	v_exp_f32_e32 v82, v82
	v_mul_f32_e32 v83, 0x3fb8aa3b, v83
	v_sub_f32_e32 v72, v72, v66
	v_exp_f32_e32 v83, v83
	v_mul_f32_e32 v72, 0x3fb8aa3b, v72
	v_sub_f32_e32 v73, v73, v66
	v_cndmask_b32_e64 v70, 0, v70, s[28:29]
	v_exp_f32_e32 v72, v72
	v_mul_f32_e32 v73, 0x3fb8aa3b, v73
	v_sub_f32_e32 v84, v84, v66
	v_add_f32_e32 v86, 0, v70
	v_cndmask_b32_e64 v71, 0, v71, s[30:31]
	v_exp_f32_e32 v73, v73
	v_mul_f32_e32 v84, 0x3fb8aa3b, v84
	v_sub_f32_e32 v85, v85, v66
	v_add_f32_e32 v86, v86, v71
	;; [unrolled: 5-line block ×10, first 2 shown]
	v_cndmask_b32_e64 v80, 0, v80, s[10:11]
	v_exp_f32_e32 v68, v68
	v_mul_f32_e32 v69, 0x3fb8aa3b, v69
	v_add_f32_e32 v86, v86, v80
	v_cndmask_b32_e64 v81, 0, v81, s[12:13]
	v_exp_f32_e32 v69, v69
	v_add_f32_e32 v86, v86, v81
	v_cndmask_b32_e64 v76, 0, v76, s[6:7]
	v_add_f32_e32 v86, v86, v76
	v_cndmask_b32_e64 v77, 0, v77, s[8:9]
	v_add_f32_e32 v86, v86, v77
	v_cndmask_b32_e32 v68, 0, v68, vcc
	v_add_f32_e32 v86, v86, v68
	v_cndmask_b32_e64 v69, 0, v69, s[26:27]
	v_add_f32_e32 v86, v86, v69
	ds_bpermute_b32 v74, v74, v86
	v_cmp_lt_u32_e64 s[6:7], 15, v23
	v_cmp_gt_u32_e32 vcc, 16, v23
	s_waitcnt lgkmcnt(0)
	s_barrier
	v_add_f32_e32 v90, v86, v74
	ds_bpermute_b32 v91, v75, v90
	s_waitcnt lgkmcnt(0)
	s_and_saveexec_b64 s[8:9], vcc
	s_cbranch_execz .LBB724_15
; %bb.14:
	v_add_f32_e32 v74, v90, v91
	v_lshlrev_b32_e32 v1, 2, v1
	ds_write2st64_b32 v1, v66, v74 offset1:1
.LBB724_15:
	s_or_b64 exec, exec, s[8:9]
	v_mov_b32_e32 v95, v22
	v_lshlrev_b32_e32 v1, 2, v95
	s_load_dwordx2 s[8:9], s[0:1], 0x94
	s_waitcnt lgkmcnt(0)
	s_barrier
	ds_read2_b32 v[74:75], v1 offset1:16
	ds_read2_b32 v[86:87], v1 offset0:32 offset1:48
	ds_read2_b32 v[90:91], v1 offset0:64 offset1:80
	s_movk_i32 s12, 0x7fff
	s_mov_b32 s13, 0x7060302
	s_waitcnt lgkmcnt(2)
	v_max3_f32 v66, v74, s33, v75
	s_waitcnt lgkmcnt(1)
	v_max3_f32 v88, v66, v86, v87
	v_sub_f32_e32 v66, v74, v88
	v_sub_f32_e32 v74, v75, v88
	v_mul_f32_e32 v74, 0x3fb8aa3b, v74
	v_mul_f32_e32 v66, 0x3fb8aa3b, v66
	v_exp_f32_e32 v92, v74
	v_sub_f32_e32 v74, v86, v88
	v_exp_f32_e32 v66, v66
	v_mul_f32_e32 v74, 0x3fb8aa3b, v74
	v_exp_f32_e32 v86, v74
	ds_read2_b32 v[74:75], v1 offset0:96 offset1:112
	v_sub_f32_e32 v1, v87, v88
	v_mul_f32_e32 v1, 0x3fb8aa3b, v1
	v_exp_f32_e32 v1, v1
	s_waitcnt lgkmcnt(1)
	v_fma_f32 v89, v66, v90, 0
	v_fmac_f32_e32 v89, v92, v91
	s_waitcnt lgkmcnt(0)
	v_fmac_f32_e32 v89, v86, v74
	v_fmac_f32_e32 v89, v1, v75
	v_add_f32_e32 v74, 0x358637bd, v89
	v_div_scale_f32 v75, s[10:11], v74, v74, 1.0
	v_rcp_f32_e32 v87, v75
	s_barrier
	v_fma_f32 v90, -v75, v87, 1.0
	v_fmac_f32_e32 v87, v90, v87
	v_div_scale_f32 v90, vcc, 1.0, v74, 1.0
	v_mul_f32_e32 v91, v90, v87
	v_fma_f32 v93, -v75, v91, v90
	v_fmac_f32_e32 v91, v93, v87
	v_fma_f32 v75, -v75, v91, v90
	v_div_fmas_f32 v75, v75, v87, v91
	v_cmp_eq_u32_e32 vcc, 1, v67
	v_div_fixup_f32 v74, v75, v74, 1.0
	s_nop 0
	v_cndmask_b32_e32 v66, v66, v92, vcc
	v_cmp_eq_u32_e32 vcc, 2, v67
	s_nop 1
	v_cndmask_b32_e32 v66, v66, v86, vcc
	v_cmp_eq_u32_e32 vcc, 3, v67
	s_nop 1
	v_cndmask_b32_e32 v1, v66, v1, vcc
	v_mul_f32_e32 v74, v1, v74
	v_pk_mul_f32 v[70:71], v[74:75], v[70:71] op_sel_hi:[0,1]
	v_bfe_u32 v1, v71, 16, 1
	v_bfe_u32 v66, v70, 16, 1
	v_pk_mul_f32 v[82:83], v[74:75], v[82:83] op_sel_hi:[0,1]
	v_add3_u32 v66, v70, v66, s12
	v_add3_u32 v1, v71, v1, s12
	v_perm_b32 v70, v1, v66, s13
	v_bfe_u32 v1, v83, 16, 1
	v_bfe_u32 v66, v82, 16, 1
	v_add3_u32 v66, v82, v66, s12
	v_add3_u32 v1, v83, v1, s12
	v_lshlrev_b32_e32 v75, 11, v67
	v_perm_b32 v71, v1, v66, s13
	v_lshlrev_b32_e32 v1, 3, v94
	v_lshlrev_b32_e32 v66, 5, v95
	v_pk_mul_f32 v[72:73], v[74:75], v[72:73] op_sel_hi:[0,1]
	v_or3_b32 v82, v75, v66, v1
	v_pk_mul_f32 v[84:85], v[74:75], v[84:85] op_sel_hi:[0,1]
	v_bfe_u32 v1, v73, 16, 1
	v_bfe_u32 v75, v72, 16, 1
	v_add3_u32 v72, v72, v75, s12
	v_add3_u32 v1, v73, v1, s12
	v_perm_b32 v72, v1, v72, s13
	v_bfe_u32 v1, v85, 16, 1
	v_bfe_u32 v73, v84, 16, 1
	v_add3_u32 v73, v84, v73, s12
	v_add3_u32 v1, v85, v1, s12
	v_perm_b32 v73, v1, v73, s13
	ds_write2st64_b64 v82, v[70:71], v[72:73] offset1:1
	v_pk_mul_f32 v[72:73], v[74:75], v[78:79] op_sel_hi:[0,1]
	v_pk_mul_f32 v[70:71], v[74:75], v[80:81] op_sel_hi:[0,1]
	v_bfe_u32 v1, v73, 16, 1
	v_bfe_u32 v75, v72, 16, 1
	v_add3_u32 v72, v72, v75, s12
	v_add3_u32 v1, v73, v1, s12
	v_perm_b32 v72, v1, v72, s13
	v_bfe_u32 v1, v71, 16, 1
	v_bfe_u32 v73, v70, 16, 1
	v_add3_u32 v70, v70, v73, s12
	v_add3_u32 v1, v71, v1, s12
	v_perm_b32 v73, v1, v70, s13
	v_pk_mul_f32 v[70:71], v[74:75], v[76:77] op_sel_hi:[0,1]
	v_pk_mul_f32 v[68:69], v[74:75], v[68:69] op_sel_hi:[0,1]
	v_bfe_u32 v1, v71, 16, 1
	v_bfe_u32 v74, v70, 16, 1
	v_add3_u32 v70, v70, v74, s12
	v_add3_u32 v1, v71, v1, s12
	v_perm_b32 v70, v1, v70, s13
	v_bfe_u32 v1, v69, 16, 1
	v_bfe_u32 v71, v68, 16, 1
	v_add3_u32 v68, v68, v71, s12
	v_add3_u32 v1, v69, v1, s12
	v_perm_b32 v71, v1, v68, s13
	v_cmp_eq_u32_e32 vcc, 0, v0
	ds_write2st64_b64 v82, v[72:73], v[70:71] offset0:2 offset1:3
	s_and_saveexec_b64 s[10:11], vcc
	s_cbranch_execz .LBB724_17
; %bb.16:
	s_mul_i32 s3, s3, s9
	s_mul_hi_u32 s14, s2, s9
	s_add_i32 s14, s14, s3
	s_mul_i32 s3, s2, s9
	s_add_u32 s3, s3, s4
	s_addc_u32 s14, s14, 0
	s_load_dwordx4 s[16:19], s[0:1], 0x58
	s_mul_i32 s14, s14, s8
	s_mul_hi_u32 s15, s3, s8
	s_add_i32 s15, s15, s14
	s_mul_i32 s3, s3, s8
	s_add_u32 s14, s3, s5
	s_addc_u32 s15, s15, 0
	s_lshl_b64 s[14:15], s[14:15], 2
	s_waitcnt lgkmcnt(0)
	s_add_u32 s18, s18, s14
	s_addc_u32 s19, s19, s15
	s_add_u32 s14, s16, s14
	s_addc_u32 s15, s17, s15
	global_store_dword v25, v88, s[18:19]
	global_store_dword v25, v89, s[14:15]
.LBB724_17:
	s_or_b64 exec, exec, s[10:11]
	v_lshl_or_b32 v1, v94, 9, v66
	s_waitcnt lgkmcnt(0)
	s_barrier
	ds_read_b128 v[70:73], v1
	ds_read_b128 v[66:69], v1 offset:16
	s_waitcnt lgkmcnt(1)
	v_mfma_f32_16x16x16_bf16 v[74:77], v[30:31], v[70:71], 0
	s_mov_b32 s3, 0
	v_cmp_gt_u32_e32 vcc, 64, v0
	s_xor_b64 s[6:7], s[6:7], -1
	v_mfma_f32_16x16x16_bf16 v[30:33], v[32:33], v[72:73], v[74:77]
	s_and_b64 s[6:7], vcc, s[6:7]
	s_waitcnt lgkmcnt(0)
	v_mfma_f32_16x16x16_bf16 v[30:33], v[26:27], v[66:67], v[30:33]
	v_mfma_f32_16x16x16_bf16 v[26:29], v[28:29], v[68:69], v[30:33]
	s_nop 5
	ds_read_b128 v[30:33], v1 offset:2048
	ds_read_b128 v[74:77], v1 offset:2064
	s_waitcnt lgkmcnt(1)
	v_mfma_f32_16x16x16_bf16 v[26:29], v[10:11], v[30:31], v[26:29]
	v_mfma_f32_16x16x16_bf16 v[22:25], v[12:13], v[32:33], v[26:29]
	s_waitcnt lgkmcnt(0)
	v_mfma_f32_16x16x16_bf16 v[22:25], v[18:19], v[74:75], v[22:25]
	v_mfma_f32_16x16x16_bf16 v[18:21], v[20:21], v[76:77], v[22:25]
	s_nop 5
	ds_read_b128 v[22:25], v1 offset:4096
	ds_read_b128 v[26:29], v1 offset:4112
	scratch_load_dwordx4 v[10:13], off, off offset:8 ; 16-byte Folded Reload
	s_waitcnt lgkmcnt(1)
	v_mfma_f32_16x16x16_bf16 v[18:21], v[14:15], v[22:23], v[18:21]
	v_mfma_f32_16x16x16_bf16 v[14:17], v[16:17], v[24:25], v[18:21]
	s_waitcnt vmcnt(0) lgkmcnt(0)
	v_mfma_f32_16x16x16_bf16 v[14:17], v[10:11], v[26:27], v[14:17]
	v_mfma_f32_16x16x16_bf16 v[10:13], v[12:13], v[28:29], v[14:17]
	s_nop 5
	ds_read_b128 v[14:17], v1 offset:6144
	ds_read_b128 v[18:21], v1 offset:6160
	s_waitcnt lgkmcnt(0)
	s_barrier
	v_mfma_f32_16x16x16_bf16 v[10:13], v[6:7], v[14:15], v[10:13]
	v_mfma_f32_16x16x16_bf16 v[6:9], v[8:9], v[16:17], v[10:13]
	;; [unrolled: 1-line block ×6, first 2 shown]
	s_nop 4
	v_bfe_u32 v1, v3, 16, 1
	v_bfe_u32 v10, v2, 16, 1
	v_add3_u32 v2, v2, v10, s12
	v_mfma_f32_16x16x16_bf16 v[6:9], v[38:39], v[66:67], v[6:9]
	v_add3_u32 v1, v3, v1, s12
	v_perm_b32 v10, v1, v2, s13
	v_bfe_u32 v1, v5, 16, 1
	v_mfma_f32_16x16x16_bf16 v[6:9], v[40:41], v[68:69], v[6:9]
	v_bfe_u32 v2, v4, 16, 1
	v_add3_u32 v2, v4, v2, s12
	v_add3_u32 v1, v5, v1, s12
	v_mfma_f32_16x16x16_bf16 v[6:9], v[42:43], v[30:31], v[6:9]
	v_perm_b32 v11, v1, v2, s13
	v_mfma_f32_16x16x16_bf16 v[6:9], v[44:45], v[32:33], v[6:9]
	v_mfma_f32_16x16x16_bf16 v[6:9], v[34:35], v[74:75], v[6:9]
	;; [unrolled: 1-line block ×11, first 2 shown]
	s_nop 6
	v_bfe_u32 v1, v3, 16, 1
	v_bfe_u32 v6, v2, 16, 1
	v_add3_u32 v2, v2, v6, s12
	v_add3_u32 v1, v3, v1, s12
	v_perm_b32 v2, v1, v2, s13
	v_bfe_u32 v1, v5, 16, 1
	v_bfe_u32 v3, v4, 16, 1
	v_add3_u32 v3, v4, v3, s12
	v_add3_u32 v1, v5, v1, s12
	v_perm_b32 v3, v1, v3, s13
	ds_write2st64_b64 v82, v[10:11], v[2:3] offset1:1
	s_waitcnt lgkmcnt(0)
	s_barrier
	s_mov_b64 s[10:11], exec
	scratch_load_dwordx2 v[4:5], off, off   ; 8-byte Folded Reload
	s_and_b64 s[6:7], s[10:11], s[6:7]
	s_mov_b64 exec, s[6:7]
	s_cbranch_execz .LBB724_19
; %bb.18:
	s_load_dwordx2 s[0:1], s[0:1], 0x68
	s_mul_i32 s2, s9, s2
	s_lshl_b32 s8, s8, 7
	s_mul_hi_u32 s7, s2, s8
	s_mul_i32 s6, s2, s8
	s_lshl_b64 s[6:7], s[6:7], 1
	v_lshlrev_b32_e32 v3, 6, v95
	s_waitcnt lgkmcnt(0)
	s_add_u32 s6, s0, s6
	v_lshlrev_b32_e32 v2, 4, v0
	v_lshl_or_b32 v0, v0, 10, v3
	s_addc_u32 s7, s1, s7
	s_lshl_b32 s2, s5, 7
	v_lshlrev_b32_e32 v1, 5, v94
	v_and_b32_e32 v2, 16, v2
	v_and_b32_e32 v0, 0x1a00, v0
	s_lshl_b64 s[0:1], s[2:3], 1
	v_or3_b32 v0, v0, v1, v2
	s_add_u32 s2, s6, s0
	ds_read_b128 v[0:3], v0
	s_addc_u32 s3, s7, s1
	s_mul_hi_u32 s1, s8, s4
	s_mul_i32 s0, s8, s4
	s_lshl_b64 s[0:1], s[0:1], 1
	s_add_u32 s0, s2, s0
	s_addc_u32 s1, s3, s1
	s_waitcnt vmcnt(0)
	v_lshl_add_u64 v[4:5], v[4:5], 1, s[0:1]
	s_waitcnt lgkmcnt(0)
	global_store_dwordx4 v[4:5], v[0:3], off
.LBB724_19:
	s_endpgm
	.section	.rodata,"a",@progbits
	.p2align	6, 0x0
	.amdhsa_kernel _Z39paged_attention_ll4mi_QKV_mfma16_kernelI14__hip_bfloat16S0_LN4vllm18Fp8KVCacheDataTypeE0EhLi32ELi128ELi256ELb0ELi1EEvPKT_PKT0_S8_ifPKiSA_SA_iPKfiiiPfSD_PS3_PT2_iSC_SC_
		.amdhsa_group_segment_fixed_size 8192
		.amdhsa_private_segment_fixed_size 28
		.amdhsa_kernarg_size 400
		.amdhsa_user_sgpr_count 2
		.amdhsa_user_sgpr_dispatch_ptr 0
		.amdhsa_user_sgpr_queue_ptr 0
		.amdhsa_user_sgpr_kernarg_segment_ptr 1
		.amdhsa_user_sgpr_dispatch_id 0
		.amdhsa_user_sgpr_kernarg_preload_length 0
		.amdhsa_user_sgpr_kernarg_preload_offset 0
		.amdhsa_user_sgpr_private_segment_size 0
		.amdhsa_uses_dynamic_stack 0
		.amdhsa_enable_private_segment 1
		.amdhsa_system_sgpr_workgroup_id_x 1
		.amdhsa_system_sgpr_workgroup_id_y 1
		.amdhsa_system_sgpr_workgroup_id_z 1
		.amdhsa_system_sgpr_workgroup_info 0
		.amdhsa_system_vgpr_workitem_id 0
		.amdhsa_next_free_vgpr 96
		.amdhsa_next_free_sgpr 40
		.amdhsa_accum_offset 96
		.amdhsa_reserve_vcc 1
		.amdhsa_float_round_mode_32 0
		.amdhsa_float_round_mode_16_64 0
		.amdhsa_float_denorm_mode_32 3
		.amdhsa_float_denorm_mode_16_64 3
		.amdhsa_dx10_clamp 1
		.amdhsa_ieee_mode 1
		.amdhsa_fp16_overflow 0
		.amdhsa_tg_split 0
		.amdhsa_exception_fp_ieee_invalid_op 0
		.amdhsa_exception_fp_denorm_src 0
		.amdhsa_exception_fp_ieee_div_zero 0
		.amdhsa_exception_fp_ieee_overflow 0
		.amdhsa_exception_fp_ieee_underflow 0
		.amdhsa_exception_fp_ieee_inexact 0
		.amdhsa_exception_int_div_zero 0
	.end_amdhsa_kernel
	.section	.text._Z39paged_attention_ll4mi_QKV_mfma16_kernelI14__hip_bfloat16S0_LN4vllm18Fp8KVCacheDataTypeE0EhLi32ELi128ELi256ELb0ELi1EEvPKT_PKT0_S8_ifPKiSA_SA_iPKfiiiPfSD_PS3_PT2_iSC_SC_,"axG",@progbits,_Z39paged_attention_ll4mi_QKV_mfma16_kernelI14__hip_bfloat16S0_LN4vllm18Fp8KVCacheDataTypeE0EhLi32ELi128ELi256ELb0ELi1EEvPKT_PKT0_S8_ifPKiSA_SA_iPKfiiiPfSD_PS3_PT2_iSC_SC_,comdat
.Lfunc_end724:
	.size	_Z39paged_attention_ll4mi_QKV_mfma16_kernelI14__hip_bfloat16S0_LN4vllm18Fp8KVCacheDataTypeE0EhLi32ELi128ELi256ELb0ELi1EEvPKT_PKT0_S8_ifPKiSA_SA_iPKfiiiPfSD_PS3_PT2_iSC_SC_, .Lfunc_end724-_Z39paged_attention_ll4mi_QKV_mfma16_kernelI14__hip_bfloat16S0_LN4vllm18Fp8KVCacheDataTypeE0EhLi32ELi128ELi256ELb0ELi1EEvPKT_PKT0_S8_ifPKiSA_SA_iPKfiiiPfSD_PS3_PT2_iSC_SC_
                                        ; -- End function
	.section	.AMDGPU.csdata,"",@progbits
; Kernel info:
; codeLenInByte = 4760
; NumSgprs: 46
; NumVgprs: 96
; NumAgprs: 0
; TotalNumVgprs: 96
; ScratchSize: 28
; MemoryBound: 0
; FloatMode: 240
; IeeeMode: 1
; LDSByteSize: 8192 bytes/workgroup (compile time only)
; SGPRBlocks: 5
; VGPRBlocks: 11
; NumSGPRsForWavesPerEU: 46
; NumVGPRsForWavesPerEU: 96
; AccumOffset: 96
; Occupancy: 5
; WaveLimiterHint : 1
; COMPUTE_PGM_RSRC2:SCRATCH_EN: 1
; COMPUTE_PGM_RSRC2:USER_SGPR: 2
; COMPUTE_PGM_RSRC2:TRAP_HANDLER: 0
; COMPUTE_PGM_RSRC2:TGID_X_EN: 1
; COMPUTE_PGM_RSRC2:TGID_Y_EN: 1
; COMPUTE_PGM_RSRC2:TGID_Z_EN: 1
; COMPUTE_PGM_RSRC2:TIDIG_COMP_CNT: 0
; COMPUTE_PGM_RSRC3_GFX90A:ACCUM_OFFSET: 23
; COMPUTE_PGM_RSRC3_GFX90A:TG_SPLIT: 0
	.section	.text._Z39paged_attention_ll4mi_QKV_mfma16_kernelI14__hip_bfloat16S0_LN4vllm18Fp8KVCacheDataTypeE0EhLi32ELi128ELi256ELb0ELi2EEvPKT_PKT0_S8_ifPKiSA_SA_iPKfiiiPfSD_PS3_PT2_iSC_SC_,"axG",@progbits,_Z39paged_attention_ll4mi_QKV_mfma16_kernelI14__hip_bfloat16S0_LN4vllm18Fp8KVCacheDataTypeE0EhLi32ELi128ELi256ELb0ELi2EEvPKT_PKT0_S8_ifPKiSA_SA_iPKfiiiPfSD_PS3_PT2_iSC_SC_,comdat
	.protected	_Z39paged_attention_ll4mi_QKV_mfma16_kernelI14__hip_bfloat16S0_LN4vllm18Fp8KVCacheDataTypeE0EhLi32ELi128ELi256ELb0ELi2EEvPKT_PKT0_S8_ifPKiSA_SA_iPKfiiiPfSD_PS3_PT2_iSC_SC_ ; -- Begin function _Z39paged_attention_ll4mi_QKV_mfma16_kernelI14__hip_bfloat16S0_LN4vllm18Fp8KVCacheDataTypeE0EhLi32ELi128ELi256ELb0ELi2EEvPKT_PKT0_S8_ifPKiSA_SA_iPKfiiiPfSD_PS3_PT2_iSC_SC_
	.globl	_Z39paged_attention_ll4mi_QKV_mfma16_kernelI14__hip_bfloat16S0_LN4vllm18Fp8KVCacheDataTypeE0EhLi32ELi128ELi256ELb0ELi2EEvPKT_PKT0_S8_ifPKiSA_SA_iPKfiiiPfSD_PS3_PT2_iSC_SC_
	.p2align	8
	.type	_Z39paged_attention_ll4mi_QKV_mfma16_kernelI14__hip_bfloat16S0_LN4vllm18Fp8KVCacheDataTypeE0EhLi32ELi128ELi256ELb0ELi2EEvPKT_PKT0_S8_ifPKiSA_SA_iPKfiiiPfSD_PS3_PT2_iSC_SC_,@function
_Z39paged_attention_ll4mi_QKV_mfma16_kernelI14__hip_bfloat16S0_LN4vllm18Fp8KVCacheDataTypeE0EhLi32ELi128ELi256ELb0ELi2EEvPKT_PKT0_S8_ifPKiSA_SA_iPKfiiiPfSD_PS3_PT2_iSC_SC_: ; @_Z39paged_attention_ll4mi_QKV_mfma16_kernelI14__hip_bfloat16S0_LN4vllm18Fp8KVCacheDataTypeE0EhLi32ELi128ELi256ELb0ELi2EEvPKT_PKT0_S8_ifPKiSA_SA_iPKfiiiPfSD_PS3_PT2_iSC_SC_
; %bb.0:
	s_load_dwordx2 s[8:9], s[0:1], 0x30
	s_mov_b32 s26, s3
	s_mov_b64 s[6:7], 0
	s_waitcnt lgkmcnt(0)
	s_cmp_lg_u64 s[8:9], 0
	s_cselect_b64 s[10:11], -1, 0
	s_and_b64 vcc, exec, s[10:11]
	s_cbranch_vccz .LBB725_7
; %bb.1:
	s_add_i32 s12, s2, 1
	s_mov_b32 s13, 0
	s_lshl_b64 s[14:15], s[12:13], 2
	s_add_u32 s14, s8, s14
	s_mov_b32 s3, s13
	s_addc_u32 s15, s9, s15
	s_lshl_b64 s[12:13], s[2:3], 2
	s_add_u32 s12, s8, s12
	s_addc_u32 s13, s9, s13
	s_load_dword s5, s[14:15], 0x0
	s_load_dword s16, s[12:13], 0x0
	s_waitcnt lgkmcnt(0)
	s_sub_i32 s5, s5, s16
	s_cmp_eq_u32 s5, 1
	s_cselect_b64 s[12:13], -1, 0
	s_andn2_b64 vcc, exec, s[6:7]
	s_cbranch_vccnz .LBB725_3
.LBB725_2:
	s_mov_b32 s3, 0
	s_mov_b64 s[12:13], -1
.LBB725_3:
	s_andn2_b64 vcc, exec, s[12:13]
	s_cbranch_vccnz .LBB725_19
; %bb.4:
	s_load_dwordx2 s[6:7], s[0:1], 0x28
	s_lshl_b64 s[12:13], s[2:3], 2
	s_waitcnt lgkmcnt(0)
	s_add_u32 s6, s6, s12
	s_addc_u32 s7, s7, s13
	s_load_dword s38, s[6:7], 0x0
	s_lshl_b32 s18, s26, 8
	s_waitcnt lgkmcnt(0)
	s_cmp_ge_i32 s18, s38
	s_cbranch_scc1 .LBB725_19
; %bb.5:
	s_load_dwordx2 s[6:7], s[0:1], 0x20
	s_load_dword s5, s[0:1], 0x38
	s_add_i32 s14, s38, 31
	s_ashr_i32 s15, s14, 31
	v_and_b32_e32 v1, 0xcf, v0
	s_lshr_b32 s15, s15, 27
	v_add_u32_e32 v1, s18, v1
	s_add_i32 s14, s14, s15
	v_ashrrev_i32_e32 v2, 31, v1
	s_ashr_i32 s19, s14, 5
	v_lshrrev_b32_e32 v6, 27, v2
	s_add_i32 s19, s19, -1
	s_waitcnt lgkmcnt(0)
	s_mul_i32 s14, s2, s5
	s_mov_b32 s15, 0
	v_add_u32_e32 v2, v1, v6
	s_lshl_b64 s[14:15], s[14:15], 2
	v_ashrrev_i32_e32 v2, 5, v2
	v_mov_b32_e32 v7, s19
	v_cmp_gt_i32_e32 vcc, s38, v1
	s_add_u32 s6, s6, s14
	s_addc_u32 s7, s7, s15
	v_cndmask_b32_e32 v2, v7, v2, vcc
	v_ashrrev_i32_e32 v3, 31, v2
	v_lshl_add_u64 v[4:5], v[2:3], 2, s[6:7]
	v_or_b32_e32 v2, 16, v1
	v_add_u32_e32 v3, v2, v6
	v_ashrrev_i32_e32 v3, 5, v3
	v_cmp_gt_i32_e32 vcc, s38, v2
	s_nop 1
	v_cndmask_b32_e32 v2, v7, v3, vcc
	v_ashrrev_i32_e32 v3, 31, v2
	v_lshl_add_u64 v[8:9], v[2:3], 2, s[6:7]
	v_or_b32_e32 v2, 32, v1
	v_add_u32_e32 v3, v2, v6
	v_ashrrev_i32_e32 v3, 5, v3
	v_cmp_gt_i32_e32 vcc, s38, v2
	v_or_b32_e32 v1, 48, v1
	s_nop 0
	v_cndmask_b32_e32 v2, v7, v3, vcc
	v_ashrrev_i32_e32 v3, 31, v2
	v_lshl_add_u64 v[10:11], v[2:3], 2, s[6:7]
	v_add_u32_e32 v2, v1, v6
	v_ashrrev_i32_e32 v2, 5, v2
	v_cmp_gt_i32_e32 vcc, s38, v1
	s_nop 1
	v_cndmask_b32_e32 v2, v7, v2, vcc
	v_ashrrev_i32_e32 v3, 31, v2
	v_lshl_add_u64 v[12:13], v[2:3], 2, s[6:7]
	global_load_dword v2, v[4:5], off
	global_load_dword v7, v[8:9], off
	;; [unrolled: 1-line block ×4, first 2 shown]
	s_andn2_b64 vcc, exec, s[10:11]
	s_cbranch_vccnz .LBB725_8
; %bb.6:
	s_add_u32 s8, s8, s12
	s_addc_u32 s9, s9, s13
	s_load_dword s5, s[8:9], 0x0
	s_branch .LBB725_9
.LBB725_7:
	s_mov_b64 s[12:13], 0
	s_branch .LBB725_2
.LBB725_8:
	s_mov_b32 s5, s2
.LBB725_9:
	s_load_dwordx4 s[12:15], s[0:1], 0x8
	s_load_dwordx4 s[8:11], s[0:1], 0x48
	v_lshrrev_b32_e32 v85, 6, v0
	v_bfe_u32 v86, v0, 4, 2
	v_lshl_or_b32 v3, v85, 2, v86
	v_and_b32_e32 v84, 15, v0
	v_lshlrev_b32_e32 v12, 3, v84
	v_cmp_lt_u32_e32 vcc, 1, v3
	s_and_saveexec_b64 s[16:17], vcc
	s_xor_b64 s[16:17], exec, s[16:17]
; %bb.10:
	v_mov_b32_e32 v13, 0
                                        ; implicit-def: $vgpr3
; %bb.11:
	s_or_saveexec_b64 s[16:17], s[16:17]
	s_lshl_b32 s27, s4, 1
	s_xor_b64 exec, exec, s[16:17]
	s_cbranch_execz .LBB725_13
; %bb.12:
	s_load_dwordx2 s[20:21], s[0:1], 0x0
	s_waitcnt lgkmcnt(0)
	s_ashr_i32 s11, s8, 31
	s_mul_hi_u32 s22, s5, s8
	s_mul_i32 s11, s5, s11
	s_add_i32 s23, s22, s11
	s_mul_i32 s22, s5, s8
	s_lshl_b64 s[22:23], s[22:23], 1
	s_add_u32 s20, s20, s22
	v_add_lshl_u32 v4, v86, s27, 7
	s_addc_u32 s21, s21, s23
	v_ashrrev_i32_e32 v5, 31, v4
	v_mov_b32_e32 v13, 0
	v_lshl_add_u64 v[4:5], v[4:5], 1, s[20:21]
	v_lshlrev_b32_e32 v8, 1, v12
	v_mov_b32_e32 v9, v13
	v_lshl_add_u64 v[4:5], v[4:5], 0, v[8:9]
	global_load_dwordx4 v[8:11], v[4:5], off
	v_and_b32_e32 v4, 3, v0
	v_lshlrev_b32_e32 v5, 9, v84
	v_lshlrev_b32_e32 v3, 5, v3
	;; [unrolled: 1-line block ×3, first 2 shown]
	v_and_b32_e32 v5, 0x1800, v5
	v_or3_b32 v3, v5, v4, v3
	s_waitcnt vmcnt(0)
	ds_write_b128 v3, v[8:11]
.LBB725_13:
	s_or_b64 exec, exec, s[16:17]
	s_waitcnt lgkmcnt(0)
	s_mul_i32 s4, s4, s10
	s_mov_b32 s5, 0
	s_lshl_b64 s[4:5], s[4:5], 1
	s_add_u32 s10, s12, s4
	s_addc_u32 s11, s13, s5
	s_waitcnt vmcnt(3)
	v_mad_i64_i32 v[2:3], s[12:13], v2, s9, 0
	v_mov_b32_e32 v55, 0
	s_waitcnt vmcnt(2)
	v_mad_i64_i32 v[8:9], s[12:13], v7, s9, 0
	v_mov_b32_e32 v7, 0x100
	v_lshl_add_u64 v[2:3], v[2:3], 1, s[10:11]
	v_lshlrev_b64 v[4:5], 1, v[12:13]
	v_lshl_add_u64 v[8:9], v[8:9], 1, s[10:11]
	v_lshl_or_b32 v56, v84, 4, v7
	v_mov_b32_e32 v57, v55
	v_lshlrev_b32_e32 v54, 9, v86
	v_lshl_add_u64 v[2:3], v[2:3], 0, v[4:5]
	v_lshl_add_u64 v[20:21], v[8:9], 0, v[56:57]
	;; [unrolled: 1-line block ×4, first 2 shown]
	s_load_dword s33, s[0:1], 0x98
	s_load_dword s8, s[0:1], 0x1c
	s_waitcnt lgkmcnt(0)
	s_barrier
	scratch_store_dwordx2 off, v[12:13], off ; 8-byte Folded Spill
	global_load_dwordx4 v[14:17], v[18:19], off
	s_waitcnt vmcnt(3)
	v_mad_i64_i32 v[6:7], s[12:13], v6, s9, 0
	global_load_dwordx4 v[10:13], v[22:23], off
	v_lshl_add_u64 v[6:7], v[6:7], 1, s[10:11]
	v_lshl_add_u64 v[60:61], v[6:7], 0, v[4:5]
	;; [unrolled: 1-line block ×3, first 2 shown]
	global_load_dwordx4 v[6:9], v[46:47], off
	global_load_dwordx4 v[42:45], v[18:19], off offset:2048
	global_load_dwordx4 v[38:41], v[22:23], off offset:2048
	v_or_b32_e32 v62, 0x1000, v54
	v_mov_b32_e32 v63, v55
	v_lshl_add_u64 v[4:5], v[2:3], 0, v[62:63]
	global_load_dwordx4 v[30:33], v[4:5], off
	v_or_b32_e32 v58, 0x1800, v54
	v_mov_b32_e32 v59, v55
	v_lshl_add_u64 v[2:3], v[2:3], 0, v[58:59]
	global_load_dwordx4 v[22:25], v[2:3], off
	v_lshl_add_u64 v[4:5], v[20:21], 0, v[62:63]
	global_load_dwordx4 v[26:29], v[4:5], off
	;; [unrolled: 2-line block ×3, first 2 shown]
	v_and_b32_e32 v2, 1, v0
	v_lshl_or_b32 v48, v2, 5, v54
	ds_read_b128 v[2:5], v48
	s_waitcnt vmcnt(10)
	v_mad_i64_i32 v[64:65], s[12:13], v34, s9, 0
	ds_read_b128 v[34:37], v48 offset:2048
	global_load_dwordx4 v[76:79], v[46:47], off offset:2048
	ds_read_b128 v[50:53], v48 offset:4096
	ds_read_b128 v[46:49], v48 offset:6144
	s_ashr_i32 s12, s18, 31
	v_and_or_b32 v74, v0, 48, s18
	v_mov_b32_e32 v75, s19
	v_cmp_gt_i32_e32 vcc, s38, v74
	v_or_b32_e32 v87, 64, v74
	v_or_b32_e32 v88, 0x80, v74
	;; [unrolled: 1-line block ×3, first 2 shown]
	s_mov_b32 s40, 0xff7fffff
	s_waitcnt vmcnt(7) lgkmcnt(3)
	v_mfma_f32_16x16x16_bf16 v[80:83], v[6:7], v[2:3], 0
	v_lshl_add_u64 v[6:7], v[64:65], 1, s[10:11]
	s_lshr_b32 s10, s12, 27
	v_lshl_add_u64 v[6:7], v[6:7], 0, v[56:57]
	v_mfma_f32_16x16x16_bf16 v[70:73], v[10:11], v[2:3], 0
	v_lshl_add_u64 v[64:65], v[6:7], 0, v[54:55]
	v_lshl_add_u64 v[56:57], v[60:61], 0, v[58:59]
	s_add_u32 s4, s14, s4
	v_mfma_f32_16x16x16_bf16 v[66:69], v[14:15], v[2:3], 0
	s_addc_u32 s5, s15, s5
	v_mfma_f32_16x16x16_bf16 v[10:13], v[12:13], v[4:5], v[70:73]
	v_mfma_f32_16x16x16_bf16 v[14:17], v[16:17], v[4:5], v[66:69]
	s_nop 1
	v_lshl_add_u64 v[72:73], v[6:7], 0, v[62:63]
	global_load_dwordx4 v[92:95], v[72:73], off
	s_waitcnt vmcnt(6) lgkmcnt(2)
	v_mfma_f32_16x16x16_bf16 v[10:13], v[38:39], v[34:35], v[10:13]
	v_add_u32_e32 v66, s10, v74
	v_ashrrev_i32_e32 v54, 5, v66
	v_add_u32_e32 v67, s10, v87
	v_mfma_f32_16x16x16_bf16 v[14:17], v[42:43], v[34:35], v[14:17]
	v_lshl_add_u64 v[42:43], v[60:61], 0, v[62:63]
	v_ashrrev_i32_e32 v60, 5, v67
	v_add_u32_e32 v68, s10, v88
	v_mfma_f32_16x16x16_bf16 v[10:13], v[40:41], v[36:37], v[10:13]
	global_load_dwordx4 v[38:41], v[42:43], off
	v_cndmask_b32_e32 v42, v75, v54, vcc
	v_ashrrev_i32_e32 v43, 31, v42
	v_mfma_f32_16x16x16_bf16 v[14:17], v[44:45], v[36:37], v[14:17]
	v_cmp_gt_i32_e32 vcc, s38, v87
	v_ashrrev_i32_e32 v66, 5, v68
	v_add_u32_e32 v69, s10, v89
	s_waitcnt vmcnt(6) lgkmcnt(1)
	v_mfma_f32_16x16x16_bf16 v[14:17], v[30:31], v[50:51], v[14:17]
	v_lshl_add_u64 v[30:31], v[42:43], 2, s[6:7]
	global_load_dwordx4 v[42:45], v[56:57], off
	v_ashrrev_i32_e32 v68, 5, v69
	global_load_dword v30, v[30:31], off
	s_waitcnt vmcnt(6)
	v_mfma_f32_16x16x16_bf16 v[10:13], v[26:27], v[50:51], v[10:13]
	v_cndmask_b32_e32 v26, v75, v60, vcc
	v_ashrrev_i32_e32 v27, 31, v26
	v_lshl_add_u64 v[26:27], v[26:27], 2, s[6:7]
	global_load_dwordx4 v[60:63], v[64:65], off
	global_load_dword v56, v[26:27], off
	v_mfma_f32_16x16x16_bf16 v[14:17], v[32:33], v[52:53], v[14:17]
	v_cmp_gt_i32_e32 vcc, s38, v88
	v_lshl_or_b32 v87, v85, 4, v84
	v_mov_b32_e32 v84, v85
	v_cndmask_b32_e32 v26, v75, v66, vcc
	v_ashrrev_i32_e32 v27, 31, v26
	s_waitcnt lgkmcnt(0)
	v_mfma_f32_16x16x16_bf16 v[14:17], v[22:23], v[46:47], v[14:17]
	v_lshl_add_u64 v[22:23], v[26:27], 2, s[6:7]
	global_load_dword v57, v[22:23], off
	v_cmp_gt_i32_e32 vcc, s38, v89
	global_load_dwordx4 v[64:67], v[64:65], off offset:2048
	v_mfma_f32_16x16x16_bf16 v[10:13], v[28:29], v[52:53], v[10:13]
	v_and_b32_e32 v85, 63, v0
	s_waitcnt vmcnt(9)
	v_mfma_f32_16x16x16_bf16 v[10:13], v[18:19], v[46:47], v[10:13]
	v_cndmask_b32_e32 v18, v75, v68, vcc
	v_ashrrev_i32_e32 v19, 31, v18
	v_mfma_f32_16x16x16_bf16 v[88:91], v[20:21], v[48:49], v[10:13]
	s_nop 3
	v_lshl_add_u64 v[10:11], v[6:7], 0, v[58:59]
	global_load_dwordx4 v[72:75], v[10:11], off
	v_mfma_f32_16x16x16_bf16 v[68:71], v[24:25], v[48:49], v[14:17]
	v_and_b32_e32 v10, 16, v0
	v_lshlrev_b32_e32 v54, 1, v10
	v_lshl_add_u64 v[58:59], s[4:5], 0, v[54:55]
	v_lshl_add_u64 v[14:15], v[18:19], 2, s[6:7]
	global_load_dword v1, v[14:15], off
	v_mfma_f32_16x16x16_bf16 v[6:9], v[8:9], v[4:5], v[80:83]
	v_lshlrev_b32_e32 v54, 6, v87
	s_waitcnt vmcnt(6)
	v_mad_i64_i32 v[10:11], s[4:5], v30, s9, 0
	v_mfma_f32_16x16x16_bf16 v[6:9], v[76:77], v[34:35], v[6:9]
	v_lshl_add_u64 v[76:77], v[58:59], 0, v[54:55]
	v_pk_mul_f32 v[80:81], s[8:9], v[70:71] op_sel_hi:[0,1]
	v_pk_mul_f32 v[70:71], s[8:9], v[88:89] op_sel_hi:[0,1]
	v_mfma_f32_16x16x16_bf16 v[6:9], v[78:79], v[36:37], v[6:9]
	v_lshlrev_b64 v[78:79], 1, v[10:11]
	v_lshl_add_u64 v[10:11], v[76:77], 0, v[78:79]
	global_load_dwordx4 v[30:33], v[10:11], off
	global_load_dwordx4 v[26:29], v[10:11], off offset:16
	v_mfma_f32_16x16x16_bf16 v[6:9], v[38:39], v[50:51], v[6:9]
	s_waitcnt vmcnt(6)
	v_mad_i64_i32 v[10:11], s[4:5], v56, s9, 0
	v_pk_mul_f32 v[82:83], s[8:9], v[90:91] op_sel_hi:[0,1]
	v_mfma_f32_16x16x16_bf16 v[6:9], v[40:41], v[52:53], v[6:9]
	v_or_b32_e32 v54, 0x1000, v54
	v_mfma_f32_16x16x16_bf16 v[6:9], v[42:43], v[46:47], v[6:9]
	v_lshlrev_b64 v[42:43], 1, v[10:11]
	v_mfma_f32_16x16x16_bf16 v[38:41], v[44:45], v[48:49], v[6:9]
	s_nop 4
	v_lshl_add_u64 v[6:7], v[76:77], 0, v[42:43]
	global_load_dwordx4 v[22:25], v[6:7], off
	global_load_dwordx4 v[18:21], v[6:7], off offset:16
	v_mfma_f32_16x16x16_bf16 v[6:9], v[60:61], v[2:3], 0
	s_waitcnt vmcnt(7)
	v_mad_i64_i32 v[2:3], s[4:5], v57, s9, 0
	v_lshlrev_b64 v[56:57], 1, v[2:3]
	v_mfma_f32_16x16x16_bf16 v[2:5], v[62:63], v[4:5], v[6:9]
	s_waitcnt vmcnt(6)
	v_mfma_f32_16x16x16_bf16 v[2:5], v[64:65], v[34:35], v[2:5]
	s_nop 0
	v_lshl_add_u64 v[6:7], v[76:77], 0, v[56:57]
	global_load_dwordx4 v[14:17], v[6:7], off
	global_load_dwordx4 v[10:13], v[6:7], off offset:16
	s_waitcnt vmcnt(6)
	v_mad_i64_i32 v[6:7], s[4:5], v1, s9, 0
	v_mfma_f32_16x16x16_bf16 v[34:37], v[66:67], v[36:37], v[2:5]
	v_and_b32_e32 v1, 0xc0, v0
	v_add_u32_e32 v1, s18, v1
	v_lshl_or_b32 v1, v86, 2, v1
	v_mfma_f32_16x16x16_bf16 v[34:37], v[92:93], v[50:51], v[34:37]
	v_pk_mul_f32 v[50:51], s[8:9], v[68:69] op_sel_hi:[0,1]
	v_cmp_gt_i32_e64 s[28:29], s38, v1
	v_lshlrev_b64 v[62:63], 1, v[6:7]
	v_mfma_f32_16x16x16_bf16 v[34:37], v[94:95], v[52:53], v[34:37]
	v_lshl_add_u64 v[2:3], v[76:77], 0, v[62:63]
	v_pk_mul_f32 v[76:77], s[8:9], v[38:39] op_sel_hi:[0,1]
	v_lshl_add_u64 v[64:65], v[58:59], 0, v[54:55]
	v_mfma_f32_16x16x16_bf16 v[34:37], v[72:73], v[46:47], v[34:37]
	v_lshl_add_u64 v[44:45], v[64:65], 0, v[78:79]
	v_pk_mul_f32 v[78:79], s[8:9], v[40:41] op_sel_hi:[0,1]
	global_load_dwordx4 v[6:9], v[2:3], off
	s_nop 0
	global_load_dwordx4 v[2:5], v[2:3], off offset:16
	v_mfma_f32_16x16x16_bf16 v[34:37], v[74:75], v[48:49], v[34:37]
	global_load_dwordx4 v[46:49], v[44:45], off
	global_load_dwordx4 v[38:41], v[44:45], off offset:16
	s_nop 4
	v_pk_mul_f32 v[66:67], s[8:9], v[36:37] op_sel_hi:[0,1]
	v_or_b32_e32 v36, 1, v1
	v_pk_mul_f32 v[72:73], s[8:9], v[34:35] op_sel_hi:[0,1]
	v_mov_b32_e32 v34, 0xff7fffff
	v_cmp_gt_i32_e64 s[30:31], s38, v36
	v_cndmask_b32_e64 v35, v34, v50, s[28:29]
	v_or_b32_e32 v37, 3, v1
	v_cndmask_b32_e64 v36, v34, v51, s[30:31]
	v_max3_f32 v35, v35, s40, v36
	v_or_b32_e32 v36, 2, v1
	v_cmp_gt_i32_e64 s[34:35], s38, v36
	v_cmp_gt_i32_e64 s[36:37], s38, v37
	s_nop 0
	v_cndmask_b32_e64 v36, v34, v80, s[34:35]
	v_cndmask_b32_e64 v37, v34, v81, s[36:37]
	v_max3_f32 v35, v35, v36, v37
	v_or_b32_e32 v36, 16, v1
	v_or_b32_e32 v37, 17, v1
	v_cmp_gt_i32_e64 s[22:23], s38, v36
	v_cmp_gt_i32_e64 s[24:25], s38, v37
	s_nop 0
	v_cndmask_b32_e64 v36, v34, v70, s[22:23]
	v_cndmask_b32_e64 v37, v34, v71, s[24:25]
	v_max3_f32 v35, v35, v36, v37
	v_or_b32_e32 v36, 18, v1
	v_or_b32_e32 v37, 19, v1
	v_cmp_gt_i32_e64 s[18:19], s38, v36
	v_cmp_gt_i32_e64 s[20:21], s38, v37
	s_nop 0
	v_cndmask_b32_e64 v36, v34, v82, s[18:19]
	v_cndmask_b32_e64 v37, v34, v83, s[20:21]
	v_max3_f32 v35, v35, v36, v37
	v_or_b32_e32 v36, 32, v1
	v_or_b32_e32 v37, 33, v1
	v_cmp_gt_i32_e64 s[14:15], s38, v36
	v_cmp_gt_i32_e64 s[16:17], s38, v37
	s_nop 0
	v_cndmask_b32_e64 v36, v34, v76, s[14:15]
	v_cndmask_b32_e64 v37, v34, v77, s[16:17]
	v_max3_f32 v35, v35, v36, v37
	v_or_b32_e32 v36, 34, v1
	v_or_b32_e32 v37, 35, v1
	v_cmp_gt_i32_e64 s[10:11], s38, v36
	v_cmp_gt_i32_e64 s[12:13], s38, v37
	s_nop 0
	v_cndmask_b32_e64 v36, v34, v78, s[10:11]
	v_cndmask_b32_e64 v37, v34, v79, s[12:13]
	v_max3_f32 v35, v35, v36, v37
	v_or_b32_e32 v36, 48, v1
	v_or_b32_e32 v37, 49, v1
	v_cmp_gt_i32_e64 s[6:7], s38, v36
	v_cmp_gt_i32_e64 s[8:9], s38, v37
	s_nop 0
	v_cndmask_b32_e64 v36, v34, v72, s[6:7]
	v_cndmask_b32_e64 v37, v34, v73, s[8:9]
	v_max3_f32 v35, v35, v36, v37
	v_or_b32_e32 v36, 50, v1
	v_or_b32_e32 v1, 51, v1
	v_cmp_gt_i32_e32 vcc, s38, v36
	v_cmp_gt_i32_e64 s[4:5], s38, v1
	s_nop 0
	v_cndmask_b32_e32 v36, v34, v66, vcc
	v_cndmask_b32_e64 v1, v34, v67, s[4:5]
	v_mbcnt_lo_u32_b32 v34, -1, 0
	v_mbcnt_hi_u32_b32 v52, -1, v34
	v_and_b32_e32 v34, 64, v52
	v_add_u32_e32 v53, 64, v34
	v_xor_b32_e32 v34, 32, v52
	v_cmp_lt_i32_e64 s[38:39], v34, v53
	v_max3_f32 v1, v35, v36, v1
	s_nop 0
	v_cndmask_b32_e64 v34, v52, v34, s[38:39]
	v_lshlrev_b32_e32 v74, 2, v34
	ds_bpermute_b32 v54, v74, v1
	v_lshl_add_u64 v[34:35], v[64:65], 0, v[42:43]
	global_load_dwordx4 v[42:45], v[34:35], off
	s_nop 0
	global_load_dwordx4 v[34:37], v[34:35], off offset:16
	s_waitcnt lgkmcnt(0)
	v_max_f32_e32 v54, v54, v54
	v_max_f32_e32 v1, v1, v54
	v_xor_b32_e32 v54, 16, v52
	v_cmp_lt_i32_e64 s[38:39], v54, v53
	s_nop 1
	v_cndmask_b32_e64 v52, v52, v54, s[38:39]
	v_lshlrev_b32_e32 v75, 2, v52
	ds_bpermute_b32 v68, v75, v1
	v_lshl_add_u64 v[52:53], v[64:65], 0, v[56:57]
	global_load_dwordx4 v[58:61], v[52:53], off
	global_load_dwordx4 v[54:57], v[52:53], off offset:16
	v_lshl_add_u64 v[52:53], v[64:65], 0, v[62:63]
	s_waitcnt lgkmcnt(0)
	v_max_f32_e32 v62, v68, v68
	v_max_f32_e32 v88, v1, v62
	v_sub_f32_e32 v1, v50, v88
	v_sub_f32_e32 v50, v51, v88
	v_mul_f32_e32 v50, 0x3fb8aa3b, v50
	v_exp_f32_e32 v69, v50
	global_load_dwordx4 v[62:65], v[52:53], off
	s_nop 0
	global_load_dwordx4 v[50:53], v[52:53], off offset:16
	v_mul_f32_e32 v1, 0x3fb8aa3b, v1
	v_exp_f32_e32 v1, v1
	v_sub_f32_e32 v80, v80, v88
	v_mul_f32_e32 v80, 0x3fb8aa3b, v80
	v_sub_f32_e32 v81, v81, v88
	v_exp_f32_e32 v80, v80
	v_mul_f32_e32 v81, 0x3fb8aa3b, v81
	v_sub_f32_e32 v70, v70, v88
	v_exp_f32_e32 v81, v81
	v_mul_f32_e32 v70, 0x3fb8aa3b, v70
	v_sub_f32_e32 v71, v71, v88
	v_cndmask_b32_e64 v68, 0, v1, s[28:29]
	v_exp_f32_e32 v70, v70
	v_mul_f32_e32 v71, 0x3fb8aa3b, v71
	v_sub_f32_e32 v82, v82, v88
	v_add_f32_e32 v1, 0, v68
	v_cndmask_b32_e64 v69, 0, v69, s[30:31]
	v_exp_f32_e32 v71, v71
	v_mul_f32_e32 v82, 0x3fb8aa3b, v82
	v_sub_f32_e32 v83, v83, v88
	v_add_f32_e32 v1, v1, v69
	;; [unrolled: 5-line block ×10, first 2 shown]
	v_cndmask_b32_e64 v78, 0, v78, s[10:11]
	v_exp_f32_e32 v66, v66
	v_mul_f32_e32 v67, 0x3fb8aa3b, v67
	v_add_f32_e32 v1, v1, v78
	v_cndmask_b32_e64 v79, 0, v79, s[12:13]
	v_exp_f32_e32 v67, v67
	v_add_f32_e32 v1, v1, v79
	v_cndmask_b32_e64 v72, 0, v72, s[6:7]
	v_add_f32_e32 v1, v1, v72
	v_cndmask_b32_e64 v73, 0, v73, s[8:9]
	v_add_f32_e32 v1, v1, v73
	v_cndmask_b32_e32 v66, 0, v66, vcc
	v_add_f32_e32 v1, v1, v66
	v_cndmask_b32_e64 v67, 0, v67, s[4:5]
	v_add_f32_e32 v1, v1, v67
	ds_bpermute_b32 v74, v74, v1
	v_cmp_gt_u32_e32 vcc, 16, v85
	s_waitcnt lgkmcnt(0)
	s_barrier
	v_add_f32_e32 v89, v1, v74
	ds_bpermute_b32 v90, v75, v89
	s_and_saveexec_b64 s[4:5], vcc
	s_cbranch_execz .LBB725_15
; %bb.14:
	s_waitcnt lgkmcnt(0)
	v_add_f32_e32 v1, v89, v90
	v_lshlrev_b32_e32 v74, 2, v87
	ds_write2st64_b32 v74, v88, v1 offset1:1
.LBB725_15:
	s_or_b64 exec, exec, s[4:5]
	v_and_b32_e32 v86, 15, v0
	v_lshlrev_b32_e32 v1, 2, v86
	s_load_dword s6, s[0:1], 0x94
	s_waitcnt lgkmcnt(0)
	s_barrier
	ds_read2_b32 v[74:75], v1 offset1:16
	ds_read2_b32 v[88:89], v1 offset0:32 offset1:48
	ds_read2_b32 v[90:91], v1 offset0:64 offset1:80
	s_movk_i32 s8, 0x7fff
	s_mov_b32 s9, 0x7060302
	s_waitcnt lgkmcnt(2)
	v_max3_f32 v87, v74, s40, v75
	s_waitcnt lgkmcnt(1)
	v_max3_f32 v87, v87, v88, v89
	v_sub_f32_e32 v74, v74, v87
	v_mul_f32_e32 v74, 0x3fb8aa3b, v74
	v_exp_f32_e32 v92, v74
	v_sub_f32_e32 v74, v75, v87
	v_mul_f32_e32 v74, 0x3fb8aa3b, v74
	v_exp_f32_e32 v93, v74
	;; [unrolled: 3-line block ×3, first 2 shown]
	ds_read2_b32 v[74:75], v1 offset0:96 offset1:112
	v_sub_f32_e32 v1, v89, v87
	v_mul_f32_e32 v1, 0x3fb8aa3b, v1
	v_exp_f32_e32 v1, v1
	s_waitcnt lgkmcnt(1)
	v_fma_f32 v88, v92, v90, 0
	v_fmac_f32_e32 v88, v93, v91
	s_waitcnt lgkmcnt(0)
	v_fmac_f32_e32 v88, v94, v74
	v_fmac_f32_e32 v88, v1, v75
	v_add_f32_e32 v74, 0x358637bd, v88
	v_div_scale_f32 v75, s[4:5], v74, v74, 1.0
	v_rcp_f32_e32 v89, v75
	s_barrier
	v_fma_f32 v90, -v75, v89, 1.0
	v_fmac_f32_e32 v89, v90, v89
	v_div_scale_f32 v90, vcc, 1.0, v74, 1.0
	v_mul_f32_e32 v91, v90, v89
	v_fma_f32 v95, -v75, v91, v90
	v_fmac_f32_e32 v91, v95, v89
	v_fma_f32 v75, -v75, v91, v90
	v_div_fmas_f32 v75, v75, v89, v91
	v_cmp_eq_u32_e32 vcc, 1, v84
	v_div_fixup_f32 v74, v75, v74, 1.0
	s_lshl_b32 s7, s33, 1
	v_cndmask_b32_e32 v75, v92, v93, vcc
	v_cmp_eq_u32_e32 vcc, 2, v84
	s_nop 1
	v_cndmask_b32_e32 v75, v75, v94, vcc
	v_cmp_eq_u32_e32 vcc, 3, v84
	s_nop 1
	v_cndmask_b32_e32 v1, v75, v1, vcc
	v_mul_f32_e32 v74, v1, v74
	v_pk_mul_f32 v[68:69], v[74:75], v[68:69] op_sel_hi:[0,1]
	v_pk_mul_f32 v[80:81], v[74:75], v[80:81] op_sel_hi:[0,1]
	v_bfe_u32 v1, v69, 16, 1
	v_bfe_u32 v75, v68, 16, 1
	v_add3_u32 v68, v68, v75, s8
	v_add3_u32 v1, v69, v1, s8
	v_perm_b32 v90, v1, v68, s9
	v_bfe_u32 v1, v81, 16, 1
	v_bfe_u32 v68, v80, 16, 1
	v_add3_u32 v68, v80, v68, s8
	v_add3_u32 v1, v81, v1, s8
	v_bfe_u32 v81, v0, 4, 2
	v_perm_b32 v91, v1, v68, s9
	v_lshlrev_b32_e32 v1, 3, v81
	v_lshlrev_b32_e32 v68, 5, v86
	;; [unrolled: 1-line block ×3, first 2 shown]
	v_pk_mul_f32 v[70:71], v[74:75], v[70:71] op_sel_hi:[0,1]
	v_or3_b32 v80, v69, v68, v1
	v_bfe_u32 v1, v71, 16, 1
	v_bfe_u32 v69, v70, 16, 1
	v_pk_mul_f32 v[82:83], v[74:75], v[82:83] op_sel_hi:[0,1]
	v_add3_u32 v69, v70, v69, s8
	v_add3_u32 v1, v71, v1, s8
	v_perm_b32 v70, v1, v69, s9
	v_bfe_u32 v1, v83, 16, 1
	v_bfe_u32 v69, v82, 16, 1
	v_add3_u32 v69, v82, v69, s8
	v_add3_u32 v1, v83, v1, s8
	v_pk_mul_f32 v[76:77], v[74:75], v[76:77] op_sel_hi:[0,1]
	v_perm_b32 v71, v1, v69, s9
	v_bfe_u32 v1, v77, 16, 1
	v_bfe_u32 v69, v76, 16, 1
	ds_write2st64_b64 v80, v[90:91], v[70:71] offset1:1
	v_pk_mul_f32 v[70:71], v[74:75], v[78:79] op_sel_hi:[0,1]
	v_add3_u32 v69, v76, v69, s8
	v_add3_u32 v1, v77, v1, s8
	v_perm_b32 v76, v1, v69, s9
	v_bfe_u32 v1, v71, 16, 1
	v_bfe_u32 v69, v70, 16, 1
	v_add3_u32 v69, v70, v69, s8
	v_add3_u32 v1, v71, v1, s8
	v_pk_mul_f32 v[70:71], v[74:75], v[72:73] op_sel_hi:[0,1]
	v_perm_b32 v77, v1, v69, s9
	v_bfe_u32 v1, v71, 16, 1
	v_bfe_u32 v69, v70, 16, 1
	v_pk_mul_f32 v[66:67], v[74:75], v[66:67] op_sel_hi:[0,1]
	v_add3_u32 v69, v70, v69, s8
	v_add3_u32 v1, v71, v1, s8
	v_perm_b32 v70, v1, v69, s9
	v_bfe_u32 v1, v67, 16, 1
	v_bfe_u32 v69, v66, 16, 1
	v_add3_u32 v66, v66, v69, s8
	v_add3_u32 v1, v67, v1, s8
	v_perm_b32 v71, v1, v66, s9
	v_cmp_gt_u32_e32 vcc, 2, v0
	ds_write2st64_b64 v80, v[76:77], v[70:71] offset0:2 offset1:3
	s_and_saveexec_b64 s[4:5], vcc
	s_cbranch_execz .LBB725_17
; %bb.16:
	v_or_b32_e32 v66, s27, v0
	v_mov_b32_e32 v67, 0
	v_mov_b32_e32 v1, s7
	v_mad_u64_u32 v[70:71], s[10:11], s2, v1, v[66:67]
	v_mov_b32_e32 v66, s26
	s_load_dwordx4 s[12:15], s[0:1], 0x58
	s_mul_i32 s3, s3, s7
	v_mad_u64_u32 v[66:67], s[10:11], v70, s6, v[66:67]
	v_add_u32_e32 v1, s3, v71
	v_mov_b32_e32 v70, v67
	v_mad_u64_u32 v[70:71], s[10:11], v1, s6, v[70:71]
	v_mov_b32_e32 v67, v70
	v_lshlrev_b64 v[66:67], 2, v[66:67]
	s_waitcnt lgkmcnt(0)
	v_lshl_add_u64 v[70:71], s[14:15], 0, v[66:67]
	v_lshl_add_u64 v[66:67], s[12:13], 0, v[66:67]
	global_store_dword v[70:71], v87, off
	global_store_dword v[66:67], v88, off
.LBB725_17:
	s_or_b64 exec, exec, s[4:5]
	v_lshl_or_b32 v1, v81, 9, v68
	s_waitcnt lgkmcnt(0)
	s_barrier
	ds_read_b128 v[70:73], v1
	ds_read_b128 v[66:69], v1 offset:16
	s_waitcnt vmcnt(15) lgkmcnt(1)
	v_mfma_f32_16x16x16_bf16 v[74:77], v[30:31], v[70:71], 0
	v_cmp_gt_u32_e32 vcc, 64, v0
	v_cmp_gt_u32_e64 s[4:5], 32, v85
	s_mov_b32 s3, 0
	v_mfma_f32_16x16x16_bf16 v[30:33], v[32:33], v[72:73], v[74:77]
	s_and_b64 s[4:5], vcc, s[4:5]
	s_waitcnt vmcnt(14) lgkmcnt(0)
	v_mfma_f32_16x16x16_bf16 v[30:33], v[26:27], v[66:67], v[30:33]
	v_mfma_f32_16x16x16_bf16 v[26:29], v[28:29], v[68:69], v[30:33]
	s_nop 5
	ds_read_b128 v[30:33], v1 offset:2048
	ds_read_b128 v[74:77], v1 offset:2064
	s_waitcnt vmcnt(13) lgkmcnt(1)
	v_mfma_f32_16x16x16_bf16 v[26:29], v[22:23], v[30:31], v[26:29]
	v_mfma_f32_16x16x16_bf16 v[22:25], v[24:25], v[32:33], v[26:29]
	s_waitcnt vmcnt(12) lgkmcnt(0)
	v_mfma_f32_16x16x16_bf16 v[22:25], v[18:19], v[74:75], v[22:25]
	v_mfma_f32_16x16x16_bf16 v[18:21], v[20:21], v[76:77], v[22:25]
	s_nop 5
	ds_read_b128 v[22:25], v1 offset:4096
	ds_read_b128 v[26:29], v1 offset:4112
	s_waitcnt vmcnt(11) lgkmcnt(1)
	v_mfma_f32_16x16x16_bf16 v[18:21], v[14:15], v[22:23], v[18:21]
	v_mfma_f32_16x16x16_bf16 v[14:17], v[16:17], v[24:25], v[18:21]
	s_waitcnt vmcnt(10) lgkmcnt(0)
	v_mfma_f32_16x16x16_bf16 v[14:17], v[10:11], v[26:27], v[14:17]
	v_mfma_f32_16x16x16_bf16 v[10:13], v[12:13], v[28:29], v[14:17]
	s_nop 5
	ds_read_b128 v[14:17], v1 offset:6144
	ds_read_b128 v[18:21], v1 offset:6160
	s_waitcnt lgkmcnt(0)
	s_barrier
	s_waitcnt vmcnt(9)
	v_mfma_f32_16x16x16_bf16 v[10:13], v[6:7], v[14:15], v[10:13]
	v_mfma_f32_16x16x16_bf16 v[6:9], v[8:9], v[16:17], v[10:13]
	s_waitcnt vmcnt(8)
	v_mfma_f32_16x16x16_bf16 v[6:9], v[2:3], v[18:19], v[6:9]
	v_mfma_f32_16x16x16_bf16 v[2:5], v[4:5], v[20:21], v[6:9]
	;; [unrolled: 3-line block ×3, first 2 shown]
	s_nop 3
	v_bfe_u32 v1, v3, 16, 1
	v_bfe_u32 v10, v2, 16, 1
	v_add3_u32 v2, v2, v10, s8
	s_waitcnt vmcnt(6)
	v_mfma_f32_16x16x16_bf16 v[6:9], v[38:39], v[66:67], v[6:9]
	v_add3_u32 v1, v3, v1, s8
	v_perm_b32 v10, v1, v2, s9
	v_bfe_u32 v1, v5, 16, 1
	v_mfma_f32_16x16x16_bf16 v[6:9], v[40:41], v[68:69], v[6:9]
	v_bfe_u32 v2, v4, 16, 1
	v_add3_u32 v2, v4, v2, s8
	v_add3_u32 v1, v5, v1, s8
	s_waitcnt vmcnt(5)
	v_mfma_f32_16x16x16_bf16 v[6:9], v[42:43], v[30:31], v[6:9]
	v_perm_b32 v11, v1, v2, s9
	v_mfma_f32_16x16x16_bf16 v[6:9], v[44:45], v[32:33], v[6:9]
	s_waitcnt vmcnt(4)
	v_mfma_f32_16x16x16_bf16 v[6:9], v[34:35], v[74:75], v[6:9]
	v_mfma_f32_16x16x16_bf16 v[6:9], v[36:37], v[76:77], v[6:9]
	s_waitcnt vmcnt(3)
	v_mfma_f32_16x16x16_bf16 v[6:9], v[58:59], v[22:23], v[6:9]
	;; [unrolled: 3-line block ×5, first 2 shown]
	v_mfma_f32_16x16x16_bf16 v[2:5], v[52:53], v[20:21], v[6:9]
	s_nop 6
	v_bfe_u32 v1, v3, 16, 1
	v_bfe_u32 v6, v2, 16, 1
	v_add3_u32 v2, v2, v6, s8
	v_add3_u32 v1, v3, v1, s8
	v_perm_b32 v2, v1, v2, s9
	v_bfe_u32 v1, v5, 16, 1
	v_bfe_u32 v3, v4, 16, 1
	v_add3_u32 v3, v4, v3, s8
	v_add3_u32 v1, v5, v1, s8
	v_perm_b32 v3, v1, v3, s9
	ds_write2st64_b64 v80, v[10:11], v[2:3] offset1:1
	s_waitcnt lgkmcnt(0)
	s_barrier
	s_and_saveexec_b64 s[8:9], s[4:5]
	s_cbranch_execz .LBB725_19
; %bb.18:
	scratch_load_dwordx2 v[6:7], off, off   ; 8-byte Folded Reload
	s_load_dwordx2 s[0:1], s[0:1], 0x68
	s_mul_i32 s2, s7, s2
	s_lshl_b32 s6, s6, 7
	v_lshlrev_b32_e32 v3, 6, v86
	s_mul_hi_u32 s5, s2, s6
	s_mul_i32 s4, s2, s6
	v_lshlrev_b32_e32 v2, 4, v0
	v_lshl_or_b32 v0, v0, 10, v3
	s_lshl_b64 s[4:5], s[4:5], 1
	v_lshlrev_b32_e32 v1, 5, v81
	v_and_b32_e32 v2, 16, v2
	v_and_b32_e32 v0, 0x1a00, v0
	s_waitcnt lgkmcnt(0)
	s_add_u32 s4, s0, s4
	v_or3_b32 v0, v0, v1, v2
	s_addc_u32 s5, s1, s5
	s_lshl_b32 s2, s26, 7
	ds_read_b128 v[2:5], v0
	s_lshl_b64 s[0:1], s[2:3], 1
	s_add_u32 s0, s4, s0
	v_or_b32_e32 v0, s27, v81
	s_addc_u32 s1, s5, s1
	v_mad_u64_u32 v[0:1], s[2:3], s6, v0, 0
	v_lshl_add_u64 v[0:1], v[0:1], 1, s[0:1]
	s_waitcnt vmcnt(0)
	v_lshl_add_u64 v[0:1], v[6:7], 1, v[0:1]
	s_waitcnt lgkmcnt(0)
	global_store_dwordx4 v[0:1], v[2:5], off
.LBB725_19:
	s_endpgm
	.section	.rodata,"a",@progbits
	.p2align	6, 0x0
	.amdhsa_kernel _Z39paged_attention_ll4mi_QKV_mfma16_kernelI14__hip_bfloat16S0_LN4vllm18Fp8KVCacheDataTypeE0EhLi32ELi128ELi256ELb0ELi2EEvPKT_PKT0_S8_ifPKiSA_SA_iPKfiiiPfSD_PS3_PT2_iSC_SC_
		.amdhsa_group_segment_fixed_size 8192
		.amdhsa_private_segment_fixed_size 12
		.amdhsa_kernarg_size 400
		.amdhsa_user_sgpr_count 2
		.amdhsa_user_sgpr_dispatch_ptr 0
		.amdhsa_user_sgpr_queue_ptr 0
		.amdhsa_user_sgpr_kernarg_segment_ptr 1
		.amdhsa_user_sgpr_dispatch_id 0
		.amdhsa_user_sgpr_kernarg_preload_length 0
		.amdhsa_user_sgpr_kernarg_preload_offset 0
		.amdhsa_user_sgpr_private_segment_size 0
		.amdhsa_uses_dynamic_stack 0
		.amdhsa_enable_private_segment 1
		.amdhsa_system_sgpr_workgroup_id_x 1
		.amdhsa_system_sgpr_workgroup_id_y 1
		.amdhsa_system_sgpr_workgroup_id_z 1
		.amdhsa_system_sgpr_workgroup_info 0
		.amdhsa_system_vgpr_workitem_id 0
		.amdhsa_next_free_vgpr 96
		.amdhsa_next_free_sgpr 41
		.amdhsa_accum_offset 96
		.amdhsa_reserve_vcc 1
		.amdhsa_float_round_mode_32 0
		.amdhsa_float_round_mode_16_64 0
		.amdhsa_float_denorm_mode_32 3
		.amdhsa_float_denorm_mode_16_64 3
		.amdhsa_dx10_clamp 1
		.amdhsa_ieee_mode 1
		.amdhsa_fp16_overflow 0
		.amdhsa_tg_split 0
		.amdhsa_exception_fp_ieee_invalid_op 0
		.amdhsa_exception_fp_denorm_src 0
		.amdhsa_exception_fp_ieee_div_zero 0
		.amdhsa_exception_fp_ieee_overflow 0
		.amdhsa_exception_fp_ieee_underflow 0
		.amdhsa_exception_fp_ieee_inexact 0
		.amdhsa_exception_int_div_zero 0
	.end_amdhsa_kernel
	.section	.text._Z39paged_attention_ll4mi_QKV_mfma16_kernelI14__hip_bfloat16S0_LN4vllm18Fp8KVCacheDataTypeE0EhLi32ELi128ELi256ELb0ELi2EEvPKT_PKT0_S8_ifPKiSA_SA_iPKfiiiPfSD_PS3_PT2_iSC_SC_,"axG",@progbits,_Z39paged_attention_ll4mi_QKV_mfma16_kernelI14__hip_bfloat16S0_LN4vllm18Fp8KVCacheDataTypeE0EhLi32ELi128ELi256ELb0ELi2EEvPKT_PKT0_S8_ifPKiSA_SA_iPKfiiiPfSD_PS3_PT2_iSC_SC_,comdat
.Lfunc_end725:
	.size	_Z39paged_attention_ll4mi_QKV_mfma16_kernelI14__hip_bfloat16S0_LN4vllm18Fp8KVCacheDataTypeE0EhLi32ELi128ELi256ELb0ELi2EEvPKT_PKT0_S8_ifPKiSA_SA_iPKfiiiPfSD_PS3_PT2_iSC_SC_, .Lfunc_end725-_Z39paged_attention_ll4mi_QKV_mfma16_kernelI14__hip_bfloat16S0_LN4vllm18Fp8KVCacheDataTypeE0EhLi32ELi128ELi256ELb0ELi2EEvPKT_PKT0_S8_ifPKiSA_SA_iPKfiiiPfSD_PS3_PT2_iSC_SC_
                                        ; -- End function
	.section	.AMDGPU.csdata,"",@progbits
; Kernel info:
; codeLenInByte = 4804
; NumSgprs: 47
; NumVgprs: 96
; NumAgprs: 0
; TotalNumVgprs: 96
; ScratchSize: 12
; MemoryBound: 0
; FloatMode: 240
; IeeeMode: 1
; LDSByteSize: 8192 bytes/workgroup (compile time only)
; SGPRBlocks: 5
; VGPRBlocks: 11
; NumSGPRsForWavesPerEU: 47
; NumVGPRsForWavesPerEU: 96
; AccumOffset: 96
; Occupancy: 5
; WaveLimiterHint : 1
; COMPUTE_PGM_RSRC2:SCRATCH_EN: 1
; COMPUTE_PGM_RSRC2:USER_SGPR: 2
; COMPUTE_PGM_RSRC2:TRAP_HANDLER: 0
; COMPUTE_PGM_RSRC2:TGID_X_EN: 1
; COMPUTE_PGM_RSRC2:TGID_Y_EN: 1
; COMPUTE_PGM_RSRC2:TGID_Z_EN: 1
; COMPUTE_PGM_RSRC2:TIDIG_COMP_CNT: 0
; COMPUTE_PGM_RSRC3_GFX90A:ACCUM_OFFSET: 23
; COMPUTE_PGM_RSRC3_GFX90A:TG_SPLIT: 0
	.section	.text._Z39paged_attention_ll4mi_QKV_mfma16_kernelI14__hip_bfloat16S0_LN4vllm18Fp8KVCacheDataTypeE0EhLi32ELi128ELi256ELb0ELi3EEvPKT_PKT0_S8_ifPKiSA_SA_iPKfiiiPfSD_PS3_PT2_iSC_SC_,"axG",@progbits,_Z39paged_attention_ll4mi_QKV_mfma16_kernelI14__hip_bfloat16S0_LN4vllm18Fp8KVCacheDataTypeE0EhLi32ELi128ELi256ELb0ELi3EEvPKT_PKT0_S8_ifPKiSA_SA_iPKfiiiPfSD_PS3_PT2_iSC_SC_,comdat
	.protected	_Z39paged_attention_ll4mi_QKV_mfma16_kernelI14__hip_bfloat16S0_LN4vllm18Fp8KVCacheDataTypeE0EhLi32ELi128ELi256ELb0ELi3EEvPKT_PKT0_S8_ifPKiSA_SA_iPKfiiiPfSD_PS3_PT2_iSC_SC_ ; -- Begin function _Z39paged_attention_ll4mi_QKV_mfma16_kernelI14__hip_bfloat16S0_LN4vllm18Fp8KVCacheDataTypeE0EhLi32ELi128ELi256ELb0ELi3EEvPKT_PKT0_S8_ifPKiSA_SA_iPKfiiiPfSD_PS3_PT2_iSC_SC_
	.globl	_Z39paged_attention_ll4mi_QKV_mfma16_kernelI14__hip_bfloat16S0_LN4vllm18Fp8KVCacheDataTypeE0EhLi32ELi128ELi256ELb0ELi3EEvPKT_PKT0_S8_ifPKiSA_SA_iPKfiiiPfSD_PS3_PT2_iSC_SC_
	.p2align	8
	.type	_Z39paged_attention_ll4mi_QKV_mfma16_kernelI14__hip_bfloat16S0_LN4vllm18Fp8KVCacheDataTypeE0EhLi32ELi128ELi256ELb0ELi3EEvPKT_PKT0_S8_ifPKiSA_SA_iPKfiiiPfSD_PS3_PT2_iSC_SC_,@function
_Z39paged_attention_ll4mi_QKV_mfma16_kernelI14__hip_bfloat16S0_LN4vllm18Fp8KVCacheDataTypeE0EhLi32ELi128ELi256ELb0ELi3EEvPKT_PKT0_S8_ifPKiSA_SA_iPKfiiiPfSD_PS3_PT2_iSC_SC_: ; @_Z39paged_attention_ll4mi_QKV_mfma16_kernelI14__hip_bfloat16S0_LN4vllm18Fp8KVCacheDataTypeE0EhLi32ELi128ELi256ELb0ELi3EEvPKT_PKT0_S8_ifPKiSA_SA_iPKfiiiPfSD_PS3_PT2_iSC_SC_
; %bb.0:
	s_load_dwordx2 s[8:9], s[0:1], 0x30
	s_mov_b32 s26, s3
	s_mov_b64 s[6:7], 0
	s_waitcnt lgkmcnt(0)
	s_cmp_lg_u64 s[8:9], 0
	s_cselect_b64 s[10:11], -1, 0
	s_and_b64 vcc, exec, s[10:11]
	s_cbranch_vccz .LBB726_7
; %bb.1:
	s_add_i32 s12, s2, 1
	s_mov_b32 s13, 0
	s_lshl_b64 s[14:15], s[12:13], 2
	s_add_u32 s14, s8, s14
	s_mov_b32 s3, s13
	s_addc_u32 s15, s9, s15
	s_lshl_b64 s[12:13], s[2:3], 2
	s_add_u32 s12, s8, s12
	s_addc_u32 s13, s9, s13
	s_load_dword s5, s[14:15], 0x0
	s_load_dword s16, s[12:13], 0x0
	s_waitcnt lgkmcnt(0)
	s_sub_i32 s5, s5, s16
	s_cmp_eq_u32 s5, 1
	s_cselect_b64 s[12:13], -1, 0
	s_andn2_b64 vcc, exec, s[6:7]
	s_cbranch_vccnz .LBB726_3
.LBB726_2:
	s_mov_b32 s3, 0
	s_mov_b64 s[12:13], -1
.LBB726_3:
	s_andn2_b64 vcc, exec, s[12:13]
	s_cbranch_vccnz .LBB726_19
; %bb.4:
	s_load_dwordx2 s[6:7], s[0:1], 0x28
	s_lshl_b64 s[12:13], s[2:3], 2
	s_waitcnt lgkmcnt(0)
	s_add_u32 s6, s6, s12
	s_addc_u32 s7, s7, s13
	s_load_dword s33, s[6:7], 0x0
	s_lshl_b32 s18, s26, 8
	s_waitcnt lgkmcnt(0)
	s_cmp_ge_i32 s18, s33
	s_cbranch_scc1 .LBB726_19
; %bb.5:
	s_load_dwordx2 s[6:7], s[0:1], 0x20
	s_load_dword s5, s[0:1], 0x38
	s_add_i32 s14, s33, 31
	s_ashr_i32 s15, s14, 31
	v_and_b32_e32 v1, 0xcf, v0
	s_lshr_b32 s15, s15, 27
	v_add_u32_e32 v1, s18, v1
	s_add_i32 s14, s14, s15
	v_ashrrev_i32_e32 v2, 31, v1
	s_ashr_i32 s19, s14, 5
	v_lshrrev_b32_e32 v4, 27, v2
	s_add_i32 s19, s19, -1
	s_waitcnt lgkmcnt(0)
	s_mul_i32 s14, s2, s5
	s_mov_b32 s15, 0
	v_add_u32_e32 v2, v1, v4
	s_lshl_b64 s[14:15], s[14:15], 2
	v_ashrrev_i32_e32 v2, 5, v2
	v_mov_b32_e32 v5, s19
	v_cmp_gt_i32_e32 vcc, s33, v1
	s_add_u32 s6, s6, s14
	s_addc_u32 s7, s7, s15
	v_cndmask_b32_e32 v2, v5, v2, vcc
	v_ashrrev_i32_e32 v3, 31, v2
	v_lshl_add_u64 v[6:7], v[2:3], 2, s[6:7]
	v_or_b32_e32 v2, 16, v1
	v_add_u32_e32 v3, v2, v4
	v_ashrrev_i32_e32 v3, 5, v3
	v_cmp_gt_i32_e32 vcc, s33, v2
	s_nop 1
	v_cndmask_b32_e32 v2, v5, v3, vcc
	v_ashrrev_i32_e32 v3, 31, v2
	v_lshl_add_u64 v[8:9], v[2:3], 2, s[6:7]
	v_or_b32_e32 v2, 32, v1
	v_add_u32_e32 v3, v2, v4
	v_ashrrev_i32_e32 v3, 5, v3
	v_cmp_gt_i32_e32 vcc, s33, v2
	v_or_b32_e32 v1, 48, v1
	s_nop 0
	v_cndmask_b32_e32 v2, v5, v3, vcc
	v_ashrrev_i32_e32 v3, 31, v2
	v_lshl_add_u64 v[10:11], v[2:3], 2, s[6:7]
	v_add_u32_e32 v2, v1, v4
	v_ashrrev_i32_e32 v2, 5, v2
	v_cmp_gt_i32_e32 vcc, s33, v1
	s_nop 1
	v_cndmask_b32_e32 v2, v5, v2, vcc
	v_ashrrev_i32_e32 v3, 31, v2
	v_lshl_add_u64 v[12:13], v[2:3], 2, s[6:7]
	global_load_dword v2, v[6:7], off
	global_load_dword v5, v[8:9], off
	;; [unrolled: 1-line block ×4, first 2 shown]
	s_andn2_b64 vcc, exec, s[10:11]
	s_cbranch_vccnz .LBB726_8
; %bb.6:
	s_add_u32 s8, s8, s12
	s_addc_u32 s9, s9, s13
	s_load_dword s5, s[8:9], 0x0
	s_branch .LBB726_9
.LBB726_7:
	s_mov_b64 s[12:13], 0
	s_branch .LBB726_2
.LBB726_8:
	s_mov_b32 s5, s2
.LBB726_9:
	s_load_dwordx4 s[12:15], s[0:1], 0x8
	s_load_dwordx4 s[8:11], s[0:1], 0x48
	v_lshrrev_b32_e32 v77, 6, v0
	v_bfe_u32 v1, v0, 4, 2
	v_lshl_or_b32 v3, v77, 2, v1
	v_and_b32_e32 v76, 15, v0
	s_mul_i32 s40, s4, 3
	v_lshlrev_b32_e32 v74, 3, v76
	v_cmp_lt_u32_e32 vcc, 2, v3
	s_and_saveexec_b64 s[16:17], vcc
	s_xor_b64 s[16:17], exec, s[16:17]
; %bb.10:
	v_mov_b32_e32 v75, 0
                                        ; implicit-def: $vgpr3
; %bb.11:
	s_or_saveexec_b64 s[16:17], s[16:17]
	v_and_b32_e32 v87, 63, v0
	v_add_u32_e32 v6, s40, v1
	scratch_store_dword off, v6, off        ; 4-byte Folded Spill
	s_xor_b64 exec, exec, s[16:17]
	s_cbranch_execz .LBB726_13
; %bb.12:
	scratch_load_dword v6, off, off         ; 4-byte Folded Reload
	s_load_dwordx2 s[20:21], s[0:1], 0x0
	s_waitcnt lgkmcnt(0)
	s_ashr_i32 s11, s8, 31
	s_mul_hi_u32 s22, s5, s8
	s_mul_i32 s11, s5, s11
	s_add_i32 s23, s22, s11
	s_mul_i32 s22, s5, s8
	s_lshl_b64 s[22:23], s[22:23], 1
	s_add_u32 s20, s20, s22
	s_addc_u32 s21, s21, s23
	v_mov_b32_e32 v75, 0
	v_lshlrev_b32_e32 v8, 1, v74
	v_mov_b32_e32 v9, v75
	v_and_b32_e32 v10, 3, v0
	v_lshlrev_b32_e32 v11, 9, v76
	v_lshlrev_b32_e32 v3, 5, v3
	;; [unrolled: 1-line block ×3, first 2 shown]
	v_and_b32_e32 v11, 0x1800, v11
	v_or3_b32 v3, v11, v10, v3
	s_waitcnt vmcnt(0)
	v_lshlrev_b32_e32 v6, 7, v6
	v_ashrrev_i32_e32 v7, 31, v6
	v_lshl_add_u64 v[6:7], v[6:7], 1, s[20:21]
	v_lshl_add_u64 v[6:7], v[6:7], 0, v[8:9]
	global_load_dwordx4 v[6:9], v[6:7], off
	s_waitcnt vmcnt(0)
	ds_write_b128 v3, v[6:9]
.LBB726_13:
	s_or_b64 exec, exec, s[16:17]
	s_waitcnt lgkmcnt(0)
	s_mul_i32 s4, s4, s10
	s_mov_b32 s5, 0
	s_lshl_b64 s[4:5], s[4:5], 1
	s_add_u32 s10, s12, s4
	s_addc_u32 s11, s13, s5
	s_waitcnt vmcnt(4)
	v_mad_i64_i32 v[2:3], s[12:13], v2, s9, 0
	v_lshl_add_u64 v[6:7], v[2:3], 1, s[10:11]
	v_lshlrev_b64 v[2:3], 1, v[74:75]
	v_lshlrev_b32_e32 v46, 9, v1
	v_lshl_add_u64 v[6:7], v[6:7], 0, v[2:3]
	v_mov_b32_e32 v47, 0
	v_lshl_add_u64 v[8:9], v[6:7], 0, v[46:47]
	s_load_dword s27, s[0:1], 0x98
	s_load_dword s8, s[0:1], 0x1c
	s_waitcnt lgkmcnt(0)
	s_barrier
	global_load_dwordx4 v[38:41], v[8:9], off
	s_waitcnt vmcnt(4)
	v_mad_i64_i32 v[10:11], s[12:13], v5, s9, 0
	v_mov_b32_e32 v5, 0x100
	v_lshl_add_u64 v[10:11], v[10:11], 1, s[10:11]
	v_lshl_or_b32 v50, v76, 4, v5
	v_mov_b32_e32 v51, v47
	v_lshl_add_u64 v[22:23], v[10:11], 0, v[50:51]
	v_lshl_add_u64 v[10:11], v[22:23], 0, v[46:47]
	global_load_dwordx4 v[42:45], v[10:11], off
	global_load_dwordx4 v[18:21], v[8:9], off offset:2048
	global_load_dwordx4 v[26:29], v[10:11], off offset:2048
	v_or_b32_e32 v52, 0x1000, v46
	v_mov_b32_e32 v53, v47
	v_or_b32_e32 v48, 0x1800, v46
	v_mov_b32_e32 v49, v47
	v_lshl_add_u64 v[8:9], v[6:7], 0, v[52:53]
	v_lshl_add_u64 v[6:7], v[6:7], 0, v[48:49]
	global_load_dwordx4 v[14:17], v[8:9], off
	global_load_dwordx4 v[10:13], v[6:7], off
	v_lshl_add_u64 v[8:9], v[22:23], 0, v[52:53]
	global_load_dwordx4 v[30:33], v[8:9], off
	s_waitcnt vmcnt(9)
	v_mad_i64_i32 v[4:5], s[12:13], v4, s9, 0
	v_lshl_add_u64 v[4:5], v[4:5], 1, s[10:11]
	v_lshl_add_u64 v[56:57], v[4:5], 0, v[2:3]
	v_mul_lo_u16_e32 v2, 0x56, v76
	v_mov_b32_e32 v3, 3
	v_mul_lo_u16_sdwa v2, v2, v3 dst_sel:DWORD dst_unused:UNUSED_PAD src0_sel:BYTE_1 src1_sel:DWORD
	v_sub_u16_e32 v2, v76, v2
	v_and_b32_e32 v2, 0xff, v2
	v_lshl_add_u64 v[6:7], v[22:23], 0, v[48:49]
	global_load_dwordx4 v[22:25], v[6:7], off
	v_lshl_add_u64 v[54:55], v[56:57], 0, v[46:47]
	v_lshl_add_u32 v59, v2, 5, v46
	global_load_dwordx4 v[34:37], v[54:55], off
	ds_read_b128 v[6:9], v59
	ds_read_b128 v[2:5], v59 offset:2048
	v_and_or_b32 v72, v0, 48, s18
	v_or_b32_e32 v80, 64, v72
	v_mov_b32_e32 v73, s19
	v_cmp_gt_i32_e32 vcc, s33, v72
	v_or_b32_e32 v81, 0x80, v72
	v_or_b32_e32 v84, 0xc0, v72
	s_mov_b32 s41, 0xff7fffff
	s_waitcnt vmcnt(7) lgkmcnt(1)
	v_mfma_f32_16x16x16_bf16 v[64:67], v[42:43], v[6:7], 0
	v_mfma_f32_16x16x16_bf16 v[60:63], v[38:39], v[6:7], 0
	v_mad_i64_i32 v[38:39], s[12:13], v58, s9, 0
	v_lshl_add_u64 v[68:69], v[38:39], 1, s[10:11]
	v_mfma_f32_16x16x16_bf16 v[60:63], v[40:41], v[8:9], v[60:63]
	v_lshl_add_u64 v[82:83], v[68:69], 0, v[50:51]
	v_lshl_add_u64 v[50:51], v[56:57], 0, v[52:53]
	s_ashr_i32 s12, s18, 31
	v_mfma_f32_16x16x16_bf16 v[64:67], v[44:45], v[8:9], v[64:67]
	ds_read_b128 v[42:45], v59 offset:4096
	ds_read_b128 v[38:41], v59 offset:6144
	v_lshl_add_u64 v[78:79], v[82:83], 0, v[52:53]
	global_load_dwordx4 v[50:53], v[50:51], off
	s_waitcnt vmcnt(7) lgkmcnt(2)
	v_mfma_f32_16x16x16_bf16 v[58:61], v[18:19], v[2:3], v[60:63]
	s_lshr_b32 s10, s12, 27
	v_add_u32_e32 v68, s10, v72
	v_add_u32_e32 v69, s10, v80
	s_waitcnt vmcnt(6)
	v_mfma_f32_16x16x16_bf16 v[62:65], v[26:27], v[2:3], v[64:67]
	v_lshl_add_u64 v[70:71], v[82:83], 0, v[46:47]
	v_ashrrev_i32_e32 v46, 5, v68
	v_add_u32_e32 v85, s10, v81
	v_lshl_add_u64 v[66:67], v[56:57], 0, v[48:49]
	global_load_dwordx4 v[54:57], v[54:55], off offset:2048
	v_mfma_f32_16x16x16_bf16 v[18:21], v[20:21], v[4:5], v[58:61]
	v_add_u32_e32 v88, s10, v84
	s_add_u32 s4, s14, s4
	s_addc_u32 s5, s15, s5
	v_mfma_f32_16x16x16_bf16 v[26:29], v[28:29], v[4:5], v[62:65]
	v_ashrrev_i32_e32 v58, 5, v69
	s_waitcnt vmcnt(6) lgkmcnt(1)
	v_mfma_f32_16x16x16_bf16 v[18:21], v[14:15], v[42:43], v[18:21]
	v_cndmask_b32_e32 v14, v73, v46, vcc
	v_cmp_gt_i32_e32 vcc, s33, v80
	v_ashrrev_i32_e32 v15, 31, v14
	s_waitcnt vmcnt(4)
	v_mfma_f32_16x16x16_bf16 v[26:29], v[30:31], v[42:43], v[26:29]
	v_cndmask_b32_e32 v30, v73, v58, vcc
	v_ashrrev_i32_e32 v31, 31, v30
	v_lshl_add_u64 v[14:15], v[14:15], 2, s[6:7]
	v_lshl_add_u64 v[30:31], v[30:31], 2, s[6:7]
	global_load_dword v89, v[14:15], off
	global_load_dword v94, v[30:31], off
	v_mfma_f32_16x16x16_bf16 v[14:17], v[16:17], v[44:45], v[18:21]
	global_load_dwordx4 v[58:61], v[70:71], off
	v_ashrrev_i32_e32 v62, 5, v85
	v_cmp_gt_i32_e32 vcc, s33, v81
	global_load_dwordx4 v[18:21], v[66:67], off
	s_waitcnt lgkmcnt(0)
	v_mfma_f32_16x16x16_bf16 v[14:17], v[10:11], v[38:39], v[14:17]
	v_cndmask_b32_e32 v10, v73, v62, vcc
	global_load_dwordx4 v[62:65], v[70:71], off offset:2048
	v_ashrrev_i32_e32 v11, 31, v10
	v_lshl_add_u64 v[10:11], v[10:11], 2, s[6:7]
	global_load_dword v95, v[10:11], off
	v_mfma_f32_16x16x16_bf16 v[66:69], v[12:13], v[40:41], v[14:17]
	global_load_dwordx4 v[78:81], v[78:79], off
	v_ashrrev_i32_e32 v85, 5, v88
	v_cmp_gt_i32_e32 vcc, s33, v84
	v_lshl_add_u64 v[14:15], v[82:83], 0, v[48:49]
	global_load_dwordx4 v[90:93], v[14:15], off
	v_cndmask_b32_e32 v10, v73, v85, vcc
	v_ashrrev_i32_e32 v11, 31, v10
	v_lshl_add_u64 v[10:11], v[10:11], 2, s[6:7]
	global_load_dword v84, v[10:11], off
	s_waitcnt vmcnt(11)
	v_mfma_f32_16x16x16_bf16 v[10:13], v[34:35], v[6:7], 0
	v_and_b32_e32 v14, 16, v0
	v_lshlrev_b32_e32 v46, 1, v14
	v_lshl_or_b32 v88, v77, 4, v76
	v_mfma_f32_16x16x16_bf16 v[10:13], v[36:37], v[8:9], v[10:13]
	v_lshl_add_u64 v[36:37], s[4:5], 0, v[46:47]
	v_lshlrev_b32_e32 v46, 6, v88
	v_lshl_add_u64 v[48:49], v[36:37], 0, v[46:47]
	v_mfma_f32_16x16x16_bf16 v[26:29], v[32:33], v[44:45], v[26:29]
	v_or_b32_e32 v46, 0x1000, v46
	s_waitcnt vmcnt(8)
	v_mad_i64_i32 v[14:15], s[4:5], v89, s9, 0
	v_mfma_f32_16x16x16_bf16 v[10:13], v[54:55], v[2:3], v[10:13]
	v_lshlrev_b64 v[82:83], 1, v[14:15]
	v_lshl_add_u64 v[14:15], v[48:49], 0, v[82:83]
	v_mfma_f32_16x16x16_bf16 v[10:13], v[56:57], v[4:5], v[10:13]
	v_mfma_f32_16x16x16_bf16 v[10:13], v[50:51], v[42:43], v[10:13]
	;; [unrolled: 1-line block ×4, first 2 shown]
	s_waitcnt vmcnt(5)
	v_mfma_f32_16x16x16_bf16 v[10:13], v[18:19], v[38:39], v[10:13]
	v_mfma_f32_16x16x16_bf16 v[70:73], v[24:25], v[40:41], v[26:29]
	global_load_dwordx4 v[30:33], v[14:15], off
	s_nop 2
	global_load_dwordx4 v[26:29], v[14:15], off offset:16
	v_mad_i64_i32 v[14:15], s[4:5], v94, s9, 0
	v_lshlrev_b64 v[34:35], 1, v[14:15]
	v_mfma_f32_16x16x16_bf16 v[54:57], v[20:21], v[40:41], v[10:13]
	v_pk_mul_f32 v[70:71], s[8:9], v[70:71] op_sel_hi:[0,1]
	s_nop 1
	v_lshl_add_u64 v[10:11], v[48:49], 0, v[34:35]
	global_load_dwordx4 v[22:25], v[10:11], off
	global_load_dwordx4 v[18:21], v[10:11], off offset:16
	v_mfma_f32_16x16x16_bf16 v[10:13], v[58:59], v[6:7], 0
	s_waitcnt vmcnt(7)
	v_mad_i64_i32 v[6:7], s[4:5], v95, s9, 0
	v_lshlrev_b64 v[50:51], 1, v[6:7]
	v_mfma_f32_16x16x16_bf16 v[6:9], v[60:61], v[8:9], v[10:13]
	v_mfma_f32_16x16x16_bf16 v[6:9], v[62:63], v[2:3], v[6:9]
	s_waitcnt vmcnt(4)
	v_mad_i64_i32 v[2:3], s[4:5], v84, s9, 0
	v_pk_mul_f32 v[84:85], s[8:9], v[72:73] op_sel_hi:[0,1]
	v_mfma_f32_16x16x16_bf16 v[58:61], v[64:65], v[4:5], v[6:9]
	v_lshl_add_u64 v[64:65], v[36:37], 0, v[46:47]
	v_pk_mul_f32 v[62:63], s[8:9], v[66:67] op_sel_hi:[0,1]
	v_lshl_add_u64 v[94:95], v[64:65], 0, v[82:83]
	v_mfma_f32_16x16x16_bf16 v[58:61], v[78:79], v[42:43], v[58:61]
	v_pk_mul_f32 v[82:83], s[8:9], v[68:69] op_sel_hi:[0,1]
	v_pk_mul_f32 v[78:79], s[8:9], v[54:55] op_sel_hi:[0,1]
	v_lshlrev_b64 v[52:53], 1, v[2:3]
	v_mfma_f32_16x16x16_bf16 v[42:45], v[80:81], v[44:45], v[58:61]
	v_pk_mul_f32 v[80:81], s[8:9], v[56:57] op_sel_hi:[0,1]
	v_lshl_add_u64 v[10:11], v[48:49], 0, v[50:51]
	v_lshl_add_u64 v[2:3], v[48:49], 0, v[52:53]
	v_mfma_f32_16x16x16_bf16 v[36:39], v[90:91], v[38:39], v[42:45]
	v_lshl_add_u64 v[34:35], v[64:65], 0, v[34:35]
	v_lshl_add_u64 v[50:51], v[64:65], 0, v[50:51]
	global_load_dwordx4 v[14:17], v[10:11], off
	s_nop 0
	global_load_dwordx4 v[10:13], v[10:11], off offset:16
	v_mfma_f32_16x16x16_bf16 v[36:39], v[92:93], v[40:41], v[36:39]
	global_load_dwordx4 v[6:9], v[2:3], off
	s_nop 0
	global_load_dwordx4 v[2:5], v[2:3], off offset:16
	s_nop 3
	v_pk_mul_f32 v[72:73], s[8:9], v[36:37] op_sel_hi:[0,1]
	v_and_b32_e32 v36, 0xc0, v0
	v_add_u32_e32 v36, s18, v36
	v_lshl_or_b32 v36, v1, 2, v36
	v_pk_mul_f32 v[66:67], s[8:9], v[38:39] op_sel_hi:[0,1]
	v_or_b32_e32 v39, 1, v36
	v_mov_b32_e32 v37, 0xff7fffff
	v_cmp_gt_i32_e64 s[28:29], s33, v36
	v_cmp_gt_i32_e64 s[30:31], s33, v39
	v_or_b32_e32 v40, 3, v36
	v_cndmask_b32_e64 v38, v37, v62, s[28:29]
	v_cndmask_b32_e64 v39, v37, v63, s[30:31]
	v_max3_f32 v38, v38, s41, v39
	v_or_b32_e32 v39, 2, v36
	v_cmp_gt_i32_e64 s[34:35], s33, v39
	v_cmp_gt_i32_e64 s[36:37], s33, v40
	s_nop 0
	v_cndmask_b32_e64 v39, v37, v82, s[34:35]
	v_cndmask_b32_e64 v40, v37, v83, s[36:37]
	v_max3_f32 v38, v38, v39, v40
	v_or_b32_e32 v39, 16, v36
	v_or_b32_e32 v40, 17, v36
	v_cmp_gt_i32_e64 s[22:23], s33, v39
	v_cmp_gt_i32_e64 s[24:25], s33, v40
	s_nop 0
	v_cndmask_b32_e64 v39, v37, v70, s[22:23]
	v_cndmask_b32_e64 v40, v37, v71, s[24:25]
	v_max3_f32 v38, v38, v39, v40
	v_or_b32_e32 v39, 18, v36
	;; [unrolled: 8-line block ×6, first 2 shown]
	v_or_b32_e32 v36, 51, v36
	v_cmp_gt_i32_e32 vcc, s33, v39
	v_cmp_gt_i32_e64 s[4:5], s33, v36
	s_nop 0
	v_cndmask_b32_e32 v39, v37, v66, vcc
	v_cndmask_b32_e64 v36, v37, v67, s[4:5]
	v_max3_f32 v54, v38, v39, v36
	v_mbcnt_lo_u32_b32 v36, -1, 0
	v_mbcnt_hi_u32_b32 v55, -1, v36
	v_and_b32_e32 v36, 64, v55
	v_add_u32_e32 v56, 64, v36
	v_xor_b32_e32 v36, 32, v55
	v_cmp_lt_i32_e64 s[38:39], v36, v56
	global_load_dwordx4 v[46:49], v[94:95], off
	global_load_dwordx4 v[38:41], v[94:95], off offset:16
	v_cndmask_b32_e64 v36, v55, v36, s[38:39]
	v_lshlrev_b32_e32 v90, 2, v36
	ds_bpermute_b32 v57, v90, v54
	global_load_dwordx4 v[42:45], v[34:35], off
	s_nop 0
	global_load_dwordx4 v[34:37], v[34:35], off offset:16
	s_waitcnt lgkmcnt(0)
	v_max_f32_e32 v57, v57, v57
	v_max_f32_e32 v68, v54, v57
	v_xor_b32_e32 v54, 16, v55
	v_cmp_lt_i32_e64 s[38:39], v54, v56
	s_nop 1
	v_cndmask_b32_e64 v54, v55, v54, s[38:39]
	v_lshlrev_b32_e32 v91, 2, v54
	ds_bpermute_b32 v69, v91, v68
	global_load_dwordx4 v[58:61], v[50:51], off
	global_load_dwordx4 v[54:57], v[50:51], off offset:16
	v_lshl_add_u64 v[50:51], v[64:65], 0, v[52:53]
	s_waitcnt lgkmcnt(0)
	v_max_f32_e32 v52, v69, v69
	v_max_f32_e32 v89, v68, v52
	v_sub_f32_e32 v52, v62, v89
	v_mul_f32_e32 v52, 0x3fb8aa3b, v52
	v_exp_f32_e32 v68, v52
	v_sub_f32_e32 v52, v63, v89
	v_mul_f32_e32 v52, 0x3fb8aa3b, v52
	v_exp_f32_e32 v69, v52
	global_load_dwordx4 v[62:65], v[50:51], off
	s_nop 0
	global_load_dwordx4 v[50:53], v[50:51], off offset:16
	v_sub_f32_e32 v82, v82, v89
	v_mul_f32_e32 v82, 0x3fb8aa3b, v82
	v_sub_f32_e32 v83, v83, v89
	v_exp_f32_e32 v82, v82
	v_mul_f32_e32 v83, 0x3fb8aa3b, v83
	v_sub_f32_e32 v70, v70, v89
	v_exp_f32_e32 v83, v83
	v_mul_f32_e32 v70, 0x3fb8aa3b, v70
	v_sub_f32_e32 v71, v71, v89
	v_cndmask_b32_e64 v68, 0, v68, s[28:29]
	v_exp_f32_e32 v70, v70
	v_mul_f32_e32 v71, 0x3fb8aa3b, v71
	v_sub_f32_e32 v84, v84, v89
	v_add_f32_e32 v92, 0, v68
	v_cndmask_b32_e64 v69, 0, v69, s[30:31]
	v_exp_f32_e32 v71, v71
	v_mul_f32_e32 v84, 0x3fb8aa3b, v84
	v_sub_f32_e32 v85, v85, v89
	v_add_f32_e32 v92, v92, v69
	;; [unrolled: 5-line block ×10, first 2 shown]
	v_cndmask_b32_e64 v80, 0, v80, s[10:11]
	v_exp_f32_e32 v66, v66
	v_mul_f32_e32 v67, 0x3fb8aa3b, v67
	v_add_f32_e32 v92, v92, v80
	v_cndmask_b32_e64 v81, 0, v81, s[12:13]
	v_exp_f32_e32 v67, v67
	v_add_f32_e32 v92, v92, v81
	v_cndmask_b32_e64 v72, 0, v72, s[6:7]
	v_add_f32_e32 v92, v92, v72
	v_cndmask_b32_e64 v73, 0, v73, s[8:9]
	v_add_f32_e32 v92, v92, v73
	v_cndmask_b32_e32 v66, 0, v66, vcc
	v_add_f32_e32 v92, v92, v66
	v_cndmask_b32_e64 v67, 0, v67, s[4:5]
	v_add_f32_e32 v92, v92, v67
	ds_bpermute_b32 v90, v90, v92
	v_cmp_gt_u32_e32 vcc, 16, v87
	s_waitcnt lgkmcnt(0)
	s_barrier
	v_add_f32_e32 v90, v92, v90
	ds_bpermute_b32 v91, v91, v90
	s_and_saveexec_b64 s[4:5], vcc
	s_cbranch_execz .LBB726_15
; %bb.14:
	s_waitcnt lgkmcnt(0)
	v_add_f32_e32 v87, v90, v91
	v_lshlrev_b32_e32 v88, 2, v88
	ds_write2st64_b32 v88, v89, v87 offset1:1
.LBB726_15:
	s_or_b64 exec, exec, s[4:5]
	v_lshlrev_b32_e32 v94, 2, v76
	s_load_dword s6, s[0:1], 0x94
	s_waitcnt lgkmcnt(0)
	s_barrier
	ds_read2_b32 v[88:89], v94 offset1:16
	ds_read2_b32 v[90:91], v94 offset0:32 offset1:48
	ds_read2_b32 v[92:93], v94 offset0:64 offset1:80
	;; [unrolled: 1-line block ×3, first 2 shown]
	s_movk_i32 s8, 0x7fff
	s_waitcnt lgkmcnt(3)
	v_max3_f32 v87, v88, s41, v89
	s_waitcnt lgkmcnt(2)
	v_max3_f32 v87, v87, v90, v91
	v_sub_f32_e32 v88, v88, v87
	v_mul_f32_e32 v88, 0x3fb8aa3b, v88
	v_exp_f32_e32 v86, v88
	v_sub_f32_e32 v88, v89, v87
	v_mul_f32_e32 v88, 0x3fb8aa3b, v88
	v_exp_f32_e32 v89, v88
	;; [unrolled: 3-line block ×4, first 2 shown]
	s_waitcnt lgkmcnt(1)
	v_fma_f32 v88, v86, v92, 0
	v_fmac_f32_e32 v88, v89, v93
	s_waitcnt lgkmcnt(0)
	v_fmac_f32_e32 v88, v90, v94
	v_fmac_f32_e32 v88, v91, v95
	v_add_f32_e32 v92, 0x358637bd, v88
	v_div_scale_f32 v93, s[4:5], v92, v92, 1.0
	v_rcp_f32_e32 v94, v93
	s_mov_b32 s9, 0x7060302
	s_barrier
	v_fma_f32 v95, -v93, v94, 1.0
	v_fmac_f32_e32 v94, v95, v94
	v_div_scale_f32 v95, vcc, 1.0, v92, 1.0
	v_mul_f32_e32 v1, v95, v94
	v_fma_f32 v77, -v93, v1, v95
	v_fmac_f32_e32 v1, v77, v94
	v_fma_f32 v77, -v93, v1, v95
	v_div_fmas_f32 v1, v77, v94, v1
	v_lshrrev_b32_e32 v94, 6, v0
	v_cmp_eq_u32_e32 vcc, 1, v94
	v_div_fixup_f32 v1, v1, v92, 1.0
	s_nop 0
	v_cndmask_b32_e32 v77, v86, v89, vcc
	v_cmp_eq_u32_e32 vcc, 2, v94
	s_mul_i32 s7, s27, 3
	s_nop 0
	v_cndmask_b32_e32 v77, v77, v90, vcc
	v_cmp_eq_u32_e32 vcc, 3, v94
	s_nop 1
	v_cndmask_b32_e32 v77, v77, v91, vcc
	v_mul_f32_e32 v90, v77, v1
	v_pk_mul_f32 v[68:69], v[90:91], v[68:69] op_sel_hi:[0,1]
	v_bfe_u32 v1, v69, 16, 1
	v_bfe_u32 v77, v68, 16, 1
	v_pk_mul_f32 v[82:83], v[90:91], v[82:83] op_sel_hi:[0,1]
	v_add3_u32 v68, v68, v77, s8
	v_add3_u32 v1, v69, v1, s8
	v_perm_b32 v92, v1, v68, s9
	v_bfe_u32 v1, v83, 16, 1
	v_bfe_u32 v68, v82, 16, 1
	v_add3_u32 v68, v82, v68, s8
	v_add3_u32 v1, v83, v1, s8
	v_bfe_u32 v83, v0, 4, 2
	v_perm_b32 v93, v1, v68, s9
	v_lshlrev_b32_e32 v1, 3, v83
	v_lshlrev_b32_e32 v68, 5, v76
	;; [unrolled: 1-line block ×3, first 2 shown]
	v_pk_mul_f32 v[70:71], v[90:91], v[70:71] op_sel_hi:[0,1]
	v_or3_b32 v82, v69, v68, v1
	v_bfe_u32 v1, v71, 16, 1
	v_bfe_u32 v69, v70, 16, 1
	v_pk_mul_f32 v[84:85], v[90:91], v[84:85] op_sel_hi:[0,1]
	v_add3_u32 v69, v70, v69, s8
	v_add3_u32 v1, v71, v1, s8
	v_perm_b32 v70, v1, v69, s9
	v_bfe_u32 v1, v85, 16, 1
	v_bfe_u32 v69, v84, 16, 1
	v_add3_u32 v69, v84, v69, s8
	v_add3_u32 v1, v85, v1, s8
	v_pk_mul_f32 v[78:79], v[90:91], v[78:79] op_sel_hi:[0,1]
	v_perm_b32 v71, v1, v69, s9
	v_bfe_u32 v1, v79, 16, 1
	v_bfe_u32 v69, v78, 16, 1
	ds_write2st64_b64 v82, v[92:93], v[70:71] offset1:1
	v_pk_mul_f32 v[70:71], v[90:91], v[80:81] op_sel_hi:[0,1]
	v_add3_u32 v69, v78, v69, s8
	v_add3_u32 v1, v79, v1, s8
	v_perm_b32 v78, v1, v69, s9
	v_bfe_u32 v1, v71, 16, 1
	v_bfe_u32 v69, v70, 16, 1
	v_add3_u32 v69, v70, v69, s8
	v_add3_u32 v1, v71, v1, s8
	v_pk_mul_f32 v[70:71], v[90:91], v[72:73] op_sel_hi:[0,1]
	v_perm_b32 v79, v1, v69, s9
	v_bfe_u32 v1, v71, 16, 1
	v_bfe_u32 v69, v70, 16, 1
	v_pk_mul_f32 v[66:67], v[90:91], v[66:67] op_sel_hi:[0,1]
	v_add3_u32 v69, v70, v69, s8
	v_add3_u32 v1, v71, v1, s8
	v_perm_b32 v70, v1, v69, s9
	v_bfe_u32 v1, v67, 16, 1
	v_bfe_u32 v69, v66, 16, 1
	v_add3_u32 v66, v66, v69, s8
	v_add3_u32 v1, v67, v1, s8
	v_perm_b32 v71, v1, v66, s9
	v_cmp_gt_u32_e32 vcc, 3, v0
	ds_write2st64_b64 v82, v[78:79], v[70:71] offset0:2 offset1:3
	s_and_saveexec_b64 s[4:5], vcc
	s_cbranch_execz .LBB726_17
; %bb.16:
	s_mov_b32 s41, 0
	v_mov_b32_e32 v77, 0
	v_lshl_add_u64 v[66:67], s[40:41], 0, v[76:77]
	v_mov_b32_e32 v1, s7
	v_mad_u64_u32 v[66:67], s[10:11], s2, v1, v[66:67]
	s_mul_i32 s3, s3, s7
	v_mov_b32_e32 v70, s26
	v_mov_b32_e32 v71, v77
	s_load_dwordx4 s[12:15], s[0:1], 0x58
	v_add_u32_e32 v1, s3, v67
	v_mad_u64_u32 v[66:67], s[10:11], v66, s6, v[70:71]
	v_mov_b32_e32 v70, v67
	v_mad_u64_u32 v[70:71], s[10:11], v1, s6, v[70:71]
	v_mov_b32_e32 v67, v70
	v_lshlrev_b64 v[66:67], 2, v[66:67]
	s_waitcnt lgkmcnt(0)
	v_lshl_add_u64 v[70:71], s[14:15], 0, v[66:67]
	v_lshl_add_u64 v[66:67], s[12:13], 0, v[66:67]
	global_store_dword v[70:71], v87, off
	global_store_dword v[66:67], v88, off
.LBB726_17:
	s_or_b64 exec, exec, s[4:5]
	v_lshl_or_b32 v1, v83, 9, v68
	s_waitcnt lgkmcnt(0)
	s_barrier
	ds_read_b128 v[70:73], v1
	ds_read_b128 v[66:69], v1 offset:16
	s_waitcnt vmcnt(15) lgkmcnt(1)
	v_mfma_f32_16x16x16_bf16 v[78:81], v[30:31], v[70:71], 0
	v_cmp_gt_u32_e32 vcc, 64, v0
	v_cmp_ne_u32_e64 s[4:5], 3, v83
	s_mov_b32 s3, 0
	v_mfma_f32_16x16x16_bf16 v[30:33], v[32:33], v[72:73], v[78:81]
	s_and_b64 s[4:5], vcc, s[4:5]
	s_waitcnt vmcnt(14) lgkmcnt(0)
	v_mfma_f32_16x16x16_bf16 v[30:33], v[26:27], v[66:67], v[30:33]
	v_mfma_f32_16x16x16_bf16 v[26:29], v[28:29], v[68:69], v[30:33]
	s_nop 5
	ds_read_b128 v[30:33], v1 offset:2048
	ds_read_b128 v[78:81], v1 offset:2064
	s_waitcnt vmcnt(13) lgkmcnt(1)
	v_mfma_f32_16x16x16_bf16 v[26:29], v[22:23], v[30:31], v[26:29]
	v_mfma_f32_16x16x16_bf16 v[22:25], v[24:25], v[32:33], v[26:29]
	s_waitcnt vmcnt(12) lgkmcnt(0)
	v_mfma_f32_16x16x16_bf16 v[22:25], v[18:19], v[78:79], v[22:25]
	v_mfma_f32_16x16x16_bf16 v[18:21], v[20:21], v[80:81], v[22:25]
	s_nop 5
	ds_read_b128 v[22:25], v1 offset:4096
	ds_read_b128 v[26:29], v1 offset:4112
	s_waitcnt vmcnt(11) lgkmcnt(1)
	v_mfma_f32_16x16x16_bf16 v[18:21], v[14:15], v[22:23], v[18:21]
	v_mfma_f32_16x16x16_bf16 v[14:17], v[16:17], v[24:25], v[18:21]
	s_waitcnt vmcnt(10) lgkmcnt(0)
	v_mfma_f32_16x16x16_bf16 v[14:17], v[10:11], v[26:27], v[14:17]
	v_mfma_f32_16x16x16_bf16 v[10:13], v[12:13], v[28:29], v[14:17]
	s_nop 5
	ds_read_b128 v[14:17], v1 offset:6144
	ds_read_b128 v[18:21], v1 offset:6160
	s_waitcnt lgkmcnt(0)
	s_barrier
	s_waitcnt vmcnt(9)
	v_mfma_f32_16x16x16_bf16 v[10:13], v[6:7], v[14:15], v[10:13]
	v_mfma_f32_16x16x16_bf16 v[6:9], v[8:9], v[16:17], v[10:13]
	s_waitcnt vmcnt(8)
	v_mfma_f32_16x16x16_bf16 v[6:9], v[2:3], v[18:19], v[6:9]
	v_mfma_f32_16x16x16_bf16 v[2:5], v[4:5], v[20:21], v[6:9]
	s_waitcnt vmcnt(7)
	v_mfma_f32_16x16x16_bf16 v[6:9], v[46:47], v[70:71], 0
	v_mfma_f32_16x16x16_bf16 v[6:9], v[48:49], v[72:73], v[6:9]
	s_nop 3
	v_bfe_u32 v1, v3, 16, 1
	v_bfe_u32 v10, v2, 16, 1
	v_add3_u32 v2, v2, v10, s8
	s_waitcnt vmcnt(6)
	v_mfma_f32_16x16x16_bf16 v[6:9], v[38:39], v[66:67], v[6:9]
	v_add3_u32 v1, v3, v1, s8
	v_perm_b32 v10, v1, v2, s9
	v_bfe_u32 v1, v5, 16, 1
	v_mfma_f32_16x16x16_bf16 v[6:9], v[40:41], v[68:69], v[6:9]
	v_bfe_u32 v2, v4, 16, 1
	v_add3_u32 v2, v4, v2, s8
	v_add3_u32 v1, v5, v1, s8
	s_waitcnt vmcnt(5)
	v_mfma_f32_16x16x16_bf16 v[6:9], v[42:43], v[30:31], v[6:9]
	v_perm_b32 v11, v1, v2, s9
	v_mfma_f32_16x16x16_bf16 v[6:9], v[44:45], v[32:33], v[6:9]
	s_waitcnt vmcnt(4)
	v_mfma_f32_16x16x16_bf16 v[6:9], v[34:35], v[78:79], v[6:9]
	v_mfma_f32_16x16x16_bf16 v[6:9], v[36:37], v[80:81], v[6:9]
	s_waitcnt vmcnt(3)
	v_mfma_f32_16x16x16_bf16 v[6:9], v[58:59], v[22:23], v[6:9]
	v_mfma_f32_16x16x16_bf16 v[6:9], v[60:61], v[24:25], v[6:9]
	s_waitcnt vmcnt(2)
	v_mfma_f32_16x16x16_bf16 v[6:9], v[54:55], v[26:27], v[6:9]
	v_mfma_f32_16x16x16_bf16 v[6:9], v[56:57], v[28:29], v[6:9]
	s_waitcnt vmcnt(1)
	v_mfma_f32_16x16x16_bf16 v[6:9], v[62:63], v[14:15], v[6:9]
	v_mfma_f32_16x16x16_bf16 v[6:9], v[64:65], v[16:17], v[6:9]
	s_waitcnt vmcnt(0)
	v_mfma_f32_16x16x16_bf16 v[6:9], v[50:51], v[18:19], v[6:9]
	v_mfma_f32_16x16x16_bf16 v[2:5], v[52:53], v[20:21], v[6:9]
	s_nop 6
	v_bfe_u32 v1, v3, 16, 1
	v_bfe_u32 v6, v2, 16, 1
	v_add3_u32 v2, v2, v6, s8
	v_add3_u32 v1, v3, v1, s8
	v_perm_b32 v2, v1, v2, s9
	v_bfe_u32 v1, v5, 16, 1
	v_bfe_u32 v3, v4, 16, 1
	v_add3_u32 v3, v4, v3, s8
	v_add3_u32 v1, v5, v1, s8
	v_perm_b32 v3, v1, v3, s9
	ds_write2st64_b64 v82, v[10:11], v[2:3] offset1:1
	s_waitcnt lgkmcnt(0)
	s_barrier
	s_and_saveexec_b64 s[8:9], s[4:5]
	s_cbranch_execz .LBB726_19
; %bb.18:
	scratch_load_dword v4, off, off         ; 4-byte Folded Reload
	s_load_dwordx2 s[0:1], s[0:1], 0x68
	s_mul_i32 s2, s7, s2
	s_lshl_b32 s6, s6, 7
	v_lshlrev_b32_e32 v3, 6, v76
	s_mul_hi_u32 s5, s2, s6
	s_mul_i32 s4, s2, s6
	v_lshlrev_b32_e32 v2, 4, v0
	v_lshl_or_b32 v0, v0, 10, v3
	s_lshl_b64 s[4:5], s[4:5], 1
	v_lshlrev_b32_e32 v1, 5, v83
	v_and_b32_e32 v2, 16, v2
	v_and_b32_e32 v0, 0x1a00, v0
	s_waitcnt lgkmcnt(0)
	s_add_u32 s4, s0, s4
	v_or3_b32 v0, v0, v1, v2
	s_addc_u32 s5, s1, s5
	s_lshl_b32 s2, s26, 7
	ds_read_b128 v[0:3], v0
	s_lshl_b64 s[0:1], s[2:3], 1
	s_add_u32 s0, s4, s0
	s_addc_u32 s1, s5, s1
	s_waitcnt vmcnt(0)
	v_mad_u64_u32 v[4:5], s[2:3], s6, v4, 0
	v_lshl_add_u64 v[4:5], v[4:5], 1, s[0:1]
	v_lshl_add_u64 v[4:5], v[74:75], 1, v[4:5]
	s_waitcnt lgkmcnt(0)
	global_store_dwordx4 v[4:5], v[0:3], off
.LBB726_19:
	s_endpgm
	.section	.rodata,"a",@progbits
	.p2align	6, 0x0
	.amdhsa_kernel _Z39paged_attention_ll4mi_QKV_mfma16_kernelI14__hip_bfloat16S0_LN4vllm18Fp8KVCacheDataTypeE0EhLi32ELi128ELi256ELb0ELi3EEvPKT_PKT0_S8_ifPKiSA_SA_iPKfiiiPfSD_PS3_PT2_iSC_SC_
		.amdhsa_group_segment_fixed_size 8192
		.amdhsa_private_segment_fixed_size 8
		.amdhsa_kernarg_size 400
		.amdhsa_user_sgpr_count 2
		.amdhsa_user_sgpr_dispatch_ptr 0
		.amdhsa_user_sgpr_queue_ptr 0
		.amdhsa_user_sgpr_kernarg_segment_ptr 1
		.amdhsa_user_sgpr_dispatch_id 0
		.amdhsa_user_sgpr_kernarg_preload_length 0
		.amdhsa_user_sgpr_kernarg_preload_offset 0
		.amdhsa_user_sgpr_private_segment_size 0
		.amdhsa_uses_dynamic_stack 0
		.amdhsa_enable_private_segment 1
		.amdhsa_system_sgpr_workgroup_id_x 1
		.amdhsa_system_sgpr_workgroup_id_y 1
		.amdhsa_system_sgpr_workgroup_id_z 1
		.amdhsa_system_sgpr_workgroup_info 0
		.amdhsa_system_vgpr_workitem_id 0
		.amdhsa_next_free_vgpr 96
		.amdhsa_next_free_sgpr 42
		.amdhsa_accum_offset 96
		.amdhsa_reserve_vcc 1
		.amdhsa_float_round_mode_32 0
		.amdhsa_float_round_mode_16_64 0
		.amdhsa_float_denorm_mode_32 3
		.amdhsa_float_denorm_mode_16_64 3
		.amdhsa_dx10_clamp 1
		.amdhsa_ieee_mode 1
		.amdhsa_fp16_overflow 0
		.amdhsa_tg_split 0
		.amdhsa_exception_fp_ieee_invalid_op 0
		.amdhsa_exception_fp_denorm_src 0
		.amdhsa_exception_fp_ieee_div_zero 0
		.amdhsa_exception_fp_ieee_overflow 0
		.amdhsa_exception_fp_ieee_underflow 0
		.amdhsa_exception_fp_ieee_inexact 0
		.amdhsa_exception_int_div_zero 0
	.end_amdhsa_kernel
	.section	.text._Z39paged_attention_ll4mi_QKV_mfma16_kernelI14__hip_bfloat16S0_LN4vllm18Fp8KVCacheDataTypeE0EhLi32ELi128ELi256ELb0ELi3EEvPKT_PKT0_S8_ifPKiSA_SA_iPKfiiiPfSD_PS3_PT2_iSC_SC_,"axG",@progbits,_Z39paged_attention_ll4mi_QKV_mfma16_kernelI14__hip_bfloat16S0_LN4vllm18Fp8KVCacheDataTypeE0EhLi32ELi128ELi256ELb0ELi3EEvPKT_PKT0_S8_ifPKiSA_SA_iPKfiiiPfSD_PS3_PT2_iSC_SC_,comdat
.Lfunc_end726:
	.size	_Z39paged_attention_ll4mi_QKV_mfma16_kernelI14__hip_bfloat16S0_LN4vllm18Fp8KVCacheDataTypeE0EhLi32ELi128ELi256ELb0ELi3EEvPKT_PKT0_S8_ifPKiSA_SA_iPKfiiiPfSD_PS3_PT2_iSC_SC_, .Lfunc_end726-_Z39paged_attention_ll4mi_QKV_mfma16_kernelI14__hip_bfloat16S0_LN4vllm18Fp8KVCacheDataTypeE0EhLi32ELi128ELi256ELb0ELi3EEvPKT_PKT0_S8_ifPKiSA_SA_iPKfiiiPfSD_PS3_PT2_iSC_SC_
                                        ; -- End function
	.section	.AMDGPU.csdata,"",@progbits
; Kernel info:
; codeLenInByte = 4840
; NumSgprs: 48
; NumVgprs: 96
; NumAgprs: 0
; TotalNumVgprs: 96
; ScratchSize: 8
; MemoryBound: 0
; FloatMode: 240
; IeeeMode: 1
; LDSByteSize: 8192 bytes/workgroup (compile time only)
; SGPRBlocks: 5
; VGPRBlocks: 11
; NumSGPRsForWavesPerEU: 48
; NumVGPRsForWavesPerEU: 96
; AccumOffset: 96
; Occupancy: 5
; WaveLimiterHint : 1
; COMPUTE_PGM_RSRC2:SCRATCH_EN: 1
; COMPUTE_PGM_RSRC2:USER_SGPR: 2
; COMPUTE_PGM_RSRC2:TRAP_HANDLER: 0
; COMPUTE_PGM_RSRC2:TGID_X_EN: 1
; COMPUTE_PGM_RSRC2:TGID_Y_EN: 1
; COMPUTE_PGM_RSRC2:TGID_Z_EN: 1
; COMPUTE_PGM_RSRC2:TIDIG_COMP_CNT: 0
; COMPUTE_PGM_RSRC3_GFX90A:ACCUM_OFFSET: 23
; COMPUTE_PGM_RSRC3_GFX90A:TG_SPLIT: 0
	.section	.text._Z39paged_attention_ll4mi_QKV_mfma16_kernelI14__hip_bfloat16S0_LN4vllm18Fp8KVCacheDataTypeE0EhLi32ELi128ELi256ELb0ELi4EEvPKT_PKT0_S8_ifPKiSA_SA_iPKfiiiPfSD_PS3_PT2_iSC_SC_,"axG",@progbits,_Z39paged_attention_ll4mi_QKV_mfma16_kernelI14__hip_bfloat16S0_LN4vllm18Fp8KVCacheDataTypeE0EhLi32ELi128ELi256ELb0ELi4EEvPKT_PKT0_S8_ifPKiSA_SA_iPKfiiiPfSD_PS3_PT2_iSC_SC_,comdat
	.protected	_Z39paged_attention_ll4mi_QKV_mfma16_kernelI14__hip_bfloat16S0_LN4vllm18Fp8KVCacheDataTypeE0EhLi32ELi128ELi256ELb0ELi4EEvPKT_PKT0_S8_ifPKiSA_SA_iPKfiiiPfSD_PS3_PT2_iSC_SC_ ; -- Begin function _Z39paged_attention_ll4mi_QKV_mfma16_kernelI14__hip_bfloat16S0_LN4vllm18Fp8KVCacheDataTypeE0EhLi32ELi128ELi256ELb0ELi4EEvPKT_PKT0_S8_ifPKiSA_SA_iPKfiiiPfSD_PS3_PT2_iSC_SC_
	.globl	_Z39paged_attention_ll4mi_QKV_mfma16_kernelI14__hip_bfloat16S0_LN4vllm18Fp8KVCacheDataTypeE0EhLi32ELi128ELi256ELb0ELi4EEvPKT_PKT0_S8_ifPKiSA_SA_iPKfiiiPfSD_PS3_PT2_iSC_SC_
	.p2align	8
	.type	_Z39paged_attention_ll4mi_QKV_mfma16_kernelI14__hip_bfloat16S0_LN4vllm18Fp8KVCacheDataTypeE0EhLi32ELi128ELi256ELb0ELi4EEvPKT_PKT0_S8_ifPKiSA_SA_iPKfiiiPfSD_PS3_PT2_iSC_SC_,@function
_Z39paged_attention_ll4mi_QKV_mfma16_kernelI14__hip_bfloat16S0_LN4vllm18Fp8KVCacheDataTypeE0EhLi32ELi128ELi256ELb0ELi4EEvPKT_PKT0_S8_ifPKiSA_SA_iPKfiiiPfSD_PS3_PT2_iSC_SC_: ; @_Z39paged_attention_ll4mi_QKV_mfma16_kernelI14__hip_bfloat16S0_LN4vllm18Fp8KVCacheDataTypeE0EhLi32ELi128ELi256ELb0ELi4EEvPKT_PKT0_S8_ifPKiSA_SA_iPKfiiiPfSD_PS3_PT2_iSC_SC_
; %bb.0:
	s_load_dwordx2 s[8:9], s[0:1], 0x30
	s_mov_b32 s28, s3
	s_mov_b64 s[6:7], 0
	s_waitcnt lgkmcnt(0)
	s_cmp_lg_u64 s[8:9], 0
	s_cselect_b64 s[10:11], -1, 0
	s_and_b64 vcc, exec, s[10:11]
	s_cbranch_vccz .LBB727_7
; %bb.1:
	s_add_i32 s12, s2, 1
	s_mov_b32 s13, 0
	s_lshl_b64 s[14:15], s[12:13], 2
	s_add_u32 s14, s8, s14
	s_mov_b32 s3, s13
	s_addc_u32 s15, s9, s15
	s_lshl_b64 s[12:13], s[2:3], 2
	s_add_u32 s12, s8, s12
	s_addc_u32 s13, s9, s13
	s_load_dword s5, s[14:15], 0x0
	s_load_dword s16, s[12:13], 0x0
	s_waitcnt lgkmcnt(0)
	s_sub_i32 s5, s5, s16
	s_cmp_eq_u32 s5, 1
	s_cselect_b64 s[12:13], -1, 0
	s_andn2_b64 vcc, exec, s[6:7]
	s_cbranch_vccnz .LBB727_3
.LBB727_2:
	s_mov_b32 s3, 0
	s_mov_b64 s[12:13], -1
.LBB727_3:
	s_andn2_b64 vcc, exec, s[12:13]
	s_cbranch_vccnz .LBB727_19
; %bb.4:
	s_load_dwordx2 s[6:7], s[0:1], 0x28
	s_lshl_b64 s[12:13], s[2:3], 2
	s_waitcnt lgkmcnt(0)
	s_add_u32 s6, s6, s12
	s_addc_u32 s7, s7, s13
	s_load_dword s40, s[6:7], 0x0
	s_lshl_b32 s18, s28, 8
	s_waitcnt lgkmcnt(0)
	s_cmp_ge_i32 s18, s40
	s_cbranch_scc1 .LBB727_19
; %bb.5:
	s_load_dwordx2 s[6:7], s[0:1], 0x20
	s_load_dword s5, s[0:1], 0x38
	s_add_i32 s14, s40, 31
	s_ashr_i32 s15, s14, 31
	v_and_b32_e32 v1, 0xcf, v0
	s_lshr_b32 s15, s15, 27
	v_add_u32_e32 v1, s18, v1
	s_add_i32 s14, s14, s15
	v_ashrrev_i32_e32 v2, 31, v1
	s_ashr_i32 s19, s14, 5
	v_lshrrev_b32_e32 v6, 27, v2
	s_add_i32 s19, s19, -1
	s_waitcnt lgkmcnt(0)
	s_mul_i32 s14, s2, s5
	s_mov_b32 s15, 0
	v_add_u32_e32 v2, v1, v6
	s_lshl_b64 s[14:15], s[14:15], 2
	v_ashrrev_i32_e32 v2, 5, v2
	v_mov_b32_e32 v7, s19
	v_cmp_gt_i32_e32 vcc, s40, v1
	s_add_u32 s6, s6, s14
	s_addc_u32 s7, s7, s15
	v_cndmask_b32_e32 v2, v7, v2, vcc
	v_ashrrev_i32_e32 v3, 31, v2
	v_lshl_add_u64 v[4:5], v[2:3], 2, s[6:7]
	v_or_b32_e32 v2, 16, v1
	v_add_u32_e32 v3, v2, v6
	v_ashrrev_i32_e32 v3, 5, v3
	v_cmp_gt_i32_e32 vcc, s40, v2
	s_nop 1
	v_cndmask_b32_e32 v2, v7, v3, vcc
	v_ashrrev_i32_e32 v3, 31, v2
	v_lshl_add_u64 v[8:9], v[2:3], 2, s[6:7]
	v_or_b32_e32 v2, 32, v1
	v_add_u32_e32 v3, v2, v6
	v_ashrrev_i32_e32 v3, 5, v3
	v_cmp_gt_i32_e32 vcc, s40, v2
	v_or_b32_e32 v1, 48, v1
	s_nop 0
	v_cndmask_b32_e32 v2, v7, v3, vcc
	v_ashrrev_i32_e32 v3, 31, v2
	v_lshl_add_u64 v[10:11], v[2:3], 2, s[6:7]
	v_add_u32_e32 v2, v1, v6
	v_ashrrev_i32_e32 v2, 5, v2
	v_cmp_gt_i32_e32 vcc, s40, v1
	s_nop 1
	v_cndmask_b32_e32 v2, v7, v2, vcc
	v_ashrrev_i32_e32 v3, 31, v2
	v_lshl_add_u64 v[12:13], v[2:3], 2, s[6:7]
	global_load_dword v2, v[4:5], off
	global_load_dword v7, v[8:9], off
	;; [unrolled: 1-line block ×4, first 2 shown]
	s_andn2_b64 vcc, exec, s[10:11]
	s_cbranch_vccnz .LBB727_8
; %bb.6:
	s_add_u32 s8, s8, s12
	s_addc_u32 s9, s9, s13
	s_load_dword s5, s[8:9], 0x0
	s_branch .LBB727_9
.LBB727_7:
	s_mov_b64 s[12:13], 0
	s_branch .LBB727_2
.LBB727_8:
	s_mov_b32 s5, s2
.LBB727_9:
	s_load_dwordx4 s[12:15], s[0:1], 0x8
	s_load_dwordx4 s[8:11], s[0:1], 0x48
	v_and_b32_e32 v3, 15, v0
	v_bfe_u32 v49, v0, 4, 2
	s_lshl_b32 s29, s4, 2
	v_lshlrev_b32_e32 v94, 3, v3
	v_cmp_gt_u32_e64 s[30:31], 64, v0
	v_cmp_lt_u32_e32 vcc, 63, v0
	s_and_saveexec_b64 s[16:17], vcc
	s_xor_b64 s[16:17], exec, s[16:17]
; %bb.10:
	v_mov_b32_e32 v95, 0
; %bb.11:
	s_or_saveexec_b64 s[16:17], s[16:17]
	v_or_b32_e32 v1, s29, v49
	v_lshrrev_b32_e32 v12, 6, v0
	scratch_store_dword off, v1, off        ; 4-byte Folded Spill
	v_and_b32_e32 v35, 3, v0
	v_lshlrev_b32_e32 v1, 5, v49
	scratch_store_dword off, v1, off offset:4 ; 4-byte Folded Spill
	s_xor_b64 exec, exec, s[16:17]
	s_cbranch_execz .LBB727_13
; %bb.12:
	scratch_load_dword v1, off, off         ; 4-byte Folded Reload
	s_load_dwordx2 s[20:21], s[0:1], 0x0
	s_waitcnt lgkmcnt(0)
	s_ashr_i32 s11, s8, 31
	s_mul_hi_u32 s22, s5, s8
	s_mul_i32 s11, s5, s11
	s_add_i32 s23, s22, s11
	s_mul_i32 s22, s5, s8
	s_lshl_b64 s[22:23], s[22:23], 1
	s_add_u32 s20, s20, s22
	s_addc_u32 s21, s21, s23
	v_mov_b32_e32 v95, 0
	v_lshlrev_b32_e32 v8, 1, v94
	v_mov_b32_e32 v9, v95
	s_waitcnt vmcnt(0)
	v_lshlrev_b32_e32 v4, 7, v1
	v_ashrrev_i32_e32 v5, 31, v4
	v_lshl_add_u64 v[4:5], v[4:5], 1, s[20:21]
	v_lshl_add_u64 v[4:5], v[4:5], 0, v[8:9]
	global_load_dwordx4 v[8:11], v[4:5], off
	v_and_b32_e32 v5, 15, v0
	v_lshlrev_b32_e32 v1, 5, v49
	v_lshlrev_b32_e32 v5, 9, v5
	v_lshl_or_b32 v3, v12, 7, v1
	v_lshlrev_b32_e32 v4, 9, v35
	v_and_b32_e32 v5, 0x1800, v5
	v_or3_b32 v3, v5, v4, v3
	s_waitcnt vmcnt(0)
	ds_write_b128 v3, v[8:11]
.LBB727_13:
	s_or_b64 exec, exec, s[16:17]
	s_waitcnt lgkmcnt(0)
	s_mul_i32 s4, s4, s10
	s_mov_b32 s5, 0
	s_lshl_b64 s[4:5], s[4:5], 1
	s_add_u32 s10, s12, s4
	s_addc_u32 s11, s13, s5
	s_waitcnt vmcnt(5)
	v_mad_i64_i32 v[2:3], s[12:13], v2, s9, 0
	v_mov_b32_e32 v55, 0
	s_waitcnt vmcnt(4)
	v_mad_i64_i32 v[8:9], s[12:13], v7, s9, 0
	v_mov_b32_e32 v7, 0x100
	v_and_b32_e32 v89, 15, v0
	v_lshl_add_u64 v[2:3], v[2:3], 1, s[10:11]
	v_lshlrev_b64 v[4:5], 1, v[94:95]
	v_lshl_add_u64 v[8:9], v[8:9], 1, s[10:11]
	v_lshl_or_b32 v56, v89, 4, v7
	v_mov_b32_e32 v57, v55
	v_lshlrev_b32_e32 v54, 9, v49
	v_lshl_add_u64 v[2:3], v[2:3], 0, v[4:5]
	v_lshl_add_u64 v[20:21], v[8:9], 0, v[56:57]
	;; [unrolled: 1-line block ×4, first 2 shown]
	s_load_dword s33, s[0:1], 0x98
	s_load_dword s8, s[0:1], 0x1c
	s_waitcnt lgkmcnt(0)
	s_barrier
	global_load_dwordx4 v[14:17], v[18:19], off
	v_mov_b32_e32 v89, v12
	global_load_dwordx4 v[10:13], v[22:23], off
	s_waitcnt vmcnt(5)
	v_mad_i64_i32 v[6:7], s[12:13], v6, s9, 0
	v_lshl_add_u64 v[6:7], v[6:7], 1, s[10:11]
	v_lshl_add_u64 v[60:61], v[6:7], 0, v[4:5]
	;; [unrolled: 1-line block ×3, first 2 shown]
	global_load_dwordx4 v[6:9], v[46:47], off
	global_load_dwordx4 v[42:45], v[18:19], off offset:2048
	global_load_dwordx4 v[38:41], v[22:23], off offset:2048
	v_or_b32_e32 v62, 0x1000, v54
	v_mov_b32_e32 v63, v55
	v_lshl_add_u64 v[4:5], v[2:3], 0, v[62:63]
	global_load_dwordx4 v[30:33], v[4:5], off
	v_or_b32_e32 v58, 0x1800, v54
	v_mov_b32_e32 v59, v55
	v_lshl_add_u64 v[2:3], v[2:3], 0, v[58:59]
	global_load_dwordx4 v[22:25], v[2:3], off
	v_lshl_add_u64 v[4:5], v[20:21], 0, v[62:63]
	global_load_dwordx4 v[26:29], v[4:5], off
	;; [unrolled: 2-line block ×3, first 2 shown]
	v_lshl_or_b32 v48, v35, 5, v54
	ds_read_b128 v[2:5], v48
	s_waitcnt vmcnt(11)
	v_mad_i64_i32 v[64:65], s[12:13], v34, s9, 0
	ds_read_b128 v[34:37], v48 offset:2048
	global_load_dwordx4 v[76:79], v[46:47], off offset:2048
	v_mov_b32_e32 v1, v49
	ds_read_b128 v[50:53], v48 offset:4096
	ds_read_b128 v[46:49], v48 offset:6144
	s_ashr_i32 s12, s18, 31
	v_and_or_b32 v74, v0, 48, s18
	v_mov_b32_e32 v75, s19
	v_cmp_gt_i32_e32 vcc, s40, v74
	v_or_b32_e32 v84, 64, v74
	v_or_b32_e32 v85, 0x80, v74
	;; [unrolled: 1-line block ×3, first 2 shown]
	s_mov_b32 s42, 0xff7fffff
	s_waitcnt vmcnt(7) lgkmcnt(3)
	v_mfma_f32_16x16x16_bf16 v[80:83], v[6:7], v[2:3], 0
	v_lshl_add_u64 v[6:7], v[64:65], 1, s[10:11]
	s_lshr_b32 s10, s12, 27
	v_lshl_add_u64 v[6:7], v[6:7], 0, v[56:57]
	v_mfma_f32_16x16x16_bf16 v[70:73], v[10:11], v[2:3], 0
	v_lshl_add_u64 v[64:65], v[6:7], 0, v[54:55]
	v_lshl_add_u64 v[56:57], v[60:61], 0, v[58:59]
	s_add_u32 s4, s14, s4
	v_mfma_f32_16x16x16_bf16 v[66:69], v[14:15], v[2:3], 0
	s_addc_u32 s5, s15, s5
	v_mfma_f32_16x16x16_bf16 v[10:13], v[12:13], v[4:5], v[70:73]
	v_mfma_f32_16x16x16_bf16 v[14:17], v[16:17], v[4:5], v[66:69]
	s_nop 1
	v_lshl_add_u64 v[72:73], v[6:7], 0, v[62:63]
	s_waitcnt vmcnt(5) lgkmcnt(2)
	v_mfma_f32_16x16x16_bf16 v[10:13], v[38:39], v[34:35], v[10:13]
	v_add_u32_e32 v66, s10, v74
	v_ashrrev_i32_e32 v54, 5, v66
	v_add_u32_e32 v67, s10, v84
	v_mfma_f32_16x16x16_bf16 v[14:17], v[42:43], v[34:35], v[14:17]
	v_lshl_add_u64 v[42:43], v[60:61], 0, v[62:63]
	v_ashrrev_i32_e32 v60, 5, v67
	v_add_u32_e32 v68, s10, v85
	v_mfma_f32_16x16x16_bf16 v[10:13], v[40:41], v[36:37], v[10:13]
	global_load_dwordx4 v[38:41], v[42:43], off
	v_cndmask_b32_e32 v42, v75, v54, vcc
	v_ashrrev_i32_e32 v43, 31, v42
	v_mfma_f32_16x16x16_bf16 v[14:17], v[44:45], v[36:37], v[14:17]
	v_cmp_gt_i32_e32 vcc, s40, v84
	v_ashrrev_i32_e32 v66, 5, v68
	v_add_u32_e32 v69, s10, v86
	s_waitcnt vmcnt(5) lgkmcnt(1)
	v_mfma_f32_16x16x16_bf16 v[14:17], v[30:31], v[50:51], v[14:17]
	v_lshl_add_u64 v[30:31], v[42:43], 2, s[6:7]
	global_load_dwordx4 v[42:45], v[56:57], off
	v_ashrrev_i32_e32 v68, 5, v69
	global_load_dword v30, v[30:31], off
	s_waitcnt vmcnt(5)
	v_mfma_f32_16x16x16_bf16 v[10:13], v[26:27], v[50:51], v[10:13]
	v_cndmask_b32_e32 v26, v75, v60, vcc
	v_ashrrev_i32_e32 v27, 31, v26
	v_lshl_add_u64 v[26:27], v[26:27], 2, s[6:7]
	global_load_dwordx4 v[60:63], v[64:65], off
	global_load_dword v56, v[26:27], off
	v_mfma_f32_16x16x16_bf16 v[14:17], v[32:33], v[52:53], v[14:17]
	v_cmp_gt_i32_e32 vcc, s40, v85
	s_nop 1
	v_cndmask_b32_e32 v26, v75, v66, vcc
	v_ashrrev_i32_e32 v27, 31, v26
	s_waitcnt lgkmcnt(0)
	v_mfma_f32_16x16x16_bf16 v[14:17], v[22:23], v[46:47], v[14:17]
	v_lshl_add_u64 v[22:23], v[26:27], 2, s[6:7]
	global_load_dword v57, v[22:23], off
	v_cmp_gt_i32_e32 vcc, s40, v86
	global_load_dwordx4 v[64:67], v[64:65], off offset:2048
	v_mfma_f32_16x16x16_bf16 v[10:13], v[28:29], v[52:53], v[10:13]
	global_load_dwordx4 v[84:87], v[72:73], off
	s_waitcnt vmcnt(9)
	v_mfma_f32_16x16x16_bf16 v[10:13], v[18:19], v[46:47], v[10:13]
	v_cndmask_b32_e32 v18, v75, v68, vcc
	v_ashrrev_i32_e32 v19, 31, v18
	v_mfma_f32_16x16x16_bf16 v[90:93], v[20:21], v[48:49], v[10:13]
	s_nop 3
	v_lshl_add_u64 v[10:11], v[6:7], 0, v[58:59]
	global_load_dwordx4 v[72:75], v[10:11], off
	v_mfma_f32_16x16x16_bf16 v[68:71], v[24:25], v[48:49], v[14:17]
	v_and_b32_e32 v10, 16, v0
	v_lshlrev_b32_e32 v54, 1, v10
	v_and_b32_e32 v10, 15, v0
	v_lshl_add_u64 v[14:15], v[18:19], 2, s[6:7]
	global_load_dword v88, v[14:15], off
	v_mfma_f32_16x16x16_bf16 v[6:9], v[8:9], v[4:5], v[80:83]
	v_lshl_or_b32 v89, v89, 4, v10
	v_lshl_add_u64 v[58:59], s[4:5], 0, v[54:55]
	v_lshlrev_b32_e32 v54, 6, v89
	s_waitcnt vmcnt(10)
	v_mfma_f32_16x16x16_bf16 v[6:9], v[76:77], v[34:35], v[6:9]
	v_lshl_add_u64 v[76:77], v[58:59], 0, v[54:55]
	v_pk_mul_f32 v[80:81], s[8:9], v[70:71] op_sel_hi:[0,1]
	v_pk_mul_f32 v[70:71], s[8:9], v[90:91] op_sel_hi:[0,1]
	v_mfma_f32_16x16x16_bf16 v[6:9], v[78:79], v[36:37], v[6:9]
	v_pk_mul_f32 v[82:83], s[8:9], v[92:93] op_sel_hi:[0,1]
	v_or_b32_e32 v54, 0x1000, v54
	s_waitcnt vmcnt(7)
	v_mad_i64_i32 v[10:11], s[4:5], v30, s9, 0
	v_mfma_f32_16x16x16_bf16 v[6:9], v[38:39], v[50:51], v[6:9]
	v_lshlrev_b64 v[78:79], 1, v[10:11]
	v_lshl_add_u64 v[10:11], v[76:77], 0, v[78:79]
	global_load_dwordx4 v[30:33], v[10:11], off
	global_load_dwordx4 v[26:29], v[10:11], off offset:16
	v_mfma_f32_16x16x16_bf16 v[6:9], v[40:41], v[52:53], v[6:9]
	s_waitcnt vmcnt(7)
	v_mad_i64_i32 v[10:11], s[4:5], v56, s9, 0
	v_mfma_f32_16x16x16_bf16 v[6:9], v[42:43], v[46:47], v[6:9]
	v_lshlrev_b64 v[42:43], 1, v[10:11]
	v_mfma_f32_16x16x16_bf16 v[38:41], v[44:45], v[48:49], v[6:9]
	s_nop 4
	v_lshl_add_u64 v[6:7], v[76:77], 0, v[42:43]
	global_load_dwordx4 v[22:25], v[6:7], off
	global_load_dwordx4 v[18:21], v[6:7], off offset:16
	v_mfma_f32_16x16x16_bf16 v[6:9], v[60:61], v[2:3], 0
	s_waitcnt vmcnt(8)
	v_mad_i64_i32 v[2:3], s[4:5], v57, s9, 0
	v_lshlrev_b64 v[56:57], 1, v[2:3]
	v_mfma_f32_16x16x16_bf16 v[2:5], v[62:63], v[4:5], v[6:9]
	s_waitcnt vmcnt(7)
	v_mfma_f32_16x16x16_bf16 v[2:5], v[64:65], v[34:35], v[2:5]
	s_nop 0
	v_lshl_add_u64 v[6:7], v[76:77], 0, v[56:57]
	global_load_dwordx4 v[14:17], v[6:7], off
	global_load_dwordx4 v[10:13], v[6:7], off offset:16
	v_lshl_add_u64 v[64:65], v[58:59], 0, v[54:55]
	v_mfma_f32_16x16x16_bf16 v[34:37], v[66:67], v[36:37], v[2:5]
	v_lshl_add_u64 v[44:45], v[64:65], 0, v[78:79]
	v_pk_mul_f32 v[78:79], s[8:9], v[40:41] op_sel_hi:[0,1]
	s_waitcnt vmcnt(6)
	v_mad_i64_i32 v[6:7], s[4:5], v88, s9, 0
	v_mfma_f32_16x16x16_bf16 v[34:37], v[84:85], v[50:51], v[34:37]
	v_pk_mul_f32 v[50:51], s[8:9], v[68:69] op_sel_hi:[0,1]
	v_lshlrev_b64 v[62:63], 1, v[6:7]
	v_lshl_add_u64 v[2:3], v[76:77], 0, v[62:63]
	v_mfma_f32_16x16x16_bf16 v[34:37], v[86:87], v[52:53], v[34:37]
	v_pk_mul_f32 v[76:77], s[8:9], v[38:39] op_sel_hi:[0,1]
	global_load_dwordx4 v[6:9], v[2:3], off
	s_nop 0
	global_load_dwordx4 v[2:5], v[2:3], off offset:16
	v_mfma_f32_16x16x16_bf16 v[34:37], v[72:73], v[46:47], v[34:37]
	v_mfma_f32_16x16x16_bf16 v[34:37], v[74:75], v[48:49], v[34:37]
	s_nop 6
	v_pk_mul_f32 v[72:73], s[8:9], v[34:35] op_sel_hi:[0,1]
	v_and_b32_e32 v34, 0xc0, v0
	v_add_u32_e32 v34, s18, v34
	v_lshl_or_b32 v34, v1, 2, v34
	v_pk_mul_f32 v[66:67], s[8:9], v[36:37] op_sel_hi:[0,1]
	v_or_b32_e32 v37, 1, v34
	v_mov_b32_e32 v35, 0xff7fffff
	v_cmp_gt_i32_e64 s[4:5], s40, v34
	v_cmp_gt_i32_e64 s[34:35], s40, v37
	v_or_b32_e32 v38, 3, v34
	v_cndmask_b32_e64 v36, v35, v50, s[4:5]
	v_cndmask_b32_e64 v37, v35, v51, s[34:35]
	v_max3_f32 v36, v36, s42, v37
	v_or_b32_e32 v37, 2, v34
	v_cmp_gt_i32_e64 s[36:37], s40, v37
	v_cmp_gt_i32_e64 s[38:39], s40, v38
	v_and_b32_e32 v1, 63, v0
	v_cndmask_b32_e64 v37, v35, v80, s[36:37]
	v_cndmask_b32_e64 v38, v35, v81, s[38:39]
	v_max3_f32 v36, v36, v37, v38
	v_or_b32_e32 v37, 16, v34
	v_or_b32_e32 v38, 17, v34
	v_cmp_gt_i32_e64 s[24:25], s40, v37
	v_cmp_gt_i32_e64 s[26:27], s40, v38
	s_nop 0
	v_cndmask_b32_e64 v37, v35, v70, s[24:25]
	v_cndmask_b32_e64 v38, v35, v71, s[26:27]
	v_max3_f32 v36, v36, v37, v38
	v_or_b32_e32 v37, 18, v34
	v_or_b32_e32 v38, 19, v34
	v_cmp_gt_i32_e64 s[20:21], s40, v37
	v_cmp_gt_i32_e64 s[22:23], s40, v38
	s_nop 0
	;; [unrolled: 8-line block ×5, first 2 shown]
	v_cndmask_b32_e64 v37, v35, v72, s[8:9]
	v_cndmask_b32_e64 v38, v35, v73, s[10:11]
	v_max3_f32 v36, v36, v37, v38
	v_or_b32_e32 v37, 50, v34
	v_or_b32_e32 v34, 51, v34
	v_cmp_gt_i32_e32 vcc, s40, v37
	v_cmp_gt_i32_e64 s[6:7], s40, v34
	global_load_dwordx4 v[46:49], v[44:45], off
	global_load_dwordx4 v[38:41], v[44:45], off offset:16
	v_cndmask_b32_e32 v37, v35, v66, vcc
	v_cndmask_b32_e64 v34, v35, v67, s[6:7]
	v_max3_f32 v52, v36, v37, v34
	v_mbcnt_lo_u32_b32 v34, -1, 0
	v_mbcnt_hi_u32_b32 v53, -1, v34
	v_and_b32_e32 v34, 64, v53
	v_add_u32_e32 v54, 64, v34
	v_xor_b32_e32 v34, 32, v53
	v_cmp_lt_i32_e64 s[40:41], v34, v54
	s_nop 1
	v_cndmask_b32_e64 v34, v53, v34, s[40:41]
	v_lshlrev_b32_e32 v74, 2, v34
	ds_bpermute_b32 v55, v74, v52
	v_lshl_add_u64 v[34:35], v[64:65], 0, v[42:43]
	global_load_dwordx4 v[42:45], v[34:35], off
	s_nop 0
	global_load_dwordx4 v[34:37], v[34:35], off offset:16
	s_waitcnt lgkmcnt(0)
	v_max_f32_e32 v55, v55, v55
	v_max_f32_e32 v68, v52, v55
	v_xor_b32_e32 v52, 16, v53
	v_cmp_lt_i32_e64 s[40:41], v52, v54
	s_nop 1
	v_cndmask_b32_e64 v52, v53, v52, s[40:41]
	v_lshlrev_b32_e32 v75, 2, v52
	ds_bpermute_b32 v69, v75, v68
	v_lshl_add_u64 v[52:53], v[64:65], 0, v[56:57]
	global_load_dwordx4 v[58:61], v[52:53], off
	global_load_dwordx4 v[54:57], v[52:53], off offset:16
	v_lshl_add_u64 v[52:53], v[64:65], 0, v[62:63]
	s_waitcnt lgkmcnt(0)
	v_max_f32_e32 v62, v69, v69
	v_max_f32_e32 v90, v68, v62
	v_sub_f32_e32 v50, v50, v90
	v_mul_f32_e32 v50, 0x3fb8aa3b, v50
	v_exp_f32_e32 v68, v50
	v_sub_f32_e32 v50, v51, v90
	v_mul_f32_e32 v50, 0x3fb8aa3b, v50
	v_exp_f32_e32 v69, v50
	global_load_dwordx4 v[62:65], v[52:53], off
	s_nop 0
	global_load_dwordx4 v[50:53], v[52:53], off offset:16
	v_sub_f32_e32 v80, v80, v90
	v_mul_f32_e32 v80, 0x3fb8aa3b, v80
	v_sub_f32_e32 v81, v81, v90
	v_exp_f32_e32 v80, v80
	v_mul_f32_e32 v81, 0x3fb8aa3b, v81
	v_sub_f32_e32 v70, v70, v90
	v_exp_f32_e32 v81, v81
	v_mul_f32_e32 v70, 0x3fb8aa3b, v70
	v_sub_f32_e32 v71, v71, v90
	v_cndmask_b32_e64 v68, 0, v68, s[4:5]
	v_exp_f32_e32 v70, v70
	v_mul_f32_e32 v71, 0x3fb8aa3b, v71
	v_sub_f32_e32 v82, v82, v90
	v_add_f32_e32 v84, 0, v68
	v_cndmask_b32_e64 v69, 0, v69, s[34:35]
	v_exp_f32_e32 v71, v71
	v_mul_f32_e32 v82, 0x3fb8aa3b, v82
	v_sub_f32_e32 v83, v83, v90
	v_add_f32_e32 v84, v84, v69
	;; [unrolled: 5-line block ×10, first 2 shown]
	v_cndmask_b32_e64 v78, 0, v78, s[12:13]
	v_exp_f32_e32 v66, v66
	v_mul_f32_e32 v67, 0x3fb8aa3b, v67
	v_add_f32_e32 v84, v84, v78
	v_cndmask_b32_e64 v79, 0, v79, s[14:15]
	v_exp_f32_e32 v67, v67
	v_add_f32_e32 v84, v84, v79
	v_cndmask_b32_e64 v72, 0, v72, s[8:9]
	v_add_f32_e32 v84, v84, v72
	v_cndmask_b32_e64 v73, 0, v73, s[10:11]
	v_add_f32_e32 v84, v84, v73
	v_cndmask_b32_e32 v66, 0, v66, vcc
	v_add_f32_e32 v84, v84, v66
	v_cndmask_b32_e64 v67, 0, v67, s[6:7]
	v_add_f32_e32 v84, v84, v67
	ds_bpermute_b32 v74, v74, v84
	v_cmp_gt_u32_e32 vcc, 16, v1
	s_waitcnt lgkmcnt(0)
	s_barrier
	v_add_f32_e32 v91, v84, v74
	ds_bpermute_b32 v92, v75, v91
	s_and_saveexec_b64 s[4:5], vcc
	s_cbranch_execz .LBB727_15
; %bb.14:
	s_waitcnt lgkmcnt(0)
	v_add_f32_e32 v74, v91, v92
	v_lshlrev_b32_e32 v75, 2, v89
	ds_write2st64_b32 v75, v90, v74 offset1:1
.LBB727_15:
	s_or_b64 exec, exec, s[4:5]
	v_and_b32_e32 v1, 15, v0
	v_lshlrev_b32_e32 v89, 2, v1
	s_load_dword s6, s[0:1], 0x94
	s_waitcnt lgkmcnt(0)
	s_barrier
	ds_read2_b32 v[74:75], v89 offset1:16
	ds_read2_b32 v[84:85], v89 offset0:32 offset1:48
	s_movk_i32 s8, 0x7fff
	s_mov_b32 s9, 0x7060302
	s_lshl_b32 s7, s33, 2
	s_waitcnt lgkmcnt(1)
	v_max3_f32 v86, v74, s42, v75
	s_waitcnt lgkmcnt(0)
	v_max3_f32 v88, v86, v84, v85
	v_sub_f32_e32 v74, v74, v88
	v_mul_f32_e32 v74, 0x3fb8aa3b, v74
	v_exp_f32_e32 v90, v74
	v_sub_f32_e32 v74, v75, v88
	v_mul_f32_e32 v74, 0x3fb8aa3b, v74
	ds_read2_b32 v[86:87], v89 offset0:64 offset1:80
	v_exp_f32_e32 v91, v74
	v_sub_f32_e32 v74, v84, v88
	v_mul_f32_e32 v74, 0x3fb8aa3b, v74
	v_exp_f32_e32 v84, v74
	ds_read2_b32 v[74:75], v89 offset0:96 offset1:112
	v_sub_f32_e32 v85, v85, v88
	v_mul_f32_e32 v85, 0x3fb8aa3b, v85
	v_exp_f32_e32 v85, v85
	s_waitcnt lgkmcnt(1)
	v_fma_f32 v89, v90, v86, 0
	v_fmac_f32_e32 v89, v91, v87
	s_waitcnt lgkmcnt(0)
	v_fmac_f32_e32 v89, v84, v74
	v_fmac_f32_e32 v89, v85, v75
	v_add_f32_e32 v74, 0x358637bd, v89
	v_div_scale_f32 v75, s[4:5], v74, v74, 1.0
	v_rcp_f32_e32 v86, v75
	s_barrier
	v_fma_f32 v87, -v75, v86, 1.0
	v_fmac_f32_e32 v86, v87, v86
	v_div_scale_f32 v87, vcc, 1.0, v74, 1.0
	v_mul_f32_e32 v92, v87, v86
	v_fma_f32 v93, -v75, v92, v87
	v_fmac_f32_e32 v92, v93, v86
	v_fma_f32 v75, -v75, v92, v87
	v_div_fmas_f32 v75, v75, v86, v92
	v_lshrrev_b32_e32 v86, 6, v0
	v_cmp_eq_u32_e32 vcc, 1, v86
	v_div_fixup_f32 v74, v75, v74, 1.0
	s_nop 0
	v_cndmask_b32_e32 v75, v90, v91, vcc
	v_cmp_eq_u32_e32 vcc, 2, v86
	s_nop 1
	v_cndmask_b32_e32 v75, v75, v84, vcc
	v_cmp_eq_u32_e32 vcc, 3, v86
	s_nop 1
	v_cndmask_b32_e32 v75, v75, v85, vcc
	v_mul_f32_e32 v74, v75, v74
	v_pk_mul_f32 v[68:69], v[74:75], v[68:69] op_sel_hi:[0,1]
	v_pk_mul_f32 v[80:81], v[74:75], v[80:81] op_sel_hi:[0,1]
	v_bfe_u32 v75, v69, 16, 1
	v_bfe_u32 v84, v68, 16, 1
	v_add3_u32 v68, v68, v84, s8
	v_add3_u32 v69, v69, v75, s8
	v_perm_b32 v84, v69, v68, s9
	v_bfe_u32 v68, v81, 16, 1
	v_bfe_u32 v69, v80, 16, 1
	v_add3_u32 v69, v80, v69, s8
	v_add3_u32 v68, v81, v68, s8
	v_bfe_u32 v81, v0, 4, 2
	v_lshlrev_b32_e32 v75, 11, v86
	v_perm_b32 v85, v68, v69, s9
	v_lshlrev_b32_e32 v69, 3, v81
	v_lshlrev_b32_e32 v68, 5, v1
	v_pk_mul_f32 v[70:71], v[74:75], v[70:71] op_sel_hi:[0,1]
	v_or3_b32 v80, v75, v68, v69
	v_pk_mul_f32 v[82:83], v[74:75], v[82:83] op_sel_hi:[0,1]
	v_bfe_u32 v69, v71, 16, 1
	v_bfe_u32 v75, v70, 16, 1
	v_add3_u32 v70, v70, v75, s8
	v_add3_u32 v69, v71, v69, s8
	v_perm_b32 v70, v69, v70, s9
	v_bfe_u32 v69, v83, 16, 1
	v_bfe_u32 v71, v82, 16, 1
	v_add3_u32 v71, v82, v71, s8
	v_add3_u32 v69, v83, v69, s8
	v_perm_b32 v71, v69, v71, s9
	v_pk_mul_f32 v[76:77], v[74:75], v[76:77] op_sel_hi:[0,1]
	ds_write2st64_b64 v80, v[84:85], v[70:71] offset1:1
	v_pk_mul_f32 v[70:71], v[74:75], v[78:79] op_sel_hi:[0,1]
	v_bfe_u32 v69, v77, 16, 1
	v_bfe_u32 v75, v76, 16, 1
	v_add3_u32 v75, v76, v75, s8
	v_add3_u32 v69, v77, v69, s8
	v_perm_b32 v76, v69, v75, s9
	v_bfe_u32 v69, v71, 16, 1
	v_bfe_u32 v75, v70, 16, 1
	v_add3_u32 v70, v70, v75, s8
	v_add3_u32 v69, v71, v69, s8
	v_perm_b32 v77, v69, v70, s9
	v_pk_mul_f32 v[70:71], v[74:75], v[72:73] op_sel_hi:[0,1]
	v_bfe_u32 v69, v71, 16, 1
	v_bfe_u32 v72, v70, 16, 1
	v_pk_mul_f32 v[66:67], v[74:75], v[66:67] op_sel_hi:[0,1]
	v_add3_u32 v70, v70, v72, s8
	v_add3_u32 v69, v71, v69, s8
	v_perm_b32 v70, v69, v70, s9
	v_bfe_u32 v69, v67, 16, 1
	v_bfe_u32 v71, v66, 16, 1
	v_add3_u32 v66, v66, v71, s8
	v_add3_u32 v67, v67, v69, s8
	v_perm_b32 v71, v67, v66, s9
	v_cmp_gt_u32_e32 vcc, 4, v0
	ds_write2st64_b64 v80, v[76:77], v[70:71] offset0:2 offset1:3
	s_and_saveexec_b64 s[4:5], vcc
	s_cbranch_execz .LBB727_17
; %bb.16:
	v_or_b32_e32 v66, s29, v0
	v_mov_b32_e32 v67, 0
	v_mov_b32_e32 v69, s7
	v_mad_u64_u32 v[70:71], s[10:11], s2, v69, v[66:67]
	v_mov_b32_e32 v66, s28
	s_load_dwordx4 s[12:15], s[0:1], 0x58
	s_mul_i32 s3, s3, s7
	v_mad_u64_u32 v[66:67], s[10:11], v70, s6, v[66:67]
	v_add_u32_e32 v69, s3, v71
	v_mov_b32_e32 v70, v67
	v_mad_u64_u32 v[70:71], s[10:11], v69, s6, v[70:71]
	v_mov_b32_e32 v67, v70
	v_lshlrev_b64 v[66:67], 2, v[66:67]
	s_waitcnt lgkmcnt(0)
	v_lshl_add_u64 v[70:71], s[14:15], 0, v[66:67]
	v_lshl_add_u64 v[66:67], s[12:13], 0, v[66:67]
	global_store_dword v[70:71], v88, off
	global_store_dword v[66:67], v89, off
.LBB727_17:
	s_or_b64 exec, exec, s[4:5]
	v_lshl_or_b32 v1, v81, 9, v68
	s_waitcnt lgkmcnt(0)
	s_barrier
	ds_read_b128 v[70:73], v1
	ds_read_b128 v[66:69], v1 offset:16
	s_waitcnt vmcnt(15) lgkmcnt(1)
	v_mfma_f32_16x16x16_bf16 v[74:77], v[30:31], v[70:71], 0
	s_mov_b32 s3, 0
	v_mfma_f32_16x16x16_bf16 v[30:33], v[32:33], v[72:73], v[74:77]
	s_waitcnt vmcnt(14) lgkmcnt(0)
	v_mfma_f32_16x16x16_bf16 v[30:33], v[26:27], v[66:67], v[30:33]
	v_mfma_f32_16x16x16_bf16 v[26:29], v[28:29], v[68:69], v[30:33]
	s_nop 5
	ds_read_b128 v[30:33], v1 offset:2048
	ds_read_b128 v[74:77], v1 offset:2064
	s_waitcnt vmcnt(13) lgkmcnt(1)
	v_mfma_f32_16x16x16_bf16 v[26:29], v[22:23], v[30:31], v[26:29]
	v_mfma_f32_16x16x16_bf16 v[22:25], v[24:25], v[32:33], v[26:29]
	s_waitcnt vmcnt(12) lgkmcnt(0)
	v_mfma_f32_16x16x16_bf16 v[22:25], v[18:19], v[74:75], v[22:25]
	v_mfma_f32_16x16x16_bf16 v[18:21], v[20:21], v[76:77], v[22:25]
	s_nop 5
	ds_read_b128 v[22:25], v1 offset:4096
	ds_read_b128 v[26:29], v1 offset:4112
	s_waitcnt vmcnt(11) lgkmcnt(1)
	v_mfma_f32_16x16x16_bf16 v[18:21], v[14:15], v[22:23], v[18:21]
	v_mfma_f32_16x16x16_bf16 v[14:17], v[16:17], v[24:25], v[18:21]
	s_waitcnt vmcnt(10) lgkmcnt(0)
	v_mfma_f32_16x16x16_bf16 v[14:17], v[10:11], v[26:27], v[14:17]
	v_mfma_f32_16x16x16_bf16 v[10:13], v[12:13], v[28:29], v[14:17]
	s_nop 5
	ds_read_b128 v[14:17], v1 offset:6144
	ds_read_b128 v[18:21], v1 offset:6160
	s_waitcnt lgkmcnt(0)
	s_barrier
	s_waitcnt vmcnt(9)
	v_mfma_f32_16x16x16_bf16 v[10:13], v[6:7], v[14:15], v[10:13]
	v_mfma_f32_16x16x16_bf16 v[6:9], v[8:9], v[16:17], v[10:13]
	s_waitcnt vmcnt(8)
	v_mfma_f32_16x16x16_bf16 v[6:9], v[2:3], v[18:19], v[6:9]
	v_mfma_f32_16x16x16_bf16 v[2:5], v[4:5], v[20:21], v[6:9]
	;; [unrolled: 3-line block ×3, first 2 shown]
	s_nop 3
	v_bfe_u32 v1, v3, 16, 1
	v_bfe_u32 v10, v2, 16, 1
	v_add3_u32 v2, v2, v10, s8
	s_waitcnt vmcnt(6)
	v_mfma_f32_16x16x16_bf16 v[6:9], v[38:39], v[66:67], v[6:9]
	v_add3_u32 v1, v3, v1, s8
	v_perm_b32 v10, v1, v2, s9
	v_bfe_u32 v1, v5, 16, 1
	v_mfma_f32_16x16x16_bf16 v[6:9], v[40:41], v[68:69], v[6:9]
	v_bfe_u32 v2, v4, 16, 1
	v_add3_u32 v2, v4, v2, s8
	v_add3_u32 v1, v5, v1, s8
	s_waitcnt vmcnt(5)
	v_mfma_f32_16x16x16_bf16 v[6:9], v[42:43], v[30:31], v[6:9]
	v_perm_b32 v11, v1, v2, s9
	v_mfma_f32_16x16x16_bf16 v[6:9], v[44:45], v[32:33], v[6:9]
	s_waitcnt vmcnt(4)
	v_mfma_f32_16x16x16_bf16 v[6:9], v[34:35], v[74:75], v[6:9]
	v_mfma_f32_16x16x16_bf16 v[6:9], v[36:37], v[76:77], v[6:9]
	s_waitcnt vmcnt(3)
	v_mfma_f32_16x16x16_bf16 v[6:9], v[58:59], v[22:23], v[6:9]
	;; [unrolled: 3-line block ×5, first 2 shown]
	v_mfma_f32_16x16x16_bf16 v[2:5], v[52:53], v[20:21], v[6:9]
	s_nop 6
	v_bfe_u32 v1, v3, 16, 1
	v_bfe_u32 v6, v2, 16, 1
	v_add3_u32 v2, v2, v6, s8
	v_add3_u32 v1, v3, v1, s8
	v_perm_b32 v2, v1, v2, s9
	v_bfe_u32 v1, v5, 16, 1
	v_bfe_u32 v3, v4, 16, 1
	v_add3_u32 v3, v4, v3, s8
	v_add3_u32 v1, v5, v1, s8
	v_perm_b32 v3, v1, v3, s9
	ds_write2st64_b64 v80, v[10:11], v[2:3] offset1:1
	s_waitcnt lgkmcnt(0)
	s_barrier
	s_and_saveexec_b64 s[4:5], s[30:31]
	s_cbranch_execz .LBB727_19
; %bb.18:
	v_and_b32_e32 v2, 15, v0
	v_lshlrev_b32_e32 v2, 6, v2
	v_lshlrev_b32_e32 v1, 4, v0
	v_lshl_or_b32 v0, v0, 10, v2
	scratch_load_dword v2, off, off offset:4 ; 4-byte Folded Reload
	scratch_load_dword v4, off, off         ; 4-byte Folded Reload
	s_load_dwordx2 s[0:1], s[0:1], 0x68
	s_lshl_b32 s6, s6, 7
	s_mul_i32 s2, s7, s2
	s_mul_hi_u32 s5, s2, s6
	s_mul_i32 s4, s2, s6
	s_lshl_b64 s[4:5], s[4:5], 1
	v_and_b32_e32 v1, 16, v1
	v_and_b32_e32 v0, 0x1a00, v0
	s_waitcnt lgkmcnt(0)
	s_add_u32 s4, s0, s4
	s_addc_u32 s5, s1, s5
	s_lshl_b32 s2, s28, 7
	s_lshl_b64 s[0:1], s[2:3], 1
	s_add_u32 s0, s4, s0
	s_addc_u32 s1, s5, s1
	s_waitcnt vmcnt(1)
	v_or3_b32 v0, v0, v2, v1
	ds_read_b128 v[0:3], v0
	s_waitcnt vmcnt(0)
	v_mad_u64_u32 v[4:5], s[2:3], s6, v4, 0
	v_lshl_add_u64 v[4:5], v[4:5], 1, s[0:1]
	v_lshl_add_u64 v[4:5], v[94:95], 1, v[4:5]
	s_waitcnt lgkmcnt(0)
	global_store_dwordx4 v[4:5], v[0:3], off
.LBB727_19:
	s_endpgm
	.section	.rodata,"a",@progbits
	.p2align	6, 0x0
	.amdhsa_kernel _Z39paged_attention_ll4mi_QKV_mfma16_kernelI14__hip_bfloat16S0_LN4vllm18Fp8KVCacheDataTypeE0EhLi32ELi128ELi256ELb0ELi4EEvPKT_PKT0_S8_ifPKiSA_SA_iPKfiiiPfSD_PS3_PT2_iSC_SC_
		.amdhsa_group_segment_fixed_size 8192
		.amdhsa_private_segment_fixed_size 12
		.amdhsa_kernarg_size 400
		.amdhsa_user_sgpr_count 2
		.amdhsa_user_sgpr_dispatch_ptr 0
		.amdhsa_user_sgpr_queue_ptr 0
		.amdhsa_user_sgpr_kernarg_segment_ptr 1
		.amdhsa_user_sgpr_dispatch_id 0
		.amdhsa_user_sgpr_kernarg_preload_length 0
		.amdhsa_user_sgpr_kernarg_preload_offset 0
		.amdhsa_user_sgpr_private_segment_size 0
		.amdhsa_uses_dynamic_stack 0
		.amdhsa_enable_private_segment 1
		.amdhsa_system_sgpr_workgroup_id_x 1
		.amdhsa_system_sgpr_workgroup_id_y 1
		.amdhsa_system_sgpr_workgroup_id_z 1
		.amdhsa_system_sgpr_workgroup_info 0
		.amdhsa_system_vgpr_workitem_id 0
		.amdhsa_next_free_vgpr 96
		.amdhsa_next_free_sgpr 43
		.amdhsa_accum_offset 96
		.amdhsa_reserve_vcc 1
		.amdhsa_float_round_mode_32 0
		.amdhsa_float_round_mode_16_64 0
		.amdhsa_float_denorm_mode_32 3
		.amdhsa_float_denorm_mode_16_64 3
		.amdhsa_dx10_clamp 1
		.amdhsa_ieee_mode 1
		.amdhsa_fp16_overflow 0
		.amdhsa_tg_split 0
		.amdhsa_exception_fp_ieee_invalid_op 0
		.amdhsa_exception_fp_denorm_src 0
		.amdhsa_exception_fp_ieee_div_zero 0
		.amdhsa_exception_fp_ieee_overflow 0
		.amdhsa_exception_fp_ieee_underflow 0
		.amdhsa_exception_fp_ieee_inexact 0
		.amdhsa_exception_int_div_zero 0
	.end_amdhsa_kernel
	.section	.text._Z39paged_attention_ll4mi_QKV_mfma16_kernelI14__hip_bfloat16S0_LN4vllm18Fp8KVCacheDataTypeE0EhLi32ELi128ELi256ELb0ELi4EEvPKT_PKT0_S8_ifPKiSA_SA_iPKfiiiPfSD_PS3_PT2_iSC_SC_,"axG",@progbits,_Z39paged_attention_ll4mi_QKV_mfma16_kernelI14__hip_bfloat16S0_LN4vllm18Fp8KVCacheDataTypeE0EhLi32ELi128ELi256ELb0ELi4EEvPKT_PKT0_S8_ifPKiSA_SA_iPKfiiiPfSD_PS3_PT2_iSC_SC_,comdat
.Lfunc_end727:
	.size	_Z39paged_attention_ll4mi_QKV_mfma16_kernelI14__hip_bfloat16S0_LN4vllm18Fp8KVCacheDataTypeE0EhLi32ELi128ELi256ELb0ELi4EEvPKT_PKT0_S8_ifPKiSA_SA_iPKfiiiPfSD_PS3_PT2_iSC_SC_, .Lfunc_end727-_Z39paged_attention_ll4mi_QKV_mfma16_kernelI14__hip_bfloat16S0_LN4vllm18Fp8KVCacheDataTypeE0EhLi32ELi128ELi256ELb0ELi4EEvPKT_PKT0_S8_ifPKiSA_SA_iPKfiiiPfSD_PS3_PT2_iSC_SC_
                                        ; -- End function
	.section	.AMDGPU.csdata,"",@progbits
; Kernel info:
; codeLenInByte = 4848
; NumSgprs: 49
; NumVgprs: 96
; NumAgprs: 0
; TotalNumVgprs: 96
; ScratchSize: 12
; MemoryBound: 0
; FloatMode: 240
; IeeeMode: 1
; LDSByteSize: 8192 bytes/workgroup (compile time only)
; SGPRBlocks: 6
; VGPRBlocks: 11
; NumSGPRsForWavesPerEU: 49
; NumVGPRsForWavesPerEU: 96
; AccumOffset: 96
; Occupancy: 5
; WaveLimiterHint : 1
; COMPUTE_PGM_RSRC2:SCRATCH_EN: 1
; COMPUTE_PGM_RSRC2:USER_SGPR: 2
; COMPUTE_PGM_RSRC2:TRAP_HANDLER: 0
; COMPUTE_PGM_RSRC2:TGID_X_EN: 1
; COMPUTE_PGM_RSRC2:TGID_Y_EN: 1
; COMPUTE_PGM_RSRC2:TGID_Z_EN: 1
; COMPUTE_PGM_RSRC2:TIDIG_COMP_CNT: 0
; COMPUTE_PGM_RSRC3_GFX90A:ACCUM_OFFSET: 23
; COMPUTE_PGM_RSRC3_GFX90A:TG_SPLIT: 0
	.section	.text._Z38paged_attention_ll4mi_QKV_mfma4_kernelI14__hip_bfloat16S0_LN4vllm18Fp8KVCacheDataTypeE0ES0_Li32ELi128ELi256ELb1ELi1EEvPKT_PKT0_S8_ifPKiSA_SA_iPKfiiiPfSD_PS3_PT2_iSC_SC_,"axG",@progbits,_Z38paged_attention_ll4mi_QKV_mfma4_kernelI14__hip_bfloat16S0_LN4vllm18Fp8KVCacheDataTypeE0ES0_Li32ELi128ELi256ELb1ELi1EEvPKT_PKT0_S8_ifPKiSA_SA_iPKfiiiPfSD_PS3_PT2_iSC_SC_,comdat
	.protected	_Z38paged_attention_ll4mi_QKV_mfma4_kernelI14__hip_bfloat16S0_LN4vllm18Fp8KVCacheDataTypeE0ES0_Li32ELi128ELi256ELb1ELi1EEvPKT_PKT0_S8_ifPKiSA_SA_iPKfiiiPfSD_PS3_PT2_iSC_SC_ ; -- Begin function _Z38paged_attention_ll4mi_QKV_mfma4_kernelI14__hip_bfloat16S0_LN4vllm18Fp8KVCacheDataTypeE0ES0_Li32ELi128ELi256ELb1ELi1EEvPKT_PKT0_S8_ifPKiSA_SA_iPKfiiiPfSD_PS3_PT2_iSC_SC_
	.globl	_Z38paged_attention_ll4mi_QKV_mfma4_kernelI14__hip_bfloat16S0_LN4vllm18Fp8KVCacheDataTypeE0ES0_Li32ELi128ELi256ELb1ELi1EEvPKT_PKT0_S8_ifPKiSA_SA_iPKfiiiPfSD_PS3_PT2_iSC_SC_
	.p2align	8
	.type	_Z38paged_attention_ll4mi_QKV_mfma4_kernelI14__hip_bfloat16S0_LN4vllm18Fp8KVCacheDataTypeE0ES0_Li32ELi128ELi256ELb1ELi1EEvPKT_PKT0_S8_ifPKiSA_SA_iPKfiiiPfSD_PS3_PT2_iSC_SC_,@function
_Z38paged_attention_ll4mi_QKV_mfma4_kernelI14__hip_bfloat16S0_LN4vllm18Fp8KVCacheDataTypeE0ES0_Li32ELi128ELi256ELb1ELi1EEvPKT_PKT0_S8_ifPKiSA_SA_iPKfiiiPfSD_PS3_PT2_iSC_SC_: ; @_Z38paged_attention_ll4mi_QKV_mfma4_kernelI14__hip_bfloat16S0_LN4vllm18Fp8KVCacheDataTypeE0ES0_Li32ELi128ELi256ELb1ELi1EEvPKT_PKT0_S8_ifPKiSA_SA_iPKfiiiPfSD_PS3_PT2_iSC_SC_
; %bb.0:
	s_load_dwordx2 s[8:9], s[0:1], 0x30
	s_mov_b32 s16, s3
	s_mov_b64 s[6:7], 0
	s_waitcnt lgkmcnt(0)
	s_cmp_lg_u64 s[8:9], 0
	s_cselect_b64 s[10:11], -1, 0
	s_and_b64 vcc, exec, s[10:11]
	s_cbranch_vccz .LBB728_10
; %bb.1:
	s_add_i32 s12, s2, 1
	s_mov_b32 s13, 0
	s_lshl_b64 s[14:15], s[12:13], 2
	s_add_u32 s14, s8, s14
	s_mov_b32 s3, s13
	s_addc_u32 s15, s9, s15
	s_lshl_b64 s[12:13], s[2:3], 2
	s_add_u32 s12, s8, s12
	s_addc_u32 s13, s9, s13
	s_load_dword s5, s[14:15], 0x0
	s_load_dword s17, s[12:13], 0x0
	s_waitcnt lgkmcnt(0)
	s_sub_i32 s5, s5, s17
	s_cmp_eq_u32 s5, 1
	s_cselect_b64 s[12:13], -1, 0
	s_andn2_b64 vcc, exec, s[6:7]
	s_cbranch_vccnz .LBB728_3
.LBB728_2:
	s_mov_b32 s3, 0
	s_mov_b64 s[12:13], -1
.LBB728_3:
	s_andn2_b64 vcc, exec, s[12:13]
	s_cbranch_vccnz .LBB728_27
; %bb.4:
	s_load_dword s5, s[0:1], 0x9c
	s_load_dwordx2 s[6:7], s[0:1], 0x28
	s_add_u32 s20, s0, 0x90
	s_addc_u32 s21, s1, 0
	s_lshl_b64 s[24:25], s[2:3], 2
	s_waitcnt lgkmcnt(0)
	s_and_b32 s5, s5, 0xffff
	s_add_u32 s6, s6, s24
	s_addc_u32 s7, s7, s25
	s_load_dword s3, s[6:7], 0x0
	s_mul_i32 s5, s16, s5
	s_waitcnt lgkmcnt(0)
	s_cmp_ge_i32 s5, s3
	s_cbranch_scc1 .LBB728_27
; %bb.5:
	v_and_b32_e32 v1, 0xc0, v0
	v_add_u32_e32 v2, s5, v1
	v_lshrrev_b32_e32 v78, 6, v0
	v_cmp_le_i32_e64 s[6:7], s3, v2
                                        ; implicit-def: $sgpr26
                                        ; implicit-def: $sgpr17
	s_and_saveexec_b64 s[12:13], s[6:7]
	s_xor_b64 s[12:13], exec, s[12:13]
	s_cbranch_execz .LBB728_7
; %bb.6:
	v_mul_u32_u24_e32 v1, 20, v78
	v_or_b32_e32 v1, 0x1400, v1
	v_mov_b32_e32 v2, 0x1450
	v_mov_b32_e32 v3, 0xff7fffff
	v_mad_u32_u24 v2, v78, 20, v2
	ds_write2_b32 v1, v3, v3 offset1:1
	v_mov_b32_e32 v1, 0
	ds_write2_b32 v2, v1, v1 offset1:1
	v_mov_b32_e32 v2, 0x1408
	s_mov_b32 s17, 0xff7fffff
	s_mov_b32 s26, 0
	v_mad_u32_u24 v2, v78, 20, v2
	v_mov_b32_e32 v4, 0x1458
	v_mad_u32_u24 v4, v78, 20, v4
	ds_write2_b32 v2, v3, v3 offset1:1
	ds_write2_b32 v4, v1, v1 offset1:1
                                        ; implicit-def: $vgpr2
.LBB728_7:
	s_or_saveexec_b64 s[22:23], s[12:13]
	s_load_dwordx2 s[18:19], s[0:1], 0x68
	s_load_dwordx4 s[12:15], s[0:1], 0x58
	s_load_dword s33, s[20:21], 0x4
	v_and_b32_e32 v1, 63, v0
	v_and_b32_e32 v79, 3, v0
	v_mov_b32_e32 v69, s26
	v_mov_b32_e32 v72, s17
	;; [unrolled: 1-line block ×5, first 2 shown]
                                        ; implicit-def: $vgpr3
                                        ; implicit-def: $vgpr7
                                        ; implicit-def: $vgpr11
                                        ; implicit-def: $vgpr15
                                        ; implicit-def: $vgpr47
                                        ; implicit-def: $vgpr35
                                        ; implicit-def: $vgpr39
                                        ; implicit-def: $vgpr43
                                        ; implicit-def: $vgpr27
                                        ; implicit-def: $vgpr19
                                        ; implicit-def: $vgpr23
                                        ; implicit-def: $vgpr31
                                        ; implicit-def: $vgpr51
                                        ; implicit-def: $vgpr55
                                        ; implicit-def: $vgpr59
                                        ; implicit-def: $vgpr63
	s_xor_b64 exec, exec, s[22:23]
	s_cbranch_execz .LBB728_19
; %bb.8:
	s_add_i32 s28, s3, 31
	s_ashr_i32 s29, s28, 31
	s_lshr_b32 s29, s29, 27
	v_add_u32_e32 v80, s5, v0
	s_add_i32 s28, s28, s29
	v_ashrrev_i32_e32 v3, 31, v80
	s_load_dwordx2 s[26:27], s[0:1], 0x20
	s_load_dword s17, s[0:1], 0x38
	s_ashr_i32 s28, s28, 5
	v_lshrrev_b32_e32 v3, 27, v3
	s_add_i32 s30, s28, -1
	v_add_u32_e32 v3, v80, v3
	v_ashrrev_i32_e32 v3, 5, v3
	v_mov_b32_e32 v4, s30
	v_cmp_gt_i32_e32 vcc, s3, v80
	s_waitcnt lgkmcnt(0)
	s_mul_i32 s28, s2, s17
	s_mov_b32 s29, 0
	v_cndmask_b32_e32 v4, v4, v3, vcc
	v_ashrrev_i32_e32 v3, 31, v2
	v_lshrrev_b32_e32 v3, 27, v3
	v_add_u32_e32 v2, v2, v3
	s_lshl_b64 s[28:29], s[28:29], 2
	v_ashrrev_i32_e32 v8, 5, v2
	s_add_u32 s26, s26, s28
	v_min_i32_e32 v2, s30, v8
	s_addc_u32 s27, s27, s29
	v_ashrrev_i32_e32 v3, 31, v2
	v_lshl_add_u64 v[6:7], v[2:3], 2, s[26:27]
	v_add_u32_e32 v2, 1, v8
	v_ashrrev_i32_e32 v5, 31, v4
	v_min_i32_e32 v2, s30, v2
	v_lshl_add_u64 v[4:5], v[4:5], 2, s[26:27]
	v_ashrrev_i32_e32 v3, 31, v2
	v_lshl_add_u64 v[8:9], v[2:3], 2, s[26:27]
	global_load_dword v2, v[4:5], off
	global_load_dword v26, v[6:7], off
	global_load_dword v54, v[8:9], off
	s_load_dwordx2 s[28:29], s[0:1], 0x8
	s_andn2_b64 vcc, exec, s[10:11]
	s_cbranch_vccnz .LBB728_11
; %bb.9:
	s_add_u32 s8, s8, s24
	s_addc_u32 s9, s9, s25
	s_load_dword s5, s[8:9], 0x0
	s_branch .LBB728_12
.LBB728_10:
	s_mov_b64 s[12:13], 0
	s_branch .LBB728_2
.LBB728_11:
	s_mov_b32 s5, s2
.LBB728_12:
	s_load_dwordx2 s[24:25], s[0:1], 0x10
	s_load_dwordx4 s[8:11], s[0:1], 0x48
	v_cmp_eq_u32_e32 vcc, 0, v79
	s_mov_b32 s27, 0
	v_mov_b32_e32 v77, 0
	v_mov_b32_e32 v56, 0
	;; [unrolled: 1-line block ×5, first 2 shown]
	s_and_saveexec_b64 s[30:31], vcc
	s_cbranch_execz .LBB728_14
; %bb.13:
	s_load_dwordx2 s[34:35], s[0:1], 0x0
	s_waitcnt lgkmcnt(0)
	s_ashr_i32 s11, s8, 31
	s_mul_hi_u32 s17, s5, s8
	s_mul_i32 s11, s5, s11
	s_add_i32 s37, s17, s11
	s_mul_i32 s36, s5, s8
	s_lshl_b64 s[36:37], s[36:37], 1
	s_add_u32 s5, s34, s36
	s_addc_u32 s8, s35, s37
	s_lshl_b32 s26, s4, 7
	s_lshl_b64 s[34:35], s[26:27], 1
	s_add_u32 s34, s5, s34
	s_addc_u32 s35, s8, s35
	v_lshlrev_b32_e32 v3, 2, v1
	global_load_dwordx4 v[56:59], v3, s[34:35]
.LBB728_14:
	s_or_b64 exec, exec, s[30:31]
	s_waitcnt lgkmcnt(0)
	s_mul_i32 s26, s4, s10
	s_lshl_b64 s[10:11], s[26:27], 1
	s_add_u32 s28, s10, s28
	s_waitcnt vmcnt(2)
	v_mad_i64_i32 v[2:3], s[30:31], v2, s9, 0
	s_addc_u32 s29, s11, s29
	v_lshl_add_u64 v[32:33], v[2:3], 1, s[28:29]
	v_and_b32_e32 v2, 31, v0
	v_lshlrev_b32_e32 v76, 4, v2
	v_lshl_add_u64 v[28:29], v[32:33], 0, v[76:77]
	global_load_dwordx4 v[72:75], v[28:29], off
	global_load_dwordx4 v[68:71], v[28:29], off offset:512
	global_load_dwordx4 v[14:17], v[28:29], off offset:1024
	;; [unrolled: 1-line block ×7, first 2 shown]
	v_or_b32_e32 v28, 0x1000, v76
	v_mov_b32_e32 v29, v77
	v_lshl_add_u64 v[38:39], v[32:33], 0, v[28:29]
	v_or_b32_e32 v28, 0x1200, v76
	v_lshl_add_u64 v[40:41], v[32:33], 0, v[28:29]
	global_load_dwordx4 v[28:31], v[38:39], off
	global_load_dwordx4 v[34:37], v[40:41], off
	v_or_b32_e32 v38, 0x1400, v76
	v_mov_b32_e32 v39, v77
	v_lshl_add_u64 v[46:47], v[32:33], 0, v[38:39]
	v_or_b32_e32 v38, 0x1600, v76
	v_lshl_add_u64 v[48:49], v[32:33], 0, v[38:39]
	global_load_dwordx4 v[42:45], v[46:47], off
	global_load_dwordx4 v[38:41], v[48:49], off
	v_or_b32_e32 v46, 0x1800, v76
	v_mov_b32_e32 v47, v77
	v_lshl_add_u64 v[60:61], v[32:33], 0, v[46:47]
	v_or_b32_e32 v46, 0x1a00, v76
	v_or_b32_e32 v76, 0x1c00, v76
	v_mov_b32_e32 v27, 0x1e00
	v_lshl_add_u64 v[62:63], v[32:33], 0, v[46:47]
	v_lshl_add_u64 v[82:83], v[32:33], 0, v[76:77]
	v_lshl_or_b32 v76, v0, 4, v27
	global_load_dwordx4 v[50:53], v[60:61], off
	global_load_dwordx4 v[46:49], v[62:63], off
	v_lshl_add_u64 v[32:33], v[32:33], 0, v[76:77]
	global_load_dwordx4 v[64:67], v[82:83], off
	global_load_dwordx4 v[60:63], v[32:33], off
	v_mov_b32_e32 v76, 0
	s_and_saveexec_b64 s[28:29], vcc
	s_cbranch_execz .LBB728_16
; %bb.15:
	s_load_dwordx2 s[30:31], s[0:1], 0x40
	s_mov_b32 s5, s27
	s_lshl_b64 s[26:27], s[4:5], 2
	v_mov_b32_e32 v77, 1.0
	s_waitcnt lgkmcnt(0)
	s_add_u32 s26, s30, s26
	s_addc_u32 s27, s31, s27
	s_load_dword s5, s[26:27], 0x0
	s_waitcnt lgkmcnt(0)
	v_mov_b32_e32 v76, s5
.LBB728_16:
	s_or_b64 exec, exec, s[28:29]
	s_waitcnt vmcnt(15)
	v_mfma_f32_4x4x4_16b_bf16 a[0:3], v[56:57], v[72:73], 0 cbsz:4
	v_mul_hi_i32 v27, v26, s9
	v_ashrrev_i32_e32 v27, 31, v27
	v_mfma_f32_4x4x4_16b_bf16 a[0:3], v[58:59], v[74:75], a[0:3] cbsz:4
	s_add_u32 s10, s24, s10
	s_load_dword s0, s[0:1], 0x1c
	s_waitcnt vmcnt(14)
	v_mfma_f32_4x4x4_16b_bf16 a[0:3], v[56:57], v[68:69], a[0:3] cbsz:4 abid:1
	v_mov_b32_e32 v69, 0
	v_lshrrev_b32_e32 v68, 29, v27
	v_mfma_f32_4x4x4_16b_bf16 a[0:3], v[58:59], v[70:71], a[0:3] cbsz:4 abid:1
	s_addc_u32 s11, s25, s11
	v_mov_b32_e32 v71, v69
	s_waitcnt vmcnt(13)
	v_mfma_f32_4x4x4_16b_bf16 a[0:3], v[56:57], v[14:15], a[0:3] cbsz:4 abid:2
	v_mad_i64_i32 v[14:15], s[24:25], v26, s9, v[68:69]
	s_nop 0
	v_mfma_f32_4x4x4_16b_bf16 a[0:3], v[58:59], v[16:17], a[0:3] cbsz:4 abid:2
	v_lshlrev_b32_e32 v68, 6, v1
	v_or_b32_e32 v70, 0x1000, v68
	s_waitcnt vmcnt(12)
	v_mfma_f32_4x4x4_16b_bf16 a[0:3], v[56:57], v[10:11], a[0:3] cbsz:4 abid:3
	v_lshlrev_b64 v[10:11], 1, v[14:15]
	v_and_b32_e32 v10, -16, v10
	v_mfma_f32_4x4x4_16b_bf16 a[0:3], v[58:59], v[12:13], a[0:3] cbsz:4 abid:3
	v_lshl_add_u64 v[26:27], s[10:11], 0, v[10:11]
	v_lshl_add_u64 v[32:33], v[26:27], 0, v[68:69]
	s_waitcnt vmcnt(11)
	v_mfma_f32_4x4x4_16b_bf16 a[0:3], v[56:57], v[6:7], a[0:3] cbsz:4 abid:4
	v_lshl_add_u64 v[72:73], v[26:27], 0, v[70:71]
	v_cmp_eq_u32_e32 vcc, 1, v79
	v_mfma_f32_4x4x4_16b_bf16 a[0:3], v[58:59], v[8:9], a[0:3] cbsz:4 abid:4
	s_waitcnt vmcnt(10)
	s_nop 0
	v_mfma_f32_4x4x4_16b_bf16 a[0:3], v[56:57], v[2:3], a[0:3] cbsz:4 abid:5
	s_nop 1
	v_mfma_f32_4x4x4_16b_bf16 a[0:3], v[58:59], v[4:5], a[0:3] cbsz:4 abid:5
	global_load_dwordx4 v[2:5], v[32:33], off
	global_load_dwordx4 v[6:9], v[32:33], off offset:16
	s_waitcnt vmcnt(11)
	v_mfma_f32_4x4x4_16b_bf16 a[0:3], v[56:57], v[22:23], a[0:3] cbsz:4 abid:6
	global_load_dwordx4 v[10:13], v[32:33], off offset:32
	global_load_dwordx4 v[14:17], v[32:33], off offset:48
	v_mfma_f32_4x4x4_16b_bf16 a[0:3], v[58:59], v[24:25], a[0:3] cbsz:4 abid:6
	s_waitcnt vmcnt(12)
	s_nop 0
	v_mfma_f32_4x4x4_16b_bf16 a[0:3], v[56:57], v[18:19], a[0:3] cbsz:4 abid:7
	s_nop 1
	v_mfma_f32_4x4x4_16b_bf16 a[0:3], v[58:59], v[20:21], a[0:3] cbsz:4 abid:7
	s_waitcnt vmcnt(11)
	s_nop 0
	v_mfma_f32_4x4x4_16b_bf16 a[0:3], v[56:57], v[28:29], a[0:3] cbsz:4 abid:8
	global_load_dwordx4 v[26:29], v[72:73], off
	global_load_dwordx4 v[18:21], v[72:73], off offset:16
	v_mfma_f32_4x4x4_16b_bf16 a[0:3], v[58:59], v[30:31], a[0:3] cbsz:4 abid:8
	global_load_dwordx4 v[22:25], v[72:73], off offset:32
	global_load_dwordx4 v[30:33], v[72:73], off offset:48
	s_waitcnt vmcnt(14)
	v_mfma_f32_4x4x4_16b_bf16 a[0:3], v[56:57], v[34:35], a[0:3] cbsz:4 abid:9
	v_mul_hi_i32 v34, v54, s9
	v_ashrrev_i32_e32 v34, 31, v34
	v_mfma_f32_4x4x4_16b_bf16 a[0:3], v[58:59], v[36:37], a[0:3] cbsz:4 abid:9
	v_lshrrev_b32_e32 v34, 29, v34
	v_mov_b32_e32 v35, v69
	s_waitcnt vmcnt(13)
	v_mfma_f32_4x4x4_16b_bf16 a[0:3], v[56:57], v[42:43], a[0:3] cbsz:4 abid:10
	v_mad_i64_i32 v[34:35], s[8:9], v54, s9, v[34:35]
	s_nop 0
	v_mfma_f32_4x4x4_16b_bf16 a[0:3], v[58:59], v[44:45], a[0:3] cbsz:4 abid:10
	v_lshlrev_b64 v[34:35], 1, v[34:35]
	v_and_b32_e32 v34, -16, v34
	s_waitcnt vmcnt(12)
	v_mfma_f32_4x4x4_16b_bf16 a[0:3], v[56:57], v[38:39], a[0:3] cbsz:4 abid:11
	v_mov_b32_e32 v73, 0xff7fffff
	s_nop 0
	v_mfma_f32_4x4x4_16b_bf16 a[0:3], v[58:59], v[40:41], a[0:3] cbsz:4 abid:11
	s_waitcnt vmcnt(11)
	s_nop 0
	v_mfma_f32_4x4x4_16b_bf16 a[0:3], v[56:57], v[50:51], a[0:3] cbsz:4 abid:12
	v_lshl_add_u64 v[50:51], s[10:11], 0, v[34:35]
	s_nop 0
	v_mfma_f32_4x4x4_16b_bf16 a[0:3], v[58:59], v[52:53], a[0:3] cbsz:4 abid:12
	v_lshl_add_u64 v[52:53], v[50:51], 0, v[68:69]
	s_waitcnt vmcnt(10)
	v_mfma_f32_4x4x4_16b_bf16 a[0:3], v[56:57], v[46:47], a[0:3] cbsz:4 abid:13
	s_nop 1
	v_mfma_f32_4x4x4_16b_bf16 a[0:3], v[58:59], v[48:49], a[0:3] cbsz:4 abid:13
	global_load_dwordx4 v[46:49], v[52:53], off
	global_load_dwordx4 v[34:37], v[52:53], off offset:16
	s_waitcnt vmcnt(11)
	v_mfma_f32_4x4x4_16b_bf16 a[0:3], v[56:57], v[64:65], a[0:3] cbsz:4 abid:14
	global_load_dwordx4 v[38:41], v[52:53], off offset:32
	global_load_dwordx4 v[42:45], v[52:53], off offset:48
	v_mfma_f32_4x4x4_16b_bf16 a[0:3], v[58:59], v[66:67], a[0:3] cbsz:4 abid:14
	v_lshl_add_u64 v[66:67], v[50:51], 0, v[70:71]
	s_waitcnt vmcnt(12)
	v_mfma_f32_4x4x4_16b_bf16 a[0:3], v[56:57], v[60:61], a[0:3] cbsz:4 abid:15
	global_load_dwordx4 v[50:53], v[66:67], off
	global_load_dwordx4 v[54:57], v[66:67], off offset:16
	v_mfma_f32_4x4x4_16b_bf16 a[0:3], v[58:59], v[62:63], a[0:3] cbsz:4 abid:15
	s_nop 4
	v_accvgpr_read_b32 v59, a1
	v_accvgpr_read_b32 v58, a0
	s_waitcnt lgkmcnt(0)
	v_pk_mul_f32 v[68:69], s[0:1], v[58:59] op_sel_hi:[0,1]
	global_load_dwordx4 v[58:61], v[66:67], off offset:32
	global_load_dwordx4 v[62:65], v[66:67], off offset:48
	v_accvgpr_read_b32 v67, a3
	v_accvgpr_read_b32 v66, a2
	v_pk_mul_f32 v[66:67], s[0:1], v[66:67] op_sel_hi:[0,1]
	v_mfma_f32_4x4x1_16b_f32 a[0:3], v68, v77, 0
	v_cndmask_b32_e64 v68, 0, 1.0, vcc
	v_cmp_eq_u32_e32 vcc, 2, v79
	s_nop 0
	v_mfma_f32_4x4x1_16b_f32 a[0:3], v69, v68, a[0:3]
	v_cndmask_b32_e64 v68, 0, 1.0, vcc
	v_cmp_eq_u32_e32 vcc, 3, v79
	s_nop 0
	v_mfma_f32_4x4x1_16b_f32 a[0:3], v66, v68, a[0:3]
	v_cndmask_b32_e64 v66, 0, 1.0, vcc
	s_nop 1
	v_mfma_f32_4x4x1_16b_f32 a[0:3], v67, v66, a[0:3]
	v_and_b32_e32 v66, -4, v80
	v_subrev_u32_e32 v67, s3, v66
	v_add_u32_e32 v68, 1, v67
	v_cvt_f32_i32_e32 v68, v68
	v_add_u32_e32 v69, 2, v67
	v_cvt_f32_i32_e32 v69, v69
	v_accvgpr_read_b32 v70, a0
	v_fma_f32 v68, v76, v68, v70
	v_accvgpr_read_b32 v70, a1
	v_fma_f32 v69, v76, v69, v70
	v_add_u32_e32 v70, 3, v67
	v_cvt_f32_i32_e32 v70, v70
	v_add_u32_e32 v67, 4, v67
	v_max_f32_e32 v72, 0xff7fffff, v68
	v_cmp_gt_i32_e32 vcc, s3, v66
	v_cvt_f32_i32_e32 v67, v67
	v_accvgpr_read_b32 v71, a2
	v_cndmask_b32_e32 v72, v73, v72, vcc
	v_or_b32_e32 v73, 1, v66
	v_max_f32_e32 v74, v72, v69
	v_cmp_gt_i32_e64 s[0:1], s3, v73
	v_fma_f32 v70, v76, v70, v71
	v_or_b32_e32 v66, 2, v66
	v_cndmask_b32_e64 v72, v72, v74, s[0:1]
	v_accvgpr_read_b32 v71, a3
	v_max_f32_e32 v73, v72, v70
	v_cmp_gt_i32_e64 s[8:9], s3, v66
	v_fmac_f32_e32 v71, v76, v67
	v_lshlrev_b32_e32 v67, 2, v0
	v_cndmask_b32_e64 v66, v72, v73, s[8:9]
	v_or_b32_e32 v72, 3, v80
	v_max_f32_e32 v73, v66, v71
	v_cmp_gt_i32_e64 s[10:11], s3, v72
	v_and_or_b32 v67, v67, 48, v79
	s_nop 0
	v_cndmask_b32_e64 v66, v66, v73, s[10:11]
	;;#ASMSTART
	v_nop
 v_nop
 v_max_f32_dpp v66, v66, v66 row_ror:4
	;;#ASMEND
	v_lshlrev_b32_e32 v73, 2, v67
	;;#ASMSTART
	v_nop
 v_nop
 v_max_f32_dpp v66, v66, v66 row_ror:8
	;;#ASMEND
	ds_bpermute_b32 v66, v73, v66
	s_waitcnt lgkmcnt(0)
	;;#ASMSTART
	v_nop
 v_nop
 v_max_f32_dpp v66, v66, v66 row_ror:4
	;;#ASMEND
	s_nop 0
	;;#ASMSTART
	v_nop
 v_nop
 v_max_f32_dpp v72, v66, v66 row_ror:8
	;;#ASMEND
	s_nop 0
	v_sub_f32_e32 v66, v68, v72
	v_mul_f32_e32 v66, 0x3fb8aa3b, v66
	v_sub_f32_e32 v67, v69, v72
	v_exp_f32_e32 v66, v66
	v_mul_f32_e32 v67, 0x3fb8aa3b, v67
	v_sub_f32_e32 v69, v70, v72
	v_exp_f32_e32 v67, v67
	;; [unrolled: 3-line block ×3, first 2 shown]
	v_mul_f32_e32 v70, 0x3fb8aa3b, v70
	v_exp_f32_e32 v70, v70
	v_cndmask_b32_e32 v66, 0, v66, vcc
	v_add_f32_e32 v68, 0, v66
	v_cndmask_b32_e64 v67, 0, v67, s[0:1]
	v_add_f32_e32 v71, v68, v67
	v_cndmask_b32_e64 v68, 0, v69, s[8:9]
	;; [unrolled: 2-line block ×3, first 2 shown]
	v_add_f32_e32 v70, v71, v69
	;;#ASMSTART
	v_nop
 v_nop
 v_add_f32_dpp v70, v70, v70 row_ror:4
	;;#ASMEND
	v_cmp_gt_u32_e32 vcc, 4, v1
	;;#ASMSTART
	v_nop
 v_nop
 v_add_f32_dpp v70, v70, v70 row_ror:8
	;;#ASMEND
	ds_bpermute_b32 v70, v73, v70
	s_waitcnt lgkmcnt(0)
	;;#ASMSTART
	v_nop
 v_nop
 v_add_f32_dpp v70, v70, v70 row_ror:4
	;;#ASMEND
	s_nop 0
	;;#ASMSTART
	v_nop
 v_nop
 v_add_f32_dpp v70, v70, v70 row_ror:8
	;;#ASMEND
	s_and_saveexec_b64 s[0:1], vcc
	s_cbranch_execz .LBB728_18
; %bb.17:
	v_mul_u32_u24_e32 v71, 20, v78
	v_lshl_add_u32 v71, v79, 2, v71
	v_add_u32_e32 v71, 0x1400, v71
	ds_write2_b32 v71, v72, v70 offset1:20
.LBB728_18:
	s_or_b64 exec, exec, s[0:1]
.LBB728_19:
	s_or_b64 exec, exec, s[22:23]
	s_waitcnt lgkmcnt(0)
	s_barrier
	s_load_dword s0, s[20:21], 0x8
	v_lshlrev_b32_e32 v70, 2, v79
	v_add_u32_e32 v73, 0x1400, v70
	ds_read2_b32 v[70:71], v73 offset1:5
	ds_read2_b32 v[76:77], v73 offset0:10 offset1:15
	s_mul_i32 s1, s33, s2
	s_waitcnt lgkmcnt(0)
	s_mul_i32 s0, s1, s0
	s_mov_b32 s1, 0xff7fffff
	v_max3_f32 v74, v70, s1, v71
	v_max3_f32 v74, v74, v76, v77
	v_sub_f32_e32 v70, v70, v74
	ds_read2_b32 v[80:81], v73 offset0:20 offset1:25
	v_mul_f32_e32 v70, 0x3fb8aa3b, v70
	v_sub_f32_e32 v71, v71, v74
	v_exp_f32_e32 v75, v70
	v_mul_f32_e32 v71, 0x3fb8aa3b, v71
	ds_read2_b32 v[82:83], v73 offset0:30 offset1:35
	v_sub_f32_e32 v73, v76, v74
	v_exp_f32_e32 v71, v71
	v_mul_f32_e32 v73, 0x3fb8aa3b, v73
	v_sub_f32_e32 v76, v77, v74
	v_exp_f32_e32 v73, v73
	v_mul_f32_e32 v76, 0x3fb8aa3b, v76
	v_exp_f32_e32 v76, v76
	s_waitcnt lgkmcnt(1)
	v_fma_f32 v75, v75, v80, 0
	v_fmac_f32_e32 v75, v71, v81
	s_waitcnt lgkmcnt(0)
	v_fmac_f32_e32 v75, v73, v82
	v_mov_b32_e32 v70, 0
	v_fmac_f32_e32 v75, v76, v83
	s_mov_b32 s1, 0
	v_cmp_eq_u32_e32 vcc, 0, v79
	s_and_saveexec_b64 s[2:3], vcc
	s_cbranch_execz .LBB728_21
; %bb.20:
	s_lshl_b64 s[8:9], s[0:1], 2
	s_add_u32 s5, s12, s8
	s_mov_b32 s17, s1
	s_addc_u32 s12, s13, s9
	s_lshl_b64 s[10:11], s[16:17], 2
	s_add_u32 s5, s5, s10
	s_addc_u32 s12, s12, s11
	s_add_u32 s8, s14, s8
	s_addc_u32 s9, s15, s9
	;; [unrolled: 2-line block ×3, first 2 shown]
	s_mul_i32 s8, s33, s4
	s_mov_b32 s9, s1
	s_lshl_b64 s[8:9], s[8:9], 2
	s_add_u32 s10, s5, s8
	s_addc_u32 s11, s12, s9
	s_add_u32 s8, s13, s8
	s_addc_u32 s9, s14, s9
	global_store_dword v70, v74, s[8:9]
	global_store_dword v70, v75, s[10:11]
.LBB728_21:
	s_or_b64 exec, exec, s[2:3]
	v_lshlrev_b32_e32 v73, 3, v78
                                        ; implicit-def: $sgpr1
	s_and_saveexec_b64 s[2:3], s[6:7]
	s_xor_b64 s[2:3], exec, s[2:3]
	s_cbranch_execz .LBB728_23
; %bb.22:
	s_waitcnt vmcnt(15)
	v_mov_b32_e32 v2, 0
	v_mad_u32_u24 v4, v1, 40, v73
	s_mov_b32 s1, 0
	v_mov_b32_e32 v3, v2
	ds_write_b64 v4, v[2:3]
                                        ; implicit-def: $vgpr69
                                        ; implicit-def: $vgpr67
                                        ; implicit-def: $vgpr3
                                        ; implicit-def: $vgpr7
                                        ; implicit-def: $vgpr11
                                        ; implicit-def: $vgpr15
                                        ; implicit-def: $vgpr47
                                        ; implicit-def: $vgpr35
                                        ; implicit-def: $vgpr39
                                        ; implicit-def: $vgpr43
                                        ; implicit-def: $vgpr27
                                        ; implicit-def: $vgpr19
                                        ; implicit-def: $vgpr23
                                        ; implicit-def: $vgpr31
                                        ; implicit-def: $vgpr51
                                        ; implicit-def: $vgpr55
                                        ; implicit-def: $vgpr59
                                        ; implicit-def: $vgpr63
                                        ; implicit-def: $vgpr72
                                        ; implicit-def: $vgpr74
                                        ; implicit-def: $vgpr75
.LBB728_23:
	s_or_saveexec_b64 s[2:3], s[2:3]
	v_mov_b32_e32 v70, s1
	v_mov_b32_e32 v71, s1
	s_xor_b64 exec, exec, s[2:3]
	s_cbranch_execz .LBB728_25
; %bb.24:
	v_add_f32_e32 v70, 0x358637bd, v75
	v_div_scale_f32 v71, s[6:7], v70, v70, 1.0
	v_rcp_f32_e32 v75, v71
	v_sub_f32_e32 v72, v72, v74
	v_mul_f32_e32 v72, 0x3fb8aa3b, v72
	v_exp_f32_e32 v72, v72
	v_fma_f32 v74, -v71, v75, 1.0
	v_fmac_f32_e32 v75, v74, v75
	v_div_scale_f32 v74, vcc, 1.0, v70, 1.0
	v_mul_f32_e32 v76, v74, v75
	v_fma_f32 v77, -v71, v76, v74
	v_fmac_f32_e32 v76, v77, v75
	v_fma_f32 v71, -v71, v76, v74
	v_div_fmas_f32 v71, v71, v75, v76
	v_div_fixup_f32 v70, v71, v70, 1.0
	v_mul_f32_e32 v70, v72, v70
	v_pk_mul_f32 v[66:67], v[66:67], v[70:71] op_sel_hi:[1,0]
	v_pk_mul_f32 v[68:69], v[68:69], v[70:71] op_sel_hi:[1,0]
	v_bfe_u32 v70, v67, 16, 1
	v_bfe_u32 v71, v66, 16, 1
	s_movk_i32 s1, 0x7fff
	v_add3_u32 v66, v66, v71, s1
	v_add3_u32 v67, v67, v70, s1
	s_mov_b32 s5, 0x7060302
	v_perm_b32 v66, v67, v66, s5
	v_bfe_u32 v67, v69, 16, 1
	v_bfe_u32 v70, v68, 16, 1
	v_add3_u32 v68, v68, v70, s1
	v_add3_u32 v67, v69, v67, s1
	v_perm_b32 v67, v67, v68, s5
	s_waitcnt vmcnt(15)
	s_nop 0
	v_mfma_f32_4x4x4_16b_bf16 a[0:3], v[66:67], v[2:3], 0 cbsz:4
	s_nop 1
	v_mfma_f32_4x4x4_16b_bf16 a[0:3], v[66:67], v[4:5], a[0:3] cbsz:4 abid:1
	s_waitcnt vmcnt(11)
	v_mfma_f32_4x4x4_16b_bf16 a[4:7], v[66:67], v[26:27], 0 cbsz:4
	v_mfma_f32_4x4x4_16b_bf16 a[0:3], v[66:67], v[6:7], a[0:3] cbsz:4 abid:2
	s_nop 0
	v_mfma_f32_4x4x4_16b_bf16 a[4:7], v[66:67], v[28:29], a[4:7] cbsz:4 abid:1
	v_mfma_f32_4x4x4_16b_bf16 a[0:3], v[66:67], v[8:9], a[0:3] cbsz:4 abid:3
	s_waitcnt vmcnt(10)
	v_mfma_f32_4x4x4_16b_bf16 a[4:7], v[66:67], v[18:19], a[4:7] cbsz:4 abid:2
	v_mfma_f32_4x4x4_16b_bf16 a[0:3], v[66:67], v[10:11], a[0:3] cbsz:4 abid:4
	s_nop 1
	v_mfma_f32_4x4x4_16b_bf16 a[0:3], v[66:67], v[12:13], a[0:3] cbsz:4 abid:5
	s_nop 1
	;; [unrolled: 2-line block ×3, first 2 shown]
	v_mfma_f32_4x4x4_16b_bf16 a[0:3], v[66:67], v[16:17], a[0:3] cbsz:4 abid:7
	s_waitcnt vmcnt(7)
	s_nop 0
	v_mfma_f32_4x4x4_16b_bf16 a[0:3], v[66:67], v[46:47], a[0:3] cbsz:4 abid:8
	s_nop 1
	v_mfma_f32_4x4x4_16b_bf16 a[0:3], v[66:67], v[48:49], a[0:3] cbsz:4 abid:9
	s_waitcnt vmcnt(6)
	s_nop 0
	v_mfma_f32_4x4x4_16b_bf16 a[0:3], v[66:67], v[34:35], a[0:3] cbsz:4 abid:10
	s_nop 1
	;; [unrolled: 5-line block ×4, first 2 shown]
	v_mfma_f32_4x4x4_16b_bf16 a[0:3], v[66:67], v[44:45], a[0:3] cbsz:4 abid:15
	s_nop 4
	v_accvgpr_read_b32 v3, a2
	v_accvgpr_read_b32 v4, a3
	;; [unrolled: 1-line block ×4, first 2 shown]
	v_mfma_f32_4x4x4_16b_bf16 a[0:3], v[66:67], v[20:21], a[4:7] cbsz:4 abid:3
	v_bfe_u32 v6, v5, 16, 1
	v_bfe_u32 v7, v2, 16, 1
	v_mfma_f32_4x4x4_16b_bf16 a[0:3], v[66:67], v[22:23], a[0:3] cbsz:4 abid:4
	v_add3_u32 v2, v2, v7, s1
	v_add3_u32 v5, v5, v6, s1
	v_mfma_f32_4x4x4_16b_bf16 a[0:3], v[66:67], v[24:25], a[0:3] cbsz:4 abid:5
	v_perm_b32 v2, v5, v2, s5
	v_bfe_u32 v5, v4, 16, 1
	v_mfma_f32_4x4x4_16b_bf16 a[0:3], v[66:67], v[30:31], a[0:3] cbsz:4 abid:6
	v_bfe_u32 v6, v3, 16, 1
	v_add3_u32 v3, v3, v6, s1
	v_mfma_f32_4x4x4_16b_bf16 a[0:3], v[66:67], v[32:33], a[0:3] cbsz:4 abid:7
	v_add3_u32 v4, v4, v5, s1
	v_perm_b32 v3, v4, v3, s5
	s_waitcnt vmcnt(3)
	v_mfma_f32_4x4x4_16b_bf16 a[0:3], v[66:67], v[50:51], a[0:3] cbsz:4 abid:8
	v_mad_u32_u24 v4, v1, 40, v73
	ds_write_b64 v4, v[2:3]
	v_mfma_f32_4x4x4_16b_bf16 a[0:3], v[66:67], v[52:53], a[0:3] cbsz:4 abid:9
	s_waitcnt vmcnt(2)
	s_nop 0
	v_mfma_f32_4x4x4_16b_bf16 a[0:3], v[66:67], v[54:55], a[0:3] cbsz:4 abid:10
	s_nop 1
	v_mfma_f32_4x4x4_16b_bf16 a[0:3], v[66:67], v[56:57], a[0:3] cbsz:4 abid:11
	s_waitcnt vmcnt(1)
	s_nop 0
	v_mfma_f32_4x4x4_16b_bf16 a[0:3], v[66:67], v[58:59], a[0:3] cbsz:4 abid:12
	s_nop 1
	;; [unrolled: 5-line block ×3, first 2 shown]
	v_mfma_f32_4x4x4_16b_bf16 a[0:3], v[66:67], v[64:65], a[0:3] cbsz:4 abid:15
	s_nop 4
	v_accvgpr_read_b32 v4, a0
	v_accvgpr_read_b32 v5, a1
	;; [unrolled: 1-line block ×4, first 2 shown]
	v_bfe_u32 v6, v5, 16, 1
	v_bfe_u32 v7, v4, 16, 1
	v_add3_u32 v4, v4, v7, s1
	v_add3_u32 v5, v5, v6, s1
	v_bfe_u32 v6, v3, 16, 1
	v_bfe_u32 v7, v2, 16, 1
	v_add3_u32 v2, v2, v7, s1
	v_add3_u32 v3, v3, v6, s1
	v_perm_b32 v71, v3, v2, s5
	v_perm_b32 v70, v5, v4, s5
.LBB728_25:
	s_or_b64 exec, exec, s[2:3]
	s_waitcnt vmcnt(15)
	v_mad_u32_u24 v2, v1, 40, v73
	v_cmp_gt_u32_e32 vcc, 64, v0
	ds_write_b64 v2, v[70:71] offset:2560
	s_waitcnt lgkmcnt(0)
	s_barrier
	s_and_saveexec_b64 s[2:3], vcc
	s_cbranch_execz .LBB728_27
; %bb.26:
	v_mov_b32_e32 v2, 0xa00
	v_mad_u32_u24 v2, v1, 40, v2
	ds_read2_b64 v[2:5], v2 offset1:1
	s_waitcnt lgkmcnt(0)
	v_mov_b32_e32 v3, 0xa10
	s_waitcnt vmcnt(13)
	v_mul_u32_u24_e32 v10, 40, v1
	v_mad_u32_u24 v1, v1, 40, v3
	ds_read2_b64 v[6:9], v1 offset1:1
	v_lshlrev_b32_e32 v1, 16, v2
	v_add_f32_e32 v1, 0, v1
	v_and_b32_e32 v1, 0xffff0000, v1
	v_lshlrev_b32_e32 v2, 16, v4
	v_add_f32_e32 v1, v1, v2
	v_and_b32_e32 v1, 0xffff0000, v1
	s_waitcnt lgkmcnt(0)
	v_lshlrev_b32_e32 v2, 16, v6
	v_add_f32_e32 v1, v1, v2
	v_and_b32_e32 v1, 0xffff0000, v1
	v_lshlrev_b32_e32 v2, 16, v8
	v_add_f32_e32 v11, v1, v2
	ds_read2_b64 v[2:5], v10 offset1:1
	ds_read2_b64 v[6:9], v10 offset0:2 offset1:3
	s_mov_b32 s1, 0
	s_lshl_b32 s0, s0, 7
	s_lshl_b64 s[2:3], s[0:1], 1
	s_waitcnt lgkmcnt(1)
	v_lshlrev_b32_e32 v2, 16, v2
	v_add_f32_e32 v2, 0, v2
	s_add_u32 s2, s18, s2
	v_and_b32_e32 v2, 0xffff0000, v2
	v_lshlrev_b32_e32 v3, 16, v4
	s_addc_u32 s3, s19, s3
	s_lshl_b32 s0, s16, 7
	v_add_f32_e32 v2, v2, v3
	s_lshl_b64 s[0:1], s[0:1], 1
	v_and_b32_e32 v2, 0xffff0000, v2
	s_waitcnt lgkmcnt(0)
	v_lshlrev_b32_e32 v3, 16, v6
	s_add_u32 s0, s2, s0
	s_mul_i32 s2, s4, s33
	v_add_f32_e32 v2, v2, v3
	s_addc_u32 s1, s3, s1
	v_lshl_or_b32 v0, s2, 7, v0
	v_mov_b32_e32 v1, 0
	v_and_b32_e32 v2, 0xffff0000, v2
	v_lshlrev_b32_e32 v3, 16, v8
	v_lshl_add_u64 v[0:1], v[0:1], 1, s[0:1]
	v_add_f32_e32 v2, v2, v3
	global_store_short_d16_hi v[0:1], v2, off
	global_store_short_d16_hi v[0:1], v11, off offset:128
.LBB728_27:
	s_endpgm
	.section	.rodata,"a",@progbits
	.p2align	6, 0x0
	.amdhsa_kernel _Z38paged_attention_ll4mi_QKV_mfma4_kernelI14__hip_bfloat16S0_LN4vllm18Fp8KVCacheDataTypeE0ES0_Li32ELi128ELi256ELb1ELi1EEvPKT_PKT0_S8_ifPKiSA_SA_iPKfiiiPfSD_PS3_PT2_iSC_SC_
		.amdhsa_group_segment_fixed_size 5280
		.amdhsa_private_segment_fixed_size 0
		.amdhsa_kernarg_size 400
		.amdhsa_user_sgpr_count 2
		.amdhsa_user_sgpr_dispatch_ptr 0
		.amdhsa_user_sgpr_queue_ptr 0
		.amdhsa_user_sgpr_kernarg_segment_ptr 1
		.amdhsa_user_sgpr_dispatch_id 0
		.amdhsa_user_sgpr_kernarg_preload_length 0
		.amdhsa_user_sgpr_kernarg_preload_offset 0
		.amdhsa_user_sgpr_private_segment_size 0
		.amdhsa_uses_dynamic_stack 0
		.amdhsa_enable_private_segment 0
		.amdhsa_system_sgpr_workgroup_id_x 1
		.amdhsa_system_sgpr_workgroup_id_y 1
		.amdhsa_system_sgpr_workgroup_id_z 1
		.amdhsa_system_sgpr_workgroup_info 0
		.amdhsa_system_vgpr_workitem_id 0
		.amdhsa_next_free_vgpr 92
		.amdhsa_next_free_sgpr 38
		.amdhsa_accum_offset 84
		.amdhsa_reserve_vcc 1
		.amdhsa_float_round_mode_32 0
		.amdhsa_float_round_mode_16_64 0
		.amdhsa_float_denorm_mode_32 3
		.amdhsa_float_denorm_mode_16_64 3
		.amdhsa_dx10_clamp 1
		.amdhsa_ieee_mode 1
		.amdhsa_fp16_overflow 0
		.amdhsa_tg_split 0
		.amdhsa_exception_fp_ieee_invalid_op 0
		.amdhsa_exception_fp_denorm_src 0
		.amdhsa_exception_fp_ieee_div_zero 0
		.amdhsa_exception_fp_ieee_overflow 0
		.amdhsa_exception_fp_ieee_underflow 0
		.amdhsa_exception_fp_ieee_inexact 0
		.amdhsa_exception_int_div_zero 0
	.end_amdhsa_kernel
	.section	.text._Z38paged_attention_ll4mi_QKV_mfma4_kernelI14__hip_bfloat16S0_LN4vllm18Fp8KVCacheDataTypeE0ES0_Li32ELi128ELi256ELb1ELi1EEvPKT_PKT0_S8_ifPKiSA_SA_iPKfiiiPfSD_PS3_PT2_iSC_SC_,"axG",@progbits,_Z38paged_attention_ll4mi_QKV_mfma4_kernelI14__hip_bfloat16S0_LN4vllm18Fp8KVCacheDataTypeE0ES0_Li32ELi128ELi256ELb1ELi1EEvPKT_PKT0_S8_ifPKiSA_SA_iPKfiiiPfSD_PS3_PT2_iSC_SC_,comdat
.Lfunc_end728:
	.size	_Z38paged_attention_ll4mi_QKV_mfma4_kernelI14__hip_bfloat16S0_LN4vllm18Fp8KVCacheDataTypeE0ES0_Li32ELi128ELi256ELb1ELi1EEvPKT_PKT0_S8_ifPKiSA_SA_iPKfiiiPfSD_PS3_PT2_iSC_SC_, .Lfunc_end728-_Z38paged_attention_ll4mi_QKV_mfma4_kernelI14__hip_bfloat16S0_LN4vllm18Fp8KVCacheDataTypeE0ES0_Li32ELi128ELi256ELb1ELi1EEvPKT_PKT0_S8_ifPKiSA_SA_iPKfiiiPfSD_PS3_PT2_iSC_SC_
                                        ; -- End function
	.section	.AMDGPU.csdata,"",@progbits
; Kernel info:
; codeLenInByte = 4092
; NumSgprs: 44
; NumVgprs: 84
; NumAgprs: 8
; TotalNumVgprs: 92
; ScratchSize: 0
; MemoryBound: 0
; FloatMode: 240
; IeeeMode: 1
; LDSByteSize: 5280 bytes/workgroup (compile time only)
; SGPRBlocks: 5
; VGPRBlocks: 11
; NumSGPRsForWavesPerEU: 44
; NumVGPRsForWavesPerEU: 92
; AccumOffset: 84
; Occupancy: 5
; WaveLimiterHint : 1
; COMPUTE_PGM_RSRC2:SCRATCH_EN: 0
; COMPUTE_PGM_RSRC2:USER_SGPR: 2
; COMPUTE_PGM_RSRC2:TRAP_HANDLER: 0
; COMPUTE_PGM_RSRC2:TGID_X_EN: 1
; COMPUTE_PGM_RSRC2:TGID_Y_EN: 1
; COMPUTE_PGM_RSRC2:TGID_Z_EN: 1
; COMPUTE_PGM_RSRC2:TIDIG_COMP_CNT: 0
; COMPUTE_PGM_RSRC3_GFX90A:ACCUM_OFFSET: 20
; COMPUTE_PGM_RSRC3_GFX90A:TG_SPLIT: 0
	.section	.text._Z38paged_attention_ll4mi_QKV_mfma4_kernelI14__hip_bfloat16S0_LN4vllm18Fp8KVCacheDataTypeE0ES0_Li32ELi128ELi256ELb1ELi2EEvPKT_PKT0_S8_ifPKiSA_SA_iPKfiiiPfSD_PS3_PT2_iSC_SC_,"axG",@progbits,_Z38paged_attention_ll4mi_QKV_mfma4_kernelI14__hip_bfloat16S0_LN4vllm18Fp8KVCacheDataTypeE0ES0_Li32ELi128ELi256ELb1ELi2EEvPKT_PKT0_S8_ifPKiSA_SA_iPKfiiiPfSD_PS3_PT2_iSC_SC_,comdat
	.protected	_Z38paged_attention_ll4mi_QKV_mfma4_kernelI14__hip_bfloat16S0_LN4vllm18Fp8KVCacheDataTypeE0ES0_Li32ELi128ELi256ELb1ELi2EEvPKT_PKT0_S8_ifPKiSA_SA_iPKfiiiPfSD_PS3_PT2_iSC_SC_ ; -- Begin function _Z38paged_attention_ll4mi_QKV_mfma4_kernelI14__hip_bfloat16S0_LN4vllm18Fp8KVCacheDataTypeE0ES0_Li32ELi128ELi256ELb1ELi2EEvPKT_PKT0_S8_ifPKiSA_SA_iPKfiiiPfSD_PS3_PT2_iSC_SC_
	.globl	_Z38paged_attention_ll4mi_QKV_mfma4_kernelI14__hip_bfloat16S0_LN4vllm18Fp8KVCacheDataTypeE0ES0_Li32ELi128ELi256ELb1ELi2EEvPKT_PKT0_S8_ifPKiSA_SA_iPKfiiiPfSD_PS3_PT2_iSC_SC_
	.p2align	8
	.type	_Z38paged_attention_ll4mi_QKV_mfma4_kernelI14__hip_bfloat16S0_LN4vllm18Fp8KVCacheDataTypeE0ES0_Li32ELi128ELi256ELb1ELi2EEvPKT_PKT0_S8_ifPKiSA_SA_iPKfiiiPfSD_PS3_PT2_iSC_SC_,@function
_Z38paged_attention_ll4mi_QKV_mfma4_kernelI14__hip_bfloat16S0_LN4vllm18Fp8KVCacheDataTypeE0ES0_Li32ELi128ELi256ELb1ELi2EEvPKT_PKT0_S8_ifPKiSA_SA_iPKfiiiPfSD_PS3_PT2_iSC_SC_: ; @_Z38paged_attention_ll4mi_QKV_mfma4_kernelI14__hip_bfloat16S0_LN4vllm18Fp8KVCacheDataTypeE0ES0_Li32ELi128ELi256ELb1ELi2EEvPKT_PKT0_S8_ifPKiSA_SA_iPKfiiiPfSD_PS3_PT2_iSC_SC_
; %bb.0:
	s_load_dwordx2 s[8:9], s[0:1], 0x30
	s_mov_b32 s16, s3
	s_mov_b64 s[6:7], 0
	s_waitcnt lgkmcnt(0)
	s_cmp_lg_u64 s[8:9], 0
	s_cselect_b64 s[10:11], -1, 0
	s_and_b64 vcc, exec, s[10:11]
	s_cbranch_vccz .LBB729_10
; %bb.1:
	s_add_i32 s12, s2, 1
	s_mov_b32 s13, 0
	s_lshl_b64 s[14:15], s[12:13], 2
	s_add_u32 s14, s8, s14
	s_mov_b32 s3, s13
	s_addc_u32 s15, s9, s15
	s_lshl_b64 s[12:13], s[2:3], 2
	s_add_u32 s12, s8, s12
	s_addc_u32 s13, s9, s13
	s_load_dword s5, s[14:15], 0x0
	s_load_dword s17, s[12:13], 0x0
	s_waitcnt lgkmcnt(0)
	s_sub_i32 s5, s5, s17
	s_cmp_eq_u32 s5, 1
	s_cselect_b64 s[12:13], -1, 0
	s_andn2_b64 vcc, exec, s[6:7]
	s_cbranch_vccnz .LBB729_3
.LBB729_2:
	s_mov_b32 s3, 0
	s_mov_b64 s[12:13], -1
.LBB729_3:
	s_andn2_b64 vcc, exec, s[12:13]
	s_cbranch_vccnz .LBB729_27
; %bb.4:
	s_load_dword s5, s[0:1], 0x9c
	s_load_dwordx2 s[6:7], s[0:1], 0x28
	s_add_u32 s20, s0, 0x90
	s_addc_u32 s21, s1, 0
	s_lshl_b64 s[24:25], s[2:3], 2
	s_waitcnt lgkmcnt(0)
	s_and_b32 s5, s5, 0xffff
	s_add_u32 s6, s6, s24
	s_addc_u32 s7, s7, s25
	s_load_dword s3, s[6:7], 0x0
	s_mul_i32 s5, s16, s5
	s_waitcnt lgkmcnt(0)
	s_cmp_ge_i32 s5, s3
	s_cbranch_scc1 .LBB729_27
; %bb.5:
	v_and_b32_e32 v1, 0xc0, v0
	v_add_u32_e32 v2, s5, v1
	v_lshrrev_b32_e32 v78, 6, v0
	v_cmp_le_i32_e64 s[6:7], s3, v2
                                        ; implicit-def: $sgpr26
                                        ; implicit-def: $sgpr17
	s_and_saveexec_b64 s[12:13], s[6:7]
	s_xor_b64 s[12:13], exec, s[12:13]
	s_cbranch_execz .LBB729_7
; %bb.6:
	v_mul_u32_u24_e32 v1, 20, v78
	v_or_b32_e32 v1, 0x1400, v1
	v_mov_b32_e32 v2, 0x1450
	v_mov_b32_e32 v3, 0xff7fffff
	v_mad_u32_u24 v2, v78, 20, v2
	ds_write2_b32 v1, v3, v3 offset1:1
	v_mov_b32_e32 v1, 0
	ds_write2_b32 v2, v1, v1 offset1:1
	v_mov_b32_e32 v2, 0x1408
	s_mov_b32 s17, 0xff7fffff
	s_mov_b32 s26, 0
	v_mad_u32_u24 v2, v78, 20, v2
	v_mov_b32_e32 v4, 0x1458
	v_mad_u32_u24 v4, v78, 20, v4
	ds_write2_b32 v2, v3, v3 offset1:1
	ds_write2_b32 v4, v1, v1 offset1:1
                                        ; implicit-def: $vgpr2
.LBB729_7:
	s_or_saveexec_b64 s[22:23], s[12:13]
	s_load_dwordx2 s[18:19], s[0:1], 0x68
	s_load_dwordx4 s[12:15], s[0:1], 0x58
	s_load_dword s34, s[20:21], 0x4
	v_and_b32_e32 v1, 63, v0
	v_and_b32_e32 v79, 3, v0
	s_lshl_b32 s33, s4, 1
	v_mov_b32_e32 v69, s26
	v_mov_b32_e32 v72, s17
	;; [unrolled: 1-line block ×5, first 2 shown]
                                        ; implicit-def: $vgpr3
                                        ; implicit-def: $vgpr7
                                        ; implicit-def: $vgpr11
                                        ; implicit-def: $vgpr15
                                        ; implicit-def: $vgpr47
                                        ; implicit-def: $vgpr35
                                        ; implicit-def: $vgpr39
                                        ; implicit-def: $vgpr43
                                        ; implicit-def: $vgpr27
                                        ; implicit-def: $vgpr19
                                        ; implicit-def: $vgpr23
                                        ; implicit-def: $vgpr31
                                        ; implicit-def: $vgpr51
                                        ; implicit-def: $vgpr55
                                        ; implicit-def: $vgpr59
                                        ; implicit-def: $vgpr63
	s_xor_b64 exec, exec, s[22:23]
	s_cbranch_execz .LBB729_19
; %bb.8:
	s_add_i32 s28, s3, 31
	s_ashr_i32 s29, s28, 31
	s_lshr_b32 s29, s29, 27
	v_add_u32_e32 v80, s5, v0
	s_add_i32 s28, s28, s29
	v_ashrrev_i32_e32 v3, 31, v80
	s_load_dwordx2 s[26:27], s[0:1], 0x20
	s_load_dword s17, s[0:1], 0x38
	s_ashr_i32 s28, s28, 5
	v_lshrrev_b32_e32 v3, 27, v3
	s_add_i32 s30, s28, -1
	v_add_u32_e32 v3, v80, v3
	v_ashrrev_i32_e32 v3, 5, v3
	v_mov_b32_e32 v4, s30
	v_cmp_gt_i32_e32 vcc, s3, v80
	s_waitcnt lgkmcnt(0)
	s_mul_i32 s28, s2, s17
	s_mov_b32 s29, 0
	v_cndmask_b32_e32 v4, v4, v3, vcc
	v_ashrrev_i32_e32 v3, 31, v2
	v_lshrrev_b32_e32 v3, 27, v3
	v_add_u32_e32 v2, v2, v3
	s_lshl_b64 s[28:29], s[28:29], 2
	v_ashrrev_i32_e32 v6, 5, v2
	s_add_u32 s26, s26, s28
	v_min_i32_e32 v2, s30, v6
	s_addc_u32 s27, s27, s29
	v_ashrrev_i32_e32 v3, 31, v2
	v_lshl_add_u64 v[8:9], v[2:3], 2, s[26:27]
	v_add_u32_e32 v2, 1, v6
	v_ashrrev_i32_e32 v5, 31, v4
	v_min_i32_e32 v2, s30, v2
	v_lshl_add_u64 v[4:5], v[4:5], 2, s[26:27]
	v_ashrrev_i32_e32 v3, 31, v2
	v_lshl_add_u64 v[10:11], v[2:3], 2, s[26:27]
	global_load_dword v2, v[4:5], off
	global_load_dword v6, v[8:9], off
	;; [unrolled: 1-line block ×3, first 2 shown]
	s_load_dwordx2 s[26:27], s[0:1], 0x8
	s_andn2_b64 vcc, exec, s[10:11]
	s_cbranch_vccnz .LBB729_11
; %bb.9:
	s_add_u32 s8, s8, s24
	s_addc_u32 s9, s9, s25
	s_load_dword s5, s[8:9], 0x0
	s_branch .LBB729_12
.LBB729_10:
	s_mov_b64 s[12:13], 0
	s_branch .LBB729_2
.LBB729_11:
	s_mov_b32 s5, s2
.LBB729_12:
	s_load_dwordx2 s[24:25], s[0:1], 0x10
	s_load_dwordx4 s[8:11], s[0:1], 0x48
	v_cmp_gt_u32_e32 vcc, 2, v79
	s_mov_b32 s29, 0
	v_mov_b32_e32 v77, 0
	v_mov_b32_e32 v64, 0
	;; [unrolled: 1-line block ×5, first 2 shown]
	s_and_saveexec_b64 s[30:31], vcc
	s_cbranch_execz .LBB729_14
; %bb.13:
	s_load_dwordx2 s[36:37], s[0:1], 0x0
	s_waitcnt lgkmcnt(0)
	s_ashr_i32 s11, s8, 31
	s_mul_hi_u32 s17, s5, s8
	s_mul_i32 s11, s5, s11
	s_add_i32 s39, s17, s11
	s_mul_i32 s38, s5, s8
	s_lshl_b64 s[38:39], s[38:39], 1
	s_add_u32 s5, s36, s38
	s_addc_u32 s8, s37, s39
	s_lshl_b32 s28, s4, 8
	s_lshl_b64 s[36:37], s[28:29], 1
	v_lshlrev_b32_e32 v3, 2, v1
	s_add_u32 s36, s5, s36
	v_and_b32_e32 v3, 0xf0, v3
	s_addc_u32 s37, s8, s37
	v_lshl_or_b32 v3, v79, 8, v3
	global_load_dwordx4 v[64:67], v3, s[36:37]
.LBB729_14:
	s_or_b64 exec, exec, s[30:31]
	s_waitcnt lgkmcnt(0)
	s_mul_i32 s28, s4, s10
	s_lshl_b64 s[4:5], s[28:29], 1
	s_add_u32 s10, s4, s26
	s_waitcnt vmcnt(2)
	v_mad_i64_i32 v[2:3], s[30:31], v2, s9, 0
	s_addc_u32 s11, s5, s27
	v_lshl_add_u64 v[16:17], v[2:3], 1, s[10:11]
	v_and_b32_e32 v2, 31, v0
	v_lshlrev_b32_e32 v76, 4, v2
	v_lshl_add_u64 v[34:35], v[16:17], 0, v[76:77]
	global_load_dwordx4 v[72:75], v[34:35], off
	global_load_dwordx4 v[30:33], v[34:35], off offset:512
	global_load_dwordx4 v[26:29], v[34:35], off offset:1024
	global_load_dwordx4 v[12:15], v[34:35], off offset:1536
	global_load_dwordx4 v[2:5], v[34:35], off offset:2048
	global_load_dwordx4 v[8:11], v[34:35], off offset:2560
	global_load_dwordx4 v[22:25], v[34:35], off offset:3072
	global_load_dwordx4 v[18:21], v[34:35], off offset:3584
	v_or_b32_e32 v34, 0x1000, v76
	v_mov_b32_e32 v35, v77
	v_lshl_add_u64 v[42:43], v[16:17], 0, v[34:35]
	v_or_b32_e32 v34, 0x1200, v76
	v_lshl_add_u64 v[44:45], v[16:17], 0, v[34:35]
	global_load_dwordx4 v[38:41], v[42:43], off
	global_load_dwordx4 v[34:37], v[44:45], off
	v_or_b32_e32 v42, 0x1400, v76
	v_mov_b32_e32 v43, v77
	v_lshl_add_u64 v[50:51], v[16:17], 0, v[42:43]
	v_or_b32_e32 v42, 0x1600, v76
	v_lshl_add_u64 v[52:53], v[16:17], 0, v[42:43]
	global_load_dwordx4 v[46:49], v[50:51], off
	global_load_dwordx4 v[42:45], v[52:53], off
	v_or_b32_e32 v50, 0x1800, v76
	v_mov_b32_e32 v51, v77
	v_lshl_add_u64 v[58:59], v[16:17], 0, v[50:51]
	v_or_b32_e32 v50, 0x1a00, v76
	v_or_b32_e32 v76, 0x1c00, v76
	v_mov_b32_e32 v7, 0x1e00
	v_lshl_add_u64 v[60:61], v[16:17], 0, v[50:51]
	v_lshl_add_u64 v[82:83], v[16:17], 0, v[76:77]
	v_lshl_or_b32 v76, v0, 4, v7
	global_load_dwordx4 v[54:57], v[58:59], off
	global_load_dwordx4 v[50:53], v[60:61], off
	v_lshl_add_u64 v[16:17], v[16:17], 0, v[76:77]
	global_load_dwordx4 v[58:61], v[82:83], off
	global_load_dwordx4 v[68:71], v[16:17], off
	s_and_saveexec_b64 s[10:11], vcc
	s_cbranch_execz .LBB729_16
; %bb.15:
	s_load_dwordx2 s[26:27], s[0:1], 0x40
	v_or_b32_e32 v16, s33, v79
	v_mov_b32_e32 v17, 0
	s_waitcnt lgkmcnt(0)
	v_lshl_add_u64 v[16:17], v[16:17], 2, s[26:27]
	global_load_dword v77, v[16:17], off
.LBB729_16:
	s_or_b64 exec, exec, s[10:11]
	s_waitcnt vmcnt(15)
	v_mfma_f32_4x4x4_16b_bf16 a[0:3], v[64:65], v[72:73], 0 cbsz:4
	v_mul_hi_i32 v7, v6, s9
	v_ashrrev_i32_e32 v7, 31, v7
	v_mfma_f32_4x4x4_16b_bf16 a[0:3], v[66:67], v[74:75], a[0:3] cbsz:4
	v_mov_b32_e32 v73, 0
	v_lshrrev_b32_e32 v72, 29, v7
	s_waitcnt vmcnt(14)
	v_mfma_f32_4x4x4_16b_bf16 a[0:3], v[64:65], v[30:31], a[0:3] cbsz:4 abid:1
	v_mad_i64_i32 v[6:7], s[10:11], v6, s9, v[72:73]
	s_nop 0
	v_mfma_f32_4x4x4_16b_bf16 a[0:3], v[66:67], v[32:33], a[0:3] cbsz:4 abid:1
	s_add_u32 s4, s24, s4
	v_lshlrev_b64 v[6:7], 1, v[6:7]
	s_waitcnt vmcnt(13)
	v_mfma_f32_4x4x4_16b_bf16 a[0:3], v[64:65], v[26:27], a[0:3] cbsz:4 abid:2
	s_addc_u32 s5, s25, s5
	v_and_b32_e32 v6, -16, v6
	v_mfma_f32_4x4x4_16b_bf16 a[0:3], v[66:67], v[28:29], a[0:3] cbsz:4 abid:2
	v_lshlrev_b32_e32 v72, 6, v1
	v_lshl_add_u64 v[26:27], s[4:5], 0, v[6:7]
	s_waitcnt vmcnt(12)
	v_mfma_f32_4x4x4_16b_bf16 a[0:3], v[64:65], v[12:13], a[0:3] cbsz:4 abid:3
	v_or_b32_e32 v74, 0x1000, v72
	v_mov_b32_e32 v75, v73
	v_mfma_f32_4x4x4_16b_bf16 a[0:3], v[66:67], v[14:15], a[0:3] cbsz:4 abid:3
	v_lshl_add_u64 v[28:29], v[26:27], 0, v[72:73]
	v_lshl_add_u64 v[82:83], v[26:27], 0, v[74:75]
	s_waitcnt vmcnt(11)
	v_mfma_f32_4x4x4_16b_bf16 a[0:3], v[64:65], v[2:3], a[0:3] cbsz:4 abid:4
	s_load_dword s0, s[0:1], 0x1c
	v_cmp_eq_u32_e32 vcc, 0, v79
	v_mfma_f32_4x4x4_16b_bf16 a[0:3], v[66:67], v[4:5], a[0:3] cbsz:4 abid:4
	s_waitcnt vmcnt(10)
	s_nop 0
	v_mfma_f32_4x4x4_16b_bf16 a[0:3], v[64:65], v[8:9], a[0:3] cbsz:4 abid:5
	global_load_dwordx4 v[2:5], v[28:29], off
	global_load_dwordx4 v[6:9], v[28:29], off offset:16
	v_mfma_f32_4x4x4_16b_bf16 a[0:3], v[66:67], v[10:11], a[0:3] cbsz:4 abid:5
	global_load_dwordx4 v[10:13], v[28:29], off offset:32
	global_load_dwordx4 v[14:17], v[28:29], off offset:48
	s_waitcnt vmcnt(13)
	v_mfma_f32_4x4x4_16b_bf16 a[0:3], v[64:65], v[22:23], a[0:3] cbsz:4 abid:6
	s_nop 1
	v_mfma_f32_4x4x4_16b_bf16 a[0:3], v[66:67], v[24:25], a[0:3] cbsz:4 abid:6
	s_waitcnt vmcnt(12)
	s_nop 0
	v_mfma_f32_4x4x4_16b_bf16 a[0:3], v[64:65], v[18:19], a[0:3] cbsz:4 abid:7
	s_nop 1
	v_mfma_f32_4x4x4_16b_bf16 a[0:3], v[66:67], v[20:21], a[0:3] cbsz:4 abid:7
	global_load_dwordx4 v[26:29], v[82:83], off
	global_load_dwordx4 v[18:21], v[82:83], off offset:16
	s_waitcnt vmcnt(13)
	v_mfma_f32_4x4x4_16b_bf16 a[0:3], v[64:65], v[38:39], a[0:3] cbsz:4 abid:8
	v_mul_hi_i32 v38, v62, s9
	global_load_dwordx4 v[22:25], v[82:83], off offset:32
	global_load_dwordx4 v[30:33], v[82:83], off offset:48
	v_mfma_f32_4x4x4_16b_bf16 a[0:3], v[66:67], v[40:41], a[0:3] cbsz:4 abid:8
	s_waitcnt vmcnt(14)
	s_nop 0
	v_mfma_f32_4x4x4_16b_bf16 a[0:3], v[64:65], v[34:35], a[0:3] cbsz:4 abid:9
	v_ashrrev_i32_e32 v34, 31, v38
	v_lshrrev_b32_e32 v34, 29, v34
	v_mfma_f32_4x4x4_16b_bf16 a[0:3], v[66:67], v[36:37], a[0:3] cbsz:4 abid:9
	v_mov_b32_e32 v35, v73
	v_mad_i64_i32 v[34:35], s[8:9], v62, s9, v[34:35]
	s_waitcnt vmcnt(13)
	v_mfma_f32_4x4x4_16b_bf16 a[0:3], v[64:65], v[46:47], a[0:3] cbsz:4 abid:10
	v_lshlrev_b64 v[34:35], 1, v[34:35]
	v_and_b32_e32 v34, -16, v34
	v_mfma_f32_4x4x4_16b_bf16 a[0:3], v[66:67], v[48:49], a[0:3] cbsz:4 abid:10
	s_waitcnt vmcnt(12)
	s_nop 0
	v_mfma_f32_4x4x4_16b_bf16 a[0:3], v[64:65], v[42:43], a[0:3] cbsz:4 abid:11
	s_nop 1
	v_mfma_f32_4x4x4_16b_bf16 a[0:3], v[66:67], v[44:45], a[0:3] cbsz:4 abid:11
	s_waitcnt vmcnt(11)
	s_nop 0
	v_mfma_f32_4x4x4_16b_bf16 a[0:3], v[64:65], v[54:55], a[0:3] cbsz:4 abid:12
	v_lshl_add_u64 v[54:55], s[4:5], 0, v[34:35]
	s_nop 0
	v_mfma_f32_4x4x4_16b_bf16 a[0:3], v[66:67], v[56:57], a[0:3] cbsz:4 abid:12
	v_lshl_add_u64 v[56:57], v[54:55], 0, v[72:73]
	v_lshl_add_u64 v[72:73], v[54:55], 0, v[74:75]
	s_waitcnt vmcnt(10)
	v_mfma_f32_4x4x4_16b_bf16 a[0:3], v[64:65], v[50:51], a[0:3] cbsz:4 abid:13
	global_load_dwordx4 v[46:49], v[56:57], off
	global_load_dwordx4 v[34:37], v[56:57], off offset:16
	v_mfma_f32_4x4x4_16b_bf16 a[0:3], v[66:67], v[52:53], a[0:3] cbsz:4 abid:13
	global_load_dwordx4 v[38:41], v[56:57], off offset:32
	global_load_dwordx4 v[42:45], v[56:57], off offset:48
	s_waitcnt vmcnt(13)
	v_mfma_f32_4x4x4_16b_bf16 a[0:3], v[64:65], v[58:59], a[0:3] cbsz:4 abid:14
	global_load_dwordx4 v[50:53], v[72:73], off
	global_load_dwordx4 v[54:57], v[72:73], off offset:16
	v_mfma_f32_4x4x4_16b_bf16 a[0:3], v[66:67], v[60:61], a[0:3] cbsz:4 abid:14
	s_waitcnt vmcnt(14)
	s_nop 0
	v_mfma_f32_4x4x4_16b_bf16 a[0:3], v[64:65], v[68:69], a[0:3] cbsz:4 abid:15
	global_load_dwordx4 v[58:61], v[72:73], off offset:32
	global_load_dwordx4 v[62:65], v[72:73], off offset:48
	v_mfma_f32_4x4x4_16b_bf16 a[0:3], v[66:67], v[70:71], a[0:3] cbsz:4 abid:15
	v_cndmask_b32_e64 v70, 0, 1.0, vcc
	v_cmp_eq_u32_e32 vcc, 1, v79
	v_mov_b32_e32 v73, 0xff7fffff
	s_nop 1
	v_accvgpr_read_b32 v69, a1
	v_accvgpr_read_b32 v68, a0
	s_waitcnt lgkmcnt(0)
	v_pk_mul_f32 v[68:69], s[0:1], v[68:69] op_sel_hi:[0,1]
	v_accvgpr_read_b32 v67, a3
	v_accvgpr_read_b32 v66, a2
	v_pk_mul_f32 v[66:67], s[0:1], v[66:67] op_sel_hi:[0,1]
	v_mfma_f32_4x4x1_16b_f32 a[0:3], v68, v70, 0
	v_cndmask_b32_e64 v68, 0, 1.0, vcc
	v_cmp_eq_u32_e32 vcc, 2, v79
	s_nop 0
	v_mfma_f32_4x4x1_16b_f32 a[0:3], v69, v68, a[0:3]
	v_cndmask_b32_e64 v68, 0, 1.0, vcc
	v_cmp_eq_u32_e32 vcc, 3, v79
	s_nop 0
	v_mfma_f32_4x4x1_16b_f32 a[0:3], v66, v68, a[0:3]
	v_cndmask_b32_e64 v66, 0, 1.0, vcc
	s_nop 1
	v_mfma_f32_4x4x1_16b_f32 a[0:3], v67, v66, a[0:3]
	v_and_b32_e32 v66, -4, v80
	v_subrev_u32_e32 v67, s3, v66
	v_add_u32_e32 v68, 1, v67
	v_cvt_f32_i32_e32 v68, v68
	v_add_u32_e32 v69, 2, v67
	v_cvt_f32_i32_e32 v69, v69
	v_accvgpr_read_b32 v70, a0
	v_fma_f32 v68, v77, v68, v70
	v_accvgpr_read_b32 v70, a1
	v_fma_f32 v69, v77, v69, v70
	v_add_u32_e32 v70, 3, v67
	v_cvt_f32_i32_e32 v70, v70
	v_add_u32_e32 v67, 4, v67
	v_max_f32_e32 v72, 0xff7fffff, v68
	v_cmp_gt_i32_e32 vcc, s3, v66
	v_cvt_f32_i32_e32 v67, v67
	v_accvgpr_read_b32 v71, a2
	v_cndmask_b32_e32 v72, v73, v72, vcc
	v_or_b32_e32 v73, 1, v66
	v_max_f32_e32 v74, v72, v69
	v_cmp_gt_i32_e64 s[0:1], s3, v73
	v_fma_f32 v70, v77, v70, v71
	v_or_b32_e32 v66, 2, v66
	v_cndmask_b32_e64 v72, v72, v74, s[0:1]
	v_accvgpr_read_b32 v71, a3
	v_max_f32_e32 v73, v72, v70
	v_cmp_gt_i32_e64 s[4:5], s3, v66
	v_fmac_f32_e32 v71, v77, v67
	v_lshlrev_b32_e32 v67, 2, v0
	v_cndmask_b32_e64 v66, v72, v73, s[4:5]
	v_or_b32_e32 v72, 3, v80
	v_max_f32_e32 v73, v66, v71
	v_cmp_gt_i32_e64 s[8:9], s3, v72
	v_and_or_b32 v67, v67, 48, v79
	s_nop 0
	v_cndmask_b32_e64 v66, v66, v73, s[8:9]
	;;#ASMSTART
	v_nop
 v_nop
 v_max_f32_dpp v66, v66, v66 row_ror:4
	;;#ASMEND
	v_lshlrev_b32_e32 v73, 2, v67
	;;#ASMSTART
	v_nop
 v_nop
 v_max_f32_dpp v66, v66, v66 row_ror:8
	;;#ASMEND
	ds_bpermute_b32 v66, v73, v66
	s_waitcnt lgkmcnt(0)
	;;#ASMSTART
	v_nop
 v_nop
 v_max_f32_dpp v66, v66, v66 row_ror:4
	;;#ASMEND
	s_nop 0
	;;#ASMSTART
	v_nop
 v_nop
 v_max_f32_dpp v72, v66, v66 row_ror:8
	;;#ASMEND
	s_nop 0
	v_sub_f32_e32 v66, v68, v72
	v_mul_f32_e32 v66, 0x3fb8aa3b, v66
	v_sub_f32_e32 v67, v69, v72
	v_exp_f32_e32 v66, v66
	v_mul_f32_e32 v67, 0x3fb8aa3b, v67
	v_sub_f32_e32 v69, v70, v72
	v_exp_f32_e32 v67, v67
	;; [unrolled: 3-line block ×3, first 2 shown]
	v_mul_f32_e32 v70, 0x3fb8aa3b, v70
	v_exp_f32_e32 v70, v70
	v_cndmask_b32_e32 v66, 0, v66, vcc
	v_add_f32_e32 v68, 0, v66
	v_cndmask_b32_e64 v67, 0, v67, s[0:1]
	v_add_f32_e32 v71, v68, v67
	v_cndmask_b32_e64 v68, 0, v69, s[4:5]
	v_add_f32_e32 v71, v71, v68
	v_cndmask_b32_e64 v69, 0, v70, s[8:9]
	v_add_f32_e32 v70, v71, v69
	;;#ASMSTART
	v_nop
 v_nop
 v_add_f32_dpp v70, v70, v70 row_ror:4
	;;#ASMEND
	v_cmp_gt_u32_e32 vcc, 4, v1
	;;#ASMSTART
	v_nop
 v_nop
 v_add_f32_dpp v70, v70, v70 row_ror:8
	;;#ASMEND
	ds_bpermute_b32 v70, v73, v70
	s_waitcnt lgkmcnt(0)
	;;#ASMSTART
	v_nop
 v_nop
 v_add_f32_dpp v70, v70, v70 row_ror:4
	;;#ASMEND
	s_nop 0
	;;#ASMSTART
	v_nop
 v_nop
 v_add_f32_dpp v70, v70, v70 row_ror:8
	;;#ASMEND
	s_and_saveexec_b64 s[0:1], vcc
	s_cbranch_execz .LBB729_18
; %bb.17:
	v_mul_u32_u24_e32 v71, 20, v78
	v_lshl_add_u32 v71, v79, 2, v71
	v_add_u32_e32 v71, 0x1400, v71
	ds_write2_b32 v71, v72, v70 offset1:20
.LBB729_18:
	s_or_b64 exec, exec, s[0:1]
.LBB729_19:
	s_or_b64 exec, exec, s[22:23]
	s_waitcnt lgkmcnt(0)
	s_barrier
	s_load_dword s0, s[20:21], 0x8
	v_lshlrev_b32_e32 v70, 2, v79
	v_add_u32_e32 v73, 0x1400, v70
	ds_read2_b32 v[70:71], v73 offset1:5
	ds_read2_b32 v[76:77], v73 offset0:10 offset1:15
	s_mul_i32 s1, s2, s34
	s_waitcnt lgkmcnt(0)
	s_mul_i32 s1, s1, s0
	s_lshl_b32 s0, s1, 1
	s_mov_b32 s1, 0xff7fffff
	v_max3_f32 v74, v70, s1, v71
	v_max3_f32 v74, v74, v76, v77
	v_sub_f32_e32 v70, v70, v74
	v_mul_f32_e32 v70, 0x3fb8aa3b, v70
	v_exp_f32_e32 v75, v70
	v_sub_f32_e32 v70, v71, v74
	ds_read2_b32 v[80:81], v73 offset0:20 offset1:25
	v_mul_f32_e32 v70, 0x3fb8aa3b, v70
	v_exp_f32_e32 v82, v70
	ds_read2_b32 v[70:71], v73 offset0:30 offset1:35
	v_sub_f32_e32 v73, v76, v74
	v_mul_f32_e32 v73, 0x3fb8aa3b, v73
	v_sub_f32_e32 v76, v77, v74
	v_exp_f32_e32 v73, v73
	v_mul_f32_e32 v76, 0x3fb8aa3b, v76
	v_exp_f32_e32 v76, v76
	s_waitcnt lgkmcnt(1)
	v_fma_f32 v75, v75, v80, 0
	v_fmac_f32_e32 v75, v82, v81
	s_waitcnt lgkmcnt(0)
	v_fmac_f32_e32 v75, v73, v70
	v_fmac_f32_e32 v75, v76, v71
	v_cmp_gt_u32_e32 vcc, 2, v79
	s_and_saveexec_b64 s[2:3], vcc
	s_cbranch_execz .LBB729_21
; %bb.20:
	s_mov_b32 s1, 0
	s_lshl_b64 s[4:5], s[0:1], 2
	s_add_u32 s10, s12, s4
	s_mov_b32 s17, s1
	s_addc_u32 s11, s13, s5
	s_lshl_b64 s[8:9], s[16:17], 2
	s_add_u32 s10, s10, s8
	s_addc_u32 s11, s11, s9
	s_add_u32 s1, s14, s4
	s_addc_u32 s5, s15, s5
	v_or_b32_e32 v70, s33, v79
	s_add_u32 s4, s1, s8
	v_mul_lo_u32 v70, s34, v70
	v_mov_b32_e32 v71, 0
	s_addc_u32 s5, s5, s9
	v_lshlrev_b64 v[70:71], 2, v[70:71]
	v_lshl_add_u64 v[76:77], s[10:11], 0, v[70:71]
	v_lshl_add_u64 v[70:71], s[4:5], 0, v[70:71]
	global_store_dword v[70:71], v74, off
	global_store_dword v[76:77], v75, off
.LBB729_21:
	s_or_b64 exec, exec, s[2:3]
	v_lshlrev_b32_e32 v73, 3, v78
                                        ; implicit-def: $sgpr1
	s_and_saveexec_b64 s[2:3], s[6:7]
	s_xor_b64 s[2:3], exec, s[2:3]
	s_cbranch_execz .LBB729_23
; %bb.22:
	s_waitcnt vmcnt(15)
	v_mov_b32_e32 v2, 0
	v_mad_u32_u24 v4, v1, 40, v73
	s_mov_b32 s1, 0
	v_mov_b32_e32 v3, v2
	ds_write_b64 v4, v[2:3]
                                        ; implicit-def: $vgpr69
                                        ; implicit-def: $vgpr67
                                        ; implicit-def: $vgpr3
                                        ; implicit-def: $vgpr7
                                        ; implicit-def: $vgpr11
                                        ; implicit-def: $vgpr15
                                        ; implicit-def: $vgpr47
                                        ; implicit-def: $vgpr35
                                        ; implicit-def: $vgpr39
                                        ; implicit-def: $vgpr43
                                        ; implicit-def: $vgpr27
                                        ; implicit-def: $vgpr19
                                        ; implicit-def: $vgpr23
                                        ; implicit-def: $vgpr31
                                        ; implicit-def: $vgpr51
                                        ; implicit-def: $vgpr55
                                        ; implicit-def: $vgpr59
                                        ; implicit-def: $vgpr63
                                        ; implicit-def: $vgpr72
                                        ; implicit-def: $vgpr74
                                        ; implicit-def: $vgpr75
.LBB729_23:
	s_or_saveexec_b64 s[2:3], s[2:3]
	v_mov_b32_e32 v70, s1
	v_mov_b32_e32 v71, s1
	s_xor_b64 exec, exec, s[2:3]
	s_cbranch_execz .LBB729_25
; %bb.24:
	v_add_f32_e32 v70, 0x358637bd, v75
	v_div_scale_f32 v71, s[4:5], v70, v70, 1.0
	v_rcp_f32_e32 v75, v71
	v_sub_f32_e32 v72, v72, v74
	v_mul_f32_e32 v72, 0x3fb8aa3b, v72
	v_exp_f32_e32 v72, v72
	v_fma_f32 v74, -v71, v75, 1.0
	v_fmac_f32_e32 v75, v74, v75
	v_div_scale_f32 v74, vcc, 1.0, v70, 1.0
	v_mul_f32_e32 v76, v74, v75
	v_fma_f32 v77, -v71, v76, v74
	v_fmac_f32_e32 v76, v77, v75
	v_fma_f32 v71, -v71, v76, v74
	v_div_fmas_f32 v71, v71, v75, v76
	v_div_fixup_f32 v70, v71, v70, 1.0
	v_mul_f32_e32 v70, v72, v70
	v_pk_mul_f32 v[66:67], v[66:67], v[70:71] op_sel_hi:[1,0]
	v_pk_mul_f32 v[68:69], v[68:69], v[70:71] op_sel_hi:[1,0]
	v_bfe_u32 v70, v67, 16, 1
	v_bfe_u32 v71, v66, 16, 1
	s_movk_i32 s1, 0x7fff
	v_add3_u32 v66, v66, v71, s1
	v_add3_u32 v67, v67, v70, s1
	s_mov_b32 s4, 0x7060302
	v_perm_b32 v66, v67, v66, s4
	v_bfe_u32 v67, v69, 16, 1
	v_bfe_u32 v70, v68, 16, 1
	v_add3_u32 v68, v68, v70, s1
	v_add3_u32 v67, v69, v67, s1
	v_perm_b32 v67, v67, v68, s4
	s_waitcnt vmcnt(15)
	s_nop 0
	v_mfma_f32_4x4x4_16b_bf16 a[0:3], v[66:67], v[2:3], 0 cbsz:4
	s_nop 1
	v_mfma_f32_4x4x4_16b_bf16 a[0:3], v[66:67], v[4:5], a[0:3] cbsz:4 abid:1
	s_waitcnt vmcnt(11)
	v_mfma_f32_4x4x4_16b_bf16 a[4:7], v[66:67], v[26:27], 0 cbsz:4
	v_mfma_f32_4x4x4_16b_bf16 a[0:3], v[66:67], v[6:7], a[0:3] cbsz:4 abid:2
	s_nop 0
	v_mfma_f32_4x4x4_16b_bf16 a[4:7], v[66:67], v[28:29], a[4:7] cbsz:4 abid:1
	v_mfma_f32_4x4x4_16b_bf16 a[0:3], v[66:67], v[8:9], a[0:3] cbsz:4 abid:3
	s_waitcnt vmcnt(10)
	v_mfma_f32_4x4x4_16b_bf16 a[4:7], v[66:67], v[18:19], a[4:7] cbsz:4 abid:2
	v_mfma_f32_4x4x4_16b_bf16 a[0:3], v[66:67], v[10:11], a[0:3] cbsz:4 abid:4
	s_nop 1
	v_mfma_f32_4x4x4_16b_bf16 a[0:3], v[66:67], v[12:13], a[0:3] cbsz:4 abid:5
	s_nop 1
	;; [unrolled: 2-line block ×3, first 2 shown]
	v_mfma_f32_4x4x4_16b_bf16 a[0:3], v[66:67], v[16:17], a[0:3] cbsz:4 abid:7
	s_waitcnt vmcnt(7)
	s_nop 0
	v_mfma_f32_4x4x4_16b_bf16 a[0:3], v[66:67], v[46:47], a[0:3] cbsz:4 abid:8
	s_nop 1
	v_mfma_f32_4x4x4_16b_bf16 a[0:3], v[66:67], v[48:49], a[0:3] cbsz:4 abid:9
	s_waitcnt vmcnt(6)
	s_nop 0
	v_mfma_f32_4x4x4_16b_bf16 a[0:3], v[66:67], v[34:35], a[0:3] cbsz:4 abid:10
	s_nop 1
	;; [unrolled: 5-line block ×4, first 2 shown]
	v_mfma_f32_4x4x4_16b_bf16 a[0:3], v[66:67], v[44:45], a[0:3] cbsz:4 abid:15
	s_nop 4
	v_accvgpr_read_b32 v3, a2
	v_accvgpr_read_b32 v4, a3
	;; [unrolled: 1-line block ×4, first 2 shown]
	v_mfma_f32_4x4x4_16b_bf16 a[0:3], v[66:67], v[20:21], a[4:7] cbsz:4 abid:3
	v_bfe_u32 v6, v5, 16, 1
	v_bfe_u32 v7, v2, 16, 1
	v_mfma_f32_4x4x4_16b_bf16 a[0:3], v[66:67], v[22:23], a[0:3] cbsz:4 abid:4
	v_add3_u32 v2, v2, v7, s1
	v_add3_u32 v5, v5, v6, s1
	v_mfma_f32_4x4x4_16b_bf16 a[0:3], v[66:67], v[24:25], a[0:3] cbsz:4 abid:5
	v_perm_b32 v2, v5, v2, s4
	v_bfe_u32 v5, v4, 16, 1
	v_mfma_f32_4x4x4_16b_bf16 a[0:3], v[66:67], v[30:31], a[0:3] cbsz:4 abid:6
	v_bfe_u32 v6, v3, 16, 1
	v_add3_u32 v3, v3, v6, s1
	v_mfma_f32_4x4x4_16b_bf16 a[0:3], v[66:67], v[32:33], a[0:3] cbsz:4 abid:7
	v_add3_u32 v4, v4, v5, s1
	v_perm_b32 v3, v4, v3, s4
	s_waitcnt vmcnt(3)
	v_mfma_f32_4x4x4_16b_bf16 a[0:3], v[66:67], v[50:51], a[0:3] cbsz:4 abid:8
	v_mad_u32_u24 v4, v1, 40, v73
	ds_write_b64 v4, v[2:3]
	v_mfma_f32_4x4x4_16b_bf16 a[0:3], v[66:67], v[52:53], a[0:3] cbsz:4 abid:9
	s_waitcnt vmcnt(2)
	s_nop 0
	v_mfma_f32_4x4x4_16b_bf16 a[0:3], v[66:67], v[54:55], a[0:3] cbsz:4 abid:10
	s_nop 1
	v_mfma_f32_4x4x4_16b_bf16 a[0:3], v[66:67], v[56:57], a[0:3] cbsz:4 abid:11
	s_waitcnt vmcnt(1)
	s_nop 0
	v_mfma_f32_4x4x4_16b_bf16 a[0:3], v[66:67], v[58:59], a[0:3] cbsz:4 abid:12
	s_nop 1
	v_mfma_f32_4x4x4_16b_bf16 a[0:3], v[66:67], v[60:61], a[0:3] cbsz:4 abid:13
	s_waitcnt vmcnt(0)
	s_nop 0
	v_mfma_f32_4x4x4_16b_bf16 a[0:3], v[66:67], v[62:63], a[0:3] cbsz:4 abid:14
	s_nop 1
	v_mfma_f32_4x4x4_16b_bf16 a[0:3], v[66:67], v[64:65], a[0:3] cbsz:4 abid:15
	s_nop 4
	v_accvgpr_read_b32 v4, a0
	v_accvgpr_read_b32 v5, a1
	;; [unrolled: 1-line block ×4, first 2 shown]
	v_bfe_u32 v6, v5, 16, 1
	v_bfe_u32 v7, v4, 16, 1
	v_add3_u32 v4, v4, v7, s1
	v_add3_u32 v5, v5, v6, s1
	v_bfe_u32 v6, v3, 16, 1
	v_bfe_u32 v7, v2, 16, 1
	v_add3_u32 v2, v2, v7, s1
	v_add3_u32 v3, v3, v6, s1
	v_perm_b32 v71, v3, v2, s4
	v_perm_b32 v70, v5, v4, s4
.LBB729_25:
	s_or_b64 exec, exec, s[2:3]
	s_waitcnt vmcnt(15)
	v_mad_u32_u24 v2, v1, 40, v73
	v_cmp_gt_u32_e32 vcc, 64, v0
	ds_write_b64 v2, v[70:71] offset:2560
	s_waitcnt lgkmcnt(0)
	s_barrier
	s_and_saveexec_b64 s[2:3], vcc
	s_cbranch_execz .LBB729_27
; %bb.26:
	s_waitcnt vmcnt(14)
	v_mul_u32_u24_e32 v6, 40, v1
	ds_read2_b64 v[2:5], v6 offset1:1
	ds_read2_b64 v[6:9], v6 offset0:2 offset1:3
	s_mov_b32 s1, 0
	s_lshl_b32 s0, s0, 7
	s_lshl_b64 s[2:3], s[0:1], 1
	s_waitcnt lgkmcnt(1)
	v_and_b32_e32 v3, 0xffff0000, v2
	v_add_f32_e32 v3, 0, v3
	v_and_b32_e32 v5, 0xffff0000, v4
	v_and_b32_e32 v3, 0xffff0000, v3
	v_add_f32_e32 v3, v3, v5
	s_waitcnt lgkmcnt(0)
	v_and_b32_e32 v7, 0xffff0000, v6
	v_and_b32_e32 v3, 0xffff0000, v3
	v_add_f32_e32 v3, v3, v7
	v_mov_b32_e32 v7, 0xa00
	v_mad_u32_u24 v7, v1, 40, v7
	s_waitcnt vmcnt(13)
	ds_read2_b64 v[10:13], v7 offset1:1
	v_and_b32_e32 v3, 0xffff0000, v3
	v_and_b32_e32 v5, 0xffff0000, v8
	v_add_f32_e32 v7, v3, v5
	v_mov_b32_e32 v3, 0xa10
	v_mad_u32_u24 v1, v1, 40, v3
	s_waitcnt vmcnt(12)
	ds_read2_b64 v[14:17], v1 offset1:1
	s_waitcnt lgkmcnt(1)
	v_lshlrev_b32_e32 v1, 16, v10
	v_add_f32_e32 v1, 0, v1
	v_and_b32_e32 v3, 0xffff0000, v10
	v_and_b32_e32 v1, 0xffff0000, v1
	v_add_f32_e32 v3, 0, v3
	v_lshlrev_b32_e32 v5, 16, v12
	v_and_b32_e32 v3, 0xffff0000, v3
	v_add_f32_e32 v1, v1, v5
	v_and_b32_e32 v5, 0xffff0000, v12
	v_and_b32_e32 v1, 0xffff0000, v1
	v_add_f32_e32 v3, v3, v5
	s_waitcnt lgkmcnt(0)
	v_lshlrev_b32_e32 v5, 16, v14
	v_and_b32_e32 v3, 0xffff0000, v3
	v_add_f32_e32 v1, v1, v5
	v_and_b32_e32 v5, 0xffff0000, v14
	v_and_b32_e32 v1, 0xffff0000, v1
	v_add_f32_e32 v3, v3, v5
	v_lshlrev_b32_e32 v5, 16, v16
	v_and_b32_e32 v3, 0xffff0000, v3
	v_add_f32_e32 v9, v1, v5
	v_and_b32_e32 v1, 0xffff0000, v16
	v_add_f32_e32 v10, v3, v1
	v_lshlrev_b32_e32 v1, 16, v2
	s_add_u32 s2, s18, s2
	v_add_f32_e32 v1, 0, v1
	s_addc_u32 s3, s19, s3
	s_lshl_b32 s0, s16, 7
	v_and_b32_e32 v1, 0xffff0000, v1
	v_lshlrev_b32_e32 v2, 16, v4
	s_lshl_b64 s[0:1], s[0:1], 1
	v_add_f32_e32 v1, v1, v2
	s_add_u32 s0, s2, s0
	v_and_b32_e32 v1, 0xffff0000, v1
	v_lshlrev_b32_e32 v2, 16, v6
	s_addc_u32 s1, s3, s1
	s_lshl_b32 s2, s34, 7
	v_add_f32_e32 v1, v1, v2
	v_and_b32_e32 v1, 0xffff0000, v1
	v_lshlrev_b32_e32 v2, 16, v8
	s_mul_i32 s3, s2, s33
	v_add_f32_e32 v1, v1, v2
	v_or_b32_e32 v2, s3, v0
	v_mov_b32_e32 v3, 0
	s_add_i32 s3, s3, s2
	v_lshl_add_u64 v[4:5], v[2:3], 1, s[0:1]
	v_or_b32_e32 v2, s3, v0
	global_store_short_d16_hi v[4:5], v1, off
	v_lshl_add_u64 v[0:1], v[2:3], 1, s[0:1]
	global_store_short_d16_hi v[0:1], v7, off
	global_store_short_d16_hi v[4:5], v9, off offset:128
	global_store_short_d16_hi v[0:1], v10, off offset:128
.LBB729_27:
	s_endpgm
	.section	.rodata,"a",@progbits
	.p2align	6, 0x0
	.amdhsa_kernel _Z38paged_attention_ll4mi_QKV_mfma4_kernelI14__hip_bfloat16S0_LN4vllm18Fp8KVCacheDataTypeE0ES0_Li32ELi128ELi256ELb1ELi2EEvPKT_PKT0_S8_ifPKiSA_SA_iPKfiiiPfSD_PS3_PT2_iSC_SC_
		.amdhsa_group_segment_fixed_size 5280
		.amdhsa_private_segment_fixed_size 0
		.amdhsa_kernarg_size 400
		.amdhsa_user_sgpr_count 2
		.amdhsa_user_sgpr_dispatch_ptr 0
		.amdhsa_user_sgpr_queue_ptr 0
		.amdhsa_user_sgpr_kernarg_segment_ptr 1
		.amdhsa_user_sgpr_dispatch_id 0
		.amdhsa_user_sgpr_kernarg_preload_length 0
		.amdhsa_user_sgpr_kernarg_preload_offset 0
		.amdhsa_user_sgpr_private_segment_size 0
		.amdhsa_uses_dynamic_stack 0
		.amdhsa_enable_private_segment 0
		.amdhsa_system_sgpr_workgroup_id_x 1
		.amdhsa_system_sgpr_workgroup_id_y 1
		.amdhsa_system_sgpr_workgroup_id_z 1
		.amdhsa_system_sgpr_workgroup_info 0
		.amdhsa_system_vgpr_workitem_id 0
		.amdhsa_next_free_vgpr 92
		.amdhsa_next_free_sgpr 40
		.amdhsa_accum_offset 84
		.amdhsa_reserve_vcc 1
		.amdhsa_float_round_mode_32 0
		.amdhsa_float_round_mode_16_64 0
		.amdhsa_float_denorm_mode_32 3
		.amdhsa_float_denorm_mode_16_64 3
		.amdhsa_dx10_clamp 1
		.amdhsa_ieee_mode 1
		.amdhsa_fp16_overflow 0
		.amdhsa_tg_split 0
		.amdhsa_exception_fp_ieee_invalid_op 0
		.amdhsa_exception_fp_denorm_src 0
		.amdhsa_exception_fp_ieee_div_zero 0
		.amdhsa_exception_fp_ieee_overflow 0
		.amdhsa_exception_fp_ieee_underflow 0
		.amdhsa_exception_fp_ieee_inexact 0
		.amdhsa_exception_int_div_zero 0
	.end_amdhsa_kernel
	.section	.text._Z38paged_attention_ll4mi_QKV_mfma4_kernelI14__hip_bfloat16S0_LN4vllm18Fp8KVCacheDataTypeE0ES0_Li32ELi128ELi256ELb1ELi2EEvPKT_PKT0_S8_ifPKiSA_SA_iPKfiiiPfSD_PS3_PT2_iSC_SC_,"axG",@progbits,_Z38paged_attention_ll4mi_QKV_mfma4_kernelI14__hip_bfloat16S0_LN4vllm18Fp8KVCacheDataTypeE0ES0_Li32ELi128ELi256ELb1ELi2EEvPKT_PKT0_S8_ifPKiSA_SA_iPKfiiiPfSD_PS3_PT2_iSC_SC_,comdat
.Lfunc_end729:
	.size	_Z38paged_attention_ll4mi_QKV_mfma4_kernelI14__hip_bfloat16S0_LN4vllm18Fp8KVCacheDataTypeE0ES0_Li32ELi128ELi256ELb1ELi2EEvPKT_PKT0_S8_ifPKiSA_SA_iPKfiiiPfSD_PS3_PT2_iSC_SC_, .Lfunc_end729-_Z38paged_attention_ll4mi_QKV_mfma4_kernelI14__hip_bfloat16S0_LN4vllm18Fp8KVCacheDataTypeE0ES0_Li32ELi128ELi256ELb1ELi2EEvPKT_PKT0_S8_ifPKiSA_SA_iPKfiiiPfSD_PS3_PT2_iSC_SC_
                                        ; -- End function
	.section	.AMDGPU.csdata,"",@progbits
; Kernel info:
; codeLenInByte = 4304
; NumSgprs: 46
; NumVgprs: 84
; NumAgprs: 8
; TotalNumVgprs: 92
; ScratchSize: 0
; MemoryBound: 0
; FloatMode: 240
; IeeeMode: 1
; LDSByteSize: 5280 bytes/workgroup (compile time only)
; SGPRBlocks: 5
; VGPRBlocks: 11
; NumSGPRsForWavesPerEU: 46
; NumVGPRsForWavesPerEU: 92
; AccumOffset: 84
; Occupancy: 5
; WaveLimiterHint : 1
; COMPUTE_PGM_RSRC2:SCRATCH_EN: 0
; COMPUTE_PGM_RSRC2:USER_SGPR: 2
; COMPUTE_PGM_RSRC2:TRAP_HANDLER: 0
; COMPUTE_PGM_RSRC2:TGID_X_EN: 1
; COMPUTE_PGM_RSRC2:TGID_Y_EN: 1
; COMPUTE_PGM_RSRC2:TGID_Z_EN: 1
; COMPUTE_PGM_RSRC2:TIDIG_COMP_CNT: 0
; COMPUTE_PGM_RSRC3_GFX90A:ACCUM_OFFSET: 20
; COMPUTE_PGM_RSRC3_GFX90A:TG_SPLIT: 0
	.section	.text._Z38paged_attention_ll4mi_QKV_mfma4_kernelI14__hip_bfloat16S0_LN4vllm18Fp8KVCacheDataTypeE0ES0_Li32ELi128ELi256ELb1ELi3EEvPKT_PKT0_S8_ifPKiSA_SA_iPKfiiiPfSD_PS3_PT2_iSC_SC_,"axG",@progbits,_Z38paged_attention_ll4mi_QKV_mfma4_kernelI14__hip_bfloat16S0_LN4vllm18Fp8KVCacheDataTypeE0ES0_Li32ELi128ELi256ELb1ELi3EEvPKT_PKT0_S8_ifPKiSA_SA_iPKfiiiPfSD_PS3_PT2_iSC_SC_,comdat
	.protected	_Z38paged_attention_ll4mi_QKV_mfma4_kernelI14__hip_bfloat16S0_LN4vllm18Fp8KVCacheDataTypeE0ES0_Li32ELi128ELi256ELb1ELi3EEvPKT_PKT0_S8_ifPKiSA_SA_iPKfiiiPfSD_PS3_PT2_iSC_SC_ ; -- Begin function _Z38paged_attention_ll4mi_QKV_mfma4_kernelI14__hip_bfloat16S0_LN4vllm18Fp8KVCacheDataTypeE0ES0_Li32ELi128ELi256ELb1ELi3EEvPKT_PKT0_S8_ifPKiSA_SA_iPKfiiiPfSD_PS3_PT2_iSC_SC_
	.globl	_Z38paged_attention_ll4mi_QKV_mfma4_kernelI14__hip_bfloat16S0_LN4vllm18Fp8KVCacheDataTypeE0ES0_Li32ELi128ELi256ELb1ELi3EEvPKT_PKT0_S8_ifPKiSA_SA_iPKfiiiPfSD_PS3_PT2_iSC_SC_
	.p2align	8
	.type	_Z38paged_attention_ll4mi_QKV_mfma4_kernelI14__hip_bfloat16S0_LN4vllm18Fp8KVCacheDataTypeE0ES0_Li32ELi128ELi256ELb1ELi3EEvPKT_PKT0_S8_ifPKiSA_SA_iPKfiiiPfSD_PS3_PT2_iSC_SC_,@function
_Z38paged_attention_ll4mi_QKV_mfma4_kernelI14__hip_bfloat16S0_LN4vllm18Fp8KVCacheDataTypeE0ES0_Li32ELi128ELi256ELb1ELi3EEvPKT_PKT0_S8_ifPKiSA_SA_iPKfiiiPfSD_PS3_PT2_iSC_SC_: ; @_Z38paged_attention_ll4mi_QKV_mfma4_kernelI14__hip_bfloat16S0_LN4vllm18Fp8KVCacheDataTypeE0ES0_Li32ELi128ELi256ELb1ELi3EEvPKT_PKT0_S8_ifPKiSA_SA_iPKfiiiPfSD_PS3_PT2_iSC_SC_
; %bb.0:
	s_load_dwordx2 s[8:9], s[0:1], 0x30
	s_mov_b32 s16, s3
	s_mov_b64 s[6:7], 0
	s_waitcnt lgkmcnt(0)
	s_cmp_lg_u64 s[8:9], 0
	s_cselect_b64 s[10:11], -1, 0
	s_and_b64 vcc, exec, s[10:11]
	s_cbranch_vccz .LBB730_10
; %bb.1:
	s_add_i32 s12, s2, 1
	s_mov_b32 s13, 0
	s_lshl_b64 s[14:15], s[12:13], 2
	s_add_u32 s14, s8, s14
	s_mov_b32 s3, s13
	s_addc_u32 s15, s9, s15
	s_lshl_b64 s[12:13], s[2:3], 2
	s_add_u32 s12, s8, s12
	s_addc_u32 s13, s9, s13
	s_load_dword s5, s[14:15], 0x0
	s_load_dword s17, s[12:13], 0x0
	s_waitcnt lgkmcnt(0)
	s_sub_i32 s5, s5, s17
	s_cmp_eq_u32 s5, 1
	s_cselect_b64 s[12:13], -1, 0
	s_andn2_b64 vcc, exec, s[6:7]
	s_cbranch_vccnz .LBB730_3
.LBB730_2:
	s_mov_b32 s3, 0
	s_mov_b64 s[12:13], -1
.LBB730_3:
	s_andn2_b64 vcc, exec, s[12:13]
	s_cbranch_vccnz .LBB730_27
; %bb.4:
	s_load_dword s5, s[0:1], 0x9c
	s_load_dwordx2 s[6:7], s[0:1], 0x28
	s_add_u32 s20, s0, 0x90
	s_addc_u32 s21, s1, 0
	s_lshl_b64 s[24:25], s[2:3], 2
	s_waitcnt lgkmcnt(0)
	s_and_b32 s5, s5, 0xffff
	s_add_u32 s6, s6, s24
	s_addc_u32 s7, s7, s25
	s_load_dword s3, s[6:7], 0x0
	s_mul_i32 s5, s16, s5
	s_waitcnt lgkmcnt(0)
	s_cmp_ge_i32 s5, s3
	s_cbranch_scc1 .LBB730_27
; %bb.5:
	v_and_b32_e32 v1, 0xc0, v0
	v_add_u32_e32 v2, s5, v1
	v_lshrrev_b32_e32 v80, 6, v0
	v_cmp_le_i32_e64 s[6:7], s3, v2
                                        ; implicit-def: $sgpr26
                                        ; implicit-def: $sgpr17
	s_and_saveexec_b64 s[12:13], s[6:7]
	s_xor_b64 s[12:13], exec, s[12:13]
	s_cbranch_execz .LBB730_7
; %bb.6:
	v_mul_u32_u24_e32 v1, 20, v80
	v_or_b32_e32 v1, 0x1400, v1
	v_mov_b32_e32 v2, 0x1450
	v_mov_b32_e32 v3, 0xff7fffff
	v_mad_u32_u24 v2, v80, 20, v2
	ds_write2_b32 v1, v3, v3 offset1:1
	v_mov_b32_e32 v1, 0
	ds_write2_b32 v2, v1, v1 offset1:1
	v_mov_b32_e32 v2, 0x1408
	s_mov_b32 s17, 0xff7fffff
	s_mov_b32 s26, 0
	v_mad_u32_u24 v2, v80, 20, v2
	v_mov_b32_e32 v4, 0x1458
	v_mad_u32_u24 v4, v80, 20, v4
	ds_write2_b32 v2, v3, v3 offset1:1
	ds_write2_b32 v4, v1, v1 offset1:1
                                        ; implicit-def: $vgpr2
.LBB730_7:
	s_or_saveexec_b64 s[22:23], s[12:13]
	s_load_dwordx2 s[18:19], s[0:1], 0x68
	s_load_dwordx4 s[12:15], s[0:1], 0x58
	s_load_dword s34, s[20:21], 0x4
	v_and_b32_e32 v1, 63, v0
	v_and_b32_e32 v81, 3, v0
	s_mul_i32 s33, s4, 3
	v_mov_b32_e32 v69, s26
	v_mov_b32_e32 v72, s17
	;; [unrolled: 1-line block ×5, first 2 shown]
                                        ; implicit-def: $vgpr3
                                        ; implicit-def: $vgpr7
                                        ; implicit-def: $vgpr11
                                        ; implicit-def: $vgpr15
                                        ; implicit-def: $vgpr47
                                        ; implicit-def: $vgpr35
                                        ; implicit-def: $vgpr39
                                        ; implicit-def: $vgpr43
                                        ; implicit-def: $vgpr27
                                        ; implicit-def: $vgpr19
                                        ; implicit-def: $vgpr23
                                        ; implicit-def: $vgpr31
                                        ; implicit-def: $vgpr51
                                        ; implicit-def: $vgpr55
                                        ; implicit-def: $vgpr59
                                        ; implicit-def: $vgpr63
	s_xor_b64 exec, exec, s[22:23]
	s_cbranch_execz .LBB730_19
; %bb.8:
	s_add_i32 s28, s3, 31
	s_ashr_i32 s29, s28, 31
	s_lshr_b32 s29, s29, 27
	v_add_u32_e32 v82, s5, v0
	s_add_i32 s28, s28, s29
	v_ashrrev_i32_e32 v3, 31, v82
	s_load_dwordx2 s[26:27], s[0:1], 0x20
	s_load_dword s17, s[0:1], 0x38
	s_ashr_i32 s28, s28, 5
	v_lshrrev_b32_e32 v3, 27, v3
	s_add_i32 s30, s28, -1
	v_add_u32_e32 v3, v82, v3
	v_ashrrev_i32_e32 v3, 5, v3
	v_mov_b32_e32 v4, s30
	v_cmp_gt_i32_e32 vcc, s3, v82
	s_waitcnt lgkmcnt(0)
	s_mul_i32 s28, s2, s17
	s_mov_b32 s29, 0
	v_cndmask_b32_e32 v4, v4, v3, vcc
	v_ashrrev_i32_e32 v3, 31, v2
	v_lshrrev_b32_e32 v3, 27, v3
	v_add_u32_e32 v2, v2, v3
	s_lshl_b64 s[28:29], s[28:29], 2
	v_ashrrev_i32_e32 v8, 5, v2
	s_add_u32 s26, s26, s28
	v_min_i32_e32 v2, s30, v8
	s_addc_u32 s27, s27, s29
	v_ashrrev_i32_e32 v3, 31, v2
	v_lshl_add_u64 v[6:7], v[2:3], 2, s[26:27]
	v_add_u32_e32 v2, 1, v8
	v_ashrrev_i32_e32 v5, 31, v4
	v_min_i32_e32 v2, s30, v2
	v_lshl_add_u64 v[4:5], v[4:5], 2, s[26:27]
	v_ashrrev_i32_e32 v3, 31, v2
	v_lshl_add_u64 v[8:9], v[2:3], 2, s[26:27]
	global_load_dword v2, v[4:5], off
	global_load_dword v26, v[6:7], off
	;; [unrolled: 1-line block ×3, first 2 shown]
	s_load_dwordx2 s[26:27], s[0:1], 0x8
	s_andn2_b64 vcc, exec, s[10:11]
	s_cbranch_vccnz .LBB730_11
; %bb.9:
	s_add_u32 s8, s8, s24
	s_addc_u32 s9, s9, s25
	s_load_dword s5, s[8:9], 0x0
	s_branch .LBB730_12
.LBB730_10:
	s_mov_b64 s[12:13], 0
	s_branch .LBB730_2
.LBB730_11:
	s_mov_b32 s5, s2
.LBB730_12:
	s_load_dwordx2 s[24:25], s[0:1], 0x10
	s_load_dwordx4 s[8:11], s[0:1], 0x48
	v_cmp_ne_u32_e32 vcc, 3, v81
	s_mov_b32 s29, 0
	v_mov_b32_e32 v77, 0
	v_mov_b32_e32 v56, 0
	;; [unrolled: 1-line block ×5, first 2 shown]
	s_and_saveexec_b64 s[30:31], vcc
	s_cbranch_execz .LBB730_14
; %bb.13:
	s_load_dwordx2 s[36:37], s[0:1], 0x0
	s_waitcnt lgkmcnt(0)
	s_ashr_i32 s11, s8, 31
	s_mul_hi_u32 s17, s5, s8
	s_mul_i32 s11, s5, s11
	s_add_i32 s39, s17, s11
	s_mul_i32 s38, s5, s8
	s_lshl_b64 s[38:39], s[38:39], 1
	s_add_u32 s5, s36, s38
	s_mul_i32 s28, s4, 0x180
	s_addc_u32 s8, s37, s39
	s_lshl_b64 s[36:37], s[28:29], 1
	v_lshlrev_b32_e32 v3, 2, v1
	s_add_u32 s36, s5, s36
	v_and_b32_e32 v3, 0xf0, v3
	s_addc_u32 s37, s8, s37
	v_lshl_or_b32 v3, v81, 8, v3
	global_load_dwordx4 v[56:59], v3, s[36:37]
.LBB730_14:
	s_or_b64 exec, exec, s[30:31]
	s_waitcnt lgkmcnt(0)
	s_mul_i32 s28, s4, s10
	s_lshl_b64 s[4:5], s[28:29], 1
	s_add_u32 s10, s4, s26
	s_waitcnt vmcnt(2)
	v_mad_i64_i32 v[2:3], s[30:31], v2, s9, 0
	s_addc_u32 s11, s5, s27
	v_lshl_add_u64 v[32:33], v[2:3], 1, s[10:11]
	v_and_b32_e32 v2, 31, v0
	v_lshlrev_b32_e32 v76, 4, v2
	v_lshl_add_u64 v[28:29], v[32:33], 0, v[76:77]
	global_load_dwordx4 v[72:75], v[28:29], off
	global_load_dwordx4 v[68:71], v[28:29], off offset:512
	global_load_dwordx4 v[14:17], v[28:29], off offset:1024
	;; [unrolled: 1-line block ×7, first 2 shown]
	v_or_b32_e32 v28, 0x1000, v76
	v_mov_b32_e32 v29, v77
	v_lshl_add_u64 v[38:39], v[32:33], 0, v[28:29]
	v_or_b32_e32 v28, 0x1200, v76
	v_lshl_add_u64 v[40:41], v[32:33], 0, v[28:29]
	global_load_dwordx4 v[28:31], v[38:39], off
	global_load_dwordx4 v[34:37], v[40:41], off
	v_or_b32_e32 v38, 0x1400, v76
	v_mov_b32_e32 v39, v77
	v_lshl_add_u64 v[46:47], v[32:33], 0, v[38:39]
	v_or_b32_e32 v38, 0x1600, v76
	v_lshl_add_u64 v[48:49], v[32:33], 0, v[38:39]
	global_load_dwordx4 v[42:45], v[46:47], off
	global_load_dwordx4 v[38:41], v[48:49], off
	v_or_b32_e32 v46, 0x1800, v76
	v_mov_b32_e32 v47, v77
	v_lshl_add_u64 v[60:61], v[32:33], 0, v[46:47]
	v_or_b32_e32 v46, 0x1a00, v76
	v_or_b32_e32 v76, 0x1c00, v76
	v_mov_b32_e32 v27, 0x1e00
	v_lshl_add_u64 v[62:63], v[32:33], 0, v[46:47]
	v_lshl_add_u64 v[78:79], v[32:33], 0, v[76:77]
	v_lshl_or_b32 v76, v0, 4, v27
	global_load_dwordx4 v[50:53], v[60:61], off
	global_load_dwordx4 v[46:49], v[62:63], off
	v_lshl_add_u64 v[32:33], v[32:33], 0, v[76:77]
	global_load_dwordx4 v[64:67], v[78:79], off
	global_load_dwordx4 v[60:63], v[32:33], off
	v_mov_b32_e32 v79, 1.0
	s_and_saveexec_b64 s[10:11], vcc
	s_cbranch_execz .LBB730_16
; %bb.15:
	s_load_dwordx2 s[26:27], s[0:1], 0x40
	v_add_u32_e32 v78, s33, v81
	v_mov_b32_e32 v79, 0
	s_waitcnt lgkmcnt(0)
	v_lshl_add_u64 v[32:33], v[78:79], 2, s[26:27]
	global_load_dword v77, v[32:33], off
.LBB730_16:
	s_or_b64 exec, exec, s[10:11]
	s_waitcnt vmcnt(15)
	v_mfma_f32_4x4x4_16b_bf16 a[0:3], v[56:57], v[72:73], 0 cbsz:4
	s_load_dword s0, s[0:1], 0x1c
	v_mul_hi_i32 v27, v26, s9
	v_mfma_f32_4x4x4_16b_bf16 a[0:3], v[58:59], v[74:75], a[0:3] cbsz:4
	v_ashrrev_i32_e32 v27, 31, v27
	s_add_u32 s4, s24, s4
	s_waitcnt vmcnt(14)
	v_mfma_f32_4x4x4_16b_bf16 a[0:3], v[56:57], v[68:69], a[0:3] cbsz:4 abid:1
	v_mov_b32_e32 v69, 0
	v_lshrrev_b32_e32 v68, 29, v27
	v_mfma_f32_4x4x4_16b_bf16 a[0:3], v[58:59], v[70:71], a[0:3] cbsz:4 abid:1
	s_addc_u32 s5, s25, s5
	v_cmp_eq_u32_e32 vcc, 0, v81
	s_waitcnt vmcnt(13)
	v_mfma_f32_4x4x4_16b_bf16 a[0:3], v[56:57], v[14:15], a[0:3] cbsz:4 abid:2
	v_mad_i64_i32 v[14:15], s[10:11], v26, s9, v[68:69]
	s_nop 0
	v_mfma_f32_4x4x4_16b_bf16 a[0:3], v[58:59], v[16:17], a[0:3] cbsz:4 abid:2
	v_lshlrev_b32_e32 v68, 6, v1
	v_or_b32_e32 v70, 0x1000, v68
	s_waitcnt vmcnt(12)
	v_mfma_f32_4x4x4_16b_bf16 a[0:3], v[56:57], v[10:11], a[0:3] cbsz:4 abid:3
	v_lshlrev_b64 v[10:11], 1, v[14:15]
	v_and_b32_e32 v10, -16, v10
	v_mfma_f32_4x4x4_16b_bf16 a[0:3], v[58:59], v[12:13], a[0:3] cbsz:4 abid:3
	v_lshl_add_u64 v[26:27], s[4:5], 0, v[10:11]
	v_lshl_add_u64 v[32:33], v[26:27], 0, v[68:69]
	s_waitcnt vmcnt(11)
	v_mfma_f32_4x4x4_16b_bf16 a[0:3], v[56:57], v[6:7], a[0:3] cbsz:4 abid:4
	v_mov_b32_e32 v71, v69
	v_lshl_add_u64 v[72:73], v[26:27], 0, v[70:71]
	v_mfma_f32_4x4x4_16b_bf16 a[0:3], v[58:59], v[8:9], a[0:3] cbsz:4 abid:4
	s_waitcnt vmcnt(10)
	s_nop 0
	v_mfma_f32_4x4x4_16b_bf16 a[0:3], v[56:57], v[2:3], a[0:3] cbsz:4 abid:5
	s_nop 1
	v_mfma_f32_4x4x4_16b_bf16 a[0:3], v[58:59], v[4:5], a[0:3] cbsz:4 abid:5
	global_load_dwordx4 v[2:5], v[32:33], off
	global_load_dwordx4 v[6:9], v[32:33], off offset:16
	s_waitcnt vmcnt(11)
	v_mfma_f32_4x4x4_16b_bf16 a[0:3], v[56:57], v[22:23], a[0:3] cbsz:4 abid:6
	global_load_dwordx4 v[10:13], v[32:33], off offset:32
	global_load_dwordx4 v[14:17], v[32:33], off offset:48
	v_mfma_f32_4x4x4_16b_bf16 a[0:3], v[58:59], v[24:25], a[0:3] cbsz:4 abid:6
	s_waitcnt vmcnt(12)
	s_nop 0
	v_mfma_f32_4x4x4_16b_bf16 a[0:3], v[56:57], v[18:19], a[0:3] cbsz:4 abid:7
	s_nop 1
	v_mfma_f32_4x4x4_16b_bf16 a[0:3], v[58:59], v[20:21], a[0:3] cbsz:4 abid:7
	s_waitcnt vmcnt(11)
	s_nop 0
	v_mfma_f32_4x4x4_16b_bf16 a[0:3], v[56:57], v[28:29], a[0:3] cbsz:4 abid:8
	global_load_dwordx4 v[26:29], v[72:73], off
	global_load_dwordx4 v[18:21], v[72:73], off offset:16
	v_mfma_f32_4x4x4_16b_bf16 a[0:3], v[58:59], v[30:31], a[0:3] cbsz:4 abid:8
	global_load_dwordx4 v[22:25], v[72:73], off offset:32
	global_load_dwordx4 v[30:33], v[72:73], off offset:48
	s_waitcnt vmcnt(14)
	v_mfma_f32_4x4x4_16b_bf16 a[0:3], v[56:57], v[34:35], a[0:3] cbsz:4 abid:9
	v_mul_hi_i32 v34, v54, s9
	v_ashrrev_i32_e32 v34, 31, v34
	v_mfma_f32_4x4x4_16b_bf16 a[0:3], v[58:59], v[36:37], a[0:3] cbsz:4 abid:9
	v_lshrrev_b32_e32 v34, 29, v34
	v_mov_b32_e32 v35, v69
	s_waitcnt vmcnt(13)
	v_mfma_f32_4x4x4_16b_bf16 a[0:3], v[56:57], v[42:43], a[0:3] cbsz:4 abid:10
	v_mad_i64_i32 v[34:35], s[8:9], v54, s9, v[34:35]
	s_nop 0
	v_mfma_f32_4x4x4_16b_bf16 a[0:3], v[58:59], v[44:45], a[0:3] cbsz:4 abid:10
	v_lshlrev_b64 v[34:35], 1, v[34:35]
	v_and_b32_e32 v34, -16, v34
	s_waitcnt vmcnt(12)
	v_mfma_f32_4x4x4_16b_bf16 a[0:3], v[56:57], v[38:39], a[0:3] cbsz:4 abid:11
	v_mov_b32_e32 v73, 0xff7fffff
	s_nop 0
	v_mfma_f32_4x4x4_16b_bf16 a[0:3], v[58:59], v[40:41], a[0:3] cbsz:4 abid:11
	s_waitcnt vmcnt(11)
	s_nop 0
	v_mfma_f32_4x4x4_16b_bf16 a[0:3], v[56:57], v[50:51], a[0:3] cbsz:4 abid:12
	v_lshl_add_u64 v[50:51], s[4:5], 0, v[34:35]
	s_nop 0
	v_mfma_f32_4x4x4_16b_bf16 a[0:3], v[58:59], v[52:53], a[0:3] cbsz:4 abid:12
	v_lshl_add_u64 v[52:53], v[50:51], 0, v[68:69]
	s_waitcnt vmcnt(10)
	v_mfma_f32_4x4x4_16b_bf16 a[0:3], v[56:57], v[46:47], a[0:3] cbsz:4 abid:13
	s_nop 1
	v_mfma_f32_4x4x4_16b_bf16 a[0:3], v[58:59], v[48:49], a[0:3] cbsz:4 abid:13
	global_load_dwordx4 v[46:49], v[52:53], off
	global_load_dwordx4 v[34:37], v[52:53], off offset:16
	s_waitcnt vmcnt(11)
	v_mfma_f32_4x4x4_16b_bf16 a[0:3], v[56:57], v[64:65], a[0:3] cbsz:4 abid:14
	global_load_dwordx4 v[38:41], v[52:53], off offset:32
	global_load_dwordx4 v[42:45], v[52:53], off offset:48
	v_mfma_f32_4x4x4_16b_bf16 a[0:3], v[58:59], v[66:67], a[0:3] cbsz:4 abid:14
	v_lshl_add_u64 v[66:67], v[50:51], 0, v[70:71]
	s_waitcnt vmcnt(12)
	v_mfma_f32_4x4x4_16b_bf16 a[0:3], v[56:57], v[60:61], a[0:3] cbsz:4 abid:15
	global_load_dwordx4 v[50:53], v[66:67], off
	global_load_dwordx4 v[54:57], v[66:67], off offset:16
	v_mfma_f32_4x4x4_16b_bf16 a[0:3], v[58:59], v[62:63], a[0:3] cbsz:4 abid:15
	s_nop 4
	v_accvgpr_read_b32 v61, a1
	v_accvgpr_read_b32 v60, a0
	s_waitcnt lgkmcnt(0)
	v_pk_mul_f32 v[60:61], s[0:1], v[60:61] op_sel_hi:[0,1]
	v_accvgpr_read_b32 v59, a3
	v_accvgpr_read_b32 v58, a2
	v_pk_mul_f32 v[68:69], s[0:1], v[58:59] op_sel_hi:[0,1]
	v_cndmask_b32_e64 v58, 0, 1.0, vcc
	v_cmp_eq_u32_e32 vcc, 1, v81
	s_nop 0
	v_mfma_f32_4x4x1_16b_f32 a[0:3], v60, v58, 0
	v_cndmask_b32_e64 v58, 0, 1.0, vcc
	v_cmp_eq_u32_e32 vcc, 2, v81
	s_nop 0
	v_mfma_f32_4x4x1_16b_f32 a[0:3], v61, v58, a[0:3]
	v_cndmask_b32_e64 v58, 0, 1.0, vcc
	s_nop 1
	v_mfma_f32_4x4x1_16b_f32 a[0:3], v68, v58, a[0:3]
	global_load_dwordx4 v[58:61], v[66:67], off offset:32
	global_load_dwordx4 v[62:65], v[66:67], off offset:48
	v_and_b32_e32 v66, -4, v82
	v_subrev_u32_e32 v67, s3, v66
	v_add_u32_e32 v68, 1, v67
	v_mfma_f32_4x4x1_16b_f32 a[0:3], v69, v79, a[0:3]
	v_cvt_f32_i32_e32 v68, v68
	v_add_u32_e32 v69, 2, v67
	v_cvt_f32_i32_e32 v69, v69
	v_cmp_gt_i32_e32 vcc, s3, v66
	v_accvgpr_read_b32 v70, a0
	v_fma_f32 v68, v77, v68, v70
	v_accvgpr_read_b32 v70, a1
	v_fma_f32 v69, v77, v69, v70
	v_add_u32_e32 v70, 3, v67
	v_cvt_f32_i32_e32 v70, v70
	v_add_u32_e32 v67, 4, v67
	v_max_f32_e32 v72, 0xff7fffff, v68
	v_cvt_f32_i32_e32 v67, v67
	v_cndmask_b32_e32 v72, v73, v72, vcc
	v_or_b32_e32 v73, 1, v66
	v_accvgpr_read_b32 v71, a2
	v_max_f32_e32 v74, v72, v69
	v_cmp_gt_i32_e64 s[0:1], s3, v73
	v_fma_f32 v70, v77, v70, v71
	v_or_b32_e32 v66, 2, v66
	v_cndmask_b32_e64 v72, v72, v74, s[0:1]
	v_accvgpr_read_b32 v71, a3
	v_max_f32_e32 v73, v72, v70
	v_cmp_gt_i32_e64 s[4:5], s3, v66
	v_fmac_f32_e32 v71, v77, v67
	v_lshlrev_b32_e32 v67, 2, v0
	v_cndmask_b32_e64 v66, v72, v73, s[4:5]
	v_or_b32_e32 v72, 3, v82
	v_max_f32_e32 v73, v66, v71
	v_cmp_gt_i32_e64 s[8:9], s3, v72
	v_and_or_b32 v67, v67, 48, v81
	s_nop 0
	v_cndmask_b32_e64 v66, v66, v73, s[8:9]
	;;#ASMSTART
	v_nop
 v_nop
 v_max_f32_dpp v66, v66, v66 row_ror:4
	;;#ASMEND
	v_lshlrev_b32_e32 v73, 2, v67
	;;#ASMSTART
	v_nop
 v_nop
 v_max_f32_dpp v66, v66, v66 row_ror:8
	;;#ASMEND
	ds_bpermute_b32 v66, v73, v66
	s_waitcnt lgkmcnt(0)
	;;#ASMSTART
	v_nop
 v_nop
 v_max_f32_dpp v66, v66, v66 row_ror:4
	;;#ASMEND
	s_nop 0
	;;#ASMSTART
	v_nop
 v_nop
 v_max_f32_dpp v72, v66, v66 row_ror:8
	;;#ASMEND
	s_nop 0
	v_sub_f32_e32 v66, v68, v72
	v_mul_f32_e32 v66, 0x3fb8aa3b, v66
	v_sub_f32_e32 v67, v69, v72
	v_exp_f32_e32 v66, v66
	v_mul_f32_e32 v67, 0x3fb8aa3b, v67
	v_sub_f32_e32 v69, v70, v72
	v_exp_f32_e32 v67, v67
	;; [unrolled: 3-line block ×3, first 2 shown]
	v_mul_f32_e32 v70, 0x3fb8aa3b, v70
	v_exp_f32_e32 v70, v70
	v_cndmask_b32_e32 v66, 0, v66, vcc
	v_add_f32_e32 v68, 0, v66
	v_cndmask_b32_e64 v67, 0, v67, s[0:1]
	v_add_f32_e32 v71, v68, v67
	v_cndmask_b32_e64 v68, 0, v69, s[4:5]
	;; [unrolled: 2-line block ×3, first 2 shown]
	v_add_f32_e32 v70, v71, v69
	;;#ASMSTART
	v_nop
 v_nop
 v_add_f32_dpp v70, v70, v70 row_ror:4
	;;#ASMEND
	v_cmp_gt_u32_e32 vcc, 4, v1
	;;#ASMSTART
	v_nop
 v_nop
 v_add_f32_dpp v70, v70, v70 row_ror:8
	;;#ASMEND
	ds_bpermute_b32 v70, v73, v70
	s_waitcnt lgkmcnt(0)
	;;#ASMSTART
	v_nop
 v_nop
 v_add_f32_dpp v70, v70, v70 row_ror:4
	;;#ASMEND
	s_nop 0
	;;#ASMSTART
	v_nop
 v_nop
 v_add_f32_dpp v70, v70, v70 row_ror:8
	;;#ASMEND
	s_and_saveexec_b64 s[0:1], vcc
	s_cbranch_execz .LBB730_18
; %bb.17:
	v_mul_u32_u24_e32 v71, 20, v80
	v_lshl_add_u32 v71, v81, 2, v71
	v_add_u32_e32 v71, 0x1400, v71
	ds_write2_b32 v71, v72, v70 offset1:20
.LBB730_18:
	s_or_b64 exec, exec, s[0:1]
.LBB730_19:
	s_or_b64 exec, exec, s[22:23]
	s_waitcnt lgkmcnt(0)
	s_barrier
	s_load_dword s0, s[20:21], 0x8
	v_lshlrev_b32_e32 v70, 2, v81
	v_add_u32_e32 v73, 0x1400, v70
	ds_read2_b32 v[70:71], v73 offset1:5
	ds_read2_b32 v[76:77], v73 offset0:10 offset1:15
	s_mul_i32 s1, s2, s34
	s_waitcnt lgkmcnt(0)
	s_mul_i32 s0, s1, s0
	s_mov_b32 s1, 0xff7fffff
	v_max3_f32 v74, v70, s1, v71
	v_max3_f32 v74, v74, v76, v77
	v_sub_f32_e32 v70, v70, v74
	v_mul_f32_e32 v70, 0x3fb8aa3b, v70
	v_exp_f32_e32 v75, v70
	v_sub_f32_e32 v70, v71, v74
	ds_read2_b32 v[78:79], v73 offset0:20 offset1:25
	v_mul_f32_e32 v70, 0x3fb8aa3b, v70
	v_exp_f32_e32 v82, v70
	ds_read2_b32 v[70:71], v73 offset0:30 offset1:35
	v_sub_f32_e32 v73, v76, v74
	v_mul_f32_e32 v73, 0x3fb8aa3b, v73
	v_sub_f32_e32 v76, v77, v74
	v_exp_f32_e32 v73, v73
	v_mul_f32_e32 v76, 0x3fb8aa3b, v76
	v_exp_f32_e32 v76, v76
	s_waitcnt lgkmcnt(1)
	v_fma_f32 v75, v75, v78, 0
	v_fmac_f32_e32 v75, v82, v79
	s_waitcnt lgkmcnt(0)
	v_fmac_f32_e32 v75, v73, v70
	s_mul_i32 s0, s0, 3
	v_fmac_f32_e32 v75, v76, v71
	v_cmp_ne_u32_e32 vcc, 3, v81
	s_and_saveexec_b64 s[2:3], vcc
	s_cbranch_execz .LBB730_21
; %bb.20:
	s_mov_b32 s1, 0
	s_lshl_b64 s[4:5], s[0:1], 2
	s_add_u32 s10, s12, s4
	s_mov_b32 s17, s1
	s_addc_u32 s11, s13, s5
	s_lshl_b64 s[8:9], s[16:17], 2
	s_add_u32 s10, s10, s8
	s_addc_u32 s11, s11, s9
	s_add_u32 s1, s14, s4
	s_addc_u32 s5, s15, s5
	v_add_u32_e32 v70, s33, v81
	s_add_u32 s4, s1, s8
	v_mul_lo_u32 v70, s34, v70
	v_mov_b32_e32 v71, 0
	s_addc_u32 s5, s5, s9
	v_lshlrev_b64 v[70:71], 2, v[70:71]
	v_lshl_add_u64 v[76:77], s[10:11], 0, v[70:71]
	v_lshl_add_u64 v[70:71], s[4:5], 0, v[70:71]
	global_store_dword v[70:71], v74, off
	global_store_dword v[76:77], v75, off
.LBB730_21:
	s_or_b64 exec, exec, s[2:3]
	v_lshlrev_b32_e32 v73, 3, v80
                                        ; implicit-def: $sgpr1
	s_and_saveexec_b64 s[2:3], s[6:7]
	s_xor_b64 s[2:3], exec, s[2:3]
	s_cbranch_execz .LBB730_23
; %bb.22:
	s_waitcnt vmcnt(15)
	v_mov_b32_e32 v2, 0
	v_mad_u32_u24 v4, v1, 40, v73
	s_mov_b32 s1, 0
	v_mov_b32_e32 v3, v2
	ds_write_b64 v4, v[2:3]
                                        ; implicit-def: $vgpr69
                                        ; implicit-def: $vgpr67
                                        ; implicit-def: $vgpr3
                                        ; implicit-def: $vgpr7
                                        ; implicit-def: $vgpr11
                                        ; implicit-def: $vgpr15
                                        ; implicit-def: $vgpr47
                                        ; implicit-def: $vgpr35
                                        ; implicit-def: $vgpr39
                                        ; implicit-def: $vgpr43
                                        ; implicit-def: $vgpr27
                                        ; implicit-def: $vgpr19
                                        ; implicit-def: $vgpr23
                                        ; implicit-def: $vgpr31
                                        ; implicit-def: $vgpr51
                                        ; implicit-def: $vgpr55
                                        ; implicit-def: $vgpr59
                                        ; implicit-def: $vgpr63
                                        ; implicit-def: $vgpr72
                                        ; implicit-def: $vgpr74
                                        ; implicit-def: $vgpr75
.LBB730_23:
	s_or_saveexec_b64 s[2:3], s[2:3]
	v_mov_b32_e32 v70, s1
	v_mov_b32_e32 v71, s1
	s_xor_b64 exec, exec, s[2:3]
	s_cbranch_execz .LBB730_25
; %bb.24:
	v_add_f32_e32 v70, 0x358637bd, v75
	v_div_scale_f32 v71, s[4:5], v70, v70, 1.0
	v_rcp_f32_e32 v75, v71
	v_sub_f32_e32 v72, v72, v74
	v_mul_f32_e32 v72, 0x3fb8aa3b, v72
	v_exp_f32_e32 v72, v72
	v_fma_f32 v74, -v71, v75, 1.0
	v_fmac_f32_e32 v75, v74, v75
	v_div_scale_f32 v74, vcc, 1.0, v70, 1.0
	v_mul_f32_e32 v76, v74, v75
	v_fma_f32 v77, -v71, v76, v74
	v_fmac_f32_e32 v76, v77, v75
	v_fma_f32 v71, -v71, v76, v74
	v_div_fmas_f32 v71, v71, v75, v76
	v_div_fixup_f32 v70, v71, v70, 1.0
	v_mul_f32_e32 v70, v72, v70
	v_pk_mul_f32 v[66:67], v[66:67], v[70:71] op_sel_hi:[1,0]
	v_pk_mul_f32 v[68:69], v[68:69], v[70:71] op_sel_hi:[1,0]
	v_bfe_u32 v70, v67, 16, 1
	v_bfe_u32 v71, v66, 16, 1
	s_movk_i32 s1, 0x7fff
	v_add3_u32 v66, v66, v71, s1
	v_add3_u32 v67, v67, v70, s1
	s_mov_b32 s4, 0x7060302
	v_perm_b32 v66, v67, v66, s4
	v_bfe_u32 v67, v69, 16, 1
	v_bfe_u32 v70, v68, 16, 1
	v_add3_u32 v68, v68, v70, s1
	v_add3_u32 v67, v69, v67, s1
	v_perm_b32 v67, v67, v68, s4
	s_waitcnt vmcnt(15)
	s_nop 0
	v_mfma_f32_4x4x4_16b_bf16 a[0:3], v[66:67], v[2:3], 0 cbsz:4
	s_nop 1
	v_mfma_f32_4x4x4_16b_bf16 a[0:3], v[66:67], v[4:5], a[0:3] cbsz:4 abid:1
	s_waitcnt vmcnt(11)
	v_mfma_f32_4x4x4_16b_bf16 a[4:7], v[66:67], v[26:27], 0 cbsz:4
	v_mfma_f32_4x4x4_16b_bf16 a[0:3], v[66:67], v[6:7], a[0:3] cbsz:4 abid:2
	s_nop 0
	v_mfma_f32_4x4x4_16b_bf16 a[4:7], v[66:67], v[28:29], a[4:7] cbsz:4 abid:1
	v_mfma_f32_4x4x4_16b_bf16 a[0:3], v[66:67], v[8:9], a[0:3] cbsz:4 abid:3
	s_waitcnt vmcnt(10)
	v_mfma_f32_4x4x4_16b_bf16 a[4:7], v[66:67], v[18:19], a[4:7] cbsz:4 abid:2
	v_mfma_f32_4x4x4_16b_bf16 a[0:3], v[66:67], v[10:11], a[0:3] cbsz:4 abid:4
	s_nop 1
	v_mfma_f32_4x4x4_16b_bf16 a[0:3], v[66:67], v[12:13], a[0:3] cbsz:4 abid:5
	s_nop 1
	;; [unrolled: 2-line block ×3, first 2 shown]
	v_mfma_f32_4x4x4_16b_bf16 a[0:3], v[66:67], v[16:17], a[0:3] cbsz:4 abid:7
	s_waitcnt vmcnt(7)
	s_nop 0
	v_mfma_f32_4x4x4_16b_bf16 a[0:3], v[66:67], v[46:47], a[0:3] cbsz:4 abid:8
	s_nop 1
	v_mfma_f32_4x4x4_16b_bf16 a[0:3], v[66:67], v[48:49], a[0:3] cbsz:4 abid:9
	s_waitcnt vmcnt(6)
	s_nop 0
	v_mfma_f32_4x4x4_16b_bf16 a[0:3], v[66:67], v[34:35], a[0:3] cbsz:4 abid:10
	s_nop 1
	;; [unrolled: 5-line block ×4, first 2 shown]
	v_mfma_f32_4x4x4_16b_bf16 a[0:3], v[66:67], v[44:45], a[0:3] cbsz:4 abid:15
	s_nop 4
	v_accvgpr_read_b32 v3, a2
	v_accvgpr_read_b32 v4, a3
	;; [unrolled: 1-line block ×4, first 2 shown]
	v_mfma_f32_4x4x4_16b_bf16 a[0:3], v[66:67], v[20:21], a[4:7] cbsz:4 abid:3
	v_bfe_u32 v6, v5, 16, 1
	v_bfe_u32 v7, v2, 16, 1
	v_mfma_f32_4x4x4_16b_bf16 a[0:3], v[66:67], v[22:23], a[0:3] cbsz:4 abid:4
	v_add3_u32 v2, v2, v7, s1
	v_add3_u32 v5, v5, v6, s1
	v_mfma_f32_4x4x4_16b_bf16 a[0:3], v[66:67], v[24:25], a[0:3] cbsz:4 abid:5
	v_perm_b32 v2, v5, v2, s4
	v_bfe_u32 v5, v4, 16, 1
	v_mfma_f32_4x4x4_16b_bf16 a[0:3], v[66:67], v[30:31], a[0:3] cbsz:4 abid:6
	v_bfe_u32 v6, v3, 16, 1
	v_add3_u32 v3, v3, v6, s1
	v_mfma_f32_4x4x4_16b_bf16 a[0:3], v[66:67], v[32:33], a[0:3] cbsz:4 abid:7
	v_add3_u32 v4, v4, v5, s1
	v_perm_b32 v3, v4, v3, s4
	s_waitcnt vmcnt(3)
	v_mfma_f32_4x4x4_16b_bf16 a[0:3], v[66:67], v[50:51], a[0:3] cbsz:4 abid:8
	v_mad_u32_u24 v4, v1, 40, v73
	ds_write_b64 v4, v[2:3]
	v_mfma_f32_4x4x4_16b_bf16 a[0:3], v[66:67], v[52:53], a[0:3] cbsz:4 abid:9
	s_waitcnt vmcnt(2)
	s_nop 0
	v_mfma_f32_4x4x4_16b_bf16 a[0:3], v[66:67], v[54:55], a[0:3] cbsz:4 abid:10
	s_nop 1
	v_mfma_f32_4x4x4_16b_bf16 a[0:3], v[66:67], v[56:57], a[0:3] cbsz:4 abid:11
	s_waitcnt vmcnt(1)
	s_nop 0
	v_mfma_f32_4x4x4_16b_bf16 a[0:3], v[66:67], v[58:59], a[0:3] cbsz:4 abid:12
	s_nop 1
	v_mfma_f32_4x4x4_16b_bf16 a[0:3], v[66:67], v[60:61], a[0:3] cbsz:4 abid:13
	s_waitcnt vmcnt(0)
	s_nop 0
	v_mfma_f32_4x4x4_16b_bf16 a[0:3], v[66:67], v[62:63], a[0:3] cbsz:4 abid:14
	s_nop 1
	v_mfma_f32_4x4x4_16b_bf16 a[0:3], v[66:67], v[64:65], a[0:3] cbsz:4 abid:15
	s_nop 4
	v_accvgpr_read_b32 v4, a0
	v_accvgpr_read_b32 v5, a1
	;; [unrolled: 1-line block ×4, first 2 shown]
	v_bfe_u32 v6, v5, 16, 1
	v_bfe_u32 v7, v4, 16, 1
	v_add3_u32 v4, v4, v7, s1
	v_add3_u32 v5, v5, v6, s1
	v_bfe_u32 v6, v3, 16, 1
	v_bfe_u32 v7, v2, 16, 1
	v_add3_u32 v2, v2, v7, s1
	v_add3_u32 v3, v3, v6, s1
	v_perm_b32 v71, v3, v2, s4
	v_perm_b32 v70, v5, v4, s4
.LBB730_25:
	s_or_b64 exec, exec, s[2:3]
	s_waitcnt vmcnt(15)
	v_mad_u32_u24 v2, v1, 40, v73
	v_cmp_gt_u32_e32 vcc, 64, v0
	ds_write_b64 v2, v[70:71] offset:2560
	s_waitcnt lgkmcnt(0)
	s_barrier
	s_and_saveexec_b64 s[2:3], vcc
	s_cbranch_execz .LBB730_27
; %bb.26:
	s_waitcnt vmcnt(14)
	v_mul_u32_u24_e32 v6, 40, v1
	ds_read2_b64 v[2:5], v6 offset1:1
	ds_read2_b64 v[6:9], v6 offset0:2 offset1:3
	s_mov_b32 s1, 0
	s_lshl_b32 s0, s0, 7
	s_lshl_b64 s[2:3], s[0:1], 1
	s_waitcnt vmcnt(13) lgkmcnt(1)
	v_and_b32_e32 v10, 0xffff0000, v2
	v_lshlrev_b32_e32 v3, 16, v3
	v_add_f32_e32 v10, 0, v10
	v_add_f32_e32 v3, 0, v3
	v_and_b32_e32 v10, 0xffff0000, v10
	v_and_b32_e32 v11, 0xffff0000, v4
	;; [unrolled: 1-line block ×3, first 2 shown]
	v_add_f32_e32 v10, v10, v11
	v_lshlrev_b32_e32 v5, 16, v5
	v_and_b32_e32 v10, 0xffff0000, v10
	v_add_f32_e32 v3, v3, v5
	s_waitcnt lgkmcnt(0)
	v_and_b32_e32 v5, 0xffff0000, v6
	v_and_b32_e32 v3, 0xffff0000, v3
	v_add_f32_e32 v5, v10, v5
	v_lshlrev_b32_e32 v7, 16, v7
	v_and_b32_e32 v5, 0xffff0000, v5
	v_add_f32_e32 v3, v3, v7
	v_and_b32_e32 v7, 0xffff0000, v8
	s_waitcnt vmcnt(10)
	v_add_f32_e32 v18, v5, v7
	v_mov_b32_e32 v7, 0xa00
	v_mad_u32_u24 v7, v1, 40, v7
	ds_read2_b64 v[10:13], v7 offset1:1
	v_and_b32_e32 v3, 0xffff0000, v3
	v_lshlrev_b32_e32 v5, 16, v9
	v_add_f32_e32 v9, v3, v5
	v_mov_b32_e32 v3, 0xa10
	v_mad_u32_u24 v1, v1, 40, v3
	ds_read2_b64 v[14:17], v1 offset1:1
	s_waitcnt lgkmcnt(1)
	v_lshlrev_b32_e32 v1, 16, v10
	v_add_f32_e32 v1, 0, v1
	v_and_b32_e32 v3, 0xffff0000, v10
	v_and_b32_e32 v1, 0xffff0000, v1
	v_add_f32_e32 v3, 0, v3
	v_lshlrev_b32_e32 v5, 16, v11
	v_lshlrev_b32_e32 v7, 16, v12
	v_and_b32_e32 v3, 0xffff0000, v3
	v_add_f32_e32 v5, 0, v5
	v_add_f32_e32 v1, v1, v7
	v_and_b32_e32 v7, 0xffff0000, v12
	v_and_b32_e32 v5, 0xffff0000, v5
	v_add_f32_e32 v3, v3, v7
	v_lshlrev_b32_e32 v7, 16, v13
	v_and_b32_e32 v1, 0xffff0000, v1
	v_add_f32_e32 v5, v5, v7
	s_waitcnt lgkmcnt(0)
	v_lshlrev_b32_e32 v7, 16, v14
	v_and_b32_e32 v3, 0xffff0000, v3
	v_add_f32_e32 v1, v1, v7
	v_and_b32_e32 v7, 0xffff0000, v14
	v_and_b32_e32 v5, 0xffff0000, v5
	v_add_f32_e32 v3, v3, v7
	v_lshlrev_b32_e32 v7, 16, v15
	v_and_b32_e32 v1, 0xffff0000, v1
	v_add_f32_e32 v5, v5, v7
	v_lshlrev_b32_e32 v7, 16, v16
	v_and_b32_e32 v3, 0xffff0000, v3
	v_add_f32_e32 v10, v1, v7
	v_and_b32_e32 v1, 0xffff0000, v16
	v_and_b32_e32 v5, 0xffff0000, v5
	v_add_f32_e32 v11, v3, v1
	v_lshlrev_b32_e32 v1, 16, v17
	v_add_f32_e32 v12, v5, v1
	v_lshlrev_b32_e32 v1, 16, v2
	s_add_u32 s2, s18, s2
	v_add_f32_e32 v1, 0, v1
	s_addc_u32 s3, s19, s3
	s_lshl_b32 s0, s16, 7
	v_and_b32_e32 v1, 0xffff0000, v1
	v_lshlrev_b32_e32 v2, 16, v4
	s_lshl_b64 s[0:1], s[0:1], 1
	v_add_f32_e32 v1, v1, v2
	s_add_u32 s0, s2, s0
	v_and_b32_e32 v1, 0xffff0000, v1
	v_lshlrev_b32_e32 v2, 16, v6
	s_addc_u32 s1, s3, s1
	s_lshl_b32 s2, s34, 7
	v_add_f32_e32 v1, v1, v2
	v_and_b32_e32 v1, 0xffff0000, v1
	v_lshlrev_b32_e32 v2, 16, v8
	s_mul_i32 s3, s2, s33
	v_add_f32_e32 v1, v1, v2
	v_or_b32_e32 v2, s3, v0
	v_mov_b32_e32 v3, 0
	s_add_i32 s3, s3, s2
	v_lshl_add_u64 v[4:5], v[2:3], 1, s[0:1]
	v_or_b32_e32 v2, s3, v0
	s_add_i32 s3, s3, s2
	v_lshl_add_u64 v[6:7], v[2:3], 1, s[0:1]
	v_or_b32_e32 v2, s3, v0
	global_store_short_d16_hi v[4:5], v1, off
	v_lshl_add_u64 v[0:1], v[2:3], 1, s[0:1]
	global_store_short_d16_hi v[6:7], v18, off
	global_store_short_d16_hi v[0:1], v9, off
	global_store_short_d16_hi v[4:5], v10, off offset:128
	global_store_short_d16_hi v[6:7], v11, off offset:128
	;; [unrolled: 1-line block ×3, first 2 shown]
.LBB730_27:
	s_endpgm
	.section	.rodata,"a",@progbits
	.p2align	6, 0x0
	.amdhsa_kernel _Z38paged_attention_ll4mi_QKV_mfma4_kernelI14__hip_bfloat16S0_LN4vllm18Fp8KVCacheDataTypeE0ES0_Li32ELi128ELi256ELb1ELi3EEvPKT_PKT0_S8_ifPKiSA_SA_iPKfiiiPfSD_PS3_PT2_iSC_SC_
		.amdhsa_group_segment_fixed_size 5280
		.amdhsa_private_segment_fixed_size 0
		.amdhsa_kernarg_size 400
		.amdhsa_user_sgpr_count 2
		.amdhsa_user_sgpr_dispatch_ptr 0
		.amdhsa_user_sgpr_queue_ptr 0
		.amdhsa_user_sgpr_kernarg_segment_ptr 1
		.amdhsa_user_sgpr_dispatch_id 0
		.amdhsa_user_sgpr_kernarg_preload_length 0
		.amdhsa_user_sgpr_kernarg_preload_offset 0
		.amdhsa_user_sgpr_private_segment_size 0
		.amdhsa_uses_dynamic_stack 0
		.amdhsa_enable_private_segment 0
		.amdhsa_system_sgpr_workgroup_id_x 1
		.amdhsa_system_sgpr_workgroup_id_y 1
		.amdhsa_system_sgpr_workgroup_id_z 1
		.amdhsa_system_sgpr_workgroup_info 0
		.amdhsa_system_vgpr_workitem_id 0
		.amdhsa_next_free_vgpr 92
		.amdhsa_next_free_sgpr 40
		.amdhsa_accum_offset 84
		.amdhsa_reserve_vcc 1
		.amdhsa_float_round_mode_32 0
		.amdhsa_float_round_mode_16_64 0
		.amdhsa_float_denorm_mode_32 3
		.amdhsa_float_denorm_mode_16_64 3
		.amdhsa_dx10_clamp 1
		.amdhsa_ieee_mode 1
		.amdhsa_fp16_overflow 0
		.amdhsa_tg_split 0
		.amdhsa_exception_fp_ieee_invalid_op 0
		.amdhsa_exception_fp_denorm_src 0
		.amdhsa_exception_fp_ieee_div_zero 0
		.amdhsa_exception_fp_ieee_overflow 0
		.amdhsa_exception_fp_ieee_underflow 0
		.amdhsa_exception_fp_ieee_inexact 0
		.amdhsa_exception_int_div_zero 0
	.end_amdhsa_kernel
	.section	.text._Z38paged_attention_ll4mi_QKV_mfma4_kernelI14__hip_bfloat16S0_LN4vllm18Fp8KVCacheDataTypeE0ES0_Li32ELi128ELi256ELb1ELi3EEvPKT_PKT0_S8_ifPKiSA_SA_iPKfiiiPfSD_PS3_PT2_iSC_SC_,"axG",@progbits,_Z38paged_attention_ll4mi_QKV_mfma4_kernelI14__hip_bfloat16S0_LN4vllm18Fp8KVCacheDataTypeE0ES0_Li32ELi128ELi256ELb1ELi3EEvPKT_PKT0_S8_ifPKiSA_SA_iPKfiiiPfSD_PS3_PT2_iSC_SC_,comdat
.Lfunc_end730:
	.size	_Z38paged_attention_ll4mi_QKV_mfma4_kernelI14__hip_bfloat16S0_LN4vllm18Fp8KVCacheDataTypeE0ES0_Li32ELi128ELi256ELb1ELi3EEvPKT_PKT0_S8_ifPKiSA_SA_iPKfiiiPfSD_PS3_PT2_iSC_SC_, .Lfunc_end730-_Z38paged_attention_ll4mi_QKV_mfma4_kernelI14__hip_bfloat16S0_LN4vllm18Fp8KVCacheDataTypeE0ES0_Li32ELi128ELi256ELb1ELi3EEvPKT_PKT0_S8_ifPKiSA_SA_iPKfiiiPfSD_PS3_PT2_iSC_SC_
                                        ; -- End function
	.section	.AMDGPU.csdata,"",@progbits
; Kernel info:
; codeLenInByte = 4440
; NumSgprs: 46
; NumVgprs: 83
; NumAgprs: 8
; TotalNumVgprs: 92
; ScratchSize: 0
; MemoryBound: 0
; FloatMode: 240
; IeeeMode: 1
; LDSByteSize: 5280 bytes/workgroup (compile time only)
; SGPRBlocks: 5
; VGPRBlocks: 11
; NumSGPRsForWavesPerEU: 46
; NumVGPRsForWavesPerEU: 92
; AccumOffset: 84
; Occupancy: 5
; WaveLimiterHint : 1
; COMPUTE_PGM_RSRC2:SCRATCH_EN: 0
; COMPUTE_PGM_RSRC2:USER_SGPR: 2
; COMPUTE_PGM_RSRC2:TRAP_HANDLER: 0
; COMPUTE_PGM_RSRC2:TGID_X_EN: 1
; COMPUTE_PGM_RSRC2:TGID_Y_EN: 1
; COMPUTE_PGM_RSRC2:TGID_Z_EN: 1
; COMPUTE_PGM_RSRC2:TIDIG_COMP_CNT: 0
; COMPUTE_PGM_RSRC3_GFX90A:ACCUM_OFFSET: 20
; COMPUTE_PGM_RSRC3_GFX90A:TG_SPLIT: 0
	.section	.text._Z38paged_attention_ll4mi_QKV_mfma4_kernelI14__hip_bfloat16S0_LN4vllm18Fp8KVCacheDataTypeE0ES0_Li32ELi128ELi256ELb1ELi4EEvPKT_PKT0_S8_ifPKiSA_SA_iPKfiiiPfSD_PS3_PT2_iSC_SC_,"axG",@progbits,_Z38paged_attention_ll4mi_QKV_mfma4_kernelI14__hip_bfloat16S0_LN4vllm18Fp8KVCacheDataTypeE0ES0_Li32ELi128ELi256ELb1ELi4EEvPKT_PKT0_S8_ifPKiSA_SA_iPKfiiiPfSD_PS3_PT2_iSC_SC_,comdat
	.protected	_Z38paged_attention_ll4mi_QKV_mfma4_kernelI14__hip_bfloat16S0_LN4vllm18Fp8KVCacheDataTypeE0ES0_Li32ELi128ELi256ELb1ELi4EEvPKT_PKT0_S8_ifPKiSA_SA_iPKfiiiPfSD_PS3_PT2_iSC_SC_ ; -- Begin function _Z38paged_attention_ll4mi_QKV_mfma4_kernelI14__hip_bfloat16S0_LN4vllm18Fp8KVCacheDataTypeE0ES0_Li32ELi128ELi256ELb1ELi4EEvPKT_PKT0_S8_ifPKiSA_SA_iPKfiiiPfSD_PS3_PT2_iSC_SC_
	.globl	_Z38paged_attention_ll4mi_QKV_mfma4_kernelI14__hip_bfloat16S0_LN4vllm18Fp8KVCacheDataTypeE0ES0_Li32ELi128ELi256ELb1ELi4EEvPKT_PKT0_S8_ifPKiSA_SA_iPKfiiiPfSD_PS3_PT2_iSC_SC_
	.p2align	8
	.type	_Z38paged_attention_ll4mi_QKV_mfma4_kernelI14__hip_bfloat16S0_LN4vllm18Fp8KVCacheDataTypeE0ES0_Li32ELi128ELi256ELb1ELi4EEvPKT_PKT0_S8_ifPKiSA_SA_iPKfiiiPfSD_PS3_PT2_iSC_SC_,@function
_Z38paged_attention_ll4mi_QKV_mfma4_kernelI14__hip_bfloat16S0_LN4vllm18Fp8KVCacheDataTypeE0ES0_Li32ELi128ELi256ELb1ELi4EEvPKT_PKT0_S8_ifPKiSA_SA_iPKfiiiPfSD_PS3_PT2_iSC_SC_: ; @_Z38paged_attention_ll4mi_QKV_mfma4_kernelI14__hip_bfloat16S0_LN4vllm18Fp8KVCacheDataTypeE0ES0_Li32ELi128ELi256ELb1ELi4EEvPKT_PKT0_S8_ifPKiSA_SA_iPKfiiiPfSD_PS3_PT2_iSC_SC_
; %bb.0:
	s_load_dwordx2 s[8:9], s[0:1], 0x30
	s_mov_b32 s20, s3
	s_mov_b64 s[6:7], 0
	s_waitcnt lgkmcnt(0)
	s_cmp_lg_u64 s[8:9], 0
	s_cselect_b64 s[10:11], -1, 0
	s_and_b64 vcc, exec, s[10:11]
	s_cbranch_vccz .LBB731_20
; %bb.1:
	s_add_i32 s12, s2, 1
	s_mov_b32 s13, 0
	s_lshl_b64 s[14:15], s[12:13], 2
	s_add_u32 s14, s8, s14
	s_mov_b32 s3, s13
	s_addc_u32 s15, s9, s15
	s_lshl_b64 s[12:13], s[2:3], 2
	s_add_u32 s12, s8, s12
	s_addc_u32 s13, s9, s13
	s_load_dword s5, s[14:15], 0x0
	s_load_dword s16, s[12:13], 0x0
	s_mov_b64 s[34:35], s[2:3]
	s_waitcnt lgkmcnt(0)
	s_sub_i32 s5, s5, s16
	s_cmp_eq_u32 s5, 1
	s_cselect_b64 s[12:13], -1, 0
	s_andn2_b64 vcc, exec, s[6:7]
	s_cbranch_vccnz .LBB731_3
.LBB731_2:
	s_mov_b32 s3, 0
	s_mov_b64 s[12:13], -1
	s_mov_b64 s[34:35], s[2:3]
.LBB731_3:
	s_andn2_b64 vcc, exec, s[12:13]
	s_cbranch_vccnz .LBB731_19
; %bb.4:
	s_load_dword s3, s[0:1], 0x9c
	s_load_dwordx2 s[6:7], s[0:1], 0x28
	s_add_u32 s24, s0, 0x90
	s_addc_u32 s25, s1, 0
	s_lshl_b64 s[36:37], s[34:35], 2
	s_waitcnt lgkmcnt(0)
	s_and_b32 s5, s3, 0xffff
	s_add_u32 s6, s6, s36
	s_addc_u32 s7, s7, s37
	s_load_dword s3, s[6:7], 0x0
	s_mul_i32 s5, s20, s5
	s_waitcnt lgkmcnt(0)
	s_cmp_ge_i32 s5, s3
	s_cbranch_scc1 .LBB731_19
; %bb.5:
	v_and_b32_e32 v1, 0xc0, v0
	v_and_b32_e32 v73, 3, v0
	s_lshl_b32 s33, s4, 2
	v_add_u32_e32 v2, s5, v1
	v_lshrrev_b32_e32 v72, 6, v0
	v_cmp_le_i32_e64 s[6:7], s3, v2
	v_or_b32_e32 v66, s33, v73
                                        ; implicit-def: $sgpr17
                                        ; implicit-def: $sgpr16
	s_and_saveexec_b64 s[12:13], s[6:7]
	s_xor_b64 s[12:13], exec, s[12:13]
	s_cbranch_execz .LBB731_7
; %bb.6:
	v_mul_u32_u24_e32 v1, 20, v72
	v_or_b32_e32 v1, 0x1400, v1
	v_mov_b32_e32 v2, 0x1450
	v_mov_b32_e32 v3, 0xff7fffff
	v_mad_u32_u24 v2, v72, 20, v2
	ds_write2_b32 v1, v3, v3 offset1:1
	v_mov_b32_e32 v1, 0
	ds_write2_b32 v2, v1, v1 offset1:1
	v_mov_b32_e32 v2, 0x1408
	s_mov_b32 s16, 0xff7fffff
	s_mov_b32 s17, 0
	v_mad_u32_u24 v2, v72, 20, v2
	v_mov_b32_e32 v4, 0x1458
	v_or_b32_e32 v66, s33, v73
	v_mad_u32_u24 v4, v72, 20, v4
	ds_write2_b32 v2, v3, v3 offset1:1
	ds_write2_b32 v4, v1, v1 offset1:1
                                        ; implicit-def: $vgpr2
.LBB731_7:
	s_or_saveexec_b64 s[26:27], s[12:13]
	s_load_dwordx2 s[22:23], s[0:1], 0x68
	s_load_dwordx4 s[12:15], s[0:1], 0x58
	s_load_dword s40, s[24:25], 0x4
	v_and_b32_e32 v1, 63, v0
	v_mov_b32_e32 v71, s17
	v_mov_b32_e32 v74, s16
	;; [unrolled: 1-line block ×5, first 2 shown]
                                        ; implicit-def: $vgpr35
                                        ; implicit-def: $vgpr39
                                        ; implicit-def: $vgpr47
                                        ; implicit-def: $vgpr59
                                        ; implicit-def: $vgpr15
                                        ; implicit-def: $vgpr3
                                        ; implicit-def: $vgpr7
                                        ; implicit-def: $vgpr11
                                        ; implicit-def: $vgpr55
                                        ; implicit-def: $vgpr43
                                        ; implicit-def: $vgpr51
                                        ; implicit-def: $vgpr63
                                        ; implicit-def: $vgpr19
                                        ; implicit-def: $vgpr23
                                        ; implicit-def: $vgpr27
                                        ; implicit-def: $vgpr31
	s_xor_b64 exec, exec, s[26:27]
	s_cbranch_execz .LBB731_13
; %bb.8:
	s_add_i32 s19, s3, 31
	s_load_dwordx2 s[16:17], s[0:1], 0x20
	s_load_dword s18, s[0:1], 0x38
	s_ashr_i32 s21, s19, 31
	s_lshr_b32 s21, s21, 27
	v_add_u32_e32 v68, s5, v0
	s_add_i32 s19, s19, s21
	v_ashrrev_i32_e32 v3, 31, v68
	s_ashr_i32 s19, s19, 5
	v_lshrrev_b32_e32 v3, 27, v3
	s_add_i32 s21, s19, -1
	v_add_u32_e32 v3, v68, v3
	s_waitcnt lgkmcnt(0)
	s_mul_i32 s38, s2, s18
	s_mov_b32 s39, 0
	v_ashrrev_i32_e32 v3, 5, v3
	v_mov_b32_e32 v4, s21
	v_cmp_gt_i32_e32 vcc, s3, v68
	s_lshl_b64 s[18:19], s[38:39], 2
	s_add_u32 s16, s16, s18
	v_cndmask_b32_e32 v4, v4, v3, vcc
	v_ashrrev_i32_e32 v3, 31, v2
	v_lshrrev_b32_e32 v3, 27, v3
	s_addc_u32 s17, s17, s19
	v_ashrrev_i32_e32 v5, 31, v4
	v_add_u32_e32 v2, v2, v3
	v_lshl_add_u64 v[6:7], v[4:5], 2, s[16:17]
	v_ashrrev_i32_e32 v4, 5, v2
	v_min_i32_e32 v2, s21, v4
	v_ashrrev_i32_e32 v3, 31, v2
	v_lshl_add_u64 v[8:9], v[2:3], 2, s[16:17]
	v_add_u32_e32 v2, 1, v4
	v_min_i32_e32 v2, s21, v2
	v_ashrrev_i32_e32 v3, 31, v2
	v_lshl_add_u64 v[10:11], v[2:3], 2, s[16:17]
	global_load_dword v2, v[6:7], off
	global_load_dword v4, v[8:9], off
	global_load_dword v5, v[10:11], off
	s_load_dwordx2 s[30:31], s[0:1], 0x40
	s_load_dwordx4 s[16:19], s[0:1], 0x0
	s_load_dwordx2 s[28:29], s[0:1], 0x10
	s_andn2_b64 vcc, exec, s[10:11]
	s_cbranch_vccnz .LBB731_10
; %bb.9:
	s_add_u32 s8, s8, s36
	s_addc_u32 s9, s9, s37
	s_load_dword s38, s[8:9], 0x0
	s_waitcnt lgkmcnt(0)
	s_mov_b64 s[34:35], s[38:39]
.LBB731_10:
	s_load_dwordx4 s[8:11], s[0:1], 0x48
	v_lshlrev_b32_e32 v3, 2, v1
	v_and_b32_e32 v3, 0xf0, v3
	v_lshl_or_b32 v3, v73, 8, v3
	v_and_b32_e32 v6, 31, v0
	s_waitcnt lgkmcnt(0)
	s_ashr_i32 s5, s8, 31
	s_mul_hi_u32 s11, s34, s8
	s_mul_i32 s5, s34, s5
	s_mul_i32 s21, s35, s8
	s_add_i32 s5, s11, s5
	s_mul_i32 s36, s34, s8
	s_add_i32 s37, s5, s21
	s_lshl_b64 s[34:35], s[36:37], 1
	s_add_u32 s5, s16, s34
	s_addc_u32 s8, s17, s35
	s_lshl_b32 s38, s4, 9
	s_lshl_b64 s[16:17], s[38:39], 1
	s_add_u32 s16, s5, s16
	s_addc_u32 s17, s8, s17
	global_load_dwordx4 v[74:77], v3, s[16:17]
	s_mul_i32 s38, s4, s10
	s_lshl_b64 s[4:5], s[38:39], 1
	s_add_u32 s10, s4, s18
	s_waitcnt vmcnt(3)
	v_mad_i64_i32 v[2:3], s[16:17], v2, s9, 0
	s_addc_u32 s11, s5, s19
	v_lshl_add_u64 v[2:3], v[2:3], 1, s[10:11]
	v_lshlrev_b32_e32 v34, 4, v6
	v_mov_b32_e32 v35, 0
	v_lshl_add_u64 v[36:37], v[2:3], 0, v[34:35]
	global_load_dwordx4 v[6:9], v[36:37], off
	global_load_dwordx4 v[10:13], v[36:37], off offset:512
	global_load_dwordx4 v[14:17], v[36:37], off offset:1024
	;; [unrolled: 1-line block ×6, first 2 shown]
	v_mov_b32_e32 v41, v35
	global_load_dwordx4 v[36:39], v[36:37], off offset:3584
	v_or_b32_e32 v40, 0x1000, v34
	v_lshl_add_u64 v[40:41], v[2:3], 0, v[40:41]
	global_load_dwordx4 v[40:43], v[40:41], off
	v_mov_b32_e32 v45, v35
	v_or_b32_e32 v44, 0x1200, v34
	v_lshl_add_u64 v[44:45], v[2:3], 0, v[44:45]
	global_load_dwordx4 v[44:47], v[44:45], off
	v_mov_b32_e32 v49, v35
	;; [unrolled: 4-line block ×5, first 2 shown]
	v_or_b32_e32 v60, 0x1a00, v34
	v_lshl_add_u64 v[60:61], v[2:3], 0, v[60:61]
	global_load_dwordx4 v[60:63], v[60:61], off
	v_or_b32_e32 v34, 0x1c00, v34
	v_lshl_add_u64 v[64:65], v[2:3], 0, v[34:35]
	global_load_dwordx4 v[78:81], v[64:65], off
	v_mov_b32_e32 v67, 0x1e00
	v_lshl_or_b32 v34, v0, 4, v67
	v_lshl_add_u64 v[2:3], v[2:3], 0, v[34:35]
	global_load_dwordx4 v[82:85], v[2:3], off
	v_mov_b32_e32 v67, v35
	v_lshl_add_u64 v[70:71], v[66:67], 2, s[30:31]
	global_load_dword v93, v[70:71], off
	v_and_b32_e32 v89, -4, v68
	v_subrev_u32_e32 v2, s3, v89
	v_add_u32_e32 v67, 1, v2
	v_add_u32_e32 v90, 2, v2
	;; [unrolled: 1-line block ×4, first 2 shown]
	s_waitcnt vmcnt(19)
	v_mul_hi_i32 v2, v4, s9
	v_mov_b32_e32 v3, v35
	s_add_u32 s4, s28, s4
	s_addc_u32 s5, s29, s5
	v_mov_b32_e32 v65, v35
	s_load_dword s0, s[0:1], 0x1c
	v_cmp_eq_u32_e32 vcc, 0, v73
	v_cvt_f32_i32_e32 v67, v67
	v_or_b32_e32 v68, 3, v68
	v_cndmask_b32_e64 v69, 0, 1.0, vcc
	v_cmp_eq_u32_e32 vcc, 1, v73
	s_waitcnt vmcnt(16)
	v_mfma_f32_4x4x4_16b_bf16 a[0:3], v[74:75], v[6:7], 0 cbsz:4
	v_mul_hi_i32 v6, v5, s9
	s_nop 0
	v_mfma_f32_4x4x4_16b_bf16 a[0:3], v[76:77], v[8:9], a[0:3] cbsz:4
	v_ashrrev_i32_e32 v7, 31, v2
	v_ashrrev_i32_e32 v2, 31, v6
	s_waitcnt vmcnt(15)
	v_mfma_f32_4x4x4_16b_bf16 a[0:3], v[74:75], v[10:11], a[0:3] cbsz:4 abid:1
	v_lshrrev_b32_e32 v2, 29, v2
	v_mad_i64_i32 v[2:3], s[10:11], v5, s9, v[2:3]
	v_mfma_f32_4x4x4_16b_bf16 a[0:3], v[76:77], v[12:13], a[0:3] cbsz:4 abid:1
	v_lshlrev_b64 v[2:3], 1, v[2:3]
	v_and_b32_e32 v2, -16, v2
	s_waitcnt vmcnt(14)
	v_mfma_f32_4x4x4_16b_bf16 a[0:3], v[74:75], v[14:15], a[0:3] cbsz:4 abid:2
	v_lshrrev_b32_e32 v34, 29, v7
	v_cndmask_b32_e64 v86, 0, 1.0, vcc
	v_mfma_f32_4x4x4_16b_bf16 a[0:3], v[76:77], v[16:17], a[0:3] cbsz:4 abid:2
	v_cmp_eq_u32_e32 vcc, 2, v73
	s_waitcnt vmcnt(13)
	v_mfma_f32_4x4x4_16b_bf16 a[0:3], v[74:75], v[18:19], a[0:3] cbsz:4 abid:3
	v_lshl_add_u64 v[18:19], s[4:5], 0, v[2:3]
	v_mad_i64_i32 v[2:3], s[8:9], v4, s9, v[34:35]
	v_mfma_f32_4x4x4_16b_bf16 a[0:3], v[76:77], v[20:21], a[0:3] cbsz:4 abid:3
	v_lshlrev_b64 v[20:21], 1, v[2:3]
	v_lshlrev_b32_e32 v34, 6, v1
	s_waitcnt vmcnt(12)
	v_mfma_f32_4x4x4_16b_bf16 a[0:3], v[74:75], v[22:23], a[0:3] cbsz:4 abid:4
	v_and_b32_e32 v20, -16, v20
	v_or_b32_e32 v64, 0x1000, v34
	v_mfma_f32_4x4x4_16b_bf16 a[0:3], v[76:77], v[24:25], a[0:3] cbsz:4 abid:4
	v_lshl_add_u64 v[22:23], v[18:19], 0, v[34:35]
	global_load_dwordx4 v[14:17], v[22:23], off
	global_load_dwordx4 v[2:5], v[22:23], off offset:16
	s_waitcnt vmcnt(13)
	v_mfma_f32_4x4x4_16b_bf16 a[0:3], v[74:75], v[26:27], a[0:3] cbsz:4 abid:5
	global_load_dwordx4 v[6:9], v[22:23], off offset:32
	global_load_dwordx4 v[10:13], v[22:23], off offset:48
	v_mfma_f32_4x4x4_16b_bf16 a[0:3], v[76:77], v[28:29], a[0:3] cbsz:4 abid:5
	v_cndmask_b32_e64 v87, 0, 1.0, vcc
	v_cmp_eq_u32_e32 vcc, 3, v73
	s_waitcnt vmcnt(14)
	v_mfma_f32_4x4x4_16b_bf16 a[0:3], v[74:75], v[30:31], a[0:3] cbsz:4 abid:6
	v_cmp_gt_i32_e64 s[8:9], s3, v68
	v_cndmask_b32_e64 v88, 0, 1.0, vcc
	v_mfma_f32_4x4x4_16b_bf16 a[0:3], v[76:77], v[32:33], a[0:3] cbsz:4 abid:6
	v_cmp_gt_i32_e32 vcc, s3, v89
	s_waitcnt vmcnt(13)
	v_mfma_f32_4x4x4_16b_bf16 a[0:3], v[74:75], v[36:37], a[0:3] cbsz:4 abid:7
	v_lshl_add_u64 v[36:37], v[18:19], 0, v[64:65]
	s_nop 0
	v_mfma_f32_4x4x4_16b_bf16 a[0:3], v[76:77], v[38:39], a[0:3] cbsz:4 abid:7
	v_lshl_add_u64 v[38:39], s[4:5], 0, v[20:21]
	v_lshl_add_u64 v[70:71], v[38:39], 0, v[64:65]
	s_waitcnt vmcnt(12)
	v_mfma_f32_4x4x4_16b_bf16 a[0:3], v[74:75], v[40:41], a[0:3] cbsz:4 abid:8
	global_load_dwordx4 v[18:21], v[36:37], off
	global_load_dwordx4 v[22:25], v[36:37], off offset:16
	v_mfma_f32_4x4x4_16b_bf16 a[0:3], v[76:77], v[42:43], a[0:3] cbsz:4 abid:8
	v_lshl_add_u64 v[42:43], v[38:39], 0, v[34:35]
	global_load_dwordx4 v[26:29], v[36:37], off offset:32
	global_load_dwordx4 v[30:33], v[36:37], off offset:48
	s_waitcnt vmcnt(15)
	v_mfma_f32_4x4x4_16b_bf16 a[0:3], v[74:75], v[44:45], a[0:3] cbsz:4 abid:9
	global_load_dwordx4 v[34:37], v[42:43], off
	global_load_dwordx4 v[38:41], v[42:43], off offset:16
	v_mfma_f32_4x4x4_16b_bf16 a[0:3], v[76:77], v[46:47], a[0:3] cbsz:4 abid:9
	s_waitcnt vmcnt(16)
	s_nop 0
	v_mfma_f32_4x4x4_16b_bf16 a[0:3], v[74:75], v[48:49], a[0:3] cbsz:4 abid:10
	s_nop 1
	v_mfma_f32_4x4x4_16b_bf16 a[0:3], v[76:77], v[50:51], a[0:3] cbsz:4 abid:10
	s_waitcnt vmcnt(15)
	s_nop 0
	v_mfma_f32_4x4x4_16b_bf16 a[0:3], v[74:75], v[52:53], a[0:3] cbsz:4 abid:11
	s_nop 1
	;; [unrolled: 5-line block ×3, first 2 shown]
	v_mfma_f32_4x4x4_16b_bf16 a[0:3], v[76:77], v[58:59], a[0:3] cbsz:4 abid:12
	s_waitcnt vmcnt(13)
	s_nop 0
	v_mfma_f32_4x4x4_16b_bf16 a[0:3], v[74:75], v[60:61], a[0:3] cbsz:4 abid:13
	global_load_dwordx4 v[46:49], v[42:43], off offset:32
	global_load_dwordx4 v[58:61], v[42:43], off offset:48
	v_mfma_f32_4x4x4_16b_bf16 a[0:3], v[76:77], v[62:63], a[0:3] cbsz:4 abid:13
	global_load_dwordx4 v[54:57], v[70:71], off
	global_load_dwordx4 v[42:45], v[70:71], off offset:16
	global_load_dwordx4 v[50:53], v[70:71], off offset:32
	;; [unrolled: 1-line block ×3, first 2 shown]
	s_waitcnt vmcnt(18)
	v_mfma_f32_4x4x4_16b_bf16 a[0:3], v[74:75], v[78:79], a[0:3] cbsz:4 abid:14
	s_nop 1
	v_mfma_f32_4x4x4_16b_bf16 a[0:3], v[76:77], v[80:81], a[0:3] cbsz:4 abid:14
	s_waitcnt vmcnt(17)
	s_nop 0
	v_mfma_f32_4x4x4_16b_bf16 a[0:3], v[74:75], v[82:83], a[0:3] cbsz:4 abid:15
	s_nop 1
	v_mfma_f32_4x4x4_16b_bf16 a[0:3], v[76:77], v[84:85], a[0:3] cbsz:4 abid:15
	s_nop 4
	v_accvgpr_read_b32 v71, a1
	v_accvgpr_read_b32 v70, a0
	s_waitcnt lgkmcnt(0)
	v_pk_mul_f32 v[70:71], s[0:1], v[70:71] op_sel_hi:[0,1]
	v_accvgpr_read_b32 v75, a3
	v_accvgpr_read_b32 v74, a2
	v_pk_mul_f32 v[74:75], s[0:1], v[74:75] op_sel_hi:[0,1]
	v_mfma_f32_4x4x1_16b_f32 a[0:3], v70, v69, 0
	v_cvt_f32_i32_e32 v70, v91
	s_nop 0
	v_mfma_f32_4x4x1_16b_f32 a[0:3], v71, v86, a[0:3]
	v_cvt_f32_i32_e32 v69, v90
	v_cvt_f32_i32_e32 v71, v92
	v_mfma_f32_4x4x1_16b_f32 a[0:3], v74, v87, a[0:3]
	s_nop 1
	v_mfma_f32_4x4x1_16b_f32 a[0:3], v75, v88, a[0:3]
	s_nop 3
	v_accvgpr_read_b32 v74, a0
	v_accvgpr_read_b32 v76, a2
	s_waitcnt vmcnt(16)
	v_fma_f32 v67, v93, v67, v74
	v_accvgpr_read_b32 v75, a1
	v_fma_f32 v70, v93, v70, v76
	v_max_f32_e32 v74, 0xff7fffff, v67
	v_mov_b32_e32 v76, 0xff7fffff
	v_fma_f32 v69, v93, v69, v75
	v_cndmask_b32_e32 v74, v76, v74, vcc
	v_or_b32_e32 v76, 1, v89
	v_max_f32_e32 v77, v74, v69
	v_cmp_gt_i32_e64 s[0:1], s3, v76
	v_or_b32_e32 v76, 2, v89
	v_accvgpr_read_b32 v75, a3
	v_cndmask_b32_e64 v74, v74, v77, s[0:1]
	v_max_f32_e32 v77, v74, v70
	v_cmp_gt_i32_e64 s[4:5], s3, v76
	v_fmac_f32_e32 v75, v93, v71
	v_lshlrev_b32_e32 v71, 2, v0
	v_cndmask_b32_e64 v74, v74, v77, s[4:5]
	v_max_f32_e32 v76, v74, v75
	v_cndmask_b32_e64 v68, v74, v76, s[8:9]
	v_and_or_b32 v71, v71, 48, v73
	;;#ASMSTART
	v_nop
 v_nop
 v_max_f32_dpp v68, v68, v68 row_ror:4
	;;#ASMEND
	v_lshlrev_b32_e32 v76, 2, v71
	;;#ASMSTART
	v_nop
 v_nop
 v_max_f32_dpp v68, v68, v68 row_ror:8
	;;#ASMEND
	ds_bpermute_b32 v68, v76, v68
	s_waitcnt lgkmcnt(0)
	;;#ASMSTART
	v_nop
 v_nop
 v_max_f32_dpp v68, v68, v68 row_ror:4
	;;#ASMEND
	s_nop 0
	;;#ASMSTART
	v_nop
 v_nop
 v_max_f32_dpp v74, v68, v68 row_ror:8
	;;#ASMEND
	s_nop 0
	v_sub_f32_e32 v67, v67, v74
	v_mul_f32_e32 v67, 0x3fb8aa3b, v67
	v_sub_f32_e32 v68, v69, v74
	v_exp_f32_e32 v67, v67
	v_mul_f32_e32 v68, 0x3fb8aa3b, v68
	v_sub_f32_e32 v70, v70, v74
	v_exp_f32_e32 v69, v68
	;; [unrolled: 3-line block ×3, first 2 shown]
	v_mul_f32_e32 v71, 0x3fb8aa3b, v71
	v_exp_f32_e32 v71, v71
	v_cndmask_b32_e32 v68, 0, v67, vcc
	v_add_f32_e32 v67, 0, v68
	v_cndmask_b32_e64 v69, 0, v69, s[0:1]
	v_add_f32_e32 v67, v67, v69
	v_cndmask_b32_e64 v70, 0, v70, s[4:5]
	;; [unrolled: 2-line block ×3, first 2 shown]
	v_add_f32_e32 v67, v67, v71
	;;#ASMSTART
	v_nop
 v_nop
 v_add_f32_dpp v67, v67, v67 row_ror:4
	;;#ASMEND
	v_cmp_gt_u32_e32 vcc, 4, v1
	;;#ASMSTART
	v_nop
 v_nop
 v_add_f32_dpp v67, v67, v67 row_ror:8
	;;#ASMEND
	ds_bpermute_b32 v67, v76, v67
	s_waitcnt lgkmcnt(0)
	;;#ASMSTART
	v_nop
 v_nop
 v_add_f32_dpp v67, v67, v67 row_ror:4
	;;#ASMEND
	s_nop 0
	;;#ASMSTART
	v_nop
 v_nop
 v_add_f32_dpp v67, v67, v67 row_ror:8
	;;#ASMEND
	s_and_saveexec_b64 s[0:1], vcc
	s_cbranch_execz .LBB731_12
; %bb.11:
	v_mul_u32_u24_e32 v75, 20, v72
	v_lshl_add_u32 v75, v73, 2, v75
	v_add_u32_e32 v75, 0x1400, v75
	ds_write2_b32 v75, v74, v67 offset1:20
.LBB731_12:
	s_or_b64 exec, exec, s[0:1]
.LBB731_13:
	s_or_b64 exec, exec, s[26:27]
	v_lshlrev_b32_e32 v67, 2, v73
	v_add_u32_e32 v67, 0x1400, v67
	s_waitcnt lgkmcnt(0)
	s_barrier
	s_load_dword s0, s[24:25], 0x8
	ds_read2_b32 v[76:77], v67 offset1:5
	ds_read2_b32 v[78:79], v67 offset0:10 offset1:15
	s_mov_b32 s4, 0xff7fffff
	s_mul_i32 s1, s2, s40
	ds_read2_b32 v[80:81], v67 offset0:20 offset1:25
	s_waitcnt lgkmcnt(0)
	v_max3_f32 v73, v76, s4, v77
	s_mul_i32 s1, s1, s0
	v_max3_f32 v73, v73, v78, v79
	s_lshl_b32 s0, s1, 2
	s_mov_b32 s1, 0
	v_sub_f32_e32 v75, v76, v73
	v_sub_f32_e32 v76, v77, v73
	s_lshl_b64 s[2:3], s[0:1], 2
	v_mul_f32_e32 v75, 0x3fb8aa3b, v75
	v_mul_f32_e32 v76, 0x3fb8aa3b, v76
	s_add_u32 s8, s12, s2
	v_exp_f32_e32 v75, v75
	v_exp_f32_e32 v82, v76
	ds_read2_b32 v[76:77], v67 offset0:30 offset1:35
	v_sub_f32_e32 v67, v78, v73
	s_addc_u32 s9, s13, s3
	v_mul_f32_e32 v67, 0x3fb8aa3b, v67
	v_sub_f32_e32 v78, v79, v73
	s_mov_b32 s21, s1
	s_add_u32 s4, s14, s2
	v_exp_f32_e32 v67, v67
	v_mul_f32_e32 v78, 0x3fb8aa3b, v78
	s_addc_u32 s5, s15, s3
	s_lshl_b64 s[2:3], s[20:21], 2
	v_exp_f32_e32 v78, v78
	s_add_u32 s4, s4, s2
	v_fma_f32 v75, v75, v80, 0
	s_addc_u32 s5, s5, s3
	v_fmac_f32_e32 v75, v82, v81
	s_waitcnt lgkmcnt(0)
	v_fmac_f32_e32 v75, v67, v76
	s_add_u32 s2, s8, s2
	v_mul_lo_u32 v66, s40, v66
	v_mov_b32_e32 v67, 0
	v_fmac_f32_e32 v75, v78, v77
	s_addc_u32 s3, s9, s3
	v_lshlrev_b64 v[76:77], 2, v[66:67]
	v_lshl_add_u64 v[78:79], s[4:5], 0, v[76:77]
	v_lshl_add_u64 v[76:77], s[2:3], 0, v[76:77]
	v_lshlrev_b32_e32 v72, 3, v72
	global_store_dword v[78:79], v73, off
	global_store_dword v[76:77], v75, off
	s_and_saveexec_b64 s[2:3], s[6:7]
	s_xor_b64 s[2:3], exec, s[2:3]
	s_cbranch_execz .LBB731_15
; %bb.14:
	s_waitcnt vmcnt(16)
	v_mad_u32_u24 v2, v1, 40, v72
	v_mov_b32_e32 v66, v67
	ds_write_b64 v2, v[66:67]
                                        ; implicit-def: $vgpr71
                                        ; implicit-def: $vgpr69
                                        ; implicit-def: $vgpr35
                                        ; implicit-def: $vgpr39
                                        ; implicit-def: $vgpr47
                                        ; implicit-def: $vgpr59
                                        ; implicit-def: $vgpr15
                                        ; implicit-def: $vgpr3
                                        ; implicit-def: $vgpr7
                                        ; implicit-def: $vgpr11
                                        ; implicit-def: $vgpr55
                                        ; implicit-def: $vgpr43
                                        ; implicit-def: $vgpr51
                                        ; implicit-def: $vgpr63
                                        ; implicit-def: $vgpr19
                                        ; implicit-def: $vgpr23
                                        ; implicit-def: $vgpr27
                                        ; implicit-def: $vgpr31
                                        ; implicit-def: $vgpr74
                                        ; implicit-def: $vgpr73
                                        ; implicit-def: $vgpr75
.LBB731_15:
	s_or_saveexec_b64 s[2:3], s[2:3]
	v_mov_b32_e32 v66, s1
	v_mov_b32_e32 v67, s1
	s_xor_b64 exec, exec, s[2:3]
	s_cbranch_execz .LBB731_17
; %bb.16:
	v_add_f32_e32 v66, 0x358637bd, v75
	v_div_scale_f32 v67, s[4:5], v66, v66, 1.0
	v_rcp_f32_e32 v75, v67
	v_sub_f32_e32 v73, v74, v73
	v_mul_f32_e32 v73, 0x3fb8aa3b, v73
	v_exp_f32_e32 v73, v73
	v_fma_f32 v74, -v67, v75, 1.0
	v_fmac_f32_e32 v75, v74, v75
	v_div_scale_f32 v74, vcc, 1.0, v66, 1.0
	v_mul_f32_e32 v76, v74, v75
	v_fma_f32 v77, -v67, v76, v74
	v_fmac_f32_e32 v76, v77, v75
	v_fma_f32 v67, -v67, v76, v74
	v_div_fmas_f32 v67, v67, v75, v76
	v_div_fixup_f32 v66, v67, v66, 1.0
	v_mul_f32_e32 v66, v73, v66
	v_pk_mul_f32 v[70:71], v[70:71], v[66:67] op_sel_hi:[1,0]
	v_pk_mul_f32 v[66:67], v[68:69], v[66:67] op_sel_hi:[1,0]
	s_movk_i32 s1, 0x7fff
	v_bfe_u32 v68, v67, 16, 1
	v_bfe_u32 v69, v66, 16, 1
	v_add3_u32 v66, v66, v69, s1
	v_add3_u32 v67, v67, v68, s1
	s_mov_b32 s4, 0x7060302
	v_perm_b32 v66, v67, v66, s4
	v_bfe_u32 v67, v71, 16, 1
	v_bfe_u32 v68, v70, 16, 1
	v_add3_u32 v68, v70, v68, s1
	v_add3_u32 v67, v71, v67, s1
	v_perm_b32 v67, v67, v68, s4
	s_waitcnt vmcnt(9)
	s_nop 0
	v_mfma_f32_4x4x4_16b_bf16 a[0:3], v[66:67], v[34:35], 0 cbsz:4
	s_nop 1
	v_mfma_f32_4x4x4_16b_bf16 a[0:3], v[66:67], v[36:37], a[0:3] cbsz:4 abid:1
	s_waitcnt vmcnt(5)
	v_mfma_f32_4x4x4_16b_bf16 a[4:7], v[66:67], v[54:55], 0 cbsz:4
	v_mfma_f32_4x4x4_16b_bf16 a[0:3], v[66:67], v[38:39], a[0:3] cbsz:4 abid:2
	s_nop 0
	v_mfma_f32_4x4x4_16b_bf16 a[4:7], v[66:67], v[56:57], a[4:7] cbsz:4 abid:1
	v_mfma_f32_4x4x4_16b_bf16 a[0:3], v[66:67], v[40:41], a[0:3] cbsz:4 abid:3
	s_waitcnt vmcnt(4)
	v_mfma_f32_4x4x4_16b_bf16 a[4:7], v[66:67], v[42:43], a[4:7] cbsz:4 abid:2
	v_mfma_f32_4x4x4_16b_bf16 a[0:3], v[66:67], v[46:47], a[0:3] cbsz:4 abid:4
	s_nop 1
	v_mfma_f32_4x4x4_16b_bf16 a[0:3], v[66:67], v[48:49], a[0:3] cbsz:4 abid:5
	s_nop 1
	v_mfma_f32_4x4x4_16b_bf16 a[0:3], v[66:67], v[58:59], a[0:3] cbsz:4 abid:6
	s_nop 1
	v_mfma_f32_4x4x4_16b_bf16 a[0:3], v[66:67], v[60:61], a[0:3] cbsz:4 abid:7
	s_nop 1
	v_mfma_f32_4x4x4_16b_bf16 a[0:3], v[66:67], v[14:15], a[0:3] cbsz:4 abid:8
	s_nop 1
	v_mfma_f32_4x4x4_16b_bf16 a[0:3], v[66:67], v[16:17], a[0:3] cbsz:4 abid:9
	s_nop 1
	v_mfma_f32_4x4x4_16b_bf16 a[0:3], v[66:67], v[2:3], a[0:3] cbsz:4 abid:10
	s_nop 1
	v_mfma_f32_4x4x4_16b_bf16 a[0:3], v[66:67], v[4:5], a[0:3] cbsz:4 abid:11
	s_nop 1
	v_mfma_f32_4x4x4_16b_bf16 a[0:3], v[66:67], v[6:7], a[0:3] cbsz:4 abid:12
	s_nop 1
	v_mfma_f32_4x4x4_16b_bf16 a[0:3], v[66:67], v[8:9], a[0:3] cbsz:4 abid:13
	s_nop 1
	v_mfma_f32_4x4x4_16b_bf16 a[0:3], v[66:67], v[10:11], a[0:3] cbsz:4 abid:14
	s_nop 1
	v_mfma_f32_4x4x4_16b_bf16 a[0:3], v[66:67], v[12:13], a[0:3] cbsz:4 abid:15
	s_nop 4
	v_accvgpr_read_b32 v3, a2
	v_accvgpr_read_b32 v4, a3
	v_accvgpr_read_b32 v2, a0
	v_accvgpr_read_b32 v5, a1
	v_mfma_f32_4x4x4_16b_bf16 a[0:3], v[66:67], v[44:45], a[4:7] cbsz:4 abid:3
	v_bfe_u32 v6, v5, 16, 1
	v_bfe_u32 v7, v2, 16, 1
	s_waitcnt vmcnt(3)
	v_mfma_f32_4x4x4_16b_bf16 a[0:3], v[66:67], v[50:51], a[0:3] cbsz:4 abid:4
	v_add3_u32 v2, v2, v7, s1
	v_add3_u32 v5, v5, v6, s1
	v_mfma_f32_4x4x4_16b_bf16 a[0:3], v[66:67], v[52:53], a[0:3] cbsz:4 abid:5
	v_perm_b32 v2, v5, v2, s4
	v_bfe_u32 v5, v4, 16, 1
	s_waitcnt vmcnt(2)
	v_mfma_f32_4x4x4_16b_bf16 a[0:3], v[66:67], v[62:63], a[0:3] cbsz:4 abid:6
	v_bfe_u32 v6, v3, 16, 1
	v_add3_u32 v3, v3, v6, s1
	v_mfma_f32_4x4x4_16b_bf16 a[0:3], v[66:67], v[64:65], a[0:3] cbsz:4 abid:7
	v_add3_u32 v4, v4, v5, s1
	v_perm_b32 v3, v4, v3, s4
	v_mfma_f32_4x4x4_16b_bf16 a[0:3], v[66:67], v[18:19], a[0:3] cbsz:4 abid:8
	v_mad_u32_u24 v4, v1, 40, v72
	ds_write_b64 v4, v[2:3]
	v_mfma_f32_4x4x4_16b_bf16 a[0:3], v[66:67], v[20:21], a[0:3] cbsz:4 abid:9
	s_nop 1
	v_mfma_f32_4x4x4_16b_bf16 a[0:3], v[66:67], v[22:23], a[0:3] cbsz:4 abid:10
	s_nop 1
	v_mfma_f32_4x4x4_16b_bf16 a[0:3], v[66:67], v[24:25], a[0:3] cbsz:4 abid:11
	s_nop 1
	v_mfma_f32_4x4x4_16b_bf16 a[0:3], v[66:67], v[26:27], a[0:3] cbsz:4 abid:12
	s_nop 1
	v_mfma_f32_4x4x4_16b_bf16 a[0:3], v[66:67], v[28:29], a[0:3] cbsz:4 abid:13
	s_nop 1
	v_mfma_f32_4x4x4_16b_bf16 a[0:3], v[66:67], v[30:31], a[0:3] cbsz:4 abid:14
	s_nop 1
	v_mfma_f32_4x4x4_16b_bf16 a[0:3], v[66:67], v[32:33], a[0:3] cbsz:4 abid:15
	s_nop 4
	v_accvgpr_read_b32 v4, a0
	v_accvgpr_read_b32 v5, a1
	;; [unrolled: 1-line block ×4, first 2 shown]
	v_bfe_u32 v6, v5, 16, 1
	v_bfe_u32 v7, v4, 16, 1
	v_add3_u32 v4, v4, v7, s1
	v_add3_u32 v5, v5, v6, s1
	v_bfe_u32 v6, v3, 16, 1
	v_bfe_u32 v7, v2, 16, 1
	v_add3_u32 v2, v2, v7, s1
	v_add3_u32 v3, v3, v6, s1
	v_perm_b32 v67, v3, v2, s4
	v_perm_b32 v66, v5, v4, s4
.LBB731_17:
	s_or_b64 exec, exec, s[2:3]
	s_waitcnt vmcnt(16)
	v_mad_u32_u24 v2, v1, 40, v72
	v_cmp_gt_u32_e32 vcc, 64, v0
	ds_write_b64 v2, v[66:67] offset:2560
	s_waitcnt lgkmcnt(0)
	s_barrier
	s_and_saveexec_b64 s[2:3], vcc
	s_cbranch_execz .LBB731_19
; %bb.18:
	s_waitcnt vmcnt(15)
	v_mul_u32_u24_e32 v6, 40, v1
	ds_read2_b64 v[2:5], v6 offset1:1
	ds_read2_b64 v[6:9], v6 offset0:2 offset1:3
	s_mov_b32 s1, 0
	s_lshl_b32 s0, s0, 7
	s_lshl_b64 s[2:3], s[0:1], 1
	s_waitcnt vmcnt(14) lgkmcnt(1)
	v_lshlrev_b32_e32 v10, 16, v2
	v_and_b32_e32 v2, 0xffff0000, v2
	v_add_f32_e32 v2, 0, v2
	v_lshlrev_b32_e32 v11, 16, v3
	v_and_b32_e32 v3, 0xffff0000, v3
	v_and_b32_e32 v2, 0xffff0000, v2
	v_add_f32_e32 v11, 0, v11
	v_add_f32_e32 v3, 0, v3
	v_lshlrev_b32_e32 v12, 16, v4
	v_and_b32_e32 v4, 0xffff0000, v4
	v_add_f32_e32 v10, 0, v10
	v_and_b32_e32 v11, 0xffff0000, v11
	v_and_b32_e32 v3, 0xffff0000, v3
	v_add_f32_e32 v2, v2, v4
	v_lshlrev_b32_e32 v4, 16, v5
	v_and_b32_e32 v5, 0xffff0000, v5
	v_and_b32_e32 v10, 0xffff0000, v10
	;; [unrolled: 1-line block ×3, first 2 shown]
	v_add_f32_e32 v4, v11, v4
	v_add_f32_e32 v3, v3, v5
	s_waitcnt lgkmcnt(0)
	v_lshlrev_b32_e32 v5, 16, v6
	v_and_b32_e32 v6, 0xffff0000, v6
	v_add_f32_e32 v10, v10, v12
	v_and_b32_e32 v4, 0xffff0000, v4
	v_add_f32_e32 v2, v2, v6
	v_lshlrev_b32_e32 v6, 16, v7
	v_and_b32_e32 v10, 0xffff0000, v10
	v_and_b32_e32 v3, 0xffff0000, v3
	v_add_f32_e32 v4, v4, v6
	v_and_b32_e32 v6, 0xffff0000, v7
	v_add_f32_e32 v5, v10, v5
	v_add_f32_e32 v3, v3, v6
	v_and_b32_e32 v5, 0xffff0000, v5
	v_and_b32_e32 v6, 0xffff0000, v3
	v_lshlrev_b32_e32 v3, 16, v8
	v_and_b32_e32 v2, 0xffff0000, v2
	v_add_f32_e32 v10, v5, v3
	v_and_b32_e32 v3, 0xffff0000, v8
	v_and_b32_e32 v4, 0xffff0000, v4
	v_add_f32_e32 v11, v2, v3
	v_lshlrev_b32_e32 v2, 16, v9
	v_add_f32_e32 v12, v4, v2
	v_mov_b32_e32 v2, 0xa00
	v_mad_u32_u24 v2, v1, 40, v2
	ds_read2_b64 v[2:5], v2 offset1:1
	v_and_b32_e32 v7, 0xffff0000, v9
	v_add_f32_e32 v13, v6, v7
	v_mov_b32_e32 v6, 0xa10
	v_mad_u32_u24 v1, v1, 40, v6
	ds_read2_b64 v[6:9], v1 offset1:1
	s_waitcnt lgkmcnt(1)
	v_lshlrev_b32_e32 v1, 16, v2
	v_and_b32_e32 v2, 0xffff0000, v2
	v_add_f32_e32 v1, 0, v1
	v_add_f32_e32 v2, 0, v2
	v_lshlrev_b32_e32 v14, 16, v3
	v_and_b32_e32 v3, 0xffff0000, v3
	v_and_b32_e32 v1, 0xffff0000, v1
	;; [unrolled: 1-line block ×3, first 2 shown]
	v_add_f32_e32 v3, 0, v3
	v_lshlrev_b32_e32 v15, 16, v4
	v_and_b32_e32 v4, 0xffff0000, v4
	v_add_f32_e32 v14, 0, v14
	v_and_b32_e32 v3, 0xffff0000, v3
	v_add_f32_e32 v1, v1, v15
	v_add_f32_e32 v2, v2, v4
	v_lshlrev_b32_e32 v4, 16, v5
	v_and_b32_e32 v5, 0xffff0000, v5
	v_and_b32_e32 v14, 0xffff0000, v14
	;; [unrolled: 1-line block ×3, first 2 shown]
	v_add_f32_e32 v3, v3, v5
	s_waitcnt lgkmcnt(0)
	v_lshlrev_b32_e32 v5, 16, v6
	v_and_b32_e32 v2, 0xffff0000, v2
	v_add_f32_e32 v4, v14, v4
	v_add_f32_e32 v1, v1, v5
	v_and_b32_e32 v5, 0xffff0000, v6
	v_and_b32_e32 v4, 0xffff0000, v4
	v_add_f32_e32 v2, v2, v5
	v_lshlrev_b32_e32 v5, 16, v7
	s_add_u32 s2, s22, s2
	v_and_b32_e32 v3, 0xffff0000, v3
	v_add_f32_e32 v4, v4, v5
	v_and_b32_e32 v5, 0xffff0000, v7
	s_addc_u32 s3, s23, s3
	s_lshl_b32 s0, s20, 7
	v_and_b32_e32 v1, 0xffff0000, v1
	v_add_f32_e32 v3, v3, v5
	v_lshlrev_b32_e32 v5, 16, v8
	s_lshl_b64 s[0:1], s[0:1], 1
	v_and_b32_e32 v2, 0xffff0000, v2
	v_add_f32_e32 v14, v1, v5
	v_and_b32_e32 v1, 0xffff0000, v8
	s_add_u32 s0, s2, s0
	v_and_b32_e32 v4, 0xffff0000, v4
	v_add_f32_e32 v15, v2, v1
	v_lshlrev_b32_e32 v1, 16, v9
	s_addc_u32 s1, s3, s1
	s_lshl_b32 s2, s40, 7
	v_and_b32_e32 v3, 0xffff0000, v3
	v_add_f32_e32 v16, v4, v1
	v_and_b32_e32 v1, 0xffff0000, v9
	s_mul_i32 s3, s2, s33
	v_add_f32_e32 v17, v3, v1
	v_or_b32_e32 v2, s3, v0
	v_mov_b32_e32 v3, 0
	s_add_i32 s3, s3, s2
	v_lshl_add_u64 v[4:5], v[2:3], 1, s[0:1]
	v_or_b32_e32 v2, s3, v0
	s_add_i32 s3, s3, s2
	v_lshl_add_u64 v[6:7], v[2:3], 1, s[0:1]
	v_or_b32_e32 v2, s3, v0
	;; [unrolled: 3-line block ×3, first 2 shown]
	v_lshl_add_u64 v[0:1], v[2:3], 1, s[0:1]
	global_store_short_d16_hi v[4:5], v10, off
	global_store_short_d16_hi v[6:7], v11, off
	;; [unrolled: 1-line block ×4, first 2 shown]
	global_store_short_d16_hi v[4:5], v14, off offset:128
	global_store_short_d16_hi v[6:7], v15, off offset:128
	;; [unrolled: 1-line block ×4, first 2 shown]
.LBB731_19:
	s_endpgm
.LBB731_20:
	s_mov_b64 s[12:13], 0
                                        ; implicit-def: $sgpr34_sgpr35
	s_branch .LBB731_2
	.section	.rodata,"a",@progbits
	.p2align	6, 0x0
	.amdhsa_kernel _Z38paged_attention_ll4mi_QKV_mfma4_kernelI14__hip_bfloat16S0_LN4vllm18Fp8KVCacheDataTypeE0ES0_Li32ELi128ELi256ELb1ELi4EEvPKT_PKT0_S8_ifPKiSA_SA_iPKfiiiPfSD_PS3_PT2_iSC_SC_
		.amdhsa_group_segment_fixed_size 5280
		.amdhsa_private_segment_fixed_size 0
		.amdhsa_kernarg_size 400
		.amdhsa_user_sgpr_count 2
		.amdhsa_user_sgpr_dispatch_ptr 0
		.amdhsa_user_sgpr_queue_ptr 0
		.amdhsa_user_sgpr_kernarg_segment_ptr 1
		.amdhsa_user_sgpr_dispatch_id 0
		.amdhsa_user_sgpr_kernarg_preload_length 0
		.amdhsa_user_sgpr_kernarg_preload_offset 0
		.amdhsa_user_sgpr_private_segment_size 0
		.amdhsa_uses_dynamic_stack 0
		.amdhsa_enable_private_segment 0
		.amdhsa_system_sgpr_workgroup_id_x 1
		.amdhsa_system_sgpr_workgroup_id_y 1
		.amdhsa_system_sgpr_workgroup_id_z 1
		.amdhsa_system_sgpr_workgroup_info 0
		.amdhsa_system_vgpr_workitem_id 0
		.amdhsa_next_free_vgpr 104
		.amdhsa_next_free_sgpr 41
		.amdhsa_accum_offset 96
		.amdhsa_reserve_vcc 1
		.amdhsa_float_round_mode_32 0
		.amdhsa_float_round_mode_16_64 0
		.amdhsa_float_denorm_mode_32 3
		.amdhsa_float_denorm_mode_16_64 3
		.amdhsa_dx10_clamp 1
		.amdhsa_ieee_mode 1
		.amdhsa_fp16_overflow 0
		.amdhsa_tg_split 0
		.amdhsa_exception_fp_ieee_invalid_op 0
		.amdhsa_exception_fp_denorm_src 0
		.amdhsa_exception_fp_ieee_div_zero 0
		.amdhsa_exception_fp_ieee_overflow 0
		.amdhsa_exception_fp_ieee_underflow 0
		.amdhsa_exception_fp_ieee_inexact 0
		.amdhsa_exception_int_div_zero 0
	.end_amdhsa_kernel
	.section	.text._Z38paged_attention_ll4mi_QKV_mfma4_kernelI14__hip_bfloat16S0_LN4vllm18Fp8KVCacheDataTypeE0ES0_Li32ELi128ELi256ELb1ELi4EEvPKT_PKT0_S8_ifPKiSA_SA_iPKfiiiPfSD_PS3_PT2_iSC_SC_,"axG",@progbits,_Z38paged_attention_ll4mi_QKV_mfma4_kernelI14__hip_bfloat16S0_LN4vllm18Fp8KVCacheDataTypeE0ES0_Li32ELi128ELi256ELb1ELi4EEvPKT_PKT0_S8_ifPKiSA_SA_iPKfiiiPfSD_PS3_PT2_iSC_SC_,comdat
.Lfunc_end731:
	.size	_Z38paged_attention_ll4mi_QKV_mfma4_kernelI14__hip_bfloat16S0_LN4vllm18Fp8KVCacheDataTypeE0ES0_Li32ELi128ELi256ELb1ELi4EEvPKT_PKT0_S8_ifPKiSA_SA_iPKfiiiPfSD_PS3_PT2_iSC_SC_, .Lfunc_end731-_Z38paged_attention_ll4mi_QKV_mfma4_kernelI14__hip_bfloat16S0_LN4vllm18Fp8KVCacheDataTypeE0ES0_Li32ELi128ELi256ELb1ELi4EEvPKT_PKT0_S8_ifPKiSA_SA_iPKfiiiPfSD_PS3_PT2_iSC_SC_
                                        ; -- End function
	.section	.AMDGPU.csdata,"",@progbits
; Kernel info:
; codeLenInByte = 4532
; NumSgprs: 47
; NumVgprs: 94
; NumAgprs: 8
; TotalNumVgprs: 104
; ScratchSize: 0
; MemoryBound: 0
; FloatMode: 240
; IeeeMode: 1
; LDSByteSize: 5280 bytes/workgroup (compile time only)
; SGPRBlocks: 5
; VGPRBlocks: 12
; NumSGPRsForWavesPerEU: 47
; NumVGPRsForWavesPerEU: 104
; AccumOffset: 96
; Occupancy: 4
; WaveLimiterHint : 1
; COMPUTE_PGM_RSRC2:SCRATCH_EN: 0
; COMPUTE_PGM_RSRC2:USER_SGPR: 2
; COMPUTE_PGM_RSRC2:TRAP_HANDLER: 0
; COMPUTE_PGM_RSRC2:TGID_X_EN: 1
; COMPUTE_PGM_RSRC2:TGID_Y_EN: 1
; COMPUTE_PGM_RSRC2:TGID_Z_EN: 1
; COMPUTE_PGM_RSRC2:TIDIG_COMP_CNT: 0
; COMPUTE_PGM_RSRC3_GFX90A:ACCUM_OFFSET: 23
; COMPUTE_PGM_RSRC3_GFX90A:TG_SPLIT: 0
	.section	.text._Z39paged_attention_ll4mi_QKV_mfma16_kernelI14__hip_bfloat16S0_LN4vllm18Fp8KVCacheDataTypeE0ES0_Li32ELi128ELi256ELb1ELi5EEvPKT_PKT0_S8_ifPKiSA_SA_iPKfiiiPfSD_PS3_PT2_iSC_SC_,"axG",@progbits,_Z39paged_attention_ll4mi_QKV_mfma16_kernelI14__hip_bfloat16S0_LN4vllm18Fp8KVCacheDataTypeE0ES0_Li32ELi128ELi256ELb1ELi5EEvPKT_PKT0_S8_ifPKiSA_SA_iPKfiiiPfSD_PS3_PT2_iSC_SC_,comdat
	.protected	_Z39paged_attention_ll4mi_QKV_mfma16_kernelI14__hip_bfloat16S0_LN4vllm18Fp8KVCacheDataTypeE0ES0_Li32ELi128ELi256ELb1ELi5EEvPKT_PKT0_S8_ifPKiSA_SA_iPKfiiiPfSD_PS3_PT2_iSC_SC_ ; -- Begin function _Z39paged_attention_ll4mi_QKV_mfma16_kernelI14__hip_bfloat16S0_LN4vllm18Fp8KVCacheDataTypeE0ES0_Li32ELi128ELi256ELb1ELi5EEvPKT_PKT0_S8_ifPKiSA_SA_iPKfiiiPfSD_PS3_PT2_iSC_SC_
	.globl	_Z39paged_attention_ll4mi_QKV_mfma16_kernelI14__hip_bfloat16S0_LN4vllm18Fp8KVCacheDataTypeE0ES0_Li32ELi128ELi256ELb1ELi5EEvPKT_PKT0_S8_ifPKiSA_SA_iPKfiiiPfSD_PS3_PT2_iSC_SC_
	.p2align	8
	.type	_Z39paged_attention_ll4mi_QKV_mfma16_kernelI14__hip_bfloat16S0_LN4vllm18Fp8KVCacheDataTypeE0ES0_Li32ELi128ELi256ELb1ELi5EEvPKT_PKT0_S8_ifPKiSA_SA_iPKfiiiPfSD_PS3_PT2_iSC_SC_,@function
_Z39paged_attention_ll4mi_QKV_mfma16_kernelI14__hip_bfloat16S0_LN4vllm18Fp8KVCacheDataTypeE0ES0_Li32ELi128ELi256ELb1ELi5EEvPKT_PKT0_S8_ifPKiSA_SA_iPKfiiiPfSD_PS3_PT2_iSC_SC_: ; @_Z39paged_attention_ll4mi_QKV_mfma16_kernelI14__hip_bfloat16S0_LN4vllm18Fp8KVCacheDataTypeE0ES0_Li32ELi128ELi256ELb1ELi5EEvPKT_PKT0_S8_ifPKiSA_SA_iPKfiiiPfSD_PS3_PT2_iSC_SC_
; %bb.0:
	s_load_dwordx2 s[8:9], s[0:1], 0x30
	s_mov_b32 s26, s3
	s_mov_b64 s[6:7], 0
	s_waitcnt lgkmcnt(0)
	s_cmp_lg_u64 s[8:9], 0
	s_cselect_b64 s[10:11], -1, 0
	s_and_b64 vcc, exec, s[10:11]
	s_cbranch_vccz .LBB732_7
; %bb.1:
	s_add_i32 s12, s2, 1
	s_mov_b32 s13, 0
	s_lshl_b64 s[14:15], s[12:13], 2
	s_add_u32 s14, s8, s14
	s_mov_b32 s3, s13
	s_addc_u32 s15, s9, s15
	s_lshl_b64 s[12:13], s[2:3], 2
	s_add_u32 s12, s8, s12
	s_addc_u32 s13, s9, s13
	s_load_dword s5, s[14:15], 0x0
	s_load_dword s16, s[12:13], 0x0
	s_waitcnt lgkmcnt(0)
	s_sub_i32 s5, s5, s16
	s_cmp_eq_u32 s5, 1
	s_cselect_b64 s[12:13], -1, 0
	s_andn2_b64 vcc, exec, s[6:7]
	s_cbranch_vccnz .LBB732_3
.LBB732_2:
	s_mov_b32 s3, 0
	s_mov_b64 s[12:13], -1
.LBB732_3:
	s_andn2_b64 vcc, exec, s[12:13]
	s_cbranch_vccnz .LBB732_22
; %bb.4:
	s_load_dwordx2 s[6:7], s[0:1], 0x28
	s_lshl_b64 s[12:13], s[2:3], 2
	s_waitcnt lgkmcnt(0)
	s_add_u32 s6, s6, s12
	s_addc_u32 s7, s7, s13
	s_load_dword s27, s[6:7], 0x0
	s_lshl_b32 s18, s26, 8
	s_waitcnt lgkmcnt(0)
	s_cmp_ge_i32 s18, s27
	s_cbranch_scc1 .LBB732_22
; %bb.5:
	s_load_dwordx2 s[6:7], s[0:1], 0x20
	s_load_dword s5, s[0:1], 0x38
	s_add_i32 s14, s27, 31
	s_ashr_i32 s15, s14, 31
	v_and_b32_e32 v1, 0xcf, v0
	s_lshr_b32 s15, s15, 27
	v_add_u32_e32 v1, s18, v1
	s_add_i32 s14, s14, s15
	v_ashrrev_i32_e32 v2, 31, v1
	s_ashr_i32 s19, s14, 5
	v_lshrrev_b32_e32 v4, 27, v2
	s_add_i32 s19, s19, -1
	s_waitcnt lgkmcnt(0)
	s_mul_i32 s14, s2, s5
	s_mov_b32 s15, 0
	v_add_u32_e32 v2, v1, v4
	s_lshl_b64 s[14:15], s[14:15], 2
	v_ashrrev_i32_e32 v2, 5, v2
	v_mov_b32_e32 v5, s19
	v_cmp_gt_i32_e32 vcc, s27, v1
	s_add_u32 s6, s6, s14
	s_addc_u32 s7, s7, s15
	v_cndmask_b32_e32 v2, v5, v2, vcc
	v_ashrrev_i32_e32 v3, 31, v2
	v_lshl_add_u64 v[6:7], v[2:3], 2, s[6:7]
	v_or_b32_e32 v2, 16, v1
	v_add_u32_e32 v3, v2, v4
	v_ashrrev_i32_e32 v3, 5, v3
	v_cmp_gt_i32_e32 vcc, s27, v2
	s_nop 1
	v_cndmask_b32_e32 v2, v5, v3, vcc
	v_ashrrev_i32_e32 v3, 31, v2
	v_lshl_add_u64 v[8:9], v[2:3], 2, s[6:7]
	v_or_b32_e32 v2, 32, v1
	v_add_u32_e32 v3, v2, v4
	v_ashrrev_i32_e32 v3, 5, v3
	v_cmp_gt_i32_e32 vcc, s27, v2
	v_or_b32_e32 v1, 48, v1
	s_nop 0
	v_cndmask_b32_e32 v2, v5, v3, vcc
	v_ashrrev_i32_e32 v3, 31, v2
	v_lshl_add_u64 v[10:11], v[2:3], 2, s[6:7]
	v_add_u32_e32 v2, v1, v4
	v_ashrrev_i32_e32 v2, 5, v2
	v_cmp_gt_i32_e32 vcc, s27, v1
	s_nop 1
	v_cndmask_b32_e32 v2, v5, v2, vcc
	v_ashrrev_i32_e32 v3, 31, v2
	v_lshl_add_u64 v[12:13], v[2:3], 2, s[6:7]
	global_load_dword v5, v[6:7], off
	global_load_dword v4, v[8:9], off
	global_load_dword v3, v[10:11], off
	global_load_dword v2, v[12:13], off
	s_andn2_b64 vcc, exec, s[10:11]
	s_cbranch_vccnz .LBB732_8
; %bb.6:
	s_add_u32 s8, s8, s12
	s_addc_u32 s9, s9, s13
	s_load_dword s5, s[8:9], 0x0
	s_branch .LBB732_9
.LBB732_7:
	s_mov_b64 s[12:13], 0
	s_branch .LBB732_2
.LBB732_8:
	s_mov_b32 s5, s2
.LBB732_9:
	s_load_dwordx2 s[14:15], s[0:1], 0x8
	s_load_dwordx4 s[8:11], s[0:1], 0x48
	v_lshrrev_b32_e32 v88, 6, v0
	v_bfe_u32 v1, v0, 4, 2
	v_lshl_or_b32 v6, v88, 2, v1
	v_and_b32_e32 v84, 15, v0
	v_lshlrev_b32_e32 v82, 3, v84
	v_cmp_lt_u32_e32 vcc, 4, v6
	s_and_saveexec_b64 s[12:13], vcc
	s_xor_b64 s[12:13], exec, s[12:13]
; %bb.10:
	v_mov_b32_e32 v83, 0
                                        ; implicit-def: $vgpr6
; %bb.11:
	s_or_saveexec_b64 s[16:17], s[12:13]
	s_load_dwordx2 s[12:13], s[0:1], 0x10
	s_mul_i32 s40, s4, 5
	s_xor_b64 exec, exec, s[16:17]
	s_cbranch_execz .LBB732_13
; %bb.12:
	s_load_dwordx2 s[20:21], s[0:1], 0x0
	s_waitcnt lgkmcnt(0)
	s_ashr_i32 s11, s8, 31
	s_mul_hi_u32 s22, s5, s8
	s_mul_i32 s11, s5, s11
	s_add_i32 s23, s22, s11
	s_mul_i32 s22, s5, s8
	s_lshl_b64 s[22:23], s[22:23], 1
	s_add_u32 s20, s20, s22
	v_add_lshl_u32 v8, v6, s40, 7
	s_addc_u32 s21, s21, s23
	v_ashrrev_i32_e32 v9, 31, v8
	v_mov_b32_e32 v83, 0
	v_lshl_add_u64 v[8:9], v[8:9], 1, s[20:21]
	v_lshlrev_b32_e32 v10, 1, v82
	v_mov_b32_e32 v11, v83
	v_lshl_add_u64 v[8:9], v[8:9], 0, v[10:11]
	global_load_dwordx4 v[8:11], v[8:9], off
	v_and_b32_e32 v7, 3, v0
	v_lshlrev_b32_e32 v12, 9, v84
	v_lshlrev_b32_e32 v6, 5, v6
	;; [unrolled: 1-line block ×3, first 2 shown]
	v_and_b32_e32 v12, 0x1800, v12
	v_or3_b32 v6, v12, v7, v6
	s_waitcnt vmcnt(0)
	ds_write_b128 v6, v[8:11]
.LBB732_13:
	s_or_b64 exec, exec, s[16:17]
	s_waitcnt lgkmcnt(0)
	s_mul_i32 s4, s4, s10
	s_mov_b32 s5, 0
	s_lshl_b64 s[4:5], s[4:5], 1
	s_add_u32 s10, s14, s4
	s_addc_u32 s11, s15, s5
	s_waitcnt vmcnt(3)
	v_mad_i64_i32 v[6:7], s[14:15], v5, s9, 0
	v_lshl_add_u64 v[6:7], v[6:7], 1, s[10:11]
	v_lshlrev_b64 v[8:9], 1, v[82:83]
	v_lshlrev_b32_e32 v86, 9, v1
	v_lshl_add_u64 v[6:7], v[6:7], 0, v[8:9]
	v_mov_b32_e32 v87, 0
	v_lshl_add_u64 v[10:11], v[6:7], 0, v[86:87]
	v_or_b32_e32 v14, 0x1000, v86
	v_mov_b32_e32 v15, v87
	v_or_b32_e32 v16, 0x1800, v86
	v_mov_b32_e32 v17, v87
	s_barrier
	global_load_dwordx4 v[66:69], v[10:11], off
	global_load_dwordx4 v[62:65], v[10:11], off offset:2048
	v_lshl_add_u64 v[10:11], v[6:7], 0, v[14:15]
	v_lshl_add_u64 v[6:7], v[6:7], 0, v[16:17]
	global_load_dwordx4 v[78:81], v[10:11], off
	global_load_dwordx4 v[74:77], v[6:7], off
	s_waitcnt vmcnt(6)
	v_mad_i64_i32 v[4:5], s[14:15], v4, s9, 0
	v_mov_b32_e32 v6, 0x100
	v_lshl_add_u64 v[4:5], v[4:5], 1, s[10:11]
	v_lshl_or_b32 v6, v84, 4, v6
	v_mov_b32_e32 v7, v87
	v_lshl_add_u64 v[4:5], v[4:5], 0, v[6:7]
	v_lshl_add_u64 v[10:11], v[4:5], 0, v[86:87]
	global_load_dwordx4 v[70:73], v[10:11], off
	global_load_dwordx4 v[58:61], v[10:11], off offset:2048
	v_lshl_add_u64 v[10:11], v[4:5], 0, v[14:15]
	v_lshl_add_u64 v[4:5], v[4:5], 0, v[16:17]
	global_load_dwordx4 v[54:57], v[10:11], off
	global_load_dwordx4 v[30:33], v[4:5], off
	s_waitcnt vmcnt(9)
	v_mad_i64_i32 v[4:5], s[14:15], v3, s9, 0
	v_lshl_add_u64 v[4:5], v[4:5], 1, s[10:11]
	s_waitcnt vmcnt(8)
	v_mad_i64_i32 v[2:3], s[14:15], v2, s9, 0
	v_lshl_add_u64 v[4:5], v[4:5], 0, v[8:9]
	v_lshl_add_u64 v[2:3], v[2:3], 1, s[10:11]
	;; [unrolled: 1-line block ×4, first 2 shown]
	global_load_dwordx4 v[26:29], v[8:9], off
	global_load_dwordx4 v[22:25], v[8:9], off offset:2048
	v_lshl_add_u64 v[8:9], v[4:5], 0, v[14:15]
	v_lshl_add_u64 v[4:5], v[4:5], 0, v[16:17]
	v_lshl_add_u64 v[2:3], v[34:35], 0, v[86:87]
	v_lshl_add_u64 v[14:15], v[34:35], 0, v[14:15]
	global_load_dwordx4 v[18:21], v[8:9], off
	global_load_dwordx4 v[10:13], v[4:5], off
	s_nop 0
	global_load_dwordx4 v[6:9], v[2:3], off
	s_nop 0
	global_load_dwordx4 v[2:5], v[2:3], off offset:2048
	v_lshl_add_u64 v[16:17], v[34:35], 0, v[16:17]
	global_load_dwordx4 v[38:41], v[14:15], off
	global_load_dwordx4 v[34:37], v[16:17], off
	v_mul_lo_u16_e32 v14, 52, v84
	v_mov_b32_e32 v15, 5
	v_mul_lo_u16_sdwa v14, v14, v15 dst_sel:DWORD dst_unused:UNUSED_PAD src0_sel:BYTE_1 src1_sel:DWORD
	v_sub_u16_e32 v14, v84, v14
	v_and_b32_e32 v14, 0xff, v14
	v_lshl_add_u32 v42, v14, 5, v86
	ds_read_b128 v[14:17], v42
	ds_read_b128 v[50:53], v42 offset:2048
	ds_read_b128 v[46:49], v42 offset:4096
	ds_read_b128 v[42:45], v42 offset:6144
	v_and_b32_e32 v85, 63, v0
	v_cmp_gt_u32_e32 vcc, 5, v84
	v_mov_b32_e32 v89, 0
	s_and_saveexec_b64 s[10:11], vcc
	s_cbranch_execz .LBB732_15
; %bb.14:
	s_load_dwordx2 s[14:15], s[0:1], 0x40
	v_add_u32_e32 v90, s40, v84
	v_ashrrev_i32_e32 v91, 31, v90
	s_waitcnt lgkmcnt(0)
	v_lshl_add_u64 v[90:91], v[90:91], 2, s[14:15]
	global_load_dword v89, v[90:91], off
.LBB732_15:
	s_or_b64 exec, exec, s[10:11]
	s_waitcnt vmcnt(15) lgkmcnt(3)
	v_mfma_f32_16x16x16_bf16 v[90:93], v[66:67], v[14:15], 0
	s_ashr_i32 s8, s18, 31
	s_lshr_b32 s8, s8, 27
	s_add_u32 s4, s12, s4
	v_mfma_f32_16x16x16_bf16 v[66:69], v[68:69], v[16:17], v[90:93]
	s_addc_u32 s5, s13, s5
	s_mov_b32 s33, 0xff7fffff
	s_waitcnt vmcnt(14) lgkmcnt(2)
	v_mfma_f32_16x16x16_bf16 v[66:69], v[62:63], v[50:51], v[66:69]
	v_lshl_or_b32 v90, v88, 4, v84
	v_mfma_f32_16x16x16_bf16 v[62:65], v[64:65], v[52:53], v[66:69]
	s_waitcnt vmcnt(13) lgkmcnt(1)
	v_mfma_f32_16x16x16_bf16 v[62:65], v[78:79], v[46:47], v[62:65]
	v_mfma_f32_16x16x16_bf16 v[62:65], v[80:81], v[48:49], v[62:65]
	s_waitcnt vmcnt(12) lgkmcnt(0)
	v_mfma_f32_16x16x16_bf16 v[62:65], v[74:75], v[42:43], v[62:65]
	v_and_or_b32 v74, v0, 48, s18
	v_add_u32_e32 v66, s8, v74
	v_ashrrev_i32_e32 v75, 5, v66
	s_waitcnt vmcnt(11)
	v_mfma_f32_16x16x16_bf16 v[66:69], v[70:71], v[14:15], 0
	v_cmp_gt_i32_e32 vcc, s27, v74
	v_mfma_f32_16x16x16_bf16 v[66:69], v[72:73], v[16:17], v[66:69]
	v_or_b32_e32 v72, 64, v74
	v_add_u32_e32 v73, s8, v72
	s_waitcnt vmcnt(10)
	v_mfma_f32_16x16x16_bf16 v[66:69], v[58:59], v[50:51], v[66:69]
	v_ashrrev_i32_e32 v58, 5, v73
	v_mfma_f32_16x16x16_bf16 v[62:65], v[76:77], v[44:45], v[62:65]
	v_mov_b32_e32 v76, s19
	v_cndmask_b32_e32 v70, v76, v75, vcc
	v_cmp_gt_i32_e32 vcc, s27, v72
	v_ashrrev_i32_e32 v71, 31, v70
	v_lshl_add_u64 v[70:71], v[70:71], 2, s[6:7]
	v_cndmask_b32_e32 v72, v76, v58, vcc
	v_mfma_f32_16x16x16_bf16 v[58:61], v[60:61], v[52:53], v[66:69]
	v_ashrrev_i32_e32 v73, 31, v72
	s_waitcnt vmcnt(9)
	v_mfma_f32_16x16x16_bf16 v[58:61], v[54:55], v[46:47], v[58:61]
	v_lshl_add_u64 v[66:67], v[72:73], 2, s[6:7]
	global_load_dword v68, v[70:71], off
	s_nop 0
	global_load_dword v66, v[66:67], off
	v_or_b32_e32 v67, 0x80, v74
	v_add_u32_e32 v69, s8, v67
	v_mfma_f32_16x16x16_bf16 v[54:57], v[56:57], v[48:49], v[58:61]
	v_cmp_gt_i32_e32 vcc, s27, v67
	s_nop 1
	v_ashrrev_i32_e32 v58, 5, v69
	v_cndmask_b32_e32 v58, v76, v58, vcc
	v_ashrrev_i32_e32 v59, 31, v58
	s_waitcnt vmcnt(10)
	v_mfma_f32_16x16x16_bf16 v[54:57], v[30:31], v[42:43], v[54:57]
	v_lshl_add_u64 v[30:31], v[58:59], 2, s[6:7]
	global_load_dword v70, v[30:31], off
	v_mfma_f32_16x16x16_bf16 v[58:61], v[32:33], v[44:45], v[54:57]
	s_nop 3
	v_or_b32_e32 v54, 0xc0, v74
	v_add_u32_e32 v30, s8, v54
	v_ashrrev_i32_e32 v55, 5, v30
	v_cmp_gt_i32_e32 vcc, s27, v54
	s_waitcnt vmcnt(10)
	v_mfma_f32_16x16x16_bf16 v[30:33], v[26:27], v[14:15], 0
	v_cndmask_b32_e32 v26, v76, v55, vcc
	v_ashrrev_i32_e32 v27, 31, v26
	v_lshl_add_u64 v[54:55], v[26:27], 2, s[6:7]
	global_load_dword v71, v[54:55], off
	v_mfma_f32_16x16x16_bf16 v[26:29], v[28:29], v[16:17], v[30:33]
	s_load_dword s6, s[0:1], 0x1c
	s_waitcnt vmcnt(10)
	v_mfma_f32_16x16x16_bf16 v[26:29], v[22:23], v[50:51], v[26:29]
	v_and_b32_e32 v30, 16, v0
	v_lshlrev_b32_e32 v86, 1, v30
	v_lshl_add_u64 v[74:75], s[4:5], 0, v[86:87]
	v_mfma_f32_16x16x16_bf16 v[22:25], v[24:25], v[52:53], v[26:29]
	v_lshlrev_b32_e32 v86, 6, v90
	v_lshl_add_u64 v[76:77], v[74:75], 0, v[86:87]
	v_or_b32_e32 v86, 0x1000, v86
	s_waitcnt vmcnt(9)
	v_mfma_f32_16x16x16_bf16 v[22:25], v[18:19], v[46:47], v[22:25]
	v_lshl_add_u64 v[80:81], v[74:75], 0, v[86:87]
	s_waitcnt lgkmcnt(0)
	v_pk_mul_f32 v[74:75], s[6:7], v[60:61] op_sel_hi:[0,1]
	v_mfma_f32_16x16x16_bf16 v[18:21], v[20:21], v[48:49], v[22:25]
	s_waitcnt vmcnt(8)
	v_mfma_f32_16x16x16_bf16 v[18:21], v[10:11], v[42:43], v[18:21]
	s_waitcnt vmcnt(3)
	v_mad_i64_i32 v[22:23], s[4:5], v68, s9, 0
	s_waitcnt vmcnt(2)
	v_mad_i64_i32 v[10:11], s[4:5], v66, s9, 0
	v_lshlrev_b64 v[78:79], 1, v[22:23]
	v_lshlrev_b64 v[54:55], 1, v[10:11]
	v_lshl_add_u64 v[22:23], v[76:77], 0, v[78:79]
	v_lshl_add_u64 v[10:11], v[76:77], 0, v[54:55]
	global_load_dwordx4 v[30:33], v[22:23], off
	global_load_dwordx4 v[26:29], v[22:23], off offset:16
	v_mfma_f32_16x16x16_bf16 v[66:69], v[12:13], v[44:45], v[18:21]
	global_load_dwordx4 v[22:25], v[10:11], off
	s_nop 1
	global_load_dwordx4 v[18:21], v[10:11], off offset:16
	v_mfma_f32_16x16x16_bf16 v[10:13], v[6:7], v[14:15], 0
	s_waitcnt vmcnt(5)
	v_mad_i64_i32 v[6:7], s[4:5], v70, s9, 0
	v_lshlrev_b64 v[56:57], 1, v[6:7]
	v_mfma_f32_16x16x16_bf16 v[6:9], v[8:9], v[16:17], v[10:13]
	v_mfma_f32_16x16x16_bf16 v[6:9], v[2:3], v[50:51], v[6:9]
	s_nop 1
	v_lshl_add_u64 v[10:11], v[76:77], 0, v[56:57]
	global_load_dwordx4 v[14:17], v[10:11], off
	s_nop 0
	global_load_dwordx4 v[10:13], v[10:11], off offset:16
	s_waitcnt vmcnt(6)
	v_mad_i64_i32 v[2:3], s[4:5], v71, s9, 0
	v_mfma_f32_16x16x16_bf16 v[70:73], v[4:5], v[52:53], v[6:9]
	v_pk_mul_f32 v[52:53], s[6:7], v[62:63] op_sel_hi:[0,1]
	v_lshlrev_b64 v[50:51], 1, v[2:3]
	v_lshl_add_u64 v[2:3], v[76:77], 0, v[50:51]
	v_mfma_f32_16x16x16_bf16 v[70:73], v[38:39], v[46:47], v[70:73]
	v_lshl_add_u64 v[38:39], v[80:81], 0, v[78:79]
	v_pk_mul_f32 v[78:79], s[6:7], v[64:65] op_sel_hi:[0,1]
	v_pk_mul_f32 v[76:77], s[6:7], v[58:59] op_sel_hi:[0,1]
	v_mfma_f32_16x16x16_bf16 v[46:49], v[40:41], v[48:49], v[70:73]
	v_lshl_add_u64 v[50:51], v[80:81], 0, v[50:51]
	global_load_dwordx4 v[6:9], v[2:3], off
	s_nop 0
	global_load_dwordx4 v[2:5], v[2:3], off offset:16
	v_pk_mul_f32 v[70:71], s[6:7], v[68:69] op_sel_hi:[0,1]
	v_mfma_f32_16x16x16_bf16 v[40:43], v[34:35], v[42:43], v[46:49]
	v_pk_mul_f32 v[72:73], s[6:7], v[66:67] op_sel_hi:[0,1]
	v_mfma_f32_16x16x16_bf16 v[34:37], v[36:37], v[44:45], v[40:43]
	s_nop 6
	v_pk_mul_f32 v[68:69], s[6:7], v[34:35] op_sel_hi:[0,1]
	v_and_b32_e32 v34, 0xc0, v0
	v_add_u32_e32 v34, s18, v34
	v_lshl_or_b32 v34, v1, 2, v34
	v_or_b32_e32 v35, 1, v34
	v_pk_mul_f32 v[66:67], s[6:7], v[36:37] op_sel_hi:[0,1]
	v_subrev_u32_e32 v36, s27, v35
	v_add_u32_e32 v40, 1, v36
	v_add_u32_e32 v41, 2, v36
	v_cvt_f32_i32_e32 v37, v36
	v_cvt_f32_i32_e32 v40, v40
	;; [unrolled: 1-line block ×3, first 2 shown]
	v_add_u32_e32 v42, 3, v36
	v_fma_f32 v52, v89, v37, v52
	v_fmac_f32_e32 v53, v89, v40
	v_fma_f32 v78, v89, v41, v78
	v_add_u32_e32 v37, 16, v36
	v_add_u32_e32 v40, 17, v36
	;; [unrolled: 1-line block ×3, first 2 shown]
	v_cvt_f32_i32_e32 v42, v42
	v_cvt_f32_i32_e32 v37, v37
	;; [unrolled: 1-line block ×4, first 2 shown]
	v_fmac_f32_e32 v79, v89, v42
	v_add_u32_e32 v42, 19, v36
	v_fma_f32 v76, v89, v37, v76
	v_fmac_f32_e32 v77, v89, v40
	v_fma_f32 v74, v89, v41, v74
	v_add_u32_e32 v37, 32, v36
	v_add_u32_e32 v40, 33, v36
	;; [unrolled: 1-line block ×3, first 2 shown]
	v_cvt_f32_i32_e32 v42, v42
	v_cvt_f32_i32_e32 v37, v37
	;; [unrolled: 1-line block ×4, first 2 shown]
	v_fmac_f32_e32 v75, v89, v42
	v_add_u32_e32 v42, 35, v36
	v_fma_f32 v72, v89, v37, v72
	v_fmac_f32_e32 v73, v89, v40
	v_fma_f32 v70, v89, v41, v70
	v_add_u32_e32 v37, 48, v36
	v_add_u32_e32 v40, 49, v36
	;; [unrolled: 1-line block ×4, first 2 shown]
	v_cvt_f32_i32_e32 v36, v36
	v_cvt_f32_i32_e32 v37, v37
	;; [unrolled: 1-line block ×3, first 2 shown]
	v_cmp_gt_i32_e64 s[28:29], s27, v34
	v_fmac_f32_e32 v67, v89, v36
	v_mov_b32_e32 v36, 0xff7fffff
	v_cmp_gt_i32_e64 s[30:31], s27, v35
	v_fma_f32 v68, v89, v37, v68
	v_cndmask_b32_e64 v37, v36, v52, s[28:29]
	v_cndmask_b32_e64 v35, v36, v53, s[30:31]
	v_fmac_f32_e32 v69, v89, v40
	v_max3_f32 v35, v37, s33, v35
	v_or_b32_e32 v37, 2, v34
	v_or_b32_e32 v40, 3, v34
	v_cmp_gt_i32_e64 s[34:35], s27, v37
	v_cmp_gt_i32_e64 s[36:37], s27, v40
	v_cvt_f32_i32_e32 v42, v42
	v_cndmask_b32_e64 v37, v36, v78, s[34:35]
	v_cndmask_b32_e64 v40, v36, v79, s[36:37]
	v_max3_f32 v35, v35, v37, v40
	v_or_b32_e32 v37, 16, v34
	v_or_b32_e32 v40, 17, v34
	v_cmp_gt_i32_e64 s[22:23], s27, v37
	v_cmp_gt_i32_e64 s[24:25], s27, v40
	v_fmac_f32_e32 v71, v89, v42
	v_cndmask_b32_e64 v37, v36, v76, s[22:23]
	v_cndmask_b32_e64 v40, v36, v77, s[24:25]
	v_max3_f32 v35, v35, v37, v40
	v_or_b32_e32 v37, 18, v34
	v_or_b32_e32 v40, 19, v34
	v_cmp_gt_i32_e64 s[18:19], s27, v37
	v_cmp_gt_i32_e64 s[20:21], s27, v40
	v_cvt_f32_i32_e32 v41, v41
	v_cndmask_b32_e64 v37, v36, v74, s[18:19]
	v_cndmask_b32_e64 v40, v36, v75, s[20:21]
	v_max3_f32 v35, v35, v37, v40
	v_or_b32_e32 v37, 32, v34
	v_or_b32_e32 v40, 33, v34
	v_cmp_gt_i32_e64 s[14:15], s27, v37
	v_cmp_gt_i32_e64 s[16:17], s27, v40
	v_fma_f32 v66, v89, v41, v66
	v_cndmask_b32_e64 v37, v36, v72, s[14:15]
	v_cndmask_b32_e64 v40, v36, v73, s[16:17]
	v_max3_f32 v35, v35, v37, v40
	v_or_b32_e32 v37, 34, v34
	v_or_b32_e32 v40, 35, v34
	v_cmp_gt_i32_e64 s[10:11], s27, v37
	v_cmp_gt_i32_e64 s[12:13], s27, v40
	s_nop 0
	v_cndmask_b32_e64 v37, v36, v70, s[10:11]
	v_cndmask_b32_e64 v40, v36, v71, s[12:13]
	v_max3_f32 v35, v35, v37, v40
	v_or_b32_e32 v37, 48, v34
	v_or_b32_e32 v40, 49, v34
	v_cmp_gt_i32_e64 s[6:7], s27, v37
	v_cmp_gt_i32_e64 s[8:9], s27, v40
	s_nop 0
	v_cndmask_b32_e64 v37, v36, v68, s[6:7]
	v_cndmask_b32_e64 v40, v36, v69, s[8:9]
	v_max3_f32 v35, v35, v37, v40
	v_or_b32_e32 v37, 50, v34
	v_or_b32_e32 v34, 51, v34
	v_cmp_gt_i32_e32 vcc, s27, v37
	v_cmp_gt_i32_e64 s[4:5], s27, v34
	global_load_dwordx4 v[46:49], v[38:39], off
	s_nop 0
	global_load_dwordx4 v[38:41], v[38:39], off offset:16
	v_cndmask_b32_e32 v37, v36, v66, vcc
	v_cndmask_b32_e64 v34, v36, v67, s[4:5]
	v_max3_f32 v58, v35, v37, v34
	v_mbcnt_lo_u32_b32 v34, -1, 0
	v_mbcnt_hi_u32_b32 v59, -1, v34
	v_and_b32_e32 v34, 64, v59
	v_add_u32_e32 v60, 64, v34
	v_xor_b32_e32 v34, 32, v59
	v_cmp_lt_i32_e64 s[38:39], v34, v60
	s_nop 1
	v_cndmask_b32_e64 v34, v59, v34, s[38:39]
	v_lshlrev_b32_e32 v87, 2, v34
	ds_bpermute_b32 v61, v87, v58
	v_lshl_add_u64 v[34:35], v[80:81], 0, v[54:55]
	global_load_dwordx4 v[42:45], v[34:35], off
	s_nop 0
	global_load_dwordx4 v[34:37], v[34:35], off offset:16
	s_waitcnt lgkmcnt(0)
	v_max_f32_e32 v54, v61, v61
	v_max_f32_e32 v62, v58, v54
	v_xor_b32_e32 v54, 16, v59
	v_cmp_lt_i32_e64 s[38:39], v54, v60
	s_nop 1
	v_cndmask_b32_e64 v54, v59, v54, s[38:39]
	v_lshlrev_b32_e32 v89, 2, v54
	ds_bpermute_b32 v63, v89, v62
	v_lshl_add_u64 v[54:55], v[80:81], 0, v[56:57]
	global_load_dwordx4 v[58:61], v[54:55], off
	s_nop 0
	global_load_dwordx4 v[54:57], v[54:55], off offset:16
	s_waitcnt lgkmcnt(0)
	v_max_f32_e32 v63, v63, v63
	v_max_f32_e32 v86, v62, v63
	v_sub_f32_e32 v52, v52, v86
	v_mul_f32_e32 v52, 0x3fb8aa3b, v52
	v_exp_f32_e32 v80, v52
	v_sub_f32_e32 v52, v53, v86
	v_mul_f32_e32 v52, 0x3fb8aa3b, v52
	v_exp_f32_e32 v81, v52
	global_load_dwordx4 v[62:65], v[50:51], off
	s_nop 0
	global_load_dwordx4 v[50:53], v[50:51], off offset:16
	v_sub_f32_e32 v78, v78, v86
	v_mul_f32_e32 v78, 0x3fb8aa3b, v78
	v_sub_f32_e32 v79, v79, v86
	v_exp_f32_e32 v78, v78
	v_mul_f32_e32 v79, 0x3fb8aa3b, v79
	v_sub_f32_e32 v76, v76, v86
	v_exp_f32_e32 v79, v79
	v_mul_f32_e32 v76, 0x3fb8aa3b, v76
	v_sub_f32_e32 v77, v77, v86
	v_cndmask_b32_e64 v80, 0, v80, s[28:29]
	v_exp_f32_e32 v76, v76
	v_mul_f32_e32 v77, 0x3fb8aa3b, v77
	v_sub_f32_e32 v74, v74, v86
	v_add_f32_e32 v91, 0, v80
	v_cndmask_b32_e64 v81, 0, v81, s[30:31]
	v_exp_f32_e32 v77, v77
	v_mul_f32_e32 v74, 0x3fb8aa3b, v74
	v_sub_f32_e32 v75, v75, v86
	v_add_f32_e32 v91, v91, v81
	;; [unrolled: 5-line block ×10, first 2 shown]
	v_cndmask_b32_e64 v70, 0, v70, s[10:11]
	v_exp_f32_e32 v66, v66
	v_mul_f32_e32 v67, 0x3fb8aa3b, v67
	v_add_f32_e32 v91, v91, v70
	v_cndmask_b32_e64 v71, 0, v71, s[12:13]
	v_exp_f32_e32 v67, v67
	v_add_f32_e32 v91, v91, v71
	v_cndmask_b32_e64 v68, 0, v68, s[6:7]
	v_add_f32_e32 v91, v91, v68
	v_cndmask_b32_e64 v69, 0, v69, s[8:9]
	v_add_f32_e32 v91, v91, v69
	v_cndmask_b32_e32 v66, 0, v66, vcc
	v_add_f32_e32 v91, v91, v66
	v_cndmask_b32_e64 v67, 0, v67, s[4:5]
	v_add_f32_e32 v91, v91, v67
	ds_bpermute_b32 v87, v87, v91
	s_load_dword s9, s[0:1], 0x98
	v_cmp_gt_u32_e64 s[4:5], 16, v85
	s_waitcnt lgkmcnt(0)
	s_barrier
	v_add_f32_e32 v87, v91, v87
	ds_bpermute_b32 v89, v89, v87
	s_waitcnt lgkmcnt(0)
	s_and_saveexec_b64 s[6:7], s[4:5]
	s_cbranch_execz .LBB732_17
; %bb.16:
	v_add_f32_e32 v85, v87, v89
	v_lshlrev_b32_e32 v87, 2, v90
	ds_write2st64_b32 v87, v86, v85 offset1:1
.LBB732_17:
	s_or_b64 exec, exec, s[6:7]
	v_lshlrev_b32_e32 v85, 2, v84
	s_load_dword s8, s[0:1], 0x94
	s_waitcnt lgkmcnt(0)
	s_barrier
	ds_read2_b32 v[90:91], v85 offset1:16
	ds_read2_b32 v[92:93], v85 offset0:32 offset1:48
	ds_read2_b32 v[94:95], v85 offset0:64 offset1:80
	s_movk_i32 s10, 0x7fff
	s_mov_b32 s11, 0x7060302
	s_waitcnt lgkmcnt(2)
	v_max3_f32 v86, v90, s33, v91
	s_waitcnt lgkmcnt(1)
	v_max3_f32 v86, v86, v92, v93
	v_sub_f32_e32 v87, v90, v86
	v_mul_f32_e32 v87, 0x3fb8aa3b, v87
	v_exp_f32_e32 v89, v87
	v_sub_f32_e32 v87, v91, v86
	v_mul_f32_e32 v87, 0x3fb8aa3b, v87
	v_exp_f32_e32 v88, v87
	v_sub_f32_e32 v87, v92, v86
	v_mul_f32_e32 v87, 0x3fb8aa3b, v87
	ds_read2_b32 v[90:91], v85 offset0:96 offset1:112
	v_sub_f32_e32 v85, v93, v86
	v_exp_f32_e32 v92, v87
	v_mul_f32_e32 v85, 0x3fb8aa3b, v85
	v_exp_f32_e32 v85, v85
	s_waitcnt lgkmcnt(1)
	v_fma_f32 v87, v89, v94, 0
	v_fmac_f32_e32 v87, v88, v95
	s_waitcnt lgkmcnt(0)
	v_fmac_f32_e32 v87, v92, v90
	v_fmac_f32_e32 v87, v85, v91
	v_add_f32_e32 v90, 0x358637bd, v87
	v_div_scale_f32 v91, s[6:7], v90, v90, 1.0
	v_rcp_f32_e32 v93, v91
	s_mul_i32 s9, s9, 5
	s_barrier
	v_fma_f32 v94, -v91, v93, 1.0
	v_fmac_f32_e32 v93, v94, v93
	v_div_scale_f32 v94, vcc, 1.0, v90, 1.0
	v_mul_f32_e32 v95, v94, v93
	v_fma_f32 v1, -v91, v95, v94
	v_fmac_f32_e32 v95, v1, v93
	v_fma_f32 v1, -v91, v95, v94
	v_lshrrev_b32_e32 v91, 6, v0
	v_div_fmas_f32 v1, v1, v93, v95
	v_cmp_eq_u32_e32 vcc, 1, v91
	v_div_fixup_f32 v1, v1, v90, 1.0
	s_nop 0
	v_cndmask_b32_e32 v88, v89, v88, vcc
	v_cmp_eq_u32_e32 vcc, 2, v91
	s_nop 1
	v_cndmask_b32_e32 v88, v88, v92, vcc
	v_cmp_eq_u32_e32 vcc, 3, v91
	s_nop 1
	v_cndmask_b32_e32 v85, v88, v85, vcc
	v_mul_f32_e32 v90, v85, v1
	v_pk_mul_f32 v[80:81], v[90:91], v[80:81] op_sel_hi:[0,1]
	v_bfe_u32 v1, v81, 16, 1
	v_bfe_u32 v85, v80, 16, 1
	v_pk_mul_f32 v[78:79], v[90:91], v[78:79] op_sel_hi:[0,1]
	v_add3_u32 v80, v80, v85, s10
	v_add3_u32 v1, v81, v1, s10
	v_perm_b32 v80, v1, v80, s11
	v_bfe_u32 v1, v79, 16, 1
	v_bfe_u32 v81, v78, 16, 1
	v_add3_u32 v78, v78, v81, s10
	v_add3_u32 v1, v79, v1, s10
	v_bfe_u32 v88, v0, 4, 2
	v_perm_b32 v81, v1, v78, s11
	v_lshlrev_b32_e32 v1, 3, v88
	v_lshlrev_b32_e32 v78, 5, v84
	;; [unrolled: 1-line block ×3, first 2 shown]
	v_pk_mul_f32 v[76:77], v[90:91], v[76:77] op_sel_hi:[0,1]
	v_or3_b32 v1, v79, v78, v1
	v_bfe_u32 v79, v77, 16, 1
	v_bfe_u32 v85, v76, 16, 1
	v_pk_mul_f32 v[74:75], v[90:91], v[74:75] op_sel_hi:[0,1]
	v_add3_u32 v76, v76, v85, s10
	v_add3_u32 v77, v77, v79, s10
	v_perm_b32 v76, v77, v76, s11
	v_bfe_u32 v77, v75, 16, 1
	v_bfe_u32 v79, v74, 16, 1
	v_add3_u32 v74, v74, v79, s10
	v_add3_u32 v75, v75, v77, s10
	v_pk_mul_f32 v[72:73], v[90:91], v[72:73] op_sel_hi:[0,1]
	v_perm_b32 v77, v75, v74, s11
	v_bfe_u32 v74, v73, 16, 1
	v_bfe_u32 v75, v72, 16, 1
	v_pk_mul_f32 v[70:71], v[90:91], v[70:71] op_sel_hi:[0,1]
	v_add3_u32 v72, v72, v75, s10
	v_add3_u32 v73, v73, v74, s10
	v_perm_b32 v72, v73, v72, s11
	v_bfe_u32 v73, v71, 16, 1
	v_bfe_u32 v74, v70, 16, 1
	v_add3_u32 v70, v70, v74, s10
	v_add3_u32 v71, v71, v73, s10
	v_pk_mul_f32 v[68:69], v[90:91], v[68:69] op_sel_hi:[0,1]
	v_perm_b32 v73, v71, v70, s11
	v_bfe_u32 v70, v69, 16, 1
	v_bfe_u32 v71, v68, 16, 1
	v_pk_mul_f32 v[66:67], v[90:91], v[66:67] op_sel_hi:[0,1]
	v_add3_u32 v68, v68, v71, s10
	v_add3_u32 v69, v69, v70, s10
	v_perm_b32 v68, v69, v68, s11
	v_bfe_u32 v69, v67, 16, 1
	v_bfe_u32 v70, v66, 16, 1
	v_add3_u32 v66, v66, v70, s10
	v_add3_u32 v67, v67, v69, s10
	v_perm_b32 v69, v67, v66, s11
	v_cmp_gt_u32_e32 vcc, 5, v0
	ds_write2st64_b64 v1, v[80:81], v[76:77] offset1:1
	ds_write2st64_b64 v1, v[72:73], v[68:69] offset0:2 offset1:3
	s_and_saveexec_b64 s[6:7], vcc
	s_cbranch_execz .LBB732_19
; %bb.18:
	s_mov_b32 s41, 0
	v_mov_b32_e32 v85, 0
	v_lshl_add_u64 v[66:67], s[40:41], 0, v[84:85]
	v_mov_b32_e32 v68, s9
	v_mad_u64_u32 v[66:67], s[16:17], s2, v68, v[66:67]
	s_mul_i32 s3, s3, s9
	v_mov_b32_e32 v68, s26
	v_mov_b32_e32 v69, v85
	s_load_dwordx4 s[12:15], s[0:1], 0x58
	v_add_u32_e32 v70, s3, v67
	v_mad_u64_u32 v[66:67], s[16:17], v66, s8, v[68:69]
	v_mov_b32_e32 v68, v67
	v_mad_u64_u32 v[68:69], s[16:17], v70, s8, v[68:69]
	v_mov_b32_e32 v67, v68
	v_lshlrev_b64 v[66:67], 2, v[66:67]
	s_waitcnt lgkmcnt(0)
	v_lshl_add_u64 v[68:69], s[14:15], 0, v[66:67]
	v_lshl_add_u64 v[66:67], s[12:13], 0, v[66:67]
	global_store_dword v[68:69], v86, off
	global_store_dword v[66:67], v87, off
.LBB732_19:
	s_or_b64 exec, exec, s[6:7]
	v_lshl_or_b32 v78, v88, 9, v78
	s_waitcnt lgkmcnt(0)
	s_barrier
	ds_read_b128 v[70:73], v78
	ds_read_b128 v[66:69], v78 offset:16
	s_waitcnt vmcnt(15) lgkmcnt(1)
	v_mfma_f32_16x16x16_bf16 v[74:77], v[30:31], v[70:71], 0
	s_mov_b32 s3, 0
	v_cmp_gt_u32_e32 vcc, 64, v0
	v_mfma_f32_16x16x16_bf16 v[30:33], v[32:33], v[72:73], v[74:77]
	s_waitcnt vmcnt(14) lgkmcnt(0)
	v_mfma_f32_16x16x16_bf16 v[30:33], v[26:27], v[66:67], v[30:33]
	v_mfma_f32_16x16x16_bf16 v[26:29], v[28:29], v[68:69], v[30:33]
	s_nop 5
	ds_read_b128 v[30:33], v78 offset:2048
	ds_read_b128 v[74:77], v78 offset:2064
	s_waitcnt vmcnt(13) lgkmcnt(1)
	v_mfma_f32_16x16x16_bf16 v[26:29], v[22:23], v[30:31], v[26:29]
	v_mfma_f32_16x16x16_bf16 v[22:25], v[24:25], v[32:33], v[26:29]
	s_waitcnt vmcnt(12) lgkmcnt(0)
	v_mfma_f32_16x16x16_bf16 v[22:25], v[18:19], v[74:75], v[22:25]
	v_mfma_f32_16x16x16_bf16 v[18:21], v[20:21], v[76:77], v[22:25]
	s_nop 5
	ds_read_b128 v[22:25], v78 offset:4096
	ds_read_b128 v[26:29], v78 offset:4112
	s_waitcnt vmcnt(11) lgkmcnt(1)
	v_mfma_f32_16x16x16_bf16 v[18:21], v[14:15], v[22:23], v[18:21]
	v_mfma_f32_16x16x16_bf16 v[14:17], v[16:17], v[24:25], v[18:21]
	s_waitcnt vmcnt(10) lgkmcnt(0)
	v_mfma_f32_16x16x16_bf16 v[14:17], v[10:11], v[26:27], v[14:17]
	v_mfma_f32_16x16x16_bf16 v[10:13], v[12:13], v[28:29], v[14:17]
	s_nop 5
	ds_read_b128 v[14:17], v78 offset:6144
	ds_read_b128 v[18:21], v78 offset:6160
	s_waitcnt lgkmcnt(0)
	s_barrier
	s_waitcnt vmcnt(9)
	v_mfma_f32_16x16x16_bf16 v[10:13], v[6:7], v[14:15], v[10:13]
	v_mfma_f32_16x16x16_bf16 v[6:9], v[8:9], v[16:17], v[10:13]
	s_waitcnt vmcnt(8)
	v_mfma_f32_16x16x16_bf16 v[6:9], v[2:3], v[18:19], v[6:9]
	v_mfma_f32_16x16x16_bf16 v[2:5], v[4:5], v[20:21], v[6:9]
	;; [unrolled: 3-line block ×3, first 2 shown]
	s_nop 3
	v_bfe_u32 v10, v3, 16, 1
	v_bfe_u32 v11, v2, 16, 1
	v_add3_u32 v2, v2, v11, s10
	s_waitcnt vmcnt(6)
	v_mfma_f32_16x16x16_bf16 v[6:9], v[38:39], v[66:67], v[6:9]
	v_add3_u32 v3, v3, v10, s10
	v_perm_b32 v10, v3, v2, s11
	v_bfe_u32 v2, v5, 16, 1
	v_mfma_f32_16x16x16_bf16 v[6:9], v[40:41], v[68:69], v[6:9]
	v_bfe_u32 v3, v4, 16, 1
	v_add3_u32 v3, v4, v3, s10
	v_add3_u32 v2, v5, v2, s10
	s_waitcnt vmcnt(5)
	v_mfma_f32_16x16x16_bf16 v[6:9], v[42:43], v[30:31], v[6:9]
	v_perm_b32 v11, v2, v3, s11
	v_mfma_f32_16x16x16_bf16 v[6:9], v[44:45], v[32:33], v[6:9]
	s_waitcnt vmcnt(4)
	v_mfma_f32_16x16x16_bf16 v[6:9], v[34:35], v[74:75], v[6:9]
	v_mfma_f32_16x16x16_bf16 v[6:9], v[36:37], v[76:77], v[6:9]
	s_waitcnt vmcnt(3)
	v_mfma_f32_16x16x16_bf16 v[6:9], v[58:59], v[22:23], v[6:9]
	;; [unrolled: 3-line block ×5, first 2 shown]
	v_mfma_f32_16x16x16_bf16 v[2:5], v[52:53], v[20:21], v[6:9]
	s_nop 6
	v_bfe_u32 v6, v3, 16, 1
	v_bfe_u32 v7, v2, 16, 1
	v_add3_u32 v2, v2, v7, s10
	v_add3_u32 v3, v3, v6, s10
	v_perm_b32 v2, v3, v2, s11
	v_bfe_u32 v3, v5, 16, 1
	v_bfe_u32 v6, v4, 16, 1
	v_add3_u32 v4, v4, v6, s10
	v_add3_u32 v3, v5, v3, s10
	v_perm_b32 v3, v3, v4, s11
	ds_write2st64_b64 v1, v[10:11], v[2:3] offset1:1
	s_waitcnt lgkmcnt(0)
	s_barrier
	s_and_saveexec_b64 s[6:7], vcc
	s_cbranch_execz .LBB732_22
; %bb.20:
	s_load_dwordx2 s[6:7], s[0:1], 0x68
	s_lshl_b32 s0, s8, 7
	s_mul_i32 s1, s9, s2
	v_lshlrev_b32_e32 v3, 6, v84
	s_mul_hi_u32 s9, s1, s0
	s_mul_i32 s8, s1, s0
	v_lshlrev_b32_e32 v2, 4, v0
	v_lshl_or_b32 v0, v0, 10, v3
	s_lshl_b64 s[8:9], s[8:9], 1
	v_lshlrev_b32_e32 v1, 5, v88
	v_and_b32_e32 v2, 16, v2
	v_and_b32_e32 v0, 0x1a00, v0
	s_waitcnt lgkmcnt(0)
	s_add_u32 s1, s6, s8
	v_or3_b32 v2, v0, v1, v2
	s_addc_u32 s6, s7, s9
	s_lshl_b32 s2, s26, 7
	s_lshl_b64 s[2:3], s[2:3], 1
	ds_read_b128 v[4:7], v2
	s_add_u32 s2, s1, s2
	s_addc_u32 s3, s6, s3
	v_add_u32_e32 v3, s40, v88
	v_lshl_add_u64 v[0:1], v[82:83], 1, s[2:3]
	v_mad_u64_u32 v[8:9], s[2:3], v3, s0, 0
	v_lshl_add_u64 v[8:9], v[8:9], 1, v[0:1]
	s_waitcnt lgkmcnt(0)
	global_store_dwordx4 v[8:9], v[4:7], off
	s_and_b64 exec, exec, s[4:5]
	s_cbranch_execz .LBB732_22
; %bb.21:
	ds_read_b128 v[2:5], v2 offset:128
	v_add3_u32 v6, s40, v88, 4
	v_mad_u64_u32 v[6:7], s[0:1], v6, s0, 0
	v_lshl_add_u64 v[0:1], v[6:7], 1, v[0:1]
	s_waitcnt lgkmcnt(0)
	global_store_dwordx4 v[0:1], v[2:5], off
.LBB732_22:
	s_endpgm
	.section	.rodata,"a",@progbits
	.p2align	6, 0x0
	.amdhsa_kernel _Z39paged_attention_ll4mi_QKV_mfma16_kernelI14__hip_bfloat16S0_LN4vllm18Fp8KVCacheDataTypeE0ES0_Li32ELi128ELi256ELb1ELi5EEvPKT_PKT0_S8_ifPKiSA_SA_iPKfiiiPfSD_PS3_PT2_iSC_SC_
		.amdhsa_group_segment_fixed_size 8192
		.amdhsa_private_segment_fixed_size 0
		.amdhsa_kernarg_size 400
		.amdhsa_user_sgpr_count 2
		.amdhsa_user_sgpr_dispatch_ptr 0
		.amdhsa_user_sgpr_queue_ptr 0
		.amdhsa_user_sgpr_kernarg_segment_ptr 1
		.amdhsa_user_sgpr_dispatch_id 0
		.amdhsa_user_sgpr_kernarg_preload_length 0
		.amdhsa_user_sgpr_kernarg_preload_offset 0
		.amdhsa_user_sgpr_private_segment_size 0
		.amdhsa_uses_dynamic_stack 0
		.amdhsa_enable_private_segment 0
		.amdhsa_system_sgpr_workgroup_id_x 1
		.amdhsa_system_sgpr_workgroup_id_y 1
		.amdhsa_system_sgpr_workgroup_id_z 1
		.amdhsa_system_sgpr_workgroup_info 0
		.amdhsa_system_vgpr_workitem_id 0
		.amdhsa_next_free_vgpr 96
		.amdhsa_next_free_sgpr 42
		.amdhsa_accum_offset 96
		.amdhsa_reserve_vcc 1
		.amdhsa_float_round_mode_32 0
		.amdhsa_float_round_mode_16_64 0
		.amdhsa_float_denorm_mode_32 3
		.amdhsa_float_denorm_mode_16_64 3
		.amdhsa_dx10_clamp 1
		.amdhsa_ieee_mode 1
		.amdhsa_fp16_overflow 0
		.amdhsa_tg_split 0
		.amdhsa_exception_fp_ieee_invalid_op 0
		.amdhsa_exception_fp_denorm_src 0
		.amdhsa_exception_fp_ieee_div_zero 0
		.amdhsa_exception_fp_ieee_overflow 0
		.amdhsa_exception_fp_ieee_underflow 0
		.amdhsa_exception_fp_ieee_inexact 0
		.amdhsa_exception_int_div_zero 0
	.end_amdhsa_kernel
	.section	.text._Z39paged_attention_ll4mi_QKV_mfma16_kernelI14__hip_bfloat16S0_LN4vllm18Fp8KVCacheDataTypeE0ES0_Li32ELi128ELi256ELb1ELi5EEvPKT_PKT0_S8_ifPKiSA_SA_iPKfiiiPfSD_PS3_PT2_iSC_SC_,"axG",@progbits,_Z39paged_attention_ll4mi_QKV_mfma16_kernelI14__hip_bfloat16S0_LN4vllm18Fp8KVCacheDataTypeE0ES0_Li32ELi128ELi256ELb1ELi5EEvPKT_PKT0_S8_ifPKiSA_SA_iPKfiiiPfSD_PS3_PT2_iSC_SC_,comdat
.Lfunc_end732:
	.size	_Z39paged_attention_ll4mi_QKV_mfma16_kernelI14__hip_bfloat16S0_LN4vllm18Fp8KVCacheDataTypeE0ES0_Li32ELi128ELi256ELb1ELi5EEvPKT_PKT0_S8_ifPKiSA_SA_iPKfiiiPfSD_PS3_PT2_iSC_SC_, .Lfunc_end732-_Z39paged_attention_ll4mi_QKV_mfma16_kernelI14__hip_bfloat16S0_LN4vllm18Fp8KVCacheDataTypeE0ES0_Li32ELi128ELi256ELb1ELi5EEvPKT_PKT0_S8_ifPKiSA_SA_iPKfiiiPfSD_PS3_PT2_iSC_SC_
                                        ; -- End function
	.section	.AMDGPU.csdata,"",@progbits
; Kernel info:
; codeLenInByte = 5176
; NumSgprs: 48
; NumVgprs: 96
; NumAgprs: 0
; TotalNumVgprs: 96
; ScratchSize: 0
; MemoryBound: 0
; FloatMode: 240
; IeeeMode: 1
; LDSByteSize: 8192 bytes/workgroup (compile time only)
; SGPRBlocks: 5
; VGPRBlocks: 11
; NumSGPRsForWavesPerEU: 48
; NumVGPRsForWavesPerEU: 96
; AccumOffset: 96
; Occupancy: 5
; WaveLimiterHint : 1
; COMPUTE_PGM_RSRC2:SCRATCH_EN: 0
; COMPUTE_PGM_RSRC2:USER_SGPR: 2
; COMPUTE_PGM_RSRC2:TRAP_HANDLER: 0
; COMPUTE_PGM_RSRC2:TGID_X_EN: 1
; COMPUTE_PGM_RSRC2:TGID_Y_EN: 1
; COMPUTE_PGM_RSRC2:TGID_Z_EN: 1
; COMPUTE_PGM_RSRC2:TIDIG_COMP_CNT: 0
; COMPUTE_PGM_RSRC3_GFX90A:ACCUM_OFFSET: 23
; COMPUTE_PGM_RSRC3_GFX90A:TG_SPLIT: 0
	.section	.text._Z39paged_attention_ll4mi_QKV_mfma16_kernelI14__hip_bfloat16S0_LN4vllm18Fp8KVCacheDataTypeE0ES0_Li32ELi128ELi256ELb1ELi6EEvPKT_PKT0_S8_ifPKiSA_SA_iPKfiiiPfSD_PS3_PT2_iSC_SC_,"axG",@progbits,_Z39paged_attention_ll4mi_QKV_mfma16_kernelI14__hip_bfloat16S0_LN4vllm18Fp8KVCacheDataTypeE0ES0_Li32ELi128ELi256ELb1ELi6EEvPKT_PKT0_S8_ifPKiSA_SA_iPKfiiiPfSD_PS3_PT2_iSC_SC_,comdat
	.protected	_Z39paged_attention_ll4mi_QKV_mfma16_kernelI14__hip_bfloat16S0_LN4vllm18Fp8KVCacheDataTypeE0ES0_Li32ELi128ELi256ELb1ELi6EEvPKT_PKT0_S8_ifPKiSA_SA_iPKfiiiPfSD_PS3_PT2_iSC_SC_ ; -- Begin function _Z39paged_attention_ll4mi_QKV_mfma16_kernelI14__hip_bfloat16S0_LN4vllm18Fp8KVCacheDataTypeE0ES0_Li32ELi128ELi256ELb1ELi6EEvPKT_PKT0_S8_ifPKiSA_SA_iPKfiiiPfSD_PS3_PT2_iSC_SC_
	.globl	_Z39paged_attention_ll4mi_QKV_mfma16_kernelI14__hip_bfloat16S0_LN4vllm18Fp8KVCacheDataTypeE0ES0_Li32ELi128ELi256ELb1ELi6EEvPKT_PKT0_S8_ifPKiSA_SA_iPKfiiiPfSD_PS3_PT2_iSC_SC_
	.p2align	8
	.type	_Z39paged_attention_ll4mi_QKV_mfma16_kernelI14__hip_bfloat16S0_LN4vllm18Fp8KVCacheDataTypeE0ES0_Li32ELi128ELi256ELb1ELi6EEvPKT_PKT0_S8_ifPKiSA_SA_iPKfiiiPfSD_PS3_PT2_iSC_SC_,@function
_Z39paged_attention_ll4mi_QKV_mfma16_kernelI14__hip_bfloat16S0_LN4vllm18Fp8KVCacheDataTypeE0ES0_Li32ELi128ELi256ELb1ELi6EEvPKT_PKT0_S8_ifPKiSA_SA_iPKfiiiPfSD_PS3_PT2_iSC_SC_: ; @_Z39paged_attention_ll4mi_QKV_mfma16_kernelI14__hip_bfloat16S0_LN4vllm18Fp8KVCacheDataTypeE0ES0_Li32ELi128ELi256ELb1ELi6EEvPKT_PKT0_S8_ifPKiSA_SA_iPKfiiiPfSD_PS3_PT2_iSC_SC_
; %bb.0:
	s_load_dwordx2 s[8:9], s[0:1], 0x30
	s_mov_b32 s26, s3
	s_mov_b64 s[6:7], 0
	s_waitcnt lgkmcnt(0)
	s_cmp_lg_u64 s[8:9], 0
	s_cselect_b64 s[10:11], -1, 0
	s_and_b64 vcc, exec, s[10:11]
	s_cbranch_vccz .LBB733_7
; %bb.1:
	s_add_i32 s12, s2, 1
	s_mov_b32 s13, 0
	s_lshl_b64 s[14:15], s[12:13], 2
	s_add_u32 s14, s8, s14
	s_mov_b32 s3, s13
	s_addc_u32 s15, s9, s15
	s_lshl_b64 s[12:13], s[2:3], 2
	s_add_u32 s12, s8, s12
	s_addc_u32 s13, s9, s13
	s_load_dword s5, s[14:15], 0x0
	s_load_dword s16, s[12:13], 0x0
	s_waitcnt lgkmcnt(0)
	s_sub_i32 s5, s5, s16
	s_cmp_eq_u32 s5, 1
	s_cselect_b64 s[12:13], -1, 0
	s_andn2_b64 vcc, exec, s[6:7]
	s_cbranch_vccnz .LBB733_3
.LBB733_2:
	s_mov_b32 s3, 0
	s_mov_b64 s[12:13], -1
.LBB733_3:
	s_andn2_b64 vcc, exec, s[12:13]
	s_cbranch_vccnz .LBB733_22
; %bb.4:
	s_load_dwordx2 s[6:7], s[0:1], 0x28
	s_lshl_b64 s[12:13], s[2:3], 2
	s_waitcnt lgkmcnt(0)
	s_add_u32 s6, s6, s12
	s_addc_u32 s7, s7, s13
	s_load_dword s27, s[6:7], 0x0
	s_lshl_b32 s18, s26, 8
	s_waitcnt lgkmcnt(0)
	s_cmp_ge_i32 s18, s27
	s_cbranch_scc1 .LBB733_22
; %bb.5:
	s_load_dwordx2 s[6:7], s[0:1], 0x20
	s_load_dword s5, s[0:1], 0x38
	s_add_i32 s14, s27, 31
	s_ashr_i32 s15, s14, 31
	v_and_b32_e32 v1, 0xcf, v0
	s_lshr_b32 s15, s15, 27
	v_add_u32_e32 v1, s18, v1
	s_add_i32 s14, s14, s15
	v_ashrrev_i32_e32 v2, 31, v1
	s_ashr_i32 s19, s14, 5
	v_lshrrev_b32_e32 v4, 27, v2
	s_add_i32 s19, s19, -1
	s_waitcnt lgkmcnt(0)
	s_mul_i32 s14, s2, s5
	s_mov_b32 s15, 0
	v_add_u32_e32 v2, v1, v4
	s_lshl_b64 s[14:15], s[14:15], 2
	v_ashrrev_i32_e32 v2, 5, v2
	v_mov_b32_e32 v5, s19
	v_cmp_gt_i32_e32 vcc, s27, v1
	s_add_u32 s6, s6, s14
	s_addc_u32 s7, s7, s15
	v_cndmask_b32_e32 v2, v5, v2, vcc
	v_ashrrev_i32_e32 v3, 31, v2
	v_lshl_add_u64 v[6:7], v[2:3], 2, s[6:7]
	v_or_b32_e32 v2, 16, v1
	v_add_u32_e32 v3, v2, v4
	v_ashrrev_i32_e32 v3, 5, v3
	v_cmp_gt_i32_e32 vcc, s27, v2
	s_nop 1
	v_cndmask_b32_e32 v2, v5, v3, vcc
	v_ashrrev_i32_e32 v3, 31, v2
	v_lshl_add_u64 v[8:9], v[2:3], 2, s[6:7]
	v_or_b32_e32 v2, 32, v1
	v_add_u32_e32 v3, v2, v4
	v_ashrrev_i32_e32 v3, 5, v3
	v_cmp_gt_i32_e32 vcc, s27, v2
	v_or_b32_e32 v1, 48, v1
	s_nop 0
	v_cndmask_b32_e32 v2, v5, v3, vcc
	v_ashrrev_i32_e32 v3, 31, v2
	v_lshl_add_u64 v[10:11], v[2:3], 2, s[6:7]
	v_add_u32_e32 v2, v1, v4
	v_ashrrev_i32_e32 v2, 5, v2
	v_cmp_gt_i32_e32 vcc, s27, v1
	s_nop 1
	v_cndmask_b32_e32 v2, v5, v2, vcc
	v_ashrrev_i32_e32 v3, 31, v2
	v_lshl_add_u64 v[12:13], v[2:3], 2, s[6:7]
	global_load_dword v5, v[6:7], off
	global_load_dword v4, v[8:9], off
	;; [unrolled: 1-line block ×4, first 2 shown]
	s_andn2_b64 vcc, exec, s[10:11]
	s_cbranch_vccnz .LBB733_8
; %bb.6:
	s_add_u32 s8, s8, s12
	s_addc_u32 s9, s9, s13
	s_load_dword s5, s[8:9], 0x0
	s_branch .LBB733_9
.LBB733_7:
	s_mov_b64 s[12:13], 0
	s_branch .LBB733_2
.LBB733_8:
	s_mov_b32 s5, s2
.LBB733_9:
	s_load_dwordx2 s[14:15], s[0:1], 0x8
	s_load_dwordx4 s[8:11], s[0:1], 0x48
	v_lshrrev_b32_e32 v88, 6, v0
	v_bfe_u32 v1, v0, 4, 2
	v_lshl_or_b32 v6, v88, 2, v1
	v_and_b32_e32 v84, 15, v0
	v_lshlrev_b32_e32 v82, 3, v84
	v_cmp_lt_u32_e32 vcc, 5, v6
	s_and_saveexec_b64 s[12:13], vcc
	s_xor_b64 s[12:13], exec, s[12:13]
; %bb.10:
	v_mov_b32_e32 v83, 0
                                        ; implicit-def: $vgpr6
; %bb.11:
	s_or_saveexec_b64 s[16:17], s[12:13]
	s_load_dwordx2 s[12:13], s[0:1], 0x10
	s_mul_i32 s40, s4, 6
	s_xor_b64 exec, exec, s[16:17]
	s_cbranch_execz .LBB733_13
; %bb.12:
	s_load_dwordx2 s[20:21], s[0:1], 0x0
	s_waitcnt lgkmcnt(0)
	s_ashr_i32 s11, s8, 31
	s_mul_hi_u32 s22, s5, s8
	s_mul_i32 s11, s5, s11
	s_add_i32 s23, s22, s11
	s_mul_i32 s22, s5, s8
	s_lshl_b64 s[22:23], s[22:23], 1
	s_add_u32 s20, s20, s22
	v_add_lshl_u32 v8, v6, s40, 7
	s_addc_u32 s21, s21, s23
	v_ashrrev_i32_e32 v9, 31, v8
	v_mov_b32_e32 v83, 0
	v_lshl_add_u64 v[8:9], v[8:9], 1, s[20:21]
	v_lshlrev_b32_e32 v10, 1, v82
	v_mov_b32_e32 v11, v83
	v_lshl_add_u64 v[8:9], v[8:9], 0, v[10:11]
	global_load_dwordx4 v[8:11], v[8:9], off
	v_and_b32_e32 v7, 3, v0
	v_lshlrev_b32_e32 v12, 9, v84
	v_lshlrev_b32_e32 v6, 5, v6
	;; [unrolled: 1-line block ×3, first 2 shown]
	v_and_b32_e32 v12, 0x1800, v12
	v_or3_b32 v6, v12, v7, v6
	s_waitcnt vmcnt(0)
	ds_write_b128 v6, v[8:11]
.LBB733_13:
	s_or_b64 exec, exec, s[16:17]
	s_waitcnt lgkmcnt(0)
	s_mul_i32 s4, s4, s10
	s_mov_b32 s5, 0
	s_lshl_b64 s[4:5], s[4:5], 1
	s_add_u32 s10, s14, s4
	s_addc_u32 s11, s15, s5
	s_waitcnt vmcnt(3)
	v_mad_i64_i32 v[6:7], s[14:15], v5, s9, 0
	v_lshl_add_u64 v[6:7], v[6:7], 1, s[10:11]
	v_lshlrev_b64 v[8:9], 1, v[82:83]
	v_lshlrev_b32_e32 v86, 9, v1
	v_lshl_add_u64 v[6:7], v[6:7], 0, v[8:9]
	v_mov_b32_e32 v87, 0
	v_lshl_add_u64 v[10:11], v[6:7], 0, v[86:87]
	v_or_b32_e32 v14, 0x1000, v86
	v_mov_b32_e32 v15, v87
	v_or_b32_e32 v16, 0x1800, v86
	v_mov_b32_e32 v17, v87
	s_barrier
	global_load_dwordx4 v[66:69], v[10:11], off
	global_load_dwordx4 v[62:65], v[10:11], off offset:2048
	v_lshl_add_u64 v[10:11], v[6:7], 0, v[14:15]
	v_lshl_add_u64 v[6:7], v[6:7], 0, v[16:17]
	global_load_dwordx4 v[78:81], v[10:11], off
	global_load_dwordx4 v[74:77], v[6:7], off
	s_waitcnt vmcnt(6)
	v_mad_i64_i32 v[4:5], s[14:15], v4, s9, 0
	v_mov_b32_e32 v6, 0x100
	v_lshl_add_u64 v[4:5], v[4:5], 1, s[10:11]
	v_lshl_or_b32 v6, v84, 4, v6
	v_mov_b32_e32 v7, v87
	v_lshl_add_u64 v[4:5], v[4:5], 0, v[6:7]
	v_lshl_add_u64 v[10:11], v[4:5], 0, v[86:87]
	global_load_dwordx4 v[70:73], v[10:11], off
	global_load_dwordx4 v[58:61], v[10:11], off offset:2048
	v_lshl_add_u64 v[10:11], v[4:5], 0, v[14:15]
	v_lshl_add_u64 v[4:5], v[4:5], 0, v[16:17]
	global_load_dwordx4 v[54:57], v[10:11], off
	global_load_dwordx4 v[30:33], v[4:5], off
	s_waitcnt vmcnt(9)
	v_mad_i64_i32 v[4:5], s[14:15], v3, s9, 0
	v_lshl_add_u64 v[4:5], v[4:5], 1, s[10:11]
	s_waitcnt vmcnt(8)
	v_mad_i64_i32 v[2:3], s[14:15], v2, s9, 0
	v_lshl_add_u64 v[4:5], v[4:5], 0, v[8:9]
	v_lshl_add_u64 v[2:3], v[2:3], 1, s[10:11]
	;; [unrolled: 1-line block ×4, first 2 shown]
	global_load_dwordx4 v[26:29], v[8:9], off
	global_load_dwordx4 v[22:25], v[8:9], off offset:2048
	v_lshl_add_u64 v[8:9], v[4:5], 0, v[14:15]
	v_lshl_add_u64 v[4:5], v[4:5], 0, v[16:17]
	;; [unrolled: 1-line block ×4, first 2 shown]
	global_load_dwordx4 v[18:21], v[8:9], off
	global_load_dwordx4 v[10:13], v[4:5], off
	s_nop 0
	global_load_dwordx4 v[6:9], v[2:3], off
	s_nop 0
	global_load_dwordx4 v[2:5], v[2:3], off offset:2048
	v_lshl_add_u64 v[16:17], v[34:35], 0, v[16:17]
	global_load_dwordx4 v[38:41], v[14:15], off
	global_load_dwordx4 v[34:37], v[16:17], off
	v_mul_lo_u16_e32 v14, 43, v84
	v_mov_b32_e32 v15, 6
	v_mul_lo_u16_sdwa v14, v14, v15 dst_sel:DWORD dst_unused:UNUSED_PAD src0_sel:BYTE_1 src1_sel:DWORD
	v_sub_u16_e32 v14, v84, v14
	v_and_b32_e32 v14, 0xff, v14
	v_lshl_add_u32 v42, v14, 5, v86
	ds_read_b128 v[14:17], v42
	ds_read_b128 v[50:53], v42 offset:2048
	ds_read_b128 v[46:49], v42 offset:4096
	;; [unrolled: 1-line block ×3, first 2 shown]
	v_and_b32_e32 v85, 63, v0
	v_cmp_gt_u32_e32 vcc, 6, v84
	v_mov_b32_e32 v89, 0
	s_and_saveexec_b64 s[10:11], vcc
	s_cbranch_execz .LBB733_15
; %bb.14:
	s_load_dwordx2 s[14:15], s[0:1], 0x40
	v_add_u32_e32 v90, s40, v84
	v_ashrrev_i32_e32 v91, 31, v90
	s_waitcnt lgkmcnt(0)
	v_lshl_add_u64 v[90:91], v[90:91], 2, s[14:15]
	global_load_dword v89, v[90:91], off
.LBB733_15:
	s_or_b64 exec, exec, s[10:11]
	s_waitcnt vmcnt(15) lgkmcnt(3)
	v_mfma_f32_16x16x16_bf16 v[90:93], v[66:67], v[14:15], 0
	s_ashr_i32 s8, s18, 31
	s_lshr_b32 s8, s8, 27
	s_add_u32 s4, s12, s4
	v_mfma_f32_16x16x16_bf16 v[66:69], v[68:69], v[16:17], v[90:93]
	s_addc_u32 s5, s13, s5
	s_mov_b32 s33, 0xff7fffff
	s_waitcnt vmcnt(14) lgkmcnt(2)
	v_mfma_f32_16x16x16_bf16 v[66:69], v[62:63], v[50:51], v[66:69]
	v_lshl_or_b32 v90, v88, 4, v84
	v_mfma_f32_16x16x16_bf16 v[62:65], v[64:65], v[52:53], v[66:69]
	s_waitcnt vmcnt(13) lgkmcnt(1)
	v_mfma_f32_16x16x16_bf16 v[62:65], v[78:79], v[46:47], v[62:65]
	v_mfma_f32_16x16x16_bf16 v[62:65], v[80:81], v[48:49], v[62:65]
	s_waitcnt vmcnt(12) lgkmcnt(0)
	v_mfma_f32_16x16x16_bf16 v[62:65], v[74:75], v[42:43], v[62:65]
	v_and_or_b32 v74, v0, 48, s18
	v_add_u32_e32 v66, s8, v74
	v_ashrrev_i32_e32 v75, 5, v66
	s_waitcnt vmcnt(11)
	v_mfma_f32_16x16x16_bf16 v[66:69], v[70:71], v[14:15], 0
	v_cmp_gt_i32_e32 vcc, s27, v74
	v_mfma_f32_16x16x16_bf16 v[66:69], v[72:73], v[16:17], v[66:69]
	v_or_b32_e32 v72, 64, v74
	v_add_u32_e32 v73, s8, v72
	s_waitcnt vmcnt(10)
	v_mfma_f32_16x16x16_bf16 v[66:69], v[58:59], v[50:51], v[66:69]
	v_ashrrev_i32_e32 v58, 5, v73
	v_mfma_f32_16x16x16_bf16 v[62:65], v[76:77], v[44:45], v[62:65]
	v_mov_b32_e32 v76, s19
	v_cndmask_b32_e32 v70, v76, v75, vcc
	v_cmp_gt_i32_e32 vcc, s27, v72
	v_ashrrev_i32_e32 v71, 31, v70
	v_lshl_add_u64 v[70:71], v[70:71], 2, s[6:7]
	v_cndmask_b32_e32 v72, v76, v58, vcc
	v_mfma_f32_16x16x16_bf16 v[58:61], v[60:61], v[52:53], v[66:69]
	v_ashrrev_i32_e32 v73, 31, v72
	s_waitcnt vmcnt(9)
	v_mfma_f32_16x16x16_bf16 v[58:61], v[54:55], v[46:47], v[58:61]
	v_lshl_add_u64 v[66:67], v[72:73], 2, s[6:7]
	global_load_dword v68, v[70:71], off
	s_nop 0
	global_load_dword v66, v[66:67], off
	v_or_b32_e32 v67, 0x80, v74
	v_add_u32_e32 v69, s8, v67
	v_mfma_f32_16x16x16_bf16 v[54:57], v[56:57], v[48:49], v[58:61]
	v_cmp_gt_i32_e32 vcc, s27, v67
	s_nop 1
	v_ashrrev_i32_e32 v58, 5, v69
	v_cndmask_b32_e32 v58, v76, v58, vcc
	v_ashrrev_i32_e32 v59, 31, v58
	s_waitcnt vmcnt(10)
	v_mfma_f32_16x16x16_bf16 v[54:57], v[30:31], v[42:43], v[54:57]
	v_lshl_add_u64 v[30:31], v[58:59], 2, s[6:7]
	global_load_dword v70, v[30:31], off
	v_mfma_f32_16x16x16_bf16 v[58:61], v[32:33], v[44:45], v[54:57]
	s_nop 3
	v_or_b32_e32 v54, 0xc0, v74
	v_add_u32_e32 v30, s8, v54
	v_ashrrev_i32_e32 v55, 5, v30
	v_cmp_gt_i32_e32 vcc, s27, v54
	s_waitcnt vmcnt(10)
	v_mfma_f32_16x16x16_bf16 v[30:33], v[26:27], v[14:15], 0
	v_cndmask_b32_e32 v26, v76, v55, vcc
	v_ashrrev_i32_e32 v27, 31, v26
	v_lshl_add_u64 v[54:55], v[26:27], 2, s[6:7]
	global_load_dword v71, v[54:55], off
	v_mfma_f32_16x16x16_bf16 v[26:29], v[28:29], v[16:17], v[30:33]
	s_load_dword s6, s[0:1], 0x1c
	s_waitcnt vmcnt(10)
	v_mfma_f32_16x16x16_bf16 v[26:29], v[22:23], v[50:51], v[26:29]
	v_and_b32_e32 v30, 16, v0
	v_lshlrev_b32_e32 v86, 1, v30
	v_lshl_add_u64 v[74:75], s[4:5], 0, v[86:87]
	v_mfma_f32_16x16x16_bf16 v[22:25], v[24:25], v[52:53], v[26:29]
	v_lshlrev_b32_e32 v86, 6, v90
	v_lshl_add_u64 v[76:77], v[74:75], 0, v[86:87]
	v_or_b32_e32 v86, 0x1000, v86
	s_waitcnt vmcnt(9)
	v_mfma_f32_16x16x16_bf16 v[22:25], v[18:19], v[46:47], v[22:25]
	v_lshl_add_u64 v[80:81], v[74:75], 0, v[86:87]
	s_waitcnt lgkmcnt(0)
	v_pk_mul_f32 v[74:75], s[6:7], v[60:61] op_sel_hi:[0,1]
	v_mfma_f32_16x16x16_bf16 v[18:21], v[20:21], v[48:49], v[22:25]
	s_waitcnt vmcnt(8)
	v_mfma_f32_16x16x16_bf16 v[18:21], v[10:11], v[42:43], v[18:21]
	s_waitcnt vmcnt(3)
	v_mad_i64_i32 v[22:23], s[4:5], v68, s9, 0
	s_waitcnt vmcnt(2)
	v_mad_i64_i32 v[10:11], s[4:5], v66, s9, 0
	v_lshlrev_b64 v[78:79], 1, v[22:23]
	v_lshlrev_b64 v[54:55], 1, v[10:11]
	v_lshl_add_u64 v[22:23], v[76:77], 0, v[78:79]
	v_lshl_add_u64 v[10:11], v[76:77], 0, v[54:55]
	global_load_dwordx4 v[30:33], v[22:23], off
	global_load_dwordx4 v[26:29], v[22:23], off offset:16
	v_mfma_f32_16x16x16_bf16 v[66:69], v[12:13], v[44:45], v[18:21]
	global_load_dwordx4 v[22:25], v[10:11], off
	s_nop 1
	global_load_dwordx4 v[18:21], v[10:11], off offset:16
	v_mfma_f32_16x16x16_bf16 v[10:13], v[6:7], v[14:15], 0
	s_waitcnt vmcnt(5)
	v_mad_i64_i32 v[6:7], s[4:5], v70, s9, 0
	v_lshlrev_b64 v[56:57], 1, v[6:7]
	v_mfma_f32_16x16x16_bf16 v[6:9], v[8:9], v[16:17], v[10:13]
	v_mfma_f32_16x16x16_bf16 v[6:9], v[2:3], v[50:51], v[6:9]
	s_nop 1
	v_lshl_add_u64 v[10:11], v[76:77], 0, v[56:57]
	global_load_dwordx4 v[14:17], v[10:11], off
	s_nop 0
	global_load_dwordx4 v[10:13], v[10:11], off offset:16
	s_waitcnt vmcnt(6)
	v_mad_i64_i32 v[2:3], s[4:5], v71, s9, 0
	v_mfma_f32_16x16x16_bf16 v[70:73], v[4:5], v[52:53], v[6:9]
	v_pk_mul_f32 v[52:53], s[6:7], v[62:63] op_sel_hi:[0,1]
	v_lshlrev_b64 v[50:51], 1, v[2:3]
	v_lshl_add_u64 v[2:3], v[76:77], 0, v[50:51]
	v_mfma_f32_16x16x16_bf16 v[70:73], v[38:39], v[46:47], v[70:73]
	v_lshl_add_u64 v[38:39], v[80:81], 0, v[78:79]
	v_pk_mul_f32 v[78:79], s[6:7], v[64:65] op_sel_hi:[0,1]
	v_pk_mul_f32 v[76:77], s[6:7], v[58:59] op_sel_hi:[0,1]
	v_mfma_f32_16x16x16_bf16 v[46:49], v[40:41], v[48:49], v[70:73]
	v_lshl_add_u64 v[50:51], v[80:81], 0, v[50:51]
	global_load_dwordx4 v[6:9], v[2:3], off
	s_nop 0
	global_load_dwordx4 v[2:5], v[2:3], off offset:16
	v_pk_mul_f32 v[70:71], s[6:7], v[68:69] op_sel_hi:[0,1]
	v_mfma_f32_16x16x16_bf16 v[40:43], v[34:35], v[42:43], v[46:49]
	v_pk_mul_f32 v[72:73], s[6:7], v[66:67] op_sel_hi:[0,1]
	v_mfma_f32_16x16x16_bf16 v[34:37], v[36:37], v[44:45], v[40:43]
	s_nop 6
	v_pk_mul_f32 v[68:69], s[6:7], v[34:35] op_sel_hi:[0,1]
	v_and_b32_e32 v34, 0xc0, v0
	v_add_u32_e32 v34, s18, v34
	v_lshl_or_b32 v34, v1, 2, v34
	v_or_b32_e32 v35, 1, v34
	v_pk_mul_f32 v[66:67], s[6:7], v[36:37] op_sel_hi:[0,1]
	v_subrev_u32_e32 v36, s27, v35
	v_add_u32_e32 v40, 1, v36
	v_add_u32_e32 v41, 2, v36
	v_cvt_f32_i32_e32 v37, v36
	v_cvt_f32_i32_e32 v40, v40
	;; [unrolled: 1-line block ×3, first 2 shown]
	v_add_u32_e32 v42, 3, v36
	v_fma_f32 v52, v89, v37, v52
	v_fmac_f32_e32 v53, v89, v40
	v_fma_f32 v78, v89, v41, v78
	v_add_u32_e32 v37, 16, v36
	v_add_u32_e32 v40, 17, v36
	;; [unrolled: 1-line block ×3, first 2 shown]
	v_cvt_f32_i32_e32 v42, v42
	v_cvt_f32_i32_e32 v37, v37
	;; [unrolled: 1-line block ×4, first 2 shown]
	v_fmac_f32_e32 v79, v89, v42
	v_add_u32_e32 v42, 19, v36
	v_fma_f32 v76, v89, v37, v76
	v_fmac_f32_e32 v77, v89, v40
	v_fma_f32 v74, v89, v41, v74
	v_add_u32_e32 v37, 32, v36
	v_add_u32_e32 v40, 33, v36
	;; [unrolled: 1-line block ×3, first 2 shown]
	v_cvt_f32_i32_e32 v42, v42
	v_cvt_f32_i32_e32 v37, v37
	;; [unrolled: 1-line block ×4, first 2 shown]
	v_fmac_f32_e32 v75, v89, v42
	v_add_u32_e32 v42, 35, v36
	v_fma_f32 v72, v89, v37, v72
	v_fmac_f32_e32 v73, v89, v40
	v_fma_f32 v70, v89, v41, v70
	v_add_u32_e32 v37, 48, v36
	v_add_u32_e32 v40, 49, v36
	;; [unrolled: 1-line block ×4, first 2 shown]
	v_cvt_f32_i32_e32 v36, v36
	v_cvt_f32_i32_e32 v37, v37
	;; [unrolled: 1-line block ×3, first 2 shown]
	v_cmp_gt_i32_e64 s[28:29], s27, v34
	v_fmac_f32_e32 v67, v89, v36
	v_mov_b32_e32 v36, 0xff7fffff
	v_cmp_gt_i32_e64 s[30:31], s27, v35
	v_fma_f32 v68, v89, v37, v68
	v_cndmask_b32_e64 v37, v36, v52, s[28:29]
	v_cndmask_b32_e64 v35, v36, v53, s[30:31]
	v_fmac_f32_e32 v69, v89, v40
	v_max3_f32 v35, v37, s33, v35
	v_or_b32_e32 v37, 2, v34
	v_or_b32_e32 v40, 3, v34
	v_cmp_gt_i32_e64 s[34:35], s27, v37
	v_cmp_gt_i32_e64 s[36:37], s27, v40
	v_cvt_f32_i32_e32 v42, v42
	v_cndmask_b32_e64 v37, v36, v78, s[34:35]
	v_cndmask_b32_e64 v40, v36, v79, s[36:37]
	v_max3_f32 v35, v35, v37, v40
	v_or_b32_e32 v37, 16, v34
	v_or_b32_e32 v40, 17, v34
	v_cmp_gt_i32_e64 s[22:23], s27, v37
	v_cmp_gt_i32_e64 s[24:25], s27, v40
	v_fmac_f32_e32 v71, v89, v42
	v_cndmask_b32_e64 v37, v36, v76, s[22:23]
	v_cndmask_b32_e64 v40, v36, v77, s[24:25]
	v_max3_f32 v35, v35, v37, v40
	v_or_b32_e32 v37, 18, v34
	v_or_b32_e32 v40, 19, v34
	v_cmp_gt_i32_e64 s[18:19], s27, v37
	v_cmp_gt_i32_e64 s[20:21], s27, v40
	v_cvt_f32_i32_e32 v41, v41
	v_cndmask_b32_e64 v37, v36, v74, s[18:19]
	v_cndmask_b32_e64 v40, v36, v75, s[20:21]
	v_max3_f32 v35, v35, v37, v40
	v_or_b32_e32 v37, 32, v34
	v_or_b32_e32 v40, 33, v34
	v_cmp_gt_i32_e64 s[14:15], s27, v37
	v_cmp_gt_i32_e64 s[16:17], s27, v40
	v_fma_f32 v66, v89, v41, v66
	v_cndmask_b32_e64 v37, v36, v72, s[14:15]
	v_cndmask_b32_e64 v40, v36, v73, s[16:17]
	v_max3_f32 v35, v35, v37, v40
	v_or_b32_e32 v37, 34, v34
	v_or_b32_e32 v40, 35, v34
	v_cmp_gt_i32_e64 s[10:11], s27, v37
	v_cmp_gt_i32_e64 s[12:13], s27, v40
	s_nop 0
	v_cndmask_b32_e64 v37, v36, v70, s[10:11]
	v_cndmask_b32_e64 v40, v36, v71, s[12:13]
	v_max3_f32 v35, v35, v37, v40
	v_or_b32_e32 v37, 48, v34
	v_or_b32_e32 v40, 49, v34
	v_cmp_gt_i32_e64 s[6:7], s27, v37
	v_cmp_gt_i32_e64 s[8:9], s27, v40
	s_nop 0
	v_cndmask_b32_e64 v37, v36, v68, s[6:7]
	v_cndmask_b32_e64 v40, v36, v69, s[8:9]
	v_max3_f32 v35, v35, v37, v40
	v_or_b32_e32 v37, 50, v34
	v_or_b32_e32 v34, 51, v34
	v_cmp_gt_i32_e32 vcc, s27, v37
	v_cmp_gt_i32_e64 s[4:5], s27, v34
	global_load_dwordx4 v[46:49], v[38:39], off
	s_nop 0
	global_load_dwordx4 v[38:41], v[38:39], off offset:16
	v_cndmask_b32_e32 v37, v36, v66, vcc
	v_cndmask_b32_e64 v34, v36, v67, s[4:5]
	v_max3_f32 v58, v35, v37, v34
	v_mbcnt_lo_u32_b32 v34, -1, 0
	v_mbcnt_hi_u32_b32 v59, -1, v34
	v_and_b32_e32 v34, 64, v59
	v_add_u32_e32 v60, 64, v34
	v_xor_b32_e32 v34, 32, v59
	v_cmp_lt_i32_e64 s[38:39], v34, v60
	s_nop 1
	v_cndmask_b32_e64 v34, v59, v34, s[38:39]
	v_lshlrev_b32_e32 v87, 2, v34
	ds_bpermute_b32 v61, v87, v58
	v_lshl_add_u64 v[34:35], v[80:81], 0, v[54:55]
	global_load_dwordx4 v[42:45], v[34:35], off
	s_nop 0
	global_load_dwordx4 v[34:37], v[34:35], off offset:16
	s_waitcnt lgkmcnt(0)
	v_max_f32_e32 v54, v61, v61
	v_max_f32_e32 v62, v58, v54
	v_xor_b32_e32 v54, 16, v59
	v_cmp_lt_i32_e64 s[38:39], v54, v60
	s_nop 1
	v_cndmask_b32_e64 v54, v59, v54, s[38:39]
	v_lshlrev_b32_e32 v89, 2, v54
	ds_bpermute_b32 v63, v89, v62
	v_lshl_add_u64 v[54:55], v[80:81], 0, v[56:57]
	global_load_dwordx4 v[58:61], v[54:55], off
	s_nop 0
	global_load_dwordx4 v[54:57], v[54:55], off offset:16
	s_waitcnt lgkmcnt(0)
	v_max_f32_e32 v63, v63, v63
	v_max_f32_e32 v86, v62, v63
	v_sub_f32_e32 v52, v52, v86
	v_mul_f32_e32 v52, 0x3fb8aa3b, v52
	v_exp_f32_e32 v80, v52
	v_sub_f32_e32 v52, v53, v86
	v_mul_f32_e32 v52, 0x3fb8aa3b, v52
	v_exp_f32_e32 v81, v52
	global_load_dwordx4 v[62:65], v[50:51], off
	s_nop 0
	global_load_dwordx4 v[50:53], v[50:51], off offset:16
	v_sub_f32_e32 v78, v78, v86
	v_mul_f32_e32 v78, 0x3fb8aa3b, v78
	v_sub_f32_e32 v79, v79, v86
	v_exp_f32_e32 v78, v78
	v_mul_f32_e32 v79, 0x3fb8aa3b, v79
	v_sub_f32_e32 v76, v76, v86
	v_exp_f32_e32 v79, v79
	v_mul_f32_e32 v76, 0x3fb8aa3b, v76
	v_sub_f32_e32 v77, v77, v86
	v_cndmask_b32_e64 v80, 0, v80, s[28:29]
	v_exp_f32_e32 v76, v76
	v_mul_f32_e32 v77, 0x3fb8aa3b, v77
	v_sub_f32_e32 v74, v74, v86
	v_add_f32_e32 v91, 0, v80
	v_cndmask_b32_e64 v81, 0, v81, s[30:31]
	v_exp_f32_e32 v77, v77
	v_mul_f32_e32 v74, 0x3fb8aa3b, v74
	v_sub_f32_e32 v75, v75, v86
	v_add_f32_e32 v91, v91, v81
	;; [unrolled: 5-line block ×10, first 2 shown]
	v_cndmask_b32_e64 v70, 0, v70, s[10:11]
	v_exp_f32_e32 v66, v66
	v_mul_f32_e32 v67, 0x3fb8aa3b, v67
	v_add_f32_e32 v91, v91, v70
	v_cndmask_b32_e64 v71, 0, v71, s[12:13]
	v_exp_f32_e32 v67, v67
	v_add_f32_e32 v91, v91, v71
	v_cndmask_b32_e64 v68, 0, v68, s[6:7]
	v_add_f32_e32 v91, v91, v68
	v_cndmask_b32_e64 v69, 0, v69, s[8:9]
	v_add_f32_e32 v91, v91, v69
	v_cndmask_b32_e32 v66, 0, v66, vcc
	v_add_f32_e32 v91, v91, v66
	v_cndmask_b32_e64 v67, 0, v67, s[4:5]
	v_add_f32_e32 v91, v91, v67
	ds_bpermute_b32 v87, v87, v91
	s_load_dword s7, s[0:1], 0x98
	v_cmp_gt_u32_e32 vcc, 16, v85
	s_waitcnt lgkmcnt(0)
	s_barrier
	v_add_f32_e32 v87, v91, v87
	ds_bpermute_b32 v89, v89, v87
	s_waitcnt lgkmcnt(0)
	s_and_saveexec_b64 s[4:5], vcc
	s_cbranch_execz .LBB733_17
; %bb.16:
	v_add_f32_e32 v85, v87, v89
	v_lshlrev_b32_e32 v87, 2, v90
	ds_write2st64_b32 v87, v86, v85 offset1:1
.LBB733_17:
	s_or_b64 exec, exec, s[4:5]
	v_lshlrev_b32_e32 v85, 2, v84
	s_load_dword s6, s[0:1], 0x94
	s_waitcnt lgkmcnt(0)
	s_barrier
	ds_read2_b32 v[90:91], v85 offset1:16
	ds_read2_b32 v[92:93], v85 offset0:32 offset1:48
	ds_read2_b32 v[94:95], v85 offset0:64 offset1:80
	s_movk_i32 s8, 0x7fff
	s_mov_b32 s9, 0x7060302
	s_waitcnt lgkmcnt(2)
	v_max3_f32 v86, v90, s33, v91
	s_waitcnt lgkmcnt(1)
	v_max3_f32 v86, v86, v92, v93
	v_sub_f32_e32 v87, v90, v86
	v_mul_f32_e32 v87, 0x3fb8aa3b, v87
	v_exp_f32_e32 v89, v87
	v_sub_f32_e32 v87, v91, v86
	v_mul_f32_e32 v87, 0x3fb8aa3b, v87
	v_exp_f32_e32 v88, v87
	v_sub_f32_e32 v87, v92, v86
	v_mul_f32_e32 v87, 0x3fb8aa3b, v87
	ds_read2_b32 v[90:91], v85 offset0:96 offset1:112
	v_sub_f32_e32 v85, v93, v86
	v_exp_f32_e32 v92, v87
	v_mul_f32_e32 v85, 0x3fb8aa3b, v85
	v_exp_f32_e32 v85, v85
	s_waitcnt lgkmcnt(1)
	v_fma_f32 v87, v89, v94, 0
	v_fmac_f32_e32 v87, v88, v95
	s_waitcnt lgkmcnt(0)
	v_fmac_f32_e32 v87, v92, v90
	v_fmac_f32_e32 v87, v85, v91
	v_add_f32_e32 v90, 0x358637bd, v87
	v_div_scale_f32 v91, s[4:5], v90, v90, 1.0
	v_rcp_f32_e32 v93, v91
	s_mul_i32 s7, s7, 6
	s_barrier
	v_fma_f32 v94, -v91, v93, 1.0
	v_fmac_f32_e32 v93, v94, v93
	v_div_scale_f32 v94, vcc, 1.0, v90, 1.0
	v_mul_f32_e32 v95, v94, v93
	v_fma_f32 v1, -v91, v95, v94
	v_fmac_f32_e32 v95, v1, v93
	v_fma_f32 v1, -v91, v95, v94
	v_lshrrev_b32_e32 v91, 6, v0
	v_div_fmas_f32 v1, v1, v93, v95
	v_cmp_eq_u32_e32 vcc, 1, v91
	v_div_fixup_f32 v1, v1, v90, 1.0
	s_nop 0
	v_cndmask_b32_e32 v88, v89, v88, vcc
	v_cmp_eq_u32_e32 vcc, 2, v91
	s_nop 1
	v_cndmask_b32_e32 v88, v88, v92, vcc
	v_cmp_eq_u32_e32 vcc, 3, v91
	s_nop 1
	v_cndmask_b32_e32 v85, v88, v85, vcc
	v_mul_f32_e32 v90, v85, v1
	v_pk_mul_f32 v[80:81], v[90:91], v[80:81] op_sel_hi:[0,1]
	v_bfe_u32 v1, v81, 16, 1
	v_bfe_u32 v85, v80, 16, 1
	v_pk_mul_f32 v[78:79], v[90:91], v[78:79] op_sel_hi:[0,1]
	v_add3_u32 v80, v80, v85, s8
	v_add3_u32 v1, v81, v1, s8
	v_perm_b32 v80, v1, v80, s9
	v_bfe_u32 v1, v79, 16, 1
	v_bfe_u32 v81, v78, 16, 1
	v_add3_u32 v78, v78, v81, s8
	v_add3_u32 v1, v79, v1, s8
	v_bfe_u32 v88, v0, 4, 2
	v_perm_b32 v81, v1, v78, s9
	v_lshlrev_b32_e32 v1, 3, v88
	v_lshlrev_b32_e32 v78, 5, v84
	;; [unrolled: 1-line block ×3, first 2 shown]
	v_pk_mul_f32 v[76:77], v[90:91], v[76:77] op_sel_hi:[0,1]
	v_or3_b32 v1, v79, v78, v1
	v_bfe_u32 v79, v77, 16, 1
	v_bfe_u32 v85, v76, 16, 1
	v_pk_mul_f32 v[74:75], v[90:91], v[74:75] op_sel_hi:[0,1]
	v_add3_u32 v76, v76, v85, s8
	v_add3_u32 v77, v77, v79, s8
	v_perm_b32 v76, v77, v76, s9
	v_bfe_u32 v77, v75, 16, 1
	v_bfe_u32 v79, v74, 16, 1
	v_add3_u32 v74, v74, v79, s8
	v_add3_u32 v75, v75, v77, s8
	v_pk_mul_f32 v[72:73], v[90:91], v[72:73] op_sel_hi:[0,1]
	v_perm_b32 v77, v75, v74, s9
	v_bfe_u32 v74, v73, 16, 1
	v_bfe_u32 v75, v72, 16, 1
	v_pk_mul_f32 v[70:71], v[90:91], v[70:71] op_sel_hi:[0,1]
	v_add3_u32 v72, v72, v75, s8
	v_add3_u32 v73, v73, v74, s8
	v_perm_b32 v72, v73, v72, s9
	v_bfe_u32 v73, v71, 16, 1
	v_bfe_u32 v74, v70, 16, 1
	v_add3_u32 v70, v70, v74, s8
	v_add3_u32 v71, v71, v73, s8
	v_pk_mul_f32 v[68:69], v[90:91], v[68:69] op_sel_hi:[0,1]
	v_perm_b32 v73, v71, v70, s9
	v_bfe_u32 v70, v69, 16, 1
	v_bfe_u32 v71, v68, 16, 1
	v_pk_mul_f32 v[66:67], v[90:91], v[66:67] op_sel_hi:[0,1]
	v_add3_u32 v68, v68, v71, s8
	v_add3_u32 v69, v69, v70, s8
	v_perm_b32 v68, v69, v68, s9
	v_bfe_u32 v69, v67, 16, 1
	v_bfe_u32 v70, v66, 16, 1
	v_add3_u32 v66, v66, v70, s8
	v_add3_u32 v67, v67, v69, s8
	v_perm_b32 v69, v67, v66, s9
	v_cmp_gt_u32_e32 vcc, 6, v0
	ds_write2st64_b64 v1, v[80:81], v[76:77] offset1:1
	ds_write2st64_b64 v1, v[72:73], v[68:69] offset0:2 offset1:3
	s_and_saveexec_b64 s[4:5], vcc
	s_cbranch_execz .LBB733_19
; %bb.18:
	s_mov_b32 s41, 0
	v_mov_b32_e32 v85, 0
	v_lshl_add_u64 v[66:67], s[40:41], 0, v[84:85]
	v_mov_b32_e32 v68, s7
	v_mad_u64_u32 v[66:67], s[10:11], s2, v68, v[66:67]
	s_mul_i32 s3, s3, s7
	v_mov_b32_e32 v68, s26
	v_mov_b32_e32 v69, v85
	s_load_dwordx4 s[12:15], s[0:1], 0x58
	v_add_u32_e32 v70, s3, v67
	v_mad_u64_u32 v[66:67], s[10:11], v66, s6, v[68:69]
	v_mov_b32_e32 v68, v67
	v_mad_u64_u32 v[68:69], s[10:11], v70, s6, v[68:69]
	v_mov_b32_e32 v67, v68
	v_lshlrev_b64 v[66:67], 2, v[66:67]
	s_waitcnt lgkmcnt(0)
	v_lshl_add_u64 v[68:69], s[14:15], 0, v[66:67]
	v_lshl_add_u64 v[66:67], s[12:13], 0, v[66:67]
	global_store_dword v[68:69], v86, off
	global_store_dword v[66:67], v87, off
.LBB733_19:
	s_or_b64 exec, exec, s[4:5]
	v_lshl_or_b32 v78, v88, 9, v78
	s_waitcnt lgkmcnt(0)
	s_barrier
	ds_read_b128 v[70:73], v78
	ds_read_b128 v[66:69], v78 offset:16
	s_waitcnt vmcnt(15) lgkmcnt(1)
	v_mfma_f32_16x16x16_bf16 v[74:77], v[30:31], v[70:71], 0
	s_mov_b32 s3, 0
	v_cmp_gt_u32_e32 vcc, 64, v0
	v_mfma_f32_16x16x16_bf16 v[30:33], v[32:33], v[72:73], v[74:77]
	s_waitcnt vmcnt(14) lgkmcnt(0)
	v_mfma_f32_16x16x16_bf16 v[30:33], v[26:27], v[66:67], v[30:33]
	v_mfma_f32_16x16x16_bf16 v[26:29], v[28:29], v[68:69], v[30:33]
	s_nop 5
	ds_read_b128 v[30:33], v78 offset:2048
	ds_read_b128 v[74:77], v78 offset:2064
	s_waitcnt vmcnt(13) lgkmcnt(1)
	v_mfma_f32_16x16x16_bf16 v[26:29], v[22:23], v[30:31], v[26:29]
	v_mfma_f32_16x16x16_bf16 v[22:25], v[24:25], v[32:33], v[26:29]
	s_waitcnt vmcnt(12) lgkmcnt(0)
	v_mfma_f32_16x16x16_bf16 v[22:25], v[18:19], v[74:75], v[22:25]
	v_mfma_f32_16x16x16_bf16 v[18:21], v[20:21], v[76:77], v[22:25]
	s_nop 5
	ds_read_b128 v[22:25], v78 offset:4096
	ds_read_b128 v[26:29], v78 offset:4112
	s_waitcnt vmcnt(11) lgkmcnt(1)
	v_mfma_f32_16x16x16_bf16 v[18:21], v[14:15], v[22:23], v[18:21]
	v_mfma_f32_16x16x16_bf16 v[14:17], v[16:17], v[24:25], v[18:21]
	s_waitcnt vmcnt(10) lgkmcnt(0)
	v_mfma_f32_16x16x16_bf16 v[14:17], v[10:11], v[26:27], v[14:17]
	v_mfma_f32_16x16x16_bf16 v[10:13], v[12:13], v[28:29], v[14:17]
	s_nop 5
	ds_read_b128 v[14:17], v78 offset:6144
	ds_read_b128 v[18:21], v78 offset:6160
	s_waitcnt lgkmcnt(0)
	s_barrier
	s_waitcnt vmcnt(9)
	v_mfma_f32_16x16x16_bf16 v[10:13], v[6:7], v[14:15], v[10:13]
	v_mfma_f32_16x16x16_bf16 v[6:9], v[8:9], v[16:17], v[10:13]
	s_waitcnt vmcnt(8)
	v_mfma_f32_16x16x16_bf16 v[6:9], v[2:3], v[18:19], v[6:9]
	v_mfma_f32_16x16x16_bf16 v[2:5], v[4:5], v[20:21], v[6:9]
	;; [unrolled: 3-line block ×3, first 2 shown]
	s_nop 3
	v_bfe_u32 v10, v3, 16, 1
	v_bfe_u32 v11, v2, 16, 1
	v_add3_u32 v2, v2, v11, s8
	s_waitcnt vmcnt(6)
	v_mfma_f32_16x16x16_bf16 v[6:9], v[38:39], v[66:67], v[6:9]
	v_add3_u32 v3, v3, v10, s8
	v_perm_b32 v10, v3, v2, s9
	v_bfe_u32 v2, v5, 16, 1
	v_mfma_f32_16x16x16_bf16 v[6:9], v[40:41], v[68:69], v[6:9]
	v_bfe_u32 v3, v4, 16, 1
	v_add3_u32 v3, v4, v3, s8
	v_add3_u32 v2, v5, v2, s8
	s_waitcnt vmcnt(5)
	v_mfma_f32_16x16x16_bf16 v[6:9], v[42:43], v[30:31], v[6:9]
	v_perm_b32 v11, v2, v3, s9
	v_mfma_f32_16x16x16_bf16 v[6:9], v[44:45], v[32:33], v[6:9]
	s_waitcnt vmcnt(4)
	v_mfma_f32_16x16x16_bf16 v[6:9], v[34:35], v[74:75], v[6:9]
	v_mfma_f32_16x16x16_bf16 v[6:9], v[36:37], v[76:77], v[6:9]
	s_waitcnt vmcnt(3)
	v_mfma_f32_16x16x16_bf16 v[6:9], v[58:59], v[22:23], v[6:9]
	;; [unrolled: 3-line block ×5, first 2 shown]
	v_mfma_f32_16x16x16_bf16 v[2:5], v[52:53], v[20:21], v[6:9]
	s_nop 6
	v_bfe_u32 v6, v3, 16, 1
	v_bfe_u32 v7, v2, 16, 1
	v_add3_u32 v2, v2, v7, s8
	v_add3_u32 v3, v3, v6, s8
	v_perm_b32 v2, v3, v2, s9
	v_bfe_u32 v3, v5, 16, 1
	v_bfe_u32 v6, v4, 16, 1
	v_add3_u32 v4, v4, v6, s8
	v_add3_u32 v3, v5, v3, s8
	v_perm_b32 v3, v3, v4, s9
	ds_write2st64_b64 v1, v[10:11], v[2:3] offset1:1
	s_waitcnt lgkmcnt(0)
	s_barrier
	s_and_saveexec_b64 s[4:5], vcc
	s_cbranch_execz .LBB733_22
; %bb.20:
	s_load_dwordx2 s[4:5], s[0:1], 0x68
	s_lshl_b32 s0, s6, 7
	s_mul_i32 s1, s7, s2
	v_lshlrev_b32_e32 v4, 6, v84
	s_mul_hi_u32 s7, s1, s0
	s_mul_i32 s6, s1, s0
	v_lshlrev_b32_e32 v3, 4, v0
	v_lshl_or_b32 v0, v0, 10, v4
	s_lshl_b64 s[6:7], s[6:7], 1
	v_lshlrev_b32_e32 v1, 5, v88
	v_and_b32_e32 v3, 16, v3
	v_and_b32_e32 v0, 0x1a00, v0
	s_waitcnt lgkmcnt(0)
	s_add_u32 s1, s4, s6
	v_or3_b32 v3, v0, v1, v3
	s_addc_u32 s4, s5, s7
	s_lshl_b32 s2, s26, 7
	s_lshl_b64 s[2:3], s[2:3], 1
	ds_read_b128 v[4:7], v3
	s_add_u32 s2, s1, s2
	s_addc_u32 s3, s4, s3
	v_add_u32_e32 v8, s40, v88
	v_or_b32_e32 v2, 4, v88
	v_lshl_add_u64 v[0:1], v[82:83], 1, s[2:3]
	v_mad_u64_u32 v[8:9], s[2:3], v8, s0, 0
	v_lshl_add_u64 v[8:9], v[8:9], 1, v[0:1]
	v_cmp_gt_u32_e32 vcc, 6, v2
	s_waitcnt lgkmcnt(0)
	global_store_dwordx4 v[8:9], v[4:7], off
	s_and_b64 exec, exec, vcc
	s_cbranch_execz .LBB733_22
; %bb.21:
	ds_read_b128 v[4:7], v3 offset:128
	v_add_u32_e32 v2, s40, v2
	v_mad_u64_u32 v[2:3], s[0:1], v2, s0, 0
	v_lshl_add_u64 v[0:1], v[2:3], 1, v[0:1]
	s_waitcnt lgkmcnt(0)
	global_store_dwordx4 v[0:1], v[4:7], off
.LBB733_22:
	s_endpgm
	.section	.rodata,"a",@progbits
	.p2align	6, 0x0
	.amdhsa_kernel _Z39paged_attention_ll4mi_QKV_mfma16_kernelI14__hip_bfloat16S0_LN4vllm18Fp8KVCacheDataTypeE0ES0_Li32ELi128ELi256ELb1ELi6EEvPKT_PKT0_S8_ifPKiSA_SA_iPKfiiiPfSD_PS3_PT2_iSC_SC_
		.amdhsa_group_segment_fixed_size 8192
		.amdhsa_private_segment_fixed_size 0
		.amdhsa_kernarg_size 400
		.amdhsa_user_sgpr_count 2
		.amdhsa_user_sgpr_dispatch_ptr 0
		.amdhsa_user_sgpr_queue_ptr 0
		.amdhsa_user_sgpr_kernarg_segment_ptr 1
		.amdhsa_user_sgpr_dispatch_id 0
		.amdhsa_user_sgpr_kernarg_preload_length 0
		.amdhsa_user_sgpr_kernarg_preload_offset 0
		.amdhsa_user_sgpr_private_segment_size 0
		.amdhsa_uses_dynamic_stack 0
		.amdhsa_enable_private_segment 0
		.amdhsa_system_sgpr_workgroup_id_x 1
		.amdhsa_system_sgpr_workgroup_id_y 1
		.amdhsa_system_sgpr_workgroup_id_z 1
		.amdhsa_system_sgpr_workgroup_info 0
		.amdhsa_system_vgpr_workitem_id 0
		.amdhsa_next_free_vgpr 96
		.amdhsa_next_free_sgpr 42
		.amdhsa_accum_offset 96
		.amdhsa_reserve_vcc 1
		.amdhsa_float_round_mode_32 0
		.amdhsa_float_round_mode_16_64 0
		.amdhsa_float_denorm_mode_32 3
		.amdhsa_float_denorm_mode_16_64 3
		.amdhsa_dx10_clamp 1
		.amdhsa_ieee_mode 1
		.amdhsa_fp16_overflow 0
		.amdhsa_tg_split 0
		.amdhsa_exception_fp_ieee_invalid_op 0
		.amdhsa_exception_fp_denorm_src 0
		.amdhsa_exception_fp_ieee_div_zero 0
		.amdhsa_exception_fp_ieee_overflow 0
		.amdhsa_exception_fp_ieee_underflow 0
		.amdhsa_exception_fp_ieee_inexact 0
		.amdhsa_exception_int_div_zero 0
	.end_amdhsa_kernel
	.section	.text._Z39paged_attention_ll4mi_QKV_mfma16_kernelI14__hip_bfloat16S0_LN4vllm18Fp8KVCacheDataTypeE0ES0_Li32ELi128ELi256ELb1ELi6EEvPKT_PKT0_S8_ifPKiSA_SA_iPKfiiiPfSD_PS3_PT2_iSC_SC_,"axG",@progbits,_Z39paged_attention_ll4mi_QKV_mfma16_kernelI14__hip_bfloat16S0_LN4vllm18Fp8KVCacheDataTypeE0ES0_Li32ELi128ELi256ELb1ELi6EEvPKT_PKT0_S8_ifPKiSA_SA_iPKfiiiPfSD_PS3_PT2_iSC_SC_,comdat
.Lfunc_end733:
	.size	_Z39paged_attention_ll4mi_QKV_mfma16_kernelI14__hip_bfloat16S0_LN4vllm18Fp8KVCacheDataTypeE0ES0_Li32ELi128ELi256ELb1ELi6EEvPKT_PKT0_S8_ifPKiSA_SA_iPKfiiiPfSD_PS3_PT2_iSC_SC_, .Lfunc_end733-_Z39paged_attention_ll4mi_QKV_mfma16_kernelI14__hip_bfloat16S0_LN4vllm18Fp8KVCacheDataTypeE0ES0_Li32ELi128ELi256ELb1ELi6EEvPKT_PKT0_S8_ifPKiSA_SA_iPKfiiiPfSD_PS3_PT2_iSC_SC_
                                        ; -- End function
	.section	.AMDGPU.csdata,"",@progbits
; Kernel info:
; codeLenInByte = 5176
; NumSgprs: 48
; NumVgprs: 96
; NumAgprs: 0
; TotalNumVgprs: 96
; ScratchSize: 0
; MemoryBound: 0
; FloatMode: 240
; IeeeMode: 1
; LDSByteSize: 8192 bytes/workgroup (compile time only)
; SGPRBlocks: 5
; VGPRBlocks: 11
; NumSGPRsForWavesPerEU: 48
; NumVGPRsForWavesPerEU: 96
; AccumOffset: 96
; Occupancy: 5
; WaveLimiterHint : 1
; COMPUTE_PGM_RSRC2:SCRATCH_EN: 0
; COMPUTE_PGM_RSRC2:USER_SGPR: 2
; COMPUTE_PGM_RSRC2:TRAP_HANDLER: 0
; COMPUTE_PGM_RSRC2:TGID_X_EN: 1
; COMPUTE_PGM_RSRC2:TGID_Y_EN: 1
; COMPUTE_PGM_RSRC2:TGID_Z_EN: 1
; COMPUTE_PGM_RSRC2:TIDIG_COMP_CNT: 0
; COMPUTE_PGM_RSRC3_GFX90A:ACCUM_OFFSET: 23
; COMPUTE_PGM_RSRC3_GFX90A:TG_SPLIT: 0
	.section	.text._Z39paged_attention_ll4mi_QKV_mfma16_kernelI14__hip_bfloat16S0_LN4vllm18Fp8KVCacheDataTypeE0ES0_Li32ELi128ELi256ELb1ELi7EEvPKT_PKT0_S8_ifPKiSA_SA_iPKfiiiPfSD_PS3_PT2_iSC_SC_,"axG",@progbits,_Z39paged_attention_ll4mi_QKV_mfma16_kernelI14__hip_bfloat16S0_LN4vllm18Fp8KVCacheDataTypeE0ES0_Li32ELi128ELi256ELb1ELi7EEvPKT_PKT0_S8_ifPKiSA_SA_iPKfiiiPfSD_PS3_PT2_iSC_SC_,comdat
	.protected	_Z39paged_attention_ll4mi_QKV_mfma16_kernelI14__hip_bfloat16S0_LN4vllm18Fp8KVCacheDataTypeE0ES0_Li32ELi128ELi256ELb1ELi7EEvPKT_PKT0_S8_ifPKiSA_SA_iPKfiiiPfSD_PS3_PT2_iSC_SC_ ; -- Begin function _Z39paged_attention_ll4mi_QKV_mfma16_kernelI14__hip_bfloat16S0_LN4vllm18Fp8KVCacheDataTypeE0ES0_Li32ELi128ELi256ELb1ELi7EEvPKT_PKT0_S8_ifPKiSA_SA_iPKfiiiPfSD_PS3_PT2_iSC_SC_
	.globl	_Z39paged_attention_ll4mi_QKV_mfma16_kernelI14__hip_bfloat16S0_LN4vllm18Fp8KVCacheDataTypeE0ES0_Li32ELi128ELi256ELb1ELi7EEvPKT_PKT0_S8_ifPKiSA_SA_iPKfiiiPfSD_PS3_PT2_iSC_SC_
	.p2align	8
	.type	_Z39paged_attention_ll4mi_QKV_mfma16_kernelI14__hip_bfloat16S0_LN4vllm18Fp8KVCacheDataTypeE0ES0_Li32ELi128ELi256ELb1ELi7EEvPKT_PKT0_S8_ifPKiSA_SA_iPKfiiiPfSD_PS3_PT2_iSC_SC_,@function
_Z39paged_attention_ll4mi_QKV_mfma16_kernelI14__hip_bfloat16S0_LN4vllm18Fp8KVCacheDataTypeE0ES0_Li32ELi128ELi256ELb1ELi7EEvPKT_PKT0_S8_ifPKiSA_SA_iPKfiiiPfSD_PS3_PT2_iSC_SC_: ; @_Z39paged_attention_ll4mi_QKV_mfma16_kernelI14__hip_bfloat16S0_LN4vllm18Fp8KVCacheDataTypeE0ES0_Li32ELi128ELi256ELb1ELi7EEvPKT_PKT0_S8_ifPKiSA_SA_iPKfiiiPfSD_PS3_PT2_iSC_SC_
; %bb.0:
	s_load_dwordx2 s[8:9], s[0:1], 0x30
	s_mov_b32 s26, s3
	s_mov_b64 s[6:7], 0
	s_waitcnt lgkmcnt(0)
	s_cmp_lg_u64 s[8:9], 0
	s_cselect_b64 s[10:11], -1, 0
	s_and_b64 vcc, exec, s[10:11]
	s_cbranch_vccz .LBB734_7
; %bb.1:
	s_add_i32 s12, s2, 1
	s_mov_b32 s13, 0
	s_lshl_b64 s[14:15], s[12:13], 2
	s_add_u32 s14, s8, s14
	s_mov_b32 s3, s13
	s_addc_u32 s15, s9, s15
	s_lshl_b64 s[12:13], s[2:3], 2
	s_add_u32 s12, s8, s12
	s_addc_u32 s13, s9, s13
	s_load_dword s5, s[14:15], 0x0
	s_load_dword s16, s[12:13], 0x0
	s_waitcnt lgkmcnt(0)
	s_sub_i32 s5, s5, s16
	s_cmp_eq_u32 s5, 1
	s_cselect_b64 s[12:13], -1, 0
	s_andn2_b64 vcc, exec, s[6:7]
	s_cbranch_vccnz .LBB734_3
.LBB734_2:
	s_mov_b32 s3, 0
	s_mov_b64 s[12:13], -1
.LBB734_3:
	s_andn2_b64 vcc, exec, s[12:13]
	s_cbranch_vccnz .LBB734_22
; %bb.4:
	s_load_dwordx2 s[6:7], s[0:1], 0x28
	s_lshl_b64 s[12:13], s[2:3], 2
	s_waitcnt lgkmcnt(0)
	s_add_u32 s6, s6, s12
	s_addc_u32 s7, s7, s13
	s_load_dword s27, s[6:7], 0x0
	s_lshl_b32 s18, s26, 8
	s_waitcnt lgkmcnt(0)
	s_cmp_ge_i32 s18, s27
	s_cbranch_scc1 .LBB734_22
; %bb.5:
	s_load_dwordx2 s[6:7], s[0:1], 0x20
	s_load_dword s5, s[0:1], 0x38
	s_add_i32 s14, s27, 31
	s_ashr_i32 s15, s14, 31
	v_and_b32_e32 v1, 0xcf, v0
	s_lshr_b32 s15, s15, 27
	v_add_u32_e32 v1, s18, v1
	s_add_i32 s14, s14, s15
	v_ashrrev_i32_e32 v2, 31, v1
	s_ashr_i32 s19, s14, 5
	v_lshrrev_b32_e32 v4, 27, v2
	s_add_i32 s19, s19, -1
	s_waitcnt lgkmcnt(0)
	s_mul_i32 s14, s2, s5
	s_mov_b32 s15, 0
	v_add_u32_e32 v2, v1, v4
	s_lshl_b64 s[14:15], s[14:15], 2
	v_ashrrev_i32_e32 v2, 5, v2
	v_mov_b32_e32 v5, s19
	v_cmp_gt_i32_e32 vcc, s27, v1
	s_add_u32 s6, s6, s14
	s_addc_u32 s7, s7, s15
	v_cndmask_b32_e32 v2, v5, v2, vcc
	v_ashrrev_i32_e32 v3, 31, v2
	v_lshl_add_u64 v[6:7], v[2:3], 2, s[6:7]
	v_or_b32_e32 v2, 16, v1
	v_add_u32_e32 v3, v2, v4
	v_ashrrev_i32_e32 v3, 5, v3
	v_cmp_gt_i32_e32 vcc, s27, v2
	s_nop 1
	v_cndmask_b32_e32 v2, v5, v3, vcc
	v_ashrrev_i32_e32 v3, 31, v2
	v_lshl_add_u64 v[8:9], v[2:3], 2, s[6:7]
	v_or_b32_e32 v2, 32, v1
	v_add_u32_e32 v3, v2, v4
	v_ashrrev_i32_e32 v3, 5, v3
	v_cmp_gt_i32_e32 vcc, s27, v2
	v_or_b32_e32 v1, 48, v1
	s_nop 0
	v_cndmask_b32_e32 v2, v5, v3, vcc
	v_ashrrev_i32_e32 v3, 31, v2
	v_lshl_add_u64 v[10:11], v[2:3], 2, s[6:7]
	v_add_u32_e32 v2, v1, v4
	v_ashrrev_i32_e32 v2, 5, v2
	v_cmp_gt_i32_e32 vcc, s27, v1
	s_nop 1
	v_cndmask_b32_e32 v2, v5, v2, vcc
	v_ashrrev_i32_e32 v3, 31, v2
	v_lshl_add_u64 v[12:13], v[2:3], 2, s[6:7]
	global_load_dword v5, v[6:7], off
	global_load_dword v4, v[8:9], off
	;; [unrolled: 1-line block ×4, first 2 shown]
	s_andn2_b64 vcc, exec, s[10:11]
	s_cbranch_vccnz .LBB734_8
; %bb.6:
	s_add_u32 s8, s8, s12
	s_addc_u32 s9, s9, s13
	s_load_dword s5, s[8:9], 0x0
	s_branch .LBB734_9
.LBB734_7:
	s_mov_b64 s[12:13], 0
	s_branch .LBB734_2
.LBB734_8:
	s_mov_b32 s5, s2
.LBB734_9:
	s_load_dwordx2 s[14:15], s[0:1], 0x8
	s_load_dwordx4 s[8:11], s[0:1], 0x48
	v_lshrrev_b32_e32 v88, 6, v0
	v_bfe_u32 v1, v0, 4, 2
	v_lshl_or_b32 v6, v88, 2, v1
	v_and_b32_e32 v84, 15, v0
	v_lshlrev_b32_e32 v82, 3, v84
	v_cmp_lt_u32_e32 vcc, 6, v6
	s_and_saveexec_b64 s[12:13], vcc
	s_xor_b64 s[12:13], exec, s[12:13]
; %bb.10:
	v_mov_b32_e32 v83, 0
                                        ; implicit-def: $vgpr6
; %bb.11:
	s_or_saveexec_b64 s[16:17], s[12:13]
	s_load_dwordx2 s[12:13], s[0:1], 0x10
	s_mul_i32 s40, s4, 7
	s_xor_b64 exec, exec, s[16:17]
	s_cbranch_execz .LBB734_13
; %bb.12:
	s_load_dwordx2 s[20:21], s[0:1], 0x0
	s_waitcnt lgkmcnt(0)
	s_ashr_i32 s11, s8, 31
	s_mul_hi_u32 s22, s5, s8
	s_mul_i32 s11, s5, s11
	s_add_i32 s23, s22, s11
	s_mul_i32 s22, s5, s8
	s_lshl_b64 s[22:23], s[22:23], 1
	s_add_u32 s20, s20, s22
	v_add_lshl_u32 v8, v6, s40, 7
	s_addc_u32 s21, s21, s23
	v_ashrrev_i32_e32 v9, 31, v8
	v_mov_b32_e32 v83, 0
	v_lshl_add_u64 v[8:9], v[8:9], 1, s[20:21]
	v_lshlrev_b32_e32 v10, 1, v82
	v_mov_b32_e32 v11, v83
	v_lshl_add_u64 v[8:9], v[8:9], 0, v[10:11]
	global_load_dwordx4 v[8:11], v[8:9], off
	v_and_b32_e32 v7, 3, v0
	v_lshlrev_b32_e32 v12, 9, v84
	v_lshlrev_b32_e32 v6, 5, v6
	;; [unrolled: 1-line block ×3, first 2 shown]
	v_and_b32_e32 v12, 0x1800, v12
	v_or3_b32 v6, v12, v7, v6
	s_waitcnt vmcnt(0)
	ds_write_b128 v6, v[8:11]
.LBB734_13:
	s_or_b64 exec, exec, s[16:17]
	s_waitcnt lgkmcnt(0)
	s_mul_i32 s4, s4, s10
	s_mov_b32 s5, 0
	s_lshl_b64 s[4:5], s[4:5], 1
	s_add_u32 s10, s14, s4
	s_addc_u32 s11, s15, s5
	s_waitcnt vmcnt(3)
	v_mad_i64_i32 v[6:7], s[14:15], v5, s9, 0
	v_lshl_add_u64 v[6:7], v[6:7], 1, s[10:11]
	v_lshlrev_b64 v[8:9], 1, v[82:83]
	v_lshlrev_b32_e32 v86, 9, v1
	v_lshl_add_u64 v[6:7], v[6:7], 0, v[8:9]
	v_mov_b32_e32 v87, 0
	v_lshl_add_u64 v[10:11], v[6:7], 0, v[86:87]
	v_or_b32_e32 v14, 0x1000, v86
	v_mov_b32_e32 v15, v87
	v_or_b32_e32 v16, 0x1800, v86
	v_mov_b32_e32 v17, v87
	s_barrier
	global_load_dwordx4 v[66:69], v[10:11], off
	global_load_dwordx4 v[62:65], v[10:11], off offset:2048
	v_lshl_add_u64 v[10:11], v[6:7], 0, v[14:15]
	v_lshl_add_u64 v[6:7], v[6:7], 0, v[16:17]
	global_load_dwordx4 v[78:81], v[10:11], off
	global_load_dwordx4 v[74:77], v[6:7], off
	s_waitcnt vmcnt(6)
	v_mad_i64_i32 v[4:5], s[14:15], v4, s9, 0
	v_mov_b32_e32 v6, 0x100
	v_lshl_add_u64 v[4:5], v[4:5], 1, s[10:11]
	v_lshl_or_b32 v6, v84, 4, v6
	v_mov_b32_e32 v7, v87
	v_lshl_add_u64 v[4:5], v[4:5], 0, v[6:7]
	v_lshl_add_u64 v[10:11], v[4:5], 0, v[86:87]
	global_load_dwordx4 v[70:73], v[10:11], off
	global_load_dwordx4 v[58:61], v[10:11], off offset:2048
	v_lshl_add_u64 v[10:11], v[4:5], 0, v[14:15]
	v_lshl_add_u64 v[4:5], v[4:5], 0, v[16:17]
	global_load_dwordx4 v[54:57], v[10:11], off
	global_load_dwordx4 v[30:33], v[4:5], off
	s_waitcnt vmcnt(9)
	v_mad_i64_i32 v[4:5], s[14:15], v3, s9, 0
	v_lshl_add_u64 v[4:5], v[4:5], 1, s[10:11]
	s_waitcnt vmcnt(8)
	v_mad_i64_i32 v[2:3], s[14:15], v2, s9, 0
	v_lshl_add_u64 v[4:5], v[4:5], 0, v[8:9]
	v_lshl_add_u64 v[2:3], v[2:3], 1, s[10:11]
	;; [unrolled: 1-line block ×4, first 2 shown]
	global_load_dwordx4 v[26:29], v[8:9], off
	global_load_dwordx4 v[22:25], v[8:9], off offset:2048
	v_lshl_add_u64 v[8:9], v[4:5], 0, v[14:15]
	v_lshl_add_u64 v[4:5], v[4:5], 0, v[16:17]
	;; [unrolled: 1-line block ×4, first 2 shown]
	global_load_dwordx4 v[18:21], v[8:9], off
	global_load_dwordx4 v[10:13], v[4:5], off
	s_nop 0
	global_load_dwordx4 v[6:9], v[2:3], off
	s_nop 0
	global_load_dwordx4 v[2:5], v[2:3], off offset:2048
	v_lshl_add_u64 v[16:17], v[34:35], 0, v[16:17]
	global_load_dwordx4 v[38:41], v[14:15], off
	global_load_dwordx4 v[34:37], v[16:17], off
	v_mul_lo_u16_e32 v14, 37, v84
	v_mov_b32_e32 v15, 7
	v_mul_lo_u16_sdwa v14, v14, v15 dst_sel:DWORD dst_unused:UNUSED_PAD src0_sel:BYTE_1 src1_sel:DWORD
	v_sub_u16_e32 v14, v84, v14
	v_and_b32_e32 v14, 0xff, v14
	v_lshl_add_u32 v42, v14, 5, v86
	ds_read_b128 v[14:17], v42
	ds_read_b128 v[50:53], v42 offset:2048
	ds_read_b128 v[46:49], v42 offset:4096
	;; [unrolled: 1-line block ×3, first 2 shown]
	v_and_b32_e32 v85, 63, v0
	v_cmp_gt_u32_e32 vcc, 7, v84
	v_mov_b32_e32 v89, 0
	s_and_saveexec_b64 s[10:11], vcc
	s_cbranch_execz .LBB734_15
; %bb.14:
	s_load_dwordx2 s[14:15], s[0:1], 0x40
	v_add_u32_e32 v90, s40, v84
	v_ashrrev_i32_e32 v91, 31, v90
	s_waitcnt lgkmcnt(0)
	v_lshl_add_u64 v[90:91], v[90:91], 2, s[14:15]
	global_load_dword v89, v[90:91], off
.LBB734_15:
	s_or_b64 exec, exec, s[10:11]
	s_waitcnt vmcnt(15) lgkmcnt(3)
	v_mfma_f32_16x16x16_bf16 v[90:93], v[66:67], v[14:15], 0
	s_ashr_i32 s8, s18, 31
	s_lshr_b32 s8, s8, 27
	s_add_u32 s4, s12, s4
	v_mfma_f32_16x16x16_bf16 v[66:69], v[68:69], v[16:17], v[90:93]
	s_addc_u32 s5, s13, s5
	s_mov_b32 s33, 0xff7fffff
	s_waitcnt vmcnt(14) lgkmcnt(2)
	v_mfma_f32_16x16x16_bf16 v[66:69], v[62:63], v[50:51], v[66:69]
	v_lshl_or_b32 v90, v88, 4, v84
	v_mfma_f32_16x16x16_bf16 v[62:65], v[64:65], v[52:53], v[66:69]
	s_waitcnt vmcnt(13) lgkmcnt(1)
	v_mfma_f32_16x16x16_bf16 v[62:65], v[78:79], v[46:47], v[62:65]
	v_mfma_f32_16x16x16_bf16 v[62:65], v[80:81], v[48:49], v[62:65]
	s_waitcnt vmcnt(12) lgkmcnt(0)
	v_mfma_f32_16x16x16_bf16 v[62:65], v[74:75], v[42:43], v[62:65]
	v_and_or_b32 v74, v0, 48, s18
	v_add_u32_e32 v66, s8, v74
	v_ashrrev_i32_e32 v75, 5, v66
	s_waitcnt vmcnt(11)
	v_mfma_f32_16x16x16_bf16 v[66:69], v[70:71], v[14:15], 0
	v_cmp_gt_i32_e32 vcc, s27, v74
	v_mfma_f32_16x16x16_bf16 v[66:69], v[72:73], v[16:17], v[66:69]
	v_or_b32_e32 v72, 64, v74
	v_add_u32_e32 v73, s8, v72
	s_waitcnt vmcnt(10)
	v_mfma_f32_16x16x16_bf16 v[66:69], v[58:59], v[50:51], v[66:69]
	v_ashrrev_i32_e32 v58, 5, v73
	v_mfma_f32_16x16x16_bf16 v[62:65], v[76:77], v[44:45], v[62:65]
	v_mov_b32_e32 v76, s19
	v_cndmask_b32_e32 v70, v76, v75, vcc
	v_cmp_gt_i32_e32 vcc, s27, v72
	v_ashrrev_i32_e32 v71, 31, v70
	v_lshl_add_u64 v[70:71], v[70:71], 2, s[6:7]
	v_cndmask_b32_e32 v72, v76, v58, vcc
	v_mfma_f32_16x16x16_bf16 v[58:61], v[60:61], v[52:53], v[66:69]
	v_ashrrev_i32_e32 v73, 31, v72
	s_waitcnt vmcnt(9)
	v_mfma_f32_16x16x16_bf16 v[58:61], v[54:55], v[46:47], v[58:61]
	v_lshl_add_u64 v[66:67], v[72:73], 2, s[6:7]
	global_load_dword v68, v[70:71], off
	s_nop 0
	global_load_dword v66, v[66:67], off
	v_or_b32_e32 v67, 0x80, v74
	v_add_u32_e32 v69, s8, v67
	v_mfma_f32_16x16x16_bf16 v[54:57], v[56:57], v[48:49], v[58:61]
	v_cmp_gt_i32_e32 vcc, s27, v67
	s_nop 1
	v_ashrrev_i32_e32 v58, 5, v69
	v_cndmask_b32_e32 v58, v76, v58, vcc
	v_ashrrev_i32_e32 v59, 31, v58
	s_waitcnt vmcnt(10)
	v_mfma_f32_16x16x16_bf16 v[54:57], v[30:31], v[42:43], v[54:57]
	v_lshl_add_u64 v[30:31], v[58:59], 2, s[6:7]
	global_load_dword v70, v[30:31], off
	v_mfma_f32_16x16x16_bf16 v[58:61], v[32:33], v[44:45], v[54:57]
	s_nop 3
	v_or_b32_e32 v54, 0xc0, v74
	v_add_u32_e32 v30, s8, v54
	v_ashrrev_i32_e32 v55, 5, v30
	v_cmp_gt_i32_e32 vcc, s27, v54
	s_waitcnt vmcnt(10)
	v_mfma_f32_16x16x16_bf16 v[30:33], v[26:27], v[14:15], 0
	v_cndmask_b32_e32 v26, v76, v55, vcc
	v_ashrrev_i32_e32 v27, 31, v26
	v_lshl_add_u64 v[54:55], v[26:27], 2, s[6:7]
	global_load_dword v71, v[54:55], off
	v_mfma_f32_16x16x16_bf16 v[26:29], v[28:29], v[16:17], v[30:33]
	s_load_dword s6, s[0:1], 0x1c
	s_waitcnt vmcnt(10)
	v_mfma_f32_16x16x16_bf16 v[26:29], v[22:23], v[50:51], v[26:29]
	v_and_b32_e32 v30, 16, v0
	v_lshlrev_b32_e32 v86, 1, v30
	v_lshl_add_u64 v[74:75], s[4:5], 0, v[86:87]
	v_mfma_f32_16x16x16_bf16 v[22:25], v[24:25], v[52:53], v[26:29]
	v_lshlrev_b32_e32 v86, 6, v90
	v_lshl_add_u64 v[76:77], v[74:75], 0, v[86:87]
	v_or_b32_e32 v86, 0x1000, v86
	s_waitcnt vmcnt(9)
	v_mfma_f32_16x16x16_bf16 v[22:25], v[18:19], v[46:47], v[22:25]
	v_lshl_add_u64 v[80:81], v[74:75], 0, v[86:87]
	s_waitcnt lgkmcnt(0)
	v_pk_mul_f32 v[74:75], s[6:7], v[60:61] op_sel_hi:[0,1]
	v_mfma_f32_16x16x16_bf16 v[18:21], v[20:21], v[48:49], v[22:25]
	s_waitcnt vmcnt(8)
	v_mfma_f32_16x16x16_bf16 v[18:21], v[10:11], v[42:43], v[18:21]
	s_waitcnt vmcnt(3)
	v_mad_i64_i32 v[22:23], s[4:5], v68, s9, 0
	s_waitcnt vmcnt(2)
	v_mad_i64_i32 v[10:11], s[4:5], v66, s9, 0
	v_lshlrev_b64 v[78:79], 1, v[22:23]
	v_lshlrev_b64 v[54:55], 1, v[10:11]
	v_lshl_add_u64 v[22:23], v[76:77], 0, v[78:79]
	v_lshl_add_u64 v[10:11], v[76:77], 0, v[54:55]
	global_load_dwordx4 v[30:33], v[22:23], off
	global_load_dwordx4 v[26:29], v[22:23], off offset:16
	v_mfma_f32_16x16x16_bf16 v[66:69], v[12:13], v[44:45], v[18:21]
	global_load_dwordx4 v[22:25], v[10:11], off
	s_nop 1
	global_load_dwordx4 v[18:21], v[10:11], off offset:16
	v_mfma_f32_16x16x16_bf16 v[10:13], v[6:7], v[14:15], 0
	s_waitcnt vmcnt(5)
	v_mad_i64_i32 v[6:7], s[4:5], v70, s9, 0
	v_lshlrev_b64 v[56:57], 1, v[6:7]
	v_mfma_f32_16x16x16_bf16 v[6:9], v[8:9], v[16:17], v[10:13]
	v_mfma_f32_16x16x16_bf16 v[6:9], v[2:3], v[50:51], v[6:9]
	s_nop 1
	v_lshl_add_u64 v[10:11], v[76:77], 0, v[56:57]
	global_load_dwordx4 v[14:17], v[10:11], off
	s_nop 0
	global_load_dwordx4 v[10:13], v[10:11], off offset:16
	s_waitcnt vmcnt(6)
	v_mad_i64_i32 v[2:3], s[4:5], v71, s9, 0
	v_mfma_f32_16x16x16_bf16 v[70:73], v[4:5], v[52:53], v[6:9]
	v_pk_mul_f32 v[52:53], s[6:7], v[62:63] op_sel_hi:[0,1]
	v_lshlrev_b64 v[50:51], 1, v[2:3]
	v_lshl_add_u64 v[2:3], v[76:77], 0, v[50:51]
	v_mfma_f32_16x16x16_bf16 v[70:73], v[38:39], v[46:47], v[70:73]
	v_lshl_add_u64 v[38:39], v[80:81], 0, v[78:79]
	v_pk_mul_f32 v[78:79], s[6:7], v[64:65] op_sel_hi:[0,1]
	v_pk_mul_f32 v[76:77], s[6:7], v[58:59] op_sel_hi:[0,1]
	v_mfma_f32_16x16x16_bf16 v[46:49], v[40:41], v[48:49], v[70:73]
	v_lshl_add_u64 v[50:51], v[80:81], 0, v[50:51]
	global_load_dwordx4 v[6:9], v[2:3], off
	s_nop 0
	global_load_dwordx4 v[2:5], v[2:3], off offset:16
	v_pk_mul_f32 v[70:71], s[6:7], v[68:69] op_sel_hi:[0,1]
	v_mfma_f32_16x16x16_bf16 v[40:43], v[34:35], v[42:43], v[46:49]
	v_pk_mul_f32 v[72:73], s[6:7], v[66:67] op_sel_hi:[0,1]
	v_mfma_f32_16x16x16_bf16 v[34:37], v[36:37], v[44:45], v[40:43]
	s_nop 6
	v_pk_mul_f32 v[68:69], s[6:7], v[34:35] op_sel_hi:[0,1]
	v_and_b32_e32 v34, 0xc0, v0
	v_add_u32_e32 v34, s18, v34
	v_lshl_or_b32 v34, v1, 2, v34
	v_or_b32_e32 v35, 1, v34
	v_pk_mul_f32 v[66:67], s[6:7], v[36:37] op_sel_hi:[0,1]
	v_subrev_u32_e32 v36, s27, v35
	v_add_u32_e32 v40, 1, v36
	v_add_u32_e32 v41, 2, v36
	v_cvt_f32_i32_e32 v37, v36
	v_cvt_f32_i32_e32 v40, v40
	;; [unrolled: 1-line block ×3, first 2 shown]
	v_add_u32_e32 v42, 3, v36
	v_fma_f32 v52, v89, v37, v52
	v_fmac_f32_e32 v53, v89, v40
	v_fma_f32 v78, v89, v41, v78
	v_add_u32_e32 v37, 16, v36
	v_add_u32_e32 v40, 17, v36
	;; [unrolled: 1-line block ×3, first 2 shown]
	v_cvt_f32_i32_e32 v42, v42
	v_cvt_f32_i32_e32 v37, v37
	;; [unrolled: 1-line block ×4, first 2 shown]
	v_fmac_f32_e32 v79, v89, v42
	v_add_u32_e32 v42, 19, v36
	v_fma_f32 v76, v89, v37, v76
	v_fmac_f32_e32 v77, v89, v40
	v_fma_f32 v74, v89, v41, v74
	v_add_u32_e32 v37, 32, v36
	v_add_u32_e32 v40, 33, v36
	;; [unrolled: 1-line block ×3, first 2 shown]
	v_cvt_f32_i32_e32 v42, v42
	v_cvt_f32_i32_e32 v37, v37
	;; [unrolled: 1-line block ×4, first 2 shown]
	v_fmac_f32_e32 v75, v89, v42
	v_add_u32_e32 v42, 35, v36
	v_fma_f32 v72, v89, v37, v72
	v_fmac_f32_e32 v73, v89, v40
	v_fma_f32 v70, v89, v41, v70
	v_add_u32_e32 v37, 48, v36
	v_add_u32_e32 v40, 49, v36
	;; [unrolled: 1-line block ×4, first 2 shown]
	v_cvt_f32_i32_e32 v36, v36
	v_cvt_f32_i32_e32 v37, v37
	;; [unrolled: 1-line block ×3, first 2 shown]
	v_cmp_gt_i32_e64 s[28:29], s27, v34
	v_fmac_f32_e32 v67, v89, v36
	v_mov_b32_e32 v36, 0xff7fffff
	v_cmp_gt_i32_e64 s[30:31], s27, v35
	v_fma_f32 v68, v89, v37, v68
	v_cndmask_b32_e64 v37, v36, v52, s[28:29]
	v_cndmask_b32_e64 v35, v36, v53, s[30:31]
	v_fmac_f32_e32 v69, v89, v40
	v_max3_f32 v35, v37, s33, v35
	v_or_b32_e32 v37, 2, v34
	v_or_b32_e32 v40, 3, v34
	v_cmp_gt_i32_e64 s[34:35], s27, v37
	v_cmp_gt_i32_e64 s[36:37], s27, v40
	v_cvt_f32_i32_e32 v42, v42
	v_cndmask_b32_e64 v37, v36, v78, s[34:35]
	v_cndmask_b32_e64 v40, v36, v79, s[36:37]
	v_max3_f32 v35, v35, v37, v40
	v_or_b32_e32 v37, 16, v34
	v_or_b32_e32 v40, 17, v34
	v_cmp_gt_i32_e64 s[22:23], s27, v37
	v_cmp_gt_i32_e64 s[24:25], s27, v40
	v_fmac_f32_e32 v71, v89, v42
	v_cndmask_b32_e64 v37, v36, v76, s[22:23]
	v_cndmask_b32_e64 v40, v36, v77, s[24:25]
	v_max3_f32 v35, v35, v37, v40
	v_or_b32_e32 v37, 18, v34
	v_or_b32_e32 v40, 19, v34
	v_cmp_gt_i32_e64 s[18:19], s27, v37
	v_cmp_gt_i32_e64 s[20:21], s27, v40
	v_cvt_f32_i32_e32 v41, v41
	v_cndmask_b32_e64 v37, v36, v74, s[18:19]
	v_cndmask_b32_e64 v40, v36, v75, s[20:21]
	v_max3_f32 v35, v35, v37, v40
	v_or_b32_e32 v37, 32, v34
	v_or_b32_e32 v40, 33, v34
	v_cmp_gt_i32_e64 s[14:15], s27, v37
	v_cmp_gt_i32_e64 s[16:17], s27, v40
	v_fma_f32 v66, v89, v41, v66
	v_cndmask_b32_e64 v37, v36, v72, s[14:15]
	v_cndmask_b32_e64 v40, v36, v73, s[16:17]
	v_max3_f32 v35, v35, v37, v40
	v_or_b32_e32 v37, 34, v34
	v_or_b32_e32 v40, 35, v34
	v_cmp_gt_i32_e64 s[10:11], s27, v37
	v_cmp_gt_i32_e64 s[12:13], s27, v40
	s_nop 0
	v_cndmask_b32_e64 v37, v36, v70, s[10:11]
	v_cndmask_b32_e64 v40, v36, v71, s[12:13]
	v_max3_f32 v35, v35, v37, v40
	v_or_b32_e32 v37, 48, v34
	v_or_b32_e32 v40, 49, v34
	v_cmp_gt_i32_e64 s[6:7], s27, v37
	v_cmp_gt_i32_e64 s[8:9], s27, v40
	s_nop 0
	v_cndmask_b32_e64 v37, v36, v68, s[6:7]
	v_cndmask_b32_e64 v40, v36, v69, s[8:9]
	v_max3_f32 v35, v35, v37, v40
	v_or_b32_e32 v37, 50, v34
	v_or_b32_e32 v34, 51, v34
	v_cmp_gt_i32_e32 vcc, s27, v37
	v_cmp_gt_i32_e64 s[4:5], s27, v34
	global_load_dwordx4 v[46:49], v[38:39], off
	s_nop 0
	global_load_dwordx4 v[38:41], v[38:39], off offset:16
	v_cndmask_b32_e32 v37, v36, v66, vcc
	v_cndmask_b32_e64 v34, v36, v67, s[4:5]
	v_max3_f32 v58, v35, v37, v34
	v_mbcnt_lo_u32_b32 v34, -1, 0
	v_mbcnt_hi_u32_b32 v59, -1, v34
	v_and_b32_e32 v34, 64, v59
	v_add_u32_e32 v60, 64, v34
	v_xor_b32_e32 v34, 32, v59
	v_cmp_lt_i32_e64 s[38:39], v34, v60
	s_nop 1
	v_cndmask_b32_e64 v34, v59, v34, s[38:39]
	v_lshlrev_b32_e32 v87, 2, v34
	ds_bpermute_b32 v61, v87, v58
	v_lshl_add_u64 v[34:35], v[80:81], 0, v[54:55]
	global_load_dwordx4 v[42:45], v[34:35], off
	s_nop 0
	global_load_dwordx4 v[34:37], v[34:35], off offset:16
	s_waitcnt lgkmcnt(0)
	v_max_f32_e32 v54, v61, v61
	v_max_f32_e32 v62, v58, v54
	v_xor_b32_e32 v54, 16, v59
	v_cmp_lt_i32_e64 s[38:39], v54, v60
	s_nop 1
	v_cndmask_b32_e64 v54, v59, v54, s[38:39]
	v_lshlrev_b32_e32 v89, 2, v54
	ds_bpermute_b32 v63, v89, v62
	v_lshl_add_u64 v[54:55], v[80:81], 0, v[56:57]
	global_load_dwordx4 v[58:61], v[54:55], off
	s_nop 0
	global_load_dwordx4 v[54:57], v[54:55], off offset:16
	s_waitcnt lgkmcnt(0)
	v_max_f32_e32 v63, v63, v63
	v_max_f32_e32 v86, v62, v63
	v_sub_f32_e32 v52, v52, v86
	v_mul_f32_e32 v52, 0x3fb8aa3b, v52
	v_exp_f32_e32 v80, v52
	v_sub_f32_e32 v52, v53, v86
	v_mul_f32_e32 v52, 0x3fb8aa3b, v52
	v_exp_f32_e32 v81, v52
	global_load_dwordx4 v[62:65], v[50:51], off
	s_nop 0
	global_load_dwordx4 v[50:53], v[50:51], off offset:16
	v_sub_f32_e32 v78, v78, v86
	v_mul_f32_e32 v78, 0x3fb8aa3b, v78
	v_sub_f32_e32 v79, v79, v86
	v_exp_f32_e32 v78, v78
	v_mul_f32_e32 v79, 0x3fb8aa3b, v79
	v_sub_f32_e32 v76, v76, v86
	v_exp_f32_e32 v79, v79
	v_mul_f32_e32 v76, 0x3fb8aa3b, v76
	v_sub_f32_e32 v77, v77, v86
	v_cndmask_b32_e64 v80, 0, v80, s[28:29]
	v_exp_f32_e32 v76, v76
	v_mul_f32_e32 v77, 0x3fb8aa3b, v77
	v_sub_f32_e32 v74, v74, v86
	v_add_f32_e32 v91, 0, v80
	v_cndmask_b32_e64 v81, 0, v81, s[30:31]
	v_exp_f32_e32 v77, v77
	v_mul_f32_e32 v74, 0x3fb8aa3b, v74
	v_sub_f32_e32 v75, v75, v86
	v_add_f32_e32 v91, v91, v81
	;; [unrolled: 5-line block ×10, first 2 shown]
	v_cndmask_b32_e64 v70, 0, v70, s[10:11]
	v_exp_f32_e32 v66, v66
	v_mul_f32_e32 v67, 0x3fb8aa3b, v67
	v_add_f32_e32 v91, v91, v70
	v_cndmask_b32_e64 v71, 0, v71, s[12:13]
	v_exp_f32_e32 v67, v67
	v_add_f32_e32 v91, v91, v71
	v_cndmask_b32_e64 v68, 0, v68, s[6:7]
	v_add_f32_e32 v91, v91, v68
	v_cndmask_b32_e64 v69, 0, v69, s[8:9]
	v_add_f32_e32 v91, v91, v69
	v_cndmask_b32_e32 v66, 0, v66, vcc
	v_add_f32_e32 v91, v91, v66
	v_cndmask_b32_e64 v67, 0, v67, s[4:5]
	v_add_f32_e32 v91, v91, v67
	ds_bpermute_b32 v87, v87, v91
	s_load_dword s7, s[0:1], 0x98
	v_cmp_gt_u32_e32 vcc, 16, v85
	s_waitcnt lgkmcnt(0)
	s_barrier
	v_add_f32_e32 v87, v91, v87
	ds_bpermute_b32 v89, v89, v87
	s_waitcnt lgkmcnt(0)
	s_and_saveexec_b64 s[4:5], vcc
	s_cbranch_execz .LBB734_17
; %bb.16:
	v_add_f32_e32 v85, v87, v89
	v_lshlrev_b32_e32 v87, 2, v90
	ds_write2st64_b32 v87, v86, v85 offset1:1
.LBB734_17:
	s_or_b64 exec, exec, s[4:5]
	v_lshlrev_b32_e32 v85, 2, v84
	s_load_dword s6, s[0:1], 0x94
	s_waitcnt lgkmcnt(0)
	s_barrier
	ds_read2_b32 v[90:91], v85 offset1:16
	ds_read2_b32 v[92:93], v85 offset0:32 offset1:48
	ds_read2_b32 v[94:95], v85 offset0:64 offset1:80
	s_movk_i32 s8, 0x7fff
	s_mov_b32 s9, 0x7060302
	s_waitcnt lgkmcnt(2)
	v_max3_f32 v86, v90, s33, v91
	s_waitcnt lgkmcnt(1)
	v_max3_f32 v86, v86, v92, v93
	v_sub_f32_e32 v87, v90, v86
	v_mul_f32_e32 v87, 0x3fb8aa3b, v87
	v_exp_f32_e32 v89, v87
	v_sub_f32_e32 v87, v91, v86
	v_mul_f32_e32 v87, 0x3fb8aa3b, v87
	v_exp_f32_e32 v88, v87
	v_sub_f32_e32 v87, v92, v86
	v_mul_f32_e32 v87, 0x3fb8aa3b, v87
	ds_read2_b32 v[90:91], v85 offset0:96 offset1:112
	v_sub_f32_e32 v85, v93, v86
	v_exp_f32_e32 v92, v87
	v_mul_f32_e32 v85, 0x3fb8aa3b, v85
	v_exp_f32_e32 v85, v85
	s_waitcnt lgkmcnt(1)
	v_fma_f32 v87, v89, v94, 0
	v_fmac_f32_e32 v87, v88, v95
	s_waitcnt lgkmcnt(0)
	v_fmac_f32_e32 v87, v92, v90
	v_fmac_f32_e32 v87, v85, v91
	v_add_f32_e32 v90, 0x358637bd, v87
	v_div_scale_f32 v91, s[4:5], v90, v90, 1.0
	v_rcp_f32_e32 v93, v91
	s_mul_i32 s7, s7, 7
	s_barrier
	v_fma_f32 v94, -v91, v93, 1.0
	v_fmac_f32_e32 v93, v94, v93
	v_div_scale_f32 v94, vcc, 1.0, v90, 1.0
	v_mul_f32_e32 v95, v94, v93
	v_fma_f32 v1, -v91, v95, v94
	v_fmac_f32_e32 v95, v1, v93
	v_fma_f32 v1, -v91, v95, v94
	v_lshrrev_b32_e32 v91, 6, v0
	v_div_fmas_f32 v1, v1, v93, v95
	v_cmp_eq_u32_e32 vcc, 1, v91
	v_div_fixup_f32 v1, v1, v90, 1.0
	s_nop 0
	v_cndmask_b32_e32 v88, v89, v88, vcc
	v_cmp_eq_u32_e32 vcc, 2, v91
	s_nop 1
	v_cndmask_b32_e32 v88, v88, v92, vcc
	v_cmp_eq_u32_e32 vcc, 3, v91
	s_nop 1
	v_cndmask_b32_e32 v85, v88, v85, vcc
	v_mul_f32_e32 v90, v85, v1
	v_pk_mul_f32 v[80:81], v[90:91], v[80:81] op_sel_hi:[0,1]
	v_bfe_u32 v1, v81, 16, 1
	v_bfe_u32 v85, v80, 16, 1
	v_pk_mul_f32 v[78:79], v[90:91], v[78:79] op_sel_hi:[0,1]
	v_add3_u32 v80, v80, v85, s8
	v_add3_u32 v1, v81, v1, s8
	v_perm_b32 v80, v1, v80, s9
	v_bfe_u32 v1, v79, 16, 1
	v_bfe_u32 v81, v78, 16, 1
	v_add3_u32 v78, v78, v81, s8
	v_add3_u32 v1, v79, v1, s8
	v_bfe_u32 v88, v0, 4, 2
	v_perm_b32 v81, v1, v78, s9
	v_lshlrev_b32_e32 v1, 3, v88
	v_lshlrev_b32_e32 v78, 5, v84
	;; [unrolled: 1-line block ×3, first 2 shown]
	v_pk_mul_f32 v[76:77], v[90:91], v[76:77] op_sel_hi:[0,1]
	v_or3_b32 v1, v79, v78, v1
	v_bfe_u32 v79, v77, 16, 1
	v_bfe_u32 v85, v76, 16, 1
	v_pk_mul_f32 v[74:75], v[90:91], v[74:75] op_sel_hi:[0,1]
	v_add3_u32 v76, v76, v85, s8
	v_add3_u32 v77, v77, v79, s8
	v_perm_b32 v76, v77, v76, s9
	v_bfe_u32 v77, v75, 16, 1
	v_bfe_u32 v79, v74, 16, 1
	v_add3_u32 v74, v74, v79, s8
	v_add3_u32 v75, v75, v77, s8
	v_pk_mul_f32 v[72:73], v[90:91], v[72:73] op_sel_hi:[0,1]
	v_perm_b32 v77, v75, v74, s9
	v_bfe_u32 v74, v73, 16, 1
	v_bfe_u32 v75, v72, 16, 1
	v_pk_mul_f32 v[70:71], v[90:91], v[70:71] op_sel_hi:[0,1]
	v_add3_u32 v72, v72, v75, s8
	v_add3_u32 v73, v73, v74, s8
	v_perm_b32 v72, v73, v72, s9
	v_bfe_u32 v73, v71, 16, 1
	v_bfe_u32 v74, v70, 16, 1
	v_add3_u32 v70, v70, v74, s8
	v_add3_u32 v71, v71, v73, s8
	v_pk_mul_f32 v[68:69], v[90:91], v[68:69] op_sel_hi:[0,1]
	v_perm_b32 v73, v71, v70, s9
	v_bfe_u32 v70, v69, 16, 1
	v_bfe_u32 v71, v68, 16, 1
	v_pk_mul_f32 v[66:67], v[90:91], v[66:67] op_sel_hi:[0,1]
	v_add3_u32 v68, v68, v71, s8
	v_add3_u32 v69, v69, v70, s8
	v_perm_b32 v68, v69, v68, s9
	v_bfe_u32 v69, v67, 16, 1
	v_bfe_u32 v70, v66, 16, 1
	v_add3_u32 v66, v66, v70, s8
	v_add3_u32 v67, v67, v69, s8
	v_perm_b32 v69, v67, v66, s9
	v_cmp_gt_u32_e32 vcc, 7, v0
	ds_write2st64_b64 v1, v[80:81], v[76:77] offset1:1
	ds_write2st64_b64 v1, v[72:73], v[68:69] offset0:2 offset1:3
	s_and_saveexec_b64 s[4:5], vcc
	s_cbranch_execz .LBB734_19
; %bb.18:
	s_mov_b32 s41, 0
	v_mov_b32_e32 v85, 0
	v_lshl_add_u64 v[66:67], s[40:41], 0, v[84:85]
	v_mov_b32_e32 v68, s7
	v_mad_u64_u32 v[66:67], s[10:11], s2, v68, v[66:67]
	s_mul_i32 s3, s3, s7
	v_mov_b32_e32 v68, s26
	v_mov_b32_e32 v69, v85
	s_load_dwordx4 s[12:15], s[0:1], 0x58
	v_add_u32_e32 v70, s3, v67
	v_mad_u64_u32 v[66:67], s[10:11], v66, s6, v[68:69]
	v_mov_b32_e32 v68, v67
	v_mad_u64_u32 v[68:69], s[10:11], v70, s6, v[68:69]
	v_mov_b32_e32 v67, v68
	v_lshlrev_b64 v[66:67], 2, v[66:67]
	s_waitcnt lgkmcnt(0)
	v_lshl_add_u64 v[68:69], s[14:15], 0, v[66:67]
	v_lshl_add_u64 v[66:67], s[12:13], 0, v[66:67]
	global_store_dword v[68:69], v86, off
	global_store_dword v[66:67], v87, off
.LBB734_19:
	s_or_b64 exec, exec, s[4:5]
	v_lshl_or_b32 v78, v88, 9, v78
	s_waitcnt lgkmcnt(0)
	s_barrier
	ds_read_b128 v[70:73], v78
	ds_read_b128 v[66:69], v78 offset:16
	s_waitcnt vmcnt(15) lgkmcnt(1)
	v_mfma_f32_16x16x16_bf16 v[74:77], v[30:31], v[70:71], 0
	s_mov_b32 s3, 0
	v_cmp_gt_u32_e32 vcc, 64, v0
	v_mfma_f32_16x16x16_bf16 v[30:33], v[32:33], v[72:73], v[74:77]
	s_waitcnt vmcnt(14) lgkmcnt(0)
	v_mfma_f32_16x16x16_bf16 v[30:33], v[26:27], v[66:67], v[30:33]
	v_mfma_f32_16x16x16_bf16 v[26:29], v[28:29], v[68:69], v[30:33]
	s_nop 5
	ds_read_b128 v[30:33], v78 offset:2048
	ds_read_b128 v[74:77], v78 offset:2064
	s_waitcnt vmcnt(13) lgkmcnt(1)
	v_mfma_f32_16x16x16_bf16 v[26:29], v[22:23], v[30:31], v[26:29]
	v_mfma_f32_16x16x16_bf16 v[22:25], v[24:25], v[32:33], v[26:29]
	s_waitcnt vmcnt(12) lgkmcnt(0)
	v_mfma_f32_16x16x16_bf16 v[22:25], v[18:19], v[74:75], v[22:25]
	v_mfma_f32_16x16x16_bf16 v[18:21], v[20:21], v[76:77], v[22:25]
	s_nop 5
	ds_read_b128 v[22:25], v78 offset:4096
	ds_read_b128 v[26:29], v78 offset:4112
	s_waitcnt vmcnt(11) lgkmcnt(1)
	v_mfma_f32_16x16x16_bf16 v[18:21], v[14:15], v[22:23], v[18:21]
	v_mfma_f32_16x16x16_bf16 v[14:17], v[16:17], v[24:25], v[18:21]
	s_waitcnt vmcnt(10) lgkmcnt(0)
	v_mfma_f32_16x16x16_bf16 v[14:17], v[10:11], v[26:27], v[14:17]
	v_mfma_f32_16x16x16_bf16 v[10:13], v[12:13], v[28:29], v[14:17]
	s_nop 5
	ds_read_b128 v[14:17], v78 offset:6144
	ds_read_b128 v[18:21], v78 offset:6160
	s_waitcnt lgkmcnt(0)
	s_barrier
	s_waitcnt vmcnt(9)
	v_mfma_f32_16x16x16_bf16 v[10:13], v[6:7], v[14:15], v[10:13]
	v_mfma_f32_16x16x16_bf16 v[6:9], v[8:9], v[16:17], v[10:13]
	s_waitcnt vmcnt(8)
	v_mfma_f32_16x16x16_bf16 v[6:9], v[2:3], v[18:19], v[6:9]
	v_mfma_f32_16x16x16_bf16 v[2:5], v[4:5], v[20:21], v[6:9]
	;; [unrolled: 3-line block ×3, first 2 shown]
	s_nop 3
	v_bfe_u32 v10, v3, 16, 1
	v_bfe_u32 v11, v2, 16, 1
	v_add3_u32 v2, v2, v11, s8
	s_waitcnt vmcnt(6)
	v_mfma_f32_16x16x16_bf16 v[6:9], v[38:39], v[66:67], v[6:9]
	v_add3_u32 v3, v3, v10, s8
	v_perm_b32 v10, v3, v2, s9
	v_bfe_u32 v2, v5, 16, 1
	v_mfma_f32_16x16x16_bf16 v[6:9], v[40:41], v[68:69], v[6:9]
	v_bfe_u32 v3, v4, 16, 1
	v_add3_u32 v3, v4, v3, s8
	v_add3_u32 v2, v5, v2, s8
	s_waitcnt vmcnt(5)
	v_mfma_f32_16x16x16_bf16 v[6:9], v[42:43], v[30:31], v[6:9]
	v_perm_b32 v11, v2, v3, s9
	v_mfma_f32_16x16x16_bf16 v[6:9], v[44:45], v[32:33], v[6:9]
	s_waitcnt vmcnt(4)
	v_mfma_f32_16x16x16_bf16 v[6:9], v[34:35], v[74:75], v[6:9]
	v_mfma_f32_16x16x16_bf16 v[6:9], v[36:37], v[76:77], v[6:9]
	s_waitcnt vmcnt(3)
	v_mfma_f32_16x16x16_bf16 v[6:9], v[58:59], v[22:23], v[6:9]
	;; [unrolled: 3-line block ×5, first 2 shown]
	v_mfma_f32_16x16x16_bf16 v[2:5], v[52:53], v[20:21], v[6:9]
	s_nop 6
	v_bfe_u32 v6, v3, 16, 1
	v_bfe_u32 v7, v2, 16, 1
	v_add3_u32 v2, v2, v7, s8
	v_add3_u32 v3, v3, v6, s8
	v_perm_b32 v2, v3, v2, s9
	v_bfe_u32 v3, v5, 16, 1
	v_bfe_u32 v6, v4, 16, 1
	v_add3_u32 v4, v4, v6, s8
	v_add3_u32 v3, v5, v3, s8
	v_perm_b32 v3, v3, v4, s9
	ds_write2st64_b64 v1, v[10:11], v[2:3] offset1:1
	s_waitcnt lgkmcnt(0)
	s_barrier
	s_and_saveexec_b64 s[4:5], vcc
	s_cbranch_execz .LBB734_22
; %bb.20:
	s_load_dwordx2 s[4:5], s[0:1], 0x68
	s_lshl_b32 s0, s6, 7
	s_mul_i32 s1, s7, s2
	v_lshlrev_b32_e32 v3, 6, v84
	s_mul_hi_u32 s7, s1, s0
	s_mul_i32 s6, s1, s0
	v_lshlrev_b32_e32 v2, 4, v0
	v_lshl_or_b32 v0, v0, 10, v3
	s_lshl_b64 s[6:7], s[6:7], 1
	v_lshlrev_b32_e32 v1, 5, v88
	v_and_b32_e32 v2, 16, v2
	v_and_b32_e32 v0, 0x1a00, v0
	s_waitcnt lgkmcnt(0)
	s_add_u32 s1, s4, s6
	v_or3_b32 v2, v0, v1, v2
	s_addc_u32 s4, s5, s7
	s_lshl_b32 s2, s26, 7
	s_lshl_b64 s[2:3], s[2:3], 1
	ds_read_b128 v[4:7], v2
	s_add_u32 s2, s1, s2
	s_addc_u32 s3, s4, s3
	v_add_u32_e32 v3, s40, v88
	v_lshl_add_u64 v[0:1], v[82:83], 1, s[2:3]
	v_mad_u64_u32 v[8:9], s[2:3], v3, s0, 0
	v_lshl_add_u64 v[8:9], v[8:9], 1, v[0:1]
	v_cmp_ne_u32_e32 vcc, 3, v88
	s_waitcnt lgkmcnt(0)
	global_store_dwordx4 v[8:9], v[4:7], off
	s_and_b64 exec, exec, vcc
	s_cbranch_execz .LBB734_22
; %bb.21:
	ds_read_b128 v[2:5], v2 offset:128
	v_add3_u32 v6, s40, v88, 4
	v_mad_u64_u32 v[6:7], s[0:1], v6, s0, 0
	v_lshl_add_u64 v[0:1], v[6:7], 1, v[0:1]
	s_waitcnt lgkmcnt(0)
	global_store_dwordx4 v[0:1], v[2:5], off
.LBB734_22:
	s_endpgm
	.section	.rodata,"a",@progbits
	.p2align	6, 0x0
	.amdhsa_kernel _Z39paged_attention_ll4mi_QKV_mfma16_kernelI14__hip_bfloat16S0_LN4vllm18Fp8KVCacheDataTypeE0ES0_Li32ELi128ELi256ELb1ELi7EEvPKT_PKT0_S8_ifPKiSA_SA_iPKfiiiPfSD_PS3_PT2_iSC_SC_
		.amdhsa_group_segment_fixed_size 8192
		.amdhsa_private_segment_fixed_size 0
		.amdhsa_kernarg_size 400
		.amdhsa_user_sgpr_count 2
		.amdhsa_user_sgpr_dispatch_ptr 0
		.amdhsa_user_sgpr_queue_ptr 0
		.amdhsa_user_sgpr_kernarg_segment_ptr 1
		.amdhsa_user_sgpr_dispatch_id 0
		.amdhsa_user_sgpr_kernarg_preload_length 0
		.amdhsa_user_sgpr_kernarg_preload_offset 0
		.amdhsa_user_sgpr_private_segment_size 0
		.amdhsa_uses_dynamic_stack 0
		.amdhsa_enable_private_segment 0
		.amdhsa_system_sgpr_workgroup_id_x 1
		.amdhsa_system_sgpr_workgroup_id_y 1
		.amdhsa_system_sgpr_workgroup_id_z 1
		.amdhsa_system_sgpr_workgroup_info 0
		.amdhsa_system_vgpr_workitem_id 0
		.amdhsa_next_free_vgpr 96
		.amdhsa_next_free_sgpr 42
		.amdhsa_accum_offset 96
		.amdhsa_reserve_vcc 1
		.amdhsa_float_round_mode_32 0
		.amdhsa_float_round_mode_16_64 0
		.amdhsa_float_denorm_mode_32 3
		.amdhsa_float_denorm_mode_16_64 3
		.amdhsa_dx10_clamp 1
		.amdhsa_ieee_mode 1
		.amdhsa_fp16_overflow 0
		.amdhsa_tg_split 0
		.amdhsa_exception_fp_ieee_invalid_op 0
		.amdhsa_exception_fp_denorm_src 0
		.amdhsa_exception_fp_ieee_div_zero 0
		.amdhsa_exception_fp_ieee_overflow 0
		.amdhsa_exception_fp_ieee_underflow 0
		.amdhsa_exception_fp_ieee_inexact 0
		.amdhsa_exception_int_div_zero 0
	.end_amdhsa_kernel
	.section	.text._Z39paged_attention_ll4mi_QKV_mfma16_kernelI14__hip_bfloat16S0_LN4vllm18Fp8KVCacheDataTypeE0ES0_Li32ELi128ELi256ELb1ELi7EEvPKT_PKT0_S8_ifPKiSA_SA_iPKfiiiPfSD_PS3_PT2_iSC_SC_,"axG",@progbits,_Z39paged_attention_ll4mi_QKV_mfma16_kernelI14__hip_bfloat16S0_LN4vllm18Fp8KVCacheDataTypeE0ES0_Li32ELi128ELi256ELb1ELi7EEvPKT_PKT0_S8_ifPKiSA_SA_iPKfiiiPfSD_PS3_PT2_iSC_SC_,comdat
.Lfunc_end734:
	.size	_Z39paged_attention_ll4mi_QKV_mfma16_kernelI14__hip_bfloat16S0_LN4vllm18Fp8KVCacheDataTypeE0ES0_Li32ELi128ELi256ELb1ELi7EEvPKT_PKT0_S8_ifPKiSA_SA_iPKfiiiPfSD_PS3_PT2_iSC_SC_, .Lfunc_end734-_Z39paged_attention_ll4mi_QKV_mfma16_kernelI14__hip_bfloat16S0_LN4vllm18Fp8KVCacheDataTypeE0ES0_Li32ELi128ELi256ELb1ELi7EEvPKT_PKT0_S8_ifPKiSA_SA_iPKfiiiPfSD_PS3_PT2_iSC_SC_
                                        ; -- End function
	.section	.AMDGPU.csdata,"",@progbits
; Kernel info:
; codeLenInByte = 5176
; NumSgprs: 48
; NumVgprs: 96
; NumAgprs: 0
; TotalNumVgprs: 96
; ScratchSize: 0
; MemoryBound: 0
; FloatMode: 240
; IeeeMode: 1
; LDSByteSize: 8192 bytes/workgroup (compile time only)
; SGPRBlocks: 5
; VGPRBlocks: 11
; NumSGPRsForWavesPerEU: 48
; NumVGPRsForWavesPerEU: 96
; AccumOffset: 96
; Occupancy: 5
; WaveLimiterHint : 1
; COMPUTE_PGM_RSRC2:SCRATCH_EN: 0
; COMPUTE_PGM_RSRC2:USER_SGPR: 2
; COMPUTE_PGM_RSRC2:TRAP_HANDLER: 0
; COMPUTE_PGM_RSRC2:TGID_X_EN: 1
; COMPUTE_PGM_RSRC2:TGID_Y_EN: 1
; COMPUTE_PGM_RSRC2:TGID_Z_EN: 1
; COMPUTE_PGM_RSRC2:TIDIG_COMP_CNT: 0
; COMPUTE_PGM_RSRC3_GFX90A:ACCUM_OFFSET: 23
; COMPUTE_PGM_RSRC3_GFX90A:TG_SPLIT: 0
	.section	.text._Z39paged_attention_ll4mi_QKV_mfma16_kernelI14__hip_bfloat16S0_LN4vllm18Fp8KVCacheDataTypeE0ES0_Li32ELi128ELi256ELb1ELi8EEvPKT_PKT0_S8_ifPKiSA_SA_iPKfiiiPfSD_PS3_PT2_iSC_SC_,"axG",@progbits,_Z39paged_attention_ll4mi_QKV_mfma16_kernelI14__hip_bfloat16S0_LN4vllm18Fp8KVCacheDataTypeE0ES0_Li32ELi128ELi256ELb1ELi8EEvPKT_PKT0_S8_ifPKiSA_SA_iPKfiiiPfSD_PS3_PT2_iSC_SC_,comdat
	.protected	_Z39paged_attention_ll4mi_QKV_mfma16_kernelI14__hip_bfloat16S0_LN4vllm18Fp8KVCacheDataTypeE0ES0_Li32ELi128ELi256ELb1ELi8EEvPKT_PKT0_S8_ifPKiSA_SA_iPKfiiiPfSD_PS3_PT2_iSC_SC_ ; -- Begin function _Z39paged_attention_ll4mi_QKV_mfma16_kernelI14__hip_bfloat16S0_LN4vllm18Fp8KVCacheDataTypeE0ES0_Li32ELi128ELi256ELb1ELi8EEvPKT_PKT0_S8_ifPKiSA_SA_iPKfiiiPfSD_PS3_PT2_iSC_SC_
	.globl	_Z39paged_attention_ll4mi_QKV_mfma16_kernelI14__hip_bfloat16S0_LN4vllm18Fp8KVCacheDataTypeE0ES0_Li32ELi128ELi256ELb1ELi8EEvPKT_PKT0_S8_ifPKiSA_SA_iPKfiiiPfSD_PS3_PT2_iSC_SC_
	.p2align	8
	.type	_Z39paged_attention_ll4mi_QKV_mfma16_kernelI14__hip_bfloat16S0_LN4vllm18Fp8KVCacheDataTypeE0ES0_Li32ELi128ELi256ELb1ELi8EEvPKT_PKT0_S8_ifPKiSA_SA_iPKfiiiPfSD_PS3_PT2_iSC_SC_,@function
_Z39paged_attention_ll4mi_QKV_mfma16_kernelI14__hip_bfloat16S0_LN4vllm18Fp8KVCacheDataTypeE0ES0_Li32ELi128ELi256ELb1ELi8EEvPKT_PKT0_S8_ifPKiSA_SA_iPKfiiiPfSD_PS3_PT2_iSC_SC_: ; @_Z39paged_attention_ll4mi_QKV_mfma16_kernelI14__hip_bfloat16S0_LN4vllm18Fp8KVCacheDataTypeE0ES0_Li32ELi128ELi256ELb1ELi8EEvPKT_PKT0_S8_ifPKiSA_SA_iPKfiiiPfSD_PS3_PT2_iSC_SC_
; %bb.0:
	s_load_dwordx2 s[8:9], s[0:1], 0x30
	s_mov_b32 s26, s3
	s_mov_b64 s[6:7], 0
	s_waitcnt lgkmcnt(0)
	s_cmp_lg_u64 s[8:9], 0
	s_cselect_b64 s[10:11], -1, 0
	s_and_b64 vcc, exec, s[10:11]
	s_cbranch_vccz .LBB735_7
; %bb.1:
	s_add_i32 s12, s2, 1
	s_mov_b32 s13, 0
	s_lshl_b64 s[14:15], s[12:13], 2
	s_add_u32 s14, s8, s14
	s_mov_b32 s3, s13
	s_addc_u32 s15, s9, s15
	s_lshl_b64 s[12:13], s[2:3], 2
	s_add_u32 s12, s8, s12
	s_addc_u32 s13, s9, s13
	s_load_dword s5, s[14:15], 0x0
	s_load_dword s16, s[12:13], 0x0
	s_waitcnt lgkmcnt(0)
	s_sub_i32 s5, s5, s16
	s_cmp_eq_u32 s5, 1
	s_cselect_b64 s[12:13], -1, 0
	s_andn2_b64 vcc, exec, s[6:7]
	s_cbranch_vccnz .LBB735_3
.LBB735_2:
	s_mov_b32 s3, 0
	s_mov_b64 s[12:13], -1
.LBB735_3:
	s_andn2_b64 vcc, exec, s[12:13]
	s_cbranch_vccnz .LBB735_21
; %bb.4:
	s_load_dwordx2 s[6:7], s[0:1], 0x28
	s_lshl_b64 s[12:13], s[2:3], 2
	s_waitcnt lgkmcnt(0)
	s_add_u32 s6, s6, s12
	s_addc_u32 s7, s7, s13
	s_load_dword s33, s[6:7], 0x0
	s_lshl_b32 s18, s26, 8
	s_waitcnt lgkmcnt(0)
	s_cmp_ge_i32 s18, s33
	s_cbranch_scc1 .LBB735_21
; %bb.5:
	s_load_dwordx2 s[6:7], s[0:1], 0x20
	s_load_dword s5, s[0:1], 0x38
	s_add_i32 s14, s33, 31
	s_ashr_i32 s15, s14, 31
	v_and_b32_e32 v1, 0xcf, v0
	s_lshr_b32 s15, s15, 27
	v_add_u32_e32 v1, s18, v1
	s_add_i32 s14, s14, s15
	v_ashrrev_i32_e32 v2, 31, v1
	s_ashr_i32 s19, s14, 5
	v_lshrrev_b32_e32 v4, 27, v2
	s_add_i32 s19, s19, -1
	s_waitcnt lgkmcnt(0)
	s_mul_i32 s14, s2, s5
	s_mov_b32 s15, 0
	v_add_u32_e32 v2, v1, v4
	s_lshl_b64 s[14:15], s[14:15], 2
	v_ashrrev_i32_e32 v2, 5, v2
	v_mov_b32_e32 v5, s19
	v_cmp_gt_i32_e32 vcc, s33, v1
	s_add_u32 s6, s6, s14
	s_addc_u32 s7, s7, s15
	v_cndmask_b32_e32 v2, v5, v2, vcc
	v_ashrrev_i32_e32 v3, 31, v2
	v_lshl_add_u64 v[6:7], v[2:3], 2, s[6:7]
	v_or_b32_e32 v2, 16, v1
	v_add_u32_e32 v3, v2, v4
	v_ashrrev_i32_e32 v3, 5, v3
	v_cmp_gt_i32_e32 vcc, s33, v2
	s_nop 1
	v_cndmask_b32_e32 v2, v5, v3, vcc
	v_ashrrev_i32_e32 v3, 31, v2
	v_lshl_add_u64 v[8:9], v[2:3], 2, s[6:7]
	v_or_b32_e32 v2, 32, v1
	v_add_u32_e32 v3, v2, v4
	v_ashrrev_i32_e32 v3, 5, v3
	v_cmp_gt_i32_e32 vcc, s33, v2
	v_or_b32_e32 v1, 48, v1
	s_nop 0
	v_cndmask_b32_e32 v2, v5, v3, vcc
	v_ashrrev_i32_e32 v3, 31, v2
	v_lshl_add_u64 v[10:11], v[2:3], 2, s[6:7]
	v_add_u32_e32 v2, v1, v4
	v_ashrrev_i32_e32 v2, 5, v2
	v_cmp_gt_i32_e32 vcc, s33, v1
	s_nop 1
	v_cndmask_b32_e32 v2, v5, v2, vcc
	v_ashrrev_i32_e32 v3, 31, v2
	v_lshl_add_u64 v[12:13], v[2:3], 2, s[6:7]
	global_load_dword v5, v[6:7], off
	global_load_dword v4, v[8:9], off
	;; [unrolled: 1-line block ×4, first 2 shown]
	s_andn2_b64 vcc, exec, s[10:11]
	s_cbranch_vccnz .LBB735_8
; %bb.6:
	s_add_u32 s8, s8, s12
	s_addc_u32 s9, s9, s13
	s_load_dword s5, s[8:9], 0x0
	s_branch .LBB735_9
.LBB735_7:
	s_mov_b64 s[12:13], 0
	s_branch .LBB735_2
.LBB735_8:
	s_mov_b32 s5, s2
.LBB735_9:
	s_load_dwordx2 s[14:15], s[0:1], 0x8
	s_load_dwordx4 s[8:11], s[0:1], 0x48
	v_and_b32_e32 v1, 15, v0
	s_waitcnt lgkmcnt(0)
	s_movk_i32 s11, 0x7f
	v_lshlrev_b32_e32 v82, 3, v1
	v_cmp_lt_u32_e32 vcc, s11, v0
	s_and_saveexec_b64 s[12:13], vcc
	s_xor_b64 s[12:13], exec, s[12:13]
; %bb.10:
	v_mov_b32_e32 v83, 0
; %bb.11:
	s_or_saveexec_b64 s[16:17], s[12:13]
	s_load_dwordx2 s[12:13], s[0:1], 0x10
	v_lshrrev_b32_e32 v87, 6, v0
	s_lshl_b32 s27, s4, 3
	v_bfe_u32 v86, v0, 4, 2
	s_xor_b64 exec, exec, s[16:17]
	s_cbranch_execz .LBB735_13
; %bb.12:
	s_load_dwordx2 s[20:21], s[0:1], 0x0
	s_ashr_i32 s11, s8, 31
	s_mul_hi_u32 s22, s5, s8
	s_mul_i32 s11, s5, s11
	s_add_i32 s23, s22, s11
	s_mul_i32 s22, s5, s8
	v_lshl_or_b32 v10, v87, 2, v86
	s_lshl_b64 s[22:23], s[22:23], 1
	s_waitcnt lgkmcnt(0)
	s_add_u32 s20, s20, s22
	v_add_lshl_u32 v6, v10, s27, 7
	s_addc_u32 s21, s21, s23
	v_ashrrev_i32_e32 v7, 31, v6
	v_mov_b32_e32 v83, 0
	v_lshl_add_u64 v[6:7], v[6:7], 1, s[20:21]
	v_lshlrev_b32_e32 v8, 1, v82
	v_mov_b32_e32 v9, v83
	v_lshl_add_u64 v[6:7], v[6:7], 0, v[8:9]
	global_load_dwordx4 v[6:9], v[6:7], off
	v_and_b32_e32 v11, 3, v0
	v_lshlrev_b32_e32 v12, 9, v1
	v_lshlrev_b32_e32 v10, 5, v10
	;; [unrolled: 1-line block ×3, first 2 shown]
	v_and_b32_e32 v12, 0x1800, v12
	v_or3_b32 v10, v12, v11, v10
	s_waitcnt vmcnt(0)
	ds_write_b128 v10, v[6:9]
.LBB735_13:
	s_or_b64 exec, exec, s[16:17]
	s_mul_i32 s4, s4, s10
	s_mov_b32 s5, 0
	s_lshl_b64 s[4:5], s[4:5], 1
	s_add_u32 s10, s14, s4
	s_addc_u32 s11, s15, s5
	s_waitcnt vmcnt(3)
	v_mad_i64_i32 v[6:7], s[14:15], v5, s9, 0
	v_lshl_add_u64 v[6:7], v[6:7], 1, s[10:11]
	v_lshlrev_b64 v[8:9], 1, v[82:83]
	v_lshlrev_b32_e32 v84, 9, v86
	v_lshl_add_u64 v[6:7], v[6:7], 0, v[8:9]
	v_mov_b32_e32 v85, 0
	v_lshl_add_u64 v[10:11], v[6:7], 0, v[84:85]
	v_or_b32_e32 v14, 0x1000, v84
	v_mov_b32_e32 v15, v85
	v_or_b32_e32 v16, 0x1800, v84
	v_mov_b32_e32 v17, v85
	s_waitcnt lgkmcnt(0)
	s_barrier
	global_load_dwordx4 v[66:69], v[10:11], off
	global_load_dwordx4 v[62:65], v[10:11], off offset:2048
	v_lshl_add_u64 v[10:11], v[6:7], 0, v[14:15]
	v_lshl_add_u64 v[6:7], v[6:7], 0, v[16:17]
	global_load_dwordx4 v[78:81], v[10:11], off
	global_load_dwordx4 v[74:77], v[6:7], off
	s_waitcnt vmcnt(6)
	v_mad_i64_i32 v[4:5], s[14:15], v4, s9, 0
	v_mov_b32_e32 v6, 0x100
	v_lshl_add_u64 v[4:5], v[4:5], 1, s[10:11]
	v_lshl_or_b32 v6, v1, 4, v6
	v_mov_b32_e32 v7, v85
	v_lshl_add_u64 v[4:5], v[4:5], 0, v[6:7]
	v_lshl_add_u64 v[10:11], v[4:5], 0, v[84:85]
	global_load_dwordx4 v[70:73], v[10:11], off
	global_load_dwordx4 v[58:61], v[10:11], off offset:2048
	v_lshl_add_u64 v[10:11], v[4:5], 0, v[14:15]
	v_lshl_add_u64 v[4:5], v[4:5], 0, v[16:17]
	global_load_dwordx4 v[54:57], v[10:11], off
	global_load_dwordx4 v[30:33], v[4:5], off
	s_waitcnt vmcnt(9)
	v_mad_i64_i32 v[4:5], s[14:15], v3, s9, 0
	v_lshl_add_u64 v[4:5], v[4:5], 1, s[10:11]
	s_waitcnt vmcnt(8)
	v_mad_i64_i32 v[2:3], s[14:15], v2, s9, 0
	v_lshl_add_u64 v[4:5], v[4:5], 0, v[8:9]
	v_lshl_add_u64 v[2:3], v[2:3], 1, s[10:11]
	;; [unrolled: 1-line block ×4, first 2 shown]
	global_load_dwordx4 v[26:29], v[8:9], off
	global_load_dwordx4 v[22:25], v[8:9], off offset:2048
	v_lshl_add_u64 v[8:9], v[4:5], 0, v[14:15]
	v_lshl_add_u64 v[4:5], v[4:5], 0, v[16:17]
	;; [unrolled: 1-line block ×4, first 2 shown]
	global_load_dwordx4 v[18:21], v[8:9], off
	global_load_dwordx4 v[10:13], v[4:5], off
	s_nop 0
	global_load_dwordx4 v[6:9], v[2:3], off
	s_nop 0
	global_load_dwordx4 v[2:5], v[2:3], off offset:2048
	v_lshl_add_u64 v[16:17], v[34:35], 0, v[16:17]
	global_load_dwordx4 v[42:45], v[14:15], off
	global_load_dwordx4 v[34:37], v[16:17], off
	v_and_b32_e32 v14, 7, v0
	v_lshl_or_b32 v38, v14, 5, v84
	ds_read_b128 v[14:17], v38
	ds_read_b128 v[50:53], v38 offset:2048
	ds_read_b128 v[46:49], v38 offset:4096
	;; [unrolled: 1-line block ×3, first 2 shown]
	v_and_b32_e32 v88, 63, v0
	v_cmp_gt_u32_e32 vcc, 8, v1
	v_mov_b32_e32 v89, 0
	s_and_saveexec_b64 s[10:11], vcc
	s_cbranch_execz .LBB735_15
; %bb.14:
	s_load_dwordx2 s[14:15], s[0:1], 0x40
	v_or_b32_e32 v90, s27, v1
	v_ashrrev_i32_e32 v91, 31, v90
	s_waitcnt lgkmcnt(0)
	v_lshl_add_u64 v[90:91], v[90:91], 2, s[14:15]
	global_load_dword v89, v[90:91], off
.LBB735_15:
	s_or_b64 exec, exec, s[10:11]
	s_waitcnt vmcnt(15) lgkmcnt(3)
	v_mfma_f32_16x16x16_bf16 v[90:93], v[66:67], v[14:15], 0
	s_ashr_i32 s8, s18, 31
	s_lshr_b32 s8, s8, 27
	s_add_u32 s4, s12, s4
	v_mfma_f32_16x16x16_bf16 v[66:69], v[68:69], v[16:17], v[90:93]
	s_addc_u32 s5, s13, s5
	s_mov_b32 s40, 0xff7fffff
	s_waitcnt vmcnt(14) lgkmcnt(2)
	v_mfma_f32_16x16x16_bf16 v[66:69], v[62:63], v[50:51], v[66:69]
	v_lshl_or_b32 v90, v87, 4, v1
	v_mfma_f32_16x16x16_bf16 v[62:65], v[64:65], v[52:53], v[66:69]
	s_waitcnt vmcnt(13) lgkmcnt(1)
	v_mfma_f32_16x16x16_bf16 v[62:65], v[78:79], v[46:47], v[62:65]
	v_mfma_f32_16x16x16_bf16 v[62:65], v[80:81], v[48:49], v[62:65]
	s_waitcnt vmcnt(12) lgkmcnt(0)
	v_mfma_f32_16x16x16_bf16 v[62:65], v[74:75], v[38:39], v[62:65]
	v_and_or_b32 v74, v0, 48, s18
	v_add_u32_e32 v66, s8, v74
	v_ashrrev_i32_e32 v75, 5, v66
	s_waitcnt vmcnt(11)
	v_mfma_f32_16x16x16_bf16 v[66:69], v[70:71], v[14:15], 0
	v_cmp_gt_i32_e32 vcc, s33, v74
	v_mfma_f32_16x16x16_bf16 v[66:69], v[72:73], v[16:17], v[66:69]
	v_or_b32_e32 v72, 64, v74
	v_add_u32_e32 v73, s8, v72
	s_waitcnt vmcnt(10)
	v_mfma_f32_16x16x16_bf16 v[66:69], v[58:59], v[50:51], v[66:69]
	v_ashrrev_i32_e32 v58, 5, v73
	v_mfma_f32_16x16x16_bf16 v[62:65], v[76:77], v[40:41], v[62:65]
	v_mov_b32_e32 v76, s19
	v_cndmask_b32_e32 v70, v76, v75, vcc
	v_cmp_gt_i32_e32 vcc, s33, v72
	v_ashrrev_i32_e32 v71, 31, v70
	v_lshl_add_u64 v[70:71], v[70:71], 2, s[6:7]
	v_cndmask_b32_e32 v72, v76, v58, vcc
	v_mfma_f32_16x16x16_bf16 v[58:61], v[60:61], v[52:53], v[66:69]
	v_ashrrev_i32_e32 v73, 31, v72
	s_waitcnt vmcnt(9)
	v_mfma_f32_16x16x16_bf16 v[58:61], v[54:55], v[46:47], v[58:61]
	v_lshl_add_u64 v[66:67], v[72:73], 2, s[6:7]
	global_load_dword v68, v[70:71], off
	s_nop 0
	global_load_dword v66, v[66:67], off
	v_or_b32_e32 v67, 0x80, v74
	v_add_u32_e32 v69, s8, v67
	v_mfma_f32_16x16x16_bf16 v[54:57], v[56:57], v[48:49], v[58:61]
	v_cmp_gt_i32_e32 vcc, s33, v67
	s_nop 1
	v_ashrrev_i32_e32 v58, 5, v69
	v_cndmask_b32_e32 v58, v76, v58, vcc
	v_ashrrev_i32_e32 v59, 31, v58
	s_waitcnt vmcnt(10)
	v_mfma_f32_16x16x16_bf16 v[54:57], v[30:31], v[38:39], v[54:57]
	v_lshl_add_u64 v[30:31], v[58:59], 2, s[6:7]
	global_load_dword v70, v[30:31], off
	v_mfma_f32_16x16x16_bf16 v[58:61], v[32:33], v[40:41], v[54:57]
	s_nop 3
	v_or_b32_e32 v54, 0xc0, v74
	v_add_u32_e32 v30, s8, v54
	v_ashrrev_i32_e32 v55, 5, v30
	v_cmp_gt_i32_e32 vcc, s33, v54
	s_waitcnt vmcnt(10)
	v_mfma_f32_16x16x16_bf16 v[30:33], v[26:27], v[14:15], 0
	v_cndmask_b32_e32 v26, v76, v55, vcc
	v_ashrrev_i32_e32 v27, 31, v26
	v_lshl_add_u64 v[54:55], v[26:27], 2, s[6:7]
	global_load_dword v71, v[54:55], off
	v_mfma_f32_16x16x16_bf16 v[26:29], v[28:29], v[16:17], v[30:33]
	s_load_dword s6, s[0:1], 0x1c
	s_waitcnt vmcnt(10)
	v_mfma_f32_16x16x16_bf16 v[26:29], v[22:23], v[50:51], v[26:29]
	v_and_b32_e32 v30, 16, v0
	v_lshlrev_b32_e32 v84, 1, v30
	v_lshl_add_u64 v[74:75], s[4:5], 0, v[84:85]
	v_mfma_f32_16x16x16_bf16 v[22:25], v[24:25], v[52:53], v[26:29]
	v_lshlrev_b32_e32 v84, 6, v90
	v_lshl_add_u64 v[76:77], v[74:75], 0, v[84:85]
	v_or_b32_e32 v84, 0x1000, v84
	s_waitcnt vmcnt(9)
	v_mfma_f32_16x16x16_bf16 v[22:25], v[18:19], v[46:47], v[22:25]
	v_lshl_add_u64 v[80:81], v[74:75], 0, v[84:85]
	s_waitcnt lgkmcnt(0)
	v_pk_mul_f32 v[74:75], s[6:7], v[60:61] op_sel_hi:[0,1]
	v_mfma_f32_16x16x16_bf16 v[18:21], v[20:21], v[48:49], v[22:25]
	s_waitcnt vmcnt(8)
	v_mfma_f32_16x16x16_bf16 v[18:21], v[10:11], v[38:39], v[18:21]
	s_waitcnt vmcnt(3)
	v_mad_i64_i32 v[22:23], s[4:5], v68, s9, 0
	s_waitcnt vmcnt(2)
	v_mad_i64_i32 v[10:11], s[4:5], v66, s9, 0
	v_lshlrev_b64 v[78:79], 1, v[22:23]
	v_lshlrev_b64 v[54:55], 1, v[10:11]
	v_lshl_add_u64 v[22:23], v[76:77], 0, v[78:79]
	v_lshl_add_u64 v[10:11], v[76:77], 0, v[54:55]
	global_load_dwordx4 v[30:33], v[22:23], off
	global_load_dwordx4 v[26:29], v[22:23], off offset:16
	v_mfma_f32_16x16x16_bf16 v[66:69], v[12:13], v[40:41], v[18:21]
	global_load_dwordx4 v[22:25], v[10:11], off
	s_nop 1
	global_load_dwordx4 v[18:21], v[10:11], off offset:16
	v_mfma_f32_16x16x16_bf16 v[10:13], v[6:7], v[14:15], 0
	s_waitcnt vmcnt(5)
	v_mad_i64_i32 v[6:7], s[4:5], v70, s9, 0
	v_lshlrev_b64 v[56:57], 1, v[6:7]
	v_mfma_f32_16x16x16_bf16 v[6:9], v[8:9], v[16:17], v[10:13]
	v_mfma_f32_16x16x16_bf16 v[6:9], v[2:3], v[50:51], v[6:9]
	s_nop 1
	v_lshl_add_u64 v[10:11], v[76:77], 0, v[56:57]
	global_load_dwordx4 v[14:17], v[10:11], off
	s_nop 0
	global_load_dwordx4 v[10:13], v[10:11], off offset:16
	s_waitcnt vmcnt(6)
	v_mad_i64_i32 v[2:3], s[4:5], v71, s9, 0
	v_mfma_f32_16x16x16_bf16 v[70:73], v[4:5], v[52:53], v[6:9]
	v_pk_mul_f32 v[52:53], s[6:7], v[62:63] op_sel_hi:[0,1]
	v_lshlrev_b64 v[50:51], 1, v[2:3]
	v_lshl_add_u64 v[2:3], v[76:77], 0, v[50:51]
	v_mfma_f32_16x16x16_bf16 v[70:73], v[42:43], v[46:47], v[70:73]
	v_lshl_add_u64 v[42:43], v[80:81], 0, v[78:79]
	v_pk_mul_f32 v[78:79], s[6:7], v[64:65] op_sel_hi:[0,1]
	v_pk_mul_f32 v[76:77], s[6:7], v[58:59] op_sel_hi:[0,1]
	v_mfma_f32_16x16x16_bf16 v[44:47], v[44:45], v[48:49], v[70:73]
	v_lshl_add_u64 v[50:51], v[80:81], 0, v[50:51]
	global_load_dwordx4 v[6:9], v[2:3], off
	s_nop 0
	global_load_dwordx4 v[2:5], v[2:3], off offset:16
	v_pk_mul_f32 v[70:71], s[6:7], v[68:69] op_sel_hi:[0,1]
	v_mfma_f32_16x16x16_bf16 v[44:47], v[34:35], v[38:39], v[44:47]
	v_pk_mul_f32 v[72:73], s[6:7], v[66:67] op_sel_hi:[0,1]
	v_mfma_f32_16x16x16_bf16 v[34:37], v[36:37], v[40:41], v[44:47]
	s_nop 6
	v_pk_mul_f32 v[68:69], s[6:7], v[34:35] op_sel_hi:[0,1]
	v_and_b32_e32 v34, 0xc0, v0
	v_add_u32_e32 v34, s18, v34
	v_lshl_or_b32 v34, v86, 2, v34
	v_or_b32_e32 v35, 1, v34
	v_pk_mul_f32 v[66:67], s[6:7], v[36:37] op_sel_hi:[0,1]
	v_subrev_u32_e32 v36, s33, v35
	v_add_u32_e32 v38, 1, v36
	v_add_u32_e32 v39, 2, v36
	v_cvt_f32_i32_e32 v37, v36
	v_cvt_f32_i32_e32 v38, v38
	;; [unrolled: 1-line block ×3, first 2 shown]
	v_add_u32_e32 v40, 3, v36
	v_fma_f32 v52, v89, v37, v52
	v_fmac_f32_e32 v53, v89, v38
	v_fma_f32 v78, v89, v39, v78
	v_add_u32_e32 v37, 16, v36
	v_add_u32_e32 v38, 17, v36
	;; [unrolled: 1-line block ×3, first 2 shown]
	v_cvt_f32_i32_e32 v40, v40
	v_cvt_f32_i32_e32 v37, v37
	;; [unrolled: 1-line block ×4, first 2 shown]
	v_fmac_f32_e32 v79, v89, v40
	v_add_u32_e32 v40, 19, v36
	v_fma_f32 v76, v89, v37, v76
	v_fmac_f32_e32 v77, v89, v38
	v_fma_f32 v74, v89, v39, v74
	v_add_u32_e32 v37, 32, v36
	v_add_u32_e32 v38, 33, v36
	;; [unrolled: 1-line block ×3, first 2 shown]
	v_cvt_f32_i32_e32 v40, v40
	v_cvt_f32_i32_e32 v37, v37
	;; [unrolled: 1-line block ×4, first 2 shown]
	v_fmac_f32_e32 v75, v89, v40
	v_add_u32_e32 v40, 35, v36
	v_fma_f32 v72, v89, v37, v72
	v_fmac_f32_e32 v73, v89, v38
	v_fma_f32 v70, v89, v39, v70
	v_add_u32_e32 v37, 48, v36
	v_add_u32_e32 v38, 49, v36
	;; [unrolled: 1-line block ×4, first 2 shown]
	v_cvt_f32_i32_e32 v36, v36
	v_cvt_f32_i32_e32 v37, v37
	v_cvt_f32_i32_e32 v38, v38
	v_cmp_gt_i32_e64 s[28:29], s33, v34
	v_fmac_f32_e32 v67, v89, v36
	v_mov_b32_e32 v36, 0xff7fffff
	v_cmp_gt_i32_e64 s[30:31], s33, v35
	v_fma_f32 v68, v89, v37, v68
	v_cndmask_b32_e64 v37, v36, v52, s[28:29]
	v_cndmask_b32_e64 v35, v36, v53, s[30:31]
	v_fmac_f32_e32 v69, v89, v38
	v_max3_f32 v35, v37, s40, v35
	v_or_b32_e32 v37, 2, v34
	v_or_b32_e32 v38, 3, v34
	v_cmp_gt_i32_e64 s[34:35], s33, v37
	v_cmp_gt_i32_e64 s[36:37], s33, v38
	v_cvt_f32_i32_e32 v40, v40
	v_cndmask_b32_e64 v37, v36, v78, s[34:35]
	v_cndmask_b32_e64 v38, v36, v79, s[36:37]
	v_max3_f32 v35, v35, v37, v38
	v_or_b32_e32 v37, 16, v34
	v_or_b32_e32 v38, 17, v34
	v_cmp_gt_i32_e64 s[22:23], s33, v37
	v_cmp_gt_i32_e64 s[24:25], s33, v38
	v_fmac_f32_e32 v71, v89, v40
	v_cndmask_b32_e64 v37, v36, v76, s[22:23]
	v_cndmask_b32_e64 v38, v36, v77, s[24:25]
	v_max3_f32 v35, v35, v37, v38
	v_or_b32_e32 v37, 18, v34
	v_or_b32_e32 v38, 19, v34
	v_cmp_gt_i32_e64 s[18:19], s33, v37
	v_cmp_gt_i32_e64 s[20:21], s33, v38
	v_cvt_f32_i32_e32 v39, v39
	v_cndmask_b32_e64 v37, v36, v74, s[18:19]
	v_cndmask_b32_e64 v38, v36, v75, s[20:21]
	v_max3_f32 v35, v35, v37, v38
	v_or_b32_e32 v37, 32, v34
	v_or_b32_e32 v38, 33, v34
	v_cmp_gt_i32_e64 s[14:15], s33, v37
	v_cmp_gt_i32_e64 s[16:17], s33, v38
	v_fma_f32 v66, v89, v39, v66
	v_cndmask_b32_e64 v37, v36, v72, s[14:15]
	v_cndmask_b32_e64 v38, v36, v73, s[16:17]
	v_max3_f32 v35, v35, v37, v38
	v_or_b32_e32 v37, 34, v34
	v_or_b32_e32 v38, 35, v34
	v_cmp_gt_i32_e64 s[10:11], s33, v37
	v_cmp_gt_i32_e64 s[12:13], s33, v38
	s_nop 0
	v_cndmask_b32_e64 v37, v36, v70, s[10:11]
	v_cndmask_b32_e64 v38, v36, v71, s[12:13]
	v_max3_f32 v35, v35, v37, v38
	v_or_b32_e32 v37, 48, v34
	v_or_b32_e32 v38, 49, v34
	v_cmp_gt_i32_e64 s[6:7], s33, v37
	v_cmp_gt_i32_e64 s[8:9], s33, v38
	s_nop 0
	v_cndmask_b32_e64 v37, v36, v68, s[6:7]
	v_cndmask_b32_e64 v38, v36, v69, s[8:9]
	v_max3_f32 v35, v35, v37, v38
	v_or_b32_e32 v37, 50, v34
	v_or_b32_e32 v34, 51, v34
	v_cmp_gt_i32_e32 vcc, s33, v37
	v_cmp_gt_i32_e64 s[4:5], s33, v34
	global_load_dwordx4 v[46:49], v[42:43], off
	global_load_dwordx4 v[38:41], v[42:43], off offset:16
	v_cndmask_b32_e32 v37, v36, v66, vcc
	v_cndmask_b32_e64 v34, v36, v67, s[4:5]
	v_max3_f32 v58, v35, v37, v34
	v_mbcnt_lo_u32_b32 v34, -1, 0
	v_mbcnt_hi_u32_b32 v59, -1, v34
	v_and_b32_e32 v34, 64, v59
	v_add_u32_e32 v60, 64, v34
	v_xor_b32_e32 v34, 32, v59
	v_cmp_lt_i32_e64 s[38:39], v34, v60
	s_nop 1
	v_cndmask_b32_e64 v34, v59, v34, s[38:39]
	v_lshlrev_b32_e32 v85, 2, v34
	ds_bpermute_b32 v61, v85, v58
	v_lshl_add_u64 v[34:35], v[80:81], 0, v[54:55]
	global_load_dwordx4 v[42:45], v[34:35], off
	s_nop 0
	global_load_dwordx4 v[34:37], v[34:35], off offset:16
	s_waitcnt lgkmcnt(0)
	v_max_f32_e32 v54, v61, v61
	v_max_f32_e32 v62, v58, v54
	v_xor_b32_e32 v54, 16, v59
	v_cmp_lt_i32_e64 s[38:39], v54, v60
	s_nop 1
	v_cndmask_b32_e64 v54, v59, v54, s[38:39]
	v_lshlrev_b32_e32 v89, 2, v54
	ds_bpermute_b32 v63, v89, v62
	v_lshl_add_u64 v[54:55], v[80:81], 0, v[56:57]
	global_load_dwordx4 v[58:61], v[54:55], off
	s_nop 0
	global_load_dwordx4 v[54:57], v[54:55], off offset:16
	s_waitcnt lgkmcnt(0)
	v_max_f32_e32 v63, v63, v63
	v_max_f32_e32 v84, v62, v63
	v_sub_f32_e32 v52, v52, v84
	v_mul_f32_e32 v52, 0x3fb8aa3b, v52
	v_exp_f32_e32 v80, v52
	v_sub_f32_e32 v52, v53, v84
	v_mul_f32_e32 v52, 0x3fb8aa3b, v52
	v_exp_f32_e32 v81, v52
	global_load_dwordx4 v[62:65], v[50:51], off
	s_nop 0
	global_load_dwordx4 v[50:53], v[50:51], off offset:16
	v_sub_f32_e32 v78, v78, v84
	v_mul_f32_e32 v78, 0x3fb8aa3b, v78
	v_sub_f32_e32 v79, v79, v84
	v_exp_f32_e32 v78, v78
	v_mul_f32_e32 v79, 0x3fb8aa3b, v79
	v_sub_f32_e32 v76, v76, v84
	v_exp_f32_e32 v79, v79
	v_mul_f32_e32 v76, 0x3fb8aa3b, v76
	v_sub_f32_e32 v77, v77, v84
	v_cndmask_b32_e64 v80, 0, v80, s[28:29]
	v_exp_f32_e32 v76, v76
	v_mul_f32_e32 v77, 0x3fb8aa3b, v77
	v_sub_f32_e32 v74, v74, v84
	v_add_f32_e32 v91, 0, v80
	v_cndmask_b32_e64 v81, 0, v81, s[30:31]
	v_exp_f32_e32 v77, v77
	v_mul_f32_e32 v74, 0x3fb8aa3b, v74
	v_sub_f32_e32 v75, v75, v84
	v_add_f32_e32 v91, v91, v81
	;; [unrolled: 5-line block ×10, first 2 shown]
	v_cndmask_b32_e64 v70, 0, v70, s[10:11]
	v_exp_f32_e32 v66, v66
	v_mul_f32_e32 v67, 0x3fb8aa3b, v67
	v_add_f32_e32 v91, v91, v70
	v_cndmask_b32_e64 v71, 0, v71, s[12:13]
	v_exp_f32_e32 v67, v67
	v_add_f32_e32 v91, v91, v71
	v_cndmask_b32_e64 v68, 0, v68, s[6:7]
	v_add_f32_e32 v91, v91, v68
	v_cndmask_b32_e64 v69, 0, v69, s[8:9]
	v_add_f32_e32 v91, v91, v69
	v_cndmask_b32_e32 v66, 0, v66, vcc
	v_add_f32_e32 v91, v91, v66
	v_cndmask_b32_e64 v67, 0, v67, s[4:5]
	v_add_f32_e32 v91, v91, v67
	ds_bpermute_b32 v85, v85, v91
	s_load_dword s7, s[0:1], 0x98
	v_cmp_gt_u32_e32 vcc, 16, v88
	s_waitcnt lgkmcnt(0)
	s_barrier
	v_add_f32_e32 v85, v91, v85
	ds_bpermute_b32 v89, v89, v85
	s_waitcnt lgkmcnt(0)
	s_and_saveexec_b64 s[4:5], vcc
	s_cbranch_execz .LBB735_17
; %bb.16:
	v_add_f32_e32 v85, v85, v89
	v_lshlrev_b32_e32 v88, 2, v90
	ds_write2st64_b32 v88, v84, v85 offset1:1
.LBB735_17:
	s_or_b64 exec, exec, s[4:5]
	v_lshlrev_b32_e32 v85, 2, v1
	s_load_dword s6, s[0:1], 0x94
	s_waitcnt lgkmcnt(0)
	s_barrier
	ds_read2_b32 v[88:89], v85 offset1:16
	ds_read2_b32 v[90:91], v85 offset0:32 offset1:48
	ds_read2_b32 v[92:93], v85 offset0:64 offset1:80
	v_mov_b32_e32 v87, v1
	s_movk_i32 s8, 0x7fff
	s_waitcnt lgkmcnt(2)
	v_max3_f32 v84, v88, s40, v89
	s_waitcnt lgkmcnt(1)
	v_max3_f32 v84, v84, v90, v91
	v_sub_f32_e32 v88, v88, v84
	v_mul_f32_e32 v88, 0x3fb8aa3b, v88
	v_exp_f32_e32 v94, v88
	v_sub_f32_e32 v88, v89, v84
	v_mul_f32_e32 v88, 0x3fb8aa3b, v88
	v_exp_f32_e32 v95, v88
	v_sub_f32_e32 v88, v90, v84
	v_mul_f32_e32 v88, 0x3fb8aa3b, v88
	v_exp_f32_e32 v90, v88
	ds_read2_b32 v[88:89], v85 offset0:96 offset1:112
	v_sub_f32_e32 v85, v91, v84
	v_mul_f32_e32 v85, 0x3fb8aa3b, v85
	v_exp_f32_e32 v91, v85
	s_waitcnt lgkmcnt(1)
	v_fma_f32 v85, v94, v92, 0
	v_fmac_f32_e32 v85, v95, v93
	s_waitcnt lgkmcnt(0)
	v_fmac_f32_e32 v85, v90, v88
	v_fmac_f32_e32 v85, v91, v89
	v_add_f32_e32 v88, 0x358637bd, v85
	v_div_scale_f32 v89, s[4:5], v88, v88, 1.0
	v_rcp_f32_e32 v92, v89
	s_mov_b32 s9, 0x7060302
	s_lshl_b32 s7, s7, 3
	v_fma_f32 v93, -v89, v92, 1.0
	v_fmac_f32_e32 v92, v93, v92
	v_div_scale_f32 v93, vcc, 1.0, v88, 1.0
	v_mul_f32_e32 v86, v93, v92
	v_fma_f32 v1, -v89, v86, v93
	v_fmac_f32_e32 v86, v1, v92
	v_fma_f32 v1, -v89, v86, v93
	v_div_fmas_f32 v1, v1, v92, v86
	v_lshrrev_b32_e32 v92, 6, v0
	v_cmp_eq_u32_e32 vcc, 1, v92
	v_div_fixup_f32 v1, v1, v88, 1.0
	v_mov_b32_e32 v89, v87
	v_cndmask_b32_e32 v86, v94, v95, vcc
	v_cmp_eq_u32_e32 vcc, 2, v92
	v_bfe_u32 v87, v0, 4, 2
	s_barrier
	v_cndmask_b32_e32 v86, v86, v90, vcc
	v_cmp_eq_u32_e32 vcc, 3, v92
	s_nop 1
	v_cndmask_b32_e32 v86, v86, v91, vcc
	v_mul_f32_e32 v88, v86, v1
	v_pk_mul_f32 v[80:81], v[88:89], v[80:81] op_sel_hi:[0,1]
	v_bfe_u32 v1, v81, 16, 1
	v_bfe_u32 v86, v80, 16, 1
	v_pk_mul_f32 v[78:79], v[88:89], v[78:79] op_sel_hi:[0,1]
	v_add3_u32 v80, v80, v86, s8
	v_add3_u32 v1, v81, v1, s8
	v_perm_b32 v80, v1, v80, s9
	v_bfe_u32 v1, v79, 16, 1
	v_bfe_u32 v81, v78, 16, 1
	v_add3_u32 v78, v78, v81, s8
	v_add3_u32 v1, v79, v1, s8
	v_perm_b32 v81, v1, v78, s9
	v_lshlrev_b32_e32 v1, 3, v87
	v_lshlrev_b32_e32 v79, 5, v89
	;; [unrolled: 1-line block ×3, first 2 shown]
	v_pk_mul_f32 v[76:77], v[88:89], v[76:77] op_sel_hi:[0,1]
	v_or3_b32 v78, v78, v79, v1
	v_bfe_u32 v1, v77, 16, 1
	v_bfe_u32 v86, v76, 16, 1
	v_pk_mul_f32 v[74:75], v[88:89], v[74:75] op_sel_hi:[0,1]
	v_add3_u32 v76, v76, v86, s8
	v_add3_u32 v1, v77, v1, s8
	v_perm_b32 v76, v1, v76, s9
	v_bfe_u32 v1, v75, 16, 1
	v_bfe_u32 v77, v74, 16, 1
	v_add3_u32 v74, v74, v77, s8
	v_add3_u32 v1, v75, v1, s8
	v_pk_mul_f32 v[72:73], v[88:89], v[72:73] op_sel_hi:[0,1]
	v_perm_b32 v77, v1, v74, s9
	v_bfe_u32 v1, v73, 16, 1
	v_bfe_u32 v74, v72, 16, 1
	v_pk_mul_f32 v[70:71], v[88:89], v[70:71] op_sel_hi:[0,1]
	v_add3_u32 v72, v72, v74, s8
	v_add3_u32 v1, v73, v1, s8
	v_perm_b32 v72, v1, v72, s9
	v_bfe_u32 v1, v71, 16, 1
	v_bfe_u32 v73, v70, 16, 1
	v_add3_u32 v70, v70, v73, s8
	v_add3_u32 v1, v71, v1, s8
	v_pk_mul_f32 v[68:69], v[88:89], v[68:69] op_sel_hi:[0,1]
	v_perm_b32 v73, v1, v70, s9
	v_bfe_u32 v1, v69, 16, 1
	v_bfe_u32 v70, v68, 16, 1
	v_pk_mul_f32 v[66:67], v[88:89], v[66:67] op_sel_hi:[0,1]
	v_add3_u32 v68, v68, v70, s8
	v_add3_u32 v1, v69, v1, s8
	v_perm_b32 v68, v1, v68, s9
	v_bfe_u32 v1, v67, 16, 1
	v_bfe_u32 v69, v66, 16, 1
	v_add3_u32 v66, v66, v69, s8
	v_add3_u32 v1, v67, v1, s8
	v_perm_b32 v69, v1, v66, s9
	v_cmp_gt_u32_e32 vcc, 8, v0
	ds_write2st64_b64 v78, v[80:81], v[76:77] offset1:1
	ds_write2st64_b64 v78, v[72:73], v[68:69] offset0:2 offset1:3
	s_and_saveexec_b64 s[4:5], vcc
	s_cbranch_execz .LBB735_19
; %bb.18:
	v_or_b32_e32 v66, s27, v0
	v_mov_b32_e32 v67, 0
	v_mov_b32_e32 v1, s7
	v_mad_u64_u32 v[68:69], s[10:11], s2, v1, v[66:67]
	v_mov_b32_e32 v66, s26
	s_load_dwordx4 s[12:15], s[0:1], 0x58
	s_mul_i32 s3, s3, s7
	v_mad_u64_u32 v[66:67], s[10:11], v68, s6, v[66:67]
	v_add_u32_e32 v1, s3, v69
	v_mov_b32_e32 v68, v67
	v_mad_u64_u32 v[68:69], s[10:11], v1, s6, v[68:69]
	v_mov_b32_e32 v67, v68
	v_lshlrev_b64 v[66:67], 2, v[66:67]
	s_waitcnt lgkmcnt(0)
	v_lshl_add_u64 v[68:69], s[14:15], 0, v[66:67]
	v_lshl_add_u64 v[66:67], s[12:13], 0, v[66:67]
	global_store_dword v[68:69], v84, off
	global_store_dword v[66:67], v85, off
.LBB735_19:
	s_or_b64 exec, exec, s[4:5]
	v_lshl_or_b32 v1, v87, 9, v79
	s_waitcnt lgkmcnt(0)
	s_barrier
	ds_read_b128 v[70:73], v1
	ds_read_b128 v[66:69], v1 offset:16
	s_waitcnt vmcnt(15) lgkmcnt(1)
	v_mfma_f32_16x16x16_bf16 v[74:77], v[30:31], v[70:71], 0
	s_mov_b32 s3, 0
	v_cmp_gt_u32_e32 vcc, 64, v0
	v_mfma_f32_16x16x16_bf16 v[30:33], v[32:33], v[72:73], v[74:77]
	s_waitcnt vmcnt(14) lgkmcnt(0)
	v_mfma_f32_16x16x16_bf16 v[30:33], v[26:27], v[66:67], v[30:33]
	v_mfma_f32_16x16x16_bf16 v[26:29], v[28:29], v[68:69], v[30:33]
	s_nop 5
	ds_read_b128 v[30:33], v1 offset:2048
	ds_read_b128 v[74:77], v1 offset:2064
	s_waitcnt vmcnt(13) lgkmcnt(1)
	v_mfma_f32_16x16x16_bf16 v[26:29], v[22:23], v[30:31], v[26:29]
	v_mfma_f32_16x16x16_bf16 v[22:25], v[24:25], v[32:33], v[26:29]
	s_waitcnt vmcnt(12) lgkmcnt(0)
	v_mfma_f32_16x16x16_bf16 v[22:25], v[18:19], v[74:75], v[22:25]
	v_mfma_f32_16x16x16_bf16 v[18:21], v[20:21], v[76:77], v[22:25]
	s_nop 5
	ds_read_b128 v[22:25], v1 offset:4096
	ds_read_b128 v[26:29], v1 offset:4112
	s_waitcnt vmcnt(11) lgkmcnt(1)
	v_mfma_f32_16x16x16_bf16 v[18:21], v[14:15], v[22:23], v[18:21]
	v_mfma_f32_16x16x16_bf16 v[14:17], v[16:17], v[24:25], v[18:21]
	s_waitcnt vmcnt(10) lgkmcnt(0)
	v_mfma_f32_16x16x16_bf16 v[14:17], v[10:11], v[26:27], v[14:17]
	v_mfma_f32_16x16x16_bf16 v[10:13], v[12:13], v[28:29], v[14:17]
	s_nop 5
	ds_read_b128 v[14:17], v1 offset:6144
	ds_read_b128 v[18:21], v1 offset:6160
	s_waitcnt lgkmcnt(0)
	s_barrier
	s_waitcnt vmcnt(9)
	v_mfma_f32_16x16x16_bf16 v[10:13], v[6:7], v[14:15], v[10:13]
	v_mfma_f32_16x16x16_bf16 v[6:9], v[8:9], v[16:17], v[10:13]
	s_waitcnt vmcnt(8)
	v_mfma_f32_16x16x16_bf16 v[6:9], v[2:3], v[18:19], v[6:9]
	v_mfma_f32_16x16x16_bf16 v[2:5], v[4:5], v[20:21], v[6:9]
	;; [unrolled: 3-line block ×3, first 2 shown]
	s_nop 3
	v_bfe_u32 v1, v3, 16, 1
	v_bfe_u32 v10, v2, 16, 1
	v_add3_u32 v2, v2, v10, s8
	s_waitcnt vmcnt(6)
	v_mfma_f32_16x16x16_bf16 v[6:9], v[38:39], v[66:67], v[6:9]
	v_add3_u32 v1, v3, v1, s8
	v_perm_b32 v10, v1, v2, s9
	v_bfe_u32 v1, v5, 16, 1
	v_mfma_f32_16x16x16_bf16 v[6:9], v[40:41], v[68:69], v[6:9]
	v_bfe_u32 v2, v4, 16, 1
	v_add3_u32 v2, v4, v2, s8
	v_add3_u32 v1, v5, v1, s8
	s_waitcnt vmcnt(5)
	v_mfma_f32_16x16x16_bf16 v[6:9], v[42:43], v[30:31], v[6:9]
	v_perm_b32 v11, v1, v2, s9
	v_mfma_f32_16x16x16_bf16 v[6:9], v[44:45], v[32:33], v[6:9]
	s_waitcnt vmcnt(4)
	v_mfma_f32_16x16x16_bf16 v[6:9], v[34:35], v[74:75], v[6:9]
	v_mfma_f32_16x16x16_bf16 v[6:9], v[36:37], v[76:77], v[6:9]
	s_waitcnt vmcnt(3)
	v_mfma_f32_16x16x16_bf16 v[6:9], v[58:59], v[22:23], v[6:9]
	;; [unrolled: 3-line block ×5, first 2 shown]
	v_mfma_f32_16x16x16_bf16 v[2:5], v[52:53], v[20:21], v[6:9]
	s_nop 6
	v_bfe_u32 v1, v3, 16, 1
	v_bfe_u32 v6, v2, 16, 1
	v_add3_u32 v2, v2, v6, s8
	v_add3_u32 v1, v3, v1, s8
	v_perm_b32 v2, v1, v2, s9
	v_bfe_u32 v1, v5, 16, 1
	v_bfe_u32 v3, v4, 16, 1
	v_add3_u32 v3, v4, v3, s8
	v_add3_u32 v1, v5, v1, s8
	v_perm_b32 v3, v1, v3, s9
	ds_write2st64_b64 v78, v[10:11], v[2:3] offset1:1
	s_waitcnt lgkmcnt(0)
	s_barrier
	s_and_saveexec_b64 s[4:5], vcc
	s_cbranch_execz .LBB735_21
; %bb.20:
	s_load_dwordx2 s[0:1], s[0:1], 0x68
	s_lshl_b32 s6, s6, 7
	s_mul_i32 s2, s7, s2
	s_mul_hi_u32 s5, s2, s6
	s_mul_i32 s4, s2, s6
	v_lshlrev_b32_e32 v3, 6, v89
	s_lshl_b64 s[4:5], s[4:5], 1
	v_lshlrev_b32_e32 v2, 4, v0
	v_lshl_or_b32 v0, v0, 10, v3
	s_waitcnt lgkmcnt(0)
	s_add_u32 s4, s0, s4
	v_lshlrev_b32_e32 v1, 5, v87
	v_and_b32_e32 v2, 16, v2
	v_and_b32_e32 v0, 0x1a00, v0
	s_addc_u32 s5, s1, s5
	s_lshl_b32 s2, s26, 7
	v_or3_b32 v4, v0, v1, v2
	s_lshl_b64 s[0:1], s[2:3], 1
	ds_read_b128 v[0:3], v4
	ds_read_b128 v[4:7], v4 offset:128
	s_add_u32 s0, s4, s0
	s_addc_u32 s1, s5, s1
	v_or_b32_e32 v12, s27, v87
	v_lshl_add_u64 v[8:9], v[82:83], 1, s[0:1]
	v_mad_u64_u32 v[10:11], s[0:1], v12, s6, 0
	v_lshl_add_u64 v[10:11], v[10:11], 1, v[8:9]
	s_waitcnt lgkmcnt(1)
	global_store_dwordx4 v[10:11], v[0:3], off
	s_nop 1
	v_or_b32_e32 v0, 4, v12
	v_mad_u64_u32 v[0:1], s[0:1], v0, s6, 0
	v_lshl_add_u64 v[0:1], v[0:1], 1, v[8:9]
	s_waitcnt lgkmcnt(0)
	global_store_dwordx4 v[0:1], v[4:7], off
.LBB735_21:
	s_endpgm
	.section	.rodata,"a",@progbits
	.p2align	6, 0x0
	.amdhsa_kernel _Z39paged_attention_ll4mi_QKV_mfma16_kernelI14__hip_bfloat16S0_LN4vllm18Fp8KVCacheDataTypeE0ES0_Li32ELi128ELi256ELb1ELi8EEvPKT_PKT0_S8_ifPKiSA_SA_iPKfiiiPfSD_PS3_PT2_iSC_SC_
		.amdhsa_group_segment_fixed_size 8192
		.amdhsa_private_segment_fixed_size 0
		.amdhsa_kernarg_size 400
		.amdhsa_user_sgpr_count 2
		.amdhsa_user_sgpr_dispatch_ptr 0
		.amdhsa_user_sgpr_queue_ptr 0
		.amdhsa_user_sgpr_kernarg_segment_ptr 1
		.amdhsa_user_sgpr_dispatch_id 0
		.amdhsa_user_sgpr_kernarg_preload_length 0
		.amdhsa_user_sgpr_kernarg_preload_offset 0
		.amdhsa_user_sgpr_private_segment_size 0
		.amdhsa_uses_dynamic_stack 0
		.amdhsa_enable_private_segment 0
		.amdhsa_system_sgpr_workgroup_id_x 1
		.amdhsa_system_sgpr_workgroup_id_y 1
		.amdhsa_system_sgpr_workgroup_id_z 1
		.amdhsa_system_sgpr_workgroup_info 0
		.amdhsa_system_vgpr_workitem_id 0
		.amdhsa_next_free_vgpr 96
		.amdhsa_next_free_sgpr 41
		.amdhsa_accum_offset 96
		.amdhsa_reserve_vcc 1
		.amdhsa_float_round_mode_32 0
		.amdhsa_float_round_mode_16_64 0
		.amdhsa_float_denorm_mode_32 3
		.amdhsa_float_denorm_mode_16_64 3
		.amdhsa_dx10_clamp 1
		.amdhsa_ieee_mode 1
		.amdhsa_fp16_overflow 0
		.amdhsa_tg_split 0
		.amdhsa_exception_fp_ieee_invalid_op 0
		.amdhsa_exception_fp_denorm_src 0
		.amdhsa_exception_fp_ieee_div_zero 0
		.amdhsa_exception_fp_ieee_overflow 0
		.amdhsa_exception_fp_ieee_underflow 0
		.amdhsa_exception_fp_ieee_inexact 0
		.amdhsa_exception_int_div_zero 0
	.end_amdhsa_kernel
	.section	.text._Z39paged_attention_ll4mi_QKV_mfma16_kernelI14__hip_bfloat16S0_LN4vllm18Fp8KVCacheDataTypeE0ES0_Li32ELi128ELi256ELb1ELi8EEvPKT_PKT0_S8_ifPKiSA_SA_iPKfiiiPfSD_PS3_PT2_iSC_SC_,"axG",@progbits,_Z39paged_attention_ll4mi_QKV_mfma16_kernelI14__hip_bfloat16S0_LN4vllm18Fp8KVCacheDataTypeE0ES0_Li32ELi128ELi256ELb1ELi8EEvPKT_PKT0_S8_ifPKiSA_SA_iPKfiiiPfSD_PS3_PT2_iSC_SC_,comdat
.Lfunc_end735:
	.size	_Z39paged_attention_ll4mi_QKV_mfma16_kernelI14__hip_bfloat16S0_LN4vllm18Fp8KVCacheDataTypeE0ES0_Li32ELi128ELi256ELb1ELi8EEvPKT_PKT0_S8_ifPKiSA_SA_iPKfiiiPfSD_PS3_PT2_iSC_SC_, .Lfunc_end735-_Z39paged_attention_ll4mi_QKV_mfma16_kernelI14__hip_bfloat16S0_LN4vllm18Fp8KVCacheDataTypeE0ES0_Li32ELi128ELi256ELb1ELi8EEvPKT_PKT0_S8_ifPKiSA_SA_iPKfiiiPfSD_PS3_PT2_iSC_SC_
                                        ; -- End function
	.section	.AMDGPU.csdata,"",@progbits
; Kernel info:
; codeLenInByte = 5132
; NumSgprs: 47
; NumVgprs: 96
; NumAgprs: 0
; TotalNumVgprs: 96
; ScratchSize: 0
; MemoryBound: 0
; FloatMode: 240
; IeeeMode: 1
; LDSByteSize: 8192 bytes/workgroup (compile time only)
; SGPRBlocks: 5
; VGPRBlocks: 11
; NumSGPRsForWavesPerEU: 47
; NumVGPRsForWavesPerEU: 96
; AccumOffset: 96
; Occupancy: 5
; WaveLimiterHint : 1
; COMPUTE_PGM_RSRC2:SCRATCH_EN: 0
; COMPUTE_PGM_RSRC2:USER_SGPR: 2
; COMPUTE_PGM_RSRC2:TRAP_HANDLER: 0
; COMPUTE_PGM_RSRC2:TGID_X_EN: 1
; COMPUTE_PGM_RSRC2:TGID_Y_EN: 1
; COMPUTE_PGM_RSRC2:TGID_Z_EN: 1
; COMPUTE_PGM_RSRC2:TIDIG_COMP_CNT: 0
; COMPUTE_PGM_RSRC3_GFX90A:ACCUM_OFFSET: 23
; COMPUTE_PGM_RSRC3_GFX90A:TG_SPLIT: 0
	.section	.text._Z39paged_attention_ll4mi_QKV_mfma16_kernelI14__hip_bfloat16S0_LN4vllm18Fp8KVCacheDataTypeE0ES0_Li32ELi128ELi256ELb1ELi9EEvPKT_PKT0_S8_ifPKiSA_SA_iPKfiiiPfSD_PS3_PT2_iSC_SC_,"axG",@progbits,_Z39paged_attention_ll4mi_QKV_mfma16_kernelI14__hip_bfloat16S0_LN4vllm18Fp8KVCacheDataTypeE0ES0_Li32ELi128ELi256ELb1ELi9EEvPKT_PKT0_S8_ifPKiSA_SA_iPKfiiiPfSD_PS3_PT2_iSC_SC_,comdat
	.protected	_Z39paged_attention_ll4mi_QKV_mfma16_kernelI14__hip_bfloat16S0_LN4vllm18Fp8KVCacheDataTypeE0ES0_Li32ELi128ELi256ELb1ELi9EEvPKT_PKT0_S8_ifPKiSA_SA_iPKfiiiPfSD_PS3_PT2_iSC_SC_ ; -- Begin function _Z39paged_attention_ll4mi_QKV_mfma16_kernelI14__hip_bfloat16S0_LN4vllm18Fp8KVCacheDataTypeE0ES0_Li32ELi128ELi256ELb1ELi9EEvPKT_PKT0_S8_ifPKiSA_SA_iPKfiiiPfSD_PS3_PT2_iSC_SC_
	.globl	_Z39paged_attention_ll4mi_QKV_mfma16_kernelI14__hip_bfloat16S0_LN4vllm18Fp8KVCacheDataTypeE0ES0_Li32ELi128ELi256ELb1ELi9EEvPKT_PKT0_S8_ifPKiSA_SA_iPKfiiiPfSD_PS3_PT2_iSC_SC_
	.p2align	8
	.type	_Z39paged_attention_ll4mi_QKV_mfma16_kernelI14__hip_bfloat16S0_LN4vllm18Fp8KVCacheDataTypeE0ES0_Li32ELi128ELi256ELb1ELi9EEvPKT_PKT0_S8_ifPKiSA_SA_iPKfiiiPfSD_PS3_PT2_iSC_SC_,@function
_Z39paged_attention_ll4mi_QKV_mfma16_kernelI14__hip_bfloat16S0_LN4vllm18Fp8KVCacheDataTypeE0ES0_Li32ELi128ELi256ELb1ELi9EEvPKT_PKT0_S8_ifPKiSA_SA_iPKfiiiPfSD_PS3_PT2_iSC_SC_: ; @_Z39paged_attention_ll4mi_QKV_mfma16_kernelI14__hip_bfloat16S0_LN4vllm18Fp8KVCacheDataTypeE0ES0_Li32ELi128ELi256ELb1ELi9EEvPKT_PKT0_S8_ifPKiSA_SA_iPKfiiiPfSD_PS3_PT2_iSC_SC_
; %bb.0:
	s_load_dwordx2 s[8:9], s[0:1], 0x30
	s_mov_b32 s26, s3
	s_mov_b64 s[6:7], 0
	s_waitcnt lgkmcnt(0)
	s_cmp_lg_u64 s[8:9], 0
	s_cselect_b64 s[10:11], -1, 0
	s_and_b64 vcc, exec, s[10:11]
	s_cbranch_vccz .LBB736_7
; %bb.1:
	s_add_i32 s12, s2, 1
	s_mov_b32 s13, 0
	s_lshl_b64 s[14:15], s[12:13], 2
	s_add_u32 s14, s8, s14
	s_mov_b32 s3, s13
	s_addc_u32 s15, s9, s15
	s_lshl_b64 s[12:13], s[2:3], 2
	s_add_u32 s12, s8, s12
	s_addc_u32 s13, s9, s13
	s_load_dword s5, s[14:15], 0x0
	s_load_dword s16, s[12:13], 0x0
	s_waitcnt lgkmcnt(0)
	s_sub_i32 s5, s5, s16
	s_cmp_eq_u32 s5, 1
	s_cselect_b64 s[12:13], -1, 0
	s_andn2_b64 vcc, exec, s[6:7]
	s_cbranch_vccnz .LBB736_3
.LBB736_2:
	s_mov_b32 s3, 0
	s_mov_b64 s[12:13], -1
.LBB736_3:
	s_andn2_b64 vcc, exec, s[12:13]
	s_cbranch_vccnz .LBB736_22
; %bb.4:
	s_load_dwordx2 s[6:7], s[0:1], 0x28
	s_lshl_b64 s[12:13], s[2:3], 2
	s_waitcnt lgkmcnt(0)
	s_add_u32 s6, s6, s12
	s_addc_u32 s7, s7, s13
	s_load_dword s27, s[6:7], 0x0
	s_lshl_b32 s18, s26, 8
	s_waitcnt lgkmcnt(0)
	s_cmp_ge_i32 s18, s27
	s_cbranch_scc1 .LBB736_22
; %bb.5:
	s_load_dwordx2 s[6:7], s[0:1], 0x20
	s_load_dword s5, s[0:1], 0x38
	s_add_i32 s14, s27, 31
	s_ashr_i32 s15, s14, 31
	v_and_b32_e32 v1, 0xcf, v0
	s_lshr_b32 s15, s15, 27
	v_add_u32_e32 v1, s18, v1
	s_add_i32 s14, s14, s15
	v_ashrrev_i32_e32 v2, 31, v1
	s_ashr_i32 s19, s14, 5
	v_lshrrev_b32_e32 v4, 27, v2
	s_add_i32 s19, s19, -1
	s_waitcnt lgkmcnt(0)
	s_mul_i32 s14, s2, s5
	s_mov_b32 s15, 0
	v_add_u32_e32 v2, v1, v4
	s_lshl_b64 s[14:15], s[14:15], 2
	v_ashrrev_i32_e32 v2, 5, v2
	v_mov_b32_e32 v5, s19
	v_cmp_gt_i32_e32 vcc, s27, v1
	s_add_u32 s6, s6, s14
	s_addc_u32 s7, s7, s15
	v_cndmask_b32_e32 v2, v5, v2, vcc
	v_ashrrev_i32_e32 v3, 31, v2
	v_lshl_add_u64 v[6:7], v[2:3], 2, s[6:7]
	v_or_b32_e32 v2, 16, v1
	v_add_u32_e32 v3, v2, v4
	v_ashrrev_i32_e32 v3, 5, v3
	v_cmp_gt_i32_e32 vcc, s27, v2
	s_nop 1
	v_cndmask_b32_e32 v2, v5, v3, vcc
	v_ashrrev_i32_e32 v3, 31, v2
	v_lshl_add_u64 v[8:9], v[2:3], 2, s[6:7]
	v_or_b32_e32 v2, 32, v1
	v_add_u32_e32 v3, v2, v4
	v_ashrrev_i32_e32 v3, 5, v3
	v_cmp_gt_i32_e32 vcc, s27, v2
	v_or_b32_e32 v1, 48, v1
	s_nop 0
	v_cndmask_b32_e32 v2, v5, v3, vcc
	v_ashrrev_i32_e32 v3, 31, v2
	v_lshl_add_u64 v[10:11], v[2:3], 2, s[6:7]
	v_add_u32_e32 v2, v1, v4
	v_ashrrev_i32_e32 v2, 5, v2
	v_cmp_gt_i32_e32 vcc, s27, v1
	s_nop 1
	v_cndmask_b32_e32 v2, v5, v2, vcc
	v_ashrrev_i32_e32 v3, 31, v2
	v_lshl_add_u64 v[12:13], v[2:3], 2, s[6:7]
	global_load_dword v5, v[6:7], off
	global_load_dword v4, v[8:9], off
	;; [unrolled: 1-line block ×4, first 2 shown]
	s_andn2_b64 vcc, exec, s[10:11]
	s_cbranch_vccnz .LBB736_8
; %bb.6:
	s_add_u32 s8, s8, s12
	s_addc_u32 s9, s9, s13
	s_load_dword s5, s[8:9], 0x0
	s_branch .LBB736_9
.LBB736_7:
	s_mov_b64 s[12:13], 0
	s_branch .LBB736_2
.LBB736_8:
	s_mov_b32 s5, s2
.LBB736_9:
	s_load_dwordx2 s[14:15], s[0:1], 0x8
	s_load_dwordx4 s[8:11], s[0:1], 0x48
	v_lshrrev_b32_e32 v88, 6, v0
	v_bfe_u32 v1, v0, 4, 2
	v_lshl_or_b32 v6, v88, 2, v1
	v_and_b32_e32 v84, 15, v0
	v_lshlrev_b32_e32 v82, 3, v84
	v_cmp_lt_u32_e32 vcc, 8, v6
	s_and_saveexec_b64 s[12:13], vcc
	s_xor_b64 s[12:13], exec, s[12:13]
; %bb.10:
	v_mov_b32_e32 v83, 0
                                        ; implicit-def: $vgpr6
; %bb.11:
	s_or_saveexec_b64 s[16:17], s[12:13]
	s_load_dwordx2 s[12:13], s[0:1], 0x10
	s_mul_i32 s40, s4, 9
	s_xor_b64 exec, exec, s[16:17]
	s_cbranch_execz .LBB736_13
; %bb.12:
	s_load_dwordx2 s[20:21], s[0:1], 0x0
	s_waitcnt lgkmcnt(0)
	s_ashr_i32 s11, s8, 31
	s_mul_hi_u32 s22, s5, s8
	s_mul_i32 s11, s5, s11
	s_add_i32 s23, s22, s11
	s_mul_i32 s22, s5, s8
	s_lshl_b64 s[22:23], s[22:23], 1
	s_add_u32 s20, s20, s22
	v_add_lshl_u32 v8, v6, s40, 7
	s_addc_u32 s21, s21, s23
	v_ashrrev_i32_e32 v9, 31, v8
	v_mov_b32_e32 v83, 0
	v_lshl_add_u64 v[8:9], v[8:9], 1, s[20:21]
	v_lshlrev_b32_e32 v10, 1, v82
	v_mov_b32_e32 v11, v83
	v_lshl_add_u64 v[8:9], v[8:9], 0, v[10:11]
	global_load_dwordx4 v[8:11], v[8:9], off
	v_and_b32_e32 v7, 3, v0
	v_lshlrev_b32_e32 v12, 9, v84
	v_lshlrev_b32_e32 v6, 5, v6
	v_lshlrev_b32_e32 v7, 9, v7
	v_and_b32_e32 v12, 0x1800, v12
	v_or3_b32 v6, v12, v7, v6
	s_waitcnt vmcnt(0)
	ds_write_b128 v6, v[8:11]
.LBB736_13:
	s_or_b64 exec, exec, s[16:17]
	s_waitcnt lgkmcnt(0)
	s_mul_i32 s4, s4, s10
	s_mov_b32 s5, 0
	s_lshl_b64 s[4:5], s[4:5], 1
	s_add_u32 s10, s14, s4
	s_addc_u32 s11, s15, s5
	s_waitcnt vmcnt(3)
	v_mad_i64_i32 v[6:7], s[14:15], v5, s9, 0
	v_lshl_add_u64 v[6:7], v[6:7], 1, s[10:11]
	v_lshlrev_b64 v[8:9], 1, v[82:83]
	v_lshlrev_b32_e32 v86, 9, v1
	v_lshl_add_u64 v[6:7], v[6:7], 0, v[8:9]
	v_mov_b32_e32 v87, 0
	v_lshl_add_u64 v[10:11], v[6:7], 0, v[86:87]
	v_or_b32_e32 v14, 0x1000, v86
	v_mov_b32_e32 v15, v87
	v_or_b32_e32 v16, 0x1800, v86
	v_mov_b32_e32 v17, v87
	s_barrier
	global_load_dwordx4 v[66:69], v[10:11], off
	global_load_dwordx4 v[62:65], v[10:11], off offset:2048
	v_lshl_add_u64 v[10:11], v[6:7], 0, v[14:15]
	v_lshl_add_u64 v[6:7], v[6:7], 0, v[16:17]
	global_load_dwordx4 v[78:81], v[10:11], off
	global_load_dwordx4 v[74:77], v[6:7], off
	s_waitcnt vmcnt(6)
	v_mad_i64_i32 v[4:5], s[14:15], v4, s9, 0
	v_mov_b32_e32 v6, 0x100
	v_lshl_add_u64 v[4:5], v[4:5], 1, s[10:11]
	v_lshl_or_b32 v6, v84, 4, v6
	v_mov_b32_e32 v7, v87
	v_lshl_add_u64 v[4:5], v[4:5], 0, v[6:7]
	v_lshl_add_u64 v[10:11], v[4:5], 0, v[86:87]
	global_load_dwordx4 v[70:73], v[10:11], off
	global_load_dwordx4 v[58:61], v[10:11], off offset:2048
	v_lshl_add_u64 v[10:11], v[4:5], 0, v[14:15]
	v_lshl_add_u64 v[4:5], v[4:5], 0, v[16:17]
	global_load_dwordx4 v[54:57], v[10:11], off
	global_load_dwordx4 v[30:33], v[4:5], off
	s_waitcnt vmcnt(9)
	v_mad_i64_i32 v[4:5], s[14:15], v3, s9, 0
	v_lshl_add_u64 v[4:5], v[4:5], 1, s[10:11]
	s_waitcnt vmcnt(8)
	v_mad_i64_i32 v[2:3], s[14:15], v2, s9, 0
	v_lshl_add_u64 v[4:5], v[4:5], 0, v[8:9]
	v_lshl_add_u64 v[2:3], v[2:3], 1, s[10:11]
	;; [unrolled: 1-line block ×4, first 2 shown]
	global_load_dwordx4 v[26:29], v[8:9], off
	global_load_dwordx4 v[22:25], v[8:9], off offset:2048
	v_lshl_add_u64 v[8:9], v[4:5], 0, v[14:15]
	v_lshl_add_u64 v[4:5], v[4:5], 0, v[16:17]
	;; [unrolled: 1-line block ×4, first 2 shown]
	global_load_dwordx4 v[18:21], v[8:9], off
	global_load_dwordx4 v[10:13], v[4:5], off
	s_nop 0
	global_load_dwordx4 v[6:9], v[2:3], off
	s_nop 0
	global_load_dwordx4 v[2:5], v[2:3], off offset:2048
	v_lshl_add_u64 v[16:17], v[34:35], 0, v[16:17]
	global_load_dwordx4 v[38:41], v[14:15], off
	global_load_dwordx4 v[34:37], v[16:17], off
	v_add_u32_e32 v14, -9, v84
	v_cmp_gt_u32_e32 vcc, 9, v84
	v_and_b32_e32 v85, 63, v0
	v_mov_b32_e32 v89, 0
	v_cndmask_b32_e32 v14, v14, v84, vcc
	v_lshl_add_u32 v42, v14, 5, v86
	ds_read_b128 v[14:17], v42
	ds_read_b128 v[50:53], v42 offset:2048
	ds_read_b128 v[46:49], v42 offset:4096
	;; [unrolled: 1-line block ×3, first 2 shown]
	s_and_saveexec_b64 s[10:11], vcc
	s_cbranch_execz .LBB736_15
; %bb.14:
	s_load_dwordx2 s[14:15], s[0:1], 0x40
	v_add_u32_e32 v90, s40, v84
	v_ashrrev_i32_e32 v91, 31, v90
	s_waitcnt lgkmcnt(0)
	v_lshl_add_u64 v[90:91], v[90:91], 2, s[14:15]
	global_load_dword v89, v[90:91], off
.LBB736_15:
	s_or_b64 exec, exec, s[10:11]
	s_waitcnt vmcnt(15) lgkmcnt(3)
	v_mfma_f32_16x16x16_bf16 v[90:93], v[66:67], v[14:15], 0
	s_ashr_i32 s8, s18, 31
	s_lshr_b32 s8, s8, 27
	s_add_u32 s4, s12, s4
	v_mfma_f32_16x16x16_bf16 v[66:69], v[68:69], v[16:17], v[90:93]
	s_addc_u32 s5, s13, s5
	s_mov_b32 s33, 0xff7fffff
	s_waitcnt vmcnt(14) lgkmcnt(2)
	v_mfma_f32_16x16x16_bf16 v[66:69], v[62:63], v[50:51], v[66:69]
	v_lshl_or_b32 v90, v88, 4, v84
	v_mfma_f32_16x16x16_bf16 v[62:65], v[64:65], v[52:53], v[66:69]
	s_waitcnt vmcnt(13) lgkmcnt(1)
	v_mfma_f32_16x16x16_bf16 v[62:65], v[78:79], v[46:47], v[62:65]
	v_mfma_f32_16x16x16_bf16 v[62:65], v[80:81], v[48:49], v[62:65]
	s_waitcnt vmcnt(12) lgkmcnt(0)
	v_mfma_f32_16x16x16_bf16 v[62:65], v[74:75], v[42:43], v[62:65]
	v_and_or_b32 v74, v0, 48, s18
	v_add_u32_e32 v66, s8, v74
	v_ashrrev_i32_e32 v75, 5, v66
	s_waitcnt vmcnt(11)
	v_mfma_f32_16x16x16_bf16 v[66:69], v[70:71], v[14:15], 0
	v_cmp_gt_i32_e32 vcc, s27, v74
	v_mfma_f32_16x16x16_bf16 v[66:69], v[72:73], v[16:17], v[66:69]
	v_or_b32_e32 v72, 64, v74
	v_add_u32_e32 v73, s8, v72
	s_waitcnt vmcnt(10)
	v_mfma_f32_16x16x16_bf16 v[66:69], v[58:59], v[50:51], v[66:69]
	v_ashrrev_i32_e32 v58, 5, v73
	v_mfma_f32_16x16x16_bf16 v[62:65], v[76:77], v[44:45], v[62:65]
	v_mov_b32_e32 v76, s19
	v_cndmask_b32_e32 v70, v76, v75, vcc
	v_cmp_gt_i32_e32 vcc, s27, v72
	v_ashrrev_i32_e32 v71, 31, v70
	v_lshl_add_u64 v[70:71], v[70:71], 2, s[6:7]
	v_cndmask_b32_e32 v72, v76, v58, vcc
	v_mfma_f32_16x16x16_bf16 v[58:61], v[60:61], v[52:53], v[66:69]
	v_ashrrev_i32_e32 v73, 31, v72
	s_waitcnt vmcnt(9)
	v_mfma_f32_16x16x16_bf16 v[58:61], v[54:55], v[46:47], v[58:61]
	v_lshl_add_u64 v[66:67], v[72:73], 2, s[6:7]
	global_load_dword v68, v[70:71], off
	s_nop 0
	global_load_dword v66, v[66:67], off
	v_or_b32_e32 v67, 0x80, v74
	v_add_u32_e32 v69, s8, v67
	v_mfma_f32_16x16x16_bf16 v[54:57], v[56:57], v[48:49], v[58:61]
	v_cmp_gt_i32_e32 vcc, s27, v67
	s_nop 1
	v_ashrrev_i32_e32 v58, 5, v69
	v_cndmask_b32_e32 v58, v76, v58, vcc
	v_ashrrev_i32_e32 v59, 31, v58
	s_waitcnt vmcnt(10)
	v_mfma_f32_16x16x16_bf16 v[54:57], v[30:31], v[42:43], v[54:57]
	v_lshl_add_u64 v[30:31], v[58:59], 2, s[6:7]
	global_load_dword v70, v[30:31], off
	v_mfma_f32_16x16x16_bf16 v[58:61], v[32:33], v[44:45], v[54:57]
	s_nop 3
	v_or_b32_e32 v54, 0xc0, v74
	v_add_u32_e32 v30, s8, v54
	v_ashrrev_i32_e32 v55, 5, v30
	v_cmp_gt_i32_e32 vcc, s27, v54
	s_waitcnt vmcnt(10)
	v_mfma_f32_16x16x16_bf16 v[30:33], v[26:27], v[14:15], 0
	v_cndmask_b32_e32 v26, v76, v55, vcc
	v_ashrrev_i32_e32 v27, 31, v26
	v_lshl_add_u64 v[54:55], v[26:27], 2, s[6:7]
	global_load_dword v71, v[54:55], off
	v_mfma_f32_16x16x16_bf16 v[26:29], v[28:29], v[16:17], v[30:33]
	s_load_dword s6, s[0:1], 0x1c
	s_waitcnt vmcnt(10)
	v_mfma_f32_16x16x16_bf16 v[26:29], v[22:23], v[50:51], v[26:29]
	v_and_b32_e32 v30, 16, v0
	v_lshlrev_b32_e32 v86, 1, v30
	v_lshl_add_u64 v[74:75], s[4:5], 0, v[86:87]
	v_mfma_f32_16x16x16_bf16 v[22:25], v[24:25], v[52:53], v[26:29]
	v_lshlrev_b32_e32 v86, 6, v90
	v_lshl_add_u64 v[76:77], v[74:75], 0, v[86:87]
	v_or_b32_e32 v86, 0x1000, v86
	s_waitcnt vmcnt(9)
	v_mfma_f32_16x16x16_bf16 v[22:25], v[18:19], v[46:47], v[22:25]
	v_lshl_add_u64 v[80:81], v[74:75], 0, v[86:87]
	s_waitcnt lgkmcnt(0)
	v_pk_mul_f32 v[74:75], s[6:7], v[60:61] op_sel_hi:[0,1]
	v_mfma_f32_16x16x16_bf16 v[18:21], v[20:21], v[48:49], v[22:25]
	s_waitcnt vmcnt(8)
	v_mfma_f32_16x16x16_bf16 v[18:21], v[10:11], v[42:43], v[18:21]
	s_waitcnt vmcnt(3)
	v_mad_i64_i32 v[22:23], s[4:5], v68, s9, 0
	s_waitcnt vmcnt(2)
	v_mad_i64_i32 v[10:11], s[4:5], v66, s9, 0
	v_lshlrev_b64 v[78:79], 1, v[22:23]
	v_lshlrev_b64 v[54:55], 1, v[10:11]
	v_lshl_add_u64 v[22:23], v[76:77], 0, v[78:79]
	v_lshl_add_u64 v[10:11], v[76:77], 0, v[54:55]
	global_load_dwordx4 v[30:33], v[22:23], off
	global_load_dwordx4 v[26:29], v[22:23], off offset:16
	v_mfma_f32_16x16x16_bf16 v[66:69], v[12:13], v[44:45], v[18:21]
	global_load_dwordx4 v[22:25], v[10:11], off
	s_nop 1
	global_load_dwordx4 v[18:21], v[10:11], off offset:16
	v_mfma_f32_16x16x16_bf16 v[10:13], v[6:7], v[14:15], 0
	s_waitcnt vmcnt(5)
	v_mad_i64_i32 v[6:7], s[4:5], v70, s9, 0
	v_lshlrev_b64 v[56:57], 1, v[6:7]
	v_mfma_f32_16x16x16_bf16 v[6:9], v[8:9], v[16:17], v[10:13]
	v_mfma_f32_16x16x16_bf16 v[6:9], v[2:3], v[50:51], v[6:9]
	s_nop 1
	v_lshl_add_u64 v[10:11], v[76:77], 0, v[56:57]
	global_load_dwordx4 v[14:17], v[10:11], off
	s_nop 0
	global_load_dwordx4 v[10:13], v[10:11], off offset:16
	s_waitcnt vmcnt(6)
	v_mad_i64_i32 v[2:3], s[4:5], v71, s9, 0
	v_mfma_f32_16x16x16_bf16 v[70:73], v[4:5], v[52:53], v[6:9]
	v_pk_mul_f32 v[52:53], s[6:7], v[62:63] op_sel_hi:[0,1]
	v_lshlrev_b64 v[50:51], 1, v[2:3]
	v_lshl_add_u64 v[2:3], v[76:77], 0, v[50:51]
	v_mfma_f32_16x16x16_bf16 v[70:73], v[38:39], v[46:47], v[70:73]
	v_lshl_add_u64 v[38:39], v[80:81], 0, v[78:79]
	v_pk_mul_f32 v[78:79], s[6:7], v[64:65] op_sel_hi:[0,1]
	v_pk_mul_f32 v[76:77], s[6:7], v[58:59] op_sel_hi:[0,1]
	v_mfma_f32_16x16x16_bf16 v[46:49], v[40:41], v[48:49], v[70:73]
	v_lshl_add_u64 v[50:51], v[80:81], 0, v[50:51]
	global_load_dwordx4 v[6:9], v[2:3], off
	s_nop 0
	global_load_dwordx4 v[2:5], v[2:3], off offset:16
	v_pk_mul_f32 v[70:71], s[6:7], v[68:69] op_sel_hi:[0,1]
	v_mfma_f32_16x16x16_bf16 v[40:43], v[34:35], v[42:43], v[46:49]
	v_pk_mul_f32 v[72:73], s[6:7], v[66:67] op_sel_hi:[0,1]
	v_mfma_f32_16x16x16_bf16 v[34:37], v[36:37], v[44:45], v[40:43]
	s_nop 6
	v_pk_mul_f32 v[68:69], s[6:7], v[34:35] op_sel_hi:[0,1]
	v_and_b32_e32 v34, 0xc0, v0
	v_add_u32_e32 v34, s18, v34
	v_lshl_or_b32 v34, v1, 2, v34
	v_or_b32_e32 v35, 1, v34
	v_pk_mul_f32 v[66:67], s[6:7], v[36:37] op_sel_hi:[0,1]
	v_subrev_u32_e32 v36, s27, v35
	v_add_u32_e32 v40, 1, v36
	v_add_u32_e32 v41, 2, v36
	v_cvt_f32_i32_e32 v37, v36
	v_cvt_f32_i32_e32 v40, v40
	;; [unrolled: 1-line block ×3, first 2 shown]
	v_add_u32_e32 v42, 3, v36
	v_fma_f32 v52, v89, v37, v52
	v_fmac_f32_e32 v53, v89, v40
	v_fma_f32 v78, v89, v41, v78
	v_add_u32_e32 v37, 16, v36
	v_add_u32_e32 v40, 17, v36
	;; [unrolled: 1-line block ×3, first 2 shown]
	v_cvt_f32_i32_e32 v42, v42
	v_cvt_f32_i32_e32 v37, v37
	;; [unrolled: 1-line block ×4, first 2 shown]
	v_fmac_f32_e32 v79, v89, v42
	v_add_u32_e32 v42, 19, v36
	v_fma_f32 v76, v89, v37, v76
	v_fmac_f32_e32 v77, v89, v40
	v_fma_f32 v74, v89, v41, v74
	v_add_u32_e32 v37, 32, v36
	v_add_u32_e32 v40, 33, v36
	;; [unrolled: 1-line block ×3, first 2 shown]
	v_cvt_f32_i32_e32 v42, v42
	v_cvt_f32_i32_e32 v37, v37
	;; [unrolled: 1-line block ×4, first 2 shown]
	v_fmac_f32_e32 v75, v89, v42
	v_add_u32_e32 v42, 35, v36
	v_fma_f32 v72, v89, v37, v72
	v_fmac_f32_e32 v73, v89, v40
	v_fma_f32 v70, v89, v41, v70
	v_add_u32_e32 v37, 48, v36
	v_add_u32_e32 v40, 49, v36
	;; [unrolled: 1-line block ×4, first 2 shown]
	v_cvt_f32_i32_e32 v36, v36
	v_cvt_f32_i32_e32 v37, v37
	;; [unrolled: 1-line block ×3, first 2 shown]
	v_cmp_gt_i32_e64 s[28:29], s27, v34
	v_fmac_f32_e32 v67, v89, v36
	v_mov_b32_e32 v36, 0xff7fffff
	v_cmp_gt_i32_e64 s[30:31], s27, v35
	v_fma_f32 v68, v89, v37, v68
	v_cndmask_b32_e64 v37, v36, v52, s[28:29]
	v_cndmask_b32_e64 v35, v36, v53, s[30:31]
	v_fmac_f32_e32 v69, v89, v40
	v_max3_f32 v35, v37, s33, v35
	v_or_b32_e32 v37, 2, v34
	v_or_b32_e32 v40, 3, v34
	v_cmp_gt_i32_e64 s[34:35], s27, v37
	v_cmp_gt_i32_e64 s[36:37], s27, v40
	v_cvt_f32_i32_e32 v42, v42
	v_cndmask_b32_e64 v37, v36, v78, s[34:35]
	v_cndmask_b32_e64 v40, v36, v79, s[36:37]
	v_max3_f32 v35, v35, v37, v40
	v_or_b32_e32 v37, 16, v34
	v_or_b32_e32 v40, 17, v34
	v_cmp_gt_i32_e64 s[22:23], s27, v37
	v_cmp_gt_i32_e64 s[24:25], s27, v40
	v_fmac_f32_e32 v71, v89, v42
	v_cndmask_b32_e64 v37, v36, v76, s[22:23]
	v_cndmask_b32_e64 v40, v36, v77, s[24:25]
	v_max3_f32 v35, v35, v37, v40
	v_or_b32_e32 v37, 18, v34
	v_or_b32_e32 v40, 19, v34
	v_cmp_gt_i32_e64 s[18:19], s27, v37
	v_cmp_gt_i32_e64 s[20:21], s27, v40
	v_cvt_f32_i32_e32 v41, v41
	v_cndmask_b32_e64 v37, v36, v74, s[18:19]
	v_cndmask_b32_e64 v40, v36, v75, s[20:21]
	v_max3_f32 v35, v35, v37, v40
	v_or_b32_e32 v37, 32, v34
	v_or_b32_e32 v40, 33, v34
	v_cmp_gt_i32_e64 s[14:15], s27, v37
	v_cmp_gt_i32_e64 s[16:17], s27, v40
	v_fma_f32 v66, v89, v41, v66
	v_cndmask_b32_e64 v37, v36, v72, s[14:15]
	v_cndmask_b32_e64 v40, v36, v73, s[16:17]
	v_max3_f32 v35, v35, v37, v40
	v_or_b32_e32 v37, 34, v34
	v_or_b32_e32 v40, 35, v34
	v_cmp_gt_i32_e64 s[10:11], s27, v37
	v_cmp_gt_i32_e64 s[12:13], s27, v40
	s_nop 0
	v_cndmask_b32_e64 v37, v36, v70, s[10:11]
	v_cndmask_b32_e64 v40, v36, v71, s[12:13]
	v_max3_f32 v35, v35, v37, v40
	v_or_b32_e32 v37, 48, v34
	v_or_b32_e32 v40, 49, v34
	v_cmp_gt_i32_e64 s[6:7], s27, v37
	v_cmp_gt_i32_e64 s[8:9], s27, v40
	s_nop 0
	v_cndmask_b32_e64 v37, v36, v68, s[6:7]
	v_cndmask_b32_e64 v40, v36, v69, s[8:9]
	v_max3_f32 v35, v35, v37, v40
	v_or_b32_e32 v37, 50, v34
	v_or_b32_e32 v34, 51, v34
	v_cmp_gt_i32_e32 vcc, s27, v37
	v_cmp_gt_i32_e64 s[4:5], s27, v34
	global_load_dwordx4 v[46:49], v[38:39], off
	s_nop 0
	global_load_dwordx4 v[38:41], v[38:39], off offset:16
	v_cndmask_b32_e32 v37, v36, v66, vcc
	v_cndmask_b32_e64 v34, v36, v67, s[4:5]
	v_max3_f32 v58, v35, v37, v34
	v_mbcnt_lo_u32_b32 v34, -1, 0
	v_mbcnt_hi_u32_b32 v59, -1, v34
	v_and_b32_e32 v34, 64, v59
	v_add_u32_e32 v60, 64, v34
	v_xor_b32_e32 v34, 32, v59
	v_cmp_lt_i32_e64 s[38:39], v34, v60
	s_nop 1
	v_cndmask_b32_e64 v34, v59, v34, s[38:39]
	v_lshlrev_b32_e32 v87, 2, v34
	ds_bpermute_b32 v61, v87, v58
	v_lshl_add_u64 v[34:35], v[80:81], 0, v[54:55]
	global_load_dwordx4 v[42:45], v[34:35], off
	s_nop 0
	global_load_dwordx4 v[34:37], v[34:35], off offset:16
	s_waitcnt lgkmcnt(0)
	v_max_f32_e32 v54, v61, v61
	v_max_f32_e32 v62, v58, v54
	v_xor_b32_e32 v54, 16, v59
	v_cmp_lt_i32_e64 s[38:39], v54, v60
	s_nop 1
	v_cndmask_b32_e64 v54, v59, v54, s[38:39]
	v_lshlrev_b32_e32 v89, 2, v54
	ds_bpermute_b32 v63, v89, v62
	v_lshl_add_u64 v[54:55], v[80:81], 0, v[56:57]
	global_load_dwordx4 v[58:61], v[54:55], off
	s_nop 0
	global_load_dwordx4 v[54:57], v[54:55], off offset:16
	s_waitcnt lgkmcnt(0)
	v_max_f32_e32 v63, v63, v63
	v_max_f32_e32 v86, v62, v63
	v_sub_f32_e32 v52, v52, v86
	v_mul_f32_e32 v52, 0x3fb8aa3b, v52
	v_exp_f32_e32 v80, v52
	v_sub_f32_e32 v52, v53, v86
	v_mul_f32_e32 v52, 0x3fb8aa3b, v52
	v_exp_f32_e32 v81, v52
	global_load_dwordx4 v[62:65], v[50:51], off
	s_nop 0
	global_load_dwordx4 v[50:53], v[50:51], off offset:16
	v_sub_f32_e32 v78, v78, v86
	v_mul_f32_e32 v78, 0x3fb8aa3b, v78
	v_sub_f32_e32 v79, v79, v86
	v_exp_f32_e32 v78, v78
	v_mul_f32_e32 v79, 0x3fb8aa3b, v79
	v_sub_f32_e32 v76, v76, v86
	v_exp_f32_e32 v79, v79
	v_mul_f32_e32 v76, 0x3fb8aa3b, v76
	v_sub_f32_e32 v77, v77, v86
	v_cndmask_b32_e64 v80, 0, v80, s[28:29]
	v_exp_f32_e32 v76, v76
	v_mul_f32_e32 v77, 0x3fb8aa3b, v77
	v_sub_f32_e32 v74, v74, v86
	v_add_f32_e32 v91, 0, v80
	v_cndmask_b32_e64 v81, 0, v81, s[30:31]
	v_exp_f32_e32 v77, v77
	v_mul_f32_e32 v74, 0x3fb8aa3b, v74
	v_sub_f32_e32 v75, v75, v86
	v_add_f32_e32 v91, v91, v81
	;; [unrolled: 5-line block ×10, first 2 shown]
	v_cndmask_b32_e64 v70, 0, v70, s[10:11]
	v_exp_f32_e32 v66, v66
	v_mul_f32_e32 v67, 0x3fb8aa3b, v67
	v_add_f32_e32 v91, v91, v70
	v_cndmask_b32_e64 v71, 0, v71, s[12:13]
	v_exp_f32_e32 v67, v67
	v_add_f32_e32 v91, v91, v71
	v_cndmask_b32_e64 v68, 0, v68, s[6:7]
	v_add_f32_e32 v91, v91, v68
	v_cndmask_b32_e64 v69, 0, v69, s[8:9]
	v_add_f32_e32 v91, v91, v69
	v_cndmask_b32_e32 v66, 0, v66, vcc
	v_add_f32_e32 v91, v91, v66
	v_cndmask_b32_e64 v67, 0, v67, s[4:5]
	v_add_f32_e32 v91, v91, v67
	ds_bpermute_b32 v87, v87, v91
	s_load_dword s9, s[0:1], 0x98
	v_cmp_gt_u32_e64 s[4:5], 16, v85
	s_waitcnt lgkmcnt(0)
	s_barrier
	v_add_f32_e32 v87, v91, v87
	ds_bpermute_b32 v89, v89, v87
	s_waitcnt lgkmcnt(0)
	s_and_saveexec_b64 s[6:7], s[4:5]
	s_cbranch_execz .LBB736_17
; %bb.16:
	v_add_f32_e32 v85, v87, v89
	v_lshlrev_b32_e32 v87, 2, v90
	ds_write2st64_b32 v87, v86, v85 offset1:1
.LBB736_17:
	s_or_b64 exec, exec, s[6:7]
	v_lshlrev_b32_e32 v85, 2, v84
	s_load_dword s8, s[0:1], 0x94
	s_waitcnt lgkmcnt(0)
	s_barrier
	ds_read2_b32 v[90:91], v85 offset1:16
	ds_read2_b32 v[92:93], v85 offset0:32 offset1:48
	ds_read2_b32 v[94:95], v85 offset0:64 offset1:80
	s_movk_i32 s10, 0x7fff
	s_mov_b32 s11, 0x7060302
	s_waitcnt lgkmcnt(2)
	v_max3_f32 v86, v90, s33, v91
	s_waitcnt lgkmcnt(1)
	v_max3_f32 v86, v86, v92, v93
	v_sub_f32_e32 v87, v90, v86
	v_mul_f32_e32 v87, 0x3fb8aa3b, v87
	v_exp_f32_e32 v89, v87
	v_sub_f32_e32 v87, v91, v86
	v_mul_f32_e32 v87, 0x3fb8aa3b, v87
	v_exp_f32_e32 v88, v87
	v_sub_f32_e32 v87, v92, v86
	v_mul_f32_e32 v87, 0x3fb8aa3b, v87
	ds_read2_b32 v[90:91], v85 offset0:96 offset1:112
	v_sub_f32_e32 v85, v93, v86
	v_exp_f32_e32 v92, v87
	v_mul_f32_e32 v85, 0x3fb8aa3b, v85
	v_exp_f32_e32 v85, v85
	s_waitcnt lgkmcnt(1)
	v_fma_f32 v87, v89, v94, 0
	v_fmac_f32_e32 v87, v88, v95
	s_waitcnt lgkmcnt(0)
	v_fmac_f32_e32 v87, v92, v90
	v_fmac_f32_e32 v87, v85, v91
	v_add_f32_e32 v90, 0x358637bd, v87
	v_div_scale_f32 v91, s[6:7], v90, v90, 1.0
	v_rcp_f32_e32 v93, v91
	s_mul_i32 s9, s9, 9
	s_barrier
	v_fma_f32 v94, -v91, v93, 1.0
	v_fmac_f32_e32 v93, v94, v93
	v_div_scale_f32 v94, vcc, 1.0, v90, 1.0
	v_mul_f32_e32 v95, v94, v93
	v_fma_f32 v1, -v91, v95, v94
	v_fmac_f32_e32 v95, v1, v93
	v_fma_f32 v1, -v91, v95, v94
	v_lshrrev_b32_e32 v91, 6, v0
	v_div_fmas_f32 v1, v1, v93, v95
	v_cmp_eq_u32_e32 vcc, 1, v91
	v_div_fixup_f32 v1, v1, v90, 1.0
	s_nop 0
	v_cndmask_b32_e32 v88, v89, v88, vcc
	v_cmp_eq_u32_e32 vcc, 2, v91
	s_nop 1
	v_cndmask_b32_e32 v88, v88, v92, vcc
	v_cmp_eq_u32_e32 vcc, 3, v91
	s_nop 1
	v_cndmask_b32_e32 v85, v88, v85, vcc
	v_mul_f32_e32 v90, v85, v1
	v_pk_mul_f32 v[80:81], v[90:91], v[80:81] op_sel_hi:[0,1]
	v_bfe_u32 v1, v81, 16, 1
	v_bfe_u32 v85, v80, 16, 1
	v_pk_mul_f32 v[78:79], v[90:91], v[78:79] op_sel_hi:[0,1]
	v_add3_u32 v80, v80, v85, s10
	v_add3_u32 v1, v81, v1, s10
	v_perm_b32 v80, v1, v80, s11
	v_bfe_u32 v1, v79, 16, 1
	v_bfe_u32 v81, v78, 16, 1
	v_add3_u32 v78, v78, v81, s10
	v_add3_u32 v1, v79, v1, s10
	v_bfe_u32 v88, v0, 4, 2
	v_perm_b32 v81, v1, v78, s11
	v_lshlrev_b32_e32 v1, 3, v88
	v_lshlrev_b32_e32 v78, 5, v84
	;; [unrolled: 1-line block ×3, first 2 shown]
	v_pk_mul_f32 v[76:77], v[90:91], v[76:77] op_sel_hi:[0,1]
	v_or3_b32 v1, v79, v78, v1
	v_bfe_u32 v79, v77, 16, 1
	v_bfe_u32 v85, v76, 16, 1
	v_pk_mul_f32 v[74:75], v[90:91], v[74:75] op_sel_hi:[0,1]
	v_add3_u32 v76, v76, v85, s10
	v_add3_u32 v77, v77, v79, s10
	v_perm_b32 v76, v77, v76, s11
	v_bfe_u32 v77, v75, 16, 1
	v_bfe_u32 v79, v74, 16, 1
	v_add3_u32 v74, v74, v79, s10
	v_add3_u32 v75, v75, v77, s10
	v_pk_mul_f32 v[72:73], v[90:91], v[72:73] op_sel_hi:[0,1]
	v_perm_b32 v77, v75, v74, s11
	v_bfe_u32 v74, v73, 16, 1
	v_bfe_u32 v75, v72, 16, 1
	v_pk_mul_f32 v[70:71], v[90:91], v[70:71] op_sel_hi:[0,1]
	v_add3_u32 v72, v72, v75, s10
	v_add3_u32 v73, v73, v74, s10
	v_perm_b32 v72, v73, v72, s11
	v_bfe_u32 v73, v71, 16, 1
	v_bfe_u32 v74, v70, 16, 1
	v_add3_u32 v70, v70, v74, s10
	v_add3_u32 v71, v71, v73, s10
	v_pk_mul_f32 v[68:69], v[90:91], v[68:69] op_sel_hi:[0,1]
	v_perm_b32 v73, v71, v70, s11
	v_bfe_u32 v70, v69, 16, 1
	v_bfe_u32 v71, v68, 16, 1
	v_pk_mul_f32 v[66:67], v[90:91], v[66:67] op_sel_hi:[0,1]
	v_add3_u32 v68, v68, v71, s10
	v_add3_u32 v69, v69, v70, s10
	v_perm_b32 v68, v69, v68, s11
	v_bfe_u32 v69, v67, 16, 1
	v_bfe_u32 v70, v66, 16, 1
	v_add3_u32 v66, v66, v70, s10
	v_add3_u32 v67, v67, v69, s10
	v_perm_b32 v69, v67, v66, s11
	v_cmp_gt_u32_e32 vcc, 9, v0
	ds_write2st64_b64 v1, v[80:81], v[76:77] offset1:1
	ds_write2st64_b64 v1, v[72:73], v[68:69] offset0:2 offset1:3
	s_and_saveexec_b64 s[6:7], vcc
	s_cbranch_execz .LBB736_19
; %bb.18:
	s_mov_b32 s41, 0
	v_mov_b32_e32 v85, 0
	v_lshl_add_u64 v[66:67], s[40:41], 0, v[84:85]
	v_mov_b32_e32 v68, s9
	v_mad_u64_u32 v[66:67], s[16:17], s2, v68, v[66:67]
	s_mul_i32 s3, s3, s9
	v_mov_b32_e32 v68, s26
	v_mov_b32_e32 v69, v85
	s_load_dwordx4 s[12:15], s[0:1], 0x58
	v_add_u32_e32 v70, s3, v67
	v_mad_u64_u32 v[66:67], s[16:17], v66, s8, v[68:69]
	v_mov_b32_e32 v68, v67
	v_mad_u64_u32 v[68:69], s[16:17], v70, s8, v[68:69]
	v_mov_b32_e32 v67, v68
	v_lshlrev_b64 v[66:67], 2, v[66:67]
	s_waitcnt lgkmcnt(0)
	v_lshl_add_u64 v[68:69], s[14:15], 0, v[66:67]
	v_lshl_add_u64 v[66:67], s[12:13], 0, v[66:67]
	global_store_dword v[68:69], v86, off
	global_store_dword v[66:67], v87, off
.LBB736_19:
	s_or_b64 exec, exec, s[6:7]
	v_lshl_or_b32 v78, v88, 9, v78
	s_waitcnt lgkmcnt(0)
	s_barrier
	ds_read_b128 v[70:73], v78
	ds_read_b128 v[66:69], v78 offset:16
	s_waitcnt vmcnt(15) lgkmcnt(1)
	v_mfma_f32_16x16x16_bf16 v[74:77], v[30:31], v[70:71], 0
	s_mov_b32 s3, 0
	v_cmp_gt_u32_e32 vcc, 64, v0
	v_mfma_f32_16x16x16_bf16 v[30:33], v[32:33], v[72:73], v[74:77]
	s_waitcnt vmcnt(14) lgkmcnt(0)
	v_mfma_f32_16x16x16_bf16 v[30:33], v[26:27], v[66:67], v[30:33]
	v_mfma_f32_16x16x16_bf16 v[26:29], v[28:29], v[68:69], v[30:33]
	s_nop 5
	ds_read_b128 v[30:33], v78 offset:2048
	ds_read_b128 v[74:77], v78 offset:2064
	s_waitcnt vmcnt(13) lgkmcnt(1)
	v_mfma_f32_16x16x16_bf16 v[26:29], v[22:23], v[30:31], v[26:29]
	v_mfma_f32_16x16x16_bf16 v[22:25], v[24:25], v[32:33], v[26:29]
	s_waitcnt vmcnt(12) lgkmcnt(0)
	v_mfma_f32_16x16x16_bf16 v[22:25], v[18:19], v[74:75], v[22:25]
	v_mfma_f32_16x16x16_bf16 v[18:21], v[20:21], v[76:77], v[22:25]
	s_nop 5
	ds_read_b128 v[22:25], v78 offset:4096
	ds_read_b128 v[26:29], v78 offset:4112
	s_waitcnt vmcnt(11) lgkmcnt(1)
	v_mfma_f32_16x16x16_bf16 v[18:21], v[14:15], v[22:23], v[18:21]
	v_mfma_f32_16x16x16_bf16 v[14:17], v[16:17], v[24:25], v[18:21]
	s_waitcnt vmcnt(10) lgkmcnt(0)
	v_mfma_f32_16x16x16_bf16 v[14:17], v[10:11], v[26:27], v[14:17]
	v_mfma_f32_16x16x16_bf16 v[10:13], v[12:13], v[28:29], v[14:17]
	s_nop 5
	ds_read_b128 v[14:17], v78 offset:6144
	ds_read_b128 v[18:21], v78 offset:6160
	s_waitcnt lgkmcnt(0)
	s_barrier
	s_waitcnt vmcnt(9)
	v_mfma_f32_16x16x16_bf16 v[10:13], v[6:7], v[14:15], v[10:13]
	v_mfma_f32_16x16x16_bf16 v[6:9], v[8:9], v[16:17], v[10:13]
	s_waitcnt vmcnt(8)
	v_mfma_f32_16x16x16_bf16 v[6:9], v[2:3], v[18:19], v[6:9]
	v_mfma_f32_16x16x16_bf16 v[2:5], v[4:5], v[20:21], v[6:9]
	;; [unrolled: 3-line block ×3, first 2 shown]
	s_nop 3
	v_bfe_u32 v10, v3, 16, 1
	v_bfe_u32 v11, v2, 16, 1
	v_add3_u32 v2, v2, v11, s10
	s_waitcnt vmcnt(6)
	v_mfma_f32_16x16x16_bf16 v[6:9], v[38:39], v[66:67], v[6:9]
	v_add3_u32 v3, v3, v10, s10
	v_perm_b32 v10, v3, v2, s11
	v_bfe_u32 v2, v5, 16, 1
	v_mfma_f32_16x16x16_bf16 v[6:9], v[40:41], v[68:69], v[6:9]
	v_bfe_u32 v3, v4, 16, 1
	v_add3_u32 v3, v4, v3, s10
	v_add3_u32 v2, v5, v2, s10
	s_waitcnt vmcnt(5)
	v_mfma_f32_16x16x16_bf16 v[6:9], v[42:43], v[30:31], v[6:9]
	v_perm_b32 v11, v2, v3, s11
	v_mfma_f32_16x16x16_bf16 v[6:9], v[44:45], v[32:33], v[6:9]
	s_waitcnt vmcnt(4)
	v_mfma_f32_16x16x16_bf16 v[6:9], v[34:35], v[74:75], v[6:9]
	v_mfma_f32_16x16x16_bf16 v[6:9], v[36:37], v[76:77], v[6:9]
	s_waitcnt vmcnt(3)
	v_mfma_f32_16x16x16_bf16 v[6:9], v[58:59], v[22:23], v[6:9]
	;; [unrolled: 3-line block ×5, first 2 shown]
	v_mfma_f32_16x16x16_bf16 v[2:5], v[52:53], v[20:21], v[6:9]
	s_nop 6
	v_bfe_u32 v6, v3, 16, 1
	v_bfe_u32 v7, v2, 16, 1
	v_add3_u32 v2, v2, v7, s10
	v_add3_u32 v3, v3, v6, s10
	v_perm_b32 v2, v3, v2, s11
	v_bfe_u32 v3, v5, 16, 1
	v_bfe_u32 v6, v4, 16, 1
	v_add3_u32 v4, v4, v6, s10
	v_add3_u32 v3, v5, v3, s10
	v_perm_b32 v3, v3, v4, s11
	ds_write2st64_b64 v1, v[10:11], v[2:3] offset1:1
	s_waitcnt lgkmcnt(0)
	s_barrier
	s_and_saveexec_b64 s[6:7], vcc
	s_cbranch_execz .LBB736_22
; %bb.20:
	s_load_dwordx2 s[6:7], s[0:1], 0x68
	s_lshl_b32 s0, s8, 7
	s_mul_i32 s1, s9, s2
	v_lshlrev_b32_e32 v3, 6, v84
	s_mul_hi_u32 s9, s1, s0
	s_mul_i32 s8, s1, s0
	v_lshlrev_b32_e32 v2, 4, v0
	v_lshl_or_b32 v0, v0, 10, v3
	s_lshl_b64 s[8:9], s[8:9], 1
	v_lshlrev_b32_e32 v1, 5, v88
	v_and_b32_e32 v2, 16, v2
	v_and_b32_e32 v0, 0x1a00, v0
	s_waitcnt lgkmcnt(0)
	s_add_u32 s1, s6, s8
	v_or3_b32 v2, v0, v1, v2
	s_addc_u32 s6, s7, s9
	s_lshl_b32 s2, s26, 7
	s_lshl_b64 s[2:3], s[2:3], 1
	ds_read_b128 v[4:7], v2 offset:128
	ds_read_b128 v[8:11], v2
	s_add_u32 s2, s1, s2
	s_addc_u32 s3, s6, s3
	v_add_u32_e32 v3, s40, v88
	v_lshl_add_u64 v[0:1], v[82:83], 1, s[2:3]
	v_mad_u64_u32 v[12:13], s[2:3], v3, s0, 0
	v_lshl_add_u64 v[12:13], v[12:13], 1, v[0:1]
	v_add_u32_e32 v3, 4, v3
	s_waitcnt lgkmcnt(0)
	global_store_dwordx4 v[12:13], v[8:11], off
	s_nop 1
	v_mad_u64_u32 v[8:9], s[2:3], v3, s0, 0
	v_lshl_add_u64 v[8:9], v[8:9], 1, v[0:1]
	global_store_dwordx4 v[8:9], v[4:7], off
	s_and_b64 exec, exec, s[4:5]
	s_cbranch_execz .LBB736_22
; %bb.21:
	ds_read_b128 v[2:5], v2 offset:256
	v_add3_u32 v6, s40, v88, 8
	v_mad_u64_u32 v[6:7], s[0:1], v6, s0, 0
	v_lshl_add_u64 v[0:1], v[6:7], 1, v[0:1]
	s_waitcnt lgkmcnt(0)
	global_store_dwordx4 v[0:1], v[2:5], off
.LBB736_22:
	s_endpgm
	.section	.rodata,"a",@progbits
	.p2align	6, 0x0
	.amdhsa_kernel _Z39paged_attention_ll4mi_QKV_mfma16_kernelI14__hip_bfloat16S0_LN4vllm18Fp8KVCacheDataTypeE0ES0_Li32ELi128ELi256ELb1ELi9EEvPKT_PKT0_S8_ifPKiSA_SA_iPKfiiiPfSD_PS3_PT2_iSC_SC_
		.amdhsa_group_segment_fixed_size 8192
		.amdhsa_private_segment_fixed_size 0
		.amdhsa_kernarg_size 400
		.amdhsa_user_sgpr_count 2
		.amdhsa_user_sgpr_dispatch_ptr 0
		.amdhsa_user_sgpr_queue_ptr 0
		.amdhsa_user_sgpr_kernarg_segment_ptr 1
		.amdhsa_user_sgpr_dispatch_id 0
		.amdhsa_user_sgpr_kernarg_preload_length 0
		.amdhsa_user_sgpr_kernarg_preload_offset 0
		.amdhsa_user_sgpr_private_segment_size 0
		.amdhsa_uses_dynamic_stack 0
		.amdhsa_enable_private_segment 0
		.amdhsa_system_sgpr_workgroup_id_x 1
		.amdhsa_system_sgpr_workgroup_id_y 1
		.amdhsa_system_sgpr_workgroup_id_z 1
		.amdhsa_system_sgpr_workgroup_info 0
		.amdhsa_system_vgpr_workitem_id 0
		.amdhsa_next_free_vgpr 96
		.amdhsa_next_free_sgpr 42
		.amdhsa_accum_offset 96
		.amdhsa_reserve_vcc 1
		.amdhsa_float_round_mode_32 0
		.amdhsa_float_round_mode_16_64 0
		.amdhsa_float_denorm_mode_32 3
		.amdhsa_float_denorm_mode_16_64 3
		.amdhsa_dx10_clamp 1
		.amdhsa_ieee_mode 1
		.amdhsa_fp16_overflow 0
		.amdhsa_tg_split 0
		.amdhsa_exception_fp_ieee_invalid_op 0
		.amdhsa_exception_fp_denorm_src 0
		.amdhsa_exception_fp_ieee_div_zero 0
		.amdhsa_exception_fp_ieee_overflow 0
		.amdhsa_exception_fp_ieee_underflow 0
		.amdhsa_exception_fp_ieee_inexact 0
		.amdhsa_exception_int_div_zero 0
	.end_amdhsa_kernel
	.section	.text._Z39paged_attention_ll4mi_QKV_mfma16_kernelI14__hip_bfloat16S0_LN4vllm18Fp8KVCacheDataTypeE0ES0_Li32ELi128ELi256ELb1ELi9EEvPKT_PKT0_S8_ifPKiSA_SA_iPKfiiiPfSD_PS3_PT2_iSC_SC_,"axG",@progbits,_Z39paged_attention_ll4mi_QKV_mfma16_kernelI14__hip_bfloat16S0_LN4vllm18Fp8KVCacheDataTypeE0ES0_Li32ELi128ELi256ELb1ELi9EEvPKT_PKT0_S8_ifPKiSA_SA_iPKfiiiPfSD_PS3_PT2_iSC_SC_,comdat
.Lfunc_end736:
	.size	_Z39paged_attention_ll4mi_QKV_mfma16_kernelI14__hip_bfloat16S0_LN4vllm18Fp8KVCacheDataTypeE0ES0_Li32ELi128ELi256ELb1ELi9EEvPKT_PKT0_S8_ifPKiSA_SA_iPKfiiiPfSD_PS3_PT2_iSC_SC_, .Lfunc_end736-_Z39paged_attention_ll4mi_QKV_mfma16_kernelI14__hip_bfloat16S0_LN4vllm18Fp8KVCacheDataTypeE0ES0_Li32ELi128ELi256ELb1ELi9EEvPKT_PKT0_S8_ifPKiSA_SA_iPKfiiiPfSD_PS3_PT2_iSC_SC_
                                        ; -- End function
	.section	.AMDGPU.csdata,"",@progbits
; Kernel info:
; codeLenInByte = 5196
; NumSgprs: 48
; NumVgprs: 96
; NumAgprs: 0
; TotalNumVgprs: 96
; ScratchSize: 0
; MemoryBound: 0
; FloatMode: 240
; IeeeMode: 1
; LDSByteSize: 8192 bytes/workgroup (compile time only)
; SGPRBlocks: 5
; VGPRBlocks: 11
; NumSGPRsForWavesPerEU: 48
; NumVGPRsForWavesPerEU: 96
; AccumOffset: 96
; Occupancy: 5
; WaveLimiterHint : 1
; COMPUTE_PGM_RSRC2:SCRATCH_EN: 0
; COMPUTE_PGM_RSRC2:USER_SGPR: 2
; COMPUTE_PGM_RSRC2:TRAP_HANDLER: 0
; COMPUTE_PGM_RSRC2:TGID_X_EN: 1
; COMPUTE_PGM_RSRC2:TGID_Y_EN: 1
; COMPUTE_PGM_RSRC2:TGID_Z_EN: 1
; COMPUTE_PGM_RSRC2:TIDIG_COMP_CNT: 0
; COMPUTE_PGM_RSRC3_GFX90A:ACCUM_OFFSET: 23
; COMPUTE_PGM_RSRC3_GFX90A:TG_SPLIT: 0
	.section	.text._Z39paged_attention_ll4mi_QKV_mfma16_kernelI14__hip_bfloat16S0_LN4vllm18Fp8KVCacheDataTypeE0ES0_Li32ELi128ELi256ELb1ELi10EEvPKT_PKT0_S8_ifPKiSA_SA_iPKfiiiPfSD_PS3_PT2_iSC_SC_,"axG",@progbits,_Z39paged_attention_ll4mi_QKV_mfma16_kernelI14__hip_bfloat16S0_LN4vllm18Fp8KVCacheDataTypeE0ES0_Li32ELi128ELi256ELb1ELi10EEvPKT_PKT0_S8_ifPKiSA_SA_iPKfiiiPfSD_PS3_PT2_iSC_SC_,comdat
	.protected	_Z39paged_attention_ll4mi_QKV_mfma16_kernelI14__hip_bfloat16S0_LN4vllm18Fp8KVCacheDataTypeE0ES0_Li32ELi128ELi256ELb1ELi10EEvPKT_PKT0_S8_ifPKiSA_SA_iPKfiiiPfSD_PS3_PT2_iSC_SC_ ; -- Begin function _Z39paged_attention_ll4mi_QKV_mfma16_kernelI14__hip_bfloat16S0_LN4vllm18Fp8KVCacheDataTypeE0ES0_Li32ELi128ELi256ELb1ELi10EEvPKT_PKT0_S8_ifPKiSA_SA_iPKfiiiPfSD_PS3_PT2_iSC_SC_
	.globl	_Z39paged_attention_ll4mi_QKV_mfma16_kernelI14__hip_bfloat16S0_LN4vllm18Fp8KVCacheDataTypeE0ES0_Li32ELi128ELi256ELb1ELi10EEvPKT_PKT0_S8_ifPKiSA_SA_iPKfiiiPfSD_PS3_PT2_iSC_SC_
	.p2align	8
	.type	_Z39paged_attention_ll4mi_QKV_mfma16_kernelI14__hip_bfloat16S0_LN4vllm18Fp8KVCacheDataTypeE0ES0_Li32ELi128ELi256ELb1ELi10EEvPKT_PKT0_S8_ifPKiSA_SA_iPKfiiiPfSD_PS3_PT2_iSC_SC_,@function
_Z39paged_attention_ll4mi_QKV_mfma16_kernelI14__hip_bfloat16S0_LN4vllm18Fp8KVCacheDataTypeE0ES0_Li32ELi128ELi256ELb1ELi10EEvPKT_PKT0_S8_ifPKiSA_SA_iPKfiiiPfSD_PS3_PT2_iSC_SC_: ; @_Z39paged_attention_ll4mi_QKV_mfma16_kernelI14__hip_bfloat16S0_LN4vllm18Fp8KVCacheDataTypeE0ES0_Li32ELi128ELi256ELb1ELi10EEvPKT_PKT0_S8_ifPKiSA_SA_iPKfiiiPfSD_PS3_PT2_iSC_SC_
; %bb.0:
	s_load_dwordx2 s[8:9], s[0:1], 0x30
	s_mov_b32 s26, s3
	s_mov_b64 s[6:7], 0
	s_waitcnt lgkmcnt(0)
	s_cmp_lg_u64 s[8:9], 0
	s_cselect_b64 s[10:11], -1, 0
	s_and_b64 vcc, exec, s[10:11]
	s_cbranch_vccz .LBB737_7
; %bb.1:
	s_add_i32 s12, s2, 1
	s_mov_b32 s13, 0
	s_lshl_b64 s[14:15], s[12:13], 2
	s_add_u32 s14, s8, s14
	s_mov_b32 s3, s13
	s_addc_u32 s15, s9, s15
	s_lshl_b64 s[12:13], s[2:3], 2
	s_add_u32 s12, s8, s12
	s_addc_u32 s13, s9, s13
	s_load_dword s5, s[14:15], 0x0
	s_load_dword s16, s[12:13], 0x0
	s_waitcnt lgkmcnt(0)
	s_sub_i32 s5, s5, s16
	s_cmp_eq_u32 s5, 1
	s_cselect_b64 s[12:13], -1, 0
	s_andn2_b64 vcc, exec, s[6:7]
	s_cbranch_vccnz .LBB737_3
.LBB737_2:
	s_mov_b32 s3, 0
	s_mov_b64 s[12:13], -1
.LBB737_3:
	s_andn2_b64 vcc, exec, s[12:13]
	s_cbranch_vccnz .LBB737_22
; %bb.4:
	s_load_dwordx2 s[6:7], s[0:1], 0x28
	s_lshl_b64 s[12:13], s[2:3], 2
	s_waitcnt lgkmcnt(0)
	s_add_u32 s6, s6, s12
	s_addc_u32 s7, s7, s13
	s_load_dword s27, s[6:7], 0x0
	s_lshl_b32 s18, s26, 8
	s_waitcnt lgkmcnt(0)
	s_cmp_ge_i32 s18, s27
	s_cbranch_scc1 .LBB737_22
; %bb.5:
	s_load_dwordx2 s[6:7], s[0:1], 0x20
	s_load_dword s5, s[0:1], 0x38
	s_add_i32 s14, s27, 31
	s_ashr_i32 s15, s14, 31
	v_and_b32_e32 v1, 0xcf, v0
	s_lshr_b32 s15, s15, 27
	v_add_u32_e32 v1, s18, v1
	s_add_i32 s14, s14, s15
	v_ashrrev_i32_e32 v2, 31, v1
	s_ashr_i32 s19, s14, 5
	v_lshrrev_b32_e32 v4, 27, v2
	s_add_i32 s19, s19, -1
	s_waitcnt lgkmcnt(0)
	s_mul_i32 s14, s2, s5
	s_mov_b32 s15, 0
	v_add_u32_e32 v2, v1, v4
	s_lshl_b64 s[14:15], s[14:15], 2
	v_ashrrev_i32_e32 v2, 5, v2
	v_mov_b32_e32 v5, s19
	v_cmp_gt_i32_e32 vcc, s27, v1
	s_add_u32 s6, s6, s14
	s_addc_u32 s7, s7, s15
	v_cndmask_b32_e32 v2, v5, v2, vcc
	v_ashrrev_i32_e32 v3, 31, v2
	v_lshl_add_u64 v[6:7], v[2:3], 2, s[6:7]
	v_or_b32_e32 v2, 16, v1
	v_add_u32_e32 v3, v2, v4
	v_ashrrev_i32_e32 v3, 5, v3
	v_cmp_gt_i32_e32 vcc, s27, v2
	s_nop 1
	v_cndmask_b32_e32 v2, v5, v3, vcc
	v_ashrrev_i32_e32 v3, 31, v2
	v_lshl_add_u64 v[8:9], v[2:3], 2, s[6:7]
	v_or_b32_e32 v2, 32, v1
	v_add_u32_e32 v3, v2, v4
	v_ashrrev_i32_e32 v3, 5, v3
	v_cmp_gt_i32_e32 vcc, s27, v2
	v_or_b32_e32 v1, 48, v1
	s_nop 0
	v_cndmask_b32_e32 v2, v5, v3, vcc
	v_ashrrev_i32_e32 v3, 31, v2
	v_lshl_add_u64 v[10:11], v[2:3], 2, s[6:7]
	v_add_u32_e32 v2, v1, v4
	v_ashrrev_i32_e32 v2, 5, v2
	v_cmp_gt_i32_e32 vcc, s27, v1
	s_nop 1
	v_cndmask_b32_e32 v2, v5, v2, vcc
	v_ashrrev_i32_e32 v3, 31, v2
	v_lshl_add_u64 v[12:13], v[2:3], 2, s[6:7]
	global_load_dword v5, v[6:7], off
	global_load_dword v4, v[8:9], off
	;; [unrolled: 1-line block ×4, first 2 shown]
	s_andn2_b64 vcc, exec, s[10:11]
	s_cbranch_vccnz .LBB737_8
; %bb.6:
	s_add_u32 s8, s8, s12
	s_addc_u32 s9, s9, s13
	s_load_dword s5, s[8:9], 0x0
	s_branch .LBB737_9
.LBB737_7:
	s_mov_b64 s[12:13], 0
	s_branch .LBB737_2
.LBB737_8:
	s_mov_b32 s5, s2
.LBB737_9:
	s_load_dwordx2 s[14:15], s[0:1], 0x8
	s_load_dwordx4 s[8:11], s[0:1], 0x48
	v_lshrrev_b32_e32 v88, 6, v0
	v_bfe_u32 v1, v0, 4, 2
	v_lshl_or_b32 v6, v88, 2, v1
	v_and_b32_e32 v84, 15, v0
	v_lshlrev_b32_e32 v82, 3, v84
	v_cmp_lt_u32_e32 vcc, 9, v6
	s_and_saveexec_b64 s[12:13], vcc
	s_xor_b64 s[12:13], exec, s[12:13]
; %bb.10:
	v_mov_b32_e32 v83, 0
                                        ; implicit-def: $vgpr6
; %bb.11:
	s_or_saveexec_b64 s[16:17], s[12:13]
	s_load_dwordx2 s[12:13], s[0:1], 0x10
	s_mul_i32 s40, s4, 10
	s_xor_b64 exec, exec, s[16:17]
	s_cbranch_execz .LBB737_13
; %bb.12:
	s_load_dwordx2 s[20:21], s[0:1], 0x0
	s_waitcnt lgkmcnt(0)
	s_ashr_i32 s11, s8, 31
	s_mul_hi_u32 s22, s5, s8
	s_mul_i32 s11, s5, s11
	s_add_i32 s23, s22, s11
	s_mul_i32 s22, s5, s8
	s_lshl_b64 s[22:23], s[22:23], 1
	s_add_u32 s20, s20, s22
	v_add_lshl_u32 v8, v6, s40, 7
	s_addc_u32 s21, s21, s23
	v_ashrrev_i32_e32 v9, 31, v8
	v_mov_b32_e32 v83, 0
	v_lshl_add_u64 v[8:9], v[8:9], 1, s[20:21]
	v_lshlrev_b32_e32 v10, 1, v82
	v_mov_b32_e32 v11, v83
	v_lshl_add_u64 v[8:9], v[8:9], 0, v[10:11]
	global_load_dwordx4 v[8:11], v[8:9], off
	v_and_b32_e32 v7, 3, v0
	v_lshlrev_b32_e32 v12, 9, v84
	v_lshlrev_b32_e32 v6, 5, v6
	;; [unrolled: 1-line block ×3, first 2 shown]
	v_and_b32_e32 v12, 0x1800, v12
	v_or3_b32 v6, v12, v7, v6
	s_waitcnt vmcnt(0)
	ds_write_b128 v6, v[8:11]
.LBB737_13:
	s_or_b64 exec, exec, s[16:17]
	s_waitcnt lgkmcnt(0)
	s_mul_i32 s4, s4, s10
	s_mov_b32 s5, 0
	s_lshl_b64 s[4:5], s[4:5], 1
	s_add_u32 s10, s14, s4
	s_addc_u32 s11, s15, s5
	s_waitcnt vmcnt(3)
	v_mad_i64_i32 v[6:7], s[14:15], v5, s9, 0
	v_lshl_add_u64 v[6:7], v[6:7], 1, s[10:11]
	v_lshlrev_b64 v[8:9], 1, v[82:83]
	v_lshlrev_b32_e32 v86, 9, v1
	v_lshl_add_u64 v[6:7], v[6:7], 0, v[8:9]
	v_mov_b32_e32 v87, 0
	v_lshl_add_u64 v[10:11], v[6:7], 0, v[86:87]
	v_or_b32_e32 v14, 0x1000, v86
	v_mov_b32_e32 v15, v87
	v_or_b32_e32 v16, 0x1800, v86
	v_mov_b32_e32 v17, v87
	s_barrier
	global_load_dwordx4 v[66:69], v[10:11], off
	global_load_dwordx4 v[62:65], v[10:11], off offset:2048
	v_lshl_add_u64 v[10:11], v[6:7], 0, v[14:15]
	v_lshl_add_u64 v[6:7], v[6:7], 0, v[16:17]
	global_load_dwordx4 v[78:81], v[10:11], off
	global_load_dwordx4 v[74:77], v[6:7], off
	s_waitcnt vmcnt(6)
	v_mad_i64_i32 v[4:5], s[14:15], v4, s9, 0
	v_mov_b32_e32 v6, 0x100
	v_lshl_add_u64 v[4:5], v[4:5], 1, s[10:11]
	v_lshl_or_b32 v6, v84, 4, v6
	v_mov_b32_e32 v7, v87
	v_lshl_add_u64 v[4:5], v[4:5], 0, v[6:7]
	v_lshl_add_u64 v[10:11], v[4:5], 0, v[86:87]
	global_load_dwordx4 v[70:73], v[10:11], off
	global_load_dwordx4 v[58:61], v[10:11], off offset:2048
	v_lshl_add_u64 v[10:11], v[4:5], 0, v[14:15]
	v_lshl_add_u64 v[4:5], v[4:5], 0, v[16:17]
	global_load_dwordx4 v[54:57], v[10:11], off
	global_load_dwordx4 v[30:33], v[4:5], off
	s_waitcnt vmcnt(9)
	v_mad_i64_i32 v[4:5], s[14:15], v3, s9, 0
	v_lshl_add_u64 v[4:5], v[4:5], 1, s[10:11]
	s_waitcnt vmcnt(8)
	v_mad_i64_i32 v[2:3], s[14:15], v2, s9, 0
	v_lshl_add_u64 v[4:5], v[4:5], 0, v[8:9]
	v_lshl_add_u64 v[2:3], v[2:3], 1, s[10:11]
	;; [unrolled: 1-line block ×4, first 2 shown]
	global_load_dwordx4 v[26:29], v[8:9], off
	global_load_dwordx4 v[22:25], v[8:9], off offset:2048
	v_lshl_add_u64 v[8:9], v[4:5], 0, v[14:15]
	v_lshl_add_u64 v[4:5], v[4:5], 0, v[16:17]
	;; [unrolled: 1-line block ×4, first 2 shown]
	global_load_dwordx4 v[18:21], v[8:9], off
	global_load_dwordx4 v[10:13], v[4:5], off
	s_nop 0
	global_load_dwordx4 v[6:9], v[2:3], off
	s_nop 0
	global_load_dwordx4 v[2:5], v[2:3], off offset:2048
	v_lshl_add_u64 v[16:17], v[34:35], 0, v[16:17]
	global_load_dwordx4 v[38:41], v[14:15], off
	global_load_dwordx4 v[34:37], v[16:17], off
	v_add_u32_e32 v14, -10, v84
	v_cmp_gt_u32_e32 vcc, 10, v84
	v_and_b32_e32 v85, 63, v0
	v_mov_b32_e32 v89, 0
	v_cndmask_b32_e32 v14, v14, v84, vcc
	v_lshl_add_u32 v42, v14, 5, v86
	ds_read_b128 v[14:17], v42
	ds_read_b128 v[50:53], v42 offset:2048
	ds_read_b128 v[46:49], v42 offset:4096
	;; [unrolled: 1-line block ×3, first 2 shown]
	s_and_saveexec_b64 s[10:11], vcc
	s_cbranch_execz .LBB737_15
; %bb.14:
	s_load_dwordx2 s[14:15], s[0:1], 0x40
	v_add_u32_e32 v90, s40, v84
	v_ashrrev_i32_e32 v91, 31, v90
	s_waitcnt lgkmcnt(0)
	v_lshl_add_u64 v[90:91], v[90:91], 2, s[14:15]
	global_load_dword v89, v[90:91], off
.LBB737_15:
	s_or_b64 exec, exec, s[10:11]
	s_waitcnt vmcnt(15) lgkmcnt(3)
	v_mfma_f32_16x16x16_bf16 v[90:93], v[66:67], v[14:15], 0
	s_ashr_i32 s8, s18, 31
	s_lshr_b32 s8, s8, 27
	s_add_u32 s4, s12, s4
	v_mfma_f32_16x16x16_bf16 v[66:69], v[68:69], v[16:17], v[90:93]
	s_addc_u32 s5, s13, s5
	s_mov_b32 s33, 0xff7fffff
	s_waitcnt vmcnt(14) lgkmcnt(2)
	v_mfma_f32_16x16x16_bf16 v[66:69], v[62:63], v[50:51], v[66:69]
	v_lshl_or_b32 v90, v88, 4, v84
	v_mfma_f32_16x16x16_bf16 v[62:65], v[64:65], v[52:53], v[66:69]
	s_waitcnt vmcnt(13) lgkmcnt(1)
	v_mfma_f32_16x16x16_bf16 v[62:65], v[78:79], v[46:47], v[62:65]
	v_mfma_f32_16x16x16_bf16 v[62:65], v[80:81], v[48:49], v[62:65]
	s_waitcnt vmcnt(12) lgkmcnt(0)
	v_mfma_f32_16x16x16_bf16 v[62:65], v[74:75], v[42:43], v[62:65]
	v_and_or_b32 v74, v0, 48, s18
	v_add_u32_e32 v66, s8, v74
	v_ashrrev_i32_e32 v75, 5, v66
	s_waitcnt vmcnt(11)
	v_mfma_f32_16x16x16_bf16 v[66:69], v[70:71], v[14:15], 0
	v_cmp_gt_i32_e32 vcc, s27, v74
	v_mfma_f32_16x16x16_bf16 v[66:69], v[72:73], v[16:17], v[66:69]
	v_or_b32_e32 v72, 64, v74
	v_add_u32_e32 v73, s8, v72
	s_waitcnt vmcnt(10)
	v_mfma_f32_16x16x16_bf16 v[66:69], v[58:59], v[50:51], v[66:69]
	v_ashrrev_i32_e32 v58, 5, v73
	v_mfma_f32_16x16x16_bf16 v[62:65], v[76:77], v[44:45], v[62:65]
	v_mov_b32_e32 v76, s19
	v_cndmask_b32_e32 v70, v76, v75, vcc
	v_cmp_gt_i32_e32 vcc, s27, v72
	v_ashrrev_i32_e32 v71, 31, v70
	v_lshl_add_u64 v[70:71], v[70:71], 2, s[6:7]
	v_cndmask_b32_e32 v72, v76, v58, vcc
	v_mfma_f32_16x16x16_bf16 v[58:61], v[60:61], v[52:53], v[66:69]
	v_ashrrev_i32_e32 v73, 31, v72
	s_waitcnt vmcnt(9)
	v_mfma_f32_16x16x16_bf16 v[58:61], v[54:55], v[46:47], v[58:61]
	v_lshl_add_u64 v[66:67], v[72:73], 2, s[6:7]
	global_load_dword v68, v[70:71], off
	s_nop 0
	global_load_dword v66, v[66:67], off
	v_or_b32_e32 v67, 0x80, v74
	v_add_u32_e32 v69, s8, v67
	v_mfma_f32_16x16x16_bf16 v[54:57], v[56:57], v[48:49], v[58:61]
	v_cmp_gt_i32_e32 vcc, s27, v67
	s_nop 1
	v_ashrrev_i32_e32 v58, 5, v69
	v_cndmask_b32_e32 v58, v76, v58, vcc
	v_ashrrev_i32_e32 v59, 31, v58
	s_waitcnt vmcnt(10)
	v_mfma_f32_16x16x16_bf16 v[54:57], v[30:31], v[42:43], v[54:57]
	v_lshl_add_u64 v[30:31], v[58:59], 2, s[6:7]
	global_load_dword v70, v[30:31], off
	v_mfma_f32_16x16x16_bf16 v[58:61], v[32:33], v[44:45], v[54:57]
	s_nop 3
	v_or_b32_e32 v54, 0xc0, v74
	v_add_u32_e32 v30, s8, v54
	v_ashrrev_i32_e32 v55, 5, v30
	v_cmp_gt_i32_e32 vcc, s27, v54
	s_waitcnt vmcnt(10)
	v_mfma_f32_16x16x16_bf16 v[30:33], v[26:27], v[14:15], 0
	v_cndmask_b32_e32 v26, v76, v55, vcc
	v_ashrrev_i32_e32 v27, 31, v26
	v_lshl_add_u64 v[54:55], v[26:27], 2, s[6:7]
	global_load_dword v71, v[54:55], off
	v_mfma_f32_16x16x16_bf16 v[26:29], v[28:29], v[16:17], v[30:33]
	s_load_dword s6, s[0:1], 0x1c
	s_waitcnt vmcnt(10)
	v_mfma_f32_16x16x16_bf16 v[26:29], v[22:23], v[50:51], v[26:29]
	v_and_b32_e32 v30, 16, v0
	v_lshlrev_b32_e32 v86, 1, v30
	v_lshl_add_u64 v[74:75], s[4:5], 0, v[86:87]
	v_mfma_f32_16x16x16_bf16 v[22:25], v[24:25], v[52:53], v[26:29]
	v_lshlrev_b32_e32 v86, 6, v90
	v_lshl_add_u64 v[76:77], v[74:75], 0, v[86:87]
	v_or_b32_e32 v86, 0x1000, v86
	s_waitcnt vmcnt(9)
	v_mfma_f32_16x16x16_bf16 v[22:25], v[18:19], v[46:47], v[22:25]
	v_lshl_add_u64 v[80:81], v[74:75], 0, v[86:87]
	s_waitcnt lgkmcnt(0)
	v_pk_mul_f32 v[74:75], s[6:7], v[60:61] op_sel_hi:[0,1]
	v_mfma_f32_16x16x16_bf16 v[18:21], v[20:21], v[48:49], v[22:25]
	s_waitcnt vmcnt(8)
	v_mfma_f32_16x16x16_bf16 v[18:21], v[10:11], v[42:43], v[18:21]
	s_waitcnt vmcnt(3)
	v_mad_i64_i32 v[22:23], s[4:5], v68, s9, 0
	s_waitcnt vmcnt(2)
	v_mad_i64_i32 v[10:11], s[4:5], v66, s9, 0
	v_lshlrev_b64 v[78:79], 1, v[22:23]
	v_lshlrev_b64 v[54:55], 1, v[10:11]
	v_lshl_add_u64 v[22:23], v[76:77], 0, v[78:79]
	v_lshl_add_u64 v[10:11], v[76:77], 0, v[54:55]
	global_load_dwordx4 v[30:33], v[22:23], off
	global_load_dwordx4 v[26:29], v[22:23], off offset:16
	v_mfma_f32_16x16x16_bf16 v[66:69], v[12:13], v[44:45], v[18:21]
	global_load_dwordx4 v[22:25], v[10:11], off
	s_nop 1
	global_load_dwordx4 v[18:21], v[10:11], off offset:16
	v_mfma_f32_16x16x16_bf16 v[10:13], v[6:7], v[14:15], 0
	s_waitcnt vmcnt(5)
	v_mad_i64_i32 v[6:7], s[4:5], v70, s9, 0
	v_lshlrev_b64 v[56:57], 1, v[6:7]
	v_mfma_f32_16x16x16_bf16 v[6:9], v[8:9], v[16:17], v[10:13]
	v_mfma_f32_16x16x16_bf16 v[6:9], v[2:3], v[50:51], v[6:9]
	s_nop 1
	v_lshl_add_u64 v[10:11], v[76:77], 0, v[56:57]
	global_load_dwordx4 v[14:17], v[10:11], off
	s_nop 0
	global_load_dwordx4 v[10:13], v[10:11], off offset:16
	s_waitcnt vmcnt(6)
	v_mad_i64_i32 v[2:3], s[4:5], v71, s9, 0
	v_mfma_f32_16x16x16_bf16 v[70:73], v[4:5], v[52:53], v[6:9]
	v_pk_mul_f32 v[52:53], s[6:7], v[62:63] op_sel_hi:[0,1]
	v_lshlrev_b64 v[50:51], 1, v[2:3]
	v_lshl_add_u64 v[2:3], v[76:77], 0, v[50:51]
	v_mfma_f32_16x16x16_bf16 v[70:73], v[38:39], v[46:47], v[70:73]
	v_lshl_add_u64 v[38:39], v[80:81], 0, v[78:79]
	v_pk_mul_f32 v[78:79], s[6:7], v[64:65] op_sel_hi:[0,1]
	v_pk_mul_f32 v[76:77], s[6:7], v[58:59] op_sel_hi:[0,1]
	v_mfma_f32_16x16x16_bf16 v[46:49], v[40:41], v[48:49], v[70:73]
	v_lshl_add_u64 v[50:51], v[80:81], 0, v[50:51]
	global_load_dwordx4 v[6:9], v[2:3], off
	s_nop 0
	global_load_dwordx4 v[2:5], v[2:3], off offset:16
	v_pk_mul_f32 v[70:71], s[6:7], v[68:69] op_sel_hi:[0,1]
	v_mfma_f32_16x16x16_bf16 v[40:43], v[34:35], v[42:43], v[46:49]
	v_pk_mul_f32 v[72:73], s[6:7], v[66:67] op_sel_hi:[0,1]
	v_mfma_f32_16x16x16_bf16 v[34:37], v[36:37], v[44:45], v[40:43]
	s_nop 6
	v_pk_mul_f32 v[68:69], s[6:7], v[34:35] op_sel_hi:[0,1]
	v_and_b32_e32 v34, 0xc0, v0
	v_add_u32_e32 v34, s18, v34
	v_lshl_or_b32 v34, v1, 2, v34
	v_or_b32_e32 v35, 1, v34
	v_pk_mul_f32 v[66:67], s[6:7], v[36:37] op_sel_hi:[0,1]
	v_subrev_u32_e32 v36, s27, v35
	v_add_u32_e32 v40, 1, v36
	v_add_u32_e32 v41, 2, v36
	v_cvt_f32_i32_e32 v37, v36
	v_cvt_f32_i32_e32 v40, v40
	v_cvt_f32_i32_e32 v41, v41
	v_add_u32_e32 v42, 3, v36
	v_fma_f32 v52, v89, v37, v52
	v_fmac_f32_e32 v53, v89, v40
	v_fma_f32 v78, v89, v41, v78
	v_add_u32_e32 v37, 16, v36
	v_add_u32_e32 v40, 17, v36
	;; [unrolled: 1-line block ×3, first 2 shown]
	v_cvt_f32_i32_e32 v42, v42
	v_cvt_f32_i32_e32 v37, v37
	;; [unrolled: 1-line block ×4, first 2 shown]
	v_fmac_f32_e32 v79, v89, v42
	v_add_u32_e32 v42, 19, v36
	v_fma_f32 v76, v89, v37, v76
	v_fmac_f32_e32 v77, v89, v40
	v_fma_f32 v74, v89, v41, v74
	v_add_u32_e32 v37, 32, v36
	v_add_u32_e32 v40, 33, v36
	;; [unrolled: 1-line block ×3, first 2 shown]
	v_cvt_f32_i32_e32 v42, v42
	v_cvt_f32_i32_e32 v37, v37
	;; [unrolled: 1-line block ×4, first 2 shown]
	v_fmac_f32_e32 v75, v89, v42
	v_add_u32_e32 v42, 35, v36
	v_fma_f32 v72, v89, v37, v72
	v_fmac_f32_e32 v73, v89, v40
	v_fma_f32 v70, v89, v41, v70
	v_add_u32_e32 v37, 48, v36
	v_add_u32_e32 v40, 49, v36
	;; [unrolled: 1-line block ×4, first 2 shown]
	v_cvt_f32_i32_e32 v36, v36
	v_cvt_f32_i32_e32 v37, v37
	;; [unrolled: 1-line block ×3, first 2 shown]
	v_cmp_gt_i32_e64 s[28:29], s27, v34
	v_fmac_f32_e32 v67, v89, v36
	v_mov_b32_e32 v36, 0xff7fffff
	v_cmp_gt_i32_e64 s[30:31], s27, v35
	v_fma_f32 v68, v89, v37, v68
	v_cndmask_b32_e64 v37, v36, v52, s[28:29]
	v_cndmask_b32_e64 v35, v36, v53, s[30:31]
	v_fmac_f32_e32 v69, v89, v40
	v_max3_f32 v35, v37, s33, v35
	v_or_b32_e32 v37, 2, v34
	v_or_b32_e32 v40, 3, v34
	v_cmp_gt_i32_e64 s[34:35], s27, v37
	v_cmp_gt_i32_e64 s[36:37], s27, v40
	v_cvt_f32_i32_e32 v42, v42
	v_cndmask_b32_e64 v37, v36, v78, s[34:35]
	v_cndmask_b32_e64 v40, v36, v79, s[36:37]
	v_max3_f32 v35, v35, v37, v40
	v_or_b32_e32 v37, 16, v34
	v_or_b32_e32 v40, 17, v34
	v_cmp_gt_i32_e64 s[22:23], s27, v37
	v_cmp_gt_i32_e64 s[24:25], s27, v40
	v_fmac_f32_e32 v71, v89, v42
	v_cndmask_b32_e64 v37, v36, v76, s[22:23]
	v_cndmask_b32_e64 v40, v36, v77, s[24:25]
	v_max3_f32 v35, v35, v37, v40
	v_or_b32_e32 v37, 18, v34
	v_or_b32_e32 v40, 19, v34
	v_cmp_gt_i32_e64 s[18:19], s27, v37
	v_cmp_gt_i32_e64 s[20:21], s27, v40
	v_cvt_f32_i32_e32 v41, v41
	v_cndmask_b32_e64 v37, v36, v74, s[18:19]
	v_cndmask_b32_e64 v40, v36, v75, s[20:21]
	v_max3_f32 v35, v35, v37, v40
	v_or_b32_e32 v37, 32, v34
	v_or_b32_e32 v40, 33, v34
	v_cmp_gt_i32_e64 s[14:15], s27, v37
	v_cmp_gt_i32_e64 s[16:17], s27, v40
	v_fma_f32 v66, v89, v41, v66
	v_cndmask_b32_e64 v37, v36, v72, s[14:15]
	v_cndmask_b32_e64 v40, v36, v73, s[16:17]
	v_max3_f32 v35, v35, v37, v40
	v_or_b32_e32 v37, 34, v34
	v_or_b32_e32 v40, 35, v34
	v_cmp_gt_i32_e64 s[10:11], s27, v37
	v_cmp_gt_i32_e64 s[12:13], s27, v40
	s_nop 0
	v_cndmask_b32_e64 v37, v36, v70, s[10:11]
	v_cndmask_b32_e64 v40, v36, v71, s[12:13]
	v_max3_f32 v35, v35, v37, v40
	v_or_b32_e32 v37, 48, v34
	v_or_b32_e32 v40, 49, v34
	v_cmp_gt_i32_e64 s[6:7], s27, v37
	v_cmp_gt_i32_e64 s[8:9], s27, v40
	s_nop 0
	v_cndmask_b32_e64 v37, v36, v68, s[6:7]
	v_cndmask_b32_e64 v40, v36, v69, s[8:9]
	v_max3_f32 v35, v35, v37, v40
	v_or_b32_e32 v37, 50, v34
	v_or_b32_e32 v34, 51, v34
	v_cmp_gt_i32_e32 vcc, s27, v37
	v_cmp_gt_i32_e64 s[4:5], s27, v34
	global_load_dwordx4 v[46:49], v[38:39], off
	s_nop 0
	global_load_dwordx4 v[38:41], v[38:39], off offset:16
	v_cndmask_b32_e32 v37, v36, v66, vcc
	v_cndmask_b32_e64 v34, v36, v67, s[4:5]
	v_max3_f32 v58, v35, v37, v34
	v_mbcnt_lo_u32_b32 v34, -1, 0
	v_mbcnt_hi_u32_b32 v59, -1, v34
	v_and_b32_e32 v34, 64, v59
	v_add_u32_e32 v60, 64, v34
	v_xor_b32_e32 v34, 32, v59
	v_cmp_lt_i32_e64 s[38:39], v34, v60
	s_nop 1
	v_cndmask_b32_e64 v34, v59, v34, s[38:39]
	v_lshlrev_b32_e32 v87, 2, v34
	ds_bpermute_b32 v61, v87, v58
	v_lshl_add_u64 v[34:35], v[80:81], 0, v[54:55]
	global_load_dwordx4 v[42:45], v[34:35], off
	s_nop 0
	global_load_dwordx4 v[34:37], v[34:35], off offset:16
	s_waitcnt lgkmcnt(0)
	v_max_f32_e32 v54, v61, v61
	v_max_f32_e32 v62, v58, v54
	v_xor_b32_e32 v54, 16, v59
	v_cmp_lt_i32_e64 s[38:39], v54, v60
	s_nop 1
	v_cndmask_b32_e64 v54, v59, v54, s[38:39]
	v_lshlrev_b32_e32 v89, 2, v54
	ds_bpermute_b32 v63, v89, v62
	v_lshl_add_u64 v[54:55], v[80:81], 0, v[56:57]
	global_load_dwordx4 v[58:61], v[54:55], off
	s_nop 0
	global_load_dwordx4 v[54:57], v[54:55], off offset:16
	s_waitcnt lgkmcnt(0)
	v_max_f32_e32 v63, v63, v63
	v_max_f32_e32 v86, v62, v63
	v_sub_f32_e32 v52, v52, v86
	v_mul_f32_e32 v52, 0x3fb8aa3b, v52
	v_exp_f32_e32 v80, v52
	v_sub_f32_e32 v52, v53, v86
	v_mul_f32_e32 v52, 0x3fb8aa3b, v52
	v_exp_f32_e32 v81, v52
	global_load_dwordx4 v[62:65], v[50:51], off
	s_nop 0
	global_load_dwordx4 v[50:53], v[50:51], off offset:16
	v_sub_f32_e32 v78, v78, v86
	v_mul_f32_e32 v78, 0x3fb8aa3b, v78
	v_sub_f32_e32 v79, v79, v86
	v_exp_f32_e32 v78, v78
	v_mul_f32_e32 v79, 0x3fb8aa3b, v79
	v_sub_f32_e32 v76, v76, v86
	v_exp_f32_e32 v79, v79
	v_mul_f32_e32 v76, 0x3fb8aa3b, v76
	v_sub_f32_e32 v77, v77, v86
	v_cndmask_b32_e64 v80, 0, v80, s[28:29]
	v_exp_f32_e32 v76, v76
	v_mul_f32_e32 v77, 0x3fb8aa3b, v77
	v_sub_f32_e32 v74, v74, v86
	v_add_f32_e32 v91, 0, v80
	v_cndmask_b32_e64 v81, 0, v81, s[30:31]
	v_exp_f32_e32 v77, v77
	v_mul_f32_e32 v74, 0x3fb8aa3b, v74
	v_sub_f32_e32 v75, v75, v86
	v_add_f32_e32 v91, v91, v81
	;; [unrolled: 5-line block ×10, first 2 shown]
	v_cndmask_b32_e64 v70, 0, v70, s[10:11]
	v_exp_f32_e32 v66, v66
	v_mul_f32_e32 v67, 0x3fb8aa3b, v67
	v_add_f32_e32 v91, v91, v70
	v_cndmask_b32_e64 v71, 0, v71, s[12:13]
	v_exp_f32_e32 v67, v67
	v_add_f32_e32 v91, v91, v71
	v_cndmask_b32_e64 v68, 0, v68, s[6:7]
	v_add_f32_e32 v91, v91, v68
	v_cndmask_b32_e64 v69, 0, v69, s[8:9]
	v_add_f32_e32 v91, v91, v69
	v_cndmask_b32_e32 v66, 0, v66, vcc
	v_add_f32_e32 v91, v91, v66
	v_cndmask_b32_e64 v67, 0, v67, s[4:5]
	v_add_f32_e32 v91, v91, v67
	ds_bpermute_b32 v87, v87, v91
	s_load_dword s7, s[0:1], 0x98
	v_cmp_gt_u32_e32 vcc, 16, v85
	s_waitcnt lgkmcnt(0)
	s_barrier
	v_add_f32_e32 v87, v91, v87
	ds_bpermute_b32 v89, v89, v87
	s_waitcnt lgkmcnt(0)
	s_and_saveexec_b64 s[4:5], vcc
	s_cbranch_execz .LBB737_17
; %bb.16:
	v_add_f32_e32 v85, v87, v89
	v_lshlrev_b32_e32 v87, 2, v90
	ds_write2st64_b32 v87, v86, v85 offset1:1
.LBB737_17:
	s_or_b64 exec, exec, s[4:5]
	v_lshlrev_b32_e32 v85, 2, v84
	s_load_dword s6, s[0:1], 0x94
	s_waitcnt lgkmcnt(0)
	s_barrier
	ds_read2_b32 v[90:91], v85 offset1:16
	ds_read2_b32 v[92:93], v85 offset0:32 offset1:48
	ds_read2_b32 v[94:95], v85 offset0:64 offset1:80
	s_movk_i32 s8, 0x7fff
	s_mov_b32 s9, 0x7060302
	s_waitcnt lgkmcnt(2)
	v_max3_f32 v86, v90, s33, v91
	s_waitcnt lgkmcnt(1)
	v_max3_f32 v86, v86, v92, v93
	v_sub_f32_e32 v87, v90, v86
	v_mul_f32_e32 v87, 0x3fb8aa3b, v87
	v_exp_f32_e32 v89, v87
	v_sub_f32_e32 v87, v91, v86
	v_mul_f32_e32 v87, 0x3fb8aa3b, v87
	v_exp_f32_e32 v88, v87
	v_sub_f32_e32 v87, v92, v86
	v_mul_f32_e32 v87, 0x3fb8aa3b, v87
	ds_read2_b32 v[90:91], v85 offset0:96 offset1:112
	v_sub_f32_e32 v85, v93, v86
	v_exp_f32_e32 v92, v87
	v_mul_f32_e32 v85, 0x3fb8aa3b, v85
	v_exp_f32_e32 v85, v85
	s_waitcnt lgkmcnt(1)
	v_fma_f32 v87, v89, v94, 0
	v_fmac_f32_e32 v87, v88, v95
	s_waitcnt lgkmcnt(0)
	v_fmac_f32_e32 v87, v92, v90
	v_fmac_f32_e32 v87, v85, v91
	v_add_f32_e32 v90, 0x358637bd, v87
	v_div_scale_f32 v91, s[4:5], v90, v90, 1.0
	v_rcp_f32_e32 v93, v91
	s_mul_i32 s7, s7, 10
	s_barrier
	v_fma_f32 v94, -v91, v93, 1.0
	v_fmac_f32_e32 v93, v94, v93
	v_div_scale_f32 v94, vcc, 1.0, v90, 1.0
	v_mul_f32_e32 v95, v94, v93
	v_fma_f32 v1, -v91, v95, v94
	v_fmac_f32_e32 v95, v1, v93
	v_fma_f32 v1, -v91, v95, v94
	v_lshrrev_b32_e32 v91, 6, v0
	v_div_fmas_f32 v1, v1, v93, v95
	v_cmp_eq_u32_e32 vcc, 1, v91
	v_div_fixup_f32 v1, v1, v90, 1.0
	s_nop 0
	v_cndmask_b32_e32 v88, v89, v88, vcc
	v_cmp_eq_u32_e32 vcc, 2, v91
	s_nop 1
	v_cndmask_b32_e32 v88, v88, v92, vcc
	v_cmp_eq_u32_e32 vcc, 3, v91
	s_nop 1
	v_cndmask_b32_e32 v85, v88, v85, vcc
	v_mul_f32_e32 v90, v85, v1
	v_pk_mul_f32 v[80:81], v[90:91], v[80:81] op_sel_hi:[0,1]
	v_bfe_u32 v1, v81, 16, 1
	v_bfe_u32 v85, v80, 16, 1
	v_pk_mul_f32 v[78:79], v[90:91], v[78:79] op_sel_hi:[0,1]
	v_add3_u32 v80, v80, v85, s8
	v_add3_u32 v1, v81, v1, s8
	v_perm_b32 v80, v1, v80, s9
	v_bfe_u32 v1, v79, 16, 1
	v_bfe_u32 v81, v78, 16, 1
	v_add3_u32 v78, v78, v81, s8
	v_add3_u32 v1, v79, v1, s8
	v_bfe_u32 v88, v0, 4, 2
	v_perm_b32 v81, v1, v78, s9
	v_lshlrev_b32_e32 v1, 3, v88
	v_lshlrev_b32_e32 v78, 5, v84
	v_lshlrev_b32_e32 v79, 11, v91
	v_pk_mul_f32 v[76:77], v[90:91], v[76:77] op_sel_hi:[0,1]
	v_or3_b32 v1, v79, v78, v1
	v_bfe_u32 v79, v77, 16, 1
	v_bfe_u32 v85, v76, 16, 1
	v_pk_mul_f32 v[74:75], v[90:91], v[74:75] op_sel_hi:[0,1]
	v_add3_u32 v76, v76, v85, s8
	v_add3_u32 v77, v77, v79, s8
	v_perm_b32 v76, v77, v76, s9
	v_bfe_u32 v77, v75, 16, 1
	v_bfe_u32 v79, v74, 16, 1
	v_add3_u32 v74, v74, v79, s8
	v_add3_u32 v75, v75, v77, s8
	v_pk_mul_f32 v[72:73], v[90:91], v[72:73] op_sel_hi:[0,1]
	v_perm_b32 v77, v75, v74, s9
	v_bfe_u32 v74, v73, 16, 1
	v_bfe_u32 v75, v72, 16, 1
	v_pk_mul_f32 v[70:71], v[90:91], v[70:71] op_sel_hi:[0,1]
	v_add3_u32 v72, v72, v75, s8
	v_add3_u32 v73, v73, v74, s8
	v_perm_b32 v72, v73, v72, s9
	v_bfe_u32 v73, v71, 16, 1
	v_bfe_u32 v74, v70, 16, 1
	v_add3_u32 v70, v70, v74, s8
	v_add3_u32 v71, v71, v73, s8
	v_pk_mul_f32 v[68:69], v[90:91], v[68:69] op_sel_hi:[0,1]
	v_perm_b32 v73, v71, v70, s9
	v_bfe_u32 v70, v69, 16, 1
	v_bfe_u32 v71, v68, 16, 1
	v_pk_mul_f32 v[66:67], v[90:91], v[66:67] op_sel_hi:[0,1]
	v_add3_u32 v68, v68, v71, s8
	v_add3_u32 v69, v69, v70, s8
	v_perm_b32 v68, v69, v68, s9
	v_bfe_u32 v69, v67, 16, 1
	v_bfe_u32 v70, v66, 16, 1
	v_add3_u32 v66, v66, v70, s8
	v_add3_u32 v67, v67, v69, s8
	v_perm_b32 v69, v67, v66, s9
	v_cmp_gt_u32_e32 vcc, 10, v0
	ds_write2st64_b64 v1, v[80:81], v[76:77] offset1:1
	ds_write2st64_b64 v1, v[72:73], v[68:69] offset0:2 offset1:3
	s_and_saveexec_b64 s[4:5], vcc
	s_cbranch_execz .LBB737_19
; %bb.18:
	s_mov_b32 s41, 0
	v_mov_b32_e32 v85, 0
	v_lshl_add_u64 v[66:67], s[40:41], 0, v[84:85]
	v_mov_b32_e32 v68, s7
	v_mad_u64_u32 v[66:67], s[10:11], s2, v68, v[66:67]
	s_mul_i32 s3, s3, s7
	v_mov_b32_e32 v68, s26
	v_mov_b32_e32 v69, v85
	s_load_dwordx4 s[12:15], s[0:1], 0x58
	v_add_u32_e32 v70, s3, v67
	v_mad_u64_u32 v[66:67], s[10:11], v66, s6, v[68:69]
	v_mov_b32_e32 v68, v67
	v_mad_u64_u32 v[68:69], s[10:11], v70, s6, v[68:69]
	v_mov_b32_e32 v67, v68
	v_lshlrev_b64 v[66:67], 2, v[66:67]
	s_waitcnt lgkmcnt(0)
	v_lshl_add_u64 v[68:69], s[14:15], 0, v[66:67]
	v_lshl_add_u64 v[66:67], s[12:13], 0, v[66:67]
	global_store_dword v[68:69], v86, off
	global_store_dword v[66:67], v87, off
.LBB737_19:
	s_or_b64 exec, exec, s[4:5]
	v_lshl_or_b32 v78, v88, 9, v78
	s_waitcnt lgkmcnt(0)
	s_barrier
	ds_read_b128 v[70:73], v78
	ds_read_b128 v[66:69], v78 offset:16
	s_waitcnt vmcnt(15) lgkmcnt(1)
	v_mfma_f32_16x16x16_bf16 v[74:77], v[30:31], v[70:71], 0
	s_mov_b32 s3, 0
	v_cmp_gt_u32_e32 vcc, 64, v0
	v_mfma_f32_16x16x16_bf16 v[30:33], v[32:33], v[72:73], v[74:77]
	s_waitcnt vmcnt(14) lgkmcnt(0)
	v_mfma_f32_16x16x16_bf16 v[30:33], v[26:27], v[66:67], v[30:33]
	v_mfma_f32_16x16x16_bf16 v[26:29], v[28:29], v[68:69], v[30:33]
	s_nop 5
	ds_read_b128 v[30:33], v78 offset:2048
	ds_read_b128 v[74:77], v78 offset:2064
	s_waitcnt vmcnt(13) lgkmcnt(1)
	v_mfma_f32_16x16x16_bf16 v[26:29], v[22:23], v[30:31], v[26:29]
	v_mfma_f32_16x16x16_bf16 v[22:25], v[24:25], v[32:33], v[26:29]
	s_waitcnt vmcnt(12) lgkmcnt(0)
	v_mfma_f32_16x16x16_bf16 v[22:25], v[18:19], v[74:75], v[22:25]
	v_mfma_f32_16x16x16_bf16 v[18:21], v[20:21], v[76:77], v[22:25]
	s_nop 5
	ds_read_b128 v[22:25], v78 offset:4096
	ds_read_b128 v[26:29], v78 offset:4112
	s_waitcnt vmcnt(11) lgkmcnt(1)
	v_mfma_f32_16x16x16_bf16 v[18:21], v[14:15], v[22:23], v[18:21]
	v_mfma_f32_16x16x16_bf16 v[14:17], v[16:17], v[24:25], v[18:21]
	s_waitcnt vmcnt(10) lgkmcnt(0)
	v_mfma_f32_16x16x16_bf16 v[14:17], v[10:11], v[26:27], v[14:17]
	v_mfma_f32_16x16x16_bf16 v[10:13], v[12:13], v[28:29], v[14:17]
	s_nop 5
	ds_read_b128 v[14:17], v78 offset:6144
	ds_read_b128 v[18:21], v78 offset:6160
	s_waitcnt lgkmcnt(0)
	s_barrier
	s_waitcnt vmcnt(9)
	v_mfma_f32_16x16x16_bf16 v[10:13], v[6:7], v[14:15], v[10:13]
	v_mfma_f32_16x16x16_bf16 v[6:9], v[8:9], v[16:17], v[10:13]
	s_waitcnt vmcnt(8)
	v_mfma_f32_16x16x16_bf16 v[6:9], v[2:3], v[18:19], v[6:9]
	v_mfma_f32_16x16x16_bf16 v[2:5], v[4:5], v[20:21], v[6:9]
	s_waitcnt vmcnt(7)
	v_mfma_f32_16x16x16_bf16 v[6:9], v[46:47], v[70:71], 0
	v_mfma_f32_16x16x16_bf16 v[6:9], v[48:49], v[72:73], v[6:9]
	s_nop 3
	v_bfe_u32 v10, v3, 16, 1
	v_bfe_u32 v11, v2, 16, 1
	v_add3_u32 v2, v2, v11, s8
	s_waitcnt vmcnt(6)
	v_mfma_f32_16x16x16_bf16 v[6:9], v[38:39], v[66:67], v[6:9]
	v_add3_u32 v3, v3, v10, s8
	v_perm_b32 v10, v3, v2, s9
	v_bfe_u32 v2, v5, 16, 1
	v_mfma_f32_16x16x16_bf16 v[6:9], v[40:41], v[68:69], v[6:9]
	v_bfe_u32 v3, v4, 16, 1
	v_add3_u32 v3, v4, v3, s8
	v_add3_u32 v2, v5, v2, s8
	s_waitcnt vmcnt(5)
	v_mfma_f32_16x16x16_bf16 v[6:9], v[42:43], v[30:31], v[6:9]
	v_perm_b32 v11, v2, v3, s9
	v_mfma_f32_16x16x16_bf16 v[6:9], v[44:45], v[32:33], v[6:9]
	s_waitcnt vmcnt(4)
	v_mfma_f32_16x16x16_bf16 v[6:9], v[34:35], v[74:75], v[6:9]
	v_mfma_f32_16x16x16_bf16 v[6:9], v[36:37], v[76:77], v[6:9]
	s_waitcnt vmcnt(3)
	v_mfma_f32_16x16x16_bf16 v[6:9], v[58:59], v[22:23], v[6:9]
	;; [unrolled: 3-line block ×5, first 2 shown]
	v_mfma_f32_16x16x16_bf16 v[2:5], v[52:53], v[20:21], v[6:9]
	s_nop 6
	v_bfe_u32 v6, v3, 16, 1
	v_bfe_u32 v7, v2, 16, 1
	v_add3_u32 v2, v2, v7, s8
	v_add3_u32 v3, v3, v6, s8
	v_perm_b32 v2, v3, v2, s9
	v_bfe_u32 v3, v5, 16, 1
	v_bfe_u32 v6, v4, 16, 1
	v_add3_u32 v4, v4, v6, s8
	v_add3_u32 v3, v5, v3, s8
	v_perm_b32 v3, v3, v4, s9
	ds_write2st64_b64 v1, v[10:11], v[2:3] offset1:1
	s_waitcnt lgkmcnt(0)
	s_barrier
	s_and_saveexec_b64 s[4:5], vcc
	s_cbranch_execz .LBB737_22
; %bb.20:
	s_load_dwordx2 s[4:5], s[0:1], 0x68
	s_lshl_b32 s0, s6, 7
	s_mul_i32 s1, s7, s2
	v_lshlrev_b32_e32 v3, 6, v84
	s_mul_hi_u32 s7, s1, s0
	s_mul_i32 s6, s1, s0
	v_lshlrev_b32_e32 v2, 4, v0
	v_lshl_or_b32 v0, v0, 10, v3
	s_lshl_b64 s[6:7], s[6:7], 1
	v_lshlrev_b32_e32 v1, 5, v88
	v_and_b32_e32 v2, 16, v2
	v_and_b32_e32 v0, 0x1a00, v0
	s_waitcnt lgkmcnt(0)
	s_add_u32 s1, s4, s6
	v_or3_b32 v2, v0, v1, v2
	s_addc_u32 s4, s5, s7
	s_lshl_b32 s2, s26, 7
	s_lshl_b64 s[2:3], s[2:3], 1
	ds_read_b128 v[4:7], v2 offset:128
	ds_read_b128 v[8:11], v2
	s_add_u32 s2, s1, s2
	s_addc_u32 s3, s4, s3
	v_add_u32_e32 v14, s40, v88
	v_lshl_add_u64 v[0:1], v[82:83], 1, s[2:3]
	v_mad_u64_u32 v[12:13], s[2:3], v14, s0, 0
	v_lshl_add_u64 v[12:13], v[12:13], 1, v[0:1]
	s_waitcnt lgkmcnt(0)
	global_store_dwordx4 v[12:13], v[8:11], off
	v_or_b32_e32 v3, 8, v88
	v_cmp_gt_u32_e32 vcc, 10, v3
	v_add_u32_e32 v8, 4, v14
	v_mad_u64_u32 v[8:9], s[2:3], v8, s0, 0
	v_lshl_add_u64 v[8:9], v[8:9], 1, v[0:1]
	global_store_dwordx4 v[8:9], v[4:7], off
	s_and_b64 exec, exec, vcc
	s_cbranch_execz .LBB737_22
; %bb.21:
	ds_read_b128 v[4:7], v2 offset:256
	v_add_u32_e32 v2, s40, v3
	v_mad_u64_u32 v[2:3], s[0:1], v2, s0, 0
	v_lshl_add_u64 v[0:1], v[2:3], 1, v[0:1]
	s_waitcnt lgkmcnt(0)
	global_store_dwordx4 v[0:1], v[4:7], off
.LBB737_22:
	s_endpgm
	.section	.rodata,"a",@progbits
	.p2align	6, 0x0
	.amdhsa_kernel _Z39paged_attention_ll4mi_QKV_mfma16_kernelI14__hip_bfloat16S0_LN4vllm18Fp8KVCacheDataTypeE0ES0_Li32ELi128ELi256ELb1ELi10EEvPKT_PKT0_S8_ifPKiSA_SA_iPKfiiiPfSD_PS3_PT2_iSC_SC_
		.amdhsa_group_segment_fixed_size 8192
		.amdhsa_private_segment_fixed_size 0
		.amdhsa_kernarg_size 400
		.amdhsa_user_sgpr_count 2
		.amdhsa_user_sgpr_dispatch_ptr 0
		.amdhsa_user_sgpr_queue_ptr 0
		.amdhsa_user_sgpr_kernarg_segment_ptr 1
		.amdhsa_user_sgpr_dispatch_id 0
		.amdhsa_user_sgpr_kernarg_preload_length 0
		.amdhsa_user_sgpr_kernarg_preload_offset 0
		.amdhsa_user_sgpr_private_segment_size 0
		.amdhsa_uses_dynamic_stack 0
		.amdhsa_enable_private_segment 0
		.amdhsa_system_sgpr_workgroup_id_x 1
		.amdhsa_system_sgpr_workgroup_id_y 1
		.amdhsa_system_sgpr_workgroup_id_z 1
		.amdhsa_system_sgpr_workgroup_info 0
		.amdhsa_system_vgpr_workitem_id 0
		.amdhsa_next_free_vgpr 96
		.amdhsa_next_free_sgpr 42
		.amdhsa_accum_offset 96
		.amdhsa_reserve_vcc 1
		.amdhsa_float_round_mode_32 0
		.amdhsa_float_round_mode_16_64 0
		.amdhsa_float_denorm_mode_32 3
		.amdhsa_float_denorm_mode_16_64 3
		.amdhsa_dx10_clamp 1
		.amdhsa_ieee_mode 1
		.amdhsa_fp16_overflow 0
		.amdhsa_tg_split 0
		.amdhsa_exception_fp_ieee_invalid_op 0
		.amdhsa_exception_fp_denorm_src 0
		.amdhsa_exception_fp_ieee_div_zero 0
		.amdhsa_exception_fp_ieee_overflow 0
		.amdhsa_exception_fp_ieee_underflow 0
		.amdhsa_exception_fp_ieee_inexact 0
		.amdhsa_exception_int_div_zero 0
	.end_amdhsa_kernel
	.section	.text._Z39paged_attention_ll4mi_QKV_mfma16_kernelI14__hip_bfloat16S0_LN4vllm18Fp8KVCacheDataTypeE0ES0_Li32ELi128ELi256ELb1ELi10EEvPKT_PKT0_S8_ifPKiSA_SA_iPKfiiiPfSD_PS3_PT2_iSC_SC_,"axG",@progbits,_Z39paged_attention_ll4mi_QKV_mfma16_kernelI14__hip_bfloat16S0_LN4vllm18Fp8KVCacheDataTypeE0ES0_Li32ELi128ELi256ELb1ELi10EEvPKT_PKT0_S8_ifPKiSA_SA_iPKfiiiPfSD_PS3_PT2_iSC_SC_,comdat
.Lfunc_end737:
	.size	_Z39paged_attention_ll4mi_QKV_mfma16_kernelI14__hip_bfloat16S0_LN4vllm18Fp8KVCacheDataTypeE0ES0_Li32ELi128ELi256ELb1ELi10EEvPKT_PKT0_S8_ifPKiSA_SA_iPKfiiiPfSD_PS3_PT2_iSC_SC_, .Lfunc_end737-_Z39paged_attention_ll4mi_QKV_mfma16_kernelI14__hip_bfloat16S0_LN4vllm18Fp8KVCacheDataTypeE0ES0_Li32ELi128ELi256ELb1ELi10EEvPKT_PKT0_S8_ifPKiSA_SA_iPKfiiiPfSD_PS3_PT2_iSC_SC_
                                        ; -- End function
	.section	.AMDGPU.csdata,"",@progbits
; Kernel info:
; codeLenInByte = 5192
; NumSgprs: 48
; NumVgprs: 96
; NumAgprs: 0
; TotalNumVgprs: 96
; ScratchSize: 0
; MemoryBound: 0
; FloatMode: 240
; IeeeMode: 1
; LDSByteSize: 8192 bytes/workgroup (compile time only)
; SGPRBlocks: 5
; VGPRBlocks: 11
; NumSGPRsForWavesPerEU: 48
; NumVGPRsForWavesPerEU: 96
; AccumOffset: 96
; Occupancy: 5
; WaveLimiterHint : 1
; COMPUTE_PGM_RSRC2:SCRATCH_EN: 0
; COMPUTE_PGM_RSRC2:USER_SGPR: 2
; COMPUTE_PGM_RSRC2:TRAP_HANDLER: 0
; COMPUTE_PGM_RSRC2:TGID_X_EN: 1
; COMPUTE_PGM_RSRC2:TGID_Y_EN: 1
; COMPUTE_PGM_RSRC2:TGID_Z_EN: 1
; COMPUTE_PGM_RSRC2:TIDIG_COMP_CNT: 0
; COMPUTE_PGM_RSRC3_GFX90A:ACCUM_OFFSET: 23
; COMPUTE_PGM_RSRC3_GFX90A:TG_SPLIT: 0
	.section	.text._Z39paged_attention_ll4mi_QKV_mfma16_kernelI14__hip_bfloat16S0_LN4vllm18Fp8KVCacheDataTypeE0ES0_Li32ELi128ELi256ELb1ELi11EEvPKT_PKT0_S8_ifPKiSA_SA_iPKfiiiPfSD_PS3_PT2_iSC_SC_,"axG",@progbits,_Z39paged_attention_ll4mi_QKV_mfma16_kernelI14__hip_bfloat16S0_LN4vllm18Fp8KVCacheDataTypeE0ES0_Li32ELi128ELi256ELb1ELi11EEvPKT_PKT0_S8_ifPKiSA_SA_iPKfiiiPfSD_PS3_PT2_iSC_SC_,comdat
	.protected	_Z39paged_attention_ll4mi_QKV_mfma16_kernelI14__hip_bfloat16S0_LN4vllm18Fp8KVCacheDataTypeE0ES0_Li32ELi128ELi256ELb1ELi11EEvPKT_PKT0_S8_ifPKiSA_SA_iPKfiiiPfSD_PS3_PT2_iSC_SC_ ; -- Begin function _Z39paged_attention_ll4mi_QKV_mfma16_kernelI14__hip_bfloat16S0_LN4vllm18Fp8KVCacheDataTypeE0ES0_Li32ELi128ELi256ELb1ELi11EEvPKT_PKT0_S8_ifPKiSA_SA_iPKfiiiPfSD_PS3_PT2_iSC_SC_
	.globl	_Z39paged_attention_ll4mi_QKV_mfma16_kernelI14__hip_bfloat16S0_LN4vllm18Fp8KVCacheDataTypeE0ES0_Li32ELi128ELi256ELb1ELi11EEvPKT_PKT0_S8_ifPKiSA_SA_iPKfiiiPfSD_PS3_PT2_iSC_SC_
	.p2align	8
	.type	_Z39paged_attention_ll4mi_QKV_mfma16_kernelI14__hip_bfloat16S0_LN4vllm18Fp8KVCacheDataTypeE0ES0_Li32ELi128ELi256ELb1ELi11EEvPKT_PKT0_S8_ifPKiSA_SA_iPKfiiiPfSD_PS3_PT2_iSC_SC_,@function
_Z39paged_attention_ll4mi_QKV_mfma16_kernelI14__hip_bfloat16S0_LN4vllm18Fp8KVCacheDataTypeE0ES0_Li32ELi128ELi256ELb1ELi11EEvPKT_PKT0_S8_ifPKiSA_SA_iPKfiiiPfSD_PS3_PT2_iSC_SC_: ; @_Z39paged_attention_ll4mi_QKV_mfma16_kernelI14__hip_bfloat16S0_LN4vllm18Fp8KVCacheDataTypeE0ES0_Li32ELi128ELi256ELb1ELi11EEvPKT_PKT0_S8_ifPKiSA_SA_iPKfiiiPfSD_PS3_PT2_iSC_SC_
; %bb.0:
	s_load_dwordx2 s[8:9], s[0:1], 0x30
	s_mov_b32 s26, s3
	s_mov_b64 s[6:7], 0
	s_waitcnt lgkmcnt(0)
	s_cmp_lg_u64 s[8:9], 0
	s_cselect_b64 s[10:11], -1, 0
	s_and_b64 vcc, exec, s[10:11]
	s_cbranch_vccz .LBB738_7
; %bb.1:
	s_add_i32 s12, s2, 1
	s_mov_b32 s13, 0
	s_lshl_b64 s[14:15], s[12:13], 2
	s_add_u32 s14, s8, s14
	s_mov_b32 s3, s13
	s_addc_u32 s15, s9, s15
	s_lshl_b64 s[12:13], s[2:3], 2
	s_add_u32 s12, s8, s12
	s_addc_u32 s13, s9, s13
	s_load_dword s5, s[14:15], 0x0
	s_load_dword s16, s[12:13], 0x0
	s_waitcnt lgkmcnt(0)
	s_sub_i32 s5, s5, s16
	s_cmp_eq_u32 s5, 1
	s_cselect_b64 s[12:13], -1, 0
	s_andn2_b64 vcc, exec, s[6:7]
	s_cbranch_vccnz .LBB738_3
.LBB738_2:
	s_mov_b32 s3, 0
	s_mov_b64 s[12:13], -1
.LBB738_3:
	s_andn2_b64 vcc, exec, s[12:13]
	s_cbranch_vccnz .LBB738_22
; %bb.4:
	s_load_dwordx2 s[6:7], s[0:1], 0x28
	s_lshl_b64 s[12:13], s[2:3], 2
	s_waitcnt lgkmcnt(0)
	s_add_u32 s6, s6, s12
	s_addc_u32 s7, s7, s13
	s_load_dword s27, s[6:7], 0x0
	s_lshl_b32 s18, s26, 8
	s_waitcnt lgkmcnt(0)
	s_cmp_ge_i32 s18, s27
	s_cbranch_scc1 .LBB738_22
; %bb.5:
	s_load_dwordx2 s[6:7], s[0:1], 0x20
	s_load_dword s5, s[0:1], 0x38
	s_add_i32 s14, s27, 31
	s_ashr_i32 s15, s14, 31
	v_and_b32_e32 v1, 0xcf, v0
	s_lshr_b32 s15, s15, 27
	v_add_u32_e32 v1, s18, v1
	s_add_i32 s14, s14, s15
	v_ashrrev_i32_e32 v2, 31, v1
	s_ashr_i32 s19, s14, 5
	v_lshrrev_b32_e32 v4, 27, v2
	s_add_i32 s19, s19, -1
	s_waitcnt lgkmcnt(0)
	s_mul_i32 s14, s2, s5
	s_mov_b32 s15, 0
	v_add_u32_e32 v2, v1, v4
	s_lshl_b64 s[14:15], s[14:15], 2
	v_ashrrev_i32_e32 v2, 5, v2
	v_mov_b32_e32 v5, s19
	v_cmp_gt_i32_e32 vcc, s27, v1
	s_add_u32 s6, s6, s14
	s_addc_u32 s7, s7, s15
	v_cndmask_b32_e32 v2, v5, v2, vcc
	v_ashrrev_i32_e32 v3, 31, v2
	v_lshl_add_u64 v[6:7], v[2:3], 2, s[6:7]
	v_or_b32_e32 v2, 16, v1
	v_add_u32_e32 v3, v2, v4
	v_ashrrev_i32_e32 v3, 5, v3
	v_cmp_gt_i32_e32 vcc, s27, v2
	s_nop 1
	v_cndmask_b32_e32 v2, v5, v3, vcc
	v_ashrrev_i32_e32 v3, 31, v2
	v_lshl_add_u64 v[8:9], v[2:3], 2, s[6:7]
	v_or_b32_e32 v2, 32, v1
	v_add_u32_e32 v3, v2, v4
	v_ashrrev_i32_e32 v3, 5, v3
	v_cmp_gt_i32_e32 vcc, s27, v2
	v_or_b32_e32 v1, 48, v1
	s_nop 0
	v_cndmask_b32_e32 v2, v5, v3, vcc
	v_ashrrev_i32_e32 v3, 31, v2
	v_lshl_add_u64 v[10:11], v[2:3], 2, s[6:7]
	v_add_u32_e32 v2, v1, v4
	v_ashrrev_i32_e32 v2, 5, v2
	v_cmp_gt_i32_e32 vcc, s27, v1
	s_nop 1
	v_cndmask_b32_e32 v2, v5, v2, vcc
	v_ashrrev_i32_e32 v3, 31, v2
	v_lshl_add_u64 v[12:13], v[2:3], 2, s[6:7]
	global_load_dword v5, v[6:7], off
	global_load_dword v4, v[8:9], off
	;; [unrolled: 1-line block ×4, first 2 shown]
	s_andn2_b64 vcc, exec, s[10:11]
	s_cbranch_vccnz .LBB738_8
; %bb.6:
	s_add_u32 s8, s8, s12
	s_addc_u32 s9, s9, s13
	s_load_dword s5, s[8:9], 0x0
	s_branch .LBB738_9
.LBB738_7:
	s_mov_b64 s[12:13], 0
	s_branch .LBB738_2
.LBB738_8:
	s_mov_b32 s5, s2
.LBB738_9:
	s_load_dwordx2 s[14:15], s[0:1], 0x8
	s_load_dwordx4 s[8:11], s[0:1], 0x48
	v_lshrrev_b32_e32 v88, 6, v0
	v_bfe_u32 v1, v0, 4, 2
	v_lshl_or_b32 v6, v88, 2, v1
	v_and_b32_e32 v84, 15, v0
	v_lshlrev_b32_e32 v82, 3, v84
	v_cmp_lt_u32_e32 vcc, 10, v6
	s_and_saveexec_b64 s[12:13], vcc
	s_xor_b64 s[12:13], exec, s[12:13]
; %bb.10:
	v_mov_b32_e32 v83, 0
                                        ; implicit-def: $vgpr6
; %bb.11:
	s_or_saveexec_b64 s[16:17], s[12:13]
	s_load_dwordx2 s[12:13], s[0:1], 0x10
	s_mul_i32 s40, s4, 11
	s_xor_b64 exec, exec, s[16:17]
	s_cbranch_execz .LBB738_13
; %bb.12:
	s_load_dwordx2 s[20:21], s[0:1], 0x0
	s_waitcnt lgkmcnt(0)
	s_ashr_i32 s11, s8, 31
	s_mul_hi_u32 s22, s5, s8
	s_mul_i32 s11, s5, s11
	s_add_i32 s23, s22, s11
	s_mul_i32 s22, s5, s8
	s_lshl_b64 s[22:23], s[22:23], 1
	s_add_u32 s20, s20, s22
	v_add_lshl_u32 v8, v6, s40, 7
	s_addc_u32 s21, s21, s23
	v_ashrrev_i32_e32 v9, 31, v8
	v_mov_b32_e32 v83, 0
	v_lshl_add_u64 v[8:9], v[8:9], 1, s[20:21]
	v_lshlrev_b32_e32 v10, 1, v82
	v_mov_b32_e32 v11, v83
	v_lshl_add_u64 v[8:9], v[8:9], 0, v[10:11]
	global_load_dwordx4 v[8:11], v[8:9], off
	v_and_b32_e32 v7, 3, v0
	v_lshlrev_b32_e32 v12, 9, v84
	v_lshlrev_b32_e32 v6, 5, v6
	;; [unrolled: 1-line block ×3, first 2 shown]
	v_and_b32_e32 v12, 0x1800, v12
	v_or3_b32 v6, v12, v7, v6
	s_waitcnt vmcnt(0)
	ds_write_b128 v6, v[8:11]
.LBB738_13:
	s_or_b64 exec, exec, s[16:17]
	s_waitcnt lgkmcnt(0)
	s_mul_i32 s4, s4, s10
	s_mov_b32 s5, 0
	s_lshl_b64 s[4:5], s[4:5], 1
	s_add_u32 s10, s14, s4
	s_addc_u32 s11, s15, s5
	s_waitcnt vmcnt(3)
	v_mad_i64_i32 v[6:7], s[14:15], v5, s9, 0
	v_lshl_add_u64 v[6:7], v[6:7], 1, s[10:11]
	v_lshlrev_b64 v[8:9], 1, v[82:83]
	v_lshlrev_b32_e32 v86, 9, v1
	v_lshl_add_u64 v[6:7], v[6:7], 0, v[8:9]
	v_mov_b32_e32 v87, 0
	v_lshl_add_u64 v[10:11], v[6:7], 0, v[86:87]
	v_or_b32_e32 v14, 0x1000, v86
	v_mov_b32_e32 v15, v87
	v_or_b32_e32 v16, 0x1800, v86
	v_mov_b32_e32 v17, v87
	s_barrier
	global_load_dwordx4 v[66:69], v[10:11], off
	global_load_dwordx4 v[62:65], v[10:11], off offset:2048
	v_lshl_add_u64 v[10:11], v[6:7], 0, v[14:15]
	v_lshl_add_u64 v[6:7], v[6:7], 0, v[16:17]
	global_load_dwordx4 v[78:81], v[10:11], off
	global_load_dwordx4 v[74:77], v[6:7], off
	s_waitcnt vmcnt(6)
	v_mad_i64_i32 v[4:5], s[14:15], v4, s9, 0
	v_mov_b32_e32 v6, 0x100
	v_lshl_add_u64 v[4:5], v[4:5], 1, s[10:11]
	v_lshl_or_b32 v6, v84, 4, v6
	v_mov_b32_e32 v7, v87
	v_lshl_add_u64 v[4:5], v[4:5], 0, v[6:7]
	v_lshl_add_u64 v[10:11], v[4:5], 0, v[86:87]
	global_load_dwordx4 v[70:73], v[10:11], off
	global_load_dwordx4 v[58:61], v[10:11], off offset:2048
	v_lshl_add_u64 v[10:11], v[4:5], 0, v[14:15]
	v_lshl_add_u64 v[4:5], v[4:5], 0, v[16:17]
	global_load_dwordx4 v[54:57], v[10:11], off
	global_load_dwordx4 v[30:33], v[4:5], off
	s_waitcnt vmcnt(9)
	v_mad_i64_i32 v[4:5], s[14:15], v3, s9, 0
	v_lshl_add_u64 v[4:5], v[4:5], 1, s[10:11]
	s_waitcnt vmcnt(8)
	v_mad_i64_i32 v[2:3], s[14:15], v2, s9, 0
	v_lshl_add_u64 v[4:5], v[4:5], 0, v[8:9]
	v_lshl_add_u64 v[2:3], v[2:3], 1, s[10:11]
	;; [unrolled: 1-line block ×4, first 2 shown]
	global_load_dwordx4 v[26:29], v[8:9], off
	global_load_dwordx4 v[22:25], v[8:9], off offset:2048
	v_lshl_add_u64 v[8:9], v[4:5], 0, v[14:15]
	v_lshl_add_u64 v[4:5], v[4:5], 0, v[16:17]
	;; [unrolled: 1-line block ×4, first 2 shown]
	global_load_dwordx4 v[18:21], v[8:9], off
	global_load_dwordx4 v[10:13], v[4:5], off
	s_nop 0
	global_load_dwordx4 v[6:9], v[2:3], off
	s_nop 0
	global_load_dwordx4 v[2:5], v[2:3], off offset:2048
	v_lshl_add_u64 v[16:17], v[34:35], 0, v[16:17]
	global_load_dwordx4 v[38:41], v[14:15], off
	global_load_dwordx4 v[34:37], v[16:17], off
	v_add_u32_e32 v14, -11, v84
	v_cmp_gt_u32_e32 vcc, 11, v84
	v_and_b32_e32 v85, 63, v0
	v_mov_b32_e32 v89, 0
	v_cndmask_b32_e32 v14, v14, v84, vcc
	v_lshl_add_u32 v42, v14, 5, v86
	ds_read_b128 v[14:17], v42
	ds_read_b128 v[50:53], v42 offset:2048
	ds_read_b128 v[46:49], v42 offset:4096
	;; [unrolled: 1-line block ×3, first 2 shown]
	s_and_saveexec_b64 s[10:11], vcc
	s_cbranch_execz .LBB738_15
; %bb.14:
	s_load_dwordx2 s[14:15], s[0:1], 0x40
	v_add_u32_e32 v90, s40, v84
	v_ashrrev_i32_e32 v91, 31, v90
	s_waitcnt lgkmcnt(0)
	v_lshl_add_u64 v[90:91], v[90:91], 2, s[14:15]
	global_load_dword v89, v[90:91], off
.LBB738_15:
	s_or_b64 exec, exec, s[10:11]
	s_waitcnt vmcnt(15) lgkmcnt(3)
	v_mfma_f32_16x16x16_bf16 v[90:93], v[66:67], v[14:15], 0
	s_ashr_i32 s8, s18, 31
	s_lshr_b32 s8, s8, 27
	s_add_u32 s4, s12, s4
	v_mfma_f32_16x16x16_bf16 v[66:69], v[68:69], v[16:17], v[90:93]
	s_addc_u32 s5, s13, s5
	s_mov_b32 s33, 0xff7fffff
	s_waitcnt vmcnt(14) lgkmcnt(2)
	v_mfma_f32_16x16x16_bf16 v[66:69], v[62:63], v[50:51], v[66:69]
	v_lshl_or_b32 v90, v88, 4, v84
	v_mfma_f32_16x16x16_bf16 v[62:65], v[64:65], v[52:53], v[66:69]
	s_waitcnt vmcnt(13) lgkmcnt(1)
	v_mfma_f32_16x16x16_bf16 v[62:65], v[78:79], v[46:47], v[62:65]
	v_mfma_f32_16x16x16_bf16 v[62:65], v[80:81], v[48:49], v[62:65]
	s_waitcnt vmcnt(12) lgkmcnt(0)
	v_mfma_f32_16x16x16_bf16 v[62:65], v[74:75], v[42:43], v[62:65]
	v_and_or_b32 v74, v0, 48, s18
	v_add_u32_e32 v66, s8, v74
	v_ashrrev_i32_e32 v75, 5, v66
	s_waitcnt vmcnt(11)
	v_mfma_f32_16x16x16_bf16 v[66:69], v[70:71], v[14:15], 0
	v_cmp_gt_i32_e32 vcc, s27, v74
	v_mfma_f32_16x16x16_bf16 v[66:69], v[72:73], v[16:17], v[66:69]
	v_or_b32_e32 v72, 64, v74
	v_add_u32_e32 v73, s8, v72
	s_waitcnt vmcnt(10)
	v_mfma_f32_16x16x16_bf16 v[66:69], v[58:59], v[50:51], v[66:69]
	v_ashrrev_i32_e32 v58, 5, v73
	v_mfma_f32_16x16x16_bf16 v[62:65], v[76:77], v[44:45], v[62:65]
	v_mov_b32_e32 v76, s19
	v_cndmask_b32_e32 v70, v76, v75, vcc
	v_cmp_gt_i32_e32 vcc, s27, v72
	v_ashrrev_i32_e32 v71, 31, v70
	v_lshl_add_u64 v[70:71], v[70:71], 2, s[6:7]
	v_cndmask_b32_e32 v72, v76, v58, vcc
	v_mfma_f32_16x16x16_bf16 v[58:61], v[60:61], v[52:53], v[66:69]
	v_ashrrev_i32_e32 v73, 31, v72
	s_waitcnt vmcnt(9)
	v_mfma_f32_16x16x16_bf16 v[58:61], v[54:55], v[46:47], v[58:61]
	v_lshl_add_u64 v[66:67], v[72:73], 2, s[6:7]
	global_load_dword v68, v[70:71], off
	s_nop 0
	global_load_dword v66, v[66:67], off
	v_or_b32_e32 v67, 0x80, v74
	v_add_u32_e32 v69, s8, v67
	v_mfma_f32_16x16x16_bf16 v[54:57], v[56:57], v[48:49], v[58:61]
	v_cmp_gt_i32_e32 vcc, s27, v67
	s_nop 1
	v_ashrrev_i32_e32 v58, 5, v69
	v_cndmask_b32_e32 v58, v76, v58, vcc
	v_ashrrev_i32_e32 v59, 31, v58
	s_waitcnt vmcnt(10)
	v_mfma_f32_16x16x16_bf16 v[54:57], v[30:31], v[42:43], v[54:57]
	v_lshl_add_u64 v[30:31], v[58:59], 2, s[6:7]
	global_load_dword v70, v[30:31], off
	v_mfma_f32_16x16x16_bf16 v[58:61], v[32:33], v[44:45], v[54:57]
	s_nop 3
	v_or_b32_e32 v54, 0xc0, v74
	v_add_u32_e32 v30, s8, v54
	v_ashrrev_i32_e32 v55, 5, v30
	v_cmp_gt_i32_e32 vcc, s27, v54
	s_waitcnt vmcnt(10)
	v_mfma_f32_16x16x16_bf16 v[30:33], v[26:27], v[14:15], 0
	v_cndmask_b32_e32 v26, v76, v55, vcc
	v_ashrrev_i32_e32 v27, 31, v26
	v_lshl_add_u64 v[54:55], v[26:27], 2, s[6:7]
	global_load_dword v71, v[54:55], off
	v_mfma_f32_16x16x16_bf16 v[26:29], v[28:29], v[16:17], v[30:33]
	s_load_dword s6, s[0:1], 0x1c
	s_waitcnt vmcnt(10)
	v_mfma_f32_16x16x16_bf16 v[26:29], v[22:23], v[50:51], v[26:29]
	v_and_b32_e32 v30, 16, v0
	v_lshlrev_b32_e32 v86, 1, v30
	v_lshl_add_u64 v[74:75], s[4:5], 0, v[86:87]
	v_mfma_f32_16x16x16_bf16 v[22:25], v[24:25], v[52:53], v[26:29]
	v_lshlrev_b32_e32 v86, 6, v90
	v_lshl_add_u64 v[76:77], v[74:75], 0, v[86:87]
	v_or_b32_e32 v86, 0x1000, v86
	s_waitcnt vmcnt(9)
	v_mfma_f32_16x16x16_bf16 v[22:25], v[18:19], v[46:47], v[22:25]
	v_lshl_add_u64 v[80:81], v[74:75], 0, v[86:87]
	s_waitcnt lgkmcnt(0)
	v_pk_mul_f32 v[74:75], s[6:7], v[60:61] op_sel_hi:[0,1]
	v_mfma_f32_16x16x16_bf16 v[18:21], v[20:21], v[48:49], v[22:25]
	s_waitcnt vmcnt(8)
	v_mfma_f32_16x16x16_bf16 v[18:21], v[10:11], v[42:43], v[18:21]
	s_waitcnt vmcnt(3)
	v_mad_i64_i32 v[22:23], s[4:5], v68, s9, 0
	s_waitcnt vmcnt(2)
	v_mad_i64_i32 v[10:11], s[4:5], v66, s9, 0
	v_lshlrev_b64 v[78:79], 1, v[22:23]
	v_lshlrev_b64 v[54:55], 1, v[10:11]
	v_lshl_add_u64 v[22:23], v[76:77], 0, v[78:79]
	v_lshl_add_u64 v[10:11], v[76:77], 0, v[54:55]
	global_load_dwordx4 v[30:33], v[22:23], off
	global_load_dwordx4 v[26:29], v[22:23], off offset:16
	v_mfma_f32_16x16x16_bf16 v[66:69], v[12:13], v[44:45], v[18:21]
	global_load_dwordx4 v[22:25], v[10:11], off
	s_nop 1
	global_load_dwordx4 v[18:21], v[10:11], off offset:16
	v_mfma_f32_16x16x16_bf16 v[10:13], v[6:7], v[14:15], 0
	s_waitcnt vmcnt(5)
	v_mad_i64_i32 v[6:7], s[4:5], v70, s9, 0
	v_lshlrev_b64 v[56:57], 1, v[6:7]
	v_mfma_f32_16x16x16_bf16 v[6:9], v[8:9], v[16:17], v[10:13]
	v_mfma_f32_16x16x16_bf16 v[6:9], v[2:3], v[50:51], v[6:9]
	s_nop 1
	v_lshl_add_u64 v[10:11], v[76:77], 0, v[56:57]
	global_load_dwordx4 v[14:17], v[10:11], off
	s_nop 0
	global_load_dwordx4 v[10:13], v[10:11], off offset:16
	s_waitcnt vmcnt(6)
	v_mad_i64_i32 v[2:3], s[4:5], v71, s9, 0
	v_mfma_f32_16x16x16_bf16 v[70:73], v[4:5], v[52:53], v[6:9]
	v_pk_mul_f32 v[52:53], s[6:7], v[62:63] op_sel_hi:[0,1]
	v_lshlrev_b64 v[50:51], 1, v[2:3]
	v_lshl_add_u64 v[2:3], v[76:77], 0, v[50:51]
	v_mfma_f32_16x16x16_bf16 v[70:73], v[38:39], v[46:47], v[70:73]
	v_lshl_add_u64 v[38:39], v[80:81], 0, v[78:79]
	v_pk_mul_f32 v[78:79], s[6:7], v[64:65] op_sel_hi:[0,1]
	v_pk_mul_f32 v[76:77], s[6:7], v[58:59] op_sel_hi:[0,1]
	v_mfma_f32_16x16x16_bf16 v[46:49], v[40:41], v[48:49], v[70:73]
	v_lshl_add_u64 v[50:51], v[80:81], 0, v[50:51]
	global_load_dwordx4 v[6:9], v[2:3], off
	s_nop 0
	global_load_dwordx4 v[2:5], v[2:3], off offset:16
	v_pk_mul_f32 v[70:71], s[6:7], v[68:69] op_sel_hi:[0,1]
	v_mfma_f32_16x16x16_bf16 v[40:43], v[34:35], v[42:43], v[46:49]
	v_pk_mul_f32 v[72:73], s[6:7], v[66:67] op_sel_hi:[0,1]
	v_mfma_f32_16x16x16_bf16 v[34:37], v[36:37], v[44:45], v[40:43]
	s_nop 6
	v_pk_mul_f32 v[68:69], s[6:7], v[34:35] op_sel_hi:[0,1]
	v_and_b32_e32 v34, 0xc0, v0
	v_add_u32_e32 v34, s18, v34
	v_lshl_or_b32 v34, v1, 2, v34
	v_or_b32_e32 v35, 1, v34
	v_pk_mul_f32 v[66:67], s[6:7], v[36:37] op_sel_hi:[0,1]
	v_subrev_u32_e32 v36, s27, v35
	v_add_u32_e32 v40, 1, v36
	v_add_u32_e32 v41, 2, v36
	v_cvt_f32_i32_e32 v37, v36
	v_cvt_f32_i32_e32 v40, v40
	;; [unrolled: 1-line block ×3, first 2 shown]
	v_add_u32_e32 v42, 3, v36
	v_fma_f32 v52, v89, v37, v52
	v_fmac_f32_e32 v53, v89, v40
	v_fma_f32 v78, v89, v41, v78
	v_add_u32_e32 v37, 16, v36
	v_add_u32_e32 v40, 17, v36
	;; [unrolled: 1-line block ×3, first 2 shown]
	v_cvt_f32_i32_e32 v42, v42
	v_cvt_f32_i32_e32 v37, v37
	;; [unrolled: 1-line block ×4, first 2 shown]
	v_fmac_f32_e32 v79, v89, v42
	v_add_u32_e32 v42, 19, v36
	v_fma_f32 v76, v89, v37, v76
	v_fmac_f32_e32 v77, v89, v40
	v_fma_f32 v74, v89, v41, v74
	v_add_u32_e32 v37, 32, v36
	v_add_u32_e32 v40, 33, v36
	;; [unrolled: 1-line block ×3, first 2 shown]
	v_cvt_f32_i32_e32 v42, v42
	v_cvt_f32_i32_e32 v37, v37
	;; [unrolled: 1-line block ×4, first 2 shown]
	v_fmac_f32_e32 v75, v89, v42
	v_add_u32_e32 v42, 35, v36
	v_fma_f32 v72, v89, v37, v72
	v_fmac_f32_e32 v73, v89, v40
	v_fma_f32 v70, v89, v41, v70
	v_add_u32_e32 v37, 48, v36
	v_add_u32_e32 v40, 49, v36
	;; [unrolled: 1-line block ×4, first 2 shown]
	v_cvt_f32_i32_e32 v36, v36
	v_cvt_f32_i32_e32 v37, v37
	v_cvt_f32_i32_e32 v40, v40
	v_cmp_gt_i32_e64 s[28:29], s27, v34
	v_fmac_f32_e32 v67, v89, v36
	v_mov_b32_e32 v36, 0xff7fffff
	v_cmp_gt_i32_e64 s[30:31], s27, v35
	v_fma_f32 v68, v89, v37, v68
	v_cndmask_b32_e64 v37, v36, v52, s[28:29]
	v_cndmask_b32_e64 v35, v36, v53, s[30:31]
	v_fmac_f32_e32 v69, v89, v40
	v_max3_f32 v35, v37, s33, v35
	v_or_b32_e32 v37, 2, v34
	v_or_b32_e32 v40, 3, v34
	v_cmp_gt_i32_e64 s[34:35], s27, v37
	v_cmp_gt_i32_e64 s[36:37], s27, v40
	v_cvt_f32_i32_e32 v42, v42
	v_cndmask_b32_e64 v37, v36, v78, s[34:35]
	v_cndmask_b32_e64 v40, v36, v79, s[36:37]
	v_max3_f32 v35, v35, v37, v40
	v_or_b32_e32 v37, 16, v34
	v_or_b32_e32 v40, 17, v34
	v_cmp_gt_i32_e64 s[22:23], s27, v37
	v_cmp_gt_i32_e64 s[24:25], s27, v40
	v_fmac_f32_e32 v71, v89, v42
	v_cndmask_b32_e64 v37, v36, v76, s[22:23]
	v_cndmask_b32_e64 v40, v36, v77, s[24:25]
	v_max3_f32 v35, v35, v37, v40
	v_or_b32_e32 v37, 18, v34
	v_or_b32_e32 v40, 19, v34
	v_cmp_gt_i32_e64 s[18:19], s27, v37
	v_cmp_gt_i32_e64 s[20:21], s27, v40
	v_cvt_f32_i32_e32 v41, v41
	v_cndmask_b32_e64 v37, v36, v74, s[18:19]
	v_cndmask_b32_e64 v40, v36, v75, s[20:21]
	v_max3_f32 v35, v35, v37, v40
	v_or_b32_e32 v37, 32, v34
	v_or_b32_e32 v40, 33, v34
	v_cmp_gt_i32_e64 s[14:15], s27, v37
	v_cmp_gt_i32_e64 s[16:17], s27, v40
	v_fma_f32 v66, v89, v41, v66
	v_cndmask_b32_e64 v37, v36, v72, s[14:15]
	v_cndmask_b32_e64 v40, v36, v73, s[16:17]
	v_max3_f32 v35, v35, v37, v40
	v_or_b32_e32 v37, 34, v34
	v_or_b32_e32 v40, 35, v34
	v_cmp_gt_i32_e64 s[10:11], s27, v37
	v_cmp_gt_i32_e64 s[12:13], s27, v40
	s_nop 0
	v_cndmask_b32_e64 v37, v36, v70, s[10:11]
	v_cndmask_b32_e64 v40, v36, v71, s[12:13]
	v_max3_f32 v35, v35, v37, v40
	v_or_b32_e32 v37, 48, v34
	v_or_b32_e32 v40, 49, v34
	v_cmp_gt_i32_e64 s[6:7], s27, v37
	v_cmp_gt_i32_e64 s[8:9], s27, v40
	s_nop 0
	v_cndmask_b32_e64 v37, v36, v68, s[6:7]
	v_cndmask_b32_e64 v40, v36, v69, s[8:9]
	v_max3_f32 v35, v35, v37, v40
	v_or_b32_e32 v37, 50, v34
	v_or_b32_e32 v34, 51, v34
	v_cmp_gt_i32_e32 vcc, s27, v37
	v_cmp_gt_i32_e64 s[4:5], s27, v34
	global_load_dwordx4 v[46:49], v[38:39], off
	s_nop 0
	global_load_dwordx4 v[38:41], v[38:39], off offset:16
	v_cndmask_b32_e32 v37, v36, v66, vcc
	v_cndmask_b32_e64 v34, v36, v67, s[4:5]
	v_max3_f32 v58, v35, v37, v34
	v_mbcnt_lo_u32_b32 v34, -1, 0
	v_mbcnt_hi_u32_b32 v59, -1, v34
	v_and_b32_e32 v34, 64, v59
	v_add_u32_e32 v60, 64, v34
	v_xor_b32_e32 v34, 32, v59
	v_cmp_lt_i32_e64 s[38:39], v34, v60
	s_nop 1
	v_cndmask_b32_e64 v34, v59, v34, s[38:39]
	v_lshlrev_b32_e32 v87, 2, v34
	ds_bpermute_b32 v61, v87, v58
	v_lshl_add_u64 v[34:35], v[80:81], 0, v[54:55]
	global_load_dwordx4 v[42:45], v[34:35], off
	s_nop 0
	global_load_dwordx4 v[34:37], v[34:35], off offset:16
	s_waitcnt lgkmcnt(0)
	v_max_f32_e32 v54, v61, v61
	v_max_f32_e32 v62, v58, v54
	v_xor_b32_e32 v54, 16, v59
	v_cmp_lt_i32_e64 s[38:39], v54, v60
	s_nop 1
	v_cndmask_b32_e64 v54, v59, v54, s[38:39]
	v_lshlrev_b32_e32 v89, 2, v54
	ds_bpermute_b32 v63, v89, v62
	v_lshl_add_u64 v[54:55], v[80:81], 0, v[56:57]
	global_load_dwordx4 v[58:61], v[54:55], off
	s_nop 0
	global_load_dwordx4 v[54:57], v[54:55], off offset:16
	s_waitcnt lgkmcnt(0)
	v_max_f32_e32 v63, v63, v63
	v_max_f32_e32 v86, v62, v63
	v_sub_f32_e32 v52, v52, v86
	v_mul_f32_e32 v52, 0x3fb8aa3b, v52
	v_exp_f32_e32 v80, v52
	v_sub_f32_e32 v52, v53, v86
	v_mul_f32_e32 v52, 0x3fb8aa3b, v52
	v_exp_f32_e32 v81, v52
	global_load_dwordx4 v[62:65], v[50:51], off
	s_nop 0
	global_load_dwordx4 v[50:53], v[50:51], off offset:16
	v_sub_f32_e32 v78, v78, v86
	v_mul_f32_e32 v78, 0x3fb8aa3b, v78
	v_sub_f32_e32 v79, v79, v86
	v_exp_f32_e32 v78, v78
	v_mul_f32_e32 v79, 0x3fb8aa3b, v79
	v_sub_f32_e32 v76, v76, v86
	v_exp_f32_e32 v79, v79
	v_mul_f32_e32 v76, 0x3fb8aa3b, v76
	v_sub_f32_e32 v77, v77, v86
	v_cndmask_b32_e64 v80, 0, v80, s[28:29]
	v_exp_f32_e32 v76, v76
	v_mul_f32_e32 v77, 0x3fb8aa3b, v77
	v_sub_f32_e32 v74, v74, v86
	v_add_f32_e32 v91, 0, v80
	v_cndmask_b32_e64 v81, 0, v81, s[30:31]
	v_exp_f32_e32 v77, v77
	v_mul_f32_e32 v74, 0x3fb8aa3b, v74
	v_sub_f32_e32 v75, v75, v86
	v_add_f32_e32 v91, v91, v81
	;; [unrolled: 5-line block ×10, first 2 shown]
	v_cndmask_b32_e64 v70, 0, v70, s[10:11]
	v_exp_f32_e32 v66, v66
	v_mul_f32_e32 v67, 0x3fb8aa3b, v67
	v_add_f32_e32 v91, v91, v70
	v_cndmask_b32_e64 v71, 0, v71, s[12:13]
	v_exp_f32_e32 v67, v67
	v_add_f32_e32 v91, v91, v71
	v_cndmask_b32_e64 v68, 0, v68, s[6:7]
	v_add_f32_e32 v91, v91, v68
	v_cndmask_b32_e64 v69, 0, v69, s[8:9]
	v_add_f32_e32 v91, v91, v69
	v_cndmask_b32_e32 v66, 0, v66, vcc
	v_add_f32_e32 v91, v91, v66
	v_cndmask_b32_e64 v67, 0, v67, s[4:5]
	v_add_f32_e32 v91, v91, v67
	ds_bpermute_b32 v87, v87, v91
	s_load_dword s7, s[0:1], 0x98
	v_cmp_gt_u32_e32 vcc, 16, v85
	s_waitcnt lgkmcnt(0)
	s_barrier
	v_add_f32_e32 v87, v91, v87
	ds_bpermute_b32 v89, v89, v87
	s_waitcnt lgkmcnt(0)
	s_and_saveexec_b64 s[4:5], vcc
	s_cbranch_execz .LBB738_17
; %bb.16:
	v_add_f32_e32 v85, v87, v89
	v_lshlrev_b32_e32 v87, 2, v90
	ds_write2st64_b32 v87, v86, v85 offset1:1
.LBB738_17:
	s_or_b64 exec, exec, s[4:5]
	v_lshlrev_b32_e32 v85, 2, v84
	s_load_dword s6, s[0:1], 0x94
	s_waitcnt lgkmcnt(0)
	s_barrier
	ds_read2_b32 v[90:91], v85 offset1:16
	ds_read2_b32 v[92:93], v85 offset0:32 offset1:48
	ds_read2_b32 v[94:95], v85 offset0:64 offset1:80
	s_movk_i32 s8, 0x7fff
	s_mov_b32 s9, 0x7060302
	s_waitcnt lgkmcnt(2)
	v_max3_f32 v86, v90, s33, v91
	s_waitcnt lgkmcnt(1)
	v_max3_f32 v86, v86, v92, v93
	v_sub_f32_e32 v87, v90, v86
	v_mul_f32_e32 v87, 0x3fb8aa3b, v87
	v_exp_f32_e32 v89, v87
	v_sub_f32_e32 v87, v91, v86
	v_mul_f32_e32 v87, 0x3fb8aa3b, v87
	v_exp_f32_e32 v88, v87
	v_sub_f32_e32 v87, v92, v86
	v_mul_f32_e32 v87, 0x3fb8aa3b, v87
	ds_read2_b32 v[90:91], v85 offset0:96 offset1:112
	v_sub_f32_e32 v85, v93, v86
	v_exp_f32_e32 v92, v87
	v_mul_f32_e32 v85, 0x3fb8aa3b, v85
	v_exp_f32_e32 v85, v85
	s_waitcnt lgkmcnt(1)
	v_fma_f32 v87, v89, v94, 0
	v_fmac_f32_e32 v87, v88, v95
	s_waitcnt lgkmcnt(0)
	v_fmac_f32_e32 v87, v92, v90
	v_fmac_f32_e32 v87, v85, v91
	v_add_f32_e32 v90, 0x358637bd, v87
	v_div_scale_f32 v91, s[4:5], v90, v90, 1.0
	v_rcp_f32_e32 v93, v91
	s_mul_i32 s7, s7, 11
	s_barrier
	v_fma_f32 v94, -v91, v93, 1.0
	v_fmac_f32_e32 v93, v94, v93
	v_div_scale_f32 v94, vcc, 1.0, v90, 1.0
	v_mul_f32_e32 v95, v94, v93
	v_fma_f32 v1, -v91, v95, v94
	v_fmac_f32_e32 v95, v1, v93
	v_fma_f32 v1, -v91, v95, v94
	v_lshrrev_b32_e32 v91, 6, v0
	v_div_fmas_f32 v1, v1, v93, v95
	v_cmp_eq_u32_e32 vcc, 1, v91
	v_div_fixup_f32 v1, v1, v90, 1.0
	s_nop 0
	v_cndmask_b32_e32 v88, v89, v88, vcc
	v_cmp_eq_u32_e32 vcc, 2, v91
	s_nop 1
	v_cndmask_b32_e32 v88, v88, v92, vcc
	v_cmp_eq_u32_e32 vcc, 3, v91
	s_nop 1
	v_cndmask_b32_e32 v85, v88, v85, vcc
	v_mul_f32_e32 v90, v85, v1
	v_pk_mul_f32 v[80:81], v[90:91], v[80:81] op_sel_hi:[0,1]
	v_bfe_u32 v1, v81, 16, 1
	v_bfe_u32 v85, v80, 16, 1
	v_pk_mul_f32 v[78:79], v[90:91], v[78:79] op_sel_hi:[0,1]
	v_add3_u32 v80, v80, v85, s8
	v_add3_u32 v1, v81, v1, s8
	v_perm_b32 v80, v1, v80, s9
	v_bfe_u32 v1, v79, 16, 1
	v_bfe_u32 v81, v78, 16, 1
	v_add3_u32 v78, v78, v81, s8
	v_add3_u32 v1, v79, v1, s8
	v_bfe_u32 v88, v0, 4, 2
	v_perm_b32 v81, v1, v78, s9
	v_lshlrev_b32_e32 v1, 3, v88
	v_lshlrev_b32_e32 v78, 5, v84
	;; [unrolled: 1-line block ×3, first 2 shown]
	v_pk_mul_f32 v[76:77], v[90:91], v[76:77] op_sel_hi:[0,1]
	v_or3_b32 v1, v79, v78, v1
	v_bfe_u32 v79, v77, 16, 1
	v_bfe_u32 v85, v76, 16, 1
	v_pk_mul_f32 v[74:75], v[90:91], v[74:75] op_sel_hi:[0,1]
	v_add3_u32 v76, v76, v85, s8
	v_add3_u32 v77, v77, v79, s8
	v_perm_b32 v76, v77, v76, s9
	v_bfe_u32 v77, v75, 16, 1
	v_bfe_u32 v79, v74, 16, 1
	v_add3_u32 v74, v74, v79, s8
	v_add3_u32 v75, v75, v77, s8
	v_pk_mul_f32 v[72:73], v[90:91], v[72:73] op_sel_hi:[0,1]
	v_perm_b32 v77, v75, v74, s9
	v_bfe_u32 v74, v73, 16, 1
	v_bfe_u32 v75, v72, 16, 1
	v_pk_mul_f32 v[70:71], v[90:91], v[70:71] op_sel_hi:[0,1]
	v_add3_u32 v72, v72, v75, s8
	v_add3_u32 v73, v73, v74, s8
	v_perm_b32 v72, v73, v72, s9
	v_bfe_u32 v73, v71, 16, 1
	v_bfe_u32 v74, v70, 16, 1
	v_add3_u32 v70, v70, v74, s8
	v_add3_u32 v71, v71, v73, s8
	v_pk_mul_f32 v[68:69], v[90:91], v[68:69] op_sel_hi:[0,1]
	v_perm_b32 v73, v71, v70, s9
	v_bfe_u32 v70, v69, 16, 1
	v_bfe_u32 v71, v68, 16, 1
	v_pk_mul_f32 v[66:67], v[90:91], v[66:67] op_sel_hi:[0,1]
	v_add3_u32 v68, v68, v71, s8
	v_add3_u32 v69, v69, v70, s8
	v_perm_b32 v68, v69, v68, s9
	v_bfe_u32 v69, v67, 16, 1
	v_bfe_u32 v70, v66, 16, 1
	v_add3_u32 v66, v66, v70, s8
	v_add3_u32 v67, v67, v69, s8
	v_perm_b32 v69, v67, v66, s9
	v_cmp_gt_u32_e32 vcc, 11, v0
	ds_write2st64_b64 v1, v[80:81], v[76:77] offset1:1
	ds_write2st64_b64 v1, v[72:73], v[68:69] offset0:2 offset1:3
	s_and_saveexec_b64 s[4:5], vcc
	s_cbranch_execz .LBB738_19
; %bb.18:
	s_mov_b32 s41, 0
	v_mov_b32_e32 v85, 0
	v_lshl_add_u64 v[66:67], s[40:41], 0, v[84:85]
	v_mov_b32_e32 v68, s7
	v_mad_u64_u32 v[66:67], s[10:11], s2, v68, v[66:67]
	s_mul_i32 s3, s3, s7
	v_mov_b32_e32 v68, s26
	v_mov_b32_e32 v69, v85
	s_load_dwordx4 s[12:15], s[0:1], 0x58
	v_add_u32_e32 v70, s3, v67
	v_mad_u64_u32 v[66:67], s[10:11], v66, s6, v[68:69]
	v_mov_b32_e32 v68, v67
	v_mad_u64_u32 v[68:69], s[10:11], v70, s6, v[68:69]
	v_mov_b32_e32 v67, v68
	v_lshlrev_b64 v[66:67], 2, v[66:67]
	s_waitcnt lgkmcnt(0)
	v_lshl_add_u64 v[68:69], s[14:15], 0, v[66:67]
	v_lshl_add_u64 v[66:67], s[12:13], 0, v[66:67]
	global_store_dword v[68:69], v86, off
	global_store_dword v[66:67], v87, off
.LBB738_19:
	s_or_b64 exec, exec, s[4:5]
	v_lshl_or_b32 v78, v88, 9, v78
	s_waitcnt lgkmcnt(0)
	s_barrier
	ds_read_b128 v[70:73], v78
	ds_read_b128 v[66:69], v78 offset:16
	s_waitcnt vmcnt(15) lgkmcnt(1)
	v_mfma_f32_16x16x16_bf16 v[74:77], v[30:31], v[70:71], 0
	s_mov_b32 s3, 0
	v_cmp_gt_u32_e32 vcc, 64, v0
	v_mfma_f32_16x16x16_bf16 v[30:33], v[32:33], v[72:73], v[74:77]
	s_waitcnt vmcnt(14) lgkmcnt(0)
	v_mfma_f32_16x16x16_bf16 v[30:33], v[26:27], v[66:67], v[30:33]
	v_mfma_f32_16x16x16_bf16 v[26:29], v[28:29], v[68:69], v[30:33]
	s_nop 5
	ds_read_b128 v[30:33], v78 offset:2048
	ds_read_b128 v[74:77], v78 offset:2064
	s_waitcnt vmcnt(13) lgkmcnt(1)
	v_mfma_f32_16x16x16_bf16 v[26:29], v[22:23], v[30:31], v[26:29]
	v_mfma_f32_16x16x16_bf16 v[22:25], v[24:25], v[32:33], v[26:29]
	s_waitcnt vmcnt(12) lgkmcnt(0)
	v_mfma_f32_16x16x16_bf16 v[22:25], v[18:19], v[74:75], v[22:25]
	v_mfma_f32_16x16x16_bf16 v[18:21], v[20:21], v[76:77], v[22:25]
	s_nop 5
	ds_read_b128 v[22:25], v78 offset:4096
	ds_read_b128 v[26:29], v78 offset:4112
	s_waitcnt vmcnt(11) lgkmcnt(1)
	v_mfma_f32_16x16x16_bf16 v[18:21], v[14:15], v[22:23], v[18:21]
	v_mfma_f32_16x16x16_bf16 v[14:17], v[16:17], v[24:25], v[18:21]
	s_waitcnt vmcnt(10) lgkmcnt(0)
	v_mfma_f32_16x16x16_bf16 v[14:17], v[10:11], v[26:27], v[14:17]
	v_mfma_f32_16x16x16_bf16 v[10:13], v[12:13], v[28:29], v[14:17]
	s_nop 5
	ds_read_b128 v[14:17], v78 offset:6144
	ds_read_b128 v[18:21], v78 offset:6160
	s_waitcnt lgkmcnt(0)
	s_barrier
	s_waitcnt vmcnt(9)
	v_mfma_f32_16x16x16_bf16 v[10:13], v[6:7], v[14:15], v[10:13]
	v_mfma_f32_16x16x16_bf16 v[6:9], v[8:9], v[16:17], v[10:13]
	s_waitcnt vmcnt(8)
	v_mfma_f32_16x16x16_bf16 v[6:9], v[2:3], v[18:19], v[6:9]
	v_mfma_f32_16x16x16_bf16 v[2:5], v[4:5], v[20:21], v[6:9]
	;; [unrolled: 3-line block ×3, first 2 shown]
	s_nop 3
	v_bfe_u32 v10, v3, 16, 1
	v_bfe_u32 v11, v2, 16, 1
	v_add3_u32 v2, v2, v11, s8
	s_waitcnt vmcnt(6)
	v_mfma_f32_16x16x16_bf16 v[6:9], v[38:39], v[66:67], v[6:9]
	v_add3_u32 v3, v3, v10, s8
	v_perm_b32 v10, v3, v2, s9
	v_bfe_u32 v2, v5, 16, 1
	v_mfma_f32_16x16x16_bf16 v[6:9], v[40:41], v[68:69], v[6:9]
	v_bfe_u32 v3, v4, 16, 1
	v_add3_u32 v3, v4, v3, s8
	v_add3_u32 v2, v5, v2, s8
	s_waitcnt vmcnt(5)
	v_mfma_f32_16x16x16_bf16 v[6:9], v[42:43], v[30:31], v[6:9]
	v_perm_b32 v11, v2, v3, s9
	v_mfma_f32_16x16x16_bf16 v[6:9], v[44:45], v[32:33], v[6:9]
	s_waitcnt vmcnt(4)
	v_mfma_f32_16x16x16_bf16 v[6:9], v[34:35], v[74:75], v[6:9]
	v_mfma_f32_16x16x16_bf16 v[6:9], v[36:37], v[76:77], v[6:9]
	s_waitcnt vmcnt(3)
	v_mfma_f32_16x16x16_bf16 v[6:9], v[58:59], v[22:23], v[6:9]
	;; [unrolled: 3-line block ×5, first 2 shown]
	v_mfma_f32_16x16x16_bf16 v[2:5], v[52:53], v[20:21], v[6:9]
	s_nop 6
	v_bfe_u32 v6, v3, 16, 1
	v_bfe_u32 v7, v2, 16, 1
	v_add3_u32 v2, v2, v7, s8
	v_add3_u32 v3, v3, v6, s8
	v_perm_b32 v2, v3, v2, s9
	v_bfe_u32 v3, v5, 16, 1
	v_bfe_u32 v6, v4, 16, 1
	v_add3_u32 v4, v4, v6, s8
	v_add3_u32 v3, v5, v3, s8
	v_perm_b32 v3, v3, v4, s9
	ds_write2st64_b64 v1, v[10:11], v[2:3] offset1:1
	s_waitcnt lgkmcnt(0)
	s_barrier
	s_and_saveexec_b64 s[4:5], vcc
	s_cbranch_execz .LBB738_22
; %bb.20:
	s_load_dwordx2 s[4:5], s[0:1], 0x68
	s_lshl_b32 s0, s6, 7
	s_mul_i32 s1, s7, s2
	v_lshlrev_b32_e32 v3, 6, v84
	s_mul_hi_u32 s7, s1, s0
	s_mul_i32 s6, s1, s0
	v_lshlrev_b32_e32 v2, 4, v0
	v_lshl_or_b32 v0, v0, 10, v3
	s_lshl_b64 s[6:7], s[6:7], 1
	v_lshlrev_b32_e32 v1, 5, v88
	v_and_b32_e32 v2, 16, v2
	v_and_b32_e32 v0, 0x1a00, v0
	s_waitcnt lgkmcnt(0)
	s_add_u32 s1, s4, s6
	v_or3_b32 v2, v0, v1, v2
	s_addc_u32 s4, s5, s7
	s_lshl_b32 s2, s26, 7
	s_lshl_b64 s[2:3], s[2:3], 1
	ds_read_b128 v[4:7], v2 offset:128
	ds_read_b128 v[8:11], v2
	s_add_u32 s2, s1, s2
	s_addc_u32 s3, s4, s3
	v_add_u32_e32 v3, s40, v88
	v_lshl_add_u64 v[0:1], v[82:83], 1, s[2:3]
	v_mad_u64_u32 v[12:13], s[2:3], v3, s0, 0
	v_lshl_add_u64 v[12:13], v[12:13], 1, v[0:1]
	v_add_u32_e32 v3, 4, v3
	s_waitcnt lgkmcnt(0)
	global_store_dwordx4 v[12:13], v[8:11], off
	v_cmp_ne_u32_e32 vcc, 3, v88
	s_nop 0
	v_mad_u64_u32 v[8:9], s[2:3], v3, s0, 0
	v_lshl_add_u64 v[8:9], v[8:9], 1, v[0:1]
	global_store_dwordx4 v[8:9], v[4:7], off
	s_and_b64 exec, exec, vcc
	s_cbranch_execz .LBB738_22
; %bb.21:
	ds_read_b128 v[2:5], v2 offset:256
	v_add3_u32 v6, s40, v88, 8
	v_mad_u64_u32 v[6:7], s[0:1], v6, s0, 0
	v_lshl_add_u64 v[0:1], v[6:7], 1, v[0:1]
	s_waitcnt lgkmcnt(0)
	global_store_dwordx4 v[0:1], v[2:5], off
.LBB738_22:
	s_endpgm
	.section	.rodata,"a",@progbits
	.p2align	6, 0x0
	.amdhsa_kernel _Z39paged_attention_ll4mi_QKV_mfma16_kernelI14__hip_bfloat16S0_LN4vllm18Fp8KVCacheDataTypeE0ES0_Li32ELi128ELi256ELb1ELi11EEvPKT_PKT0_S8_ifPKiSA_SA_iPKfiiiPfSD_PS3_PT2_iSC_SC_
		.amdhsa_group_segment_fixed_size 8192
		.amdhsa_private_segment_fixed_size 0
		.amdhsa_kernarg_size 400
		.amdhsa_user_sgpr_count 2
		.amdhsa_user_sgpr_dispatch_ptr 0
		.amdhsa_user_sgpr_queue_ptr 0
		.amdhsa_user_sgpr_kernarg_segment_ptr 1
		.amdhsa_user_sgpr_dispatch_id 0
		.amdhsa_user_sgpr_kernarg_preload_length 0
		.amdhsa_user_sgpr_kernarg_preload_offset 0
		.amdhsa_user_sgpr_private_segment_size 0
		.amdhsa_uses_dynamic_stack 0
		.amdhsa_enable_private_segment 0
		.amdhsa_system_sgpr_workgroup_id_x 1
		.amdhsa_system_sgpr_workgroup_id_y 1
		.amdhsa_system_sgpr_workgroup_id_z 1
		.amdhsa_system_sgpr_workgroup_info 0
		.amdhsa_system_vgpr_workitem_id 0
		.amdhsa_next_free_vgpr 96
		.amdhsa_next_free_sgpr 42
		.amdhsa_accum_offset 96
		.amdhsa_reserve_vcc 1
		.amdhsa_float_round_mode_32 0
		.amdhsa_float_round_mode_16_64 0
		.amdhsa_float_denorm_mode_32 3
		.amdhsa_float_denorm_mode_16_64 3
		.amdhsa_dx10_clamp 1
		.amdhsa_ieee_mode 1
		.amdhsa_fp16_overflow 0
		.amdhsa_tg_split 0
		.amdhsa_exception_fp_ieee_invalid_op 0
		.amdhsa_exception_fp_denorm_src 0
		.amdhsa_exception_fp_ieee_div_zero 0
		.amdhsa_exception_fp_ieee_overflow 0
		.amdhsa_exception_fp_ieee_underflow 0
		.amdhsa_exception_fp_ieee_inexact 0
		.amdhsa_exception_int_div_zero 0
	.end_amdhsa_kernel
	.section	.text._Z39paged_attention_ll4mi_QKV_mfma16_kernelI14__hip_bfloat16S0_LN4vllm18Fp8KVCacheDataTypeE0ES0_Li32ELi128ELi256ELb1ELi11EEvPKT_PKT0_S8_ifPKiSA_SA_iPKfiiiPfSD_PS3_PT2_iSC_SC_,"axG",@progbits,_Z39paged_attention_ll4mi_QKV_mfma16_kernelI14__hip_bfloat16S0_LN4vllm18Fp8KVCacheDataTypeE0ES0_Li32ELi128ELi256ELb1ELi11EEvPKT_PKT0_S8_ifPKiSA_SA_iPKfiiiPfSD_PS3_PT2_iSC_SC_,comdat
.Lfunc_end738:
	.size	_Z39paged_attention_ll4mi_QKV_mfma16_kernelI14__hip_bfloat16S0_LN4vllm18Fp8KVCacheDataTypeE0ES0_Li32ELi128ELi256ELb1ELi11EEvPKT_PKT0_S8_ifPKiSA_SA_iPKfiiiPfSD_PS3_PT2_iSC_SC_, .Lfunc_end738-_Z39paged_attention_ll4mi_QKV_mfma16_kernelI14__hip_bfloat16S0_LN4vllm18Fp8KVCacheDataTypeE0ES0_Li32ELi128ELi256ELb1ELi11EEvPKT_PKT0_S8_ifPKiSA_SA_iPKfiiiPfSD_PS3_PT2_iSC_SC_
                                        ; -- End function
	.section	.AMDGPU.csdata,"",@progbits
; Kernel info:
; codeLenInByte = 5196
; NumSgprs: 48
; NumVgprs: 96
; NumAgprs: 0
; TotalNumVgprs: 96
; ScratchSize: 0
; MemoryBound: 0
; FloatMode: 240
; IeeeMode: 1
; LDSByteSize: 8192 bytes/workgroup (compile time only)
; SGPRBlocks: 5
; VGPRBlocks: 11
; NumSGPRsForWavesPerEU: 48
; NumVGPRsForWavesPerEU: 96
; AccumOffset: 96
; Occupancy: 5
; WaveLimiterHint : 1
; COMPUTE_PGM_RSRC2:SCRATCH_EN: 0
; COMPUTE_PGM_RSRC2:USER_SGPR: 2
; COMPUTE_PGM_RSRC2:TRAP_HANDLER: 0
; COMPUTE_PGM_RSRC2:TGID_X_EN: 1
; COMPUTE_PGM_RSRC2:TGID_Y_EN: 1
; COMPUTE_PGM_RSRC2:TGID_Z_EN: 1
; COMPUTE_PGM_RSRC2:TIDIG_COMP_CNT: 0
; COMPUTE_PGM_RSRC3_GFX90A:ACCUM_OFFSET: 23
; COMPUTE_PGM_RSRC3_GFX90A:TG_SPLIT: 0
	.section	.text._Z39paged_attention_ll4mi_QKV_mfma16_kernelI14__hip_bfloat16S0_LN4vllm18Fp8KVCacheDataTypeE0ES0_Li32ELi128ELi256ELb1ELi12EEvPKT_PKT0_S8_ifPKiSA_SA_iPKfiiiPfSD_PS3_PT2_iSC_SC_,"axG",@progbits,_Z39paged_attention_ll4mi_QKV_mfma16_kernelI14__hip_bfloat16S0_LN4vllm18Fp8KVCacheDataTypeE0ES0_Li32ELi128ELi256ELb1ELi12EEvPKT_PKT0_S8_ifPKiSA_SA_iPKfiiiPfSD_PS3_PT2_iSC_SC_,comdat
	.protected	_Z39paged_attention_ll4mi_QKV_mfma16_kernelI14__hip_bfloat16S0_LN4vllm18Fp8KVCacheDataTypeE0ES0_Li32ELi128ELi256ELb1ELi12EEvPKT_PKT0_S8_ifPKiSA_SA_iPKfiiiPfSD_PS3_PT2_iSC_SC_ ; -- Begin function _Z39paged_attention_ll4mi_QKV_mfma16_kernelI14__hip_bfloat16S0_LN4vllm18Fp8KVCacheDataTypeE0ES0_Li32ELi128ELi256ELb1ELi12EEvPKT_PKT0_S8_ifPKiSA_SA_iPKfiiiPfSD_PS3_PT2_iSC_SC_
	.globl	_Z39paged_attention_ll4mi_QKV_mfma16_kernelI14__hip_bfloat16S0_LN4vllm18Fp8KVCacheDataTypeE0ES0_Li32ELi128ELi256ELb1ELi12EEvPKT_PKT0_S8_ifPKiSA_SA_iPKfiiiPfSD_PS3_PT2_iSC_SC_
	.p2align	8
	.type	_Z39paged_attention_ll4mi_QKV_mfma16_kernelI14__hip_bfloat16S0_LN4vllm18Fp8KVCacheDataTypeE0ES0_Li32ELi128ELi256ELb1ELi12EEvPKT_PKT0_S8_ifPKiSA_SA_iPKfiiiPfSD_PS3_PT2_iSC_SC_,@function
_Z39paged_attention_ll4mi_QKV_mfma16_kernelI14__hip_bfloat16S0_LN4vllm18Fp8KVCacheDataTypeE0ES0_Li32ELi128ELi256ELb1ELi12EEvPKT_PKT0_S8_ifPKiSA_SA_iPKfiiiPfSD_PS3_PT2_iSC_SC_: ; @_Z39paged_attention_ll4mi_QKV_mfma16_kernelI14__hip_bfloat16S0_LN4vllm18Fp8KVCacheDataTypeE0ES0_Li32ELi128ELi256ELb1ELi12EEvPKT_PKT0_S8_ifPKiSA_SA_iPKfiiiPfSD_PS3_PT2_iSC_SC_
; %bb.0:
	s_load_dwordx2 s[8:9], s[0:1], 0x30
	s_mov_b32 s26, s3
	s_mov_b64 s[6:7], 0
	s_waitcnt lgkmcnt(0)
	s_cmp_lg_u64 s[8:9], 0
	s_cselect_b64 s[10:11], -1, 0
	s_and_b64 vcc, exec, s[10:11]
	s_cbranch_vccz .LBB739_7
; %bb.1:
	s_add_i32 s12, s2, 1
	s_mov_b32 s13, 0
	s_lshl_b64 s[14:15], s[12:13], 2
	s_add_u32 s14, s8, s14
	s_mov_b32 s3, s13
	s_addc_u32 s15, s9, s15
	s_lshl_b64 s[12:13], s[2:3], 2
	s_add_u32 s12, s8, s12
	s_addc_u32 s13, s9, s13
	s_load_dword s5, s[14:15], 0x0
	s_load_dword s16, s[12:13], 0x0
	s_waitcnt lgkmcnt(0)
	s_sub_i32 s5, s5, s16
	s_cmp_eq_u32 s5, 1
	s_cselect_b64 s[12:13], -1, 0
	s_andn2_b64 vcc, exec, s[6:7]
	s_cbranch_vccnz .LBB739_3
.LBB739_2:
	s_mov_b32 s3, 0
	s_mov_b64 s[12:13], -1
.LBB739_3:
	s_andn2_b64 vcc, exec, s[12:13]
	s_cbranch_vccnz .LBB739_21
; %bb.4:
	s_load_dwordx2 s[6:7], s[0:1], 0x28
	s_lshl_b64 s[12:13], s[2:3], 2
	s_waitcnt lgkmcnt(0)
	s_add_u32 s6, s6, s12
	s_addc_u32 s7, s7, s13
	s_load_dword s27, s[6:7], 0x0
	s_lshl_b32 s18, s26, 8
	s_waitcnt lgkmcnt(0)
	s_cmp_ge_i32 s18, s27
	s_cbranch_scc1 .LBB739_21
; %bb.5:
	s_load_dwordx2 s[6:7], s[0:1], 0x20
	s_load_dword s5, s[0:1], 0x38
	s_add_i32 s14, s27, 31
	s_ashr_i32 s15, s14, 31
	v_and_b32_e32 v1, 0xcf, v0
	s_lshr_b32 s15, s15, 27
	v_add_u32_e32 v1, s18, v1
	s_add_i32 s14, s14, s15
	v_ashrrev_i32_e32 v2, 31, v1
	s_ashr_i32 s19, s14, 5
	v_lshrrev_b32_e32 v4, 27, v2
	s_add_i32 s19, s19, -1
	s_waitcnt lgkmcnt(0)
	s_mul_i32 s14, s2, s5
	s_mov_b32 s15, 0
	v_add_u32_e32 v2, v1, v4
	s_lshl_b64 s[14:15], s[14:15], 2
	v_ashrrev_i32_e32 v2, 5, v2
	v_mov_b32_e32 v5, s19
	v_cmp_gt_i32_e32 vcc, s27, v1
	s_add_u32 s6, s6, s14
	s_addc_u32 s7, s7, s15
	v_cndmask_b32_e32 v2, v5, v2, vcc
	v_ashrrev_i32_e32 v3, 31, v2
	v_lshl_add_u64 v[6:7], v[2:3], 2, s[6:7]
	v_or_b32_e32 v2, 16, v1
	v_add_u32_e32 v3, v2, v4
	v_ashrrev_i32_e32 v3, 5, v3
	v_cmp_gt_i32_e32 vcc, s27, v2
	s_nop 1
	v_cndmask_b32_e32 v2, v5, v3, vcc
	v_ashrrev_i32_e32 v3, 31, v2
	v_lshl_add_u64 v[8:9], v[2:3], 2, s[6:7]
	v_or_b32_e32 v2, 32, v1
	v_add_u32_e32 v3, v2, v4
	v_ashrrev_i32_e32 v3, 5, v3
	v_cmp_gt_i32_e32 vcc, s27, v2
	v_or_b32_e32 v1, 48, v1
	s_nop 0
	v_cndmask_b32_e32 v2, v5, v3, vcc
	v_ashrrev_i32_e32 v3, 31, v2
	v_lshl_add_u64 v[10:11], v[2:3], 2, s[6:7]
	v_add_u32_e32 v2, v1, v4
	v_ashrrev_i32_e32 v2, 5, v2
	v_cmp_gt_i32_e32 vcc, s27, v1
	s_nop 1
	v_cndmask_b32_e32 v2, v5, v2, vcc
	v_ashrrev_i32_e32 v3, 31, v2
	v_lshl_add_u64 v[12:13], v[2:3], 2, s[6:7]
	global_load_dword v5, v[6:7], off
	global_load_dword v4, v[8:9], off
	;; [unrolled: 1-line block ×4, first 2 shown]
	s_andn2_b64 vcc, exec, s[10:11]
	s_cbranch_vccnz .LBB739_8
; %bb.6:
	s_add_u32 s8, s8, s12
	s_addc_u32 s9, s9, s13
	s_load_dword s5, s[8:9], 0x0
	s_branch .LBB739_9
.LBB739_7:
	s_mov_b64 s[12:13], 0
	s_branch .LBB739_2
.LBB739_8:
	s_mov_b32 s5, s2
.LBB739_9:
	s_load_dwordx2 s[14:15], s[0:1], 0x8
	s_load_dwordx4 s[8:11], s[0:1], 0x48
	v_and_b32_e32 v84, 15, v0
	s_waitcnt lgkmcnt(0)
	s_movk_i32 s11, 0xbf
	v_lshlrev_b32_e32 v82, 3, v84
	v_cmp_lt_u32_e32 vcc, s11, v0
	s_and_saveexec_b64 s[12:13], vcc
	s_xor_b64 s[12:13], exec, s[12:13]
; %bb.10:
	v_mov_b32_e32 v83, 0
; %bb.11:
	s_or_saveexec_b64 s[16:17], s[12:13]
	s_load_dwordx2 s[12:13], s[0:1], 0x10
	v_lshrrev_b32_e32 v85, 6, v0
	v_bfe_u32 v1, v0, 4, 2
	s_mul_i32 s40, s4, 12
	s_xor_b64 exec, exec, s[16:17]
	s_cbranch_execz .LBB739_13
; %bb.12:
	s_load_dwordx2 s[20:21], s[0:1], 0x0
	s_ashr_i32 s11, s8, 31
	s_mul_hi_u32 s22, s5, s8
	s_mul_i32 s11, s5, s11
	s_add_i32 s23, s22, s11
	s_mul_i32 s22, s5, s8
	v_lshl_or_b32 v10, v85, 2, v1
	s_lshl_b64 s[22:23], s[22:23], 1
	s_waitcnt lgkmcnt(0)
	s_add_u32 s20, s20, s22
	v_add_lshl_u32 v6, v10, s40, 7
	s_addc_u32 s21, s21, s23
	v_ashrrev_i32_e32 v7, 31, v6
	v_mov_b32_e32 v83, 0
	v_lshl_add_u64 v[6:7], v[6:7], 1, s[20:21]
	v_lshlrev_b32_e32 v8, 1, v82
	v_mov_b32_e32 v9, v83
	v_lshl_add_u64 v[6:7], v[6:7], 0, v[8:9]
	global_load_dwordx4 v[6:9], v[6:7], off
	v_and_b32_e32 v11, 3, v0
	v_lshlrev_b32_e32 v12, 9, v84
	v_lshlrev_b32_e32 v10, 5, v10
	;; [unrolled: 1-line block ×3, first 2 shown]
	v_and_b32_e32 v12, 0x1800, v12
	v_or3_b32 v10, v12, v11, v10
	s_waitcnt vmcnt(0)
	ds_write_b128 v10, v[6:9]
.LBB739_13:
	s_or_b64 exec, exec, s[16:17]
	s_mul_i32 s4, s4, s10
	s_mov_b32 s5, 0
	s_lshl_b64 s[4:5], s[4:5], 1
	s_add_u32 s10, s14, s4
	s_addc_u32 s11, s15, s5
	s_waitcnt vmcnt(3)
	v_mad_i64_i32 v[6:7], s[14:15], v5, s9, 0
	v_lshl_add_u64 v[6:7], v[6:7], 1, s[10:11]
	v_lshlrev_b64 v[8:9], 1, v[82:83]
	v_lshlrev_b32_e32 v86, 9, v1
	v_lshl_add_u64 v[6:7], v[6:7], 0, v[8:9]
	v_mov_b32_e32 v87, 0
	v_lshl_add_u64 v[10:11], v[6:7], 0, v[86:87]
	v_or_b32_e32 v14, 0x1000, v86
	v_mov_b32_e32 v15, v87
	v_or_b32_e32 v16, 0x1800, v86
	v_mov_b32_e32 v17, v87
	s_waitcnt lgkmcnt(0)
	s_barrier
	global_load_dwordx4 v[66:69], v[10:11], off
	global_load_dwordx4 v[62:65], v[10:11], off offset:2048
	v_lshl_add_u64 v[10:11], v[6:7], 0, v[14:15]
	v_lshl_add_u64 v[6:7], v[6:7], 0, v[16:17]
	global_load_dwordx4 v[78:81], v[10:11], off
	global_load_dwordx4 v[74:77], v[6:7], off
	s_waitcnt vmcnt(6)
	v_mad_i64_i32 v[4:5], s[14:15], v4, s9, 0
	v_mov_b32_e32 v6, 0x100
	v_lshl_add_u64 v[4:5], v[4:5], 1, s[10:11]
	v_lshl_or_b32 v6, v84, 4, v6
	v_mov_b32_e32 v7, v87
	v_lshl_add_u64 v[4:5], v[4:5], 0, v[6:7]
	v_lshl_add_u64 v[10:11], v[4:5], 0, v[86:87]
	global_load_dwordx4 v[70:73], v[10:11], off
	global_load_dwordx4 v[58:61], v[10:11], off offset:2048
	v_lshl_add_u64 v[10:11], v[4:5], 0, v[14:15]
	v_lshl_add_u64 v[4:5], v[4:5], 0, v[16:17]
	global_load_dwordx4 v[54:57], v[10:11], off
	global_load_dwordx4 v[30:33], v[4:5], off
	s_waitcnt vmcnt(9)
	v_mad_i64_i32 v[4:5], s[14:15], v3, s9, 0
	v_lshl_add_u64 v[4:5], v[4:5], 1, s[10:11]
	s_waitcnt vmcnt(8)
	v_mad_i64_i32 v[2:3], s[14:15], v2, s9, 0
	v_lshl_add_u64 v[4:5], v[4:5], 0, v[8:9]
	v_lshl_add_u64 v[2:3], v[2:3], 1, s[10:11]
	v_lshl_add_u64 v[8:9], v[4:5], 0, v[86:87]
	v_lshl_add_u64 v[34:35], v[2:3], 0, v[6:7]
	global_load_dwordx4 v[26:29], v[8:9], off
	global_load_dwordx4 v[22:25], v[8:9], off offset:2048
	v_lshl_add_u64 v[8:9], v[4:5], 0, v[14:15]
	v_lshl_add_u64 v[4:5], v[4:5], 0, v[16:17]
	;; [unrolled: 1-line block ×4, first 2 shown]
	global_load_dwordx4 v[18:21], v[8:9], off
	global_load_dwordx4 v[10:13], v[4:5], off
	s_nop 0
	global_load_dwordx4 v[6:9], v[2:3], off
	s_nop 0
	global_load_dwordx4 v[2:5], v[2:3], off offset:2048
	v_lshl_add_u64 v[16:17], v[34:35], 0, v[16:17]
	global_load_dwordx4 v[38:41], v[14:15], off
	global_load_dwordx4 v[34:37], v[16:17], off
	v_add_u32_e32 v14, -12, v84
	v_cmp_gt_u32_e32 vcc, 12, v84
	v_and_b32_e32 v88, 63, v0
	v_mov_b32_e32 v89, 0
	v_cndmask_b32_e32 v14, v14, v84, vcc
	v_lshl_add_u32 v42, v14, 5, v86
	ds_read_b128 v[14:17], v42
	ds_read_b128 v[50:53], v42 offset:2048
	ds_read_b128 v[46:49], v42 offset:4096
	;; [unrolled: 1-line block ×3, first 2 shown]
	s_and_saveexec_b64 s[10:11], vcc
	s_cbranch_execz .LBB739_15
; %bb.14:
	s_load_dwordx2 s[14:15], s[0:1], 0x40
	v_add_u32_e32 v90, s40, v84
	v_ashrrev_i32_e32 v91, 31, v90
	s_waitcnt lgkmcnt(0)
	v_lshl_add_u64 v[90:91], v[90:91], 2, s[14:15]
	global_load_dword v89, v[90:91], off
.LBB739_15:
	s_or_b64 exec, exec, s[10:11]
	s_waitcnt vmcnt(15) lgkmcnt(3)
	v_mfma_f32_16x16x16_bf16 v[90:93], v[66:67], v[14:15], 0
	s_ashr_i32 s8, s18, 31
	s_lshr_b32 s8, s8, 27
	s_add_u32 s4, s12, s4
	v_mfma_f32_16x16x16_bf16 v[66:69], v[68:69], v[16:17], v[90:93]
	s_addc_u32 s5, s13, s5
	s_mov_b32 s33, 0xff7fffff
	s_waitcnt vmcnt(14) lgkmcnt(2)
	v_mfma_f32_16x16x16_bf16 v[66:69], v[62:63], v[50:51], v[66:69]
	v_lshl_or_b32 v90, v85, 4, v84
	v_mfma_f32_16x16x16_bf16 v[62:65], v[64:65], v[52:53], v[66:69]
	s_waitcnt vmcnt(13) lgkmcnt(1)
	v_mfma_f32_16x16x16_bf16 v[62:65], v[78:79], v[46:47], v[62:65]
	v_mfma_f32_16x16x16_bf16 v[62:65], v[80:81], v[48:49], v[62:65]
	s_waitcnt vmcnt(12) lgkmcnt(0)
	v_mfma_f32_16x16x16_bf16 v[62:65], v[74:75], v[42:43], v[62:65]
	v_and_or_b32 v74, v0, 48, s18
	v_add_u32_e32 v66, s8, v74
	v_ashrrev_i32_e32 v75, 5, v66
	s_waitcnt vmcnt(11)
	v_mfma_f32_16x16x16_bf16 v[66:69], v[70:71], v[14:15], 0
	v_cmp_gt_i32_e32 vcc, s27, v74
	v_mfma_f32_16x16x16_bf16 v[66:69], v[72:73], v[16:17], v[66:69]
	v_or_b32_e32 v72, 64, v74
	v_add_u32_e32 v73, s8, v72
	s_waitcnt vmcnt(10)
	v_mfma_f32_16x16x16_bf16 v[66:69], v[58:59], v[50:51], v[66:69]
	v_ashrrev_i32_e32 v58, 5, v73
	v_mfma_f32_16x16x16_bf16 v[62:65], v[76:77], v[44:45], v[62:65]
	v_mov_b32_e32 v76, s19
	v_cndmask_b32_e32 v70, v76, v75, vcc
	v_cmp_gt_i32_e32 vcc, s27, v72
	v_ashrrev_i32_e32 v71, 31, v70
	v_lshl_add_u64 v[70:71], v[70:71], 2, s[6:7]
	v_cndmask_b32_e32 v72, v76, v58, vcc
	v_mfma_f32_16x16x16_bf16 v[58:61], v[60:61], v[52:53], v[66:69]
	v_ashrrev_i32_e32 v73, 31, v72
	s_waitcnt vmcnt(9)
	v_mfma_f32_16x16x16_bf16 v[58:61], v[54:55], v[46:47], v[58:61]
	v_lshl_add_u64 v[66:67], v[72:73], 2, s[6:7]
	global_load_dword v68, v[70:71], off
	s_nop 0
	global_load_dword v66, v[66:67], off
	v_or_b32_e32 v67, 0x80, v74
	v_add_u32_e32 v69, s8, v67
	v_mfma_f32_16x16x16_bf16 v[54:57], v[56:57], v[48:49], v[58:61]
	v_cmp_gt_i32_e32 vcc, s27, v67
	s_nop 1
	v_ashrrev_i32_e32 v58, 5, v69
	v_cndmask_b32_e32 v58, v76, v58, vcc
	v_ashrrev_i32_e32 v59, 31, v58
	s_waitcnt vmcnt(10)
	v_mfma_f32_16x16x16_bf16 v[54:57], v[30:31], v[42:43], v[54:57]
	v_lshl_add_u64 v[30:31], v[58:59], 2, s[6:7]
	global_load_dword v70, v[30:31], off
	v_mfma_f32_16x16x16_bf16 v[58:61], v[32:33], v[44:45], v[54:57]
	s_nop 3
	v_or_b32_e32 v54, 0xc0, v74
	v_add_u32_e32 v30, s8, v54
	v_ashrrev_i32_e32 v55, 5, v30
	v_cmp_gt_i32_e32 vcc, s27, v54
	s_waitcnt vmcnt(10)
	v_mfma_f32_16x16x16_bf16 v[30:33], v[26:27], v[14:15], 0
	v_cndmask_b32_e32 v26, v76, v55, vcc
	v_ashrrev_i32_e32 v27, 31, v26
	v_lshl_add_u64 v[54:55], v[26:27], 2, s[6:7]
	global_load_dword v71, v[54:55], off
	v_mfma_f32_16x16x16_bf16 v[26:29], v[28:29], v[16:17], v[30:33]
	s_load_dword s6, s[0:1], 0x1c
	s_waitcnt vmcnt(10)
	v_mfma_f32_16x16x16_bf16 v[26:29], v[22:23], v[50:51], v[26:29]
	v_and_b32_e32 v30, 16, v0
	v_lshlrev_b32_e32 v86, 1, v30
	v_lshl_add_u64 v[74:75], s[4:5], 0, v[86:87]
	v_mfma_f32_16x16x16_bf16 v[22:25], v[24:25], v[52:53], v[26:29]
	v_lshlrev_b32_e32 v86, 6, v90
	v_lshl_add_u64 v[76:77], v[74:75], 0, v[86:87]
	v_or_b32_e32 v86, 0x1000, v86
	s_waitcnt vmcnt(9)
	v_mfma_f32_16x16x16_bf16 v[22:25], v[18:19], v[46:47], v[22:25]
	v_lshl_add_u64 v[80:81], v[74:75], 0, v[86:87]
	s_waitcnt lgkmcnt(0)
	v_pk_mul_f32 v[74:75], s[6:7], v[60:61] op_sel_hi:[0,1]
	v_mfma_f32_16x16x16_bf16 v[18:21], v[20:21], v[48:49], v[22:25]
	s_waitcnt vmcnt(8)
	v_mfma_f32_16x16x16_bf16 v[18:21], v[10:11], v[42:43], v[18:21]
	s_waitcnt vmcnt(3)
	v_mad_i64_i32 v[22:23], s[4:5], v68, s9, 0
	s_waitcnt vmcnt(2)
	v_mad_i64_i32 v[10:11], s[4:5], v66, s9, 0
	v_lshlrev_b64 v[78:79], 1, v[22:23]
	v_lshlrev_b64 v[54:55], 1, v[10:11]
	v_lshl_add_u64 v[22:23], v[76:77], 0, v[78:79]
	v_lshl_add_u64 v[10:11], v[76:77], 0, v[54:55]
	global_load_dwordx4 v[30:33], v[22:23], off
	global_load_dwordx4 v[26:29], v[22:23], off offset:16
	v_mfma_f32_16x16x16_bf16 v[66:69], v[12:13], v[44:45], v[18:21]
	global_load_dwordx4 v[22:25], v[10:11], off
	s_nop 1
	global_load_dwordx4 v[18:21], v[10:11], off offset:16
	v_mfma_f32_16x16x16_bf16 v[10:13], v[6:7], v[14:15], 0
	s_waitcnt vmcnt(5)
	v_mad_i64_i32 v[6:7], s[4:5], v70, s9, 0
	v_lshlrev_b64 v[56:57], 1, v[6:7]
	v_mfma_f32_16x16x16_bf16 v[6:9], v[8:9], v[16:17], v[10:13]
	v_mfma_f32_16x16x16_bf16 v[6:9], v[2:3], v[50:51], v[6:9]
	s_nop 1
	v_lshl_add_u64 v[10:11], v[76:77], 0, v[56:57]
	global_load_dwordx4 v[14:17], v[10:11], off
	s_nop 0
	global_load_dwordx4 v[10:13], v[10:11], off offset:16
	s_waitcnt vmcnt(6)
	v_mad_i64_i32 v[2:3], s[4:5], v71, s9, 0
	v_mfma_f32_16x16x16_bf16 v[70:73], v[4:5], v[52:53], v[6:9]
	v_pk_mul_f32 v[52:53], s[6:7], v[62:63] op_sel_hi:[0,1]
	v_lshlrev_b64 v[50:51], 1, v[2:3]
	v_lshl_add_u64 v[2:3], v[76:77], 0, v[50:51]
	v_mfma_f32_16x16x16_bf16 v[70:73], v[38:39], v[46:47], v[70:73]
	v_lshl_add_u64 v[38:39], v[80:81], 0, v[78:79]
	v_pk_mul_f32 v[78:79], s[6:7], v[64:65] op_sel_hi:[0,1]
	v_pk_mul_f32 v[76:77], s[6:7], v[58:59] op_sel_hi:[0,1]
	v_mfma_f32_16x16x16_bf16 v[46:49], v[40:41], v[48:49], v[70:73]
	v_lshl_add_u64 v[50:51], v[80:81], 0, v[50:51]
	global_load_dwordx4 v[6:9], v[2:3], off
	s_nop 0
	global_load_dwordx4 v[2:5], v[2:3], off offset:16
	v_pk_mul_f32 v[70:71], s[6:7], v[68:69] op_sel_hi:[0,1]
	v_mfma_f32_16x16x16_bf16 v[40:43], v[34:35], v[42:43], v[46:49]
	v_pk_mul_f32 v[72:73], s[6:7], v[66:67] op_sel_hi:[0,1]
	v_mfma_f32_16x16x16_bf16 v[34:37], v[36:37], v[44:45], v[40:43]
	s_nop 6
	v_pk_mul_f32 v[68:69], s[6:7], v[34:35] op_sel_hi:[0,1]
	v_and_b32_e32 v34, 0xc0, v0
	v_add_u32_e32 v34, s18, v34
	v_lshl_or_b32 v34, v1, 2, v34
	v_or_b32_e32 v35, 1, v34
	v_pk_mul_f32 v[66:67], s[6:7], v[36:37] op_sel_hi:[0,1]
	v_subrev_u32_e32 v36, s27, v35
	v_add_u32_e32 v40, 1, v36
	v_add_u32_e32 v41, 2, v36
	v_cvt_f32_i32_e32 v37, v36
	v_cvt_f32_i32_e32 v40, v40
	;; [unrolled: 1-line block ×3, first 2 shown]
	v_add_u32_e32 v42, 3, v36
	v_fma_f32 v52, v89, v37, v52
	v_fmac_f32_e32 v53, v89, v40
	v_fma_f32 v78, v89, v41, v78
	v_add_u32_e32 v37, 16, v36
	v_add_u32_e32 v40, 17, v36
	;; [unrolled: 1-line block ×3, first 2 shown]
	v_cvt_f32_i32_e32 v42, v42
	v_cvt_f32_i32_e32 v37, v37
	;; [unrolled: 1-line block ×4, first 2 shown]
	v_fmac_f32_e32 v79, v89, v42
	v_add_u32_e32 v42, 19, v36
	v_fma_f32 v76, v89, v37, v76
	v_fmac_f32_e32 v77, v89, v40
	v_fma_f32 v74, v89, v41, v74
	v_add_u32_e32 v37, 32, v36
	v_add_u32_e32 v40, 33, v36
	;; [unrolled: 1-line block ×3, first 2 shown]
	v_cvt_f32_i32_e32 v42, v42
	v_cvt_f32_i32_e32 v37, v37
	;; [unrolled: 1-line block ×4, first 2 shown]
	v_fmac_f32_e32 v75, v89, v42
	v_add_u32_e32 v42, 35, v36
	v_fma_f32 v72, v89, v37, v72
	v_fmac_f32_e32 v73, v89, v40
	v_fma_f32 v70, v89, v41, v70
	v_add_u32_e32 v37, 48, v36
	v_add_u32_e32 v40, 49, v36
	;; [unrolled: 1-line block ×4, first 2 shown]
	v_cvt_f32_i32_e32 v36, v36
	v_cvt_f32_i32_e32 v37, v37
	;; [unrolled: 1-line block ×3, first 2 shown]
	v_cmp_gt_i32_e64 s[28:29], s27, v34
	v_fmac_f32_e32 v67, v89, v36
	v_mov_b32_e32 v36, 0xff7fffff
	v_cmp_gt_i32_e64 s[30:31], s27, v35
	v_fma_f32 v68, v89, v37, v68
	v_cndmask_b32_e64 v37, v36, v52, s[28:29]
	v_cndmask_b32_e64 v35, v36, v53, s[30:31]
	v_fmac_f32_e32 v69, v89, v40
	v_max3_f32 v35, v37, s33, v35
	v_or_b32_e32 v37, 2, v34
	v_or_b32_e32 v40, 3, v34
	v_cmp_gt_i32_e64 s[34:35], s27, v37
	v_cmp_gt_i32_e64 s[36:37], s27, v40
	v_cvt_f32_i32_e32 v42, v42
	v_cndmask_b32_e64 v37, v36, v78, s[34:35]
	v_cndmask_b32_e64 v40, v36, v79, s[36:37]
	v_max3_f32 v35, v35, v37, v40
	v_or_b32_e32 v37, 16, v34
	v_or_b32_e32 v40, 17, v34
	v_cmp_gt_i32_e64 s[22:23], s27, v37
	v_cmp_gt_i32_e64 s[24:25], s27, v40
	v_fmac_f32_e32 v71, v89, v42
	v_cndmask_b32_e64 v37, v36, v76, s[22:23]
	v_cndmask_b32_e64 v40, v36, v77, s[24:25]
	v_max3_f32 v35, v35, v37, v40
	v_or_b32_e32 v37, 18, v34
	v_or_b32_e32 v40, 19, v34
	v_cmp_gt_i32_e64 s[18:19], s27, v37
	v_cmp_gt_i32_e64 s[20:21], s27, v40
	v_cvt_f32_i32_e32 v41, v41
	v_cndmask_b32_e64 v37, v36, v74, s[18:19]
	v_cndmask_b32_e64 v40, v36, v75, s[20:21]
	v_max3_f32 v35, v35, v37, v40
	v_or_b32_e32 v37, 32, v34
	v_or_b32_e32 v40, 33, v34
	v_cmp_gt_i32_e64 s[14:15], s27, v37
	v_cmp_gt_i32_e64 s[16:17], s27, v40
	v_fma_f32 v66, v89, v41, v66
	v_cndmask_b32_e64 v37, v36, v72, s[14:15]
	v_cndmask_b32_e64 v40, v36, v73, s[16:17]
	v_max3_f32 v35, v35, v37, v40
	v_or_b32_e32 v37, 34, v34
	v_or_b32_e32 v40, 35, v34
	v_cmp_gt_i32_e64 s[10:11], s27, v37
	v_cmp_gt_i32_e64 s[12:13], s27, v40
	s_nop 0
	v_cndmask_b32_e64 v37, v36, v70, s[10:11]
	v_cndmask_b32_e64 v40, v36, v71, s[12:13]
	v_max3_f32 v35, v35, v37, v40
	v_or_b32_e32 v37, 48, v34
	v_or_b32_e32 v40, 49, v34
	v_cmp_gt_i32_e64 s[6:7], s27, v37
	v_cmp_gt_i32_e64 s[8:9], s27, v40
	s_nop 0
	v_cndmask_b32_e64 v37, v36, v68, s[6:7]
	v_cndmask_b32_e64 v40, v36, v69, s[8:9]
	v_max3_f32 v35, v35, v37, v40
	v_or_b32_e32 v37, 50, v34
	v_or_b32_e32 v34, 51, v34
	v_cmp_gt_i32_e32 vcc, s27, v37
	v_cmp_gt_i32_e64 s[4:5], s27, v34
	global_load_dwordx4 v[46:49], v[38:39], off
	s_nop 0
	global_load_dwordx4 v[38:41], v[38:39], off offset:16
	v_cndmask_b32_e32 v37, v36, v66, vcc
	v_cndmask_b32_e64 v34, v36, v67, s[4:5]
	v_max3_f32 v58, v35, v37, v34
	v_mbcnt_lo_u32_b32 v34, -1, 0
	v_mbcnt_hi_u32_b32 v59, -1, v34
	v_and_b32_e32 v34, 64, v59
	v_add_u32_e32 v60, 64, v34
	v_xor_b32_e32 v34, 32, v59
	v_cmp_lt_i32_e64 s[38:39], v34, v60
	s_nop 1
	v_cndmask_b32_e64 v34, v59, v34, s[38:39]
	v_lshlrev_b32_e32 v87, 2, v34
	ds_bpermute_b32 v61, v87, v58
	v_lshl_add_u64 v[34:35], v[80:81], 0, v[54:55]
	global_load_dwordx4 v[42:45], v[34:35], off
	s_nop 0
	global_load_dwordx4 v[34:37], v[34:35], off offset:16
	s_waitcnt lgkmcnt(0)
	v_max_f32_e32 v54, v61, v61
	v_max_f32_e32 v62, v58, v54
	v_xor_b32_e32 v54, 16, v59
	v_cmp_lt_i32_e64 s[38:39], v54, v60
	s_nop 1
	v_cndmask_b32_e64 v54, v59, v54, s[38:39]
	v_lshlrev_b32_e32 v89, 2, v54
	ds_bpermute_b32 v63, v89, v62
	v_lshl_add_u64 v[54:55], v[80:81], 0, v[56:57]
	global_load_dwordx4 v[58:61], v[54:55], off
	s_nop 0
	global_load_dwordx4 v[54:57], v[54:55], off offset:16
	s_waitcnt lgkmcnt(0)
	v_max_f32_e32 v63, v63, v63
	v_max_f32_e32 v86, v62, v63
	v_sub_f32_e32 v52, v52, v86
	v_mul_f32_e32 v52, 0x3fb8aa3b, v52
	v_exp_f32_e32 v80, v52
	v_sub_f32_e32 v52, v53, v86
	v_mul_f32_e32 v52, 0x3fb8aa3b, v52
	v_exp_f32_e32 v81, v52
	global_load_dwordx4 v[62:65], v[50:51], off
	s_nop 0
	global_load_dwordx4 v[50:53], v[50:51], off offset:16
	v_sub_f32_e32 v78, v78, v86
	v_mul_f32_e32 v78, 0x3fb8aa3b, v78
	v_sub_f32_e32 v79, v79, v86
	v_exp_f32_e32 v78, v78
	v_mul_f32_e32 v79, 0x3fb8aa3b, v79
	v_sub_f32_e32 v76, v76, v86
	v_exp_f32_e32 v79, v79
	v_mul_f32_e32 v76, 0x3fb8aa3b, v76
	v_sub_f32_e32 v77, v77, v86
	v_cndmask_b32_e64 v80, 0, v80, s[28:29]
	v_exp_f32_e32 v76, v76
	v_mul_f32_e32 v77, 0x3fb8aa3b, v77
	v_sub_f32_e32 v74, v74, v86
	v_add_f32_e32 v91, 0, v80
	v_cndmask_b32_e64 v81, 0, v81, s[30:31]
	v_exp_f32_e32 v77, v77
	v_mul_f32_e32 v74, 0x3fb8aa3b, v74
	v_sub_f32_e32 v75, v75, v86
	v_add_f32_e32 v91, v91, v81
	v_cndmask_b32_e64 v78, 0, v78, s[34:35]
	v_exp_f32_e32 v74, v74
	v_mul_f32_e32 v75, 0x3fb8aa3b, v75
	v_sub_f32_e32 v72, v72, v86
	v_add_f32_e32 v91, v91, v78
	v_cndmask_b32_e64 v79, 0, v79, s[36:37]
	v_exp_f32_e32 v75, v75
	v_mul_f32_e32 v72, 0x3fb8aa3b, v72
	v_sub_f32_e32 v73, v73, v86
	v_add_f32_e32 v91, v91, v79
	v_cndmask_b32_e64 v76, 0, v76, s[22:23]
	v_exp_f32_e32 v72, v72
	v_mul_f32_e32 v73, 0x3fb8aa3b, v73
	v_sub_f32_e32 v70, v70, v86
	v_add_f32_e32 v91, v91, v76
	v_cndmask_b32_e64 v77, 0, v77, s[24:25]
	v_exp_f32_e32 v73, v73
	v_mul_f32_e32 v70, 0x3fb8aa3b, v70
	v_sub_f32_e32 v71, v71, v86
	v_add_f32_e32 v91, v91, v77
	v_cndmask_b32_e64 v74, 0, v74, s[18:19]
	v_exp_f32_e32 v70, v70
	v_mul_f32_e32 v71, 0x3fb8aa3b, v71
	v_sub_f32_e32 v68, v68, v86
	v_add_f32_e32 v91, v91, v74
	v_cndmask_b32_e64 v75, 0, v75, s[20:21]
	v_exp_f32_e32 v71, v71
	v_mul_f32_e32 v68, 0x3fb8aa3b, v68
	v_sub_f32_e32 v69, v69, v86
	v_add_f32_e32 v91, v91, v75
	v_cndmask_b32_e64 v72, 0, v72, s[14:15]
	v_exp_f32_e32 v68, v68
	v_mul_f32_e32 v69, 0x3fb8aa3b, v69
	v_sub_f32_e32 v66, v66, v86
	v_add_f32_e32 v91, v91, v72
	v_cndmask_b32_e64 v73, 0, v73, s[16:17]
	v_exp_f32_e32 v69, v69
	v_mul_f32_e32 v66, 0x3fb8aa3b, v66
	v_sub_f32_e32 v67, v67, v86
	v_add_f32_e32 v91, v91, v73
	v_cndmask_b32_e64 v70, 0, v70, s[10:11]
	v_exp_f32_e32 v66, v66
	v_mul_f32_e32 v67, 0x3fb8aa3b, v67
	v_add_f32_e32 v91, v91, v70
	v_cndmask_b32_e64 v71, 0, v71, s[12:13]
	v_exp_f32_e32 v67, v67
	v_add_f32_e32 v91, v91, v71
	v_cndmask_b32_e64 v68, 0, v68, s[6:7]
	v_add_f32_e32 v91, v91, v68
	v_cndmask_b32_e64 v69, 0, v69, s[8:9]
	v_add_f32_e32 v91, v91, v69
	v_cndmask_b32_e32 v66, 0, v66, vcc
	v_add_f32_e32 v91, v91, v66
	v_cndmask_b32_e64 v67, 0, v67, s[4:5]
	v_add_f32_e32 v91, v91, v67
	ds_bpermute_b32 v87, v87, v91
	s_load_dword s7, s[0:1], 0x98
	v_cmp_gt_u32_e32 vcc, 16, v88
	s_waitcnt lgkmcnt(0)
	s_barrier
	v_add_f32_e32 v87, v91, v87
	ds_bpermute_b32 v89, v89, v87
	s_waitcnt lgkmcnt(0)
	s_and_saveexec_b64 s[4:5], vcc
	s_cbranch_execz .LBB739_17
; %bb.16:
	v_add_f32_e32 v87, v87, v89
	v_lshlrev_b32_e32 v88, 2, v90
	ds_write2st64_b32 v88, v86, v87 offset1:1
.LBB739_17:
	s_or_b64 exec, exec, s[4:5]
	v_lshlrev_b32_e32 v87, 2, v84
	s_load_dword s6, s[0:1], 0x94
	s_waitcnt lgkmcnt(0)
	s_barrier
	ds_read2_b32 v[88:89], v87 offset1:16
	ds_read2_b32 v[90:91], v87 offset0:32 offset1:48
	ds_read2_b32 v[92:93], v87 offset0:64 offset1:80
	s_movk_i32 s8, 0x7fff
	s_mov_b32 s9, 0x7060302
	s_waitcnt lgkmcnt(2)
	v_max3_f32 v86, v88, s33, v89
	s_waitcnt lgkmcnt(1)
	v_max3_f32 v86, v86, v90, v91
	v_sub_f32_e32 v88, v88, v86
	v_mul_f32_e32 v88, 0x3fb8aa3b, v88
	v_exp_f32_e32 v94, v88
	v_sub_f32_e32 v88, v89, v86
	v_mul_f32_e32 v88, 0x3fb8aa3b, v88
	v_exp_f32_e32 v95, v88
	;; [unrolled: 3-line block ×3, first 2 shown]
	ds_read2_b32 v[88:89], v87 offset0:96 offset1:112
	v_sub_f32_e32 v87, v91, v86
	v_mul_f32_e32 v87, 0x3fb8aa3b, v87
	v_exp_f32_e32 v91, v87
	s_waitcnt lgkmcnt(1)
	v_fma_f32 v87, v94, v92, 0
	v_fmac_f32_e32 v87, v95, v93
	s_waitcnt lgkmcnt(0)
	v_fmac_f32_e32 v87, v90, v88
	v_fmac_f32_e32 v87, v91, v89
	v_add_f32_e32 v88, 0x358637bd, v87
	v_div_scale_f32 v89, s[4:5], v88, v88, 1.0
	v_rcp_f32_e32 v92, v89
	s_mul_i32 s7, s7, 12
	s_barrier
	v_fma_f32 v93, -v89, v92, 1.0
	v_fmac_f32_e32 v92, v93, v92
	v_div_scale_f32 v93, vcc, 1.0, v88, 1.0
	v_mul_f32_e32 v1, v93, v92
	v_fma_f32 v85, -v89, v1, v93
	v_fmac_f32_e32 v1, v85, v92
	v_fma_f32 v85, -v89, v1, v93
	v_div_fmas_f32 v1, v85, v92, v1
	v_lshrrev_b32_e32 v92, 6, v0
	v_cmp_eq_u32_e32 vcc, 1, v92
	v_div_fixup_f32 v1, v1, v88, 1.0
	s_nop 0
	v_cndmask_b32_e32 v85, v94, v95, vcc
	v_cmp_eq_u32_e32 vcc, 2, v92
	s_nop 1
	v_cndmask_b32_e32 v85, v85, v90, vcc
	v_cmp_eq_u32_e32 vcc, 3, v92
	s_nop 1
	v_cndmask_b32_e32 v85, v85, v91, vcc
	v_mul_f32_e32 v88, v85, v1
	v_pk_mul_f32 v[80:81], v[88:89], v[80:81] op_sel_hi:[0,1]
	v_bfe_u32 v1, v81, 16, 1
	v_bfe_u32 v85, v80, 16, 1
	v_pk_mul_f32 v[78:79], v[88:89], v[78:79] op_sel_hi:[0,1]
	v_add3_u32 v80, v80, v85, s8
	v_add3_u32 v1, v81, v1, s8
	v_perm_b32 v80, v1, v80, s9
	v_bfe_u32 v1, v79, 16, 1
	v_bfe_u32 v81, v78, 16, 1
	v_add3_u32 v78, v78, v81, s8
	v_add3_u32 v1, v79, v1, s8
	v_bfe_u32 v89, v0, 4, 2
	v_perm_b32 v81, v1, v78, s9
	v_lshlrev_b32_e32 v1, 3, v89
	v_lshlrev_b32_e32 v79, 5, v84
	;; [unrolled: 1-line block ×3, first 2 shown]
	v_pk_mul_f32 v[76:77], v[88:89], v[76:77] op_sel_hi:[0,1]
	v_or3_b32 v78, v78, v79, v1
	v_bfe_u32 v1, v77, 16, 1
	v_bfe_u32 v85, v76, 16, 1
	v_pk_mul_f32 v[74:75], v[88:89], v[74:75] op_sel_hi:[0,1]
	v_add3_u32 v76, v76, v85, s8
	v_add3_u32 v1, v77, v1, s8
	v_perm_b32 v76, v1, v76, s9
	v_bfe_u32 v1, v75, 16, 1
	v_bfe_u32 v77, v74, 16, 1
	v_add3_u32 v74, v74, v77, s8
	v_add3_u32 v1, v75, v1, s8
	v_pk_mul_f32 v[72:73], v[88:89], v[72:73] op_sel_hi:[0,1]
	v_perm_b32 v77, v1, v74, s9
	v_bfe_u32 v1, v73, 16, 1
	v_bfe_u32 v74, v72, 16, 1
	v_pk_mul_f32 v[70:71], v[88:89], v[70:71] op_sel_hi:[0,1]
	v_add3_u32 v72, v72, v74, s8
	v_add3_u32 v1, v73, v1, s8
	v_perm_b32 v72, v1, v72, s9
	v_bfe_u32 v1, v71, 16, 1
	v_bfe_u32 v73, v70, 16, 1
	v_add3_u32 v70, v70, v73, s8
	v_add3_u32 v1, v71, v1, s8
	v_pk_mul_f32 v[68:69], v[88:89], v[68:69] op_sel_hi:[0,1]
	v_perm_b32 v73, v1, v70, s9
	v_bfe_u32 v1, v69, 16, 1
	v_bfe_u32 v70, v68, 16, 1
	v_pk_mul_f32 v[66:67], v[88:89], v[66:67] op_sel_hi:[0,1]
	v_add3_u32 v68, v68, v70, s8
	v_add3_u32 v1, v69, v1, s8
	v_perm_b32 v68, v1, v68, s9
	v_bfe_u32 v1, v67, 16, 1
	v_bfe_u32 v69, v66, 16, 1
	v_add3_u32 v66, v66, v69, s8
	v_add3_u32 v1, v67, v1, s8
	v_perm_b32 v69, v1, v66, s9
	v_cmp_gt_u32_e32 vcc, 12, v0
	ds_write2st64_b64 v78, v[80:81], v[76:77] offset1:1
	ds_write2st64_b64 v78, v[72:73], v[68:69] offset0:2 offset1:3
	s_and_saveexec_b64 s[4:5], vcc
	s_cbranch_execz .LBB739_19
; %bb.18:
	s_mov_b32 s41, 0
	v_mov_b32_e32 v85, 0
	v_lshl_add_u64 v[66:67], s[40:41], 0, v[84:85]
	v_mov_b32_e32 v1, s7
	v_mad_u64_u32 v[66:67], s[10:11], s2, v1, v[66:67]
	s_mul_i32 s3, s3, s7
	v_mov_b32_e32 v68, s26
	v_mov_b32_e32 v69, v85
	s_load_dwordx4 s[12:15], s[0:1], 0x58
	v_add_u32_e32 v1, s3, v67
	v_mad_u64_u32 v[66:67], s[10:11], v66, s6, v[68:69]
	v_mov_b32_e32 v68, v67
	v_mad_u64_u32 v[68:69], s[10:11], v1, s6, v[68:69]
	v_mov_b32_e32 v67, v68
	v_lshlrev_b64 v[66:67], 2, v[66:67]
	s_waitcnt lgkmcnt(0)
	v_lshl_add_u64 v[68:69], s[14:15], 0, v[66:67]
	v_lshl_add_u64 v[66:67], s[12:13], 0, v[66:67]
	global_store_dword v[68:69], v86, off
	global_store_dword v[66:67], v87, off
.LBB739_19:
	s_or_b64 exec, exec, s[4:5]
	v_lshl_or_b32 v1, v89, 9, v79
	s_waitcnt lgkmcnt(0)
	s_barrier
	ds_read_b128 v[70:73], v1
	ds_read_b128 v[66:69], v1 offset:16
	s_waitcnt vmcnt(15) lgkmcnt(1)
	v_mfma_f32_16x16x16_bf16 v[74:77], v[30:31], v[70:71], 0
	s_mov_b32 s3, 0
	v_cmp_gt_u32_e32 vcc, 64, v0
	v_mfma_f32_16x16x16_bf16 v[30:33], v[32:33], v[72:73], v[74:77]
	s_waitcnt vmcnt(14) lgkmcnt(0)
	v_mfma_f32_16x16x16_bf16 v[30:33], v[26:27], v[66:67], v[30:33]
	v_mfma_f32_16x16x16_bf16 v[26:29], v[28:29], v[68:69], v[30:33]
	s_nop 5
	ds_read_b128 v[30:33], v1 offset:2048
	ds_read_b128 v[74:77], v1 offset:2064
	s_waitcnt vmcnt(13) lgkmcnt(1)
	v_mfma_f32_16x16x16_bf16 v[26:29], v[22:23], v[30:31], v[26:29]
	v_mfma_f32_16x16x16_bf16 v[22:25], v[24:25], v[32:33], v[26:29]
	s_waitcnt vmcnt(12) lgkmcnt(0)
	v_mfma_f32_16x16x16_bf16 v[22:25], v[18:19], v[74:75], v[22:25]
	v_mfma_f32_16x16x16_bf16 v[18:21], v[20:21], v[76:77], v[22:25]
	s_nop 5
	ds_read_b128 v[22:25], v1 offset:4096
	ds_read_b128 v[26:29], v1 offset:4112
	s_waitcnt vmcnt(11) lgkmcnt(1)
	v_mfma_f32_16x16x16_bf16 v[18:21], v[14:15], v[22:23], v[18:21]
	v_mfma_f32_16x16x16_bf16 v[14:17], v[16:17], v[24:25], v[18:21]
	s_waitcnt vmcnt(10) lgkmcnt(0)
	v_mfma_f32_16x16x16_bf16 v[14:17], v[10:11], v[26:27], v[14:17]
	v_mfma_f32_16x16x16_bf16 v[10:13], v[12:13], v[28:29], v[14:17]
	s_nop 5
	ds_read_b128 v[14:17], v1 offset:6144
	ds_read_b128 v[18:21], v1 offset:6160
	s_waitcnt lgkmcnt(0)
	s_barrier
	s_waitcnt vmcnt(9)
	v_mfma_f32_16x16x16_bf16 v[10:13], v[6:7], v[14:15], v[10:13]
	v_mfma_f32_16x16x16_bf16 v[6:9], v[8:9], v[16:17], v[10:13]
	s_waitcnt vmcnt(8)
	v_mfma_f32_16x16x16_bf16 v[6:9], v[2:3], v[18:19], v[6:9]
	v_mfma_f32_16x16x16_bf16 v[2:5], v[4:5], v[20:21], v[6:9]
	s_waitcnt vmcnt(7)
	v_mfma_f32_16x16x16_bf16 v[6:9], v[46:47], v[70:71], 0
	v_mfma_f32_16x16x16_bf16 v[6:9], v[48:49], v[72:73], v[6:9]
	s_nop 3
	v_bfe_u32 v1, v3, 16, 1
	v_bfe_u32 v10, v2, 16, 1
	v_add3_u32 v2, v2, v10, s8
	s_waitcnt vmcnt(6)
	v_mfma_f32_16x16x16_bf16 v[6:9], v[38:39], v[66:67], v[6:9]
	v_add3_u32 v1, v3, v1, s8
	v_perm_b32 v10, v1, v2, s9
	v_bfe_u32 v1, v5, 16, 1
	v_mfma_f32_16x16x16_bf16 v[6:9], v[40:41], v[68:69], v[6:9]
	v_bfe_u32 v2, v4, 16, 1
	v_add3_u32 v2, v4, v2, s8
	v_add3_u32 v1, v5, v1, s8
	s_waitcnt vmcnt(5)
	v_mfma_f32_16x16x16_bf16 v[6:9], v[42:43], v[30:31], v[6:9]
	v_perm_b32 v11, v1, v2, s9
	v_mfma_f32_16x16x16_bf16 v[6:9], v[44:45], v[32:33], v[6:9]
	s_waitcnt vmcnt(4)
	v_mfma_f32_16x16x16_bf16 v[6:9], v[34:35], v[74:75], v[6:9]
	v_mfma_f32_16x16x16_bf16 v[6:9], v[36:37], v[76:77], v[6:9]
	s_waitcnt vmcnt(3)
	v_mfma_f32_16x16x16_bf16 v[6:9], v[58:59], v[22:23], v[6:9]
	;; [unrolled: 3-line block ×5, first 2 shown]
	v_mfma_f32_16x16x16_bf16 v[2:5], v[52:53], v[20:21], v[6:9]
	s_nop 6
	v_bfe_u32 v1, v3, 16, 1
	v_bfe_u32 v6, v2, 16, 1
	v_add3_u32 v2, v2, v6, s8
	v_add3_u32 v1, v3, v1, s8
	v_perm_b32 v2, v1, v2, s9
	v_bfe_u32 v1, v5, 16, 1
	v_bfe_u32 v3, v4, 16, 1
	v_add3_u32 v3, v4, v3, s8
	v_add3_u32 v1, v5, v1, s8
	v_perm_b32 v3, v1, v3, s9
	ds_write2st64_b64 v78, v[10:11], v[2:3] offset1:1
	s_waitcnt lgkmcnt(0)
	s_barrier
	s_and_saveexec_b64 s[4:5], vcc
	s_cbranch_execz .LBB739_21
; %bb.20:
	s_load_dwordx2 s[0:1], s[0:1], 0x68
	s_lshl_b32 s6, s6, 7
	s_mul_i32 s2, s7, s2
	s_mul_hi_u32 s5, s2, s6
	s_mul_i32 s4, s2, s6
	s_lshl_b64 s[4:5], s[4:5], 1
	v_lshlrev_b32_e32 v3, 6, v84
	s_waitcnt lgkmcnt(0)
	s_add_u32 s4, s0, s4
	v_lshlrev_b32_e32 v2, 4, v0
	v_lshl_or_b32 v0, v0, 10, v3
	s_addc_u32 s5, s1, s5
	s_lshl_b32 s2, s26, 7
	v_lshlrev_b32_e32 v1, 5, v89
	v_and_b32_e32 v2, 16, v2
	v_and_b32_e32 v0, 0x1a00, v0
	s_lshl_b64 s[0:1], s[2:3], 1
	v_or3_b32 v0, v0, v1, v2
	s_add_u32 s0, s4, s0
	ds_read_b128 v[2:5], v0
	ds_read_b128 v[6:9], v0 offset:128
	ds_read_b128 v[10:13], v0 offset:256
	s_addc_u32 s1, s5, s1
	v_or_b32_e32 v16, s40, v89
	v_lshl_add_u64 v[0:1], v[82:83], 1, s[0:1]
	v_mad_u64_u32 v[14:15], s[0:1], v16, s6, 0
	v_lshl_add_u64 v[14:15], v[14:15], 1, v[0:1]
	s_waitcnt lgkmcnt(2)
	global_store_dwordx4 v[14:15], v[2:5], off
	s_nop 1
	v_add_u32_e32 v2, 4, v16
	v_mad_u64_u32 v[2:3], s[0:1], v2, s6, 0
	v_lshl_add_u64 v[2:3], v[2:3], 1, v[0:1]
	s_waitcnt lgkmcnt(1)
	global_store_dwordx4 v[2:3], v[6:9], off
	v_add_u32_e32 v2, 8, v16
	v_mad_u64_u32 v[2:3], s[0:1], v2, s6, 0
	v_lshl_add_u64 v[0:1], v[2:3], 1, v[0:1]
	s_waitcnt lgkmcnt(0)
	global_store_dwordx4 v[0:1], v[10:13], off
.LBB739_21:
	s_endpgm
	.section	.rodata,"a",@progbits
	.p2align	6, 0x0
	.amdhsa_kernel _Z39paged_attention_ll4mi_QKV_mfma16_kernelI14__hip_bfloat16S0_LN4vllm18Fp8KVCacheDataTypeE0ES0_Li32ELi128ELi256ELb1ELi12EEvPKT_PKT0_S8_ifPKiSA_SA_iPKfiiiPfSD_PS3_PT2_iSC_SC_
		.amdhsa_group_segment_fixed_size 8192
		.amdhsa_private_segment_fixed_size 0
		.amdhsa_kernarg_size 400
		.amdhsa_user_sgpr_count 2
		.amdhsa_user_sgpr_dispatch_ptr 0
		.amdhsa_user_sgpr_queue_ptr 0
		.amdhsa_user_sgpr_kernarg_segment_ptr 1
		.amdhsa_user_sgpr_dispatch_id 0
		.amdhsa_user_sgpr_kernarg_preload_length 0
		.amdhsa_user_sgpr_kernarg_preload_offset 0
		.amdhsa_user_sgpr_private_segment_size 0
		.amdhsa_uses_dynamic_stack 0
		.amdhsa_enable_private_segment 0
		.amdhsa_system_sgpr_workgroup_id_x 1
		.amdhsa_system_sgpr_workgroup_id_y 1
		.amdhsa_system_sgpr_workgroup_id_z 1
		.amdhsa_system_sgpr_workgroup_info 0
		.amdhsa_system_vgpr_workitem_id 0
		.amdhsa_next_free_vgpr 96
		.amdhsa_next_free_sgpr 42
		.amdhsa_accum_offset 96
		.amdhsa_reserve_vcc 1
		.amdhsa_float_round_mode_32 0
		.amdhsa_float_round_mode_16_64 0
		.amdhsa_float_denorm_mode_32 3
		.amdhsa_float_denorm_mode_16_64 3
		.amdhsa_dx10_clamp 1
		.amdhsa_ieee_mode 1
		.amdhsa_fp16_overflow 0
		.amdhsa_tg_split 0
		.amdhsa_exception_fp_ieee_invalid_op 0
		.amdhsa_exception_fp_denorm_src 0
		.amdhsa_exception_fp_ieee_div_zero 0
		.amdhsa_exception_fp_ieee_overflow 0
		.amdhsa_exception_fp_ieee_underflow 0
		.amdhsa_exception_fp_ieee_inexact 0
		.amdhsa_exception_int_div_zero 0
	.end_amdhsa_kernel
	.section	.text._Z39paged_attention_ll4mi_QKV_mfma16_kernelI14__hip_bfloat16S0_LN4vllm18Fp8KVCacheDataTypeE0ES0_Li32ELi128ELi256ELb1ELi12EEvPKT_PKT0_S8_ifPKiSA_SA_iPKfiiiPfSD_PS3_PT2_iSC_SC_,"axG",@progbits,_Z39paged_attention_ll4mi_QKV_mfma16_kernelI14__hip_bfloat16S0_LN4vllm18Fp8KVCacheDataTypeE0ES0_Li32ELi128ELi256ELb1ELi12EEvPKT_PKT0_S8_ifPKiSA_SA_iPKfiiiPfSD_PS3_PT2_iSC_SC_,comdat
.Lfunc_end739:
	.size	_Z39paged_attention_ll4mi_QKV_mfma16_kernelI14__hip_bfloat16S0_LN4vllm18Fp8KVCacheDataTypeE0ES0_Li32ELi128ELi256ELb1ELi12EEvPKT_PKT0_S8_ifPKiSA_SA_iPKfiiiPfSD_PS3_PT2_iSC_SC_, .Lfunc_end739-_Z39paged_attention_ll4mi_QKV_mfma16_kernelI14__hip_bfloat16S0_LN4vllm18Fp8KVCacheDataTypeE0ES0_Li32ELi128ELi256ELb1ELi12EEvPKT_PKT0_S8_ifPKiSA_SA_iPKfiiiPfSD_PS3_PT2_iSC_SC_
                                        ; -- End function
	.section	.AMDGPU.csdata,"",@progbits
; Kernel info:
; codeLenInByte = 5192
; NumSgprs: 48
; NumVgprs: 96
; NumAgprs: 0
; TotalNumVgprs: 96
; ScratchSize: 0
; MemoryBound: 0
; FloatMode: 240
; IeeeMode: 1
; LDSByteSize: 8192 bytes/workgroup (compile time only)
; SGPRBlocks: 5
; VGPRBlocks: 11
; NumSGPRsForWavesPerEU: 48
; NumVGPRsForWavesPerEU: 96
; AccumOffset: 96
; Occupancy: 5
; WaveLimiterHint : 1
; COMPUTE_PGM_RSRC2:SCRATCH_EN: 0
; COMPUTE_PGM_RSRC2:USER_SGPR: 2
; COMPUTE_PGM_RSRC2:TRAP_HANDLER: 0
; COMPUTE_PGM_RSRC2:TGID_X_EN: 1
; COMPUTE_PGM_RSRC2:TGID_Y_EN: 1
; COMPUTE_PGM_RSRC2:TGID_Z_EN: 1
; COMPUTE_PGM_RSRC2:TIDIG_COMP_CNT: 0
; COMPUTE_PGM_RSRC3_GFX90A:ACCUM_OFFSET: 23
; COMPUTE_PGM_RSRC3_GFX90A:TG_SPLIT: 0
	.section	.text._Z39paged_attention_ll4mi_QKV_mfma16_kernelI14__hip_bfloat16S0_LN4vllm18Fp8KVCacheDataTypeE0ES0_Li32ELi128ELi256ELb1ELi13EEvPKT_PKT0_S8_ifPKiSA_SA_iPKfiiiPfSD_PS3_PT2_iSC_SC_,"axG",@progbits,_Z39paged_attention_ll4mi_QKV_mfma16_kernelI14__hip_bfloat16S0_LN4vllm18Fp8KVCacheDataTypeE0ES0_Li32ELi128ELi256ELb1ELi13EEvPKT_PKT0_S8_ifPKiSA_SA_iPKfiiiPfSD_PS3_PT2_iSC_SC_,comdat
	.protected	_Z39paged_attention_ll4mi_QKV_mfma16_kernelI14__hip_bfloat16S0_LN4vllm18Fp8KVCacheDataTypeE0ES0_Li32ELi128ELi256ELb1ELi13EEvPKT_PKT0_S8_ifPKiSA_SA_iPKfiiiPfSD_PS3_PT2_iSC_SC_ ; -- Begin function _Z39paged_attention_ll4mi_QKV_mfma16_kernelI14__hip_bfloat16S0_LN4vllm18Fp8KVCacheDataTypeE0ES0_Li32ELi128ELi256ELb1ELi13EEvPKT_PKT0_S8_ifPKiSA_SA_iPKfiiiPfSD_PS3_PT2_iSC_SC_
	.globl	_Z39paged_attention_ll4mi_QKV_mfma16_kernelI14__hip_bfloat16S0_LN4vllm18Fp8KVCacheDataTypeE0ES0_Li32ELi128ELi256ELb1ELi13EEvPKT_PKT0_S8_ifPKiSA_SA_iPKfiiiPfSD_PS3_PT2_iSC_SC_
	.p2align	8
	.type	_Z39paged_attention_ll4mi_QKV_mfma16_kernelI14__hip_bfloat16S0_LN4vllm18Fp8KVCacheDataTypeE0ES0_Li32ELi128ELi256ELb1ELi13EEvPKT_PKT0_S8_ifPKiSA_SA_iPKfiiiPfSD_PS3_PT2_iSC_SC_,@function
_Z39paged_attention_ll4mi_QKV_mfma16_kernelI14__hip_bfloat16S0_LN4vllm18Fp8KVCacheDataTypeE0ES0_Li32ELi128ELi256ELb1ELi13EEvPKT_PKT0_S8_ifPKiSA_SA_iPKfiiiPfSD_PS3_PT2_iSC_SC_: ; @_Z39paged_attention_ll4mi_QKV_mfma16_kernelI14__hip_bfloat16S0_LN4vllm18Fp8KVCacheDataTypeE0ES0_Li32ELi128ELi256ELb1ELi13EEvPKT_PKT0_S8_ifPKiSA_SA_iPKfiiiPfSD_PS3_PT2_iSC_SC_
; %bb.0:
	s_load_dwordx2 s[8:9], s[0:1], 0x30
	s_mov_b32 s26, s3
	s_mov_b64 s[6:7], 0
	s_waitcnt lgkmcnt(0)
	s_cmp_lg_u64 s[8:9], 0
	s_cselect_b64 s[10:11], -1, 0
	s_and_b64 vcc, exec, s[10:11]
	s_cbranch_vccz .LBB740_7
; %bb.1:
	s_add_i32 s12, s2, 1
	s_mov_b32 s13, 0
	s_lshl_b64 s[14:15], s[12:13], 2
	s_add_u32 s14, s8, s14
	s_mov_b32 s3, s13
	s_addc_u32 s15, s9, s15
	s_lshl_b64 s[12:13], s[2:3], 2
	s_add_u32 s12, s8, s12
	s_addc_u32 s13, s9, s13
	s_load_dword s5, s[14:15], 0x0
	s_load_dword s16, s[12:13], 0x0
	s_waitcnt lgkmcnt(0)
	s_sub_i32 s5, s5, s16
	s_cmp_eq_u32 s5, 1
	s_cselect_b64 s[12:13], -1, 0
	s_andn2_b64 vcc, exec, s[6:7]
	s_cbranch_vccnz .LBB740_3
.LBB740_2:
	s_mov_b32 s3, 0
	s_mov_b64 s[12:13], -1
.LBB740_3:
	s_andn2_b64 vcc, exec, s[12:13]
	s_cbranch_vccnz .LBB740_22
; %bb.4:
	s_load_dwordx2 s[6:7], s[0:1], 0x28
	s_lshl_b64 s[12:13], s[2:3], 2
	s_waitcnt lgkmcnt(0)
	s_add_u32 s6, s6, s12
	s_addc_u32 s7, s7, s13
	s_load_dword s27, s[6:7], 0x0
	s_lshl_b32 s18, s26, 8
	s_waitcnt lgkmcnt(0)
	s_cmp_ge_i32 s18, s27
	s_cbranch_scc1 .LBB740_22
; %bb.5:
	s_load_dwordx2 s[6:7], s[0:1], 0x20
	s_load_dword s5, s[0:1], 0x38
	s_add_i32 s14, s27, 31
	s_ashr_i32 s15, s14, 31
	v_and_b32_e32 v1, 0xcf, v0
	s_lshr_b32 s15, s15, 27
	v_add_u32_e32 v1, s18, v1
	s_add_i32 s14, s14, s15
	v_ashrrev_i32_e32 v2, 31, v1
	s_ashr_i32 s19, s14, 5
	v_lshrrev_b32_e32 v4, 27, v2
	s_add_i32 s19, s19, -1
	s_waitcnt lgkmcnt(0)
	s_mul_i32 s14, s2, s5
	s_mov_b32 s15, 0
	v_add_u32_e32 v2, v1, v4
	s_lshl_b64 s[14:15], s[14:15], 2
	v_ashrrev_i32_e32 v2, 5, v2
	v_mov_b32_e32 v5, s19
	v_cmp_gt_i32_e32 vcc, s27, v1
	s_add_u32 s6, s6, s14
	s_addc_u32 s7, s7, s15
	v_cndmask_b32_e32 v2, v5, v2, vcc
	v_ashrrev_i32_e32 v3, 31, v2
	v_lshl_add_u64 v[6:7], v[2:3], 2, s[6:7]
	v_or_b32_e32 v2, 16, v1
	v_add_u32_e32 v3, v2, v4
	v_ashrrev_i32_e32 v3, 5, v3
	v_cmp_gt_i32_e32 vcc, s27, v2
	s_nop 1
	v_cndmask_b32_e32 v2, v5, v3, vcc
	v_ashrrev_i32_e32 v3, 31, v2
	v_lshl_add_u64 v[8:9], v[2:3], 2, s[6:7]
	v_or_b32_e32 v2, 32, v1
	v_add_u32_e32 v3, v2, v4
	v_ashrrev_i32_e32 v3, 5, v3
	v_cmp_gt_i32_e32 vcc, s27, v2
	v_or_b32_e32 v1, 48, v1
	s_nop 0
	v_cndmask_b32_e32 v2, v5, v3, vcc
	v_ashrrev_i32_e32 v3, 31, v2
	v_lshl_add_u64 v[10:11], v[2:3], 2, s[6:7]
	v_add_u32_e32 v2, v1, v4
	v_ashrrev_i32_e32 v2, 5, v2
	v_cmp_gt_i32_e32 vcc, s27, v1
	s_nop 1
	v_cndmask_b32_e32 v2, v5, v2, vcc
	v_ashrrev_i32_e32 v3, 31, v2
	v_lshl_add_u64 v[12:13], v[2:3], 2, s[6:7]
	global_load_dword v5, v[6:7], off
	global_load_dword v4, v[8:9], off
	;; [unrolled: 1-line block ×4, first 2 shown]
	s_andn2_b64 vcc, exec, s[10:11]
	s_cbranch_vccnz .LBB740_8
; %bb.6:
	s_add_u32 s8, s8, s12
	s_addc_u32 s9, s9, s13
	s_load_dword s5, s[8:9], 0x0
	s_branch .LBB740_9
.LBB740_7:
	s_mov_b64 s[12:13], 0
	s_branch .LBB740_2
.LBB740_8:
	s_mov_b32 s5, s2
.LBB740_9:
	s_load_dwordx2 s[14:15], s[0:1], 0x8
	s_load_dwordx4 s[8:11], s[0:1], 0x48
	v_lshrrev_b32_e32 v88, 6, v0
	v_bfe_u32 v1, v0, 4, 2
	v_lshl_or_b32 v6, v88, 2, v1
	v_and_b32_e32 v84, 15, v0
	v_lshlrev_b32_e32 v82, 3, v84
	v_cmp_lt_u32_e32 vcc, 12, v6
	s_and_saveexec_b64 s[12:13], vcc
	s_xor_b64 s[12:13], exec, s[12:13]
; %bb.10:
	v_mov_b32_e32 v83, 0
                                        ; implicit-def: $vgpr6
; %bb.11:
	s_or_saveexec_b64 s[16:17], s[12:13]
	s_load_dwordx2 s[12:13], s[0:1], 0x10
	s_mul_i32 s40, s4, 13
	s_xor_b64 exec, exec, s[16:17]
	s_cbranch_execz .LBB740_13
; %bb.12:
	s_load_dwordx2 s[20:21], s[0:1], 0x0
	s_waitcnt lgkmcnt(0)
	s_ashr_i32 s11, s8, 31
	s_mul_hi_u32 s22, s5, s8
	s_mul_i32 s11, s5, s11
	s_add_i32 s23, s22, s11
	s_mul_i32 s22, s5, s8
	s_lshl_b64 s[22:23], s[22:23], 1
	s_add_u32 s20, s20, s22
	v_add_lshl_u32 v8, v6, s40, 7
	s_addc_u32 s21, s21, s23
	v_ashrrev_i32_e32 v9, 31, v8
	v_mov_b32_e32 v83, 0
	v_lshl_add_u64 v[8:9], v[8:9], 1, s[20:21]
	v_lshlrev_b32_e32 v10, 1, v82
	v_mov_b32_e32 v11, v83
	v_lshl_add_u64 v[8:9], v[8:9], 0, v[10:11]
	global_load_dwordx4 v[8:11], v[8:9], off
	v_and_b32_e32 v7, 3, v0
	v_lshlrev_b32_e32 v12, 9, v84
	v_lshlrev_b32_e32 v6, 5, v6
	;; [unrolled: 1-line block ×3, first 2 shown]
	v_and_b32_e32 v12, 0x1800, v12
	v_or3_b32 v6, v12, v7, v6
	s_waitcnt vmcnt(0)
	ds_write_b128 v6, v[8:11]
.LBB740_13:
	s_or_b64 exec, exec, s[16:17]
	s_waitcnt lgkmcnt(0)
	s_mul_i32 s4, s4, s10
	s_mov_b32 s5, 0
	s_lshl_b64 s[4:5], s[4:5], 1
	s_add_u32 s10, s14, s4
	s_addc_u32 s11, s15, s5
	s_waitcnt vmcnt(3)
	v_mad_i64_i32 v[6:7], s[14:15], v5, s9, 0
	v_lshl_add_u64 v[6:7], v[6:7], 1, s[10:11]
	v_lshlrev_b64 v[8:9], 1, v[82:83]
	v_lshlrev_b32_e32 v86, 9, v1
	v_lshl_add_u64 v[6:7], v[6:7], 0, v[8:9]
	v_mov_b32_e32 v87, 0
	v_lshl_add_u64 v[10:11], v[6:7], 0, v[86:87]
	v_or_b32_e32 v14, 0x1000, v86
	v_mov_b32_e32 v15, v87
	v_or_b32_e32 v16, 0x1800, v86
	v_mov_b32_e32 v17, v87
	s_barrier
	global_load_dwordx4 v[66:69], v[10:11], off
	global_load_dwordx4 v[62:65], v[10:11], off offset:2048
	v_lshl_add_u64 v[10:11], v[6:7], 0, v[14:15]
	v_lshl_add_u64 v[6:7], v[6:7], 0, v[16:17]
	global_load_dwordx4 v[78:81], v[10:11], off
	global_load_dwordx4 v[74:77], v[6:7], off
	s_waitcnt vmcnt(6)
	v_mad_i64_i32 v[4:5], s[14:15], v4, s9, 0
	v_mov_b32_e32 v6, 0x100
	v_lshl_add_u64 v[4:5], v[4:5], 1, s[10:11]
	v_lshl_or_b32 v6, v84, 4, v6
	v_mov_b32_e32 v7, v87
	v_lshl_add_u64 v[4:5], v[4:5], 0, v[6:7]
	v_lshl_add_u64 v[10:11], v[4:5], 0, v[86:87]
	global_load_dwordx4 v[70:73], v[10:11], off
	global_load_dwordx4 v[58:61], v[10:11], off offset:2048
	v_lshl_add_u64 v[10:11], v[4:5], 0, v[14:15]
	v_lshl_add_u64 v[4:5], v[4:5], 0, v[16:17]
	global_load_dwordx4 v[54:57], v[10:11], off
	global_load_dwordx4 v[30:33], v[4:5], off
	s_waitcnt vmcnt(9)
	v_mad_i64_i32 v[4:5], s[14:15], v3, s9, 0
	v_lshl_add_u64 v[4:5], v[4:5], 1, s[10:11]
	s_waitcnt vmcnt(8)
	v_mad_i64_i32 v[2:3], s[14:15], v2, s9, 0
	v_lshl_add_u64 v[4:5], v[4:5], 0, v[8:9]
	v_lshl_add_u64 v[2:3], v[2:3], 1, s[10:11]
	;; [unrolled: 1-line block ×4, first 2 shown]
	global_load_dwordx4 v[26:29], v[8:9], off
	global_load_dwordx4 v[22:25], v[8:9], off offset:2048
	v_lshl_add_u64 v[8:9], v[4:5], 0, v[14:15]
	v_lshl_add_u64 v[4:5], v[4:5], 0, v[16:17]
	;; [unrolled: 1-line block ×4, first 2 shown]
	global_load_dwordx4 v[18:21], v[8:9], off
	global_load_dwordx4 v[10:13], v[4:5], off
	s_nop 0
	global_load_dwordx4 v[6:9], v[2:3], off
	s_nop 0
	global_load_dwordx4 v[2:5], v[2:3], off offset:2048
	v_lshl_add_u64 v[16:17], v[34:35], 0, v[16:17]
	global_load_dwordx4 v[38:41], v[14:15], off
	global_load_dwordx4 v[34:37], v[16:17], off
	v_add_u32_e32 v14, -13, v84
	v_cmp_gt_u32_e32 vcc, 13, v84
	v_and_b32_e32 v85, 63, v0
	v_mov_b32_e32 v89, 0
	v_cndmask_b32_e32 v14, v14, v84, vcc
	v_lshl_add_u32 v42, v14, 5, v86
	ds_read_b128 v[14:17], v42
	ds_read_b128 v[50:53], v42 offset:2048
	ds_read_b128 v[46:49], v42 offset:4096
	;; [unrolled: 1-line block ×3, first 2 shown]
	s_and_saveexec_b64 s[10:11], vcc
	s_cbranch_execz .LBB740_15
; %bb.14:
	s_load_dwordx2 s[14:15], s[0:1], 0x40
	v_add_u32_e32 v90, s40, v84
	v_ashrrev_i32_e32 v91, 31, v90
	s_waitcnt lgkmcnt(0)
	v_lshl_add_u64 v[90:91], v[90:91], 2, s[14:15]
	global_load_dword v89, v[90:91], off
.LBB740_15:
	s_or_b64 exec, exec, s[10:11]
	s_waitcnt vmcnt(15) lgkmcnt(3)
	v_mfma_f32_16x16x16_bf16 v[90:93], v[66:67], v[14:15], 0
	s_ashr_i32 s8, s18, 31
	s_lshr_b32 s8, s8, 27
	s_add_u32 s4, s12, s4
	v_mfma_f32_16x16x16_bf16 v[66:69], v[68:69], v[16:17], v[90:93]
	s_addc_u32 s5, s13, s5
	s_mov_b32 s33, 0xff7fffff
	s_waitcnt vmcnt(14) lgkmcnt(2)
	v_mfma_f32_16x16x16_bf16 v[66:69], v[62:63], v[50:51], v[66:69]
	v_lshl_or_b32 v90, v88, 4, v84
	v_mfma_f32_16x16x16_bf16 v[62:65], v[64:65], v[52:53], v[66:69]
	s_waitcnt vmcnt(13) lgkmcnt(1)
	v_mfma_f32_16x16x16_bf16 v[62:65], v[78:79], v[46:47], v[62:65]
	v_mfma_f32_16x16x16_bf16 v[62:65], v[80:81], v[48:49], v[62:65]
	s_waitcnt vmcnt(12) lgkmcnt(0)
	v_mfma_f32_16x16x16_bf16 v[62:65], v[74:75], v[42:43], v[62:65]
	v_and_or_b32 v74, v0, 48, s18
	v_add_u32_e32 v66, s8, v74
	v_ashrrev_i32_e32 v75, 5, v66
	s_waitcnt vmcnt(11)
	v_mfma_f32_16x16x16_bf16 v[66:69], v[70:71], v[14:15], 0
	v_cmp_gt_i32_e32 vcc, s27, v74
	v_mfma_f32_16x16x16_bf16 v[66:69], v[72:73], v[16:17], v[66:69]
	v_or_b32_e32 v72, 64, v74
	v_add_u32_e32 v73, s8, v72
	s_waitcnt vmcnt(10)
	v_mfma_f32_16x16x16_bf16 v[66:69], v[58:59], v[50:51], v[66:69]
	v_ashrrev_i32_e32 v58, 5, v73
	v_mfma_f32_16x16x16_bf16 v[62:65], v[76:77], v[44:45], v[62:65]
	v_mov_b32_e32 v76, s19
	v_cndmask_b32_e32 v70, v76, v75, vcc
	v_cmp_gt_i32_e32 vcc, s27, v72
	v_ashrrev_i32_e32 v71, 31, v70
	v_lshl_add_u64 v[70:71], v[70:71], 2, s[6:7]
	v_cndmask_b32_e32 v72, v76, v58, vcc
	v_mfma_f32_16x16x16_bf16 v[58:61], v[60:61], v[52:53], v[66:69]
	v_ashrrev_i32_e32 v73, 31, v72
	s_waitcnt vmcnt(9)
	v_mfma_f32_16x16x16_bf16 v[58:61], v[54:55], v[46:47], v[58:61]
	v_lshl_add_u64 v[66:67], v[72:73], 2, s[6:7]
	global_load_dword v68, v[70:71], off
	s_nop 0
	global_load_dword v66, v[66:67], off
	v_or_b32_e32 v67, 0x80, v74
	v_add_u32_e32 v69, s8, v67
	v_mfma_f32_16x16x16_bf16 v[54:57], v[56:57], v[48:49], v[58:61]
	v_cmp_gt_i32_e32 vcc, s27, v67
	s_nop 1
	v_ashrrev_i32_e32 v58, 5, v69
	v_cndmask_b32_e32 v58, v76, v58, vcc
	v_ashrrev_i32_e32 v59, 31, v58
	s_waitcnt vmcnt(10)
	v_mfma_f32_16x16x16_bf16 v[54:57], v[30:31], v[42:43], v[54:57]
	v_lshl_add_u64 v[30:31], v[58:59], 2, s[6:7]
	global_load_dword v70, v[30:31], off
	v_mfma_f32_16x16x16_bf16 v[58:61], v[32:33], v[44:45], v[54:57]
	s_nop 3
	v_or_b32_e32 v54, 0xc0, v74
	v_add_u32_e32 v30, s8, v54
	v_ashrrev_i32_e32 v55, 5, v30
	v_cmp_gt_i32_e32 vcc, s27, v54
	s_waitcnt vmcnt(10)
	v_mfma_f32_16x16x16_bf16 v[30:33], v[26:27], v[14:15], 0
	v_cndmask_b32_e32 v26, v76, v55, vcc
	v_ashrrev_i32_e32 v27, 31, v26
	v_lshl_add_u64 v[54:55], v[26:27], 2, s[6:7]
	global_load_dword v71, v[54:55], off
	v_mfma_f32_16x16x16_bf16 v[26:29], v[28:29], v[16:17], v[30:33]
	s_load_dword s6, s[0:1], 0x1c
	s_waitcnt vmcnt(10)
	v_mfma_f32_16x16x16_bf16 v[26:29], v[22:23], v[50:51], v[26:29]
	v_and_b32_e32 v30, 16, v0
	v_lshlrev_b32_e32 v86, 1, v30
	v_lshl_add_u64 v[74:75], s[4:5], 0, v[86:87]
	v_mfma_f32_16x16x16_bf16 v[22:25], v[24:25], v[52:53], v[26:29]
	v_lshlrev_b32_e32 v86, 6, v90
	v_lshl_add_u64 v[76:77], v[74:75], 0, v[86:87]
	v_or_b32_e32 v86, 0x1000, v86
	s_waitcnt vmcnt(9)
	v_mfma_f32_16x16x16_bf16 v[22:25], v[18:19], v[46:47], v[22:25]
	v_lshl_add_u64 v[80:81], v[74:75], 0, v[86:87]
	s_waitcnt lgkmcnt(0)
	v_pk_mul_f32 v[74:75], s[6:7], v[60:61] op_sel_hi:[0,1]
	v_mfma_f32_16x16x16_bf16 v[18:21], v[20:21], v[48:49], v[22:25]
	s_waitcnt vmcnt(8)
	v_mfma_f32_16x16x16_bf16 v[18:21], v[10:11], v[42:43], v[18:21]
	s_waitcnt vmcnt(3)
	v_mad_i64_i32 v[22:23], s[4:5], v68, s9, 0
	s_waitcnt vmcnt(2)
	v_mad_i64_i32 v[10:11], s[4:5], v66, s9, 0
	v_lshlrev_b64 v[78:79], 1, v[22:23]
	v_lshlrev_b64 v[54:55], 1, v[10:11]
	v_lshl_add_u64 v[22:23], v[76:77], 0, v[78:79]
	v_lshl_add_u64 v[10:11], v[76:77], 0, v[54:55]
	global_load_dwordx4 v[30:33], v[22:23], off
	global_load_dwordx4 v[26:29], v[22:23], off offset:16
	v_mfma_f32_16x16x16_bf16 v[66:69], v[12:13], v[44:45], v[18:21]
	global_load_dwordx4 v[22:25], v[10:11], off
	s_nop 1
	global_load_dwordx4 v[18:21], v[10:11], off offset:16
	v_mfma_f32_16x16x16_bf16 v[10:13], v[6:7], v[14:15], 0
	s_waitcnt vmcnt(5)
	v_mad_i64_i32 v[6:7], s[4:5], v70, s9, 0
	v_lshlrev_b64 v[56:57], 1, v[6:7]
	v_mfma_f32_16x16x16_bf16 v[6:9], v[8:9], v[16:17], v[10:13]
	v_mfma_f32_16x16x16_bf16 v[6:9], v[2:3], v[50:51], v[6:9]
	s_nop 1
	v_lshl_add_u64 v[10:11], v[76:77], 0, v[56:57]
	global_load_dwordx4 v[14:17], v[10:11], off
	s_nop 0
	global_load_dwordx4 v[10:13], v[10:11], off offset:16
	s_waitcnt vmcnt(6)
	v_mad_i64_i32 v[2:3], s[4:5], v71, s9, 0
	v_mfma_f32_16x16x16_bf16 v[70:73], v[4:5], v[52:53], v[6:9]
	v_pk_mul_f32 v[52:53], s[6:7], v[62:63] op_sel_hi:[0,1]
	v_lshlrev_b64 v[50:51], 1, v[2:3]
	v_lshl_add_u64 v[2:3], v[76:77], 0, v[50:51]
	v_mfma_f32_16x16x16_bf16 v[70:73], v[38:39], v[46:47], v[70:73]
	v_lshl_add_u64 v[38:39], v[80:81], 0, v[78:79]
	v_pk_mul_f32 v[78:79], s[6:7], v[64:65] op_sel_hi:[0,1]
	v_pk_mul_f32 v[76:77], s[6:7], v[58:59] op_sel_hi:[0,1]
	v_mfma_f32_16x16x16_bf16 v[46:49], v[40:41], v[48:49], v[70:73]
	v_lshl_add_u64 v[50:51], v[80:81], 0, v[50:51]
	global_load_dwordx4 v[6:9], v[2:3], off
	s_nop 0
	global_load_dwordx4 v[2:5], v[2:3], off offset:16
	v_pk_mul_f32 v[70:71], s[6:7], v[68:69] op_sel_hi:[0,1]
	v_mfma_f32_16x16x16_bf16 v[40:43], v[34:35], v[42:43], v[46:49]
	v_pk_mul_f32 v[72:73], s[6:7], v[66:67] op_sel_hi:[0,1]
	v_mfma_f32_16x16x16_bf16 v[34:37], v[36:37], v[44:45], v[40:43]
	s_nop 6
	v_pk_mul_f32 v[68:69], s[6:7], v[34:35] op_sel_hi:[0,1]
	v_and_b32_e32 v34, 0xc0, v0
	v_add_u32_e32 v34, s18, v34
	v_lshl_or_b32 v34, v1, 2, v34
	v_or_b32_e32 v35, 1, v34
	v_pk_mul_f32 v[66:67], s[6:7], v[36:37] op_sel_hi:[0,1]
	v_subrev_u32_e32 v36, s27, v35
	v_add_u32_e32 v40, 1, v36
	v_add_u32_e32 v41, 2, v36
	v_cvt_f32_i32_e32 v37, v36
	v_cvt_f32_i32_e32 v40, v40
	;; [unrolled: 1-line block ×3, first 2 shown]
	v_add_u32_e32 v42, 3, v36
	v_fma_f32 v52, v89, v37, v52
	v_fmac_f32_e32 v53, v89, v40
	v_fma_f32 v78, v89, v41, v78
	v_add_u32_e32 v37, 16, v36
	v_add_u32_e32 v40, 17, v36
	;; [unrolled: 1-line block ×3, first 2 shown]
	v_cvt_f32_i32_e32 v42, v42
	v_cvt_f32_i32_e32 v37, v37
	;; [unrolled: 1-line block ×4, first 2 shown]
	v_fmac_f32_e32 v79, v89, v42
	v_add_u32_e32 v42, 19, v36
	v_fma_f32 v76, v89, v37, v76
	v_fmac_f32_e32 v77, v89, v40
	v_fma_f32 v74, v89, v41, v74
	v_add_u32_e32 v37, 32, v36
	v_add_u32_e32 v40, 33, v36
	;; [unrolled: 1-line block ×3, first 2 shown]
	v_cvt_f32_i32_e32 v42, v42
	v_cvt_f32_i32_e32 v37, v37
	;; [unrolled: 1-line block ×4, first 2 shown]
	v_fmac_f32_e32 v75, v89, v42
	v_add_u32_e32 v42, 35, v36
	v_fma_f32 v72, v89, v37, v72
	v_fmac_f32_e32 v73, v89, v40
	v_fma_f32 v70, v89, v41, v70
	v_add_u32_e32 v37, 48, v36
	v_add_u32_e32 v40, 49, v36
	;; [unrolled: 1-line block ×4, first 2 shown]
	v_cvt_f32_i32_e32 v36, v36
	v_cvt_f32_i32_e32 v37, v37
	;; [unrolled: 1-line block ×3, first 2 shown]
	v_cmp_gt_i32_e64 s[28:29], s27, v34
	v_fmac_f32_e32 v67, v89, v36
	v_mov_b32_e32 v36, 0xff7fffff
	v_cmp_gt_i32_e64 s[30:31], s27, v35
	v_fma_f32 v68, v89, v37, v68
	v_cndmask_b32_e64 v37, v36, v52, s[28:29]
	v_cndmask_b32_e64 v35, v36, v53, s[30:31]
	v_fmac_f32_e32 v69, v89, v40
	v_max3_f32 v35, v37, s33, v35
	v_or_b32_e32 v37, 2, v34
	v_or_b32_e32 v40, 3, v34
	v_cmp_gt_i32_e64 s[34:35], s27, v37
	v_cmp_gt_i32_e64 s[36:37], s27, v40
	v_cvt_f32_i32_e32 v42, v42
	v_cndmask_b32_e64 v37, v36, v78, s[34:35]
	v_cndmask_b32_e64 v40, v36, v79, s[36:37]
	v_max3_f32 v35, v35, v37, v40
	v_or_b32_e32 v37, 16, v34
	v_or_b32_e32 v40, 17, v34
	v_cmp_gt_i32_e64 s[22:23], s27, v37
	v_cmp_gt_i32_e64 s[24:25], s27, v40
	v_fmac_f32_e32 v71, v89, v42
	v_cndmask_b32_e64 v37, v36, v76, s[22:23]
	v_cndmask_b32_e64 v40, v36, v77, s[24:25]
	v_max3_f32 v35, v35, v37, v40
	v_or_b32_e32 v37, 18, v34
	v_or_b32_e32 v40, 19, v34
	v_cmp_gt_i32_e64 s[18:19], s27, v37
	v_cmp_gt_i32_e64 s[20:21], s27, v40
	v_cvt_f32_i32_e32 v41, v41
	v_cndmask_b32_e64 v37, v36, v74, s[18:19]
	v_cndmask_b32_e64 v40, v36, v75, s[20:21]
	v_max3_f32 v35, v35, v37, v40
	v_or_b32_e32 v37, 32, v34
	v_or_b32_e32 v40, 33, v34
	v_cmp_gt_i32_e64 s[14:15], s27, v37
	v_cmp_gt_i32_e64 s[16:17], s27, v40
	v_fma_f32 v66, v89, v41, v66
	v_cndmask_b32_e64 v37, v36, v72, s[14:15]
	v_cndmask_b32_e64 v40, v36, v73, s[16:17]
	v_max3_f32 v35, v35, v37, v40
	v_or_b32_e32 v37, 34, v34
	v_or_b32_e32 v40, 35, v34
	v_cmp_gt_i32_e64 s[10:11], s27, v37
	v_cmp_gt_i32_e64 s[12:13], s27, v40
	s_nop 0
	v_cndmask_b32_e64 v37, v36, v70, s[10:11]
	v_cndmask_b32_e64 v40, v36, v71, s[12:13]
	v_max3_f32 v35, v35, v37, v40
	v_or_b32_e32 v37, 48, v34
	v_or_b32_e32 v40, 49, v34
	v_cmp_gt_i32_e64 s[6:7], s27, v37
	v_cmp_gt_i32_e64 s[8:9], s27, v40
	s_nop 0
	v_cndmask_b32_e64 v37, v36, v68, s[6:7]
	v_cndmask_b32_e64 v40, v36, v69, s[8:9]
	v_max3_f32 v35, v35, v37, v40
	v_or_b32_e32 v37, 50, v34
	v_or_b32_e32 v34, 51, v34
	v_cmp_gt_i32_e32 vcc, s27, v37
	v_cmp_gt_i32_e64 s[4:5], s27, v34
	global_load_dwordx4 v[46:49], v[38:39], off
	s_nop 0
	global_load_dwordx4 v[38:41], v[38:39], off offset:16
	v_cndmask_b32_e32 v37, v36, v66, vcc
	v_cndmask_b32_e64 v34, v36, v67, s[4:5]
	v_max3_f32 v58, v35, v37, v34
	v_mbcnt_lo_u32_b32 v34, -1, 0
	v_mbcnt_hi_u32_b32 v59, -1, v34
	v_and_b32_e32 v34, 64, v59
	v_add_u32_e32 v60, 64, v34
	v_xor_b32_e32 v34, 32, v59
	v_cmp_lt_i32_e64 s[38:39], v34, v60
	s_nop 1
	v_cndmask_b32_e64 v34, v59, v34, s[38:39]
	v_lshlrev_b32_e32 v87, 2, v34
	ds_bpermute_b32 v61, v87, v58
	v_lshl_add_u64 v[34:35], v[80:81], 0, v[54:55]
	global_load_dwordx4 v[42:45], v[34:35], off
	s_nop 0
	global_load_dwordx4 v[34:37], v[34:35], off offset:16
	s_waitcnt lgkmcnt(0)
	v_max_f32_e32 v54, v61, v61
	v_max_f32_e32 v62, v58, v54
	v_xor_b32_e32 v54, 16, v59
	v_cmp_lt_i32_e64 s[38:39], v54, v60
	s_nop 1
	v_cndmask_b32_e64 v54, v59, v54, s[38:39]
	v_lshlrev_b32_e32 v89, 2, v54
	ds_bpermute_b32 v63, v89, v62
	v_lshl_add_u64 v[54:55], v[80:81], 0, v[56:57]
	global_load_dwordx4 v[58:61], v[54:55], off
	s_nop 0
	global_load_dwordx4 v[54:57], v[54:55], off offset:16
	s_waitcnt lgkmcnt(0)
	v_max_f32_e32 v63, v63, v63
	v_max_f32_e32 v86, v62, v63
	v_sub_f32_e32 v52, v52, v86
	v_mul_f32_e32 v52, 0x3fb8aa3b, v52
	v_exp_f32_e32 v80, v52
	v_sub_f32_e32 v52, v53, v86
	v_mul_f32_e32 v52, 0x3fb8aa3b, v52
	v_exp_f32_e32 v81, v52
	global_load_dwordx4 v[62:65], v[50:51], off
	s_nop 0
	global_load_dwordx4 v[50:53], v[50:51], off offset:16
	v_sub_f32_e32 v78, v78, v86
	v_mul_f32_e32 v78, 0x3fb8aa3b, v78
	v_sub_f32_e32 v79, v79, v86
	v_exp_f32_e32 v78, v78
	v_mul_f32_e32 v79, 0x3fb8aa3b, v79
	v_sub_f32_e32 v76, v76, v86
	v_exp_f32_e32 v79, v79
	v_mul_f32_e32 v76, 0x3fb8aa3b, v76
	v_sub_f32_e32 v77, v77, v86
	v_cndmask_b32_e64 v80, 0, v80, s[28:29]
	v_exp_f32_e32 v76, v76
	v_mul_f32_e32 v77, 0x3fb8aa3b, v77
	v_sub_f32_e32 v74, v74, v86
	v_add_f32_e32 v91, 0, v80
	v_cndmask_b32_e64 v81, 0, v81, s[30:31]
	v_exp_f32_e32 v77, v77
	v_mul_f32_e32 v74, 0x3fb8aa3b, v74
	v_sub_f32_e32 v75, v75, v86
	v_add_f32_e32 v91, v91, v81
	;; [unrolled: 5-line block ×10, first 2 shown]
	v_cndmask_b32_e64 v70, 0, v70, s[10:11]
	v_exp_f32_e32 v66, v66
	v_mul_f32_e32 v67, 0x3fb8aa3b, v67
	v_add_f32_e32 v91, v91, v70
	v_cndmask_b32_e64 v71, 0, v71, s[12:13]
	v_exp_f32_e32 v67, v67
	v_add_f32_e32 v91, v91, v71
	v_cndmask_b32_e64 v68, 0, v68, s[6:7]
	v_add_f32_e32 v91, v91, v68
	v_cndmask_b32_e64 v69, 0, v69, s[8:9]
	v_add_f32_e32 v91, v91, v69
	v_cndmask_b32_e32 v66, 0, v66, vcc
	v_add_f32_e32 v91, v91, v66
	v_cndmask_b32_e64 v67, 0, v67, s[4:5]
	v_add_f32_e32 v91, v91, v67
	ds_bpermute_b32 v87, v87, v91
	s_load_dword s9, s[0:1], 0x98
	v_cmp_gt_u32_e64 s[4:5], 16, v85
	s_waitcnt lgkmcnt(0)
	s_barrier
	v_add_f32_e32 v87, v91, v87
	ds_bpermute_b32 v89, v89, v87
	s_waitcnt lgkmcnt(0)
	s_and_saveexec_b64 s[6:7], s[4:5]
	s_cbranch_execz .LBB740_17
; %bb.16:
	v_add_f32_e32 v85, v87, v89
	v_lshlrev_b32_e32 v87, 2, v90
	ds_write2st64_b32 v87, v86, v85 offset1:1
.LBB740_17:
	s_or_b64 exec, exec, s[6:7]
	v_lshlrev_b32_e32 v85, 2, v84
	s_load_dword s8, s[0:1], 0x94
	s_waitcnt lgkmcnt(0)
	s_barrier
	ds_read2_b32 v[90:91], v85 offset1:16
	ds_read2_b32 v[92:93], v85 offset0:32 offset1:48
	ds_read2_b32 v[94:95], v85 offset0:64 offset1:80
	s_movk_i32 s10, 0x7fff
	s_mov_b32 s11, 0x7060302
	s_waitcnt lgkmcnt(2)
	v_max3_f32 v86, v90, s33, v91
	s_waitcnt lgkmcnt(1)
	v_max3_f32 v86, v86, v92, v93
	v_sub_f32_e32 v87, v90, v86
	v_mul_f32_e32 v87, 0x3fb8aa3b, v87
	v_exp_f32_e32 v89, v87
	v_sub_f32_e32 v87, v91, v86
	v_mul_f32_e32 v87, 0x3fb8aa3b, v87
	v_exp_f32_e32 v88, v87
	v_sub_f32_e32 v87, v92, v86
	v_mul_f32_e32 v87, 0x3fb8aa3b, v87
	ds_read2_b32 v[90:91], v85 offset0:96 offset1:112
	v_sub_f32_e32 v85, v93, v86
	v_exp_f32_e32 v92, v87
	v_mul_f32_e32 v85, 0x3fb8aa3b, v85
	v_exp_f32_e32 v85, v85
	s_waitcnt lgkmcnt(1)
	v_fma_f32 v87, v89, v94, 0
	v_fmac_f32_e32 v87, v88, v95
	s_waitcnt lgkmcnt(0)
	v_fmac_f32_e32 v87, v92, v90
	v_fmac_f32_e32 v87, v85, v91
	v_add_f32_e32 v90, 0x358637bd, v87
	v_div_scale_f32 v91, s[6:7], v90, v90, 1.0
	v_rcp_f32_e32 v93, v91
	s_mul_i32 s9, s9, 13
	s_barrier
	v_fma_f32 v94, -v91, v93, 1.0
	v_fmac_f32_e32 v93, v94, v93
	v_div_scale_f32 v94, vcc, 1.0, v90, 1.0
	v_mul_f32_e32 v95, v94, v93
	v_fma_f32 v1, -v91, v95, v94
	v_fmac_f32_e32 v95, v1, v93
	v_fma_f32 v1, -v91, v95, v94
	v_lshrrev_b32_e32 v91, 6, v0
	v_div_fmas_f32 v1, v1, v93, v95
	v_cmp_eq_u32_e32 vcc, 1, v91
	v_div_fixup_f32 v1, v1, v90, 1.0
	s_nop 0
	v_cndmask_b32_e32 v88, v89, v88, vcc
	v_cmp_eq_u32_e32 vcc, 2, v91
	s_nop 1
	v_cndmask_b32_e32 v88, v88, v92, vcc
	v_cmp_eq_u32_e32 vcc, 3, v91
	s_nop 1
	v_cndmask_b32_e32 v85, v88, v85, vcc
	v_mul_f32_e32 v90, v85, v1
	v_pk_mul_f32 v[80:81], v[90:91], v[80:81] op_sel_hi:[0,1]
	v_bfe_u32 v1, v81, 16, 1
	v_bfe_u32 v85, v80, 16, 1
	v_pk_mul_f32 v[78:79], v[90:91], v[78:79] op_sel_hi:[0,1]
	v_add3_u32 v80, v80, v85, s10
	v_add3_u32 v1, v81, v1, s10
	v_perm_b32 v80, v1, v80, s11
	v_bfe_u32 v1, v79, 16, 1
	v_bfe_u32 v81, v78, 16, 1
	v_add3_u32 v78, v78, v81, s10
	v_add3_u32 v1, v79, v1, s10
	v_bfe_u32 v88, v0, 4, 2
	v_perm_b32 v81, v1, v78, s11
	v_lshlrev_b32_e32 v1, 3, v88
	v_lshlrev_b32_e32 v78, 5, v84
	v_lshlrev_b32_e32 v79, 11, v91
	v_pk_mul_f32 v[76:77], v[90:91], v[76:77] op_sel_hi:[0,1]
	v_or3_b32 v1, v79, v78, v1
	v_bfe_u32 v79, v77, 16, 1
	v_bfe_u32 v85, v76, 16, 1
	v_pk_mul_f32 v[74:75], v[90:91], v[74:75] op_sel_hi:[0,1]
	v_add3_u32 v76, v76, v85, s10
	v_add3_u32 v77, v77, v79, s10
	v_perm_b32 v76, v77, v76, s11
	v_bfe_u32 v77, v75, 16, 1
	v_bfe_u32 v79, v74, 16, 1
	v_add3_u32 v74, v74, v79, s10
	v_add3_u32 v75, v75, v77, s10
	v_pk_mul_f32 v[72:73], v[90:91], v[72:73] op_sel_hi:[0,1]
	v_perm_b32 v77, v75, v74, s11
	v_bfe_u32 v74, v73, 16, 1
	v_bfe_u32 v75, v72, 16, 1
	v_pk_mul_f32 v[70:71], v[90:91], v[70:71] op_sel_hi:[0,1]
	v_add3_u32 v72, v72, v75, s10
	v_add3_u32 v73, v73, v74, s10
	v_perm_b32 v72, v73, v72, s11
	v_bfe_u32 v73, v71, 16, 1
	v_bfe_u32 v74, v70, 16, 1
	v_add3_u32 v70, v70, v74, s10
	v_add3_u32 v71, v71, v73, s10
	v_pk_mul_f32 v[68:69], v[90:91], v[68:69] op_sel_hi:[0,1]
	v_perm_b32 v73, v71, v70, s11
	v_bfe_u32 v70, v69, 16, 1
	v_bfe_u32 v71, v68, 16, 1
	v_pk_mul_f32 v[66:67], v[90:91], v[66:67] op_sel_hi:[0,1]
	v_add3_u32 v68, v68, v71, s10
	v_add3_u32 v69, v69, v70, s10
	v_perm_b32 v68, v69, v68, s11
	v_bfe_u32 v69, v67, 16, 1
	v_bfe_u32 v70, v66, 16, 1
	v_add3_u32 v66, v66, v70, s10
	v_add3_u32 v67, v67, v69, s10
	v_perm_b32 v69, v67, v66, s11
	v_cmp_gt_u32_e32 vcc, 13, v0
	ds_write2st64_b64 v1, v[80:81], v[76:77] offset1:1
	ds_write2st64_b64 v1, v[72:73], v[68:69] offset0:2 offset1:3
	s_and_saveexec_b64 s[6:7], vcc
	s_cbranch_execz .LBB740_19
; %bb.18:
	s_mov_b32 s41, 0
	v_mov_b32_e32 v85, 0
	v_lshl_add_u64 v[66:67], s[40:41], 0, v[84:85]
	v_mov_b32_e32 v68, s9
	v_mad_u64_u32 v[66:67], s[16:17], s2, v68, v[66:67]
	s_mul_i32 s3, s3, s9
	v_mov_b32_e32 v68, s26
	v_mov_b32_e32 v69, v85
	s_load_dwordx4 s[12:15], s[0:1], 0x58
	v_add_u32_e32 v70, s3, v67
	v_mad_u64_u32 v[66:67], s[16:17], v66, s8, v[68:69]
	v_mov_b32_e32 v68, v67
	v_mad_u64_u32 v[68:69], s[16:17], v70, s8, v[68:69]
	v_mov_b32_e32 v67, v68
	v_lshlrev_b64 v[66:67], 2, v[66:67]
	s_waitcnt lgkmcnt(0)
	v_lshl_add_u64 v[68:69], s[14:15], 0, v[66:67]
	v_lshl_add_u64 v[66:67], s[12:13], 0, v[66:67]
	global_store_dword v[68:69], v86, off
	global_store_dword v[66:67], v87, off
.LBB740_19:
	s_or_b64 exec, exec, s[6:7]
	v_lshl_or_b32 v78, v88, 9, v78
	s_waitcnt lgkmcnt(0)
	s_barrier
	ds_read_b128 v[70:73], v78
	ds_read_b128 v[66:69], v78 offset:16
	s_waitcnt vmcnt(15) lgkmcnt(1)
	v_mfma_f32_16x16x16_bf16 v[74:77], v[30:31], v[70:71], 0
	s_mov_b32 s3, 0
	v_cmp_gt_u32_e32 vcc, 64, v0
	v_mfma_f32_16x16x16_bf16 v[30:33], v[32:33], v[72:73], v[74:77]
	s_waitcnt vmcnt(14) lgkmcnt(0)
	v_mfma_f32_16x16x16_bf16 v[30:33], v[26:27], v[66:67], v[30:33]
	v_mfma_f32_16x16x16_bf16 v[26:29], v[28:29], v[68:69], v[30:33]
	s_nop 5
	ds_read_b128 v[30:33], v78 offset:2048
	ds_read_b128 v[74:77], v78 offset:2064
	s_waitcnt vmcnt(13) lgkmcnt(1)
	v_mfma_f32_16x16x16_bf16 v[26:29], v[22:23], v[30:31], v[26:29]
	v_mfma_f32_16x16x16_bf16 v[22:25], v[24:25], v[32:33], v[26:29]
	s_waitcnt vmcnt(12) lgkmcnt(0)
	v_mfma_f32_16x16x16_bf16 v[22:25], v[18:19], v[74:75], v[22:25]
	v_mfma_f32_16x16x16_bf16 v[18:21], v[20:21], v[76:77], v[22:25]
	s_nop 5
	ds_read_b128 v[22:25], v78 offset:4096
	ds_read_b128 v[26:29], v78 offset:4112
	s_waitcnt vmcnt(11) lgkmcnt(1)
	v_mfma_f32_16x16x16_bf16 v[18:21], v[14:15], v[22:23], v[18:21]
	v_mfma_f32_16x16x16_bf16 v[14:17], v[16:17], v[24:25], v[18:21]
	s_waitcnt vmcnt(10) lgkmcnt(0)
	v_mfma_f32_16x16x16_bf16 v[14:17], v[10:11], v[26:27], v[14:17]
	v_mfma_f32_16x16x16_bf16 v[10:13], v[12:13], v[28:29], v[14:17]
	s_nop 5
	ds_read_b128 v[14:17], v78 offset:6144
	ds_read_b128 v[18:21], v78 offset:6160
	s_waitcnt lgkmcnt(0)
	s_barrier
	s_waitcnt vmcnt(9)
	v_mfma_f32_16x16x16_bf16 v[10:13], v[6:7], v[14:15], v[10:13]
	v_mfma_f32_16x16x16_bf16 v[6:9], v[8:9], v[16:17], v[10:13]
	s_waitcnt vmcnt(8)
	v_mfma_f32_16x16x16_bf16 v[6:9], v[2:3], v[18:19], v[6:9]
	v_mfma_f32_16x16x16_bf16 v[2:5], v[4:5], v[20:21], v[6:9]
	s_waitcnt vmcnt(7)
	v_mfma_f32_16x16x16_bf16 v[6:9], v[46:47], v[70:71], 0
	v_mfma_f32_16x16x16_bf16 v[6:9], v[48:49], v[72:73], v[6:9]
	s_nop 3
	v_bfe_u32 v10, v3, 16, 1
	v_bfe_u32 v11, v2, 16, 1
	v_add3_u32 v2, v2, v11, s10
	s_waitcnt vmcnt(6)
	v_mfma_f32_16x16x16_bf16 v[6:9], v[38:39], v[66:67], v[6:9]
	v_add3_u32 v3, v3, v10, s10
	v_perm_b32 v10, v3, v2, s11
	v_bfe_u32 v2, v5, 16, 1
	v_mfma_f32_16x16x16_bf16 v[6:9], v[40:41], v[68:69], v[6:9]
	v_bfe_u32 v3, v4, 16, 1
	v_add3_u32 v3, v4, v3, s10
	v_add3_u32 v2, v5, v2, s10
	s_waitcnt vmcnt(5)
	v_mfma_f32_16x16x16_bf16 v[6:9], v[42:43], v[30:31], v[6:9]
	v_perm_b32 v11, v2, v3, s11
	v_mfma_f32_16x16x16_bf16 v[6:9], v[44:45], v[32:33], v[6:9]
	s_waitcnt vmcnt(4)
	v_mfma_f32_16x16x16_bf16 v[6:9], v[34:35], v[74:75], v[6:9]
	v_mfma_f32_16x16x16_bf16 v[6:9], v[36:37], v[76:77], v[6:9]
	s_waitcnt vmcnt(3)
	v_mfma_f32_16x16x16_bf16 v[6:9], v[58:59], v[22:23], v[6:9]
	;; [unrolled: 3-line block ×5, first 2 shown]
	v_mfma_f32_16x16x16_bf16 v[2:5], v[52:53], v[20:21], v[6:9]
	s_nop 6
	v_bfe_u32 v6, v3, 16, 1
	v_bfe_u32 v7, v2, 16, 1
	v_add3_u32 v2, v2, v7, s10
	v_add3_u32 v3, v3, v6, s10
	v_perm_b32 v2, v3, v2, s11
	v_bfe_u32 v3, v5, 16, 1
	v_bfe_u32 v6, v4, 16, 1
	v_add3_u32 v4, v4, v6, s10
	v_add3_u32 v3, v5, v3, s10
	v_perm_b32 v3, v3, v4, s11
	ds_write2st64_b64 v1, v[10:11], v[2:3] offset1:1
	s_waitcnt lgkmcnt(0)
	s_barrier
	s_and_saveexec_b64 s[6:7], vcc
	s_cbranch_execz .LBB740_22
; %bb.20:
	s_load_dwordx2 s[6:7], s[0:1], 0x68
	s_lshl_b32 s0, s8, 7
	s_mul_i32 s1, s9, s2
	v_lshlrev_b32_e32 v3, 6, v84
	s_mul_hi_u32 s9, s1, s0
	s_mul_i32 s8, s1, s0
	v_lshlrev_b32_e32 v2, 4, v0
	v_lshl_or_b32 v0, v0, 10, v3
	s_lshl_b64 s[8:9], s[8:9], 1
	v_lshlrev_b32_e32 v1, 5, v88
	v_and_b32_e32 v2, 16, v2
	v_and_b32_e32 v0, 0x1a00, v0
	s_waitcnt lgkmcnt(0)
	s_add_u32 s1, s6, s8
	v_or3_b32 v2, v0, v1, v2
	s_addc_u32 s6, s7, s9
	s_lshl_b32 s2, s26, 7
	ds_read_b128 v[4:7], v2 offset:256
	s_lshl_b64 s[2:3], s[2:3], 1
	ds_read_b128 v[8:11], v2 offset:128
	ds_read_b128 v[12:15], v2
	s_add_u32 s2, s1, s2
	s_addc_u32 s3, s6, s3
	v_add_u32_e32 v3, s40, v88
	v_lshl_add_u64 v[0:1], v[82:83], 1, s[2:3]
	v_mad_u64_u32 v[16:17], s[2:3], v3, s0, 0
	v_lshl_add_u64 v[16:17], v[16:17], 1, v[0:1]
	s_waitcnt lgkmcnt(0)
	global_store_dwordx4 v[16:17], v[12:15], off
	s_nop 1
	v_add_u32_e32 v12, 4, v3
	v_mad_u64_u32 v[12:13], s[2:3], v12, s0, 0
	v_lshl_add_u64 v[12:13], v[12:13], 1, v[0:1]
	v_add_u32_e32 v3, 8, v3
	global_store_dwordx4 v[12:13], v[8:11], off
	s_nop 1
	v_mad_u64_u32 v[8:9], s[2:3], v3, s0, 0
	v_lshl_add_u64 v[8:9], v[8:9], 1, v[0:1]
	global_store_dwordx4 v[8:9], v[4:7], off
	s_and_b64 exec, exec, s[4:5]
	s_cbranch_execz .LBB740_22
; %bb.21:
	ds_read_b128 v[2:5], v2 offset:384
	v_add3_u32 v6, s40, v88, 12
	v_mad_u64_u32 v[6:7], s[0:1], v6, s0, 0
	v_lshl_add_u64 v[0:1], v[6:7], 1, v[0:1]
	s_waitcnt lgkmcnt(0)
	global_store_dwordx4 v[0:1], v[2:5], off
.LBB740_22:
	s_endpgm
	.section	.rodata,"a",@progbits
	.p2align	6, 0x0
	.amdhsa_kernel _Z39paged_attention_ll4mi_QKV_mfma16_kernelI14__hip_bfloat16S0_LN4vllm18Fp8KVCacheDataTypeE0ES0_Li32ELi128ELi256ELb1ELi13EEvPKT_PKT0_S8_ifPKiSA_SA_iPKfiiiPfSD_PS3_PT2_iSC_SC_
		.amdhsa_group_segment_fixed_size 8192
		.amdhsa_private_segment_fixed_size 0
		.amdhsa_kernarg_size 400
		.amdhsa_user_sgpr_count 2
		.amdhsa_user_sgpr_dispatch_ptr 0
		.amdhsa_user_sgpr_queue_ptr 0
		.amdhsa_user_sgpr_kernarg_segment_ptr 1
		.amdhsa_user_sgpr_dispatch_id 0
		.amdhsa_user_sgpr_kernarg_preload_length 0
		.amdhsa_user_sgpr_kernarg_preload_offset 0
		.amdhsa_user_sgpr_private_segment_size 0
		.amdhsa_uses_dynamic_stack 0
		.amdhsa_enable_private_segment 0
		.amdhsa_system_sgpr_workgroup_id_x 1
		.amdhsa_system_sgpr_workgroup_id_y 1
		.amdhsa_system_sgpr_workgroup_id_z 1
		.amdhsa_system_sgpr_workgroup_info 0
		.amdhsa_system_vgpr_workitem_id 0
		.amdhsa_next_free_vgpr 96
		.amdhsa_next_free_sgpr 42
		.amdhsa_accum_offset 96
		.amdhsa_reserve_vcc 1
		.amdhsa_float_round_mode_32 0
		.amdhsa_float_round_mode_16_64 0
		.amdhsa_float_denorm_mode_32 3
		.amdhsa_float_denorm_mode_16_64 3
		.amdhsa_dx10_clamp 1
		.amdhsa_ieee_mode 1
		.amdhsa_fp16_overflow 0
		.amdhsa_tg_split 0
		.amdhsa_exception_fp_ieee_invalid_op 0
		.amdhsa_exception_fp_denorm_src 0
		.amdhsa_exception_fp_ieee_div_zero 0
		.amdhsa_exception_fp_ieee_overflow 0
		.amdhsa_exception_fp_ieee_underflow 0
		.amdhsa_exception_fp_ieee_inexact 0
		.amdhsa_exception_int_div_zero 0
	.end_amdhsa_kernel
	.section	.text._Z39paged_attention_ll4mi_QKV_mfma16_kernelI14__hip_bfloat16S0_LN4vllm18Fp8KVCacheDataTypeE0ES0_Li32ELi128ELi256ELb1ELi13EEvPKT_PKT0_S8_ifPKiSA_SA_iPKfiiiPfSD_PS3_PT2_iSC_SC_,"axG",@progbits,_Z39paged_attention_ll4mi_QKV_mfma16_kernelI14__hip_bfloat16S0_LN4vllm18Fp8KVCacheDataTypeE0ES0_Li32ELi128ELi256ELb1ELi13EEvPKT_PKT0_S8_ifPKiSA_SA_iPKfiiiPfSD_PS3_PT2_iSC_SC_,comdat
.Lfunc_end740:
	.size	_Z39paged_attention_ll4mi_QKV_mfma16_kernelI14__hip_bfloat16S0_LN4vllm18Fp8KVCacheDataTypeE0ES0_Li32ELi128ELi256ELb1ELi13EEvPKT_PKT0_S8_ifPKiSA_SA_iPKfiiiPfSD_PS3_PT2_iSC_SC_, .Lfunc_end740-_Z39paged_attention_ll4mi_QKV_mfma16_kernelI14__hip_bfloat16S0_LN4vllm18Fp8KVCacheDataTypeE0ES0_Li32ELi128ELi256ELb1ELi13EEvPKT_PKT0_S8_ifPKiSA_SA_iPKfiiiPfSD_PS3_PT2_iSC_SC_
                                        ; -- End function
	.section	.AMDGPU.csdata,"",@progbits
; Kernel info:
; codeLenInByte = 5236
; NumSgprs: 48
; NumVgprs: 96
; NumAgprs: 0
; TotalNumVgprs: 96
; ScratchSize: 0
; MemoryBound: 0
; FloatMode: 240
; IeeeMode: 1
; LDSByteSize: 8192 bytes/workgroup (compile time only)
; SGPRBlocks: 5
; VGPRBlocks: 11
; NumSGPRsForWavesPerEU: 48
; NumVGPRsForWavesPerEU: 96
; AccumOffset: 96
; Occupancy: 5
; WaveLimiterHint : 1
; COMPUTE_PGM_RSRC2:SCRATCH_EN: 0
; COMPUTE_PGM_RSRC2:USER_SGPR: 2
; COMPUTE_PGM_RSRC2:TRAP_HANDLER: 0
; COMPUTE_PGM_RSRC2:TGID_X_EN: 1
; COMPUTE_PGM_RSRC2:TGID_Y_EN: 1
; COMPUTE_PGM_RSRC2:TGID_Z_EN: 1
; COMPUTE_PGM_RSRC2:TIDIG_COMP_CNT: 0
; COMPUTE_PGM_RSRC3_GFX90A:ACCUM_OFFSET: 23
; COMPUTE_PGM_RSRC3_GFX90A:TG_SPLIT: 0
	.section	.text._Z39paged_attention_ll4mi_QKV_mfma16_kernelI14__hip_bfloat16S0_LN4vllm18Fp8KVCacheDataTypeE0ES0_Li32ELi128ELi256ELb1ELi14EEvPKT_PKT0_S8_ifPKiSA_SA_iPKfiiiPfSD_PS3_PT2_iSC_SC_,"axG",@progbits,_Z39paged_attention_ll4mi_QKV_mfma16_kernelI14__hip_bfloat16S0_LN4vllm18Fp8KVCacheDataTypeE0ES0_Li32ELi128ELi256ELb1ELi14EEvPKT_PKT0_S8_ifPKiSA_SA_iPKfiiiPfSD_PS3_PT2_iSC_SC_,comdat
	.protected	_Z39paged_attention_ll4mi_QKV_mfma16_kernelI14__hip_bfloat16S0_LN4vllm18Fp8KVCacheDataTypeE0ES0_Li32ELi128ELi256ELb1ELi14EEvPKT_PKT0_S8_ifPKiSA_SA_iPKfiiiPfSD_PS3_PT2_iSC_SC_ ; -- Begin function _Z39paged_attention_ll4mi_QKV_mfma16_kernelI14__hip_bfloat16S0_LN4vllm18Fp8KVCacheDataTypeE0ES0_Li32ELi128ELi256ELb1ELi14EEvPKT_PKT0_S8_ifPKiSA_SA_iPKfiiiPfSD_PS3_PT2_iSC_SC_
	.globl	_Z39paged_attention_ll4mi_QKV_mfma16_kernelI14__hip_bfloat16S0_LN4vllm18Fp8KVCacheDataTypeE0ES0_Li32ELi128ELi256ELb1ELi14EEvPKT_PKT0_S8_ifPKiSA_SA_iPKfiiiPfSD_PS3_PT2_iSC_SC_
	.p2align	8
	.type	_Z39paged_attention_ll4mi_QKV_mfma16_kernelI14__hip_bfloat16S0_LN4vllm18Fp8KVCacheDataTypeE0ES0_Li32ELi128ELi256ELb1ELi14EEvPKT_PKT0_S8_ifPKiSA_SA_iPKfiiiPfSD_PS3_PT2_iSC_SC_,@function
_Z39paged_attention_ll4mi_QKV_mfma16_kernelI14__hip_bfloat16S0_LN4vllm18Fp8KVCacheDataTypeE0ES0_Li32ELi128ELi256ELb1ELi14EEvPKT_PKT0_S8_ifPKiSA_SA_iPKfiiiPfSD_PS3_PT2_iSC_SC_: ; @_Z39paged_attention_ll4mi_QKV_mfma16_kernelI14__hip_bfloat16S0_LN4vllm18Fp8KVCacheDataTypeE0ES0_Li32ELi128ELi256ELb1ELi14EEvPKT_PKT0_S8_ifPKiSA_SA_iPKfiiiPfSD_PS3_PT2_iSC_SC_
; %bb.0:
	s_load_dwordx2 s[8:9], s[0:1], 0x30
	s_mov_b32 s26, s3
	s_mov_b64 s[6:7], 0
	s_waitcnt lgkmcnt(0)
	s_cmp_lg_u64 s[8:9], 0
	s_cselect_b64 s[10:11], -1, 0
	s_and_b64 vcc, exec, s[10:11]
	s_cbranch_vccz .LBB741_7
; %bb.1:
	s_add_i32 s12, s2, 1
	s_mov_b32 s13, 0
	s_lshl_b64 s[14:15], s[12:13], 2
	s_add_u32 s14, s8, s14
	s_mov_b32 s3, s13
	s_addc_u32 s15, s9, s15
	s_lshl_b64 s[12:13], s[2:3], 2
	s_add_u32 s12, s8, s12
	s_addc_u32 s13, s9, s13
	s_load_dword s5, s[14:15], 0x0
	s_load_dword s16, s[12:13], 0x0
	s_waitcnt lgkmcnt(0)
	s_sub_i32 s5, s5, s16
	s_cmp_eq_u32 s5, 1
	s_cselect_b64 s[12:13], -1, 0
	s_andn2_b64 vcc, exec, s[6:7]
	s_cbranch_vccnz .LBB741_3
.LBB741_2:
	s_mov_b32 s3, 0
	s_mov_b64 s[12:13], -1
.LBB741_3:
	s_andn2_b64 vcc, exec, s[12:13]
	s_cbranch_vccnz .LBB741_22
; %bb.4:
	s_load_dwordx2 s[6:7], s[0:1], 0x28
	s_lshl_b64 s[12:13], s[2:3], 2
	s_waitcnt lgkmcnt(0)
	s_add_u32 s6, s6, s12
	s_addc_u32 s7, s7, s13
	s_load_dword s27, s[6:7], 0x0
	s_lshl_b32 s18, s26, 8
	s_waitcnt lgkmcnt(0)
	s_cmp_ge_i32 s18, s27
	s_cbranch_scc1 .LBB741_22
; %bb.5:
	s_load_dwordx2 s[6:7], s[0:1], 0x20
	s_load_dword s5, s[0:1], 0x38
	s_add_i32 s14, s27, 31
	s_ashr_i32 s15, s14, 31
	v_and_b32_e32 v1, 0xcf, v0
	s_lshr_b32 s15, s15, 27
	v_add_u32_e32 v1, s18, v1
	s_add_i32 s14, s14, s15
	v_ashrrev_i32_e32 v2, 31, v1
	s_ashr_i32 s19, s14, 5
	v_lshrrev_b32_e32 v4, 27, v2
	s_add_i32 s19, s19, -1
	s_waitcnt lgkmcnt(0)
	s_mul_i32 s14, s2, s5
	s_mov_b32 s15, 0
	v_add_u32_e32 v2, v1, v4
	s_lshl_b64 s[14:15], s[14:15], 2
	v_ashrrev_i32_e32 v2, 5, v2
	v_mov_b32_e32 v5, s19
	v_cmp_gt_i32_e32 vcc, s27, v1
	s_add_u32 s6, s6, s14
	s_addc_u32 s7, s7, s15
	v_cndmask_b32_e32 v2, v5, v2, vcc
	v_ashrrev_i32_e32 v3, 31, v2
	v_lshl_add_u64 v[6:7], v[2:3], 2, s[6:7]
	v_or_b32_e32 v2, 16, v1
	v_add_u32_e32 v3, v2, v4
	v_ashrrev_i32_e32 v3, 5, v3
	v_cmp_gt_i32_e32 vcc, s27, v2
	s_nop 1
	v_cndmask_b32_e32 v2, v5, v3, vcc
	v_ashrrev_i32_e32 v3, 31, v2
	v_lshl_add_u64 v[8:9], v[2:3], 2, s[6:7]
	v_or_b32_e32 v2, 32, v1
	v_add_u32_e32 v3, v2, v4
	v_ashrrev_i32_e32 v3, 5, v3
	v_cmp_gt_i32_e32 vcc, s27, v2
	v_or_b32_e32 v1, 48, v1
	s_nop 0
	v_cndmask_b32_e32 v2, v5, v3, vcc
	v_ashrrev_i32_e32 v3, 31, v2
	v_lshl_add_u64 v[10:11], v[2:3], 2, s[6:7]
	v_add_u32_e32 v2, v1, v4
	v_ashrrev_i32_e32 v2, 5, v2
	v_cmp_gt_i32_e32 vcc, s27, v1
	s_nop 1
	v_cndmask_b32_e32 v2, v5, v2, vcc
	v_ashrrev_i32_e32 v3, 31, v2
	v_lshl_add_u64 v[12:13], v[2:3], 2, s[6:7]
	global_load_dword v5, v[6:7], off
	global_load_dword v4, v[8:9], off
	;; [unrolled: 1-line block ×4, first 2 shown]
	s_andn2_b64 vcc, exec, s[10:11]
	s_cbranch_vccnz .LBB741_8
; %bb.6:
	s_add_u32 s8, s8, s12
	s_addc_u32 s9, s9, s13
	s_load_dword s5, s[8:9], 0x0
	s_branch .LBB741_9
.LBB741_7:
	s_mov_b64 s[12:13], 0
	s_branch .LBB741_2
.LBB741_8:
	s_mov_b32 s5, s2
.LBB741_9:
	s_load_dwordx2 s[14:15], s[0:1], 0x8
	s_load_dwordx4 s[8:11], s[0:1], 0x48
	v_lshrrev_b32_e32 v88, 6, v0
	v_bfe_u32 v1, v0, 4, 2
	v_lshl_or_b32 v6, v88, 2, v1
	v_and_b32_e32 v84, 15, v0
	v_lshlrev_b32_e32 v82, 3, v84
	v_cmp_lt_u32_e32 vcc, 13, v6
	s_and_saveexec_b64 s[12:13], vcc
	s_xor_b64 s[12:13], exec, s[12:13]
; %bb.10:
	v_mov_b32_e32 v83, 0
                                        ; implicit-def: $vgpr6
; %bb.11:
	s_or_saveexec_b64 s[16:17], s[12:13]
	s_load_dwordx2 s[12:13], s[0:1], 0x10
	s_mul_i32 s40, s4, 14
	s_xor_b64 exec, exec, s[16:17]
	s_cbranch_execz .LBB741_13
; %bb.12:
	s_load_dwordx2 s[20:21], s[0:1], 0x0
	s_waitcnt lgkmcnt(0)
	s_ashr_i32 s11, s8, 31
	s_mul_hi_u32 s22, s5, s8
	s_mul_i32 s11, s5, s11
	s_add_i32 s23, s22, s11
	s_mul_i32 s22, s5, s8
	s_lshl_b64 s[22:23], s[22:23], 1
	s_add_u32 s20, s20, s22
	v_add_lshl_u32 v8, v6, s40, 7
	s_addc_u32 s21, s21, s23
	v_ashrrev_i32_e32 v9, 31, v8
	v_mov_b32_e32 v83, 0
	v_lshl_add_u64 v[8:9], v[8:9], 1, s[20:21]
	v_lshlrev_b32_e32 v10, 1, v82
	v_mov_b32_e32 v11, v83
	v_lshl_add_u64 v[8:9], v[8:9], 0, v[10:11]
	global_load_dwordx4 v[8:11], v[8:9], off
	v_and_b32_e32 v7, 3, v0
	v_lshlrev_b32_e32 v12, 9, v84
	v_lshlrev_b32_e32 v6, 5, v6
	v_lshlrev_b32_e32 v7, 9, v7
	v_and_b32_e32 v12, 0x1800, v12
	v_or3_b32 v6, v12, v7, v6
	s_waitcnt vmcnt(0)
	ds_write_b128 v6, v[8:11]
.LBB741_13:
	s_or_b64 exec, exec, s[16:17]
	s_waitcnt lgkmcnt(0)
	s_mul_i32 s4, s4, s10
	s_mov_b32 s5, 0
	s_lshl_b64 s[4:5], s[4:5], 1
	s_add_u32 s10, s14, s4
	s_addc_u32 s11, s15, s5
	s_waitcnt vmcnt(3)
	v_mad_i64_i32 v[6:7], s[14:15], v5, s9, 0
	v_lshl_add_u64 v[6:7], v[6:7], 1, s[10:11]
	v_lshlrev_b64 v[8:9], 1, v[82:83]
	v_lshlrev_b32_e32 v86, 9, v1
	v_lshl_add_u64 v[6:7], v[6:7], 0, v[8:9]
	v_mov_b32_e32 v87, 0
	v_lshl_add_u64 v[10:11], v[6:7], 0, v[86:87]
	v_or_b32_e32 v14, 0x1000, v86
	v_mov_b32_e32 v15, v87
	v_or_b32_e32 v16, 0x1800, v86
	v_mov_b32_e32 v17, v87
	s_barrier
	global_load_dwordx4 v[66:69], v[10:11], off
	global_load_dwordx4 v[62:65], v[10:11], off offset:2048
	v_lshl_add_u64 v[10:11], v[6:7], 0, v[14:15]
	v_lshl_add_u64 v[6:7], v[6:7], 0, v[16:17]
	global_load_dwordx4 v[78:81], v[10:11], off
	global_load_dwordx4 v[74:77], v[6:7], off
	s_waitcnt vmcnt(6)
	v_mad_i64_i32 v[4:5], s[14:15], v4, s9, 0
	v_mov_b32_e32 v6, 0x100
	v_lshl_add_u64 v[4:5], v[4:5], 1, s[10:11]
	v_lshl_or_b32 v6, v84, 4, v6
	v_mov_b32_e32 v7, v87
	v_lshl_add_u64 v[4:5], v[4:5], 0, v[6:7]
	v_lshl_add_u64 v[10:11], v[4:5], 0, v[86:87]
	global_load_dwordx4 v[70:73], v[10:11], off
	global_load_dwordx4 v[58:61], v[10:11], off offset:2048
	v_lshl_add_u64 v[10:11], v[4:5], 0, v[14:15]
	v_lshl_add_u64 v[4:5], v[4:5], 0, v[16:17]
	global_load_dwordx4 v[54:57], v[10:11], off
	global_load_dwordx4 v[30:33], v[4:5], off
	s_waitcnt vmcnt(9)
	v_mad_i64_i32 v[4:5], s[14:15], v3, s9, 0
	v_lshl_add_u64 v[4:5], v[4:5], 1, s[10:11]
	s_waitcnt vmcnt(8)
	v_mad_i64_i32 v[2:3], s[14:15], v2, s9, 0
	v_lshl_add_u64 v[4:5], v[4:5], 0, v[8:9]
	v_lshl_add_u64 v[2:3], v[2:3], 1, s[10:11]
	;; [unrolled: 1-line block ×4, first 2 shown]
	global_load_dwordx4 v[26:29], v[8:9], off
	global_load_dwordx4 v[22:25], v[8:9], off offset:2048
	v_lshl_add_u64 v[8:9], v[4:5], 0, v[14:15]
	v_lshl_add_u64 v[4:5], v[4:5], 0, v[16:17]
	;; [unrolled: 1-line block ×4, first 2 shown]
	global_load_dwordx4 v[18:21], v[8:9], off
	global_load_dwordx4 v[10:13], v[4:5], off
	s_nop 0
	global_load_dwordx4 v[6:9], v[2:3], off
	s_nop 0
	global_load_dwordx4 v[2:5], v[2:3], off offset:2048
	v_lshl_add_u64 v[16:17], v[34:35], 0, v[16:17]
	global_load_dwordx4 v[38:41], v[14:15], off
	global_load_dwordx4 v[34:37], v[16:17], off
	v_add_u32_e32 v14, -14, v84
	v_cmp_gt_u32_e32 vcc, 14, v84
	v_and_b32_e32 v85, 63, v0
	v_mov_b32_e32 v89, 0
	v_cndmask_b32_e32 v14, v14, v84, vcc
	v_lshl_add_u32 v42, v14, 5, v86
	ds_read_b128 v[14:17], v42
	ds_read_b128 v[50:53], v42 offset:2048
	ds_read_b128 v[46:49], v42 offset:4096
	;; [unrolled: 1-line block ×3, first 2 shown]
	s_and_saveexec_b64 s[10:11], vcc
	s_cbranch_execz .LBB741_15
; %bb.14:
	s_load_dwordx2 s[14:15], s[0:1], 0x40
	v_add_u32_e32 v90, s40, v84
	v_ashrrev_i32_e32 v91, 31, v90
	s_waitcnt lgkmcnt(0)
	v_lshl_add_u64 v[90:91], v[90:91], 2, s[14:15]
	global_load_dword v89, v[90:91], off
.LBB741_15:
	s_or_b64 exec, exec, s[10:11]
	s_waitcnt vmcnt(15) lgkmcnt(3)
	v_mfma_f32_16x16x16_bf16 v[90:93], v[66:67], v[14:15], 0
	s_ashr_i32 s8, s18, 31
	s_lshr_b32 s8, s8, 27
	s_add_u32 s4, s12, s4
	v_mfma_f32_16x16x16_bf16 v[66:69], v[68:69], v[16:17], v[90:93]
	s_addc_u32 s5, s13, s5
	s_mov_b32 s33, 0xff7fffff
	s_waitcnt vmcnt(14) lgkmcnt(2)
	v_mfma_f32_16x16x16_bf16 v[66:69], v[62:63], v[50:51], v[66:69]
	v_lshl_or_b32 v90, v88, 4, v84
	v_mfma_f32_16x16x16_bf16 v[62:65], v[64:65], v[52:53], v[66:69]
	s_waitcnt vmcnt(13) lgkmcnt(1)
	v_mfma_f32_16x16x16_bf16 v[62:65], v[78:79], v[46:47], v[62:65]
	v_mfma_f32_16x16x16_bf16 v[62:65], v[80:81], v[48:49], v[62:65]
	s_waitcnt vmcnt(12) lgkmcnt(0)
	v_mfma_f32_16x16x16_bf16 v[62:65], v[74:75], v[42:43], v[62:65]
	v_and_or_b32 v74, v0, 48, s18
	v_add_u32_e32 v66, s8, v74
	v_ashrrev_i32_e32 v75, 5, v66
	s_waitcnt vmcnt(11)
	v_mfma_f32_16x16x16_bf16 v[66:69], v[70:71], v[14:15], 0
	v_cmp_gt_i32_e32 vcc, s27, v74
	v_mfma_f32_16x16x16_bf16 v[66:69], v[72:73], v[16:17], v[66:69]
	v_or_b32_e32 v72, 64, v74
	v_add_u32_e32 v73, s8, v72
	s_waitcnt vmcnt(10)
	v_mfma_f32_16x16x16_bf16 v[66:69], v[58:59], v[50:51], v[66:69]
	v_ashrrev_i32_e32 v58, 5, v73
	v_mfma_f32_16x16x16_bf16 v[62:65], v[76:77], v[44:45], v[62:65]
	v_mov_b32_e32 v76, s19
	v_cndmask_b32_e32 v70, v76, v75, vcc
	v_cmp_gt_i32_e32 vcc, s27, v72
	v_ashrrev_i32_e32 v71, 31, v70
	v_lshl_add_u64 v[70:71], v[70:71], 2, s[6:7]
	v_cndmask_b32_e32 v72, v76, v58, vcc
	v_mfma_f32_16x16x16_bf16 v[58:61], v[60:61], v[52:53], v[66:69]
	v_ashrrev_i32_e32 v73, 31, v72
	s_waitcnt vmcnt(9)
	v_mfma_f32_16x16x16_bf16 v[58:61], v[54:55], v[46:47], v[58:61]
	v_lshl_add_u64 v[66:67], v[72:73], 2, s[6:7]
	global_load_dword v68, v[70:71], off
	s_nop 0
	global_load_dword v66, v[66:67], off
	v_or_b32_e32 v67, 0x80, v74
	v_add_u32_e32 v69, s8, v67
	v_mfma_f32_16x16x16_bf16 v[54:57], v[56:57], v[48:49], v[58:61]
	v_cmp_gt_i32_e32 vcc, s27, v67
	s_nop 1
	v_ashrrev_i32_e32 v58, 5, v69
	v_cndmask_b32_e32 v58, v76, v58, vcc
	v_ashrrev_i32_e32 v59, 31, v58
	s_waitcnt vmcnt(10)
	v_mfma_f32_16x16x16_bf16 v[54:57], v[30:31], v[42:43], v[54:57]
	v_lshl_add_u64 v[30:31], v[58:59], 2, s[6:7]
	global_load_dword v70, v[30:31], off
	v_mfma_f32_16x16x16_bf16 v[58:61], v[32:33], v[44:45], v[54:57]
	s_nop 3
	v_or_b32_e32 v54, 0xc0, v74
	v_add_u32_e32 v30, s8, v54
	v_ashrrev_i32_e32 v55, 5, v30
	v_cmp_gt_i32_e32 vcc, s27, v54
	s_waitcnt vmcnt(10)
	v_mfma_f32_16x16x16_bf16 v[30:33], v[26:27], v[14:15], 0
	v_cndmask_b32_e32 v26, v76, v55, vcc
	v_ashrrev_i32_e32 v27, 31, v26
	v_lshl_add_u64 v[54:55], v[26:27], 2, s[6:7]
	global_load_dword v71, v[54:55], off
	v_mfma_f32_16x16x16_bf16 v[26:29], v[28:29], v[16:17], v[30:33]
	s_load_dword s6, s[0:1], 0x1c
	s_waitcnt vmcnt(10)
	v_mfma_f32_16x16x16_bf16 v[26:29], v[22:23], v[50:51], v[26:29]
	v_and_b32_e32 v30, 16, v0
	v_lshlrev_b32_e32 v86, 1, v30
	v_lshl_add_u64 v[74:75], s[4:5], 0, v[86:87]
	v_mfma_f32_16x16x16_bf16 v[22:25], v[24:25], v[52:53], v[26:29]
	v_lshlrev_b32_e32 v86, 6, v90
	v_lshl_add_u64 v[76:77], v[74:75], 0, v[86:87]
	v_or_b32_e32 v86, 0x1000, v86
	s_waitcnt vmcnt(9)
	v_mfma_f32_16x16x16_bf16 v[22:25], v[18:19], v[46:47], v[22:25]
	v_lshl_add_u64 v[80:81], v[74:75], 0, v[86:87]
	s_waitcnt lgkmcnt(0)
	v_pk_mul_f32 v[74:75], s[6:7], v[60:61] op_sel_hi:[0,1]
	v_mfma_f32_16x16x16_bf16 v[18:21], v[20:21], v[48:49], v[22:25]
	s_waitcnt vmcnt(8)
	v_mfma_f32_16x16x16_bf16 v[18:21], v[10:11], v[42:43], v[18:21]
	s_waitcnt vmcnt(3)
	v_mad_i64_i32 v[22:23], s[4:5], v68, s9, 0
	s_waitcnt vmcnt(2)
	v_mad_i64_i32 v[10:11], s[4:5], v66, s9, 0
	v_lshlrev_b64 v[78:79], 1, v[22:23]
	v_lshlrev_b64 v[54:55], 1, v[10:11]
	v_lshl_add_u64 v[22:23], v[76:77], 0, v[78:79]
	v_lshl_add_u64 v[10:11], v[76:77], 0, v[54:55]
	global_load_dwordx4 v[30:33], v[22:23], off
	global_load_dwordx4 v[26:29], v[22:23], off offset:16
	v_mfma_f32_16x16x16_bf16 v[66:69], v[12:13], v[44:45], v[18:21]
	global_load_dwordx4 v[22:25], v[10:11], off
	s_nop 1
	global_load_dwordx4 v[18:21], v[10:11], off offset:16
	v_mfma_f32_16x16x16_bf16 v[10:13], v[6:7], v[14:15], 0
	s_waitcnt vmcnt(5)
	v_mad_i64_i32 v[6:7], s[4:5], v70, s9, 0
	v_lshlrev_b64 v[56:57], 1, v[6:7]
	v_mfma_f32_16x16x16_bf16 v[6:9], v[8:9], v[16:17], v[10:13]
	v_mfma_f32_16x16x16_bf16 v[6:9], v[2:3], v[50:51], v[6:9]
	s_nop 1
	v_lshl_add_u64 v[10:11], v[76:77], 0, v[56:57]
	global_load_dwordx4 v[14:17], v[10:11], off
	s_nop 0
	global_load_dwordx4 v[10:13], v[10:11], off offset:16
	s_waitcnt vmcnt(6)
	v_mad_i64_i32 v[2:3], s[4:5], v71, s9, 0
	v_mfma_f32_16x16x16_bf16 v[70:73], v[4:5], v[52:53], v[6:9]
	v_pk_mul_f32 v[52:53], s[6:7], v[62:63] op_sel_hi:[0,1]
	v_lshlrev_b64 v[50:51], 1, v[2:3]
	v_lshl_add_u64 v[2:3], v[76:77], 0, v[50:51]
	v_mfma_f32_16x16x16_bf16 v[70:73], v[38:39], v[46:47], v[70:73]
	v_lshl_add_u64 v[38:39], v[80:81], 0, v[78:79]
	v_pk_mul_f32 v[78:79], s[6:7], v[64:65] op_sel_hi:[0,1]
	v_pk_mul_f32 v[76:77], s[6:7], v[58:59] op_sel_hi:[0,1]
	v_mfma_f32_16x16x16_bf16 v[46:49], v[40:41], v[48:49], v[70:73]
	v_lshl_add_u64 v[50:51], v[80:81], 0, v[50:51]
	global_load_dwordx4 v[6:9], v[2:3], off
	s_nop 0
	global_load_dwordx4 v[2:5], v[2:3], off offset:16
	v_pk_mul_f32 v[70:71], s[6:7], v[68:69] op_sel_hi:[0,1]
	v_mfma_f32_16x16x16_bf16 v[40:43], v[34:35], v[42:43], v[46:49]
	v_pk_mul_f32 v[72:73], s[6:7], v[66:67] op_sel_hi:[0,1]
	v_mfma_f32_16x16x16_bf16 v[34:37], v[36:37], v[44:45], v[40:43]
	s_nop 6
	v_pk_mul_f32 v[68:69], s[6:7], v[34:35] op_sel_hi:[0,1]
	v_and_b32_e32 v34, 0xc0, v0
	v_add_u32_e32 v34, s18, v34
	v_lshl_or_b32 v34, v1, 2, v34
	v_or_b32_e32 v35, 1, v34
	v_pk_mul_f32 v[66:67], s[6:7], v[36:37] op_sel_hi:[0,1]
	v_subrev_u32_e32 v36, s27, v35
	v_add_u32_e32 v40, 1, v36
	v_add_u32_e32 v41, 2, v36
	v_cvt_f32_i32_e32 v37, v36
	v_cvt_f32_i32_e32 v40, v40
	;; [unrolled: 1-line block ×3, first 2 shown]
	v_add_u32_e32 v42, 3, v36
	v_fma_f32 v52, v89, v37, v52
	v_fmac_f32_e32 v53, v89, v40
	v_fma_f32 v78, v89, v41, v78
	v_add_u32_e32 v37, 16, v36
	v_add_u32_e32 v40, 17, v36
	;; [unrolled: 1-line block ×3, first 2 shown]
	v_cvt_f32_i32_e32 v42, v42
	v_cvt_f32_i32_e32 v37, v37
	;; [unrolled: 1-line block ×4, first 2 shown]
	v_fmac_f32_e32 v79, v89, v42
	v_add_u32_e32 v42, 19, v36
	v_fma_f32 v76, v89, v37, v76
	v_fmac_f32_e32 v77, v89, v40
	v_fma_f32 v74, v89, v41, v74
	v_add_u32_e32 v37, 32, v36
	v_add_u32_e32 v40, 33, v36
	;; [unrolled: 1-line block ×3, first 2 shown]
	v_cvt_f32_i32_e32 v42, v42
	v_cvt_f32_i32_e32 v37, v37
	;; [unrolled: 1-line block ×4, first 2 shown]
	v_fmac_f32_e32 v75, v89, v42
	v_add_u32_e32 v42, 35, v36
	v_fma_f32 v72, v89, v37, v72
	v_fmac_f32_e32 v73, v89, v40
	v_fma_f32 v70, v89, v41, v70
	v_add_u32_e32 v37, 48, v36
	v_add_u32_e32 v40, 49, v36
	;; [unrolled: 1-line block ×4, first 2 shown]
	v_cvt_f32_i32_e32 v36, v36
	v_cvt_f32_i32_e32 v37, v37
	;; [unrolled: 1-line block ×3, first 2 shown]
	v_cmp_gt_i32_e64 s[28:29], s27, v34
	v_fmac_f32_e32 v67, v89, v36
	v_mov_b32_e32 v36, 0xff7fffff
	v_cmp_gt_i32_e64 s[30:31], s27, v35
	v_fma_f32 v68, v89, v37, v68
	v_cndmask_b32_e64 v37, v36, v52, s[28:29]
	v_cndmask_b32_e64 v35, v36, v53, s[30:31]
	v_fmac_f32_e32 v69, v89, v40
	v_max3_f32 v35, v37, s33, v35
	v_or_b32_e32 v37, 2, v34
	v_or_b32_e32 v40, 3, v34
	v_cmp_gt_i32_e64 s[34:35], s27, v37
	v_cmp_gt_i32_e64 s[36:37], s27, v40
	v_cvt_f32_i32_e32 v42, v42
	v_cndmask_b32_e64 v37, v36, v78, s[34:35]
	v_cndmask_b32_e64 v40, v36, v79, s[36:37]
	v_max3_f32 v35, v35, v37, v40
	v_or_b32_e32 v37, 16, v34
	v_or_b32_e32 v40, 17, v34
	v_cmp_gt_i32_e64 s[22:23], s27, v37
	v_cmp_gt_i32_e64 s[24:25], s27, v40
	v_fmac_f32_e32 v71, v89, v42
	v_cndmask_b32_e64 v37, v36, v76, s[22:23]
	v_cndmask_b32_e64 v40, v36, v77, s[24:25]
	v_max3_f32 v35, v35, v37, v40
	v_or_b32_e32 v37, 18, v34
	v_or_b32_e32 v40, 19, v34
	v_cmp_gt_i32_e64 s[18:19], s27, v37
	v_cmp_gt_i32_e64 s[20:21], s27, v40
	v_cvt_f32_i32_e32 v41, v41
	v_cndmask_b32_e64 v37, v36, v74, s[18:19]
	v_cndmask_b32_e64 v40, v36, v75, s[20:21]
	v_max3_f32 v35, v35, v37, v40
	v_or_b32_e32 v37, 32, v34
	v_or_b32_e32 v40, 33, v34
	v_cmp_gt_i32_e64 s[14:15], s27, v37
	v_cmp_gt_i32_e64 s[16:17], s27, v40
	v_fma_f32 v66, v89, v41, v66
	v_cndmask_b32_e64 v37, v36, v72, s[14:15]
	v_cndmask_b32_e64 v40, v36, v73, s[16:17]
	v_max3_f32 v35, v35, v37, v40
	v_or_b32_e32 v37, 34, v34
	v_or_b32_e32 v40, 35, v34
	v_cmp_gt_i32_e64 s[10:11], s27, v37
	v_cmp_gt_i32_e64 s[12:13], s27, v40
	s_nop 0
	v_cndmask_b32_e64 v37, v36, v70, s[10:11]
	v_cndmask_b32_e64 v40, v36, v71, s[12:13]
	v_max3_f32 v35, v35, v37, v40
	v_or_b32_e32 v37, 48, v34
	v_or_b32_e32 v40, 49, v34
	v_cmp_gt_i32_e64 s[6:7], s27, v37
	v_cmp_gt_i32_e64 s[8:9], s27, v40
	s_nop 0
	v_cndmask_b32_e64 v37, v36, v68, s[6:7]
	v_cndmask_b32_e64 v40, v36, v69, s[8:9]
	v_max3_f32 v35, v35, v37, v40
	v_or_b32_e32 v37, 50, v34
	v_or_b32_e32 v34, 51, v34
	v_cmp_gt_i32_e32 vcc, s27, v37
	v_cmp_gt_i32_e64 s[4:5], s27, v34
	global_load_dwordx4 v[46:49], v[38:39], off
	s_nop 0
	global_load_dwordx4 v[38:41], v[38:39], off offset:16
	v_cndmask_b32_e32 v37, v36, v66, vcc
	v_cndmask_b32_e64 v34, v36, v67, s[4:5]
	v_max3_f32 v58, v35, v37, v34
	v_mbcnt_lo_u32_b32 v34, -1, 0
	v_mbcnt_hi_u32_b32 v59, -1, v34
	v_and_b32_e32 v34, 64, v59
	v_add_u32_e32 v60, 64, v34
	v_xor_b32_e32 v34, 32, v59
	v_cmp_lt_i32_e64 s[38:39], v34, v60
	s_nop 1
	v_cndmask_b32_e64 v34, v59, v34, s[38:39]
	v_lshlrev_b32_e32 v87, 2, v34
	ds_bpermute_b32 v61, v87, v58
	v_lshl_add_u64 v[34:35], v[80:81], 0, v[54:55]
	global_load_dwordx4 v[42:45], v[34:35], off
	s_nop 0
	global_load_dwordx4 v[34:37], v[34:35], off offset:16
	s_waitcnt lgkmcnt(0)
	v_max_f32_e32 v54, v61, v61
	v_max_f32_e32 v62, v58, v54
	v_xor_b32_e32 v54, 16, v59
	v_cmp_lt_i32_e64 s[38:39], v54, v60
	s_nop 1
	v_cndmask_b32_e64 v54, v59, v54, s[38:39]
	v_lshlrev_b32_e32 v89, 2, v54
	ds_bpermute_b32 v63, v89, v62
	v_lshl_add_u64 v[54:55], v[80:81], 0, v[56:57]
	global_load_dwordx4 v[58:61], v[54:55], off
	s_nop 0
	global_load_dwordx4 v[54:57], v[54:55], off offset:16
	s_waitcnt lgkmcnt(0)
	v_max_f32_e32 v63, v63, v63
	v_max_f32_e32 v86, v62, v63
	v_sub_f32_e32 v52, v52, v86
	v_mul_f32_e32 v52, 0x3fb8aa3b, v52
	v_exp_f32_e32 v80, v52
	v_sub_f32_e32 v52, v53, v86
	v_mul_f32_e32 v52, 0x3fb8aa3b, v52
	v_exp_f32_e32 v81, v52
	global_load_dwordx4 v[62:65], v[50:51], off
	s_nop 0
	global_load_dwordx4 v[50:53], v[50:51], off offset:16
	v_sub_f32_e32 v78, v78, v86
	v_mul_f32_e32 v78, 0x3fb8aa3b, v78
	v_sub_f32_e32 v79, v79, v86
	v_exp_f32_e32 v78, v78
	v_mul_f32_e32 v79, 0x3fb8aa3b, v79
	v_sub_f32_e32 v76, v76, v86
	v_exp_f32_e32 v79, v79
	v_mul_f32_e32 v76, 0x3fb8aa3b, v76
	v_sub_f32_e32 v77, v77, v86
	v_cndmask_b32_e64 v80, 0, v80, s[28:29]
	v_exp_f32_e32 v76, v76
	v_mul_f32_e32 v77, 0x3fb8aa3b, v77
	v_sub_f32_e32 v74, v74, v86
	v_add_f32_e32 v91, 0, v80
	v_cndmask_b32_e64 v81, 0, v81, s[30:31]
	v_exp_f32_e32 v77, v77
	v_mul_f32_e32 v74, 0x3fb8aa3b, v74
	v_sub_f32_e32 v75, v75, v86
	v_add_f32_e32 v91, v91, v81
	;; [unrolled: 5-line block ×10, first 2 shown]
	v_cndmask_b32_e64 v70, 0, v70, s[10:11]
	v_exp_f32_e32 v66, v66
	v_mul_f32_e32 v67, 0x3fb8aa3b, v67
	v_add_f32_e32 v91, v91, v70
	v_cndmask_b32_e64 v71, 0, v71, s[12:13]
	v_exp_f32_e32 v67, v67
	v_add_f32_e32 v91, v91, v71
	v_cndmask_b32_e64 v68, 0, v68, s[6:7]
	v_add_f32_e32 v91, v91, v68
	v_cndmask_b32_e64 v69, 0, v69, s[8:9]
	v_add_f32_e32 v91, v91, v69
	v_cndmask_b32_e32 v66, 0, v66, vcc
	v_add_f32_e32 v91, v91, v66
	v_cndmask_b32_e64 v67, 0, v67, s[4:5]
	v_add_f32_e32 v91, v91, v67
	ds_bpermute_b32 v87, v87, v91
	s_load_dword s7, s[0:1], 0x98
	v_cmp_gt_u32_e32 vcc, 16, v85
	s_waitcnt lgkmcnt(0)
	s_barrier
	v_add_f32_e32 v87, v91, v87
	ds_bpermute_b32 v89, v89, v87
	s_waitcnt lgkmcnt(0)
	s_and_saveexec_b64 s[4:5], vcc
	s_cbranch_execz .LBB741_17
; %bb.16:
	v_add_f32_e32 v85, v87, v89
	v_lshlrev_b32_e32 v87, 2, v90
	ds_write2st64_b32 v87, v86, v85 offset1:1
.LBB741_17:
	s_or_b64 exec, exec, s[4:5]
	v_lshlrev_b32_e32 v85, 2, v84
	s_load_dword s6, s[0:1], 0x94
	s_waitcnt lgkmcnt(0)
	s_barrier
	ds_read2_b32 v[90:91], v85 offset1:16
	ds_read2_b32 v[92:93], v85 offset0:32 offset1:48
	ds_read2_b32 v[94:95], v85 offset0:64 offset1:80
	s_movk_i32 s8, 0x7fff
	s_mov_b32 s9, 0x7060302
	s_waitcnt lgkmcnt(2)
	v_max3_f32 v86, v90, s33, v91
	s_waitcnt lgkmcnt(1)
	v_max3_f32 v86, v86, v92, v93
	v_sub_f32_e32 v87, v90, v86
	v_mul_f32_e32 v87, 0x3fb8aa3b, v87
	v_exp_f32_e32 v89, v87
	v_sub_f32_e32 v87, v91, v86
	v_mul_f32_e32 v87, 0x3fb8aa3b, v87
	v_exp_f32_e32 v88, v87
	v_sub_f32_e32 v87, v92, v86
	v_mul_f32_e32 v87, 0x3fb8aa3b, v87
	ds_read2_b32 v[90:91], v85 offset0:96 offset1:112
	v_sub_f32_e32 v85, v93, v86
	v_exp_f32_e32 v92, v87
	v_mul_f32_e32 v85, 0x3fb8aa3b, v85
	v_exp_f32_e32 v85, v85
	s_waitcnt lgkmcnt(1)
	v_fma_f32 v87, v89, v94, 0
	v_fmac_f32_e32 v87, v88, v95
	s_waitcnt lgkmcnt(0)
	v_fmac_f32_e32 v87, v92, v90
	v_fmac_f32_e32 v87, v85, v91
	v_add_f32_e32 v90, 0x358637bd, v87
	v_div_scale_f32 v91, s[4:5], v90, v90, 1.0
	v_rcp_f32_e32 v93, v91
	s_mul_i32 s7, s7, 14
	s_barrier
	v_fma_f32 v94, -v91, v93, 1.0
	v_fmac_f32_e32 v93, v94, v93
	v_div_scale_f32 v94, vcc, 1.0, v90, 1.0
	v_mul_f32_e32 v95, v94, v93
	v_fma_f32 v1, -v91, v95, v94
	v_fmac_f32_e32 v95, v1, v93
	v_fma_f32 v1, -v91, v95, v94
	v_lshrrev_b32_e32 v91, 6, v0
	v_div_fmas_f32 v1, v1, v93, v95
	v_cmp_eq_u32_e32 vcc, 1, v91
	v_div_fixup_f32 v1, v1, v90, 1.0
	s_nop 0
	v_cndmask_b32_e32 v88, v89, v88, vcc
	v_cmp_eq_u32_e32 vcc, 2, v91
	s_nop 1
	v_cndmask_b32_e32 v88, v88, v92, vcc
	v_cmp_eq_u32_e32 vcc, 3, v91
	s_nop 1
	v_cndmask_b32_e32 v85, v88, v85, vcc
	v_mul_f32_e32 v90, v85, v1
	v_pk_mul_f32 v[80:81], v[90:91], v[80:81] op_sel_hi:[0,1]
	v_bfe_u32 v1, v81, 16, 1
	v_bfe_u32 v85, v80, 16, 1
	v_pk_mul_f32 v[78:79], v[90:91], v[78:79] op_sel_hi:[0,1]
	v_add3_u32 v80, v80, v85, s8
	v_add3_u32 v1, v81, v1, s8
	v_perm_b32 v80, v1, v80, s9
	v_bfe_u32 v1, v79, 16, 1
	v_bfe_u32 v81, v78, 16, 1
	v_add3_u32 v78, v78, v81, s8
	v_add3_u32 v1, v79, v1, s8
	v_bfe_u32 v88, v0, 4, 2
	v_perm_b32 v81, v1, v78, s9
	v_lshlrev_b32_e32 v1, 3, v88
	v_lshlrev_b32_e32 v78, 5, v84
	;; [unrolled: 1-line block ×3, first 2 shown]
	v_pk_mul_f32 v[76:77], v[90:91], v[76:77] op_sel_hi:[0,1]
	v_or3_b32 v1, v79, v78, v1
	v_bfe_u32 v79, v77, 16, 1
	v_bfe_u32 v85, v76, 16, 1
	v_pk_mul_f32 v[74:75], v[90:91], v[74:75] op_sel_hi:[0,1]
	v_add3_u32 v76, v76, v85, s8
	v_add3_u32 v77, v77, v79, s8
	v_perm_b32 v76, v77, v76, s9
	v_bfe_u32 v77, v75, 16, 1
	v_bfe_u32 v79, v74, 16, 1
	v_add3_u32 v74, v74, v79, s8
	v_add3_u32 v75, v75, v77, s8
	v_pk_mul_f32 v[72:73], v[90:91], v[72:73] op_sel_hi:[0,1]
	v_perm_b32 v77, v75, v74, s9
	v_bfe_u32 v74, v73, 16, 1
	v_bfe_u32 v75, v72, 16, 1
	v_pk_mul_f32 v[70:71], v[90:91], v[70:71] op_sel_hi:[0,1]
	v_add3_u32 v72, v72, v75, s8
	v_add3_u32 v73, v73, v74, s8
	v_perm_b32 v72, v73, v72, s9
	v_bfe_u32 v73, v71, 16, 1
	v_bfe_u32 v74, v70, 16, 1
	v_add3_u32 v70, v70, v74, s8
	v_add3_u32 v71, v71, v73, s8
	v_pk_mul_f32 v[68:69], v[90:91], v[68:69] op_sel_hi:[0,1]
	v_perm_b32 v73, v71, v70, s9
	v_bfe_u32 v70, v69, 16, 1
	v_bfe_u32 v71, v68, 16, 1
	v_pk_mul_f32 v[66:67], v[90:91], v[66:67] op_sel_hi:[0,1]
	v_add3_u32 v68, v68, v71, s8
	v_add3_u32 v69, v69, v70, s8
	v_perm_b32 v68, v69, v68, s9
	v_bfe_u32 v69, v67, 16, 1
	v_bfe_u32 v70, v66, 16, 1
	v_add3_u32 v66, v66, v70, s8
	v_add3_u32 v67, v67, v69, s8
	v_perm_b32 v69, v67, v66, s9
	v_cmp_gt_u32_e32 vcc, 14, v0
	ds_write2st64_b64 v1, v[80:81], v[76:77] offset1:1
	ds_write2st64_b64 v1, v[72:73], v[68:69] offset0:2 offset1:3
	s_and_saveexec_b64 s[4:5], vcc
	s_cbranch_execz .LBB741_19
; %bb.18:
	s_mov_b32 s41, 0
	v_mov_b32_e32 v85, 0
	v_lshl_add_u64 v[66:67], s[40:41], 0, v[84:85]
	v_mov_b32_e32 v68, s7
	v_mad_u64_u32 v[66:67], s[10:11], s2, v68, v[66:67]
	s_mul_i32 s3, s3, s7
	v_mov_b32_e32 v68, s26
	v_mov_b32_e32 v69, v85
	s_load_dwordx4 s[12:15], s[0:1], 0x58
	v_add_u32_e32 v70, s3, v67
	v_mad_u64_u32 v[66:67], s[10:11], v66, s6, v[68:69]
	v_mov_b32_e32 v68, v67
	v_mad_u64_u32 v[68:69], s[10:11], v70, s6, v[68:69]
	v_mov_b32_e32 v67, v68
	v_lshlrev_b64 v[66:67], 2, v[66:67]
	s_waitcnt lgkmcnt(0)
	v_lshl_add_u64 v[68:69], s[14:15], 0, v[66:67]
	v_lshl_add_u64 v[66:67], s[12:13], 0, v[66:67]
	global_store_dword v[68:69], v86, off
	global_store_dword v[66:67], v87, off
.LBB741_19:
	s_or_b64 exec, exec, s[4:5]
	v_lshl_or_b32 v78, v88, 9, v78
	s_waitcnt lgkmcnt(0)
	s_barrier
	ds_read_b128 v[70:73], v78
	ds_read_b128 v[66:69], v78 offset:16
	s_waitcnt vmcnt(15) lgkmcnt(1)
	v_mfma_f32_16x16x16_bf16 v[74:77], v[30:31], v[70:71], 0
	s_mov_b32 s3, 0
	v_cmp_gt_u32_e32 vcc, 64, v0
	v_mfma_f32_16x16x16_bf16 v[30:33], v[32:33], v[72:73], v[74:77]
	s_waitcnt vmcnt(14) lgkmcnt(0)
	v_mfma_f32_16x16x16_bf16 v[30:33], v[26:27], v[66:67], v[30:33]
	v_mfma_f32_16x16x16_bf16 v[26:29], v[28:29], v[68:69], v[30:33]
	s_nop 5
	ds_read_b128 v[30:33], v78 offset:2048
	ds_read_b128 v[74:77], v78 offset:2064
	s_waitcnt vmcnt(13) lgkmcnt(1)
	v_mfma_f32_16x16x16_bf16 v[26:29], v[22:23], v[30:31], v[26:29]
	v_mfma_f32_16x16x16_bf16 v[22:25], v[24:25], v[32:33], v[26:29]
	s_waitcnt vmcnt(12) lgkmcnt(0)
	v_mfma_f32_16x16x16_bf16 v[22:25], v[18:19], v[74:75], v[22:25]
	v_mfma_f32_16x16x16_bf16 v[18:21], v[20:21], v[76:77], v[22:25]
	s_nop 5
	ds_read_b128 v[22:25], v78 offset:4096
	ds_read_b128 v[26:29], v78 offset:4112
	s_waitcnt vmcnt(11) lgkmcnt(1)
	v_mfma_f32_16x16x16_bf16 v[18:21], v[14:15], v[22:23], v[18:21]
	v_mfma_f32_16x16x16_bf16 v[14:17], v[16:17], v[24:25], v[18:21]
	s_waitcnt vmcnt(10) lgkmcnt(0)
	v_mfma_f32_16x16x16_bf16 v[14:17], v[10:11], v[26:27], v[14:17]
	v_mfma_f32_16x16x16_bf16 v[10:13], v[12:13], v[28:29], v[14:17]
	s_nop 5
	ds_read_b128 v[14:17], v78 offset:6144
	ds_read_b128 v[18:21], v78 offset:6160
	s_waitcnt lgkmcnt(0)
	s_barrier
	s_waitcnt vmcnt(9)
	v_mfma_f32_16x16x16_bf16 v[10:13], v[6:7], v[14:15], v[10:13]
	v_mfma_f32_16x16x16_bf16 v[6:9], v[8:9], v[16:17], v[10:13]
	s_waitcnt vmcnt(8)
	v_mfma_f32_16x16x16_bf16 v[6:9], v[2:3], v[18:19], v[6:9]
	v_mfma_f32_16x16x16_bf16 v[2:5], v[4:5], v[20:21], v[6:9]
	;; [unrolled: 3-line block ×3, first 2 shown]
	s_nop 3
	v_bfe_u32 v10, v3, 16, 1
	v_bfe_u32 v11, v2, 16, 1
	v_add3_u32 v2, v2, v11, s8
	s_waitcnt vmcnt(6)
	v_mfma_f32_16x16x16_bf16 v[6:9], v[38:39], v[66:67], v[6:9]
	v_add3_u32 v3, v3, v10, s8
	v_perm_b32 v10, v3, v2, s9
	v_bfe_u32 v2, v5, 16, 1
	v_mfma_f32_16x16x16_bf16 v[6:9], v[40:41], v[68:69], v[6:9]
	v_bfe_u32 v3, v4, 16, 1
	v_add3_u32 v3, v4, v3, s8
	v_add3_u32 v2, v5, v2, s8
	s_waitcnt vmcnt(5)
	v_mfma_f32_16x16x16_bf16 v[6:9], v[42:43], v[30:31], v[6:9]
	v_perm_b32 v11, v2, v3, s9
	v_mfma_f32_16x16x16_bf16 v[6:9], v[44:45], v[32:33], v[6:9]
	s_waitcnt vmcnt(4)
	v_mfma_f32_16x16x16_bf16 v[6:9], v[34:35], v[74:75], v[6:9]
	v_mfma_f32_16x16x16_bf16 v[6:9], v[36:37], v[76:77], v[6:9]
	s_waitcnt vmcnt(3)
	v_mfma_f32_16x16x16_bf16 v[6:9], v[58:59], v[22:23], v[6:9]
	;; [unrolled: 3-line block ×5, first 2 shown]
	v_mfma_f32_16x16x16_bf16 v[2:5], v[52:53], v[20:21], v[6:9]
	s_nop 6
	v_bfe_u32 v6, v3, 16, 1
	v_bfe_u32 v7, v2, 16, 1
	v_add3_u32 v2, v2, v7, s8
	v_add3_u32 v3, v3, v6, s8
	v_perm_b32 v2, v3, v2, s9
	v_bfe_u32 v3, v5, 16, 1
	v_bfe_u32 v6, v4, 16, 1
	v_add3_u32 v4, v4, v6, s8
	v_add3_u32 v3, v5, v3, s8
	v_perm_b32 v3, v3, v4, s9
	ds_write2st64_b64 v1, v[10:11], v[2:3] offset1:1
	s_waitcnt lgkmcnt(0)
	s_barrier
	s_and_saveexec_b64 s[4:5], vcc
	s_cbranch_execz .LBB741_22
; %bb.20:
	s_load_dwordx2 s[4:5], s[0:1], 0x68
	s_lshl_b32 s0, s6, 7
	s_mul_i32 s1, s7, s2
	v_lshlrev_b32_e32 v3, 6, v84
	s_mul_hi_u32 s7, s1, s0
	s_mul_i32 s6, s1, s0
	v_lshlrev_b32_e32 v2, 4, v0
	v_lshl_or_b32 v0, v0, 10, v3
	s_lshl_b64 s[6:7], s[6:7], 1
	v_lshlrev_b32_e32 v1, 5, v88
	v_and_b32_e32 v2, 16, v2
	v_and_b32_e32 v0, 0x1a00, v0
	s_waitcnt lgkmcnt(0)
	s_add_u32 s1, s4, s6
	v_or3_b32 v2, v0, v1, v2
	s_addc_u32 s4, s5, s7
	s_lshl_b32 s2, s26, 7
	ds_read_b128 v[4:7], v2 offset:256
	s_lshl_b64 s[2:3], s[2:3], 1
	ds_read_b128 v[8:11], v2 offset:128
	ds_read_b128 v[12:15], v2
	s_add_u32 s2, s1, s2
	s_addc_u32 s3, s4, s3
	v_add_u32_e32 v18, s40, v88
	v_lshl_add_u64 v[0:1], v[82:83], 1, s[2:3]
	v_mad_u64_u32 v[16:17], s[2:3], v18, s0, 0
	v_lshl_add_u64 v[16:17], v[16:17], 1, v[0:1]
	s_waitcnt lgkmcnt(0)
	global_store_dwordx4 v[16:17], v[12:15], off
	v_or_b32_e32 v3, 12, v88
	v_cmp_gt_u32_e32 vcc, 14, v3
	v_add_u32_e32 v12, 4, v18
	v_mad_u64_u32 v[12:13], s[2:3], v12, s0, 0
	v_lshl_add_u64 v[12:13], v[12:13], 1, v[0:1]
	global_store_dwordx4 v[12:13], v[8:11], off
	s_nop 1
	v_add_u32_e32 v8, 8, v18
	v_mad_u64_u32 v[8:9], s[2:3], v8, s0, 0
	v_lshl_add_u64 v[8:9], v[8:9], 1, v[0:1]
	global_store_dwordx4 v[8:9], v[4:7], off
	s_and_b64 exec, exec, vcc
	s_cbranch_execz .LBB741_22
; %bb.21:
	ds_read_b128 v[4:7], v2 offset:384
	v_add_u32_e32 v2, s40, v3
	v_mad_u64_u32 v[2:3], s[0:1], v2, s0, 0
	v_lshl_add_u64 v[0:1], v[2:3], 1, v[0:1]
	s_waitcnt lgkmcnt(0)
	global_store_dwordx4 v[0:1], v[4:7], off
.LBB741_22:
	s_endpgm
	.section	.rodata,"a",@progbits
	.p2align	6, 0x0
	.amdhsa_kernel _Z39paged_attention_ll4mi_QKV_mfma16_kernelI14__hip_bfloat16S0_LN4vllm18Fp8KVCacheDataTypeE0ES0_Li32ELi128ELi256ELb1ELi14EEvPKT_PKT0_S8_ifPKiSA_SA_iPKfiiiPfSD_PS3_PT2_iSC_SC_
		.amdhsa_group_segment_fixed_size 8192
		.amdhsa_private_segment_fixed_size 0
		.amdhsa_kernarg_size 400
		.amdhsa_user_sgpr_count 2
		.amdhsa_user_sgpr_dispatch_ptr 0
		.amdhsa_user_sgpr_queue_ptr 0
		.amdhsa_user_sgpr_kernarg_segment_ptr 1
		.amdhsa_user_sgpr_dispatch_id 0
		.amdhsa_user_sgpr_kernarg_preload_length 0
		.amdhsa_user_sgpr_kernarg_preload_offset 0
		.amdhsa_user_sgpr_private_segment_size 0
		.amdhsa_uses_dynamic_stack 0
		.amdhsa_enable_private_segment 0
		.amdhsa_system_sgpr_workgroup_id_x 1
		.amdhsa_system_sgpr_workgroup_id_y 1
		.amdhsa_system_sgpr_workgroup_id_z 1
		.amdhsa_system_sgpr_workgroup_info 0
		.amdhsa_system_vgpr_workitem_id 0
		.amdhsa_next_free_vgpr 96
		.amdhsa_next_free_sgpr 42
		.amdhsa_accum_offset 96
		.amdhsa_reserve_vcc 1
		.amdhsa_float_round_mode_32 0
		.amdhsa_float_round_mode_16_64 0
		.amdhsa_float_denorm_mode_32 3
		.amdhsa_float_denorm_mode_16_64 3
		.amdhsa_dx10_clamp 1
		.amdhsa_ieee_mode 1
		.amdhsa_fp16_overflow 0
		.amdhsa_tg_split 0
		.amdhsa_exception_fp_ieee_invalid_op 0
		.amdhsa_exception_fp_denorm_src 0
		.amdhsa_exception_fp_ieee_div_zero 0
		.amdhsa_exception_fp_ieee_overflow 0
		.amdhsa_exception_fp_ieee_underflow 0
		.amdhsa_exception_fp_ieee_inexact 0
		.amdhsa_exception_int_div_zero 0
	.end_amdhsa_kernel
	.section	.text._Z39paged_attention_ll4mi_QKV_mfma16_kernelI14__hip_bfloat16S0_LN4vllm18Fp8KVCacheDataTypeE0ES0_Li32ELi128ELi256ELb1ELi14EEvPKT_PKT0_S8_ifPKiSA_SA_iPKfiiiPfSD_PS3_PT2_iSC_SC_,"axG",@progbits,_Z39paged_attention_ll4mi_QKV_mfma16_kernelI14__hip_bfloat16S0_LN4vllm18Fp8KVCacheDataTypeE0ES0_Li32ELi128ELi256ELb1ELi14EEvPKT_PKT0_S8_ifPKiSA_SA_iPKfiiiPfSD_PS3_PT2_iSC_SC_,comdat
.Lfunc_end741:
	.size	_Z39paged_attention_ll4mi_QKV_mfma16_kernelI14__hip_bfloat16S0_LN4vllm18Fp8KVCacheDataTypeE0ES0_Li32ELi128ELi256ELb1ELi14EEvPKT_PKT0_S8_ifPKiSA_SA_iPKfiiiPfSD_PS3_PT2_iSC_SC_, .Lfunc_end741-_Z39paged_attention_ll4mi_QKV_mfma16_kernelI14__hip_bfloat16S0_LN4vllm18Fp8KVCacheDataTypeE0ES0_Li32ELi128ELi256ELb1ELi14EEvPKT_PKT0_S8_ifPKiSA_SA_iPKfiiiPfSD_PS3_PT2_iSC_SC_
                                        ; -- End function
	.section	.AMDGPU.csdata,"",@progbits
; Kernel info:
; codeLenInByte = 5232
; NumSgprs: 48
; NumVgprs: 96
; NumAgprs: 0
; TotalNumVgprs: 96
; ScratchSize: 0
; MemoryBound: 0
; FloatMode: 240
; IeeeMode: 1
; LDSByteSize: 8192 bytes/workgroup (compile time only)
; SGPRBlocks: 5
; VGPRBlocks: 11
; NumSGPRsForWavesPerEU: 48
; NumVGPRsForWavesPerEU: 96
; AccumOffset: 96
; Occupancy: 5
; WaveLimiterHint : 1
; COMPUTE_PGM_RSRC2:SCRATCH_EN: 0
; COMPUTE_PGM_RSRC2:USER_SGPR: 2
; COMPUTE_PGM_RSRC2:TRAP_HANDLER: 0
; COMPUTE_PGM_RSRC2:TGID_X_EN: 1
; COMPUTE_PGM_RSRC2:TGID_Y_EN: 1
; COMPUTE_PGM_RSRC2:TGID_Z_EN: 1
; COMPUTE_PGM_RSRC2:TIDIG_COMP_CNT: 0
; COMPUTE_PGM_RSRC3_GFX90A:ACCUM_OFFSET: 23
; COMPUTE_PGM_RSRC3_GFX90A:TG_SPLIT: 0
	.section	.text._Z39paged_attention_ll4mi_QKV_mfma16_kernelI14__hip_bfloat16S0_LN4vllm18Fp8KVCacheDataTypeE0ES0_Li32ELi128ELi256ELb1ELi15EEvPKT_PKT0_S8_ifPKiSA_SA_iPKfiiiPfSD_PS3_PT2_iSC_SC_,"axG",@progbits,_Z39paged_attention_ll4mi_QKV_mfma16_kernelI14__hip_bfloat16S0_LN4vllm18Fp8KVCacheDataTypeE0ES0_Li32ELi128ELi256ELb1ELi15EEvPKT_PKT0_S8_ifPKiSA_SA_iPKfiiiPfSD_PS3_PT2_iSC_SC_,comdat
	.protected	_Z39paged_attention_ll4mi_QKV_mfma16_kernelI14__hip_bfloat16S0_LN4vllm18Fp8KVCacheDataTypeE0ES0_Li32ELi128ELi256ELb1ELi15EEvPKT_PKT0_S8_ifPKiSA_SA_iPKfiiiPfSD_PS3_PT2_iSC_SC_ ; -- Begin function _Z39paged_attention_ll4mi_QKV_mfma16_kernelI14__hip_bfloat16S0_LN4vllm18Fp8KVCacheDataTypeE0ES0_Li32ELi128ELi256ELb1ELi15EEvPKT_PKT0_S8_ifPKiSA_SA_iPKfiiiPfSD_PS3_PT2_iSC_SC_
	.globl	_Z39paged_attention_ll4mi_QKV_mfma16_kernelI14__hip_bfloat16S0_LN4vllm18Fp8KVCacheDataTypeE0ES0_Li32ELi128ELi256ELb1ELi15EEvPKT_PKT0_S8_ifPKiSA_SA_iPKfiiiPfSD_PS3_PT2_iSC_SC_
	.p2align	8
	.type	_Z39paged_attention_ll4mi_QKV_mfma16_kernelI14__hip_bfloat16S0_LN4vllm18Fp8KVCacheDataTypeE0ES0_Li32ELi128ELi256ELb1ELi15EEvPKT_PKT0_S8_ifPKiSA_SA_iPKfiiiPfSD_PS3_PT2_iSC_SC_,@function
_Z39paged_attention_ll4mi_QKV_mfma16_kernelI14__hip_bfloat16S0_LN4vllm18Fp8KVCacheDataTypeE0ES0_Li32ELi128ELi256ELb1ELi15EEvPKT_PKT0_S8_ifPKiSA_SA_iPKfiiiPfSD_PS3_PT2_iSC_SC_: ; @_Z39paged_attention_ll4mi_QKV_mfma16_kernelI14__hip_bfloat16S0_LN4vllm18Fp8KVCacheDataTypeE0ES0_Li32ELi128ELi256ELb1ELi15EEvPKT_PKT0_S8_ifPKiSA_SA_iPKfiiiPfSD_PS3_PT2_iSC_SC_
; %bb.0:
	s_load_dwordx2 s[8:9], s[0:1], 0x30
	s_mov_b32 s26, s3
	s_mov_b64 s[6:7], 0
	s_waitcnt lgkmcnt(0)
	s_cmp_lg_u64 s[8:9], 0
	s_cselect_b64 s[10:11], -1, 0
	s_and_b64 vcc, exec, s[10:11]
	s_cbranch_vccz .LBB742_7
; %bb.1:
	s_add_i32 s12, s2, 1
	s_mov_b32 s13, 0
	s_lshl_b64 s[14:15], s[12:13], 2
	s_add_u32 s14, s8, s14
	s_mov_b32 s3, s13
	s_addc_u32 s15, s9, s15
	s_lshl_b64 s[12:13], s[2:3], 2
	s_add_u32 s12, s8, s12
	s_addc_u32 s13, s9, s13
	s_load_dword s5, s[14:15], 0x0
	s_load_dword s16, s[12:13], 0x0
	s_waitcnt lgkmcnt(0)
	s_sub_i32 s5, s5, s16
	s_cmp_eq_u32 s5, 1
	s_cselect_b64 s[12:13], -1, 0
	s_andn2_b64 vcc, exec, s[6:7]
	s_cbranch_vccnz .LBB742_3
.LBB742_2:
	s_mov_b32 s3, 0
	s_mov_b64 s[12:13], -1
.LBB742_3:
	s_andn2_b64 vcc, exec, s[12:13]
	s_cbranch_vccnz .LBB742_22
; %bb.4:
	s_load_dwordx2 s[6:7], s[0:1], 0x28
	s_lshl_b64 s[12:13], s[2:3], 2
	s_waitcnt lgkmcnt(0)
	s_add_u32 s6, s6, s12
	s_addc_u32 s7, s7, s13
	s_load_dword s27, s[6:7], 0x0
	s_lshl_b32 s18, s26, 8
	s_waitcnt lgkmcnt(0)
	s_cmp_ge_i32 s18, s27
	s_cbranch_scc1 .LBB742_22
; %bb.5:
	s_load_dwordx2 s[6:7], s[0:1], 0x20
	s_load_dword s5, s[0:1], 0x38
	s_add_i32 s14, s27, 31
	s_ashr_i32 s15, s14, 31
	v_and_b32_e32 v1, 0xcf, v0
	s_lshr_b32 s15, s15, 27
	v_add_u32_e32 v1, s18, v1
	s_add_i32 s14, s14, s15
	v_ashrrev_i32_e32 v2, 31, v1
	s_ashr_i32 s19, s14, 5
	v_lshrrev_b32_e32 v4, 27, v2
	s_add_i32 s19, s19, -1
	s_waitcnt lgkmcnt(0)
	s_mul_i32 s14, s2, s5
	s_mov_b32 s15, 0
	v_add_u32_e32 v2, v1, v4
	s_lshl_b64 s[14:15], s[14:15], 2
	v_ashrrev_i32_e32 v2, 5, v2
	v_mov_b32_e32 v5, s19
	v_cmp_gt_i32_e32 vcc, s27, v1
	s_add_u32 s6, s6, s14
	s_addc_u32 s7, s7, s15
	v_cndmask_b32_e32 v2, v5, v2, vcc
	v_ashrrev_i32_e32 v3, 31, v2
	v_lshl_add_u64 v[6:7], v[2:3], 2, s[6:7]
	v_or_b32_e32 v2, 16, v1
	v_add_u32_e32 v3, v2, v4
	v_ashrrev_i32_e32 v3, 5, v3
	v_cmp_gt_i32_e32 vcc, s27, v2
	s_nop 1
	v_cndmask_b32_e32 v2, v5, v3, vcc
	v_ashrrev_i32_e32 v3, 31, v2
	v_lshl_add_u64 v[8:9], v[2:3], 2, s[6:7]
	v_or_b32_e32 v2, 32, v1
	v_add_u32_e32 v3, v2, v4
	v_ashrrev_i32_e32 v3, 5, v3
	v_cmp_gt_i32_e32 vcc, s27, v2
	v_or_b32_e32 v1, 48, v1
	s_nop 0
	v_cndmask_b32_e32 v2, v5, v3, vcc
	v_ashrrev_i32_e32 v3, 31, v2
	v_lshl_add_u64 v[10:11], v[2:3], 2, s[6:7]
	v_add_u32_e32 v2, v1, v4
	v_ashrrev_i32_e32 v2, 5, v2
	v_cmp_gt_i32_e32 vcc, s27, v1
	s_nop 1
	v_cndmask_b32_e32 v2, v5, v2, vcc
	v_ashrrev_i32_e32 v3, 31, v2
	v_lshl_add_u64 v[12:13], v[2:3], 2, s[6:7]
	global_load_dword v5, v[6:7], off
	global_load_dword v4, v[8:9], off
	;; [unrolled: 1-line block ×4, first 2 shown]
	s_andn2_b64 vcc, exec, s[10:11]
	s_cbranch_vccnz .LBB742_8
; %bb.6:
	s_add_u32 s8, s8, s12
	s_addc_u32 s9, s9, s13
	s_load_dword s5, s[8:9], 0x0
	s_branch .LBB742_9
.LBB742_7:
	s_mov_b64 s[12:13], 0
	s_branch .LBB742_2
.LBB742_8:
	s_mov_b32 s5, s2
.LBB742_9:
	s_load_dwordx2 s[14:15], s[0:1], 0x8
	s_load_dwordx4 s[8:11], s[0:1], 0x48
	v_lshrrev_b32_e32 v88, 6, v0
	v_bfe_u32 v1, v0, 4, 2
	v_lshl_or_b32 v6, v88, 2, v1
	v_and_b32_e32 v84, 15, v0
	v_lshlrev_b32_e32 v82, 3, v84
	v_cmp_lt_u32_e32 vcc, 14, v6
	s_and_saveexec_b64 s[12:13], vcc
	s_xor_b64 s[12:13], exec, s[12:13]
; %bb.10:
	v_mov_b32_e32 v83, 0
                                        ; implicit-def: $vgpr6
; %bb.11:
	s_or_saveexec_b64 s[16:17], s[12:13]
	s_load_dwordx2 s[12:13], s[0:1], 0x10
	s_mul_i32 s40, s4, 15
	s_xor_b64 exec, exec, s[16:17]
	s_cbranch_execz .LBB742_13
; %bb.12:
	s_load_dwordx2 s[20:21], s[0:1], 0x0
	s_waitcnt lgkmcnt(0)
	s_ashr_i32 s11, s8, 31
	s_mul_hi_u32 s22, s5, s8
	s_mul_i32 s11, s5, s11
	s_add_i32 s23, s22, s11
	s_mul_i32 s22, s5, s8
	s_lshl_b64 s[22:23], s[22:23], 1
	s_add_u32 s20, s20, s22
	v_add_lshl_u32 v8, v6, s40, 7
	s_addc_u32 s21, s21, s23
	v_ashrrev_i32_e32 v9, 31, v8
	v_mov_b32_e32 v83, 0
	v_lshl_add_u64 v[8:9], v[8:9], 1, s[20:21]
	v_lshlrev_b32_e32 v10, 1, v82
	v_mov_b32_e32 v11, v83
	v_lshl_add_u64 v[8:9], v[8:9], 0, v[10:11]
	global_load_dwordx4 v[8:11], v[8:9], off
	v_and_b32_e32 v7, 3, v0
	v_lshlrev_b32_e32 v12, 9, v84
	v_lshlrev_b32_e32 v6, 5, v6
	;; [unrolled: 1-line block ×3, first 2 shown]
	v_and_b32_e32 v12, 0x1800, v12
	v_or3_b32 v6, v12, v7, v6
	s_waitcnt vmcnt(0)
	ds_write_b128 v6, v[8:11]
.LBB742_13:
	s_or_b64 exec, exec, s[16:17]
	s_waitcnt lgkmcnt(0)
	s_mov_b32 s5, 0
	s_mul_i32 s4, s4, s10
	s_lshl_b64 s[4:5], s[4:5], 1
	s_add_u32 s10, s14, s4
	s_addc_u32 s11, s15, s5
	s_waitcnt vmcnt(3)
	v_mad_i64_i32 v[6:7], s[14:15], v5, s9, 0
	v_lshl_add_u64 v[6:7], v[6:7], 1, s[10:11]
	v_lshlrev_b64 v[8:9], 1, v[82:83]
	v_mov_b32_e32 v87, 0
	v_lshlrev_b32_e32 v86, 9, v1
	v_lshl_add_u64 v[6:7], v[6:7], 0, v[8:9]
	v_lshl_add_u64 v[10:11], v[6:7], 0, v[86:87]
	v_or_b32_e32 v14, 0x1000, v86
	v_mov_b32_e32 v15, v87
	v_or_b32_e32 v16, 0x1800, v86
	v_mov_b32_e32 v17, v87
	s_barrier
	global_load_dwordx4 v[66:69], v[10:11], off
	global_load_dwordx4 v[62:65], v[10:11], off offset:2048
	v_lshl_add_u64 v[10:11], v[6:7], 0, v[14:15]
	v_lshl_add_u64 v[6:7], v[6:7], 0, v[16:17]
	global_load_dwordx4 v[78:81], v[10:11], off
	global_load_dwordx4 v[74:77], v[6:7], off
	s_waitcnt vmcnt(6)
	v_mad_i64_i32 v[4:5], s[14:15], v4, s9, 0
	v_mov_b32_e32 v6, 0x100
	v_lshl_add_u64 v[4:5], v[4:5], 1, s[10:11]
	v_lshl_or_b32 v6, v84, 4, v6
	v_mov_b32_e32 v7, v87
	v_lshl_add_u64 v[4:5], v[4:5], 0, v[6:7]
	v_lshl_add_u64 v[10:11], v[4:5], 0, v[86:87]
	global_load_dwordx4 v[70:73], v[10:11], off
	global_load_dwordx4 v[58:61], v[10:11], off offset:2048
	v_lshl_add_u64 v[10:11], v[4:5], 0, v[14:15]
	v_lshl_add_u64 v[4:5], v[4:5], 0, v[16:17]
	global_load_dwordx4 v[54:57], v[10:11], off
	global_load_dwordx4 v[30:33], v[4:5], off
	s_waitcnt vmcnt(9)
	v_mad_i64_i32 v[4:5], s[14:15], v3, s9, 0
	v_lshl_add_u64 v[4:5], v[4:5], 1, s[10:11]
	s_waitcnt vmcnt(8)
	v_mad_i64_i32 v[2:3], s[14:15], v2, s9, 0
	v_lshl_add_u64 v[4:5], v[4:5], 0, v[8:9]
	v_lshl_add_u64 v[2:3], v[2:3], 1, s[10:11]
	;; [unrolled: 1-line block ×4, first 2 shown]
	global_load_dwordx4 v[26:29], v[8:9], off
	global_load_dwordx4 v[22:25], v[8:9], off offset:2048
	v_lshl_add_u64 v[8:9], v[4:5], 0, v[14:15]
	v_lshl_add_u64 v[4:5], v[4:5], 0, v[16:17]
	;; [unrolled: 1-line block ×4, first 2 shown]
	global_load_dwordx4 v[18:21], v[8:9], off
	global_load_dwordx4 v[10:13], v[4:5], off
	s_nop 0
	global_load_dwordx4 v[6:9], v[2:3], off
	s_nop 0
	global_load_dwordx4 v[2:5], v[2:3], off offset:2048
	v_lshl_add_u64 v[16:17], v[34:35], 0, v[16:17]
	global_load_dwordx4 v[42:45], v[14:15], off
	global_load_dwordx4 v[34:37], v[16:17], off
	v_cmp_ne_u32_e32 vcc, 15, v84
	v_and_b32_e32 v85, 63, v0
	v_mov_b32_e32 v89, 0
	v_cndmask_b32_e32 v14, 0, v84, vcc
	v_lshl_or_b32 v38, v14, 5, v86
	ds_read_b128 v[14:17], v38
	ds_read_b128 v[50:53], v38 offset:2048
	ds_read_b128 v[46:49], v38 offset:4096
	;; [unrolled: 1-line block ×3, first 2 shown]
	s_and_saveexec_b64 s[10:11], vcc
	s_cbranch_execz .LBB742_15
; %bb.14:
	s_load_dwordx2 s[14:15], s[0:1], 0x40
	v_add_u32_e32 v90, s40, v84
	v_ashrrev_i32_e32 v91, 31, v90
	s_waitcnt lgkmcnt(0)
	v_lshl_add_u64 v[90:91], v[90:91], 2, s[14:15]
	global_load_dword v89, v[90:91], off
.LBB742_15:
	s_or_b64 exec, exec, s[10:11]
	s_waitcnt vmcnt(15) lgkmcnt(3)
	v_mfma_f32_16x16x16_bf16 v[90:93], v[66:67], v[14:15], 0
	s_ashr_i32 s8, s18, 31
	s_lshr_b32 s8, s8, 27
	s_add_u32 s4, s12, s4
	v_mfma_f32_16x16x16_bf16 v[66:69], v[68:69], v[16:17], v[90:93]
	s_addc_u32 s5, s13, s5
	s_mov_b32 s33, 0xff7fffff
	s_waitcnt vmcnt(14) lgkmcnt(2)
	v_mfma_f32_16x16x16_bf16 v[66:69], v[62:63], v[50:51], v[66:69]
	v_lshl_or_b32 v90, v88, 4, v84
	v_mfma_f32_16x16x16_bf16 v[62:65], v[64:65], v[52:53], v[66:69]
	s_waitcnt vmcnt(13) lgkmcnt(1)
	v_mfma_f32_16x16x16_bf16 v[62:65], v[78:79], v[46:47], v[62:65]
	v_mfma_f32_16x16x16_bf16 v[62:65], v[80:81], v[48:49], v[62:65]
	s_waitcnt vmcnt(12) lgkmcnt(0)
	v_mfma_f32_16x16x16_bf16 v[62:65], v[74:75], v[38:39], v[62:65]
	v_and_or_b32 v74, v0, 48, s18
	v_add_u32_e32 v66, s8, v74
	v_ashrrev_i32_e32 v75, 5, v66
	s_waitcnt vmcnt(11)
	v_mfma_f32_16x16x16_bf16 v[66:69], v[70:71], v[14:15], 0
	v_cmp_gt_i32_e32 vcc, s27, v74
	v_mfma_f32_16x16x16_bf16 v[66:69], v[72:73], v[16:17], v[66:69]
	v_or_b32_e32 v72, 64, v74
	v_add_u32_e32 v73, s8, v72
	s_waitcnt vmcnt(10)
	v_mfma_f32_16x16x16_bf16 v[66:69], v[58:59], v[50:51], v[66:69]
	v_ashrrev_i32_e32 v58, 5, v73
	v_mfma_f32_16x16x16_bf16 v[62:65], v[76:77], v[40:41], v[62:65]
	v_mov_b32_e32 v76, s19
	v_cndmask_b32_e32 v70, v76, v75, vcc
	v_cmp_gt_i32_e32 vcc, s27, v72
	v_ashrrev_i32_e32 v71, 31, v70
	v_lshl_add_u64 v[70:71], v[70:71], 2, s[6:7]
	v_cndmask_b32_e32 v72, v76, v58, vcc
	v_mfma_f32_16x16x16_bf16 v[58:61], v[60:61], v[52:53], v[66:69]
	v_ashrrev_i32_e32 v73, 31, v72
	s_waitcnt vmcnt(9)
	v_mfma_f32_16x16x16_bf16 v[58:61], v[54:55], v[46:47], v[58:61]
	v_lshl_add_u64 v[66:67], v[72:73], 2, s[6:7]
	global_load_dword v68, v[70:71], off
	s_nop 0
	global_load_dword v66, v[66:67], off
	v_or_b32_e32 v67, 0x80, v74
	v_add_u32_e32 v69, s8, v67
	v_mfma_f32_16x16x16_bf16 v[54:57], v[56:57], v[48:49], v[58:61]
	v_cmp_gt_i32_e32 vcc, s27, v67
	s_nop 1
	v_ashrrev_i32_e32 v58, 5, v69
	v_cndmask_b32_e32 v58, v76, v58, vcc
	v_ashrrev_i32_e32 v59, 31, v58
	s_waitcnt vmcnt(10)
	v_mfma_f32_16x16x16_bf16 v[54:57], v[30:31], v[38:39], v[54:57]
	v_lshl_add_u64 v[30:31], v[58:59], 2, s[6:7]
	global_load_dword v70, v[30:31], off
	v_mfma_f32_16x16x16_bf16 v[58:61], v[32:33], v[40:41], v[54:57]
	s_nop 3
	v_or_b32_e32 v54, 0xc0, v74
	v_add_u32_e32 v30, s8, v54
	v_ashrrev_i32_e32 v55, 5, v30
	v_cmp_gt_i32_e32 vcc, s27, v54
	s_waitcnt vmcnt(10)
	v_mfma_f32_16x16x16_bf16 v[30:33], v[26:27], v[14:15], 0
	v_cndmask_b32_e32 v26, v76, v55, vcc
	v_ashrrev_i32_e32 v27, 31, v26
	v_lshl_add_u64 v[54:55], v[26:27], 2, s[6:7]
	global_load_dword v71, v[54:55], off
	v_mfma_f32_16x16x16_bf16 v[26:29], v[28:29], v[16:17], v[30:33]
	s_load_dword s6, s[0:1], 0x1c
	s_waitcnt vmcnt(10)
	v_mfma_f32_16x16x16_bf16 v[26:29], v[22:23], v[50:51], v[26:29]
	v_and_b32_e32 v30, 16, v0
	v_lshlrev_b32_e32 v86, 1, v30
	v_lshl_add_u64 v[74:75], s[4:5], 0, v[86:87]
	v_mfma_f32_16x16x16_bf16 v[22:25], v[24:25], v[52:53], v[26:29]
	v_lshlrev_b32_e32 v86, 6, v90
	v_lshl_add_u64 v[76:77], v[74:75], 0, v[86:87]
	v_or_b32_e32 v86, 0x1000, v86
	s_waitcnt vmcnt(9)
	v_mfma_f32_16x16x16_bf16 v[22:25], v[18:19], v[46:47], v[22:25]
	v_lshl_add_u64 v[80:81], v[74:75], 0, v[86:87]
	s_waitcnt lgkmcnt(0)
	v_pk_mul_f32 v[74:75], s[6:7], v[60:61] op_sel_hi:[0,1]
	v_mfma_f32_16x16x16_bf16 v[18:21], v[20:21], v[48:49], v[22:25]
	s_waitcnt vmcnt(8)
	v_mfma_f32_16x16x16_bf16 v[18:21], v[10:11], v[38:39], v[18:21]
	s_waitcnt vmcnt(3)
	v_mad_i64_i32 v[22:23], s[4:5], v68, s9, 0
	s_waitcnt vmcnt(2)
	v_mad_i64_i32 v[10:11], s[4:5], v66, s9, 0
	v_lshlrev_b64 v[78:79], 1, v[22:23]
	v_lshlrev_b64 v[54:55], 1, v[10:11]
	v_lshl_add_u64 v[22:23], v[76:77], 0, v[78:79]
	v_lshl_add_u64 v[10:11], v[76:77], 0, v[54:55]
	global_load_dwordx4 v[30:33], v[22:23], off
	global_load_dwordx4 v[26:29], v[22:23], off offset:16
	v_mfma_f32_16x16x16_bf16 v[66:69], v[12:13], v[40:41], v[18:21]
	global_load_dwordx4 v[22:25], v[10:11], off
	s_nop 1
	global_load_dwordx4 v[18:21], v[10:11], off offset:16
	v_mfma_f32_16x16x16_bf16 v[10:13], v[6:7], v[14:15], 0
	s_waitcnt vmcnt(5)
	v_mad_i64_i32 v[6:7], s[4:5], v70, s9, 0
	v_lshlrev_b64 v[56:57], 1, v[6:7]
	v_mfma_f32_16x16x16_bf16 v[6:9], v[8:9], v[16:17], v[10:13]
	v_mfma_f32_16x16x16_bf16 v[6:9], v[2:3], v[50:51], v[6:9]
	s_nop 1
	v_lshl_add_u64 v[10:11], v[76:77], 0, v[56:57]
	global_load_dwordx4 v[14:17], v[10:11], off
	s_nop 0
	global_load_dwordx4 v[10:13], v[10:11], off offset:16
	s_waitcnt vmcnt(6)
	v_mad_i64_i32 v[2:3], s[4:5], v71, s9, 0
	v_mfma_f32_16x16x16_bf16 v[70:73], v[4:5], v[52:53], v[6:9]
	v_pk_mul_f32 v[52:53], s[6:7], v[62:63] op_sel_hi:[0,1]
	v_lshlrev_b64 v[50:51], 1, v[2:3]
	v_lshl_add_u64 v[2:3], v[76:77], 0, v[50:51]
	v_mfma_f32_16x16x16_bf16 v[70:73], v[42:43], v[46:47], v[70:73]
	v_lshl_add_u64 v[42:43], v[80:81], 0, v[78:79]
	v_pk_mul_f32 v[78:79], s[6:7], v[64:65] op_sel_hi:[0,1]
	v_pk_mul_f32 v[76:77], s[6:7], v[58:59] op_sel_hi:[0,1]
	v_mfma_f32_16x16x16_bf16 v[44:47], v[44:45], v[48:49], v[70:73]
	v_lshl_add_u64 v[50:51], v[80:81], 0, v[50:51]
	global_load_dwordx4 v[6:9], v[2:3], off
	s_nop 0
	global_load_dwordx4 v[2:5], v[2:3], off offset:16
	v_pk_mul_f32 v[70:71], s[6:7], v[68:69] op_sel_hi:[0,1]
	v_mfma_f32_16x16x16_bf16 v[44:47], v[34:35], v[38:39], v[44:47]
	v_pk_mul_f32 v[72:73], s[6:7], v[66:67] op_sel_hi:[0,1]
	v_mfma_f32_16x16x16_bf16 v[34:37], v[36:37], v[40:41], v[44:47]
	s_nop 6
	v_pk_mul_f32 v[68:69], s[6:7], v[34:35] op_sel_hi:[0,1]
	v_and_b32_e32 v34, 0xc0, v0
	v_add_u32_e32 v34, s18, v34
	v_lshl_or_b32 v34, v1, 2, v34
	v_or_b32_e32 v35, 1, v34
	v_pk_mul_f32 v[66:67], s[6:7], v[36:37] op_sel_hi:[0,1]
	v_subrev_u32_e32 v36, s27, v35
	v_add_u32_e32 v38, 1, v36
	v_add_u32_e32 v39, 2, v36
	v_cvt_f32_i32_e32 v37, v36
	v_cvt_f32_i32_e32 v38, v38
	;; [unrolled: 1-line block ×3, first 2 shown]
	v_add_u32_e32 v40, 3, v36
	v_fma_f32 v52, v89, v37, v52
	v_fmac_f32_e32 v53, v89, v38
	v_fma_f32 v78, v89, v39, v78
	v_add_u32_e32 v37, 16, v36
	v_add_u32_e32 v38, 17, v36
	v_add_u32_e32 v39, 18, v36
	v_cvt_f32_i32_e32 v40, v40
	v_cvt_f32_i32_e32 v37, v37
	;; [unrolled: 1-line block ×4, first 2 shown]
	v_fmac_f32_e32 v79, v89, v40
	v_add_u32_e32 v40, 19, v36
	v_fma_f32 v76, v89, v37, v76
	v_fmac_f32_e32 v77, v89, v38
	v_fma_f32 v74, v89, v39, v74
	v_add_u32_e32 v37, 32, v36
	v_add_u32_e32 v38, 33, v36
	;; [unrolled: 1-line block ×3, first 2 shown]
	v_cvt_f32_i32_e32 v40, v40
	v_cvt_f32_i32_e32 v37, v37
	;; [unrolled: 1-line block ×4, first 2 shown]
	v_fmac_f32_e32 v75, v89, v40
	v_add_u32_e32 v40, 35, v36
	v_fma_f32 v72, v89, v37, v72
	v_fmac_f32_e32 v73, v89, v38
	v_fma_f32 v70, v89, v39, v70
	v_add_u32_e32 v37, 48, v36
	v_add_u32_e32 v38, 49, v36
	;; [unrolled: 1-line block ×4, first 2 shown]
	v_cvt_f32_i32_e32 v36, v36
	v_cvt_f32_i32_e32 v37, v37
	;; [unrolled: 1-line block ×3, first 2 shown]
	v_cmp_gt_i32_e64 s[28:29], s27, v34
	v_fmac_f32_e32 v67, v89, v36
	v_mov_b32_e32 v36, 0xff7fffff
	v_cmp_gt_i32_e64 s[30:31], s27, v35
	v_fma_f32 v68, v89, v37, v68
	v_cndmask_b32_e64 v37, v36, v52, s[28:29]
	v_cndmask_b32_e64 v35, v36, v53, s[30:31]
	v_fmac_f32_e32 v69, v89, v38
	v_max3_f32 v35, v37, s33, v35
	v_or_b32_e32 v37, 2, v34
	v_or_b32_e32 v38, 3, v34
	v_cmp_gt_i32_e64 s[34:35], s27, v37
	v_cmp_gt_i32_e64 s[36:37], s27, v38
	v_cvt_f32_i32_e32 v40, v40
	v_cndmask_b32_e64 v37, v36, v78, s[34:35]
	v_cndmask_b32_e64 v38, v36, v79, s[36:37]
	v_max3_f32 v35, v35, v37, v38
	v_or_b32_e32 v37, 16, v34
	v_or_b32_e32 v38, 17, v34
	v_cmp_gt_i32_e64 s[22:23], s27, v37
	v_cmp_gt_i32_e64 s[24:25], s27, v38
	v_fmac_f32_e32 v71, v89, v40
	v_cndmask_b32_e64 v37, v36, v76, s[22:23]
	v_cndmask_b32_e64 v38, v36, v77, s[24:25]
	v_max3_f32 v35, v35, v37, v38
	v_or_b32_e32 v37, 18, v34
	v_or_b32_e32 v38, 19, v34
	v_cmp_gt_i32_e64 s[18:19], s27, v37
	v_cmp_gt_i32_e64 s[20:21], s27, v38
	v_cvt_f32_i32_e32 v39, v39
	v_cndmask_b32_e64 v37, v36, v74, s[18:19]
	v_cndmask_b32_e64 v38, v36, v75, s[20:21]
	v_max3_f32 v35, v35, v37, v38
	v_or_b32_e32 v37, 32, v34
	v_or_b32_e32 v38, 33, v34
	v_cmp_gt_i32_e64 s[14:15], s27, v37
	v_cmp_gt_i32_e64 s[16:17], s27, v38
	v_fma_f32 v66, v89, v39, v66
	v_cndmask_b32_e64 v37, v36, v72, s[14:15]
	v_cndmask_b32_e64 v38, v36, v73, s[16:17]
	v_max3_f32 v35, v35, v37, v38
	v_or_b32_e32 v37, 34, v34
	v_or_b32_e32 v38, 35, v34
	v_cmp_gt_i32_e64 s[10:11], s27, v37
	v_cmp_gt_i32_e64 s[12:13], s27, v38
	s_nop 0
	v_cndmask_b32_e64 v37, v36, v70, s[10:11]
	v_cndmask_b32_e64 v38, v36, v71, s[12:13]
	v_max3_f32 v35, v35, v37, v38
	v_or_b32_e32 v37, 48, v34
	v_or_b32_e32 v38, 49, v34
	v_cmp_gt_i32_e64 s[6:7], s27, v37
	v_cmp_gt_i32_e64 s[8:9], s27, v38
	s_nop 0
	v_cndmask_b32_e64 v37, v36, v68, s[6:7]
	v_cndmask_b32_e64 v38, v36, v69, s[8:9]
	v_max3_f32 v35, v35, v37, v38
	v_or_b32_e32 v37, 50, v34
	v_or_b32_e32 v34, 51, v34
	v_cmp_gt_i32_e32 vcc, s27, v37
	v_cmp_gt_i32_e64 s[4:5], s27, v34
	global_load_dwordx4 v[46:49], v[42:43], off
	global_load_dwordx4 v[38:41], v[42:43], off offset:16
	v_cndmask_b32_e32 v37, v36, v66, vcc
	v_cndmask_b32_e64 v34, v36, v67, s[4:5]
	v_max3_f32 v58, v35, v37, v34
	v_mbcnt_lo_u32_b32 v34, -1, 0
	v_mbcnt_hi_u32_b32 v59, -1, v34
	v_and_b32_e32 v34, 64, v59
	v_add_u32_e32 v60, 64, v34
	v_xor_b32_e32 v34, 32, v59
	v_cmp_lt_i32_e64 s[38:39], v34, v60
	s_nop 1
	v_cndmask_b32_e64 v34, v59, v34, s[38:39]
	v_lshlrev_b32_e32 v87, 2, v34
	ds_bpermute_b32 v61, v87, v58
	v_lshl_add_u64 v[34:35], v[80:81], 0, v[54:55]
	global_load_dwordx4 v[42:45], v[34:35], off
	s_nop 0
	global_load_dwordx4 v[34:37], v[34:35], off offset:16
	s_waitcnt lgkmcnt(0)
	v_max_f32_e32 v54, v61, v61
	v_max_f32_e32 v62, v58, v54
	v_xor_b32_e32 v54, 16, v59
	v_cmp_lt_i32_e64 s[38:39], v54, v60
	s_nop 1
	v_cndmask_b32_e64 v54, v59, v54, s[38:39]
	v_lshlrev_b32_e32 v89, 2, v54
	ds_bpermute_b32 v63, v89, v62
	v_lshl_add_u64 v[54:55], v[80:81], 0, v[56:57]
	global_load_dwordx4 v[58:61], v[54:55], off
	s_nop 0
	global_load_dwordx4 v[54:57], v[54:55], off offset:16
	s_waitcnt lgkmcnt(0)
	v_max_f32_e32 v63, v63, v63
	v_max_f32_e32 v86, v62, v63
	v_sub_f32_e32 v52, v52, v86
	v_mul_f32_e32 v52, 0x3fb8aa3b, v52
	v_exp_f32_e32 v80, v52
	v_sub_f32_e32 v52, v53, v86
	v_mul_f32_e32 v52, 0x3fb8aa3b, v52
	v_exp_f32_e32 v81, v52
	global_load_dwordx4 v[62:65], v[50:51], off
	s_nop 0
	global_load_dwordx4 v[50:53], v[50:51], off offset:16
	v_sub_f32_e32 v78, v78, v86
	v_mul_f32_e32 v78, 0x3fb8aa3b, v78
	v_sub_f32_e32 v79, v79, v86
	v_exp_f32_e32 v78, v78
	v_mul_f32_e32 v79, 0x3fb8aa3b, v79
	v_sub_f32_e32 v76, v76, v86
	v_exp_f32_e32 v79, v79
	v_mul_f32_e32 v76, 0x3fb8aa3b, v76
	v_sub_f32_e32 v77, v77, v86
	v_cndmask_b32_e64 v80, 0, v80, s[28:29]
	v_exp_f32_e32 v76, v76
	v_mul_f32_e32 v77, 0x3fb8aa3b, v77
	v_sub_f32_e32 v74, v74, v86
	v_add_f32_e32 v91, 0, v80
	v_cndmask_b32_e64 v81, 0, v81, s[30:31]
	v_exp_f32_e32 v77, v77
	v_mul_f32_e32 v74, 0x3fb8aa3b, v74
	v_sub_f32_e32 v75, v75, v86
	v_add_f32_e32 v91, v91, v81
	;; [unrolled: 5-line block ×10, first 2 shown]
	v_cndmask_b32_e64 v70, 0, v70, s[10:11]
	v_exp_f32_e32 v66, v66
	v_mul_f32_e32 v67, 0x3fb8aa3b, v67
	v_add_f32_e32 v91, v91, v70
	v_cndmask_b32_e64 v71, 0, v71, s[12:13]
	v_exp_f32_e32 v67, v67
	v_add_f32_e32 v91, v91, v71
	v_cndmask_b32_e64 v68, 0, v68, s[6:7]
	v_add_f32_e32 v91, v91, v68
	v_cndmask_b32_e64 v69, 0, v69, s[8:9]
	v_add_f32_e32 v91, v91, v69
	v_cndmask_b32_e32 v66, 0, v66, vcc
	v_add_f32_e32 v91, v91, v66
	v_cndmask_b32_e64 v67, 0, v67, s[4:5]
	v_add_f32_e32 v91, v91, v67
	ds_bpermute_b32 v87, v87, v91
	s_load_dword s7, s[0:1], 0x98
	v_cmp_gt_u32_e32 vcc, 16, v85
	s_waitcnt lgkmcnt(0)
	s_barrier
	v_add_f32_e32 v87, v91, v87
	ds_bpermute_b32 v89, v89, v87
	s_waitcnt lgkmcnt(0)
	s_and_saveexec_b64 s[4:5], vcc
	s_cbranch_execz .LBB742_17
; %bb.16:
	v_add_f32_e32 v85, v87, v89
	v_lshlrev_b32_e32 v87, 2, v90
	ds_write2st64_b32 v87, v86, v85 offset1:1
.LBB742_17:
	s_or_b64 exec, exec, s[4:5]
	v_lshlrev_b32_e32 v85, 2, v84
	s_load_dword s6, s[0:1], 0x94
	s_waitcnt lgkmcnt(0)
	s_barrier
	ds_read2_b32 v[90:91], v85 offset1:16
	ds_read2_b32 v[92:93], v85 offset0:32 offset1:48
	ds_read2_b32 v[94:95], v85 offset0:64 offset1:80
	s_movk_i32 s8, 0x7fff
	s_mov_b32 s9, 0x7060302
	s_waitcnt lgkmcnt(2)
	v_max3_f32 v86, v90, s33, v91
	s_waitcnt lgkmcnt(1)
	v_max3_f32 v86, v86, v92, v93
	v_sub_f32_e32 v87, v90, v86
	v_mul_f32_e32 v87, 0x3fb8aa3b, v87
	v_exp_f32_e32 v89, v87
	v_sub_f32_e32 v87, v91, v86
	v_mul_f32_e32 v87, 0x3fb8aa3b, v87
	v_exp_f32_e32 v88, v87
	v_sub_f32_e32 v87, v92, v86
	v_mul_f32_e32 v87, 0x3fb8aa3b, v87
	ds_read2_b32 v[90:91], v85 offset0:96 offset1:112
	v_sub_f32_e32 v85, v93, v86
	v_exp_f32_e32 v92, v87
	v_mul_f32_e32 v85, 0x3fb8aa3b, v85
	v_exp_f32_e32 v85, v85
	s_waitcnt lgkmcnt(1)
	v_fma_f32 v87, v89, v94, 0
	v_fmac_f32_e32 v87, v88, v95
	s_waitcnt lgkmcnt(0)
	v_fmac_f32_e32 v87, v92, v90
	v_fmac_f32_e32 v87, v85, v91
	v_add_f32_e32 v90, 0x358637bd, v87
	v_div_scale_f32 v91, s[4:5], v90, v90, 1.0
	v_rcp_f32_e32 v93, v91
	s_mul_i32 s7, s7, 15
	s_barrier
	v_fma_f32 v94, -v91, v93, 1.0
	v_fmac_f32_e32 v93, v94, v93
	v_div_scale_f32 v94, vcc, 1.0, v90, 1.0
	v_mul_f32_e32 v95, v94, v93
	v_fma_f32 v1, -v91, v95, v94
	v_fmac_f32_e32 v95, v1, v93
	v_fma_f32 v1, -v91, v95, v94
	v_lshrrev_b32_e32 v91, 6, v0
	v_div_fmas_f32 v1, v1, v93, v95
	v_cmp_eq_u32_e32 vcc, 1, v91
	v_div_fixup_f32 v1, v1, v90, 1.0
	s_nop 0
	v_cndmask_b32_e32 v88, v89, v88, vcc
	v_cmp_eq_u32_e32 vcc, 2, v91
	s_nop 1
	v_cndmask_b32_e32 v88, v88, v92, vcc
	v_cmp_eq_u32_e32 vcc, 3, v91
	s_nop 1
	v_cndmask_b32_e32 v85, v88, v85, vcc
	v_mul_f32_e32 v90, v85, v1
	v_pk_mul_f32 v[80:81], v[90:91], v[80:81] op_sel_hi:[0,1]
	v_bfe_u32 v1, v81, 16, 1
	v_bfe_u32 v85, v80, 16, 1
	v_pk_mul_f32 v[78:79], v[90:91], v[78:79] op_sel_hi:[0,1]
	v_add3_u32 v80, v80, v85, s8
	v_add3_u32 v1, v81, v1, s8
	v_perm_b32 v80, v1, v80, s9
	v_bfe_u32 v1, v79, 16, 1
	v_bfe_u32 v81, v78, 16, 1
	v_add3_u32 v78, v78, v81, s8
	v_add3_u32 v1, v79, v1, s8
	v_bfe_u32 v88, v0, 4, 2
	v_perm_b32 v81, v1, v78, s9
	v_lshlrev_b32_e32 v1, 3, v88
	v_lshlrev_b32_e32 v78, 5, v84
	;; [unrolled: 1-line block ×3, first 2 shown]
	v_pk_mul_f32 v[76:77], v[90:91], v[76:77] op_sel_hi:[0,1]
	v_or3_b32 v1, v79, v78, v1
	v_bfe_u32 v79, v77, 16, 1
	v_bfe_u32 v85, v76, 16, 1
	v_pk_mul_f32 v[74:75], v[90:91], v[74:75] op_sel_hi:[0,1]
	v_add3_u32 v76, v76, v85, s8
	v_add3_u32 v77, v77, v79, s8
	v_perm_b32 v76, v77, v76, s9
	v_bfe_u32 v77, v75, 16, 1
	v_bfe_u32 v79, v74, 16, 1
	v_add3_u32 v74, v74, v79, s8
	v_add3_u32 v75, v75, v77, s8
	v_pk_mul_f32 v[72:73], v[90:91], v[72:73] op_sel_hi:[0,1]
	v_perm_b32 v77, v75, v74, s9
	v_bfe_u32 v74, v73, 16, 1
	v_bfe_u32 v75, v72, 16, 1
	v_pk_mul_f32 v[70:71], v[90:91], v[70:71] op_sel_hi:[0,1]
	v_add3_u32 v72, v72, v75, s8
	v_add3_u32 v73, v73, v74, s8
	v_perm_b32 v72, v73, v72, s9
	v_bfe_u32 v73, v71, 16, 1
	v_bfe_u32 v74, v70, 16, 1
	v_add3_u32 v70, v70, v74, s8
	v_add3_u32 v71, v71, v73, s8
	v_pk_mul_f32 v[68:69], v[90:91], v[68:69] op_sel_hi:[0,1]
	v_perm_b32 v73, v71, v70, s9
	v_bfe_u32 v70, v69, 16, 1
	v_bfe_u32 v71, v68, 16, 1
	v_pk_mul_f32 v[66:67], v[90:91], v[66:67] op_sel_hi:[0,1]
	v_add3_u32 v68, v68, v71, s8
	v_add3_u32 v69, v69, v70, s8
	v_perm_b32 v68, v69, v68, s9
	v_bfe_u32 v69, v67, 16, 1
	v_bfe_u32 v70, v66, 16, 1
	v_add3_u32 v66, v66, v70, s8
	v_add3_u32 v67, v67, v69, s8
	v_perm_b32 v69, v67, v66, s9
	v_cmp_gt_u32_e32 vcc, 15, v0
	ds_write2st64_b64 v1, v[80:81], v[76:77] offset1:1
	ds_write2st64_b64 v1, v[72:73], v[68:69] offset0:2 offset1:3
	s_and_saveexec_b64 s[4:5], vcc
	s_cbranch_execz .LBB742_19
; %bb.18:
	s_mov_b32 s41, 0
	v_mov_b32_e32 v85, 0
	v_lshl_add_u64 v[66:67], s[40:41], 0, v[84:85]
	v_mov_b32_e32 v68, s7
	v_mad_u64_u32 v[66:67], s[10:11], s2, v68, v[66:67]
	s_mul_i32 s3, s3, s7
	v_mov_b32_e32 v68, s26
	v_mov_b32_e32 v69, v85
	s_load_dwordx4 s[12:15], s[0:1], 0x58
	v_add_u32_e32 v70, s3, v67
	v_mad_u64_u32 v[66:67], s[10:11], v66, s6, v[68:69]
	v_mov_b32_e32 v68, v67
	v_mad_u64_u32 v[68:69], s[10:11], v70, s6, v[68:69]
	v_mov_b32_e32 v67, v68
	v_lshlrev_b64 v[66:67], 2, v[66:67]
	s_waitcnt lgkmcnt(0)
	v_lshl_add_u64 v[68:69], s[14:15], 0, v[66:67]
	v_lshl_add_u64 v[66:67], s[12:13], 0, v[66:67]
	global_store_dword v[68:69], v86, off
	global_store_dword v[66:67], v87, off
.LBB742_19:
	s_or_b64 exec, exec, s[4:5]
	v_lshl_or_b32 v78, v88, 9, v78
	s_waitcnt lgkmcnt(0)
	s_barrier
	ds_read_b128 v[70:73], v78
	ds_read_b128 v[66:69], v78 offset:16
	s_waitcnt vmcnt(15) lgkmcnt(1)
	v_mfma_f32_16x16x16_bf16 v[74:77], v[30:31], v[70:71], 0
	s_mov_b32 s3, 0
	v_cmp_gt_u32_e32 vcc, 64, v0
	v_mfma_f32_16x16x16_bf16 v[30:33], v[32:33], v[72:73], v[74:77]
	s_waitcnt vmcnt(14) lgkmcnt(0)
	v_mfma_f32_16x16x16_bf16 v[30:33], v[26:27], v[66:67], v[30:33]
	v_mfma_f32_16x16x16_bf16 v[26:29], v[28:29], v[68:69], v[30:33]
	s_nop 5
	ds_read_b128 v[30:33], v78 offset:2048
	ds_read_b128 v[74:77], v78 offset:2064
	s_waitcnt vmcnt(13) lgkmcnt(1)
	v_mfma_f32_16x16x16_bf16 v[26:29], v[22:23], v[30:31], v[26:29]
	v_mfma_f32_16x16x16_bf16 v[22:25], v[24:25], v[32:33], v[26:29]
	s_waitcnt vmcnt(12) lgkmcnt(0)
	v_mfma_f32_16x16x16_bf16 v[22:25], v[18:19], v[74:75], v[22:25]
	v_mfma_f32_16x16x16_bf16 v[18:21], v[20:21], v[76:77], v[22:25]
	s_nop 5
	ds_read_b128 v[22:25], v78 offset:4096
	ds_read_b128 v[26:29], v78 offset:4112
	s_waitcnt vmcnt(11) lgkmcnt(1)
	v_mfma_f32_16x16x16_bf16 v[18:21], v[14:15], v[22:23], v[18:21]
	v_mfma_f32_16x16x16_bf16 v[14:17], v[16:17], v[24:25], v[18:21]
	s_waitcnt vmcnt(10) lgkmcnt(0)
	v_mfma_f32_16x16x16_bf16 v[14:17], v[10:11], v[26:27], v[14:17]
	v_mfma_f32_16x16x16_bf16 v[10:13], v[12:13], v[28:29], v[14:17]
	s_nop 5
	ds_read_b128 v[14:17], v78 offset:6144
	ds_read_b128 v[18:21], v78 offset:6160
	s_waitcnt lgkmcnt(0)
	s_barrier
	s_waitcnt vmcnt(9)
	v_mfma_f32_16x16x16_bf16 v[10:13], v[6:7], v[14:15], v[10:13]
	v_mfma_f32_16x16x16_bf16 v[6:9], v[8:9], v[16:17], v[10:13]
	s_waitcnt vmcnt(8)
	v_mfma_f32_16x16x16_bf16 v[6:9], v[2:3], v[18:19], v[6:9]
	v_mfma_f32_16x16x16_bf16 v[2:5], v[4:5], v[20:21], v[6:9]
	;; [unrolled: 3-line block ×3, first 2 shown]
	s_nop 3
	v_bfe_u32 v10, v3, 16, 1
	v_bfe_u32 v11, v2, 16, 1
	v_add3_u32 v2, v2, v11, s8
	s_waitcnt vmcnt(6)
	v_mfma_f32_16x16x16_bf16 v[6:9], v[38:39], v[66:67], v[6:9]
	v_add3_u32 v3, v3, v10, s8
	v_perm_b32 v10, v3, v2, s9
	v_bfe_u32 v2, v5, 16, 1
	v_mfma_f32_16x16x16_bf16 v[6:9], v[40:41], v[68:69], v[6:9]
	v_bfe_u32 v3, v4, 16, 1
	v_add3_u32 v3, v4, v3, s8
	v_add3_u32 v2, v5, v2, s8
	s_waitcnt vmcnt(5)
	v_mfma_f32_16x16x16_bf16 v[6:9], v[42:43], v[30:31], v[6:9]
	v_perm_b32 v11, v2, v3, s9
	v_mfma_f32_16x16x16_bf16 v[6:9], v[44:45], v[32:33], v[6:9]
	s_waitcnt vmcnt(4)
	v_mfma_f32_16x16x16_bf16 v[6:9], v[34:35], v[74:75], v[6:9]
	v_mfma_f32_16x16x16_bf16 v[6:9], v[36:37], v[76:77], v[6:9]
	s_waitcnt vmcnt(3)
	v_mfma_f32_16x16x16_bf16 v[6:9], v[58:59], v[22:23], v[6:9]
	;; [unrolled: 3-line block ×5, first 2 shown]
	v_mfma_f32_16x16x16_bf16 v[2:5], v[52:53], v[20:21], v[6:9]
	s_nop 6
	v_bfe_u32 v6, v3, 16, 1
	v_bfe_u32 v7, v2, 16, 1
	v_add3_u32 v2, v2, v7, s8
	v_add3_u32 v3, v3, v6, s8
	v_perm_b32 v2, v3, v2, s9
	v_bfe_u32 v3, v5, 16, 1
	v_bfe_u32 v6, v4, 16, 1
	v_add3_u32 v4, v4, v6, s8
	v_add3_u32 v3, v5, v3, s8
	v_perm_b32 v3, v3, v4, s9
	ds_write2st64_b64 v1, v[10:11], v[2:3] offset1:1
	s_waitcnt lgkmcnt(0)
	s_barrier
	s_and_saveexec_b64 s[4:5], vcc
	s_cbranch_execz .LBB742_22
; %bb.20:
	s_load_dwordx2 s[4:5], s[0:1], 0x68
	s_lshl_b32 s0, s6, 7
	s_mul_i32 s1, s7, s2
	v_lshlrev_b32_e32 v3, 6, v84
	s_mul_hi_u32 s7, s1, s0
	s_mul_i32 s6, s1, s0
	v_lshlrev_b32_e32 v2, 4, v0
	v_lshl_or_b32 v0, v0, 10, v3
	s_lshl_b64 s[6:7], s[6:7], 1
	v_lshlrev_b32_e32 v1, 5, v88
	v_and_b32_e32 v2, 16, v2
	v_and_b32_e32 v0, 0x1a00, v0
	s_waitcnt lgkmcnt(0)
	s_add_u32 s1, s4, s6
	v_or3_b32 v2, v0, v1, v2
	s_addc_u32 s4, s5, s7
	s_lshl_b32 s2, s26, 7
	ds_read_b128 v[4:7], v2 offset:256
	s_lshl_b64 s[2:3], s[2:3], 1
	ds_read_b128 v[8:11], v2 offset:128
	ds_read_b128 v[12:15], v2
	s_add_u32 s2, s1, s2
	s_addc_u32 s3, s4, s3
	v_add_u32_e32 v3, s40, v88
	v_lshl_add_u64 v[0:1], v[82:83], 1, s[2:3]
	v_mad_u64_u32 v[16:17], s[2:3], v3, s0, 0
	v_lshl_add_u64 v[16:17], v[16:17], 1, v[0:1]
	s_waitcnt lgkmcnt(0)
	global_store_dwordx4 v[16:17], v[12:15], off
	v_cmp_ne_u32_e32 vcc, 3, v88
	s_nop 0
	v_add_u32_e32 v12, 4, v3
	v_mad_u64_u32 v[12:13], s[2:3], v12, s0, 0
	v_lshl_add_u64 v[12:13], v[12:13], 1, v[0:1]
	v_add_u32_e32 v3, 8, v3
	global_store_dwordx4 v[12:13], v[8:11], off
	s_nop 1
	v_mad_u64_u32 v[8:9], s[2:3], v3, s0, 0
	v_lshl_add_u64 v[8:9], v[8:9], 1, v[0:1]
	global_store_dwordx4 v[8:9], v[4:7], off
	s_and_b64 exec, exec, vcc
	s_cbranch_execz .LBB742_22
; %bb.21:
	ds_read_b128 v[2:5], v2 offset:384
	v_add3_u32 v6, s40, v88, 12
	v_mad_u64_u32 v[6:7], s[0:1], v6, s0, 0
	v_lshl_add_u64 v[0:1], v[6:7], 1, v[0:1]
	s_waitcnt lgkmcnt(0)
	global_store_dwordx4 v[0:1], v[2:5], off
.LBB742_22:
	s_endpgm
	.section	.rodata,"a",@progbits
	.p2align	6, 0x0
	.amdhsa_kernel _Z39paged_attention_ll4mi_QKV_mfma16_kernelI14__hip_bfloat16S0_LN4vllm18Fp8KVCacheDataTypeE0ES0_Li32ELi128ELi256ELb1ELi15EEvPKT_PKT0_S8_ifPKiSA_SA_iPKfiiiPfSD_PS3_PT2_iSC_SC_
		.amdhsa_group_segment_fixed_size 8192
		.amdhsa_private_segment_fixed_size 0
		.amdhsa_kernarg_size 400
		.amdhsa_user_sgpr_count 2
		.amdhsa_user_sgpr_dispatch_ptr 0
		.amdhsa_user_sgpr_queue_ptr 0
		.amdhsa_user_sgpr_kernarg_segment_ptr 1
		.amdhsa_user_sgpr_dispatch_id 0
		.amdhsa_user_sgpr_kernarg_preload_length 0
		.amdhsa_user_sgpr_kernarg_preload_offset 0
		.amdhsa_user_sgpr_private_segment_size 0
		.amdhsa_uses_dynamic_stack 0
		.amdhsa_enable_private_segment 0
		.amdhsa_system_sgpr_workgroup_id_x 1
		.amdhsa_system_sgpr_workgroup_id_y 1
		.amdhsa_system_sgpr_workgroup_id_z 1
		.amdhsa_system_sgpr_workgroup_info 0
		.amdhsa_system_vgpr_workitem_id 0
		.amdhsa_next_free_vgpr 96
		.amdhsa_next_free_sgpr 42
		.amdhsa_accum_offset 96
		.amdhsa_reserve_vcc 1
		.amdhsa_float_round_mode_32 0
		.amdhsa_float_round_mode_16_64 0
		.amdhsa_float_denorm_mode_32 3
		.amdhsa_float_denorm_mode_16_64 3
		.amdhsa_dx10_clamp 1
		.amdhsa_ieee_mode 1
		.amdhsa_fp16_overflow 0
		.amdhsa_tg_split 0
		.amdhsa_exception_fp_ieee_invalid_op 0
		.amdhsa_exception_fp_denorm_src 0
		.amdhsa_exception_fp_ieee_div_zero 0
		.amdhsa_exception_fp_ieee_overflow 0
		.amdhsa_exception_fp_ieee_underflow 0
		.amdhsa_exception_fp_ieee_inexact 0
		.amdhsa_exception_int_div_zero 0
	.end_amdhsa_kernel
	.section	.text._Z39paged_attention_ll4mi_QKV_mfma16_kernelI14__hip_bfloat16S0_LN4vllm18Fp8KVCacheDataTypeE0ES0_Li32ELi128ELi256ELb1ELi15EEvPKT_PKT0_S8_ifPKiSA_SA_iPKfiiiPfSD_PS3_PT2_iSC_SC_,"axG",@progbits,_Z39paged_attention_ll4mi_QKV_mfma16_kernelI14__hip_bfloat16S0_LN4vllm18Fp8KVCacheDataTypeE0ES0_Li32ELi128ELi256ELb1ELi15EEvPKT_PKT0_S8_ifPKiSA_SA_iPKfiiiPfSD_PS3_PT2_iSC_SC_,comdat
.Lfunc_end742:
	.size	_Z39paged_attention_ll4mi_QKV_mfma16_kernelI14__hip_bfloat16S0_LN4vllm18Fp8KVCacheDataTypeE0ES0_Li32ELi128ELi256ELb1ELi15EEvPKT_PKT0_S8_ifPKiSA_SA_iPKfiiiPfSD_PS3_PT2_iSC_SC_, .Lfunc_end742-_Z39paged_attention_ll4mi_QKV_mfma16_kernelI14__hip_bfloat16S0_LN4vllm18Fp8KVCacheDataTypeE0ES0_Li32ELi128ELi256ELb1ELi15EEvPKT_PKT0_S8_ifPKiSA_SA_iPKfiiiPfSD_PS3_PT2_iSC_SC_
                                        ; -- End function
	.section	.AMDGPU.csdata,"",@progbits
; Kernel info:
; codeLenInByte = 5228
; NumSgprs: 48
; NumVgprs: 96
; NumAgprs: 0
; TotalNumVgprs: 96
; ScratchSize: 0
; MemoryBound: 0
; FloatMode: 240
; IeeeMode: 1
; LDSByteSize: 8192 bytes/workgroup (compile time only)
; SGPRBlocks: 5
; VGPRBlocks: 11
; NumSGPRsForWavesPerEU: 48
; NumVGPRsForWavesPerEU: 96
; AccumOffset: 96
; Occupancy: 5
; WaveLimiterHint : 1
; COMPUTE_PGM_RSRC2:SCRATCH_EN: 0
; COMPUTE_PGM_RSRC2:USER_SGPR: 2
; COMPUTE_PGM_RSRC2:TRAP_HANDLER: 0
; COMPUTE_PGM_RSRC2:TGID_X_EN: 1
; COMPUTE_PGM_RSRC2:TGID_Y_EN: 1
; COMPUTE_PGM_RSRC2:TGID_Z_EN: 1
; COMPUTE_PGM_RSRC2:TIDIG_COMP_CNT: 0
; COMPUTE_PGM_RSRC3_GFX90A:ACCUM_OFFSET: 23
; COMPUTE_PGM_RSRC3_GFX90A:TG_SPLIT: 0
	.section	.text._Z39paged_attention_ll4mi_QKV_mfma16_kernelI14__hip_bfloat16S0_LN4vllm18Fp8KVCacheDataTypeE0ES0_Li32ELi128ELi256ELb1ELi16EEvPKT_PKT0_S8_ifPKiSA_SA_iPKfiiiPfSD_PS3_PT2_iSC_SC_,"axG",@progbits,_Z39paged_attention_ll4mi_QKV_mfma16_kernelI14__hip_bfloat16S0_LN4vllm18Fp8KVCacheDataTypeE0ES0_Li32ELi128ELi256ELb1ELi16EEvPKT_PKT0_S8_ifPKiSA_SA_iPKfiiiPfSD_PS3_PT2_iSC_SC_,comdat
	.protected	_Z39paged_attention_ll4mi_QKV_mfma16_kernelI14__hip_bfloat16S0_LN4vllm18Fp8KVCacheDataTypeE0ES0_Li32ELi128ELi256ELb1ELi16EEvPKT_PKT0_S8_ifPKiSA_SA_iPKfiiiPfSD_PS3_PT2_iSC_SC_ ; -- Begin function _Z39paged_attention_ll4mi_QKV_mfma16_kernelI14__hip_bfloat16S0_LN4vllm18Fp8KVCacheDataTypeE0ES0_Li32ELi128ELi256ELb1ELi16EEvPKT_PKT0_S8_ifPKiSA_SA_iPKfiiiPfSD_PS3_PT2_iSC_SC_
	.globl	_Z39paged_attention_ll4mi_QKV_mfma16_kernelI14__hip_bfloat16S0_LN4vllm18Fp8KVCacheDataTypeE0ES0_Li32ELi128ELi256ELb1ELi16EEvPKT_PKT0_S8_ifPKiSA_SA_iPKfiiiPfSD_PS3_PT2_iSC_SC_
	.p2align	8
	.type	_Z39paged_attention_ll4mi_QKV_mfma16_kernelI14__hip_bfloat16S0_LN4vllm18Fp8KVCacheDataTypeE0ES0_Li32ELi128ELi256ELb1ELi16EEvPKT_PKT0_S8_ifPKiSA_SA_iPKfiiiPfSD_PS3_PT2_iSC_SC_,@function
_Z39paged_attention_ll4mi_QKV_mfma16_kernelI14__hip_bfloat16S0_LN4vllm18Fp8KVCacheDataTypeE0ES0_Li32ELi128ELi256ELb1ELi16EEvPKT_PKT0_S8_ifPKiSA_SA_iPKfiiiPfSD_PS3_PT2_iSC_SC_: ; @_Z39paged_attention_ll4mi_QKV_mfma16_kernelI14__hip_bfloat16S0_LN4vllm18Fp8KVCacheDataTypeE0ES0_Li32ELi128ELi256ELb1ELi16EEvPKT_PKT0_S8_ifPKiSA_SA_iPKfiiiPfSD_PS3_PT2_iSC_SC_
; %bb.0:
	s_load_dwordx2 s[8:9], s[0:1], 0x30
	s_mov_b32 s26, s3
	s_mov_b64 s[6:7], 0
	s_waitcnt lgkmcnt(0)
	s_cmp_lg_u64 s[8:9], 0
	s_cselect_b64 s[10:11], -1, 0
	s_and_b64 vcc, exec, s[10:11]
	s_cbranch_vccz .LBB743_7
; %bb.1:
	s_add_i32 s12, s2, 1
	s_mov_b32 s13, 0
	s_lshl_b64 s[14:15], s[12:13], 2
	s_add_u32 s14, s8, s14
	s_mov_b32 s3, s13
	s_addc_u32 s15, s9, s15
	s_lshl_b64 s[12:13], s[2:3], 2
	s_add_u32 s12, s8, s12
	s_addc_u32 s13, s9, s13
	s_load_dword s5, s[14:15], 0x0
	s_load_dword s16, s[12:13], 0x0
	s_waitcnt lgkmcnt(0)
	s_sub_i32 s5, s5, s16
	s_cmp_eq_u32 s5, 1
	s_cselect_b64 s[12:13], -1, 0
	s_andn2_b64 vcc, exec, s[6:7]
	s_cbranch_vccnz .LBB743_3
.LBB743_2:
	s_mov_b32 s3, 0
	s_mov_b64 s[12:13], -1
.LBB743_3:
	s_andn2_b64 vcc, exec, s[12:13]
	s_cbranch_vccnz .LBB743_19
; %bb.4:
	s_load_dwordx2 s[6:7], s[0:1], 0x28
	s_lshl_b64 s[12:13], s[2:3], 2
	s_waitcnt lgkmcnt(0)
	s_add_u32 s6, s6, s12
	s_addc_u32 s7, s7, s13
	s_load_dword s38, s[6:7], 0x0
	s_lshl_b32 s20, s26, 8
	s_waitcnt lgkmcnt(0)
	s_cmp_ge_i32 s20, s38
	s_cbranch_scc1 .LBB743_19
; %bb.5:
	s_load_dwordx2 s[6:7], s[0:1], 0x20
	s_load_dword s5, s[0:1], 0x38
	s_add_i32 s14, s38, 31
	s_ashr_i32 s15, s14, 31
	v_and_b32_e32 v1, 0xcf, v0
	s_lshr_b32 s15, s15, 27
	v_add_u32_e32 v1, s20, v1
	s_add_i32 s14, s14, s15
	v_ashrrev_i32_e32 v2, 31, v1
	s_ashr_i32 s21, s14, 5
	v_lshrrev_b32_e32 v10, 27, v2
	s_add_i32 s21, s21, -1
	s_waitcnt lgkmcnt(0)
	s_mul_i32 s14, s2, s5
	s_mov_b32 s15, 0
	v_add_u32_e32 v2, v1, v10
	s_lshl_b64 s[14:15], s[14:15], 2
	v_ashrrev_i32_e32 v2, 5, v2
	v_mov_b32_e32 v11, s21
	v_cmp_gt_i32_e32 vcc, s38, v1
	s_add_u32 s6, s6, s14
	s_addc_u32 s7, s7, s15
	v_cndmask_b32_e32 v2, v11, v2, vcc
	v_ashrrev_i32_e32 v3, 31, v2
	v_lshl_add_u64 v[4:5], v[2:3], 2, s[6:7]
	v_or_b32_e32 v2, 16, v1
	v_add_u32_e32 v3, v2, v10
	v_ashrrev_i32_e32 v3, 5, v3
	v_cmp_gt_i32_e32 vcc, s38, v2
	s_nop 1
	v_cndmask_b32_e32 v2, v11, v3, vcc
	v_ashrrev_i32_e32 v3, 31, v2
	v_lshl_add_u64 v[6:7], v[2:3], 2, s[6:7]
	v_or_b32_e32 v2, 32, v1
	v_add_u32_e32 v3, v2, v10
	v_ashrrev_i32_e32 v3, 5, v3
	v_cmp_gt_i32_e32 vcc, s38, v2
	v_or_b32_e32 v1, 48, v1
	s_nop 0
	v_cndmask_b32_e32 v2, v11, v3, vcc
	v_ashrrev_i32_e32 v3, 31, v2
	v_lshl_add_u64 v[8:9], v[2:3], 2, s[6:7]
	v_add_u32_e32 v2, v1, v10
	v_ashrrev_i32_e32 v2, 5, v2
	v_cmp_gt_i32_e32 vcc, s38, v1
	s_nop 1
	v_cndmask_b32_e32 v2, v11, v2, vcc
	v_ashrrev_i32_e32 v3, 31, v2
	v_lshl_add_u64 v[10:11], v[2:3], 2, s[6:7]
	global_load_dword v3, v[4:5], off
	global_load_dword v2, v[6:7], off
	;; [unrolled: 1-line block ×4, first 2 shown]
	s_andn2_b64 vcc, exec, s[10:11]
	s_cbranch_vccnz .LBB743_8
; %bb.6:
	s_add_u32 s8, s8, s12
	s_addc_u32 s9, s9, s13
	s_load_dword s5, s[8:9], 0x0
	s_branch .LBB743_9
.LBB743_7:
	s_mov_b64 s[12:13], 0
	s_branch .LBB743_2
.LBB743_8:
	s_mov_b32 s5, s2
.LBB743_9:
	s_load_dwordx2 s[16:17], s[0:1], 0x40
	s_load_dwordx4 s[12:15], s[0:1], 0x8
	s_load_dwordx4 s[8:11], s[0:1], 0x48
	v_and_b32_e32 v75, 15, v0
	s_waitcnt lgkmcnt(0)
	s_movk_i32 s11, 0xff
	v_lshlrev_b32_e32 v12, 3, v75
	v_cmp_lt_u32_e32 vcc, s11, v0
	s_and_saveexec_b64 s[18:19], vcc
	s_xor_b64 s[18:19], exec, s[18:19]
; %bb.10:
	v_mov_b32_e32 v13, 0
; %bb.11:
	s_or_saveexec_b64 s[18:19], s[18:19]
	v_lshrrev_b32_e32 v74, 6, v0
	v_and_b32_e32 v95, 63, v0
	s_lshl_b32 s27, s4, 4
	v_bfe_u32 v1, v0, 4, 2
	s_xor_b64 exec, exec, s[18:19]
	s_cbranch_execz .LBB743_13
; %bb.12:
	s_load_dwordx2 s[22:23], s[0:1], 0x0
	s_ashr_i32 s11, s8, 31
	s_mul_hi_u32 s24, s5, s8
	s_mul_i32 s11, s5, s11
	s_add_i32 s25, s24, s11
	s_mul_i32 s24, s5, s8
	v_lshl_or_b32 v8, v74, 2, v1
	s_lshl_b64 s[24:25], s[24:25], 1
	s_waitcnt lgkmcnt(0)
	s_add_u32 s22, s22, s24
	v_add_lshl_u32 v4, v8, s27, 7
	s_addc_u32 s23, s23, s25
	v_ashrrev_i32_e32 v5, 31, v4
	v_mov_b32_e32 v13, 0
	v_lshl_add_u64 v[4:5], v[4:5], 1, s[22:23]
	v_lshlrev_b32_e32 v6, 1, v12
	v_mov_b32_e32 v7, v13
	v_lshl_add_u64 v[4:5], v[4:5], 0, v[6:7]
	global_load_dwordx4 v[4:7], v[4:5], off
	v_and_b32_e32 v9, 3, v0
	v_lshlrev_b32_e32 v10, 9, v75
	v_lshlrev_b32_e32 v8, 5, v8
	;; [unrolled: 1-line block ×3, first 2 shown]
	v_and_b32_e32 v10, 0x1800, v10
	v_or3_b32 v8, v10, v9, v8
	s_waitcnt vmcnt(0)
	ds_write_b128 v8, v[4:7]
.LBB743_13:
	s_or_b64 exec, exec, s[18:19]
	s_mul_i32 s4, s4, s10
	s_mov_b32 s5, 0
	s_lshl_b64 s[4:5], s[4:5], 1
	s_add_u32 s10, s12, s4
	s_addc_u32 s11, s13, s5
	s_waitcnt vmcnt(3)
	v_mad_i64_i32 v[4:5], s[12:13], v3, s9, 0
	v_lshl_add_u64 v[4:5], v[4:5], 1, s[10:11]
	v_lshlrev_b64 v[58:59], 1, v[12:13]
	v_lshlrev_b32_e32 v50, 9, v1
	v_lshl_add_u64 v[4:5], v[4:5], 0, v[58:59]
	v_mov_b32_e32 v51, 0
	v_lshl_add_u64 v[6:7], v[4:5], 0, v[50:51]
	s_load_dword s33, s[0:1], 0x98
	s_load_dword s8, s[0:1], 0x1c
	s_waitcnt lgkmcnt(0)
	s_barrier
	global_load_dwordx4 v[26:29], v[6:7], off
	s_waitcnt vmcnt(3)
	v_mad_i64_i32 v[2:3], s[12:13], v2, s9, 0
	v_mov_b32_e32 v8, 0x100
	v_lshl_add_u64 v[2:3], v[2:3], 1, s[10:11]
	v_lshl_or_b32 v54, v75, 4, v8
	v_mov_b32_e32 v55, v51
	v_lshl_add_u64 v[14:15], v[2:3], 0, v[54:55]
	scratch_store_dwordx2 off, v[12:13], off ; 8-byte Folded Spill
	v_lshl_add_u64 v[2:3], v[14:15], 0, v[50:51]
	global_load_dwordx4 v[30:33], v[2:3], off
	global_load_dwordx4 v[10:13], v[6:7], off offset:2048
	global_load_dwordx4 v[18:21], v[2:3], off offset:2048
	v_or_b32_e32 v56, 0x1000, v50
	v_mov_b32_e32 v57, v51
	v_lshl_add_u64 v[2:3], v[4:5], 0, v[56:57]
	global_load_dwordx4 v[6:9], v[2:3], off
	v_or_b32_e32 v52, 0x1800, v50
	v_mov_b32_e32 v53, v51
	v_lshl_add_u64 v[2:3], v[14:15], 0, v[56:57]
	v_lshl_add_u64 v[14:15], v[14:15], 0, v[52:53]
	global_load_dwordx4 v[22:25], v[2:3], off
	s_waitcnt vmcnt(8)
	v_mad_i64_i32 v[62:63], s[12:13], v35, s9, 0
	global_load_dwordx4 v[14:17], v[14:15], off
	v_lshl_add_u64 v[2:3], v[4:5], 0, v[52:53]
	global_load_dwordx4 v[2:5], v[2:3], off
	v_lshl_add_u64 v[62:63], v[62:63], 1, s[10:11]
	v_lshl_add_u64 v[70:71], v[62:63], 0, v[58:59]
	v_lshl_or_b32 v88, v75, 5, v50
	v_lshl_add_u64 v[72:73], v[70:71], 0, v[50:51]
	s_waitcnt vmcnt(9)
	v_mad_i64_i32 v[60:61], s[12:13], v34, s9, 0
	ds_read_b128 v[46:49], v88
	ds_read_b128 v[42:45], v88 offset:2048
	ds_read_b128 v[38:41], v88 offset:4096
	;; [unrolled: 1-line block ×3, first 2 shown]
	global_load_dwordx4 v[66:69], v[72:73], off
	s_ashr_i32 s12, s20, 31
	v_and_or_b32 v78, v0, 48, s20
	v_mov_b32_e32 v79, s21
	v_cmp_gt_i32_e32 vcc, s38, v78
	v_or_b32_e32 v82, 64, v78
	v_or_b32_e32 v83, 0x80, v78
	;; [unrolled: 1-line block ×3, first 2 shown]
	s_mov_b32 s40, 0xff7fffff
	s_waitcnt vmcnt(9) lgkmcnt(3)
	v_mfma_f32_16x16x16_bf16 v[62:65], v[26:27], v[46:47], 0
	v_lshl_add_u64 v[26:27], v[60:61], 1, s[10:11]
	v_lshl_add_u64 v[80:81], v[26:27], 0, v[54:55]
	v_lshl_add_u64 v[54:55], v[70:71], 0, v[56:57]
	s_waitcnt vmcnt(7)
	v_mfma_f32_16x16x16_bf16 v[58:61], v[30:31], v[46:47], 0
	s_lshr_b32 s10, s12, 27
	v_add_u32_e32 v85, s10, v78
	v_add_u32_e32 v86, s10, v82
	v_mfma_f32_16x16x16_bf16 v[26:29], v[28:29], v[48:49], v[62:65]
	v_lshl_add_u64 v[76:77], v[80:81], 0, v[56:57]
	v_add_u32_e32 v87, s10, v83
	v_add_u32_e32 v90, s10, v84
	v_mfma_f32_16x16x16_bf16 v[30:33], v[32:33], v[48:49], v[58:61]
	v_lshl_add_u64 v[64:65], v[80:81], 0, v[50:51]
	v_ashrrev_i32_e32 v50, 5, v85
	v_lshl_add_u64 v[62:63], v[70:71], 0, v[52:53]
	global_load_dwordx4 v[58:61], v[72:73], off offset:2048
	s_waitcnt vmcnt(7) lgkmcnt(2)
	v_mfma_f32_16x16x16_bf16 v[26:29], v[10:11], v[42:43], v[26:29]
	v_ashrrev_i32_e32 v70, 5, v86
	v_ashrrev_i32_e32 v71, 5, v87
	s_add_u32 s4, s14, s4
	v_mfma_f32_16x16x16_bf16 v[10:13], v[12:13], v[44:45], v[26:29]
	s_addc_u32 s5, s15, s5
	s_nop 1
	global_load_dwordx4 v[26:29], v[54:55], off
	s_waitcnt vmcnt(7)
	v_mfma_f32_16x16x16_bf16 v[30:33], v[18:19], v[42:43], v[30:33]
	v_cndmask_b32_e32 v54, v79, v50, vcc
	v_ashrrev_i32_e32 v55, 31, v54
	v_cmp_gt_i32_e32 vcc, s38, v82
	v_mfma_f32_16x16x16_bf16 v[18:21], v[20:21], v[44:45], v[30:33]
	s_nop 2
	v_lshl_add_u64 v[30:31], v[54:55], 2, s[6:7]
	global_load_dwordx4 v[54:57], v[62:63], off
	s_waitcnt vmcnt(7) lgkmcnt(1)
	v_mfma_f32_16x16x16_bf16 v[10:13], v[6:7], v[38:39], v[10:13]
	v_cndmask_b32_e32 v6, v79, v70, vcc
	global_load_dword v30, v[30:31], off
	v_ashrrev_i32_e32 v7, 31, v6
	v_lshl_add_u64 v[6:7], v[6:7], 2, s[6:7]
	global_load_dword v82, v[6:7], off
	v_mfma_f32_16x16x16_bf16 v[6:9], v[8:9], v[40:41], v[10:13]
	v_cmp_gt_i32_e32 vcc, s38, v83
	s_nop 1
	global_load_dwordx4 v[10:13], v[64:65], off
	s_waitcnt vmcnt(9)
	v_mfma_f32_16x16x16_bf16 v[18:21], v[22:23], v[38:39], v[18:21]
	global_load_dwordx4 v[62:65], v[64:65], off offset:2048
	v_ashrrev_i32_e32 v72, 5, v90
	v_cndmask_b32_e32 v22, v79, v71, vcc
	v_cmp_gt_i32_e32 vcc, s38, v84
	s_waitcnt vmcnt(8) lgkmcnt(0)
	v_mfma_f32_16x16x16_bf16 v[6:9], v[2:3], v[34:35], v[6:9]
	v_ashrrev_i32_e32 v23, 31, v22
	v_cndmask_b32_e32 v2, v79, v72, vcc
	global_load_dwordx4 v[76:79], v[76:77], off
	v_ashrrev_i32_e32 v3, 31, v2
	v_lshl_add_u64 v[22:23], v[22:23], 2, s[6:7]
	v_lshl_add_u64 v[2:3], v[2:3], 2, s[6:7]
	global_load_dword v83, v[22:23], off
	global_load_dword v89, v[2:3], off
	v_lshl_add_u64 v[2:3], v[80:81], 0, v[52:53]
	global_load_dwordx4 v[84:87], v[2:3], off
	v_mfma_f32_16x16x16_bf16 v[70:73], v[4:5], v[36:37], v[6:9]
	s_waitcnt vmcnt(11)
	v_mfma_f32_16x16x16_bf16 v[2:5], v[66:67], v[46:47], 0
	v_or_b32_e32 v66, s27, v75
	v_ashrrev_i32_e32 v67, 31, v66
	v_lshl_add_u64 v[6:7], v[66:67], 2, s[16:17]
	global_load_dword v94, v[6:7], off
	v_mfma_f32_16x16x16_bf16 v[2:5], v[68:69], v[48:49], v[2:5]
	v_and_b32_e32 v6, 16, v0
	v_lshlrev_b32_e32 v50, 1, v6
	v_lshl_or_b32 v67, v74, 4, v75
	v_mfma_f32_16x16x16_bf16 v[18:21], v[24:25], v[40:41], v[18:21]
	v_lshl_add_u64 v[68:69], s[4:5], 0, v[50:51]
	v_lshlrev_b32_e32 v50, 6, v67
	v_lshl_add_u64 v[6:7], v[68:69], 0, v[50:51]
	s_waitcnt vmcnt(11)
	v_mfma_f32_16x16x16_bf16 v[2:5], v[58:59], v[42:43], v[2:5]
	v_or_b32_e32 v50, 0x1000, v50
	s_waitcnt vmcnt(8)
	v_mad_i64_i32 v[8:9], s[4:5], v30, s9, 0
	v_mfma_f32_16x16x16_bf16 v[2:5], v[60:61], v[44:45], v[2:5]
	v_lshlrev_b64 v[60:61], 1, v[8:9]
	v_lshl_add_u64 v[8:9], v[6:7], 0, v[60:61]
	v_mfma_f32_16x16x16_bf16 v[2:5], v[26:27], v[38:39], v[2:5]
	v_mfma_f32_16x16x16_bf16 v[2:5], v[28:29], v[40:41], v[2:5]
	global_load_dwordx4 v[30:33], v[8:9], off
	global_load_dwordx4 v[26:29], v[8:9], off offset:16
	s_waitcnt vmcnt(9)
	v_mad_i64_i32 v[8:9], s[4:5], v82, s9, 0
	v_mfma_f32_16x16x16_bf16 v[2:5], v[54:55], v[34:35], v[2:5]
	v_lshlrev_b64 v[52:53], 1, v[8:9]
	s_waitcnt vmcnt(5)
	v_mad_i64_i32 v[8:9], s[4:5], v83, s9, 0
	v_mfma_f32_16x16x16_bf16 v[18:21], v[14:15], v[34:35], v[18:21]
	v_pk_mul_f32 v[82:83], s[8:9], v[72:73] op_sel_hi:[0,1]
	v_lshlrev_b64 v[54:55], 1, v[8:9]
	v_lshl_add_u64 v[8:9], v[6:7], 0, v[54:55]
	v_mfma_f32_16x16x16_bf16 v[56:59], v[56:57], v[36:37], v[2:5]
	s_nop 2
	v_lshl_add_u64 v[2:3], v[6:7], 0, v[52:53]
	v_mfma_f32_16x16x16_bf16 v[90:93], v[16:17], v[36:37], v[18:21]
	global_load_dwordx4 v[22:25], v[2:3], off
	s_nop 1
	global_load_dwordx4 v[18:21], v[2:3], off offset:16
	v_pk_mul_f32 v[72:73], s[8:9], v[58:59] op_sel_hi:[0,1]
	s_nop 1
	v_pk_mul_f32 v[80:81], s[8:9], v[90:91] op_sel_hi:[0,1]
	v_mfma_f32_16x16x16_bf16 v[2:5], v[10:11], v[46:47], 0
	v_mfma_f32_16x16x16_bf16 v[2:5], v[12:13], v[48:49], v[2:5]
	global_load_dwordx4 v[14:17], v[8:9], off
	global_load_dwordx4 v[10:13], v[8:9], off offset:16
	s_waitcnt vmcnt(8)
	v_mad_i64_i32 v[8:9], s[4:5], v89, s9, 0
	v_mfma_f32_16x16x16_bf16 v[2:5], v[62:63], v[42:43], v[2:5]
	v_lshlrev_b64 v[62:63], 1, v[8:9]
	v_mfma_f32_16x16x16_bf16 v[42:45], v[64:65], v[44:45], v[2:5]
	v_lshl_add_u64 v[64:65], v[68:69], 0, v[50:51]
	v_pk_mul_f32 v[50:51], s[8:9], v[70:71] op_sel_hi:[0,1]
	v_mfma_f32_16x16x16_bf16 v[42:45], v[76:77], v[38:39], v[42:45]
	v_pk_mul_f32 v[76:77], s[8:9], v[56:57] op_sel_hi:[0,1]
	s_nop 0
	v_lshl_add_u64 v[2:3], v[6:7], 0, v[62:63]
	v_lshl_add_u64 v[38:39], v[64:65], 0, v[60:61]
	v_mfma_f32_16x16x16_bf16 v[40:43], v[78:79], v[40:41], v[42:45]
	v_pk_mul_f32 v[78:79], s[8:9], v[92:93] op_sel_hi:[0,1]
	global_load_dwordx4 v[6:9], v[2:3], off
	s_nop 0
	global_load_dwordx4 v[2:5], v[2:3], off offset:16
	s_waitcnt vmcnt(9)
	v_mfma_f32_16x16x16_bf16 v[40:43], v[84:85], v[34:35], v[40:43]
	v_mfma_f32_16x16x16_bf16 v[34:37], v[86:87], v[36:37], v[40:43]
	s_nop 6
	v_pk_mul_f32 v[70:71], s[8:9], v[34:35] op_sel_hi:[0,1]
	v_and_b32_e32 v34, 0xc0, v0
	v_add_u32_e32 v34, s20, v34
	v_lshl_or_b32 v34, v1, 2, v34
	v_or_b32_e32 v35, 1, v34
	v_pk_mul_f32 v[68:69], s[8:9], v[36:37] op_sel_hi:[0,1]
	v_subrev_u32_e32 v36, s38, v35
	v_add_u32_e32 v40, 1, v36
	v_add_u32_e32 v41, 2, v36
	v_cvt_f32_i32_e32 v37, v36
	v_cvt_f32_i32_e32 v40, v40
	;; [unrolled: 1-line block ×3, first 2 shown]
	v_add_u32_e32 v42, 3, v36
	s_waitcnt vmcnt(8)
	v_fma_f32 v50, v94, v37, v50
	v_fmac_f32_e32 v51, v94, v40
	v_fma_f32 v82, v94, v41, v82
	v_add_u32_e32 v37, 16, v36
	v_add_u32_e32 v40, 17, v36
	;; [unrolled: 1-line block ×3, first 2 shown]
	v_cvt_f32_i32_e32 v42, v42
	v_cvt_f32_i32_e32 v37, v37
	;; [unrolled: 1-line block ×4, first 2 shown]
	v_fmac_f32_e32 v83, v94, v42
	v_add_u32_e32 v42, 19, v36
	v_fma_f32 v80, v94, v37, v80
	v_fmac_f32_e32 v81, v94, v40
	v_fma_f32 v78, v94, v41, v78
	v_add_u32_e32 v37, 32, v36
	v_add_u32_e32 v40, 33, v36
	;; [unrolled: 1-line block ×3, first 2 shown]
	v_cvt_f32_i32_e32 v42, v42
	v_cvt_f32_i32_e32 v37, v37
	;; [unrolled: 1-line block ×4, first 2 shown]
	v_fmac_f32_e32 v79, v94, v42
	v_add_u32_e32 v42, 35, v36
	v_fma_f32 v76, v94, v37, v76
	v_fmac_f32_e32 v77, v94, v40
	v_fma_f32 v72, v94, v41, v72
	v_add_u32_e32 v37, 48, v36
	v_add_u32_e32 v40, 49, v36
	;; [unrolled: 1-line block ×4, first 2 shown]
	v_cvt_f32_i32_e32 v36, v36
	v_cvt_f32_i32_e32 v37, v37
	;; [unrolled: 1-line block ×3, first 2 shown]
	v_cmp_gt_i32_e64 s[28:29], s38, v34
	v_fmac_f32_e32 v69, v94, v36
	v_mov_b32_e32 v36, 0xff7fffff
	v_cmp_gt_i32_e64 s[30:31], s38, v35
	v_fma_f32 v70, v94, v37, v70
	v_cndmask_b32_e64 v37, v36, v50, s[28:29]
	v_cndmask_b32_e64 v35, v36, v51, s[30:31]
	v_fmac_f32_e32 v71, v94, v40
	v_max3_f32 v35, v37, s40, v35
	v_or_b32_e32 v37, 2, v34
	v_or_b32_e32 v40, 3, v34
	v_cmp_gt_i32_e64 s[34:35], s38, v37
	v_cmp_gt_i32_e64 s[36:37], s38, v40
	v_cvt_f32_i32_e32 v42, v42
	v_cndmask_b32_e64 v37, v36, v82, s[34:35]
	v_cndmask_b32_e64 v40, v36, v83, s[36:37]
	v_max3_f32 v35, v35, v37, v40
	v_or_b32_e32 v37, 16, v34
	v_or_b32_e32 v40, 17, v34
	v_cmp_gt_i32_e64 s[22:23], s38, v37
	v_cmp_gt_i32_e64 s[24:25], s38, v40
	v_fmac_f32_e32 v73, v94, v42
	v_cndmask_b32_e64 v37, v36, v80, s[22:23]
	v_cndmask_b32_e64 v40, v36, v81, s[24:25]
	v_max3_f32 v35, v35, v37, v40
	v_or_b32_e32 v37, 18, v34
	v_or_b32_e32 v40, 19, v34
	v_cmp_gt_i32_e64 s[18:19], s38, v37
	v_cmp_gt_i32_e64 s[20:21], s38, v40
	v_cvt_f32_i32_e32 v41, v41
	v_cndmask_b32_e64 v37, v36, v78, s[18:19]
	v_cndmask_b32_e64 v40, v36, v79, s[20:21]
	v_max3_f32 v35, v35, v37, v40
	v_or_b32_e32 v37, 32, v34
	v_or_b32_e32 v40, 33, v34
	v_cmp_gt_i32_e64 s[14:15], s38, v37
	v_cmp_gt_i32_e64 s[16:17], s38, v40
	v_fma_f32 v68, v94, v41, v68
	v_cndmask_b32_e64 v37, v36, v76, s[14:15]
	v_cndmask_b32_e64 v40, v36, v77, s[16:17]
	v_max3_f32 v35, v35, v37, v40
	v_or_b32_e32 v37, 34, v34
	v_or_b32_e32 v40, 35, v34
	v_cmp_gt_i32_e64 s[10:11], s38, v37
	v_cmp_gt_i32_e64 s[12:13], s38, v40
	s_nop 0
	v_cndmask_b32_e64 v37, v36, v72, s[10:11]
	v_cndmask_b32_e64 v40, v36, v73, s[12:13]
	v_max3_f32 v35, v35, v37, v40
	v_or_b32_e32 v37, 48, v34
	v_or_b32_e32 v40, 49, v34
	v_cmp_gt_i32_e64 s[6:7], s38, v37
	v_cmp_gt_i32_e64 s[8:9], s38, v40
	s_nop 0
	v_cndmask_b32_e64 v37, v36, v70, s[6:7]
	v_cndmask_b32_e64 v40, v36, v71, s[8:9]
	v_max3_f32 v35, v35, v37, v40
	v_or_b32_e32 v37, 50, v34
	v_or_b32_e32 v34, 51, v34
	v_cmp_gt_i32_e32 vcc, s38, v37
	v_cmp_gt_i32_e64 s[4:5], s38, v34
	global_load_dwordx4 v[46:49], v[38:39], off
	s_nop 0
	global_load_dwordx4 v[38:41], v[38:39], off offset:16
	v_cndmask_b32_e32 v37, v36, v68, vcc
	v_cndmask_b32_e64 v34, v36, v69, s[4:5]
	v_max3_f32 v56, v35, v37, v34
	v_mbcnt_lo_u32_b32 v34, -1, 0
	v_mbcnt_hi_u32_b32 v57, -1, v34
	v_and_b32_e32 v34, 64, v57
	v_add_u32_e32 v58, 64, v34
	v_xor_b32_e32 v34, 32, v57
	v_cmp_lt_i32_e64 s[38:39], v34, v58
	s_nop 1
	v_cndmask_b32_e64 v34, v57, v34, s[38:39]
	v_lshlrev_b32_e32 v86, 2, v34
	ds_bpermute_b32 v59, v86, v56
	v_lshl_add_u64 v[34:35], v[64:65], 0, v[52:53]
	global_load_dwordx4 v[42:45], v[34:35], off
	s_nop 0
	global_load_dwordx4 v[34:37], v[34:35], off offset:16
	s_waitcnt lgkmcnt(0)
	v_max_f32_e32 v52, v59, v59
	v_max_f32_e32 v84, v56, v52
	v_xor_b32_e32 v52, 16, v57
	v_cmp_lt_i32_e64 s[38:39], v52, v58
	s_nop 1
	v_cndmask_b32_e64 v52, v57, v52, s[38:39]
	v_lshlrev_b32_e32 v87, 2, v52
	ds_bpermute_b32 v85, v87, v84
	v_lshl_add_u64 v[52:53], v[64:65], 0, v[54:55]
	global_load_dwordx4 v[58:61], v[52:53], off
	global_load_dwordx4 v[54:57], v[52:53], off offset:16
	v_lshl_add_u64 v[52:53], v[64:65], 0, v[62:63]
	s_waitcnt lgkmcnt(0)
	v_max_f32_e32 v62, v85, v85
	v_max_f32_e32 v90, v84, v62
	v_sub_f32_e32 v50, v50, v90
	v_mul_f32_e32 v50, 0x3fb8aa3b, v50
	v_exp_f32_e32 v84, v50
	v_sub_f32_e32 v50, v51, v90
	v_mul_f32_e32 v50, 0x3fb8aa3b, v50
	v_exp_f32_e32 v85, v50
	global_load_dwordx4 v[62:65], v[52:53], off
	s_nop 0
	global_load_dwordx4 v[50:53], v[52:53], off offset:16
	v_sub_f32_e32 v82, v82, v90
	v_mul_f32_e32 v82, 0x3fb8aa3b, v82
	v_sub_f32_e32 v83, v83, v90
	v_exp_f32_e32 v82, v82
	v_mul_f32_e32 v83, 0x3fb8aa3b, v83
	v_sub_f32_e32 v80, v80, v90
	v_exp_f32_e32 v83, v83
	v_mul_f32_e32 v80, 0x3fb8aa3b, v80
	v_sub_f32_e32 v81, v81, v90
	v_cndmask_b32_e64 v84, 0, v84, s[28:29]
	v_exp_f32_e32 v80, v80
	v_mul_f32_e32 v81, 0x3fb8aa3b, v81
	v_sub_f32_e32 v78, v78, v90
	v_add_f32_e32 v89, 0, v84
	v_cndmask_b32_e64 v85, 0, v85, s[30:31]
	v_exp_f32_e32 v81, v81
	v_mul_f32_e32 v78, 0x3fb8aa3b, v78
	v_sub_f32_e32 v79, v79, v90
	v_add_f32_e32 v89, v89, v85
	;; [unrolled: 5-line block ×10, first 2 shown]
	v_cndmask_b32_e64 v72, 0, v72, s[10:11]
	v_exp_f32_e32 v68, v68
	v_mul_f32_e32 v69, 0x3fb8aa3b, v69
	v_add_f32_e32 v89, v89, v72
	v_cndmask_b32_e64 v73, 0, v73, s[12:13]
	v_exp_f32_e32 v69, v69
	v_add_f32_e32 v89, v89, v73
	v_cndmask_b32_e64 v70, 0, v70, s[6:7]
	v_add_f32_e32 v89, v89, v70
	v_cndmask_b32_e64 v71, 0, v71, s[8:9]
	v_add_f32_e32 v89, v89, v71
	v_cndmask_b32_e32 v68, 0, v68, vcc
	v_add_f32_e32 v89, v89, v68
	v_cndmask_b32_e64 v69, 0, v69, s[4:5]
	v_add_f32_e32 v89, v89, v69
	ds_bpermute_b32 v86, v86, v89
	v_cmp_gt_u32_e32 vcc, 16, v95
	s_waitcnt lgkmcnt(0)
	s_barrier
	v_add_f32_e32 v91, v89, v86
	ds_bpermute_b32 v92, v87, v91
	s_and_saveexec_b64 s[4:5], vcc
	s_cbranch_execz .LBB743_15
; %bb.14:
	s_waitcnt lgkmcnt(0)
	v_add_f32_e32 v86, v91, v92
	v_lshlrev_b32_e32 v67, 2, v67
	ds_write2st64_b32 v67, v90, v86 offset1:1
.LBB743_15:
	s_or_b64 exec, exec, s[4:5]
	v_lshlrev_b32_e32 v67, 2, v75
	s_load_dword s6, s[0:1], 0x94
	s_waitcnt lgkmcnt(0)
	s_barrier
	ds_read2_b32 v[86:87], v67 offset1:16
	ds_read2_b32 v[90:91], v67 offset0:32 offset1:48
	ds_read2_b32 v[92:93], v67 offset0:64 offset1:80
	s_movk_i32 s8, 0x7fff
	s_mov_b32 s9, 0x7060302
	s_waitcnt lgkmcnt(2)
	v_max3_f32 v89, v86, s40, v87
	s_waitcnt lgkmcnt(1)
	v_max3_f32 v89, v89, v90, v91
	v_sub_f32_e32 v86, v86, v89
	v_mul_f32_e32 v86, 0x3fb8aa3b, v86
	v_exp_f32_e32 v94, v86
	v_sub_f32_e32 v86, v87, v89
	v_mul_f32_e32 v86, 0x3fb8aa3b, v86
	v_exp_f32_e32 v1, v86
	;; [unrolled: 3-line block ×3, first 2 shown]
	ds_read2_b32 v[86:87], v67 offset0:96 offset1:112
	v_sub_f32_e32 v67, v91, v89
	v_mul_f32_e32 v67, 0x3fb8aa3b, v67
	v_exp_f32_e32 v67, v67
	s_waitcnt lgkmcnt(1)
	v_fma_f32 v90, v94, v92, 0
	v_fmac_f32_e32 v90, v1, v93
	s_waitcnt lgkmcnt(0)
	v_fmac_f32_e32 v90, v95, v86
	v_fmac_f32_e32 v90, v67, v87
	v_add_f32_e32 v86, 0x358637bd, v90
	v_div_scale_f32 v87, s[4:5], v86, v86, 1.0
	v_rcp_f32_e32 v91, v87
	s_lshl_b32 s7, s33, 4
	s_barrier
	v_fma_f32 v92, -v87, v91, 1.0
	v_fmac_f32_e32 v91, v92, v91
	v_div_scale_f32 v92, vcc, 1.0, v86, 1.0
	v_mul_f32_e32 v93, v92, v91
	v_fma_f32 v74, -v87, v93, v92
	v_fmac_f32_e32 v93, v74, v91
	v_fma_f32 v74, -v87, v93, v92
	v_lshrrev_b32_e32 v87, 6, v0
	v_div_fmas_f32 v74, v74, v91, v93
	v_cmp_eq_u32_e32 vcc, 1, v87
	v_div_fixup_f32 v74, v74, v86, 1.0
	s_nop 0
	v_cndmask_b32_e32 v1, v94, v1, vcc
	v_cmp_eq_u32_e32 vcc, 2, v87
	s_nop 1
	v_cndmask_b32_e32 v1, v1, v95, vcc
	v_cmp_eq_u32_e32 vcc, 3, v87
	s_nop 1
	v_cndmask_b32_e32 v1, v1, v67, vcc
	v_mul_f32_e32 v86, v1, v74
	v_pk_mul_f32 v[84:85], v[86:87], v[84:85] op_sel_hi:[0,1]
	v_bfe_u32 v1, v85, 16, 1
	v_bfe_u32 v67, v84, 16, 1
	v_pk_mul_f32 v[82:83], v[86:87], v[82:83] op_sel_hi:[0,1]
	v_add3_u32 v67, v84, v67, s8
	v_add3_u32 v1, v85, v1, s8
	v_perm_b32 v84, v1, v67, s9
	v_bfe_u32 v1, v83, 16, 1
	v_bfe_u32 v67, v82, 16, 1
	v_add3_u32 v67, v82, v67, s8
	v_add3_u32 v1, v83, v1, s8
	v_bfe_u32 v83, v0, 4, 2
	v_perm_b32 v85, v1, v67, s9
	v_lshlrev_b32_e32 v1, 3, v83
	v_lshlrev_b32_e32 v67, 5, v75
	;; [unrolled: 1-line block ×3, first 2 shown]
	v_pk_mul_f32 v[80:81], v[86:87], v[80:81] op_sel_hi:[0,1]
	v_or3_b32 v82, v74, v67, v1
	v_bfe_u32 v1, v81, 16, 1
	v_bfe_u32 v67, v80, 16, 1
	v_pk_mul_f32 v[78:79], v[86:87], v[78:79] op_sel_hi:[0,1]
	v_add3_u32 v67, v80, v67, s8
	v_add3_u32 v1, v81, v1, s8
	v_perm_b32 v80, v1, v67, s9
	v_bfe_u32 v1, v79, 16, 1
	v_bfe_u32 v67, v78, 16, 1
	v_add3_u32 v67, v78, v67, s8
	v_add3_u32 v1, v79, v1, s8
	v_pk_mul_f32 v[76:77], v[86:87], v[76:77] op_sel_hi:[0,1]
	v_perm_b32 v81, v1, v67, s9
	v_bfe_u32 v1, v77, 16, 1
	v_bfe_u32 v67, v76, 16, 1
	v_pk_mul_f32 v[72:73], v[86:87], v[72:73] op_sel_hi:[0,1]
	v_add3_u32 v67, v76, v67, s8
	v_add3_u32 v1, v77, v1, s8
	v_perm_b32 v76, v1, v67, s9
	v_bfe_u32 v1, v73, 16, 1
	v_bfe_u32 v67, v72, 16, 1
	v_add3_u32 v67, v72, v67, s8
	v_add3_u32 v1, v73, v1, s8
	v_pk_mul_f32 v[70:71], v[86:87], v[70:71] op_sel_hi:[0,1]
	v_perm_b32 v77, v1, v67, s9
	v_bfe_u32 v1, v71, 16, 1
	v_bfe_u32 v67, v70, 16, 1
	v_pk_mul_f32 v[68:69], v[86:87], v[68:69] op_sel_hi:[0,1]
	v_add3_u32 v67, v70, v67, s8
	v_add3_u32 v1, v71, v1, s8
	v_perm_b32 v70, v1, v67, s9
	v_bfe_u32 v1, v69, 16, 1
	v_bfe_u32 v67, v68, 16, 1
	v_add3_u32 v67, v68, v67, s8
	v_add3_u32 v1, v69, v1, s8
	v_perm_b32 v71, v1, v67, s9
	v_cmp_gt_u32_e32 vcc, 16, v0
	ds_write2st64_b64 v82, v[84:85], v[80:81] offset1:1
	ds_write2st64_b64 v82, v[76:77], v[70:71] offset0:2 offset1:3
	s_and_saveexec_b64 s[4:5], vcc
	s_cbranch_execz .LBB743_17
; %bb.16:
	v_mov_b32_e32 v67, 0
	v_mov_b32_e32 v1, s7
	v_mad_u64_u32 v[68:69], s[10:11], s2, v1, v[66:67]
	v_mov_b32_e32 v66, s26
	s_load_dwordx4 s[12:15], s[0:1], 0x58
	s_mul_i32 s3, s3, s7
	v_mad_u64_u32 v[66:67], s[10:11], v68, s6, v[66:67]
	v_add_u32_e32 v1, s3, v69
	v_mov_b32_e32 v68, v67
	v_mad_u64_u32 v[68:69], s[10:11], v1, s6, v[68:69]
	v_mov_b32_e32 v67, v68
	v_lshlrev_b64 v[66:67], 2, v[66:67]
	s_waitcnt lgkmcnt(0)
	v_lshl_add_u64 v[68:69], s[14:15], 0, v[66:67]
	v_lshl_add_u64 v[66:67], s[12:13], 0, v[66:67]
	global_store_dword v[68:69], v89, off
	global_store_dword v[66:67], v90, off
.LBB743_17:
	s_or_b64 exec, exec, s[4:5]
	s_waitcnt lgkmcnt(0)
	s_barrier
	ds_read_b128 v[70:73], v88
	ds_read_b128 v[66:69], v88 offset:16
	s_waitcnt vmcnt(15) lgkmcnt(1)
	v_mfma_f32_16x16x16_bf16 v[76:79], v[30:31], v[70:71], 0
	s_mov_b32 s3, 0
	v_cmp_gt_u32_e32 vcc, 64, v0
	v_mfma_f32_16x16x16_bf16 v[30:33], v[32:33], v[72:73], v[76:79]
	s_waitcnt vmcnt(14) lgkmcnt(0)
	v_mfma_f32_16x16x16_bf16 v[30:33], v[26:27], v[66:67], v[30:33]
	v_mfma_f32_16x16x16_bf16 v[26:29], v[28:29], v[68:69], v[30:33]
	s_nop 5
	ds_read_b128 v[30:33], v88 offset:2048
	ds_read_b128 v[76:79], v88 offset:2064
	s_waitcnt vmcnt(13) lgkmcnt(1)
	v_mfma_f32_16x16x16_bf16 v[26:29], v[22:23], v[30:31], v[26:29]
	v_mfma_f32_16x16x16_bf16 v[22:25], v[24:25], v[32:33], v[26:29]
	s_waitcnt vmcnt(12) lgkmcnt(0)
	v_mfma_f32_16x16x16_bf16 v[22:25], v[18:19], v[76:77], v[22:25]
	v_mfma_f32_16x16x16_bf16 v[18:21], v[20:21], v[78:79], v[22:25]
	s_nop 5
	ds_read_b128 v[22:25], v88 offset:4096
	ds_read_b128 v[26:29], v88 offset:4112
	s_waitcnt vmcnt(11) lgkmcnt(1)
	v_mfma_f32_16x16x16_bf16 v[18:21], v[14:15], v[22:23], v[18:21]
	v_mfma_f32_16x16x16_bf16 v[14:17], v[16:17], v[24:25], v[18:21]
	s_waitcnt vmcnt(10) lgkmcnt(0)
	v_mfma_f32_16x16x16_bf16 v[14:17], v[10:11], v[26:27], v[14:17]
	v_mfma_f32_16x16x16_bf16 v[10:13], v[12:13], v[28:29], v[14:17]
	s_nop 5
	ds_read_b128 v[14:17], v88 offset:6144
	ds_read_b128 v[18:21], v88 offset:6160
	s_waitcnt lgkmcnt(0)
	s_barrier
	s_waitcnt vmcnt(9)
	v_mfma_f32_16x16x16_bf16 v[10:13], v[6:7], v[14:15], v[10:13]
	v_mfma_f32_16x16x16_bf16 v[6:9], v[8:9], v[16:17], v[10:13]
	s_waitcnt vmcnt(8)
	v_mfma_f32_16x16x16_bf16 v[6:9], v[2:3], v[18:19], v[6:9]
	v_mfma_f32_16x16x16_bf16 v[2:5], v[4:5], v[20:21], v[6:9]
	;; [unrolled: 3-line block ×3, first 2 shown]
	s_nop 3
	v_bfe_u32 v1, v3, 16, 1
	v_bfe_u32 v10, v2, 16, 1
	v_add3_u32 v2, v2, v10, s8
	s_waitcnt vmcnt(6)
	v_mfma_f32_16x16x16_bf16 v[6:9], v[38:39], v[66:67], v[6:9]
	v_add3_u32 v1, v3, v1, s8
	v_perm_b32 v10, v1, v2, s9
	v_bfe_u32 v1, v5, 16, 1
	v_mfma_f32_16x16x16_bf16 v[6:9], v[40:41], v[68:69], v[6:9]
	v_bfe_u32 v2, v4, 16, 1
	v_add3_u32 v2, v4, v2, s8
	v_add3_u32 v1, v5, v1, s8
	s_waitcnt vmcnt(5)
	v_mfma_f32_16x16x16_bf16 v[6:9], v[42:43], v[30:31], v[6:9]
	v_perm_b32 v11, v1, v2, s9
	v_mfma_f32_16x16x16_bf16 v[6:9], v[44:45], v[32:33], v[6:9]
	s_waitcnt vmcnt(4)
	v_mfma_f32_16x16x16_bf16 v[6:9], v[34:35], v[76:77], v[6:9]
	v_mfma_f32_16x16x16_bf16 v[6:9], v[36:37], v[78:79], v[6:9]
	s_waitcnt vmcnt(3)
	v_mfma_f32_16x16x16_bf16 v[6:9], v[58:59], v[22:23], v[6:9]
	;; [unrolled: 3-line block ×5, first 2 shown]
	v_mfma_f32_16x16x16_bf16 v[2:5], v[52:53], v[20:21], v[6:9]
	s_nop 6
	v_bfe_u32 v1, v3, 16, 1
	v_bfe_u32 v6, v2, 16, 1
	v_add3_u32 v2, v2, v6, s8
	v_add3_u32 v1, v3, v1, s8
	v_perm_b32 v2, v1, v2, s9
	v_bfe_u32 v1, v5, 16, 1
	v_bfe_u32 v3, v4, 16, 1
	v_add3_u32 v3, v4, v3, s8
	v_add3_u32 v1, v5, v1, s8
	v_perm_b32 v3, v1, v3, s9
	ds_write2st64_b64 v82, v[10:11], v[2:3] offset1:1
	s_waitcnt lgkmcnt(0)
	s_barrier
	s_and_saveexec_b64 s[4:5], vcc
	s_cbranch_execz .LBB743_19
; %bb.18:
	v_lshlrev_b32_e32 v3, 6, v75
	v_lshlrev_b32_e32 v2, 4, v0
	v_lshl_or_b32 v0, v0, 10, v3
	v_lshlrev_b32_e32 v1, 5, v83
	v_and_b32_e32 v2, 16, v2
	v_and_b32_e32 v0, 0x1a00, v0
	v_or3_b32 v12, v0, v1, v2
	ds_read_b128 v[0:3], v12
	ds_read_b128 v[4:7], v12 offset:128
	ds_read_b128 v[8:11], v12 offset:256
	;; [unrolled: 1-line block ×3, first 2 shown]
	scratch_load_dwordx2 v[16:17], off, off ; 8-byte Folded Reload
	s_load_dwordx2 s[0:1], s[0:1], 0x68
	s_lshl_b32 s6, s6, 7
	s_mul_i32 s2, s7, s2
	s_mul_hi_u32 s5, s2, s6
	s_mul_i32 s4, s2, s6
	s_lshl_b64 s[4:5], s[4:5], 1
	s_waitcnt lgkmcnt(0)
	s_add_u32 s4, s0, s4
	s_addc_u32 s5, s1, s5
	s_lshl_b32 s2, s26, 7
	s_lshl_b64 s[0:1], s[2:3], 1
	s_add_u32 s0, s4, s0
	s_addc_u32 s1, s5, s1
	v_or_b32_e32 v20, s27, v83
	s_waitcnt vmcnt(0)
	v_lshl_add_u64 v[16:17], v[16:17], 1, s[0:1]
	v_mad_u64_u32 v[18:19], s[0:1], v20, s6, 0
	v_lshl_add_u64 v[18:19], v[18:19], 1, v[16:17]
	global_store_dwordx4 v[18:19], v[0:3], off
	s_nop 1
	v_or_b32_e32 v0, 4, v20
	v_mad_u64_u32 v[0:1], s[0:1], v0, s6, 0
	v_lshl_add_u64 v[0:1], v[0:1], 1, v[16:17]
	global_store_dwordx4 v[0:1], v[4:7], off
	v_or_b32_e32 v0, 8, v20
	v_mad_u64_u32 v[0:1], s[0:1], v0, s6, 0
	v_lshl_add_u64 v[0:1], v[0:1], 1, v[16:17]
	global_store_dwordx4 v[0:1], v[8:11], off
	;; [unrolled: 4-line block ×3, first 2 shown]
.LBB743_19:
	s_endpgm
	.section	.rodata,"a",@progbits
	.p2align	6, 0x0
	.amdhsa_kernel _Z39paged_attention_ll4mi_QKV_mfma16_kernelI14__hip_bfloat16S0_LN4vllm18Fp8KVCacheDataTypeE0ES0_Li32ELi128ELi256ELb1ELi16EEvPKT_PKT0_S8_ifPKiSA_SA_iPKfiiiPfSD_PS3_PT2_iSC_SC_
		.amdhsa_group_segment_fixed_size 8192
		.amdhsa_private_segment_fixed_size 12
		.amdhsa_kernarg_size 400
		.amdhsa_user_sgpr_count 2
		.amdhsa_user_sgpr_dispatch_ptr 0
		.amdhsa_user_sgpr_queue_ptr 0
		.amdhsa_user_sgpr_kernarg_segment_ptr 1
		.amdhsa_user_sgpr_dispatch_id 0
		.amdhsa_user_sgpr_kernarg_preload_length 0
		.amdhsa_user_sgpr_kernarg_preload_offset 0
		.amdhsa_user_sgpr_private_segment_size 0
		.amdhsa_uses_dynamic_stack 0
		.amdhsa_enable_private_segment 1
		.amdhsa_system_sgpr_workgroup_id_x 1
		.amdhsa_system_sgpr_workgroup_id_y 1
		.amdhsa_system_sgpr_workgroup_id_z 1
		.amdhsa_system_sgpr_workgroup_info 0
		.amdhsa_system_vgpr_workitem_id 0
		.amdhsa_next_free_vgpr 96
		.amdhsa_next_free_sgpr 41
		.amdhsa_accum_offset 96
		.amdhsa_reserve_vcc 1
		.amdhsa_float_round_mode_32 0
		.amdhsa_float_round_mode_16_64 0
		.amdhsa_float_denorm_mode_32 3
		.amdhsa_float_denorm_mode_16_64 3
		.amdhsa_dx10_clamp 1
		.amdhsa_ieee_mode 1
		.amdhsa_fp16_overflow 0
		.amdhsa_tg_split 0
		.amdhsa_exception_fp_ieee_invalid_op 0
		.amdhsa_exception_fp_denorm_src 0
		.amdhsa_exception_fp_ieee_div_zero 0
		.amdhsa_exception_fp_ieee_overflow 0
		.amdhsa_exception_fp_ieee_underflow 0
		.amdhsa_exception_fp_ieee_inexact 0
		.amdhsa_exception_int_div_zero 0
	.end_amdhsa_kernel
	.section	.text._Z39paged_attention_ll4mi_QKV_mfma16_kernelI14__hip_bfloat16S0_LN4vllm18Fp8KVCacheDataTypeE0ES0_Li32ELi128ELi256ELb1ELi16EEvPKT_PKT0_S8_ifPKiSA_SA_iPKfiiiPfSD_PS3_PT2_iSC_SC_,"axG",@progbits,_Z39paged_attention_ll4mi_QKV_mfma16_kernelI14__hip_bfloat16S0_LN4vllm18Fp8KVCacheDataTypeE0ES0_Li32ELi128ELi256ELb1ELi16EEvPKT_PKT0_S8_ifPKiSA_SA_iPKfiiiPfSD_PS3_PT2_iSC_SC_,comdat
.Lfunc_end743:
	.size	_Z39paged_attention_ll4mi_QKV_mfma16_kernelI14__hip_bfloat16S0_LN4vllm18Fp8KVCacheDataTypeE0ES0_Li32ELi128ELi256ELb1ELi16EEvPKT_PKT0_S8_ifPKiSA_SA_iPKfiiiPfSD_PS3_PT2_iSC_SC_, .Lfunc_end743-_Z39paged_attention_ll4mi_QKV_mfma16_kernelI14__hip_bfloat16S0_LN4vllm18Fp8KVCacheDataTypeE0ES0_Li32ELi128ELi256ELb1ELi16EEvPKT_PKT0_S8_ifPKiSA_SA_iPKfiiiPfSD_PS3_PT2_iSC_SC_
                                        ; -- End function
	.section	.AMDGPU.csdata,"",@progbits
; Kernel info:
; codeLenInByte = 5156
; NumSgprs: 47
; NumVgprs: 96
; NumAgprs: 0
; TotalNumVgprs: 96
; ScratchSize: 12
; MemoryBound: 0
; FloatMode: 240
; IeeeMode: 1
; LDSByteSize: 8192 bytes/workgroup (compile time only)
; SGPRBlocks: 5
; VGPRBlocks: 11
; NumSGPRsForWavesPerEU: 47
; NumVGPRsForWavesPerEU: 96
; AccumOffset: 96
; Occupancy: 5
; WaveLimiterHint : 1
; COMPUTE_PGM_RSRC2:SCRATCH_EN: 1
; COMPUTE_PGM_RSRC2:USER_SGPR: 2
; COMPUTE_PGM_RSRC2:TRAP_HANDLER: 0
; COMPUTE_PGM_RSRC2:TGID_X_EN: 1
; COMPUTE_PGM_RSRC2:TGID_Y_EN: 1
; COMPUTE_PGM_RSRC2:TGID_Z_EN: 1
; COMPUTE_PGM_RSRC2:TIDIG_COMP_CNT: 0
; COMPUTE_PGM_RSRC3_GFX90A:ACCUM_OFFSET: 23
; COMPUTE_PGM_RSRC3_GFX90A:TG_SPLIT: 0
	.section	.text._Z39paged_attention_ll4mi_QKV_mfma16_kernelI14__hip_bfloat16S0_LN4vllm18Fp8KVCacheDataTypeE0ES0_Li32ELi128ELi256ELb1ELi1EEvPKT_PKT0_S8_ifPKiSA_SA_iPKfiiiPfSD_PS3_PT2_iSC_SC_,"axG",@progbits,_Z39paged_attention_ll4mi_QKV_mfma16_kernelI14__hip_bfloat16S0_LN4vllm18Fp8KVCacheDataTypeE0ES0_Li32ELi128ELi256ELb1ELi1EEvPKT_PKT0_S8_ifPKiSA_SA_iPKfiiiPfSD_PS3_PT2_iSC_SC_,comdat
	.protected	_Z39paged_attention_ll4mi_QKV_mfma16_kernelI14__hip_bfloat16S0_LN4vllm18Fp8KVCacheDataTypeE0ES0_Li32ELi128ELi256ELb1ELi1EEvPKT_PKT0_S8_ifPKiSA_SA_iPKfiiiPfSD_PS3_PT2_iSC_SC_ ; -- Begin function _Z39paged_attention_ll4mi_QKV_mfma16_kernelI14__hip_bfloat16S0_LN4vllm18Fp8KVCacheDataTypeE0ES0_Li32ELi128ELi256ELb1ELi1EEvPKT_PKT0_S8_ifPKiSA_SA_iPKfiiiPfSD_PS3_PT2_iSC_SC_
	.globl	_Z39paged_attention_ll4mi_QKV_mfma16_kernelI14__hip_bfloat16S0_LN4vllm18Fp8KVCacheDataTypeE0ES0_Li32ELi128ELi256ELb1ELi1EEvPKT_PKT0_S8_ifPKiSA_SA_iPKfiiiPfSD_PS3_PT2_iSC_SC_
	.p2align	8
	.type	_Z39paged_attention_ll4mi_QKV_mfma16_kernelI14__hip_bfloat16S0_LN4vllm18Fp8KVCacheDataTypeE0ES0_Li32ELi128ELi256ELb1ELi1EEvPKT_PKT0_S8_ifPKiSA_SA_iPKfiiiPfSD_PS3_PT2_iSC_SC_,@function
_Z39paged_attention_ll4mi_QKV_mfma16_kernelI14__hip_bfloat16S0_LN4vllm18Fp8KVCacheDataTypeE0ES0_Li32ELi128ELi256ELb1ELi1EEvPKT_PKT0_S8_ifPKiSA_SA_iPKfiiiPfSD_PS3_PT2_iSC_SC_: ; @_Z39paged_attention_ll4mi_QKV_mfma16_kernelI14__hip_bfloat16S0_LN4vllm18Fp8KVCacheDataTypeE0ES0_Li32ELi128ELi256ELb1ELi1EEvPKT_PKT0_S8_ifPKiSA_SA_iPKfiiiPfSD_PS3_PT2_iSC_SC_
; %bb.0:
	s_load_dwordx2 s[8:9], s[0:1], 0x30
	s_mov_b32 s28, s3
	s_mov_b64 s[6:7], 0
	s_waitcnt lgkmcnt(0)
	s_cmp_lg_u64 s[8:9], 0
	s_cselect_b64 s[10:11], -1, 0
	s_and_b64 vcc, exec, s[10:11]
	s_cbranch_vccz .LBB744_7
; %bb.1:
	s_add_i32 s12, s2, 1
	s_mov_b32 s13, 0
	s_lshl_b64 s[14:15], s[12:13], 2
	s_add_u32 s14, s8, s14
	s_mov_b32 s3, s13
	s_addc_u32 s15, s9, s15
	s_lshl_b64 s[12:13], s[2:3], 2
	s_add_u32 s12, s8, s12
	s_addc_u32 s13, s9, s13
	s_load_dword s5, s[14:15], 0x0
	s_load_dword s16, s[12:13], 0x0
	s_waitcnt lgkmcnt(0)
	s_sub_i32 s5, s5, s16
	s_cmp_eq_u32 s5, 1
	s_cselect_b64 s[12:13], -1, 0
	s_andn2_b64 vcc, exec, s[6:7]
	s_cbranch_vccnz .LBB744_3
.LBB744_2:
	s_mov_b32 s3, 0
	s_mov_b64 s[12:13], -1
.LBB744_3:
	s_andn2_b64 vcc, exec, s[12:13]
	s_cbranch_vccnz .LBB744_21
; %bb.4:
	s_load_dwordx2 s[6:7], s[0:1], 0x28
	s_lshl_b64 s[12:13], s[2:3], 2
	s_waitcnt lgkmcnt(0)
	s_add_u32 s6, s6, s12
	s_addc_u32 s7, s7, s13
	s_load_dword s29, s[6:7], 0x0
	s_lshl_b32 s18, s28, 8
	s_waitcnt lgkmcnt(0)
	s_cmp_ge_i32 s18, s29
	s_cbranch_scc1 .LBB744_21
; %bb.5:
	s_load_dwordx2 s[6:7], s[0:1], 0x20
	s_load_dword s5, s[0:1], 0x38
	s_add_i32 s14, s29, 31
	s_ashr_i32 s15, s14, 31
	v_and_b32_e32 v1, 0xcf, v0
	s_lshr_b32 s15, s15, 27
	v_add_u32_e32 v1, s18, v1
	s_add_i32 s14, s14, s15
	v_ashrrev_i32_e32 v2, 31, v1
	s_ashr_i32 s19, s14, 5
	v_lshrrev_b32_e32 v4, 27, v2
	s_add_i32 s19, s19, -1
	s_waitcnt lgkmcnt(0)
	s_mul_i32 s14, s2, s5
	s_mov_b32 s15, 0
	v_add_u32_e32 v2, v1, v4
	s_lshl_b64 s[14:15], s[14:15], 2
	v_ashrrev_i32_e32 v2, 5, v2
	v_mov_b32_e32 v5, s19
	v_cmp_gt_i32_e32 vcc, s29, v1
	s_add_u32 s6, s6, s14
	s_addc_u32 s7, s7, s15
	v_cndmask_b32_e32 v2, v5, v2, vcc
	v_ashrrev_i32_e32 v3, 31, v2
	v_lshl_add_u64 v[6:7], v[2:3], 2, s[6:7]
	v_or_b32_e32 v2, 16, v1
	v_add_u32_e32 v3, v2, v4
	v_ashrrev_i32_e32 v3, 5, v3
	v_cmp_gt_i32_e32 vcc, s29, v2
	s_nop 1
	v_cndmask_b32_e32 v2, v5, v3, vcc
	v_ashrrev_i32_e32 v3, 31, v2
	v_lshl_add_u64 v[8:9], v[2:3], 2, s[6:7]
	v_or_b32_e32 v2, 32, v1
	v_add_u32_e32 v3, v2, v4
	v_ashrrev_i32_e32 v3, 5, v3
	v_cmp_gt_i32_e32 vcc, s29, v2
	v_or_b32_e32 v1, 48, v1
	s_nop 0
	v_cndmask_b32_e32 v2, v5, v3, vcc
	v_ashrrev_i32_e32 v3, 31, v2
	v_lshl_add_u64 v[10:11], v[2:3], 2, s[6:7]
	v_add_u32_e32 v2, v1, v4
	v_ashrrev_i32_e32 v2, 5, v2
	v_cmp_gt_i32_e32 vcc, s29, v1
	s_nop 1
	v_cndmask_b32_e32 v2, v5, v2, vcc
	v_ashrrev_i32_e32 v3, 31, v2
	v_lshl_add_u64 v[12:13], v[2:3], 2, s[6:7]
	global_load_dword v5, v[6:7], off
	global_load_dword v4, v[8:9], off
	;; [unrolled: 1-line block ×4, first 2 shown]
	s_andn2_b64 vcc, exec, s[10:11]
	s_cbranch_vccnz .LBB744_8
; %bb.6:
	s_add_u32 s8, s8, s12
	s_addc_u32 s9, s9, s13
	s_load_dword s5, s[8:9], 0x0
	s_branch .LBB744_9
.LBB744_7:
	s_mov_b64 s[12:13], 0
	s_branch .LBB744_2
.LBB744_8:
	s_mov_b32 s5, s2
.LBB744_9:
	s_load_dwordx2 s[14:15], s[0:1], 0x8
	s_load_dwordx4 s[8:11], s[0:1], 0x48
	v_lshrrev_b32_e32 v83, 6, v0
	v_bfe_u32 v1, v0, 4, 2
	v_lshl_or_b32 v6, v83, 2, v1
	v_and_b32_e32 v82, 15, v0
	v_lshlrev_b32_e32 v12, 3, v82
	v_cmp_ne_u32_e32 vcc, 0, v6
	s_and_saveexec_b64 s[12:13], vcc
	s_xor_b64 s[12:13], exec, s[12:13]
; %bb.10:
	v_mov_b32_e32 v13, 0
; %bb.11:
	s_or_saveexec_b64 s[16:17], s[12:13]
	s_load_dwordx2 s[12:13], s[0:1], 0x10
	s_xor_b64 exec, exec, s[16:17]
	s_cbranch_execz .LBB744_13
; %bb.12:
	s_load_dwordx2 s[20:21], s[0:1], 0x0
	s_waitcnt lgkmcnt(0)
	s_ashr_i32 s11, s8, 31
	s_mul_hi_u32 s22, s5, s8
	s_mul_i32 s11, s5, s11
	s_add_i32 s23, s22, s11
	s_mul_i32 s22, s5, s8
	s_lshl_b64 s[22:23], s[22:23], 1
	s_add_u32 s5, s20, s22
	s_addc_u32 s8, s21, s23
	s_lshl_b32 s20, s4, 7
	s_ashr_i32 s21, s20, 31
	s_lshl_b64 s[20:21], s[20:21], 1
	s_add_u32 s20, s5, s20
	s_addc_u32 s21, s8, s21
	v_lshlrev_b32_e32 v6, 1, v12
	global_load_dwordx4 v[6:9], v6, s[20:21]
	v_and_b32_e32 v10, 3, v0
	v_lshlrev_b32_e32 v11, 9, v82
	v_lshlrev_b32_e32 v10, 9, v10
	s_movk_i32 s5, 0x1800
	v_mov_b32_e32 v13, 0
	v_and_or_b32 v10, v11, s5, v10
	s_waitcnt vmcnt(0)
	ds_write_b128 v10, v[6:9]
.LBB744_13:
	s_or_b64 exec, exec, s[16:17]
	s_waitcnt lgkmcnt(0)
	s_mul_i32 s10, s4, s10
	s_mov_b32 s11, 0
	s_lshl_b64 s[10:11], s[10:11], 1
	s_add_u32 s14, s14, s10
	s_addc_u32 s15, s15, s11
	s_waitcnt vmcnt(3)
	v_mad_i64_i32 v[6:7], s[16:17], v5, s9, 0
	v_lshl_add_u64 v[6:7], v[6:7], 1, s[14:15]
	v_lshlrev_b64 v[8:9], 1, v[12:13]
	v_lshlrev_b32_e32 v84, 9, v1
	v_lshl_add_u64 v[6:7], v[6:7], 0, v[8:9]
	v_mov_b32_e32 v85, 0
	s_barrier
	scratch_store_dwordx2 off, v[12:13], off ; 8-byte Folded Spill
	v_lshl_add_u64 v[10:11], v[6:7], 0, v[84:85]
	v_or_b32_e32 v14, 0x1000, v84
	v_mov_b32_e32 v15, v85
	v_or_b32_e32 v16, 0x1800, v84
	v_mov_b32_e32 v17, v85
	global_load_dwordx4 v[66:69], v[10:11], off
	global_load_dwordx4 v[62:65], v[10:11], off offset:2048
	v_lshl_add_u64 v[10:11], v[6:7], 0, v[14:15]
	v_lshl_add_u64 v[6:7], v[6:7], 0, v[16:17]
	global_load_dwordx4 v[78:81], v[10:11], off
	global_load_dwordx4 v[74:77], v[6:7], off
	s_waitcnt vmcnt(7)
	v_mad_i64_i32 v[4:5], s[16:17], v4, s9, 0
	v_mov_b32_e32 v6, 0x100
	v_lshl_add_u64 v[4:5], v[4:5], 1, s[14:15]
	v_lshl_or_b32 v6, v82, 4, v6
	v_mov_b32_e32 v7, v85
	v_lshl_add_u64 v[4:5], v[4:5], 0, v[6:7]
	v_lshl_add_u64 v[10:11], v[4:5], 0, v[84:85]
	global_load_dwordx4 v[70:73], v[10:11], off
	global_load_dwordx4 v[58:61], v[10:11], off offset:2048
	v_lshl_add_u64 v[10:11], v[4:5], 0, v[14:15]
	v_lshl_add_u64 v[4:5], v[4:5], 0, v[16:17]
	global_load_dwordx4 v[54:57], v[10:11], off
	global_load_dwordx4 v[30:33], v[4:5], off
	s_waitcnt vmcnt(10)
	v_mad_i64_i32 v[4:5], s[16:17], v3, s9, 0
	v_lshl_add_u64 v[4:5], v[4:5], 1, s[14:15]
	s_waitcnt vmcnt(9)
	v_mad_i64_i32 v[2:3], s[16:17], v2, s9, 0
	v_lshl_add_u64 v[4:5], v[4:5], 0, v[8:9]
	v_lshl_add_u64 v[2:3], v[2:3], 1, s[14:15]
	;; [unrolled: 1-line block ×4, first 2 shown]
	global_load_dwordx4 v[26:29], v[8:9], off
	global_load_dwordx4 v[22:25], v[8:9], off offset:2048
	v_lshl_add_u64 v[8:9], v[4:5], 0, v[14:15]
	v_lshl_add_u64 v[4:5], v[4:5], 0, v[16:17]
	v_lshl_add_u64 v[2:3], v[34:35], 0, v[84:85]
	v_lshl_add_u64 v[14:15], v[34:35], 0, v[14:15]
	global_load_dwordx4 v[18:21], v[8:9], off
	global_load_dwordx4 v[10:13], v[4:5], off
	s_nop 0
	global_load_dwordx4 v[6:9], v[2:3], off
	s_nop 0
	global_load_dwordx4 v[2:5], v[2:3], off offset:2048
	v_lshl_add_u64 v[16:17], v[34:35], 0, v[16:17]
	global_load_dwordx4 v[42:45], v[14:15], off
	global_load_dwordx4 v[34:37], v[16:17], off
	ds_read_b128 v[14:17], v84
	ds_read_b128 v[50:53], v84 offset:2048
	ds_read_b128 v[46:49], v84 offset:4096
	;; [unrolled: 1-line block ×3, first 2 shown]
	v_and_b32_e32 v88, 63, v0
	v_cmp_eq_u32_e32 vcc, 0, v82
	v_mov_b32_e32 v89, 0
	s_and_saveexec_b64 s[14:15], vcc
	s_cbranch_execz .LBB744_15
; %bb.14:
	s_load_dwordx2 s[16:17], s[0:1], 0x40
	s_ashr_i32 s5, s4, 31
	s_lshl_b64 s[20:21], s[4:5], 2
	s_waitcnt lgkmcnt(0)
	s_add_u32 s16, s16, s20
	s_addc_u32 s17, s17, s21
	s_load_dword s5, s[16:17], 0x0
	s_waitcnt lgkmcnt(0)
	v_mov_b32_e32 v89, s5
.LBB744_15:
	s_or_b64 exec, exec, s[14:15]
	s_waitcnt vmcnt(15) lgkmcnt(3)
	v_mfma_f32_16x16x16_bf16 v[90:93], v[66:67], v[14:15], 0
	s_ashr_i32 s5, s18, 31
	s_lshr_b32 s5, s5, 27
	s_add_u32 s10, s12, s10
	v_mfma_f32_16x16x16_bf16 v[66:69], v[68:69], v[16:17], v[90:93]
	s_addc_u32 s11, s13, s11
	s_waitcnt vmcnt(14) lgkmcnt(2)
	v_mfma_f32_16x16x16_bf16 v[66:69], v[62:63], v[50:51], v[66:69]
	v_lshl_or_b32 v90, v83, 4, v82
	v_mfma_f32_16x16x16_bf16 v[62:65], v[64:65], v[52:53], v[66:69]
	s_waitcnt vmcnt(13) lgkmcnt(1)
	v_mfma_f32_16x16x16_bf16 v[62:65], v[78:79], v[46:47], v[62:65]
	v_mfma_f32_16x16x16_bf16 v[62:65], v[80:81], v[48:49], v[62:65]
	s_waitcnt vmcnt(12) lgkmcnt(0)
	v_mfma_f32_16x16x16_bf16 v[62:65], v[74:75], v[38:39], v[62:65]
	v_and_or_b32 v74, v0, 48, s18
	v_add_u32_e32 v66, s5, v74
	v_ashrrev_i32_e32 v75, 5, v66
	s_waitcnt vmcnt(11)
	v_mfma_f32_16x16x16_bf16 v[66:69], v[70:71], v[14:15], 0
	v_cmp_gt_i32_e32 vcc, s29, v74
	v_mfma_f32_16x16x16_bf16 v[66:69], v[72:73], v[16:17], v[66:69]
	v_or_b32_e32 v72, 64, v74
	v_add_u32_e32 v73, s5, v72
	s_waitcnt vmcnt(10)
	v_mfma_f32_16x16x16_bf16 v[66:69], v[58:59], v[50:51], v[66:69]
	v_ashrrev_i32_e32 v58, 5, v73
	v_mfma_f32_16x16x16_bf16 v[62:65], v[76:77], v[40:41], v[62:65]
	v_mov_b32_e32 v76, s19
	v_cndmask_b32_e32 v70, v76, v75, vcc
	v_cmp_gt_i32_e32 vcc, s29, v72
	v_ashrrev_i32_e32 v71, 31, v70
	v_lshl_add_u64 v[70:71], v[70:71], 2, s[6:7]
	v_cndmask_b32_e32 v72, v76, v58, vcc
	v_mfma_f32_16x16x16_bf16 v[58:61], v[60:61], v[52:53], v[66:69]
	v_ashrrev_i32_e32 v73, 31, v72
	s_waitcnt vmcnt(9)
	v_mfma_f32_16x16x16_bf16 v[58:61], v[54:55], v[46:47], v[58:61]
	v_lshl_add_u64 v[66:67], v[72:73], 2, s[6:7]
	global_load_dword v68, v[70:71], off
	s_nop 0
	global_load_dword v66, v[66:67], off
	v_or_b32_e32 v67, 0x80, v74
	v_add_u32_e32 v69, s5, v67
	v_mfma_f32_16x16x16_bf16 v[54:57], v[56:57], v[48:49], v[58:61]
	v_cmp_gt_i32_e32 vcc, s29, v67
	s_nop 1
	v_ashrrev_i32_e32 v58, 5, v69
	v_cndmask_b32_e32 v58, v76, v58, vcc
	v_ashrrev_i32_e32 v59, 31, v58
	s_waitcnt vmcnt(10)
	v_mfma_f32_16x16x16_bf16 v[54:57], v[30:31], v[38:39], v[54:57]
	v_lshl_add_u64 v[30:31], v[58:59], 2, s[6:7]
	global_load_dword v70, v[30:31], off
	v_mfma_f32_16x16x16_bf16 v[58:61], v[32:33], v[40:41], v[54:57]
	s_nop 3
	v_or_b32_e32 v54, 0xc0, v74
	v_add_u32_e32 v30, s5, v54
	v_ashrrev_i32_e32 v55, 5, v30
	v_cmp_gt_i32_e32 vcc, s29, v54
	s_waitcnt vmcnt(10)
	v_mfma_f32_16x16x16_bf16 v[30:33], v[26:27], v[14:15], 0
	s_mov_b32 s5, 0xff7fffff
	v_cndmask_b32_e32 v26, v76, v55, vcc
	v_ashrrev_i32_e32 v27, 31, v26
	v_lshl_add_u64 v[54:55], v[26:27], 2, s[6:7]
	global_load_dword v71, v[54:55], off
	v_mfma_f32_16x16x16_bf16 v[26:29], v[28:29], v[16:17], v[30:33]
	s_load_dword s6, s[0:1], 0x1c
	s_waitcnt vmcnt(10)
	v_mfma_f32_16x16x16_bf16 v[26:29], v[22:23], v[50:51], v[26:29]
	v_and_b32_e32 v30, 16, v0
	v_lshlrev_b32_e32 v84, 1, v30
	v_lshl_add_u64 v[74:75], s[10:11], 0, v[84:85]
	v_mfma_f32_16x16x16_bf16 v[22:25], v[24:25], v[52:53], v[26:29]
	v_lshlrev_b32_e32 v84, 6, v90
	v_lshl_add_u64 v[76:77], v[74:75], 0, v[84:85]
	v_or_b32_e32 v84, 0x1000, v84
	s_waitcnt vmcnt(9)
	v_mfma_f32_16x16x16_bf16 v[22:25], v[18:19], v[46:47], v[22:25]
	v_lshl_add_u64 v[80:81], v[74:75], 0, v[84:85]
	s_waitcnt lgkmcnt(0)
	v_pk_mul_f32 v[74:75], s[6:7], v[60:61] op_sel_hi:[0,1]
	v_mfma_f32_16x16x16_bf16 v[18:21], v[20:21], v[48:49], v[22:25]
	s_waitcnt vmcnt(8)
	v_mfma_f32_16x16x16_bf16 v[18:21], v[10:11], v[38:39], v[18:21]
	s_waitcnt vmcnt(3)
	v_mad_i64_i32 v[22:23], s[10:11], v68, s9, 0
	s_waitcnt vmcnt(2)
	v_mad_i64_i32 v[10:11], s[10:11], v66, s9, 0
	v_lshlrev_b64 v[78:79], 1, v[22:23]
	v_lshlrev_b64 v[54:55], 1, v[10:11]
	v_lshl_add_u64 v[22:23], v[76:77], 0, v[78:79]
	v_lshl_add_u64 v[10:11], v[76:77], 0, v[54:55]
	global_load_dwordx4 v[30:33], v[22:23], off
	global_load_dwordx4 v[26:29], v[22:23], off offset:16
	v_mfma_f32_16x16x16_bf16 v[66:69], v[12:13], v[40:41], v[18:21]
	global_load_dwordx4 v[22:25], v[10:11], off
	s_nop 1
	global_load_dwordx4 v[18:21], v[10:11], off offset:16
	v_mfma_f32_16x16x16_bf16 v[10:13], v[6:7], v[14:15], 0
	s_waitcnt vmcnt(5)
	v_mad_i64_i32 v[6:7], s[10:11], v70, s9, 0
	v_lshlrev_b64 v[56:57], 1, v[6:7]
	v_mfma_f32_16x16x16_bf16 v[6:9], v[8:9], v[16:17], v[10:13]
	v_mfma_f32_16x16x16_bf16 v[6:9], v[2:3], v[50:51], v[6:9]
	s_nop 1
	v_lshl_add_u64 v[10:11], v[76:77], 0, v[56:57]
	global_load_dwordx4 v[14:17], v[10:11], off
	s_nop 0
	global_load_dwordx4 v[10:13], v[10:11], off offset:16
	s_waitcnt vmcnt(6)
	v_mad_i64_i32 v[2:3], s[8:9], v71, s9, 0
	v_mfma_f32_16x16x16_bf16 v[70:73], v[4:5], v[52:53], v[6:9]
	v_pk_mul_f32 v[52:53], s[6:7], v[62:63] op_sel_hi:[0,1]
	v_lshlrev_b64 v[50:51], 1, v[2:3]
	v_lshl_add_u64 v[2:3], v[76:77], 0, v[50:51]
	v_mfma_f32_16x16x16_bf16 v[70:73], v[42:43], v[46:47], v[70:73]
	v_lshl_add_u64 v[42:43], v[80:81], 0, v[78:79]
	v_pk_mul_f32 v[78:79], s[6:7], v[64:65] op_sel_hi:[0,1]
	v_pk_mul_f32 v[76:77], s[6:7], v[58:59] op_sel_hi:[0,1]
	v_mfma_f32_16x16x16_bf16 v[44:47], v[44:45], v[48:49], v[70:73]
	v_lshl_add_u64 v[50:51], v[80:81], 0, v[50:51]
	global_load_dwordx4 v[6:9], v[2:3], off
	s_nop 0
	global_load_dwordx4 v[2:5], v[2:3], off offset:16
	v_pk_mul_f32 v[70:71], s[6:7], v[68:69] op_sel_hi:[0,1]
	v_mfma_f32_16x16x16_bf16 v[44:47], v[34:35], v[38:39], v[44:47]
	v_pk_mul_f32 v[72:73], s[6:7], v[66:67] op_sel_hi:[0,1]
	v_mfma_f32_16x16x16_bf16 v[34:37], v[36:37], v[40:41], v[44:47]
	s_nop 6
	v_pk_mul_f32 v[68:69], s[6:7], v[34:35] op_sel_hi:[0,1]
	v_and_b32_e32 v34, 0xc0, v0
	v_add_u32_e32 v34, s18, v34
	v_lshl_or_b32 v34, v1, 2, v34
	v_or_b32_e32 v35, 1, v34
	v_pk_mul_f32 v[66:67], s[6:7], v[36:37] op_sel_hi:[0,1]
	v_subrev_u32_e32 v36, s29, v35
	v_add_u32_e32 v38, 1, v36
	v_add_u32_e32 v39, 2, v36
	v_cvt_f32_i32_e32 v37, v36
	v_cvt_f32_i32_e32 v38, v38
	;; [unrolled: 1-line block ×3, first 2 shown]
	v_add_u32_e32 v40, 3, v36
	v_fma_f32 v52, v89, v37, v52
	v_fmac_f32_e32 v53, v89, v38
	v_fma_f32 v78, v89, v39, v78
	v_add_u32_e32 v37, 16, v36
	v_add_u32_e32 v38, 17, v36
	;; [unrolled: 1-line block ×3, first 2 shown]
	v_cvt_f32_i32_e32 v40, v40
	v_cvt_f32_i32_e32 v37, v37
	;; [unrolled: 1-line block ×4, first 2 shown]
	v_fmac_f32_e32 v79, v89, v40
	v_add_u32_e32 v40, 19, v36
	v_fma_f32 v76, v89, v37, v76
	v_fmac_f32_e32 v77, v89, v38
	v_fma_f32 v74, v89, v39, v74
	v_add_u32_e32 v37, 32, v36
	v_add_u32_e32 v38, 33, v36
	;; [unrolled: 1-line block ×3, first 2 shown]
	v_cvt_f32_i32_e32 v40, v40
	v_cvt_f32_i32_e32 v37, v37
	;; [unrolled: 1-line block ×4, first 2 shown]
	v_fmac_f32_e32 v75, v89, v40
	v_add_u32_e32 v40, 35, v36
	v_fma_f32 v72, v89, v37, v72
	v_fmac_f32_e32 v73, v89, v38
	v_fma_f32 v70, v89, v39, v70
	v_add_u32_e32 v37, 48, v36
	v_add_u32_e32 v38, 49, v36
	v_add_u32_e32 v39, 50, v36
	v_add_u32_e32 v36, 51, v36
	v_cvt_f32_i32_e32 v36, v36
	v_cvt_f32_i32_e32 v37, v37
	;; [unrolled: 1-line block ×3, first 2 shown]
	v_cmp_gt_i32_e64 s[30:31], s29, v34
	v_fmac_f32_e32 v67, v89, v36
	v_mov_b32_e32 v36, 0xff7fffff
	v_cmp_gt_i32_e64 s[34:35], s29, v35
	v_fma_f32 v68, v89, v37, v68
	v_cndmask_b32_e64 v37, v36, v52, s[30:31]
	v_cndmask_b32_e64 v35, v36, v53, s[34:35]
	v_fmac_f32_e32 v69, v89, v38
	v_max3_f32 v35, v37, s5, v35
	v_or_b32_e32 v37, 2, v34
	v_or_b32_e32 v38, 3, v34
	v_cmp_gt_i32_e64 s[36:37], s29, v37
	v_cmp_gt_i32_e64 s[38:39], s29, v38
	v_cvt_f32_i32_e32 v40, v40
	v_cndmask_b32_e64 v37, v36, v78, s[36:37]
	v_cndmask_b32_e64 v38, v36, v79, s[38:39]
	v_max3_f32 v35, v35, v37, v38
	v_or_b32_e32 v37, 16, v34
	v_or_b32_e32 v38, 17, v34
	v_cmp_gt_i32_e64 s[24:25], s29, v37
	v_cmp_gt_i32_e64 s[26:27], s29, v38
	v_fmac_f32_e32 v71, v89, v40
	v_cndmask_b32_e64 v37, v36, v76, s[24:25]
	v_cndmask_b32_e64 v38, v36, v77, s[26:27]
	v_max3_f32 v35, v35, v37, v38
	v_or_b32_e32 v37, 18, v34
	v_or_b32_e32 v38, 19, v34
	v_cmp_gt_i32_e64 s[20:21], s29, v37
	v_cmp_gt_i32_e64 s[22:23], s29, v38
	v_cvt_f32_i32_e32 v39, v39
	v_cndmask_b32_e64 v37, v36, v74, s[20:21]
	v_cndmask_b32_e64 v38, v36, v75, s[22:23]
	v_max3_f32 v35, v35, v37, v38
	v_or_b32_e32 v37, 32, v34
	v_or_b32_e32 v38, 33, v34
	v_cmp_gt_i32_e64 s[16:17], s29, v37
	v_cmp_gt_i32_e64 s[18:19], s29, v38
	v_fma_f32 v66, v89, v39, v66
	v_cndmask_b32_e64 v37, v36, v72, s[16:17]
	v_cndmask_b32_e64 v38, v36, v73, s[18:19]
	v_max3_f32 v35, v35, v37, v38
	v_or_b32_e32 v37, 34, v34
	v_or_b32_e32 v38, 35, v34
	v_cmp_gt_i32_e64 s[12:13], s29, v37
	v_cmp_gt_i32_e64 s[14:15], s29, v38
	s_nop 0
	v_cndmask_b32_e64 v37, v36, v70, s[12:13]
	v_cndmask_b32_e64 v38, v36, v71, s[14:15]
	v_max3_f32 v35, v35, v37, v38
	v_or_b32_e32 v37, 48, v34
	v_or_b32_e32 v38, 49, v34
	v_cmp_gt_i32_e64 s[8:9], s29, v37
	v_cmp_gt_i32_e64 s[10:11], s29, v38
	s_nop 0
	v_cndmask_b32_e64 v37, v36, v68, s[8:9]
	v_cndmask_b32_e64 v38, v36, v69, s[10:11]
	v_max3_f32 v35, v35, v37, v38
	v_or_b32_e32 v37, 50, v34
	v_or_b32_e32 v34, 51, v34
	v_cmp_gt_i32_e32 vcc, s29, v37
	v_cmp_gt_i32_e64 s[6:7], s29, v34
	global_load_dwordx4 v[46:49], v[42:43], off
	global_load_dwordx4 v[38:41], v[42:43], off offset:16
	v_cndmask_b32_e32 v37, v36, v66, vcc
	v_cndmask_b32_e64 v34, v36, v67, s[6:7]
	v_max3_f32 v58, v35, v37, v34
	v_mbcnt_lo_u32_b32 v34, -1, 0
	v_mbcnt_hi_u32_b32 v59, -1, v34
	v_and_b32_e32 v34, 64, v59
	v_add_u32_e32 v60, 64, v34
	v_xor_b32_e32 v34, 32, v59
	v_cmp_lt_i32_e64 s[40:41], v34, v60
	s_nop 1
	v_cndmask_b32_e64 v34, v59, v34, s[40:41]
	v_lshlrev_b32_e32 v85, 2, v34
	ds_bpermute_b32 v61, v85, v58
	v_lshl_add_u64 v[34:35], v[80:81], 0, v[54:55]
	global_load_dwordx4 v[42:45], v[34:35], off
	s_nop 0
	global_load_dwordx4 v[34:37], v[34:35], off offset:16
	s_waitcnt lgkmcnt(0)
	v_max_f32_e32 v54, v61, v61
	v_max_f32_e32 v62, v58, v54
	v_xor_b32_e32 v54, 16, v59
	v_cmp_lt_i32_e64 s[40:41], v54, v60
	s_nop 1
	v_cndmask_b32_e64 v54, v59, v54, s[40:41]
	v_lshlrev_b32_e32 v89, 2, v54
	ds_bpermute_b32 v63, v89, v62
	v_lshl_add_u64 v[54:55], v[80:81], 0, v[56:57]
	global_load_dwordx4 v[58:61], v[54:55], off
	s_nop 0
	global_load_dwordx4 v[54:57], v[54:55], off offset:16
	s_waitcnt lgkmcnt(0)
	v_max_f32_e32 v63, v63, v63
	v_max_f32_e32 v84, v62, v63
	v_sub_f32_e32 v52, v52, v84
	v_mul_f32_e32 v52, 0x3fb8aa3b, v52
	v_exp_f32_e32 v80, v52
	v_sub_f32_e32 v52, v53, v84
	v_mul_f32_e32 v52, 0x3fb8aa3b, v52
	v_exp_f32_e32 v81, v52
	global_load_dwordx4 v[62:65], v[50:51], off
	s_nop 0
	global_load_dwordx4 v[50:53], v[50:51], off offset:16
	v_sub_f32_e32 v78, v78, v84
	v_mul_f32_e32 v78, 0x3fb8aa3b, v78
	v_sub_f32_e32 v79, v79, v84
	v_exp_f32_e32 v78, v78
	v_mul_f32_e32 v79, 0x3fb8aa3b, v79
	v_sub_f32_e32 v76, v76, v84
	v_exp_f32_e32 v79, v79
	v_mul_f32_e32 v76, 0x3fb8aa3b, v76
	v_sub_f32_e32 v77, v77, v84
	v_cndmask_b32_e64 v80, 0, v80, s[30:31]
	v_exp_f32_e32 v76, v76
	v_mul_f32_e32 v77, 0x3fb8aa3b, v77
	v_sub_f32_e32 v74, v74, v84
	v_add_f32_e32 v91, 0, v80
	v_cndmask_b32_e64 v81, 0, v81, s[34:35]
	v_exp_f32_e32 v77, v77
	v_mul_f32_e32 v74, 0x3fb8aa3b, v74
	v_sub_f32_e32 v75, v75, v84
	v_add_f32_e32 v91, v91, v81
	;; [unrolled: 5-line block ×10, first 2 shown]
	v_cndmask_b32_e64 v70, 0, v70, s[12:13]
	v_exp_f32_e32 v66, v66
	v_mul_f32_e32 v67, 0x3fb8aa3b, v67
	v_add_f32_e32 v91, v91, v70
	v_cndmask_b32_e64 v71, 0, v71, s[14:15]
	v_exp_f32_e32 v67, v67
	v_add_f32_e32 v91, v91, v71
	v_cndmask_b32_e64 v68, 0, v68, s[8:9]
	v_add_f32_e32 v91, v91, v68
	v_cndmask_b32_e64 v69, 0, v69, s[10:11]
	v_add_f32_e32 v91, v91, v69
	v_cndmask_b32_e32 v66, 0, v66, vcc
	v_add_f32_e32 v91, v91, v66
	v_cndmask_b32_e64 v67, 0, v67, s[6:7]
	v_add_f32_e32 v91, v91, v67
	ds_bpermute_b32 v85, v85, v91
	v_cmp_lt_u32_e64 s[6:7], 15, v88
	v_cmp_gt_u32_e32 vcc, 16, v88
	s_waitcnt lgkmcnt(0)
	s_barrier
	v_add_f32_e32 v85, v91, v85
	ds_bpermute_b32 v89, v89, v85
	s_waitcnt lgkmcnt(0)
	s_and_saveexec_b64 s[8:9], vcc
	s_cbranch_execz .LBB744_17
; %bb.16:
	v_add_f32_e32 v85, v85, v89
	v_lshlrev_b32_e32 v88, 2, v90
	ds_write2st64_b32 v88, v84, v85 offset1:1
.LBB744_17:
	s_or_b64 exec, exec, s[8:9]
	v_lshlrev_b32_e32 v85, 2, v82
	s_load_dwordx2 s[8:9], s[0:1], 0x94
	s_waitcnt lgkmcnt(0)
	s_barrier
	ds_read2_b32 v[88:89], v85 offset1:16
	ds_read2_b32 v[90:91], v85 offset0:32 offset1:48
	ds_read2_b32 v[92:93], v85 offset0:64 offset1:80
	s_mov_b32 s12, 0x7060302
	s_waitcnt lgkmcnt(2)
	v_max3_f32 v84, v88, s5, v89
	s_waitcnt lgkmcnt(1)
	v_max3_f32 v84, v84, v90, v91
	v_sub_f32_e32 v88, v88, v84
	v_mul_f32_e32 v88, 0x3fb8aa3b, v88
	v_exp_f32_e32 v94, v88
	v_sub_f32_e32 v88, v89, v84
	v_mul_f32_e32 v88, 0x3fb8aa3b, v88
	v_exp_f32_e32 v95, v88
	;; [unrolled: 3-line block ×3, first 2 shown]
	ds_read2_b32 v[88:89], v85 offset0:96 offset1:112
	v_sub_f32_e32 v85, v91, v84
	v_mul_f32_e32 v85, 0x3fb8aa3b, v85
	v_exp_f32_e32 v91, v85
	s_waitcnt lgkmcnt(1)
	v_fma_f32 v85, v94, v92, 0
	v_fmac_f32_e32 v85, v95, v93
	s_waitcnt lgkmcnt(0)
	v_fmac_f32_e32 v85, v90, v88
	v_fmac_f32_e32 v85, v91, v89
	v_add_f32_e32 v89, 0x358637bd, v85
	v_div_scale_f32 v92, s[10:11], v89, v89, 1.0
	v_rcp_f32_e32 v93, v92
	s_movk_i32 s5, 0x7fff
	v_mov_b32_e32 v88, 0
	v_fma_f32 v1, -v92, v93, 1.0
	v_fmac_f32_e32 v93, v1, v93
	v_div_scale_f32 v1, vcc, 1.0, v89, 1.0
	v_mul_f32_e32 v86, v1, v93
	v_fma_f32 v87, -v92, v86, v1
	v_fmac_f32_e32 v86, v87, v93
	v_fma_f32 v1, -v92, v86, v1
	v_div_fmas_f32 v1, v1, v93, v86
	v_cmp_eq_u32_e32 vcc, 1, v83
	v_div_fixup_f32 v1, v1, v89, 1.0
	v_bfe_u32 v87, v0, 4, 2
	v_cndmask_b32_e32 v86, v94, v95, vcc
	v_cmp_eq_u32_e32 vcc, 2, v83
	s_barrier
	s_nop 0
	v_cndmask_b32_e32 v86, v86, v90, vcc
	v_cmp_eq_u32_e32 vcc, 3, v83
	s_nop 1
	v_cndmask_b32_e32 v86, v86, v91, vcc
	v_mul_f32_e32 v90, v86, v1
	v_pk_mul_f32 v[80:81], v[90:91], v[80:81] op_sel_hi:[0,1]
	v_bfe_u32 v1, v81, 16, 1
	v_bfe_u32 v86, v80, 16, 1
	v_pk_mul_f32 v[78:79], v[90:91], v[78:79] op_sel_hi:[0,1]
	v_add3_u32 v80, v80, v86, s5
	v_add3_u32 v1, v81, v1, s5
	v_perm_b32 v80, v1, v80, s12
	v_bfe_u32 v1, v79, 16, 1
	v_bfe_u32 v81, v78, 16, 1
	v_add3_u32 v78, v78, v81, s5
	v_add3_u32 v1, v79, v1, s5
	v_perm_b32 v81, v1, v78, s12
	v_lshlrev_b32_e32 v1, 3, v87
	v_lshlrev_b32_e32 v79, 5, v82
	v_lshlrev_b32_e32 v78, 11, v83
	v_pk_mul_f32 v[76:77], v[90:91], v[76:77] op_sel_hi:[0,1]
	v_or3_b32 v78, v78, v79, v1
	v_bfe_u32 v1, v77, 16, 1
	v_bfe_u32 v86, v76, 16, 1
	v_pk_mul_f32 v[74:75], v[90:91], v[74:75] op_sel_hi:[0,1]
	v_add3_u32 v76, v76, v86, s5
	v_add3_u32 v1, v77, v1, s5
	v_perm_b32 v76, v1, v76, s12
	v_bfe_u32 v1, v75, 16, 1
	v_bfe_u32 v77, v74, 16, 1
	v_add3_u32 v74, v74, v77, s5
	v_add3_u32 v1, v75, v1, s5
	v_pk_mul_f32 v[72:73], v[90:91], v[72:73] op_sel_hi:[0,1]
	v_perm_b32 v77, v1, v74, s12
	v_bfe_u32 v1, v73, 16, 1
	v_bfe_u32 v74, v72, 16, 1
	v_pk_mul_f32 v[70:71], v[90:91], v[70:71] op_sel_hi:[0,1]
	v_add3_u32 v72, v72, v74, s5
	v_add3_u32 v1, v73, v1, s5
	v_perm_b32 v72, v1, v72, s12
	v_bfe_u32 v1, v71, 16, 1
	v_bfe_u32 v73, v70, 16, 1
	v_add3_u32 v70, v70, v73, s5
	v_add3_u32 v1, v71, v1, s5
	v_pk_mul_f32 v[68:69], v[90:91], v[68:69] op_sel_hi:[0,1]
	v_perm_b32 v73, v1, v70, s12
	v_bfe_u32 v1, v69, 16, 1
	v_bfe_u32 v70, v68, 16, 1
	v_pk_mul_f32 v[66:67], v[90:91], v[66:67] op_sel_hi:[0,1]
	v_add3_u32 v68, v68, v70, s5
	v_add3_u32 v1, v69, v1, s5
	v_perm_b32 v68, v1, v68, s12
	v_bfe_u32 v1, v67, 16, 1
	v_bfe_u32 v69, v66, 16, 1
	v_add3_u32 v66, v66, v69, s5
	v_add3_u32 v1, v67, v1, s5
	v_perm_b32 v69, v1, v66, s12
	v_cmp_eq_u32_e32 vcc, 0, v0
	ds_write2st64_b64 v78, v[80:81], v[76:77] offset1:1
	ds_write2st64_b64 v78, v[72:73], v[68:69] offset0:2 offset1:3
	s_and_saveexec_b64 s[10:11], vcc
	s_cbranch_execz .LBB744_19
; %bb.18:
	s_mul_i32 s3, s3, s9
	s_mul_hi_u32 s13, s2, s9
	s_add_i32 s13, s13, s3
	s_mul_i32 s3, s2, s9
	s_add_u32 s3, s3, s4
	s_addc_u32 s13, s13, 0
	s_load_dwordx4 s[16:19], s[0:1], 0x58
	s_mul_i32 s13, s13, s8
	s_mul_hi_u32 s14, s3, s8
	s_add_i32 s13, s14, s13
	s_mul_i32 s3, s3, s8
	s_add_u32 s14, s3, s28
	s_addc_u32 s15, s13, 0
	s_lshl_b64 s[14:15], s[14:15], 2
	s_waitcnt lgkmcnt(0)
	s_add_u32 s18, s18, s14
	s_addc_u32 s19, s19, s15
	s_add_u32 s14, s16, s14
	s_addc_u32 s15, s17, s15
	global_store_dword v88, v84, s[18:19]
	global_store_dword v88, v85, s[14:15]
.LBB744_19:
	s_or_b64 exec, exec, s[10:11]
	v_lshl_or_b32 v1, v87, 9, v79
	s_waitcnt lgkmcnt(0)
	s_barrier
	ds_read_b128 v[70:73], v1
	ds_read_b128 v[66:69], v1 offset:16
	s_waitcnt vmcnt(15) lgkmcnt(1)
	v_mfma_f32_16x16x16_bf16 v[74:77], v[30:31], v[70:71], 0
	v_cmp_gt_u32_e32 vcc, 64, v0
	s_xor_b64 s[6:7], s[6:7], -1
	s_mov_b32 s3, 0
	v_mfma_f32_16x16x16_bf16 v[30:33], v[32:33], v[72:73], v[74:77]
	s_and_b64 s[6:7], vcc, s[6:7]
	s_waitcnt vmcnt(14) lgkmcnt(0)
	v_mfma_f32_16x16x16_bf16 v[30:33], v[26:27], v[66:67], v[30:33]
	v_mfma_f32_16x16x16_bf16 v[26:29], v[28:29], v[68:69], v[30:33]
	s_nop 5
	ds_read_b128 v[30:33], v1 offset:2048
	ds_read_b128 v[74:77], v1 offset:2064
	s_waitcnt vmcnt(13) lgkmcnt(1)
	v_mfma_f32_16x16x16_bf16 v[26:29], v[22:23], v[30:31], v[26:29]
	v_mfma_f32_16x16x16_bf16 v[22:25], v[24:25], v[32:33], v[26:29]
	s_waitcnt vmcnt(12) lgkmcnt(0)
	v_mfma_f32_16x16x16_bf16 v[22:25], v[18:19], v[74:75], v[22:25]
	v_mfma_f32_16x16x16_bf16 v[18:21], v[20:21], v[76:77], v[22:25]
	s_nop 5
	ds_read_b128 v[22:25], v1 offset:4096
	ds_read_b128 v[26:29], v1 offset:4112
	s_waitcnt vmcnt(11) lgkmcnt(1)
	v_mfma_f32_16x16x16_bf16 v[18:21], v[14:15], v[22:23], v[18:21]
	v_mfma_f32_16x16x16_bf16 v[14:17], v[16:17], v[24:25], v[18:21]
	s_waitcnt vmcnt(10) lgkmcnt(0)
	v_mfma_f32_16x16x16_bf16 v[14:17], v[10:11], v[26:27], v[14:17]
	v_mfma_f32_16x16x16_bf16 v[10:13], v[12:13], v[28:29], v[14:17]
	s_nop 5
	ds_read_b128 v[14:17], v1 offset:6144
	ds_read_b128 v[18:21], v1 offset:6160
	s_waitcnt lgkmcnt(0)
	s_barrier
	s_waitcnt vmcnt(9)
	v_mfma_f32_16x16x16_bf16 v[10:13], v[6:7], v[14:15], v[10:13]
	v_mfma_f32_16x16x16_bf16 v[6:9], v[8:9], v[16:17], v[10:13]
	s_waitcnt vmcnt(8)
	v_mfma_f32_16x16x16_bf16 v[6:9], v[2:3], v[18:19], v[6:9]
	v_mfma_f32_16x16x16_bf16 v[2:5], v[4:5], v[20:21], v[6:9]
	;; [unrolled: 3-line block ×3, first 2 shown]
	s_nop 3
	v_bfe_u32 v1, v3, 16, 1
	v_bfe_u32 v10, v2, 16, 1
	v_add3_u32 v2, v2, v10, s5
	s_waitcnt vmcnt(6)
	v_mfma_f32_16x16x16_bf16 v[6:9], v[38:39], v[66:67], v[6:9]
	v_add3_u32 v1, v3, v1, s5
	v_perm_b32 v10, v1, v2, s12
	v_bfe_u32 v1, v5, 16, 1
	v_mfma_f32_16x16x16_bf16 v[6:9], v[40:41], v[68:69], v[6:9]
	v_bfe_u32 v2, v4, 16, 1
	v_add3_u32 v2, v4, v2, s5
	v_add3_u32 v1, v5, v1, s5
	s_waitcnt vmcnt(5)
	v_mfma_f32_16x16x16_bf16 v[6:9], v[42:43], v[30:31], v[6:9]
	v_perm_b32 v11, v1, v2, s12
	v_mfma_f32_16x16x16_bf16 v[6:9], v[44:45], v[32:33], v[6:9]
	s_waitcnt vmcnt(4)
	v_mfma_f32_16x16x16_bf16 v[6:9], v[34:35], v[74:75], v[6:9]
	v_mfma_f32_16x16x16_bf16 v[6:9], v[36:37], v[76:77], v[6:9]
	s_waitcnt vmcnt(3)
	v_mfma_f32_16x16x16_bf16 v[6:9], v[58:59], v[22:23], v[6:9]
	v_mfma_f32_16x16x16_bf16 v[6:9], v[60:61], v[24:25], v[6:9]
	s_waitcnt vmcnt(2)
	v_mfma_f32_16x16x16_bf16 v[6:9], v[54:55], v[26:27], v[6:9]
	v_mfma_f32_16x16x16_bf16 v[6:9], v[56:57], v[28:29], v[6:9]
	s_waitcnt vmcnt(1)
	v_mfma_f32_16x16x16_bf16 v[6:9], v[62:63], v[14:15], v[6:9]
	v_mfma_f32_16x16x16_bf16 v[6:9], v[64:65], v[16:17], v[6:9]
	s_waitcnt vmcnt(0)
	v_mfma_f32_16x16x16_bf16 v[6:9], v[50:51], v[18:19], v[6:9]
	v_mfma_f32_16x16x16_bf16 v[2:5], v[52:53], v[20:21], v[6:9]
	s_nop 6
	v_bfe_u32 v1, v3, 16, 1
	v_bfe_u32 v6, v2, 16, 1
	v_add3_u32 v2, v2, v6, s5
	v_add3_u32 v1, v3, v1, s5
	v_perm_b32 v2, v1, v2, s12
	v_bfe_u32 v1, v5, 16, 1
	v_bfe_u32 v3, v4, 16, 1
	v_add3_u32 v3, v4, v3, s5
	v_add3_u32 v1, v5, v1, s5
	v_perm_b32 v3, v1, v3, s12
	ds_write2st64_b64 v78, v[10:11], v[2:3] offset1:1
	s_waitcnt lgkmcnt(0)
	s_barrier
	s_and_saveexec_b64 s[10:11], s[6:7]
	s_cbranch_execz .LBB744_21
; %bb.20:
	scratch_load_dwordx2 v[4:5], off, off   ; 8-byte Folded Reload
	s_load_dwordx2 s[0:1], s[0:1], 0x68
	s_mul_i32 s2, s9, s2
	s_lshl_b32 s5, s8, 7
	s_mul_hi_u32 s7, s2, s5
	s_mul_i32 s6, s2, s5
	s_lshl_b64 s[6:7], s[6:7], 1
	v_lshlrev_b32_e32 v3, 6, v82
	s_waitcnt lgkmcnt(0)
	s_add_u32 s6, s0, s6
	v_lshlrev_b32_e32 v2, 4, v0
	v_lshl_or_b32 v0, v0, 10, v3
	s_addc_u32 s7, s1, s7
	s_lshl_b32 s2, s28, 7
	v_lshlrev_b32_e32 v1, 5, v87
	v_and_b32_e32 v2, 16, v2
	v_and_b32_e32 v0, 0x1a00, v0
	s_lshl_b64 s[0:1], s[2:3], 1
	v_or3_b32 v0, v0, v1, v2
	s_add_u32 s2, s6, s0
	ds_read_b128 v[0:3], v0
	s_addc_u32 s3, s7, s1
	s_mul_hi_u32 s1, s5, s4
	s_mul_i32 s0, s5, s4
	s_lshl_b64 s[0:1], s[0:1], 1
	s_add_u32 s0, s2, s0
	s_addc_u32 s1, s3, s1
	s_waitcnt vmcnt(0)
	v_lshl_add_u64 v[4:5], v[4:5], 1, s[0:1]
	s_waitcnt lgkmcnt(0)
	global_store_dwordx4 v[4:5], v[0:3], off
.LBB744_21:
	s_endpgm
	.section	.rodata,"a",@progbits
	.p2align	6, 0x0
	.amdhsa_kernel _Z39paged_attention_ll4mi_QKV_mfma16_kernelI14__hip_bfloat16S0_LN4vllm18Fp8KVCacheDataTypeE0ES0_Li32ELi128ELi256ELb1ELi1EEvPKT_PKT0_S8_ifPKiSA_SA_iPKfiiiPfSD_PS3_PT2_iSC_SC_
		.amdhsa_group_segment_fixed_size 8192
		.amdhsa_private_segment_fixed_size 12
		.amdhsa_kernarg_size 400
		.amdhsa_user_sgpr_count 2
		.amdhsa_user_sgpr_dispatch_ptr 0
		.amdhsa_user_sgpr_queue_ptr 0
		.amdhsa_user_sgpr_kernarg_segment_ptr 1
		.amdhsa_user_sgpr_dispatch_id 0
		.amdhsa_user_sgpr_kernarg_preload_length 0
		.amdhsa_user_sgpr_kernarg_preload_offset 0
		.amdhsa_user_sgpr_private_segment_size 0
		.amdhsa_uses_dynamic_stack 0
		.amdhsa_enable_private_segment 1
		.amdhsa_system_sgpr_workgroup_id_x 1
		.amdhsa_system_sgpr_workgroup_id_y 1
		.amdhsa_system_sgpr_workgroup_id_z 1
		.amdhsa_system_sgpr_workgroup_info 0
		.amdhsa_system_vgpr_workitem_id 0
		.amdhsa_next_free_vgpr 96
		.amdhsa_next_free_sgpr 42
		.amdhsa_accum_offset 96
		.amdhsa_reserve_vcc 1
		.amdhsa_float_round_mode_32 0
		.amdhsa_float_round_mode_16_64 0
		.amdhsa_float_denorm_mode_32 3
		.amdhsa_float_denorm_mode_16_64 3
		.amdhsa_dx10_clamp 1
		.amdhsa_ieee_mode 1
		.amdhsa_fp16_overflow 0
		.amdhsa_tg_split 0
		.amdhsa_exception_fp_ieee_invalid_op 0
		.amdhsa_exception_fp_denorm_src 0
		.amdhsa_exception_fp_ieee_div_zero 0
		.amdhsa_exception_fp_ieee_overflow 0
		.amdhsa_exception_fp_ieee_underflow 0
		.amdhsa_exception_fp_ieee_inexact 0
		.amdhsa_exception_int_div_zero 0
	.end_amdhsa_kernel
	.section	.text._Z39paged_attention_ll4mi_QKV_mfma16_kernelI14__hip_bfloat16S0_LN4vllm18Fp8KVCacheDataTypeE0ES0_Li32ELi128ELi256ELb1ELi1EEvPKT_PKT0_S8_ifPKiSA_SA_iPKfiiiPfSD_PS3_PT2_iSC_SC_,"axG",@progbits,_Z39paged_attention_ll4mi_QKV_mfma16_kernelI14__hip_bfloat16S0_LN4vllm18Fp8KVCacheDataTypeE0ES0_Li32ELi128ELi256ELb1ELi1EEvPKT_PKT0_S8_ifPKiSA_SA_iPKfiiiPfSD_PS3_PT2_iSC_SC_,comdat
.Lfunc_end744:
	.size	_Z39paged_attention_ll4mi_QKV_mfma16_kernelI14__hip_bfloat16S0_LN4vllm18Fp8KVCacheDataTypeE0ES0_Li32ELi128ELi256ELb1ELi1EEvPKT_PKT0_S8_ifPKiSA_SA_iPKfiiiPfSD_PS3_PT2_iSC_SC_, .Lfunc_end744-_Z39paged_attention_ll4mi_QKV_mfma16_kernelI14__hip_bfloat16S0_LN4vllm18Fp8KVCacheDataTypeE0ES0_Li32ELi128ELi256ELb1ELi1EEvPKT_PKT0_S8_ifPKiSA_SA_iPKfiiiPfSD_PS3_PT2_iSC_SC_
                                        ; -- End function
	.section	.AMDGPU.csdata,"",@progbits
; Kernel info:
; codeLenInByte = 5060
; NumSgprs: 48
; NumVgprs: 96
; NumAgprs: 0
; TotalNumVgprs: 96
; ScratchSize: 12
; MemoryBound: 0
; FloatMode: 240
; IeeeMode: 1
; LDSByteSize: 8192 bytes/workgroup (compile time only)
; SGPRBlocks: 5
; VGPRBlocks: 11
; NumSGPRsForWavesPerEU: 48
; NumVGPRsForWavesPerEU: 96
; AccumOffset: 96
; Occupancy: 5
; WaveLimiterHint : 1
; COMPUTE_PGM_RSRC2:SCRATCH_EN: 1
; COMPUTE_PGM_RSRC2:USER_SGPR: 2
; COMPUTE_PGM_RSRC2:TRAP_HANDLER: 0
; COMPUTE_PGM_RSRC2:TGID_X_EN: 1
; COMPUTE_PGM_RSRC2:TGID_Y_EN: 1
; COMPUTE_PGM_RSRC2:TGID_Z_EN: 1
; COMPUTE_PGM_RSRC2:TIDIG_COMP_CNT: 0
; COMPUTE_PGM_RSRC3_GFX90A:ACCUM_OFFSET: 23
; COMPUTE_PGM_RSRC3_GFX90A:TG_SPLIT: 0
	.section	.text._Z39paged_attention_ll4mi_QKV_mfma16_kernelI14__hip_bfloat16S0_LN4vllm18Fp8KVCacheDataTypeE0ES0_Li32ELi128ELi256ELb1ELi2EEvPKT_PKT0_S8_ifPKiSA_SA_iPKfiiiPfSD_PS3_PT2_iSC_SC_,"axG",@progbits,_Z39paged_attention_ll4mi_QKV_mfma16_kernelI14__hip_bfloat16S0_LN4vllm18Fp8KVCacheDataTypeE0ES0_Li32ELi128ELi256ELb1ELi2EEvPKT_PKT0_S8_ifPKiSA_SA_iPKfiiiPfSD_PS3_PT2_iSC_SC_,comdat
	.protected	_Z39paged_attention_ll4mi_QKV_mfma16_kernelI14__hip_bfloat16S0_LN4vllm18Fp8KVCacheDataTypeE0ES0_Li32ELi128ELi256ELb1ELi2EEvPKT_PKT0_S8_ifPKiSA_SA_iPKfiiiPfSD_PS3_PT2_iSC_SC_ ; -- Begin function _Z39paged_attention_ll4mi_QKV_mfma16_kernelI14__hip_bfloat16S0_LN4vllm18Fp8KVCacheDataTypeE0ES0_Li32ELi128ELi256ELb1ELi2EEvPKT_PKT0_S8_ifPKiSA_SA_iPKfiiiPfSD_PS3_PT2_iSC_SC_
	.globl	_Z39paged_attention_ll4mi_QKV_mfma16_kernelI14__hip_bfloat16S0_LN4vllm18Fp8KVCacheDataTypeE0ES0_Li32ELi128ELi256ELb1ELi2EEvPKT_PKT0_S8_ifPKiSA_SA_iPKfiiiPfSD_PS3_PT2_iSC_SC_
	.p2align	8
	.type	_Z39paged_attention_ll4mi_QKV_mfma16_kernelI14__hip_bfloat16S0_LN4vllm18Fp8KVCacheDataTypeE0ES0_Li32ELi128ELi256ELb1ELi2EEvPKT_PKT0_S8_ifPKiSA_SA_iPKfiiiPfSD_PS3_PT2_iSC_SC_,@function
_Z39paged_attention_ll4mi_QKV_mfma16_kernelI14__hip_bfloat16S0_LN4vllm18Fp8KVCacheDataTypeE0ES0_Li32ELi128ELi256ELb1ELi2EEvPKT_PKT0_S8_ifPKiSA_SA_iPKfiiiPfSD_PS3_PT2_iSC_SC_: ; @_Z39paged_attention_ll4mi_QKV_mfma16_kernelI14__hip_bfloat16S0_LN4vllm18Fp8KVCacheDataTypeE0ES0_Li32ELi128ELi256ELb1ELi2EEvPKT_PKT0_S8_ifPKiSA_SA_iPKfiiiPfSD_PS3_PT2_iSC_SC_
; %bb.0:
	s_load_dwordx2 s[8:9], s[0:1], 0x30
	s_mov_b32 s26, s3
	s_mov_b64 s[6:7], 0
	s_waitcnt lgkmcnt(0)
	s_cmp_lg_u64 s[8:9], 0
	s_cselect_b64 s[10:11], -1, 0
	s_and_b64 vcc, exec, s[10:11]
	s_cbranch_vccz .LBB745_7
; %bb.1:
	s_add_i32 s12, s2, 1
	s_mov_b32 s13, 0
	s_lshl_b64 s[14:15], s[12:13], 2
	s_add_u32 s14, s8, s14
	s_mov_b32 s3, s13
	s_addc_u32 s15, s9, s15
	s_lshl_b64 s[12:13], s[2:3], 2
	s_add_u32 s12, s8, s12
	s_addc_u32 s13, s9, s13
	s_load_dword s5, s[14:15], 0x0
	s_load_dword s16, s[12:13], 0x0
	s_waitcnt lgkmcnt(0)
	s_sub_i32 s5, s5, s16
	s_cmp_eq_u32 s5, 1
	s_cselect_b64 s[12:13], -1, 0
	s_andn2_b64 vcc, exec, s[6:7]
	s_cbranch_vccnz .LBB745_3
.LBB745_2:
	s_mov_b32 s3, 0
	s_mov_b64 s[12:13], -1
.LBB745_3:
	s_andn2_b64 vcc, exec, s[12:13]
	s_cbranch_vccnz .LBB745_21
; %bb.4:
	s_load_dwordx2 s[6:7], s[0:1], 0x28
	s_lshl_b64 s[12:13], s[2:3], 2
	s_waitcnt lgkmcnt(0)
	s_add_u32 s6, s6, s12
	s_addc_u32 s7, s7, s13
	s_load_dword s33, s[6:7], 0x0
	s_lshl_b32 s18, s26, 8
	s_waitcnt lgkmcnt(0)
	s_cmp_ge_i32 s18, s33
	s_cbranch_scc1 .LBB745_21
; %bb.5:
	s_load_dwordx2 s[6:7], s[0:1], 0x20
	s_load_dword s5, s[0:1], 0x38
	s_add_i32 s14, s33, 31
	s_ashr_i32 s15, s14, 31
	v_and_b32_e32 v1, 0xcf, v0
	s_lshr_b32 s15, s15, 27
	v_add_u32_e32 v1, s18, v1
	s_add_i32 s14, s14, s15
	v_ashrrev_i32_e32 v2, 31, v1
	s_ashr_i32 s19, s14, 5
	v_lshrrev_b32_e32 v4, 27, v2
	s_add_i32 s19, s19, -1
	s_waitcnt lgkmcnt(0)
	s_mul_i32 s14, s2, s5
	s_mov_b32 s15, 0
	v_add_u32_e32 v2, v1, v4
	s_lshl_b64 s[14:15], s[14:15], 2
	v_ashrrev_i32_e32 v2, 5, v2
	v_mov_b32_e32 v5, s19
	v_cmp_gt_i32_e32 vcc, s33, v1
	s_add_u32 s6, s6, s14
	s_addc_u32 s7, s7, s15
	v_cndmask_b32_e32 v2, v5, v2, vcc
	v_ashrrev_i32_e32 v3, 31, v2
	v_lshl_add_u64 v[6:7], v[2:3], 2, s[6:7]
	v_or_b32_e32 v2, 16, v1
	v_add_u32_e32 v3, v2, v4
	v_ashrrev_i32_e32 v3, 5, v3
	v_cmp_gt_i32_e32 vcc, s33, v2
	s_nop 1
	v_cndmask_b32_e32 v2, v5, v3, vcc
	v_ashrrev_i32_e32 v3, 31, v2
	v_lshl_add_u64 v[8:9], v[2:3], 2, s[6:7]
	v_or_b32_e32 v2, 32, v1
	v_add_u32_e32 v3, v2, v4
	v_ashrrev_i32_e32 v3, 5, v3
	v_cmp_gt_i32_e32 vcc, s33, v2
	v_or_b32_e32 v1, 48, v1
	s_nop 0
	v_cndmask_b32_e32 v2, v5, v3, vcc
	v_ashrrev_i32_e32 v3, 31, v2
	v_lshl_add_u64 v[10:11], v[2:3], 2, s[6:7]
	v_add_u32_e32 v2, v1, v4
	v_ashrrev_i32_e32 v2, 5, v2
	v_cmp_gt_i32_e32 vcc, s33, v1
	s_nop 1
	v_cndmask_b32_e32 v2, v5, v2, vcc
	v_ashrrev_i32_e32 v3, 31, v2
	v_lshl_add_u64 v[12:13], v[2:3], 2, s[6:7]
	global_load_dword v5, v[6:7], off
	global_load_dword v4, v[8:9], off
	;; [unrolled: 1-line block ×4, first 2 shown]
	s_andn2_b64 vcc, exec, s[10:11]
	s_cbranch_vccnz .LBB745_8
; %bb.6:
	s_add_u32 s8, s8, s12
	s_addc_u32 s9, s9, s13
	s_load_dword s5, s[8:9], 0x0
	s_branch .LBB745_9
.LBB745_7:
	s_mov_b64 s[12:13], 0
	s_branch .LBB745_2
.LBB745_8:
	s_mov_b32 s5, s2
.LBB745_9:
	s_load_dwordx2 s[14:15], s[0:1], 0x8
	s_load_dwordx4 s[8:11], s[0:1], 0x48
	v_lshrrev_b32_e32 v87, 6, v0
	v_bfe_u32 v1, v0, 4, 2
	v_lshl_or_b32 v6, v87, 2, v1
	v_and_b32_e32 v88, 15, v0
	v_lshlrev_b32_e32 v82, 3, v88
	v_cmp_lt_u32_e32 vcc, 1, v6
	s_and_saveexec_b64 s[12:13], vcc
	s_xor_b64 s[12:13], exec, s[12:13]
; %bb.10:
	v_mov_b32_e32 v83, 0
                                        ; implicit-def: $vgpr6
; %bb.11:
	s_or_saveexec_b64 s[16:17], s[12:13]
	s_load_dwordx2 s[12:13], s[0:1], 0x10
	s_lshl_b32 s27, s4, 1
	s_xor_b64 exec, exec, s[16:17]
	s_cbranch_execz .LBB745_13
; %bb.12:
	s_load_dwordx2 s[20:21], s[0:1], 0x0
	s_waitcnt lgkmcnt(0)
	s_ashr_i32 s11, s8, 31
	s_mul_hi_u32 s22, s5, s8
	s_mul_i32 s11, s5, s11
	s_add_i32 s23, s22, s11
	s_mul_i32 s22, s5, s8
	s_lshl_b64 s[22:23], s[22:23], 1
	s_add_u32 s20, s20, s22
	v_add_lshl_u32 v8, v1, s27, 7
	s_addc_u32 s21, s21, s23
	v_ashrrev_i32_e32 v9, 31, v8
	v_mov_b32_e32 v83, 0
	v_lshl_add_u64 v[8:9], v[8:9], 1, s[20:21]
	v_lshlrev_b32_e32 v10, 1, v82
	v_mov_b32_e32 v11, v83
	v_lshl_add_u64 v[8:9], v[8:9], 0, v[10:11]
	global_load_dwordx4 v[8:11], v[8:9], off
	v_and_b32_e32 v7, 3, v0
	v_lshlrev_b32_e32 v12, 9, v88
	v_lshlrev_b32_e32 v6, 5, v6
	;; [unrolled: 1-line block ×3, first 2 shown]
	v_and_b32_e32 v12, 0x1800, v12
	v_or3_b32 v6, v12, v7, v6
	s_waitcnt vmcnt(0)
	ds_write_b128 v6, v[8:11]
.LBB745_13:
	s_or_b64 exec, exec, s[16:17]
	s_waitcnt lgkmcnt(0)
	s_mul_i32 s4, s4, s10
	s_mov_b32 s5, 0
	s_lshl_b64 s[4:5], s[4:5], 1
	s_add_u32 s10, s14, s4
	s_addc_u32 s11, s15, s5
	s_waitcnt vmcnt(3)
	v_mad_i64_i32 v[6:7], s[14:15], v5, s9, 0
	v_lshl_add_u64 v[6:7], v[6:7], 1, s[10:11]
	v_lshlrev_b64 v[8:9], 1, v[82:83]
	v_lshlrev_b32_e32 v84, 9, v1
	v_lshl_add_u64 v[6:7], v[6:7], 0, v[8:9]
	v_mov_b32_e32 v85, 0
	v_lshl_add_u64 v[10:11], v[6:7], 0, v[84:85]
	v_or_b32_e32 v14, 0x1000, v84
	v_mov_b32_e32 v15, v85
	v_or_b32_e32 v16, 0x1800, v84
	v_mov_b32_e32 v17, v85
	s_barrier
	global_load_dwordx4 v[66:69], v[10:11], off
	global_load_dwordx4 v[62:65], v[10:11], off offset:2048
	v_lshl_add_u64 v[10:11], v[6:7], 0, v[14:15]
	v_lshl_add_u64 v[6:7], v[6:7], 0, v[16:17]
	global_load_dwordx4 v[78:81], v[10:11], off
	global_load_dwordx4 v[74:77], v[6:7], off
	s_waitcnt vmcnt(6)
	v_mad_i64_i32 v[4:5], s[14:15], v4, s9, 0
	v_mov_b32_e32 v6, 0x100
	v_lshl_add_u64 v[4:5], v[4:5], 1, s[10:11]
	v_lshl_or_b32 v6, v88, 4, v6
	v_mov_b32_e32 v7, v85
	v_lshl_add_u64 v[4:5], v[4:5], 0, v[6:7]
	v_lshl_add_u64 v[10:11], v[4:5], 0, v[84:85]
	global_load_dwordx4 v[70:73], v[10:11], off
	global_load_dwordx4 v[58:61], v[10:11], off offset:2048
	v_lshl_add_u64 v[10:11], v[4:5], 0, v[14:15]
	v_lshl_add_u64 v[4:5], v[4:5], 0, v[16:17]
	global_load_dwordx4 v[54:57], v[10:11], off
	global_load_dwordx4 v[30:33], v[4:5], off
	s_waitcnt vmcnt(9)
	v_mad_i64_i32 v[4:5], s[14:15], v3, s9, 0
	v_lshl_add_u64 v[4:5], v[4:5], 1, s[10:11]
	s_waitcnt vmcnt(8)
	v_mad_i64_i32 v[2:3], s[14:15], v2, s9, 0
	v_lshl_add_u64 v[4:5], v[4:5], 0, v[8:9]
	v_lshl_add_u64 v[2:3], v[2:3], 1, s[10:11]
	;; [unrolled: 1-line block ×4, first 2 shown]
	global_load_dwordx4 v[26:29], v[8:9], off
	global_load_dwordx4 v[22:25], v[8:9], off offset:2048
	v_lshl_add_u64 v[8:9], v[4:5], 0, v[14:15]
	v_lshl_add_u64 v[4:5], v[4:5], 0, v[16:17]
	;; [unrolled: 1-line block ×4, first 2 shown]
	global_load_dwordx4 v[18:21], v[8:9], off
	global_load_dwordx4 v[10:13], v[4:5], off
	s_nop 0
	global_load_dwordx4 v[6:9], v[2:3], off
	s_nop 0
	global_load_dwordx4 v[2:5], v[2:3], off offset:2048
	v_lshl_add_u64 v[16:17], v[34:35], 0, v[16:17]
	global_load_dwordx4 v[42:45], v[14:15], off
	global_load_dwordx4 v[34:37], v[16:17], off
	v_and_b32_e32 v14, 1, v0
	v_lshl_or_b32 v38, v14, 5, v84
	ds_read_b128 v[14:17], v38
	ds_read_b128 v[50:53], v38 offset:2048
	ds_read_b128 v[46:49], v38 offset:4096
	;; [unrolled: 1-line block ×3, first 2 shown]
	v_cmp_gt_u32_e32 vcc, 2, v88
	v_mov_b32_e32 v89, 0
	s_and_saveexec_b64 s[10:11], vcc
	s_cbranch_execz .LBB745_15
; %bb.14:
	s_load_dwordx2 s[14:15], s[0:1], 0x40
	v_or_b32_e32 v90, s27, v88
	v_ashrrev_i32_e32 v91, 31, v90
	s_waitcnt lgkmcnt(0)
	v_lshl_add_u64 v[90:91], v[90:91], 2, s[14:15]
	global_load_dword v89, v[90:91], off
.LBB745_15:
	s_or_b64 exec, exec, s[10:11]
	s_waitcnt vmcnt(15) lgkmcnt(3)
	v_mfma_f32_16x16x16_bf16 v[90:93], v[66:67], v[14:15], 0
	s_ashr_i32 s8, s18, 31
	s_lshr_b32 s8, s8, 27
	s_add_u32 s4, s12, s4
	v_mfma_f32_16x16x16_bf16 v[66:69], v[68:69], v[16:17], v[90:93]
	s_addc_u32 s5, s13, s5
	s_mov_b32 s40, 0xff7fffff
	s_waitcnt vmcnt(14) lgkmcnt(2)
	v_mfma_f32_16x16x16_bf16 v[66:69], v[62:63], v[50:51], v[66:69]
	v_lshl_or_b32 v90, v87, 4, v88
	v_mfma_f32_16x16x16_bf16 v[62:65], v[64:65], v[52:53], v[66:69]
	s_waitcnt vmcnt(13) lgkmcnt(1)
	v_mfma_f32_16x16x16_bf16 v[62:65], v[78:79], v[46:47], v[62:65]
	v_mfma_f32_16x16x16_bf16 v[62:65], v[80:81], v[48:49], v[62:65]
	s_waitcnt vmcnt(12) lgkmcnt(0)
	v_mfma_f32_16x16x16_bf16 v[62:65], v[74:75], v[38:39], v[62:65]
	v_and_or_b32 v74, v0, 48, s18
	v_add_u32_e32 v66, s8, v74
	v_ashrrev_i32_e32 v75, 5, v66
	s_waitcnt vmcnt(11)
	v_mfma_f32_16x16x16_bf16 v[66:69], v[70:71], v[14:15], 0
	v_cmp_gt_i32_e32 vcc, s33, v74
	v_mfma_f32_16x16x16_bf16 v[66:69], v[72:73], v[16:17], v[66:69]
	v_or_b32_e32 v72, 64, v74
	v_add_u32_e32 v73, s8, v72
	s_waitcnt vmcnt(10)
	v_mfma_f32_16x16x16_bf16 v[66:69], v[58:59], v[50:51], v[66:69]
	v_ashrrev_i32_e32 v58, 5, v73
	v_mfma_f32_16x16x16_bf16 v[62:65], v[76:77], v[40:41], v[62:65]
	v_mov_b32_e32 v76, s19
	v_cndmask_b32_e32 v70, v76, v75, vcc
	v_cmp_gt_i32_e32 vcc, s33, v72
	v_ashrrev_i32_e32 v71, 31, v70
	v_lshl_add_u64 v[70:71], v[70:71], 2, s[6:7]
	v_cndmask_b32_e32 v72, v76, v58, vcc
	v_mfma_f32_16x16x16_bf16 v[58:61], v[60:61], v[52:53], v[66:69]
	v_ashrrev_i32_e32 v73, 31, v72
	s_waitcnt vmcnt(9)
	v_mfma_f32_16x16x16_bf16 v[58:61], v[54:55], v[46:47], v[58:61]
	v_lshl_add_u64 v[66:67], v[72:73], 2, s[6:7]
	global_load_dword v68, v[70:71], off
	s_nop 0
	global_load_dword v66, v[66:67], off
	v_or_b32_e32 v67, 0x80, v74
	v_add_u32_e32 v69, s8, v67
	v_mfma_f32_16x16x16_bf16 v[54:57], v[56:57], v[48:49], v[58:61]
	v_cmp_gt_i32_e32 vcc, s33, v67
	s_nop 1
	v_ashrrev_i32_e32 v58, 5, v69
	v_cndmask_b32_e32 v58, v76, v58, vcc
	v_ashrrev_i32_e32 v59, 31, v58
	s_waitcnt vmcnt(10)
	v_mfma_f32_16x16x16_bf16 v[54:57], v[30:31], v[38:39], v[54:57]
	v_lshl_add_u64 v[30:31], v[58:59], 2, s[6:7]
	global_load_dword v70, v[30:31], off
	v_mfma_f32_16x16x16_bf16 v[58:61], v[32:33], v[40:41], v[54:57]
	s_nop 3
	v_or_b32_e32 v54, 0xc0, v74
	v_add_u32_e32 v30, s8, v54
	v_ashrrev_i32_e32 v55, 5, v30
	v_cmp_gt_i32_e32 vcc, s33, v54
	s_waitcnt vmcnt(10)
	v_mfma_f32_16x16x16_bf16 v[30:33], v[26:27], v[14:15], 0
	v_cndmask_b32_e32 v26, v76, v55, vcc
	v_ashrrev_i32_e32 v27, 31, v26
	v_lshl_add_u64 v[54:55], v[26:27], 2, s[6:7]
	global_load_dword v71, v[54:55], off
	v_mfma_f32_16x16x16_bf16 v[26:29], v[28:29], v[16:17], v[30:33]
	s_load_dword s6, s[0:1], 0x1c
	s_waitcnt vmcnt(10)
	v_mfma_f32_16x16x16_bf16 v[26:29], v[22:23], v[50:51], v[26:29]
	v_and_b32_e32 v30, 16, v0
	v_lshlrev_b32_e32 v84, 1, v30
	v_lshl_add_u64 v[74:75], s[4:5], 0, v[84:85]
	v_mfma_f32_16x16x16_bf16 v[22:25], v[24:25], v[52:53], v[26:29]
	v_lshlrev_b32_e32 v84, 6, v90
	v_lshl_add_u64 v[76:77], v[74:75], 0, v[84:85]
	v_or_b32_e32 v84, 0x1000, v84
	s_waitcnt vmcnt(9)
	v_mfma_f32_16x16x16_bf16 v[22:25], v[18:19], v[46:47], v[22:25]
	v_lshl_add_u64 v[80:81], v[74:75], 0, v[84:85]
	s_waitcnt lgkmcnt(0)
	v_pk_mul_f32 v[74:75], s[6:7], v[60:61] op_sel_hi:[0,1]
	v_mfma_f32_16x16x16_bf16 v[18:21], v[20:21], v[48:49], v[22:25]
	s_waitcnt vmcnt(8)
	v_mfma_f32_16x16x16_bf16 v[18:21], v[10:11], v[38:39], v[18:21]
	s_waitcnt vmcnt(3)
	v_mad_i64_i32 v[22:23], s[4:5], v68, s9, 0
	s_waitcnt vmcnt(2)
	v_mad_i64_i32 v[10:11], s[4:5], v66, s9, 0
	v_lshlrev_b64 v[78:79], 1, v[22:23]
	v_lshlrev_b64 v[54:55], 1, v[10:11]
	v_lshl_add_u64 v[22:23], v[76:77], 0, v[78:79]
	v_lshl_add_u64 v[10:11], v[76:77], 0, v[54:55]
	global_load_dwordx4 v[30:33], v[22:23], off
	global_load_dwordx4 v[26:29], v[22:23], off offset:16
	v_mfma_f32_16x16x16_bf16 v[66:69], v[12:13], v[40:41], v[18:21]
	global_load_dwordx4 v[22:25], v[10:11], off
	s_nop 1
	global_load_dwordx4 v[18:21], v[10:11], off offset:16
	v_mfma_f32_16x16x16_bf16 v[10:13], v[6:7], v[14:15], 0
	s_waitcnt vmcnt(5)
	v_mad_i64_i32 v[6:7], s[4:5], v70, s9, 0
	v_lshlrev_b64 v[56:57], 1, v[6:7]
	v_mfma_f32_16x16x16_bf16 v[6:9], v[8:9], v[16:17], v[10:13]
	v_mfma_f32_16x16x16_bf16 v[6:9], v[2:3], v[50:51], v[6:9]
	s_nop 1
	v_lshl_add_u64 v[10:11], v[76:77], 0, v[56:57]
	global_load_dwordx4 v[14:17], v[10:11], off
	s_nop 0
	global_load_dwordx4 v[10:13], v[10:11], off offset:16
	s_waitcnt vmcnt(6)
	v_mad_i64_i32 v[2:3], s[4:5], v71, s9, 0
	v_mfma_f32_16x16x16_bf16 v[70:73], v[4:5], v[52:53], v[6:9]
	v_pk_mul_f32 v[52:53], s[6:7], v[62:63] op_sel_hi:[0,1]
	v_lshlrev_b64 v[50:51], 1, v[2:3]
	v_lshl_add_u64 v[2:3], v[76:77], 0, v[50:51]
	v_mfma_f32_16x16x16_bf16 v[70:73], v[42:43], v[46:47], v[70:73]
	v_lshl_add_u64 v[42:43], v[80:81], 0, v[78:79]
	v_pk_mul_f32 v[78:79], s[6:7], v[64:65] op_sel_hi:[0,1]
	v_pk_mul_f32 v[76:77], s[6:7], v[58:59] op_sel_hi:[0,1]
	v_mfma_f32_16x16x16_bf16 v[44:47], v[44:45], v[48:49], v[70:73]
	v_lshl_add_u64 v[50:51], v[80:81], 0, v[50:51]
	global_load_dwordx4 v[6:9], v[2:3], off
	s_nop 0
	global_load_dwordx4 v[2:5], v[2:3], off offset:16
	v_pk_mul_f32 v[70:71], s[6:7], v[68:69] op_sel_hi:[0,1]
	v_mfma_f32_16x16x16_bf16 v[44:47], v[34:35], v[38:39], v[44:47]
	v_pk_mul_f32 v[72:73], s[6:7], v[66:67] op_sel_hi:[0,1]
	v_mfma_f32_16x16x16_bf16 v[34:37], v[36:37], v[40:41], v[44:47]
	s_nop 6
	v_pk_mul_f32 v[68:69], s[6:7], v[34:35] op_sel_hi:[0,1]
	v_and_b32_e32 v34, 0xc0, v0
	v_add_u32_e32 v34, s18, v34
	v_lshl_or_b32 v34, v1, 2, v34
	v_or_b32_e32 v35, 1, v34
	v_pk_mul_f32 v[66:67], s[6:7], v[36:37] op_sel_hi:[0,1]
	v_subrev_u32_e32 v36, s33, v35
	v_add_u32_e32 v38, 1, v36
	v_add_u32_e32 v39, 2, v36
	v_cvt_f32_i32_e32 v37, v36
	v_cvt_f32_i32_e32 v38, v38
	;; [unrolled: 1-line block ×3, first 2 shown]
	v_add_u32_e32 v40, 3, v36
	v_fma_f32 v52, v89, v37, v52
	v_fmac_f32_e32 v53, v89, v38
	v_fma_f32 v78, v89, v39, v78
	v_add_u32_e32 v37, 16, v36
	v_add_u32_e32 v38, 17, v36
	;; [unrolled: 1-line block ×3, first 2 shown]
	v_cvt_f32_i32_e32 v40, v40
	v_cvt_f32_i32_e32 v37, v37
	;; [unrolled: 1-line block ×4, first 2 shown]
	v_fmac_f32_e32 v79, v89, v40
	v_add_u32_e32 v40, 19, v36
	v_fma_f32 v76, v89, v37, v76
	v_fmac_f32_e32 v77, v89, v38
	v_fma_f32 v74, v89, v39, v74
	v_add_u32_e32 v37, 32, v36
	v_add_u32_e32 v38, 33, v36
	;; [unrolled: 1-line block ×3, first 2 shown]
	v_cvt_f32_i32_e32 v40, v40
	v_cvt_f32_i32_e32 v37, v37
	;; [unrolled: 1-line block ×4, first 2 shown]
	v_fmac_f32_e32 v75, v89, v40
	v_add_u32_e32 v40, 35, v36
	v_fma_f32 v72, v89, v37, v72
	v_fmac_f32_e32 v73, v89, v38
	v_fma_f32 v70, v89, v39, v70
	v_add_u32_e32 v37, 48, v36
	v_add_u32_e32 v38, 49, v36
	;; [unrolled: 1-line block ×4, first 2 shown]
	v_cvt_f32_i32_e32 v36, v36
	v_cvt_f32_i32_e32 v37, v37
	;; [unrolled: 1-line block ×3, first 2 shown]
	v_cmp_gt_i32_e64 s[28:29], s33, v34
	v_fmac_f32_e32 v67, v89, v36
	v_mov_b32_e32 v36, 0xff7fffff
	v_cmp_gt_i32_e64 s[30:31], s33, v35
	v_fma_f32 v68, v89, v37, v68
	v_cndmask_b32_e64 v37, v36, v52, s[28:29]
	v_cndmask_b32_e64 v35, v36, v53, s[30:31]
	v_fmac_f32_e32 v69, v89, v38
	v_max3_f32 v35, v37, s40, v35
	v_or_b32_e32 v37, 2, v34
	v_or_b32_e32 v38, 3, v34
	v_cmp_gt_i32_e64 s[34:35], s33, v37
	v_cmp_gt_i32_e64 s[36:37], s33, v38
	v_cvt_f32_i32_e32 v40, v40
	v_cndmask_b32_e64 v37, v36, v78, s[34:35]
	v_cndmask_b32_e64 v38, v36, v79, s[36:37]
	v_max3_f32 v35, v35, v37, v38
	v_or_b32_e32 v37, 16, v34
	v_or_b32_e32 v38, 17, v34
	v_cmp_gt_i32_e64 s[22:23], s33, v37
	v_cmp_gt_i32_e64 s[24:25], s33, v38
	v_fmac_f32_e32 v71, v89, v40
	v_cndmask_b32_e64 v37, v36, v76, s[22:23]
	v_cndmask_b32_e64 v38, v36, v77, s[24:25]
	v_max3_f32 v35, v35, v37, v38
	v_or_b32_e32 v37, 18, v34
	v_or_b32_e32 v38, 19, v34
	v_cmp_gt_i32_e64 s[18:19], s33, v37
	v_cmp_gt_i32_e64 s[20:21], s33, v38
	v_cvt_f32_i32_e32 v39, v39
	v_cndmask_b32_e64 v37, v36, v74, s[18:19]
	v_cndmask_b32_e64 v38, v36, v75, s[20:21]
	v_max3_f32 v35, v35, v37, v38
	v_or_b32_e32 v37, 32, v34
	v_or_b32_e32 v38, 33, v34
	v_cmp_gt_i32_e64 s[14:15], s33, v37
	v_cmp_gt_i32_e64 s[16:17], s33, v38
	v_fma_f32 v66, v89, v39, v66
	v_cndmask_b32_e64 v37, v36, v72, s[14:15]
	v_cndmask_b32_e64 v38, v36, v73, s[16:17]
	v_max3_f32 v35, v35, v37, v38
	v_or_b32_e32 v37, 34, v34
	v_or_b32_e32 v38, 35, v34
	v_cmp_gt_i32_e64 s[10:11], s33, v37
	v_cmp_gt_i32_e64 s[12:13], s33, v38
	v_and_b32_e32 v1, 63, v0
	v_cndmask_b32_e64 v37, v36, v70, s[10:11]
	v_cndmask_b32_e64 v38, v36, v71, s[12:13]
	v_max3_f32 v35, v35, v37, v38
	v_or_b32_e32 v37, 48, v34
	v_or_b32_e32 v38, 49, v34
	v_cmp_gt_i32_e64 s[6:7], s33, v37
	v_cmp_gt_i32_e64 s[8:9], s33, v38
	s_nop 0
	v_cndmask_b32_e64 v37, v36, v68, s[6:7]
	v_cndmask_b32_e64 v38, v36, v69, s[8:9]
	v_max3_f32 v35, v35, v37, v38
	v_or_b32_e32 v37, 50, v34
	v_or_b32_e32 v34, 51, v34
	v_cmp_gt_i32_e32 vcc, s33, v37
	v_cmp_gt_i32_e64 s[4:5], s33, v34
	global_load_dwordx4 v[46:49], v[42:43], off
	global_load_dwordx4 v[38:41], v[42:43], off offset:16
	v_cndmask_b32_e32 v37, v36, v66, vcc
	v_cndmask_b32_e64 v34, v36, v67, s[4:5]
	v_max3_f32 v58, v35, v37, v34
	v_mbcnt_lo_u32_b32 v34, -1, 0
	v_mbcnt_hi_u32_b32 v59, -1, v34
	v_and_b32_e32 v34, 64, v59
	v_add_u32_e32 v60, 64, v34
	v_xor_b32_e32 v34, 32, v59
	v_cmp_lt_i32_e64 s[38:39], v34, v60
	s_nop 1
	v_cndmask_b32_e64 v34, v59, v34, s[38:39]
	v_lshlrev_b32_e32 v85, 2, v34
	ds_bpermute_b32 v61, v85, v58
	v_lshl_add_u64 v[34:35], v[80:81], 0, v[54:55]
	global_load_dwordx4 v[42:45], v[34:35], off
	s_nop 0
	global_load_dwordx4 v[34:37], v[34:35], off offset:16
	s_waitcnt lgkmcnt(0)
	v_max_f32_e32 v54, v61, v61
	v_max_f32_e32 v62, v58, v54
	v_xor_b32_e32 v54, 16, v59
	v_cmp_lt_i32_e64 s[38:39], v54, v60
	s_nop 1
	v_cndmask_b32_e64 v54, v59, v54, s[38:39]
	v_lshlrev_b32_e32 v89, 2, v54
	ds_bpermute_b32 v63, v89, v62
	v_lshl_add_u64 v[54:55], v[80:81], 0, v[56:57]
	global_load_dwordx4 v[58:61], v[54:55], off
	s_nop 0
	global_load_dwordx4 v[54:57], v[54:55], off offset:16
	s_waitcnt lgkmcnt(0)
	v_max_f32_e32 v63, v63, v63
	v_max_f32_e32 v84, v62, v63
	v_sub_f32_e32 v52, v52, v84
	v_mul_f32_e32 v52, 0x3fb8aa3b, v52
	v_exp_f32_e32 v80, v52
	v_sub_f32_e32 v52, v53, v84
	v_mul_f32_e32 v52, 0x3fb8aa3b, v52
	v_exp_f32_e32 v81, v52
	global_load_dwordx4 v[62:65], v[50:51], off
	s_nop 0
	global_load_dwordx4 v[50:53], v[50:51], off offset:16
	v_sub_f32_e32 v78, v78, v84
	v_mul_f32_e32 v78, 0x3fb8aa3b, v78
	v_sub_f32_e32 v79, v79, v84
	v_exp_f32_e32 v78, v78
	v_mul_f32_e32 v79, 0x3fb8aa3b, v79
	v_sub_f32_e32 v76, v76, v84
	v_exp_f32_e32 v79, v79
	v_mul_f32_e32 v76, 0x3fb8aa3b, v76
	v_sub_f32_e32 v77, v77, v84
	v_cndmask_b32_e64 v80, 0, v80, s[28:29]
	v_exp_f32_e32 v76, v76
	v_mul_f32_e32 v77, 0x3fb8aa3b, v77
	v_sub_f32_e32 v74, v74, v84
	v_add_f32_e32 v91, 0, v80
	v_cndmask_b32_e64 v81, 0, v81, s[30:31]
	v_exp_f32_e32 v77, v77
	v_mul_f32_e32 v74, 0x3fb8aa3b, v74
	v_sub_f32_e32 v75, v75, v84
	v_add_f32_e32 v91, v91, v81
	;; [unrolled: 5-line block ×10, first 2 shown]
	v_cndmask_b32_e64 v70, 0, v70, s[10:11]
	v_exp_f32_e32 v66, v66
	v_mul_f32_e32 v67, 0x3fb8aa3b, v67
	v_add_f32_e32 v91, v91, v70
	v_cndmask_b32_e64 v71, 0, v71, s[12:13]
	v_exp_f32_e32 v67, v67
	v_add_f32_e32 v91, v91, v71
	v_cndmask_b32_e64 v68, 0, v68, s[6:7]
	v_add_f32_e32 v91, v91, v68
	v_cndmask_b32_e64 v69, 0, v69, s[8:9]
	v_add_f32_e32 v91, v91, v69
	v_cndmask_b32_e32 v66, 0, v66, vcc
	v_add_f32_e32 v91, v91, v66
	v_cndmask_b32_e64 v67, 0, v67, s[4:5]
	v_add_f32_e32 v91, v91, v67
	ds_bpermute_b32 v85, v85, v91
	s_load_dword s7, s[0:1], 0x98
	v_cmp_gt_u32_e32 vcc, 16, v1
	s_waitcnt lgkmcnt(0)
	s_barrier
	v_add_f32_e32 v85, v91, v85
	ds_bpermute_b32 v89, v89, v85
	s_waitcnt lgkmcnt(0)
	s_and_saveexec_b64 s[4:5], vcc
	s_cbranch_execz .LBB745_17
; %bb.16:
	v_add_f32_e32 v85, v85, v89
	v_lshlrev_b32_e32 v89, 2, v90
	ds_write2st64_b32 v89, v84, v85 offset1:1
.LBB745_17:
	s_or_b64 exec, exec, s[4:5]
	v_lshlrev_b32_e32 v85, 2, v88
	s_load_dword s6, s[0:1], 0x94
	s_waitcnt lgkmcnt(0)
	s_barrier
	ds_read2_b32 v[90:91], v85 offset1:16
	ds_read2_b32 v[92:93], v85 offset0:32 offset1:48
	ds_read2_b32 v[94:95], v85 offset0:64 offset1:80
	s_movk_i32 s8, 0x7fff
	s_mov_b32 s9, 0x7060302
	s_waitcnt lgkmcnt(2)
	v_max3_f32 v84, v90, s40, v91
	s_waitcnt lgkmcnt(1)
	v_max3_f32 v84, v84, v92, v93
	v_sub_f32_e32 v89, v90, v84
	v_sub_f32_e32 v90, v91, v84
	v_mul_f32_e32 v90, 0x3fb8aa3b, v90
	v_mul_f32_e32 v89, 0x3fb8aa3b, v89
	v_exp_f32_e32 v87, v90
	v_sub_f32_e32 v90, v92, v84
	v_exp_f32_e32 v89, v89
	v_mul_f32_e32 v90, 0x3fb8aa3b, v90
	v_exp_f32_e32 v92, v90
	ds_read2_b32 v[90:91], v85 offset0:96 offset1:112
	v_sub_f32_e32 v85, v93, v84
	v_mul_f32_e32 v85, 0x3fb8aa3b, v85
	v_exp_f32_e32 v93, v85
	s_waitcnt lgkmcnt(1)
	v_fma_f32 v85, v89, v94, 0
	v_fmac_f32_e32 v85, v87, v95
	s_waitcnt lgkmcnt(0)
	v_fmac_f32_e32 v85, v92, v90
	v_fmac_f32_e32 v85, v93, v91
	v_add_f32_e32 v90, 0x358637bd, v85
	v_div_scale_f32 v91, s[4:5], v90, v90, 1.0
	v_rcp_f32_e32 v94, v91
	s_lshl_b32 s7, s7, 1
	s_barrier
	v_fma_f32 v95, -v91, v94, 1.0
	v_fmac_f32_e32 v94, v95, v94
	v_div_scale_f32 v95, vcc, 1.0, v90, 1.0
	v_mul_f32_e32 v1, v95, v94
	v_fma_f32 v86, -v91, v1, v95
	v_fmac_f32_e32 v1, v86, v94
	v_fma_f32 v86, -v91, v1, v95
	v_mov_b32_e32 v91, v88
	v_lshrrev_b32_e32 v88, 6, v0
	v_div_fmas_f32 v1, v86, v94, v1
	v_cmp_eq_u32_e32 vcc, 1, v88
	v_div_fixup_f32 v1, v1, v90, 1.0
	s_nop 0
	v_cndmask_b32_e32 v86, v89, v87, vcc
	v_cmp_eq_u32_e32 vcc, 2, v88
	v_bfe_u32 v87, v0, 4, 2
	s_nop 0
	v_cndmask_b32_e32 v86, v86, v92, vcc
	v_cmp_eq_u32_e32 vcc, 3, v88
	s_nop 1
	v_cndmask_b32_e32 v86, v86, v93, vcc
	v_mul_f32_e32 v90, v86, v1
	v_pk_mul_f32 v[80:81], v[90:91], v[80:81] op_sel_hi:[0,1]
	v_bfe_u32 v1, v81, 16, 1
	v_bfe_u32 v86, v80, 16, 1
	v_pk_mul_f32 v[78:79], v[90:91], v[78:79] op_sel_hi:[0,1]
	v_add3_u32 v80, v80, v86, s8
	v_add3_u32 v1, v81, v1, s8
	v_perm_b32 v80, v1, v80, s9
	v_bfe_u32 v1, v79, 16, 1
	v_bfe_u32 v81, v78, 16, 1
	v_add3_u32 v78, v78, v81, s8
	v_add3_u32 v1, v79, v1, s8
	v_perm_b32 v81, v1, v78, s9
	v_lshlrev_b32_e32 v1, 3, v87
	v_lshlrev_b32_e32 v79, 5, v91
	v_lshlrev_b32_e32 v78, 11, v88
	v_pk_mul_f32 v[76:77], v[90:91], v[76:77] op_sel_hi:[0,1]
	v_or3_b32 v78, v78, v79, v1
	v_bfe_u32 v1, v77, 16, 1
	v_bfe_u32 v86, v76, 16, 1
	v_pk_mul_f32 v[74:75], v[90:91], v[74:75] op_sel_hi:[0,1]
	v_add3_u32 v76, v76, v86, s8
	v_add3_u32 v1, v77, v1, s8
	v_perm_b32 v76, v1, v76, s9
	v_bfe_u32 v1, v75, 16, 1
	v_bfe_u32 v77, v74, 16, 1
	v_add3_u32 v74, v74, v77, s8
	v_add3_u32 v1, v75, v1, s8
	v_pk_mul_f32 v[72:73], v[90:91], v[72:73] op_sel_hi:[0,1]
	v_perm_b32 v77, v1, v74, s9
	v_bfe_u32 v1, v73, 16, 1
	v_bfe_u32 v74, v72, 16, 1
	v_pk_mul_f32 v[70:71], v[90:91], v[70:71] op_sel_hi:[0,1]
	v_add3_u32 v72, v72, v74, s8
	v_add3_u32 v1, v73, v1, s8
	v_perm_b32 v72, v1, v72, s9
	v_bfe_u32 v1, v71, 16, 1
	v_bfe_u32 v73, v70, 16, 1
	v_add3_u32 v70, v70, v73, s8
	v_add3_u32 v1, v71, v1, s8
	v_pk_mul_f32 v[68:69], v[90:91], v[68:69] op_sel_hi:[0,1]
	v_perm_b32 v73, v1, v70, s9
	v_bfe_u32 v1, v69, 16, 1
	v_bfe_u32 v70, v68, 16, 1
	v_pk_mul_f32 v[66:67], v[90:91], v[66:67] op_sel_hi:[0,1]
	v_add3_u32 v68, v68, v70, s8
	v_add3_u32 v1, v69, v1, s8
	v_perm_b32 v68, v1, v68, s9
	v_bfe_u32 v1, v67, 16, 1
	v_bfe_u32 v69, v66, 16, 1
	v_add3_u32 v66, v66, v69, s8
	v_add3_u32 v1, v67, v1, s8
	v_perm_b32 v69, v1, v66, s9
	v_cmp_gt_u32_e32 vcc, 2, v0
	ds_write2st64_b64 v78, v[80:81], v[76:77] offset1:1
	ds_write2st64_b64 v78, v[72:73], v[68:69] offset0:2 offset1:3
	s_and_saveexec_b64 s[4:5], vcc
	s_cbranch_execz .LBB745_19
; %bb.18:
	v_or_b32_e32 v66, s27, v0
	v_mov_b32_e32 v67, 0
	v_mov_b32_e32 v1, s7
	v_mad_u64_u32 v[68:69], s[10:11], s2, v1, v[66:67]
	v_mov_b32_e32 v66, s26
	s_load_dwordx4 s[12:15], s[0:1], 0x58
	s_mul_i32 s3, s3, s7
	v_mad_u64_u32 v[66:67], s[10:11], v68, s6, v[66:67]
	v_add_u32_e32 v1, s3, v69
	v_mov_b32_e32 v68, v67
	v_mad_u64_u32 v[68:69], s[10:11], v1, s6, v[68:69]
	v_mov_b32_e32 v67, v68
	v_lshlrev_b64 v[66:67], 2, v[66:67]
	s_waitcnt lgkmcnt(0)
	v_lshl_add_u64 v[68:69], s[14:15], 0, v[66:67]
	v_lshl_add_u64 v[66:67], s[12:13], 0, v[66:67]
	global_store_dword v[68:69], v84, off
	global_store_dword v[66:67], v85, off
.LBB745_19:
	s_or_b64 exec, exec, s[4:5]
	v_lshl_or_b32 v1, v87, 9, v79
	s_waitcnt lgkmcnt(0)
	s_barrier
	ds_read_b128 v[70:73], v1
	ds_read_b128 v[66:69], v1 offset:16
	s_waitcnt vmcnt(15) lgkmcnt(1)
	v_mfma_f32_16x16x16_bf16 v[74:77], v[30:31], v[70:71], 0
	v_cmp_gt_u32_e32 vcc, 64, v0
	s_mov_b32 s3, 0
	v_mfma_f32_16x16x16_bf16 v[30:33], v[32:33], v[72:73], v[74:77]
	s_waitcnt vmcnt(14) lgkmcnt(0)
	v_mfma_f32_16x16x16_bf16 v[30:33], v[26:27], v[66:67], v[30:33]
	v_mfma_f32_16x16x16_bf16 v[26:29], v[28:29], v[68:69], v[30:33]
	s_nop 5
	ds_read_b128 v[30:33], v1 offset:2048
	ds_read_b128 v[74:77], v1 offset:2064
	s_waitcnt vmcnt(13) lgkmcnt(1)
	v_mfma_f32_16x16x16_bf16 v[26:29], v[22:23], v[30:31], v[26:29]
	v_mfma_f32_16x16x16_bf16 v[22:25], v[24:25], v[32:33], v[26:29]
	s_waitcnt vmcnt(12) lgkmcnt(0)
	v_mfma_f32_16x16x16_bf16 v[22:25], v[18:19], v[74:75], v[22:25]
	v_mfma_f32_16x16x16_bf16 v[18:21], v[20:21], v[76:77], v[22:25]
	s_nop 5
	ds_read_b128 v[22:25], v1 offset:4096
	ds_read_b128 v[26:29], v1 offset:4112
	s_waitcnt vmcnt(11) lgkmcnt(1)
	v_mfma_f32_16x16x16_bf16 v[18:21], v[14:15], v[22:23], v[18:21]
	v_mfma_f32_16x16x16_bf16 v[14:17], v[16:17], v[24:25], v[18:21]
	s_waitcnt vmcnt(10) lgkmcnt(0)
	v_mfma_f32_16x16x16_bf16 v[14:17], v[10:11], v[26:27], v[14:17]
	v_mfma_f32_16x16x16_bf16 v[10:13], v[12:13], v[28:29], v[14:17]
	s_nop 5
	ds_read_b128 v[14:17], v1 offset:6144
	ds_read_b128 v[18:21], v1 offset:6160
	s_waitcnt lgkmcnt(0)
	s_barrier
	s_waitcnt vmcnt(9)
	v_mfma_f32_16x16x16_bf16 v[10:13], v[6:7], v[14:15], v[10:13]
	v_mfma_f32_16x16x16_bf16 v[6:9], v[8:9], v[16:17], v[10:13]
	s_waitcnt vmcnt(8)
	v_mfma_f32_16x16x16_bf16 v[6:9], v[2:3], v[18:19], v[6:9]
	v_mfma_f32_16x16x16_bf16 v[2:5], v[4:5], v[20:21], v[6:9]
	;; [unrolled: 3-line block ×3, first 2 shown]
	s_nop 3
	v_bfe_u32 v1, v3, 16, 1
	v_bfe_u32 v10, v2, 16, 1
	v_add3_u32 v2, v2, v10, s8
	s_waitcnt vmcnt(6)
	v_mfma_f32_16x16x16_bf16 v[6:9], v[38:39], v[66:67], v[6:9]
	v_add3_u32 v1, v3, v1, s8
	v_perm_b32 v10, v1, v2, s9
	v_bfe_u32 v1, v5, 16, 1
	v_mfma_f32_16x16x16_bf16 v[6:9], v[40:41], v[68:69], v[6:9]
	v_bfe_u32 v2, v4, 16, 1
	v_add3_u32 v2, v4, v2, s8
	v_add3_u32 v1, v5, v1, s8
	s_waitcnt vmcnt(5)
	v_mfma_f32_16x16x16_bf16 v[6:9], v[42:43], v[30:31], v[6:9]
	v_perm_b32 v11, v1, v2, s9
	v_mfma_f32_16x16x16_bf16 v[6:9], v[44:45], v[32:33], v[6:9]
	s_waitcnt vmcnt(4)
	v_mfma_f32_16x16x16_bf16 v[6:9], v[34:35], v[74:75], v[6:9]
	v_mfma_f32_16x16x16_bf16 v[6:9], v[36:37], v[76:77], v[6:9]
	s_waitcnt vmcnt(3)
	v_mfma_f32_16x16x16_bf16 v[6:9], v[58:59], v[22:23], v[6:9]
	;; [unrolled: 3-line block ×5, first 2 shown]
	v_mfma_f32_16x16x16_bf16 v[2:5], v[52:53], v[20:21], v[6:9]
	s_nop 6
	v_bfe_u32 v1, v3, 16, 1
	v_bfe_u32 v6, v2, 16, 1
	v_add3_u32 v2, v2, v6, s8
	v_add3_u32 v1, v3, v1, s8
	v_perm_b32 v2, v1, v2, s9
	v_bfe_u32 v1, v5, 16, 1
	v_bfe_u32 v3, v4, 16, 1
	v_add3_u32 v3, v4, v3, s8
	v_add3_u32 v1, v5, v1, s8
	v_perm_b32 v3, v1, v3, s9
	v_and_b32_e32 v1, 63, v0
	v_cmp_gt_u32_e64 s[4:5], 32, v1
	s_and_b64 s[4:5], vcc, s[4:5]
	ds_write2st64_b64 v78, v[10:11], v[2:3] offset1:1
	s_waitcnt lgkmcnt(0)
	s_barrier
	s_and_saveexec_b64 s[8:9], s[4:5]
	s_cbranch_execz .LBB745_21
; %bb.20:
	s_load_dwordx2 s[0:1], s[0:1], 0x68
	s_mul_i32 s2, s7, s2
	s_lshl_b32 s6, s6, 7
	v_lshlrev_b32_e32 v3, 6, v91
	s_mul_hi_u32 s5, s2, s6
	s_mul_i32 s4, s2, s6
	v_lshlrev_b32_e32 v2, 4, v0
	v_lshl_or_b32 v0, v0, 10, v3
	s_lshl_b64 s[4:5], s[4:5], 1
	v_lshlrev_b32_e32 v1, 5, v87
	v_and_b32_e32 v2, 16, v2
	v_and_b32_e32 v0, 0x1a00, v0
	s_waitcnt lgkmcnt(0)
	s_add_u32 s4, s0, s4
	v_or3_b32 v0, v0, v1, v2
	s_addc_u32 s5, s1, s5
	s_lshl_b32 s2, s26, 7
	ds_read_b128 v[2:5], v0
	s_lshl_b64 s[0:1], s[2:3], 1
	s_add_u32 s0, s4, s0
	v_or_b32_e32 v0, s27, v87
	s_addc_u32 s1, s5, s1
	v_mad_u64_u32 v[0:1], s[2:3], s6, v0, 0
	v_lshl_add_u64 v[0:1], v[0:1], 1, s[0:1]
	v_lshl_add_u64 v[0:1], v[82:83], 1, v[0:1]
	s_waitcnt lgkmcnt(0)
	global_store_dwordx4 v[0:1], v[2:5], off
.LBB745_21:
	s_endpgm
	.section	.rodata,"a",@progbits
	.p2align	6, 0x0
	.amdhsa_kernel _Z39paged_attention_ll4mi_QKV_mfma16_kernelI14__hip_bfloat16S0_LN4vllm18Fp8KVCacheDataTypeE0ES0_Li32ELi128ELi256ELb1ELi2EEvPKT_PKT0_S8_ifPKiSA_SA_iPKfiiiPfSD_PS3_PT2_iSC_SC_
		.amdhsa_group_segment_fixed_size 8192
		.amdhsa_private_segment_fixed_size 0
		.amdhsa_kernarg_size 400
		.amdhsa_user_sgpr_count 2
		.amdhsa_user_sgpr_dispatch_ptr 0
		.amdhsa_user_sgpr_queue_ptr 0
		.amdhsa_user_sgpr_kernarg_segment_ptr 1
		.amdhsa_user_sgpr_dispatch_id 0
		.amdhsa_user_sgpr_kernarg_preload_length 0
		.amdhsa_user_sgpr_kernarg_preload_offset 0
		.amdhsa_user_sgpr_private_segment_size 0
		.amdhsa_uses_dynamic_stack 0
		.amdhsa_enable_private_segment 0
		.amdhsa_system_sgpr_workgroup_id_x 1
		.amdhsa_system_sgpr_workgroup_id_y 1
		.amdhsa_system_sgpr_workgroup_id_z 1
		.amdhsa_system_sgpr_workgroup_info 0
		.amdhsa_system_vgpr_workitem_id 0
		.amdhsa_next_free_vgpr 96
		.amdhsa_next_free_sgpr 41
		.amdhsa_accum_offset 96
		.amdhsa_reserve_vcc 1
		.amdhsa_float_round_mode_32 0
		.amdhsa_float_round_mode_16_64 0
		.amdhsa_float_denorm_mode_32 3
		.amdhsa_float_denorm_mode_16_64 3
		.amdhsa_dx10_clamp 1
		.amdhsa_ieee_mode 1
		.amdhsa_fp16_overflow 0
		.amdhsa_tg_split 0
		.amdhsa_exception_fp_ieee_invalid_op 0
		.amdhsa_exception_fp_denorm_src 0
		.amdhsa_exception_fp_ieee_div_zero 0
		.amdhsa_exception_fp_ieee_overflow 0
		.amdhsa_exception_fp_ieee_underflow 0
		.amdhsa_exception_fp_ieee_inexact 0
		.amdhsa_exception_int_div_zero 0
	.end_amdhsa_kernel
	.section	.text._Z39paged_attention_ll4mi_QKV_mfma16_kernelI14__hip_bfloat16S0_LN4vllm18Fp8KVCacheDataTypeE0ES0_Li32ELi128ELi256ELb1ELi2EEvPKT_PKT0_S8_ifPKiSA_SA_iPKfiiiPfSD_PS3_PT2_iSC_SC_,"axG",@progbits,_Z39paged_attention_ll4mi_QKV_mfma16_kernelI14__hip_bfloat16S0_LN4vllm18Fp8KVCacheDataTypeE0ES0_Li32ELi128ELi256ELb1ELi2EEvPKT_PKT0_S8_ifPKiSA_SA_iPKfiiiPfSD_PS3_PT2_iSC_SC_,comdat
.Lfunc_end745:
	.size	_Z39paged_attention_ll4mi_QKV_mfma16_kernelI14__hip_bfloat16S0_LN4vllm18Fp8KVCacheDataTypeE0ES0_Li32ELi128ELi256ELb1ELi2EEvPKT_PKT0_S8_ifPKiSA_SA_iPKfiiiPfSD_PS3_PT2_iSC_SC_, .Lfunc_end745-_Z39paged_attention_ll4mi_QKV_mfma16_kernelI14__hip_bfloat16S0_LN4vllm18Fp8KVCacheDataTypeE0ES0_Li32ELi128ELi256ELb1ELi2EEvPKT_PKT0_S8_ifPKiSA_SA_iPKfiiiPfSD_PS3_PT2_iSC_SC_
                                        ; -- End function
	.section	.AMDGPU.csdata,"",@progbits
; Kernel info:
; codeLenInByte = 5096
; NumSgprs: 47
; NumVgprs: 96
; NumAgprs: 0
; TotalNumVgprs: 96
; ScratchSize: 0
; MemoryBound: 0
; FloatMode: 240
; IeeeMode: 1
; LDSByteSize: 8192 bytes/workgroup (compile time only)
; SGPRBlocks: 5
; VGPRBlocks: 11
; NumSGPRsForWavesPerEU: 47
; NumVGPRsForWavesPerEU: 96
; AccumOffset: 96
; Occupancy: 5
; WaveLimiterHint : 1
; COMPUTE_PGM_RSRC2:SCRATCH_EN: 0
; COMPUTE_PGM_RSRC2:USER_SGPR: 2
; COMPUTE_PGM_RSRC2:TRAP_HANDLER: 0
; COMPUTE_PGM_RSRC2:TGID_X_EN: 1
; COMPUTE_PGM_RSRC2:TGID_Y_EN: 1
; COMPUTE_PGM_RSRC2:TGID_Z_EN: 1
; COMPUTE_PGM_RSRC2:TIDIG_COMP_CNT: 0
; COMPUTE_PGM_RSRC3_GFX90A:ACCUM_OFFSET: 23
; COMPUTE_PGM_RSRC3_GFX90A:TG_SPLIT: 0
	.section	.text._Z39paged_attention_ll4mi_QKV_mfma16_kernelI14__hip_bfloat16S0_LN4vllm18Fp8KVCacheDataTypeE0ES0_Li32ELi128ELi256ELb1ELi3EEvPKT_PKT0_S8_ifPKiSA_SA_iPKfiiiPfSD_PS3_PT2_iSC_SC_,"axG",@progbits,_Z39paged_attention_ll4mi_QKV_mfma16_kernelI14__hip_bfloat16S0_LN4vllm18Fp8KVCacheDataTypeE0ES0_Li32ELi128ELi256ELb1ELi3EEvPKT_PKT0_S8_ifPKiSA_SA_iPKfiiiPfSD_PS3_PT2_iSC_SC_,comdat
	.protected	_Z39paged_attention_ll4mi_QKV_mfma16_kernelI14__hip_bfloat16S0_LN4vllm18Fp8KVCacheDataTypeE0ES0_Li32ELi128ELi256ELb1ELi3EEvPKT_PKT0_S8_ifPKiSA_SA_iPKfiiiPfSD_PS3_PT2_iSC_SC_ ; -- Begin function _Z39paged_attention_ll4mi_QKV_mfma16_kernelI14__hip_bfloat16S0_LN4vllm18Fp8KVCacheDataTypeE0ES0_Li32ELi128ELi256ELb1ELi3EEvPKT_PKT0_S8_ifPKiSA_SA_iPKfiiiPfSD_PS3_PT2_iSC_SC_
	.globl	_Z39paged_attention_ll4mi_QKV_mfma16_kernelI14__hip_bfloat16S0_LN4vllm18Fp8KVCacheDataTypeE0ES0_Li32ELi128ELi256ELb1ELi3EEvPKT_PKT0_S8_ifPKiSA_SA_iPKfiiiPfSD_PS3_PT2_iSC_SC_
	.p2align	8
	.type	_Z39paged_attention_ll4mi_QKV_mfma16_kernelI14__hip_bfloat16S0_LN4vllm18Fp8KVCacheDataTypeE0ES0_Li32ELi128ELi256ELb1ELi3EEvPKT_PKT0_S8_ifPKiSA_SA_iPKfiiiPfSD_PS3_PT2_iSC_SC_,@function
_Z39paged_attention_ll4mi_QKV_mfma16_kernelI14__hip_bfloat16S0_LN4vllm18Fp8KVCacheDataTypeE0ES0_Li32ELi128ELi256ELb1ELi3EEvPKT_PKT0_S8_ifPKiSA_SA_iPKfiiiPfSD_PS3_PT2_iSC_SC_: ; @_Z39paged_attention_ll4mi_QKV_mfma16_kernelI14__hip_bfloat16S0_LN4vllm18Fp8KVCacheDataTypeE0ES0_Li32ELi128ELi256ELb1ELi3EEvPKT_PKT0_S8_ifPKiSA_SA_iPKfiiiPfSD_PS3_PT2_iSC_SC_
; %bb.0:
	s_load_dwordx2 s[8:9], s[0:1], 0x30
	s_mov_b32 s26, s3
	s_mov_b64 s[6:7], 0
	s_waitcnt lgkmcnt(0)
	s_cmp_lg_u64 s[8:9], 0
	s_cselect_b64 s[10:11], -1, 0
	s_and_b64 vcc, exec, s[10:11]
	s_cbranch_vccz .LBB746_7
; %bb.1:
	s_add_i32 s12, s2, 1
	s_mov_b32 s13, 0
	s_lshl_b64 s[14:15], s[12:13], 2
	s_add_u32 s14, s8, s14
	s_mov_b32 s3, s13
	s_addc_u32 s15, s9, s15
	s_lshl_b64 s[12:13], s[2:3], 2
	s_add_u32 s12, s8, s12
	s_addc_u32 s13, s9, s13
	s_load_dword s5, s[14:15], 0x0
	s_load_dword s16, s[12:13], 0x0
	s_waitcnt lgkmcnt(0)
	s_sub_i32 s5, s5, s16
	s_cmp_eq_u32 s5, 1
	s_cselect_b64 s[12:13], -1, 0
	s_andn2_b64 vcc, exec, s[6:7]
	s_cbranch_vccnz .LBB746_3
.LBB746_2:
	s_mov_b32 s3, 0
	s_mov_b64 s[12:13], -1
.LBB746_3:
	s_andn2_b64 vcc, exec, s[12:13]
	s_cbranch_vccnz .LBB746_21
; %bb.4:
	s_load_dwordx2 s[6:7], s[0:1], 0x28
	s_lshl_b64 s[12:13], s[2:3], 2
	s_waitcnt lgkmcnt(0)
	s_add_u32 s6, s6, s12
	s_addc_u32 s7, s7, s13
	s_load_dword s27, s[6:7], 0x0
	s_lshl_b32 s18, s26, 8
	s_waitcnt lgkmcnt(0)
	s_cmp_ge_i32 s18, s27
	s_cbranch_scc1 .LBB746_21
; %bb.5:
	s_load_dwordx2 s[6:7], s[0:1], 0x20
	s_load_dword s5, s[0:1], 0x38
	s_add_i32 s14, s27, 31
	s_ashr_i32 s15, s14, 31
	v_and_b32_e32 v1, 0xcf, v0
	s_lshr_b32 s15, s15, 27
	v_add_u32_e32 v1, s18, v1
	s_add_i32 s14, s14, s15
	v_ashrrev_i32_e32 v2, 31, v1
	s_ashr_i32 s19, s14, 5
	v_lshrrev_b32_e32 v4, 27, v2
	s_add_i32 s19, s19, -1
	s_waitcnt lgkmcnt(0)
	s_mul_i32 s14, s2, s5
	s_mov_b32 s15, 0
	v_add_u32_e32 v2, v1, v4
	s_lshl_b64 s[14:15], s[14:15], 2
	v_ashrrev_i32_e32 v2, 5, v2
	v_mov_b32_e32 v5, s19
	v_cmp_gt_i32_e32 vcc, s27, v1
	s_add_u32 s6, s6, s14
	s_addc_u32 s7, s7, s15
	v_cndmask_b32_e32 v2, v5, v2, vcc
	v_ashrrev_i32_e32 v3, 31, v2
	v_lshl_add_u64 v[6:7], v[2:3], 2, s[6:7]
	v_or_b32_e32 v2, 16, v1
	v_add_u32_e32 v3, v2, v4
	v_ashrrev_i32_e32 v3, 5, v3
	v_cmp_gt_i32_e32 vcc, s27, v2
	s_nop 1
	v_cndmask_b32_e32 v2, v5, v3, vcc
	v_ashrrev_i32_e32 v3, 31, v2
	v_lshl_add_u64 v[8:9], v[2:3], 2, s[6:7]
	v_or_b32_e32 v2, 32, v1
	v_add_u32_e32 v3, v2, v4
	v_ashrrev_i32_e32 v3, 5, v3
	v_cmp_gt_i32_e32 vcc, s27, v2
	v_or_b32_e32 v1, 48, v1
	s_nop 0
	v_cndmask_b32_e32 v2, v5, v3, vcc
	v_ashrrev_i32_e32 v3, 31, v2
	v_lshl_add_u64 v[10:11], v[2:3], 2, s[6:7]
	v_add_u32_e32 v2, v1, v4
	v_ashrrev_i32_e32 v2, 5, v2
	v_cmp_gt_i32_e32 vcc, s27, v1
	s_nop 1
	v_cndmask_b32_e32 v2, v5, v2, vcc
	v_ashrrev_i32_e32 v3, 31, v2
	v_lshl_add_u64 v[12:13], v[2:3], 2, s[6:7]
	global_load_dword v5, v[6:7], off
	global_load_dword v4, v[8:9], off
	;; [unrolled: 1-line block ×4, first 2 shown]
	s_andn2_b64 vcc, exec, s[10:11]
	s_cbranch_vccnz .LBB746_8
; %bb.6:
	s_add_u32 s8, s8, s12
	s_addc_u32 s9, s9, s13
	s_load_dword s5, s[8:9], 0x0
	s_branch .LBB746_9
.LBB746_7:
	s_mov_b64 s[12:13], 0
	s_branch .LBB746_2
.LBB746_8:
	s_mov_b32 s5, s2
.LBB746_9:
	s_load_dwordx2 s[14:15], s[0:1], 0x8
	s_load_dwordx4 s[8:11], s[0:1], 0x48
	v_lshrrev_b32_e32 v85, 6, v0
	v_bfe_u32 v1, v0, 4, 2
	v_lshl_or_b32 v6, v85, 2, v1
	v_and_b32_e32 v84, 15, v0
	s_mul_i32 s40, s4, 3
	v_lshlrev_b32_e32 v82, 3, v84
	v_cmp_lt_u32_e32 vcc, 2, v6
	s_and_saveexec_b64 s[12:13], vcc
	s_xor_b64 s[12:13], exec, s[12:13]
; %bb.10:
	v_mov_b32_e32 v83, 0
                                        ; implicit-def: $vgpr6
; %bb.11:
	s_or_saveexec_b64 s[16:17], s[12:13]
	s_load_dwordx2 s[12:13], s[0:1], 0x10
	v_add_u32_e32 v7, s40, v1
	scratch_store_dword off, v7, off        ; 4-byte Folded Spill
	s_xor_b64 exec, exec, s[16:17]
	s_cbranch_execz .LBB746_13
; %bb.12:
	scratch_load_dword v7, off, off         ; 4-byte Folded Reload
	s_load_dwordx2 s[20:21], s[0:1], 0x0
	s_waitcnt lgkmcnt(0)
	s_ashr_i32 s11, s8, 31
	s_mul_hi_u32 s22, s5, s8
	s_mul_i32 s11, s5, s11
	s_add_i32 s23, s22, s11
	s_mul_i32 s22, s5, s8
	s_lshl_b64 s[22:23], s[22:23], 1
	s_add_u32 s20, s20, s22
	s_addc_u32 s21, s21, s23
	v_mov_b32_e32 v83, 0
	v_lshlrev_b32_e32 v10, 1, v82
	v_mov_b32_e32 v11, v83
	v_lshlrev_b32_e32 v12, 9, v84
	v_lshlrev_b32_e32 v6, 5, v6
	v_and_b32_e32 v12, 0x1800, v12
	s_waitcnt vmcnt(0)
	v_lshlrev_b32_e32 v8, 7, v7
	v_ashrrev_i32_e32 v9, 31, v8
	v_lshl_add_u64 v[8:9], v[8:9], 1, s[20:21]
	v_lshl_add_u64 v[8:9], v[8:9], 0, v[10:11]
	global_load_dwordx4 v[8:11], v[8:9], off
	v_and_b32_e32 v7, 3, v0
	v_lshlrev_b32_e32 v7, 9, v7
	v_or3_b32 v6, v12, v7, v6
	s_waitcnt vmcnt(0)
	ds_write_b128 v6, v[8:11]
.LBB746_13:
	s_or_b64 exec, exec, s[16:17]
	s_waitcnt lgkmcnt(0)
	s_mul_i32 s4, s4, s10
	s_mov_b32 s5, 0
	s_lshl_b64 s[4:5], s[4:5], 1
	s_add_u32 s10, s14, s4
	s_addc_u32 s11, s15, s5
	s_waitcnt vmcnt(4)
	v_mad_i64_i32 v[6:7], s[14:15], v5, s9, 0
	v_lshl_add_u64 v[6:7], v[6:7], 1, s[10:11]
	v_lshlrev_b64 v[8:9], 1, v[82:83]
	v_lshlrev_b32_e32 v86, 9, v1
	v_lshl_add_u64 v[6:7], v[6:7], 0, v[8:9]
	v_mov_b32_e32 v87, 0
	v_lshl_add_u64 v[10:11], v[6:7], 0, v[86:87]
	v_or_b32_e32 v14, 0x1000, v86
	v_mov_b32_e32 v15, v87
	v_or_b32_e32 v16, 0x1800, v86
	v_mov_b32_e32 v17, v87
	s_barrier
	global_load_dwordx4 v[66:69], v[10:11], off
	global_load_dwordx4 v[62:65], v[10:11], off offset:2048
	v_lshl_add_u64 v[10:11], v[6:7], 0, v[14:15]
	v_lshl_add_u64 v[6:7], v[6:7], 0, v[16:17]
	global_load_dwordx4 v[78:81], v[10:11], off
	global_load_dwordx4 v[74:77], v[6:7], off
	s_waitcnt vmcnt(7)
	v_mad_i64_i32 v[4:5], s[14:15], v4, s9, 0
	v_mov_b32_e32 v6, 0x100
	v_lshl_add_u64 v[4:5], v[4:5], 1, s[10:11]
	v_lshl_or_b32 v6, v84, 4, v6
	v_mov_b32_e32 v7, v87
	v_lshl_add_u64 v[4:5], v[4:5], 0, v[6:7]
	v_lshl_add_u64 v[10:11], v[4:5], 0, v[86:87]
	global_load_dwordx4 v[70:73], v[10:11], off
	global_load_dwordx4 v[58:61], v[10:11], off offset:2048
	v_lshl_add_u64 v[10:11], v[4:5], 0, v[14:15]
	v_lshl_add_u64 v[4:5], v[4:5], 0, v[16:17]
	global_load_dwordx4 v[54:57], v[10:11], off
	global_load_dwordx4 v[30:33], v[4:5], off
	s_waitcnt vmcnt(10)
	v_mad_i64_i32 v[4:5], s[14:15], v3, s9, 0
	v_lshl_add_u64 v[4:5], v[4:5], 1, s[10:11]
	s_waitcnt vmcnt(9)
	v_mad_i64_i32 v[2:3], s[14:15], v2, s9, 0
	v_lshl_add_u64 v[4:5], v[4:5], 0, v[8:9]
	v_lshl_add_u64 v[2:3], v[2:3], 1, s[10:11]
	;; [unrolled: 1-line block ×4, first 2 shown]
	global_load_dwordx4 v[26:29], v[8:9], off
	global_load_dwordx4 v[22:25], v[8:9], off offset:2048
	v_lshl_add_u64 v[8:9], v[4:5], 0, v[14:15]
	v_lshl_add_u64 v[4:5], v[4:5], 0, v[16:17]
	;; [unrolled: 1-line block ×4, first 2 shown]
	global_load_dwordx4 v[18:21], v[8:9], off
	global_load_dwordx4 v[10:13], v[4:5], off
	s_nop 0
	global_load_dwordx4 v[6:9], v[2:3], off
	s_nop 0
	global_load_dwordx4 v[2:5], v[2:3], off offset:2048
	v_lshl_add_u64 v[16:17], v[34:35], 0, v[16:17]
	global_load_dwordx4 v[38:41], v[14:15], off
	global_load_dwordx4 v[34:37], v[16:17], off
	v_mul_lo_u16_e32 v14, 0x56, v84
	v_mov_b32_e32 v15, 3
	v_mul_lo_u16_sdwa v14, v14, v15 dst_sel:DWORD dst_unused:UNUSED_PAD src0_sel:BYTE_1 src1_sel:DWORD
	v_sub_u16_e32 v14, v84, v14
	v_and_b32_e32 v14, 0xff, v14
	v_lshl_add_u32 v42, v14, 5, v86
	ds_read_b128 v[14:17], v42
	ds_read_b128 v[50:53], v42 offset:2048
	ds_read_b128 v[46:49], v42 offset:4096
	;; [unrolled: 1-line block ×3, first 2 shown]
	v_and_b32_e32 v89, 63, v0
	v_cmp_gt_u32_e32 vcc, 3, v84
	v_mov_b32_e32 v90, 0
	s_and_saveexec_b64 s[10:11], vcc
	s_cbranch_execz .LBB746_15
; %bb.14:
	s_load_dwordx2 s[14:15], s[0:1], 0x40
	v_add_u32_e32 v90, s40, v84
	v_ashrrev_i32_e32 v91, 31, v90
	s_waitcnt lgkmcnt(0)
	v_lshl_add_u64 v[90:91], v[90:91], 2, s[14:15]
	global_load_dword v90, v[90:91], off
.LBB746_15:
	s_or_b64 exec, exec, s[10:11]
	s_waitcnt vmcnt(15) lgkmcnt(3)
	v_mfma_f32_16x16x16_bf16 v[92:95], v[66:67], v[14:15], 0
	s_ashr_i32 s8, s18, 31
	s_lshr_b32 s8, s8, 27
	s_add_u32 s4, s12, s4
	v_mfma_f32_16x16x16_bf16 v[66:69], v[68:69], v[16:17], v[92:95]
	s_addc_u32 s5, s13, s5
	v_lshl_or_b32 v91, v85, 4, v84
	s_mov_b32 s33, 0xff7fffff
	s_waitcnt vmcnt(14) lgkmcnt(2)
	v_mfma_f32_16x16x16_bf16 v[66:69], v[62:63], v[50:51], v[66:69]
	v_mfma_f32_16x16x16_bf16 v[62:65], v[64:65], v[52:53], v[66:69]
	s_waitcnt vmcnt(13) lgkmcnt(1)
	v_mfma_f32_16x16x16_bf16 v[62:65], v[78:79], v[46:47], v[62:65]
	v_mfma_f32_16x16x16_bf16 v[62:65], v[80:81], v[48:49], v[62:65]
	s_waitcnt vmcnt(12) lgkmcnt(0)
	v_mfma_f32_16x16x16_bf16 v[62:65], v[74:75], v[42:43], v[62:65]
	v_and_or_b32 v74, v0, 48, s18
	v_add_u32_e32 v66, s8, v74
	v_ashrrev_i32_e32 v75, 5, v66
	s_waitcnt vmcnt(11)
	v_mfma_f32_16x16x16_bf16 v[66:69], v[70:71], v[14:15], 0
	v_cmp_gt_i32_e32 vcc, s27, v74
	v_mfma_f32_16x16x16_bf16 v[66:69], v[72:73], v[16:17], v[66:69]
	v_or_b32_e32 v72, 64, v74
	v_add_u32_e32 v73, s8, v72
	s_waitcnt vmcnt(10)
	v_mfma_f32_16x16x16_bf16 v[66:69], v[58:59], v[50:51], v[66:69]
	v_ashrrev_i32_e32 v58, 5, v73
	v_mfma_f32_16x16x16_bf16 v[62:65], v[76:77], v[44:45], v[62:65]
	v_mov_b32_e32 v76, s19
	v_cndmask_b32_e32 v70, v76, v75, vcc
	v_cmp_gt_i32_e32 vcc, s27, v72
	v_ashrrev_i32_e32 v71, 31, v70
	v_lshl_add_u64 v[70:71], v[70:71], 2, s[6:7]
	v_cndmask_b32_e32 v72, v76, v58, vcc
	v_mfma_f32_16x16x16_bf16 v[58:61], v[60:61], v[52:53], v[66:69]
	v_ashrrev_i32_e32 v73, 31, v72
	s_waitcnt vmcnt(9)
	v_mfma_f32_16x16x16_bf16 v[58:61], v[54:55], v[46:47], v[58:61]
	v_lshl_add_u64 v[66:67], v[72:73], 2, s[6:7]
	global_load_dword v68, v[70:71], off
	s_nop 0
	global_load_dword v66, v[66:67], off
	v_or_b32_e32 v67, 0x80, v74
	v_add_u32_e32 v69, s8, v67
	v_mfma_f32_16x16x16_bf16 v[54:57], v[56:57], v[48:49], v[58:61]
	v_cmp_gt_i32_e32 vcc, s27, v67
	s_nop 1
	v_ashrrev_i32_e32 v58, 5, v69
	v_cndmask_b32_e32 v58, v76, v58, vcc
	v_ashrrev_i32_e32 v59, 31, v58
	s_waitcnt vmcnt(10)
	v_mfma_f32_16x16x16_bf16 v[54:57], v[30:31], v[42:43], v[54:57]
	v_lshl_add_u64 v[30:31], v[58:59], 2, s[6:7]
	global_load_dword v70, v[30:31], off
	v_mfma_f32_16x16x16_bf16 v[58:61], v[32:33], v[44:45], v[54:57]
	s_nop 3
	v_or_b32_e32 v54, 0xc0, v74
	v_add_u32_e32 v30, s8, v54
	v_ashrrev_i32_e32 v55, 5, v30
	v_cmp_gt_i32_e32 vcc, s27, v54
	s_waitcnt vmcnt(10)
	v_mfma_f32_16x16x16_bf16 v[30:33], v[26:27], v[14:15], 0
	v_cndmask_b32_e32 v26, v76, v55, vcc
	v_ashrrev_i32_e32 v27, 31, v26
	v_lshl_add_u64 v[54:55], v[26:27], 2, s[6:7]
	global_load_dword v71, v[54:55], off
	v_mfma_f32_16x16x16_bf16 v[26:29], v[28:29], v[16:17], v[30:33]
	s_load_dword s6, s[0:1], 0x1c
	s_waitcnt vmcnt(10)
	v_mfma_f32_16x16x16_bf16 v[26:29], v[22:23], v[50:51], v[26:29]
	v_and_b32_e32 v30, 16, v0
	v_lshlrev_b32_e32 v86, 1, v30
	v_lshl_add_u64 v[74:75], s[4:5], 0, v[86:87]
	v_mfma_f32_16x16x16_bf16 v[22:25], v[24:25], v[52:53], v[26:29]
	v_lshlrev_b32_e32 v86, 6, v91
	v_lshl_add_u64 v[76:77], v[74:75], 0, v[86:87]
	v_or_b32_e32 v86, 0x1000, v86
	s_waitcnt vmcnt(9)
	v_mfma_f32_16x16x16_bf16 v[22:25], v[18:19], v[46:47], v[22:25]
	v_lshl_add_u64 v[80:81], v[74:75], 0, v[86:87]
	s_waitcnt lgkmcnt(0)
	v_pk_mul_f32 v[74:75], s[6:7], v[60:61] op_sel_hi:[0,1]
	v_mfma_f32_16x16x16_bf16 v[18:21], v[20:21], v[48:49], v[22:25]
	s_waitcnt vmcnt(8)
	v_mfma_f32_16x16x16_bf16 v[18:21], v[10:11], v[42:43], v[18:21]
	s_waitcnt vmcnt(3)
	v_mad_i64_i32 v[22:23], s[4:5], v68, s9, 0
	s_waitcnt vmcnt(2)
	v_mad_i64_i32 v[10:11], s[4:5], v66, s9, 0
	v_lshlrev_b64 v[78:79], 1, v[22:23]
	v_lshlrev_b64 v[54:55], 1, v[10:11]
	v_lshl_add_u64 v[22:23], v[76:77], 0, v[78:79]
	v_lshl_add_u64 v[10:11], v[76:77], 0, v[54:55]
	global_load_dwordx4 v[30:33], v[22:23], off
	global_load_dwordx4 v[26:29], v[22:23], off offset:16
	v_mfma_f32_16x16x16_bf16 v[66:69], v[12:13], v[44:45], v[18:21]
	global_load_dwordx4 v[22:25], v[10:11], off
	s_nop 1
	global_load_dwordx4 v[18:21], v[10:11], off offset:16
	v_mfma_f32_16x16x16_bf16 v[10:13], v[6:7], v[14:15], 0
	s_waitcnt vmcnt(5)
	v_mad_i64_i32 v[6:7], s[4:5], v70, s9, 0
	v_lshlrev_b64 v[56:57], 1, v[6:7]
	v_mfma_f32_16x16x16_bf16 v[6:9], v[8:9], v[16:17], v[10:13]
	v_mfma_f32_16x16x16_bf16 v[6:9], v[2:3], v[50:51], v[6:9]
	s_nop 1
	v_lshl_add_u64 v[10:11], v[76:77], 0, v[56:57]
	global_load_dwordx4 v[14:17], v[10:11], off
	s_nop 0
	global_load_dwordx4 v[10:13], v[10:11], off offset:16
	s_waitcnt vmcnt(6)
	v_mad_i64_i32 v[2:3], s[4:5], v71, s9, 0
	v_mfma_f32_16x16x16_bf16 v[70:73], v[4:5], v[52:53], v[6:9]
	v_pk_mul_f32 v[52:53], s[6:7], v[62:63] op_sel_hi:[0,1]
	v_lshlrev_b64 v[50:51], 1, v[2:3]
	v_lshl_add_u64 v[2:3], v[76:77], 0, v[50:51]
	v_mfma_f32_16x16x16_bf16 v[70:73], v[38:39], v[46:47], v[70:73]
	v_lshl_add_u64 v[38:39], v[80:81], 0, v[78:79]
	v_pk_mul_f32 v[78:79], s[6:7], v[64:65] op_sel_hi:[0,1]
	v_pk_mul_f32 v[76:77], s[6:7], v[58:59] op_sel_hi:[0,1]
	v_mfma_f32_16x16x16_bf16 v[46:49], v[40:41], v[48:49], v[70:73]
	v_lshl_add_u64 v[50:51], v[80:81], 0, v[50:51]
	global_load_dwordx4 v[6:9], v[2:3], off
	s_nop 0
	global_load_dwordx4 v[2:5], v[2:3], off offset:16
	v_pk_mul_f32 v[70:71], s[6:7], v[68:69] op_sel_hi:[0,1]
	v_mfma_f32_16x16x16_bf16 v[40:43], v[34:35], v[42:43], v[46:49]
	v_pk_mul_f32 v[72:73], s[6:7], v[66:67] op_sel_hi:[0,1]
	v_mfma_f32_16x16x16_bf16 v[34:37], v[36:37], v[44:45], v[40:43]
	s_nop 6
	v_pk_mul_f32 v[68:69], s[6:7], v[34:35] op_sel_hi:[0,1]
	v_and_b32_e32 v34, 0xc0, v0
	v_add_u32_e32 v34, s18, v34
	v_lshl_or_b32 v34, v1, 2, v34
	v_or_b32_e32 v35, 1, v34
	v_pk_mul_f32 v[66:67], s[6:7], v[36:37] op_sel_hi:[0,1]
	v_subrev_u32_e32 v36, s27, v35
	v_add_u32_e32 v40, 1, v36
	v_add_u32_e32 v41, 2, v36
	v_cvt_f32_i32_e32 v37, v36
	v_cvt_f32_i32_e32 v40, v40
	;; [unrolled: 1-line block ×3, first 2 shown]
	v_add_u32_e32 v42, 3, v36
	v_fma_f32 v52, v90, v37, v52
	v_fmac_f32_e32 v53, v90, v40
	v_fma_f32 v78, v90, v41, v78
	v_add_u32_e32 v37, 16, v36
	v_add_u32_e32 v40, 17, v36
	;; [unrolled: 1-line block ×3, first 2 shown]
	v_cvt_f32_i32_e32 v42, v42
	v_cvt_f32_i32_e32 v37, v37
	;; [unrolled: 1-line block ×4, first 2 shown]
	v_fmac_f32_e32 v79, v90, v42
	v_add_u32_e32 v42, 19, v36
	v_fma_f32 v76, v90, v37, v76
	v_fmac_f32_e32 v77, v90, v40
	v_fma_f32 v74, v90, v41, v74
	v_add_u32_e32 v37, 32, v36
	v_add_u32_e32 v40, 33, v36
	;; [unrolled: 1-line block ×3, first 2 shown]
	v_cvt_f32_i32_e32 v42, v42
	v_cvt_f32_i32_e32 v37, v37
	;; [unrolled: 1-line block ×4, first 2 shown]
	v_fmac_f32_e32 v75, v90, v42
	v_add_u32_e32 v42, 35, v36
	v_fma_f32 v72, v90, v37, v72
	v_fmac_f32_e32 v73, v90, v40
	v_fma_f32 v70, v90, v41, v70
	v_add_u32_e32 v37, 48, v36
	v_add_u32_e32 v40, 49, v36
	;; [unrolled: 1-line block ×4, first 2 shown]
	v_cvt_f32_i32_e32 v36, v36
	v_cvt_f32_i32_e32 v37, v37
	;; [unrolled: 1-line block ×3, first 2 shown]
	v_cmp_gt_i32_e64 s[28:29], s27, v34
	v_fmac_f32_e32 v67, v90, v36
	v_mov_b32_e32 v36, 0xff7fffff
	v_cmp_gt_i32_e64 s[30:31], s27, v35
	v_fma_f32 v68, v90, v37, v68
	v_cndmask_b32_e64 v37, v36, v52, s[28:29]
	v_cndmask_b32_e64 v35, v36, v53, s[30:31]
	v_fmac_f32_e32 v69, v90, v40
	v_max3_f32 v35, v37, s33, v35
	v_or_b32_e32 v37, 2, v34
	v_or_b32_e32 v40, 3, v34
	v_cmp_gt_i32_e64 s[34:35], s27, v37
	v_cmp_gt_i32_e64 s[36:37], s27, v40
	v_cvt_f32_i32_e32 v42, v42
	v_cndmask_b32_e64 v37, v36, v78, s[34:35]
	v_cndmask_b32_e64 v40, v36, v79, s[36:37]
	v_max3_f32 v35, v35, v37, v40
	v_or_b32_e32 v37, 16, v34
	v_or_b32_e32 v40, 17, v34
	v_cmp_gt_i32_e64 s[22:23], s27, v37
	v_cmp_gt_i32_e64 s[24:25], s27, v40
	v_fmac_f32_e32 v71, v90, v42
	v_cndmask_b32_e64 v37, v36, v76, s[22:23]
	v_cndmask_b32_e64 v40, v36, v77, s[24:25]
	v_max3_f32 v35, v35, v37, v40
	v_or_b32_e32 v37, 18, v34
	v_or_b32_e32 v40, 19, v34
	v_cmp_gt_i32_e64 s[18:19], s27, v37
	v_cmp_gt_i32_e64 s[20:21], s27, v40
	v_cvt_f32_i32_e32 v41, v41
	v_cndmask_b32_e64 v37, v36, v74, s[18:19]
	v_cndmask_b32_e64 v40, v36, v75, s[20:21]
	v_max3_f32 v35, v35, v37, v40
	v_or_b32_e32 v37, 32, v34
	v_or_b32_e32 v40, 33, v34
	v_cmp_gt_i32_e64 s[14:15], s27, v37
	v_cmp_gt_i32_e64 s[16:17], s27, v40
	v_fma_f32 v66, v90, v41, v66
	v_cndmask_b32_e64 v37, v36, v72, s[14:15]
	v_cndmask_b32_e64 v40, v36, v73, s[16:17]
	v_max3_f32 v35, v35, v37, v40
	v_or_b32_e32 v37, 34, v34
	v_or_b32_e32 v40, 35, v34
	v_cmp_gt_i32_e64 s[10:11], s27, v37
	v_cmp_gt_i32_e64 s[12:13], s27, v40
	s_nop 0
	v_cndmask_b32_e64 v37, v36, v70, s[10:11]
	v_cndmask_b32_e64 v40, v36, v71, s[12:13]
	v_max3_f32 v35, v35, v37, v40
	v_or_b32_e32 v37, 48, v34
	v_or_b32_e32 v40, 49, v34
	v_cmp_gt_i32_e64 s[6:7], s27, v37
	v_cmp_gt_i32_e64 s[8:9], s27, v40
	s_nop 0
	v_cndmask_b32_e64 v37, v36, v68, s[6:7]
	v_cndmask_b32_e64 v40, v36, v69, s[8:9]
	v_max3_f32 v35, v35, v37, v40
	v_or_b32_e32 v37, 50, v34
	v_or_b32_e32 v34, 51, v34
	v_cmp_gt_i32_e32 vcc, s27, v37
	v_cmp_gt_i32_e64 s[4:5], s27, v34
	global_load_dwordx4 v[46:49], v[38:39], off
	s_nop 0
	global_load_dwordx4 v[38:41], v[38:39], off offset:16
	v_cndmask_b32_e32 v37, v36, v66, vcc
	v_cndmask_b32_e64 v34, v36, v67, s[4:5]
	v_max3_f32 v58, v35, v37, v34
	v_mbcnt_lo_u32_b32 v34, -1, 0
	v_mbcnt_hi_u32_b32 v59, -1, v34
	v_and_b32_e32 v34, 64, v59
	v_add_u32_e32 v60, 64, v34
	v_xor_b32_e32 v34, 32, v59
	v_cmp_lt_i32_e64 s[38:39], v34, v60
	s_nop 1
	v_cndmask_b32_e64 v34, v59, v34, s[38:39]
	v_lshlrev_b32_e32 v87, 2, v34
	ds_bpermute_b32 v61, v87, v58
	v_lshl_add_u64 v[34:35], v[80:81], 0, v[54:55]
	global_load_dwordx4 v[42:45], v[34:35], off
	s_nop 0
	global_load_dwordx4 v[34:37], v[34:35], off offset:16
	s_waitcnt lgkmcnt(0)
	v_max_f32_e32 v54, v61, v61
	v_max_f32_e32 v62, v58, v54
	v_xor_b32_e32 v54, 16, v59
	v_cmp_lt_i32_e64 s[38:39], v54, v60
	s_nop 1
	v_cndmask_b32_e64 v54, v59, v54, s[38:39]
	v_lshlrev_b32_e32 v90, 2, v54
	ds_bpermute_b32 v63, v90, v62
	v_lshl_add_u64 v[54:55], v[80:81], 0, v[56:57]
	global_load_dwordx4 v[58:61], v[54:55], off
	s_nop 0
	global_load_dwordx4 v[54:57], v[54:55], off offset:16
	s_waitcnt lgkmcnt(0)
	v_max_f32_e32 v63, v63, v63
	v_max_f32_e32 v86, v62, v63
	v_sub_f32_e32 v52, v52, v86
	v_mul_f32_e32 v52, 0x3fb8aa3b, v52
	v_exp_f32_e32 v80, v52
	v_sub_f32_e32 v52, v53, v86
	v_mul_f32_e32 v52, 0x3fb8aa3b, v52
	v_exp_f32_e32 v81, v52
	global_load_dwordx4 v[62:65], v[50:51], off
	s_nop 0
	global_load_dwordx4 v[50:53], v[50:51], off offset:16
	v_sub_f32_e32 v78, v78, v86
	v_mul_f32_e32 v78, 0x3fb8aa3b, v78
	v_sub_f32_e32 v79, v79, v86
	v_exp_f32_e32 v78, v78
	v_mul_f32_e32 v79, 0x3fb8aa3b, v79
	v_sub_f32_e32 v76, v76, v86
	v_exp_f32_e32 v79, v79
	v_mul_f32_e32 v76, 0x3fb8aa3b, v76
	v_sub_f32_e32 v77, v77, v86
	v_cndmask_b32_e64 v80, 0, v80, s[28:29]
	v_exp_f32_e32 v76, v76
	v_mul_f32_e32 v77, 0x3fb8aa3b, v77
	v_sub_f32_e32 v74, v74, v86
	v_add_f32_e32 v92, 0, v80
	v_cndmask_b32_e64 v81, 0, v81, s[30:31]
	v_exp_f32_e32 v77, v77
	v_mul_f32_e32 v74, 0x3fb8aa3b, v74
	v_sub_f32_e32 v75, v75, v86
	v_add_f32_e32 v92, v92, v81
	;; [unrolled: 5-line block ×10, first 2 shown]
	v_cndmask_b32_e64 v70, 0, v70, s[10:11]
	v_exp_f32_e32 v66, v66
	v_mul_f32_e32 v67, 0x3fb8aa3b, v67
	v_add_f32_e32 v92, v92, v70
	v_cndmask_b32_e64 v71, 0, v71, s[12:13]
	v_exp_f32_e32 v67, v67
	v_add_f32_e32 v92, v92, v71
	v_cndmask_b32_e64 v68, 0, v68, s[6:7]
	v_add_f32_e32 v92, v92, v68
	v_cndmask_b32_e64 v69, 0, v69, s[8:9]
	v_add_f32_e32 v92, v92, v69
	v_cndmask_b32_e32 v66, 0, v66, vcc
	v_add_f32_e32 v92, v92, v66
	v_cndmask_b32_e64 v67, 0, v67, s[4:5]
	v_add_f32_e32 v92, v92, v67
	ds_bpermute_b32 v87, v87, v92
	s_load_dword s7, s[0:1], 0x98
	v_cmp_gt_u32_e32 vcc, 16, v89
	s_waitcnt lgkmcnt(0)
	s_barrier
	v_add_f32_e32 v87, v92, v87
	ds_bpermute_b32 v90, v90, v87
	s_waitcnt lgkmcnt(0)
	s_and_saveexec_b64 s[4:5], vcc
	s_cbranch_execz .LBB746_17
; %bb.16:
	v_add_f32_e32 v87, v87, v90
	v_lshlrev_b32_e32 v89, 2, v91
	ds_write2st64_b32 v89, v86, v87 offset1:1
.LBB746_17:
	s_or_b64 exec, exec, s[4:5]
	v_lshlrev_b32_e32 v87, 2, v84
	s_load_dword s6, s[0:1], 0x94
	s_waitcnt lgkmcnt(0)
	s_barrier
	ds_read2_b32 v[90:91], v87 offset1:16
	ds_read2_b32 v[92:93], v87 offset0:32 offset1:48
	ds_read2_b32 v[94:95], v87 offset0:64 offset1:80
	s_movk_i32 s8, 0x7fff
	s_mov_b32 s9, 0x7060302
	s_waitcnt lgkmcnt(2)
	v_max3_f32 v86, v90, s33, v91
	s_waitcnt lgkmcnt(1)
	v_max3_f32 v86, v86, v92, v93
	v_sub_f32_e32 v89, v90, v86
	v_sub_f32_e32 v90, v91, v86
	v_mul_f32_e32 v90, 0x3fb8aa3b, v90
	v_mul_f32_e32 v89, 0x3fb8aa3b, v89
	v_exp_f32_e32 v88, v90
	v_sub_f32_e32 v90, v92, v86
	v_exp_f32_e32 v89, v89
	v_mul_f32_e32 v90, 0x3fb8aa3b, v90
	v_exp_f32_e32 v92, v90
	ds_read2_b32 v[90:91], v87 offset0:96 offset1:112
	v_sub_f32_e32 v87, v93, v86
	v_mul_f32_e32 v87, 0x3fb8aa3b, v87
	v_exp_f32_e32 v93, v87
	s_waitcnt lgkmcnt(1)
	v_fma_f32 v87, v89, v94, 0
	v_fmac_f32_e32 v87, v88, v95
	s_waitcnt lgkmcnt(0)
	v_fmac_f32_e32 v87, v92, v90
	v_fmac_f32_e32 v87, v93, v91
	v_add_f32_e32 v90, 0x358637bd, v87
	v_div_scale_f32 v91, s[4:5], v90, v90, 1.0
	v_rcp_f32_e32 v94, v91
	s_mul_i32 s7, s7, 3
	s_barrier
	v_fma_f32 v95, -v91, v94, 1.0
	v_fmac_f32_e32 v94, v95, v94
	v_div_scale_f32 v95, vcc, 1.0, v90, 1.0
	v_mul_f32_e32 v1, v95, v94
	v_fma_f32 v85, -v91, v1, v95
	v_fmac_f32_e32 v1, v85, v94
	v_fma_f32 v85, -v91, v1, v95
	v_lshrrev_b32_e32 v91, 6, v0
	v_div_fmas_f32 v1, v85, v94, v1
	v_cmp_eq_u32_e32 vcc, 1, v91
	v_div_fixup_f32 v1, v1, v90, 1.0
	s_nop 0
	v_cndmask_b32_e32 v85, v89, v88, vcc
	v_cmp_eq_u32_e32 vcc, 2, v91
	v_bfe_u32 v88, v0, 4, 2
	s_nop 0
	v_cndmask_b32_e32 v85, v85, v92, vcc
	v_cmp_eq_u32_e32 vcc, 3, v91
	s_nop 1
	v_cndmask_b32_e32 v85, v85, v93, vcc
	v_mul_f32_e32 v90, v85, v1
	v_pk_mul_f32 v[80:81], v[90:91], v[80:81] op_sel_hi:[0,1]
	v_bfe_u32 v1, v81, 16, 1
	v_bfe_u32 v85, v80, 16, 1
	v_pk_mul_f32 v[78:79], v[90:91], v[78:79] op_sel_hi:[0,1]
	v_add3_u32 v80, v80, v85, s8
	v_add3_u32 v1, v81, v1, s8
	v_perm_b32 v80, v1, v80, s9
	v_bfe_u32 v1, v79, 16, 1
	v_bfe_u32 v81, v78, 16, 1
	v_add3_u32 v78, v78, v81, s8
	v_add3_u32 v1, v79, v1, s8
	v_perm_b32 v81, v1, v78, s9
	v_lshlrev_b32_e32 v1, 3, v88
	v_lshlrev_b32_e32 v79, 5, v84
	;; [unrolled: 1-line block ×3, first 2 shown]
	v_pk_mul_f32 v[76:77], v[90:91], v[76:77] op_sel_hi:[0,1]
	v_or3_b32 v78, v78, v79, v1
	v_bfe_u32 v1, v77, 16, 1
	v_bfe_u32 v85, v76, 16, 1
	v_pk_mul_f32 v[74:75], v[90:91], v[74:75] op_sel_hi:[0,1]
	v_add3_u32 v76, v76, v85, s8
	v_add3_u32 v1, v77, v1, s8
	v_perm_b32 v76, v1, v76, s9
	v_bfe_u32 v1, v75, 16, 1
	v_bfe_u32 v77, v74, 16, 1
	v_add3_u32 v74, v74, v77, s8
	v_add3_u32 v1, v75, v1, s8
	v_pk_mul_f32 v[72:73], v[90:91], v[72:73] op_sel_hi:[0,1]
	v_perm_b32 v77, v1, v74, s9
	v_bfe_u32 v1, v73, 16, 1
	v_bfe_u32 v74, v72, 16, 1
	v_pk_mul_f32 v[70:71], v[90:91], v[70:71] op_sel_hi:[0,1]
	v_add3_u32 v72, v72, v74, s8
	v_add3_u32 v1, v73, v1, s8
	v_perm_b32 v72, v1, v72, s9
	v_bfe_u32 v1, v71, 16, 1
	v_bfe_u32 v73, v70, 16, 1
	v_add3_u32 v70, v70, v73, s8
	v_add3_u32 v1, v71, v1, s8
	v_pk_mul_f32 v[68:69], v[90:91], v[68:69] op_sel_hi:[0,1]
	v_perm_b32 v73, v1, v70, s9
	v_bfe_u32 v1, v69, 16, 1
	v_bfe_u32 v70, v68, 16, 1
	v_pk_mul_f32 v[66:67], v[90:91], v[66:67] op_sel_hi:[0,1]
	v_add3_u32 v68, v68, v70, s8
	v_add3_u32 v1, v69, v1, s8
	v_perm_b32 v68, v1, v68, s9
	v_bfe_u32 v1, v67, 16, 1
	v_bfe_u32 v69, v66, 16, 1
	v_add3_u32 v66, v66, v69, s8
	v_add3_u32 v1, v67, v1, s8
	v_perm_b32 v69, v1, v66, s9
	v_cmp_gt_u32_e32 vcc, 3, v0
	ds_write2st64_b64 v78, v[80:81], v[76:77] offset1:1
	ds_write2st64_b64 v78, v[72:73], v[68:69] offset0:2 offset1:3
	s_and_saveexec_b64 s[4:5], vcc
	s_cbranch_execz .LBB746_19
; %bb.18:
	s_mov_b32 s41, 0
	v_mov_b32_e32 v85, 0
	v_lshl_add_u64 v[66:67], s[40:41], 0, v[84:85]
	v_mov_b32_e32 v1, s7
	v_mad_u64_u32 v[66:67], s[10:11], s2, v1, v[66:67]
	s_mul_i32 s3, s3, s7
	v_mov_b32_e32 v68, s26
	v_mov_b32_e32 v69, v85
	s_load_dwordx4 s[12:15], s[0:1], 0x58
	v_add_u32_e32 v1, s3, v67
	v_mad_u64_u32 v[66:67], s[10:11], v66, s6, v[68:69]
	v_mov_b32_e32 v68, v67
	v_mad_u64_u32 v[68:69], s[10:11], v1, s6, v[68:69]
	v_mov_b32_e32 v67, v68
	v_lshlrev_b64 v[66:67], 2, v[66:67]
	s_waitcnt lgkmcnt(0)
	v_lshl_add_u64 v[68:69], s[14:15], 0, v[66:67]
	v_lshl_add_u64 v[66:67], s[12:13], 0, v[66:67]
	global_store_dword v[68:69], v86, off
	global_store_dword v[66:67], v87, off
.LBB746_19:
	s_or_b64 exec, exec, s[4:5]
	v_lshl_or_b32 v1, v88, 9, v79
	s_waitcnt lgkmcnt(0)
	s_barrier
	ds_read_b128 v[70:73], v1
	ds_read_b128 v[66:69], v1 offset:16
	s_waitcnt vmcnt(15) lgkmcnt(1)
	v_mfma_f32_16x16x16_bf16 v[74:77], v[30:31], v[70:71], 0
	v_cmp_gt_u32_e32 vcc, 64, v0
	v_cmp_ne_u32_e64 s[4:5], 3, v88
	s_mov_b32 s3, 0
	v_mfma_f32_16x16x16_bf16 v[30:33], v[32:33], v[72:73], v[74:77]
	s_and_b64 s[4:5], vcc, s[4:5]
	s_waitcnt vmcnt(14) lgkmcnt(0)
	v_mfma_f32_16x16x16_bf16 v[30:33], v[26:27], v[66:67], v[30:33]
	v_mfma_f32_16x16x16_bf16 v[26:29], v[28:29], v[68:69], v[30:33]
	s_nop 5
	ds_read_b128 v[30:33], v1 offset:2048
	ds_read_b128 v[74:77], v1 offset:2064
	s_waitcnt vmcnt(13) lgkmcnt(1)
	v_mfma_f32_16x16x16_bf16 v[26:29], v[22:23], v[30:31], v[26:29]
	v_mfma_f32_16x16x16_bf16 v[22:25], v[24:25], v[32:33], v[26:29]
	s_waitcnt vmcnt(12) lgkmcnt(0)
	v_mfma_f32_16x16x16_bf16 v[22:25], v[18:19], v[74:75], v[22:25]
	v_mfma_f32_16x16x16_bf16 v[18:21], v[20:21], v[76:77], v[22:25]
	s_nop 5
	ds_read_b128 v[22:25], v1 offset:4096
	ds_read_b128 v[26:29], v1 offset:4112
	s_waitcnt vmcnt(11) lgkmcnt(1)
	v_mfma_f32_16x16x16_bf16 v[18:21], v[14:15], v[22:23], v[18:21]
	v_mfma_f32_16x16x16_bf16 v[14:17], v[16:17], v[24:25], v[18:21]
	s_waitcnt vmcnt(10) lgkmcnt(0)
	v_mfma_f32_16x16x16_bf16 v[14:17], v[10:11], v[26:27], v[14:17]
	v_mfma_f32_16x16x16_bf16 v[10:13], v[12:13], v[28:29], v[14:17]
	s_nop 5
	ds_read_b128 v[14:17], v1 offset:6144
	ds_read_b128 v[18:21], v1 offset:6160
	s_waitcnt lgkmcnt(0)
	s_barrier
	s_waitcnt vmcnt(9)
	v_mfma_f32_16x16x16_bf16 v[10:13], v[6:7], v[14:15], v[10:13]
	v_mfma_f32_16x16x16_bf16 v[6:9], v[8:9], v[16:17], v[10:13]
	s_waitcnt vmcnt(8)
	v_mfma_f32_16x16x16_bf16 v[6:9], v[2:3], v[18:19], v[6:9]
	v_mfma_f32_16x16x16_bf16 v[2:5], v[4:5], v[20:21], v[6:9]
	;; [unrolled: 3-line block ×3, first 2 shown]
	s_nop 3
	v_bfe_u32 v1, v3, 16, 1
	v_bfe_u32 v10, v2, 16, 1
	v_add3_u32 v2, v2, v10, s8
	s_waitcnt vmcnt(6)
	v_mfma_f32_16x16x16_bf16 v[6:9], v[38:39], v[66:67], v[6:9]
	v_add3_u32 v1, v3, v1, s8
	v_perm_b32 v10, v1, v2, s9
	v_bfe_u32 v1, v5, 16, 1
	v_mfma_f32_16x16x16_bf16 v[6:9], v[40:41], v[68:69], v[6:9]
	v_bfe_u32 v2, v4, 16, 1
	v_add3_u32 v2, v4, v2, s8
	v_add3_u32 v1, v5, v1, s8
	s_waitcnt vmcnt(5)
	v_mfma_f32_16x16x16_bf16 v[6:9], v[42:43], v[30:31], v[6:9]
	v_perm_b32 v11, v1, v2, s9
	v_mfma_f32_16x16x16_bf16 v[6:9], v[44:45], v[32:33], v[6:9]
	s_waitcnt vmcnt(4)
	v_mfma_f32_16x16x16_bf16 v[6:9], v[34:35], v[74:75], v[6:9]
	v_mfma_f32_16x16x16_bf16 v[6:9], v[36:37], v[76:77], v[6:9]
	s_waitcnt vmcnt(3)
	v_mfma_f32_16x16x16_bf16 v[6:9], v[58:59], v[22:23], v[6:9]
	;; [unrolled: 3-line block ×5, first 2 shown]
	v_mfma_f32_16x16x16_bf16 v[2:5], v[52:53], v[20:21], v[6:9]
	s_nop 6
	v_bfe_u32 v1, v3, 16, 1
	v_bfe_u32 v6, v2, 16, 1
	v_add3_u32 v2, v2, v6, s8
	v_add3_u32 v1, v3, v1, s8
	v_perm_b32 v2, v1, v2, s9
	v_bfe_u32 v1, v5, 16, 1
	v_bfe_u32 v3, v4, 16, 1
	v_add3_u32 v3, v4, v3, s8
	v_add3_u32 v1, v5, v1, s8
	v_perm_b32 v3, v1, v3, s9
	ds_write2st64_b64 v78, v[10:11], v[2:3] offset1:1
	s_waitcnt lgkmcnt(0)
	s_barrier
	s_and_saveexec_b64 s[8:9], s[4:5]
	s_cbranch_execz .LBB746_21
; %bb.20:
	scratch_load_dword v4, off, off         ; 4-byte Folded Reload
	s_load_dwordx2 s[0:1], s[0:1], 0x68
	s_mul_i32 s2, s7, s2
	s_lshl_b32 s6, s6, 7
	v_lshlrev_b32_e32 v3, 6, v84
	s_mul_hi_u32 s5, s2, s6
	s_mul_i32 s4, s2, s6
	v_lshlrev_b32_e32 v2, 4, v0
	v_lshl_or_b32 v0, v0, 10, v3
	s_lshl_b64 s[4:5], s[4:5], 1
	v_lshlrev_b32_e32 v1, 5, v88
	v_and_b32_e32 v2, 16, v2
	v_and_b32_e32 v0, 0x1a00, v0
	s_waitcnt lgkmcnt(0)
	s_add_u32 s4, s0, s4
	v_or3_b32 v0, v0, v1, v2
	s_addc_u32 s5, s1, s5
	s_lshl_b32 s2, s26, 7
	ds_read_b128 v[0:3], v0
	s_lshl_b64 s[0:1], s[2:3], 1
	s_add_u32 s0, s4, s0
	s_addc_u32 s1, s5, s1
	s_waitcnt vmcnt(0)
	v_mad_u64_u32 v[4:5], s[2:3], s6, v4, 0
	v_lshl_add_u64 v[4:5], v[4:5], 1, s[0:1]
	v_lshl_add_u64 v[4:5], v[82:83], 1, v[4:5]
	s_waitcnt lgkmcnt(0)
	global_store_dwordx4 v[4:5], v[0:3], off
.LBB746_21:
	s_endpgm
	.section	.rodata,"a",@progbits
	.p2align	6, 0x0
	.amdhsa_kernel _Z39paged_attention_ll4mi_QKV_mfma16_kernelI14__hip_bfloat16S0_LN4vllm18Fp8KVCacheDataTypeE0ES0_Li32ELi128ELi256ELb1ELi3EEvPKT_PKT0_S8_ifPKiSA_SA_iPKfiiiPfSD_PS3_PT2_iSC_SC_
		.amdhsa_group_segment_fixed_size 8192
		.amdhsa_private_segment_fixed_size 8
		.amdhsa_kernarg_size 400
		.amdhsa_user_sgpr_count 2
		.amdhsa_user_sgpr_dispatch_ptr 0
		.amdhsa_user_sgpr_queue_ptr 0
		.amdhsa_user_sgpr_kernarg_segment_ptr 1
		.amdhsa_user_sgpr_dispatch_id 0
		.amdhsa_user_sgpr_kernarg_preload_length 0
		.amdhsa_user_sgpr_kernarg_preload_offset 0
		.amdhsa_user_sgpr_private_segment_size 0
		.amdhsa_uses_dynamic_stack 0
		.amdhsa_enable_private_segment 1
		.amdhsa_system_sgpr_workgroup_id_x 1
		.amdhsa_system_sgpr_workgroup_id_y 1
		.amdhsa_system_sgpr_workgroup_id_z 1
		.amdhsa_system_sgpr_workgroup_info 0
		.amdhsa_system_vgpr_workitem_id 0
		.amdhsa_next_free_vgpr 96
		.amdhsa_next_free_sgpr 42
		.amdhsa_accum_offset 96
		.amdhsa_reserve_vcc 1
		.amdhsa_float_round_mode_32 0
		.amdhsa_float_round_mode_16_64 0
		.amdhsa_float_denorm_mode_32 3
		.amdhsa_float_denorm_mode_16_64 3
		.amdhsa_dx10_clamp 1
		.amdhsa_ieee_mode 1
		.amdhsa_fp16_overflow 0
		.amdhsa_tg_split 0
		.amdhsa_exception_fp_ieee_invalid_op 0
		.amdhsa_exception_fp_denorm_src 0
		.amdhsa_exception_fp_ieee_div_zero 0
		.amdhsa_exception_fp_ieee_overflow 0
		.amdhsa_exception_fp_ieee_underflow 0
		.amdhsa_exception_fp_ieee_inexact 0
		.amdhsa_exception_int_div_zero 0
	.end_amdhsa_kernel
	.section	.text._Z39paged_attention_ll4mi_QKV_mfma16_kernelI14__hip_bfloat16S0_LN4vllm18Fp8KVCacheDataTypeE0ES0_Li32ELi128ELi256ELb1ELi3EEvPKT_PKT0_S8_ifPKiSA_SA_iPKfiiiPfSD_PS3_PT2_iSC_SC_,"axG",@progbits,_Z39paged_attention_ll4mi_QKV_mfma16_kernelI14__hip_bfloat16S0_LN4vllm18Fp8KVCacheDataTypeE0ES0_Li32ELi128ELi256ELb1ELi3EEvPKT_PKT0_S8_ifPKiSA_SA_iPKfiiiPfSD_PS3_PT2_iSC_SC_,comdat
.Lfunc_end746:
	.size	_Z39paged_attention_ll4mi_QKV_mfma16_kernelI14__hip_bfloat16S0_LN4vllm18Fp8KVCacheDataTypeE0ES0_Li32ELi128ELi256ELb1ELi3EEvPKT_PKT0_S8_ifPKiSA_SA_iPKfiiiPfSD_PS3_PT2_iSC_SC_, .Lfunc_end746-_Z39paged_attention_ll4mi_QKV_mfma16_kernelI14__hip_bfloat16S0_LN4vllm18Fp8KVCacheDataTypeE0ES0_Li32ELi128ELi256ELb1ELi3EEvPKT_PKT0_S8_ifPKiSA_SA_iPKfiiiPfSD_PS3_PT2_iSC_SC_
                                        ; -- End function
	.section	.AMDGPU.csdata,"",@progbits
; Kernel info:
; codeLenInByte = 5164
; NumSgprs: 48
; NumVgprs: 96
; NumAgprs: 0
; TotalNumVgprs: 96
; ScratchSize: 8
; MemoryBound: 0
; FloatMode: 240
; IeeeMode: 1
; LDSByteSize: 8192 bytes/workgroup (compile time only)
; SGPRBlocks: 5
; VGPRBlocks: 11
; NumSGPRsForWavesPerEU: 48
; NumVGPRsForWavesPerEU: 96
; AccumOffset: 96
; Occupancy: 5
; WaveLimiterHint : 1
; COMPUTE_PGM_RSRC2:SCRATCH_EN: 1
; COMPUTE_PGM_RSRC2:USER_SGPR: 2
; COMPUTE_PGM_RSRC2:TRAP_HANDLER: 0
; COMPUTE_PGM_RSRC2:TGID_X_EN: 1
; COMPUTE_PGM_RSRC2:TGID_Y_EN: 1
; COMPUTE_PGM_RSRC2:TGID_Z_EN: 1
; COMPUTE_PGM_RSRC2:TIDIG_COMP_CNT: 0
; COMPUTE_PGM_RSRC3_GFX90A:ACCUM_OFFSET: 23
; COMPUTE_PGM_RSRC3_GFX90A:TG_SPLIT: 0
	.section	.text._Z39paged_attention_ll4mi_QKV_mfma16_kernelI14__hip_bfloat16S0_LN4vllm18Fp8KVCacheDataTypeE0ES0_Li32ELi128ELi256ELb1ELi4EEvPKT_PKT0_S8_ifPKiSA_SA_iPKfiiiPfSD_PS3_PT2_iSC_SC_,"axG",@progbits,_Z39paged_attention_ll4mi_QKV_mfma16_kernelI14__hip_bfloat16S0_LN4vllm18Fp8KVCacheDataTypeE0ES0_Li32ELi128ELi256ELb1ELi4EEvPKT_PKT0_S8_ifPKiSA_SA_iPKfiiiPfSD_PS3_PT2_iSC_SC_,comdat
	.protected	_Z39paged_attention_ll4mi_QKV_mfma16_kernelI14__hip_bfloat16S0_LN4vllm18Fp8KVCacheDataTypeE0ES0_Li32ELi128ELi256ELb1ELi4EEvPKT_PKT0_S8_ifPKiSA_SA_iPKfiiiPfSD_PS3_PT2_iSC_SC_ ; -- Begin function _Z39paged_attention_ll4mi_QKV_mfma16_kernelI14__hip_bfloat16S0_LN4vllm18Fp8KVCacheDataTypeE0ES0_Li32ELi128ELi256ELb1ELi4EEvPKT_PKT0_S8_ifPKiSA_SA_iPKfiiiPfSD_PS3_PT2_iSC_SC_
	.globl	_Z39paged_attention_ll4mi_QKV_mfma16_kernelI14__hip_bfloat16S0_LN4vllm18Fp8KVCacheDataTypeE0ES0_Li32ELi128ELi256ELb1ELi4EEvPKT_PKT0_S8_ifPKiSA_SA_iPKfiiiPfSD_PS3_PT2_iSC_SC_
	.p2align	8
	.type	_Z39paged_attention_ll4mi_QKV_mfma16_kernelI14__hip_bfloat16S0_LN4vllm18Fp8KVCacheDataTypeE0ES0_Li32ELi128ELi256ELb1ELi4EEvPKT_PKT0_S8_ifPKiSA_SA_iPKfiiiPfSD_PS3_PT2_iSC_SC_,@function
_Z39paged_attention_ll4mi_QKV_mfma16_kernelI14__hip_bfloat16S0_LN4vllm18Fp8KVCacheDataTypeE0ES0_Li32ELi128ELi256ELb1ELi4EEvPKT_PKT0_S8_ifPKiSA_SA_iPKfiiiPfSD_PS3_PT2_iSC_SC_: ; @_Z39paged_attention_ll4mi_QKV_mfma16_kernelI14__hip_bfloat16S0_LN4vllm18Fp8KVCacheDataTypeE0ES0_Li32ELi128ELi256ELb1ELi4EEvPKT_PKT0_S8_ifPKiSA_SA_iPKfiiiPfSD_PS3_PT2_iSC_SC_
; %bb.0:
	s_load_dwordx2 s[8:9], s[0:1], 0x30
	s_mov_b32 s20, s3
	s_mov_b64 s[6:7], 0
	s_waitcnt lgkmcnt(0)
	s_cmp_lg_u64 s[8:9], 0
	s_cselect_b64 s[10:11], -1, 0
	s_and_b64 vcc, exec, s[10:11]
	s_cbranch_vccz .LBB747_7
; %bb.1:
	s_add_i32 s12, s2, 1
	s_mov_b32 s13, 0
	s_lshl_b64 s[14:15], s[12:13], 2
	s_add_u32 s14, s8, s14
	s_mov_b32 s3, s13
	s_addc_u32 s15, s9, s15
	s_lshl_b64 s[12:13], s[2:3], 2
	s_add_u32 s12, s8, s12
	s_addc_u32 s13, s9, s13
	s_load_dword s5, s[14:15], 0x0
	s_load_dword s16, s[12:13], 0x0
	s_waitcnt lgkmcnt(0)
	s_sub_i32 s5, s5, s16
	s_cmp_eq_u32 s5, 1
	s_cselect_b64 s[12:13], -1, 0
	s_andn2_b64 vcc, exec, s[6:7]
	s_cbranch_vccnz .LBB747_3
.LBB747_2:
	s_mov_b32 s3, 0
	s_mov_b64 s[12:13], -1
.LBB747_3:
	s_andn2_b64 vcc, exec, s[12:13]
	s_cbranch_vccnz .LBB747_21
; %bb.4:
	s_load_dwordx2 s[6:7], s[0:1], 0x28
	s_lshl_b64 s[12:13], s[2:3], 2
	s_waitcnt lgkmcnt(0)
	s_add_u32 s6, s6, s12
	s_addc_u32 s7, s7, s13
	s_load_dword s33, s[6:7], 0x0
	s_lshl_b32 s18, s20, 8
	s_waitcnt lgkmcnt(0)
	s_cmp_ge_i32 s18, s33
	s_cbranch_scc1 .LBB747_21
; %bb.5:
	s_load_dwordx2 s[6:7], s[0:1], 0x20
	s_load_dword s5, s[0:1], 0x38
	s_add_i32 s14, s33, 31
	s_ashr_i32 s15, s14, 31
	v_and_b32_e32 v1, 0xcf, v0
	s_lshr_b32 s15, s15, 27
	v_add_u32_e32 v1, s18, v1
	s_add_i32 s14, s14, s15
	v_ashrrev_i32_e32 v2, 31, v1
	s_ashr_i32 s19, s14, 5
	v_lshrrev_b32_e32 v4, 27, v2
	s_add_i32 s19, s19, -1
	s_waitcnt lgkmcnt(0)
	s_mul_i32 s14, s2, s5
	s_mov_b32 s15, 0
	v_add_u32_e32 v2, v1, v4
	s_lshl_b64 s[14:15], s[14:15], 2
	v_ashrrev_i32_e32 v2, 5, v2
	v_mov_b32_e32 v5, s19
	v_cmp_gt_i32_e32 vcc, s33, v1
	s_add_u32 s6, s6, s14
	s_addc_u32 s7, s7, s15
	v_cndmask_b32_e32 v2, v5, v2, vcc
	v_ashrrev_i32_e32 v3, 31, v2
	v_lshl_add_u64 v[6:7], v[2:3], 2, s[6:7]
	v_or_b32_e32 v2, 16, v1
	v_add_u32_e32 v3, v2, v4
	v_ashrrev_i32_e32 v3, 5, v3
	v_cmp_gt_i32_e32 vcc, s33, v2
	s_nop 1
	v_cndmask_b32_e32 v2, v5, v3, vcc
	v_ashrrev_i32_e32 v3, 31, v2
	v_lshl_add_u64 v[8:9], v[2:3], 2, s[6:7]
	v_or_b32_e32 v2, 32, v1
	v_add_u32_e32 v3, v2, v4
	v_ashrrev_i32_e32 v3, 5, v3
	v_cmp_gt_i32_e32 vcc, s33, v2
	v_or_b32_e32 v1, 48, v1
	s_nop 0
	v_cndmask_b32_e32 v2, v5, v3, vcc
	v_ashrrev_i32_e32 v3, 31, v2
	v_lshl_add_u64 v[10:11], v[2:3], 2, s[6:7]
	v_add_u32_e32 v2, v1, v4
	v_ashrrev_i32_e32 v2, 5, v2
	v_cmp_gt_i32_e32 vcc, s33, v1
	s_nop 1
	v_cndmask_b32_e32 v2, v5, v2, vcc
	v_ashrrev_i32_e32 v3, 31, v2
	v_lshl_add_u64 v[12:13], v[2:3], 2, s[6:7]
	global_load_dword v5, v[6:7], off
	global_load_dword v4, v[8:9], off
	;; [unrolled: 1-line block ×4, first 2 shown]
	s_andn2_b64 vcc, exec, s[10:11]
	s_cbranch_vccnz .LBB747_8
; %bb.6:
	s_add_u32 s8, s8, s12
	s_addc_u32 s9, s9, s13
	s_load_dword s5, s[8:9], 0x0
	s_branch .LBB747_9
.LBB747_7:
	s_mov_b64 s[12:13], 0
	s_branch .LBB747_2
.LBB747_8:
	s_mov_b32 s5, s2
.LBB747_9:
	s_load_dwordx2 s[14:15], s[0:1], 0x8
	s_load_dwordx4 s[8:11], s[0:1], 0x48
	v_and_b32_e32 v1, 15, v0
	v_bfe_u32 v90, v0, 4, 2
	s_lshl_b32 s21, s4, 2
	v_lshlrev_b32_e32 v82, 3, v1
	v_cmp_gt_u32_e64 s[22:23], 64, v0
	v_cmp_lt_u32_e32 vcc, 63, v0
	s_and_saveexec_b64 s[12:13], vcc
	s_xor_b64 s[12:13], exec, s[12:13]
; %bb.10:
	v_mov_b32_e32 v83, 0
; %bb.11:
	s_or_saveexec_b64 s[16:17], s[12:13]
	s_load_dwordx2 s[12:13], s[0:1], 0x10
	v_or_b32_e32 v6, s21, v90
	v_lshrrev_b32_e32 v91, 6, v0
	scratch_store_dword off, v6, off        ; 4-byte Folded Spill
	v_and_b32_e32 v14, 3, v0
	v_lshlrev_b32_e32 v6, 5, v90
	scratch_store_dword off, v6, off offset:4 ; 4-byte Folded Spill
	s_xor_b64 exec, exec, s[16:17]
	s_cbranch_execz .LBB747_13
; %bb.12:
	scratch_load_dword v6, off, off         ; 4-byte Folded Reload
	s_load_dwordx2 s[24:25], s[0:1], 0x0
	s_waitcnt lgkmcnt(0)
	s_ashr_i32 s11, s8, 31
	s_mul_hi_u32 s26, s5, s8
	s_mul_i32 s11, s5, s11
	s_add_i32 s27, s26, s11
	s_mul_i32 s26, s5, s8
	s_lshl_b64 s[26:27], s[26:27], 1
	s_add_u32 s24, s24, s26
	s_addc_u32 s25, s25, s27
	v_mov_b32_e32 v83, 0
	v_lshlrev_b32_e32 v8, 1, v82
	v_mov_b32_e32 v9, v83
	v_lshlrev_b32_e32 v10, 5, v90
	v_lshlrev_b32_e32 v12, 9, v1
	v_lshl_or_b32 v10, v91, 7, v10
	v_lshlrev_b32_e32 v11, 9, v14
	v_and_b32_e32 v12, 0x1800, v12
	v_or3_b32 v10, v12, v11, v10
	s_waitcnt vmcnt(0)
	v_lshlrev_b32_e32 v6, 7, v6
	v_ashrrev_i32_e32 v7, 31, v6
	v_lshl_add_u64 v[6:7], v[6:7], 1, s[24:25]
	v_lshl_add_u64 v[6:7], v[6:7], 0, v[8:9]
	global_load_dwordx4 v[6:9], v[6:7], off
	s_waitcnt vmcnt(0)
	ds_write_b128 v10, v[6:9]
.LBB747_13:
	s_or_b64 exec, exec, s[16:17]
	s_waitcnt lgkmcnt(0)
	s_mul_i32 s4, s4, s10
	s_mov_b32 s5, 0
	s_lshl_b64 s[4:5], s[4:5], 1
	s_add_u32 s10, s14, s4
	s_addc_u32 s11, s15, s5
	s_waitcnt vmcnt(5)
	v_mad_i64_i32 v[6:7], s[14:15], v5, s9, 0
	v_lshl_add_u64 v[6:7], v[6:7], 1, s[10:11]
	v_lshlrev_b64 v[8:9], 1, v[82:83]
	v_lshlrev_b32_e32 v84, 9, v90
	v_lshl_add_u64 v[6:7], v[6:7], 0, v[8:9]
	v_mov_b32_e32 v85, 0
	v_lshl_add_u64 v[10:11], v[6:7], 0, v[84:85]
	v_or_b32_e32 v16, 0x1000, v84
	v_mov_b32_e32 v17, v85
	v_or_b32_e32 v34, 0x1800, v84
	v_mov_b32_e32 v35, v85
	s_barrier
	global_load_dwordx4 v[74:77], v[10:11], off
	global_load_dwordx4 v[66:69], v[10:11], off offset:2048
	v_lshl_add_u64 v[10:11], v[6:7], 0, v[16:17]
	v_lshl_add_u64 v[6:7], v[6:7], 0, v[34:35]
	global_load_dwordx4 v[78:81], v[10:11], off
	global_load_dwordx4 v[70:73], v[6:7], off
	s_waitcnt vmcnt(8)
	v_mad_i64_i32 v[4:5], s[14:15], v4, s9, 0
	v_mov_b32_e32 v6, 0x100
	v_lshl_add_u64 v[4:5], v[4:5], 1, s[10:11]
	v_lshl_or_b32 v6, v1, 4, v6
	v_mov_b32_e32 v7, v85
	v_lshl_add_u64 v[4:5], v[4:5], 0, v[6:7]
	v_lshl_add_u64 v[10:11], v[4:5], 0, v[84:85]
	global_load_dwordx4 v[62:65], v[10:11], off
	global_load_dwordx4 v[58:61], v[10:11], off offset:2048
	v_lshl_add_u64 v[10:11], v[4:5], 0, v[16:17]
	v_lshl_add_u64 v[4:5], v[4:5], 0, v[34:35]
	global_load_dwordx4 v[54:57], v[10:11], off
	global_load_dwordx4 v[30:33], v[4:5], off
	s_waitcnt vmcnt(11)
	v_mad_i64_i32 v[4:5], s[14:15], v3, s9, 0
	v_lshl_add_u64 v[4:5], v[4:5], 1, s[10:11]
	s_waitcnt vmcnt(10)
	v_mad_i64_i32 v[2:3], s[14:15], v2, s9, 0
	v_lshl_add_u64 v[4:5], v[4:5], 0, v[8:9]
	v_lshl_add_u64 v[2:3], v[2:3], 1, s[10:11]
	;; [unrolled: 1-line block ×4, first 2 shown]
	global_load_dwordx4 v[26:29], v[8:9], off
	global_load_dwordx4 v[22:25], v[8:9], off offset:2048
	v_lshl_add_u64 v[8:9], v[4:5], 0, v[16:17]
	v_lshl_add_u64 v[4:5], v[4:5], 0, v[34:35]
	;; [unrolled: 1-line block ×5, first 2 shown]
	global_load_dwordx4 v[18:21], v[8:9], off
	global_load_dwordx4 v[10:13], v[4:5], off
	s_nop 0
	global_load_dwordx4 v[6:9], v[2:3], off
	s_nop 0
	global_load_dwordx4 v[2:5], v[2:3], off offset:2048
	s_nop 0
	global_load_dwordx4 v[42:45], v[16:17], off
	s_nop 0
	global_load_dwordx4 v[34:37], v[34:35], off
	v_lshl_or_b32 v38, v14, 5, v84
	ds_read_b128 v[14:17], v38
	ds_read_b128 v[50:53], v38 offset:2048
	ds_read_b128 v[46:49], v38 offset:4096
	;; [unrolled: 1-line block ×3, first 2 shown]
	v_and_b32_e32 v94, 63, v0
	v_cmp_gt_u32_e32 vcc, 4, v1
	v_mov_b32_e32 v92, 0
	s_and_saveexec_b64 s[10:11], vcc
	s_cbranch_execz .LBB747_15
; %bb.14:
	s_load_dwordx2 s[14:15], s[0:1], 0x40
	v_or_b32_e32 v86, s21, v1
	v_ashrrev_i32_e32 v87, 31, v86
	s_waitcnt lgkmcnt(0)
	v_lshl_add_u64 v[86:87], v[86:87], 2, s[14:15]
	global_load_dword v92, v[86:87], off
.LBB747_15:
	s_or_b64 exec, exec, s[10:11]
	s_waitcnt vmcnt(15) lgkmcnt(3)
	v_mfma_f32_16x16x16_bf16 v[86:89], v[74:75], v[14:15], 0
	s_ashr_i32 s8, s18, 31
	s_lshr_b32 s8, s8, 27
	s_add_u32 s4, s12, s4
	v_mfma_f32_16x16x16_bf16 v[74:77], v[76:77], v[16:17], v[86:89]
	s_addc_u32 s5, s13, s5
	s_mov_b32 s42, 0xff7fffff
	s_waitcnt vmcnt(14) lgkmcnt(2)
	v_mfma_f32_16x16x16_bf16 v[74:77], v[66:67], v[50:51], v[74:77]
	v_lshl_or_b32 v86, v91, 4, v1
	v_mfma_f32_16x16x16_bf16 v[66:69], v[68:69], v[52:53], v[74:77]
	s_waitcnt vmcnt(13) lgkmcnt(1)
	v_mfma_f32_16x16x16_bf16 v[66:69], v[78:79], v[46:47], v[66:69]
	s_nop 2
	v_and_or_b32 v76, v0, 48, s18
	v_mov_b32_e32 v77, s19
	v_cmp_gt_i32_e32 vcc, s33, v76
	v_mfma_f32_16x16x16_bf16 v[66:69], v[80:81], v[48:49], v[66:69]
	s_waitcnt vmcnt(12) lgkmcnt(0)
	v_mfma_f32_16x16x16_bf16 v[66:69], v[70:71], v[38:39], v[66:69]
	v_add_u32_e32 v70, s8, v76
	v_ashrrev_i32_e32 v74, 5, v70
	v_cndmask_b32_e32 v74, v77, v74, vcc
	v_mfma_f32_16x16x16_bf16 v[66:69], v[72:73], v[40:41], v[66:69]
	v_ashrrev_i32_e32 v75, 31, v74
	s_waitcnt vmcnt(11)
	v_mfma_f32_16x16x16_bf16 v[70:73], v[62:63], v[14:15], 0
	v_mfma_f32_16x16x16_bf16 v[62:65], v[64:65], v[16:17], v[70:73]
	s_waitcnt vmcnt(10)
	v_mfma_f32_16x16x16_bf16 v[62:65], v[58:59], v[50:51], v[62:65]
	s_nop 3
	v_or_b32_e32 v72, 64, v76
	v_add_u32_e32 v73, s8, v72
	v_ashrrev_i32_e32 v58, 5, v73
	v_cmp_gt_i32_e32 vcc, s33, v72
	v_lshl_add_u64 v[70:71], v[74:75], 2, s[6:7]
	s_nop 0
	v_cndmask_b32_e32 v72, v77, v58, vcc
	v_mfma_f32_16x16x16_bf16 v[58:61], v[60:61], v[52:53], v[62:65]
	v_ashrrev_i32_e32 v73, 31, v72
	s_waitcnt vmcnt(9)
	v_mfma_f32_16x16x16_bf16 v[58:61], v[54:55], v[46:47], v[58:61]
	v_lshl_add_u64 v[62:63], v[72:73], 2, s[6:7]
	global_load_dword v64, v[70:71], off
	s_nop 0
	global_load_dword v62, v[62:63], off
	v_or_b32_e32 v63, 0x80, v76
	v_add_u32_e32 v65, s8, v63
	v_mfma_f32_16x16x16_bf16 v[54:57], v[56:57], v[48:49], v[58:61]
	v_cmp_gt_i32_e32 vcc, s33, v63
	s_nop 1
	v_ashrrev_i32_e32 v58, 5, v65
	v_cndmask_b32_e32 v58, v77, v58, vcc
	v_ashrrev_i32_e32 v59, 31, v58
	s_waitcnt vmcnt(10)
	v_mfma_f32_16x16x16_bf16 v[54:57], v[30:31], v[38:39], v[54:57]
	v_lshl_add_u64 v[30:31], v[58:59], 2, s[6:7]
	global_load_dword v60, v[30:31], off
	v_or_b32_e32 v58, 0xc0, v76
	v_add_u32_e32 v30, s8, v58
	v_ashrrev_i32_e32 v59, 5, v30
	v_cmp_gt_i32_e32 vcc, s33, v58
	v_mfma_f32_16x16x16_bf16 v[54:57], v[32:33], v[40:41], v[54:57]
	s_waitcnt vmcnt(10)
	v_mfma_f32_16x16x16_bf16 v[30:33], v[26:27], v[14:15], 0
	v_cndmask_b32_e32 v26, v77, v59, vcc
	v_ashrrev_i32_e32 v27, 31, v26
	v_lshl_add_u64 v[58:59], v[26:27], 2, s[6:7]
	global_load_dword v63, v[58:59], off
	v_mfma_f32_16x16x16_bf16 v[26:29], v[28:29], v[16:17], v[30:33]
	s_load_dword s6, s[0:1], 0x1c
	s_waitcnt vmcnt(10)
	v_mfma_f32_16x16x16_bf16 v[26:29], v[22:23], v[50:51], v[26:29]
	v_and_b32_e32 v30, 16, v0
	v_lshlrev_b32_e32 v84, 1, v30
	v_lshl_add_u64 v[78:79], s[4:5], 0, v[84:85]
	v_mfma_f32_16x16x16_bf16 v[22:25], v[24:25], v[52:53], v[26:29]
	v_lshlrev_b32_e32 v84, 6, v86
	v_lshl_add_u64 v[74:75], v[78:79], 0, v[84:85]
	v_or_b32_e32 v84, 0x1000, v84
	s_waitcnt vmcnt(9)
	v_mfma_f32_16x16x16_bf16 v[22:25], v[18:19], v[46:47], v[22:25]
	v_mfma_f32_16x16x16_bf16 v[18:21], v[20:21], v[48:49], v[22:25]
	s_waitcnt vmcnt(8)
	v_mfma_f32_16x16x16_bf16 v[18:21], v[10:11], v[38:39], v[18:21]
	s_waitcnt vmcnt(3)
	s_nop 2
	v_mad_i64_i32 v[22:23], s[4:5], v64, s9, 0
	s_waitcnt vmcnt(2)
	v_mad_i64_i32 v[10:11], s[4:5], v62, s9, 0
	v_lshlrev_b64 v[80:81], 1, v[22:23]
	v_lshlrev_b64 v[58:59], 1, v[10:11]
	v_lshl_add_u64 v[22:23], v[74:75], 0, v[80:81]
	v_lshl_add_u64 v[10:11], v[74:75], 0, v[58:59]
	global_load_dwordx4 v[30:33], v[22:23], off
	global_load_dwordx4 v[26:29], v[22:23], off offset:16
	v_mfma_f32_16x16x16_bf16 v[70:73], v[12:13], v[40:41], v[18:21]
	global_load_dwordx4 v[22:25], v[10:11], off
	s_nop 1
	global_load_dwordx4 v[18:21], v[10:11], off offset:16
	v_mfma_f32_16x16x16_bf16 v[10:13], v[6:7], v[14:15], 0
	s_waitcnt vmcnt(5)
	v_mad_i64_i32 v[6:7], s[4:5], v60, s9, 0
	v_lshlrev_b64 v[60:61], 1, v[6:7]
	v_mfma_f32_16x16x16_bf16 v[6:9], v[8:9], v[16:17], v[10:13]
	v_mfma_f32_16x16x16_bf16 v[6:9], v[2:3], v[50:51], v[6:9]
	s_nop 1
	v_lshl_add_u64 v[10:11], v[74:75], 0, v[60:61]
	global_load_dwordx4 v[14:17], v[10:11], off
	s_nop 0
	global_load_dwordx4 v[10:13], v[10:11], off offset:16
	s_waitcnt vmcnt(6)
	v_mad_i64_i32 v[2:3], s[4:5], v63, s9, 0
	v_mfma_f32_16x16x16_bf16 v[62:65], v[4:5], v[52:53], v[6:9]
	v_lshlrev_b64 v[50:51], 1, v[2:3]
	v_lshl_add_u64 v[2:3], v[74:75], 0, v[50:51]
	s_waitcnt lgkmcnt(0)
	v_pk_mul_f32 v[52:53], s[6:7], v[66:67] op_sel_hi:[0,1]
	v_mfma_f32_16x16x16_bf16 v[74:77], v[42:43], v[46:47], v[62:65]
	v_pk_mul_f32 v[66:67], s[6:7], v[54:55] op_sel_hi:[0,1]
	global_load_dwordx4 v[6:9], v[2:3], off
	s_nop 0
	global_load_dwordx4 v[2:5], v[2:3], off offset:16
	v_lshl_add_u64 v[62:63], v[78:79], 0, v[84:85]
	v_mfma_f32_16x16x16_bf16 v[44:47], v[44:45], v[48:49], v[74:77]
	v_lshl_add_u64 v[42:43], v[62:63], 0, v[80:81]
	v_pk_mul_f32 v[80:81], s[6:7], v[68:69] op_sel_hi:[0,1]
	v_pk_mul_f32 v[68:69], s[6:7], v[70:71] op_sel_hi:[0,1]
	v_mfma_f32_16x16x16_bf16 v[44:47], v[34:35], v[38:39], v[44:47]
	v_pk_mul_f32 v[74:75], s[6:7], v[56:57] op_sel_hi:[0,1]
	v_pk_mul_f32 v[76:77], s[6:7], v[72:73] op_sel_hi:[0,1]
	v_lshl_add_u64 v[50:51], v[62:63], 0, v[50:51]
	v_mfma_f32_16x16x16_bf16 v[34:37], v[36:37], v[40:41], v[44:47]
	s_nop 6
	v_pk_mul_f32 v[70:71], s[6:7], v[34:35] op_sel_hi:[0,1]
	v_and_b32_e32 v34, 0xc0, v0
	v_add_u32_e32 v34, s18, v34
	v_lshl_or_b32 v34, v90, 2, v34
	v_or_b32_e32 v35, 1, v34
	v_pk_mul_f32 v[78:79], s[6:7], v[36:37] op_sel_hi:[0,1]
	v_subrev_u32_e32 v36, s33, v35
	v_add_u32_e32 v38, 1, v36
	v_add_u32_e32 v39, 2, v36
	v_cvt_f32_i32_e32 v37, v36
	v_cvt_f32_i32_e32 v38, v38
	;; [unrolled: 1-line block ×3, first 2 shown]
	v_add_u32_e32 v40, 3, v36
	v_fma_f32 v52, v92, v37, v52
	v_fmac_f32_e32 v53, v92, v38
	v_fma_f32 v80, v92, v39, v80
	v_add_u32_e32 v37, 16, v36
	v_add_u32_e32 v38, 17, v36
	;; [unrolled: 1-line block ×3, first 2 shown]
	v_cvt_f32_i32_e32 v40, v40
	v_cvt_f32_i32_e32 v37, v37
	;; [unrolled: 1-line block ×4, first 2 shown]
	v_fmac_f32_e32 v81, v92, v40
	v_add_u32_e32 v40, 19, v36
	v_fma_f32 v66, v92, v37, v66
	v_fmac_f32_e32 v67, v92, v38
	v_fma_f32 v74, v92, v39, v74
	v_add_u32_e32 v37, 32, v36
	v_add_u32_e32 v38, 33, v36
	;; [unrolled: 1-line block ×3, first 2 shown]
	v_cvt_f32_i32_e32 v40, v40
	v_cvt_f32_i32_e32 v37, v37
	;; [unrolled: 1-line block ×4, first 2 shown]
	v_fmac_f32_e32 v75, v92, v40
	v_add_u32_e32 v40, 35, v36
	v_fma_f32 v68, v92, v37, v68
	v_fmac_f32_e32 v69, v92, v38
	v_fma_f32 v76, v92, v39, v76
	v_add_u32_e32 v37, 48, v36
	v_add_u32_e32 v38, 49, v36
	;; [unrolled: 1-line block ×4, first 2 shown]
	v_cvt_f32_i32_e32 v36, v36
	v_cvt_f32_i32_e32 v37, v37
	;; [unrolled: 1-line block ×3, first 2 shown]
	v_cmp_gt_i32_e64 s[4:5], s33, v34
	v_fmac_f32_e32 v79, v92, v36
	v_mov_b32_e32 v36, 0xff7fffff
	v_cmp_gt_i32_e64 s[24:25], s33, v35
	v_fma_f32 v70, v92, v37, v70
	v_cndmask_b32_e64 v37, v36, v52, s[4:5]
	v_cndmask_b32_e64 v35, v36, v53, s[24:25]
	v_fmac_f32_e32 v71, v92, v38
	v_max3_f32 v35, v37, s42, v35
	v_or_b32_e32 v37, 2, v34
	v_or_b32_e32 v38, 3, v34
	v_cmp_gt_i32_e64 s[26:27], s33, v37
	v_cmp_gt_i32_e64 s[28:29], s33, v38
	v_cvt_f32_i32_e32 v40, v40
	v_cndmask_b32_e64 v37, v36, v80, s[26:27]
	v_cndmask_b32_e64 v38, v36, v81, s[28:29]
	v_max3_f32 v35, v35, v37, v38
	v_or_b32_e32 v37, 16, v34
	v_or_b32_e32 v38, 17, v34
	v_cmp_gt_i32_e64 s[30:31], s33, v37
	v_cmp_gt_i32_e64 s[34:35], s33, v38
	v_fmac_f32_e32 v77, v92, v40
	v_cndmask_b32_e64 v37, v36, v66, s[30:31]
	v_cndmask_b32_e64 v38, v36, v67, s[34:35]
	v_max3_f32 v35, v35, v37, v38
	v_or_b32_e32 v37, 18, v34
	v_or_b32_e32 v38, 19, v34
	v_cmp_gt_i32_e64 s[36:37], s33, v37
	v_cmp_gt_i32_e64 s[38:39], s33, v38
	v_cvt_f32_i32_e32 v39, v39
	v_cndmask_b32_e64 v37, v36, v74, s[36:37]
	v_cndmask_b32_e64 v38, v36, v75, s[38:39]
	v_max3_f32 v35, v35, v37, v38
	v_or_b32_e32 v37, 32, v34
	v_or_b32_e32 v38, 33, v34
	v_cmp_gt_i32_e64 s[16:17], s33, v37
	v_cmp_gt_i32_e64 s[18:19], s33, v38
	v_fma_f32 v78, v92, v39, v78
	v_cndmask_b32_e64 v37, v36, v68, s[16:17]
	v_cndmask_b32_e64 v38, v36, v69, s[18:19]
	v_max3_f32 v35, v35, v37, v38
	v_or_b32_e32 v37, 34, v34
	v_or_b32_e32 v38, 35, v34
	v_cmp_gt_i32_e64 s[12:13], s33, v37
	v_cmp_gt_i32_e64 s[14:15], s33, v38
	s_nop 0
	v_cndmask_b32_e64 v37, v36, v76, s[12:13]
	v_cndmask_b32_e64 v38, v36, v77, s[14:15]
	v_max3_f32 v35, v35, v37, v38
	v_or_b32_e32 v37, 48, v34
	v_or_b32_e32 v38, 49, v34
	v_cmp_gt_i32_e64 s[8:9], s33, v37
	v_cmp_gt_i32_e64 s[10:11], s33, v38
	s_nop 0
	v_cndmask_b32_e64 v37, v36, v70, s[8:9]
	v_cndmask_b32_e64 v38, v36, v71, s[10:11]
	v_max3_f32 v35, v35, v37, v38
	v_or_b32_e32 v37, 50, v34
	v_or_b32_e32 v34, 51, v34
	v_cmp_gt_i32_e32 vcc, s33, v37
	v_cmp_gt_i32_e64 s[6:7], s33, v34
	global_load_dwordx4 v[46:49], v[42:43], off
	global_load_dwordx4 v[38:41], v[42:43], off offset:16
	v_cndmask_b32_e32 v37, v36, v78, vcc
	v_cndmask_b32_e64 v34, v36, v79, s[6:7]
	v_max3_f32 v54, v35, v37, v34
	v_mbcnt_lo_u32_b32 v34, -1, 0
	v_mbcnt_hi_u32_b32 v55, -1, v34
	v_and_b32_e32 v34, 64, v55
	v_add_u32_e32 v56, 64, v34
	v_xor_b32_e32 v34, 32, v55
	v_cmp_lt_i32_e64 s[40:41], v34, v56
	s_nop 1
	v_cndmask_b32_e64 v34, v55, v34, s[40:41]
	v_lshlrev_b32_e32 v87, 2, v34
	ds_bpermute_b32 v57, v87, v54
	v_lshl_add_u64 v[34:35], v[62:63], 0, v[58:59]
	global_load_dwordx4 v[42:45], v[34:35], off
	s_nop 0
	global_load_dwordx4 v[34:37], v[34:35], off offset:16
	s_waitcnt lgkmcnt(0)
	v_max_f32_e32 v57, v57, v57
	v_max_f32_e32 v64, v54, v57
	v_xor_b32_e32 v54, 16, v55
	v_cmp_lt_i32_e64 s[40:41], v54, v56
	s_nop 1
	v_cndmask_b32_e64 v54, v55, v54, s[40:41]
	v_lshlrev_b32_e32 v85, 2, v54
	ds_bpermute_b32 v65, v85, v64
	v_lshl_add_u64 v[54:55], v[62:63], 0, v[60:61]
	global_load_dwordx4 v[58:61], v[54:55], off
	s_nop 0
	global_load_dwordx4 v[54:57], v[54:55], off offset:16
	s_waitcnt lgkmcnt(0)
	v_max_f32_e32 v62, v65, v65
	v_max_f32_e32 v84, v64, v62
	v_sub_f32_e32 v52, v52, v84
	v_mul_f32_e32 v52, 0x3fb8aa3b, v52
	v_exp_f32_e32 v72, v52
	v_sub_f32_e32 v52, v53, v84
	v_mul_f32_e32 v52, 0x3fb8aa3b, v52
	v_exp_f32_e32 v73, v52
	global_load_dwordx4 v[62:65], v[50:51], off
	s_nop 0
	global_load_dwordx4 v[50:53], v[50:51], off offset:16
	v_sub_f32_e32 v80, v80, v84
	v_mul_f32_e32 v80, 0x3fb8aa3b, v80
	v_sub_f32_e32 v81, v81, v84
	v_exp_f32_e32 v80, v80
	v_mul_f32_e32 v81, 0x3fb8aa3b, v81
	v_sub_f32_e32 v66, v66, v84
	v_exp_f32_e32 v81, v81
	v_mul_f32_e32 v66, 0x3fb8aa3b, v66
	v_sub_f32_e32 v67, v67, v84
	v_cndmask_b32_e64 v72, 0, v72, s[4:5]
	v_exp_f32_e32 v66, v66
	v_mul_f32_e32 v67, 0x3fb8aa3b, v67
	v_sub_f32_e32 v74, v74, v84
	v_add_f32_e32 v88, 0, v72
	v_cndmask_b32_e64 v73, 0, v73, s[24:25]
	v_exp_f32_e32 v67, v67
	v_mul_f32_e32 v74, 0x3fb8aa3b, v74
	v_sub_f32_e32 v75, v75, v84
	v_add_f32_e32 v88, v88, v73
	;; [unrolled: 5-line block ×10, first 2 shown]
	v_cndmask_b32_e64 v76, 0, v76, s[12:13]
	v_exp_f32_e32 v78, v78
	v_mul_f32_e32 v79, 0x3fb8aa3b, v79
	v_add_f32_e32 v88, v88, v76
	v_cndmask_b32_e64 v77, 0, v77, s[14:15]
	v_exp_f32_e32 v79, v79
	v_add_f32_e32 v88, v88, v77
	v_cndmask_b32_e64 v70, 0, v70, s[8:9]
	v_add_f32_e32 v88, v88, v70
	v_cndmask_b32_e64 v71, 0, v71, s[10:11]
	v_add_f32_e32 v88, v88, v71
	v_cndmask_b32_e32 v78, 0, v78, vcc
	v_add_f32_e32 v88, v88, v78
	v_cndmask_b32_e64 v79, 0, v79, s[6:7]
	v_add_f32_e32 v92, v88, v79
	ds_bpermute_b32 v93, v87, v92
	s_load_dword s7, s[0:1], 0x98
	v_cmp_gt_u32_e32 vcc, 16, v94
	s_waitcnt lgkmcnt(0)
	s_barrier
	v_add_f32_e32 v92, v92, v93
	ds_bpermute_b32 v85, v85, v92
	s_waitcnt lgkmcnt(0)
	s_and_saveexec_b64 s[4:5], vcc
	s_cbranch_execz .LBB747_17
; %bb.16:
	v_add_f32_e32 v85, v92, v85
	v_lshlrev_b32_e32 v86, 2, v86
	ds_write2st64_b32 v86, v84, v85 offset1:1
.LBB747_17:
	s_or_b64 exec, exec, s[4:5]
	v_lshlrev_b32_e32 v85, 2, v1
	s_load_dword s6, s[0:1], 0x94
	s_waitcnt lgkmcnt(0)
	s_barrier
	ds_read2_b32 v[86:87], v85 offset1:16
	ds_read2_b32 v[88:89], v85 offset0:32 offset1:48
	ds_read2_b32 v[92:93], v85 offset0:64 offset1:80
	s_movk_i32 s8, 0x7fff
	s_mov_b32 s9, 0x7060302
	s_waitcnt lgkmcnt(2)
	v_max3_f32 v84, v86, s42, v87
	s_waitcnt lgkmcnt(1)
	v_max3_f32 v84, v84, v88, v89
	v_sub_f32_e32 v86, v86, v84
	v_mul_f32_e32 v86, 0x3fb8aa3b, v86
	v_exp_f32_e32 v94, v86
	v_sub_f32_e32 v86, v87, v84
	v_mul_f32_e32 v86, 0x3fb8aa3b, v86
	v_exp_f32_e32 v95, v86
	;; [unrolled: 3-line block ×3, first 2 shown]
	ds_read2_b32 v[86:87], v85 offset0:96 offset1:112
	v_sub_f32_e32 v85, v89, v84
	v_mul_f32_e32 v85, 0x3fb8aa3b, v85
	v_exp_f32_e32 v89, v85
	s_waitcnt lgkmcnt(1)
	v_fma_f32 v85, v94, v92, 0
	v_fmac_f32_e32 v85, v95, v93
	s_waitcnt lgkmcnt(0)
	v_fmac_f32_e32 v85, v88, v86
	v_fmac_f32_e32 v85, v89, v87
	v_add_f32_e32 v86, 0x358637bd, v85
	v_div_scale_f32 v87, s[4:5], v86, v86, 1.0
	v_rcp_f32_e32 v92, v87
	s_barrier
	v_fma_f32 v93, -v87, v92, 1.0
	v_fmac_f32_e32 v92, v93, v92
	v_div_scale_f32 v93, vcc, 1.0, v86, 1.0
	v_mul_f32_e32 v90, v93, v92
	v_fma_f32 v91, -v87, v90, v93
	v_fmac_f32_e32 v90, v91, v92
	v_fma_f32 v87, -v87, v90, v93
	v_div_fmas_f32 v87, v87, v92, v90
	v_lshrrev_b32_e32 v90, 6, v0
	v_cmp_eq_u32_e32 vcc, 1, v90
	v_div_fixup_f32 v86, v87, v86, 1.0
	s_lshl_b32 s7, s7, 2
	v_cndmask_b32_e32 v87, v94, v95, vcc
	v_cmp_eq_u32_e32 vcc, 2, v90
	s_nop 1
	v_cndmask_b32_e32 v87, v87, v88, vcc
	v_cmp_eq_u32_e32 vcc, 3, v90
	s_nop 1
	v_cndmask_b32_e32 v87, v87, v89, vcc
	v_mul_f32_e32 v86, v87, v86
	v_pk_mul_f32 v[72:73], v[86:87], v[72:73] op_sel_hi:[0,1]
	v_pk_mul_f32 v[80:81], v[86:87], v[80:81] op_sel_hi:[0,1]
	v_bfe_u32 v87, v73, 16, 1
	v_bfe_u32 v88, v72, 16, 1
	v_add3_u32 v72, v72, v88, s8
	v_add3_u32 v73, v73, v87, s8
	v_perm_b32 v88, v73, v72, s9
	v_bfe_u32 v72, v81, 16, 1
	v_bfe_u32 v73, v80, 16, 1
	v_add3_u32 v73, v80, v73, s8
	v_add3_u32 v72, v81, v72, s8
	v_bfe_u32 v87, v0, 4, 2
	v_perm_b32 v89, v72, v73, s9
	v_lshlrev_b32_e32 v73, 3, v87
	v_lshlrev_b32_e32 v72, 5, v1
	;; [unrolled: 1-line block ×3, first 2 shown]
	v_pk_mul_f32 v[66:67], v[86:87], v[66:67] op_sel_hi:[0,1]
	v_or3_b32 v80, v80, v72, v73
	v_bfe_u32 v73, v67, 16, 1
	v_bfe_u32 v81, v66, 16, 1
	v_pk_mul_f32 v[74:75], v[86:87], v[74:75] op_sel_hi:[0,1]
	v_add3_u32 v66, v66, v81, s8
	v_add3_u32 v67, v67, v73, s8
	v_perm_b32 v66, v67, v66, s9
	v_bfe_u32 v67, v75, 16, 1
	v_bfe_u32 v73, v74, 16, 1
	v_add3_u32 v73, v74, v73, s8
	v_add3_u32 v67, v75, v67, s8
	v_pk_mul_f32 v[68:69], v[86:87], v[68:69] op_sel_hi:[0,1]
	v_perm_b32 v67, v67, v73, s9
	v_bfe_u32 v73, v69, 16, 1
	v_bfe_u32 v74, v68, 16, 1
	ds_write2st64_b64 v80, v[88:89], v[66:67] offset1:1
	v_pk_mul_f32 v[66:67], v[86:87], v[76:77] op_sel_hi:[0,1]
	v_add3_u32 v68, v68, v74, s8
	v_add3_u32 v69, v69, v73, s8
	v_perm_b32 v68, v69, v68, s9
	v_bfe_u32 v69, v67, 16, 1
	v_bfe_u32 v73, v66, 16, 1
	v_pk_mul_f32 v[70:71], v[86:87], v[70:71] op_sel_hi:[0,1]
	v_add3_u32 v66, v66, v73, s8
	v_add3_u32 v67, v67, v69, s8
	v_bfe_u32 v73, v71, 16, 1
	v_bfe_u32 v74, v70, 16, 1
	v_perm_b32 v69, v67, v66, s9
	v_pk_mul_f32 v[66:67], v[86:87], v[78:79] op_sel_hi:[0,1]
	v_add3_u32 v70, v70, v74, s8
	v_add3_u32 v71, v71, v73, s8
	v_perm_b32 v70, v71, v70, s9
	v_bfe_u32 v71, v67, 16, 1
	v_bfe_u32 v73, v66, 16, 1
	v_add3_u32 v66, v66, v73, s8
	v_add3_u32 v67, v67, v71, s8
	v_perm_b32 v71, v67, v66, s9
	v_cmp_gt_u32_e32 vcc, 4, v0
	ds_write2st64_b64 v80, v[68:69], v[70:71] offset0:2 offset1:3
	s_and_saveexec_b64 s[4:5], vcc
	s_cbranch_execz .LBB747_19
; %bb.18:
	v_or_b32_e32 v66, s21, v0
	v_mov_b32_e32 v67, 0
	v_mov_b32_e32 v68, s7
	v_mad_u64_u32 v[68:69], s[10:11], s2, v68, v[66:67]
	v_mov_b32_e32 v66, s20
	s_load_dwordx4 s[12:15], s[0:1], 0x58
	s_mul_i32 s3, s3, s7
	v_mad_u64_u32 v[66:67], s[10:11], v68, s6, v[66:67]
	v_add_u32_e32 v69, s3, v69
	v_mov_b32_e32 v68, v67
	v_mad_u64_u32 v[68:69], s[10:11], v69, s6, v[68:69]
	v_mov_b32_e32 v67, v68
	v_lshlrev_b64 v[66:67], 2, v[66:67]
	s_waitcnt lgkmcnt(0)
	v_lshl_add_u64 v[68:69], s[14:15], 0, v[66:67]
	v_lshl_add_u64 v[66:67], s[12:13], 0, v[66:67]
	global_store_dword v[68:69], v84, off
	global_store_dword v[66:67], v85, off
.LBB747_19:
	s_or_b64 exec, exec, s[4:5]
	v_lshl_or_b32 v78, v87, 9, v72
	s_waitcnt lgkmcnt(0)
	s_barrier
	ds_read_b128 v[70:73], v78
	ds_read_b128 v[66:69], v78 offset:16
	s_waitcnt vmcnt(15) lgkmcnt(1)
	v_mfma_f32_16x16x16_bf16 v[74:77], v[30:31], v[70:71], 0
	s_mov_b32 s3, 0
	v_mfma_f32_16x16x16_bf16 v[30:33], v[32:33], v[72:73], v[74:77]
	s_waitcnt vmcnt(14) lgkmcnt(0)
	v_mfma_f32_16x16x16_bf16 v[30:33], v[26:27], v[66:67], v[30:33]
	v_mfma_f32_16x16x16_bf16 v[26:29], v[28:29], v[68:69], v[30:33]
	s_nop 5
	ds_read_b128 v[30:33], v78 offset:2048
	ds_read_b128 v[74:77], v78 offset:2064
	s_waitcnt vmcnt(13) lgkmcnt(1)
	v_mfma_f32_16x16x16_bf16 v[26:29], v[22:23], v[30:31], v[26:29]
	v_mfma_f32_16x16x16_bf16 v[22:25], v[24:25], v[32:33], v[26:29]
	s_waitcnt vmcnt(12) lgkmcnt(0)
	v_mfma_f32_16x16x16_bf16 v[22:25], v[18:19], v[74:75], v[22:25]
	v_mfma_f32_16x16x16_bf16 v[18:21], v[20:21], v[76:77], v[22:25]
	s_nop 5
	ds_read_b128 v[22:25], v78 offset:4096
	ds_read_b128 v[26:29], v78 offset:4112
	s_waitcnt vmcnt(11) lgkmcnt(1)
	v_mfma_f32_16x16x16_bf16 v[18:21], v[14:15], v[22:23], v[18:21]
	v_mfma_f32_16x16x16_bf16 v[14:17], v[16:17], v[24:25], v[18:21]
	s_waitcnt vmcnt(10) lgkmcnt(0)
	v_mfma_f32_16x16x16_bf16 v[14:17], v[10:11], v[26:27], v[14:17]
	v_mfma_f32_16x16x16_bf16 v[10:13], v[12:13], v[28:29], v[14:17]
	s_nop 5
	ds_read_b128 v[14:17], v78 offset:6144
	ds_read_b128 v[18:21], v78 offset:6160
	s_waitcnt lgkmcnt(0)
	s_barrier
	s_waitcnt vmcnt(9)
	v_mfma_f32_16x16x16_bf16 v[10:13], v[6:7], v[14:15], v[10:13]
	v_mfma_f32_16x16x16_bf16 v[6:9], v[8:9], v[16:17], v[10:13]
	s_waitcnt vmcnt(8)
	v_mfma_f32_16x16x16_bf16 v[6:9], v[2:3], v[18:19], v[6:9]
	v_mfma_f32_16x16x16_bf16 v[2:5], v[4:5], v[20:21], v[6:9]
	;; [unrolled: 3-line block ×3, first 2 shown]
	s_nop 3
	v_bfe_u32 v10, v3, 16, 1
	v_bfe_u32 v11, v2, 16, 1
	v_add3_u32 v2, v2, v11, s8
	s_waitcnt vmcnt(6)
	v_mfma_f32_16x16x16_bf16 v[6:9], v[38:39], v[66:67], v[6:9]
	v_add3_u32 v3, v3, v10, s8
	v_perm_b32 v10, v3, v2, s9
	v_bfe_u32 v2, v5, 16, 1
	v_mfma_f32_16x16x16_bf16 v[6:9], v[40:41], v[68:69], v[6:9]
	v_bfe_u32 v3, v4, 16, 1
	v_add3_u32 v3, v4, v3, s8
	v_add3_u32 v2, v5, v2, s8
	s_waitcnt vmcnt(5)
	v_mfma_f32_16x16x16_bf16 v[6:9], v[42:43], v[30:31], v[6:9]
	v_perm_b32 v11, v2, v3, s9
	v_mfma_f32_16x16x16_bf16 v[6:9], v[44:45], v[32:33], v[6:9]
	s_waitcnt vmcnt(4)
	v_mfma_f32_16x16x16_bf16 v[6:9], v[34:35], v[74:75], v[6:9]
	v_mfma_f32_16x16x16_bf16 v[6:9], v[36:37], v[76:77], v[6:9]
	s_waitcnt vmcnt(3)
	v_mfma_f32_16x16x16_bf16 v[6:9], v[58:59], v[22:23], v[6:9]
	;; [unrolled: 3-line block ×5, first 2 shown]
	v_mfma_f32_16x16x16_bf16 v[2:5], v[52:53], v[20:21], v[6:9]
	s_nop 6
	v_bfe_u32 v6, v3, 16, 1
	v_bfe_u32 v7, v2, 16, 1
	v_add3_u32 v2, v2, v7, s8
	v_add3_u32 v3, v3, v6, s8
	v_perm_b32 v2, v3, v2, s9
	v_bfe_u32 v3, v5, 16, 1
	v_bfe_u32 v6, v4, 16, 1
	v_add3_u32 v4, v4, v6, s8
	v_add3_u32 v3, v5, v3, s8
	v_perm_b32 v3, v3, v4, s9
	ds_write2st64_b64 v80, v[10:11], v[2:3] offset1:1
	s_waitcnt lgkmcnt(0)
	s_barrier
	s_and_saveexec_b64 s[4:5], s[22:23]
	s_cbranch_execz .LBB747_21
; %bb.20:
	v_lshlrev_b32_e32 v1, 6, v1
	v_lshlrev_b32_e32 v2, 4, v0
	v_lshl_or_b32 v0, v0, 10, v1
	scratch_load_dword v1, off, off offset:4 ; 4-byte Folded Reload
	scratch_load_dword v4, off, off         ; 4-byte Folded Reload
	s_load_dwordx2 s[0:1], s[0:1], 0x68
	s_lshl_b32 s6, s6, 7
	s_mul_i32 s2, s7, s2
	s_mul_hi_u32 s5, s2, s6
	s_mul_i32 s4, s2, s6
	s_lshl_b64 s[4:5], s[4:5], 1
	v_and_b32_e32 v2, 16, v2
	v_and_b32_e32 v0, 0x1a00, v0
	s_waitcnt lgkmcnt(0)
	s_add_u32 s4, s0, s4
	s_addc_u32 s5, s1, s5
	s_lshl_b32 s2, s20, 7
	s_lshl_b64 s[0:1], s[2:3], 1
	s_add_u32 s0, s4, s0
	s_addc_u32 s1, s5, s1
	s_waitcnt vmcnt(1)
	v_or3_b32 v0, v0, v1, v2
	ds_read_b128 v[0:3], v0
	s_waitcnt vmcnt(0)
	v_mad_u64_u32 v[4:5], s[2:3], s6, v4, 0
	v_lshl_add_u64 v[4:5], v[4:5], 1, s[0:1]
	v_lshl_add_u64 v[4:5], v[82:83], 1, v[4:5]
	s_waitcnt lgkmcnt(0)
	global_store_dwordx4 v[4:5], v[0:3], off
.LBB747_21:
	s_endpgm
	.section	.rodata,"a",@progbits
	.p2align	6, 0x0
	.amdhsa_kernel _Z39paged_attention_ll4mi_QKV_mfma16_kernelI14__hip_bfloat16S0_LN4vllm18Fp8KVCacheDataTypeE0ES0_Li32ELi128ELi256ELb1ELi4EEvPKT_PKT0_S8_ifPKiSA_SA_iPKfiiiPfSD_PS3_PT2_iSC_SC_
		.amdhsa_group_segment_fixed_size 8192
		.amdhsa_private_segment_fixed_size 12
		.amdhsa_kernarg_size 400
		.amdhsa_user_sgpr_count 2
		.amdhsa_user_sgpr_dispatch_ptr 0
		.amdhsa_user_sgpr_queue_ptr 0
		.amdhsa_user_sgpr_kernarg_segment_ptr 1
		.amdhsa_user_sgpr_dispatch_id 0
		.amdhsa_user_sgpr_kernarg_preload_length 0
		.amdhsa_user_sgpr_kernarg_preload_offset 0
		.amdhsa_user_sgpr_private_segment_size 0
		.amdhsa_uses_dynamic_stack 0
		.amdhsa_enable_private_segment 1
		.amdhsa_system_sgpr_workgroup_id_x 1
		.amdhsa_system_sgpr_workgroup_id_y 1
		.amdhsa_system_sgpr_workgroup_id_z 1
		.amdhsa_system_sgpr_workgroup_info 0
		.amdhsa_system_vgpr_workitem_id 0
		.amdhsa_next_free_vgpr 96
		.amdhsa_next_free_sgpr 43
		.amdhsa_accum_offset 96
		.amdhsa_reserve_vcc 1
		.amdhsa_float_round_mode_32 0
		.amdhsa_float_round_mode_16_64 0
		.amdhsa_float_denorm_mode_32 3
		.amdhsa_float_denorm_mode_16_64 3
		.amdhsa_dx10_clamp 1
		.amdhsa_ieee_mode 1
		.amdhsa_fp16_overflow 0
		.amdhsa_tg_split 0
		.amdhsa_exception_fp_ieee_invalid_op 0
		.amdhsa_exception_fp_denorm_src 0
		.amdhsa_exception_fp_ieee_div_zero 0
		.amdhsa_exception_fp_ieee_overflow 0
		.amdhsa_exception_fp_ieee_underflow 0
		.amdhsa_exception_fp_ieee_inexact 0
		.amdhsa_exception_int_div_zero 0
	.end_amdhsa_kernel
	.section	.text._Z39paged_attention_ll4mi_QKV_mfma16_kernelI14__hip_bfloat16S0_LN4vllm18Fp8KVCacheDataTypeE0ES0_Li32ELi128ELi256ELb1ELi4EEvPKT_PKT0_S8_ifPKiSA_SA_iPKfiiiPfSD_PS3_PT2_iSC_SC_,"axG",@progbits,_Z39paged_attention_ll4mi_QKV_mfma16_kernelI14__hip_bfloat16S0_LN4vllm18Fp8KVCacheDataTypeE0ES0_Li32ELi128ELi256ELb1ELi4EEvPKT_PKT0_S8_ifPKiSA_SA_iPKfiiiPfSD_PS3_PT2_iSC_SC_,comdat
.Lfunc_end747:
	.size	_Z39paged_attention_ll4mi_QKV_mfma16_kernelI14__hip_bfloat16S0_LN4vllm18Fp8KVCacheDataTypeE0ES0_Li32ELi128ELi256ELb1ELi4EEvPKT_PKT0_S8_ifPKiSA_SA_iPKfiiiPfSD_PS3_PT2_iSC_SC_, .Lfunc_end747-_Z39paged_attention_ll4mi_QKV_mfma16_kernelI14__hip_bfloat16S0_LN4vllm18Fp8KVCacheDataTypeE0ES0_Li32ELi128ELi256ELb1ELi4EEvPKT_PKT0_S8_ifPKiSA_SA_iPKfiiiPfSD_PS3_PT2_iSC_SC_
                                        ; -- End function
	.section	.AMDGPU.csdata,"",@progbits
; Kernel info:
; codeLenInByte = 5144
; NumSgprs: 49
; NumVgprs: 96
; NumAgprs: 0
; TotalNumVgprs: 96
; ScratchSize: 12
; MemoryBound: 0
; FloatMode: 240
; IeeeMode: 1
; LDSByteSize: 8192 bytes/workgroup (compile time only)
; SGPRBlocks: 6
; VGPRBlocks: 11
; NumSGPRsForWavesPerEU: 49
; NumVGPRsForWavesPerEU: 96
; AccumOffset: 96
; Occupancy: 5
; WaveLimiterHint : 1
; COMPUTE_PGM_RSRC2:SCRATCH_EN: 1
; COMPUTE_PGM_RSRC2:USER_SGPR: 2
; COMPUTE_PGM_RSRC2:TRAP_HANDLER: 0
; COMPUTE_PGM_RSRC2:TGID_X_EN: 1
; COMPUTE_PGM_RSRC2:TGID_Y_EN: 1
; COMPUTE_PGM_RSRC2:TGID_Z_EN: 1
; COMPUTE_PGM_RSRC2:TIDIG_COMP_CNT: 0
; COMPUTE_PGM_RSRC3_GFX90A:ACCUM_OFFSET: 23
; COMPUTE_PGM_RSRC3_GFX90A:TG_SPLIT: 0
	.section	.text._Z38paged_attention_ll4mi_QKV_mfma4_kernelI14__hip_bfloat16S0_LN4vllm18Fp8KVCacheDataTypeE0ES0_Li32ELi128ELi256ELb0ELi1EEvPKT_PKT0_S8_ifPKiSA_SA_iPKfiiiPfSD_PS3_PT2_iSC_SC_,"axG",@progbits,_Z38paged_attention_ll4mi_QKV_mfma4_kernelI14__hip_bfloat16S0_LN4vllm18Fp8KVCacheDataTypeE0ES0_Li32ELi128ELi256ELb0ELi1EEvPKT_PKT0_S8_ifPKiSA_SA_iPKfiiiPfSD_PS3_PT2_iSC_SC_,comdat
	.protected	_Z38paged_attention_ll4mi_QKV_mfma4_kernelI14__hip_bfloat16S0_LN4vllm18Fp8KVCacheDataTypeE0ES0_Li32ELi128ELi256ELb0ELi1EEvPKT_PKT0_S8_ifPKiSA_SA_iPKfiiiPfSD_PS3_PT2_iSC_SC_ ; -- Begin function _Z38paged_attention_ll4mi_QKV_mfma4_kernelI14__hip_bfloat16S0_LN4vllm18Fp8KVCacheDataTypeE0ES0_Li32ELi128ELi256ELb0ELi1EEvPKT_PKT0_S8_ifPKiSA_SA_iPKfiiiPfSD_PS3_PT2_iSC_SC_
	.globl	_Z38paged_attention_ll4mi_QKV_mfma4_kernelI14__hip_bfloat16S0_LN4vllm18Fp8KVCacheDataTypeE0ES0_Li32ELi128ELi256ELb0ELi1EEvPKT_PKT0_S8_ifPKiSA_SA_iPKfiiiPfSD_PS3_PT2_iSC_SC_
	.p2align	8
	.type	_Z38paged_attention_ll4mi_QKV_mfma4_kernelI14__hip_bfloat16S0_LN4vllm18Fp8KVCacheDataTypeE0ES0_Li32ELi128ELi256ELb0ELi1EEvPKT_PKT0_S8_ifPKiSA_SA_iPKfiiiPfSD_PS3_PT2_iSC_SC_,@function
_Z38paged_attention_ll4mi_QKV_mfma4_kernelI14__hip_bfloat16S0_LN4vllm18Fp8KVCacheDataTypeE0ES0_Li32ELi128ELi256ELb0ELi1EEvPKT_PKT0_S8_ifPKiSA_SA_iPKfiiiPfSD_PS3_PT2_iSC_SC_: ; @_Z38paged_attention_ll4mi_QKV_mfma4_kernelI14__hip_bfloat16S0_LN4vllm18Fp8KVCacheDataTypeE0ES0_Li32ELi128ELi256ELb0ELi1EEvPKT_PKT0_S8_ifPKiSA_SA_iPKfiiiPfSD_PS3_PT2_iSC_SC_
; %bb.0:
	s_load_dwordx2 s[16:17], s[0:1], 0x30
	s_mov_b32 s20, s3
	s_mov_b64 s[6:7], 0
	s_waitcnt lgkmcnt(0)
	s_cmp_lg_u64 s[16:17], 0
	s_cselect_b64 s[18:19], -1, 0
	s_and_b64 vcc, exec, s[18:19]
	s_cbranch_vccz .LBB748_10
; %bb.1:
	s_add_i32 s8, s2, 1
	s_mov_b32 s9, 0
	s_lshl_b64 s[10:11], s[8:9], 2
	s_add_u32 s10, s16, s10
	s_mov_b32 s3, s9
	s_addc_u32 s11, s17, s11
	s_lshl_b64 s[8:9], s[2:3], 2
	s_add_u32 s8, s16, s8
	s_addc_u32 s9, s17, s9
	s_load_dword s5, s[10:11], 0x0
	s_load_dword s12, s[8:9], 0x0
	s_waitcnt lgkmcnt(0)
	s_sub_i32 s5, s5, s12
	s_cmp_eq_u32 s5, 1
	s_cselect_b64 s[8:9], -1, 0
	s_andn2_b64 vcc, exec, s[6:7]
	s_cbranch_vccnz .LBB748_3
.LBB748_2:
	s_mov_b32 s3, 0
	s_mov_b64 s[8:9], -1
.LBB748_3:
	s_andn2_b64 vcc, exec, s[8:9]
	s_cbranch_vccnz .LBB748_25
; %bb.4:
	s_load_dword s5, s[0:1], 0x9c
	s_load_dwordx2 s[6:7], s[0:1], 0x28
	s_add_u32 s24, s0, 0x90
	s_addc_u32 s25, s1, 0
	s_lshl_b64 s[28:29], s[2:3], 2
	s_waitcnt lgkmcnt(0)
	s_and_b32 s5, s5, 0xffff
	s_add_u32 s6, s6, s28
	s_addc_u32 s7, s7, s29
	s_load_dword s3, s[6:7], 0x0
	s_mul_i32 s10, s20, s5
	s_waitcnt lgkmcnt(0)
	s_cmp_ge_i32 s10, s3
	s_cbranch_scc1 .LBB748_25
; %bb.5:
	v_and_b32_e32 v1, 0xc0, v0
	v_add_u32_e32 v2, s10, v1
	v_lshrrev_b32_e32 v70, 6, v0
	v_cmp_le_i32_e64 s[6:7], s3, v2
                                        ; implicit-def: $sgpr21
                                        ; implicit-def: $sgpr11
	s_and_saveexec_b64 s[8:9], s[6:7]
	s_xor_b64 s[8:9], exec, s[8:9]
	s_cbranch_execz .LBB748_7
; %bb.6:
	v_mul_u32_u24_e32 v1, 20, v70
	v_or_b32_e32 v1, 0x1400, v1
	v_mov_b32_e32 v2, 0x1450
	v_mov_b32_e32 v3, 0xff7fffff
	v_mad_u32_u24 v2, v70, 20, v2
	ds_write2_b32 v1, v3, v3 offset1:1
	v_mov_b32_e32 v1, 0
	ds_write2_b32 v2, v1, v1 offset1:1
	v_mov_b32_e32 v2, 0x1408
	s_mov_b32 s11, 0xff7fffff
	s_mov_b32 s21, 0
	v_mad_u32_u24 v2, v70, 20, v2
	v_mov_b32_e32 v4, 0x1458
	v_mad_u32_u24 v4, v70, 20, v4
	ds_write2_b32 v2, v3, v3 offset1:1
	ds_write2_b32 v4, v1, v1 offset1:1
                                        ; implicit-def: $vgpr2
.LBB748_7:
	s_or_saveexec_b64 s[26:27], s[8:9]
	s_load_dwordx2 s[22:23], s[0:1], 0x68
	s_load_dwordx4 s[12:15], s[0:1], 0x58
	s_load_dword s5, s[24:25], 0x4
	v_and_b32_e32 v1, 63, v0
	v_and_b32_e32 v71, 3, v0
	v_mov_b32_e32 v67, s21
	v_mov_b32_e32 v72, s11
	;; [unrolled: 1-line block ×5, first 2 shown]
                                        ; implicit-def: $vgpr35
                                        ; implicit-def: $vgpr39
                                        ; implicit-def: $vgpr47
                                        ; implicit-def: $vgpr59
                                        ; implicit-def: $vgpr15
                                        ; implicit-def: $vgpr3
                                        ; implicit-def: $vgpr7
                                        ; implicit-def: $vgpr11
                                        ; implicit-def: $vgpr55
                                        ; implicit-def: $vgpr43
                                        ; implicit-def: $vgpr51
                                        ; implicit-def: $vgpr63
                                        ; implicit-def: $vgpr19
                                        ; implicit-def: $vgpr23
                                        ; implicit-def: $vgpr27
                                        ; implicit-def: $vgpr31
	s_xor_b64 exec, exec, s[26:27]
	s_cbranch_execz .LBB748_17
; %bb.8:
	s_add_i32 s21, s3, 31
	s_load_dwordx2 s[8:9], s[0:1], 0x20
	s_load_dword s11, s[0:1], 0x38
	s_ashr_i32 s30, s21, 31
	s_lshr_b32 s30, s30, 27
	v_add_u32_e32 v72, s10, v0
	s_add_i32 s21, s21, s30
	v_ashrrev_i32_e32 v3, 31, v72
	s_ashr_i32 s21, s21, 5
	v_lshrrev_b32_e32 v3, 27, v3
	s_add_i32 s21, s21, -1
	v_add_u32_e32 v3, v72, v3
	s_waitcnt lgkmcnt(0)
	s_mul_i32 s30, s2, s11
	s_mov_b32 s31, 0
	v_ashrrev_i32_e32 v3, 5, v3
	v_mov_b32_e32 v4, s21
	v_cmp_gt_i32_e32 vcc, s3, v72
	s_lshl_b64 s[30:31], s[30:31], 2
	s_add_u32 s8, s8, s30
	v_cndmask_b32_e32 v4, v4, v3, vcc
	v_ashrrev_i32_e32 v3, 31, v2
	v_lshrrev_b32_e32 v3, 27, v3
	s_addc_u32 s9, s9, s31
	v_ashrrev_i32_e32 v5, 31, v4
	v_add_u32_e32 v2, v2, v3
	v_lshl_add_u64 v[6:7], v[4:5], 2, s[8:9]
	v_ashrrev_i32_e32 v4, 5, v2
	v_min_i32_e32 v2, s21, v4
	v_ashrrev_i32_e32 v3, 31, v2
	v_lshl_add_u64 v[8:9], v[2:3], 2, s[8:9]
	v_add_u32_e32 v2, 1, v4
	v_min_i32_e32 v2, s21, v2
	v_ashrrev_i32_e32 v3, 31, v2
	v_lshl_add_u64 v[10:11], v[2:3], 2, s[8:9]
	global_load_dword v4, v[6:7], off
	global_load_dword v2, v[8:9], off
	;; [unrolled: 1-line block ×3, first 2 shown]
	s_load_dwordx4 s[8:11], s[0:1], 0x8
	s_andn2_b64 vcc, exec, s[18:19]
	s_cbranch_vccnz .LBB748_11
; %bb.9:
	s_add_u32 s16, s16, s28
	s_addc_u32 s17, s17, s29
	s_load_dword s21, s[16:17], 0x0
	s_branch .LBB748_12
.LBB748_10:
	s_mov_b64 s[8:9], 0
	s_branch .LBB748_2
.LBB748_11:
	s_mov_b32 s21, s2
.LBB748_12:
	s_load_dwordx4 s[16:19], s[0:1], 0x48
	v_cmp_eq_u32_e32 vcc, 0, v71
	s_mov_b32 s29, 0
	v_mov_b32_e32 v73, 0
	v_mov_b32_e32 v35, 0
	;; [unrolled: 1-line block ×6, first 2 shown]
	s_and_saveexec_b64 s[30:31], vcc
	s_cbranch_execz .LBB748_14
; %bb.13:
	s_load_dwordx2 s[34:35], s[0:1], 0x0
	s_waitcnt lgkmcnt(0)
	s_ashr_i32 s19, s16, 31
	s_mul_hi_u32 s28, s21, s16
	s_mul_i32 s19, s21, s19
	s_add_i32 s37, s28, s19
	s_mul_i32 s36, s21, s16
	s_lshl_b64 s[36:37], s[36:37], 1
	s_add_u32 s16, s34, s36
	s_addc_u32 s19, s35, s37
	s_lshl_b32 s28, s4, 7
	s_lshl_b64 s[34:35], s[28:29], 1
	s_add_u32 s34, s16, s34
	s_addc_u32 s35, s19, s35
	v_lshlrev_b32_e32 v5, 2, v1
	global_load_dwordx4 v[66:69], v5, s[34:35]
	v_mov_b32_e32 v73, 1.0
.LBB748_14:
	s_or_b64 exec, exec, s[30:31]
	s_waitcnt lgkmcnt(0)
	s_mul_i32 s28, s4, s18
	s_lshl_b64 s[18:19], s[28:29], 1
	s_add_u32 s8, s18, s8
	s_waitcnt vmcnt(2)
	v_mad_i64_i32 v[4:5], s[30:31], v4, s17, 0
	s_addc_u32 s9, s19, s9
	v_lshl_add_u64 v[32:33], v[4:5], 1, s[8:9]
	v_and_b32_e32 v4, 31, v0
	v_lshlrev_b32_e32 v34, 4, v4
	v_lshl_add_u64 v[40:41], v[32:33], 0, v[34:35]
	global_load_dwordx4 v[4:7], v[40:41], off
	global_load_dwordx4 v[8:11], v[40:41], off offset:512
	global_load_dwordx4 v[12:15], v[40:41], off offset:1024
	;; [unrolled: 1-line block ×7, first 2 shown]
	v_mov_b32_e32 v41, v35
	v_or_b32_e32 v40, 0x1000, v34
	v_lshl_add_u64 v[40:41], v[32:33], 0, v[40:41]
	global_load_dwordx4 v[40:43], v[40:41], off
	v_mov_b32_e32 v45, v35
	v_or_b32_e32 v44, 0x1200, v34
	v_lshl_add_u64 v[44:45], v[32:33], 0, v[44:45]
	global_load_dwordx4 v[44:47], v[44:45], off
	;; [unrolled: 4-line block ×6, first 2 shown]
	v_or_b32_e32 v34, 0x1c00, v34
	v_lshl_add_u64 v[64:65], v[32:33], 0, v[34:35]
	global_load_dwordx4 v[74:77], v[64:65], off
	v_mov_b32_e32 v78, 0x1e00
	v_lshl_or_b32 v34, v0, 4, v78
	v_lshl_add_u64 v[32:33], v[32:33], 0, v[34:35]
	global_load_dwordx4 v[78:81], v[32:33], off
	s_waitcnt vmcnt(16)
	v_mul_hi_i32 v32, v3, s17
	v_mul_hi_i32 v64, v2, s17
	v_mov_b32_e32 v33, v35
	v_mov_b32_e32 v65, v35
	s_load_dword s0, s[0:1], 0x1c
	v_cmp_eq_u32_e32 vcc, 1, v71
	v_and_b32_e32 v87, -4, v72
	v_lshlrev_b32_e32 v88, 2, v0
	v_cndmask_b32_e64 v84, 0, 1.0, vcc
	v_cmp_eq_u32_e32 vcc, 2, v71
	v_or_b32_e32 v72, 3, v72
	s_waitcnt vmcnt(15)
	v_mfma_f32_4x4x4_16b_bf16 a[0:3], v[66:67], v[4:5], 0 cbsz:4
	v_ashrrev_i32_e32 v4, 31, v32
	s_nop 0
	v_mfma_f32_4x4x4_16b_bf16 a[0:3], v[68:69], v[6:7], a[0:3] cbsz:4
	v_lshrrev_b32_e32 v32, 29, v4
	v_ashrrev_i32_e32 v6, 31, v64
	s_waitcnt vmcnt(14)
	v_mfma_f32_4x4x4_16b_bf16 a[0:3], v[66:67], v[8:9], a[0:3] cbsz:4 abid:1
	v_mad_i64_i32 v[4:5], s[8:9], v3, s17, v[32:33]
	s_nop 0
	v_mfma_f32_4x4x4_16b_bf16 a[0:3], v[68:69], v[10:11], a[0:3] cbsz:4 abid:1
	s_add_u32 s8, s10, s18
	v_lshrrev_b32_e32 v34, 29, v6
	s_waitcnt vmcnt(13)
	v_mfma_f32_4x4x4_16b_bf16 a[0:3], v[66:67], v[12:13], a[0:3] cbsz:4 abid:2
	s_addc_u32 s9, s11, s19
	v_mad_i64_i32 v[2:3], s[10:11], v2, s17, v[34:35]
	v_mfma_f32_4x4x4_16b_bf16 a[0:3], v[68:69], v[14:15], a[0:3] cbsz:4 abid:2
	v_lshlrev_b64 v[4:5], 1, v[4:5]
	v_and_b32_e32 v4, -16, v4
	s_waitcnt vmcnt(12)
	v_mfma_f32_4x4x4_16b_bf16 a[0:3], v[66:67], v[16:17], a[0:3] cbsz:4 abid:3
	v_lshlrev_b32_e32 v34, 6, v1
	v_or_b32_e32 v64, 0x1000, v34
	v_mfma_f32_4x4x4_16b_bf16 a[0:3], v[68:69], v[18:19], a[0:3] cbsz:4 abid:3
	v_lshl_add_u64 v[18:19], s[8:9], 0, v[4:5]
	v_cndmask_b32_e64 v85, 0, 1.0, vcc
	s_waitcnt vmcnt(11)
	v_mfma_f32_4x4x4_16b_bf16 a[0:3], v[66:67], v[20:21], a[0:3] cbsz:4 abid:4
	v_lshlrev_b64 v[20:21], 1, v[2:3]
	v_and_b32_e32 v20, -16, v20
	v_mfma_f32_4x4x4_16b_bf16 a[0:3], v[68:69], v[22:23], a[0:3] cbsz:4 abid:4
	v_lshl_add_u64 v[22:23], v[18:19], 0, v[34:35]
	global_load_dwordx4 v[14:17], v[22:23], off
	global_load_dwordx4 v[2:5], v[22:23], off offset:16
	s_waitcnt vmcnt(12)
	v_mfma_f32_4x4x4_16b_bf16 a[0:3], v[66:67], v[24:25], a[0:3] cbsz:4 abid:5
	global_load_dwordx4 v[6:9], v[22:23], off offset:32
	global_load_dwordx4 v[10:13], v[22:23], off offset:48
	v_mfma_f32_4x4x4_16b_bf16 a[0:3], v[68:69], v[26:27], a[0:3] cbsz:4 abid:5
	v_cmp_eq_u32_e32 vcc, 3, v71
	v_cmp_gt_i32_e64 s[10:11], s3, v72
	s_waitcnt vmcnt(13)
	v_mfma_f32_4x4x4_16b_bf16 a[0:3], v[66:67], v[28:29], a[0:3] cbsz:4 abid:6
	v_cndmask_b32_e64 v86, 0, 1.0, vcc
	v_cmp_gt_i32_e32 vcc, s3, v87
	v_mfma_f32_4x4x4_16b_bf16 a[0:3], v[68:69], v[30:31], a[0:3] cbsz:4 abid:6
	s_waitcnt vmcnt(12)
	s_nop 0
	v_mfma_f32_4x4x4_16b_bf16 a[0:3], v[66:67], v[36:37], a[0:3] cbsz:4 abid:7
	v_lshl_add_u64 v[36:37], v[18:19], 0, v[64:65]
	s_nop 0
	v_mfma_f32_4x4x4_16b_bf16 a[0:3], v[68:69], v[38:39], a[0:3] cbsz:4 abid:7
	v_lshl_add_u64 v[38:39], s[8:9], 0, v[20:21]
	v_lshl_add_u64 v[82:83], v[38:39], 0, v[64:65]
	s_waitcnt vmcnt(11)
	v_mfma_f32_4x4x4_16b_bf16 a[0:3], v[66:67], v[40:41], a[0:3] cbsz:4 abid:8
	global_load_dwordx4 v[18:21], v[36:37], off
	global_load_dwordx4 v[22:25], v[36:37], off offset:16
	v_mfma_f32_4x4x4_16b_bf16 a[0:3], v[68:69], v[42:43], a[0:3] cbsz:4 abid:8
	v_lshl_add_u64 v[42:43], v[38:39], 0, v[34:35]
	global_load_dwordx4 v[26:29], v[36:37], off offset:32
	global_load_dwordx4 v[30:33], v[36:37], off offset:48
	s_waitcnt vmcnt(14)
	v_mfma_f32_4x4x4_16b_bf16 a[0:3], v[66:67], v[44:45], a[0:3] cbsz:4 abid:9
	global_load_dwordx4 v[34:37], v[42:43], off
	global_load_dwordx4 v[38:41], v[42:43], off offset:16
	v_mfma_f32_4x4x4_16b_bf16 a[0:3], v[68:69], v[46:47], a[0:3] cbsz:4 abid:9
	s_waitcnt vmcnt(15)
	s_nop 0
	v_mfma_f32_4x4x4_16b_bf16 a[0:3], v[66:67], v[48:49], a[0:3] cbsz:4 abid:10
	s_nop 1
	v_mfma_f32_4x4x4_16b_bf16 a[0:3], v[68:69], v[50:51], a[0:3] cbsz:4 abid:10
	s_waitcnt vmcnt(14)
	s_nop 0
	v_mfma_f32_4x4x4_16b_bf16 a[0:3], v[66:67], v[52:53], a[0:3] cbsz:4 abid:11
	s_nop 1
	v_mfma_f32_4x4x4_16b_bf16 a[0:3], v[68:69], v[54:55], a[0:3] cbsz:4 abid:11
	s_waitcnt vmcnt(13)
	s_nop 0
	v_mfma_f32_4x4x4_16b_bf16 a[0:3], v[66:67], v[56:57], a[0:3] cbsz:4 abid:12
	s_nop 1
	v_mfma_f32_4x4x4_16b_bf16 a[0:3], v[68:69], v[58:59], a[0:3] cbsz:4 abid:12
	s_waitcnt vmcnt(12)
	s_nop 0
	v_mfma_f32_4x4x4_16b_bf16 a[0:3], v[66:67], v[60:61], a[0:3] cbsz:4 abid:13
	global_load_dwordx4 v[46:49], v[42:43], off offset:32
	global_load_dwordx4 v[58:61], v[42:43], off offset:48
	v_mfma_f32_4x4x4_16b_bf16 a[0:3], v[68:69], v[62:63], a[0:3] cbsz:4 abid:13
	global_load_dwordx4 v[54:57], v[82:83], off
	global_load_dwordx4 v[42:45], v[82:83], off offset:16
	global_load_dwordx4 v[50:53], v[82:83], off offset:32
	;; [unrolled: 1-line block ×3, first 2 shown]
	s_waitcnt vmcnt(17)
	v_mfma_f32_4x4x4_16b_bf16 a[0:3], v[66:67], v[74:75], a[0:3] cbsz:4 abid:14
	v_mov_b32_e32 v74, 0xff7fffff
	v_and_or_b32 v75, v88, 48, v71
	v_mfma_f32_4x4x4_16b_bf16 a[0:3], v[68:69], v[76:77], a[0:3] cbsz:4 abid:14
	s_waitcnt vmcnt(16)
	s_nop 0
	v_mfma_f32_4x4x4_16b_bf16 a[0:3], v[66:67], v[78:79], a[0:3] cbsz:4 abid:15
	s_nop 1
	v_mfma_f32_4x4x4_16b_bf16 a[0:3], v[68:69], v[80:81], a[0:3] cbsz:4 abid:15
	s_nop 4
	v_accvgpr_read_b32 v67, a1
	v_accvgpr_read_b32 v66, a0
	s_waitcnt lgkmcnt(0)
	v_pk_mul_f32 v[66:67], s[0:1], v[66:67] op_sel_hi:[0,1]
	v_accvgpr_read_b32 v69, a3
	v_accvgpr_read_b32 v68, a2
	v_pk_mul_f32 v[68:69], s[0:1], v[68:69] op_sel_hi:[0,1]
	v_mfma_f32_4x4x1_16b_f32 a[0:3], v66, v73, 0
	v_or_b32_e32 v66, 1, v87
	s_nop 0
	v_mfma_f32_4x4x1_16b_f32 a[0:3], v67, v84, a[0:3]
	v_lshlrev_b32_e32 v73, 2, v75
	v_cmp_gt_i32_e64 s[0:1], s3, v66
	v_mfma_f32_4x4x1_16b_f32 a[0:3], v68, v85, a[0:3]
	v_or_b32_e32 v67, 2, v87
	v_cmp_gt_i32_e64 s[8:9], s3, v67
	v_mfma_f32_4x4x1_16b_f32 a[0:3], v69, v86, a[0:3]
	s_nop 3
	v_accvgpr_read_b32 v68, a0
	v_max_f32_e32 v77, v68, v68
	v_accvgpr_read_b32 v69, a1
	v_max_f32_e32 v77, 0xff7fffff, v77
	v_max_f32_e32 v78, v69, v69
	v_cndmask_b32_e32 v74, v74, v77, vcc
	v_accvgpr_read_b32 v75, a2
	v_max_f32_e32 v77, v74, v78
	v_max_f32_e32 v79, v75, v75
	v_cndmask_b32_e64 v66, v74, v77, s[0:1]
	v_accvgpr_read_b32 v76, a3
	v_max_f32_e32 v74, v66, v79
	v_max_f32_e32 v80, v76, v76
	v_cndmask_b32_e64 v66, v66, v74, s[8:9]
	v_max_f32_e32 v67, v66, v80
	v_cndmask_b32_e64 v66, v66, v67, s[10:11]
	;;#ASMSTART
	v_nop
 v_nop
 v_max_f32_dpp v66, v66, v66 row_ror:4
	;;#ASMEND
	s_nop 0
	;;#ASMSTART
	v_nop
 v_nop
 v_max_f32_dpp v66, v66, v66 row_ror:8
	;;#ASMEND
	ds_bpermute_b32 v66, v73, v66
	s_waitcnt lgkmcnt(0)
	;;#ASMSTART
	v_nop
 v_nop
 v_max_f32_dpp v66, v66, v66 row_ror:4
	;;#ASMEND
	s_nop 0
	;;#ASMSTART
	v_nop
 v_nop
 v_max_f32_dpp v72, v66, v66 row_ror:8
	;;#ASMEND
	s_nop 0
	v_sub_f32_e32 v66, v68, v72
	v_sub_f32_e32 v67, v69, v72
	;; [unrolled: 1-line block ×3, first 2 shown]
	v_mul_f32_e32 v66, 0x3fb8aa3b, v66
	v_mul_f32_e32 v67, 0x3fb8aa3b, v67
	;; [unrolled: 1-line block ×3, first 2 shown]
	v_exp_f32_e32 v66, v66
	v_sub_f32_e32 v69, v76, v72
	v_exp_f32_e32 v67, v67
	v_exp_f32_e32 v74, v68
	v_mul_f32_e32 v69, 0x3fb8aa3b, v69
	v_exp_f32_e32 v75, v69
	v_cndmask_b32_e32 v68, 0, v66, vcc
	v_cndmask_b32_e64 v69, 0, v67, s[0:1]
	v_cndmask_b32_e64 v66, 0, v74, s[8:9]
	v_add_f32_e32 v74, 0, v68
	v_add_f32_e32 v74, v74, v69
	v_cndmask_b32_e64 v67, 0, v75, s[10:11]
	v_add_f32_e32 v74, v74, v66
	v_add_f32_e32 v74, v74, v67
	;;#ASMSTART
	v_nop
 v_nop
 v_add_f32_dpp v74, v74, v74 row_ror:4
	;;#ASMEND
	v_cmp_gt_u32_e32 vcc, 4, v1
	;;#ASMSTART
	v_nop
 v_nop
 v_add_f32_dpp v74, v74, v74 row_ror:8
	;;#ASMEND
	ds_bpermute_b32 v73, v73, v74
	s_waitcnt lgkmcnt(0)
	;;#ASMSTART
	v_nop
 v_nop
 v_add_f32_dpp v73, v73, v73 row_ror:4
	;;#ASMEND
	s_nop 0
	;;#ASMSTART
	v_nop
 v_nop
 v_add_f32_dpp v73, v73, v73 row_ror:8
	;;#ASMEND
	s_and_saveexec_b64 s[0:1], vcc
	s_cbranch_execz .LBB748_16
; %bb.15:
	v_mul_u32_u24_e32 v74, 20, v70
	v_lshl_add_u32 v74, v71, 2, v74
	v_add_u32_e32 v74, 0x1400, v74
	ds_write2_b32 v74, v72, v73 offset1:20
.LBB748_16:
	s_or_b64 exec, exec, s[0:1]
.LBB748_17:
	s_or_b64 exec, exec, s[26:27]
	s_waitcnt lgkmcnt(0)
	s_barrier
	s_load_dword s0, s[24:25], 0x8
	v_lshlrev_b32_e32 v73, 2, v71
	v_add_u32_e32 v75, 0x1400, v73
	ds_read2_b32 v[76:77], v75 offset1:5
	ds_read2_b32 v[78:79], v75 offset0:10 offset1:15
	s_mul_i32 s1, s5, s2
	s_waitcnt lgkmcnt(0)
	s_mul_i32 s0, s1, s0
	s_mov_b32 s1, 0xff7fffff
	v_max3_f32 v73, v76, s1, v77
	v_max3_f32 v74, v73, v78, v79
	v_sub_f32_e32 v73, v76, v74
	v_sub_f32_e32 v76, v77, v74
	v_mul_f32_e32 v76, 0x3fb8aa3b, v76
	ds_read2_b32 v[80:81], v75 offset0:20 offset1:25
	v_mul_f32_e32 v73, 0x3fb8aa3b, v73
	v_exp_f32_e32 v83, v76
	ds_read2_b32 v[76:77], v75 offset0:30 offset1:35
	v_sub_f32_e32 v75, v78, v74
	v_exp_f32_e32 v82, v73
	v_mul_f32_e32 v75, 0x3fb8aa3b, v75
	v_exp_f32_e32 v78, v75
	v_sub_f32_e32 v75, v79, v74
	v_mul_f32_e32 v75, 0x3fb8aa3b, v75
	v_exp_f32_e32 v79, v75
	s_waitcnt lgkmcnt(1)
	v_fma_f32 v75, v82, v80, 0
	v_fmac_f32_e32 v75, v83, v81
	s_waitcnt lgkmcnt(0)
	v_fmac_f32_e32 v75, v78, v76
	v_mov_b32_e32 v73, 0
	v_fmac_f32_e32 v75, v79, v77
	s_mov_b32 s1, 0
	v_cmp_eq_u32_e32 vcc, 0, v71
	s_and_saveexec_b64 s[2:3], vcc
	s_cbranch_execz .LBB748_19
; %bb.18:
	s_lshl_b64 s[8:9], s[0:1], 2
	s_add_u32 s12, s12, s8
	s_mov_b32 s21, s1
	s_addc_u32 s13, s13, s9
	s_lshl_b64 s[10:11], s[20:21], 2
	s_add_u32 s12, s12, s10
	s_addc_u32 s13, s13, s11
	s_add_u32 s8, s14, s8
	s_addc_u32 s9, s15, s9
	;; [unrolled: 2-line block ×3, first 2 shown]
	s_mul_i32 s8, s5, s4
	s_mov_b32 s9, s1
	s_lshl_b64 s[8:9], s[8:9], 2
	s_add_u32 s10, s12, s8
	s_addc_u32 s11, s13, s9
	s_add_u32 s8, s14, s8
	s_addc_u32 s9, s15, s9
	global_store_dword v73, v74, s[8:9]
	global_store_dword v73, v75, s[10:11]
.LBB748_19:
	s_or_b64 exec, exec, s[2:3]
	v_lshlrev_b32_e32 v73, 3, v70
                                        ; implicit-def: $sgpr1
	s_and_saveexec_b64 s[2:3], s[6:7]
	s_xor_b64 s[2:3], exec, s[2:3]
	s_cbranch_execz .LBB748_21
; %bb.20:
	s_waitcnt vmcnt(14)
	v_mov_b32_e32 v2, 0
	v_mad_u32_u24 v4, v1, 40, v73
	s_mov_b32 s1, 0
	v_mov_b32_e32 v3, v2
	ds_write_b64 v4, v[2:3]
                                        ; implicit-def: $vgpr67
                                        ; implicit-def: $vgpr69
                                        ; implicit-def: $vgpr35
                                        ; implicit-def: $vgpr39
                                        ; implicit-def: $vgpr47
                                        ; implicit-def: $vgpr59
                                        ; implicit-def: $vgpr15
                                        ; implicit-def: $vgpr3
                                        ; implicit-def: $vgpr7
                                        ; implicit-def: $vgpr11
                                        ; implicit-def: $vgpr55
                                        ; implicit-def: $vgpr43
                                        ; implicit-def: $vgpr51
                                        ; implicit-def: $vgpr63
                                        ; implicit-def: $vgpr19
                                        ; implicit-def: $vgpr23
                                        ; implicit-def: $vgpr27
                                        ; implicit-def: $vgpr31
                                        ; implicit-def: $vgpr72
                                        ; implicit-def: $vgpr74
                                        ; implicit-def: $vgpr75
.LBB748_21:
	s_or_saveexec_b64 s[2:3], s[2:3]
	v_mov_b32_e32 v70, s1
	v_mov_b32_e32 v71, s1
	s_xor_b64 exec, exec, s[2:3]
	s_cbranch_execz .LBB748_23
; %bb.22:
	v_add_f32_e32 v70, 0x358637bd, v75
	v_div_scale_f32 v71, s[6:7], v70, v70, 1.0
	v_rcp_f32_e32 v75, v71
	v_sub_f32_e32 v72, v72, v74
	v_mul_f32_e32 v72, 0x3fb8aa3b, v72
	v_exp_f32_e32 v72, v72
	v_fma_f32 v74, -v71, v75, 1.0
	v_fmac_f32_e32 v75, v74, v75
	v_div_scale_f32 v74, vcc, 1.0, v70, 1.0
	v_mul_f32_e32 v76, v74, v75
	v_fma_f32 v77, -v71, v76, v74
	v_fmac_f32_e32 v76, v77, v75
	v_fma_f32 v71, -v71, v76, v74
	v_div_fmas_f32 v71, v71, v75, v76
	v_div_fixup_f32 v70, v71, v70, 1.0
	v_mul_f32_e32 v70, v72, v70
	v_pk_mul_f32 v[68:69], v[68:69], v[70:71] op_sel_hi:[1,0]
	v_pk_mul_f32 v[66:67], v[66:67], v[70:71] op_sel_hi:[1,0]
	v_bfe_u32 v70, v69, 16, 1
	v_bfe_u32 v71, v68, 16, 1
	s_movk_i32 s1, 0x7fff
	v_add3_u32 v68, v68, v71, s1
	v_add3_u32 v69, v69, v70, s1
	s_mov_b32 s6, 0x7060302
	v_perm_b32 v68, v69, v68, s6
	v_bfe_u32 v69, v67, 16, 1
	v_bfe_u32 v70, v66, 16, 1
	v_add3_u32 v66, v66, v70, s1
	v_add3_u32 v67, v67, v69, s1
	v_perm_b32 v69, v67, v66, s6
	s_waitcnt vmcnt(7)
	s_nop 0
	v_mfma_f32_4x4x4_16b_bf16 a[0:3], v[68:69], v[34:35], 0 cbsz:4
	s_nop 1
	v_mfma_f32_4x4x4_16b_bf16 a[0:3], v[68:69], v[36:37], a[0:3] cbsz:4 abid:1
	s_waitcnt vmcnt(3)
	v_mfma_f32_4x4x4_16b_bf16 a[4:7], v[68:69], v[54:55], 0 cbsz:4
	v_mfma_f32_4x4x4_16b_bf16 a[0:3], v[68:69], v[38:39], a[0:3] cbsz:4 abid:2
	s_nop 0
	v_mfma_f32_4x4x4_16b_bf16 a[4:7], v[68:69], v[56:57], a[4:7] cbsz:4 abid:1
	v_mfma_f32_4x4x4_16b_bf16 a[0:3], v[68:69], v[40:41], a[0:3] cbsz:4 abid:3
	s_waitcnt vmcnt(2)
	v_mfma_f32_4x4x4_16b_bf16 a[4:7], v[68:69], v[42:43], a[4:7] cbsz:4 abid:2
	v_mfma_f32_4x4x4_16b_bf16 a[0:3], v[68:69], v[46:47], a[0:3] cbsz:4 abid:4
	s_nop 1
	v_mfma_f32_4x4x4_16b_bf16 a[0:3], v[68:69], v[48:49], a[0:3] cbsz:4 abid:5
	s_nop 1
	;; [unrolled: 2-line block ×12, first 2 shown]
	v_accvgpr_read_b32 v3, a2
	v_accvgpr_read_b32 v4, a3
	;; [unrolled: 1-line block ×4, first 2 shown]
	v_mfma_f32_4x4x4_16b_bf16 a[0:3], v[68:69], v[44:45], a[4:7] cbsz:4 abid:3
	v_bfe_u32 v6, v5, 16, 1
	v_bfe_u32 v7, v2, 16, 1
	s_waitcnt vmcnt(1)
	v_mfma_f32_4x4x4_16b_bf16 a[0:3], v[68:69], v[50:51], a[0:3] cbsz:4 abid:4
	v_add3_u32 v2, v2, v7, s1
	v_add3_u32 v5, v5, v6, s1
	v_mfma_f32_4x4x4_16b_bf16 a[0:3], v[68:69], v[52:53], a[0:3] cbsz:4 abid:5
	v_perm_b32 v2, v5, v2, s6
	v_bfe_u32 v5, v4, 16, 1
	s_waitcnt vmcnt(0)
	v_mfma_f32_4x4x4_16b_bf16 a[0:3], v[68:69], v[62:63], a[0:3] cbsz:4 abid:6
	v_bfe_u32 v6, v3, 16, 1
	v_add3_u32 v3, v3, v6, s1
	v_mfma_f32_4x4x4_16b_bf16 a[0:3], v[68:69], v[64:65], a[0:3] cbsz:4 abid:7
	v_add3_u32 v4, v4, v5, s1
	v_perm_b32 v3, v4, v3, s6
	v_mfma_f32_4x4x4_16b_bf16 a[0:3], v[68:69], v[18:19], a[0:3] cbsz:4 abid:8
	v_mad_u32_u24 v4, v1, 40, v73
	ds_write_b64 v4, v[2:3]
	v_mfma_f32_4x4x4_16b_bf16 a[0:3], v[68:69], v[20:21], a[0:3] cbsz:4 abid:9
	s_nop 1
	v_mfma_f32_4x4x4_16b_bf16 a[0:3], v[68:69], v[22:23], a[0:3] cbsz:4 abid:10
	s_nop 1
	;; [unrolled: 2-line block ×7, first 2 shown]
	v_accvgpr_read_b32 v4, a0
	v_accvgpr_read_b32 v5, a1
	;; [unrolled: 1-line block ×4, first 2 shown]
	v_bfe_u32 v6, v5, 16, 1
	v_bfe_u32 v7, v4, 16, 1
	v_add3_u32 v4, v4, v7, s1
	v_add3_u32 v5, v5, v6, s1
	v_bfe_u32 v6, v3, 16, 1
	v_bfe_u32 v7, v2, 16, 1
	v_add3_u32 v2, v2, v7, s1
	v_add3_u32 v3, v3, v6, s1
	v_perm_b32 v71, v3, v2, s6
	v_perm_b32 v70, v5, v4, s6
.LBB748_23:
	s_or_b64 exec, exec, s[2:3]
	s_waitcnt vmcnt(14)
	v_mad_u32_u24 v2, v1, 40, v73
	v_cmp_gt_u32_e32 vcc, 64, v0
	ds_write_b64 v2, v[70:71] offset:2560
	s_waitcnt lgkmcnt(0)
	s_barrier
	s_and_saveexec_b64 s[2:3], vcc
	s_cbranch_execz .LBB748_25
; %bb.24:
	v_mov_b32_e32 v2, 0xa00
	v_mad_u32_u24 v2, v1, 40, v2
	ds_read2_b64 v[2:5], v2 offset1:1
	s_waitcnt lgkmcnt(0)
	v_mov_b32_e32 v3, 0xa10
	s_waitcnt vmcnt(12)
	v_mul_u32_u24_e32 v10, 40, v1
	v_mad_u32_u24 v1, v1, 40, v3
	ds_read2_b64 v[6:9], v1 offset1:1
	v_lshlrev_b32_e32 v1, 16, v2
	v_add_f32_e32 v1, 0, v1
	v_and_b32_e32 v1, 0xffff0000, v1
	v_lshlrev_b32_e32 v2, 16, v4
	v_add_f32_e32 v1, v1, v2
	v_and_b32_e32 v1, 0xffff0000, v1
	s_waitcnt lgkmcnt(0)
	v_lshlrev_b32_e32 v2, 16, v6
	v_add_f32_e32 v1, v1, v2
	v_and_b32_e32 v1, 0xffff0000, v1
	v_lshlrev_b32_e32 v2, 16, v8
	v_add_f32_e32 v11, v1, v2
	ds_read2_b64 v[2:5], v10 offset1:1
	ds_read2_b64 v[6:9], v10 offset0:2 offset1:3
	s_mov_b32 s1, 0
	s_lshl_b32 s0, s0, 7
	s_lshl_b64 s[2:3], s[0:1], 1
	s_waitcnt lgkmcnt(1)
	v_lshlrev_b32_e32 v2, 16, v2
	v_add_f32_e32 v2, 0, v2
	s_add_u32 s2, s22, s2
	v_and_b32_e32 v2, 0xffff0000, v2
	v_lshlrev_b32_e32 v3, 16, v4
	s_addc_u32 s3, s23, s3
	s_lshl_b32 s0, s20, 7
	v_add_f32_e32 v2, v2, v3
	s_lshl_b64 s[0:1], s[0:1], 1
	v_and_b32_e32 v2, 0xffff0000, v2
	s_waitcnt lgkmcnt(0)
	v_lshlrev_b32_e32 v3, 16, v6
	s_add_u32 s0, s2, s0
	s_mul_i32 s4, s4, s5
	v_add_f32_e32 v2, v2, v3
	s_addc_u32 s1, s3, s1
	v_lshl_or_b32 v0, s4, 7, v0
	v_mov_b32_e32 v1, 0
	v_and_b32_e32 v2, 0xffff0000, v2
	v_lshlrev_b32_e32 v3, 16, v8
	v_lshl_add_u64 v[0:1], v[0:1], 1, s[0:1]
	v_add_f32_e32 v2, v2, v3
	global_store_short_d16_hi v[0:1], v2, off
	global_store_short_d16_hi v[0:1], v11, off offset:128
.LBB748_25:
	s_endpgm
	.section	.rodata,"a",@progbits
	.p2align	6, 0x0
	.amdhsa_kernel _Z38paged_attention_ll4mi_QKV_mfma4_kernelI14__hip_bfloat16S0_LN4vllm18Fp8KVCacheDataTypeE0ES0_Li32ELi128ELi256ELb0ELi1EEvPKT_PKT0_S8_ifPKiSA_SA_iPKfiiiPfSD_PS3_PT2_iSC_SC_
		.amdhsa_group_segment_fixed_size 5280
		.amdhsa_private_segment_fixed_size 0
		.amdhsa_kernarg_size 400
		.amdhsa_user_sgpr_count 2
		.amdhsa_user_sgpr_dispatch_ptr 0
		.amdhsa_user_sgpr_queue_ptr 0
		.amdhsa_user_sgpr_kernarg_segment_ptr 1
		.amdhsa_user_sgpr_dispatch_id 0
		.amdhsa_user_sgpr_kernarg_preload_length 0
		.amdhsa_user_sgpr_kernarg_preload_offset 0
		.amdhsa_user_sgpr_private_segment_size 0
		.amdhsa_uses_dynamic_stack 0
		.amdhsa_enable_private_segment 0
		.amdhsa_system_sgpr_workgroup_id_x 1
		.amdhsa_system_sgpr_workgroup_id_y 1
		.amdhsa_system_sgpr_workgroup_id_z 1
		.amdhsa_system_sgpr_workgroup_info 0
		.amdhsa_system_vgpr_workitem_id 0
		.amdhsa_next_free_vgpr 100
		.amdhsa_next_free_sgpr 38
		.amdhsa_accum_offset 92
		.amdhsa_reserve_vcc 1
		.amdhsa_float_round_mode_32 0
		.amdhsa_float_round_mode_16_64 0
		.amdhsa_float_denorm_mode_32 3
		.amdhsa_float_denorm_mode_16_64 3
		.amdhsa_dx10_clamp 1
		.amdhsa_ieee_mode 1
		.amdhsa_fp16_overflow 0
		.amdhsa_tg_split 0
		.amdhsa_exception_fp_ieee_invalid_op 0
		.amdhsa_exception_fp_denorm_src 0
		.amdhsa_exception_fp_ieee_div_zero 0
		.amdhsa_exception_fp_ieee_overflow 0
		.amdhsa_exception_fp_ieee_underflow 0
		.amdhsa_exception_fp_ieee_inexact 0
		.amdhsa_exception_int_div_zero 0
	.end_amdhsa_kernel
	.section	.text._Z38paged_attention_ll4mi_QKV_mfma4_kernelI14__hip_bfloat16S0_LN4vllm18Fp8KVCacheDataTypeE0ES0_Li32ELi128ELi256ELb0ELi1EEvPKT_PKT0_S8_ifPKiSA_SA_iPKfiiiPfSD_PS3_PT2_iSC_SC_,"axG",@progbits,_Z38paged_attention_ll4mi_QKV_mfma4_kernelI14__hip_bfloat16S0_LN4vllm18Fp8KVCacheDataTypeE0ES0_Li32ELi128ELi256ELb0ELi1EEvPKT_PKT0_S8_ifPKiSA_SA_iPKfiiiPfSD_PS3_PT2_iSC_SC_,comdat
.Lfunc_end748:
	.size	_Z38paged_attention_ll4mi_QKV_mfma4_kernelI14__hip_bfloat16S0_LN4vllm18Fp8KVCacheDataTypeE0ES0_Li32ELi128ELi256ELb0ELi1EEvPKT_PKT0_S8_ifPKiSA_SA_iPKfiiiPfSD_PS3_PT2_iSC_SC_, .Lfunc_end748-_Z38paged_attention_ll4mi_QKV_mfma4_kernelI14__hip_bfloat16S0_LN4vllm18Fp8KVCacheDataTypeE0ES0_Li32ELi128ELi256ELb0ELi1EEvPKT_PKT0_S8_ifPKiSA_SA_iPKfiiiPfSD_PS3_PT2_iSC_SC_
                                        ; -- End function
	.section	.AMDGPU.csdata,"",@progbits
; Kernel info:
; codeLenInByte = 3972
; NumSgprs: 44
; NumVgprs: 89
; NumAgprs: 8
; TotalNumVgprs: 100
; ScratchSize: 0
; MemoryBound: 0
; FloatMode: 240
; IeeeMode: 1
; LDSByteSize: 5280 bytes/workgroup (compile time only)
; SGPRBlocks: 5
; VGPRBlocks: 12
; NumSGPRsForWavesPerEU: 44
; NumVGPRsForWavesPerEU: 100
; AccumOffset: 92
; Occupancy: 4
; WaveLimiterHint : 1
; COMPUTE_PGM_RSRC2:SCRATCH_EN: 0
; COMPUTE_PGM_RSRC2:USER_SGPR: 2
; COMPUTE_PGM_RSRC2:TRAP_HANDLER: 0
; COMPUTE_PGM_RSRC2:TGID_X_EN: 1
; COMPUTE_PGM_RSRC2:TGID_Y_EN: 1
; COMPUTE_PGM_RSRC2:TGID_Z_EN: 1
; COMPUTE_PGM_RSRC2:TIDIG_COMP_CNT: 0
; COMPUTE_PGM_RSRC3_GFX90A:ACCUM_OFFSET: 22
; COMPUTE_PGM_RSRC3_GFX90A:TG_SPLIT: 0
	.section	.text._Z38paged_attention_ll4mi_QKV_mfma4_kernelI14__hip_bfloat16S0_LN4vllm18Fp8KVCacheDataTypeE0ES0_Li32ELi128ELi256ELb0ELi2EEvPKT_PKT0_S8_ifPKiSA_SA_iPKfiiiPfSD_PS3_PT2_iSC_SC_,"axG",@progbits,_Z38paged_attention_ll4mi_QKV_mfma4_kernelI14__hip_bfloat16S0_LN4vllm18Fp8KVCacheDataTypeE0ES0_Li32ELi128ELi256ELb0ELi2EEvPKT_PKT0_S8_ifPKiSA_SA_iPKfiiiPfSD_PS3_PT2_iSC_SC_,comdat
	.protected	_Z38paged_attention_ll4mi_QKV_mfma4_kernelI14__hip_bfloat16S0_LN4vllm18Fp8KVCacheDataTypeE0ES0_Li32ELi128ELi256ELb0ELi2EEvPKT_PKT0_S8_ifPKiSA_SA_iPKfiiiPfSD_PS3_PT2_iSC_SC_ ; -- Begin function _Z38paged_attention_ll4mi_QKV_mfma4_kernelI14__hip_bfloat16S0_LN4vllm18Fp8KVCacheDataTypeE0ES0_Li32ELi128ELi256ELb0ELi2EEvPKT_PKT0_S8_ifPKiSA_SA_iPKfiiiPfSD_PS3_PT2_iSC_SC_
	.globl	_Z38paged_attention_ll4mi_QKV_mfma4_kernelI14__hip_bfloat16S0_LN4vllm18Fp8KVCacheDataTypeE0ES0_Li32ELi128ELi256ELb0ELi2EEvPKT_PKT0_S8_ifPKiSA_SA_iPKfiiiPfSD_PS3_PT2_iSC_SC_
	.p2align	8
	.type	_Z38paged_attention_ll4mi_QKV_mfma4_kernelI14__hip_bfloat16S0_LN4vllm18Fp8KVCacheDataTypeE0ES0_Li32ELi128ELi256ELb0ELi2EEvPKT_PKT0_S8_ifPKiSA_SA_iPKfiiiPfSD_PS3_PT2_iSC_SC_,@function
_Z38paged_attention_ll4mi_QKV_mfma4_kernelI14__hip_bfloat16S0_LN4vllm18Fp8KVCacheDataTypeE0ES0_Li32ELi128ELi256ELb0ELi2EEvPKT_PKT0_S8_ifPKiSA_SA_iPKfiiiPfSD_PS3_PT2_iSC_SC_: ; @_Z38paged_attention_ll4mi_QKV_mfma4_kernelI14__hip_bfloat16S0_LN4vllm18Fp8KVCacheDataTypeE0ES0_Li32ELi128ELi256ELb0ELi2EEvPKT_PKT0_S8_ifPKiSA_SA_iPKfiiiPfSD_PS3_PT2_iSC_SC_
; %bb.0:
	s_load_dwordx2 s[16:17], s[0:1], 0x30
	s_mov_b32 s20, s3
	s_mov_b64 s[6:7], 0
	s_waitcnt lgkmcnt(0)
	s_cmp_lg_u64 s[16:17], 0
	s_cselect_b64 s[18:19], -1, 0
	s_and_b64 vcc, exec, s[18:19]
	s_cbranch_vccz .LBB749_10
; %bb.1:
	s_add_i32 s8, s2, 1
	s_mov_b32 s9, 0
	s_lshl_b64 s[10:11], s[8:9], 2
	s_add_u32 s10, s16, s10
	s_mov_b32 s3, s9
	s_addc_u32 s11, s17, s11
	s_lshl_b64 s[8:9], s[2:3], 2
	s_add_u32 s8, s16, s8
	s_addc_u32 s9, s17, s9
	s_load_dword s5, s[10:11], 0x0
	s_load_dword s12, s[8:9], 0x0
	s_waitcnt lgkmcnt(0)
	s_sub_i32 s5, s5, s12
	s_cmp_eq_u32 s5, 1
	s_cselect_b64 s[8:9], -1, 0
	s_andn2_b64 vcc, exec, s[6:7]
	s_cbranch_vccnz .LBB749_3
.LBB749_2:
	s_mov_b32 s3, 0
	s_mov_b64 s[8:9], -1
.LBB749_3:
	s_andn2_b64 vcc, exec, s[8:9]
	s_cbranch_vccnz .LBB749_25
; %bb.4:
	s_load_dword s5, s[0:1], 0x9c
	s_load_dwordx2 s[6:7], s[0:1], 0x28
	s_add_u32 s24, s0, 0x90
	s_addc_u32 s25, s1, 0
	s_lshl_b64 s[28:29], s[2:3], 2
	s_waitcnt lgkmcnt(0)
	s_and_b32 s5, s5, 0xffff
	s_add_u32 s6, s6, s28
	s_addc_u32 s7, s7, s29
	s_load_dword s3, s[6:7], 0x0
	s_mul_i32 s10, s20, s5
	s_waitcnt lgkmcnt(0)
	s_cmp_ge_i32 s10, s3
	s_cbranch_scc1 .LBB749_25
; %bb.5:
	v_and_b32_e32 v1, 0xc0, v0
	v_add_u32_e32 v2, s10, v1
	v_lshrrev_b32_e32 v70, 6, v0
	v_cmp_le_i32_e64 s[6:7], s3, v2
                                        ; implicit-def: $sgpr21
                                        ; implicit-def: $sgpr11
	s_and_saveexec_b64 s[8:9], s[6:7]
	s_xor_b64 s[8:9], exec, s[8:9]
	s_cbranch_execz .LBB749_7
; %bb.6:
	v_mul_u32_u24_e32 v1, 20, v70
	v_or_b32_e32 v1, 0x1400, v1
	v_mov_b32_e32 v2, 0x1450
	v_mov_b32_e32 v3, 0xff7fffff
	v_mad_u32_u24 v2, v70, 20, v2
	ds_write2_b32 v1, v3, v3 offset1:1
	v_mov_b32_e32 v1, 0
	ds_write2_b32 v2, v1, v1 offset1:1
	v_mov_b32_e32 v2, 0x1408
	s_mov_b32 s11, 0xff7fffff
	s_mov_b32 s21, 0
	v_mad_u32_u24 v2, v70, 20, v2
	v_mov_b32_e32 v4, 0x1458
	v_mad_u32_u24 v4, v70, 20, v4
	ds_write2_b32 v2, v3, v3 offset1:1
	ds_write2_b32 v4, v1, v1 offset1:1
                                        ; implicit-def: $vgpr2
.LBB749_7:
	s_or_saveexec_b64 s[26:27], s[8:9]
	s_load_dwordx2 s[22:23], s[0:1], 0x68
	s_load_dwordx4 s[12:15], s[0:1], 0x58
	s_load_dword s5, s[24:25], 0x4
	v_and_b32_e32 v1, 63, v0
	v_and_b32_e32 v71, 3, v0
	v_mov_b32_e32 v67, s21
	v_mov_b32_e32 v72, s11
	;; [unrolled: 1-line block ×5, first 2 shown]
                                        ; implicit-def: $vgpr35
                                        ; implicit-def: $vgpr39
                                        ; implicit-def: $vgpr47
                                        ; implicit-def: $vgpr59
                                        ; implicit-def: $vgpr15
                                        ; implicit-def: $vgpr3
                                        ; implicit-def: $vgpr7
                                        ; implicit-def: $vgpr11
                                        ; implicit-def: $vgpr55
                                        ; implicit-def: $vgpr43
                                        ; implicit-def: $vgpr51
                                        ; implicit-def: $vgpr63
                                        ; implicit-def: $vgpr19
                                        ; implicit-def: $vgpr23
                                        ; implicit-def: $vgpr27
                                        ; implicit-def: $vgpr31
	s_xor_b64 exec, exec, s[26:27]
	s_cbranch_execz .LBB749_17
; %bb.8:
	s_add_i32 s21, s3, 31
	s_load_dwordx2 s[8:9], s[0:1], 0x20
	s_load_dword s11, s[0:1], 0x38
	s_ashr_i32 s30, s21, 31
	s_lshr_b32 s30, s30, 27
	v_add_u32_e32 v72, s10, v0
	s_add_i32 s21, s21, s30
	v_ashrrev_i32_e32 v3, 31, v72
	s_ashr_i32 s21, s21, 5
	v_lshrrev_b32_e32 v3, 27, v3
	s_add_i32 s21, s21, -1
	v_add_u32_e32 v3, v72, v3
	s_waitcnt lgkmcnt(0)
	s_mul_i32 s30, s2, s11
	s_mov_b32 s31, 0
	v_ashrrev_i32_e32 v3, 5, v3
	v_mov_b32_e32 v4, s21
	v_cmp_gt_i32_e32 vcc, s3, v72
	s_lshl_b64 s[30:31], s[30:31], 2
	s_add_u32 s8, s8, s30
	v_cndmask_b32_e32 v4, v4, v3, vcc
	v_ashrrev_i32_e32 v3, 31, v2
	v_lshrrev_b32_e32 v3, 27, v3
	s_addc_u32 s9, s9, s31
	v_ashrrev_i32_e32 v5, 31, v4
	v_add_u32_e32 v2, v2, v3
	v_lshl_add_u64 v[6:7], v[4:5], 2, s[8:9]
	v_ashrrev_i32_e32 v4, 5, v2
	v_min_i32_e32 v2, s21, v4
	v_ashrrev_i32_e32 v3, 31, v2
	v_lshl_add_u64 v[8:9], v[2:3], 2, s[8:9]
	v_add_u32_e32 v2, 1, v4
	v_min_i32_e32 v2, s21, v2
	v_ashrrev_i32_e32 v3, 31, v2
	v_lshl_add_u64 v[10:11], v[2:3], 2, s[8:9]
	global_load_dword v4, v[6:7], off
	global_load_dword v2, v[8:9], off
	global_load_dword v3, v[10:11], off
	s_load_dwordx4 s[8:11], s[0:1], 0x8
	s_andn2_b64 vcc, exec, s[18:19]
	s_cbranch_vccnz .LBB749_11
; %bb.9:
	s_add_u32 s16, s16, s28
	s_addc_u32 s17, s17, s29
	s_load_dword s21, s[16:17], 0x0
	s_branch .LBB749_12
.LBB749_10:
	s_mov_b64 s[8:9], 0
	s_branch .LBB749_2
.LBB749_11:
	s_mov_b32 s21, s2
.LBB749_12:
	s_load_dwordx4 s[16:19], s[0:1], 0x48
	v_cmp_gt_u32_e32 vcc, 2, v71
	s_mov_b32 s29, 0
	v_mov_b32_e32 v35, 0
	v_mov_b32_e32 v66, 0
	;; [unrolled: 1-line block ×5, first 2 shown]
	s_and_saveexec_b64 s[30:31], vcc
	s_cbranch_execz .LBB749_14
; %bb.13:
	s_load_dwordx2 s[34:35], s[0:1], 0x0
	s_waitcnt lgkmcnt(0)
	s_ashr_i32 s19, s16, 31
	s_mul_hi_u32 s28, s21, s16
	s_mul_i32 s19, s21, s19
	s_add_i32 s37, s28, s19
	s_mul_i32 s36, s21, s16
	s_lshl_b64 s[36:37], s[36:37], 1
	s_add_u32 s16, s34, s36
	s_addc_u32 s19, s35, s37
	s_lshl_b32 s28, s4, 8
	s_lshl_b64 s[34:35], s[28:29], 1
	v_lshlrev_b32_e32 v5, 2, v1
	s_add_u32 s34, s16, s34
	v_and_b32_e32 v5, 0xf0, v5
	s_addc_u32 s35, s19, s35
	v_lshl_or_b32 v5, v71, 8, v5
	global_load_dwordx4 v[66:69], v5, s[34:35]
.LBB749_14:
	s_or_b64 exec, exec, s[30:31]
	s_waitcnt lgkmcnt(0)
	s_mul_i32 s28, s4, s18
	s_lshl_b64 s[18:19], s[28:29], 1
	s_add_u32 s8, s18, s8
	s_waitcnt vmcnt(2)
	v_mad_i64_i32 v[4:5], s[30:31], v4, s17, 0
	s_addc_u32 s9, s19, s9
	v_lshl_add_u64 v[32:33], v[4:5], 1, s[8:9]
	v_and_b32_e32 v4, 31, v0
	v_lshlrev_b32_e32 v34, 4, v4
	v_lshl_add_u64 v[40:41], v[32:33], 0, v[34:35]
	global_load_dwordx4 v[4:7], v[40:41], off
	global_load_dwordx4 v[8:11], v[40:41], off offset:512
	global_load_dwordx4 v[12:15], v[40:41], off offset:1024
	;; [unrolled: 1-line block ×7, first 2 shown]
	v_mov_b32_e32 v41, v35
	v_or_b32_e32 v40, 0x1000, v34
	v_lshl_add_u64 v[40:41], v[32:33], 0, v[40:41]
	global_load_dwordx4 v[40:43], v[40:41], off
	v_mov_b32_e32 v45, v35
	v_or_b32_e32 v44, 0x1200, v34
	v_lshl_add_u64 v[44:45], v[32:33], 0, v[44:45]
	global_load_dwordx4 v[44:47], v[44:45], off
	;; [unrolled: 4-line block ×6, first 2 shown]
	v_or_b32_e32 v34, 0x1c00, v34
	v_lshl_add_u64 v[74:75], v[32:33], 0, v[34:35]
	global_load_dwordx4 v[74:77], v[74:75], off
	v_mov_b32_e32 v64, 0x1e00
	v_lshl_or_b32 v34, v0, 4, v64
	v_lshl_add_u64 v[32:33], v[32:33], 0, v[34:35]
	global_load_dwordx4 v[78:81], v[32:33], off
	s_waitcnt vmcnt(16)
	v_mul_hi_i32 v82, v3, s17
	v_mul_hi_i32 v73, v2, s17
	v_mov_b32_e32 v83, v35
	v_mov_b32_e32 v65, v35
	s_load_dword s0, s[0:1], 0x1c
	v_cmp_eq_u32_e32 vcc, 0, v71
	v_and_b32_e32 v88, -4, v72
	v_or_b32_e32 v72, 3, v72
	v_cndmask_b32_e64 v84, 0, 1.0, vcc
	v_cmp_eq_u32_e32 vcc, 1, v71
	v_lshlrev_b32_e32 v89, 2, v0
	s_waitcnt vmcnt(15)
	v_mfma_f32_4x4x4_16b_bf16 a[0:3], v[66:67], v[4:5], 0 cbsz:4
	v_ashrrev_i32_e32 v4, 31, v82
	s_nop 0
	v_mfma_f32_4x4x4_16b_bf16 a[0:3], v[68:69], v[6:7], a[0:3] cbsz:4
	v_lshrrev_b32_e32 v82, 29, v4
	v_ashrrev_i32_e32 v6, 31, v73
	s_waitcnt vmcnt(14)
	v_mfma_f32_4x4x4_16b_bf16 a[0:3], v[66:67], v[8:9], a[0:3] cbsz:4 abid:1
	v_mad_i64_i32 v[4:5], s[8:9], v3, s17, v[82:83]
	s_nop 0
	v_mfma_f32_4x4x4_16b_bf16 a[0:3], v[68:69], v[10:11], a[0:3] cbsz:4 abid:1
	s_add_u32 s8, s10, s18
	v_lshrrev_b32_e32 v34, 29, v6
	s_waitcnt vmcnt(13)
	v_mfma_f32_4x4x4_16b_bf16 a[0:3], v[66:67], v[12:13], a[0:3] cbsz:4 abid:2
	s_addc_u32 s9, s11, s19
	v_mad_i64_i32 v[2:3], s[10:11], v2, s17, v[34:35]
	v_mfma_f32_4x4x4_16b_bf16 a[0:3], v[68:69], v[14:15], a[0:3] cbsz:4 abid:2
	v_lshlrev_b64 v[4:5], 1, v[4:5]
	v_and_b32_e32 v4, -16, v4
	s_waitcnt vmcnt(12)
	v_mfma_f32_4x4x4_16b_bf16 a[0:3], v[66:67], v[16:17], a[0:3] cbsz:4 abid:3
	v_lshlrev_b32_e32 v34, 6, v1
	v_or_b32_e32 v64, 0x1000, v34
	v_mfma_f32_4x4x4_16b_bf16 a[0:3], v[68:69], v[18:19], a[0:3] cbsz:4 abid:3
	v_lshl_add_u64 v[18:19], s[8:9], 0, v[4:5]
	v_cndmask_b32_e64 v85, 0, 1.0, vcc
	s_waitcnt vmcnt(11)
	v_mfma_f32_4x4x4_16b_bf16 a[0:3], v[66:67], v[20:21], a[0:3] cbsz:4 abid:4
	v_lshlrev_b64 v[20:21], 1, v[2:3]
	v_and_b32_e32 v20, -16, v20
	v_mfma_f32_4x4x4_16b_bf16 a[0:3], v[68:69], v[22:23], a[0:3] cbsz:4 abid:4
	v_lshl_add_u64 v[22:23], v[18:19], 0, v[34:35]
	global_load_dwordx4 v[14:17], v[22:23], off
	global_load_dwordx4 v[2:5], v[22:23], off offset:16
	s_waitcnt vmcnt(12)
	v_mfma_f32_4x4x4_16b_bf16 a[0:3], v[66:67], v[24:25], a[0:3] cbsz:4 abid:5
	global_load_dwordx4 v[6:9], v[22:23], off offset:32
	global_load_dwordx4 v[10:13], v[22:23], off offset:48
	v_mfma_f32_4x4x4_16b_bf16 a[0:3], v[68:69], v[26:27], a[0:3] cbsz:4 abid:5
	v_cmp_eq_u32_e32 vcc, 2, v71
	v_mov_b32_e32 v73, 0xff7fffff
	s_waitcnt vmcnt(13)
	v_mfma_f32_4x4x4_16b_bf16 a[0:3], v[66:67], v[28:29], a[0:3] cbsz:4 abid:6
	v_cndmask_b32_e64 v86, 0, 1.0, vcc
	v_cmp_eq_u32_e32 vcc, 3, v71
	v_mfma_f32_4x4x4_16b_bf16 a[0:3], v[68:69], v[30:31], a[0:3] cbsz:4 abid:6
	v_cmp_gt_i32_e64 s[10:11], s3, v72
	v_cndmask_b32_e64 v87, 0, 1.0, vcc
	s_waitcnt vmcnt(12)
	v_mfma_f32_4x4x4_16b_bf16 a[0:3], v[66:67], v[36:37], a[0:3] cbsz:4 abid:7
	v_lshl_add_u64 v[36:37], v[18:19], 0, v[64:65]
	v_cmp_gt_i32_e32 vcc, s3, v88
	v_mfma_f32_4x4x4_16b_bf16 a[0:3], v[68:69], v[38:39], a[0:3] cbsz:4 abid:7
	v_lshl_add_u64 v[38:39], s[8:9], 0, v[20:21]
	v_lshl_add_u64 v[82:83], v[38:39], 0, v[64:65]
	s_waitcnt vmcnt(11)
	v_mfma_f32_4x4x4_16b_bf16 a[0:3], v[66:67], v[40:41], a[0:3] cbsz:4 abid:8
	global_load_dwordx4 v[18:21], v[36:37], off
	global_load_dwordx4 v[22:25], v[36:37], off offset:16
	v_mfma_f32_4x4x4_16b_bf16 a[0:3], v[68:69], v[42:43], a[0:3] cbsz:4 abid:8
	v_lshl_add_u64 v[42:43], v[38:39], 0, v[34:35]
	global_load_dwordx4 v[26:29], v[36:37], off offset:32
	global_load_dwordx4 v[30:33], v[36:37], off offset:48
	s_waitcnt vmcnt(14)
	v_mfma_f32_4x4x4_16b_bf16 a[0:3], v[66:67], v[44:45], a[0:3] cbsz:4 abid:9
	global_load_dwordx4 v[34:37], v[42:43], off
	global_load_dwordx4 v[38:41], v[42:43], off offset:16
	v_mfma_f32_4x4x4_16b_bf16 a[0:3], v[68:69], v[46:47], a[0:3] cbsz:4 abid:9
	s_waitcnt vmcnt(15)
	s_nop 0
	v_mfma_f32_4x4x4_16b_bf16 a[0:3], v[66:67], v[48:49], a[0:3] cbsz:4 abid:10
	s_nop 1
	v_mfma_f32_4x4x4_16b_bf16 a[0:3], v[68:69], v[50:51], a[0:3] cbsz:4 abid:10
	s_waitcnt vmcnt(14)
	s_nop 0
	v_mfma_f32_4x4x4_16b_bf16 a[0:3], v[66:67], v[52:53], a[0:3] cbsz:4 abid:11
	s_nop 1
	;; [unrolled: 5-line block ×3, first 2 shown]
	v_mfma_f32_4x4x4_16b_bf16 a[0:3], v[68:69], v[58:59], a[0:3] cbsz:4 abid:12
	s_waitcnt vmcnt(12)
	s_nop 0
	v_mfma_f32_4x4x4_16b_bf16 a[0:3], v[66:67], v[60:61], a[0:3] cbsz:4 abid:13
	global_load_dwordx4 v[46:49], v[42:43], off offset:32
	global_load_dwordx4 v[58:61], v[42:43], off offset:48
	v_mfma_f32_4x4x4_16b_bf16 a[0:3], v[68:69], v[62:63], a[0:3] cbsz:4 abid:13
	global_load_dwordx4 v[54:57], v[82:83], off
	global_load_dwordx4 v[42:45], v[82:83], off offset:16
	global_load_dwordx4 v[50:53], v[82:83], off offset:32
	;; [unrolled: 1-line block ×3, first 2 shown]
	s_waitcnt vmcnt(17)
	v_mfma_f32_4x4x4_16b_bf16 a[0:3], v[66:67], v[74:75], a[0:3] cbsz:4 abid:14
	v_and_or_b32 v74, v89, 48, v71
	v_lshlrev_b32_e32 v74, 2, v74
	v_mfma_f32_4x4x4_16b_bf16 a[0:3], v[68:69], v[76:77], a[0:3] cbsz:4 abid:14
	s_waitcnt vmcnt(16)
	s_nop 0
	v_mfma_f32_4x4x4_16b_bf16 a[0:3], v[66:67], v[78:79], a[0:3] cbsz:4 abid:15
	s_nop 1
	v_mfma_f32_4x4x4_16b_bf16 a[0:3], v[68:69], v[80:81], a[0:3] cbsz:4 abid:15
	s_nop 4
	v_accvgpr_read_b32 v67, a1
	v_accvgpr_read_b32 v66, a0
	s_waitcnt lgkmcnt(0)
	v_pk_mul_f32 v[66:67], s[0:1], v[66:67] op_sel_hi:[0,1]
	v_accvgpr_read_b32 v69, a3
	v_accvgpr_read_b32 v68, a2
	v_pk_mul_f32 v[68:69], s[0:1], v[68:69] op_sel_hi:[0,1]
	v_mfma_f32_4x4x1_16b_f32 a[0:3], v66, v84, 0
	v_or_b32_e32 v66, 1, v88
	s_nop 0
	v_mfma_f32_4x4x1_16b_f32 a[0:3], v67, v85, a[0:3]
	v_cmp_gt_i32_e64 s[0:1], s3, v66
	v_or_b32_e32 v67, 2, v88
	v_mfma_f32_4x4x1_16b_f32 a[0:3], v68, v86, a[0:3]
	v_cmp_gt_i32_e64 s[8:9], s3, v67
	s_nop 0
	v_mfma_f32_4x4x1_16b_f32 a[0:3], v69, v87, a[0:3]
	s_nop 3
	v_accvgpr_read_b32 v68, a0
	v_max_f32_e32 v77, v68, v68
	v_accvgpr_read_b32 v69, a1
	v_max_f32_e32 v77, 0xff7fffff, v77
	v_max_f32_e32 v78, v69, v69
	v_cndmask_b32_e32 v73, v73, v77, vcc
	v_accvgpr_read_b32 v75, a2
	v_max_f32_e32 v77, v73, v78
	v_max_f32_e32 v79, v75, v75
	v_cndmask_b32_e64 v66, v73, v77, s[0:1]
	v_accvgpr_read_b32 v76, a3
	v_max_f32_e32 v73, v66, v79
	v_max_f32_e32 v80, v76, v76
	v_cndmask_b32_e64 v66, v66, v73, s[8:9]
	v_max_f32_e32 v67, v66, v80
	v_cndmask_b32_e64 v66, v66, v67, s[10:11]
	;;#ASMSTART
	v_nop
 v_nop
 v_max_f32_dpp v66, v66, v66 row_ror:4
	;;#ASMEND
	s_nop 0
	;;#ASMSTART
	v_nop
 v_nop
 v_max_f32_dpp v66, v66, v66 row_ror:8
	;;#ASMEND
	ds_bpermute_b32 v66, v74, v66
	s_waitcnt lgkmcnt(0)
	;;#ASMSTART
	v_nop
 v_nop
 v_max_f32_dpp v66, v66, v66 row_ror:4
	;;#ASMEND
	s_nop 0
	;;#ASMSTART
	v_nop
 v_nop
 v_max_f32_dpp v72, v66, v66 row_ror:8
	;;#ASMEND
	s_nop 0
	v_sub_f32_e32 v66, v68, v72
	v_sub_f32_e32 v67, v69, v72
	;; [unrolled: 1-line block ×3, first 2 shown]
	v_mul_f32_e32 v66, 0x3fb8aa3b, v66
	v_mul_f32_e32 v67, 0x3fb8aa3b, v67
	;; [unrolled: 1-line block ×3, first 2 shown]
	v_exp_f32_e32 v66, v66
	v_sub_f32_e32 v69, v76, v72
	v_exp_f32_e32 v67, v67
	v_exp_f32_e32 v73, v68
	v_mul_f32_e32 v69, 0x3fb8aa3b, v69
	v_exp_f32_e32 v75, v69
	v_cndmask_b32_e32 v68, 0, v66, vcc
	v_cndmask_b32_e64 v69, 0, v67, s[0:1]
	v_cndmask_b32_e64 v66, 0, v73, s[8:9]
	v_add_f32_e32 v73, 0, v68
	v_add_f32_e32 v73, v73, v69
	v_cndmask_b32_e64 v67, 0, v75, s[10:11]
	v_add_f32_e32 v73, v73, v66
	v_add_f32_e32 v73, v73, v67
	;;#ASMSTART
	v_nop
 v_nop
 v_add_f32_dpp v73, v73, v73 row_ror:4
	;;#ASMEND
	v_cmp_gt_u32_e32 vcc, 4, v1
	;;#ASMSTART
	v_nop
 v_nop
 v_add_f32_dpp v73, v73, v73 row_ror:8
	;;#ASMEND
	ds_bpermute_b32 v73, v74, v73
	s_waitcnt lgkmcnt(0)
	;;#ASMSTART
	v_nop
 v_nop
 v_add_f32_dpp v73, v73, v73 row_ror:4
	;;#ASMEND
	s_nop 0
	;;#ASMSTART
	v_nop
 v_nop
 v_add_f32_dpp v73, v73, v73 row_ror:8
	;;#ASMEND
	s_and_saveexec_b64 s[0:1], vcc
	s_cbranch_execz .LBB749_16
; %bb.15:
	v_mul_u32_u24_e32 v74, 20, v70
	v_lshl_add_u32 v74, v71, 2, v74
	v_add_u32_e32 v74, 0x1400, v74
	ds_write2_b32 v74, v72, v73 offset1:20
.LBB749_16:
	s_or_b64 exec, exec, s[0:1]
.LBB749_17:
	s_or_b64 exec, exec, s[26:27]
	s_waitcnt lgkmcnt(0)
	s_barrier
	s_load_dword s0, s[24:25], 0x8
	v_lshlrev_b32_e32 v73, 2, v71
	v_add_u32_e32 v73, 0x1400, v73
	ds_read2_b32 v[76:77], v73 offset1:5
	ds_read2_b32 v[78:79], v73 offset0:10 offset1:15
	s_mul_i32 s1, s2, s5
	s_waitcnt lgkmcnt(0)
	s_mul_i32 s1, s1, s0
	s_lshl_b32 s0, s1, 1
	s_mov_b32 s1, 0xff7fffff
	v_max3_f32 v74, v76, s1, v77
	v_max3_f32 v74, v74, v78, v79
	v_sub_f32_e32 v75, v76, v74
	v_sub_f32_e32 v76, v77, v74
	ds_read2_b32 v[80:81], v73 offset0:20 offset1:25
	v_mul_f32_e32 v75, 0x3fb8aa3b, v75
	v_mul_f32_e32 v76, 0x3fb8aa3b, v76
	v_exp_f32_e32 v75, v75
	v_exp_f32_e32 v82, v76
	ds_read2_b32 v[76:77], v73 offset0:30 offset1:35
	v_sub_f32_e32 v73, v78, v74
	v_mul_f32_e32 v73, 0x3fb8aa3b, v73
	v_sub_f32_e32 v78, v79, v74
	v_exp_f32_e32 v73, v73
	v_mul_f32_e32 v78, 0x3fb8aa3b, v78
	v_exp_f32_e32 v78, v78
	s_waitcnt lgkmcnt(1)
	v_fma_f32 v75, v75, v80, 0
	v_fmac_f32_e32 v75, v82, v81
	s_waitcnt lgkmcnt(0)
	v_fmac_f32_e32 v75, v73, v76
	s_lshl_b32 s4, s4, 1
	v_fmac_f32_e32 v75, v78, v77
	v_cmp_gt_u32_e32 vcc, 2, v71
	s_and_saveexec_b64 s[2:3], vcc
	s_cbranch_execz .LBB749_19
; %bb.18:
	s_mov_b32 s1, 0
	s_lshl_b64 s[8:9], s[0:1], 2
	s_add_u32 s12, s12, s8
	s_mov_b32 s21, s1
	s_addc_u32 s13, s13, s9
	s_lshl_b64 s[10:11], s[20:21], 2
	s_add_u32 s12, s12, s10
	s_addc_u32 s13, s13, s11
	s_add_u32 s1, s14, s8
	s_addc_u32 s9, s15, s9
	v_or_b32_e32 v71, s4, v71
	s_add_u32 s8, s1, s10
	v_mul_lo_u32 v76, s5, v71
	v_mov_b32_e32 v77, 0
	s_addc_u32 s9, s9, s11
	v_lshlrev_b64 v[76:77], 2, v[76:77]
	v_lshl_add_u64 v[78:79], s[12:13], 0, v[76:77]
	v_lshl_add_u64 v[76:77], s[8:9], 0, v[76:77]
	global_store_dword v[76:77], v74, off
	global_store_dword v[78:79], v75, off
.LBB749_19:
	s_or_b64 exec, exec, s[2:3]
	v_lshlrev_b32_e32 v73, 3, v70
                                        ; implicit-def: $sgpr1
	s_and_saveexec_b64 s[2:3], s[6:7]
	s_xor_b64 s[2:3], exec, s[2:3]
	s_cbranch_execz .LBB749_21
; %bb.20:
	s_waitcnt vmcnt(14)
	v_mov_b32_e32 v2, 0
	v_mad_u32_u24 v4, v1, 40, v73
	s_mov_b32 s1, 0
	v_mov_b32_e32 v3, v2
	ds_write_b64 v4, v[2:3]
                                        ; implicit-def: $vgpr67
                                        ; implicit-def: $vgpr69
                                        ; implicit-def: $vgpr35
                                        ; implicit-def: $vgpr39
                                        ; implicit-def: $vgpr47
                                        ; implicit-def: $vgpr59
                                        ; implicit-def: $vgpr15
                                        ; implicit-def: $vgpr3
                                        ; implicit-def: $vgpr7
                                        ; implicit-def: $vgpr11
                                        ; implicit-def: $vgpr55
                                        ; implicit-def: $vgpr43
                                        ; implicit-def: $vgpr51
                                        ; implicit-def: $vgpr63
                                        ; implicit-def: $vgpr19
                                        ; implicit-def: $vgpr23
                                        ; implicit-def: $vgpr27
                                        ; implicit-def: $vgpr31
                                        ; implicit-def: $vgpr72
                                        ; implicit-def: $vgpr74
                                        ; implicit-def: $vgpr75
.LBB749_21:
	s_or_saveexec_b64 s[2:3], s[2:3]
	v_mov_b32_e32 v70, s1
	v_mov_b32_e32 v71, s1
	s_xor_b64 exec, exec, s[2:3]
	s_cbranch_execz .LBB749_23
; %bb.22:
	v_add_f32_e32 v70, 0x358637bd, v75
	v_div_scale_f32 v71, s[6:7], v70, v70, 1.0
	v_rcp_f32_e32 v75, v71
	v_sub_f32_e32 v72, v72, v74
	v_mul_f32_e32 v72, 0x3fb8aa3b, v72
	v_exp_f32_e32 v72, v72
	v_fma_f32 v74, -v71, v75, 1.0
	v_fmac_f32_e32 v75, v74, v75
	v_div_scale_f32 v74, vcc, 1.0, v70, 1.0
	v_mul_f32_e32 v76, v74, v75
	v_fma_f32 v77, -v71, v76, v74
	v_fmac_f32_e32 v76, v77, v75
	v_fma_f32 v71, -v71, v76, v74
	v_div_fmas_f32 v71, v71, v75, v76
	v_div_fixup_f32 v70, v71, v70, 1.0
	v_mul_f32_e32 v70, v72, v70
	v_pk_mul_f32 v[68:69], v[68:69], v[70:71] op_sel_hi:[1,0]
	v_pk_mul_f32 v[66:67], v[66:67], v[70:71] op_sel_hi:[1,0]
	v_bfe_u32 v70, v69, 16, 1
	v_bfe_u32 v71, v68, 16, 1
	s_movk_i32 s1, 0x7fff
	v_add3_u32 v68, v68, v71, s1
	v_add3_u32 v69, v69, v70, s1
	s_mov_b32 s6, 0x7060302
	v_perm_b32 v68, v69, v68, s6
	v_bfe_u32 v69, v67, 16, 1
	v_bfe_u32 v70, v66, 16, 1
	v_add3_u32 v66, v66, v70, s1
	v_add3_u32 v67, v67, v69, s1
	v_perm_b32 v69, v67, v66, s6
	s_waitcnt vmcnt(7)
	s_nop 0
	v_mfma_f32_4x4x4_16b_bf16 a[0:3], v[68:69], v[34:35], 0 cbsz:4
	s_nop 1
	v_mfma_f32_4x4x4_16b_bf16 a[0:3], v[68:69], v[36:37], a[0:3] cbsz:4 abid:1
	s_waitcnt vmcnt(3)
	v_mfma_f32_4x4x4_16b_bf16 a[4:7], v[68:69], v[54:55], 0 cbsz:4
	v_mfma_f32_4x4x4_16b_bf16 a[0:3], v[68:69], v[38:39], a[0:3] cbsz:4 abid:2
	s_nop 0
	v_mfma_f32_4x4x4_16b_bf16 a[4:7], v[68:69], v[56:57], a[4:7] cbsz:4 abid:1
	v_mfma_f32_4x4x4_16b_bf16 a[0:3], v[68:69], v[40:41], a[0:3] cbsz:4 abid:3
	s_waitcnt vmcnt(2)
	v_mfma_f32_4x4x4_16b_bf16 a[4:7], v[68:69], v[42:43], a[4:7] cbsz:4 abid:2
	v_mfma_f32_4x4x4_16b_bf16 a[0:3], v[68:69], v[46:47], a[0:3] cbsz:4 abid:4
	s_nop 1
	v_mfma_f32_4x4x4_16b_bf16 a[0:3], v[68:69], v[48:49], a[0:3] cbsz:4 abid:5
	s_nop 1
	;; [unrolled: 2-line block ×12, first 2 shown]
	v_accvgpr_read_b32 v3, a2
	v_accvgpr_read_b32 v4, a3
	;; [unrolled: 1-line block ×4, first 2 shown]
	v_mfma_f32_4x4x4_16b_bf16 a[0:3], v[68:69], v[44:45], a[4:7] cbsz:4 abid:3
	v_bfe_u32 v6, v5, 16, 1
	v_bfe_u32 v7, v2, 16, 1
	s_waitcnt vmcnt(1)
	v_mfma_f32_4x4x4_16b_bf16 a[0:3], v[68:69], v[50:51], a[0:3] cbsz:4 abid:4
	v_add3_u32 v2, v2, v7, s1
	v_add3_u32 v5, v5, v6, s1
	v_mfma_f32_4x4x4_16b_bf16 a[0:3], v[68:69], v[52:53], a[0:3] cbsz:4 abid:5
	v_perm_b32 v2, v5, v2, s6
	v_bfe_u32 v5, v4, 16, 1
	s_waitcnt vmcnt(0)
	v_mfma_f32_4x4x4_16b_bf16 a[0:3], v[68:69], v[62:63], a[0:3] cbsz:4 abid:6
	v_bfe_u32 v6, v3, 16, 1
	v_add3_u32 v3, v3, v6, s1
	v_mfma_f32_4x4x4_16b_bf16 a[0:3], v[68:69], v[64:65], a[0:3] cbsz:4 abid:7
	v_add3_u32 v4, v4, v5, s1
	v_perm_b32 v3, v4, v3, s6
	v_mfma_f32_4x4x4_16b_bf16 a[0:3], v[68:69], v[18:19], a[0:3] cbsz:4 abid:8
	v_mad_u32_u24 v4, v1, 40, v73
	ds_write_b64 v4, v[2:3]
	v_mfma_f32_4x4x4_16b_bf16 a[0:3], v[68:69], v[20:21], a[0:3] cbsz:4 abid:9
	s_nop 1
	v_mfma_f32_4x4x4_16b_bf16 a[0:3], v[68:69], v[22:23], a[0:3] cbsz:4 abid:10
	s_nop 1
	;; [unrolled: 2-line block ×7, first 2 shown]
	v_accvgpr_read_b32 v4, a0
	v_accvgpr_read_b32 v5, a1
	;; [unrolled: 1-line block ×4, first 2 shown]
	v_bfe_u32 v6, v5, 16, 1
	v_bfe_u32 v7, v4, 16, 1
	v_add3_u32 v4, v4, v7, s1
	v_add3_u32 v5, v5, v6, s1
	v_bfe_u32 v6, v3, 16, 1
	v_bfe_u32 v7, v2, 16, 1
	v_add3_u32 v2, v2, v7, s1
	v_add3_u32 v3, v3, v6, s1
	v_perm_b32 v71, v3, v2, s6
	v_perm_b32 v70, v5, v4, s6
.LBB749_23:
	s_or_b64 exec, exec, s[2:3]
	s_waitcnt vmcnt(14)
	v_mad_u32_u24 v2, v1, 40, v73
	v_cmp_gt_u32_e32 vcc, 64, v0
	ds_write_b64 v2, v[70:71] offset:2560
	s_waitcnt lgkmcnt(0)
	s_barrier
	s_and_saveexec_b64 s[2:3], vcc
	s_cbranch_execz .LBB749_25
; %bb.24:
	s_waitcnt vmcnt(13)
	v_mul_u32_u24_e32 v6, 40, v1
	ds_read2_b64 v[2:5], v6 offset1:1
	ds_read2_b64 v[6:9], v6 offset0:2 offset1:3
	s_mov_b32 s1, 0
	s_lshl_b32 s0, s0, 7
	s_lshl_b64 s[2:3], s[0:1], 1
	s_waitcnt lgkmcnt(1)
	v_and_b32_e32 v3, 0xffff0000, v2
	v_add_f32_e32 v3, 0, v3
	v_and_b32_e32 v5, 0xffff0000, v4
	v_and_b32_e32 v3, 0xffff0000, v3
	v_add_f32_e32 v3, v3, v5
	s_waitcnt lgkmcnt(0)
	v_and_b32_e32 v7, 0xffff0000, v6
	v_and_b32_e32 v3, 0xffff0000, v3
	v_add_f32_e32 v3, v3, v7
	v_mov_b32_e32 v7, 0xa00
	v_mad_u32_u24 v7, v1, 40, v7
	s_waitcnt vmcnt(12)
	ds_read2_b64 v[10:13], v7 offset1:1
	v_and_b32_e32 v3, 0xffff0000, v3
	v_and_b32_e32 v5, 0xffff0000, v8
	v_add_f32_e32 v7, v3, v5
	v_mov_b32_e32 v3, 0xa10
	v_mad_u32_u24 v1, v1, 40, v3
	ds_read2_b64 v[14:17], v1 offset1:1
	s_waitcnt lgkmcnt(1)
	v_lshlrev_b32_e32 v1, 16, v10
	v_add_f32_e32 v1, 0, v1
	v_and_b32_e32 v3, 0xffff0000, v10
	v_and_b32_e32 v1, 0xffff0000, v1
	v_add_f32_e32 v3, 0, v3
	v_lshlrev_b32_e32 v5, 16, v12
	v_and_b32_e32 v3, 0xffff0000, v3
	v_add_f32_e32 v1, v1, v5
	v_and_b32_e32 v5, 0xffff0000, v12
	v_and_b32_e32 v1, 0xffff0000, v1
	v_add_f32_e32 v3, v3, v5
	s_waitcnt lgkmcnt(0)
	v_lshlrev_b32_e32 v5, 16, v14
	v_and_b32_e32 v3, 0xffff0000, v3
	v_add_f32_e32 v1, v1, v5
	v_and_b32_e32 v5, 0xffff0000, v14
	v_and_b32_e32 v1, 0xffff0000, v1
	v_add_f32_e32 v3, v3, v5
	v_lshlrev_b32_e32 v5, 16, v16
	v_and_b32_e32 v3, 0xffff0000, v3
	v_add_f32_e32 v9, v1, v5
	v_and_b32_e32 v1, 0xffff0000, v16
	v_add_f32_e32 v10, v3, v1
	v_lshlrev_b32_e32 v1, 16, v2
	s_add_u32 s2, s22, s2
	v_add_f32_e32 v1, 0, v1
	s_addc_u32 s3, s23, s3
	s_lshl_b32 s0, s20, 7
	v_and_b32_e32 v1, 0xffff0000, v1
	v_lshlrev_b32_e32 v2, 16, v4
	s_lshl_b64 s[0:1], s[0:1], 1
	v_add_f32_e32 v1, v1, v2
	s_add_u32 s0, s2, s0
	v_and_b32_e32 v1, 0xffff0000, v1
	v_lshlrev_b32_e32 v2, 16, v6
	s_addc_u32 s1, s3, s1
	s_lshl_b32 s2, s5, 7
	v_add_f32_e32 v1, v1, v2
	v_and_b32_e32 v1, 0xffff0000, v1
	v_lshlrev_b32_e32 v2, 16, v8
	s_mul_i32 s3, s2, s4
	v_add_f32_e32 v1, v1, v2
	v_or_b32_e32 v2, s3, v0
	v_mov_b32_e32 v3, 0
	s_add_i32 s3, s3, s2
	v_lshl_add_u64 v[4:5], v[2:3], 1, s[0:1]
	v_or_b32_e32 v2, s3, v0
	global_store_short_d16_hi v[4:5], v1, off
	v_lshl_add_u64 v[0:1], v[2:3], 1, s[0:1]
	global_store_short_d16_hi v[0:1], v7, off
	global_store_short_d16_hi v[4:5], v9, off offset:128
	global_store_short_d16_hi v[0:1], v10, off offset:128
.LBB749_25:
	s_endpgm
	.section	.rodata,"a",@progbits
	.p2align	6, 0x0
	.amdhsa_kernel _Z38paged_attention_ll4mi_QKV_mfma4_kernelI14__hip_bfloat16S0_LN4vllm18Fp8KVCacheDataTypeE0ES0_Li32ELi128ELi256ELb0ELi2EEvPKT_PKT0_S8_ifPKiSA_SA_iPKfiiiPfSD_PS3_PT2_iSC_SC_
		.amdhsa_group_segment_fixed_size 5280
		.amdhsa_private_segment_fixed_size 0
		.amdhsa_kernarg_size 400
		.amdhsa_user_sgpr_count 2
		.amdhsa_user_sgpr_dispatch_ptr 0
		.amdhsa_user_sgpr_queue_ptr 0
		.amdhsa_user_sgpr_kernarg_segment_ptr 1
		.amdhsa_user_sgpr_dispatch_id 0
		.amdhsa_user_sgpr_kernarg_preload_length 0
		.amdhsa_user_sgpr_kernarg_preload_offset 0
		.amdhsa_user_sgpr_private_segment_size 0
		.amdhsa_uses_dynamic_stack 0
		.amdhsa_enable_private_segment 0
		.amdhsa_system_sgpr_workgroup_id_x 1
		.amdhsa_system_sgpr_workgroup_id_y 1
		.amdhsa_system_sgpr_workgroup_id_z 1
		.amdhsa_system_sgpr_workgroup_info 0
		.amdhsa_system_vgpr_workitem_id 0
		.amdhsa_next_free_vgpr 100
		.amdhsa_next_free_sgpr 38
		.amdhsa_accum_offset 92
		.amdhsa_reserve_vcc 1
		.amdhsa_float_round_mode_32 0
		.amdhsa_float_round_mode_16_64 0
		.amdhsa_float_denorm_mode_32 3
		.amdhsa_float_denorm_mode_16_64 3
		.amdhsa_dx10_clamp 1
		.amdhsa_ieee_mode 1
		.amdhsa_fp16_overflow 0
		.amdhsa_tg_split 0
		.amdhsa_exception_fp_ieee_invalid_op 0
		.amdhsa_exception_fp_denorm_src 0
		.amdhsa_exception_fp_ieee_div_zero 0
		.amdhsa_exception_fp_ieee_overflow 0
		.amdhsa_exception_fp_ieee_underflow 0
		.amdhsa_exception_fp_ieee_inexact 0
		.amdhsa_exception_int_div_zero 0
	.end_amdhsa_kernel
	.section	.text._Z38paged_attention_ll4mi_QKV_mfma4_kernelI14__hip_bfloat16S0_LN4vllm18Fp8KVCacheDataTypeE0ES0_Li32ELi128ELi256ELb0ELi2EEvPKT_PKT0_S8_ifPKiSA_SA_iPKfiiiPfSD_PS3_PT2_iSC_SC_,"axG",@progbits,_Z38paged_attention_ll4mi_QKV_mfma4_kernelI14__hip_bfloat16S0_LN4vllm18Fp8KVCacheDataTypeE0ES0_Li32ELi128ELi256ELb0ELi2EEvPKT_PKT0_S8_ifPKiSA_SA_iPKfiiiPfSD_PS3_PT2_iSC_SC_,comdat
.Lfunc_end749:
	.size	_Z38paged_attention_ll4mi_QKV_mfma4_kernelI14__hip_bfloat16S0_LN4vllm18Fp8KVCacheDataTypeE0ES0_Li32ELi128ELi256ELb0ELi2EEvPKT_PKT0_S8_ifPKiSA_SA_iPKfiiiPfSD_PS3_PT2_iSC_SC_, .Lfunc_end749-_Z38paged_attention_ll4mi_QKV_mfma4_kernelI14__hip_bfloat16S0_LN4vllm18Fp8KVCacheDataTypeE0ES0_Li32ELi128ELi256ELb0ELi2EEvPKT_PKT0_S8_ifPKiSA_SA_iPKfiiiPfSD_PS3_PT2_iSC_SC_
                                        ; -- End function
	.section	.AMDGPU.csdata,"",@progbits
; Kernel info:
; codeLenInByte = 4184
; NumSgprs: 44
; NumVgprs: 90
; NumAgprs: 8
; TotalNumVgprs: 100
; ScratchSize: 0
; MemoryBound: 0
; FloatMode: 240
; IeeeMode: 1
; LDSByteSize: 5280 bytes/workgroup (compile time only)
; SGPRBlocks: 5
; VGPRBlocks: 12
; NumSGPRsForWavesPerEU: 44
; NumVGPRsForWavesPerEU: 100
; AccumOffset: 92
; Occupancy: 4
; WaveLimiterHint : 1
; COMPUTE_PGM_RSRC2:SCRATCH_EN: 0
; COMPUTE_PGM_RSRC2:USER_SGPR: 2
; COMPUTE_PGM_RSRC2:TRAP_HANDLER: 0
; COMPUTE_PGM_RSRC2:TGID_X_EN: 1
; COMPUTE_PGM_RSRC2:TGID_Y_EN: 1
; COMPUTE_PGM_RSRC2:TGID_Z_EN: 1
; COMPUTE_PGM_RSRC2:TIDIG_COMP_CNT: 0
; COMPUTE_PGM_RSRC3_GFX90A:ACCUM_OFFSET: 22
; COMPUTE_PGM_RSRC3_GFX90A:TG_SPLIT: 0
	.section	.text._Z38paged_attention_ll4mi_QKV_mfma4_kernelI14__hip_bfloat16S0_LN4vllm18Fp8KVCacheDataTypeE0ES0_Li32ELi128ELi256ELb0ELi3EEvPKT_PKT0_S8_ifPKiSA_SA_iPKfiiiPfSD_PS3_PT2_iSC_SC_,"axG",@progbits,_Z38paged_attention_ll4mi_QKV_mfma4_kernelI14__hip_bfloat16S0_LN4vllm18Fp8KVCacheDataTypeE0ES0_Li32ELi128ELi256ELb0ELi3EEvPKT_PKT0_S8_ifPKiSA_SA_iPKfiiiPfSD_PS3_PT2_iSC_SC_,comdat
	.protected	_Z38paged_attention_ll4mi_QKV_mfma4_kernelI14__hip_bfloat16S0_LN4vllm18Fp8KVCacheDataTypeE0ES0_Li32ELi128ELi256ELb0ELi3EEvPKT_PKT0_S8_ifPKiSA_SA_iPKfiiiPfSD_PS3_PT2_iSC_SC_ ; -- Begin function _Z38paged_attention_ll4mi_QKV_mfma4_kernelI14__hip_bfloat16S0_LN4vllm18Fp8KVCacheDataTypeE0ES0_Li32ELi128ELi256ELb0ELi3EEvPKT_PKT0_S8_ifPKiSA_SA_iPKfiiiPfSD_PS3_PT2_iSC_SC_
	.globl	_Z38paged_attention_ll4mi_QKV_mfma4_kernelI14__hip_bfloat16S0_LN4vllm18Fp8KVCacheDataTypeE0ES0_Li32ELi128ELi256ELb0ELi3EEvPKT_PKT0_S8_ifPKiSA_SA_iPKfiiiPfSD_PS3_PT2_iSC_SC_
	.p2align	8
	.type	_Z38paged_attention_ll4mi_QKV_mfma4_kernelI14__hip_bfloat16S0_LN4vllm18Fp8KVCacheDataTypeE0ES0_Li32ELi128ELi256ELb0ELi3EEvPKT_PKT0_S8_ifPKiSA_SA_iPKfiiiPfSD_PS3_PT2_iSC_SC_,@function
_Z38paged_attention_ll4mi_QKV_mfma4_kernelI14__hip_bfloat16S0_LN4vllm18Fp8KVCacheDataTypeE0ES0_Li32ELi128ELi256ELb0ELi3EEvPKT_PKT0_S8_ifPKiSA_SA_iPKfiiiPfSD_PS3_PT2_iSC_SC_: ; @_Z38paged_attention_ll4mi_QKV_mfma4_kernelI14__hip_bfloat16S0_LN4vllm18Fp8KVCacheDataTypeE0ES0_Li32ELi128ELi256ELb0ELi3EEvPKT_PKT0_S8_ifPKiSA_SA_iPKfiiiPfSD_PS3_PT2_iSC_SC_
; %bb.0:
	s_load_dwordx2 s[16:17], s[0:1], 0x30
	s_mov_b32 s20, s3
	s_mov_b64 s[6:7], 0
	s_waitcnt lgkmcnt(0)
	s_cmp_lg_u64 s[16:17], 0
	s_cselect_b64 s[18:19], -1, 0
	s_and_b64 vcc, exec, s[18:19]
	s_cbranch_vccz .LBB750_10
; %bb.1:
	s_add_i32 s8, s2, 1
	s_mov_b32 s9, 0
	s_lshl_b64 s[10:11], s[8:9], 2
	s_add_u32 s10, s16, s10
	s_mov_b32 s3, s9
	s_addc_u32 s11, s17, s11
	s_lshl_b64 s[8:9], s[2:3], 2
	s_add_u32 s8, s16, s8
	s_addc_u32 s9, s17, s9
	s_load_dword s5, s[10:11], 0x0
	s_load_dword s12, s[8:9], 0x0
	s_waitcnt lgkmcnt(0)
	s_sub_i32 s5, s5, s12
	s_cmp_eq_u32 s5, 1
	s_cselect_b64 s[8:9], -1, 0
	s_andn2_b64 vcc, exec, s[6:7]
	s_cbranch_vccnz .LBB750_3
.LBB750_2:
	s_mov_b32 s3, 0
	s_mov_b64 s[8:9], -1
.LBB750_3:
	s_andn2_b64 vcc, exec, s[8:9]
	s_cbranch_vccnz .LBB750_25
; %bb.4:
	s_load_dword s5, s[0:1], 0x9c
	s_load_dwordx2 s[6:7], s[0:1], 0x28
	s_add_u32 s24, s0, 0x90
	s_addc_u32 s25, s1, 0
	s_lshl_b64 s[28:29], s[2:3], 2
	s_waitcnt lgkmcnt(0)
	s_and_b32 s5, s5, 0xffff
	s_add_u32 s6, s6, s28
	s_addc_u32 s7, s7, s29
	s_load_dword s3, s[6:7], 0x0
	s_mul_i32 s10, s20, s5
	s_waitcnt lgkmcnt(0)
	s_cmp_ge_i32 s10, s3
	s_cbranch_scc1 .LBB750_25
; %bb.5:
	v_and_b32_e32 v1, 0xc0, v0
	v_add_u32_e32 v2, s10, v1
	v_lshrrev_b32_e32 v70, 6, v0
	v_cmp_le_i32_e64 s[6:7], s3, v2
                                        ; implicit-def: $sgpr21
                                        ; implicit-def: $sgpr11
	s_and_saveexec_b64 s[8:9], s[6:7]
	s_xor_b64 s[8:9], exec, s[8:9]
	s_cbranch_execz .LBB750_7
; %bb.6:
	v_mul_u32_u24_e32 v1, 20, v70
	v_or_b32_e32 v1, 0x1400, v1
	v_mov_b32_e32 v2, 0x1450
	v_mov_b32_e32 v3, 0xff7fffff
	v_mad_u32_u24 v2, v70, 20, v2
	ds_write2_b32 v1, v3, v3 offset1:1
	v_mov_b32_e32 v1, 0
	ds_write2_b32 v2, v1, v1 offset1:1
	v_mov_b32_e32 v2, 0x1408
	s_mov_b32 s11, 0xff7fffff
	s_mov_b32 s21, 0
	v_mad_u32_u24 v2, v70, 20, v2
	v_mov_b32_e32 v4, 0x1458
	v_mad_u32_u24 v4, v70, 20, v4
	ds_write2_b32 v2, v3, v3 offset1:1
	ds_write2_b32 v4, v1, v1 offset1:1
                                        ; implicit-def: $vgpr2
.LBB750_7:
	s_or_saveexec_b64 s[26:27], s[8:9]
	s_load_dwordx2 s[22:23], s[0:1], 0x68
	s_load_dwordx4 s[12:15], s[0:1], 0x58
	s_load_dword s5, s[24:25], 0x4
	v_and_b32_e32 v1, 63, v0
	v_and_b32_e32 v71, 3, v0
	v_mov_b32_e32 v67, s21
	v_mov_b32_e32 v72, s11
	;; [unrolled: 1-line block ×5, first 2 shown]
                                        ; implicit-def: $vgpr35
                                        ; implicit-def: $vgpr39
                                        ; implicit-def: $vgpr47
                                        ; implicit-def: $vgpr59
                                        ; implicit-def: $vgpr15
                                        ; implicit-def: $vgpr3
                                        ; implicit-def: $vgpr7
                                        ; implicit-def: $vgpr11
                                        ; implicit-def: $vgpr55
                                        ; implicit-def: $vgpr43
                                        ; implicit-def: $vgpr51
                                        ; implicit-def: $vgpr63
                                        ; implicit-def: $vgpr19
                                        ; implicit-def: $vgpr23
                                        ; implicit-def: $vgpr27
                                        ; implicit-def: $vgpr31
	s_xor_b64 exec, exec, s[26:27]
	s_cbranch_execz .LBB750_17
; %bb.8:
	s_add_i32 s21, s3, 31
	s_load_dwordx2 s[8:9], s[0:1], 0x20
	s_load_dword s11, s[0:1], 0x38
	s_ashr_i32 s30, s21, 31
	s_lshr_b32 s30, s30, 27
	v_add_u32_e32 v72, s10, v0
	s_add_i32 s21, s21, s30
	v_ashrrev_i32_e32 v3, 31, v72
	s_ashr_i32 s21, s21, 5
	v_lshrrev_b32_e32 v3, 27, v3
	s_add_i32 s21, s21, -1
	v_add_u32_e32 v3, v72, v3
	s_waitcnt lgkmcnt(0)
	s_mul_i32 s30, s2, s11
	s_mov_b32 s31, 0
	v_ashrrev_i32_e32 v3, 5, v3
	v_mov_b32_e32 v4, s21
	v_cmp_gt_i32_e32 vcc, s3, v72
	s_lshl_b64 s[30:31], s[30:31], 2
	s_add_u32 s8, s8, s30
	v_cndmask_b32_e32 v4, v4, v3, vcc
	v_ashrrev_i32_e32 v3, 31, v2
	v_lshrrev_b32_e32 v3, 27, v3
	s_addc_u32 s9, s9, s31
	v_ashrrev_i32_e32 v5, 31, v4
	v_add_u32_e32 v2, v2, v3
	v_lshl_add_u64 v[6:7], v[4:5], 2, s[8:9]
	v_ashrrev_i32_e32 v4, 5, v2
	v_min_i32_e32 v2, s21, v4
	v_ashrrev_i32_e32 v3, 31, v2
	v_lshl_add_u64 v[8:9], v[2:3], 2, s[8:9]
	v_add_u32_e32 v2, 1, v4
	v_min_i32_e32 v2, s21, v2
	v_ashrrev_i32_e32 v3, 31, v2
	v_lshl_add_u64 v[10:11], v[2:3], 2, s[8:9]
	global_load_dword v4, v[6:7], off
	global_load_dword v2, v[8:9], off
	;; [unrolled: 1-line block ×3, first 2 shown]
	s_load_dwordx4 s[8:11], s[0:1], 0x8
	s_andn2_b64 vcc, exec, s[18:19]
	s_cbranch_vccnz .LBB750_11
; %bb.9:
	s_add_u32 s16, s16, s28
	s_addc_u32 s17, s17, s29
	s_load_dword s21, s[16:17], 0x0
	s_branch .LBB750_12
.LBB750_10:
	s_mov_b64 s[8:9], 0
	s_branch .LBB750_2
.LBB750_11:
	s_mov_b32 s21, s2
.LBB750_12:
	s_load_dwordx4 s[16:19], s[0:1], 0x48
	v_cmp_ne_u32_e32 vcc, 3, v71
	s_mov_b32 s29, 0
	v_mov_b32_e32 v73, 1.0
	v_mov_b32_e32 v35, 0
	v_mov_b32_e32 v66, 0
	;; [unrolled: 1-line block ×5, first 2 shown]
	s_and_saveexec_b64 s[30:31], vcc
	s_cbranch_execz .LBB750_14
; %bb.13:
	s_load_dwordx2 s[34:35], s[0:1], 0x0
	s_waitcnt lgkmcnt(0)
	s_ashr_i32 s19, s16, 31
	s_mul_hi_u32 s28, s21, s16
	s_mul_i32 s19, s21, s19
	s_add_i32 s37, s28, s19
	s_mul_i32 s36, s21, s16
	s_lshl_b64 s[36:37], s[36:37], 1
	s_add_u32 s16, s34, s36
	s_mul_i32 s28, s4, 0x180
	s_addc_u32 s19, s35, s37
	s_lshl_b64 s[34:35], s[28:29], 1
	v_lshlrev_b32_e32 v5, 2, v1
	s_add_u32 s34, s16, s34
	v_and_b32_e32 v5, 0xf0, v5
	s_addc_u32 s35, s19, s35
	v_lshl_or_b32 v5, v71, 8, v5
	global_load_dwordx4 v[66:69], v5, s[34:35]
	v_mov_b32_e32 v73, 0
.LBB750_14:
	s_or_b64 exec, exec, s[30:31]
	s_waitcnt lgkmcnt(0)
	s_mul_i32 s28, s4, s18
	s_lshl_b64 s[18:19], s[28:29], 1
	s_add_u32 s8, s18, s8
	s_waitcnt vmcnt(2)
	v_mad_i64_i32 v[4:5], s[30:31], v4, s17, 0
	s_addc_u32 s9, s19, s9
	v_lshl_add_u64 v[32:33], v[4:5], 1, s[8:9]
	v_and_b32_e32 v4, 31, v0
	v_lshlrev_b32_e32 v34, 4, v4
	v_lshl_add_u64 v[40:41], v[32:33], 0, v[34:35]
	global_load_dwordx4 v[4:7], v[40:41], off
	global_load_dwordx4 v[8:11], v[40:41], off offset:512
	global_load_dwordx4 v[12:15], v[40:41], off offset:1024
	;; [unrolled: 1-line block ×7, first 2 shown]
	v_mov_b32_e32 v41, v35
	v_or_b32_e32 v40, 0x1000, v34
	v_lshl_add_u64 v[40:41], v[32:33], 0, v[40:41]
	global_load_dwordx4 v[40:43], v[40:41], off
	v_mov_b32_e32 v45, v35
	v_or_b32_e32 v44, 0x1200, v34
	v_lshl_add_u64 v[44:45], v[32:33], 0, v[44:45]
	global_load_dwordx4 v[44:47], v[44:45], off
	v_mov_b32_e32 v49, v35
	v_or_b32_e32 v48, 0x1400, v34
	v_lshl_add_u64 v[48:49], v[32:33], 0, v[48:49]
	global_load_dwordx4 v[48:51], v[48:49], off
	v_mov_b32_e32 v53, v35
	v_or_b32_e32 v52, 0x1600, v34
	v_lshl_add_u64 v[52:53], v[32:33], 0, v[52:53]
	global_load_dwordx4 v[52:55], v[52:53], off
	v_mov_b32_e32 v57, v35
	v_or_b32_e32 v56, 0x1800, v34
	v_lshl_add_u64 v[56:57], v[32:33], 0, v[56:57]
	global_load_dwordx4 v[56:59], v[56:57], off
	v_mov_b32_e32 v61, v35
	v_or_b32_e32 v60, 0x1a00, v34
	v_lshl_add_u64 v[60:61], v[32:33], 0, v[60:61]
	global_load_dwordx4 v[60:63], v[60:61], off
	v_or_b32_e32 v34, 0x1c00, v34
	v_lshl_add_u64 v[64:65], v[32:33], 0, v[34:35]
	global_load_dwordx4 v[74:77], v[64:65], off
	v_mov_b32_e32 v78, 0x1e00
	v_lshl_or_b32 v34, v0, 4, v78
	v_lshl_add_u64 v[32:33], v[32:33], 0, v[34:35]
	global_load_dwordx4 v[78:81], v[32:33], off
	s_waitcnt vmcnt(16)
	v_mul_hi_i32 v32, v3, s17
	v_mul_hi_i32 v64, v2, s17
	v_mov_b32_e32 v33, v35
	v_mov_b32_e32 v65, v35
	s_load_dword s0, s[0:1], 0x1c
	v_cmp_eq_u32_e32 vcc, 0, v71
	v_and_b32_e32 v87, -4, v72
	v_or_b32_e32 v72, 3, v72
	v_cndmask_b32_e64 v84, 0, 1.0, vcc
	v_cmp_eq_u32_e32 vcc, 1, v71
	v_lshlrev_b32_e32 v88, 2, v0
	s_waitcnt vmcnt(15)
	v_mfma_f32_4x4x4_16b_bf16 a[0:3], v[66:67], v[4:5], 0 cbsz:4
	v_ashrrev_i32_e32 v4, 31, v32
	s_nop 0
	v_mfma_f32_4x4x4_16b_bf16 a[0:3], v[68:69], v[6:7], a[0:3] cbsz:4
	v_lshrrev_b32_e32 v32, 29, v4
	v_ashrrev_i32_e32 v6, 31, v64
	s_waitcnt vmcnt(14)
	v_mfma_f32_4x4x4_16b_bf16 a[0:3], v[66:67], v[8:9], a[0:3] cbsz:4 abid:1
	v_mad_i64_i32 v[4:5], s[8:9], v3, s17, v[32:33]
	s_nop 0
	v_mfma_f32_4x4x4_16b_bf16 a[0:3], v[68:69], v[10:11], a[0:3] cbsz:4 abid:1
	s_add_u32 s8, s10, s18
	v_lshrrev_b32_e32 v34, 29, v6
	s_waitcnt vmcnt(13)
	v_mfma_f32_4x4x4_16b_bf16 a[0:3], v[66:67], v[12:13], a[0:3] cbsz:4 abid:2
	s_addc_u32 s9, s11, s19
	v_mad_i64_i32 v[2:3], s[10:11], v2, s17, v[34:35]
	v_mfma_f32_4x4x4_16b_bf16 a[0:3], v[68:69], v[14:15], a[0:3] cbsz:4 abid:2
	v_lshlrev_b64 v[4:5], 1, v[4:5]
	v_and_b32_e32 v4, -16, v4
	s_waitcnt vmcnt(12)
	v_mfma_f32_4x4x4_16b_bf16 a[0:3], v[66:67], v[16:17], a[0:3] cbsz:4 abid:3
	v_lshlrev_b32_e32 v34, 6, v1
	v_or_b32_e32 v64, 0x1000, v34
	v_mfma_f32_4x4x4_16b_bf16 a[0:3], v[68:69], v[18:19], a[0:3] cbsz:4 abid:3
	v_lshl_add_u64 v[18:19], s[8:9], 0, v[4:5]
	v_cndmask_b32_e64 v85, 0, 1.0, vcc
	s_waitcnt vmcnt(11)
	v_mfma_f32_4x4x4_16b_bf16 a[0:3], v[66:67], v[20:21], a[0:3] cbsz:4 abid:4
	v_lshlrev_b64 v[20:21], 1, v[2:3]
	v_and_b32_e32 v20, -16, v20
	v_mfma_f32_4x4x4_16b_bf16 a[0:3], v[68:69], v[22:23], a[0:3] cbsz:4 abid:4
	v_lshl_add_u64 v[22:23], v[18:19], 0, v[34:35]
	global_load_dwordx4 v[14:17], v[22:23], off
	global_load_dwordx4 v[2:5], v[22:23], off offset:16
	s_waitcnt vmcnt(12)
	v_mfma_f32_4x4x4_16b_bf16 a[0:3], v[66:67], v[24:25], a[0:3] cbsz:4 abid:5
	global_load_dwordx4 v[6:9], v[22:23], off offset:32
	global_load_dwordx4 v[10:13], v[22:23], off offset:48
	v_mfma_f32_4x4x4_16b_bf16 a[0:3], v[68:69], v[26:27], a[0:3] cbsz:4 abid:5
	v_cmp_eq_u32_e32 vcc, 2, v71
	v_cmp_gt_i32_e64 s[10:11], s3, v72
	s_waitcnt vmcnt(13)
	v_mfma_f32_4x4x4_16b_bf16 a[0:3], v[66:67], v[28:29], a[0:3] cbsz:4 abid:6
	v_cndmask_b32_e64 v86, 0, 1.0, vcc
	v_cmp_gt_i32_e32 vcc, s3, v87
	v_mfma_f32_4x4x4_16b_bf16 a[0:3], v[68:69], v[30:31], a[0:3] cbsz:4 abid:6
	s_waitcnt vmcnt(12)
	s_nop 0
	v_mfma_f32_4x4x4_16b_bf16 a[0:3], v[66:67], v[36:37], a[0:3] cbsz:4 abid:7
	v_lshl_add_u64 v[36:37], v[18:19], 0, v[64:65]
	s_nop 0
	v_mfma_f32_4x4x4_16b_bf16 a[0:3], v[68:69], v[38:39], a[0:3] cbsz:4 abid:7
	v_lshl_add_u64 v[38:39], s[8:9], 0, v[20:21]
	v_lshl_add_u64 v[82:83], v[38:39], 0, v[64:65]
	s_waitcnt vmcnt(11)
	v_mfma_f32_4x4x4_16b_bf16 a[0:3], v[66:67], v[40:41], a[0:3] cbsz:4 abid:8
	global_load_dwordx4 v[18:21], v[36:37], off
	global_load_dwordx4 v[22:25], v[36:37], off offset:16
	v_mfma_f32_4x4x4_16b_bf16 a[0:3], v[68:69], v[42:43], a[0:3] cbsz:4 abid:8
	v_lshl_add_u64 v[42:43], v[38:39], 0, v[34:35]
	global_load_dwordx4 v[26:29], v[36:37], off offset:32
	global_load_dwordx4 v[30:33], v[36:37], off offset:48
	s_waitcnt vmcnt(14)
	v_mfma_f32_4x4x4_16b_bf16 a[0:3], v[66:67], v[44:45], a[0:3] cbsz:4 abid:9
	global_load_dwordx4 v[34:37], v[42:43], off
	global_load_dwordx4 v[38:41], v[42:43], off offset:16
	v_mfma_f32_4x4x4_16b_bf16 a[0:3], v[68:69], v[46:47], a[0:3] cbsz:4 abid:9
	s_waitcnt vmcnt(15)
	s_nop 0
	v_mfma_f32_4x4x4_16b_bf16 a[0:3], v[66:67], v[48:49], a[0:3] cbsz:4 abid:10
	s_nop 1
	v_mfma_f32_4x4x4_16b_bf16 a[0:3], v[68:69], v[50:51], a[0:3] cbsz:4 abid:10
	s_waitcnt vmcnt(14)
	s_nop 0
	v_mfma_f32_4x4x4_16b_bf16 a[0:3], v[66:67], v[52:53], a[0:3] cbsz:4 abid:11
	s_nop 1
	;; [unrolled: 5-line block ×3, first 2 shown]
	v_mfma_f32_4x4x4_16b_bf16 a[0:3], v[68:69], v[58:59], a[0:3] cbsz:4 abid:12
	s_waitcnt vmcnt(12)
	s_nop 0
	v_mfma_f32_4x4x4_16b_bf16 a[0:3], v[66:67], v[60:61], a[0:3] cbsz:4 abid:13
	global_load_dwordx4 v[46:49], v[42:43], off offset:32
	global_load_dwordx4 v[58:61], v[42:43], off offset:48
	v_mfma_f32_4x4x4_16b_bf16 a[0:3], v[68:69], v[62:63], a[0:3] cbsz:4 abid:13
	global_load_dwordx4 v[54:57], v[82:83], off
	global_load_dwordx4 v[42:45], v[82:83], off offset:16
	global_load_dwordx4 v[50:53], v[82:83], off offset:32
	;; [unrolled: 1-line block ×3, first 2 shown]
	s_waitcnt vmcnt(17)
	v_mfma_f32_4x4x4_16b_bf16 a[0:3], v[66:67], v[74:75], a[0:3] cbsz:4 abid:14
	v_mov_b32_e32 v74, 0xff7fffff
	v_and_or_b32 v75, v88, 48, v71
	v_mfma_f32_4x4x4_16b_bf16 a[0:3], v[68:69], v[76:77], a[0:3] cbsz:4 abid:14
	v_lshlrev_b32_e32 v75, 2, v75
	s_waitcnt vmcnt(16)
	v_mfma_f32_4x4x4_16b_bf16 a[0:3], v[66:67], v[78:79], a[0:3] cbsz:4 abid:15
	s_nop 1
	v_mfma_f32_4x4x4_16b_bf16 a[0:3], v[68:69], v[80:81], a[0:3] cbsz:4 abid:15
	s_nop 4
	v_accvgpr_read_b32 v67, a1
	v_accvgpr_read_b32 v66, a0
	s_waitcnt lgkmcnt(0)
	v_pk_mul_f32 v[66:67], s[0:1], v[66:67] op_sel_hi:[0,1]
	v_accvgpr_read_b32 v69, a3
	v_accvgpr_read_b32 v68, a2
	v_pk_mul_f32 v[68:69], s[0:1], v[68:69] op_sel_hi:[0,1]
	v_mfma_f32_4x4x1_16b_f32 a[0:3], v66, v84, 0
	v_or_b32_e32 v66, 1, v87
	s_nop 0
	v_mfma_f32_4x4x1_16b_f32 a[0:3], v67, v85, a[0:3]
	v_cmp_gt_i32_e64 s[0:1], s3, v66
	v_or_b32_e32 v67, 2, v87
	v_mfma_f32_4x4x1_16b_f32 a[0:3], v68, v86, a[0:3]
	v_cmp_gt_i32_e64 s[8:9], s3, v67
	s_nop 0
	v_mfma_f32_4x4x1_16b_f32 a[0:3], v69, v73, a[0:3]
	s_nop 3
	v_accvgpr_read_b32 v68, a0
	v_max_f32_e32 v77, v68, v68
	v_accvgpr_read_b32 v69, a1
	v_max_f32_e32 v77, 0xff7fffff, v77
	v_max_f32_e32 v78, v69, v69
	v_cndmask_b32_e32 v74, v74, v77, vcc
	v_accvgpr_read_b32 v73, a2
	v_max_f32_e32 v77, v74, v78
	v_max_f32_e32 v79, v73, v73
	v_cndmask_b32_e64 v66, v74, v77, s[0:1]
	v_accvgpr_read_b32 v76, a3
	v_max_f32_e32 v74, v66, v79
	v_max_f32_e32 v80, v76, v76
	v_cndmask_b32_e64 v66, v66, v74, s[8:9]
	v_max_f32_e32 v67, v66, v80
	v_cndmask_b32_e64 v66, v66, v67, s[10:11]
	;;#ASMSTART
	v_nop
 v_nop
 v_max_f32_dpp v66, v66, v66 row_ror:4
	;;#ASMEND
	s_nop 0
	;;#ASMSTART
	v_nop
 v_nop
 v_max_f32_dpp v66, v66, v66 row_ror:8
	;;#ASMEND
	ds_bpermute_b32 v66, v75, v66
	s_waitcnt lgkmcnt(0)
	;;#ASMSTART
	v_nop
 v_nop
 v_max_f32_dpp v66, v66, v66 row_ror:4
	;;#ASMEND
	s_nop 0
	;;#ASMSTART
	v_nop
 v_nop
 v_max_f32_dpp v72, v66, v66 row_ror:8
	;;#ASMEND
	s_nop 0
	v_sub_f32_e32 v66, v68, v72
	v_sub_f32_e32 v67, v69, v72
	;; [unrolled: 1-line block ×3, first 2 shown]
	v_mul_f32_e32 v66, 0x3fb8aa3b, v66
	v_mul_f32_e32 v67, 0x3fb8aa3b, v67
	;; [unrolled: 1-line block ×3, first 2 shown]
	v_exp_f32_e32 v66, v66
	v_sub_f32_e32 v69, v76, v72
	v_exp_f32_e32 v67, v67
	v_exp_f32_e32 v73, v68
	v_mul_f32_e32 v69, 0x3fb8aa3b, v69
	v_exp_f32_e32 v74, v69
	v_cndmask_b32_e32 v68, 0, v66, vcc
	v_cndmask_b32_e64 v69, 0, v67, s[0:1]
	v_cndmask_b32_e64 v66, 0, v73, s[8:9]
	v_add_f32_e32 v73, 0, v68
	v_add_f32_e32 v73, v73, v69
	v_cndmask_b32_e64 v67, 0, v74, s[10:11]
	v_add_f32_e32 v73, v73, v66
	v_add_f32_e32 v73, v73, v67
	;;#ASMSTART
	v_nop
 v_nop
 v_add_f32_dpp v73, v73, v73 row_ror:4
	;;#ASMEND
	v_cmp_gt_u32_e32 vcc, 4, v1
	;;#ASMSTART
	v_nop
 v_nop
 v_add_f32_dpp v73, v73, v73 row_ror:8
	;;#ASMEND
	ds_bpermute_b32 v73, v75, v73
	s_waitcnt lgkmcnt(0)
	;;#ASMSTART
	v_nop
 v_nop
 v_add_f32_dpp v73, v73, v73 row_ror:4
	;;#ASMEND
	s_nop 0
	;;#ASMSTART
	v_nop
 v_nop
 v_add_f32_dpp v73, v73, v73 row_ror:8
	;;#ASMEND
	s_and_saveexec_b64 s[0:1], vcc
	s_cbranch_execz .LBB750_16
; %bb.15:
	v_mul_u32_u24_e32 v74, 20, v70
	v_lshl_add_u32 v74, v71, 2, v74
	v_add_u32_e32 v74, 0x1400, v74
	ds_write2_b32 v74, v72, v73 offset1:20
.LBB750_16:
	s_or_b64 exec, exec, s[0:1]
.LBB750_17:
	s_or_b64 exec, exec, s[26:27]
	s_waitcnt lgkmcnt(0)
	s_barrier
	s_load_dword s0, s[24:25], 0x8
	v_lshlrev_b32_e32 v73, 2, v71
	v_add_u32_e32 v73, 0x1400, v73
	ds_read2_b32 v[76:77], v73 offset1:5
	ds_read2_b32 v[78:79], v73 offset0:10 offset1:15
	s_mul_i32 s1, s2, s5
	s_waitcnt lgkmcnt(0)
	s_mul_i32 s0, s1, s0
	s_mov_b32 s1, 0xff7fffff
	v_max3_f32 v74, v76, s1, v77
	v_max3_f32 v74, v74, v78, v79
	v_sub_f32_e32 v75, v76, v74
	v_sub_f32_e32 v76, v77, v74
	ds_read2_b32 v[80:81], v73 offset0:20 offset1:25
	v_mul_f32_e32 v75, 0x3fb8aa3b, v75
	v_mul_f32_e32 v76, 0x3fb8aa3b, v76
	v_exp_f32_e32 v75, v75
	v_exp_f32_e32 v82, v76
	ds_read2_b32 v[76:77], v73 offset0:30 offset1:35
	v_sub_f32_e32 v73, v78, v74
	v_mul_f32_e32 v73, 0x3fb8aa3b, v73
	v_sub_f32_e32 v78, v79, v74
	v_exp_f32_e32 v73, v73
	v_mul_f32_e32 v78, 0x3fb8aa3b, v78
	v_exp_f32_e32 v78, v78
	s_waitcnt lgkmcnt(1)
	v_fma_f32 v75, v75, v80, 0
	v_fmac_f32_e32 v75, v82, v81
	s_waitcnt lgkmcnt(0)
	v_fmac_f32_e32 v75, v73, v76
	s_mul_i32 s4, s4, 3
	s_mul_i32 s0, s0, 3
	v_fmac_f32_e32 v75, v78, v77
	v_cmp_ne_u32_e32 vcc, 3, v71
	s_and_saveexec_b64 s[2:3], vcc
	s_cbranch_execz .LBB750_19
; %bb.18:
	s_mov_b32 s1, 0
	s_lshl_b64 s[8:9], s[0:1], 2
	s_add_u32 s12, s12, s8
	s_mov_b32 s21, s1
	s_addc_u32 s13, s13, s9
	s_lshl_b64 s[10:11], s[20:21], 2
	s_add_u32 s12, s12, s10
	s_addc_u32 s13, s13, s11
	s_add_u32 s1, s14, s8
	s_addc_u32 s9, s15, s9
	v_add_u32_e32 v71, s4, v71
	s_add_u32 s8, s1, s10
	v_mul_lo_u32 v76, s5, v71
	v_mov_b32_e32 v77, 0
	s_addc_u32 s9, s9, s11
	v_lshlrev_b64 v[76:77], 2, v[76:77]
	v_lshl_add_u64 v[78:79], s[12:13], 0, v[76:77]
	v_lshl_add_u64 v[76:77], s[8:9], 0, v[76:77]
	global_store_dword v[76:77], v74, off
	global_store_dword v[78:79], v75, off
.LBB750_19:
	s_or_b64 exec, exec, s[2:3]
	v_lshlrev_b32_e32 v73, 3, v70
                                        ; implicit-def: $sgpr1
	s_and_saveexec_b64 s[2:3], s[6:7]
	s_xor_b64 s[2:3], exec, s[2:3]
	s_cbranch_execz .LBB750_21
; %bb.20:
	s_waitcnt vmcnt(14)
	v_mov_b32_e32 v2, 0
	v_mad_u32_u24 v4, v1, 40, v73
	s_mov_b32 s1, 0
	v_mov_b32_e32 v3, v2
	ds_write_b64 v4, v[2:3]
                                        ; implicit-def: $vgpr67
                                        ; implicit-def: $vgpr69
                                        ; implicit-def: $vgpr35
                                        ; implicit-def: $vgpr39
                                        ; implicit-def: $vgpr47
                                        ; implicit-def: $vgpr59
                                        ; implicit-def: $vgpr15
                                        ; implicit-def: $vgpr3
                                        ; implicit-def: $vgpr7
                                        ; implicit-def: $vgpr11
                                        ; implicit-def: $vgpr55
                                        ; implicit-def: $vgpr43
                                        ; implicit-def: $vgpr51
                                        ; implicit-def: $vgpr63
                                        ; implicit-def: $vgpr19
                                        ; implicit-def: $vgpr23
                                        ; implicit-def: $vgpr27
                                        ; implicit-def: $vgpr31
                                        ; implicit-def: $vgpr72
                                        ; implicit-def: $vgpr74
                                        ; implicit-def: $vgpr75
.LBB750_21:
	s_or_saveexec_b64 s[2:3], s[2:3]
	v_mov_b32_e32 v70, s1
	v_mov_b32_e32 v71, s1
	s_xor_b64 exec, exec, s[2:3]
	s_cbranch_execz .LBB750_23
; %bb.22:
	v_add_f32_e32 v70, 0x358637bd, v75
	v_div_scale_f32 v71, s[6:7], v70, v70, 1.0
	v_rcp_f32_e32 v75, v71
	v_sub_f32_e32 v72, v72, v74
	v_mul_f32_e32 v72, 0x3fb8aa3b, v72
	v_exp_f32_e32 v72, v72
	v_fma_f32 v74, -v71, v75, 1.0
	v_fmac_f32_e32 v75, v74, v75
	v_div_scale_f32 v74, vcc, 1.0, v70, 1.0
	v_mul_f32_e32 v76, v74, v75
	v_fma_f32 v77, -v71, v76, v74
	v_fmac_f32_e32 v76, v77, v75
	v_fma_f32 v71, -v71, v76, v74
	v_div_fmas_f32 v71, v71, v75, v76
	v_div_fixup_f32 v70, v71, v70, 1.0
	v_mul_f32_e32 v70, v72, v70
	v_pk_mul_f32 v[68:69], v[68:69], v[70:71] op_sel_hi:[1,0]
	v_pk_mul_f32 v[66:67], v[66:67], v[70:71] op_sel_hi:[1,0]
	v_bfe_u32 v70, v69, 16, 1
	v_bfe_u32 v71, v68, 16, 1
	s_movk_i32 s1, 0x7fff
	v_add3_u32 v68, v68, v71, s1
	v_add3_u32 v69, v69, v70, s1
	s_mov_b32 s6, 0x7060302
	v_perm_b32 v68, v69, v68, s6
	v_bfe_u32 v69, v67, 16, 1
	v_bfe_u32 v70, v66, 16, 1
	v_add3_u32 v66, v66, v70, s1
	v_add3_u32 v67, v67, v69, s1
	v_perm_b32 v69, v67, v66, s6
	s_waitcnt vmcnt(7)
	s_nop 0
	v_mfma_f32_4x4x4_16b_bf16 a[0:3], v[68:69], v[34:35], 0 cbsz:4
	s_nop 1
	v_mfma_f32_4x4x4_16b_bf16 a[0:3], v[68:69], v[36:37], a[0:3] cbsz:4 abid:1
	s_waitcnt vmcnt(3)
	v_mfma_f32_4x4x4_16b_bf16 a[4:7], v[68:69], v[54:55], 0 cbsz:4
	v_mfma_f32_4x4x4_16b_bf16 a[0:3], v[68:69], v[38:39], a[0:3] cbsz:4 abid:2
	s_nop 0
	v_mfma_f32_4x4x4_16b_bf16 a[4:7], v[68:69], v[56:57], a[4:7] cbsz:4 abid:1
	v_mfma_f32_4x4x4_16b_bf16 a[0:3], v[68:69], v[40:41], a[0:3] cbsz:4 abid:3
	s_waitcnt vmcnt(2)
	v_mfma_f32_4x4x4_16b_bf16 a[4:7], v[68:69], v[42:43], a[4:7] cbsz:4 abid:2
	v_mfma_f32_4x4x4_16b_bf16 a[0:3], v[68:69], v[46:47], a[0:3] cbsz:4 abid:4
	s_nop 1
	v_mfma_f32_4x4x4_16b_bf16 a[0:3], v[68:69], v[48:49], a[0:3] cbsz:4 abid:5
	s_nop 1
	;; [unrolled: 2-line block ×12, first 2 shown]
	v_accvgpr_read_b32 v3, a2
	v_accvgpr_read_b32 v4, a3
	;; [unrolled: 1-line block ×4, first 2 shown]
	v_mfma_f32_4x4x4_16b_bf16 a[0:3], v[68:69], v[44:45], a[4:7] cbsz:4 abid:3
	v_bfe_u32 v6, v5, 16, 1
	v_bfe_u32 v7, v2, 16, 1
	s_waitcnt vmcnt(1)
	v_mfma_f32_4x4x4_16b_bf16 a[0:3], v[68:69], v[50:51], a[0:3] cbsz:4 abid:4
	v_add3_u32 v2, v2, v7, s1
	v_add3_u32 v5, v5, v6, s1
	v_mfma_f32_4x4x4_16b_bf16 a[0:3], v[68:69], v[52:53], a[0:3] cbsz:4 abid:5
	v_perm_b32 v2, v5, v2, s6
	v_bfe_u32 v5, v4, 16, 1
	s_waitcnt vmcnt(0)
	v_mfma_f32_4x4x4_16b_bf16 a[0:3], v[68:69], v[62:63], a[0:3] cbsz:4 abid:6
	v_bfe_u32 v6, v3, 16, 1
	v_add3_u32 v3, v3, v6, s1
	v_mfma_f32_4x4x4_16b_bf16 a[0:3], v[68:69], v[64:65], a[0:3] cbsz:4 abid:7
	v_add3_u32 v4, v4, v5, s1
	v_perm_b32 v3, v4, v3, s6
	v_mfma_f32_4x4x4_16b_bf16 a[0:3], v[68:69], v[18:19], a[0:3] cbsz:4 abid:8
	v_mad_u32_u24 v4, v1, 40, v73
	ds_write_b64 v4, v[2:3]
	v_mfma_f32_4x4x4_16b_bf16 a[0:3], v[68:69], v[20:21], a[0:3] cbsz:4 abid:9
	s_nop 1
	v_mfma_f32_4x4x4_16b_bf16 a[0:3], v[68:69], v[22:23], a[0:3] cbsz:4 abid:10
	s_nop 1
	;; [unrolled: 2-line block ×7, first 2 shown]
	v_accvgpr_read_b32 v4, a0
	v_accvgpr_read_b32 v5, a1
	;; [unrolled: 1-line block ×4, first 2 shown]
	v_bfe_u32 v6, v5, 16, 1
	v_bfe_u32 v7, v4, 16, 1
	v_add3_u32 v4, v4, v7, s1
	v_add3_u32 v5, v5, v6, s1
	v_bfe_u32 v6, v3, 16, 1
	v_bfe_u32 v7, v2, 16, 1
	v_add3_u32 v2, v2, v7, s1
	v_add3_u32 v3, v3, v6, s1
	v_perm_b32 v71, v3, v2, s6
	v_perm_b32 v70, v5, v4, s6
.LBB750_23:
	s_or_b64 exec, exec, s[2:3]
	s_waitcnt vmcnt(14)
	v_mad_u32_u24 v2, v1, 40, v73
	v_cmp_gt_u32_e32 vcc, 64, v0
	ds_write_b64 v2, v[70:71] offset:2560
	s_waitcnt lgkmcnt(0)
	s_barrier
	s_and_saveexec_b64 s[2:3], vcc
	s_cbranch_execz .LBB750_25
; %bb.24:
	s_waitcnt vmcnt(13)
	v_mul_u32_u24_e32 v6, 40, v1
	ds_read2_b64 v[2:5], v6 offset1:1
	ds_read2_b64 v[6:9], v6 offset0:2 offset1:3
	s_mov_b32 s1, 0
	s_lshl_b32 s0, s0, 7
	s_lshl_b64 s[2:3], s[0:1], 1
	s_waitcnt vmcnt(12) lgkmcnt(1)
	v_and_b32_e32 v10, 0xffff0000, v2
	v_lshlrev_b32_e32 v3, 16, v3
	v_add_f32_e32 v10, 0, v10
	v_add_f32_e32 v3, 0, v3
	v_and_b32_e32 v10, 0xffff0000, v10
	v_and_b32_e32 v11, 0xffff0000, v4
	;; [unrolled: 1-line block ×3, first 2 shown]
	v_add_f32_e32 v10, v10, v11
	v_lshlrev_b32_e32 v5, 16, v5
	v_and_b32_e32 v10, 0xffff0000, v10
	v_add_f32_e32 v3, v3, v5
	s_waitcnt lgkmcnt(0)
	v_and_b32_e32 v5, 0xffff0000, v6
	v_and_b32_e32 v3, 0xffff0000, v3
	v_add_f32_e32 v5, v10, v5
	v_lshlrev_b32_e32 v7, 16, v7
	v_and_b32_e32 v5, 0xffff0000, v5
	v_add_f32_e32 v3, v3, v7
	v_and_b32_e32 v7, 0xffff0000, v8
	s_waitcnt vmcnt(11)
	v_add_f32_e32 v18, v5, v7
	v_mov_b32_e32 v7, 0xa00
	v_mad_u32_u24 v7, v1, 40, v7
	ds_read2_b64 v[10:13], v7 offset1:1
	v_and_b32_e32 v3, 0xffff0000, v3
	v_lshlrev_b32_e32 v5, 16, v9
	v_add_f32_e32 v9, v3, v5
	v_mov_b32_e32 v3, 0xa10
	v_mad_u32_u24 v1, v1, 40, v3
	ds_read2_b64 v[14:17], v1 offset1:1
	s_waitcnt lgkmcnt(1)
	v_lshlrev_b32_e32 v1, 16, v10
	v_add_f32_e32 v1, 0, v1
	v_and_b32_e32 v3, 0xffff0000, v10
	v_and_b32_e32 v1, 0xffff0000, v1
	v_add_f32_e32 v3, 0, v3
	v_lshlrev_b32_e32 v5, 16, v11
	v_lshlrev_b32_e32 v7, 16, v12
	v_and_b32_e32 v3, 0xffff0000, v3
	v_add_f32_e32 v5, 0, v5
	v_add_f32_e32 v1, v1, v7
	v_and_b32_e32 v7, 0xffff0000, v12
	v_and_b32_e32 v5, 0xffff0000, v5
	v_add_f32_e32 v3, v3, v7
	v_lshlrev_b32_e32 v7, 16, v13
	v_and_b32_e32 v1, 0xffff0000, v1
	v_add_f32_e32 v5, v5, v7
	s_waitcnt lgkmcnt(0)
	v_lshlrev_b32_e32 v7, 16, v14
	v_and_b32_e32 v3, 0xffff0000, v3
	v_add_f32_e32 v1, v1, v7
	v_and_b32_e32 v7, 0xffff0000, v14
	v_and_b32_e32 v5, 0xffff0000, v5
	v_add_f32_e32 v3, v3, v7
	v_lshlrev_b32_e32 v7, 16, v15
	v_and_b32_e32 v1, 0xffff0000, v1
	v_add_f32_e32 v5, v5, v7
	v_lshlrev_b32_e32 v7, 16, v16
	v_and_b32_e32 v3, 0xffff0000, v3
	v_add_f32_e32 v10, v1, v7
	v_and_b32_e32 v1, 0xffff0000, v16
	v_and_b32_e32 v5, 0xffff0000, v5
	v_add_f32_e32 v11, v3, v1
	v_lshlrev_b32_e32 v1, 16, v17
	v_add_f32_e32 v12, v5, v1
	v_lshlrev_b32_e32 v1, 16, v2
	s_add_u32 s2, s22, s2
	v_add_f32_e32 v1, 0, v1
	s_addc_u32 s3, s23, s3
	s_lshl_b32 s0, s20, 7
	v_and_b32_e32 v1, 0xffff0000, v1
	v_lshlrev_b32_e32 v2, 16, v4
	s_lshl_b64 s[0:1], s[0:1], 1
	v_add_f32_e32 v1, v1, v2
	s_add_u32 s0, s2, s0
	v_and_b32_e32 v1, 0xffff0000, v1
	v_lshlrev_b32_e32 v2, 16, v6
	s_addc_u32 s1, s3, s1
	s_lshl_b32 s2, s5, 7
	v_add_f32_e32 v1, v1, v2
	v_and_b32_e32 v1, 0xffff0000, v1
	v_lshlrev_b32_e32 v2, 16, v8
	s_mul_i32 s3, s2, s4
	v_add_f32_e32 v1, v1, v2
	v_or_b32_e32 v2, s3, v0
	v_mov_b32_e32 v3, 0
	s_add_i32 s3, s3, s2
	v_lshl_add_u64 v[4:5], v[2:3], 1, s[0:1]
	v_or_b32_e32 v2, s3, v0
	s_add_i32 s3, s3, s2
	v_lshl_add_u64 v[6:7], v[2:3], 1, s[0:1]
	v_or_b32_e32 v2, s3, v0
	global_store_short_d16_hi v[4:5], v1, off
	v_lshl_add_u64 v[0:1], v[2:3], 1, s[0:1]
	global_store_short_d16_hi v[6:7], v18, off
	global_store_short_d16_hi v[0:1], v9, off
	global_store_short_d16_hi v[4:5], v10, off offset:128
	global_store_short_d16_hi v[6:7], v11, off offset:128
	;; [unrolled: 1-line block ×3, first 2 shown]
.LBB750_25:
	s_endpgm
	.section	.rodata,"a",@progbits
	.p2align	6, 0x0
	.amdhsa_kernel _Z38paged_attention_ll4mi_QKV_mfma4_kernelI14__hip_bfloat16S0_LN4vllm18Fp8KVCacheDataTypeE0ES0_Li32ELi128ELi256ELb0ELi3EEvPKT_PKT0_S8_ifPKiSA_SA_iPKfiiiPfSD_PS3_PT2_iSC_SC_
		.amdhsa_group_segment_fixed_size 5280
		.amdhsa_private_segment_fixed_size 0
		.amdhsa_kernarg_size 400
		.amdhsa_user_sgpr_count 2
		.amdhsa_user_sgpr_dispatch_ptr 0
		.amdhsa_user_sgpr_queue_ptr 0
		.amdhsa_user_sgpr_kernarg_segment_ptr 1
		.amdhsa_user_sgpr_dispatch_id 0
		.amdhsa_user_sgpr_kernarg_preload_length 0
		.amdhsa_user_sgpr_kernarg_preload_offset 0
		.amdhsa_user_sgpr_private_segment_size 0
		.amdhsa_uses_dynamic_stack 0
		.amdhsa_enable_private_segment 0
		.amdhsa_system_sgpr_workgroup_id_x 1
		.amdhsa_system_sgpr_workgroup_id_y 1
		.amdhsa_system_sgpr_workgroup_id_z 1
		.amdhsa_system_sgpr_workgroup_info 0
		.amdhsa_system_vgpr_workitem_id 0
		.amdhsa_next_free_vgpr 100
		.amdhsa_next_free_sgpr 38
		.amdhsa_accum_offset 92
		.amdhsa_reserve_vcc 1
		.amdhsa_float_round_mode_32 0
		.amdhsa_float_round_mode_16_64 0
		.amdhsa_float_denorm_mode_32 3
		.amdhsa_float_denorm_mode_16_64 3
		.amdhsa_dx10_clamp 1
		.amdhsa_ieee_mode 1
		.amdhsa_fp16_overflow 0
		.amdhsa_tg_split 0
		.amdhsa_exception_fp_ieee_invalid_op 0
		.amdhsa_exception_fp_denorm_src 0
		.amdhsa_exception_fp_ieee_div_zero 0
		.amdhsa_exception_fp_ieee_overflow 0
		.amdhsa_exception_fp_ieee_underflow 0
		.amdhsa_exception_fp_ieee_inexact 0
		.amdhsa_exception_int_div_zero 0
	.end_amdhsa_kernel
	.section	.text._Z38paged_attention_ll4mi_QKV_mfma4_kernelI14__hip_bfloat16S0_LN4vllm18Fp8KVCacheDataTypeE0ES0_Li32ELi128ELi256ELb0ELi3EEvPKT_PKT0_S8_ifPKiSA_SA_iPKfiiiPfSD_PS3_PT2_iSC_SC_,"axG",@progbits,_Z38paged_attention_ll4mi_QKV_mfma4_kernelI14__hip_bfloat16S0_LN4vllm18Fp8KVCacheDataTypeE0ES0_Li32ELi128ELi256ELb0ELi3EEvPKT_PKT0_S8_ifPKiSA_SA_iPKfiiiPfSD_PS3_PT2_iSC_SC_,comdat
.Lfunc_end750:
	.size	_Z38paged_attention_ll4mi_QKV_mfma4_kernelI14__hip_bfloat16S0_LN4vllm18Fp8KVCacheDataTypeE0ES0_Li32ELi128ELi256ELb0ELi3EEvPKT_PKT0_S8_ifPKiSA_SA_iPKfiiiPfSD_PS3_PT2_iSC_SC_, .Lfunc_end750-_Z38paged_attention_ll4mi_QKV_mfma4_kernelI14__hip_bfloat16S0_LN4vllm18Fp8KVCacheDataTypeE0ES0_Li32ELi128ELi256ELb0ELi3EEvPKT_PKT0_S8_ifPKiSA_SA_iPKfiiiPfSD_PS3_PT2_iSC_SC_
                                        ; -- End function
	.section	.AMDGPU.csdata,"",@progbits
; Kernel info:
; codeLenInByte = 4332
; NumSgprs: 44
; NumVgprs: 89
; NumAgprs: 8
; TotalNumVgprs: 100
; ScratchSize: 0
; MemoryBound: 0
; FloatMode: 240
; IeeeMode: 1
; LDSByteSize: 5280 bytes/workgroup (compile time only)
; SGPRBlocks: 5
; VGPRBlocks: 12
; NumSGPRsForWavesPerEU: 44
; NumVGPRsForWavesPerEU: 100
; AccumOffset: 92
; Occupancy: 4
; WaveLimiterHint : 1
; COMPUTE_PGM_RSRC2:SCRATCH_EN: 0
; COMPUTE_PGM_RSRC2:USER_SGPR: 2
; COMPUTE_PGM_RSRC2:TRAP_HANDLER: 0
; COMPUTE_PGM_RSRC2:TGID_X_EN: 1
; COMPUTE_PGM_RSRC2:TGID_Y_EN: 1
; COMPUTE_PGM_RSRC2:TGID_Z_EN: 1
; COMPUTE_PGM_RSRC2:TIDIG_COMP_CNT: 0
; COMPUTE_PGM_RSRC3_GFX90A:ACCUM_OFFSET: 22
; COMPUTE_PGM_RSRC3_GFX90A:TG_SPLIT: 0
	.section	.text._Z38paged_attention_ll4mi_QKV_mfma4_kernelI14__hip_bfloat16S0_LN4vllm18Fp8KVCacheDataTypeE0ES0_Li32ELi128ELi256ELb0ELi4EEvPKT_PKT0_S8_ifPKiSA_SA_iPKfiiiPfSD_PS3_PT2_iSC_SC_,"axG",@progbits,_Z38paged_attention_ll4mi_QKV_mfma4_kernelI14__hip_bfloat16S0_LN4vllm18Fp8KVCacheDataTypeE0ES0_Li32ELi128ELi256ELb0ELi4EEvPKT_PKT0_S8_ifPKiSA_SA_iPKfiiiPfSD_PS3_PT2_iSC_SC_,comdat
	.protected	_Z38paged_attention_ll4mi_QKV_mfma4_kernelI14__hip_bfloat16S0_LN4vllm18Fp8KVCacheDataTypeE0ES0_Li32ELi128ELi256ELb0ELi4EEvPKT_PKT0_S8_ifPKiSA_SA_iPKfiiiPfSD_PS3_PT2_iSC_SC_ ; -- Begin function _Z38paged_attention_ll4mi_QKV_mfma4_kernelI14__hip_bfloat16S0_LN4vllm18Fp8KVCacheDataTypeE0ES0_Li32ELi128ELi256ELb0ELi4EEvPKT_PKT0_S8_ifPKiSA_SA_iPKfiiiPfSD_PS3_PT2_iSC_SC_
	.globl	_Z38paged_attention_ll4mi_QKV_mfma4_kernelI14__hip_bfloat16S0_LN4vllm18Fp8KVCacheDataTypeE0ES0_Li32ELi128ELi256ELb0ELi4EEvPKT_PKT0_S8_ifPKiSA_SA_iPKfiiiPfSD_PS3_PT2_iSC_SC_
	.p2align	8
	.type	_Z38paged_attention_ll4mi_QKV_mfma4_kernelI14__hip_bfloat16S0_LN4vllm18Fp8KVCacheDataTypeE0ES0_Li32ELi128ELi256ELb0ELi4EEvPKT_PKT0_S8_ifPKiSA_SA_iPKfiiiPfSD_PS3_PT2_iSC_SC_,@function
_Z38paged_attention_ll4mi_QKV_mfma4_kernelI14__hip_bfloat16S0_LN4vllm18Fp8KVCacheDataTypeE0ES0_Li32ELi128ELi256ELb0ELi4EEvPKT_PKT0_S8_ifPKiSA_SA_iPKfiiiPfSD_PS3_PT2_iSC_SC_: ; @_Z38paged_attention_ll4mi_QKV_mfma4_kernelI14__hip_bfloat16S0_LN4vllm18Fp8KVCacheDataTypeE0ES0_Li32ELi128ELi256ELb0ELi4EEvPKT_PKT0_S8_ifPKiSA_SA_iPKfiiiPfSD_PS3_PT2_iSC_SC_
; %bb.0:
	s_load_dwordx2 s[8:9], s[0:1], 0x30
	s_mov_b32 s20, s3
	s_mov_b64 s[6:7], 0
	s_waitcnt lgkmcnt(0)
	s_cmp_lg_u64 s[8:9], 0
	s_cselect_b64 s[10:11], -1, 0
	s_and_b64 vcc, exec, s[10:11]
	s_cbranch_vccz .LBB751_20
; %bb.1:
	s_add_i32 s12, s2, 1
	s_mov_b32 s13, 0
	s_lshl_b64 s[14:15], s[12:13], 2
	s_add_u32 s14, s8, s14
	s_mov_b32 s3, s13
	s_addc_u32 s15, s9, s15
	s_lshl_b64 s[12:13], s[2:3], 2
	s_add_u32 s12, s8, s12
	s_addc_u32 s13, s9, s13
	s_load_dword s5, s[14:15], 0x0
	s_load_dword s16, s[12:13], 0x0
	s_mov_b64 s[30:31], s[2:3]
	s_waitcnt lgkmcnt(0)
	s_sub_i32 s5, s5, s16
	s_cmp_eq_u32 s5, 1
	s_cselect_b64 s[12:13], -1, 0
	s_andn2_b64 vcc, exec, s[6:7]
	s_cbranch_vccnz .LBB751_3
.LBB751_2:
	s_mov_b32 s3, 0
	s_mov_b64 s[12:13], -1
	s_mov_b64 s[30:31], s[2:3]
.LBB751_3:
	s_andn2_b64 vcc, exec, s[12:13]
	s_cbranch_vccnz .LBB751_19
; %bb.4:
	s_load_dword s3, s[0:1], 0x9c
	s_load_dwordx2 s[6:7], s[0:1], 0x28
	s_add_u32 s24, s0, 0x90
	s_addc_u32 s25, s1, 0
	s_lshl_b64 s[34:35], s[30:31], 2
	s_waitcnt lgkmcnt(0)
	s_and_b32 s5, s3, 0xffff
	s_add_u32 s6, s6, s34
	s_addc_u32 s7, s7, s35
	s_load_dword s3, s[6:7], 0x0
	s_mul_i32 s16, s20, s5
	s_waitcnt lgkmcnt(0)
	s_cmp_ge_i32 s16, s3
	s_cbranch_scc1 .LBB751_19
; %bb.5:
	v_and_b32_e32 v1, 0xc0, v0
	v_add_u32_e32 v2, s16, v1
	v_lshrrev_b32_e32 v72, 6, v0
	v_cmp_le_i32_e64 s[6:7], s3, v2
                                        ; implicit-def: $sgpr18
                                        ; implicit-def: $sgpr17
	s_and_saveexec_b64 s[12:13], s[6:7]
	s_xor_b64 s[12:13], exec, s[12:13]
	s_cbranch_execz .LBB751_7
; %bb.6:
	v_mul_u32_u24_e32 v1, 20, v72
	v_or_b32_e32 v1, 0x1400, v1
	v_mov_b32_e32 v2, 0x1450
	v_mov_b32_e32 v3, 0xff7fffff
	v_mad_u32_u24 v2, v72, 20, v2
	ds_write2_b32 v1, v3, v3 offset1:1
	v_mov_b32_e32 v1, 0
	ds_write2_b32 v2, v1, v1 offset1:1
	v_mov_b32_e32 v2, 0x1408
	s_mov_b32 s17, 0xff7fffff
	s_mov_b32 s18, 0
	v_mad_u32_u24 v2, v72, 20, v2
	v_mov_b32_e32 v4, 0x1458
	v_mad_u32_u24 v4, v72, 20, v4
	ds_write2_b32 v2, v3, v3 offset1:1
	ds_write2_b32 v4, v1, v1 offset1:1
                                        ; implicit-def: $vgpr2
.LBB751_7:
	s_or_saveexec_b64 s[26:27], s[12:13]
	s_load_dwordx2 s[22:23], s[0:1], 0x68
	s_load_dwordx4 s[12:15], s[0:1], 0x58
	s_load_dword s5, s[24:25], 0x4
	v_and_b32_e32 v1, 63, v0
	v_and_b32_e32 v70, 3, v0
	v_mov_b32_e32 v69, s18
	v_mov_b32_e32 v73, s17
	;; [unrolled: 1-line block ×5, first 2 shown]
                                        ; implicit-def: $vgpr35
                                        ; implicit-def: $vgpr39
                                        ; implicit-def: $vgpr47
                                        ; implicit-def: $vgpr59
                                        ; implicit-def: $vgpr15
                                        ; implicit-def: $vgpr3
                                        ; implicit-def: $vgpr7
                                        ; implicit-def: $vgpr11
                                        ; implicit-def: $vgpr55
                                        ; implicit-def: $vgpr43
                                        ; implicit-def: $vgpr51
                                        ; implicit-def: $vgpr63
                                        ; implicit-def: $vgpr19
                                        ; implicit-def: $vgpr23
                                        ; implicit-def: $vgpr27
                                        ; implicit-def: $vgpr31
	s_xor_b64 exec, exec, s[26:27]
	s_cbranch_execz .LBB751_13
; %bb.8:
	s_add_i32 s21, s3, 31
	s_load_dwordx2 s[18:19], s[0:1], 0x20
	s_load_dword s17, s[0:1], 0x38
	s_ashr_i32 s28, s21, 31
	s_lshr_b32 s28, s28, 27
	v_add_u32_e32 v66, s16, v0
	s_add_i32 s21, s21, s28
	v_ashrrev_i32_e32 v3, 31, v66
	s_ashr_i32 s21, s21, 5
	v_lshrrev_b32_e32 v3, 27, v3
	s_add_i32 s21, s21, -1
	v_add_u32_e32 v3, v66, v3
	s_waitcnt lgkmcnt(0)
	s_mul_i32 s36, s2, s17
	s_mov_b32 s37, 0
	v_ashrrev_i32_e32 v3, 5, v3
	v_mov_b32_e32 v4, s21
	v_cmp_gt_i32_e32 vcc, s3, v66
	s_lshl_b64 s[28:29], s[36:37], 2
	s_add_u32 s18, s18, s28
	v_cndmask_b32_e32 v4, v4, v3, vcc
	v_ashrrev_i32_e32 v3, 31, v2
	v_lshrrev_b32_e32 v3, 27, v3
	s_addc_u32 s19, s19, s29
	v_ashrrev_i32_e32 v5, 31, v4
	v_add_u32_e32 v2, v2, v3
	v_lshl_add_u64 v[6:7], v[4:5], 2, s[18:19]
	v_ashrrev_i32_e32 v4, 5, v2
	v_min_i32_e32 v2, s21, v4
	v_ashrrev_i32_e32 v3, 31, v2
	v_lshl_add_u64 v[8:9], v[2:3], 2, s[18:19]
	v_add_u32_e32 v2, 1, v4
	v_min_i32_e32 v2, s21, v2
	v_ashrrev_i32_e32 v3, 31, v2
	v_lshl_add_u64 v[10:11], v[2:3], 2, s[18:19]
	global_load_dword v2, v[6:7], off
	global_load_dword v4, v[8:9], off
	;; [unrolled: 1-line block ×3, first 2 shown]
	s_load_dwordx4 s[16:19], s[0:1], 0x0
	s_load_dwordx2 s[28:29], s[0:1], 0x10
	s_andn2_b64 vcc, exec, s[10:11]
	s_cbranch_vccnz .LBB751_10
; %bb.9:
	s_add_u32 s8, s8, s34
	s_addc_u32 s9, s9, s35
	s_load_dword s36, s[8:9], 0x0
	s_waitcnt lgkmcnt(0)
	s_mov_b64 s[30:31], s[36:37]
.LBB751_10:
	s_load_dwordx4 s[8:11], s[0:1], 0x48
	v_lshlrev_b32_e32 v3, 2, v1
	v_and_b32_e32 v3, 0xf0, v3
	v_lshl_or_b32 v3, v70, 8, v3
	v_and_b32_e32 v6, 31, v0
	s_waitcnt lgkmcnt(0)
	s_ashr_i32 s11, s8, 31
	s_mul_hi_u32 s21, s30, s8
	s_mul_i32 s31, s31, s8
	s_mul_i32 s34, s30, s8
	;; [unrolled: 1-line block ×3, first 2 shown]
	s_add_i32 s8, s21, s8
	s_add_i32 s35, s8, s31
	s_lshl_b64 s[30:31], s[34:35], 1
	s_add_u32 s8, s16, s30
	s_addc_u32 s11, s17, s31
	s_lshl_b32 s36, s4, 9
	s_lshl_b64 s[16:17], s[36:37], 1
	s_add_u32 s16, s8, s16
	s_addc_u32 s17, s11, s17
	global_load_dwordx4 v[74:77], v3, s[16:17]
	s_mul_i32 s36, s4, s10
	s_waitcnt vmcnt(3)
	v_mad_i64_i32 v[2:3], s[16:17], v2, s9, 0
	s_lshl_b64 s[10:11], s[36:37], 1
	s_add_u32 s16, s10, s18
	s_addc_u32 s17, s11, s19
	v_lshl_add_u64 v[2:3], v[2:3], 1, s[16:17]
	v_lshlrev_b32_e32 v34, 4, v6
	v_mov_b32_e32 v35, 0
	v_lshl_add_u64 v[40:41], v[2:3], 0, v[34:35]
	global_load_dwordx4 v[6:9], v[40:41], off
	global_load_dwordx4 v[10:13], v[40:41], off offset:512
	global_load_dwordx4 v[14:17], v[40:41], off offset:1024
	;; [unrolled: 1-line block ×7, first 2 shown]
	v_mov_b32_e32 v41, v35
	v_or_b32_e32 v40, 0x1000, v34
	v_lshl_add_u64 v[40:41], v[2:3], 0, v[40:41]
	global_load_dwordx4 v[40:43], v[40:41], off
	v_mov_b32_e32 v45, v35
	v_or_b32_e32 v44, 0x1200, v34
	v_lshl_add_u64 v[44:45], v[2:3], 0, v[44:45]
	global_load_dwordx4 v[44:47], v[44:45], off
	;; [unrolled: 4-line block ×6, first 2 shown]
	v_or_b32_e32 v34, 0x1c00, v34
	v_lshl_add_u64 v[64:65], v[2:3], 0, v[34:35]
	global_load_dwordx4 v[78:81], v[64:65], off
	v_mov_b32_e32 v67, 0x1e00
	v_lshl_or_b32 v34, v0, 4, v67
	v_lshl_add_u64 v[2:3], v[2:3], 0, v[34:35]
	global_load_dwordx4 v[82:85], v[2:3], off
	s_waitcnt vmcnt(18)
	v_mul_hi_i32 v2, v4, s9
	v_mov_b32_e32 v3, v35
	s_add_u32 s10, s28, s10
	s_addc_u32 s11, s29, s11
	v_mov_b32_e32 v65, v35
	s_load_dword s0, s[0:1], 0x1c
	v_cmp_eq_u32_e32 vcc, 0, v70
	v_and_b32_e32 v88, -4, v66
	v_lshlrev_b32_e32 v89, 2, v0
	v_cndmask_b32_e64 v71, 0, 1.0, vcc
	v_cmp_eq_u32_e32 vcc, 1, v70
	s_waitcnt vmcnt(15)
	v_mfma_f32_4x4x4_16b_bf16 a[0:3], v[74:75], v[6:7], 0 cbsz:4
	v_mul_hi_i32 v6, v5, s9
	s_nop 0
	v_mfma_f32_4x4x4_16b_bf16 a[0:3], v[76:77], v[8:9], a[0:3] cbsz:4
	v_ashrrev_i32_e32 v7, 31, v2
	v_ashrrev_i32_e32 v2, 31, v6
	s_waitcnt vmcnt(14)
	v_mfma_f32_4x4x4_16b_bf16 a[0:3], v[74:75], v[10:11], a[0:3] cbsz:4 abid:1
	v_lshrrev_b32_e32 v2, 29, v2
	v_mad_i64_i32 v[2:3], s[16:17], v5, s9, v[2:3]
	v_mfma_f32_4x4x4_16b_bf16 a[0:3], v[76:77], v[12:13], a[0:3] cbsz:4 abid:1
	v_lshlrev_b64 v[2:3], 1, v[2:3]
	v_and_b32_e32 v2, -16, v2
	s_waitcnt vmcnt(13)
	v_mfma_f32_4x4x4_16b_bf16 a[0:3], v[74:75], v[14:15], a[0:3] cbsz:4 abid:2
	v_lshrrev_b32_e32 v34, 29, v7
	v_cndmask_b32_e64 v73, 0, 1.0, vcc
	v_mfma_f32_4x4x4_16b_bf16 a[0:3], v[76:77], v[16:17], a[0:3] cbsz:4 abid:2
	v_cmp_eq_u32_e32 vcc, 2, v70
	s_waitcnt vmcnt(12)
	v_mfma_f32_4x4x4_16b_bf16 a[0:3], v[74:75], v[18:19], a[0:3] cbsz:4 abid:3
	v_lshl_add_u64 v[18:19], s[10:11], 0, v[2:3]
	v_mad_i64_i32 v[2:3], s[8:9], v4, s9, v[34:35]
	v_mfma_f32_4x4x4_16b_bf16 a[0:3], v[76:77], v[20:21], a[0:3] cbsz:4 abid:3
	v_lshlrev_b64 v[20:21], 1, v[2:3]
	v_lshlrev_b32_e32 v34, 6, v1
	s_waitcnt vmcnt(11)
	v_mfma_f32_4x4x4_16b_bf16 a[0:3], v[74:75], v[22:23], a[0:3] cbsz:4 abid:4
	v_and_b32_e32 v20, -16, v20
	v_or_b32_e32 v64, 0x1000, v34
	v_mfma_f32_4x4x4_16b_bf16 a[0:3], v[76:77], v[24:25], a[0:3] cbsz:4 abid:4
	v_lshl_add_u64 v[22:23], v[18:19], 0, v[34:35]
	global_load_dwordx4 v[14:17], v[22:23], off
	global_load_dwordx4 v[2:5], v[22:23], off offset:16
	s_waitcnt vmcnt(12)
	v_mfma_f32_4x4x4_16b_bf16 a[0:3], v[74:75], v[26:27], a[0:3] cbsz:4 abid:5
	global_load_dwordx4 v[6:9], v[22:23], off offset:32
	global_load_dwordx4 v[10:13], v[22:23], off offset:48
	v_mfma_f32_4x4x4_16b_bf16 a[0:3], v[76:77], v[28:29], a[0:3] cbsz:4 abid:5
	v_cndmask_b32_e64 v86, 0, 1.0, vcc
	v_cmp_eq_u32_e32 vcc, 3, v70
	s_waitcnt vmcnt(13)
	v_mfma_f32_4x4x4_16b_bf16 a[0:3], v[74:75], v[30:31], a[0:3] cbsz:4 abid:6
	v_cndmask_b32_e64 v87, 0, 1.0, vcc
	s_nop 0
	v_mfma_f32_4x4x4_16b_bf16 a[0:3], v[76:77], v[32:33], a[0:3] cbsz:4 abid:6
	v_cmp_gt_i32_e32 vcc, s3, v88
	s_waitcnt vmcnt(12)
	v_mfma_f32_4x4x4_16b_bf16 a[0:3], v[74:75], v[36:37], a[0:3] cbsz:4 abid:7
	v_lshl_add_u64 v[36:37], v[18:19], 0, v[64:65]
	s_nop 0
	v_mfma_f32_4x4x4_16b_bf16 a[0:3], v[76:77], v[38:39], a[0:3] cbsz:4 abid:7
	v_lshl_add_u64 v[38:39], s[10:11], 0, v[20:21]
	v_lshl_add_u64 v[68:69], v[38:39], 0, v[64:65]
	s_waitcnt vmcnt(11)
	v_mfma_f32_4x4x4_16b_bf16 a[0:3], v[74:75], v[40:41], a[0:3] cbsz:4 abid:8
	global_load_dwordx4 v[18:21], v[36:37], off
	global_load_dwordx4 v[22:25], v[36:37], off offset:16
	v_mfma_f32_4x4x4_16b_bf16 a[0:3], v[76:77], v[42:43], a[0:3] cbsz:4 abid:8
	v_lshl_add_u64 v[42:43], v[38:39], 0, v[34:35]
	global_load_dwordx4 v[26:29], v[36:37], off offset:32
	global_load_dwordx4 v[30:33], v[36:37], off offset:48
	s_waitcnt vmcnt(14)
	v_mfma_f32_4x4x4_16b_bf16 a[0:3], v[74:75], v[44:45], a[0:3] cbsz:4 abid:9
	global_load_dwordx4 v[34:37], v[42:43], off
	global_load_dwordx4 v[38:41], v[42:43], off offset:16
	v_mfma_f32_4x4x4_16b_bf16 a[0:3], v[76:77], v[46:47], a[0:3] cbsz:4 abid:9
	s_waitcnt vmcnt(15)
	s_nop 0
	v_mfma_f32_4x4x4_16b_bf16 a[0:3], v[74:75], v[48:49], a[0:3] cbsz:4 abid:10
	s_nop 1
	v_mfma_f32_4x4x4_16b_bf16 a[0:3], v[76:77], v[50:51], a[0:3] cbsz:4 abid:10
	s_waitcnt vmcnt(14)
	s_nop 0
	v_mfma_f32_4x4x4_16b_bf16 a[0:3], v[74:75], v[52:53], a[0:3] cbsz:4 abid:11
	s_nop 1
	;; [unrolled: 5-line block ×3, first 2 shown]
	v_mfma_f32_4x4x4_16b_bf16 a[0:3], v[76:77], v[58:59], a[0:3] cbsz:4 abid:12
	s_waitcnt vmcnt(12)
	s_nop 0
	v_mfma_f32_4x4x4_16b_bf16 a[0:3], v[74:75], v[60:61], a[0:3] cbsz:4 abid:13
	global_load_dwordx4 v[46:49], v[42:43], off offset:32
	global_load_dwordx4 v[58:61], v[42:43], off offset:48
	v_mfma_f32_4x4x4_16b_bf16 a[0:3], v[76:77], v[62:63], a[0:3] cbsz:4 abid:13
	global_load_dwordx4 v[54:57], v[68:69], off
	global_load_dwordx4 v[42:45], v[68:69], off offset:16
	global_load_dwordx4 v[50:53], v[68:69], off offset:32
	global_load_dwordx4 v[62:65], v[68:69], off offset:48
	s_waitcnt vmcnt(17)
	v_mfma_f32_4x4x4_16b_bf16 a[0:3], v[74:75], v[78:79], a[0:3] cbsz:4 abid:14
	s_nop 1
	v_mfma_f32_4x4x4_16b_bf16 a[0:3], v[76:77], v[80:81], a[0:3] cbsz:4 abid:14
	s_waitcnt vmcnt(16)
	s_nop 0
	v_mfma_f32_4x4x4_16b_bf16 a[0:3], v[74:75], v[82:83], a[0:3] cbsz:4 abid:15
	v_or_b32_e32 v75, 3, v66
	v_mov_b32_e32 v74, 0xff7fffff
	v_mfma_f32_4x4x4_16b_bf16 a[0:3], v[76:77], v[84:85], a[0:3] cbsz:4 abid:15
	v_cmp_gt_i32_e64 s[10:11], s3, v75
	s_nop 3
	v_accvgpr_read_b32 v69, a1
	v_accvgpr_read_b32 v68, a0
	s_waitcnt lgkmcnt(0)
	v_pk_mul_f32 v[68:69], s[0:1], v[68:69] op_sel_hi:[0,1]
	v_accvgpr_read_b32 v67, a3
	v_accvgpr_read_b32 v66, a2
	v_pk_mul_f32 v[66:67], s[0:1], v[66:67] op_sel_hi:[0,1]
	v_mfma_f32_4x4x1_16b_f32 a[0:3], v68, v71, 0
	v_and_or_b32 v68, v89, 48, v70
	s_nop 0
	v_mfma_f32_4x4x1_16b_f32 a[0:3], v69, v73, a[0:3]
	v_or_b32_e32 v69, 1, v88
	v_cmp_gt_i32_e64 s[0:1], s3, v69
	v_mfma_f32_4x4x1_16b_f32 a[0:3], v66, v86, a[0:3]
	v_or_b32_e32 v66, 2, v88
	v_cmp_gt_i32_e64 s[8:9], s3, v66
	v_mfma_f32_4x4x1_16b_f32 a[0:3], v67, v87, a[0:3]
	s_nop 3
	v_accvgpr_read_b32 v67, a0
	v_max_f32_e32 v73, v67, v67
	v_accvgpr_read_b32 v71, a1
	v_max_f32_e32 v73, 0xff7fffff, v73
	v_max_f32_e32 v78, v71, v71
	v_cndmask_b32_e32 v73, v74, v73, vcc
	v_accvgpr_read_b32 v76, a2
	v_max_f32_e32 v74, v73, v78
	v_max_f32_e32 v79, v76, v76
	v_cndmask_b32_e64 v69, v73, v74, s[0:1]
	v_accvgpr_read_b32 v77, a3
	v_max_f32_e32 v73, v69, v79
	v_max_f32_e32 v80, v77, v77
	v_cndmask_b32_e64 v66, v69, v73, s[8:9]
	v_max_f32_e32 v69, v66, v80
	v_cndmask_b32_e64 v66, v66, v69, s[10:11]
	;;#ASMSTART
	v_nop
 v_nop
 v_max_f32_dpp v66, v66, v66 row_ror:4
	;;#ASMEND
	v_lshlrev_b32_e32 v74, 2, v68
	;;#ASMSTART
	v_nop
 v_nop
 v_max_f32_dpp v66, v66, v66 row_ror:8
	;;#ASMEND
	ds_bpermute_b32 v66, v74, v66
	s_waitcnt lgkmcnt(0)
	;;#ASMSTART
	v_nop
 v_nop
 v_max_f32_dpp v66, v66, v66 row_ror:4
	;;#ASMEND
	s_nop 0
	;;#ASMSTART
	v_nop
 v_nop
 v_max_f32_dpp v73, v66, v66 row_ror:8
	;;#ASMEND
	s_nop 0
	v_sub_f32_e32 v66, v67, v73
	v_sub_f32_e32 v67, v71, v73
	v_mul_f32_e32 v66, 0x3fb8aa3b, v66
	v_mul_f32_e32 v67, 0x3fb8aa3b, v67
	v_exp_f32_e32 v66, v66
	v_sub_f32_e32 v68, v76, v73
	v_exp_f32_e32 v67, v67
	v_mul_f32_e32 v68, 0x3fb8aa3b, v68
	v_sub_f32_e32 v71, v77, v73
	v_exp_f32_e32 v68, v68
	v_mul_f32_e32 v71, 0x3fb8aa3b, v71
	v_exp_f32_e32 v71, v71
	v_cndmask_b32_e32 v66, 0, v66, vcc
	v_cndmask_b32_e64 v67, 0, v67, s[0:1]
	v_add_f32_e32 v69, 0, v66
	v_add_f32_e32 v69, v69, v67
	v_cndmask_b32_e64 v68, 0, v68, s[8:9]
	v_add_f32_e32 v75, v69, v68
	v_cndmask_b32_e64 v69, 0, v71, s[10:11]
	v_add_f32_e32 v71, v75, v69
	;;#ASMSTART
	v_nop
 v_nop
 v_add_f32_dpp v71, v71, v71 row_ror:4
	;;#ASMEND
	v_cmp_gt_u32_e32 vcc, 4, v1
	;;#ASMSTART
	v_nop
 v_nop
 v_add_f32_dpp v71, v71, v71 row_ror:8
	;;#ASMEND
	ds_bpermute_b32 v71, v74, v71
	s_waitcnt lgkmcnt(0)
	;;#ASMSTART
	v_nop
 v_nop
 v_add_f32_dpp v71, v71, v71 row_ror:4
	;;#ASMEND
	s_nop 0
	;;#ASMSTART
	v_nop
 v_nop
 v_add_f32_dpp v71, v71, v71 row_ror:8
	;;#ASMEND
	s_and_saveexec_b64 s[0:1], vcc
	s_cbranch_execz .LBB751_12
; %bb.11:
	v_mul_u32_u24_e32 v74, 20, v72
	v_lshl_add_u32 v74, v70, 2, v74
	v_add_u32_e32 v74, 0x1400, v74
	ds_write2_b32 v74, v73, v71 offset1:20
.LBB751_12:
	s_or_b64 exec, exec, s[0:1]
.LBB751_13:
	s_or_b64 exec, exec, s[26:27]
	v_lshlrev_b32_e32 v71, 2, v70
	v_add_u32_e32 v71, 0x1400, v71
	s_waitcnt lgkmcnt(0)
	s_barrier
	s_load_dword s0, s[24:25], 0x8
	ds_read2_b32 v[76:77], v71 offset1:5
	ds_read2_b32 v[78:79], v71 offset0:10 offset1:15
	s_mov_b32 s8, 0xff7fffff
	s_mul_i32 s1, s2, s5
	s_lshl_b32 s4, s4, 2
	s_waitcnt lgkmcnt(0)
	v_max3_f32 v74, v76, s8, v77
	s_mul_i32 s1, s1, s0
	v_max3_f32 v74, v74, v78, v79
	s_lshl_b32 s0, s1, 2
	s_mov_b32 s1, 0
	v_sub_f32_e32 v75, v76, v74
	v_sub_f32_e32 v76, v77, v74
	s_lshl_b64 s[2:3], s[0:1], 2
	ds_read2_b32 v[80:81], v71 offset0:20 offset1:25
	v_mul_f32_e32 v75, 0x3fb8aa3b, v75
	v_mul_f32_e32 v76, 0x3fb8aa3b, v76
	s_add_u32 s10, s12, s2
	v_exp_f32_e32 v75, v75
	v_exp_f32_e32 v82, v76
	ds_read2_b32 v[76:77], v71 offset0:30 offset1:35
	v_sub_f32_e32 v71, v78, v74
	s_addc_u32 s11, s13, s3
	v_mul_f32_e32 v71, 0x3fb8aa3b, v71
	v_sub_f32_e32 v78, v79, v74
	s_mov_b32 s21, s1
	s_add_u32 s8, s14, s2
	v_exp_f32_e32 v71, v71
	v_mul_f32_e32 v78, 0x3fb8aa3b, v78
	s_addc_u32 s9, s15, s3
	s_lshl_b64 s[2:3], s[20:21], 2
	v_exp_f32_e32 v78, v78
	s_add_u32 s8, s8, s2
	s_waitcnt lgkmcnt(1)
	v_fma_f32 v75, v75, v80, 0
	s_addc_u32 s9, s9, s3
	v_fmac_f32_e32 v75, v82, v81
	v_or_b32_e32 v70, s4, v70
	s_waitcnt lgkmcnt(0)
	v_fmac_f32_e32 v75, v71, v76
	s_add_u32 s2, s10, s2
	v_mul_lo_u32 v70, s5, v70
	v_mov_b32_e32 v71, 0
	v_fmac_f32_e32 v75, v78, v77
	s_addc_u32 s3, s11, s3
	v_lshlrev_b64 v[76:77], 2, v[70:71]
	v_lshl_add_u64 v[78:79], s[8:9], 0, v[76:77]
	v_lshl_add_u64 v[76:77], s[2:3], 0, v[76:77]
	v_lshlrev_b32_e32 v72, 3, v72
	global_store_dword v[78:79], v74, off
	global_store_dword v[76:77], v75, off
	s_and_saveexec_b64 s[2:3], s[6:7]
	s_xor_b64 s[2:3], exec, s[2:3]
	s_cbranch_execz .LBB751_15
; %bb.14:
	s_waitcnt vmcnt(16)
	v_mad_u32_u24 v2, v1, 40, v72
	v_mov_b32_e32 v70, v71
	ds_write_b64 v2, v[70:71]
                                        ; implicit-def: $vgpr69
                                        ; implicit-def: $vgpr67
                                        ; implicit-def: $vgpr35
                                        ; implicit-def: $vgpr39
                                        ; implicit-def: $vgpr47
                                        ; implicit-def: $vgpr59
                                        ; implicit-def: $vgpr15
                                        ; implicit-def: $vgpr3
                                        ; implicit-def: $vgpr7
                                        ; implicit-def: $vgpr11
                                        ; implicit-def: $vgpr55
                                        ; implicit-def: $vgpr43
                                        ; implicit-def: $vgpr51
                                        ; implicit-def: $vgpr63
                                        ; implicit-def: $vgpr19
                                        ; implicit-def: $vgpr23
                                        ; implicit-def: $vgpr27
                                        ; implicit-def: $vgpr31
                                        ; implicit-def: $vgpr73
                                        ; implicit-def: $vgpr74
                                        ; implicit-def: $vgpr75
.LBB751_15:
	s_or_saveexec_b64 s[2:3], s[2:3]
	v_mov_b32_e32 v70, s1
	v_mov_b32_e32 v71, s1
	s_xor_b64 exec, exec, s[2:3]
	s_cbranch_execz .LBB751_17
; %bb.16:
	v_add_f32_e32 v70, 0x358637bd, v75
	v_div_scale_f32 v71, s[6:7], v70, v70, 1.0
	v_rcp_f32_e32 v75, v71
	v_sub_f32_e32 v73, v73, v74
	v_mul_f32_e32 v73, 0x3fb8aa3b, v73
	v_exp_f32_e32 v73, v73
	v_fma_f32 v74, -v71, v75, 1.0
	v_fmac_f32_e32 v75, v74, v75
	v_div_scale_f32 v74, vcc, 1.0, v70, 1.0
	v_mul_f32_e32 v76, v74, v75
	v_fma_f32 v77, -v71, v76, v74
	v_fmac_f32_e32 v76, v77, v75
	v_fma_f32 v71, -v71, v76, v74
	v_div_fmas_f32 v71, v71, v75, v76
	v_div_fixup_f32 v70, v71, v70, 1.0
	v_mul_f32_e32 v70, v73, v70
	v_pk_mul_f32 v[66:67], v[66:67], v[70:71] op_sel_hi:[1,0]
	v_pk_mul_f32 v[68:69], v[68:69], v[70:71] op_sel_hi:[1,0]
	v_bfe_u32 v70, v67, 16, 1
	v_bfe_u32 v71, v66, 16, 1
	s_movk_i32 s1, 0x7fff
	v_add3_u32 v66, v66, v71, s1
	v_add3_u32 v67, v67, v70, s1
	s_mov_b32 s6, 0x7060302
	v_perm_b32 v66, v67, v66, s6
	v_bfe_u32 v67, v69, 16, 1
	v_bfe_u32 v70, v68, 16, 1
	v_add3_u32 v68, v68, v70, s1
	v_add3_u32 v67, v69, v67, s1
	v_perm_b32 v67, v67, v68, s6
	s_waitcnt vmcnt(9)
	s_nop 0
	v_mfma_f32_4x4x4_16b_bf16 a[0:3], v[66:67], v[34:35], 0 cbsz:4
	s_nop 1
	v_mfma_f32_4x4x4_16b_bf16 a[0:3], v[66:67], v[36:37], a[0:3] cbsz:4 abid:1
	s_waitcnt vmcnt(5)
	v_mfma_f32_4x4x4_16b_bf16 a[4:7], v[66:67], v[54:55], 0 cbsz:4
	v_mfma_f32_4x4x4_16b_bf16 a[0:3], v[66:67], v[38:39], a[0:3] cbsz:4 abid:2
	s_nop 0
	v_mfma_f32_4x4x4_16b_bf16 a[4:7], v[66:67], v[56:57], a[4:7] cbsz:4 abid:1
	v_mfma_f32_4x4x4_16b_bf16 a[0:3], v[66:67], v[40:41], a[0:3] cbsz:4 abid:3
	s_waitcnt vmcnt(4)
	v_mfma_f32_4x4x4_16b_bf16 a[4:7], v[66:67], v[42:43], a[4:7] cbsz:4 abid:2
	v_mfma_f32_4x4x4_16b_bf16 a[0:3], v[66:67], v[46:47], a[0:3] cbsz:4 abid:4
	s_nop 1
	v_mfma_f32_4x4x4_16b_bf16 a[0:3], v[66:67], v[48:49], a[0:3] cbsz:4 abid:5
	s_nop 1
	;; [unrolled: 2-line block ×12, first 2 shown]
	v_accvgpr_read_b32 v3, a2
	v_accvgpr_read_b32 v4, a3
	;; [unrolled: 1-line block ×4, first 2 shown]
	v_mfma_f32_4x4x4_16b_bf16 a[0:3], v[66:67], v[44:45], a[4:7] cbsz:4 abid:3
	v_bfe_u32 v6, v5, 16, 1
	v_bfe_u32 v7, v2, 16, 1
	s_waitcnt vmcnt(3)
	v_mfma_f32_4x4x4_16b_bf16 a[0:3], v[66:67], v[50:51], a[0:3] cbsz:4 abid:4
	v_add3_u32 v2, v2, v7, s1
	v_add3_u32 v5, v5, v6, s1
	v_mfma_f32_4x4x4_16b_bf16 a[0:3], v[66:67], v[52:53], a[0:3] cbsz:4 abid:5
	v_perm_b32 v2, v5, v2, s6
	v_bfe_u32 v5, v4, 16, 1
	s_waitcnt vmcnt(2)
	v_mfma_f32_4x4x4_16b_bf16 a[0:3], v[66:67], v[62:63], a[0:3] cbsz:4 abid:6
	v_bfe_u32 v6, v3, 16, 1
	v_add3_u32 v3, v3, v6, s1
	v_mfma_f32_4x4x4_16b_bf16 a[0:3], v[66:67], v[64:65], a[0:3] cbsz:4 abid:7
	v_add3_u32 v4, v4, v5, s1
	v_perm_b32 v3, v4, v3, s6
	v_mfma_f32_4x4x4_16b_bf16 a[0:3], v[66:67], v[18:19], a[0:3] cbsz:4 abid:8
	v_mad_u32_u24 v4, v1, 40, v72
	ds_write_b64 v4, v[2:3]
	v_mfma_f32_4x4x4_16b_bf16 a[0:3], v[66:67], v[20:21], a[0:3] cbsz:4 abid:9
	s_nop 1
	v_mfma_f32_4x4x4_16b_bf16 a[0:3], v[66:67], v[22:23], a[0:3] cbsz:4 abid:10
	s_nop 1
	;; [unrolled: 2-line block ×7, first 2 shown]
	v_accvgpr_read_b32 v4, a0
	v_accvgpr_read_b32 v5, a1
	;; [unrolled: 1-line block ×4, first 2 shown]
	v_bfe_u32 v6, v5, 16, 1
	v_bfe_u32 v7, v4, 16, 1
	v_add3_u32 v4, v4, v7, s1
	v_add3_u32 v5, v5, v6, s1
	v_bfe_u32 v6, v3, 16, 1
	v_bfe_u32 v7, v2, 16, 1
	v_add3_u32 v2, v2, v7, s1
	v_add3_u32 v3, v3, v6, s1
	v_perm_b32 v71, v3, v2, s6
	v_perm_b32 v70, v5, v4, s6
.LBB751_17:
	s_or_b64 exec, exec, s[2:3]
	s_waitcnt vmcnt(16)
	v_mad_u32_u24 v2, v1, 40, v72
	v_cmp_gt_u32_e32 vcc, 64, v0
	ds_write_b64 v2, v[70:71] offset:2560
	s_waitcnt lgkmcnt(0)
	s_barrier
	s_and_saveexec_b64 s[2:3], vcc
	s_cbranch_execz .LBB751_19
; %bb.18:
	s_waitcnt vmcnt(15)
	v_mul_u32_u24_e32 v6, 40, v1
	ds_read2_b64 v[2:5], v6 offset1:1
	ds_read2_b64 v[6:9], v6 offset0:2 offset1:3
	s_mov_b32 s1, 0
	s_lshl_b32 s0, s0, 7
	s_lshl_b64 s[2:3], s[0:1], 1
	s_waitcnt vmcnt(14) lgkmcnt(1)
	v_lshlrev_b32_e32 v10, 16, v2
	v_and_b32_e32 v2, 0xffff0000, v2
	v_add_f32_e32 v2, 0, v2
	v_lshlrev_b32_e32 v11, 16, v3
	v_and_b32_e32 v3, 0xffff0000, v3
	v_and_b32_e32 v2, 0xffff0000, v2
	v_add_f32_e32 v11, 0, v11
	v_add_f32_e32 v3, 0, v3
	v_lshlrev_b32_e32 v12, 16, v4
	v_and_b32_e32 v4, 0xffff0000, v4
	v_add_f32_e32 v10, 0, v10
	v_and_b32_e32 v11, 0xffff0000, v11
	v_and_b32_e32 v3, 0xffff0000, v3
	v_add_f32_e32 v2, v2, v4
	v_lshlrev_b32_e32 v4, 16, v5
	v_and_b32_e32 v5, 0xffff0000, v5
	v_and_b32_e32 v10, 0xffff0000, v10
	;; [unrolled: 1-line block ×3, first 2 shown]
	v_add_f32_e32 v4, v11, v4
	v_add_f32_e32 v3, v3, v5
	s_waitcnt lgkmcnt(0)
	v_lshlrev_b32_e32 v5, 16, v6
	v_and_b32_e32 v6, 0xffff0000, v6
	v_add_f32_e32 v10, v10, v12
	v_and_b32_e32 v4, 0xffff0000, v4
	v_add_f32_e32 v2, v2, v6
	v_lshlrev_b32_e32 v6, 16, v7
	v_and_b32_e32 v10, 0xffff0000, v10
	v_and_b32_e32 v3, 0xffff0000, v3
	v_add_f32_e32 v4, v4, v6
	v_and_b32_e32 v6, 0xffff0000, v7
	v_add_f32_e32 v5, v10, v5
	v_add_f32_e32 v3, v3, v6
	v_and_b32_e32 v5, 0xffff0000, v5
	v_and_b32_e32 v6, 0xffff0000, v3
	v_lshlrev_b32_e32 v3, 16, v8
	v_and_b32_e32 v2, 0xffff0000, v2
	v_add_f32_e32 v10, v5, v3
	v_and_b32_e32 v3, 0xffff0000, v8
	v_and_b32_e32 v4, 0xffff0000, v4
	v_add_f32_e32 v11, v2, v3
	v_lshlrev_b32_e32 v2, 16, v9
	v_add_f32_e32 v12, v4, v2
	v_mov_b32_e32 v2, 0xa00
	v_mad_u32_u24 v2, v1, 40, v2
	ds_read2_b64 v[2:5], v2 offset1:1
	v_and_b32_e32 v7, 0xffff0000, v9
	v_add_f32_e32 v13, v6, v7
	v_mov_b32_e32 v6, 0xa10
	v_mad_u32_u24 v1, v1, 40, v6
	ds_read2_b64 v[6:9], v1 offset1:1
	s_waitcnt lgkmcnt(1)
	v_lshlrev_b32_e32 v1, 16, v2
	v_and_b32_e32 v2, 0xffff0000, v2
	v_add_f32_e32 v1, 0, v1
	v_add_f32_e32 v2, 0, v2
	v_lshlrev_b32_e32 v14, 16, v3
	v_and_b32_e32 v3, 0xffff0000, v3
	v_and_b32_e32 v1, 0xffff0000, v1
	;; [unrolled: 1-line block ×3, first 2 shown]
	v_add_f32_e32 v3, 0, v3
	v_lshlrev_b32_e32 v15, 16, v4
	v_and_b32_e32 v4, 0xffff0000, v4
	v_add_f32_e32 v14, 0, v14
	v_and_b32_e32 v3, 0xffff0000, v3
	v_add_f32_e32 v1, v1, v15
	v_add_f32_e32 v2, v2, v4
	v_lshlrev_b32_e32 v4, 16, v5
	v_and_b32_e32 v5, 0xffff0000, v5
	v_and_b32_e32 v14, 0xffff0000, v14
	;; [unrolled: 1-line block ×3, first 2 shown]
	v_add_f32_e32 v3, v3, v5
	s_waitcnt lgkmcnt(0)
	v_lshlrev_b32_e32 v5, 16, v6
	v_and_b32_e32 v2, 0xffff0000, v2
	v_add_f32_e32 v4, v14, v4
	v_add_f32_e32 v1, v1, v5
	v_and_b32_e32 v5, 0xffff0000, v6
	v_and_b32_e32 v4, 0xffff0000, v4
	v_add_f32_e32 v2, v2, v5
	v_lshlrev_b32_e32 v5, 16, v7
	s_add_u32 s2, s22, s2
	v_and_b32_e32 v3, 0xffff0000, v3
	v_add_f32_e32 v4, v4, v5
	v_and_b32_e32 v5, 0xffff0000, v7
	s_addc_u32 s3, s23, s3
	s_lshl_b32 s0, s20, 7
	v_and_b32_e32 v1, 0xffff0000, v1
	v_add_f32_e32 v3, v3, v5
	v_lshlrev_b32_e32 v5, 16, v8
	s_lshl_b64 s[0:1], s[0:1], 1
	v_and_b32_e32 v2, 0xffff0000, v2
	v_add_f32_e32 v14, v1, v5
	v_and_b32_e32 v1, 0xffff0000, v8
	s_add_u32 s0, s2, s0
	v_and_b32_e32 v4, 0xffff0000, v4
	v_add_f32_e32 v15, v2, v1
	v_lshlrev_b32_e32 v1, 16, v9
	s_addc_u32 s1, s3, s1
	s_lshl_b32 s2, s5, 7
	v_and_b32_e32 v3, 0xffff0000, v3
	v_add_f32_e32 v16, v4, v1
	v_and_b32_e32 v1, 0xffff0000, v9
	s_mul_i32 s3, s2, s4
	v_add_f32_e32 v17, v3, v1
	v_or_b32_e32 v2, s3, v0
	v_mov_b32_e32 v3, 0
	s_add_i32 s3, s3, s2
	v_lshl_add_u64 v[4:5], v[2:3], 1, s[0:1]
	v_or_b32_e32 v2, s3, v0
	s_add_i32 s3, s3, s2
	v_lshl_add_u64 v[6:7], v[2:3], 1, s[0:1]
	v_or_b32_e32 v2, s3, v0
	;; [unrolled: 3-line block ×3, first 2 shown]
	v_lshl_add_u64 v[0:1], v[2:3], 1, s[0:1]
	global_store_short_d16_hi v[4:5], v10, off
	global_store_short_d16_hi v[6:7], v11, off
	;; [unrolled: 1-line block ×4, first 2 shown]
	global_store_short_d16_hi v[4:5], v14, off offset:128
	global_store_short_d16_hi v[6:7], v15, off offset:128
	;; [unrolled: 1-line block ×4, first 2 shown]
.LBB751_19:
	s_endpgm
.LBB751_20:
	s_mov_b64 s[12:13], 0
                                        ; implicit-def: $sgpr30_sgpr31
	s_branch .LBB751_2
	.section	.rodata,"a",@progbits
	.p2align	6, 0x0
	.amdhsa_kernel _Z38paged_attention_ll4mi_QKV_mfma4_kernelI14__hip_bfloat16S0_LN4vllm18Fp8KVCacheDataTypeE0ES0_Li32ELi128ELi256ELb0ELi4EEvPKT_PKT0_S8_ifPKiSA_SA_iPKfiiiPfSD_PS3_PT2_iSC_SC_
		.amdhsa_group_segment_fixed_size 5280
		.amdhsa_private_segment_fixed_size 0
		.amdhsa_kernarg_size 400
		.amdhsa_user_sgpr_count 2
		.amdhsa_user_sgpr_dispatch_ptr 0
		.amdhsa_user_sgpr_queue_ptr 0
		.amdhsa_user_sgpr_kernarg_segment_ptr 1
		.amdhsa_user_sgpr_dispatch_id 0
		.amdhsa_user_sgpr_kernarg_preload_length 0
		.amdhsa_user_sgpr_kernarg_preload_offset 0
		.amdhsa_user_sgpr_private_segment_size 0
		.amdhsa_uses_dynamic_stack 0
		.amdhsa_enable_private_segment 0
		.amdhsa_system_sgpr_workgroup_id_x 1
		.amdhsa_system_sgpr_workgroup_id_y 1
		.amdhsa_system_sgpr_workgroup_id_z 1
		.amdhsa_system_sgpr_workgroup_info 0
		.amdhsa_system_vgpr_workitem_id 0
		.amdhsa_next_free_vgpr 100
		.amdhsa_next_free_sgpr 38
		.amdhsa_accum_offset 92
		.amdhsa_reserve_vcc 1
		.amdhsa_float_round_mode_32 0
		.amdhsa_float_round_mode_16_64 0
		.amdhsa_float_denorm_mode_32 3
		.amdhsa_float_denorm_mode_16_64 3
		.amdhsa_dx10_clamp 1
		.amdhsa_ieee_mode 1
		.amdhsa_fp16_overflow 0
		.amdhsa_tg_split 0
		.amdhsa_exception_fp_ieee_invalid_op 0
		.amdhsa_exception_fp_denorm_src 0
		.amdhsa_exception_fp_ieee_div_zero 0
		.amdhsa_exception_fp_ieee_overflow 0
		.amdhsa_exception_fp_ieee_underflow 0
		.amdhsa_exception_fp_ieee_inexact 0
		.amdhsa_exception_int_div_zero 0
	.end_amdhsa_kernel
	.section	.text._Z38paged_attention_ll4mi_QKV_mfma4_kernelI14__hip_bfloat16S0_LN4vllm18Fp8KVCacheDataTypeE0ES0_Li32ELi128ELi256ELb0ELi4EEvPKT_PKT0_S8_ifPKiSA_SA_iPKfiiiPfSD_PS3_PT2_iSC_SC_,"axG",@progbits,_Z38paged_attention_ll4mi_QKV_mfma4_kernelI14__hip_bfloat16S0_LN4vllm18Fp8KVCacheDataTypeE0ES0_Li32ELi128ELi256ELb0ELi4EEvPKT_PKT0_S8_ifPKiSA_SA_iPKfiiiPfSD_PS3_PT2_iSC_SC_,comdat
.Lfunc_end751:
	.size	_Z38paged_attention_ll4mi_QKV_mfma4_kernelI14__hip_bfloat16S0_LN4vllm18Fp8KVCacheDataTypeE0ES0_Li32ELi128ELi256ELb0ELi4EEvPKT_PKT0_S8_ifPKiSA_SA_iPKfiiiPfSD_PS3_PT2_iSC_SC_, .Lfunc_end751-_Z38paged_attention_ll4mi_QKV_mfma4_kernelI14__hip_bfloat16S0_LN4vllm18Fp8KVCacheDataTypeE0ES0_Li32ELi128ELi256ELb0ELi4EEvPKT_PKT0_S8_ifPKiSA_SA_iPKfiiiPfSD_PS3_PT2_iSC_SC_
                                        ; -- End function
	.section	.AMDGPU.csdata,"",@progbits
; Kernel info:
; codeLenInByte = 4448
; NumSgprs: 44
; NumVgprs: 90
; NumAgprs: 8
; TotalNumVgprs: 100
; ScratchSize: 0
; MemoryBound: 0
; FloatMode: 240
; IeeeMode: 1
; LDSByteSize: 5280 bytes/workgroup (compile time only)
; SGPRBlocks: 5
; VGPRBlocks: 12
; NumSGPRsForWavesPerEU: 44
; NumVGPRsForWavesPerEU: 100
; AccumOffset: 92
; Occupancy: 4
; WaveLimiterHint : 1
; COMPUTE_PGM_RSRC2:SCRATCH_EN: 0
; COMPUTE_PGM_RSRC2:USER_SGPR: 2
; COMPUTE_PGM_RSRC2:TRAP_HANDLER: 0
; COMPUTE_PGM_RSRC2:TGID_X_EN: 1
; COMPUTE_PGM_RSRC2:TGID_Y_EN: 1
; COMPUTE_PGM_RSRC2:TGID_Z_EN: 1
; COMPUTE_PGM_RSRC2:TIDIG_COMP_CNT: 0
; COMPUTE_PGM_RSRC3_GFX90A:ACCUM_OFFSET: 22
; COMPUTE_PGM_RSRC3_GFX90A:TG_SPLIT: 0
	.section	.text._Z39paged_attention_ll4mi_QKV_mfma16_kernelI14__hip_bfloat16S0_LN4vllm18Fp8KVCacheDataTypeE0ES0_Li32ELi128ELi256ELb0ELi5EEvPKT_PKT0_S8_ifPKiSA_SA_iPKfiiiPfSD_PS3_PT2_iSC_SC_,"axG",@progbits,_Z39paged_attention_ll4mi_QKV_mfma16_kernelI14__hip_bfloat16S0_LN4vllm18Fp8KVCacheDataTypeE0ES0_Li32ELi128ELi256ELb0ELi5EEvPKT_PKT0_S8_ifPKiSA_SA_iPKfiiiPfSD_PS3_PT2_iSC_SC_,comdat
	.protected	_Z39paged_attention_ll4mi_QKV_mfma16_kernelI14__hip_bfloat16S0_LN4vllm18Fp8KVCacheDataTypeE0ES0_Li32ELi128ELi256ELb0ELi5EEvPKT_PKT0_S8_ifPKiSA_SA_iPKfiiiPfSD_PS3_PT2_iSC_SC_ ; -- Begin function _Z39paged_attention_ll4mi_QKV_mfma16_kernelI14__hip_bfloat16S0_LN4vllm18Fp8KVCacheDataTypeE0ES0_Li32ELi128ELi256ELb0ELi5EEvPKT_PKT0_S8_ifPKiSA_SA_iPKfiiiPfSD_PS3_PT2_iSC_SC_
	.globl	_Z39paged_attention_ll4mi_QKV_mfma16_kernelI14__hip_bfloat16S0_LN4vllm18Fp8KVCacheDataTypeE0ES0_Li32ELi128ELi256ELb0ELi5EEvPKT_PKT0_S8_ifPKiSA_SA_iPKfiiiPfSD_PS3_PT2_iSC_SC_
	.p2align	8
	.type	_Z39paged_attention_ll4mi_QKV_mfma16_kernelI14__hip_bfloat16S0_LN4vllm18Fp8KVCacheDataTypeE0ES0_Li32ELi128ELi256ELb0ELi5EEvPKT_PKT0_S8_ifPKiSA_SA_iPKfiiiPfSD_PS3_PT2_iSC_SC_,@function
_Z39paged_attention_ll4mi_QKV_mfma16_kernelI14__hip_bfloat16S0_LN4vllm18Fp8KVCacheDataTypeE0ES0_Li32ELi128ELi256ELb0ELi5EEvPKT_PKT0_S8_ifPKiSA_SA_iPKfiiiPfSD_PS3_PT2_iSC_SC_: ; @_Z39paged_attention_ll4mi_QKV_mfma16_kernelI14__hip_bfloat16S0_LN4vllm18Fp8KVCacheDataTypeE0ES0_Li32ELi128ELi256ELb0ELi5EEvPKT_PKT0_S8_ifPKiSA_SA_iPKfiiiPfSD_PS3_PT2_iSC_SC_
; %bb.0:
	s_load_dwordx2 s[8:9], s[0:1], 0x30
	s_mov_b32 s26, s3
	s_mov_b64 s[6:7], 0
	s_waitcnt lgkmcnt(0)
	s_cmp_lg_u64 s[8:9], 0
	s_cselect_b64 s[10:11], -1, 0
	s_and_b64 vcc, exec, s[10:11]
	s_cbranch_vccz .LBB752_7
; %bb.1:
	s_add_i32 s12, s2, 1
	s_mov_b32 s13, 0
	s_lshl_b64 s[14:15], s[12:13], 2
	s_add_u32 s14, s8, s14
	s_mov_b32 s3, s13
	s_addc_u32 s15, s9, s15
	s_lshl_b64 s[12:13], s[2:3], 2
	s_add_u32 s12, s8, s12
	s_addc_u32 s13, s9, s13
	s_load_dword s5, s[14:15], 0x0
	s_load_dword s16, s[12:13], 0x0
	s_waitcnt lgkmcnt(0)
	s_sub_i32 s5, s5, s16
	s_cmp_eq_u32 s5, 1
	s_cselect_b64 s[12:13], -1, 0
	s_andn2_b64 vcc, exec, s[6:7]
	s_cbranch_vccnz .LBB752_3
.LBB752_2:
	s_mov_b32 s3, 0
	s_mov_b64 s[12:13], -1
.LBB752_3:
	s_andn2_b64 vcc, exec, s[12:13]
	s_cbranch_vccnz .LBB752_20
; %bb.4:
	s_load_dwordx2 s[6:7], s[0:1], 0x28
	s_lshl_b64 s[12:13], s[2:3], 2
	s_waitcnt lgkmcnt(0)
	s_add_u32 s6, s6, s12
	s_addc_u32 s7, s7, s13
	s_load_dword s33, s[6:7], 0x0
	s_lshl_b32 s18, s26, 8
	s_waitcnt lgkmcnt(0)
	s_cmp_ge_i32 s18, s33
	s_cbranch_scc1 .LBB752_20
; %bb.5:
	s_load_dwordx2 s[6:7], s[0:1], 0x20
	s_load_dword s5, s[0:1], 0x38
	s_add_i32 s14, s33, 31
	s_ashr_i32 s15, s14, 31
	v_and_b32_e32 v1, 0xcf, v0
	s_lshr_b32 s15, s15, 27
	v_add_u32_e32 v1, s18, v1
	s_add_i32 s14, s14, s15
	v_ashrrev_i32_e32 v2, 31, v1
	s_ashr_i32 s19, s14, 5
	v_lshrrev_b32_e32 v4, 27, v2
	s_add_i32 s19, s19, -1
	s_waitcnt lgkmcnt(0)
	s_mul_i32 s14, s2, s5
	s_mov_b32 s15, 0
	v_add_u32_e32 v2, v1, v4
	s_lshl_b64 s[14:15], s[14:15], 2
	v_ashrrev_i32_e32 v2, 5, v2
	v_mov_b32_e32 v5, s19
	v_cmp_gt_i32_e32 vcc, s33, v1
	s_add_u32 s6, s6, s14
	s_addc_u32 s7, s7, s15
	v_cndmask_b32_e32 v2, v5, v2, vcc
	v_ashrrev_i32_e32 v3, 31, v2
	v_lshl_add_u64 v[6:7], v[2:3], 2, s[6:7]
	v_or_b32_e32 v2, 16, v1
	v_add_u32_e32 v3, v2, v4
	v_ashrrev_i32_e32 v3, 5, v3
	v_cmp_gt_i32_e32 vcc, s33, v2
	s_nop 1
	v_cndmask_b32_e32 v2, v5, v3, vcc
	v_ashrrev_i32_e32 v3, 31, v2
	v_lshl_add_u64 v[8:9], v[2:3], 2, s[6:7]
	v_or_b32_e32 v2, 32, v1
	v_add_u32_e32 v3, v2, v4
	v_ashrrev_i32_e32 v3, 5, v3
	v_cmp_gt_i32_e32 vcc, s33, v2
	v_or_b32_e32 v1, 48, v1
	s_nop 0
	v_cndmask_b32_e32 v2, v5, v3, vcc
	v_ashrrev_i32_e32 v3, 31, v2
	v_lshl_add_u64 v[10:11], v[2:3], 2, s[6:7]
	v_add_u32_e32 v2, v1, v4
	v_ashrrev_i32_e32 v2, 5, v2
	v_cmp_gt_i32_e32 vcc, s33, v1
	s_nop 1
	v_cndmask_b32_e32 v2, v5, v2, vcc
	v_ashrrev_i32_e32 v3, 31, v2
	v_lshl_add_u64 v[12:13], v[2:3], 2, s[6:7]
	global_load_dword v2, v[6:7], off
	global_load_dword v5, v[8:9], off
	;; [unrolled: 1-line block ×4, first 2 shown]
	s_andn2_b64 vcc, exec, s[10:11]
	s_cbranch_vccnz .LBB752_8
; %bb.6:
	s_add_u32 s8, s8, s12
	s_addc_u32 s9, s9, s13
	s_load_dword s5, s[8:9], 0x0
	s_branch .LBB752_9
.LBB752_7:
	s_mov_b64 s[12:13], 0
	s_branch .LBB752_2
.LBB752_8:
	s_mov_b32 s5, s2
.LBB752_9:
	s_load_dwordx4 s[12:15], s[0:1], 0x8
	s_load_dwordx4 s[8:11], s[0:1], 0x48
	v_lshrrev_b32_e32 v86, 6, v0
	v_bfe_u32 v1, v0, 4, 2
	v_lshl_or_b32 v3, v86, 2, v1
	v_and_b32_e32 v76, 15, v0
	v_lshlrev_b32_e32 v74, 3, v76
	v_cmp_lt_u32_e32 vcc, 4, v3
	s_and_saveexec_b64 s[16:17], vcc
	s_xor_b64 s[16:17], exec, s[16:17]
; %bb.10:
	v_mov_b32_e32 v75, 0
                                        ; implicit-def: $vgpr3
; %bb.11:
	s_or_saveexec_b64 s[16:17], s[16:17]
	v_and_b32_e32 v77, 63, v0
	s_mul_i32 s40, s4, 5
	s_xor_b64 exec, exec, s[16:17]
	s_cbranch_execz .LBB752_13
; %bb.12:
	s_load_dwordx2 s[20:21], s[0:1], 0x0
	s_waitcnt lgkmcnt(0)
	s_ashr_i32 s11, s8, 31
	s_mul_hi_u32 s22, s5, s8
	s_mul_i32 s11, s5, s11
	s_add_i32 s23, s22, s11
	s_mul_i32 s22, s5, s8
	s_lshl_b64 s[22:23], s[22:23], 1
	s_add_u32 s20, s20, s22
	v_add_lshl_u32 v6, v3, s40, 7
	s_addc_u32 s21, s21, s23
	v_ashrrev_i32_e32 v7, 31, v6
	v_mov_b32_e32 v75, 0
	v_lshl_add_u64 v[6:7], v[6:7], 1, s[20:21]
	v_lshlrev_b32_e32 v8, 1, v74
	v_mov_b32_e32 v9, v75
	v_lshl_add_u64 v[6:7], v[6:7], 0, v[8:9]
	global_load_dwordx4 v[6:9], v[6:7], off
	v_and_b32_e32 v10, 3, v0
	v_lshlrev_b32_e32 v11, 9, v76
	v_lshlrev_b32_e32 v3, 5, v3
	;; [unrolled: 1-line block ×3, first 2 shown]
	v_and_b32_e32 v11, 0x1800, v11
	v_or3_b32 v3, v11, v10, v3
	s_waitcnt vmcnt(0)
	ds_write_b128 v3, v[6:9]
.LBB752_13:
	s_or_b64 exec, exec, s[16:17]
	s_waitcnt lgkmcnt(0)
	s_mul_i32 s4, s4, s10
	s_mov_b32 s5, 0
	s_lshl_b64 s[4:5], s[4:5], 1
	s_add_u32 s10, s12, s4
	s_addc_u32 s11, s13, s5
	s_waitcnt vmcnt(3)
	v_mad_i64_i32 v[2:3], s[12:13], v2, s9, 0
	v_lshl_add_u64 v[6:7], v[2:3], 1, s[10:11]
	v_lshlrev_b64 v[2:3], 1, v[74:75]
	v_lshlrev_b32_e32 v46, 9, v1
	v_lshl_add_u64 v[6:7], v[6:7], 0, v[2:3]
	v_mov_b32_e32 v47, 0
	v_lshl_add_u64 v[8:9], v[6:7], 0, v[46:47]
	s_load_dword s27, s[0:1], 0x98
	s_load_dword s8, s[0:1], 0x1c
	s_waitcnt lgkmcnt(0)
	s_barrier
	global_load_dwordx4 v[38:41], v[8:9], off
	s_waitcnt vmcnt(3)
	v_mad_i64_i32 v[10:11], s[12:13], v5, s9, 0
	v_mov_b32_e32 v5, 0x100
	v_lshl_add_u64 v[10:11], v[10:11], 1, s[10:11]
	v_lshl_or_b32 v50, v76, 4, v5
	v_mov_b32_e32 v51, v47
	v_lshl_add_u64 v[22:23], v[10:11], 0, v[50:51]
	v_lshl_add_u64 v[10:11], v[22:23], 0, v[46:47]
	global_load_dwordx4 v[42:45], v[10:11], off
	global_load_dwordx4 v[18:21], v[8:9], off offset:2048
	global_load_dwordx4 v[26:29], v[10:11], off offset:2048
	v_or_b32_e32 v52, 0x1000, v46
	v_mov_b32_e32 v53, v47
	v_or_b32_e32 v48, 0x1800, v46
	v_mov_b32_e32 v49, v47
	v_lshl_add_u64 v[8:9], v[6:7], 0, v[52:53]
	v_lshl_add_u64 v[6:7], v[6:7], 0, v[48:49]
	global_load_dwordx4 v[14:17], v[8:9], off
	global_load_dwordx4 v[10:13], v[6:7], off
	v_lshl_add_u64 v[8:9], v[22:23], 0, v[52:53]
	global_load_dwordx4 v[30:33], v[8:9], off
	s_waitcnt vmcnt(8)
	v_mad_i64_i32 v[4:5], s[12:13], v4, s9, 0
	v_lshl_add_u64 v[4:5], v[4:5], 1, s[10:11]
	v_lshl_add_u64 v[56:57], v[4:5], 0, v[2:3]
	v_mul_lo_u16_e32 v2, 52, v76
	v_mov_b32_e32 v3, 5
	v_mul_lo_u16_sdwa v2, v2, v3 dst_sel:DWORD dst_unused:UNUSED_PAD src0_sel:BYTE_1 src1_sel:DWORD
	v_sub_u16_e32 v2, v76, v2
	v_and_b32_e32 v2, 0xff, v2
	v_lshl_add_u64 v[6:7], v[22:23], 0, v[48:49]
	global_load_dwordx4 v[22:25], v[6:7], off
	v_lshl_add_u64 v[54:55], v[56:57], 0, v[46:47]
	v_lshl_add_u32 v59, v2, 5, v46
	global_load_dwordx4 v[34:37], v[54:55], off
	ds_read_b128 v[6:9], v59
	ds_read_b128 v[2:5], v59 offset:2048
	v_and_or_b32 v72, v0, 48, s18
	v_or_b32_e32 v80, 64, v72
	v_mov_b32_e32 v73, s19
	v_cmp_gt_i32_e32 vcc, s33, v72
	v_or_b32_e32 v81, 0x80, v72
	v_or_b32_e32 v84, 0xc0, v72
	s_mov_b32 s41, 0xff7fffff
	s_waitcnt vmcnt(7) lgkmcnt(1)
	v_mfma_f32_16x16x16_bf16 v[64:67], v[42:43], v[6:7], 0
	v_mfma_f32_16x16x16_bf16 v[60:63], v[38:39], v[6:7], 0
	v_mad_i64_i32 v[38:39], s[12:13], v58, s9, 0
	v_lshl_add_u64 v[68:69], v[38:39], 1, s[10:11]
	v_mfma_f32_16x16x16_bf16 v[60:63], v[40:41], v[8:9], v[60:63]
	v_lshl_add_u64 v[82:83], v[68:69], 0, v[50:51]
	v_lshl_add_u64 v[50:51], v[56:57], 0, v[52:53]
	s_ashr_i32 s12, s18, 31
	v_mfma_f32_16x16x16_bf16 v[64:67], v[44:45], v[8:9], v[64:67]
	ds_read_b128 v[42:45], v59 offset:4096
	ds_read_b128 v[38:41], v59 offset:6144
	v_lshl_add_u64 v[78:79], v[82:83], 0, v[52:53]
	global_load_dwordx4 v[50:53], v[50:51], off
	s_waitcnt vmcnt(7) lgkmcnt(2)
	v_mfma_f32_16x16x16_bf16 v[58:61], v[18:19], v[2:3], v[60:63]
	s_lshr_b32 s10, s12, 27
	v_add_u32_e32 v68, s10, v72
	v_add_u32_e32 v69, s10, v80
	s_waitcnt vmcnt(6)
	v_mfma_f32_16x16x16_bf16 v[62:65], v[26:27], v[2:3], v[64:67]
	v_lshl_add_u64 v[70:71], v[82:83], 0, v[46:47]
	v_ashrrev_i32_e32 v46, 5, v68
	v_add_u32_e32 v85, s10, v81
	v_lshl_add_u64 v[66:67], v[56:57], 0, v[48:49]
	global_load_dwordx4 v[54:57], v[54:55], off offset:2048
	v_mfma_f32_16x16x16_bf16 v[18:21], v[20:21], v[4:5], v[58:61]
	v_add_u32_e32 v87, s10, v84
	s_add_u32 s4, s14, s4
	s_addc_u32 s5, s15, s5
	v_mfma_f32_16x16x16_bf16 v[26:29], v[28:29], v[4:5], v[62:65]
	v_ashrrev_i32_e32 v58, 5, v69
	s_waitcnt vmcnt(6) lgkmcnt(1)
	v_mfma_f32_16x16x16_bf16 v[18:21], v[14:15], v[42:43], v[18:21]
	v_cndmask_b32_e32 v14, v73, v46, vcc
	v_cmp_gt_i32_e32 vcc, s33, v80
	v_ashrrev_i32_e32 v15, 31, v14
	s_waitcnt vmcnt(4)
	v_mfma_f32_16x16x16_bf16 v[26:29], v[30:31], v[42:43], v[26:29]
	v_cndmask_b32_e32 v30, v73, v58, vcc
	v_ashrrev_i32_e32 v31, 31, v30
	v_lshl_add_u64 v[14:15], v[14:15], 2, s[6:7]
	v_lshl_add_u64 v[30:31], v[30:31], 2, s[6:7]
	global_load_dword v92, v[14:15], off
	global_load_dword v93, v[30:31], off
	v_mfma_f32_16x16x16_bf16 v[14:17], v[16:17], v[44:45], v[18:21]
	global_load_dwordx4 v[58:61], v[70:71], off
	v_ashrrev_i32_e32 v62, 5, v85
	v_cmp_gt_i32_e32 vcc, s33, v81
	global_load_dwordx4 v[18:21], v[66:67], off
	s_waitcnt lgkmcnt(0)
	v_mfma_f32_16x16x16_bf16 v[14:17], v[10:11], v[38:39], v[14:17]
	v_cndmask_b32_e32 v10, v73, v62, vcc
	global_load_dwordx4 v[62:65], v[70:71], off offset:2048
	v_ashrrev_i32_e32 v11, 31, v10
	v_lshl_add_u64 v[10:11], v[10:11], 2, s[6:7]
	global_load_dword v94, v[10:11], off
	v_mfma_f32_16x16x16_bf16 v[66:69], v[12:13], v[40:41], v[14:17]
	global_load_dwordx4 v[78:81], v[78:79], off
	v_ashrrev_i32_e32 v85, 5, v87
	v_cmp_gt_i32_e32 vcc, s33, v84
	v_lshl_add_u64 v[14:15], v[82:83], 0, v[48:49]
	global_load_dwordx4 v[88:91], v[14:15], off
	v_cndmask_b32_e32 v10, v73, v85, vcc
	v_ashrrev_i32_e32 v11, 31, v10
	v_lshl_add_u64 v[10:11], v[10:11], 2, s[6:7]
	global_load_dword v84, v[10:11], off
	s_waitcnt vmcnt(11)
	v_mfma_f32_16x16x16_bf16 v[10:13], v[34:35], v[6:7], 0
	v_and_b32_e32 v14, 16, v0
	v_lshlrev_b32_e32 v46, 1, v14
	v_lshl_or_b32 v87, v86, 4, v76
	v_mfma_f32_16x16x16_bf16 v[10:13], v[36:37], v[8:9], v[10:13]
	v_lshl_add_u64 v[36:37], s[4:5], 0, v[46:47]
	v_lshlrev_b32_e32 v46, 6, v87
	v_lshl_add_u64 v[48:49], v[36:37], 0, v[46:47]
	v_mfma_f32_16x16x16_bf16 v[26:29], v[32:33], v[44:45], v[26:29]
	v_or_b32_e32 v46, 0x1000, v46
	s_waitcnt vmcnt(8)
	v_mad_i64_i32 v[14:15], s[4:5], v92, s9, 0
	v_mfma_f32_16x16x16_bf16 v[10:13], v[54:55], v[2:3], v[10:13]
	v_lshlrev_b64 v[82:83], 1, v[14:15]
	v_lshl_add_u64 v[14:15], v[48:49], 0, v[82:83]
	v_mfma_f32_16x16x16_bf16 v[10:13], v[56:57], v[4:5], v[10:13]
	v_mfma_f32_16x16x16_bf16 v[10:13], v[50:51], v[42:43], v[10:13]
	;; [unrolled: 1-line block ×4, first 2 shown]
	s_waitcnt vmcnt(5)
	v_mfma_f32_16x16x16_bf16 v[10:13], v[18:19], v[38:39], v[10:13]
	v_mfma_f32_16x16x16_bf16 v[70:73], v[24:25], v[40:41], v[26:29]
	global_load_dwordx4 v[30:33], v[14:15], off
	s_nop 2
	global_load_dwordx4 v[26:29], v[14:15], off offset:16
	v_mad_i64_i32 v[14:15], s[4:5], v93, s9, 0
	v_lshlrev_b64 v[34:35], 1, v[14:15]
	v_mfma_f32_16x16x16_bf16 v[54:57], v[20:21], v[40:41], v[10:13]
	v_pk_mul_f32 v[70:71], s[8:9], v[70:71] op_sel_hi:[0,1]
	s_nop 1
	v_lshl_add_u64 v[10:11], v[48:49], 0, v[34:35]
	global_load_dwordx4 v[22:25], v[10:11], off
	global_load_dwordx4 v[18:21], v[10:11], off offset:16
	v_mfma_f32_16x16x16_bf16 v[10:13], v[58:59], v[6:7], 0
	s_waitcnt vmcnt(7)
	v_mad_i64_i32 v[6:7], s[4:5], v94, s9, 0
	v_lshlrev_b64 v[50:51], 1, v[6:7]
	v_mfma_f32_16x16x16_bf16 v[6:9], v[60:61], v[8:9], v[10:13]
	v_mfma_f32_16x16x16_bf16 v[6:9], v[62:63], v[2:3], v[6:9]
	s_waitcnt vmcnt(4)
	v_mad_i64_i32 v[2:3], s[4:5], v84, s9, 0
	v_pk_mul_f32 v[84:85], s[8:9], v[72:73] op_sel_hi:[0,1]
	v_mfma_f32_16x16x16_bf16 v[58:61], v[64:65], v[4:5], v[6:9]
	v_lshl_add_u64 v[64:65], v[36:37], 0, v[46:47]
	v_pk_mul_f32 v[62:63], s[8:9], v[66:67] op_sel_hi:[0,1]
	v_lshl_add_u64 v[92:93], v[64:65], 0, v[82:83]
	v_mfma_f32_16x16x16_bf16 v[58:61], v[78:79], v[42:43], v[58:61]
	v_pk_mul_f32 v[82:83], s[8:9], v[68:69] op_sel_hi:[0,1]
	v_pk_mul_f32 v[78:79], s[8:9], v[54:55] op_sel_hi:[0,1]
	v_lshlrev_b64 v[52:53], 1, v[2:3]
	v_mfma_f32_16x16x16_bf16 v[42:45], v[80:81], v[44:45], v[58:61]
	v_pk_mul_f32 v[80:81], s[8:9], v[56:57] op_sel_hi:[0,1]
	v_lshl_add_u64 v[10:11], v[48:49], 0, v[50:51]
	v_lshl_add_u64 v[2:3], v[48:49], 0, v[52:53]
	v_mfma_f32_16x16x16_bf16 v[36:39], v[88:89], v[38:39], v[42:45]
	v_lshl_add_u64 v[34:35], v[64:65], 0, v[34:35]
	v_lshl_add_u64 v[50:51], v[64:65], 0, v[50:51]
	global_load_dwordx4 v[14:17], v[10:11], off
	s_nop 0
	global_load_dwordx4 v[10:13], v[10:11], off offset:16
	v_mfma_f32_16x16x16_bf16 v[36:39], v[90:91], v[40:41], v[36:39]
	global_load_dwordx4 v[6:9], v[2:3], off
	s_nop 0
	global_load_dwordx4 v[2:5], v[2:3], off offset:16
	s_nop 3
	v_pk_mul_f32 v[72:73], s[8:9], v[36:37] op_sel_hi:[0,1]
	v_and_b32_e32 v36, 0xc0, v0
	v_add_u32_e32 v36, s18, v36
	v_lshl_or_b32 v36, v1, 2, v36
	v_pk_mul_f32 v[66:67], s[8:9], v[38:39] op_sel_hi:[0,1]
	v_or_b32_e32 v39, 1, v36
	v_mov_b32_e32 v37, 0xff7fffff
	v_cmp_gt_i32_e64 s[28:29], s33, v36
	v_cmp_gt_i32_e64 s[30:31], s33, v39
	v_or_b32_e32 v40, 3, v36
	v_cndmask_b32_e64 v38, v37, v62, s[28:29]
	v_cndmask_b32_e64 v39, v37, v63, s[30:31]
	v_max3_f32 v38, v38, s41, v39
	v_or_b32_e32 v39, 2, v36
	v_cmp_gt_i32_e64 s[34:35], s33, v39
	v_cmp_gt_i32_e64 s[36:37], s33, v40
	s_nop 0
	v_cndmask_b32_e64 v39, v37, v82, s[34:35]
	v_cndmask_b32_e64 v40, v37, v83, s[36:37]
	v_max3_f32 v38, v38, v39, v40
	v_or_b32_e32 v39, 16, v36
	v_or_b32_e32 v40, 17, v36
	v_cmp_gt_i32_e64 s[22:23], s33, v39
	v_cmp_gt_i32_e64 s[24:25], s33, v40
	s_nop 0
	v_cndmask_b32_e64 v39, v37, v70, s[22:23]
	v_cndmask_b32_e64 v40, v37, v71, s[24:25]
	v_max3_f32 v38, v38, v39, v40
	v_or_b32_e32 v39, 18, v36
	;; [unrolled: 8-line block ×6, first 2 shown]
	v_or_b32_e32 v36, 51, v36
	v_cmp_gt_i32_e32 vcc, s33, v39
	v_cmp_gt_i32_e64 s[4:5], s33, v36
	s_nop 0
	v_cndmask_b32_e32 v39, v37, v66, vcc
	v_cndmask_b32_e64 v36, v37, v67, s[4:5]
	v_max3_f32 v54, v38, v39, v36
	v_mbcnt_lo_u32_b32 v36, -1, 0
	v_mbcnt_hi_u32_b32 v55, -1, v36
	v_and_b32_e32 v36, 64, v55
	v_add_u32_e32 v56, 64, v36
	v_xor_b32_e32 v36, 32, v55
	v_cmp_lt_i32_e64 s[38:39], v36, v56
	global_load_dwordx4 v[46:49], v[92:93], off
	global_load_dwordx4 v[38:41], v[92:93], off offset:16
	v_cndmask_b32_e64 v36, v55, v36, s[38:39]
	v_lshlrev_b32_e32 v89, 2, v36
	ds_bpermute_b32 v57, v89, v54
	global_load_dwordx4 v[42:45], v[34:35], off
	s_nop 0
	global_load_dwordx4 v[34:37], v[34:35], off offset:16
	s_waitcnt lgkmcnt(0)
	v_max_f32_e32 v57, v57, v57
	v_max_f32_e32 v68, v54, v57
	v_xor_b32_e32 v54, 16, v55
	v_cmp_lt_i32_e64 s[38:39], v54, v56
	s_nop 1
	v_cndmask_b32_e64 v54, v55, v54, s[38:39]
	v_lshlrev_b32_e32 v90, 2, v54
	ds_bpermute_b32 v69, v90, v68
	global_load_dwordx4 v[58:61], v[50:51], off
	global_load_dwordx4 v[54:57], v[50:51], off offset:16
	v_lshl_add_u64 v[50:51], v[64:65], 0, v[52:53]
	s_waitcnt lgkmcnt(0)
	v_max_f32_e32 v52, v69, v69
	v_max_f32_e32 v88, v68, v52
	v_sub_f32_e32 v52, v62, v88
	v_mul_f32_e32 v52, 0x3fb8aa3b, v52
	v_exp_f32_e32 v68, v52
	v_sub_f32_e32 v52, v63, v88
	v_mul_f32_e32 v52, 0x3fb8aa3b, v52
	v_exp_f32_e32 v69, v52
	global_load_dwordx4 v[62:65], v[50:51], off
	s_nop 0
	global_load_dwordx4 v[50:53], v[50:51], off offset:16
	v_sub_f32_e32 v82, v82, v88
	v_mul_f32_e32 v82, 0x3fb8aa3b, v82
	v_sub_f32_e32 v83, v83, v88
	v_exp_f32_e32 v82, v82
	v_mul_f32_e32 v83, 0x3fb8aa3b, v83
	v_sub_f32_e32 v70, v70, v88
	v_exp_f32_e32 v83, v83
	v_mul_f32_e32 v70, 0x3fb8aa3b, v70
	v_sub_f32_e32 v71, v71, v88
	v_cndmask_b32_e64 v68, 0, v68, s[28:29]
	v_exp_f32_e32 v70, v70
	v_mul_f32_e32 v71, 0x3fb8aa3b, v71
	v_sub_f32_e32 v84, v84, v88
	v_add_f32_e32 v91, 0, v68
	v_cndmask_b32_e64 v69, 0, v69, s[30:31]
	v_exp_f32_e32 v71, v71
	v_mul_f32_e32 v84, 0x3fb8aa3b, v84
	v_sub_f32_e32 v85, v85, v88
	v_add_f32_e32 v91, v91, v69
	;; [unrolled: 5-line block ×10, first 2 shown]
	v_cndmask_b32_e64 v80, 0, v80, s[10:11]
	v_exp_f32_e32 v66, v66
	v_mul_f32_e32 v67, 0x3fb8aa3b, v67
	v_add_f32_e32 v91, v91, v80
	v_cndmask_b32_e64 v81, 0, v81, s[12:13]
	v_exp_f32_e32 v67, v67
	v_add_f32_e32 v91, v91, v81
	v_cndmask_b32_e64 v72, 0, v72, s[6:7]
	v_add_f32_e32 v91, v91, v72
	v_cndmask_b32_e64 v73, 0, v73, s[8:9]
	v_add_f32_e32 v91, v91, v73
	v_cndmask_b32_e32 v66, 0, v66, vcc
	v_add_f32_e32 v91, v91, v66
	v_cndmask_b32_e64 v67, 0, v67, s[4:5]
	v_add_f32_e32 v91, v91, v67
	ds_bpermute_b32 v89, v89, v91
	v_cmp_gt_u32_e64 s[4:5], 16, v77
	s_waitcnt lgkmcnt(0)
	s_barrier
	v_add_f32_e32 v89, v91, v89
	ds_bpermute_b32 v90, v90, v89
	s_and_saveexec_b64 s[6:7], s[4:5]
	s_cbranch_execz .LBB752_15
; %bb.14:
	s_waitcnt lgkmcnt(0)
	v_add_f32_e32 v77, v89, v90
	v_lshlrev_b32_e32 v87, 2, v87
	ds_write2st64_b32 v87, v88, v77 offset1:1
.LBB752_15:
	s_or_b64 exec, exec, s[6:7]
	v_lshlrev_b32_e32 v77, 2, v76
	s_load_dword s8, s[0:1], 0x94
	s_waitcnt lgkmcnt(0)
	s_barrier
	ds_read2_b32 v[88:89], v77 offset1:16
	ds_read2_b32 v[90:91], v77 offset0:32 offset1:48
	ds_read2_b32 v[92:93], v77 offset0:64 offset1:80
	;; [unrolled: 1-line block ×3, first 2 shown]
	s_movk_i32 s10, 0x7fff
	s_waitcnt lgkmcnt(3)
	v_max3_f32 v87, v88, s41, v89
	s_waitcnt lgkmcnt(2)
	v_max3_f32 v87, v87, v90, v91
	v_sub_f32_e32 v88, v88, v87
	v_mul_f32_e32 v88, 0x3fb8aa3b, v88
	v_exp_f32_e32 v86, v88
	v_sub_f32_e32 v88, v89, v87
	v_mul_f32_e32 v88, 0x3fb8aa3b, v88
	v_exp_f32_e32 v89, v88
	v_sub_f32_e32 v88, v90, v87
	v_mul_f32_e32 v88, 0x3fb8aa3b, v88
	v_sub_f32_e32 v77, v91, v87
	v_exp_f32_e32 v90, v88
	v_mul_f32_e32 v77, 0x3fb8aa3b, v77
	v_exp_f32_e32 v77, v77
	s_waitcnt lgkmcnt(1)
	v_fma_f32 v88, v86, v92, 0
	v_fmac_f32_e32 v88, v89, v93
	s_waitcnt lgkmcnt(0)
	v_fmac_f32_e32 v88, v90, v94
	v_fmac_f32_e32 v88, v77, v95
	v_add_f32_e32 v91, 0x358637bd, v88
	v_div_scale_f32 v92, s[6:7], v91, v91, 1.0
	v_rcp_f32_e32 v93, v92
	s_mov_b32 s11, 0x7060302
	s_barrier
	v_fma_f32 v94, -v92, v93, 1.0
	v_fmac_f32_e32 v93, v94, v93
	v_div_scale_f32 v94, vcc, 1.0, v91, 1.0
	v_mul_f32_e32 v95, v94, v93
	v_fma_f32 v1, -v92, v95, v94
	v_fmac_f32_e32 v95, v1, v93
	v_fma_f32 v1, -v92, v95, v94
	v_div_fmas_f32 v1, v1, v93, v95
	v_div_fixup_f32 v1, v1, v91, 1.0
	v_lshrrev_b32_e32 v91, 6, v0
	v_cmp_eq_u32_e32 vcc, 1, v91
	s_mul_i32 s9, s27, 5
	s_nop 0
	v_cndmask_b32_e32 v86, v86, v89, vcc
	v_cmp_eq_u32_e32 vcc, 2, v91
	s_nop 1
	v_cndmask_b32_e32 v86, v86, v90, vcc
	v_cmp_eq_u32_e32 vcc, 3, v91
	s_nop 1
	v_cndmask_b32_e32 v77, v86, v77, vcc
	v_mul_f32_e32 v90, v77, v1
	v_pk_mul_f32 v[68:69], v[90:91], v[68:69] op_sel_hi:[0,1]
	v_bfe_u32 v1, v69, 16, 1
	v_bfe_u32 v77, v68, 16, 1
	v_pk_mul_f32 v[82:83], v[90:91], v[82:83] op_sel_hi:[0,1]
	v_add3_u32 v68, v68, v77, s10
	v_add3_u32 v1, v69, v1, s10
	v_perm_b32 v92, v1, v68, s11
	v_bfe_u32 v1, v83, 16, 1
	v_bfe_u32 v68, v82, 16, 1
	v_add3_u32 v68, v82, v68, s10
	v_add3_u32 v1, v83, v1, s10
	v_bfe_u32 v86, v0, 4, 2
	v_perm_b32 v93, v1, v68, s11
	v_lshlrev_b32_e32 v1, 3, v86
	v_lshlrev_b32_e32 v68, 5, v76
	;; [unrolled: 1-line block ×3, first 2 shown]
	v_pk_mul_f32 v[70:71], v[90:91], v[70:71] op_sel_hi:[0,1]
	v_or3_b32 v1, v69, v68, v1
	v_bfe_u32 v69, v71, 16, 1
	v_bfe_u32 v77, v70, 16, 1
	v_pk_mul_f32 v[82:83], v[90:91], v[84:85] op_sel_hi:[0,1]
	v_add3_u32 v70, v70, v77, s10
	v_add3_u32 v69, v71, v69, s10
	v_perm_b32 v70, v69, v70, s11
	v_bfe_u32 v69, v83, 16, 1
	v_bfe_u32 v71, v82, 16, 1
	v_add3_u32 v71, v82, v71, s10
	v_add3_u32 v69, v83, v69, s10
	v_pk_mul_f32 v[78:79], v[90:91], v[78:79] op_sel_hi:[0,1]
	v_perm_b32 v71, v69, v71, s11
	v_bfe_u32 v69, v79, 16, 1
	v_bfe_u32 v77, v78, 16, 1
	ds_write2st64_b64 v1, v[92:93], v[70:71] offset1:1
	v_pk_mul_f32 v[70:71], v[90:91], v[80:81] op_sel_hi:[0,1]
	v_add3_u32 v77, v78, v77, s10
	v_add3_u32 v69, v79, v69, s10
	v_perm_b32 v78, v69, v77, s11
	v_bfe_u32 v69, v71, 16, 1
	v_bfe_u32 v77, v70, 16, 1
	v_add3_u32 v70, v70, v77, s10
	v_add3_u32 v69, v71, v69, s10
	v_perm_b32 v79, v69, v70, s11
	v_pk_mul_f32 v[70:71], v[90:91], v[72:73] op_sel_hi:[0,1]
	v_bfe_u32 v69, v71, 16, 1
	v_bfe_u32 v72, v70, 16, 1
	v_pk_mul_f32 v[66:67], v[90:91], v[66:67] op_sel_hi:[0,1]
	v_add3_u32 v70, v70, v72, s10
	v_add3_u32 v69, v71, v69, s10
	v_perm_b32 v70, v69, v70, s11
	v_bfe_u32 v69, v67, 16, 1
	v_bfe_u32 v71, v66, 16, 1
	v_add3_u32 v66, v66, v71, s10
	v_add3_u32 v67, v67, v69, s10
	v_perm_b32 v71, v67, v66, s11
	v_cmp_gt_u32_e32 vcc, 5, v0
	ds_write2st64_b64 v1, v[78:79], v[70:71] offset0:2 offset1:3
	s_and_saveexec_b64 s[6:7], vcc
	s_cbranch_execz .LBB752_17
; %bb.16:
	s_mov_b32 s41, 0
	v_mov_b32_e32 v77, 0
	v_lshl_add_u64 v[66:67], s[40:41], 0, v[76:77]
	v_mov_b32_e32 v69, s9
	v_mad_u64_u32 v[66:67], s[16:17], s2, v69, v[66:67]
	s_mul_i32 s3, s3, s9
	v_mov_b32_e32 v70, s26
	v_mov_b32_e32 v71, v77
	s_load_dwordx4 s[12:15], s[0:1], 0x58
	v_add_u32_e32 v69, s3, v67
	v_mad_u64_u32 v[66:67], s[16:17], v66, s8, v[70:71]
	v_mov_b32_e32 v70, v67
	v_mad_u64_u32 v[70:71], s[16:17], v69, s8, v[70:71]
	v_mov_b32_e32 v67, v70
	v_lshlrev_b64 v[66:67], 2, v[66:67]
	s_waitcnt lgkmcnt(0)
	v_lshl_add_u64 v[70:71], s[14:15], 0, v[66:67]
	v_lshl_add_u64 v[66:67], s[12:13], 0, v[66:67]
	global_store_dword v[70:71], v87, off
	global_store_dword v[66:67], v88, off
.LBB752_17:
	s_or_b64 exec, exec, s[6:7]
	v_lshl_or_b32 v77, v86, 9, v68
	s_waitcnt lgkmcnt(0)
	s_barrier
	ds_read_b128 v[70:73], v77
	ds_read_b128 v[66:69], v77 offset:16
	s_waitcnt vmcnt(15) lgkmcnt(1)
	v_mfma_f32_16x16x16_bf16 v[78:81], v[30:31], v[70:71], 0
	s_mov_b32 s3, 0
	v_cmp_gt_u32_e32 vcc, 64, v0
	v_mfma_f32_16x16x16_bf16 v[30:33], v[32:33], v[72:73], v[78:81]
	s_waitcnt vmcnt(14) lgkmcnt(0)
	v_mfma_f32_16x16x16_bf16 v[30:33], v[26:27], v[66:67], v[30:33]
	v_mfma_f32_16x16x16_bf16 v[26:29], v[28:29], v[68:69], v[30:33]
	s_nop 5
	ds_read_b128 v[30:33], v77 offset:2048
	ds_read_b128 v[78:81], v77 offset:2064
	s_waitcnt vmcnt(13) lgkmcnt(1)
	v_mfma_f32_16x16x16_bf16 v[26:29], v[22:23], v[30:31], v[26:29]
	v_mfma_f32_16x16x16_bf16 v[22:25], v[24:25], v[32:33], v[26:29]
	s_waitcnt vmcnt(12) lgkmcnt(0)
	v_mfma_f32_16x16x16_bf16 v[22:25], v[18:19], v[78:79], v[22:25]
	v_mfma_f32_16x16x16_bf16 v[18:21], v[20:21], v[80:81], v[22:25]
	s_nop 5
	ds_read_b128 v[22:25], v77 offset:4096
	ds_read_b128 v[26:29], v77 offset:4112
	s_waitcnt vmcnt(11) lgkmcnt(1)
	v_mfma_f32_16x16x16_bf16 v[18:21], v[14:15], v[22:23], v[18:21]
	v_mfma_f32_16x16x16_bf16 v[14:17], v[16:17], v[24:25], v[18:21]
	s_waitcnt vmcnt(10) lgkmcnt(0)
	v_mfma_f32_16x16x16_bf16 v[14:17], v[10:11], v[26:27], v[14:17]
	v_mfma_f32_16x16x16_bf16 v[10:13], v[12:13], v[28:29], v[14:17]
	s_nop 5
	ds_read_b128 v[14:17], v77 offset:6144
	ds_read_b128 v[18:21], v77 offset:6160
	s_waitcnt lgkmcnt(0)
	s_barrier
	s_waitcnt vmcnt(9)
	v_mfma_f32_16x16x16_bf16 v[10:13], v[6:7], v[14:15], v[10:13]
	v_mfma_f32_16x16x16_bf16 v[6:9], v[8:9], v[16:17], v[10:13]
	s_waitcnt vmcnt(8)
	v_mfma_f32_16x16x16_bf16 v[6:9], v[2:3], v[18:19], v[6:9]
	v_mfma_f32_16x16x16_bf16 v[2:5], v[4:5], v[20:21], v[6:9]
	;; [unrolled: 3-line block ×3, first 2 shown]
	s_nop 3
	v_bfe_u32 v10, v3, 16, 1
	v_bfe_u32 v11, v2, 16, 1
	v_add3_u32 v2, v2, v11, s10
	s_waitcnt vmcnt(6)
	v_mfma_f32_16x16x16_bf16 v[6:9], v[38:39], v[66:67], v[6:9]
	v_add3_u32 v3, v3, v10, s10
	v_perm_b32 v10, v3, v2, s11
	v_bfe_u32 v2, v5, 16, 1
	v_mfma_f32_16x16x16_bf16 v[6:9], v[40:41], v[68:69], v[6:9]
	v_bfe_u32 v3, v4, 16, 1
	v_add3_u32 v3, v4, v3, s10
	v_add3_u32 v2, v5, v2, s10
	s_waitcnt vmcnt(5)
	v_mfma_f32_16x16x16_bf16 v[6:9], v[42:43], v[30:31], v[6:9]
	v_perm_b32 v11, v2, v3, s11
	v_mfma_f32_16x16x16_bf16 v[6:9], v[44:45], v[32:33], v[6:9]
	s_waitcnt vmcnt(4)
	v_mfma_f32_16x16x16_bf16 v[6:9], v[34:35], v[78:79], v[6:9]
	v_mfma_f32_16x16x16_bf16 v[6:9], v[36:37], v[80:81], v[6:9]
	s_waitcnt vmcnt(3)
	v_mfma_f32_16x16x16_bf16 v[6:9], v[58:59], v[22:23], v[6:9]
	;; [unrolled: 3-line block ×5, first 2 shown]
	v_mfma_f32_16x16x16_bf16 v[2:5], v[52:53], v[20:21], v[6:9]
	s_nop 6
	v_bfe_u32 v6, v3, 16, 1
	v_bfe_u32 v7, v2, 16, 1
	v_add3_u32 v2, v2, v7, s10
	v_add3_u32 v3, v3, v6, s10
	v_perm_b32 v2, v3, v2, s11
	v_bfe_u32 v3, v5, 16, 1
	v_bfe_u32 v6, v4, 16, 1
	v_add3_u32 v4, v4, v6, s10
	v_add3_u32 v3, v5, v3, s10
	v_perm_b32 v3, v3, v4, s11
	ds_write2st64_b64 v1, v[10:11], v[2:3] offset1:1
	s_waitcnt lgkmcnt(0)
	s_barrier
	s_and_saveexec_b64 s[6:7], vcc
	s_cbranch_execz .LBB752_20
; %bb.18:
	s_load_dwordx2 s[6:7], s[0:1], 0x68
	s_lshl_b32 s0, s8, 7
	s_mul_i32 s1, s9, s2
	v_lshlrev_b32_e32 v3, 6, v76
	s_mul_hi_u32 s9, s1, s0
	s_mul_i32 s8, s1, s0
	v_lshlrev_b32_e32 v2, 4, v0
	v_lshl_or_b32 v0, v0, 10, v3
	s_lshl_b64 s[8:9], s[8:9], 1
	v_lshlrev_b32_e32 v1, 5, v86
	v_and_b32_e32 v2, 16, v2
	v_and_b32_e32 v0, 0x1a00, v0
	s_waitcnt lgkmcnt(0)
	s_add_u32 s1, s6, s8
	v_or3_b32 v2, v0, v1, v2
	s_addc_u32 s6, s7, s9
	s_lshl_b32 s2, s26, 7
	s_lshl_b64 s[2:3], s[2:3], 1
	ds_read_b128 v[4:7], v2
	s_add_u32 s2, s1, s2
	s_addc_u32 s3, s6, s3
	v_add_u32_e32 v3, s40, v86
	v_lshl_add_u64 v[0:1], v[74:75], 1, s[2:3]
	v_mad_u64_u32 v[8:9], s[2:3], v3, s0, 0
	v_lshl_add_u64 v[8:9], v[8:9], 1, v[0:1]
	s_waitcnt lgkmcnt(0)
	global_store_dwordx4 v[8:9], v[4:7], off
	s_and_b64 exec, exec, s[4:5]
	s_cbranch_execz .LBB752_20
; %bb.19:
	ds_read_b128 v[2:5], v2 offset:128
	v_add3_u32 v6, s40, v86, 4
	v_mad_u64_u32 v[6:7], s[0:1], v6, s0, 0
	v_lshl_add_u64 v[0:1], v[6:7], 1, v[0:1]
	s_waitcnt lgkmcnt(0)
	global_store_dwordx4 v[0:1], v[2:5], off
.LBB752_20:
	s_endpgm
	.section	.rodata,"a",@progbits
	.p2align	6, 0x0
	.amdhsa_kernel _Z39paged_attention_ll4mi_QKV_mfma16_kernelI14__hip_bfloat16S0_LN4vllm18Fp8KVCacheDataTypeE0ES0_Li32ELi128ELi256ELb0ELi5EEvPKT_PKT0_S8_ifPKiSA_SA_iPKfiiiPfSD_PS3_PT2_iSC_SC_
		.amdhsa_group_segment_fixed_size 8192
		.amdhsa_private_segment_fixed_size 0
		.amdhsa_kernarg_size 400
		.amdhsa_user_sgpr_count 2
		.amdhsa_user_sgpr_dispatch_ptr 0
		.amdhsa_user_sgpr_queue_ptr 0
		.amdhsa_user_sgpr_kernarg_segment_ptr 1
		.amdhsa_user_sgpr_dispatch_id 0
		.amdhsa_user_sgpr_kernarg_preload_length 0
		.amdhsa_user_sgpr_kernarg_preload_offset 0
		.amdhsa_user_sgpr_private_segment_size 0
		.amdhsa_uses_dynamic_stack 0
		.amdhsa_enable_private_segment 0
		.amdhsa_system_sgpr_workgroup_id_x 1
		.amdhsa_system_sgpr_workgroup_id_y 1
		.amdhsa_system_sgpr_workgroup_id_z 1
		.amdhsa_system_sgpr_workgroup_info 0
		.amdhsa_system_vgpr_workitem_id 0
		.amdhsa_next_free_vgpr 96
		.amdhsa_next_free_sgpr 42
		.amdhsa_accum_offset 96
		.amdhsa_reserve_vcc 1
		.amdhsa_float_round_mode_32 0
		.amdhsa_float_round_mode_16_64 0
		.amdhsa_float_denorm_mode_32 3
		.amdhsa_float_denorm_mode_16_64 3
		.amdhsa_dx10_clamp 1
		.amdhsa_ieee_mode 1
		.amdhsa_fp16_overflow 0
		.amdhsa_tg_split 0
		.amdhsa_exception_fp_ieee_invalid_op 0
		.amdhsa_exception_fp_denorm_src 0
		.amdhsa_exception_fp_ieee_div_zero 0
		.amdhsa_exception_fp_ieee_overflow 0
		.amdhsa_exception_fp_ieee_underflow 0
		.amdhsa_exception_fp_ieee_inexact 0
		.amdhsa_exception_int_div_zero 0
	.end_amdhsa_kernel
	.section	.text._Z39paged_attention_ll4mi_QKV_mfma16_kernelI14__hip_bfloat16S0_LN4vllm18Fp8KVCacheDataTypeE0ES0_Li32ELi128ELi256ELb0ELi5EEvPKT_PKT0_S8_ifPKiSA_SA_iPKfiiiPfSD_PS3_PT2_iSC_SC_,"axG",@progbits,_Z39paged_attention_ll4mi_QKV_mfma16_kernelI14__hip_bfloat16S0_LN4vllm18Fp8KVCacheDataTypeE0ES0_Li32ELi128ELi256ELb0ELi5EEvPKT_PKT0_S8_ifPKiSA_SA_iPKfiiiPfSD_PS3_PT2_iSC_SC_,comdat
.Lfunc_end752:
	.size	_Z39paged_attention_ll4mi_QKV_mfma16_kernelI14__hip_bfloat16S0_LN4vllm18Fp8KVCacheDataTypeE0ES0_Li32ELi128ELi256ELb0ELi5EEvPKT_PKT0_S8_ifPKiSA_SA_iPKfiiiPfSD_PS3_PT2_iSC_SC_, .Lfunc_end752-_Z39paged_attention_ll4mi_QKV_mfma16_kernelI14__hip_bfloat16S0_LN4vllm18Fp8KVCacheDataTypeE0ES0_Li32ELi128ELi256ELb0ELi5EEvPKT_PKT0_S8_ifPKiSA_SA_iPKfiiiPfSD_PS3_PT2_iSC_SC_
                                        ; -- End function
	.section	.AMDGPU.csdata,"",@progbits
; Kernel info:
; codeLenInByte = 4852
; NumSgprs: 48
; NumVgprs: 96
; NumAgprs: 0
; TotalNumVgprs: 96
; ScratchSize: 0
; MemoryBound: 0
; FloatMode: 240
; IeeeMode: 1
; LDSByteSize: 8192 bytes/workgroup (compile time only)
; SGPRBlocks: 5
; VGPRBlocks: 11
; NumSGPRsForWavesPerEU: 48
; NumVGPRsForWavesPerEU: 96
; AccumOffset: 96
; Occupancy: 5
; WaveLimiterHint : 1
; COMPUTE_PGM_RSRC2:SCRATCH_EN: 0
; COMPUTE_PGM_RSRC2:USER_SGPR: 2
; COMPUTE_PGM_RSRC2:TRAP_HANDLER: 0
; COMPUTE_PGM_RSRC2:TGID_X_EN: 1
; COMPUTE_PGM_RSRC2:TGID_Y_EN: 1
; COMPUTE_PGM_RSRC2:TGID_Z_EN: 1
; COMPUTE_PGM_RSRC2:TIDIG_COMP_CNT: 0
; COMPUTE_PGM_RSRC3_GFX90A:ACCUM_OFFSET: 23
; COMPUTE_PGM_RSRC3_GFX90A:TG_SPLIT: 0
	.section	.text._Z39paged_attention_ll4mi_QKV_mfma16_kernelI14__hip_bfloat16S0_LN4vllm18Fp8KVCacheDataTypeE0ES0_Li32ELi128ELi256ELb0ELi6EEvPKT_PKT0_S8_ifPKiSA_SA_iPKfiiiPfSD_PS3_PT2_iSC_SC_,"axG",@progbits,_Z39paged_attention_ll4mi_QKV_mfma16_kernelI14__hip_bfloat16S0_LN4vllm18Fp8KVCacheDataTypeE0ES0_Li32ELi128ELi256ELb0ELi6EEvPKT_PKT0_S8_ifPKiSA_SA_iPKfiiiPfSD_PS3_PT2_iSC_SC_,comdat
	.protected	_Z39paged_attention_ll4mi_QKV_mfma16_kernelI14__hip_bfloat16S0_LN4vllm18Fp8KVCacheDataTypeE0ES0_Li32ELi128ELi256ELb0ELi6EEvPKT_PKT0_S8_ifPKiSA_SA_iPKfiiiPfSD_PS3_PT2_iSC_SC_ ; -- Begin function _Z39paged_attention_ll4mi_QKV_mfma16_kernelI14__hip_bfloat16S0_LN4vllm18Fp8KVCacheDataTypeE0ES0_Li32ELi128ELi256ELb0ELi6EEvPKT_PKT0_S8_ifPKiSA_SA_iPKfiiiPfSD_PS3_PT2_iSC_SC_
	.globl	_Z39paged_attention_ll4mi_QKV_mfma16_kernelI14__hip_bfloat16S0_LN4vllm18Fp8KVCacheDataTypeE0ES0_Li32ELi128ELi256ELb0ELi6EEvPKT_PKT0_S8_ifPKiSA_SA_iPKfiiiPfSD_PS3_PT2_iSC_SC_
	.p2align	8
	.type	_Z39paged_attention_ll4mi_QKV_mfma16_kernelI14__hip_bfloat16S0_LN4vllm18Fp8KVCacheDataTypeE0ES0_Li32ELi128ELi256ELb0ELi6EEvPKT_PKT0_S8_ifPKiSA_SA_iPKfiiiPfSD_PS3_PT2_iSC_SC_,@function
_Z39paged_attention_ll4mi_QKV_mfma16_kernelI14__hip_bfloat16S0_LN4vllm18Fp8KVCacheDataTypeE0ES0_Li32ELi128ELi256ELb0ELi6EEvPKT_PKT0_S8_ifPKiSA_SA_iPKfiiiPfSD_PS3_PT2_iSC_SC_: ; @_Z39paged_attention_ll4mi_QKV_mfma16_kernelI14__hip_bfloat16S0_LN4vllm18Fp8KVCacheDataTypeE0ES0_Li32ELi128ELi256ELb0ELi6EEvPKT_PKT0_S8_ifPKiSA_SA_iPKfiiiPfSD_PS3_PT2_iSC_SC_
; %bb.0:
	s_load_dwordx2 s[8:9], s[0:1], 0x30
	s_mov_b32 s26, s3
	s_mov_b64 s[6:7], 0
	s_waitcnt lgkmcnt(0)
	s_cmp_lg_u64 s[8:9], 0
	s_cselect_b64 s[10:11], -1, 0
	s_and_b64 vcc, exec, s[10:11]
	s_cbranch_vccz .LBB753_7
; %bb.1:
	s_add_i32 s12, s2, 1
	s_mov_b32 s13, 0
	s_lshl_b64 s[14:15], s[12:13], 2
	s_add_u32 s14, s8, s14
	s_mov_b32 s3, s13
	s_addc_u32 s15, s9, s15
	s_lshl_b64 s[12:13], s[2:3], 2
	s_add_u32 s12, s8, s12
	s_addc_u32 s13, s9, s13
	s_load_dword s5, s[14:15], 0x0
	s_load_dword s16, s[12:13], 0x0
	s_waitcnt lgkmcnt(0)
	s_sub_i32 s5, s5, s16
	s_cmp_eq_u32 s5, 1
	s_cselect_b64 s[12:13], -1, 0
	s_andn2_b64 vcc, exec, s[6:7]
	s_cbranch_vccnz .LBB753_3
.LBB753_2:
	s_mov_b32 s3, 0
	s_mov_b64 s[12:13], -1
.LBB753_3:
	s_andn2_b64 vcc, exec, s[12:13]
	s_cbranch_vccnz .LBB753_20
; %bb.4:
	s_load_dwordx2 s[6:7], s[0:1], 0x28
	s_lshl_b64 s[12:13], s[2:3], 2
	s_waitcnt lgkmcnt(0)
	s_add_u32 s6, s6, s12
	s_addc_u32 s7, s7, s13
	s_load_dword s33, s[6:7], 0x0
	s_lshl_b32 s18, s26, 8
	s_waitcnt lgkmcnt(0)
	s_cmp_ge_i32 s18, s33
	s_cbranch_scc1 .LBB753_20
; %bb.5:
	s_load_dwordx2 s[6:7], s[0:1], 0x20
	s_load_dword s5, s[0:1], 0x38
	s_add_i32 s14, s33, 31
	s_ashr_i32 s15, s14, 31
	v_and_b32_e32 v1, 0xcf, v0
	s_lshr_b32 s15, s15, 27
	v_add_u32_e32 v1, s18, v1
	s_add_i32 s14, s14, s15
	v_ashrrev_i32_e32 v2, 31, v1
	s_ashr_i32 s19, s14, 5
	v_lshrrev_b32_e32 v4, 27, v2
	s_add_i32 s19, s19, -1
	s_waitcnt lgkmcnt(0)
	s_mul_i32 s14, s2, s5
	s_mov_b32 s15, 0
	v_add_u32_e32 v2, v1, v4
	s_lshl_b64 s[14:15], s[14:15], 2
	v_ashrrev_i32_e32 v2, 5, v2
	v_mov_b32_e32 v5, s19
	v_cmp_gt_i32_e32 vcc, s33, v1
	s_add_u32 s6, s6, s14
	s_addc_u32 s7, s7, s15
	v_cndmask_b32_e32 v2, v5, v2, vcc
	v_ashrrev_i32_e32 v3, 31, v2
	v_lshl_add_u64 v[6:7], v[2:3], 2, s[6:7]
	v_or_b32_e32 v2, 16, v1
	v_add_u32_e32 v3, v2, v4
	v_ashrrev_i32_e32 v3, 5, v3
	v_cmp_gt_i32_e32 vcc, s33, v2
	s_nop 1
	v_cndmask_b32_e32 v2, v5, v3, vcc
	v_ashrrev_i32_e32 v3, 31, v2
	v_lshl_add_u64 v[8:9], v[2:3], 2, s[6:7]
	v_or_b32_e32 v2, 32, v1
	v_add_u32_e32 v3, v2, v4
	v_ashrrev_i32_e32 v3, 5, v3
	v_cmp_gt_i32_e32 vcc, s33, v2
	v_or_b32_e32 v1, 48, v1
	s_nop 0
	v_cndmask_b32_e32 v2, v5, v3, vcc
	v_ashrrev_i32_e32 v3, 31, v2
	v_lshl_add_u64 v[10:11], v[2:3], 2, s[6:7]
	v_add_u32_e32 v2, v1, v4
	v_ashrrev_i32_e32 v2, 5, v2
	v_cmp_gt_i32_e32 vcc, s33, v1
	s_nop 1
	v_cndmask_b32_e32 v2, v5, v2, vcc
	v_ashrrev_i32_e32 v3, 31, v2
	v_lshl_add_u64 v[12:13], v[2:3], 2, s[6:7]
	global_load_dword v2, v[6:7], off
	global_load_dword v5, v[8:9], off
	;; [unrolled: 1-line block ×4, first 2 shown]
	s_andn2_b64 vcc, exec, s[10:11]
	s_cbranch_vccnz .LBB753_8
; %bb.6:
	s_add_u32 s8, s8, s12
	s_addc_u32 s9, s9, s13
	s_load_dword s5, s[8:9], 0x0
	s_branch .LBB753_9
.LBB753_7:
	s_mov_b64 s[12:13], 0
	s_branch .LBB753_2
.LBB753_8:
	s_mov_b32 s5, s2
.LBB753_9:
	s_load_dwordx4 s[12:15], s[0:1], 0x8
	s_load_dwordx4 s[8:11], s[0:1], 0x48
	v_lshrrev_b32_e32 v86, 6, v0
	v_bfe_u32 v1, v0, 4, 2
	v_lshl_or_b32 v3, v86, 2, v1
	v_and_b32_e32 v76, 15, v0
	v_lshlrev_b32_e32 v74, 3, v76
	v_cmp_lt_u32_e32 vcc, 5, v3
	s_and_saveexec_b64 s[16:17], vcc
	s_xor_b64 s[16:17], exec, s[16:17]
; %bb.10:
	v_mov_b32_e32 v75, 0
                                        ; implicit-def: $vgpr3
; %bb.11:
	s_or_saveexec_b64 s[16:17], s[16:17]
	v_and_b32_e32 v77, 63, v0
	s_mul_i32 s40, s4, 6
	s_xor_b64 exec, exec, s[16:17]
	s_cbranch_execz .LBB753_13
; %bb.12:
	s_load_dwordx2 s[20:21], s[0:1], 0x0
	s_waitcnt lgkmcnt(0)
	s_ashr_i32 s11, s8, 31
	s_mul_hi_u32 s22, s5, s8
	s_mul_i32 s11, s5, s11
	s_add_i32 s23, s22, s11
	s_mul_i32 s22, s5, s8
	s_lshl_b64 s[22:23], s[22:23], 1
	s_add_u32 s20, s20, s22
	v_add_lshl_u32 v6, v3, s40, 7
	s_addc_u32 s21, s21, s23
	v_ashrrev_i32_e32 v7, 31, v6
	v_mov_b32_e32 v75, 0
	v_lshl_add_u64 v[6:7], v[6:7], 1, s[20:21]
	v_lshlrev_b32_e32 v8, 1, v74
	v_mov_b32_e32 v9, v75
	v_lshl_add_u64 v[6:7], v[6:7], 0, v[8:9]
	global_load_dwordx4 v[6:9], v[6:7], off
	v_and_b32_e32 v10, 3, v0
	v_lshlrev_b32_e32 v11, 9, v76
	v_lshlrev_b32_e32 v3, 5, v3
	;; [unrolled: 1-line block ×3, first 2 shown]
	v_and_b32_e32 v11, 0x1800, v11
	v_or3_b32 v3, v11, v10, v3
	s_waitcnt vmcnt(0)
	ds_write_b128 v3, v[6:9]
.LBB753_13:
	s_or_b64 exec, exec, s[16:17]
	s_waitcnt lgkmcnt(0)
	s_mul_i32 s4, s4, s10
	s_mov_b32 s5, 0
	s_lshl_b64 s[4:5], s[4:5], 1
	s_add_u32 s10, s12, s4
	s_addc_u32 s11, s13, s5
	s_waitcnt vmcnt(3)
	v_mad_i64_i32 v[2:3], s[12:13], v2, s9, 0
	v_lshl_add_u64 v[6:7], v[2:3], 1, s[10:11]
	v_lshlrev_b64 v[2:3], 1, v[74:75]
	v_lshlrev_b32_e32 v46, 9, v1
	v_lshl_add_u64 v[6:7], v[6:7], 0, v[2:3]
	v_mov_b32_e32 v47, 0
	v_lshl_add_u64 v[8:9], v[6:7], 0, v[46:47]
	s_load_dword s27, s[0:1], 0x98
	s_load_dword s8, s[0:1], 0x1c
	s_waitcnt lgkmcnt(0)
	s_barrier
	global_load_dwordx4 v[38:41], v[8:9], off
	s_waitcnt vmcnt(3)
	v_mad_i64_i32 v[10:11], s[12:13], v5, s9, 0
	v_mov_b32_e32 v5, 0x100
	v_lshl_add_u64 v[10:11], v[10:11], 1, s[10:11]
	v_lshl_or_b32 v50, v76, 4, v5
	v_mov_b32_e32 v51, v47
	v_lshl_add_u64 v[22:23], v[10:11], 0, v[50:51]
	v_lshl_add_u64 v[10:11], v[22:23], 0, v[46:47]
	global_load_dwordx4 v[42:45], v[10:11], off
	global_load_dwordx4 v[18:21], v[8:9], off offset:2048
	global_load_dwordx4 v[26:29], v[10:11], off offset:2048
	v_or_b32_e32 v52, 0x1000, v46
	v_mov_b32_e32 v53, v47
	v_or_b32_e32 v48, 0x1800, v46
	v_mov_b32_e32 v49, v47
	v_lshl_add_u64 v[8:9], v[6:7], 0, v[52:53]
	v_lshl_add_u64 v[6:7], v[6:7], 0, v[48:49]
	global_load_dwordx4 v[14:17], v[8:9], off
	global_load_dwordx4 v[10:13], v[6:7], off
	v_lshl_add_u64 v[8:9], v[22:23], 0, v[52:53]
	global_load_dwordx4 v[30:33], v[8:9], off
	s_waitcnt vmcnt(8)
	v_mad_i64_i32 v[4:5], s[12:13], v4, s9, 0
	v_lshl_add_u64 v[4:5], v[4:5], 1, s[10:11]
	v_lshl_add_u64 v[56:57], v[4:5], 0, v[2:3]
	v_mul_lo_u16_e32 v2, 43, v76
	v_mov_b32_e32 v3, 6
	v_mul_lo_u16_sdwa v2, v2, v3 dst_sel:DWORD dst_unused:UNUSED_PAD src0_sel:BYTE_1 src1_sel:DWORD
	v_sub_u16_e32 v2, v76, v2
	v_and_b32_e32 v2, 0xff, v2
	v_lshl_add_u64 v[6:7], v[22:23], 0, v[48:49]
	global_load_dwordx4 v[22:25], v[6:7], off
	v_lshl_add_u64 v[54:55], v[56:57], 0, v[46:47]
	v_lshl_add_u32 v59, v2, 5, v46
	global_load_dwordx4 v[34:37], v[54:55], off
	ds_read_b128 v[6:9], v59
	ds_read_b128 v[2:5], v59 offset:2048
	v_and_or_b32 v72, v0, 48, s18
	v_or_b32_e32 v80, 64, v72
	v_mov_b32_e32 v73, s19
	v_cmp_gt_i32_e32 vcc, s33, v72
	v_or_b32_e32 v81, 0x80, v72
	v_or_b32_e32 v84, 0xc0, v72
	s_mov_b32 s41, 0xff7fffff
	s_waitcnt vmcnt(7) lgkmcnt(1)
	v_mfma_f32_16x16x16_bf16 v[64:67], v[42:43], v[6:7], 0
	v_mfma_f32_16x16x16_bf16 v[60:63], v[38:39], v[6:7], 0
	v_mad_i64_i32 v[38:39], s[12:13], v58, s9, 0
	v_lshl_add_u64 v[68:69], v[38:39], 1, s[10:11]
	v_mfma_f32_16x16x16_bf16 v[60:63], v[40:41], v[8:9], v[60:63]
	v_lshl_add_u64 v[82:83], v[68:69], 0, v[50:51]
	v_lshl_add_u64 v[50:51], v[56:57], 0, v[52:53]
	s_ashr_i32 s12, s18, 31
	v_mfma_f32_16x16x16_bf16 v[64:67], v[44:45], v[8:9], v[64:67]
	ds_read_b128 v[42:45], v59 offset:4096
	ds_read_b128 v[38:41], v59 offset:6144
	v_lshl_add_u64 v[78:79], v[82:83], 0, v[52:53]
	global_load_dwordx4 v[50:53], v[50:51], off
	s_waitcnt vmcnt(7) lgkmcnt(2)
	v_mfma_f32_16x16x16_bf16 v[58:61], v[18:19], v[2:3], v[60:63]
	s_lshr_b32 s10, s12, 27
	v_add_u32_e32 v68, s10, v72
	v_add_u32_e32 v69, s10, v80
	s_waitcnt vmcnt(6)
	v_mfma_f32_16x16x16_bf16 v[62:65], v[26:27], v[2:3], v[64:67]
	v_lshl_add_u64 v[70:71], v[82:83], 0, v[46:47]
	v_ashrrev_i32_e32 v46, 5, v68
	v_add_u32_e32 v85, s10, v81
	v_lshl_add_u64 v[66:67], v[56:57], 0, v[48:49]
	global_load_dwordx4 v[54:57], v[54:55], off offset:2048
	v_mfma_f32_16x16x16_bf16 v[18:21], v[20:21], v[4:5], v[58:61]
	v_add_u32_e32 v87, s10, v84
	s_add_u32 s4, s14, s4
	s_addc_u32 s5, s15, s5
	v_mfma_f32_16x16x16_bf16 v[26:29], v[28:29], v[4:5], v[62:65]
	v_ashrrev_i32_e32 v58, 5, v69
	s_waitcnt vmcnt(6) lgkmcnt(1)
	v_mfma_f32_16x16x16_bf16 v[18:21], v[14:15], v[42:43], v[18:21]
	v_cndmask_b32_e32 v14, v73, v46, vcc
	v_cmp_gt_i32_e32 vcc, s33, v80
	v_ashrrev_i32_e32 v15, 31, v14
	s_waitcnt vmcnt(4)
	v_mfma_f32_16x16x16_bf16 v[26:29], v[30:31], v[42:43], v[26:29]
	v_cndmask_b32_e32 v30, v73, v58, vcc
	v_ashrrev_i32_e32 v31, 31, v30
	v_lshl_add_u64 v[14:15], v[14:15], 2, s[6:7]
	v_lshl_add_u64 v[30:31], v[30:31], 2, s[6:7]
	global_load_dword v92, v[14:15], off
	global_load_dword v93, v[30:31], off
	v_mfma_f32_16x16x16_bf16 v[14:17], v[16:17], v[44:45], v[18:21]
	global_load_dwordx4 v[58:61], v[70:71], off
	v_ashrrev_i32_e32 v62, 5, v85
	v_cmp_gt_i32_e32 vcc, s33, v81
	global_load_dwordx4 v[18:21], v[66:67], off
	s_waitcnt lgkmcnt(0)
	v_mfma_f32_16x16x16_bf16 v[14:17], v[10:11], v[38:39], v[14:17]
	v_cndmask_b32_e32 v10, v73, v62, vcc
	global_load_dwordx4 v[62:65], v[70:71], off offset:2048
	v_ashrrev_i32_e32 v11, 31, v10
	v_lshl_add_u64 v[10:11], v[10:11], 2, s[6:7]
	global_load_dword v94, v[10:11], off
	v_mfma_f32_16x16x16_bf16 v[66:69], v[12:13], v[40:41], v[14:17]
	global_load_dwordx4 v[78:81], v[78:79], off
	v_ashrrev_i32_e32 v85, 5, v87
	v_cmp_gt_i32_e32 vcc, s33, v84
	v_lshl_add_u64 v[14:15], v[82:83], 0, v[48:49]
	global_load_dwordx4 v[88:91], v[14:15], off
	v_cndmask_b32_e32 v10, v73, v85, vcc
	v_ashrrev_i32_e32 v11, 31, v10
	v_lshl_add_u64 v[10:11], v[10:11], 2, s[6:7]
	global_load_dword v84, v[10:11], off
	s_waitcnt vmcnt(11)
	v_mfma_f32_16x16x16_bf16 v[10:13], v[34:35], v[6:7], 0
	v_and_b32_e32 v14, 16, v0
	v_lshlrev_b32_e32 v46, 1, v14
	v_lshl_or_b32 v87, v86, 4, v76
	v_mfma_f32_16x16x16_bf16 v[10:13], v[36:37], v[8:9], v[10:13]
	v_lshl_add_u64 v[36:37], s[4:5], 0, v[46:47]
	v_lshlrev_b32_e32 v46, 6, v87
	v_lshl_add_u64 v[48:49], v[36:37], 0, v[46:47]
	v_mfma_f32_16x16x16_bf16 v[26:29], v[32:33], v[44:45], v[26:29]
	v_or_b32_e32 v46, 0x1000, v46
	s_waitcnt vmcnt(8)
	v_mad_i64_i32 v[14:15], s[4:5], v92, s9, 0
	v_mfma_f32_16x16x16_bf16 v[10:13], v[54:55], v[2:3], v[10:13]
	v_lshlrev_b64 v[82:83], 1, v[14:15]
	v_lshl_add_u64 v[14:15], v[48:49], 0, v[82:83]
	v_mfma_f32_16x16x16_bf16 v[10:13], v[56:57], v[4:5], v[10:13]
	v_mfma_f32_16x16x16_bf16 v[10:13], v[50:51], v[42:43], v[10:13]
	;; [unrolled: 1-line block ×4, first 2 shown]
	s_waitcnt vmcnt(5)
	v_mfma_f32_16x16x16_bf16 v[10:13], v[18:19], v[38:39], v[10:13]
	v_mfma_f32_16x16x16_bf16 v[70:73], v[24:25], v[40:41], v[26:29]
	global_load_dwordx4 v[30:33], v[14:15], off
	s_nop 2
	global_load_dwordx4 v[26:29], v[14:15], off offset:16
	v_mad_i64_i32 v[14:15], s[4:5], v93, s9, 0
	v_lshlrev_b64 v[34:35], 1, v[14:15]
	v_mfma_f32_16x16x16_bf16 v[54:57], v[20:21], v[40:41], v[10:13]
	v_pk_mul_f32 v[70:71], s[8:9], v[70:71] op_sel_hi:[0,1]
	s_nop 1
	v_lshl_add_u64 v[10:11], v[48:49], 0, v[34:35]
	global_load_dwordx4 v[22:25], v[10:11], off
	global_load_dwordx4 v[18:21], v[10:11], off offset:16
	v_mfma_f32_16x16x16_bf16 v[10:13], v[58:59], v[6:7], 0
	s_waitcnt vmcnt(7)
	v_mad_i64_i32 v[6:7], s[4:5], v94, s9, 0
	v_lshlrev_b64 v[50:51], 1, v[6:7]
	v_mfma_f32_16x16x16_bf16 v[6:9], v[60:61], v[8:9], v[10:13]
	v_mfma_f32_16x16x16_bf16 v[6:9], v[62:63], v[2:3], v[6:9]
	s_waitcnt vmcnt(4)
	v_mad_i64_i32 v[2:3], s[4:5], v84, s9, 0
	v_pk_mul_f32 v[84:85], s[8:9], v[72:73] op_sel_hi:[0,1]
	v_mfma_f32_16x16x16_bf16 v[58:61], v[64:65], v[4:5], v[6:9]
	v_lshl_add_u64 v[64:65], v[36:37], 0, v[46:47]
	v_pk_mul_f32 v[62:63], s[8:9], v[66:67] op_sel_hi:[0,1]
	v_lshl_add_u64 v[92:93], v[64:65], 0, v[82:83]
	v_mfma_f32_16x16x16_bf16 v[58:61], v[78:79], v[42:43], v[58:61]
	v_pk_mul_f32 v[82:83], s[8:9], v[68:69] op_sel_hi:[0,1]
	v_pk_mul_f32 v[78:79], s[8:9], v[54:55] op_sel_hi:[0,1]
	v_lshlrev_b64 v[52:53], 1, v[2:3]
	v_mfma_f32_16x16x16_bf16 v[42:45], v[80:81], v[44:45], v[58:61]
	v_pk_mul_f32 v[80:81], s[8:9], v[56:57] op_sel_hi:[0,1]
	v_lshl_add_u64 v[10:11], v[48:49], 0, v[50:51]
	v_lshl_add_u64 v[2:3], v[48:49], 0, v[52:53]
	v_mfma_f32_16x16x16_bf16 v[36:39], v[88:89], v[38:39], v[42:45]
	v_lshl_add_u64 v[34:35], v[64:65], 0, v[34:35]
	v_lshl_add_u64 v[50:51], v[64:65], 0, v[50:51]
	global_load_dwordx4 v[14:17], v[10:11], off
	s_nop 0
	global_load_dwordx4 v[10:13], v[10:11], off offset:16
	v_mfma_f32_16x16x16_bf16 v[36:39], v[90:91], v[40:41], v[36:39]
	global_load_dwordx4 v[6:9], v[2:3], off
	s_nop 0
	global_load_dwordx4 v[2:5], v[2:3], off offset:16
	s_nop 3
	v_pk_mul_f32 v[72:73], s[8:9], v[36:37] op_sel_hi:[0,1]
	v_and_b32_e32 v36, 0xc0, v0
	v_add_u32_e32 v36, s18, v36
	v_lshl_or_b32 v36, v1, 2, v36
	v_pk_mul_f32 v[66:67], s[8:9], v[38:39] op_sel_hi:[0,1]
	v_or_b32_e32 v39, 1, v36
	v_mov_b32_e32 v37, 0xff7fffff
	v_cmp_gt_i32_e64 s[28:29], s33, v36
	v_cmp_gt_i32_e64 s[30:31], s33, v39
	v_or_b32_e32 v40, 3, v36
	v_cndmask_b32_e64 v38, v37, v62, s[28:29]
	v_cndmask_b32_e64 v39, v37, v63, s[30:31]
	v_max3_f32 v38, v38, s41, v39
	v_or_b32_e32 v39, 2, v36
	v_cmp_gt_i32_e64 s[34:35], s33, v39
	v_cmp_gt_i32_e64 s[36:37], s33, v40
	s_nop 0
	v_cndmask_b32_e64 v39, v37, v82, s[34:35]
	v_cndmask_b32_e64 v40, v37, v83, s[36:37]
	v_max3_f32 v38, v38, v39, v40
	v_or_b32_e32 v39, 16, v36
	v_or_b32_e32 v40, 17, v36
	v_cmp_gt_i32_e64 s[22:23], s33, v39
	v_cmp_gt_i32_e64 s[24:25], s33, v40
	s_nop 0
	v_cndmask_b32_e64 v39, v37, v70, s[22:23]
	v_cndmask_b32_e64 v40, v37, v71, s[24:25]
	v_max3_f32 v38, v38, v39, v40
	v_or_b32_e32 v39, 18, v36
	v_or_b32_e32 v40, 19, v36
	v_cmp_gt_i32_e64 s[18:19], s33, v39
	v_cmp_gt_i32_e64 s[20:21], s33, v40
	s_nop 0
	v_cndmask_b32_e64 v39, v37, v84, s[18:19]
	v_cndmask_b32_e64 v40, v37, v85, s[20:21]
	v_max3_f32 v38, v38, v39, v40
	v_or_b32_e32 v39, 32, v36
	v_or_b32_e32 v40, 33, v36
	v_cmp_gt_i32_e64 s[14:15], s33, v39
	v_cmp_gt_i32_e64 s[16:17], s33, v40
	s_nop 0
	v_cndmask_b32_e64 v39, v37, v78, s[14:15]
	v_cndmask_b32_e64 v40, v37, v79, s[16:17]
	v_max3_f32 v38, v38, v39, v40
	v_or_b32_e32 v39, 34, v36
	v_or_b32_e32 v40, 35, v36
	v_cmp_gt_i32_e64 s[10:11], s33, v39
	v_cmp_gt_i32_e64 s[12:13], s33, v40
	s_nop 0
	v_cndmask_b32_e64 v39, v37, v80, s[10:11]
	v_cndmask_b32_e64 v40, v37, v81, s[12:13]
	v_max3_f32 v38, v38, v39, v40
	v_or_b32_e32 v39, 48, v36
	v_or_b32_e32 v40, 49, v36
	v_cmp_gt_i32_e64 s[6:7], s33, v39
	v_cmp_gt_i32_e64 s[8:9], s33, v40
	s_nop 0
	v_cndmask_b32_e64 v39, v37, v72, s[6:7]
	v_cndmask_b32_e64 v40, v37, v73, s[8:9]
	v_max3_f32 v38, v38, v39, v40
	v_or_b32_e32 v39, 50, v36
	v_or_b32_e32 v36, 51, v36
	v_cmp_gt_i32_e32 vcc, s33, v39
	v_cmp_gt_i32_e64 s[4:5], s33, v36
	s_nop 0
	v_cndmask_b32_e32 v39, v37, v66, vcc
	v_cndmask_b32_e64 v36, v37, v67, s[4:5]
	v_max3_f32 v54, v38, v39, v36
	v_mbcnt_lo_u32_b32 v36, -1, 0
	v_mbcnt_hi_u32_b32 v55, -1, v36
	v_and_b32_e32 v36, 64, v55
	v_add_u32_e32 v56, 64, v36
	v_xor_b32_e32 v36, 32, v55
	v_cmp_lt_i32_e64 s[38:39], v36, v56
	global_load_dwordx4 v[46:49], v[92:93], off
	global_load_dwordx4 v[38:41], v[92:93], off offset:16
	v_cndmask_b32_e64 v36, v55, v36, s[38:39]
	v_lshlrev_b32_e32 v89, 2, v36
	ds_bpermute_b32 v57, v89, v54
	global_load_dwordx4 v[42:45], v[34:35], off
	s_nop 0
	global_load_dwordx4 v[34:37], v[34:35], off offset:16
	s_waitcnt lgkmcnt(0)
	v_max_f32_e32 v57, v57, v57
	v_max_f32_e32 v68, v54, v57
	v_xor_b32_e32 v54, 16, v55
	v_cmp_lt_i32_e64 s[38:39], v54, v56
	s_nop 1
	v_cndmask_b32_e64 v54, v55, v54, s[38:39]
	v_lshlrev_b32_e32 v90, 2, v54
	ds_bpermute_b32 v69, v90, v68
	global_load_dwordx4 v[58:61], v[50:51], off
	global_load_dwordx4 v[54:57], v[50:51], off offset:16
	v_lshl_add_u64 v[50:51], v[64:65], 0, v[52:53]
	s_waitcnt lgkmcnt(0)
	v_max_f32_e32 v52, v69, v69
	v_max_f32_e32 v88, v68, v52
	v_sub_f32_e32 v52, v62, v88
	v_mul_f32_e32 v52, 0x3fb8aa3b, v52
	v_exp_f32_e32 v68, v52
	v_sub_f32_e32 v52, v63, v88
	v_mul_f32_e32 v52, 0x3fb8aa3b, v52
	v_exp_f32_e32 v69, v52
	global_load_dwordx4 v[62:65], v[50:51], off
	s_nop 0
	global_load_dwordx4 v[50:53], v[50:51], off offset:16
	v_sub_f32_e32 v82, v82, v88
	v_mul_f32_e32 v82, 0x3fb8aa3b, v82
	v_sub_f32_e32 v83, v83, v88
	v_exp_f32_e32 v82, v82
	v_mul_f32_e32 v83, 0x3fb8aa3b, v83
	v_sub_f32_e32 v70, v70, v88
	v_exp_f32_e32 v83, v83
	v_mul_f32_e32 v70, 0x3fb8aa3b, v70
	v_sub_f32_e32 v71, v71, v88
	v_cndmask_b32_e64 v68, 0, v68, s[28:29]
	v_exp_f32_e32 v70, v70
	v_mul_f32_e32 v71, 0x3fb8aa3b, v71
	v_sub_f32_e32 v84, v84, v88
	v_add_f32_e32 v91, 0, v68
	v_cndmask_b32_e64 v69, 0, v69, s[30:31]
	v_exp_f32_e32 v71, v71
	v_mul_f32_e32 v84, 0x3fb8aa3b, v84
	v_sub_f32_e32 v85, v85, v88
	v_add_f32_e32 v91, v91, v69
	;; [unrolled: 5-line block ×10, first 2 shown]
	v_cndmask_b32_e64 v80, 0, v80, s[10:11]
	v_exp_f32_e32 v66, v66
	v_mul_f32_e32 v67, 0x3fb8aa3b, v67
	v_add_f32_e32 v91, v91, v80
	v_cndmask_b32_e64 v81, 0, v81, s[12:13]
	v_exp_f32_e32 v67, v67
	v_add_f32_e32 v91, v91, v81
	v_cndmask_b32_e64 v72, 0, v72, s[6:7]
	v_add_f32_e32 v91, v91, v72
	v_cndmask_b32_e64 v73, 0, v73, s[8:9]
	v_add_f32_e32 v91, v91, v73
	v_cndmask_b32_e32 v66, 0, v66, vcc
	v_add_f32_e32 v91, v91, v66
	v_cndmask_b32_e64 v67, 0, v67, s[4:5]
	v_add_f32_e32 v91, v91, v67
	ds_bpermute_b32 v89, v89, v91
	v_cmp_gt_u32_e32 vcc, 16, v77
	s_waitcnt lgkmcnt(0)
	s_barrier
	v_add_f32_e32 v89, v91, v89
	ds_bpermute_b32 v90, v90, v89
	s_and_saveexec_b64 s[4:5], vcc
	s_cbranch_execz .LBB753_15
; %bb.14:
	s_waitcnt lgkmcnt(0)
	v_add_f32_e32 v77, v89, v90
	v_lshlrev_b32_e32 v87, 2, v87
	ds_write2st64_b32 v87, v88, v77 offset1:1
.LBB753_15:
	s_or_b64 exec, exec, s[4:5]
	v_lshlrev_b32_e32 v77, 2, v76
	s_load_dword s6, s[0:1], 0x94
	s_waitcnt lgkmcnt(0)
	s_barrier
	ds_read2_b32 v[88:89], v77 offset1:16
	ds_read2_b32 v[90:91], v77 offset0:32 offset1:48
	ds_read2_b32 v[92:93], v77 offset0:64 offset1:80
	;; [unrolled: 1-line block ×3, first 2 shown]
	s_movk_i32 s8, 0x7fff
	s_waitcnt lgkmcnt(3)
	v_max3_f32 v87, v88, s41, v89
	s_waitcnt lgkmcnt(2)
	v_max3_f32 v87, v87, v90, v91
	v_sub_f32_e32 v88, v88, v87
	v_mul_f32_e32 v88, 0x3fb8aa3b, v88
	v_exp_f32_e32 v86, v88
	v_sub_f32_e32 v88, v89, v87
	v_mul_f32_e32 v88, 0x3fb8aa3b, v88
	v_exp_f32_e32 v89, v88
	v_sub_f32_e32 v88, v90, v87
	v_mul_f32_e32 v88, 0x3fb8aa3b, v88
	v_sub_f32_e32 v77, v91, v87
	v_exp_f32_e32 v90, v88
	v_mul_f32_e32 v77, 0x3fb8aa3b, v77
	v_exp_f32_e32 v77, v77
	s_waitcnt lgkmcnt(1)
	v_fma_f32 v88, v86, v92, 0
	v_fmac_f32_e32 v88, v89, v93
	s_waitcnt lgkmcnt(0)
	v_fmac_f32_e32 v88, v90, v94
	v_fmac_f32_e32 v88, v77, v95
	v_add_f32_e32 v91, 0x358637bd, v88
	v_div_scale_f32 v92, s[4:5], v91, v91, 1.0
	v_rcp_f32_e32 v93, v92
	s_mov_b32 s9, 0x7060302
	s_barrier
	v_fma_f32 v94, -v92, v93, 1.0
	v_fmac_f32_e32 v93, v94, v93
	v_div_scale_f32 v94, vcc, 1.0, v91, 1.0
	v_mul_f32_e32 v95, v94, v93
	v_fma_f32 v1, -v92, v95, v94
	v_fmac_f32_e32 v95, v1, v93
	v_fma_f32 v1, -v92, v95, v94
	v_div_fmas_f32 v1, v1, v93, v95
	v_div_fixup_f32 v1, v1, v91, 1.0
	v_lshrrev_b32_e32 v91, 6, v0
	v_cmp_eq_u32_e32 vcc, 1, v91
	s_mul_i32 s7, s27, 6
	s_nop 0
	v_cndmask_b32_e32 v86, v86, v89, vcc
	v_cmp_eq_u32_e32 vcc, 2, v91
	s_nop 1
	v_cndmask_b32_e32 v86, v86, v90, vcc
	v_cmp_eq_u32_e32 vcc, 3, v91
	s_nop 1
	v_cndmask_b32_e32 v77, v86, v77, vcc
	v_mul_f32_e32 v90, v77, v1
	v_pk_mul_f32 v[68:69], v[90:91], v[68:69] op_sel_hi:[0,1]
	v_bfe_u32 v1, v69, 16, 1
	v_bfe_u32 v77, v68, 16, 1
	v_pk_mul_f32 v[82:83], v[90:91], v[82:83] op_sel_hi:[0,1]
	v_add3_u32 v68, v68, v77, s8
	v_add3_u32 v1, v69, v1, s8
	v_perm_b32 v92, v1, v68, s9
	v_bfe_u32 v1, v83, 16, 1
	v_bfe_u32 v68, v82, 16, 1
	v_add3_u32 v68, v82, v68, s8
	v_add3_u32 v1, v83, v1, s8
	v_bfe_u32 v86, v0, 4, 2
	v_perm_b32 v93, v1, v68, s9
	v_lshlrev_b32_e32 v1, 3, v86
	v_lshlrev_b32_e32 v68, 5, v76
	;; [unrolled: 1-line block ×3, first 2 shown]
	v_pk_mul_f32 v[70:71], v[90:91], v[70:71] op_sel_hi:[0,1]
	v_or3_b32 v1, v69, v68, v1
	v_bfe_u32 v69, v71, 16, 1
	v_bfe_u32 v77, v70, 16, 1
	v_pk_mul_f32 v[82:83], v[90:91], v[84:85] op_sel_hi:[0,1]
	v_add3_u32 v70, v70, v77, s8
	v_add3_u32 v69, v71, v69, s8
	v_perm_b32 v70, v69, v70, s9
	v_bfe_u32 v69, v83, 16, 1
	v_bfe_u32 v71, v82, 16, 1
	v_add3_u32 v71, v82, v71, s8
	v_add3_u32 v69, v83, v69, s8
	v_pk_mul_f32 v[78:79], v[90:91], v[78:79] op_sel_hi:[0,1]
	v_perm_b32 v71, v69, v71, s9
	v_bfe_u32 v69, v79, 16, 1
	v_bfe_u32 v77, v78, 16, 1
	ds_write2st64_b64 v1, v[92:93], v[70:71] offset1:1
	v_pk_mul_f32 v[70:71], v[90:91], v[80:81] op_sel_hi:[0,1]
	v_add3_u32 v77, v78, v77, s8
	v_add3_u32 v69, v79, v69, s8
	v_perm_b32 v78, v69, v77, s9
	v_bfe_u32 v69, v71, 16, 1
	v_bfe_u32 v77, v70, 16, 1
	v_add3_u32 v70, v70, v77, s8
	v_add3_u32 v69, v71, v69, s8
	v_perm_b32 v79, v69, v70, s9
	v_pk_mul_f32 v[70:71], v[90:91], v[72:73] op_sel_hi:[0,1]
	v_bfe_u32 v69, v71, 16, 1
	v_bfe_u32 v72, v70, 16, 1
	v_pk_mul_f32 v[66:67], v[90:91], v[66:67] op_sel_hi:[0,1]
	v_add3_u32 v70, v70, v72, s8
	v_add3_u32 v69, v71, v69, s8
	v_perm_b32 v70, v69, v70, s9
	v_bfe_u32 v69, v67, 16, 1
	v_bfe_u32 v71, v66, 16, 1
	v_add3_u32 v66, v66, v71, s8
	v_add3_u32 v67, v67, v69, s8
	v_perm_b32 v71, v67, v66, s9
	v_cmp_gt_u32_e32 vcc, 6, v0
	ds_write2st64_b64 v1, v[78:79], v[70:71] offset0:2 offset1:3
	s_and_saveexec_b64 s[4:5], vcc
	s_cbranch_execz .LBB753_17
; %bb.16:
	s_mov_b32 s41, 0
	v_mov_b32_e32 v77, 0
	v_lshl_add_u64 v[66:67], s[40:41], 0, v[76:77]
	v_mov_b32_e32 v69, s7
	v_mad_u64_u32 v[66:67], s[10:11], s2, v69, v[66:67]
	s_mul_i32 s3, s3, s7
	v_mov_b32_e32 v70, s26
	v_mov_b32_e32 v71, v77
	s_load_dwordx4 s[12:15], s[0:1], 0x58
	v_add_u32_e32 v69, s3, v67
	v_mad_u64_u32 v[66:67], s[10:11], v66, s6, v[70:71]
	v_mov_b32_e32 v70, v67
	v_mad_u64_u32 v[70:71], s[10:11], v69, s6, v[70:71]
	v_mov_b32_e32 v67, v70
	v_lshlrev_b64 v[66:67], 2, v[66:67]
	s_waitcnt lgkmcnt(0)
	v_lshl_add_u64 v[70:71], s[14:15], 0, v[66:67]
	v_lshl_add_u64 v[66:67], s[12:13], 0, v[66:67]
	global_store_dword v[70:71], v87, off
	global_store_dword v[66:67], v88, off
.LBB753_17:
	s_or_b64 exec, exec, s[4:5]
	v_lshl_or_b32 v77, v86, 9, v68
	s_waitcnt lgkmcnt(0)
	s_barrier
	ds_read_b128 v[70:73], v77
	ds_read_b128 v[66:69], v77 offset:16
	s_waitcnt vmcnt(15) lgkmcnt(1)
	v_mfma_f32_16x16x16_bf16 v[78:81], v[30:31], v[70:71], 0
	s_mov_b32 s3, 0
	v_cmp_gt_u32_e32 vcc, 64, v0
	v_mfma_f32_16x16x16_bf16 v[30:33], v[32:33], v[72:73], v[78:81]
	s_waitcnt vmcnt(14) lgkmcnt(0)
	v_mfma_f32_16x16x16_bf16 v[30:33], v[26:27], v[66:67], v[30:33]
	v_mfma_f32_16x16x16_bf16 v[26:29], v[28:29], v[68:69], v[30:33]
	s_nop 5
	ds_read_b128 v[30:33], v77 offset:2048
	ds_read_b128 v[78:81], v77 offset:2064
	s_waitcnt vmcnt(13) lgkmcnt(1)
	v_mfma_f32_16x16x16_bf16 v[26:29], v[22:23], v[30:31], v[26:29]
	v_mfma_f32_16x16x16_bf16 v[22:25], v[24:25], v[32:33], v[26:29]
	s_waitcnt vmcnt(12) lgkmcnt(0)
	v_mfma_f32_16x16x16_bf16 v[22:25], v[18:19], v[78:79], v[22:25]
	v_mfma_f32_16x16x16_bf16 v[18:21], v[20:21], v[80:81], v[22:25]
	s_nop 5
	ds_read_b128 v[22:25], v77 offset:4096
	ds_read_b128 v[26:29], v77 offset:4112
	s_waitcnt vmcnt(11) lgkmcnt(1)
	v_mfma_f32_16x16x16_bf16 v[18:21], v[14:15], v[22:23], v[18:21]
	v_mfma_f32_16x16x16_bf16 v[14:17], v[16:17], v[24:25], v[18:21]
	s_waitcnt vmcnt(10) lgkmcnt(0)
	v_mfma_f32_16x16x16_bf16 v[14:17], v[10:11], v[26:27], v[14:17]
	v_mfma_f32_16x16x16_bf16 v[10:13], v[12:13], v[28:29], v[14:17]
	s_nop 5
	ds_read_b128 v[14:17], v77 offset:6144
	ds_read_b128 v[18:21], v77 offset:6160
	s_waitcnt lgkmcnt(0)
	s_barrier
	s_waitcnt vmcnt(9)
	v_mfma_f32_16x16x16_bf16 v[10:13], v[6:7], v[14:15], v[10:13]
	v_mfma_f32_16x16x16_bf16 v[6:9], v[8:9], v[16:17], v[10:13]
	s_waitcnt vmcnt(8)
	v_mfma_f32_16x16x16_bf16 v[6:9], v[2:3], v[18:19], v[6:9]
	v_mfma_f32_16x16x16_bf16 v[2:5], v[4:5], v[20:21], v[6:9]
	;; [unrolled: 3-line block ×3, first 2 shown]
	s_nop 3
	v_bfe_u32 v10, v3, 16, 1
	v_bfe_u32 v11, v2, 16, 1
	v_add3_u32 v2, v2, v11, s8
	s_waitcnt vmcnt(6)
	v_mfma_f32_16x16x16_bf16 v[6:9], v[38:39], v[66:67], v[6:9]
	v_add3_u32 v3, v3, v10, s8
	v_perm_b32 v10, v3, v2, s9
	v_bfe_u32 v2, v5, 16, 1
	v_mfma_f32_16x16x16_bf16 v[6:9], v[40:41], v[68:69], v[6:9]
	v_bfe_u32 v3, v4, 16, 1
	v_add3_u32 v3, v4, v3, s8
	v_add3_u32 v2, v5, v2, s8
	s_waitcnt vmcnt(5)
	v_mfma_f32_16x16x16_bf16 v[6:9], v[42:43], v[30:31], v[6:9]
	v_perm_b32 v11, v2, v3, s9
	v_mfma_f32_16x16x16_bf16 v[6:9], v[44:45], v[32:33], v[6:9]
	s_waitcnt vmcnt(4)
	v_mfma_f32_16x16x16_bf16 v[6:9], v[34:35], v[78:79], v[6:9]
	v_mfma_f32_16x16x16_bf16 v[6:9], v[36:37], v[80:81], v[6:9]
	s_waitcnt vmcnt(3)
	v_mfma_f32_16x16x16_bf16 v[6:9], v[58:59], v[22:23], v[6:9]
	;; [unrolled: 3-line block ×5, first 2 shown]
	v_mfma_f32_16x16x16_bf16 v[2:5], v[52:53], v[20:21], v[6:9]
	s_nop 6
	v_bfe_u32 v6, v3, 16, 1
	v_bfe_u32 v7, v2, 16, 1
	v_add3_u32 v2, v2, v7, s8
	v_add3_u32 v3, v3, v6, s8
	v_perm_b32 v2, v3, v2, s9
	v_bfe_u32 v3, v5, 16, 1
	v_bfe_u32 v6, v4, 16, 1
	v_add3_u32 v4, v4, v6, s8
	v_add3_u32 v3, v5, v3, s8
	v_perm_b32 v3, v3, v4, s9
	ds_write2st64_b64 v1, v[10:11], v[2:3] offset1:1
	s_waitcnt lgkmcnt(0)
	s_barrier
	s_and_saveexec_b64 s[4:5], vcc
	s_cbranch_execz .LBB753_20
; %bb.18:
	s_load_dwordx2 s[4:5], s[0:1], 0x68
	s_lshl_b32 s0, s6, 7
	s_mul_i32 s1, s7, s2
	v_lshlrev_b32_e32 v4, 6, v76
	s_mul_hi_u32 s7, s1, s0
	s_mul_i32 s6, s1, s0
	v_lshlrev_b32_e32 v3, 4, v0
	v_lshl_or_b32 v0, v0, 10, v4
	s_lshl_b64 s[6:7], s[6:7], 1
	v_lshlrev_b32_e32 v1, 5, v86
	v_and_b32_e32 v3, 16, v3
	v_and_b32_e32 v0, 0x1a00, v0
	s_waitcnt lgkmcnt(0)
	s_add_u32 s1, s4, s6
	v_or3_b32 v3, v0, v1, v3
	s_addc_u32 s4, s5, s7
	s_lshl_b32 s2, s26, 7
	s_lshl_b64 s[2:3], s[2:3], 1
	ds_read_b128 v[4:7], v3
	s_add_u32 s2, s1, s2
	s_addc_u32 s3, s4, s3
	v_add_u32_e32 v8, s40, v86
	v_or_b32_e32 v2, 4, v86
	v_lshl_add_u64 v[0:1], v[74:75], 1, s[2:3]
	v_mad_u64_u32 v[8:9], s[2:3], v8, s0, 0
	v_lshl_add_u64 v[8:9], v[8:9], 1, v[0:1]
	v_cmp_gt_u32_e32 vcc, 6, v2
	s_waitcnt lgkmcnt(0)
	global_store_dwordx4 v[8:9], v[4:7], off
	s_and_b64 exec, exec, vcc
	s_cbranch_execz .LBB753_20
; %bb.19:
	ds_read_b128 v[4:7], v3 offset:128
	v_add_u32_e32 v2, s40, v2
	v_mad_u64_u32 v[2:3], s[0:1], v2, s0, 0
	v_lshl_add_u64 v[0:1], v[2:3], 1, v[0:1]
	s_waitcnt lgkmcnt(0)
	global_store_dwordx4 v[0:1], v[4:7], off
.LBB753_20:
	s_endpgm
	.section	.rodata,"a",@progbits
	.p2align	6, 0x0
	.amdhsa_kernel _Z39paged_attention_ll4mi_QKV_mfma16_kernelI14__hip_bfloat16S0_LN4vllm18Fp8KVCacheDataTypeE0ES0_Li32ELi128ELi256ELb0ELi6EEvPKT_PKT0_S8_ifPKiSA_SA_iPKfiiiPfSD_PS3_PT2_iSC_SC_
		.amdhsa_group_segment_fixed_size 8192
		.amdhsa_private_segment_fixed_size 0
		.amdhsa_kernarg_size 400
		.amdhsa_user_sgpr_count 2
		.amdhsa_user_sgpr_dispatch_ptr 0
		.amdhsa_user_sgpr_queue_ptr 0
		.amdhsa_user_sgpr_kernarg_segment_ptr 1
		.amdhsa_user_sgpr_dispatch_id 0
		.amdhsa_user_sgpr_kernarg_preload_length 0
		.amdhsa_user_sgpr_kernarg_preload_offset 0
		.amdhsa_user_sgpr_private_segment_size 0
		.amdhsa_uses_dynamic_stack 0
		.amdhsa_enable_private_segment 0
		.amdhsa_system_sgpr_workgroup_id_x 1
		.amdhsa_system_sgpr_workgroup_id_y 1
		.amdhsa_system_sgpr_workgroup_id_z 1
		.amdhsa_system_sgpr_workgroup_info 0
		.amdhsa_system_vgpr_workitem_id 0
		.amdhsa_next_free_vgpr 96
		.amdhsa_next_free_sgpr 42
		.amdhsa_accum_offset 96
		.amdhsa_reserve_vcc 1
		.amdhsa_float_round_mode_32 0
		.amdhsa_float_round_mode_16_64 0
		.amdhsa_float_denorm_mode_32 3
		.amdhsa_float_denorm_mode_16_64 3
		.amdhsa_dx10_clamp 1
		.amdhsa_ieee_mode 1
		.amdhsa_fp16_overflow 0
		.amdhsa_tg_split 0
		.amdhsa_exception_fp_ieee_invalid_op 0
		.amdhsa_exception_fp_denorm_src 0
		.amdhsa_exception_fp_ieee_div_zero 0
		.amdhsa_exception_fp_ieee_overflow 0
		.amdhsa_exception_fp_ieee_underflow 0
		.amdhsa_exception_fp_ieee_inexact 0
		.amdhsa_exception_int_div_zero 0
	.end_amdhsa_kernel
	.section	.text._Z39paged_attention_ll4mi_QKV_mfma16_kernelI14__hip_bfloat16S0_LN4vllm18Fp8KVCacheDataTypeE0ES0_Li32ELi128ELi256ELb0ELi6EEvPKT_PKT0_S8_ifPKiSA_SA_iPKfiiiPfSD_PS3_PT2_iSC_SC_,"axG",@progbits,_Z39paged_attention_ll4mi_QKV_mfma16_kernelI14__hip_bfloat16S0_LN4vllm18Fp8KVCacheDataTypeE0ES0_Li32ELi128ELi256ELb0ELi6EEvPKT_PKT0_S8_ifPKiSA_SA_iPKfiiiPfSD_PS3_PT2_iSC_SC_,comdat
.Lfunc_end753:
	.size	_Z39paged_attention_ll4mi_QKV_mfma16_kernelI14__hip_bfloat16S0_LN4vllm18Fp8KVCacheDataTypeE0ES0_Li32ELi128ELi256ELb0ELi6EEvPKT_PKT0_S8_ifPKiSA_SA_iPKfiiiPfSD_PS3_PT2_iSC_SC_, .Lfunc_end753-_Z39paged_attention_ll4mi_QKV_mfma16_kernelI14__hip_bfloat16S0_LN4vllm18Fp8KVCacheDataTypeE0ES0_Li32ELi128ELi256ELb0ELi6EEvPKT_PKT0_S8_ifPKiSA_SA_iPKfiiiPfSD_PS3_PT2_iSC_SC_
                                        ; -- End function
	.section	.AMDGPU.csdata,"",@progbits
; Kernel info:
; codeLenInByte = 4852
; NumSgprs: 48
; NumVgprs: 96
; NumAgprs: 0
; TotalNumVgprs: 96
; ScratchSize: 0
; MemoryBound: 0
; FloatMode: 240
; IeeeMode: 1
; LDSByteSize: 8192 bytes/workgroup (compile time only)
; SGPRBlocks: 5
; VGPRBlocks: 11
; NumSGPRsForWavesPerEU: 48
; NumVGPRsForWavesPerEU: 96
; AccumOffset: 96
; Occupancy: 5
; WaveLimiterHint : 1
; COMPUTE_PGM_RSRC2:SCRATCH_EN: 0
; COMPUTE_PGM_RSRC2:USER_SGPR: 2
; COMPUTE_PGM_RSRC2:TRAP_HANDLER: 0
; COMPUTE_PGM_RSRC2:TGID_X_EN: 1
; COMPUTE_PGM_RSRC2:TGID_Y_EN: 1
; COMPUTE_PGM_RSRC2:TGID_Z_EN: 1
; COMPUTE_PGM_RSRC2:TIDIG_COMP_CNT: 0
; COMPUTE_PGM_RSRC3_GFX90A:ACCUM_OFFSET: 23
; COMPUTE_PGM_RSRC3_GFX90A:TG_SPLIT: 0
	.section	.text._Z39paged_attention_ll4mi_QKV_mfma16_kernelI14__hip_bfloat16S0_LN4vllm18Fp8KVCacheDataTypeE0ES0_Li32ELi128ELi256ELb0ELi7EEvPKT_PKT0_S8_ifPKiSA_SA_iPKfiiiPfSD_PS3_PT2_iSC_SC_,"axG",@progbits,_Z39paged_attention_ll4mi_QKV_mfma16_kernelI14__hip_bfloat16S0_LN4vllm18Fp8KVCacheDataTypeE0ES0_Li32ELi128ELi256ELb0ELi7EEvPKT_PKT0_S8_ifPKiSA_SA_iPKfiiiPfSD_PS3_PT2_iSC_SC_,comdat
	.protected	_Z39paged_attention_ll4mi_QKV_mfma16_kernelI14__hip_bfloat16S0_LN4vllm18Fp8KVCacheDataTypeE0ES0_Li32ELi128ELi256ELb0ELi7EEvPKT_PKT0_S8_ifPKiSA_SA_iPKfiiiPfSD_PS3_PT2_iSC_SC_ ; -- Begin function _Z39paged_attention_ll4mi_QKV_mfma16_kernelI14__hip_bfloat16S0_LN4vllm18Fp8KVCacheDataTypeE0ES0_Li32ELi128ELi256ELb0ELi7EEvPKT_PKT0_S8_ifPKiSA_SA_iPKfiiiPfSD_PS3_PT2_iSC_SC_
	.globl	_Z39paged_attention_ll4mi_QKV_mfma16_kernelI14__hip_bfloat16S0_LN4vllm18Fp8KVCacheDataTypeE0ES0_Li32ELi128ELi256ELb0ELi7EEvPKT_PKT0_S8_ifPKiSA_SA_iPKfiiiPfSD_PS3_PT2_iSC_SC_
	.p2align	8
	.type	_Z39paged_attention_ll4mi_QKV_mfma16_kernelI14__hip_bfloat16S0_LN4vllm18Fp8KVCacheDataTypeE0ES0_Li32ELi128ELi256ELb0ELi7EEvPKT_PKT0_S8_ifPKiSA_SA_iPKfiiiPfSD_PS3_PT2_iSC_SC_,@function
_Z39paged_attention_ll4mi_QKV_mfma16_kernelI14__hip_bfloat16S0_LN4vllm18Fp8KVCacheDataTypeE0ES0_Li32ELi128ELi256ELb0ELi7EEvPKT_PKT0_S8_ifPKiSA_SA_iPKfiiiPfSD_PS3_PT2_iSC_SC_: ; @_Z39paged_attention_ll4mi_QKV_mfma16_kernelI14__hip_bfloat16S0_LN4vllm18Fp8KVCacheDataTypeE0ES0_Li32ELi128ELi256ELb0ELi7EEvPKT_PKT0_S8_ifPKiSA_SA_iPKfiiiPfSD_PS3_PT2_iSC_SC_
; %bb.0:
	s_load_dwordx2 s[8:9], s[0:1], 0x30
	s_mov_b32 s26, s3
	s_mov_b64 s[6:7], 0
	s_waitcnt lgkmcnt(0)
	s_cmp_lg_u64 s[8:9], 0
	s_cselect_b64 s[10:11], -1, 0
	s_and_b64 vcc, exec, s[10:11]
	s_cbranch_vccz .LBB754_7
; %bb.1:
	s_add_i32 s12, s2, 1
	s_mov_b32 s13, 0
	s_lshl_b64 s[14:15], s[12:13], 2
	s_add_u32 s14, s8, s14
	s_mov_b32 s3, s13
	s_addc_u32 s15, s9, s15
	s_lshl_b64 s[12:13], s[2:3], 2
	s_add_u32 s12, s8, s12
	s_addc_u32 s13, s9, s13
	s_load_dword s5, s[14:15], 0x0
	s_load_dword s16, s[12:13], 0x0
	s_waitcnt lgkmcnt(0)
	s_sub_i32 s5, s5, s16
	s_cmp_eq_u32 s5, 1
	s_cselect_b64 s[12:13], -1, 0
	s_andn2_b64 vcc, exec, s[6:7]
	s_cbranch_vccnz .LBB754_3
.LBB754_2:
	s_mov_b32 s3, 0
	s_mov_b64 s[12:13], -1
.LBB754_3:
	s_andn2_b64 vcc, exec, s[12:13]
	s_cbranch_vccnz .LBB754_20
; %bb.4:
	s_load_dwordx2 s[6:7], s[0:1], 0x28
	s_lshl_b64 s[12:13], s[2:3], 2
	s_waitcnt lgkmcnt(0)
	s_add_u32 s6, s6, s12
	s_addc_u32 s7, s7, s13
	s_load_dword s33, s[6:7], 0x0
	s_lshl_b32 s18, s26, 8
	s_waitcnt lgkmcnt(0)
	s_cmp_ge_i32 s18, s33
	s_cbranch_scc1 .LBB754_20
; %bb.5:
	s_load_dwordx2 s[6:7], s[0:1], 0x20
	s_load_dword s5, s[0:1], 0x38
	s_add_i32 s14, s33, 31
	s_ashr_i32 s15, s14, 31
	v_and_b32_e32 v1, 0xcf, v0
	s_lshr_b32 s15, s15, 27
	v_add_u32_e32 v1, s18, v1
	s_add_i32 s14, s14, s15
	v_ashrrev_i32_e32 v2, 31, v1
	s_ashr_i32 s19, s14, 5
	v_lshrrev_b32_e32 v4, 27, v2
	s_add_i32 s19, s19, -1
	s_waitcnt lgkmcnt(0)
	s_mul_i32 s14, s2, s5
	s_mov_b32 s15, 0
	v_add_u32_e32 v2, v1, v4
	s_lshl_b64 s[14:15], s[14:15], 2
	v_ashrrev_i32_e32 v2, 5, v2
	v_mov_b32_e32 v5, s19
	v_cmp_gt_i32_e32 vcc, s33, v1
	s_add_u32 s6, s6, s14
	s_addc_u32 s7, s7, s15
	v_cndmask_b32_e32 v2, v5, v2, vcc
	v_ashrrev_i32_e32 v3, 31, v2
	v_lshl_add_u64 v[6:7], v[2:3], 2, s[6:7]
	v_or_b32_e32 v2, 16, v1
	v_add_u32_e32 v3, v2, v4
	v_ashrrev_i32_e32 v3, 5, v3
	v_cmp_gt_i32_e32 vcc, s33, v2
	s_nop 1
	v_cndmask_b32_e32 v2, v5, v3, vcc
	v_ashrrev_i32_e32 v3, 31, v2
	v_lshl_add_u64 v[8:9], v[2:3], 2, s[6:7]
	v_or_b32_e32 v2, 32, v1
	v_add_u32_e32 v3, v2, v4
	v_ashrrev_i32_e32 v3, 5, v3
	v_cmp_gt_i32_e32 vcc, s33, v2
	v_or_b32_e32 v1, 48, v1
	s_nop 0
	v_cndmask_b32_e32 v2, v5, v3, vcc
	v_ashrrev_i32_e32 v3, 31, v2
	v_lshl_add_u64 v[10:11], v[2:3], 2, s[6:7]
	v_add_u32_e32 v2, v1, v4
	v_ashrrev_i32_e32 v2, 5, v2
	v_cmp_gt_i32_e32 vcc, s33, v1
	s_nop 1
	v_cndmask_b32_e32 v2, v5, v2, vcc
	v_ashrrev_i32_e32 v3, 31, v2
	v_lshl_add_u64 v[12:13], v[2:3], 2, s[6:7]
	global_load_dword v2, v[6:7], off
	global_load_dword v5, v[8:9], off
	;; [unrolled: 1-line block ×4, first 2 shown]
	s_andn2_b64 vcc, exec, s[10:11]
	s_cbranch_vccnz .LBB754_8
; %bb.6:
	s_add_u32 s8, s8, s12
	s_addc_u32 s9, s9, s13
	s_load_dword s5, s[8:9], 0x0
	s_branch .LBB754_9
.LBB754_7:
	s_mov_b64 s[12:13], 0
	s_branch .LBB754_2
.LBB754_8:
	s_mov_b32 s5, s2
.LBB754_9:
	s_load_dwordx4 s[12:15], s[0:1], 0x8
	s_load_dwordx4 s[8:11], s[0:1], 0x48
	v_lshrrev_b32_e32 v86, 6, v0
	v_bfe_u32 v1, v0, 4, 2
	v_lshl_or_b32 v3, v86, 2, v1
	v_and_b32_e32 v76, 15, v0
	v_lshlrev_b32_e32 v74, 3, v76
	v_cmp_lt_u32_e32 vcc, 6, v3
	s_and_saveexec_b64 s[16:17], vcc
	s_xor_b64 s[16:17], exec, s[16:17]
; %bb.10:
	v_mov_b32_e32 v75, 0
                                        ; implicit-def: $vgpr3
; %bb.11:
	s_or_saveexec_b64 s[16:17], s[16:17]
	v_and_b32_e32 v77, 63, v0
	s_mul_i32 s40, s4, 7
	s_xor_b64 exec, exec, s[16:17]
	s_cbranch_execz .LBB754_13
; %bb.12:
	s_load_dwordx2 s[20:21], s[0:1], 0x0
	s_waitcnt lgkmcnt(0)
	s_ashr_i32 s11, s8, 31
	s_mul_hi_u32 s22, s5, s8
	s_mul_i32 s11, s5, s11
	s_add_i32 s23, s22, s11
	s_mul_i32 s22, s5, s8
	s_lshl_b64 s[22:23], s[22:23], 1
	s_add_u32 s20, s20, s22
	v_add_lshl_u32 v6, v3, s40, 7
	s_addc_u32 s21, s21, s23
	v_ashrrev_i32_e32 v7, 31, v6
	v_mov_b32_e32 v75, 0
	v_lshl_add_u64 v[6:7], v[6:7], 1, s[20:21]
	v_lshlrev_b32_e32 v8, 1, v74
	v_mov_b32_e32 v9, v75
	v_lshl_add_u64 v[6:7], v[6:7], 0, v[8:9]
	global_load_dwordx4 v[6:9], v[6:7], off
	v_and_b32_e32 v10, 3, v0
	v_lshlrev_b32_e32 v11, 9, v76
	v_lshlrev_b32_e32 v3, 5, v3
	;; [unrolled: 1-line block ×3, first 2 shown]
	v_and_b32_e32 v11, 0x1800, v11
	v_or3_b32 v3, v11, v10, v3
	s_waitcnt vmcnt(0)
	ds_write_b128 v3, v[6:9]
.LBB754_13:
	s_or_b64 exec, exec, s[16:17]
	s_waitcnt lgkmcnt(0)
	s_mul_i32 s4, s4, s10
	s_mov_b32 s5, 0
	s_lshl_b64 s[4:5], s[4:5], 1
	s_add_u32 s10, s12, s4
	s_addc_u32 s11, s13, s5
	s_waitcnt vmcnt(3)
	v_mad_i64_i32 v[2:3], s[12:13], v2, s9, 0
	v_lshl_add_u64 v[6:7], v[2:3], 1, s[10:11]
	v_lshlrev_b64 v[2:3], 1, v[74:75]
	v_lshlrev_b32_e32 v46, 9, v1
	v_lshl_add_u64 v[6:7], v[6:7], 0, v[2:3]
	v_mov_b32_e32 v47, 0
	v_lshl_add_u64 v[8:9], v[6:7], 0, v[46:47]
	s_load_dword s27, s[0:1], 0x98
	s_load_dword s8, s[0:1], 0x1c
	s_waitcnt lgkmcnt(0)
	s_barrier
	global_load_dwordx4 v[38:41], v[8:9], off
	s_waitcnt vmcnt(3)
	v_mad_i64_i32 v[10:11], s[12:13], v5, s9, 0
	v_mov_b32_e32 v5, 0x100
	v_lshl_add_u64 v[10:11], v[10:11], 1, s[10:11]
	v_lshl_or_b32 v50, v76, 4, v5
	v_mov_b32_e32 v51, v47
	v_lshl_add_u64 v[22:23], v[10:11], 0, v[50:51]
	v_lshl_add_u64 v[10:11], v[22:23], 0, v[46:47]
	global_load_dwordx4 v[42:45], v[10:11], off
	global_load_dwordx4 v[18:21], v[8:9], off offset:2048
	global_load_dwordx4 v[26:29], v[10:11], off offset:2048
	v_or_b32_e32 v52, 0x1000, v46
	v_mov_b32_e32 v53, v47
	v_or_b32_e32 v48, 0x1800, v46
	v_mov_b32_e32 v49, v47
	v_lshl_add_u64 v[8:9], v[6:7], 0, v[52:53]
	v_lshl_add_u64 v[6:7], v[6:7], 0, v[48:49]
	global_load_dwordx4 v[14:17], v[8:9], off
	global_load_dwordx4 v[10:13], v[6:7], off
	v_lshl_add_u64 v[8:9], v[22:23], 0, v[52:53]
	global_load_dwordx4 v[30:33], v[8:9], off
	s_waitcnt vmcnt(8)
	v_mad_i64_i32 v[4:5], s[12:13], v4, s9, 0
	v_lshl_add_u64 v[4:5], v[4:5], 1, s[10:11]
	v_lshl_add_u64 v[56:57], v[4:5], 0, v[2:3]
	v_mul_lo_u16_e32 v2, 37, v76
	v_mov_b32_e32 v3, 7
	v_mul_lo_u16_sdwa v2, v2, v3 dst_sel:DWORD dst_unused:UNUSED_PAD src0_sel:BYTE_1 src1_sel:DWORD
	v_sub_u16_e32 v2, v76, v2
	v_and_b32_e32 v2, 0xff, v2
	v_lshl_add_u64 v[6:7], v[22:23], 0, v[48:49]
	global_load_dwordx4 v[22:25], v[6:7], off
	v_lshl_add_u64 v[54:55], v[56:57], 0, v[46:47]
	v_lshl_add_u32 v59, v2, 5, v46
	global_load_dwordx4 v[34:37], v[54:55], off
	ds_read_b128 v[6:9], v59
	ds_read_b128 v[2:5], v59 offset:2048
	v_and_or_b32 v72, v0, 48, s18
	v_or_b32_e32 v80, 64, v72
	v_mov_b32_e32 v73, s19
	v_cmp_gt_i32_e32 vcc, s33, v72
	v_or_b32_e32 v81, 0x80, v72
	v_or_b32_e32 v84, 0xc0, v72
	s_mov_b32 s41, 0xff7fffff
	s_waitcnt vmcnt(7) lgkmcnt(1)
	v_mfma_f32_16x16x16_bf16 v[64:67], v[42:43], v[6:7], 0
	v_mfma_f32_16x16x16_bf16 v[60:63], v[38:39], v[6:7], 0
	v_mad_i64_i32 v[38:39], s[12:13], v58, s9, 0
	v_lshl_add_u64 v[68:69], v[38:39], 1, s[10:11]
	v_mfma_f32_16x16x16_bf16 v[60:63], v[40:41], v[8:9], v[60:63]
	v_lshl_add_u64 v[82:83], v[68:69], 0, v[50:51]
	v_lshl_add_u64 v[50:51], v[56:57], 0, v[52:53]
	s_ashr_i32 s12, s18, 31
	v_mfma_f32_16x16x16_bf16 v[64:67], v[44:45], v[8:9], v[64:67]
	ds_read_b128 v[42:45], v59 offset:4096
	ds_read_b128 v[38:41], v59 offset:6144
	v_lshl_add_u64 v[78:79], v[82:83], 0, v[52:53]
	global_load_dwordx4 v[50:53], v[50:51], off
	s_waitcnt vmcnt(7) lgkmcnt(2)
	v_mfma_f32_16x16x16_bf16 v[58:61], v[18:19], v[2:3], v[60:63]
	s_lshr_b32 s10, s12, 27
	v_add_u32_e32 v68, s10, v72
	v_add_u32_e32 v69, s10, v80
	s_waitcnt vmcnt(6)
	v_mfma_f32_16x16x16_bf16 v[62:65], v[26:27], v[2:3], v[64:67]
	v_lshl_add_u64 v[70:71], v[82:83], 0, v[46:47]
	v_ashrrev_i32_e32 v46, 5, v68
	v_add_u32_e32 v85, s10, v81
	v_lshl_add_u64 v[66:67], v[56:57], 0, v[48:49]
	global_load_dwordx4 v[54:57], v[54:55], off offset:2048
	v_mfma_f32_16x16x16_bf16 v[18:21], v[20:21], v[4:5], v[58:61]
	v_add_u32_e32 v87, s10, v84
	s_add_u32 s4, s14, s4
	s_addc_u32 s5, s15, s5
	v_mfma_f32_16x16x16_bf16 v[26:29], v[28:29], v[4:5], v[62:65]
	v_ashrrev_i32_e32 v58, 5, v69
	s_waitcnt vmcnt(6) lgkmcnt(1)
	v_mfma_f32_16x16x16_bf16 v[18:21], v[14:15], v[42:43], v[18:21]
	v_cndmask_b32_e32 v14, v73, v46, vcc
	v_cmp_gt_i32_e32 vcc, s33, v80
	v_ashrrev_i32_e32 v15, 31, v14
	s_waitcnt vmcnt(4)
	v_mfma_f32_16x16x16_bf16 v[26:29], v[30:31], v[42:43], v[26:29]
	v_cndmask_b32_e32 v30, v73, v58, vcc
	v_ashrrev_i32_e32 v31, 31, v30
	v_lshl_add_u64 v[14:15], v[14:15], 2, s[6:7]
	v_lshl_add_u64 v[30:31], v[30:31], 2, s[6:7]
	global_load_dword v92, v[14:15], off
	global_load_dword v93, v[30:31], off
	v_mfma_f32_16x16x16_bf16 v[14:17], v[16:17], v[44:45], v[18:21]
	global_load_dwordx4 v[58:61], v[70:71], off
	v_ashrrev_i32_e32 v62, 5, v85
	v_cmp_gt_i32_e32 vcc, s33, v81
	global_load_dwordx4 v[18:21], v[66:67], off
	s_waitcnt lgkmcnt(0)
	v_mfma_f32_16x16x16_bf16 v[14:17], v[10:11], v[38:39], v[14:17]
	v_cndmask_b32_e32 v10, v73, v62, vcc
	global_load_dwordx4 v[62:65], v[70:71], off offset:2048
	v_ashrrev_i32_e32 v11, 31, v10
	v_lshl_add_u64 v[10:11], v[10:11], 2, s[6:7]
	global_load_dword v94, v[10:11], off
	v_mfma_f32_16x16x16_bf16 v[66:69], v[12:13], v[40:41], v[14:17]
	global_load_dwordx4 v[78:81], v[78:79], off
	v_ashrrev_i32_e32 v85, 5, v87
	v_cmp_gt_i32_e32 vcc, s33, v84
	v_lshl_add_u64 v[14:15], v[82:83], 0, v[48:49]
	global_load_dwordx4 v[88:91], v[14:15], off
	v_cndmask_b32_e32 v10, v73, v85, vcc
	v_ashrrev_i32_e32 v11, 31, v10
	v_lshl_add_u64 v[10:11], v[10:11], 2, s[6:7]
	global_load_dword v84, v[10:11], off
	s_waitcnt vmcnt(11)
	v_mfma_f32_16x16x16_bf16 v[10:13], v[34:35], v[6:7], 0
	v_and_b32_e32 v14, 16, v0
	v_lshlrev_b32_e32 v46, 1, v14
	v_lshl_or_b32 v87, v86, 4, v76
	v_mfma_f32_16x16x16_bf16 v[10:13], v[36:37], v[8:9], v[10:13]
	v_lshl_add_u64 v[36:37], s[4:5], 0, v[46:47]
	v_lshlrev_b32_e32 v46, 6, v87
	v_lshl_add_u64 v[48:49], v[36:37], 0, v[46:47]
	v_mfma_f32_16x16x16_bf16 v[26:29], v[32:33], v[44:45], v[26:29]
	v_or_b32_e32 v46, 0x1000, v46
	s_waitcnt vmcnt(8)
	v_mad_i64_i32 v[14:15], s[4:5], v92, s9, 0
	v_mfma_f32_16x16x16_bf16 v[10:13], v[54:55], v[2:3], v[10:13]
	v_lshlrev_b64 v[82:83], 1, v[14:15]
	v_lshl_add_u64 v[14:15], v[48:49], 0, v[82:83]
	v_mfma_f32_16x16x16_bf16 v[10:13], v[56:57], v[4:5], v[10:13]
	v_mfma_f32_16x16x16_bf16 v[10:13], v[50:51], v[42:43], v[10:13]
	;; [unrolled: 1-line block ×4, first 2 shown]
	s_waitcnt vmcnt(5)
	v_mfma_f32_16x16x16_bf16 v[10:13], v[18:19], v[38:39], v[10:13]
	v_mfma_f32_16x16x16_bf16 v[70:73], v[24:25], v[40:41], v[26:29]
	global_load_dwordx4 v[30:33], v[14:15], off
	s_nop 2
	global_load_dwordx4 v[26:29], v[14:15], off offset:16
	v_mad_i64_i32 v[14:15], s[4:5], v93, s9, 0
	v_lshlrev_b64 v[34:35], 1, v[14:15]
	v_mfma_f32_16x16x16_bf16 v[54:57], v[20:21], v[40:41], v[10:13]
	v_pk_mul_f32 v[70:71], s[8:9], v[70:71] op_sel_hi:[0,1]
	s_nop 1
	v_lshl_add_u64 v[10:11], v[48:49], 0, v[34:35]
	global_load_dwordx4 v[22:25], v[10:11], off
	global_load_dwordx4 v[18:21], v[10:11], off offset:16
	v_mfma_f32_16x16x16_bf16 v[10:13], v[58:59], v[6:7], 0
	s_waitcnt vmcnt(7)
	v_mad_i64_i32 v[6:7], s[4:5], v94, s9, 0
	v_lshlrev_b64 v[50:51], 1, v[6:7]
	v_mfma_f32_16x16x16_bf16 v[6:9], v[60:61], v[8:9], v[10:13]
	v_mfma_f32_16x16x16_bf16 v[6:9], v[62:63], v[2:3], v[6:9]
	s_waitcnt vmcnt(4)
	v_mad_i64_i32 v[2:3], s[4:5], v84, s9, 0
	v_pk_mul_f32 v[84:85], s[8:9], v[72:73] op_sel_hi:[0,1]
	v_mfma_f32_16x16x16_bf16 v[58:61], v[64:65], v[4:5], v[6:9]
	v_lshl_add_u64 v[64:65], v[36:37], 0, v[46:47]
	v_pk_mul_f32 v[62:63], s[8:9], v[66:67] op_sel_hi:[0,1]
	v_lshl_add_u64 v[92:93], v[64:65], 0, v[82:83]
	v_mfma_f32_16x16x16_bf16 v[58:61], v[78:79], v[42:43], v[58:61]
	v_pk_mul_f32 v[82:83], s[8:9], v[68:69] op_sel_hi:[0,1]
	v_pk_mul_f32 v[78:79], s[8:9], v[54:55] op_sel_hi:[0,1]
	v_lshlrev_b64 v[52:53], 1, v[2:3]
	v_mfma_f32_16x16x16_bf16 v[42:45], v[80:81], v[44:45], v[58:61]
	v_pk_mul_f32 v[80:81], s[8:9], v[56:57] op_sel_hi:[0,1]
	v_lshl_add_u64 v[10:11], v[48:49], 0, v[50:51]
	v_lshl_add_u64 v[2:3], v[48:49], 0, v[52:53]
	v_mfma_f32_16x16x16_bf16 v[36:39], v[88:89], v[38:39], v[42:45]
	v_lshl_add_u64 v[34:35], v[64:65], 0, v[34:35]
	v_lshl_add_u64 v[50:51], v[64:65], 0, v[50:51]
	global_load_dwordx4 v[14:17], v[10:11], off
	s_nop 0
	global_load_dwordx4 v[10:13], v[10:11], off offset:16
	v_mfma_f32_16x16x16_bf16 v[36:39], v[90:91], v[40:41], v[36:39]
	global_load_dwordx4 v[6:9], v[2:3], off
	s_nop 0
	global_load_dwordx4 v[2:5], v[2:3], off offset:16
	s_nop 3
	v_pk_mul_f32 v[72:73], s[8:9], v[36:37] op_sel_hi:[0,1]
	v_and_b32_e32 v36, 0xc0, v0
	v_add_u32_e32 v36, s18, v36
	v_lshl_or_b32 v36, v1, 2, v36
	v_pk_mul_f32 v[66:67], s[8:9], v[38:39] op_sel_hi:[0,1]
	v_or_b32_e32 v39, 1, v36
	v_mov_b32_e32 v37, 0xff7fffff
	v_cmp_gt_i32_e64 s[28:29], s33, v36
	v_cmp_gt_i32_e64 s[30:31], s33, v39
	v_or_b32_e32 v40, 3, v36
	v_cndmask_b32_e64 v38, v37, v62, s[28:29]
	v_cndmask_b32_e64 v39, v37, v63, s[30:31]
	v_max3_f32 v38, v38, s41, v39
	v_or_b32_e32 v39, 2, v36
	v_cmp_gt_i32_e64 s[34:35], s33, v39
	v_cmp_gt_i32_e64 s[36:37], s33, v40
	s_nop 0
	v_cndmask_b32_e64 v39, v37, v82, s[34:35]
	v_cndmask_b32_e64 v40, v37, v83, s[36:37]
	v_max3_f32 v38, v38, v39, v40
	v_or_b32_e32 v39, 16, v36
	v_or_b32_e32 v40, 17, v36
	v_cmp_gt_i32_e64 s[22:23], s33, v39
	v_cmp_gt_i32_e64 s[24:25], s33, v40
	s_nop 0
	v_cndmask_b32_e64 v39, v37, v70, s[22:23]
	v_cndmask_b32_e64 v40, v37, v71, s[24:25]
	v_max3_f32 v38, v38, v39, v40
	v_or_b32_e32 v39, 18, v36
	v_or_b32_e32 v40, 19, v36
	v_cmp_gt_i32_e64 s[18:19], s33, v39
	v_cmp_gt_i32_e64 s[20:21], s33, v40
	s_nop 0
	v_cndmask_b32_e64 v39, v37, v84, s[18:19]
	v_cndmask_b32_e64 v40, v37, v85, s[20:21]
	v_max3_f32 v38, v38, v39, v40
	v_or_b32_e32 v39, 32, v36
	v_or_b32_e32 v40, 33, v36
	v_cmp_gt_i32_e64 s[14:15], s33, v39
	v_cmp_gt_i32_e64 s[16:17], s33, v40
	s_nop 0
	v_cndmask_b32_e64 v39, v37, v78, s[14:15]
	v_cndmask_b32_e64 v40, v37, v79, s[16:17]
	v_max3_f32 v38, v38, v39, v40
	v_or_b32_e32 v39, 34, v36
	v_or_b32_e32 v40, 35, v36
	v_cmp_gt_i32_e64 s[10:11], s33, v39
	v_cmp_gt_i32_e64 s[12:13], s33, v40
	s_nop 0
	v_cndmask_b32_e64 v39, v37, v80, s[10:11]
	v_cndmask_b32_e64 v40, v37, v81, s[12:13]
	v_max3_f32 v38, v38, v39, v40
	v_or_b32_e32 v39, 48, v36
	v_or_b32_e32 v40, 49, v36
	v_cmp_gt_i32_e64 s[6:7], s33, v39
	v_cmp_gt_i32_e64 s[8:9], s33, v40
	s_nop 0
	v_cndmask_b32_e64 v39, v37, v72, s[6:7]
	v_cndmask_b32_e64 v40, v37, v73, s[8:9]
	v_max3_f32 v38, v38, v39, v40
	v_or_b32_e32 v39, 50, v36
	v_or_b32_e32 v36, 51, v36
	v_cmp_gt_i32_e32 vcc, s33, v39
	v_cmp_gt_i32_e64 s[4:5], s33, v36
	s_nop 0
	v_cndmask_b32_e32 v39, v37, v66, vcc
	v_cndmask_b32_e64 v36, v37, v67, s[4:5]
	v_max3_f32 v54, v38, v39, v36
	v_mbcnt_lo_u32_b32 v36, -1, 0
	v_mbcnt_hi_u32_b32 v55, -1, v36
	v_and_b32_e32 v36, 64, v55
	v_add_u32_e32 v56, 64, v36
	v_xor_b32_e32 v36, 32, v55
	v_cmp_lt_i32_e64 s[38:39], v36, v56
	global_load_dwordx4 v[46:49], v[92:93], off
	global_load_dwordx4 v[38:41], v[92:93], off offset:16
	v_cndmask_b32_e64 v36, v55, v36, s[38:39]
	v_lshlrev_b32_e32 v89, 2, v36
	ds_bpermute_b32 v57, v89, v54
	global_load_dwordx4 v[42:45], v[34:35], off
	s_nop 0
	global_load_dwordx4 v[34:37], v[34:35], off offset:16
	s_waitcnt lgkmcnt(0)
	v_max_f32_e32 v57, v57, v57
	v_max_f32_e32 v68, v54, v57
	v_xor_b32_e32 v54, 16, v55
	v_cmp_lt_i32_e64 s[38:39], v54, v56
	s_nop 1
	v_cndmask_b32_e64 v54, v55, v54, s[38:39]
	v_lshlrev_b32_e32 v90, 2, v54
	ds_bpermute_b32 v69, v90, v68
	global_load_dwordx4 v[58:61], v[50:51], off
	global_load_dwordx4 v[54:57], v[50:51], off offset:16
	v_lshl_add_u64 v[50:51], v[64:65], 0, v[52:53]
	s_waitcnt lgkmcnt(0)
	v_max_f32_e32 v52, v69, v69
	v_max_f32_e32 v88, v68, v52
	v_sub_f32_e32 v52, v62, v88
	v_mul_f32_e32 v52, 0x3fb8aa3b, v52
	v_exp_f32_e32 v68, v52
	v_sub_f32_e32 v52, v63, v88
	v_mul_f32_e32 v52, 0x3fb8aa3b, v52
	v_exp_f32_e32 v69, v52
	global_load_dwordx4 v[62:65], v[50:51], off
	s_nop 0
	global_load_dwordx4 v[50:53], v[50:51], off offset:16
	v_sub_f32_e32 v82, v82, v88
	v_mul_f32_e32 v82, 0x3fb8aa3b, v82
	v_sub_f32_e32 v83, v83, v88
	v_exp_f32_e32 v82, v82
	v_mul_f32_e32 v83, 0x3fb8aa3b, v83
	v_sub_f32_e32 v70, v70, v88
	v_exp_f32_e32 v83, v83
	v_mul_f32_e32 v70, 0x3fb8aa3b, v70
	v_sub_f32_e32 v71, v71, v88
	v_cndmask_b32_e64 v68, 0, v68, s[28:29]
	v_exp_f32_e32 v70, v70
	v_mul_f32_e32 v71, 0x3fb8aa3b, v71
	v_sub_f32_e32 v84, v84, v88
	v_add_f32_e32 v91, 0, v68
	v_cndmask_b32_e64 v69, 0, v69, s[30:31]
	v_exp_f32_e32 v71, v71
	v_mul_f32_e32 v84, 0x3fb8aa3b, v84
	v_sub_f32_e32 v85, v85, v88
	v_add_f32_e32 v91, v91, v69
	;; [unrolled: 5-line block ×10, first 2 shown]
	v_cndmask_b32_e64 v80, 0, v80, s[10:11]
	v_exp_f32_e32 v66, v66
	v_mul_f32_e32 v67, 0x3fb8aa3b, v67
	v_add_f32_e32 v91, v91, v80
	v_cndmask_b32_e64 v81, 0, v81, s[12:13]
	v_exp_f32_e32 v67, v67
	v_add_f32_e32 v91, v91, v81
	v_cndmask_b32_e64 v72, 0, v72, s[6:7]
	v_add_f32_e32 v91, v91, v72
	v_cndmask_b32_e64 v73, 0, v73, s[8:9]
	v_add_f32_e32 v91, v91, v73
	v_cndmask_b32_e32 v66, 0, v66, vcc
	v_add_f32_e32 v91, v91, v66
	v_cndmask_b32_e64 v67, 0, v67, s[4:5]
	v_add_f32_e32 v91, v91, v67
	ds_bpermute_b32 v89, v89, v91
	v_cmp_gt_u32_e32 vcc, 16, v77
	s_waitcnt lgkmcnt(0)
	s_barrier
	v_add_f32_e32 v89, v91, v89
	ds_bpermute_b32 v90, v90, v89
	s_and_saveexec_b64 s[4:5], vcc
	s_cbranch_execz .LBB754_15
; %bb.14:
	s_waitcnt lgkmcnt(0)
	v_add_f32_e32 v77, v89, v90
	v_lshlrev_b32_e32 v87, 2, v87
	ds_write2st64_b32 v87, v88, v77 offset1:1
.LBB754_15:
	s_or_b64 exec, exec, s[4:5]
	v_lshlrev_b32_e32 v77, 2, v76
	s_load_dword s6, s[0:1], 0x94
	s_waitcnt lgkmcnt(0)
	s_barrier
	ds_read2_b32 v[88:89], v77 offset1:16
	ds_read2_b32 v[90:91], v77 offset0:32 offset1:48
	ds_read2_b32 v[92:93], v77 offset0:64 offset1:80
	;; [unrolled: 1-line block ×3, first 2 shown]
	s_movk_i32 s8, 0x7fff
	s_waitcnt lgkmcnt(3)
	v_max3_f32 v87, v88, s41, v89
	s_waitcnt lgkmcnt(2)
	v_max3_f32 v87, v87, v90, v91
	v_sub_f32_e32 v88, v88, v87
	v_mul_f32_e32 v88, 0x3fb8aa3b, v88
	v_exp_f32_e32 v86, v88
	v_sub_f32_e32 v88, v89, v87
	v_mul_f32_e32 v88, 0x3fb8aa3b, v88
	v_exp_f32_e32 v89, v88
	v_sub_f32_e32 v88, v90, v87
	v_mul_f32_e32 v88, 0x3fb8aa3b, v88
	v_sub_f32_e32 v77, v91, v87
	v_exp_f32_e32 v90, v88
	v_mul_f32_e32 v77, 0x3fb8aa3b, v77
	v_exp_f32_e32 v77, v77
	s_waitcnt lgkmcnt(1)
	v_fma_f32 v88, v86, v92, 0
	v_fmac_f32_e32 v88, v89, v93
	s_waitcnt lgkmcnt(0)
	v_fmac_f32_e32 v88, v90, v94
	v_fmac_f32_e32 v88, v77, v95
	v_add_f32_e32 v91, 0x358637bd, v88
	v_div_scale_f32 v92, s[4:5], v91, v91, 1.0
	v_rcp_f32_e32 v93, v92
	s_mov_b32 s9, 0x7060302
	s_barrier
	v_fma_f32 v94, -v92, v93, 1.0
	v_fmac_f32_e32 v93, v94, v93
	v_div_scale_f32 v94, vcc, 1.0, v91, 1.0
	v_mul_f32_e32 v95, v94, v93
	v_fma_f32 v1, -v92, v95, v94
	v_fmac_f32_e32 v95, v1, v93
	v_fma_f32 v1, -v92, v95, v94
	v_div_fmas_f32 v1, v1, v93, v95
	v_div_fixup_f32 v1, v1, v91, 1.0
	v_lshrrev_b32_e32 v91, 6, v0
	v_cmp_eq_u32_e32 vcc, 1, v91
	s_mul_i32 s7, s27, 7
	s_nop 0
	v_cndmask_b32_e32 v86, v86, v89, vcc
	v_cmp_eq_u32_e32 vcc, 2, v91
	s_nop 1
	v_cndmask_b32_e32 v86, v86, v90, vcc
	v_cmp_eq_u32_e32 vcc, 3, v91
	s_nop 1
	v_cndmask_b32_e32 v77, v86, v77, vcc
	v_mul_f32_e32 v90, v77, v1
	v_pk_mul_f32 v[68:69], v[90:91], v[68:69] op_sel_hi:[0,1]
	v_bfe_u32 v1, v69, 16, 1
	v_bfe_u32 v77, v68, 16, 1
	v_pk_mul_f32 v[82:83], v[90:91], v[82:83] op_sel_hi:[0,1]
	v_add3_u32 v68, v68, v77, s8
	v_add3_u32 v1, v69, v1, s8
	v_perm_b32 v92, v1, v68, s9
	v_bfe_u32 v1, v83, 16, 1
	v_bfe_u32 v68, v82, 16, 1
	v_add3_u32 v68, v82, v68, s8
	v_add3_u32 v1, v83, v1, s8
	v_bfe_u32 v86, v0, 4, 2
	v_perm_b32 v93, v1, v68, s9
	v_lshlrev_b32_e32 v1, 3, v86
	v_lshlrev_b32_e32 v68, 5, v76
	;; [unrolled: 1-line block ×3, first 2 shown]
	v_pk_mul_f32 v[70:71], v[90:91], v[70:71] op_sel_hi:[0,1]
	v_or3_b32 v1, v69, v68, v1
	v_bfe_u32 v69, v71, 16, 1
	v_bfe_u32 v77, v70, 16, 1
	v_pk_mul_f32 v[82:83], v[90:91], v[84:85] op_sel_hi:[0,1]
	v_add3_u32 v70, v70, v77, s8
	v_add3_u32 v69, v71, v69, s8
	v_perm_b32 v70, v69, v70, s9
	v_bfe_u32 v69, v83, 16, 1
	v_bfe_u32 v71, v82, 16, 1
	v_add3_u32 v71, v82, v71, s8
	v_add3_u32 v69, v83, v69, s8
	v_pk_mul_f32 v[78:79], v[90:91], v[78:79] op_sel_hi:[0,1]
	v_perm_b32 v71, v69, v71, s9
	v_bfe_u32 v69, v79, 16, 1
	v_bfe_u32 v77, v78, 16, 1
	ds_write2st64_b64 v1, v[92:93], v[70:71] offset1:1
	v_pk_mul_f32 v[70:71], v[90:91], v[80:81] op_sel_hi:[0,1]
	v_add3_u32 v77, v78, v77, s8
	v_add3_u32 v69, v79, v69, s8
	v_perm_b32 v78, v69, v77, s9
	v_bfe_u32 v69, v71, 16, 1
	v_bfe_u32 v77, v70, 16, 1
	v_add3_u32 v70, v70, v77, s8
	v_add3_u32 v69, v71, v69, s8
	v_perm_b32 v79, v69, v70, s9
	v_pk_mul_f32 v[70:71], v[90:91], v[72:73] op_sel_hi:[0,1]
	v_bfe_u32 v69, v71, 16, 1
	v_bfe_u32 v72, v70, 16, 1
	v_pk_mul_f32 v[66:67], v[90:91], v[66:67] op_sel_hi:[0,1]
	v_add3_u32 v70, v70, v72, s8
	v_add3_u32 v69, v71, v69, s8
	v_perm_b32 v70, v69, v70, s9
	v_bfe_u32 v69, v67, 16, 1
	v_bfe_u32 v71, v66, 16, 1
	v_add3_u32 v66, v66, v71, s8
	v_add3_u32 v67, v67, v69, s8
	v_perm_b32 v71, v67, v66, s9
	v_cmp_gt_u32_e32 vcc, 7, v0
	ds_write2st64_b64 v1, v[78:79], v[70:71] offset0:2 offset1:3
	s_and_saveexec_b64 s[4:5], vcc
	s_cbranch_execz .LBB754_17
; %bb.16:
	s_mov_b32 s41, 0
	v_mov_b32_e32 v77, 0
	v_lshl_add_u64 v[66:67], s[40:41], 0, v[76:77]
	v_mov_b32_e32 v69, s7
	v_mad_u64_u32 v[66:67], s[10:11], s2, v69, v[66:67]
	s_mul_i32 s3, s3, s7
	v_mov_b32_e32 v70, s26
	v_mov_b32_e32 v71, v77
	s_load_dwordx4 s[12:15], s[0:1], 0x58
	v_add_u32_e32 v69, s3, v67
	v_mad_u64_u32 v[66:67], s[10:11], v66, s6, v[70:71]
	v_mov_b32_e32 v70, v67
	v_mad_u64_u32 v[70:71], s[10:11], v69, s6, v[70:71]
	v_mov_b32_e32 v67, v70
	v_lshlrev_b64 v[66:67], 2, v[66:67]
	s_waitcnt lgkmcnt(0)
	v_lshl_add_u64 v[70:71], s[14:15], 0, v[66:67]
	v_lshl_add_u64 v[66:67], s[12:13], 0, v[66:67]
	global_store_dword v[70:71], v87, off
	global_store_dword v[66:67], v88, off
.LBB754_17:
	s_or_b64 exec, exec, s[4:5]
	v_lshl_or_b32 v77, v86, 9, v68
	s_waitcnt lgkmcnt(0)
	s_barrier
	ds_read_b128 v[70:73], v77
	ds_read_b128 v[66:69], v77 offset:16
	s_waitcnt vmcnt(15) lgkmcnt(1)
	v_mfma_f32_16x16x16_bf16 v[78:81], v[30:31], v[70:71], 0
	s_mov_b32 s3, 0
	v_cmp_gt_u32_e32 vcc, 64, v0
	v_mfma_f32_16x16x16_bf16 v[30:33], v[32:33], v[72:73], v[78:81]
	s_waitcnt vmcnt(14) lgkmcnt(0)
	v_mfma_f32_16x16x16_bf16 v[30:33], v[26:27], v[66:67], v[30:33]
	v_mfma_f32_16x16x16_bf16 v[26:29], v[28:29], v[68:69], v[30:33]
	s_nop 5
	ds_read_b128 v[30:33], v77 offset:2048
	ds_read_b128 v[78:81], v77 offset:2064
	s_waitcnt vmcnt(13) lgkmcnt(1)
	v_mfma_f32_16x16x16_bf16 v[26:29], v[22:23], v[30:31], v[26:29]
	v_mfma_f32_16x16x16_bf16 v[22:25], v[24:25], v[32:33], v[26:29]
	s_waitcnt vmcnt(12) lgkmcnt(0)
	v_mfma_f32_16x16x16_bf16 v[22:25], v[18:19], v[78:79], v[22:25]
	v_mfma_f32_16x16x16_bf16 v[18:21], v[20:21], v[80:81], v[22:25]
	s_nop 5
	ds_read_b128 v[22:25], v77 offset:4096
	ds_read_b128 v[26:29], v77 offset:4112
	s_waitcnt vmcnt(11) lgkmcnt(1)
	v_mfma_f32_16x16x16_bf16 v[18:21], v[14:15], v[22:23], v[18:21]
	v_mfma_f32_16x16x16_bf16 v[14:17], v[16:17], v[24:25], v[18:21]
	s_waitcnt vmcnt(10) lgkmcnt(0)
	v_mfma_f32_16x16x16_bf16 v[14:17], v[10:11], v[26:27], v[14:17]
	v_mfma_f32_16x16x16_bf16 v[10:13], v[12:13], v[28:29], v[14:17]
	s_nop 5
	ds_read_b128 v[14:17], v77 offset:6144
	ds_read_b128 v[18:21], v77 offset:6160
	s_waitcnt lgkmcnt(0)
	s_barrier
	s_waitcnt vmcnt(9)
	v_mfma_f32_16x16x16_bf16 v[10:13], v[6:7], v[14:15], v[10:13]
	v_mfma_f32_16x16x16_bf16 v[6:9], v[8:9], v[16:17], v[10:13]
	s_waitcnt vmcnt(8)
	v_mfma_f32_16x16x16_bf16 v[6:9], v[2:3], v[18:19], v[6:9]
	v_mfma_f32_16x16x16_bf16 v[2:5], v[4:5], v[20:21], v[6:9]
	s_waitcnt vmcnt(7)
	v_mfma_f32_16x16x16_bf16 v[6:9], v[46:47], v[70:71], 0
	v_mfma_f32_16x16x16_bf16 v[6:9], v[48:49], v[72:73], v[6:9]
	s_nop 3
	v_bfe_u32 v10, v3, 16, 1
	v_bfe_u32 v11, v2, 16, 1
	v_add3_u32 v2, v2, v11, s8
	s_waitcnt vmcnt(6)
	v_mfma_f32_16x16x16_bf16 v[6:9], v[38:39], v[66:67], v[6:9]
	v_add3_u32 v3, v3, v10, s8
	v_perm_b32 v10, v3, v2, s9
	v_bfe_u32 v2, v5, 16, 1
	v_mfma_f32_16x16x16_bf16 v[6:9], v[40:41], v[68:69], v[6:9]
	v_bfe_u32 v3, v4, 16, 1
	v_add3_u32 v3, v4, v3, s8
	v_add3_u32 v2, v5, v2, s8
	s_waitcnt vmcnt(5)
	v_mfma_f32_16x16x16_bf16 v[6:9], v[42:43], v[30:31], v[6:9]
	v_perm_b32 v11, v2, v3, s9
	v_mfma_f32_16x16x16_bf16 v[6:9], v[44:45], v[32:33], v[6:9]
	s_waitcnt vmcnt(4)
	v_mfma_f32_16x16x16_bf16 v[6:9], v[34:35], v[78:79], v[6:9]
	v_mfma_f32_16x16x16_bf16 v[6:9], v[36:37], v[80:81], v[6:9]
	s_waitcnt vmcnt(3)
	v_mfma_f32_16x16x16_bf16 v[6:9], v[58:59], v[22:23], v[6:9]
	;; [unrolled: 3-line block ×5, first 2 shown]
	v_mfma_f32_16x16x16_bf16 v[2:5], v[52:53], v[20:21], v[6:9]
	s_nop 6
	v_bfe_u32 v6, v3, 16, 1
	v_bfe_u32 v7, v2, 16, 1
	v_add3_u32 v2, v2, v7, s8
	v_add3_u32 v3, v3, v6, s8
	v_perm_b32 v2, v3, v2, s9
	v_bfe_u32 v3, v5, 16, 1
	v_bfe_u32 v6, v4, 16, 1
	v_add3_u32 v4, v4, v6, s8
	v_add3_u32 v3, v5, v3, s8
	v_perm_b32 v3, v3, v4, s9
	ds_write2st64_b64 v1, v[10:11], v[2:3] offset1:1
	s_waitcnt lgkmcnt(0)
	s_barrier
	s_and_saveexec_b64 s[4:5], vcc
	s_cbranch_execz .LBB754_20
; %bb.18:
	s_load_dwordx2 s[4:5], s[0:1], 0x68
	s_lshl_b32 s0, s6, 7
	s_mul_i32 s1, s7, s2
	v_lshlrev_b32_e32 v3, 6, v76
	s_mul_hi_u32 s7, s1, s0
	s_mul_i32 s6, s1, s0
	v_lshlrev_b32_e32 v2, 4, v0
	v_lshl_or_b32 v0, v0, 10, v3
	s_lshl_b64 s[6:7], s[6:7], 1
	v_lshlrev_b32_e32 v1, 5, v86
	v_and_b32_e32 v2, 16, v2
	v_and_b32_e32 v0, 0x1a00, v0
	s_waitcnt lgkmcnt(0)
	s_add_u32 s1, s4, s6
	v_or3_b32 v2, v0, v1, v2
	s_addc_u32 s4, s5, s7
	s_lshl_b32 s2, s26, 7
	s_lshl_b64 s[2:3], s[2:3], 1
	ds_read_b128 v[4:7], v2
	s_add_u32 s2, s1, s2
	s_addc_u32 s3, s4, s3
	v_add_u32_e32 v3, s40, v86
	v_lshl_add_u64 v[0:1], v[74:75], 1, s[2:3]
	v_mad_u64_u32 v[8:9], s[2:3], v3, s0, 0
	v_lshl_add_u64 v[8:9], v[8:9], 1, v[0:1]
	v_cmp_ne_u32_e32 vcc, 3, v86
	s_waitcnt lgkmcnt(0)
	global_store_dwordx4 v[8:9], v[4:7], off
	s_and_b64 exec, exec, vcc
	s_cbranch_execz .LBB754_20
; %bb.19:
	ds_read_b128 v[2:5], v2 offset:128
	v_add3_u32 v6, s40, v86, 4
	v_mad_u64_u32 v[6:7], s[0:1], v6, s0, 0
	v_lshl_add_u64 v[0:1], v[6:7], 1, v[0:1]
	s_waitcnt lgkmcnt(0)
	global_store_dwordx4 v[0:1], v[2:5], off
.LBB754_20:
	s_endpgm
	.section	.rodata,"a",@progbits
	.p2align	6, 0x0
	.amdhsa_kernel _Z39paged_attention_ll4mi_QKV_mfma16_kernelI14__hip_bfloat16S0_LN4vllm18Fp8KVCacheDataTypeE0ES0_Li32ELi128ELi256ELb0ELi7EEvPKT_PKT0_S8_ifPKiSA_SA_iPKfiiiPfSD_PS3_PT2_iSC_SC_
		.amdhsa_group_segment_fixed_size 8192
		.amdhsa_private_segment_fixed_size 0
		.amdhsa_kernarg_size 400
		.amdhsa_user_sgpr_count 2
		.amdhsa_user_sgpr_dispatch_ptr 0
		.amdhsa_user_sgpr_queue_ptr 0
		.amdhsa_user_sgpr_kernarg_segment_ptr 1
		.amdhsa_user_sgpr_dispatch_id 0
		.amdhsa_user_sgpr_kernarg_preload_length 0
		.amdhsa_user_sgpr_kernarg_preload_offset 0
		.amdhsa_user_sgpr_private_segment_size 0
		.amdhsa_uses_dynamic_stack 0
		.amdhsa_enable_private_segment 0
		.amdhsa_system_sgpr_workgroup_id_x 1
		.amdhsa_system_sgpr_workgroup_id_y 1
		.amdhsa_system_sgpr_workgroup_id_z 1
		.amdhsa_system_sgpr_workgroup_info 0
		.amdhsa_system_vgpr_workitem_id 0
		.amdhsa_next_free_vgpr 96
		.amdhsa_next_free_sgpr 42
		.amdhsa_accum_offset 96
		.amdhsa_reserve_vcc 1
		.amdhsa_float_round_mode_32 0
		.amdhsa_float_round_mode_16_64 0
		.amdhsa_float_denorm_mode_32 3
		.amdhsa_float_denorm_mode_16_64 3
		.amdhsa_dx10_clamp 1
		.amdhsa_ieee_mode 1
		.amdhsa_fp16_overflow 0
		.amdhsa_tg_split 0
		.amdhsa_exception_fp_ieee_invalid_op 0
		.amdhsa_exception_fp_denorm_src 0
		.amdhsa_exception_fp_ieee_div_zero 0
		.amdhsa_exception_fp_ieee_overflow 0
		.amdhsa_exception_fp_ieee_underflow 0
		.amdhsa_exception_fp_ieee_inexact 0
		.amdhsa_exception_int_div_zero 0
	.end_amdhsa_kernel
	.section	.text._Z39paged_attention_ll4mi_QKV_mfma16_kernelI14__hip_bfloat16S0_LN4vllm18Fp8KVCacheDataTypeE0ES0_Li32ELi128ELi256ELb0ELi7EEvPKT_PKT0_S8_ifPKiSA_SA_iPKfiiiPfSD_PS3_PT2_iSC_SC_,"axG",@progbits,_Z39paged_attention_ll4mi_QKV_mfma16_kernelI14__hip_bfloat16S0_LN4vllm18Fp8KVCacheDataTypeE0ES0_Li32ELi128ELi256ELb0ELi7EEvPKT_PKT0_S8_ifPKiSA_SA_iPKfiiiPfSD_PS3_PT2_iSC_SC_,comdat
.Lfunc_end754:
	.size	_Z39paged_attention_ll4mi_QKV_mfma16_kernelI14__hip_bfloat16S0_LN4vllm18Fp8KVCacheDataTypeE0ES0_Li32ELi128ELi256ELb0ELi7EEvPKT_PKT0_S8_ifPKiSA_SA_iPKfiiiPfSD_PS3_PT2_iSC_SC_, .Lfunc_end754-_Z39paged_attention_ll4mi_QKV_mfma16_kernelI14__hip_bfloat16S0_LN4vllm18Fp8KVCacheDataTypeE0ES0_Li32ELi128ELi256ELb0ELi7EEvPKT_PKT0_S8_ifPKiSA_SA_iPKfiiiPfSD_PS3_PT2_iSC_SC_
                                        ; -- End function
	.section	.AMDGPU.csdata,"",@progbits
; Kernel info:
; codeLenInByte = 4852
; NumSgprs: 48
; NumVgprs: 96
; NumAgprs: 0
; TotalNumVgprs: 96
; ScratchSize: 0
; MemoryBound: 0
; FloatMode: 240
; IeeeMode: 1
; LDSByteSize: 8192 bytes/workgroup (compile time only)
; SGPRBlocks: 5
; VGPRBlocks: 11
; NumSGPRsForWavesPerEU: 48
; NumVGPRsForWavesPerEU: 96
; AccumOffset: 96
; Occupancy: 5
; WaveLimiterHint : 1
; COMPUTE_PGM_RSRC2:SCRATCH_EN: 0
; COMPUTE_PGM_RSRC2:USER_SGPR: 2
; COMPUTE_PGM_RSRC2:TRAP_HANDLER: 0
; COMPUTE_PGM_RSRC2:TGID_X_EN: 1
; COMPUTE_PGM_RSRC2:TGID_Y_EN: 1
; COMPUTE_PGM_RSRC2:TGID_Z_EN: 1
; COMPUTE_PGM_RSRC2:TIDIG_COMP_CNT: 0
; COMPUTE_PGM_RSRC3_GFX90A:ACCUM_OFFSET: 23
; COMPUTE_PGM_RSRC3_GFX90A:TG_SPLIT: 0
	.section	.text._Z39paged_attention_ll4mi_QKV_mfma16_kernelI14__hip_bfloat16S0_LN4vllm18Fp8KVCacheDataTypeE0ES0_Li32ELi128ELi256ELb0ELi8EEvPKT_PKT0_S8_ifPKiSA_SA_iPKfiiiPfSD_PS3_PT2_iSC_SC_,"axG",@progbits,_Z39paged_attention_ll4mi_QKV_mfma16_kernelI14__hip_bfloat16S0_LN4vllm18Fp8KVCacheDataTypeE0ES0_Li32ELi128ELi256ELb0ELi8EEvPKT_PKT0_S8_ifPKiSA_SA_iPKfiiiPfSD_PS3_PT2_iSC_SC_,comdat
	.protected	_Z39paged_attention_ll4mi_QKV_mfma16_kernelI14__hip_bfloat16S0_LN4vllm18Fp8KVCacheDataTypeE0ES0_Li32ELi128ELi256ELb0ELi8EEvPKT_PKT0_S8_ifPKiSA_SA_iPKfiiiPfSD_PS3_PT2_iSC_SC_ ; -- Begin function _Z39paged_attention_ll4mi_QKV_mfma16_kernelI14__hip_bfloat16S0_LN4vllm18Fp8KVCacheDataTypeE0ES0_Li32ELi128ELi256ELb0ELi8EEvPKT_PKT0_S8_ifPKiSA_SA_iPKfiiiPfSD_PS3_PT2_iSC_SC_
	.globl	_Z39paged_attention_ll4mi_QKV_mfma16_kernelI14__hip_bfloat16S0_LN4vllm18Fp8KVCacheDataTypeE0ES0_Li32ELi128ELi256ELb0ELi8EEvPKT_PKT0_S8_ifPKiSA_SA_iPKfiiiPfSD_PS3_PT2_iSC_SC_
	.p2align	8
	.type	_Z39paged_attention_ll4mi_QKV_mfma16_kernelI14__hip_bfloat16S0_LN4vllm18Fp8KVCacheDataTypeE0ES0_Li32ELi128ELi256ELb0ELi8EEvPKT_PKT0_S8_ifPKiSA_SA_iPKfiiiPfSD_PS3_PT2_iSC_SC_,@function
_Z39paged_attention_ll4mi_QKV_mfma16_kernelI14__hip_bfloat16S0_LN4vllm18Fp8KVCacheDataTypeE0ES0_Li32ELi128ELi256ELb0ELi8EEvPKT_PKT0_S8_ifPKiSA_SA_iPKfiiiPfSD_PS3_PT2_iSC_SC_: ; @_Z39paged_attention_ll4mi_QKV_mfma16_kernelI14__hip_bfloat16S0_LN4vllm18Fp8KVCacheDataTypeE0ES0_Li32ELi128ELi256ELb0ELi8EEvPKT_PKT0_S8_ifPKiSA_SA_iPKfiiiPfSD_PS3_PT2_iSC_SC_
; %bb.0:
	s_load_dwordx2 s[8:9], s[0:1], 0x30
	s_mov_b32 s26, s3
	s_mov_b64 s[6:7], 0
	s_waitcnt lgkmcnt(0)
	s_cmp_lg_u64 s[8:9], 0
	s_cselect_b64 s[10:11], -1, 0
	s_and_b64 vcc, exec, s[10:11]
	s_cbranch_vccz .LBB755_7
; %bb.1:
	s_add_i32 s12, s2, 1
	s_mov_b32 s13, 0
	s_lshl_b64 s[14:15], s[12:13], 2
	s_add_u32 s14, s8, s14
	s_mov_b32 s3, s13
	s_addc_u32 s15, s9, s15
	s_lshl_b64 s[12:13], s[2:3], 2
	s_add_u32 s12, s8, s12
	s_addc_u32 s13, s9, s13
	s_load_dword s5, s[14:15], 0x0
	s_load_dword s16, s[12:13], 0x0
	s_waitcnt lgkmcnt(0)
	s_sub_i32 s5, s5, s16
	s_cmp_eq_u32 s5, 1
	s_cselect_b64 s[12:13], -1, 0
	s_andn2_b64 vcc, exec, s[6:7]
	s_cbranch_vccnz .LBB755_3
.LBB755_2:
	s_mov_b32 s3, 0
	s_mov_b64 s[12:13], -1
.LBB755_3:
	s_andn2_b64 vcc, exec, s[12:13]
	s_cbranch_vccnz .LBB755_19
; %bb.4:
	s_load_dwordx2 s[6:7], s[0:1], 0x28
	s_lshl_b64 s[12:13], s[2:3], 2
	s_waitcnt lgkmcnt(0)
	s_add_u32 s6, s6, s12
	s_addc_u32 s7, s7, s13
	s_load_dword s38, s[6:7], 0x0
	s_lshl_b32 s18, s26, 8
	s_waitcnt lgkmcnt(0)
	s_cmp_ge_i32 s18, s38
	s_cbranch_scc1 .LBB755_19
; %bb.5:
	s_load_dwordx2 s[6:7], s[0:1], 0x20
	s_load_dword s5, s[0:1], 0x38
	s_add_i32 s14, s38, 31
	s_ashr_i32 s15, s14, 31
	v_and_b32_e32 v1, 0xcf, v0
	s_lshr_b32 s15, s15, 27
	v_add_u32_e32 v1, s18, v1
	s_add_i32 s14, s14, s15
	v_ashrrev_i32_e32 v2, 31, v1
	s_ashr_i32 s19, s14, 5
	v_lshrrev_b32_e32 v8, 27, v2
	s_add_i32 s19, s19, -1
	s_waitcnt lgkmcnt(0)
	s_mul_i32 s14, s2, s5
	s_mov_b32 s15, 0
	v_add_u32_e32 v2, v1, v8
	s_lshl_b64 s[14:15], s[14:15], 2
	v_ashrrev_i32_e32 v2, 5, v2
	v_mov_b32_e32 v9, s19
	v_cmp_gt_i32_e32 vcc, s38, v1
	s_add_u32 s6, s6, s14
	s_addc_u32 s7, s7, s15
	v_cndmask_b32_e32 v2, v9, v2, vcc
	v_ashrrev_i32_e32 v3, 31, v2
	v_lshl_add_u64 v[4:5], v[2:3], 2, s[6:7]
	v_or_b32_e32 v2, 16, v1
	v_add_u32_e32 v3, v2, v8
	v_ashrrev_i32_e32 v3, 5, v3
	v_cmp_gt_i32_e32 vcc, s38, v2
	s_nop 1
	v_cndmask_b32_e32 v2, v9, v3, vcc
	v_ashrrev_i32_e32 v3, 31, v2
	v_lshl_add_u64 v[6:7], v[2:3], 2, s[6:7]
	v_or_b32_e32 v2, 32, v1
	v_add_u32_e32 v3, v2, v8
	v_ashrrev_i32_e32 v3, 5, v3
	v_cmp_gt_i32_e32 vcc, s38, v2
	v_or_b32_e32 v1, 48, v1
	s_nop 0
	v_cndmask_b32_e32 v2, v9, v3, vcc
	v_ashrrev_i32_e32 v3, 31, v2
	v_lshl_add_u64 v[10:11], v[2:3], 2, s[6:7]
	v_add_u32_e32 v2, v1, v8
	v_ashrrev_i32_e32 v2, 5, v2
	v_cmp_gt_i32_e32 vcc, s38, v1
	s_nop 1
	v_cndmask_b32_e32 v2, v9, v2, vcc
	v_ashrrev_i32_e32 v3, 31, v2
	v_lshl_add_u64 v[12:13], v[2:3], 2, s[6:7]
	global_load_dword v2, v[4:5], off
	global_load_dword v9, v[6:7], off
	global_load_dword v8, v[10:11], off
	global_load_dword v34, v[12:13], off
	s_andn2_b64 vcc, exec, s[10:11]
	s_cbranch_vccnz .LBB755_8
; %bb.6:
	s_add_u32 s8, s8, s12
	s_addc_u32 s9, s9, s13
	s_load_dword s5, s[8:9], 0x0
	s_branch .LBB755_9
.LBB755_7:
	s_mov_b64 s[12:13], 0
	s_branch .LBB755_2
.LBB755_8:
	s_mov_b32 s5, s2
.LBB755_9:
	s_load_dwordx4 s[12:15], s[0:1], 0x8
	s_load_dwordx4 s[8:11], s[0:1], 0x48
	v_and_b32_e32 v1, 15, v0
	s_waitcnt lgkmcnt(0)
	s_movk_i32 s11, 0x7f
	v_lshlrev_b32_e32 v84, 3, v1
	v_cmp_lt_u32_e32 vcc, s11, v0
	s_and_saveexec_b64 s[16:17], vcc
	s_xor_b64 s[16:17], exec, s[16:17]
; %bb.10:
	v_mov_b32_e32 v85, 0
; %bb.11:
	s_or_saveexec_b64 s[16:17], s[16:17]
	v_lshrrev_b32_e32 v1, 6, v0
	s_lshl_b32 s27, s4, 3
	v_bfe_u32 v49, v0, 4, 2
	s_xor_b64 exec, exec, s[16:17]
	s_cbranch_execz .LBB755_13
; %bb.12:
	s_load_dwordx2 s[20:21], s[0:1], 0x0
	s_ashr_i32 s11, s8, 31
	s_mul_hi_u32 s22, s5, s8
	s_mul_i32 s11, s5, s11
	s_add_i32 s23, s22, s11
	s_mul_i32 s22, s5, s8
	v_lshl_or_b32 v3, v1, 2, v49
	s_lshl_b64 s[22:23], s[22:23], 1
	s_waitcnt lgkmcnt(0)
	s_add_u32 s20, s20, s22
	v_add_lshl_u32 v4, v3, s27, 7
	s_addc_u32 s21, s21, s23
	v_ashrrev_i32_e32 v5, 31, v4
	v_mov_b32_e32 v85, 0
	v_lshl_add_u64 v[4:5], v[4:5], 1, s[20:21]
	v_lshlrev_b32_e32 v6, 1, v84
	v_mov_b32_e32 v7, v85
	v_lshl_add_u64 v[4:5], v[4:5], 0, v[6:7]
	global_load_dwordx4 v[4:7], v[4:5], off
	v_and_b32_e32 v1, 15, v0
	v_and_b32_e32 v10, 3, v0
	v_lshlrev_b32_e32 v11, 9, v1
	v_lshlrev_b32_e32 v3, 5, v3
	;; [unrolled: 1-line block ×3, first 2 shown]
	v_and_b32_e32 v11, 0x1800, v11
	v_or3_b32 v3, v11, v10, v3
	s_waitcnt vmcnt(0)
	ds_write_b128 v3, v[4:7]
.LBB755_13:
	s_or_b64 exec, exec, s[16:17]
	s_mul_i32 s4, s4, s10
	s_mov_b32 s5, 0
	s_lshl_b64 s[4:5], s[4:5], 1
	s_add_u32 s10, s12, s4
	s_addc_u32 s11, s13, s5
	s_waitcnt vmcnt(3)
	v_mad_i64_i32 v[2:3], s[12:13], v2, s9, 0
	v_mov_b32_e32 v55, 0
	s_waitcnt vmcnt(2)
	v_mad_i64_i32 v[10:11], s[12:13], v9, s9, 0
	v_mov_b32_e32 v9, 0x100
	v_and_b32_e32 v1, 15, v0
	v_lshl_add_u64 v[2:3], v[2:3], 1, s[10:11]
	v_lshlrev_b64 v[6:7], 1, v[84:85]
	v_lshl_add_u64 v[10:11], v[10:11], 1, s[10:11]
	v_lshl_or_b32 v56, v1, 4, v9
	v_mov_b32_e32 v57, v55
	v_lshlrev_b32_e32 v54, 9, v49
	v_lshl_add_u64 v[2:3], v[2:3], 0, v[6:7]
	v_lshl_add_u64 v[18:19], v[10:11], 0, v[56:57]
	;; [unrolled: 1-line block ×4, first 2 shown]
	s_load_dword s33, s[0:1], 0x98
	s_load_dword s8, s[0:1], 0x1c
	s_waitcnt lgkmcnt(0)
	s_barrier
	global_load_dwordx4 v[14:17], v[4:5], off
	global_load_dwordx4 v[10:13], v[20:21], off
	s_waitcnt vmcnt(3)
	v_mad_i64_i32 v[8:9], s[12:13], v8, s9, 0
	v_lshl_add_u64 v[8:9], v[8:9], 1, s[10:11]
	v_lshl_add_u64 v[60:61], v[8:9], 0, v[6:7]
	;; [unrolled: 1-line block ×3, first 2 shown]
	global_load_dwordx4 v[6:9], v[46:47], off
	global_load_dwordx4 v[42:45], v[4:5], off offset:2048
	global_load_dwordx4 v[38:41], v[20:21], off offset:2048
	v_or_b32_e32 v62, 0x1000, v54
	v_mov_b32_e32 v63, v55
	v_lshl_add_u64 v[4:5], v[2:3], 0, v[62:63]
	global_load_dwordx4 v[30:33], v[4:5], off
	v_or_b32_e32 v58, 0x1800, v54
	v_mov_b32_e32 v59, v55
	v_lshl_add_u64 v[2:3], v[2:3], 0, v[58:59]
	global_load_dwordx4 v[22:25], v[2:3], off
	v_lshl_add_u64 v[4:5], v[18:19], 0, v[62:63]
	global_load_dwordx4 v[26:29], v[4:5], off
	;; [unrolled: 2-line block ×3, first 2 shown]
	v_and_b32_e32 v2, 7, v0
	v_lshl_or_b32 v48, v2, 5, v54
	ds_read_b128 v[2:5], v48
	s_waitcnt vmcnt(9)
	v_mad_i64_i32 v[64:65], s[12:13], v34, s9, 0
	ds_read_b128 v[34:37], v48 offset:2048
	global_load_dwordx4 v[76:79], v[46:47], off offset:2048
	v_mov_b32_e32 v1, v49
	ds_read_b128 v[50:53], v48 offset:4096
	ds_read_b128 v[46:49], v48 offset:6144
	s_ashr_i32 s12, s18, 31
	v_and_or_b32 v74, v0, 48, s18
	v_mov_b32_e32 v75, s19
	v_cmp_gt_i32_e32 vcc, s38, v74
	v_or_b32_e32 v87, 64, v74
	v_or_b32_e32 v88, 0x80, v74
	;; [unrolled: 1-line block ×3, first 2 shown]
	s_mov_b32 s40, 0xff7fffff
	s_waitcnt vmcnt(7) lgkmcnt(3)
	v_mfma_f32_16x16x16_bf16 v[80:83], v[6:7], v[2:3], 0
	v_lshl_add_u64 v[6:7], v[64:65], 1, s[10:11]
	s_lshr_b32 s10, s12, 27
	v_lshl_add_u64 v[6:7], v[6:7], 0, v[56:57]
	v_mfma_f32_16x16x16_bf16 v[70:73], v[10:11], v[2:3], 0
	v_lshl_add_u64 v[64:65], v[6:7], 0, v[54:55]
	v_lshl_add_u64 v[56:57], v[60:61], 0, v[58:59]
	s_add_u32 s4, s14, s4
	v_mfma_f32_16x16x16_bf16 v[66:69], v[14:15], v[2:3], 0
	s_addc_u32 s5, s15, s5
	v_mfma_f32_16x16x16_bf16 v[10:13], v[12:13], v[4:5], v[70:73]
	v_mfma_f32_16x16x16_bf16 v[14:17], v[16:17], v[4:5], v[66:69]
	s_nop 1
	v_lshl_add_u64 v[72:73], v[6:7], 0, v[62:63]
	global_load_dwordx4 v[92:95], v[72:73], off
	s_waitcnt vmcnt(6) lgkmcnt(2)
	v_mfma_f32_16x16x16_bf16 v[10:13], v[38:39], v[34:35], v[10:13]
	v_add_u32_e32 v66, s10, v74
	v_ashrrev_i32_e32 v54, 5, v66
	v_add_u32_e32 v67, s10, v87
	v_mfma_f32_16x16x16_bf16 v[14:17], v[42:43], v[34:35], v[14:17]
	v_lshl_add_u64 v[42:43], v[60:61], 0, v[62:63]
	v_ashrrev_i32_e32 v60, 5, v67
	v_add_u32_e32 v68, s10, v88
	v_mfma_f32_16x16x16_bf16 v[10:13], v[40:41], v[36:37], v[10:13]
	global_load_dwordx4 v[38:41], v[42:43], off
	v_cndmask_b32_e32 v42, v75, v54, vcc
	v_ashrrev_i32_e32 v43, 31, v42
	v_mfma_f32_16x16x16_bf16 v[14:17], v[44:45], v[36:37], v[14:17]
	v_cmp_gt_i32_e32 vcc, s38, v87
	v_ashrrev_i32_e32 v66, 5, v68
	v_add_u32_e32 v69, s10, v89
	s_waitcnt vmcnt(6) lgkmcnt(1)
	v_mfma_f32_16x16x16_bf16 v[14:17], v[30:31], v[50:51], v[14:17]
	v_lshl_add_u64 v[30:31], v[42:43], 2, s[6:7]
	global_load_dwordx4 v[42:45], v[56:57], off
	v_ashrrev_i32_e32 v68, 5, v69
	global_load_dword v30, v[30:31], off
	s_waitcnt vmcnt(6)
	v_mfma_f32_16x16x16_bf16 v[10:13], v[26:27], v[50:51], v[10:13]
	v_cndmask_b32_e32 v26, v75, v60, vcc
	v_ashrrev_i32_e32 v27, 31, v26
	v_lshl_add_u64 v[26:27], v[26:27], 2, s[6:7]
	global_load_dwordx4 v[60:63], v[64:65], off
	global_load_dword v56, v[26:27], off
	v_mfma_f32_16x16x16_bf16 v[14:17], v[32:33], v[52:53], v[14:17]
	v_cmp_gt_i32_e32 vcc, s38, v88
	s_nop 1
	v_cndmask_b32_e32 v26, v75, v66, vcc
	v_ashrrev_i32_e32 v27, 31, v26
	s_waitcnt lgkmcnt(0)
	v_mfma_f32_16x16x16_bf16 v[14:17], v[22:23], v[46:47], v[14:17]
	v_lshl_add_u64 v[22:23], v[26:27], 2, s[6:7]
	global_load_dword v57, v[22:23], off
	v_cmp_gt_i32_e32 vcc, s38, v89
	global_load_dwordx4 v[64:67], v[64:65], off offset:2048
	v_mfma_f32_16x16x16_bf16 v[10:13], v[28:29], v[52:53], v[10:13]
	s_waitcnt vmcnt(9)
	v_mfma_f32_16x16x16_bf16 v[10:13], v[18:19], v[46:47], v[10:13]
	v_cndmask_b32_e32 v18, v75, v68, vcc
	v_ashrrev_i32_e32 v19, 31, v18
	v_mfma_f32_16x16x16_bf16 v[88:91], v[20:21], v[48:49], v[10:13]
	s_nop 3
	v_lshl_add_u64 v[10:11], v[6:7], 0, v[58:59]
	global_load_dwordx4 v[72:75], v[10:11], off
	v_mfma_f32_16x16x16_bf16 v[68:71], v[24:25], v[48:49], v[14:17]
	v_and_b32_e32 v10, 16, v0
	v_lshlrev_b32_e32 v54, 1, v10
	v_and_b32_e32 v10, 15, v0
	v_lshl_add_u64 v[14:15], v[18:19], 2, s[6:7]
	global_load_dword v86, v[14:15], off
	v_mfma_f32_16x16x16_bf16 v[6:9], v[8:9], v[4:5], v[80:83]
	v_lshrrev_b32_e32 v11, 6, v0
	v_lshl_or_b32 v87, v11, 4, v10
	v_lshl_add_u64 v[58:59], s[4:5], 0, v[54:55]
	s_waitcnt vmcnt(10)
	v_mfma_f32_16x16x16_bf16 v[6:9], v[76:77], v[34:35], v[6:9]
	v_lshlrev_b32_e32 v54, 6, v87
	v_lshl_add_u64 v[76:77], v[58:59], 0, v[54:55]
	v_pk_mul_f32 v[80:81], s[8:9], v[70:71] op_sel_hi:[0,1]
	v_mfma_f32_16x16x16_bf16 v[6:9], v[78:79], v[36:37], v[6:9]
	v_pk_mul_f32 v[70:71], s[8:9], v[88:89] op_sel_hi:[0,1]
	v_pk_mul_f32 v[82:83], s[8:9], v[90:91] op_sel_hi:[0,1]
	v_or_b32_e32 v54, 0x1000, v54
	s_waitcnt vmcnt(8)
	v_mfma_f32_16x16x16_bf16 v[6:9], v[38:39], v[50:51], v[6:9]
	s_waitcnt vmcnt(6)
	v_mad_i64_i32 v[10:11], s[4:5], v30, s9, 0
	v_mfma_f32_16x16x16_bf16 v[6:9], v[40:41], v[52:53], v[6:9]
	v_lshlrev_b64 v[78:79], 1, v[10:11]
	v_lshl_add_u64 v[10:11], v[76:77], 0, v[78:79]
	global_load_dwordx4 v[30:33], v[10:11], off
	global_load_dwordx4 v[26:29], v[10:11], off offset:16
	v_mfma_f32_16x16x16_bf16 v[6:9], v[42:43], v[46:47], v[6:9]
	s_waitcnt vmcnt(6)
	v_mad_i64_i32 v[10:11], s[4:5], v56, s9, 0
	v_lshlrev_b64 v[42:43], 1, v[10:11]
	v_mfma_f32_16x16x16_bf16 v[38:41], v[44:45], v[48:49], v[6:9]
	s_nop 2
	v_lshl_add_u64 v[6:7], v[76:77], 0, v[42:43]
	global_load_dwordx4 v[22:25], v[6:7], off
	global_load_dwordx4 v[18:21], v[6:7], off offset:16
	v_mfma_f32_16x16x16_bf16 v[6:9], v[60:61], v[2:3], 0
	s_waitcnt vmcnt(7)
	v_mad_i64_i32 v[2:3], s[4:5], v57, s9, 0
	v_lshlrev_b64 v[56:57], 1, v[2:3]
	v_mfma_f32_16x16x16_bf16 v[2:5], v[62:63], v[4:5], v[6:9]
	s_waitcnt vmcnt(6)
	v_mfma_f32_16x16x16_bf16 v[2:5], v[64:65], v[34:35], v[2:5]
	s_nop 0
	v_lshl_add_u64 v[6:7], v[76:77], 0, v[56:57]
	global_load_dwordx4 v[14:17], v[6:7], off
	global_load_dwordx4 v[10:13], v[6:7], off offset:16
	v_lshl_add_u64 v[64:65], v[58:59], 0, v[54:55]
	v_mfma_f32_16x16x16_bf16 v[34:37], v[66:67], v[36:37], v[2:5]
	v_lshl_add_u64 v[44:45], v[64:65], 0, v[78:79]
	v_pk_mul_f32 v[78:79], s[8:9], v[40:41] op_sel_hi:[0,1]
	s_waitcnt vmcnt(6)
	v_mad_i64_i32 v[6:7], s[4:5], v86, s9, 0
	v_mfma_f32_16x16x16_bf16 v[34:37], v[92:93], v[50:51], v[34:37]
	v_pk_mul_f32 v[50:51], s[8:9], v[68:69] op_sel_hi:[0,1]
	v_lshlrev_b64 v[62:63], 1, v[6:7]
	v_lshl_add_u64 v[2:3], v[76:77], 0, v[62:63]
	v_mfma_f32_16x16x16_bf16 v[34:37], v[94:95], v[52:53], v[34:37]
	v_pk_mul_f32 v[76:77], s[8:9], v[38:39] op_sel_hi:[0,1]
	global_load_dwordx4 v[6:9], v[2:3], off
	s_nop 0
	global_load_dwordx4 v[2:5], v[2:3], off offset:16
	v_mfma_f32_16x16x16_bf16 v[34:37], v[72:73], v[46:47], v[34:37]
	v_mfma_f32_16x16x16_bf16 v[34:37], v[74:75], v[48:49], v[34:37]
	s_nop 6
	v_pk_mul_f32 v[72:73], s[8:9], v[34:35] op_sel_hi:[0,1]
	v_and_b32_e32 v34, 0xc0, v0
	v_add_u32_e32 v34, s18, v34
	v_lshl_or_b32 v34, v1, 2, v34
	v_pk_mul_f32 v[66:67], s[8:9], v[36:37] op_sel_hi:[0,1]
	v_or_b32_e32 v37, 1, v34
	v_mov_b32_e32 v35, 0xff7fffff
	v_cmp_gt_i32_e64 s[28:29], s38, v34
	v_cmp_gt_i32_e64 s[30:31], s38, v37
	v_or_b32_e32 v38, 3, v34
	v_cndmask_b32_e64 v36, v35, v50, s[28:29]
	v_cndmask_b32_e64 v37, v35, v51, s[30:31]
	v_max3_f32 v36, v36, s40, v37
	v_or_b32_e32 v37, 2, v34
	v_cmp_gt_i32_e64 s[34:35], s38, v37
	v_cmp_gt_i32_e64 s[36:37], s38, v38
	v_and_b32_e32 v1, 63, v0
	v_cndmask_b32_e64 v37, v35, v80, s[34:35]
	v_cndmask_b32_e64 v38, v35, v81, s[36:37]
	v_max3_f32 v36, v36, v37, v38
	v_or_b32_e32 v37, 16, v34
	v_or_b32_e32 v38, 17, v34
	v_cmp_gt_i32_e64 s[22:23], s38, v37
	v_cmp_gt_i32_e64 s[24:25], s38, v38
	s_nop 0
	v_cndmask_b32_e64 v37, v35, v70, s[22:23]
	v_cndmask_b32_e64 v38, v35, v71, s[24:25]
	v_max3_f32 v36, v36, v37, v38
	v_or_b32_e32 v37, 18, v34
	v_or_b32_e32 v38, 19, v34
	v_cmp_gt_i32_e64 s[18:19], s38, v37
	v_cmp_gt_i32_e64 s[20:21], s38, v38
	s_nop 0
	;; [unrolled: 8-line block ×5, first 2 shown]
	v_cndmask_b32_e64 v37, v35, v72, s[6:7]
	v_cndmask_b32_e64 v38, v35, v73, s[8:9]
	v_max3_f32 v36, v36, v37, v38
	v_or_b32_e32 v37, 50, v34
	v_or_b32_e32 v34, 51, v34
	v_cmp_gt_i32_e32 vcc, s38, v37
	v_cmp_gt_i32_e64 s[4:5], s38, v34
	global_load_dwordx4 v[46:49], v[44:45], off
	global_load_dwordx4 v[38:41], v[44:45], off offset:16
	v_cndmask_b32_e32 v37, v35, v66, vcc
	v_cndmask_b32_e64 v34, v35, v67, s[4:5]
	v_max3_f32 v52, v36, v37, v34
	v_mbcnt_lo_u32_b32 v34, -1, 0
	v_mbcnt_hi_u32_b32 v53, -1, v34
	v_and_b32_e32 v34, 64, v53
	v_add_u32_e32 v54, 64, v34
	v_xor_b32_e32 v34, 32, v53
	v_cmp_lt_i32_e64 s[38:39], v34, v54
	s_nop 1
	v_cndmask_b32_e64 v34, v53, v34, s[38:39]
	v_lshlrev_b32_e32 v74, 2, v34
	ds_bpermute_b32 v55, v74, v52
	v_lshl_add_u64 v[34:35], v[64:65], 0, v[42:43]
	global_load_dwordx4 v[42:45], v[34:35], off
	s_nop 0
	global_load_dwordx4 v[34:37], v[34:35], off offset:16
	s_waitcnt lgkmcnt(0)
	v_max_f32_e32 v55, v55, v55
	v_max_f32_e32 v68, v52, v55
	v_xor_b32_e32 v52, 16, v53
	v_cmp_lt_i32_e64 s[38:39], v52, v54
	s_nop 1
	v_cndmask_b32_e64 v52, v53, v52, s[38:39]
	v_lshlrev_b32_e32 v75, 2, v52
	ds_bpermute_b32 v69, v75, v68
	v_lshl_add_u64 v[52:53], v[64:65], 0, v[56:57]
	global_load_dwordx4 v[58:61], v[52:53], off
	global_load_dwordx4 v[54:57], v[52:53], off offset:16
	v_lshl_add_u64 v[52:53], v[64:65], 0, v[62:63]
	s_waitcnt lgkmcnt(0)
	v_max_f32_e32 v62, v69, v69
	v_max_f32_e32 v88, v68, v62
	v_sub_f32_e32 v50, v50, v88
	v_mul_f32_e32 v50, 0x3fb8aa3b, v50
	v_exp_f32_e32 v68, v50
	v_sub_f32_e32 v50, v51, v88
	v_mul_f32_e32 v50, 0x3fb8aa3b, v50
	v_exp_f32_e32 v69, v50
	global_load_dwordx4 v[62:65], v[52:53], off
	s_nop 0
	global_load_dwordx4 v[50:53], v[52:53], off offset:16
	v_sub_f32_e32 v80, v80, v88
	v_mul_f32_e32 v80, 0x3fb8aa3b, v80
	v_sub_f32_e32 v81, v81, v88
	v_exp_f32_e32 v80, v80
	v_mul_f32_e32 v81, 0x3fb8aa3b, v81
	v_sub_f32_e32 v70, v70, v88
	v_exp_f32_e32 v81, v81
	v_mul_f32_e32 v70, 0x3fb8aa3b, v70
	v_sub_f32_e32 v71, v71, v88
	v_cndmask_b32_e64 v68, 0, v68, s[28:29]
	v_exp_f32_e32 v70, v70
	v_mul_f32_e32 v71, 0x3fb8aa3b, v71
	v_sub_f32_e32 v82, v82, v88
	v_add_f32_e32 v86, 0, v68
	v_cndmask_b32_e64 v69, 0, v69, s[30:31]
	v_exp_f32_e32 v71, v71
	v_mul_f32_e32 v82, 0x3fb8aa3b, v82
	v_sub_f32_e32 v83, v83, v88
	v_add_f32_e32 v86, v86, v69
	;; [unrolled: 5-line block ×10, first 2 shown]
	v_cndmask_b32_e64 v78, 0, v78, s[10:11]
	v_exp_f32_e32 v66, v66
	v_mul_f32_e32 v67, 0x3fb8aa3b, v67
	v_add_f32_e32 v86, v86, v78
	v_cndmask_b32_e64 v79, 0, v79, s[12:13]
	v_exp_f32_e32 v67, v67
	v_add_f32_e32 v86, v86, v79
	v_cndmask_b32_e64 v72, 0, v72, s[6:7]
	v_add_f32_e32 v86, v86, v72
	v_cndmask_b32_e64 v73, 0, v73, s[8:9]
	v_add_f32_e32 v86, v86, v73
	v_cndmask_b32_e32 v66, 0, v66, vcc
	v_add_f32_e32 v86, v86, v66
	v_cndmask_b32_e64 v67, 0, v67, s[4:5]
	v_add_f32_e32 v86, v86, v67
	ds_bpermute_b32 v74, v74, v86
	v_cmp_gt_u32_e32 vcc, 16, v1
	s_waitcnt lgkmcnt(0)
	s_barrier
	v_add_f32_e32 v89, v86, v74
	ds_bpermute_b32 v90, v75, v89
	s_and_saveexec_b64 s[4:5], vcc
	s_cbranch_execz .LBB755_15
; %bb.14:
	s_waitcnt lgkmcnt(0)
	v_add_f32_e32 v74, v89, v90
	v_lshlrev_b32_e32 v75, 2, v87
	ds_write2st64_b32 v75, v88, v74 offset1:1
.LBB755_15:
	s_or_b64 exec, exec, s[4:5]
	v_and_b32_e32 v1, 15, v0
	v_lshlrev_b32_e32 v87, 2, v1
	s_load_dword s6, s[0:1], 0x94
	s_waitcnt lgkmcnt(0)
	s_barrier
	ds_read2_b32 v[74:75], v87 offset1:16
	ds_read2_b32 v[88:89], v87 offset0:32 offset1:48
	ds_read2_b32 v[90:91], v87 offset0:64 offset1:80
	s_movk_i32 s8, 0x7fff
	s_mov_b32 s9, 0x7060302
	s_waitcnt lgkmcnt(2)
	v_max3_f32 v86, v74, s40, v75
	s_waitcnt lgkmcnt(1)
	v_max3_f32 v86, v86, v88, v89
	v_sub_f32_e32 v74, v74, v86
	v_mul_f32_e32 v74, 0x3fb8aa3b, v74
	v_exp_f32_e32 v92, v74
	v_sub_f32_e32 v74, v75, v86
	v_mul_f32_e32 v74, 0x3fb8aa3b, v74
	v_exp_f32_e32 v93, v74
	;; [unrolled: 3-line block ×3, first 2 shown]
	ds_read2_b32 v[74:75], v87 offset0:96 offset1:112
	v_sub_f32_e32 v87, v89, v86
	v_mul_f32_e32 v87, 0x3fb8aa3b, v87
	v_exp_f32_e32 v89, v87
	s_waitcnt lgkmcnt(1)
	v_fma_f32 v87, v92, v90, 0
	v_fmac_f32_e32 v87, v93, v91
	s_waitcnt lgkmcnt(0)
	v_fmac_f32_e32 v87, v88, v74
	v_fmac_f32_e32 v87, v89, v75
	v_add_f32_e32 v74, 0x358637bd, v87
	v_div_scale_f32 v75, s[4:5], v74, v74, 1.0
	v_rcp_f32_e32 v90, v75
	s_barrier
	v_fma_f32 v91, -v75, v90, 1.0
	v_fmac_f32_e32 v90, v91, v90
	v_div_scale_f32 v91, vcc, 1.0, v74, 1.0
	v_mul_f32_e32 v94, v91, v90
	v_fma_f32 v95, -v75, v94, v91
	v_fmac_f32_e32 v94, v95, v90
	v_fma_f32 v75, -v75, v94, v91
	v_div_fmas_f32 v75, v75, v90, v94
	v_lshrrev_b32_e32 v90, 6, v0
	v_cmp_eq_u32_e32 vcc, 1, v90
	v_div_fixup_f32 v74, v75, v74, 1.0
	s_lshl_b32 s7, s33, 3
	v_cndmask_b32_e32 v75, v92, v93, vcc
	v_cmp_eq_u32_e32 vcc, 2, v90
	s_nop 1
	v_cndmask_b32_e32 v75, v75, v88, vcc
	v_cmp_eq_u32_e32 vcc, 3, v90
	s_nop 1
	v_cndmask_b32_e32 v75, v75, v89, vcc
	v_mul_f32_e32 v74, v75, v74
	v_pk_mul_f32 v[68:69], v[74:75], v[68:69] op_sel_hi:[0,1]
	v_pk_mul_f32 v[80:81], v[74:75], v[80:81] op_sel_hi:[0,1]
	v_bfe_u32 v75, v69, 16, 1
	v_bfe_u32 v88, v68, 16, 1
	v_add3_u32 v68, v68, v88, s8
	v_add3_u32 v69, v69, v75, s8
	v_perm_b32 v88, v69, v68, s9
	v_bfe_u32 v68, v81, 16, 1
	v_bfe_u32 v69, v80, 16, 1
	v_add3_u32 v69, v80, v69, s8
	v_add3_u32 v68, v81, v68, s8
	v_bfe_u32 v81, v0, 4, 2
	v_perm_b32 v89, v68, v69, s9
	v_lshlrev_b32_e32 v69, 3, v81
	v_lshlrev_b32_e32 v68, 5, v1
	;; [unrolled: 1-line block ×3, first 2 shown]
	v_pk_mul_f32 v[70:71], v[74:75], v[70:71] op_sel_hi:[0,1]
	v_or3_b32 v80, v1, v68, v69
	v_bfe_u32 v1, v71, 16, 1
	v_bfe_u32 v69, v70, 16, 1
	v_pk_mul_f32 v[82:83], v[74:75], v[82:83] op_sel_hi:[0,1]
	v_add3_u32 v69, v70, v69, s8
	v_add3_u32 v1, v71, v1, s8
	v_perm_b32 v70, v1, v69, s9
	v_bfe_u32 v1, v83, 16, 1
	v_bfe_u32 v69, v82, 16, 1
	v_add3_u32 v69, v82, v69, s8
	v_add3_u32 v1, v83, v1, s8
	v_pk_mul_f32 v[76:77], v[74:75], v[76:77] op_sel_hi:[0,1]
	v_perm_b32 v71, v1, v69, s9
	v_bfe_u32 v1, v77, 16, 1
	v_bfe_u32 v69, v76, 16, 1
	ds_write2st64_b64 v80, v[88:89], v[70:71] offset1:1
	v_pk_mul_f32 v[70:71], v[74:75], v[78:79] op_sel_hi:[0,1]
	v_add3_u32 v69, v76, v69, s8
	v_add3_u32 v1, v77, v1, s8
	v_perm_b32 v76, v1, v69, s9
	v_bfe_u32 v1, v71, 16, 1
	v_bfe_u32 v69, v70, 16, 1
	v_add3_u32 v69, v70, v69, s8
	v_add3_u32 v1, v71, v1, s8
	v_pk_mul_f32 v[70:71], v[74:75], v[72:73] op_sel_hi:[0,1]
	v_perm_b32 v77, v1, v69, s9
	v_bfe_u32 v1, v71, 16, 1
	v_bfe_u32 v69, v70, 16, 1
	v_pk_mul_f32 v[66:67], v[74:75], v[66:67] op_sel_hi:[0,1]
	v_add3_u32 v69, v70, v69, s8
	v_add3_u32 v1, v71, v1, s8
	v_perm_b32 v70, v1, v69, s9
	v_bfe_u32 v1, v67, 16, 1
	v_bfe_u32 v69, v66, 16, 1
	v_add3_u32 v66, v66, v69, s8
	v_add3_u32 v1, v67, v1, s8
	v_perm_b32 v71, v1, v66, s9
	v_cmp_gt_u32_e32 vcc, 8, v0
	ds_write2st64_b64 v80, v[76:77], v[70:71] offset0:2 offset1:3
	s_and_saveexec_b64 s[4:5], vcc
	s_cbranch_execz .LBB755_17
; %bb.16:
	v_or_b32_e32 v66, s27, v0
	v_mov_b32_e32 v67, 0
	v_mov_b32_e32 v1, s7
	v_mad_u64_u32 v[70:71], s[10:11], s2, v1, v[66:67]
	v_mov_b32_e32 v66, s26
	s_load_dwordx4 s[12:15], s[0:1], 0x58
	s_mul_i32 s3, s3, s7
	v_mad_u64_u32 v[66:67], s[10:11], v70, s6, v[66:67]
	v_add_u32_e32 v1, s3, v71
	v_mov_b32_e32 v70, v67
	v_mad_u64_u32 v[70:71], s[10:11], v1, s6, v[70:71]
	v_mov_b32_e32 v67, v70
	v_lshlrev_b64 v[66:67], 2, v[66:67]
	s_waitcnt lgkmcnt(0)
	v_lshl_add_u64 v[70:71], s[14:15], 0, v[66:67]
	v_lshl_add_u64 v[66:67], s[12:13], 0, v[66:67]
	global_store_dword v[70:71], v86, off
	global_store_dword v[66:67], v87, off
.LBB755_17:
	s_or_b64 exec, exec, s[4:5]
	v_lshl_or_b32 v1, v81, 9, v68
	s_waitcnt lgkmcnt(0)
	s_barrier
	ds_read_b128 v[70:73], v1
	ds_read_b128 v[66:69], v1 offset:16
	s_waitcnt vmcnt(15) lgkmcnt(1)
	v_mfma_f32_16x16x16_bf16 v[74:77], v[30:31], v[70:71], 0
	s_mov_b32 s3, 0
	v_cmp_gt_u32_e32 vcc, 64, v0
	v_mfma_f32_16x16x16_bf16 v[30:33], v[32:33], v[72:73], v[74:77]
	s_waitcnt vmcnt(14) lgkmcnt(0)
	v_mfma_f32_16x16x16_bf16 v[30:33], v[26:27], v[66:67], v[30:33]
	v_mfma_f32_16x16x16_bf16 v[26:29], v[28:29], v[68:69], v[30:33]
	s_nop 5
	ds_read_b128 v[30:33], v1 offset:2048
	ds_read_b128 v[74:77], v1 offset:2064
	s_waitcnt vmcnt(13) lgkmcnt(1)
	v_mfma_f32_16x16x16_bf16 v[26:29], v[22:23], v[30:31], v[26:29]
	v_mfma_f32_16x16x16_bf16 v[22:25], v[24:25], v[32:33], v[26:29]
	s_waitcnt vmcnt(12) lgkmcnt(0)
	v_mfma_f32_16x16x16_bf16 v[22:25], v[18:19], v[74:75], v[22:25]
	v_mfma_f32_16x16x16_bf16 v[18:21], v[20:21], v[76:77], v[22:25]
	s_nop 5
	ds_read_b128 v[22:25], v1 offset:4096
	ds_read_b128 v[26:29], v1 offset:4112
	s_waitcnt vmcnt(11) lgkmcnt(1)
	v_mfma_f32_16x16x16_bf16 v[18:21], v[14:15], v[22:23], v[18:21]
	v_mfma_f32_16x16x16_bf16 v[14:17], v[16:17], v[24:25], v[18:21]
	s_waitcnt vmcnt(10) lgkmcnt(0)
	v_mfma_f32_16x16x16_bf16 v[14:17], v[10:11], v[26:27], v[14:17]
	v_mfma_f32_16x16x16_bf16 v[10:13], v[12:13], v[28:29], v[14:17]
	s_nop 5
	ds_read_b128 v[14:17], v1 offset:6144
	ds_read_b128 v[18:21], v1 offset:6160
	s_waitcnt lgkmcnt(0)
	s_barrier
	s_waitcnt vmcnt(9)
	v_mfma_f32_16x16x16_bf16 v[10:13], v[6:7], v[14:15], v[10:13]
	v_mfma_f32_16x16x16_bf16 v[6:9], v[8:9], v[16:17], v[10:13]
	s_waitcnt vmcnt(8)
	v_mfma_f32_16x16x16_bf16 v[6:9], v[2:3], v[18:19], v[6:9]
	v_mfma_f32_16x16x16_bf16 v[2:5], v[4:5], v[20:21], v[6:9]
	;; [unrolled: 3-line block ×3, first 2 shown]
	s_nop 3
	v_bfe_u32 v1, v3, 16, 1
	v_bfe_u32 v10, v2, 16, 1
	v_add3_u32 v2, v2, v10, s8
	s_waitcnt vmcnt(6)
	v_mfma_f32_16x16x16_bf16 v[6:9], v[38:39], v[66:67], v[6:9]
	v_add3_u32 v1, v3, v1, s8
	v_perm_b32 v10, v1, v2, s9
	v_bfe_u32 v1, v5, 16, 1
	v_mfma_f32_16x16x16_bf16 v[6:9], v[40:41], v[68:69], v[6:9]
	v_bfe_u32 v2, v4, 16, 1
	v_add3_u32 v2, v4, v2, s8
	v_add3_u32 v1, v5, v1, s8
	s_waitcnt vmcnt(5)
	v_mfma_f32_16x16x16_bf16 v[6:9], v[42:43], v[30:31], v[6:9]
	v_perm_b32 v11, v1, v2, s9
	v_mfma_f32_16x16x16_bf16 v[6:9], v[44:45], v[32:33], v[6:9]
	s_waitcnt vmcnt(4)
	v_mfma_f32_16x16x16_bf16 v[6:9], v[34:35], v[74:75], v[6:9]
	v_mfma_f32_16x16x16_bf16 v[6:9], v[36:37], v[76:77], v[6:9]
	s_waitcnt vmcnt(3)
	v_mfma_f32_16x16x16_bf16 v[6:9], v[58:59], v[22:23], v[6:9]
	;; [unrolled: 3-line block ×5, first 2 shown]
	v_mfma_f32_16x16x16_bf16 v[2:5], v[52:53], v[20:21], v[6:9]
	s_nop 6
	v_bfe_u32 v1, v3, 16, 1
	v_bfe_u32 v6, v2, 16, 1
	v_add3_u32 v2, v2, v6, s8
	v_add3_u32 v1, v3, v1, s8
	v_perm_b32 v2, v1, v2, s9
	v_bfe_u32 v1, v5, 16, 1
	v_bfe_u32 v3, v4, 16, 1
	v_add3_u32 v3, v4, v3, s8
	v_add3_u32 v1, v5, v1, s8
	v_perm_b32 v3, v1, v3, s9
	ds_write2st64_b64 v80, v[10:11], v[2:3] offset1:1
	s_waitcnt lgkmcnt(0)
	s_barrier
	s_and_saveexec_b64 s[4:5], vcc
	s_cbranch_execz .LBB755_19
; %bb.18:
	s_load_dwordx2 s[0:1], s[0:1], 0x68
	s_lshl_b32 s6, s6, 7
	s_mul_i32 s2, s7, s2
	v_and_b32_e32 v3, 15, v0
	s_mul_hi_u32 s5, s2, s6
	s_mul_i32 s4, s2, s6
	v_lshlrev_b32_e32 v3, 6, v3
	s_lshl_b64 s[4:5], s[4:5], 1
	v_lshlrev_b32_e32 v2, 4, v0
	v_lshl_or_b32 v0, v0, 10, v3
	s_waitcnt lgkmcnt(0)
	s_add_u32 s4, s0, s4
	v_lshlrev_b32_e32 v1, 5, v81
	v_and_b32_e32 v2, 16, v2
	v_and_b32_e32 v0, 0x1a00, v0
	s_addc_u32 s5, s1, s5
	s_lshl_b32 s2, s26, 7
	v_or3_b32 v4, v0, v1, v2
	s_lshl_b64 s[0:1], s[2:3], 1
	ds_read_b128 v[0:3], v4
	ds_read_b128 v[4:7], v4 offset:128
	s_add_u32 s0, s4, s0
	s_addc_u32 s1, s5, s1
	v_or_b32_e32 v12, s27, v81
	v_lshl_add_u64 v[8:9], v[84:85], 1, s[0:1]
	v_mad_u64_u32 v[10:11], s[0:1], v12, s6, 0
	v_lshl_add_u64 v[10:11], v[10:11], 1, v[8:9]
	s_waitcnt lgkmcnt(1)
	global_store_dwordx4 v[10:11], v[0:3], off
	s_nop 1
	v_or_b32_e32 v0, 4, v12
	v_mad_u64_u32 v[0:1], s[0:1], v0, s6, 0
	v_lshl_add_u64 v[0:1], v[0:1], 1, v[8:9]
	s_waitcnt lgkmcnt(0)
	global_store_dwordx4 v[0:1], v[4:7], off
.LBB755_19:
	s_endpgm
	.section	.rodata,"a",@progbits
	.p2align	6, 0x0
	.amdhsa_kernel _Z39paged_attention_ll4mi_QKV_mfma16_kernelI14__hip_bfloat16S0_LN4vllm18Fp8KVCacheDataTypeE0ES0_Li32ELi128ELi256ELb0ELi8EEvPKT_PKT0_S8_ifPKiSA_SA_iPKfiiiPfSD_PS3_PT2_iSC_SC_
		.amdhsa_group_segment_fixed_size 8192
		.amdhsa_private_segment_fixed_size 0
		.amdhsa_kernarg_size 400
		.amdhsa_user_sgpr_count 2
		.amdhsa_user_sgpr_dispatch_ptr 0
		.amdhsa_user_sgpr_queue_ptr 0
		.amdhsa_user_sgpr_kernarg_segment_ptr 1
		.amdhsa_user_sgpr_dispatch_id 0
		.amdhsa_user_sgpr_kernarg_preload_length 0
		.amdhsa_user_sgpr_kernarg_preload_offset 0
		.amdhsa_user_sgpr_private_segment_size 0
		.amdhsa_uses_dynamic_stack 0
		.amdhsa_enable_private_segment 0
		.amdhsa_system_sgpr_workgroup_id_x 1
		.amdhsa_system_sgpr_workgroup_id_y 1
		.amdhsa_system_sgpr_workgroup_id_z 1
		.amdhsa_system_sgpr_workgroup_info 0
		.amdhsa_system_vgpr_workitem_id 0
		.amdhsa_next_free_vgpr 96
		.amdhsa_next_free_sgpr 41
		.amdhsa_accum_offset 96
		.amdhsa_reserve_vcc 1
		.amdhsa_float_round_mode_32 0
		.amdhsa_float_round_mode_16_64 0
		.amdhsa_float_denorm_mode_32 3
		.amdhsa_float_denorm_mode_16_64 3
		.amdhsa_dx10_clamp 1
		.amdhsa_ieee_mode 1
		.amdhsa_fp16_overflow 0
		.amdhsa_tg_split 0
		.amdhsa_exception_fp_ieee_invalid_op 0
		.amdhsa_exception_fp_denorm_src 0
		.amdhsa_exception_fp_ieee_div_zero 0
		.amdhsa_exception_fp_ieee_overflow 0
		.amdhsa_exception_fp_ieee_underflow 0
		.amdhsa_exception_fp_ieee_inexact 0
		.amdhsa_exception_int_div_zero 0
	.end_amdhsa_kernel
	.section	.text._Z39paged_attention_ll4mi_QKV_mfma16_kernelI14__hip_bfloat16S0_LN4vllm18Fp8KVCacheDataTypeE0ES0_Li32ELi128ELi256ELb0ELi8EEvPKT_PKT0_S8_ifPKiSA_SA_iPKfiiiPfSD_PS3_PT2_iSC_SC_,"axG",@progbits,_Z39paged_attention_ll4mi_QKV_mfma16_kernelI14__hip_bfloat16S0_LN4vllm18Fp8KVCacheDataTypeE0ES0_Li32ELi128ELi256ELb0ELi8EEvPKT_PKT0_S8_ifPKiSA_SA_iPKfiiiPfSD_PS3_PT2_iSC_SC_,comdat
.Lfunc_end755:
	.size	_Z39paged_attention_ll4mi_QKV_mfma16_kernelI14__hip_bfloat16S0_LN4vllm18Fp8KVCacheDataTypeE0ES0_Li32ELi128ELi256ELb0ELi8EEvPKT_PKT0_S8_ifPKiSA_SA_iPKfiiiPfSD_PS3_PT2_iSC_SC_, .Lfunc_end755-_Z39paged_attention_ll4mi_QKV_mfma16_kernelI14__hip_bfloat16S0_LN4vllm18Fp8KVCacheDataTypeE0ES0_Li32ELi128ELi256ELb0ELi8EEvPKT_PKT0_S8_ifPKiSA_SA_iPKfiiiPfSD_PS3_PT2_iSC_SC_
                                        ; -- End function
	.section	.AMDGPU.csdata,"",@progbits
; Kernel info:
; codeLenInByte = 4848
; NumSgprs: 47
; NumVgprs: 96
; NumAgprs: 0
; TotalNumVgprs: 96
; ScratchSize: 0
; MemoryBound: 0
; FloatMode: 240
; IeeeMode: 1
; LDSByteSize: 8192 bytes/workgroup (compile time only)
; SGPRBlocks: 5
; VGPRBlocks: 11
; NumSGPRsForWavesPerEU: 47
; NumVGPRsForWavesPerEU: 96
; AccumOffset: 96
; Occupancy: 5
; WaveLimiterHint : 1
; COMPUTE_PGM_RSRC2:SCRATCH_EN: 0
; COMPUTE_PGM_RSRC2:USER_SGPR: 2
; COMPUTE_PGM_RSRC2:TRAP_HANDLER: 0
; COMPUTE_PGM_RSRC2:TGID_X_EN: 1
; COMPUTE_PGM_RSRC2:TGID_Y_EN: 1
; COMPUTE_PGM_RSRC2:TGID_Z_EN: 1
; COMPUTE_PGM_RSRC2:TIDIG_COMP_CNT: 0
; COMPUTE_PGM_RSRC3_GFX90A:ACCUM_OFFSET: 23
; COMPUTE_PGM_RSRC3_GFX90A:TG_SPLIT: 0
	.section	.text._Z39paged_attention_ll4mi_QKV_mfma16_kernelI14__hip_bfloat16S0_LN4vllm18Fp8KVCacheDataTypeE0ES0_Li32ELi128ELi256ELb0ELi9EEvPKT_PKT0_S8_ifPKiSA_SA_iPKfiiiPfSD_PS3_PT2_iSC_SC_,"axG",@progbits,_Z39paged_attention_ll4mi_QKV_mfma16_kernelI14__hip_bfloat16S0_LN4vllm18Fp8KVCacheDataTypeE0ES0_Li32ELi128ELi256ELb0ELi9EEvPKT_PKT0_S8_ifPKiSA_SA_iPKfiiiPfSD_PS3_PT2_iSC_SC_,comdat
	.protected	_Z39paged_attention_ll4mi_QKV_mfma16_kernelI14__hip_bfloat16S0_LN4vllm18Fp8KVCacheDataTypeE0ES0_Li32ELi128ELi256ELb0ELi9EEvPKT_PKT0_S8_ifPKiSA_SA_iPKfiiiPfSD_PS3_PT2_iSC_SC_ ; -- Begin function _Z39paged_attention_ll4mi_QKV_mfma16_kernelI14__hip_bfloat16S0_LN4vllm18Fp8KVCacheDataTypeE0ES0_Li32ELi128ELi256ELb0ELi9EEvPKT_PKT0_S8_ifPKiSA_SA_iPKfiiiPfSD_PS3_PT2_iSC_SC_
	.globl	_Z39paged_attention_ll4mi_QKV_mfma16_kernelI14__hip_bfloat16S0_LN4vllm18Fp8KVCacheDataTypeE0ES0_Li32ELi128ELi256ELb0ELi9EEvPKT_PKT0_S8_ifPKiSA_SA_iPKfiiiPfSD_PS3_PT2_iSC_SC_
	.p2align	8
	.type	_Z39paged_attention_ll4mi_QKV_mfma16_kernelI14__hip_bfloat16S0_LN4vllm18Fp8KVCacheDataTypeE0ES0_Li32ELi128ELi256ELb0ELi9EEvPKT_PKT0_S8_ifPKiSA_SA_iPKfiiiPfSD_PS3_PT2_iSC_SC_,@function
_Z39paged_attention_ll4mi_QKV_mfma16_kernelI14__hip_bfloat16S0_LN4vllm18Fp8KVCacheDataTypeE0ES0_Li32ELi128ELi256ELb0ELi9EEvPKT_PKT0_S8_ifPKiSA_SA_iPKfiiiPfSD_PS3_PT2_iSC_SC_: ; @_Z39paged_attention_ll4mi_QKV_mfma16_kernelI14__hip_bfloat16S0_LN4vllm18Fp8KVCacheDataTypeE0ES0_Li32ELi128ELi256ELb0ELi9EEvPKT_PKT0_S8_ifPKiSA_SA_iPKfiiiPfSD_PS3_PT2_iSC_SC_
; %bb.0:
	s_load_dwordx2 s[8:9], s[0:1], 0x30
	s_mov_b32 s26, s3
	s_mov_b64 s[6:7], 0
	s_waitcnt lgkmcnt(0)
	s_cmp_lg_u64 s[8:9], 0
	s_cselect_b64 s[10:11], -1, 0
	s_and_b64 vcc, exec, s[10:11]
	s_cbranch_vccz .LBB756_7
; %bb.1:
	s_add_i32 s12, s2, 1
	s_mov_b32 s13, 0
	s_lshl_b64 s[14:15], s[12:13], 2
	s_add_u32 s14, s8, s14
	s_mov_b32 s3, s13
	s_addc_u32 s15, s9, s15
	s_lshl_b64 s[12:13], s[2:3], 2
	s_add_u32 s12, s8, s12
	s_addc_u32 s13, s9, s13
	s_load_dword s5, s[14:15], 0x0
	s_load_dword s16, s[12:13], 0x0
	s_waitcnt lgkmcnt(0)
	s_sub_i32 s5, s5, s16
	s_cmp_eq_u32 s5, 1
	s_cselect_b64 s[12:13], -1, 0
	s_andn2_b64 vcc, exec, s[6:7]
	s_cbranch_vccnz .LBB756_3
.LBB756_2:
	s_mov_b32 s3, 0
	s_mov_b64 s[12:13], -1
.LBB756_3:
	s_andn2_b64 vcc, exec, s[12:13]
	s_cbranch_vccnz .LBB756_20
; %bb.4:
	s_load_dwordx2 s[6:7], s[0:1], 0x28
	s_lshl_b64 s[12:13], s[2:3], 2
	s_waitcnt lgkmcnt(0)
	s_add_u32 s6, s6, s12
	s_addc_u32 s7, s7, s13
	s_load_dword s33, s[6:7], 0x0
	s_lshl_b32 s18, s26, 8
	s_waitcnt lgkmcnt(0)
	s_cmp_ge_i32 s18, s33
	s_cbranch_scc1 .LBB756_20
; %bb.5:
	s_load_dwordx2 s[6:7], s[0:1], 0x20
	s_load_dword s5, s[0:1], 0x38
	s_add_i32 s14, s33, 31
	s_ashr_i32 s15, s14, 31
	v_and_b32_e32 v1, 0xcf, v0
	s_lshr_b32 s15, s15, 27
	v_add_u32_e32 v1, s18, v1
	s_add_i32 s14, s14, s15
	v_ashrrev_i32_e32 v2, 31, v1
	s_ashr_i32 s19, s14, 5
	v_lshrrev_b32_e32 v4, 27, v2
	s_add_i32 s19, s19, -1
	s_waitcnt lgkmcnt(0)
	s_mul_i32 s14, s2, s5
	s_mov_b32 s15, 0
	v_add_u32_e32 v2, v1, v4
	s_lshl_b64 s[14:15], s[14:15], 2
	v_ashrrev_i32_e32 v2, 5, v2
	v_mov_b32_e32 v5, s19
	v_cmp_gt_i32_e32 vcc, s33, v1
	s_add_u32 s6, s6, s14
	s_addc_u32 s7, s7, s15
	v_cndmask_b32_e32 v2, v5, v2, vcc
	v_ashrrev_i32_e32 v3, 31, v2
	v_lshl_add_u64 v[6:7], v[2:3], 2, s[6:7]
	v_or_b32_e32 v2, 16, v1
	v_add_u32_e32 v3, v2, v4
	v_ashrrev_i32_e32 v3, 5, v3
	v_cmp_gt_i32_e32 vcc, s33, v2
	s_nop 1
	v_cndmask_b32_e32 v2, v5, v3, vcc
	v_ashrrev_i32_e32 v3, 31, v2
	v_lshl_add_u64 v[8:9], v[2:3], 2, s[6:7]
	v_or_b32_e32 v2, 32, v1
	v_add_u32_e32 v3, v2, v4
	v_ashrrev_i32_e32 v3, 5, v3
	v_cmp_gt_i32_e32 vcc, s33, v2
	v_or_b32_e32 v1, 48, v1
	s_nop 0
	v_cndmask_b32_e32 v2, v5, v3, vcc
	v_ashrrev_i32_e32 v3, 31, v2
	v_lshl_add_u64 v[10:11], v[2:3], 2, s[6:7]
	v_add_u32_e32 v2, v1, v4
	v_ashrrev_i32_e32 v2, 5, v2
	v_cmp_gt_i32_e32 vcc, s33, v1
	s_nop 1
	v_cndmask_b32_e32 v2, v5, v2, vcc
	v_ashrrev_i32_e32 v3, 31, v2
	v_lshl_add_u64 v[12:13], v[2:3], 2, s[6:7]
	global_load_dword v2, v[6:7], off
	global_load_dword v5, v[8:9], off
	;; [unrolled: 1-line block ×4, first 2 shown]
	s_andn2_b64 vcc, exec, s[10:11]
	s_cbranch_vccnz .LBB756_8
; %bb.6:
	s_add_u32 s8, s8, s12
	s_addc_u32 s9, s9, s13
	s_load_dword s5, s[8:9], 0x0
	s_branch .LBB756_9
.LBB756_7:
	s_mov_b64 s[12:13], 0
	s_branch .LBB756_2
.LBB756_8:
	s_mov_b32 s5, s2
.LBB756_9:
	s_load_dwordx4 s[12:15], s[0:1], 0x8
	s_load_dwordx4 s[8:11], s[0:1], 0x48
	v_lshrrev_b32_e32 v86, 6, v0
	v_bfe_u32 v1, v0, 4, 2
	v_lshl_or_b32 v3, v86, 2, v1
	v_and_b32_e32 v76, 15, v0
	v_lshlrev_b32_e32 v74, 3, v76
	v_cmp_lt_u32_e32 vcc, 8, v3
	s_and_saveexec_b64 s[16:17], vcc
	s_xor_b64 s[16:17], exec, s[16:17]
; %bb.10:
	v_mov_b32_e32 v75, 0
                                        ; implicit-def: $vgpr3
; %bb.11:
	s_or_saveexec_b64 s[16:17], s[16:17]
	v_and_b32_e32 v77, 63, v0
	s_mul_i32 s40, s4, 9
	s_xor_b64 exec, exec, s[16:17]
	s_cbranch_execz .LBB756_13
; %bb.12:
	s_load_dwordx2 s[20:21], s[0:1], 0x0
	s_waitcnt lgkmcnt(0)
	s_ashr_i32 s11, s8, 31
	s_mul_hi_u32 s22, s5, s8
	s_mul_i32 s11, s5, s11
	s_add_i32 s23, s22, s11
	s_mul_i32 s22, s5, s8
	s_lshl_b64 s[22:23], s[22:23], 1
	s_add_u32 s20, s20, s22
	v_add_lshl_u32 v6, v3, s40, 7
	s_addc_u32 s21, s21, s23
	v_ashrrev_i32_e32 v7, 31, v6
	v_mov_b32_e32 v75, 0
	v_lshl_add_u64 v[6:7], v[6:7], 1, s[20:21]
	v_lshlrev_b32_e32 v8, 1, v74
	v_mov_b32_e32 v9, v75
	v_lshl_add_u64 v[6:7], v[6:7], 0, v[8:9]
	global_load_dwordx4 v[6:9], v[6:7], off
	v_and_b32_e32 v10, 3, v0
	v_lshlrev_b32_e32 v11, 9, v76
	v_lshlrev_b32_e32 v3, 5, v3
	;; [unrolled: 1-line block ×3, first 2 shown]
	v_and_b32_e32 v11, 0x1800, v11
	v_or3_b32 v3, v11, v10, v3
	s_waitcnt vmcnt(0)
	ds_write_b128 v3, v[6:9]
.LBB756_13:
	s_or_b64 exec, exec, s[16:17]
	s_waitcnt lgkmcnt(0)
	s_mul_i32 s4, s4, s10
	s_mov_b32 s5, 0
	s_lshl_b64 s[4:5], s[4:5], 1
	s_add_u32 s10, s12, s4
	s_addc_u32 s11, s13, s5
	s_waitcnt vmcnt(3)
	v_mad_i64_i32 v[2:3], s[12:13], v2, s9, 0
	v_lshl_add_u64 v[6:7], v[2:3], 1, s[10:11]
	v_lshlrev_b64 v[2:3], 1, v[74:75]
	v_lshlrev_b32_e32 v50, 9, v1
	v_lshl_add_u64 v[6:7], v[6:7], 0, v[2:3]
	v_mov_b32_e32 v51, 0
	v_lshl_add_u64 v[8:9], v[6:7], 0, v[50:51]
	s_load_dword s27, s[0:1], 0x98
	s_load_dword s8, s[0:1], 0x1c
	s_waitcnt lgkmcnt(0)
	s_barrier
	global_load_dwordx4 v[38:41], v[8:9], off
	s_waitcnt vmcnt(3)
	v_mad_i64_i32 v[10:11], s[12:13], v5, s9, 0
	v_mov_b32_e32 v5, 0x100
	v_lshl_add_u64 v[10:11], v[10:11], 1, s[10:11]
	v_lshl_or_b32 v54, v76, 4, v5
	v_mov_b32_e32 v55, v51
	v_lshl_add_u64 v[22:23], v[10:11], 0, v[54:55]
	v_lshl_add_u64 v[10:11], v[22:23], 0, v[50:51]
	global_load_dwordx4 v[42:45], v[10:11], off
	global_load_dwordx4 v[18:21], v[8:9], off offset:2048
	global_load_dwordx4 v[26:29], v[10:11], off offset:2048
	v_or_b32_e32 v56, 0x1000, v50
	v_mov_b32_e32 v57, v51
	v_or_b32_e32 v52, 0x1800, v50
	v_mov_b32_e32 v53, v51
	v_lshl_add_u64 v[8:9], v[6:7], 0, v[56:57]
	v_lshl_add_u64 v[6:7], v[6:7], 0, v[52:53]
	global_load_dwordx4 v[14:17], v[8:9], off
	global_load_dwordx4 v[10:13], v[6:7], off
	v_lshl_add_u64 v[8:9], v[22:23], 0, v[56:57]
	global_load_dwordx4 v[30:33], v[8:9], off
	s_waitcnt vmcnt(8)
	v_mad_i64_i32 v[4:5], s[12:13], v4, s9, 0
	v_lshl_add_u64 v[4:5], v[4:5], 1, s[10:11]
	v_lshl_add_u64 v[60:61], v[4:5], 0, v[2:3]
	v_add_u32_e32 v2, -9, v76
	v_cmp_gt_u32_e32 vcc, 9, v76
	v_lshl_add_u64 v[6:7], v[22:23], 0, v[52:53]
	global_load_dwordx4 v[22:25], v[6:7], off
	v_cndmask_b32_e32 v2, v2, v76, vcc
	v_lshl_add_u64 v[58:59], v[60:61], 0, v[50:51]
	v_lshl_add_u32 v62, v2, 5, v50
	global_load_dwordx4 v[34:37], v[58:59], off
	ds_read_b128 v[6:9], v62
	ds_read_b128 v[2:5], v62 offset:2048
	s_waitcnt vmcnt(9)
	v_mad_i64_i32 v[72:73], s[12:13], v46, s9, 0
	s_ashr_i32 s12, s18, 31
	v_and_or_b32 v80, v0, 48, s18
	v_or_b32_e32 v84, 64, v80
	v_mov_b32_e32 v81, s19
	v_cmp_gt_i32_e32 vcc, s33, v80
	v_or_b32_e32 v85, 0x80, v80
	v_or_b32_e32 v87, 0xc0, v80
	s_mov_b32 s41, 0xff7fffff
	s_waitcnt vmcnt(7) lgkmcnt(1)
	v_mfma_f32_16x16x16_bf16 v[68:71], v[42:43], v[6:7], 0
	v_mfma_f32_16x16x16_bf16 v[64:67], v[38:39], v[6:7], 0
	;; [unrolled: 1-line block ×3, first 2 shown]
	ds_read_b128 v[46:49], v62 offset:4096
	ds_read_b128 v[38:41], v62 offset:6144
	v_lshl_add_u64 v[62:63], v[72:73], 1, s[10:11]
	v_lshl_add_u64 v[82:83], v[62:63], 0, v[54:55]
	v_mfma_f32_16x16x16_bf16 v[42:45], v[44:45], v[8:9], v[68:71]
	v_lshl_add_u64 v[54:55], v[60:61], 0, v[56:57]
	s_lshr_b32 s10, s12, 27
	v_lshl_add_u64 v[78:79], v[82:83], 0, v[56:57]
	s_waitcnt vmcnt(6) lgkmcnt(2)
	v_mfma_f32_16x16x16_bf16 v[62:65], v[18:19], v[2:3], v[64:67]
	v_add_u32_e32 v68, s10, v80
	v_add_u32_e32 v69, s10, v84
	v_lshl_add_u64 v[70:71], v[82:83], 0, v[50:51]
	v_lshl_add_u64 v[66:67], v[60:61], 0, v[52:53]
	global_load_dwordx4 v[58:61], v[58:59], off offset:2048
	s_waitcnt vmcnt(6)
	v_mfma_f32_16x16x16_bf16 v[42:45], v[26:27], v[2:3], v[42:45]
	v_ashrrev_i32_e32 v50, 5, v68
	v_ashrrev_i32_e32 v56, 5, v69
	v_add_u32_e32 v72, s10, v85
	v_mfma_f32_16x16x16_bf16 v[18:21], v[20:21], v[4:5], v[62:65]
	v_add_u32_e32 v73, s10, v87
	s_add_u32 s4, s14, s4
	s_addc_u32 s5, s15, s5
	v_mfma_f32_16x16x16_bf16 v[26:29], v[28:29], v[4:5], v[42:45]
	v_ashrrev_i32_e32 v62, 5, v72
	v_ashrrev_i32_e32 v72, 5, v73
	s_waitcnt vmcnt(5) lgkmcnt(1)
	v_mfma_f32_16x16x16_bf16 v[18:21], v[14:15], v[46:47], v[18:21]
	global_load_dwordx4 v[42:45], v[54:55], off
	v_cndmask_b32_e32 v14, v81, v50, vcc
	v_cmp_gt_i32_e32 vcc, s33, v84
	s_waitcnt vmcnt(4)
	v_mfma_f32_16x16x16_bf16 v[26:29], v[30:31], v[46:47], v[26:29]
	v_ashrrev_i32_e32 v15, 31, v14
	v_cndmask_b32_e32 v30, v81, v56, vcc
	v_ashrrev_i32_e32 v31, 31, v30
	v_lshl_add_u64 v[14:15], v[14:15], 2, s[6:7]
	v_lshl_add_u64 v[30:31], v[30:31], 2, s[6:7]
	global_load_dword v92, v[14:15], off
	global_load_dword v84, v[30:31], off
	v_mfma_f32_16x16x16_bf16 v[14:17], v[16:17], v[48:49], v[18:21]
	v_cmp_gt_i32_e32 vcc, s33, v85
	s_nop 1
	global_load_dwordx4 v[18:21], v[66:67], off
	s_waitcnt lgkmcnt(0)
	v_mfma_f32_16x16x16_bf16 v[14:17], v[10:11], v[38:39], v[14:17]
	v_cndmask_b32_e32 v10, v81, v62, vcc
	v_ashrrev_i32_e32 v11, 31, v10
	v_lshl_add_u64 v[10:11], v[10:11], 2, s[6:7]
	v_mfma_f32_16x16x16_bf16 v[66:69], v[12:13], v[40:41], v[14:17]
	global_load_dword v85, v[10:11], off
	global_load_dwordx4 v[62:65], v[70:71], off offset:2048
	v_cmp_gt_i32_e32 vcc, s33, v87
	v_lshl_add_u64 v[14:15], v[82:83], 0, v[52:53]
	global_load_dwordx4 v[88:91], v[14:15], off
	global_load_dwordx4 v[54:57], v[70:71], off
	v_cndmask_b32_e32 v10, v81, v72, vcc
	global_load_dwordx4 v[78:81], v[78:79], off
	v_ashrrev_i32_e32 v11, 31, v10
	v_lshl_add_u64 v[10:11], v[10:11], 2, s[6:7]
	global_load_dword v93, v[10:11], off
	s_waitcnt vmcnt(11)
	v_mfma_f32_16x16x16_bf16 v[10:13], v[34:35], v[6:7], 0
	v_and_b32_e32 v14, 16, v0
	v_lshlrev_b32_e32 v50, 1, v14
	v_lshl_or_b32 v87, v86, 4, v76
	v_mfma_f32_16x16x16_bf16 v[10:13], v[36:37], v[8:9], v[10:13]
	v_lshl_add_u64 v[36:37], s[4:5], 0, v[50:51]
	v_lshlrev_b32_e32 v50, 6, v87
	v_pk_mul_f32 v[82:83], s[8:9], v[68:69] op_sel_hi:[0,1]
	v_mfma_f32_16x16x16_bf16 v[26:29], v[32:33], v[48:49], v[26:29]
	s_waitcnt vmcnt(8)
	v_mad_i64_i32 v[14:15], s[4:5], v92, s9, 0
	v_mfma_f32_16x16x16_bf16 v[10:13], v[58:59], v[2:3], v[10:13]
	v_lshl_add_u64 v[58:59], v[36:37], 0, v[50:51]
	v_or_b32_e32 v50, 0x1000, v50
	v_mfma_f32_16x16x16_bf16 v[10:13], v[60:61], v[4:5], v[10:13]
	v_lshlrev_b64 v[60:61], 1, v[14:15]
	v_lshl_add_u64 v[14:15], v[58:59], 0, v[60:61]
	v_mfma_f32_16x16x16_bf16 v[10:13], v[42:43], v[46:47], v[10:13]
	v_mfma_f32_16x16x16_bf16 v[10:13], v[44:45], v[48:49], v[10:13]
	;; [unrolled: 1-line block ×3, first 2 shown]
	s_waitcnt vmcnt(6)
	v_mfma_f32_16x16x16_bf16 v[10:13], v[18:19], v[38:39], v[10:13]
	v_mfma_f32_16x16x16_bf16 v[70:73], v[24:25], v[40:41], v[26:29]
	global_load_dwordx4 v[30:33], v[14:15], off
	s_nop 2
	global_load_dwordx4 v[26:29], v[14:15], off offset:16
	v_mad_i64_i32 v[14:15], s[4:5], v84, s9, 0
	v_lshlrev_b64 v[34:35], 1, v[14:15]
	v_mfma_f32_16x16x16_bf16 v[42:45], v[20:21], v[40:41], v[10:13]
	v_pk_mul_f32 v[70:71], s[8:9], v[70:71] op_sel_hi:[0,1]
	s_nop 1
	v_lshl_add_u64 v[10:11], v[58:59], 0, v[34:35]
	global_load_dwordx4 v[22:25], v[10:11], off
	global_load_dwordx4 v[18:21], v[10:11], off offset:16
	s_waitcnt vmcnt(6)
	v_mfma_f32_16x16x16_bf16 v[10:13], v[54:55], v[6:7], 0
	v_mad_i64_i32 v[6:7], s[4:5], v85, s9, 0
	v_lshlrev_b64 v[52:53], 1, v[6:7]
	v_mfma_f32_16x16x16_bf16 v[6:9], v[56:57], v[8:9], v[10:13]
	v_pk_mul_f32 v[84:85], s[8:9], v[72:73] op_sel_hi:[0,1]
	v_mfma_f32_16x16x16_bf16 v[6:9], v[62:63], v[2:3], v[6:9]
	s_waitcnt vmcnt(4)
	v_mad_i64_i32 v[2:3], s[4:5], v93, s9, 0
	v_lshlrev_b64 v[62:63], 1, v[2:3]
	v_mfma_f32_16x16x16_bf16 v[54:57], v[64:65], v[4:5], v[6:9]
	v_lshl_add_u64 v[64:65], v[36:37], 0, v[50:51]
	v_pk_mul_f32 v[50:51], s[8:9], v[66:67] op_sel_hi:[0,1]
	v_lshl_add_u64 v[10:11], v[58:59], 0, v[52:53]
	v_mfma_f32_16x16x16_bf16 v[54:57], v[78:79], v[46:47], v[54:57]
	v_pk_mul_f32 v[78:79], s[8:9], v[42:43] op_sel_hi:[0,1]
	v_lshl_add_u64 v[2:3], v[58:59], 0, v[62:63]
	v_lshl_add_u64 v[58:59], v[64:65], 0, v[60:61]
	v_mfma_f32_16x16x16_bf16 v[46:49], v[80:81], v[48:49], v[54:57]
	v_pk_mul_f32 v[80:81], s[8:9], v[44:45] op_sel_hi:[0,1]
	v_lshl_add_u64 v[34:35], v[64:65], 0, v[34:35]
	v_lshl_add_u64 v[52:53], v[64:65], 0, v[52:53]
	v_mfma_f32_16x16x16_bf16 v[36:39], v[88:89], v[38:39], v[46:49]
	global_load_dwordx4 v[14:17], v[10:11], off
	s_nop 0
	global_load_dwordx4 v[10:13], v[10:11], off offset:16
	s_nop 0
	global_load_dwordx4 v[6:9], v[2:3], off
	s_nop 0
	global_load_dwordx4 v[2:5], v[2:3], off offset:16
	v_mfma_f32_16x16x16_bf16 v[36:39], v[90:91], v[40:41], v[36:39]
	s_nop 6
	v_pk_mul_f32 v[72:73], s[8:9], v[36:37] op_sel_hi:[0,1]
	v_and_b32_e32 v36, 0xc0, v0
	v_add_u32_e32 v36, s18, v36
	v_lshl_or_b32 v36, v1, 2, v36
	v_pk_mul_f32 v[66:67], s[8:9], v[38:39] op_sel_hi:[0,1]
	v_or_b32_e32 v39, 1, v36
	v_mov_b32_e32 v37, 0xff7fffff
	v_cmp_gt_i32_e64 s[28:29], s33, v36
	v_cmp_gt_i32_e64 s[30:31], s33, v39
	v_or_b32_e32 v40, 3, v36
	v_cndmask_b32_e64 v38, v37, v50, s[28:29]
	v_cndmask_b32_e64 v39, v37, v51, s[30:31]
	v_max3_f32 v38, v38, s41, v39
	v_or_b32_e32 v39, 2, v36
	v_cmp_gt_i32_e64 s[34:35], s33, v39
	v_cmp_gt_i32_e64 s[36:37], s33, v40
	s_nop 0
	v_cndmask_b32_e64 v39, v37, v82, s[34:35]
	v_cndmask_b32_e64 v40, v37, v83, s[36:37]
	v_max3_f32 v38, v38, v39, v40
	v_or_b32_e32 v39, 16, v36
	v_or_b32_e32 v40, 17, v36
	v_cmp_gt_i32_e64 s[22:23], s33, v39
	v_cmp_gt_i32_e64 s[24:25], s33, v40
	s_nop 0
	v_cndmask_b32_e64 v39, v37, v70, s[22:23]
	v_cndmask_b32_e64 v40, v37, v71, s[24:25]
	v_max3_f32 v38, v38, v39, v40
	v_or_b32_e32 v39, 18, v36
	;; [unrolled: 8-line block ×6, first 2 shown]
	v_or_b32_e32 v36, 51, v36
	v_cmp_gt_i32_e32 vcc, s33, v39
	v_cmp_gt_i32_e64 s[4:5], s33, v36
	s_nop 0
	v_cndmask_b32_e32 v39, v37, v66, vcc
	v_cndmask_b32_e64 v36, v37, v67, s[4:5]
	v_max3_f32 v54, v38, v39, v36
	v_mbcnt_lo_u32_b32 v36, -1, 0
	v_mbcnt_hi_u32_b32 v55, -1, v36
	v_and_b32_e32 v36, 64, v55
	v_add_u32_e32 v56, 64, v36
	v_xor_b32_e32 v36, 32, v55
	v_cmp_lt_i32_e64 s[38:39], v36, v56
	global_load_dwordx4 v[46:49], v[58:59], off
	global_load_dwordx4 v[38:41], v[58:59], off offset:16
	v_cndmask_b32_e64 v36, v55, v36, s[38:39]
	v_lshlrev_b32_e32 v89, 2, v36
	ds_bpermute_b32 v57, v89, v54
	global_load_dwordx4 v[42:45], v[34:35], off
	s_nop 0
	global_load_dwordx4 v[34:37], v[34:35], off offset:16
	s_waitcnt lgkmcnt(0)
	v_max_f32_e32 v57, v57, v57
	v_max_f32_e32 v68, v54, v57
	v_xor_b32_e32 v54, 16, v55
	v_cmp_lt_i32_e64 s[38:39], v54, v56
	s_nop 1
	v_cndmask_b32_e64 v54, v55, v54, s[38:39]
	v_lshlrev_b32_e32 v90, 2, v54
	ds_bpermute_b32 v69, v90, v68
	global_load_dwordx4 v[58:61], v[52:53], off
	global_load_dwordx4 v[54:57], v[52:53], off offset:16
	v_lshl_add_u64 v[52:53], v[64:65], 0, v[62:63]
	s_waitcnt lgkmcnt(0)
	v_max_f32_e32 v62, v69, v69
	v_max_f32_e32 v88, v68, v62
	v_sub_f32_e32 v50, v50, v88
	v_mul_f32_e32 v50, 0x3fb8aa3b, v50
	v_exp_f32_e32 v68, v50
	v_sub_f32_e32 v50, v51, v88
	v_mul_f32_e32 v50, 0x3fb8aa3b, v50
	v_exp_f32_e32 v69, v50
	global_load_dwordx4 v[62:65], v[52:53], off
	s_nop 0
	global_load_dwordx4 v[50:53], v[52:53], off offset:16
	v_sub_f32_e32 v82, v82, v88
	v_mul_f32_e32 v82, 0x3fb8aa3b, v82
	v_sub_f32_e32 v83, v83, v88
	v_exp_f32_e32 v82, v82
	v_mul_f32_e32 v83, 0x3fb8aa3b, v83
	v_sub_f32_e32 v70, v70, v88
	v_exp_f32_e32 v83, v83
	v_mul_f32_e32 v70, 0x3fb8aa3b, v70
	v_sub_f32_e32 v71, v71, v88
	v_cndmask_b32_e64 v68, 0, v68, s[28:29]
	v_exp_f32_e32 v70, v70
	v_mul_f32_e32 v71, 0x3fb8aa3b, v71
	v_sub_f32_e32 v84, v84, v88
	v_add_f32_e32 v91, 0, v68
	v_cndmask_b32_e64 v69, 0, v69, s[30:31]
	v_exp_f32_e32 v71, v71
	v_mul_f32_e32 v84, 0x3fb8aa3b, v84
	v_sub_f32_e32 v85, v85, v88
	v_add_f32_e32 v91, v91, v69
	;; [unrolled: 5-line block ×10, first 2 shown]
	v_cndmask_b32_e64 v80, 0, v80, s[10:11]
	v_exp_f32_e32 v66, v66
	v_mul_f32_e32 v67, 0x3fb8aa3b, v67
	v_add_f32_e32 v91, v91, v80
	v_cndmask_b32_e64 v81, 0, v81, s[12:13]
	v_exp_f32_e32 v67, v67
	v_add_f32_e32 v91, v91, v81
	v_cndmask_b32_e64 v72, 0, v72, s[6:7]
	v_add_f32_e32 v91, v91, v72
	v_cndmask_b32_e64 v73, 0, v73, s[8:9]
	v_add_f32_e32 v91, v91, v73
	v_cndmask_b32_e32 v66, 0, v66, vcc
	v_add_f32_e32 v91, v91, v66
	v_cndmask_b32_e64 v67, 0, v67, s[4:5]
	v_add_f32_e32 v91, v91, v67
	ds_bpermute_b32 v89, v89, v91
	v_cmp_gt_u32_e64 s[4:5], 16, v77
	s_waitcnt lgkmcnt(0)
	s_barrier
	v_add_f32_e32 v89, v91, v89
	ds_bpermute_b32 v90, v90, v89
	s_and_saveexec_b64 s[6:7], s[4:5]
	s_cbranch_execz .LBB756_15
; %bb.14:
	s_waitcnt lgkmcnt(0)
	v_add_f32_e32 v77, v89, v90
	v_lshlrev_b32_e32 v87, 2, v87
	ds_write2st64_b32 v87, v88, v77 offset1:1
.LBB756_15:
	s_or_b64 exec, exec, s[6:7]
	v_lshlrev_b32_e32 v77, 2, v76
	s_load_dword s8, s[0:1], 0x94
	s_waitcnt lgkmcnt(0)
	s_barrier
	ds_read2_b32 v[88:89], v77 offset1:16
	ds_read2_b32 v[90:91], v77 offset0:32 offset1:48
	ds_read2_b32 v[92:93], v77 offset0:64 offset1:80
	;; [unrolled: 1-line block ×3, first 2 shown]
	s_movk_i32 s10, 0x7fff
	s_waitcnt lgkmcnt(3)
	v_max3_f32 v87, v88, s41, v89
	s_waitcnt lgkmcnt(2)
	v_max3_f32 v87, v87, v90, v91
	v_sub_f32_e32 v88, v88, v87
	v_mul_f32_e32 v88, 0x3fb8aa3b, v88
	v_exp_f32_e32 v86, v88
	v_sub_f32_e32 v88, v89, v87
	v_mul_f32_e32 v88, 0x3fb8aa3b, v88
	v_exp_f32_e32 v89, v88
	v_sub_f32_e32 v88, v90, v87
	v_mul_f32_e32 v88, 0x3fb8aa3b, v88
	v_sub_f32_e32 v77, v91, v87
	v_exp_f32_e32 v90, v88
	v_mul_f32_e32 v77, 0x3fb8aa3b, v77
	v_exp_f32_e32 v77, v77
	s_waitcnt lgkmcnt(1)
	v_fma_f32 v88, v86, v92, 0
	v_fmac_f32_e32 v88, v89, v93
	s_waitcnt lgkmcnt(0)
	v_fmac_f32_e32 v88, v90, v94
	v_fmac_f32_e32 v88, v77, v95
	v_add_f32_e32 v91, 0x358637bd, v88
	v_div_scale_f32 v92, s[6:7], v91, v91, 1.0
	v_rcp_f32_e32 v93, v92
	s_mov_b32 s11, 0x7060302
	s_barrier
	v_fma_f32 v94, -v92, v93, 1.0
	v_fmac_f32_e32 v93, v94, v93
	v_div_scale_f32 v94, vcc, 1.0, v91, 1.0
	v_mul_f32_e32 v95, v94, v93
	v_fma_f32 v1, -v92, v95, v94
	v_fmac_f32_e32 v95, v1, v93
	v_fma_f32 v1, -v92, v95, v94
	v_div_fmas_f32 v1, v1, v93, v95
	v_div_fixup_f32 v1, v1, v91, 1.0
	v_lshrrev_b32_e32 v91, 6, v0
	v_cmp_eq_u32_e32 vcc, 1, v91
	s_mul_i32 s9, s27, 9
	s_nop 0
	v_cndmask_b32_e32 v86, v86, v89, vcc
	v_cmp_eq_u32_e32 vcc, 2, v91
	s_nop 1
	v_cndmask_b32_e32 v86, v86, v90, vcc
	v_cmp_eq_u32_e32 vcc, 3, v91
	s_nop 1
	v_cndmask_b32_e32 v77, v86, v77, vcc
	v_mul_f32_e32 v90, v77, v1
	v_pk_mul_f32 v[68:69], v[90:91], v[68:69] op_sel_hi:[0,1]
	v_bfe_u32 v1, v69, 16, 1
	v_bfe_u32 v77, v68, 16, 1
	v_pk_mul_f32 v[82:83], v[90:91], v[82:83] op_sel_hi:[0,1]
	v_add3_u32 v68, v68, v77, s10
	v_add3_u32 v1, v69, v1, s10
	v_perm_b32 v92, v1, v68, s11
	v_bfe_u32 v1, v83, 16, 1
	v_bfe_u32 v68, v82, 16, 1
	v_add3_u32 v68, v82, v68, s10
	v_add3_u32 v1, v83, v1, s10
	v_bfe_u32 v86, v0, 4, 2
	v_perm_b32 v93, v1, v68, s11
	v_lshlrev_b32_e32 v1, 3, v86
	v_lshlrev_b32_e32 v68, 5, v76
	;; [unrolled: 1-line block ×3, first 2 shown]
	v_pk_mul_f32 v[70:71], v[90:91], v[70:71] op_sel_hi:[0,1]
	v_or3_b32 v1, v69, v68, v1
	v_bfe_u32 v69, v71, 16, 1
	v_bfe_u32 v77, v70, 16, 1
	v_pk_mul_f32 v[82:83], v[90:91], v[84:85] op_sel_hi:[0,1]
	v_add3_u32 v70, v70, v77, s10
	v_add3_u32 v69, v71, v69, s10
	v_perm_b32 v70, v69, v70, s11
	v_bfe_u32 v69, v83, 16, 1
	v_bfe_u32 v71, v82, 16, 1
	v_add3_u32 v71, v82, v71, s10
	v_add3_u32 v69, v83, v69, s10
	v_pk_mul_f32 v[78:79], v[90:91], v[78:79] op_sel_hi:[0,1]
	v_perm_b32 v71, v69, v71, s11
	v_bfe_u32 v69, v79, 16, 1
	v_bfe_u32 v77, v78, 16, 1
	ds_write2st64_b64 v1, v[92:93], v[70:71] offset1:1
	v_pk_mul_f32 v[70:71], v[90:91], v[80:81] op_sel_hi:[0,1]
	v_add3_u32 v77, v78, v77, s10
	v_add3_u32 v69, v79, v69, s10
	v_perm_b32 v78, v69, v77, s11
	v_bfe_u32 v69, v71, 16, 1
	v_bfe_u32 v77, v70, 16, 1
	v_add3_u32 v70, v70, v77, s10
	v_add3_u32 v69, v71, v69, s10
	v_perm_b32 v79, v69, v70, s11
	v_pk_mul_f32 v[70:71], v[90:91], v[72:73] op_sel_hi:[0,1]
	v_bfe_u32 v69, v71, 16, 1
	v_bfe_u32 v72, v70, 16, 1
	v_pk_mul_f32 v[66:67], v[90:91], v[66:67] op_sel_hi:[0,1]
	v_add3_u32 v70, v70, v72, s10
	v_add3_u32 v69, v71, v69, s10
	v_perm_b32 v70, v69, v70, s11
	v_bfe_u32 v69, v67, 16, 1
	v_bfe_u32 v71, v66, 16, 1
	v_add3_u32 v66, v66, v71, s10
	v_add3_u32 v67, v67, v69, s10
	v_perm_b32 v71, v67, v66, s11
	v_cmp_gt_u32_e32 vcc, 9, v0
	ds_write2st64_b64 v1, v[78:79], v[70:71] offset0:2 offset1:3
	s_and_saveexec_b64 s[6:7], vcc
	s_cbranch_execz .LBB756_17
; %bb.16:
	s_mov_b32 s41, 0
	v_mov_b32_e32 v77, 0
	v_lshl_add_u64 v[66:67], s[40:41], 0, v[76:77]
	v_mov_b32_e32 v69, s9
	v_mad_u64_u32 v[66:67], s[16:17], s2, v69, v[66:67]
	s_mul_i32 s3, s3, s9
	v_mov_b32_e32 v70, s26
	v_mov_b32_e32 v71, v77
	s_load_dwordx4 s[12:15], s[0:1], 0x58
	v_add_u32_e32 v69, s3, v67
	v_mad_u64_u32 v[66:67], s[16:17], v66, s8, v[70:71]
	v_mov_b32_e32 v70, v67
	v_mad_u64_u32 v[70:71], s[16:17], v69, s8, v[70:71]
	v_mov_b32_e32 v67, v70
	v_lshlrev_b64 v[66:67], 2, v[66:67]
	s_waitcnt lgkmcnt(0)
	v_lshl_add_u64 v[70:71], s[14:15], 0, v[66:67]
	v_lshl_add_u64 v[66:67], s[12:13], 0, v[66:67]
	global_store_dword v[70:71], v87, off
	global_store_dword v[66:67], v88, off
.LBB756_17:
	s_or_b64 exec, exec, s[6:7]
	v_lshl_or_b32 v77, v86, 9, v68
	s_waitcnt lgkmcnt(0)
	s_barrier
	ds_read_b128 v[70:73], v77
	ds_read_b128 v[66:69], v77 offset:16
	s_waitcnt vmcnt(15) lgkmcnt(1)
	v_mfma_f32_16x16x16_bf16 v[78:81], v[30:31], v[70:71], 0
	s_mov_b32 s3, 0
	v_cmp_gt_u32_e32 vcc, 64, v0
	v_mfma_f32_16x16x16_bf16 v[30:33], v[32:33], v[72:73], v[78:81]
	s_waitcnt vmcnt(14) lgkmcnt(0)
	v_mfma_f32_16x16x16_bf16 v[30:33], v[26:27], v[66:67], v[30:33]
	v_mfma_f32_16x16x16_bf16 v[26:29], v[28:29], v[68:69], v[30:33]
	s_nop 5
	ds_read_b128 v[30:33], v77 offset:2048
	ds_read_b128 v[78:81], v77 offset:2064
	s_waitcnt vmcnt(13) lgkmcnt(1)
	v_mfma_f32_16x16x16_bf16 v[26:29], v[22:23], v[30:31], v[26:29]
	v_mfma_f32_16x16x16_bf16 v[22:25], v[24:25], v[32:33], v[26:29]
	s_waitcnt vmcnt(12) lgkmcnt(0)
	v_mfma_f32_16x16x16_bf16 v[22:25], v[18:19], v[78:79], v[22:25]
	v_mfma_f32_16x16x16_bf16 v[18:21], v[20:21], v[80:81], v[22:25]
	s_nop 5
	ds_read_b128 v[22:25], v77 offset:4096
	ds_read_b128 v[26:29], v77 offset:4112
	s_waitcnt vmcnt(11) lgkmcnt(1)
	v_mfma_f32_16x16x16_bf16 v[18:21], v[14:15], v[22:23], v[18:21]
	v_mfma_f32_16x16x16_bf16 v[14:17], v[16:17], v[24:25], v[18:21]
	s_waitcnt vmcnt(10) lgkmcnt(0)
	v_mfma_f32_16x16x16_bf16 v[14:17], v[10:11], v[26:27], v[14:17]
	v_mfma_f32_16x16x16_bf16 v[10:13], v[12:13], v[28:29], v[14:17]
	s_nop 5
	ds_read_b128 v[14:17], v77 offset:6144
	ds_read_b128 v[18:21], v77 offset:6160
	s_waitcnt lgkmcnt(0)
	s_barrier
	s_waitcnt vmcnt(9)
	v_mfma_f32_16x16x16_bf16 v[10:13], v[6:7], v[14:15], v[10:13]
	v_mfma_f32_16x16x16_bf16 v[6:9], v[8:9], v[16:17], v[10:13]
	s_waitcnt vmcnt(8)
	v_mfma_f32_16x16x16_bf16 v[6:9], v[2:3], v[18:19], v[6:9]
	v_mfma_f32_16x16x16_bf16 v[2:5], v[4:5], v[20:21], v[6:9]
	;; [unrolled: 3-line block ×3, first 2 shown]
	s_nop 3
	v_bfe_u32 v10, v3, 16, 1
	v_bfe_u32 v11, v2, 16, 1
	v_add3_u32 v2, v2, v11, s10
	s_waitcnt vmcnt(6)
	v_mfma_f32_16x16x16_bf16 v[6:9], v[38:39], v[66:67], v[6:9]
	v_add3_u32 v3, v3, v10, s10
	v_perm_b32 v10, v3, v2, s11
	v_bfe_u32 v2, v5, 16, 1
	v_mfma_f32_16x16x16_bf16 v[6:9], v[40:41], v[68:69], v[6:9]
	v_bfe_u32 v3, v4, 16, 1
	v_add3_u32 v3, v4, v3, s10
	v_add3_u32 v2, v5, v2, s10
	s_waitcnt vmcnt(5)
	v_mfma_f32_16x16x16_bf16 v[6:9], v[42:43], v[30:31], v[6:9]
	v_perm_b32 v11, v2, v3, s11
	v_mfma_f32_16x16x16_bf16 v[6:9], v[44:45], v[32:33], v[6:9]
	s_waitcnt vmcnt(4)
	v_mfma_f32_16x16x16_bf16 v[6:9], v[34:35], v[78:79], v[6:9]
	v_mfma_f32_16x16x16_bf16 v[6:9], v[36:37], v[80:81], v[6:9]
	s_waitcnt vmcnt(3)
	v_mfma_f32_16x16x16_bf16 v[6:9], v[58:59], v[22:23], v[6:9]
	v_mfma_f32_16x16x16_bf16 v[6:9], v[60:61], v[24:25], v[6:9]
	s_waitcnt vmcnt(2)
	v_mfma_f32_16x16x16_bf16 v[6:9], v[54:55], v[26:27], v[6:9]
	v_mfma_f32_16x16x16_bf16 v[6:9], v[56:57], v[28:29], v[6:9]
	s_waitcnt vmcnt(1)
	v_mfma_f32_16x16x16_bf16 v[6:9], v[62:63], v[14:15], v[6:9]
	v_mfma_f32_16x16x16_bf16 v[6:9], v[64:65], v[16:17], v[6:9]
	s_waitcnt vmcnt(0)
	v_mfma_f32_16x16x16_bf16 v[6:9], v[50:51], v[18:19], v[6:9]
	v_mfma_f32_16x16x16_bf16 v[2:5], v[52:53], v[20:21], v[6:9]
	s_nop 6
	v_bfe_u32 v6, v3, 16, 1
	v_bfe_u32 v7, v2, 16, 1
	v_add3_u32 v2, v2, v7, s10
	v_add3_u32 v3, v3, v6, s10
	v_perm_b32 v2, v3, v2, s11
	v_bfe_u32 v3, v5, 16, 1
	v_bfe_u32 v6, v4, 16, 1
	v_add3_u32 v4, v4, v6, s10
	v_add3_u32 v3, v5, v3, s10
	v_perm_b32 v3, v3, v4, s11
	ds_write2st64_b64 v1, v[10:11], v[2:3] offset1:1
	s_waitcnt lgkmcnt(0)
	s_barrier
	s_and_saveexec_b64 s[6:7], vcc
	s_cbranch_execz .LBB756_20
; %bb.18:
	s_load_dwordx2 s[6:7], s[0:1], 0x68
	s_lshl_b32 s0, s8, 7
	s_mul_i32 s1, s9, s2
	v_lshlrev_b32_e32 v3, 6, v76
	s_mul_hi_u32 s9, s1, s0
	s_mul_i32 s8, s1, s0
	v_lshlrev_b32_e32 v2, 4, v0
	v_lshl_or_b32 v0, v0, 10, v3
	s_lshl_b64 s[8:9], s[8:9], 1
	v_lshlrev_b32_e32 v1, 5, v86
	v_and_b32_e32 v2, 16, v2
	v_and_b32_e32 v0, 0x1a00, v0
	s_waitcnt lgkmcnt(0)
	s_add_u32 s1, s6, s8
	v_or3_b32 v2, v0, v1, v2
	s_addc_u32 s6, s7, s9
	s_lshl_b32 s2, s26, 7
	s_lshl_b64 s[2:3], s[2:3], 1
	ds_read_b128 v[4:7], v2 offset:128
	ds_read_b128 v[8:11], v2
	s_add_u32 s2, s1, s2
	s_addc_u32 s3, s6, s3
	v_add_u32_e32 v3, s40, v86
	v_lshl_add_u64 v[0:1], v[74:75], 1, s[2:3]
	v_mad_u64_u32 v[12:13], s[2:3], v3, s0, 0
	v_lshl_add_u64 v[12:13], v[12:13], 1, v[0:1]
	v_add_u32_e32 v3, 4, v3
	s_waitcnt lgkmcnt(0)
	global_store_dwordx4 v[12:13], v[8:11], off
	s_nop 1
	v_mad_u64_u32 v[8:9], s[2:3], v3, s0, 0
	v_lshl_add_u64 v[8:9], v[8:9], 1, v[0:1]
	global_store_dwordx4 v[8:9], v[4:7], off
	s_and_b64 exec, exec, s[4:5]
	s_cbranch_execz .LBB756_20
; %bb.19:
	ds_read_b128 v[2:5], v2 offset:256
	v_add3_u32 v6, s40, v86, 8
	v_mad_u64_u32 v[6:7], s[0:1], v6, s0, 0
	v_lshl_add_u64 v[0:1], v[6:7], 1, v[0:1]
	s_waitcnt lgkmcnt(0)
	global_store_dwordx4 v[0:1], v[2:5], off
.LBB756_20:
	s_endpgm
	.section	.rodata,"a",@progbits
	.p2align	6, 0x0
	.amdhsa_kernel _Z39paged_attention_ll4mi_QKV_mfma16_kernelI14__hip_bfloat16S0_LN4vllm18Fp8KVCacheDataTypeE0ES0_Li32ELi128ELi256ELb0ELi9EEvPKT_PKT0_S8_ifPKiSA_SA_iPKfiiiPfSD_PS3_PT2_iSC_SC_
		.amdhsa_group_segment_fixed_size 8192
		.amdhsa_private_segment_fixed_size 0
		.amdhsa_kernarg_size 400
		.amdhsa_user_sgpr_count 2
		.amdhsa_user_sgpr_dispatch_ptr 0
		.amdhsa_user_sgpr_queue_ptr 0
		.amdhsa_user_sgpr_kernarg_segment_ptr 1
		.amdhsa_user_sgpr_dispatch_id 0
		.amdhsa_user_sgpr_kernarg_preload_length 0
		.amdhsa_user_sgpr_kernarg_preload_offset 0
		.amdhsa_user_sgpr_private_segment_size 0
		.amdhsa_uses_dynamic_stack 0
		.amdhsa_enable_private_segment 0
		.amdhsa_system_sgpr_workgroup_id_x 1
		.amdhsa_system_sgpr_workgroup_id_y 1
		.amdhsa_system_sgpr_workgroup_id_z 1
		.amdhsa_system_sgpr_workgroup_info 0
		.amdhsa_system_vgpr_workitem_id 0
		.amdhsa_next_free_vgpr 96
		.amdhsa_next_free_sgpr 42
		.amdhsa_accum_offset 96
		.amdhsa_reserve_vcc 1
		.amdhsa_float_round_mode_32 0
		.amdhsa_float_round_mode_16_64 0
		.amdhsa_float_denorm_mode_32 3
		.amdhsa_float_denorm_mode_16_64 3
		.amdhsa_dx10_clamp 1
		.amdhsa_ieee_mode 1
		.amdhsa_fp16_overflow 0
		.amdhsa_tg_split 0
		.amdhsa_exception_fp_ieee_invalid_op 0
		.amdhsa_exception_fp_denorm_src 0
		.amdhsa_exception_fp_ieee_div_zero 0
		.amdhsa_exception_fp_ieee_overflow 0
		.amdhsa_exception_fp_ieee_underflow 0
		.amdhsa_exception_fp_ieee_inexact 0
		.amdhsa_exception_int_div_zero 0
	.end_amdhsa_kernel
	.section	.text._Z39paged_attention_ll4mi_QKV_mfma16_kernelI14__hip_bfloat16S0_LN4vllm18Fp8KVCacheDataTypeE0ES0_Li32ELi128ELi256ELb0ELi9EEvPKT_PKT0_S8_ifPKiSA_SA_iPKfiiiPfSD_PS3_PT2_iSC_SC_,"axG",@progbits,_Z39paged_attention_ll4mi_QKV_mfma16_kernelI14__hip_bfloat16S0_LN4vllm18Fp8KVCacheDataTypeE0ES0_Li32ELi128ELi256ELb0ELi9EEvPKT_PKT0_S8_ifPKiSA_SA_iPKfiiiPfSD_PS3_PT2_iSC_SC_,comdat
.Lfunc_end756:
	.size	_Z39paged_attention_ll4mi_QKV_mfma16_kernelI14__hip_bfloat16S0_LN4vllm18Fp8KVCacheDataTypeE0ES0_Li32ELi128ELi256ELb0ELi9EEvPKT_PKT0_S8_ifPKiSA_SA_iPKfiiiPfSD_PS3_PT2_iSC_SC_, .Lfunc_end756-_Z39paged_attention_ll4mi_QKV_mfma16_kernelI14__hip_bfloat16S0_LN4vllm18Fp8KVCacheDataTypeE0ES0_Li32ELi128ELi256ELb0ELi9EEvPKT_PKT0_S8_ifPKiSA_SA_iPKfiiiPfSD_PS3_PT2_iSC_SC_
                                        ; -- End function
	.section	.AMDGPU.csdata,"",@progbits
; Kernel info:
; codeLenInByte = 4888
; NumSgprs: 48
; NumVgprs: 96
; NumAgprs: 0
; TotalNumVgprs: 96
; ScratchSize: 0
; MemoryBound: 0
; FloatMode: 240
; IeeeMode: 1
; LDSByteSize: 8192 bytes/workgroup (compile time only)
; SGPRBlocks: 5
; VGPRBlocks: 11
; NumSGPRsForWavesPerEU: 48
; NumVGPRsForWavesPerEU: 96
; AccumOffset: 96
; Occupancy: 5
; WaveLimiterHint : 1
; COMPUTE_PGM_RSRC2:SCRATCH_EN: 0
; COMPUTE_PGM_RSRC2:USER_SGPR: 2
; COMPUTE_PGM_RSRC2:TRAP_HANDLER: 0
; COMPUTE_PGM_RSRC2:TGID_X_EN: 1
; COMPUTE_PGM_RSRC2:TGID_Y_EN: 1
; COMPUTE_PGM_RSRC2:TGID_Z_EN: 1
; COMPUTE_PGM_RSRC2:TIDIG_COMP_CNT: 0
; COMPUTE_PGM_RSRC3_GFX90A:ACCUM_OFFSET: 23
; COMPUTE_PGM_RSRC3_GFX90A:TG_SPLIT: 0
	.section	.text._Z39paged_attention_ll4mi_QKV_mfma16_kernelI14__hip_bfloat16S0_LN4vllm18Fp8KVCacheDataTypeE0ES0_Li32ELi128ELi256ELb0ELi10EEvPKT_PKT0_S8_ifPKiSA_SA_iPKfiiiPfSD_PS3_PT2_iSC_SC_,"axG",@progbits,_Z39paged_attention_ll4mi_QKV_mfma16_kernelI14__hip_bfloat16S0_LN4vllm18Fp8KVCacheDataTypeE0ES0_Li32ELi128ELi256ELb0ELi10EEvPKT_PKT0_S8_ifPKiSA_SA_iPKfiiiPfSD_PS3_PT2_iSC_SC_,comdat
	.protected	_Z39paged_attention_ll4mi_QKV_mfma16_kernelI14__hip_bfloat16S0_LN4vllm18Fp8KVCacheDataTypeE0ES0_Li32ELi128ELi256ELb0ELi10EEvPKT_PKT0_S8_ifPKiSA_SA_iPKfiiiPfSD_PS3_PT2_iSC_SC_ ; -- Begin function _Z39paged_attention_ll4mi_QKV_mfma16_kernelI14__hip_bfloat16S0_LN4vllm18Fp8KVCacheDataTypeE0ES0_Li32ELi128ELi256ELb0ELi10EEvPKT_PKT0_S8_ifPKiSA_SA_iPKfiiiPfSD_PS3_PT2_iSC_SC_
	.globl	_Z39paged_attention_ll4mi_QKV_mfma16_kernelI14__hip_bfloat16S0_LN4vllm18Fp8KVCacheDataTypeE0ES0_Li32ELi128ELi256ELb0ELi10EEvPKT_PKT0_S8_ifPKiSA_SA_iPKfiiiPfSD_PS3_PT2_iSC_SC_
	.p2align	8
	.type	_Z39paged_attention_ll4mi_QKV_mfma16_kernelI14__hip_bfloat16S0_LN4vllm18Fp8KVCacheDataTypeE0ES0_Li32ELi128ELi256ELb0ELi10EEvPKT_PKT0_S8_ifPKiSA_SA_iPKfiiiPfSD_PS3_PT2_iSC_SC_,@function
_Z39paged_attention_ll4mi_QKV_mfma16_kernelI14__hip_bfloat16S0_LN4vllm18Fp8KVCacheDataTypeE0ES0_Li32ELi128ELi256ELb0ELi10EEvPKT_PKT0_S8_ifPKiSA_SA_iPKfiiiPfSD_PS3_PT2_iSC_SC_: ; @_Z39paged_attention_ll4mi_QKV_mfma16_kernelI14__hip_bfloat16S0_LN4vllm18Fp8KVCacheDataTypeE0ES0_Li32ELi128ELi256ELb0ELi10EEvPKT_PKT0_S8_ifPKiSA_SA_iPKfiiiPfSD_PS3_PT2_iSC_SC_
; %bb.0:
	s_load_dwordx2 s[8:9], s[0:1], 0x30
	s_mov_b32 s26, s3
	s_mov_b64 s[6:7], 0
	s_waitcnt lgkmcnt(0)
	s_cmp_lg_u64 s[8:9], 0
	s_cselect_b64 s[10:11], -1, 0
	s_and_b64 vcc, exec, s[10:11]
	s_cbranch_vccz .LBB757_7
; %bb.1:
	s_add_i32 s12, s2, 1
	s_mov_b32 s13, 0
	s_lshl_b64 s[14:15], s[12:13], 2
	s_add_u32 s14, s8, s14
	s_mov_b32 s3, s13
	s_addc_u32 s15, s9, s15
	s_lshl_b64 s[12:13], s[2:3], 2
	s_add_u32 s12, s8, s12
	s_addc_u32 s13, s9, s13
	s_load_dword s5, s[14:15], 0x0
	s_load_dword s16, s[12:13], 0x0
	s_waitcnt lgkmcnt(0)
	s_sub_i32 s5, s5, s16
	s_cmp_eq_u32 s5, 1
	s_cselect_b64 s[12:13], -1, 0
	s_andn2_b64 vcc, exec, s[6:7]
	s_cbranch_vccnz .LBB757_3
.LBB757_2:
	s_mov_b32 s3, 0
	s_mov_b64 s[12:13], -1
.LBB757_3:
	s_andn2_b64 vcc, exec, s[12:13]
	s_cbranch_vccnz .LBB757_20
; %bb.4:
	s_load_dwordx2 s[6:7], s[0:1], 0x28
	s_lshl_b64 s[12:13], s[2:3], 2
	s_waitcnt lgkmcnt(0)
	s_add_u32 s6, s6, s12
	s_addc_u32 s7, s7, s13
	s_load_dword s33, s[6:7], 0x0
	s_lshl_b32 s18, s26, 8
	s_waitcnt lgkmcnt(0)
	s_cmp_ge_i32 s18, s33
	s_cbranch_scc1 .LBB757_20
; %bb.5:
	s_load_dwordx2 s[6:7], s[0:1], 0x20
	s_load_dword s5, s[0:1], 0x38
	s_add_i32 s14, s33, 31
	s_ashr_i32 s15, s14, 31
	v_and_b32_e32 v1, 0xcf, v0
	s_lshr_b32 s15, s15, 27
	v_add_u32_e32 v1, s18, v1
	s_add_i32 s14, s14, s15
	v_ashrrev_i32_e32 v2, 31, v1
	s_ashr_i32 s19, s14, 5
	v_lshrrev_b32_e32 v4, 27, v2
	s_add_i32 s19, s19, -1
	s_waitcnt lgkmcnt(0)
	s_mul_i32 s14, s2, s5
	s_mov_b32 s15, 0
	v_add_u32_e32 v2, v1, v4
	s_lshl_b64 s[14:15], s[14:15], 2
	v_ashrrev_i32_e32 v2, 5, v2
	v_mov_b32_e32 v5, s19
	v_cmp_gt_i32_e32 vcc, s33, v1
	s_add_u32 s6, s6, s14
	s_addc_u32 s7, s7, s15
	v_cndmask_b32_e32 v2, v5, v2, vcc
	v_ashrrev_i32_e32 v3, 31, v2
	v_lshl_add_u64 v[6:7], v[2:3], 2, s[6:7]
	v_or_b32_e32 v2, 16, v1
	v_add_u32_e32 v3, v2, v4
	v_ashrrev_i32_e32 v3, 5, v3
	v_cmp_gt_i32_e32 vcc, s33, v2
	s_nop 1
	v_cndmask_b32_e32 v2, v5, v3, vcc
	v_ashrrev_i32_e32 v3, 31, v2
	v_lshl_add_u64 v[8:9], v[2:3], 2, s[6:7]
	v_or_b32_e32 v2, 32, v1
	v_add_u32_e32 v3, v2, v4
	v_ashrrev_i32_e32 v3, 5, v3
	v_cmp_gt_i32_e32 vcc, s33, v2
	v_or_b32_e32 v1, 48, v1
	s_nop 0
	v_cndmask_b32_e32 v2, v5, v3, vcc
	v_ashrrev_i32_e32 v3, 31, v2
	v_lshl_add_u64 v[10:11], v[2:3], 2, s[6:7]
	v_add_u32_e32 v2, v1, v4
	v_ashrrev_i32_e32 v2, 5, v2
	v_cmp_gt_i32_e32 vcc, s33, v1
	s_nop 1
	v_cndmask_b32_e32 v2, v5, v2, vcc
	v_ashrrev_i32_e32 v3, 31, v2
	v_lshl_add_u64 v[12:13], v[2:3], 2, s[6:7]
	global_load_dword v2, v[6:7], off
	global_load_dword v5, v[8:9], off
	;; [unrolled: 1-line block ×4, first 2 shown]
	s_andn2_b64 vcc, exec, s[10:11]
	s_cbranch_vccnz .LBB757_8
; %bb.6:
	s_add_u32 s8, s8, s12
	s_addc_u32 s9, s9, s13
	s_load_dword s5, s[8:9], 0x0
	s_branch .LBB757_9
.LBB757_7:
	s_mov_b64 s[12:13], 0
	s_branch .LBB757_2
.LBB757_8:
	s_mov_b32 s5, s2
.LBB757_9:
	s_load_dwordx4 s[12:15], s[0:1], 0x8
	s_load_dwordx4 s[8:11], s[0:1], 0x48
	v_lshrrev_b32_e32 v86, 6, v0
	v_bfe_u32 v1, v0, 4, 2
	v_lshl_or_b32 v3, v86, 2, v1
	v_and_b32_e32 v76, 15, v0
	v_lshlrev_b32_e32 v74, 3, v76
	v_cmp_lt_u32_e32 vcc, 9, v3
	s_and_saveexec_b64 s[16:17], vcc
	s_xor_b64 s[16:17], exec, s[16:17]
; %bb.10:
	v_mov_b32_e32 v75, 0
                                        ; implicit-def: $vgpr3
; %bb.11:
	s_or_saveexec_b64 s[16:17], s[16:17]
	v_and_b32_e32 v77, 63, v0
	s_mul_i32 s40, s4, 10
	s_xor_b64 exec, exec, s[16:17]
	s_cbranch_execz .LBB757_13
; %bb.12:
	s_load_dwordx2 s[20:21], s[0:1], 0x0
	s_waitcnt lgkmcnt(0)
	s_ashr_i32 s11, s8, 31
	s_mul_hi_u32 s22, s5, s8
	s_mul_i32 s11, s5, s11
	s_add_i32 s23, s22, s11
	s_mul_i32 s22, s5, s8
	s_lshl_b64 s[22:23], s[22:23], 1
	s_add_u32 s20, s20, s22
	v_add_lshl_u32 v6, v3, s40, 7
	s_addc_u32 s21, s21, s23
	v_ashrrev_i32_e32 v7, 31, v6
	v_mov_b32_e32 v75, 0
	v_lshl_add_u64 v[6:7], v[6:7], 1, s[20:21]
	v_lshlrev_b32_e32 v8, 1, v74
	v_mov_b32_e32 v9, v75
	v_lshl_add_u64 v[6:7], v[6:7], 0, v[8:9]
	global_load_dwordx4 v[6:9], v[6:7], off
	v_and_b32_e32 v10, 3, v0
	v_lshlrev_b32_e32 v11, 9, v76
	v_lshlrev_b32_e32 v3, 5, v3
	;; [unrolled: 1-line block ×3, first 2 shown]
	v_and_b32_e32 v11, 0x1800, v11
	v_or3_b32 v3, v11, v10, v3
	s_waitcnt vmcnt(0)
	ds_write_b128 v3, v[6:9]
.LBB757_13:
	s_or_b64 exec, exec, s[16:17]
	s_waitcnt lgkmcnt(0)
	s_mul_i32 s4, s4, s10
	s_mov_b32 s5, 0
	s_lshl_b64 s[4:5], s[4:5], 1
	s_add_u32 s10, s12, s4
	s_addc_u32 s11, s13, s5
	s_waitcnt vmcnt(3)
	v_mad_i64_i32 v[2:3], s[12:13], v2, s9, 0
	v_lshl_add_u64 v[6:7], v[2:3], 1, s[10:11]
	v_lshlrev_b64 v[2:3], 1, v[74:75]
	v_lshlrev_b32_e32 v50, 9, v1
	v_lshl_add_u64 v[6:7], v[6:7], 0, v[2:3]
	v_mov_b32_e32 v51, 0
	v_lshl_add_u64 v[8:9], v[6:7], 0, v[50:51]
	s_load_dword s27, s[0:1], 0x98
	s_load_dword s8, s[0:1], 0x1c
	s_waitcnt lgkmcnt(0)
	s_barrier
	global_load_dwordx4 v[38:41], v[8:9], off
	s_waitcnt vmcnt(3)
	v_mad_i64_i32 v[10:11], s[12:13], v5, s9, 0
	v_mov_b32_e32 v5, 0x100
	v_lshl_add_u64 v[10:11], v[10:11], 1, s[10:11]
	v_lshl_or_b32 v54, v76, 4, v5
	v_mov_b32_e32 v55, v51
	v_lshl_add_u64 v[22:23], v[10:11], 0, v[54:55]
	v_lshl_add_u64 v[10:11], v[22:23], 0, v[50:51]
	global_load_dwordx4 v[42:45], v[10:11], off
	global_load_dwordx4 v[18:21], v[8:9], off offset:2048
	global_load_dwordx4 v[26:29], v[10:11], off offset:2048
	v_or_b32_e32 v56, 0x1000, v50
	v_mov_b32_e32 v57, v51
	v_or_b32_e32 v52, 0x1800, v50
	v_mov_b32_e32 v53, v51
	v_lshl_add_u64 v[8:9], v[6:7], 0, v[56:57]
	v_lshl_add_u64 v[6:7], v[6:7], 0, v[52:53]
	global_load_dwordx4 v[14:17], v[8:9], off
	global_load_dwordx4 v[10:13], v[6:7], off
	v_lshl_add_u64 v[8:9], v[22:23], 0, v[56:57]
	global_load_dwordx4 v[30:33], v[8:9], off
	s_waitcnt vmcnt(8)
	v_mad_i64_i32 v[4:5], s[12:13], v4, s9, 0
	v_lshl_add_u64 v[4:5], v[4:5], 1, s[10:11]
	v_lshl_add_u64 v[60:61], v[4:5], 0, v[2:3]
	v_add_u32_e32 v2, -10, v76
	v_cmp_gt_u32_e32 vcc, 10, v76
	v_lshl_add_u64 v[6:7], v[22:23], 0, v[52:53]
	global_load_dwordx4 v[22:25], v[6:7], off
	v_cndmask_b32_e32 v2, v2, v76, vcc
	v_lshl_add_u64 v[58:59], v[60:61], 0, v[50:51]
	v_lshl_add_u32 v62, v2, 5, v50
	global_load_dwordx4 v[34:37], v[58:59], off
	ds_read_b128 v[6:9], v62
	ds_read_b128 v[2:5], v62 offset:2048
	s_waitcnt vmcnt(9)
	v_mad_i64_i32 v[72:73], s[12:13], v46, s9, 0
	s_ashr_i32 s12, s18, 31
	v_and_or_b32 v80, v0, 48, s18
	v_or_b32_e32 v84, 64, v80
	v_mov_b32_e32 v81, s19
	v_cmp_gt_i32_e32 vcc, s33, v80
	v_or_b32_e32 v85, 0x80, v80
	v_or_b32_e32 v87, 0xc0, v80
	s_mov_b32 s41, 0xff7fffff
	s_waitcnt vmcnt(7) lgkmcnt(1)
	v_mfma_f32_16x16x16_bf16 v[68:71], v[42:43], v[6:7], 0
	v_mfma_f32_16x16x16_bf16 v[64:67], v[38:39], v[6:7], 0
	;; [unrolled: 1-line block ×3, first 2 shown]
	ds_read_b128 v[46:49], v62 offset:4096
	ds_read_b128 v[38:41], v62 offset:6144
	v_lshl_add_u64 v[62:63], v[72:73], 1, s[10:11]
	v_lshl_add_u64 v[82:83], v[62:63], 0, v[54:55]
	v_mfma_f32_16x16x16_bf16 v[42:45], v[44:45], v[8:9], v[68:71]
	v_lshl_add_u64 v[54:55], v[60:61], 0, v[56:57]
	s_lshr_b32 s10, s12, 27
	v_lshl_add_u64 v[78:79], v[82:83], 0, v[56:57]
	s_waitcnt vmcnt(6) lgkmcnt(2)
	v_mfma_f32_16x16x16_bf16 v[62:65], v[18:19], v[2:3], v[64:67]
	v_add_u32_e32 v68, s10, v80
	v_add_u32_e32 v69, s10, v84
	v_lshl_add_u64 v[70:71], v[82:83], 0, v[50:51]
	v_lshl_add_u64 v[66:67], v[60:61], 0, v[52:53]
	global_load_dwordx4 v[58:61], v[58:59], off offset:2048
	s_waitcnt vmcnt(6)
	v_mfma_f32_16x16x16_bf16 v[42:45], v[26:27], v[2:3], v[42:45]
	v_ashrrev_i32_e32 v50, 5, v68
	v_ashrrev_i32_e32 v56, 5, v69
	v_add_u32_e32 v72, s10, v85
	v_mfma_f32_16x16x16_bf16 v[18:21], v[20:21], v[4:5], v[62:65]
	v_add_u32_e32 v73, s10, v87
	s_add_u32 s4, s14, s4
	s_addc_u32 s5, s15, s5
	v_mfma_f32_16x16x16_bf16 v[26:29], v[28:29], v[4:5], v[42:45]
	v_ashrrev_i32_e32 v62, 5, v72
	v_ashrrev_i32_e32 v72, 5, v73
	s_waitcnt vmcnt(5) lgkmcnt(1)
	v_mfma_f32_16x16x16_bf16 v[18:21], v[14:15], v[46:47], v[18:21]
	global_load_dwordx4 v[42:45], v[54:55], off
	v_cndmask_b32_e32 v14, v81, v50, vcc
	v_cmp_gt_i32_e32 vcc, s33, v84
	s_waitcnt vmcnt(4)
	v_mfma_f32_16x16x16_bf16 v[26:29], v[30:31], v[46:47], v[26:29]
	v_ashrrev_i32_e32 v15, 31, v14
	v_cndmask_b32_e32 v30, v81, v56, vcc
	v_ashrrev_i32_e32 v31, 31, v30
	v_lshl_add_u64 v[14:15], v[14:15], 2, s[6:7]
	v_lshl_add_u64 v[30:31], v[30:31], 2, s[6:7]
	global_load_dword v92, v[14:15], off
	global_load_dword v84, v[30:31], off
	v_mfma_f32_16x16x16_bf16 v[14:17], v[16:17], v[48:49], v[18:21]
	v_cmp_gt_i32_e32 vcc, s33, v85
	s_nop 1
	global_load_dwordx4 v[18:21], v[66:67], off
	s_waitcnt lgkmcnt(0)
	v_mfma_f32_16x16x16_bf16 v[14:17], v[10:11], v[38:39], v[14:17]
	v_cndmask_b32_e32 v10, v81, v62, vcc
	v_ashrrev_i32_e32 v11, 31, v10
	v_lshl_add_u64 v[10:11], v[10:11], 2, s[6:7]
	v_mfma_f32_16x16x16_bf16 v[66:69], v[12:13], v[40:41], v[14:17]
	global_load_dword v85, v[10:11], off
	global_load_dwordx4 v[62:65], v[70:71], off offset:2048
	v_cmp_gt_i32_e32 vcc, s33, v87
	v_lshl_add_u64 v[14:15], v[82:83], 0, v[52:53]
	global_load_dwordx4 v[88:91], v[14:15], off
	global_load_dwordx4 v[54:57], v[70:71], off
	v_cndmask_b32_e32 v10, v81, v72, vcc
	global_load_dwordx4 v[78:81], v[78:79], off
	v_ashrrev_i32_e32 v11, 31, v10
	v_lshl_add_u64 v[10:11], v[10:11], 2, s[6:7]
	global_load_dword v93, v[10:11], off
	s_waitcnt vmcnt(11)
	v_mfma_f32_16x16x16_bf16 v[10:13], v[34:35], v[6:7], 0
	v_and_b32_e32 v14, 16, v0
	v_lshlrev_b32_e32 v50, 1, v14
	v_lshl_or_b32 v87, v86, 4, v76
	v_mfma_f32_16x16x16_bf16 v[10:13], v[36:37], v[8:9], v[10:13]
	v_lshl_add_u64 v[36:37], s[4:5], 0, v[50:51]
	v_lshlrev_b32_e32 v50, 6, v87
	v_pk_mul_f32 v[82:83], s[8:9], v[68:69] op_sel_hi:[0,1]
	v_mfma_f32_16x16x16_bf16 v[26:29], v[32:33], v[48:49], v[26:29]
	s_waitcnt vmcnt(8)
	v_mad_i64_i32 v[14:15], s[4:5], v92, s9, 0
	v_mfma_f32_16x16x16_bf16 v[10:13], v[58:59], v[2:3], v[10:13]
	v_lshl_add_u64 v[58:59], v[36:37], 0, v[50:51]
	v_or_b32_e32 v50, 0x1000, v50
	v_mfma_f32_16x16x16_bf16 v[10:13], v[60:61], v[4:5], v[10:13]
	v_lshlrev_b64 v[60:61], 1, v[14:15]
	v_lshl_add_u64 v[14:15], v[58:59], 0, v[60:61]
	v_mfma_f32_16x16x16_bf16 v[10:13], v[42:43], v[46:47], v[10:13]
	v_mfma_f32_16x16x16_bf16 v[10:13], v[44:45], v[48:49], v[10:13]
	;; [unrolled: 1-line block ×3, first 2 shown]
	s_waitcnt vmcnt(6)
	v_mfma_f32_16x16x16_bf16 v[10:13], v[18:19], v[38:39], v[10:13]
	v_mfma_f32_16x16x16_bf16 v[70:73], v[24:25], v[40:41], v[26:29]
	global_load_dwordx4 v[30:33], v[14:15], off
	s_nop 2
	global_load_dwordx4 v[26:29], v[14:15], off offset:16
	v_mad_i64_i32 v[14:15], s[4:5], v84, s9, 0
	v_lshlrev_b64 v[34:35], 1, v[14:15]
	v_mfma_f32_16x16x16_bf16 v[42:45], v[20:21], v[40:41], v[10:13]
	v_pk_mul_f32 v[70:71], s[8:9], v[70:71] op_sel_hi:[0,1]
	s_nop 1
	v_lshl_add_u64 v[10:11], v[58:59], 0, v[34:35]
	global_load_dwordx4 v[22:25], v[10:11], off
	global_load_dwordx4 v[18:21], v[10:11], off offset:16
	s_waitcnt vmcnt(6)
	v_mfma_f32_16x16x16_bf16 v[10:13], v[54:55], v[6:7], 0
	v_mad_i64_i32 v[6:7], s[4:5], v85, s9, 0
	v_lshlrev_b64 v[52:53], 1, v[6:7]
	v_mfma_f32_16x16x16_bf16 v[6:9], v[56:57], v[8:9], v[10:13]
	v_pk_mul_f32 v[84:85], s[8:9], v[72:73] op_sel_hi:[0,1]
	v_mfma_f32_16x16x16_bf16 v[6:9], v[62:63], v[2:3], v[6:9]
	s_waitcnt vmcnt(4)
	v_mad_i64_i32 v[2:3], s[4:5], v93, s9, 0
	v_lshlrev_b64 v[62:63], 1, v[2:3]
	v_mfma_f32_16x16x16_bf16 v[54:57], v[64:65], v[4:5], v[6:9]
	v_lshl_add_u64 v[64:65], v[36:37], 0, v[50:51]
	v_pk_mul_f32 v[50:51], s[8:9], v[66:67] op_sel_hi:[0,1]
	v_lshl_add_u64 v[10:11], v[58:59], 0, v[52:53]
	v_mfma_f32_16x16x16_bf16 v[54:57], v[78:79], v[46:47], v[54:57]
	v_pk_mul_f32 v[78:79], s[8:9], v[42:43] op_sel_hi:[0,1]
	v_lshl_add_u64 v[2:3], v[58:59], 0, v[62:63]
	v_lshl_add_u64 v[58:59], v[64:65], 0, v[60:61]
	v_mfma_f32_16x16x16_bf16 v[46:49], v[80:81], v[48:49], v[54:57]
	v_pk_mul_f32 v[80:81], s[8:9], v[44:45] op_sel_hi:[0,1]
	v_lshl_add_u64 v[34:35], v[64:65], 0, v[34:35]
	v_lshl_add_u64 v[52:53], v[64:65], 0, v[52:53]
	v_mfma_f32_16x16x16_bf16 v[36:39], v[88:89], v[38:39], v[46:49]
	global_load_dwordx4 v[14:17], v[10:11], off
	s_nop 0
	global_load_dwordx4 v[10:13], v[10:11], off offset:16
	s_nop 0
	global_load_dwordx4 v[6:9], v[2:3], off
	s_nop 0
	global_load_dwordx4 v[2:5], v[2:3], off offset:16
	v_mfma_f32_16x16x16_bf16 v[36:39], v[90:91], v[40:41], v[36:39]
	s_nop 6
	v_pk_mul_f32 v[72:73], s[8:9], v[36:37] op_sel_hi:[0,1]
	v_and_b32_e32 v36, 0xc0, v0
	v_add_u32_e32 v36, s18, v36
	v_lshl_or_b32 v36, v1, 2, v36
	v_pk_mul_f32 v[66:67], s[8:9], v[38:39] op_sel_hi:[0,1]
	v_or_b32_e32 v39, 1, v36
	v_mov_b32_e32 v37, 0xff7fffff
	v_cmp_gt_i32_e64 s[28:29], s33, v36
	v_cmp_gt_i32_e64 s[30:31], s33, v39
	v_or_b32_e32 v40, 3, v36
	v_cndmask_b32_e64 v38, v37, v50, s[28:29]
	v_cndmask_b32_e64 v39, v37, v51, s[30:31]
	v_max3_f32 v38, v38, s41, v39
	v_or_b32_e32 v39, 2, v36
	v_cmp_gt_i32_e64 s[34:35], s33, v39
	v_cmp_gt_i32_e64 s[36:37], s33, v40
	s_nop 0
	v_cndmask_b32_e64 v39, v37, v82, s[34:35]
	v_cndmask_b32_e64 v40, v37, v83, s[36:37]
	v_max3_f32 v38, v38, v39, v40
	v_or_b32_e32 v39, 16, v36
	v_or_b32_e32 v40, 17, v36
	v_cmp_gt_i32_e64 s[22:23], s33, v39
	v_cmp_gt_i32_e64 s[24:25], s33, v40
	s_nop 0
	v_cndmask_b32_e64 v39, v37, v70, s[22:23]
	v_cndmask_b32_e64 v40, v37, v71, s[24:25]
	v_max3_f32 v38, v38, v39, v40
	v_or_b32_e32 v39, 18, v36
	;; [unrolled: 8-line block ×6, first 2 shown]
	v_or_b32_e32 v36, 51, v36
	v_cmp_gt_i32_e32 vcc, s33, v39
	v_cmp_gt_i32_e64 s[4:5], s33, v36
	s_nop 0
	v_cndmask_b32_e32 v39, v37, v66, vcc
	v_cndmask_b32_e64 v36, v37, v67, s[4:5]
	v_max3_f32 v54, v38, v39, v36
	v_mbcnt_lo_u32_b32 v36, -1, 0
	v_mbcnt_hi_u32_b32 v55, -1, v36
	v_and_b32_e32 v36, 64, v55
	v_add_u32_e32 v56, 64, v36
	v_xor_b32_e32 v36, 32, v55
	v_cmp_lt_i32_e64 s[38:39], v36, v56
	global_load_dwordx4 v[46:49], v[58:59], off
	global_load_dwordx4 v[38:41], v[58:59], off offset:16
	v_cndmask_b32_e64 v36, v55, v36, s[38:39]
	v_lshlrev_b32_e32 v89, 2, v36
	ds_bpermute_b32 v57, v89, v54
	global_load_dwordx4 v[42:45], v[34:35], off
	s_nop 0
	global_load_dwordx4 v[34:37], v[34:35], off offset:16
	s_waitcnt lgkmcnt(0)
	v_max_f32_e32 v57, v57, v57
	v_max_f32_e32 v68, v54, v57
	v_xor_b32_e32 v54, 16, v55
	v_cmp_lt_i32_e64 s[38:39], v54, v56
	s_nop 1
	v_cndmask_b32_e64 v54, v55, v54, s[38:39]
	v_lshlrev_b32_e32 v90, 2, v54
	ds_bpermute_b32 v69, v90, v68
	global_load_dwordx4 v[58:61], v[52:53], off
	global_load_dwordx4 v[54:57], v[52:53], off offset:16
	v_lshl_add_u64 v[52:53], v[64:65], 0, v[62:63]
	s_waitcnt lgkmcnt(0)
	v_max_f32_e32 v62, v69, v69
	v_max_f32_e32 v88, v68, v62
	v_sub_f32_e32 v50, v50, v88
	v_mul_f32_e32 v50, 0x3fb8aa3b, v50
	v_exp_f32_e32 v68, v50
	v_sub_f32_e32 v50, v51, v88
	v_mul_f32_e32 v50, 0x3fb8aa3b, v50
	v_exp_f32_e32 v69, v50
	global_load_dwordx4 v[62:65], v[52:53], off
	s_nop 0
	global_load_dwordx4 v[50:53], v[52:53], off offset:16
	v_sub_f32_e32 v82, v82, v88
	v_mul_f32_e32 v82, 0x3fb8aa3b, v82
	v_sub_f32_e32 v83, v83, v88
	v_exp_f32_e32 v82, v82
	v_mul_f32_e32 v83, 0x3fb8aa3b, v83
	v_sub_f32_e32 v70, v70, v88
	v_exp_f32_e32 v83, v83
	v_mul_f32_e32 v70, 0x3fb8aa3b, v70
	v_sub_f32_e32 v71, v71, v88
	v_cndmask_b32_e64 v68, 0, v68, s[28:29]
	v_exp_f32_e32 v70, v70
	v_mul_f32_e32 v71, 0x3fb8aa3b, v71
	v_sub_f32_e32 v84, v84, v88
	v_add_f32_e32 v91, 0, v68
	v_cndmask_b32_e64 v69, 0, v69, s[30:31]
	v_exp_f32_e32 v71, v71
	v_mul_f32_e32 v84, 0x3fb8aa3b, v84
	v_sub_f32_e32 v85, v85, v88
	v_add_f32_e32 v91, v91, v69
	;; [unrolled: 5-line block ×10, first 2 shown]
	v_cndmask_b32_e64 v80, 0, v80, s[10:11]
	v_exp_f32_e32 v66, v66
	v_mul_f32_e32 v67, 0x3fb8aa3b, v67
	v_add_f32_e32 v91, v91, v80
	v_cndmask_b32_e64 v81, 0, v81, s[12:13]
	v_exp_f32_e32 v67, v67
	v_add_f32_e32 v91, v91, v81
	v_cndmask_b32_e64 v72, 0, v72, s[6:7]
	v_add_f32_e32 v91, v91, v72
	v_cndmask_b32_e64 v73, 0, v73, s[8:9]
	v_add_f32_e32 v91, v91, v73
	v_cndmask_b32_e32 v66, 0, v66, vcc
	v_add_f32_e32 v91, v91, v66
	v_cndmask_b32_e64 v67, 0, v67, s[4:5]
	v_add_f32_e32 v91, v91, v67
	ds_bpermute_b32 v89, v89, v91
	v_cmp_gt_u32_e32 vcc, 16, v77
	s_waitcnt lgkmcnt(0)
	s_barrier
	v_add_f32_e32 v89, v91, v89
	ds_bpermute_b32 v90, v90, v89
	s_and_saveexec_b64 s[4:5], vcc
	s_cbranch_execz .LBB757_15
; %bb.14:
	s_waitcnt lgkmcnt(0)
	v_add_f32_e32 v77, v89, v90
	v_lshlrev_b32_e32 v87, 2, v87
	ds_write2st64_b32 v87, v88, v77 offset1:1
.LBB757_15:
	s_or_b64 exec, exec, s[4:5]
	v_lshlrev_b32_e32 v77, 2, v76
	s_load_dword s6, s[0:1], 0x94
	s_waitcnt lgkmcnt(0)
	s_barrier
	ds_read2_b32 v[88:89], v77 offset1:16
	ds_read2_b32 v[90:91], v77 offset0:32 offset1:48
	ds_read2_b32 v[92:93], v77 offset0:64 offset1:80
	ds_read2_b32 v[94:95], v77 offset0:96 offset1:112
	s_movk_i32 s8, 0x7fff
	s_waitcnt lgkmcnt(3)
	v_max3_f32 v87, v88, s41, v89
	s_waitcnt lgkmcnt(2)
	v_max3_f32 v87, v87, v90, v91
	v_sub_f32_e32 v88, v88, v87
	v_mul_f32_e32 v88, 0x3fb8aa3b, v88
	v_exp_f32_e32 v86, v88
	v_sub_f32_e32 v88, v89, v87
	v_mul_f32_e32 v88, 0x3fb8aa3b, v88
	v_exp_f32_e32 v89, v88
	v_sub_f32_e32 v88, v90, v87
	v_mul_f32_e32 v88, 0x3fb8aa3b, v88
	v_sub_f32_e32 v77, v91, v87
	v_exp_f32_e32 v90, v88
	v_mul_f32_e32 v77, 0x3fb8aa3b, v77
	v_exp_f32_e32 v77, v77
	s_waitcnt lgkmcnt(1)
	v_fma_f32 v88, v86, v92, 0
	v_fmac_f32_e32 v88, v89, v93
	s_waitcnt lgkmcnt(0)
	v_fmac_f32_e32 v88, v90, v94
	v_fmac_f32_e32 v88, v77, v95
	v_add_f32_e32 v91, 0x358637bd, v88
	v_div_scale_f32 v92, s[4:5], v91, v91, 1.0
	v_rcp_f32_e32 v93, v92
	s_mov_b32 s9, 0x7060302
	s_barrier
	v_fma_f32 v94, -v92, v93, 1.0
	v_fmac_f32_e32 v93, v94, v93
	v_div_scale_f32 v94, vcc, 1.0, v91, 1.0
	v_mul_f32_e32 v95, v94, v93
	v_fma_f32 v1, -v92, v95, v94
	v_fmac_f32_e32 v95, v1, v93
	v_fma_f32 v1, -v92, v95, v94
	v_div_fmas_f32 v1, v1, v93, v95
	v_div_fixup_f32 v1, v1, v91, 1.0
	v_lshrrev_b32_e32 v91, 6, v0
	v_cmp_eq_u32_e32 vcc, 1, v91
	s_mul_i32 s7, s27, 10
	s_nop 0
	v_cndmask_b32_e32 v86, v86, v89, vcc
	v_cmp_eq_u32_e32 vcc, 2, v91
	s_nop 1
	v_cndmask_b32_e32 v86, v86, v90, vcc
	v_cmp_eq_u32_e32 vcc, 3, v91
	s_nop 1
	v_cndmask_b32_e32 v77, v86, v77, vcc
	v_mul_f32_e32 v90, v77, v1
	v_pk_mul_f32 v[68:69], v[90:91], v[68:69] op_sel_hi:[0,1]
	v_bfe_u32 v1, v69, 16, 1
	v_bfe_u32 v77, v68, 16, 1
	v_pk_mul_f32 v[82:83], v[90:91], v[82:83] op_sel_hi:[0,1]
	v_add3_u32 v68, v68, v77, s8
	v_add3_u32 v1, v69, v1, s8
	v_perm_b32 v92, v1, v68, s9
	v_bfe_u32 v1, v83, 16, 1
	v_bfe_u32 v68, v82, 16, 1
	v_add3_u32 v68, v82, v68, s8
	v_add3_u32 v1, v83, v1, s8
	v_bfe_u32 v86, v0, 4, 2
	v_perm_b32 v93, v1, v68, s9
	v_lshlrev_b32_e32 v1, 3, v86
	v_lshlrev_b32_e32 v68, 5, v76
	;; [unrolled: 1-line block ×3, first 2 shown]
	v_pk_mul_f32 v[70:71], v[90:91], v[70:71] op_sel_hi:[0,1]
	v_or3_b32 v1, v69, v68, v1
	v_bfe_u32 v69, v71, 16, 1
	v_bfe_u32 v77, v70, 16, 1
	v_pk_mul_f32 v[82:83], v[90:91], v[84:85] op_sel_hi:[0,1]
	v_add3_u32 v70, v70, v77, s8
	v_add3_u32 v69, v71, v69, s8
	v_perm_b32 v70, v69, v70, s9
	v_bfe_u32 v69, v83, 16, 1
	v_bfe_u32 v71, v82, 16, 1
	v_add3_u32 v71, v82, v71, s8
	v_add3_u32 v69, v83, v69, s8
	v_pk_mul_f32 v[78:79], v[90:91], v[78:79] op_sel_hi:[0,1]
	v_perm_b32 v71, v69, v71, s9
	v_bfe_u32 v69, v79, 16, 1
	v_bfe_u32 v77, v78, 16, 1
	ds_write2st64_b64 v1, v[92:93], v[70:71] offset1:1
	v_pk_mul_f32 v[70:71], v[90:91], v[80:81] op_sel_hi:[0,1]
	v_add3_u32 v77, v78, v77, s8
	v_add3_u32 v69, v79, v69, s8
	v_perm_b32 v78, v69, v77, s9
	v_bfe_u32 v69, v71, 16, 1
	v_bfe_u32 v77, v70, 16, 1
	v_add3_u32 v70, v70, v77, s8
	v_add3_u32 v69, v71, v69, s8
	v_perm_b32 v79, v69, v70, s9
	v_pk_mul_f32 v[70:71], v[90:91], v[72:73] op_sel_hi:[0,1]
	v_bfe_u32 v69, v71, 16, 1
	v_bfe_u32 v72, v70, 16, 1
	v_pk_mul_f32 v[66:67], v[90:91], v[66:67] op_sel_hi:[0,1]
	v_add3_u32 v70, v70, v72, s8
	v_add3_u32 v69, v71, v69, s8
	v_perm_b32 v70, v69, v70, s9
	v_bfe_u32 v69, v67, 16, 1
	v_bfe_u32 v71, v66, 16, 1
	v_add3_u32 v66, v66, v71, s8
	v_add3_u32 v67, v67, v69, s8
	v_perm_b32 v71, v67, v66, s9
	v_cmp_gt_u32_e32 vcc, 10, v0
	ds_write2st64_b64 v1, v[78:79], v[70:71] offset0:2 offset1:3
	s_and_saveexec_b64 s[4:5], vcc
	s_cbranch_execz .LBB757_17
; %bb.16:
	s_mov_b32 s41, 0
	v_mov_b32_e32 v77, 0
	v_lshl_add_u64 v[66:67], s[40:41], 0, v[76:77]
	v_mov_b32_e32 v69, s7
	v_mad_u64_u32 v[66:67], s[10:11], s2, v69, v[66:67]
	s_mul_i32 s3, s3, s7
	v_mov_b32_e32 v70, s26
	v_mov_b32_e32 v71, v77
	s_load_dwordx4 s[12:15], s[0:1], 0x58
	v_add_u32_e32 v69, s3, v67
	v_mad_u64_u32 v[66:67], s[10:11], v66, s6, v[70:71]
	v_mov_b32_e32 v70, v67
	v_mad_u64_u32 v[70:71], s[10:11], v69, s6, v[70:71]
	v_mov_b32_e32 v67, v70
	v_lshlrev_b64 v[66:67], 2, v[66:67]
	s_waitcnt lgkmcnt(0)
	v_lshl_add_u64 v[70:71], s[14:15], 0, v[66:67]
	v_lshl_add_u64 v[66:67], s[12:13], 0, v[66:67]
	global_store_dword v[70:71], v87, off
	global_store_dword v[66:67], v88, off
.LBB757_17:
	s_or_b64 exec, exec, s[4:5]
	v_lshl_or_b32 v77, v86, 9, v68
	s_waitcnt lgkmcnt(0)
	s_barrier
	ds_read_b128 v[70:73], v77
	ds_read_b128 v[66:69], v77 offset:16
	s_waitcnt vmcnt(15) lgkmcnt(1)
	v_mfma_f32_16x16x16_bf16 v[78:81], v[30:31], v[70:71], 0
	s_mov_b32 s3, 0
	v_cmp_gt_u32_e32 vcc, 64, v0
	v_mfma_f32_16x16x16_bf16 v[30:33], v[32:33], v[72:73], v[78:81]
	s_waitcnt vmcnt(14) lgkmcnt(0)
	v_mfma_f32_16x16x16_bf16 v[30:33], v[26:27], v[66:67], v[30:33]
	v_mfma_f32_16x16x16_bf16 v[26:29], v[28:29], v[68:69], v[30:33]
	s_nop 5
	ds_read_b128 v[30:33], v77 offset:2048
	ds_read_b128 v[78:81], v77 offset:2064
	s_waitcnt vmcnt(13) lgkmcnt(1)
	v_mfma_f32_16x16x16_bf16 v[26:29], v[22:23], v[30:31], v[26:29]
	v_mfma_f32_16x16x16_bf16 v[22:25], v[24:25], v[32:33], v[26:29]
	s_waitcnt vmcnt(12) lgkmcnt(0)
	v_mfma_f32_16x16x16_bf16 v[22:25], v[18:19], v[78:79], v[22:25]
	v_mfma_f32_16x16x16_bf16 v[18:21], v[20:21], v[80:81], v[22:25]
	s_nop 5
	ds_read_b128 v[22:25], v77 offset:4096
	ds_read_b128 v[26:29], v77 offset:4112
	s_waitcnt vmcnt(11) lgkmcnt(1)
	v_mfma_f32_16x16x16_bf16 v[18:21], v[14:15], v[22:23], v[18:21]
	v_mfma_f32_16x16x16_bf16 v[14:17], v[16:17], v[24:25], v[18:21]
	s_waitcnt vmcnt(10) lgkmcnt(0)
	v_mfma_f32_16x16x16_bf16 v[14:17], v[10:11], v[26:27], v[14:17]
	v_mfma_f32_16x16x16_bf16 v[10:13], v[12:13], v[28:29], v[14:17]
	s_nop 5
	ds_read_b128 v[14:17], v77 offset:6144
	ds_read_b128 v[18:21], v77 offset:6160
	s_waitcnt lgkmcnt(0)
	s_barrier
	s_waitcnt vmcnt(9)
	v_mfma_f32_16x16x16_bf16 v[10:13], v[6:7], v[14:15], v[10:13]
	v_mfma_f32_16x16x16_bf16 v[6:9], v[8:9], v[16:17], v[10:13]
	s_waitcnt vmcnt(8)
	v_mfma_f32_16x16x16_bf16 v[6:9], v[2:3], v[18:19], v[6:9]
	v_mfma_f32_16x16x16_bf16 v[2:5], v[4:5], v[20:21], v[6:9]
	;; [unrolled: 3-line block ×3, first 2 shown]
	s_nop 3
	v_bfe_u32 v10, v3, 16, 1
	v_bfe_u32 v11, v2, 16, 1
	v_add3_u32 v2, v2, v11, s8
	s_waitcnt vmcnt(6)
	v_mfma_f32_16x16x16_bf16 v[6:9], v[38:39], v[66:67], v[6:9]
	v_add3_u32 v3, v3, v10, s8
	v_perm_b32 v10, v3, v2, s9
	v_bfe_u32 v2, v5, 16, 1
	v_mfma_f32_16x16x16_bf16 v[6:9], v[40:41], v[68:69], v[6:9]
	v_bfe_u32 v3, v4, 16, 1
	v_add3_u32 v3, v4, v3, s8
	v_add3_u32 v2, v5, v2, s8
	s_waitcnt vmcnt(5)
	v_mfma_f32_16x16x16_bf16 v[6:9], v[42:43], v[30:31], v[6:9]
	v_perm_b32 v11, v2, v3, s9
	v_mfma_f32_16x16x16_bf16 v[6:9], v[44:45], v[32:33], v[6:9]
	s_waitcnt vmcnt(4)
	v_mfma_f32_16x16x16_bf16 v[6:9], v[34:35], v[78:79], v[6:9]
	v_mfma_f32_16x16x16_bf16 v[6:9], v[36:37], v[80:81], v[6:9]
	s_waitcnt vmcnt(3)
	v_mfma_f32_16x16x16_bf16 v[6:9], v[58:59], v[22:23], v[6:9]
	;; [unrolled: 3-line block ×5, first 2 shown]
	v_mfma_f32_16x16x16_bf16 v[2:5], v[52:53], v[20:21], v[6:9]
	s_nop 6
	v_bfe_u32 v6, v3, 16, 1
	v_bfe_u32 v7, v2, 16, 1
	v_add3_u32 v2, v2, v7, s8
	v_add3_u32 v3, v3, v6, s8
	v_perm_b32 v2, v3, v2, s9
	v_bfe_u32 v3, v5, 16, 1
	v_bfe_u32 v6, v4, 16, 1
	v_add3_u32 v4, v4, v6, s8
	v_add3_u32 v3, v5, v3, s8
	v_perm_b32 v3, v3, v4, s9
	ds_write2st64_b64 v1, v[10:11], v[2:3] offset1:1
	s_waitcnt lgkmcnt(0)
	s_barrier
	s_and_saveexec_b64 s[4:5], vcc
	s_cbranch_execz .LBB757_20
; %bb.18:
	s_load_dwordx2 s[4:5], s[0:1], 0x68
	s_lshl_b32 s0, s6, 7
	s_mul_i32 s1, s7, s2
	v_lshlrev_b32_e32 v3, 6, v76
	s_mul_hi_u32 s7, s1, s0
	s_mul_i32 s6, s1, s0
	v_lshlrev_b32_e32 v2, 4, v0
	v_lshl_or_b32 v0, v0, 10, v3
	s_lshl_b64 s[6:7], s[6:7], 1
	v_lshlrev_b32_e32 v1, 5, v86
	v_and_b32_e32 v2, 16, v2
	v_and_b32_e32 v0, 0x1a00, v0
	s_waitcnt lgkmcnt(0)
	s_add_u32 s1, s4, s6
	v_or3_b32 v2, v0, v1, v2
	s_addc_u32 s4, s5, s7
	s_lshl_b32 s2, s26, 7
	s_lshl_b64 s[2:3], s[2:3], 1
	ds_read_b128 v[4:7], v2 offset:128
	ds_read_b128 v[8:11], v2
	s_add_u32 s2, s1, s2
	s_addc_u32 s3, s4, s3
	v_add_u32_e32 v14, s40, v86
	v_lshl_add_u64 v[0:1], v[74:75], 1, s[2:3]
	v_mad_u64_u32 v[12:13], s[2:3], v14, s0, 0
	v_lshl_add_u64 v[12:13], v[12:13], 1, v[0:1]
	s_waitcnt lgkmcnt(0)
	global_store_dwordx4 v[12:13], v[8:11], off
	v_or_b32_e32 v3, 8, v86
	v_cmp_gt_u32_e32 vcc, 10, v3
	v_add_u32_e32 v8, 4, v14
	v_mad_u64_u32 v[8:9], s[2:3], v8, s0, 0
	v_lshl_add_u64 v[8:9], v[8:9], 1, v[0:1]
	global_store_dwordx4 v[8:9], v[4:7], off
	s_and_b64 exec, exec, vcc
	s_cbranch_execz .LBB757_20
; %bb.19:
	ds_read_b128 v[4:7], v2 offset:256
	v_add_u32_e32 v2, s40, v3
	v_mad_u64_u32 v[2:3], s[0:1], v2, s0, 0
	v_lshl_add_u64 v[0:1], v[2:3], 1, v[0:1]
	s_waitcnt lgkmcnt(0)
	global_store_dwordx4 v[0:1], v[4:7], off
.LBB757_20:
	s_endpgm
	.section	.rodata,"a",@progbits
	.p2align	6, 0x0
	.amdhsa_kernel _Z39paged_attention_ll4mi_QKV_mfma16_kernelI14__hip_bfloat16S0_LN4vllm18Fp8KVCacheDataTypeE0ES0_Li32ELi128ELi256ELb0ELi10EEvPKT_PKT0_S8_ifPKiSA_SA_iPKfiiiPfSD_PS3_PT2_iSC_SC_
		.amdhsa_group_segment_fixed_size 8192
		.amdhsa_private_segment_fixed_size 0
		.amdhsa_kernarg_size 400
		.amdhsa_user_sgpr_count 2
		.amdhsa_user_sgpr_dispatch_ptr 0
		.amdhsa_user_sgpr_queue_ptr 0
		.amdhsa_user_sgpr_kernarg_segment_ptr 1
		.amdhsa_user_sgpr_dispatch_id 0
		.amdhsa_user_sgpr_kernarg_preload_length 0
		.amdhsa_user_sgpr_kernarg_preload_offset 0
		.amdhsa_user_sgpr_private_segment_size 0
		.amdhsa_uses_dynamic_stack 0
		.amdhsa_enable_private_segment 0
		.amdhsa_system_sgpr_workgroup_id_x 1
		.amdhsa_system_sgpr_workgroup_id_y 1
		.amdhsa_system_sgpr_workgroup_id_z 1
		.amdhsa_system_sgpr_workgroup_info 0
		.amdhsa_system_vgpr_workitem_id 0
		.amdhsa_next_free_vgpr 96
		.amdhsa_next_free_sgpr 42
		.amdhsa_accum_offset 96
		.amdhsa_reserve_vcc 1
		.amdhsa_float_round_mode_32 0
		.amdhsa_float_round_mode_16_64 0
		.amdhsa_float_denorm_mode_32 3
		.amdhsa_float_denorm_mode_16_64 3
		.amdhsa_dx10_clamp 1
		.amdhsa_ieee_mode 1
		.amdhsa_fp16_overflow 0
		.amdhsa_tg_split 0
		.amdhsa_exception_fp_ieee_invalid_op 0
		.amdhsa_exception_fp_denorm_src 0
		.amdhsa_exception_fp_ieee_div_zero 0
		.amdhsa_exception_fp_ieee_overflow 0
		.amdhsa_exception_fp_ieee_underflow 0
		.amdhsa_exception_fp_ieee_inexact 0
		.amdhsa_exception_int_div_zero 0
	.end_amdhsa_kernel
	.section	.text._Z39paged_attention_ll4mi_QKV_mfma16_kernelI14__hip_bfloat16S0_LN4vllm18Fp8KVCacheDataTypeE0ES0_Li32ELi128ELi256ELb0ELi10EEvPKT_PKT0_S8_ifPKiSA_SA_iPKfiiiPfSD_PS3_PT2_iSC_SC_,"axG",@progbits,_Z39paged_attention_ll4mi_QKV_mfma16_kernelI14__hip_bfloat16S0_LN4vllm18Fp8KVCacheDataTypeE0ES0_Li32ELi128ELi256ELb0ELi10EEvPKT_PKT0_S8_ifPKiSA_SA_iPKfiiiPfSD_PS3_PT2_iSC_SC_,comdat
.Lfunc_end757:
	.size	_Z39paged_attention_ll4mi_QKV_mfma16_kernelI14__hip_bfloat16S0_LN4vllm18Fp8KVCacheDataTypeE0ES0_Li32ELi128ELi256ELb0ELi10EEvPKT_PKT0_S8_ifPKiSA_SA_iPKfiiiPfSD_PS3_PT2_iSC_SC_, .Lfunc_end757-_Z39paged_attention_ll4mi_QKV_mfma16_kernelI14__hip_bfloat16S0_LN4vllm18Fp8KVCacheDataTypeE0ES0_Li32ELi128ELi256ELb0ELi10EEvPKT_PKT0_S8_ifPKiSA_SA_iPKfiiiPfSD_PS3_PT2_iSC_SC_
                                        ; -- End function
	.section	.AMDGPU.csdata,"",@progbits
; Kernel info:
; codeLenInByte = 4884
; NumSgprs: 48
; NumVgprs: 96
; NumAgprs: 0
; TotalNumVgprs: 96
; ScratchSize: 0
; MemoryBound: 0
; FloatMode: 240
; IeeeMode: 1
; LDSByteSize: 8192 bytes/workgroup (compile time only)
; SGPRBlocks: 5
; VGPRBlocks: 11
; NumSGPRsForWavesPerEU: 48
; NumVGPRsForWavesPerEU: 96
; AccumOffset: 96
; Occupancy: 5
; WaveLimiterHint : 1
; COMPUTE_PGM_RSRC2:SCRATCH_EN: 0
; COMPUTE_PGM_RSRC2:USER_SGPR: 2
; COMPUTE_PGM_RSRC2:TRAP_HANDLER: 0
; COMPUTE_PGM_RSRC2:TGID_X_EN: 1
; COMPUTE_PGM_RSRC2:TGID_Y_EN: 1
; COMPUTE_PGM_RSRC2:TGID_Z_EN: 1
; COMPUTE_PGM_RSRC2:TIDIG_COMP_CNT: 0
; COMPUTE_PGM_RSRC3_GFX90A:ACCUM_OFFSET: 23
; COMPUTE_PGM_RSRC3_GFX90A:TG_SPLIT: 0
	.section	.text._Z39paged_attention_ll4mi_QKV_mfma16_kernelI14__hip_bfloat16S0_LN4vllm18Fp8KVCacheDataTypeE0ES0_Li32ELi128ELi256ELb0ELi11EEvPKT_PKT0_S8_ifPKiSA_SA_iPKfiiiPfSD_PS3_PT2_iSC_SC_,"axG",@progbits,_Z39paged_attention_ll4mi_QKV_mfma16_kernelI14__hip_bfloat16S0_LN4vllm18Fp8KVCacheDataTypeE0ES0_Li32ELi128ELi256ELb0ELi11EEvPKT_PKT0_S8_ifPKiSA_SA_iPKfiiiPfSD_PS3_PT2_iSC_SC_,comdat
	.protected	_Z39paged_attention_ll4mi_QKV_mfma16_kernelI14__hip_bfloat16S0_LN4vllm18Fp8KVCacheDataTypeE0ES0_Li32ELi128ELi256ELb0ELi11EEvPKT_PKT0_S8_ifPKiSA_SA_iPKfiiiPfSD_PS3_PT2_iSC_SC_ ; -- Begin function _Z39paged_attention_ll4mi_QKV_mfma16_kernelI14__hip_bfloat16S0_LN4vllm18Fp8KVCacheDataTypeE0ES0_Li32ELi128ELi256ELb0ELi11EEvPKT_PKT0_S8_ifPKiSA_SA_iPKfiiiPfSD_PS3_PT2_iSC_SC_
	.globl	_Z39paged_attention_ll4mi_QKV_mfma16_kernelI14__hip_bfloat16S0_LN4vllm18Fp8KVCacheDataTypeE0ES0_Li32ELi128ELi256ELb0ELi11EEvPKT_PKT0_S8_ifPKiSA_SA_iPKfiiiPfSD_PS3_PT2_iSC_SC_
	.p2align	8
	.type	_Z39paged_attention_ll4mi_QKV_mfma16_kernelI14__hip_bfloat16S0_LN4vllm18Fp8KVCacheDataTypeE0ES0_Li32ELi128ELi256ELb0ELi11EEvPKT_PKT0_S8_ifPKiSA_SA_iPKfiiiPfSD_PS3_PT2_iSC_SC_,@function
_Z39paged_attention_ll4mi_QKV_mfma16_kernelI14__hip_bfloat16S0_LN4vllm18Fp8KVCacheDataTypeE0ES0_Li32ELi128ELi256ELb0ELi11EEvPKT_PKT0_S8_ifPKiSA_SA_iPKfiiiPfSD_PS3_PT2_iSC_SC_: ; @_Z39paged_attention_ll4mi_QKV_mfma16_kernelI14__hip_bfloat16S0_LN4vllm18Fp8KVCacheDataTypeE0ES0_Li32ELi128ELi256ELb0ELi11EEvPKT_PKT0_S8_ifPKiSA_SA_iPKfiiiPfSD_PS3_PT2_iSC_SC_
; %bb.0:
	s_load_dwordx2 s[8:9], s[0:1], 0x30
	s_mov_b32 s26, s3
	s_mov_b64 s[6:7], 0
	s_waitcnt lgkmcnt(0)
	s_cmp_lg_u64 s[8:9], 0
	s_cselect_b64 s[10:11], -1, 0
	s_and_b64 vcc, exec, s[10:11]
	s_cbranch_vccz .LBB758_7
; %bb.1:
	s_add_i32 s12, s2, 1
	s_mov_b32 s13, 0
	s_lshl_b64 s[14:15], s[12:13], 2
	s_add_u32 s14, s8, s14
	s_mov_b32 s3, s13
	s_addc_u32 s15, s9, s15
	s_lshl_b64 s[12:13], s[2:3], 2
	s_add_u32 s12, s8, s12
	s_addc_u32 s13, s9, s13
	s_load_dword s5, s[14:15], 0x0
	s_load_dword s16, s[12:13], 0x0
	s_waitcnt lgkmcnt(0)
	s_sub_i32 s5, s5, s16
	s_cmp_eq_u32 s5, 1
	s_cselect_b64 s[12:13], -1, 0
	s_andn2_b64 vcc, exec, s[6:7]
	s_cbranch_vccnz .LBB758_3
.LBB758_2:
	s_mov_b32 s3, 0
	s_mov_b64 s[12:13], -1
.LBB758_3:
	s_andn2_b64 vcc, exec, s[12:13]
	s_cbranch_vccnz .LBB758_20
; %bb.4:
	s_load_dwordx2 s[6:7], s[0:1], 0x28
	s_lshl_b64 s[12:13], s[2:3], 2
	s_waitcnt lgkmcnt(0)
	s_add_u32 s6, s6, s12
	s_addc_u32 s7, s7, s13
	s_load_dword s33, s[6:7], 0x0
	s_lshl_b32 s18, s26, 8
	s_waitcnt lgkmcnt(0)
	s_cmp_ge_i32 s18, s33
	s_cbranch_scc1 .LBB758_20
; %bb.5:
	s_load_dwordx2 s[6:7], s[0:1], 0x20
	s_load_dword s5, s[0:1], 0x38
	s_add_i32 s14, s33, 31
	s_ashr_i32 s15, s14, 31
	v_and_b32_e32 v1, 0xcf, v0
	s_lshr_b32 s15, s15, 27
	v_add_u32_e32 v1, s18, v1
	s_add_i32 s14, s14, s15
	v_ashrrev_i32_e32 v2, 31, v1
	s_ashr_i32 s19, s14, 5
	v_lshrrev_b32_e32 v4, 27, v2
	s_add_i32 s19, s19, -1
	s_waitcnt lgkmcnt(0)
	s_mul_i32 s14, s2, s5
	s_mov_b32 s15, 0
	v_add_u32_e32 v2, v1, v4
	s_lshl_b64 s[14:15], s[14:15], 2
	v_ashrrev_i32_e32 v2, 5, v2
	v_mov_b32_e32 v5, s19
	v_cmp_gt_i32_e32 vcc, s33, v1
	s_add_u32 s6, s6, s14
	s_addc_u32 s7, s7, s15
	v_cndmask_b32_e32 v2, v5, v2, vcc
	v_ashrrev_i32_e32 v3, 31, v2
	v_lshl_add_u64 v[6:7], v[2:3], 2, s[6:7]
	v_or_b32_e32 v2, 16, v1
	v_add_u32_e32 v3, v2, v4
	v_ashrrev_i32_e32 v3, 5, v3
	v_cmp_gt_i32_e32 vcc, s33, v2
	s_nop 1
	v_cndmask_b32_e32 v2, v5, v3, vcc
	v_ashrrev_i32_e32 v3, 31, v2
	v_lshl_add_u64 v[8:9], v[2:3], 2, s[6:7]
	v_or_b32_e32 v2, 32, v1
	v_add_u32_e32 v3, v2, v4
	v_ashrrev_i32_e32 v3, 5, v3
	v_cmp_gt_i32_e32 vcc, s33, v2
	v_or_b32_e32 v1, 48, v1
	s_nop 0
	v_cndmask_b32_e32 v2, v5, v3, vcc
	v_ashrrev_i32_e32 v3, 31, v2
	v_lshl_add_u64 v[10:11], v[2:3], 2, s[6:7]
	v_add_u32_e32 v2, v1, v4
	v_ashrrev_i32_e32 v2, 5, v2
	v_cmp_gt_i32_e32 vcc, s33, v1
	s_nop 1
	v_cndmask_b32_e32 v2, v5, v2, vcc
	v_ashrrev_i32_e32 v3, 31, v2
	v_lshl_add_u64 v[12:13], v[2:3], 2, s[6:7]
	global_load_dword v2, v[6:7], off
	global_load_dword v5, v[8:9], off
	;; [unrolled: 1-line block ×4, first 2 shown]
	s_andn2_b64 vcc, exec, s[10:11]
	s_cbranch_vccnz .LBB758_8
; %bb.6:
	s_add_u32 s8, s8, s12
	s_addc_u32 s9, s9, s13
	s_load_dword s5, s[8:9], 0x0
	s_branch .LBB758_9
.LBB758_7:
	s_mov_b64 s[12:13], 0
	s_branch .LBB758_2
.LBB758_8:
	s_mov_b32 s5, s2
.LBB758_9:
	s_load_dwordx4 s[12:15], s[0:1], 0x8
	s_load_dwordx4 s[8:11], s[0:1], 0x48
	v_lshrrev_b32_e32 v86, 6, v0
	v_bfe_u32 v1, v0, 4, 2
	v_lshl_or_b32 v3, v86, 2, v1
	v_and_b32_e32 v76, 15, v0
	v_lshlrev_b32_e32 v74, 3, v76
	v_cmp_lt_u32_e32 vcc, 10, v3
	s_and_saveexec_b64 s[16:17], vcc
	s_xor_b64 s[16:17], exec, s[16:17]
; %bb.10:
	v_mov_b32_e32 v75, 0
                                        ; implicit-def: $vgpr3
; %bb.11:
	s_or_saveexec_b64 s[16:17], s[16:17]
	v_and_b32_e32 v77, 63, v0
	s_mul_i32 s40, s4, 11
	s_xor_b64 exec, exec, s[16:17]
	s_cbranch_execz .LBB758_13
; %bb.12:
	s_load_dwordx2 s[20:21], s[0:1], 0x0
	s_waitcnt lgkmcnt(0)
	s_ashr_i32 s11, s8, 31
	s_mul_hi_u32 s22, s5, s8
	s_mul_i32 s11, s5, s11
	s_add_i32 s23, s22, s11
	s_mul_i32 s22, s5, s8
	s_lshl_b64 s[22:23], s[22:23], 1
	s_add_u32 s20, s20, s22
	v_add_lshl_u32 v6, v3, s40, 7
	s_addc_u32 s21, s21, s23
	v_ashrrev_i32_e32 v7, 31, v6
	v_mov_b32_e32 v75, 0
	v_lshl_add_u64 v[6:7], v[6:7], 1, s[20:21]
	v_lshlrev_b32_e32 v8, 1, v74
	v_mov_b32_e32 v9, v75
	v_lshl_add_u64 v[6:7], v[6:7], 0, v[8:9]
	global_load_dwordx4 v[6:9], v[6:7], off
	v_and_b32_e32 v10, 3, v0
	v_lshlrev_b32_e32 v11, 9, v76
	v_lshlrev_b32_e32 v3, 5, v3
	;; [unrolled: 1-line block ×3, first 2 shown]
	v_and_b32_e32 v11, 0x1800, v11
	v_or3_b32 v3, v11, v10, v3
	s_waitcnt vmcnt(0)
	ds_write_b128 v3, v[6:9]
.LBB758_13:
	s_or_b64 exec, exec, s[16:17]
	s_waitcnt lgkmcnt(0)
	s_mul_i32 s4, s4, s10
	s_mov_b32 s5, 0
	s_lshl_b64 s[4:5], s[4:5], 1
	s_add_u32 s10, s12, s4
	s_addc_u32 s11, s13, s5
	s_waitcnt vmcnt(3)
	v_mad_i64_i32 v[2:3], s[12:13], v2, s9, 0
	v_lshl_add_u64 v[6:7], v[2:3], 1, s[10:11]
	v_lshlrev_b64 v[2:3], 1, v[74:75]
	v_lshlrev_b32_e32 v50, 9, v1
	v_lshl_add_u64 v[6:7], v[6:7], 0, v[2:3]
	v_mov_b32_e32 v51, 0
	v_lshl_add_u64 v[8:9], v[6:7], 0, v[50:51]
	s_load_dword s27, s[0:1], 0x98
	s_load_dword s8, s[0:1], 0x1c
	s_waitcnt lgkmcnt(0)
	s_barrier
	global_load_dwordx4 v[38:41], v[8:9], off
	s_waitcnt vmcnt(3)
	v_mad_i64_i32 v[10:11], s[12:13], v5, s9, 0
	v_mov_b32_e32 v5, 0x100
	v_lshl_add_u64 v[10:11], v[10:11], 1, s[10:11]
	v_lshl_or_b32 v54, v76, 4, v5
	v_mov_b32_e32 v55, v51
	v_lshl_add_u64 v[22:23], v[10:11], 0, v[54:55]
	v_lshl_add_u64 v[10:11], v[22:23], 0, v[50:51]
	global_load_dwordx4 v[42:45], v[10:11], off
	global_load_dwordx4 v[18:21], v[8:9], off offset:2048
	global_load_dwordx4 v[26:29], v[10:11], off offset:2048
	v_or_b32_e32 v56, 0x1000, v50
	v_mov_b32_e32 v57, v51
	v_or_b32_e32 v52, 0x1800, v50
	v_mov_b32_e32 v53, v51
	v_lshl_add_u64 v[8:9], v[6:7], 0, v[56:57]
	v_lshl_add_u64 v[6:7], v[6:7], 0, v[52:53]
	global_load_dwordx4 v[14:17], v[8:9], off
	global_load_dwordx4 v[10:13], v[6:7], off
	v_lshl_add_u64 v[8:9], v[22:23], 0, v[56:57]
	global_load_dwordx4 v[30:33], v[8:9], off
	s_waitcnt vmcnt(8)
	v_mad_i64_i32 v[4:5], s[12:13], v4, s9, 0
	v_lshl_add_u64 v[4:5], v[4:5], 1, s[10:11]
	v_lshl_add_u64 v[60:61], v[4:5], 0, v[2:3]
	v_add_u32_e32 v2, -11, v76
	v_cmp_gt_u32_e32 vcc, 11, v76
	v_lshl_add_u64 v[6:7], v[22:23], 0, v[52:53]
	global_load_dwordx4 v[22:25], v[6:7], off
	v_cndmask_b32_e32 v2, v2, v76, vcc
	v_lshl_add_u64 v[58:59], v[60:61], 0, v[50:51]
	v_lshl_add_u32 v62, v2, 5, v50
	global_load_dwordx4 v[34:37], v[58:59], off
	ds_read_b128 v[6:9], v62
	ds_read_b128 v[2:5], v62 offset:2048
	s_waitcnt vmcnt(9)
	v_mad_i64_i32 v[72:73], s[12:13], v46, s9, 0
	s_ashr_i32 s12, s18, 31
	v_and_or_b32 v80, v0, 48, s18
	v_or_b32_e32 v84, 64, v80
	v_mov_b32_e32 v81, s19
	v_cmp_gt_i32_e32 vcc, s33, v80
	v_or_b32_e32 v85, 0x80, v80
	v_or_b32_e32 v87, 0xc0, v80
	s_mov_b32 s41, 0xff7fffff
	s_waitcnt vmcnt(7) lgkmcnt(1)
	v_mfma_f32_16x16x16_bf16 v[68:71], v[42:43], v[6:7], 0
	v_mfma_f32_16x16x16_bf16 v[64:67], v[38:39], v[6:7], 0
	;; [unrolled: 1-line block ×3, first 2 shown]
	ds_read_b128 v[46:49], v62 offset:4096
	ds_read_b128 v[38:41], v62 offset:6144
	v_lshl_add_u64 v[62:63], v[72:73], 1, s[10:11]
	v_lshl_add_u64 v[82:83], v[62:63], 0, v[54:55]
	v_mfma_f32_16x16x16_bf16 v[42:45], v[44:45], v[8:9], v[68:71]
	v_lshl_add_u64 v[54:55], v[60:61], 0, v[56:57]
	s_lshr_b32 s10, s12, 27
	v_lshl_add_u64 v[78:79], v[82:83], 0, v[56:57]
	s_waitcnt vmcnt(6) lgkmcnt(2)
	v_mfma_f32_16x16x16_bf16 v[62:65], v[18:19], v[2:3], v[64:67]
	v_add_u32_e32 v68, s10, v80
	v_add_u32_e32 v69, s10, v84
	v_lshl_add_u64 v[70:71], v[82:83], 0, v[50:51]
	v_lshl_add_u64 v[66:67], v[60:61], 0, v[52:53]
	global_load_dwordx4 v[58:61], v[58:59], off offset:2048
	s_waitcnt vmcnt(6)
	v_mfma_f32_16x16x16_bf16 v[42:45], v[26:27], v[2:3], v[42:45]
	v_ashrrev_i32_e32 v50, 5, v68
	v_ashrrev_i32_e32 v56, 5, v69
	v_add_u32_e32 v72, s10, v85
	v_mfma_f32_16x16x16_bf16 v[18:21], v[20:21], v[4:5], v[62:65]
	v_add_u32_e32 v73, s10, v87
	s_add_u32 s4, s14, s4
	s_addc_u32 s5, s15, s5
	v_mfma_f32_16x16x16_bf16 v[26:29], v[28:29], v[4:5], v[42:45]
	v_ashrrev_i32_e32 v62, 5, v72
	v_ashrrev_i32_e32 v72, 5, v73
	s_waitcnt vmcnt(5) lgkmcnt(1)
	v_mfma_f32_16x16x16_bf16 v[18:21], v[14:15], v[46:47], v[18:21]
	global_load_dwordx4 v[42:45], v[54:55], off
	v_cndmask_b32_e32 v14, v81, v50, vcc
	v_cmp_gt_i32_e32 vcc, s33, v84
	s_waitcnt vmcnt(4)
	v_mfma_f32_16x16x16_bf16 v[26:29], v[30:31], v[46:47], v[26:29]
	v_ashrrev_i32_e32 v15, 31, v14
	v_cndmask_b32_e32 v30, v81, v56, vcc
	v_ashrrev_i32_e32 v31, 31, v30
	v_lshl_add_u64 v[14:15], v[14:15], 2, s[6:7]
	v_lshl_add_u64 v[30:31], v[30:31], 2, s[6:7]
	global_load_dword v92, v[14:15], off
	global_load_dword v84, v[30:31], off
	v_mfma_f32_16x16x16_bf16 v[14:17], v[16:17], v[48:49], v[18:21]
	v_cmp_gt_i32_e32 vcc, s33, v85
	s_nop 1
	global_load_dwordx4 v[18:21], v[66:67], off
	s_waitcnt lgkmcnt(0)
	v_mfma_f32_16x16x16_bf16 v[14:17], v[10:11], v[38:39], v[14:17]
	v_cndmask_b32_e32 v10, v81, v62, vcc
	v_ashrrev_i32_e32 v11, 31, v10
	v_lshl_add_u64 v[10:11], v[10:11], 2, s[6:7]
	v_mfma_f32_16x16x16_bf16 v[66:69], v[12:13], v[40:41], v[14:17]
	global_load_dword v85, v[10:11], off
	global_load_dwordx4 v[62:65], v[70:71], off offset:2048
	v_cmp_gt_i32_e32 vcc, s33, v87
	v_lshl_add_u64 v[14:15], v[82:83], 0, v[52:53]
	global_load_dwordx4 v[88:91], v[14:15], off
	global_load_dwordx4 v[54:57], v[70:71], off
	v_cndmask_b32_e32 v10, v81, v72, vcc
	global_load_dwordx4 v[78:81], v[78:79], off
	v_ashrrev_i32_e32 v11, 31, v10
	v_lshl_add_u64 v[10:11], v[10:11], 2, s[6:7]
	global_load_dword v93, v[10:11], off
	s_waitcnt vmcnt(11)
	v_mfma_f32_16x16x16_bf16 v[10:13], v[34:35], v[6:7], 0
	v_and_b32_e32 v14, 16, v0
	v_lshlrev_b32_e32 v50, 1, v14
	v_lshl_or_b32 v87, v86, 4, v76
	v_mfma_f32_16x16x16_bf16 v[10:13], v[36:37], v[8:9], v[10:13]
	v_lshl_add_u64 v[36:37], s[4:5], 0, v[50:51]
	v_lshlrev_b32_e32 v50, 6, v87
	v_pk_mul_f32 v[82:83], s[8:9], v[68:69] op_sel_hi:[0,1]
	v_mfma_f32_16x16x16_bf16 v[26:29], v[32:33], v[48:49], v[26:29]
	s_waitcnt vmcnt(8)
	v_mad_i64_i32 v[14:15], s[4:5], v92, s9, 0
	v_mfma_f32_16x16x16_bf16 v[10:13], v[58:59], v[2:3], v[10:13]
	v_lshl_add_u64 v[58:59], v[36:37], 0, v[50:51]
	v_or_b32_e32 v50, 0x1000, v50
	v_mfma_f32_16x16x16_bf16 v[10:13], v[60:61], v[4:5], v[10:13]
	v_lshlrev_b64 v[60:61], 1, v[14:15]
	v_lshl_add_u64 v[14:15], v[58:59], 0, v[60:61]
	v_mfma_f32_16x16x16_bf16 v[10:13], v[42:43], v[46:47], v[10:13]
	v_mfma_f32_16x16x16_bf16 v[10:13], v[44:45], v[48:49], v[10:13]
	;; [unrolled: 1-line block ×3, first 2 shown]
	s_waitcnt vmcnt(6)
	v_mfma_f32_16x16x16_bf16 v[10:13], v[18:19], v[38:39], v[10:13]
	v_mfma_f32_16x16x16_bf16 v[70:73], v[24:25], v[40:41], v[26:29]
	global_load_dwordx4 v[30:33], v[14:15], off
	s_nop 2
	global_load_dwordx4 v[26:29], v[14:15], off offset:16
	v_mad_i64_i32 v[14:15], s[4:5], v84, s9, 0
	v_lshlrev_b64 v[34:35], 1, v[14:15]
	v_mfma_f32_16x16x16_bf16 v[42:45], v[20:21], v[40:41], v[10:13]
	v_pk_mul_f32 v[70:71], s[8:9], v[70:71] op_sel_hi:[0,1]
	s_nop 1
	v_lshl_add_u64 v[10:11], v[58:59], 0, v[34:35]
	global_load_dwordx4 v[22:25], v[10:11], off
	global_load_dwordx4 v[18:21], v[10:11], off offset:16
	s_waitcnt vmcnt(6)
	v_mfma_f32_16x16x16_bf16 v[10:13], v[54:55], v[6:7], 0
	v_mad_i64_i32 v[6:7], s[4:5], v85, s9, 0
	v_lshlrev_b64 v[52:53], 1, v[6:7]
	v_mfma_f32_16x16x16_bf16 v[6:9], v[56:57], v[8:9], v[10:13]
	v_pk_mul_f32 v[84:85], s[8:9], v[72:73] op_sel_hi:[0,1]
	v_mfma_f32_16x16x16_bf16 v[6:9], v[62:63], v[2:3], v[6:9]
	s_waitcnt vmcnt(4)
	v_mad_i64_i32 v[2:3], s[4:5], v93, s9, 0
	v_lshlrev_b64 v[62:63], 1, v[2:3]
	v_mfma_f32_16x16x16_bf16 v[54:57], v[64:65], v[4:5], v[6:9]
	v_lshl_add_u64 v[64:65], v[36:37], 0, v[50:51]
	v_pk_mul_f32 v[50:51], s[8:9], v[66:67] op_sel_hi:[0,1]
	v_lshl_add_u64 v[10:11], v[58:59], 0, v[52:53]
	v_mfma_f32_16x16x16_bf16 v[54:57], v[78:79], v[46:47], v[54:57]
	v_pk_mul_f32 v[78:79], s[8:9], v[42:43] op_sel_hi:[0,1]
	v_lshl_add_u64 v[2:3], v[58:59], 0, v[62:63]
	v_lshl_add_u64 v[58:59], v[64:65], 0, v[60:61]
	v_mfma_f32_16x16x16_bf16 v[46:49], v[80:81], v[48:49], v[54:57]
	v_pk_mul_f32 v[80:81], s[8:9], v[44:45] op_sel_hi:[0,1]
	v_lshl_add_u64 v[34:35], v[64:65], 0, v[34:35]
	v_lshl_add_u64 v[52:53], v[64:65], 0, v[52:53]
	v_mfma_f32_16x16x16_bf16 v[36:39], v[88:89], v[38:39], v[46:49]
	global_load_dwordx4 v[14:17], v[10:11], off
	s_nop 0
	global_load_dwordx4 v[10:13], v[10:11], off offset:16
	s_nop 0
	global_load_dwordx4 v[6:9], v[2:3], off
	s_nop 0
	global_load_dwordx4 v[2:5], v[2:3], off offset:16
	v_mfma_f32_16x16x16_bf16 v[36:39], v[90:91], v[40:41], v[36:39]
	s_nop 6
	v_pk_mul_f32 v[72:73], s[8:9], v[36:37] op_sel_hi:[0,1]
	v_and_b32_e32 v36, 0xc0, v0
	v_add_u32_e32 v36, s18, v36
	v_lshl_or_b32 v36, v1, 2, v36
	v_pk_mul_f32 v[66:67], s[8:9], v[38:39] op_sel_hi:[0,1]
	v_or_b32_e32 v39, 1, v36
	v_mov_b32_e32 v37, 0xff7fffff
	v_cmp_gt_i32_e64 s[28:29], s33, v36
	v_cmp_gt_i32_e64 s[30:31], s33, v39
	v_or_b32_e32 v40, 3, v36
	v_cndmask_b32_e64 v38, v37, v50, s[28:29]
	v_cndmask_b32_e64 v39, v37, v51, s[30:31]
	v_max3_f32 v38, v38, s41, v39
	v_or_b32_e32 v39, 2, v36
	v_cmp_gt_i32_e64 s[34:35], s33, v39
	v_cmp_gt_i32_e64 s[36:37], s33, v40
	s_nop 0
	v_cndmask_b32_e64 v39, v37, v82, s[34:35]
	v_cndmask_b32_e64 v40, v37, v83, s[36:37]
	v_max3_f32 v38, v38, v39, v40
	v_or_b32_e32 v39, 16, v36
	v_or_b32_e32 v40, 17, v36
	v_cmp_gt_i32_e64 s[22:23], s33, v39
	v_cmp_gt_i32_e64 s[24:25], s33, v40
	s_nop 0
	v_cndmask_b32_e64 v39, v37, v70, s[22:23]
	v_cndmask_b32_e64 v40, v37, v71, s[24:25]
	v_max3_f32 v38, v38, v39, v40
	v_or_b32_e32 v39, 18, v36
	;; [unrolled: 8-line block ×6, first 2 shown]
	v_or_b32_e32 v36, 51, v36
	v_cmp_gt_i32_e32 vcc, s33, v39
	v_cmp_gt_i32_e64 s[4:5], s33, v36
	s_nop 0
	v_cndmask_b32_e32 v39, v37, v66, vcc
	v_cndmask_b32_e64 v36, v37, v67, s[4:5]
	v_max3_f32 v54, v38, v39, v36
	v_mbcnt_lo_u32_b32 v36, -1, 0
	v_mbcnt_hi_u32_b32 v55, -1, v36
	v_and_b32_e32 v36, 64, v55
	v_add_u32_e32 v56, 64, v36
	v_xor_b32_e32 v36, 32, v55
	v_cmp_lt_i32_e64 s[38:39], v36, v56
	global_load_dwordx4 v[46:49], v[58:59], off
	global_load_dwordx4 v[38:41], v[58:59], off offset:16
	v_cndmask_b32_e64 v36, v55, v36, s[38:39]
	v_lshlrev_b32_e32 v89, 2, v36
	ds_bpermute_b32 v57, v89, v54
	global_load_dwordx4 v[42:45], v[34:35], off
	s_nop 0
	global_load_dwordx4 v[34:37], v[34:35], off offset:16
	s_waitcnt lgkmcnt(0)
	v_max_f32_e32 v57, v57, v57
	v_max_f32_e32 v68, v54, v57
	v_xor_b32_e32 v54, 16, v55
	v_cmp_lt_i32_e64 s[38:39], v54, v56
	s_nop 1
	v_cndmask_b32_e64 v54, v55, v54, s[38:39]
	v_lshlrev_b32_e32 v90, 2, v54
	ds_bpermute_b32 v69, v90, v68
	global_load_dwordx4 v[58:61], v[52:53], off
	global_load_dwordx4 v[54:57], v[52:53], off offset:16
	v_lshl_add_u64 v[52:53], v[64:65], 0, v[62:63]
	s_waitcnt lgkmcnt(0)
	v_max_f32_e32 v62, v69, v69
	v_max_f32_e32 v88, v68, v62
	v_sub_f32_e32 v50, v50, v88
	v_mul_f32_e32 v50, 0x3fb8aa3b, v50
	v_exp_f32_e32 v68, v50
	v_sub_f32_e32 v50, v51, v88
	v_mul_f32_e32 v50, 0x3fb8aa3b, v50
	v_exp_f32_e32 v69, v50
	global_load_dwordx4 v[62:65], v[52:53], off
	s_nop 0
	global_load_dwordx4 v[50:53], v[52:53], off offset:16
	v_sub_f32_e32 v82, v82, v88
	v_mul_f32_e32 v82, 0x3fb8aa3b, v82
	v_sub_f32_e32 v83, v83, v88
	v_exp_f32_e32 v82, v82
	v_mul_f32_e32 v83, 0x3fb8aa3b, v83
	v_sub_f32_e32 v70, v70, v88
	v_exp_f32_e32 v83, v83
	v_mul_f32_e32 v70, 0x3fb8aa3b, v70
	v_sub_f32_e32 v71, v71, v88
	v_cndmask_b32_e64 v68, 0, v68, s[28:29]
	v_exp_f32_e32 v70, v70
	v_mul_f32_e32 v71, 0x3fb8aa3b, v71
	v_sub_f32_e32 v84, v84, v88
	v_add_f32_e32 v91, 0, v68
	v_cndmask_b32_e64 v69, 0, v69, s[30:31]
	v_exp_f32_e32 v71, v71
	v_mul_f32_e32 v84, 0x3fb8aa3b, v84
	v_sub_f32_e32 v85, v85, v88
	v_add_f32_e32 v91, v91, v69
	;; [unrolled: 5-line block ×10, first 2 shown]
	v_cndmask_b32_e64 v80, 0, v80, s[10:11]
	v_exp_f32_e32 v66, v66
	v_mul_f32_e32 v67, 0x3fb8aa3b, v67
	v_add_f32_e32 v91, v91, v80
	v_cndmask_b32_e64 v81, 0, v81, s[12:13]
	v_exp_f32_e32 v67, v67
	v_add_f32_e32 v91, v91, v81
	v_cndmask_b32_e64 v72, 0, v72, s[6:7]
	v_add_f32_e32 v91, v91, v72
	v_cndmask_b32_e64 v73, 0, v73, s[8:9]
	v_add_f32_e32 v91, v91, v73
	v_cndmask_b32_e32 v66, 0, v66, vcc
	v_add_f32_e32 v91, v91, v66
	v_cndmask_b32_e64 v67, 0, v67, s[4:5]
	v_add_f32_e32 v91, v91, v67
	ds_bpermute_b32 v89, v89, v91
	v_cmp_gt_u32_e32 vcc, 16, v77
	s_waitcnt lgkmcnt(0)
	s_barrier
	v_add_f32_e32 v89, v91, v89
	ds_bpermute_b32 v90, v90, v89
	s_and_saveexec_b64 s[4:5], vcc
	s_cbranch_execz .LBB758_15
; %bb.14:
	s_waitcnt lgkmcnt(0)
	v_add_f32_e32 v77, v89, v90
	v_lshlrev_b32_e32 v87, 2, v87
	ds_write2st64_b32 v87, v88, v77 offset1:1
.LBB758_15:
	s_or_b64 exec, exec, s[4:5]
	v_lshlrev_b32_e32 v77, 2, v76
	s_load_dword s6, s[0:1], 0x94
	s_waitcnt lgkmcnt(0)
	s_barrier
	ds_read2_b32 v[88:89], v77 offset1:16
	ds_read2_b32 v[90:91], v77 offset0:32 offset1:48
	ds_read2_b32 v[92:93], v77 offset0:64 offset1:80
	;; [unrolled: 1-line block ×3, first 2 shown]
	s_movk_i32 s8, 0x7fff
	s_waitcnt lgkmcnt(3)
	v_max3_f32 v87, v88, s41, v89
	s_waitcnt lgkmcnt(2)
	v_max3_f32 v87, v87, v90, v91
	v_sub_f32_e32 v88, v88, v87
	v_mul_f32_e32 v88, 0x3fb8aa3b, v88
	v_exp_f32_e32 v86, v88
	v_sub_f32_e32 v88, v89, v87
	v_mul_f32_e32 v88, 0x3fb8aa3b, v88
	v_exp_f32_e32 v89, v88
	v_sub_f32_e32 v88, v90, v87
	v_mul_f32_e32 v88, 0x3fb8aa3b, v88
	v_sub_f32_e32 v77, v91, v87
	v_exp_f32_e32 v90, v88
	v_mul_f32_e32 v77, 0x3fb8aa3b, v77
	v_exp_f32_e32 v77, v77
	s_waitcnt lgkmcnt(1)
	v_fma_f32 v88, v86, v92, 0
	v_fmac_f32_e32 v88, v89, v93
	s_waitcnt lgkmcnt(0)
	v_fmac_f32_e32 v88, v90, v94
	v_fmac_f32_e32 v88, v77, v95
	v_add_f32_e32 v91, 0x358637bd, v88
	v_div_scale_f32 v92, s[4:5], v91, v91, 1.0
	v_rcp_f32_e32 v93, v92
	s_mov_b32 s9, 0x7060302
	s_barrier
	v_fma_f32 v94, -v92, v93, 1.0
	v_fmac_f32_e32 v93, v94, v93
	v_div_scale_f32 v94, vcc, 1.0, v91, 1.0
	v_mul_f32_e32 v95, v94, v93
	v_fma_f32 v1, -v92, v95, v94
	v_fmac_f32_e32 v95, v1, v93
	v_fma_f32 v1, -v92, v95, v94
	v_div_fmas_f32 v1, v1, v93, v95
	v_div_fixup_f32 v1, v1, v91, 1.0
	v_lshrrev_b32_e32 v91, 6, v0
	v_cmp_eq_u32_e32 vcc, 1, v91
	s_mul_i32 s7, s27, 11
	s_nop 0
	v_cndmask_b32_e32 v86, v86, v89, vcc
	v_cmp_eq_u32_e32 vcc, 2, v91
	s_nop 1
	v_cndmask_b32_e32 v86, v86, v90, vcc
	v_cmp_eq_u32_e32 vcc, 3, v91
	s_nop 1
	v_cndmask_b32_e32 v77, v86, v77, vcc
	v_mul_f32_e32 v90, v77, v1
	v_pk_mul_f32 v[68:69], v[90:91], v[68:69] op_sel_hi:[0,1]
	v_bfe_u32 v1, v69, 16, 1
	v_bfe_u32 v77, v68, 16, 1
	v_pk_mul_f32 v[82:83], v[90:91], v[82:83] op_sel_hi:[0,1]
	v_add3_u32 v68, v68, v77, s8
	v_add3_u32 v1, v69, v1, s8
	v_perm_b32 v92, v1, v68, s9
	v_bfe_u32 v1, v83, 16, 1
	v_bfe_u32 v68, v82, 16, 1
	v_add3_u32 v68, v82, v68, s8
	v_add3_u32 v1, v83, v1, s8
	v_bfe_u32 v86, v0, 4, 2
	v_perm_b32 v93, v1, v68, s9
	v_lshlrev_b32_e32 v1, 3, v86
	v_lshlrev_b32_e32 v68, 5, v76
	;; [unrolled: 1-line block ×3, first 2 shown]
	v_pk_mul_f32 v[70:71], v[90:91], v[70:71] op_sel_hi:[0,1]
	v_or3_b32 v1, v69, v68, v1
	v_bfe_u32 v69, v71, 16, 1
	v_bfe_u32 v77, v70, 16, 1
	v_pk_mul_f32 v[82:83], v[90:91], v[84:85] op_sel_hi:[0,1]
	v_add3_u32 v70, v70, v77, s8
	v_add3_u32 v69, v71, v69, s8
	v_perm_b32 v70, v69, v70, s9
	v_bfe_u32 v69, v83, 16, 1
	v_bfe_u32 v71, v82, 16, 1
	v_add3_u32 v71, v82, v71, s8
	v_add3_u32 v69, v83, v69, s8
	v_pk_mul_f32 v[78:79], v[90:91], v[78:79] op_sel_hi:[0,1]
	v_perm_b32 v71, v69, v71, s9
	v_bfe_u32 v69, v79, 16, 1
	v_bfe_u32 v77, v78, 16, 1
	ds_write2st64_b64 v1, v[92:93], v[70:71] offset1:1
	v_pk_mul_f32 v[70:71], v[90:91], v[80:81] op_sel_hi:[0,1]
	v_add3_u32 v77, v78, v77, s8
	v_add3_u32 v69, v79, v69, s8
	v_perm_b32 v78, v69, v77, s9
	v_bfe_u32 v69, v71, 16, 1
	v_bfe_u32 v77, v70, 16, 1
	v_add3_u32 v70, v70, v77, s8
	v_add3_u32 v69, v71, v69, s8
	v_perm_b32 v79, v69, v70, s9
	v_pk_mul_f32 v[70:71], v[90:91], v[72:73] op_sel_hi:[0,1]
	v_bfe_u32 v69, v71, 16, 1
	v_bfe_u32 v72, v70, 16, 1
	v_pk_mul_f32 v[66:67], v[90:91], v[66:67] op_sel_hi:[0,1]
	v_add3_u32 v70, v70, v72, s8
	v_add3_u32 v69, v71, v69, s8
	v_perm_b32 v70, v69, v70, s9
	v_bfe_u32 v69, v67, 16, 1
	v_bfe_u32 v71, v66, 16, 1
	v_add3_u32 v66, v66, v71, s8
	v_add3_u32 v67, v67, v69, s8
	v_perm_b32 v71, v67, v66, s9
	v_cmp_gt_u32_e32 vcc, 11, v0
	ds_write2st64_b64 v1, v[78:79], v[70:71] offset0:2 offset1:3
	s_and_saveexec_b64 s[4:5], vcc
	s_cbranch_execz .LBB758_17
; %bb.16:
	s_mov_b32 s41, 0
	v_mov_b32_e32 v77, 0
	v_lshl_add_u64 v[66:67], s[40:41], 0, v[76:77]
	v_mov_b32_e32 v69, s7
	v_mad_u64_u32 v[66:67], s[10:11], s2, v69, v[66:67]
	s_mul_i32 s3, s3, s7
	v_mov_b32_e32 v70, s26
	v_mov_b32_e32 v71, v77
	s_load_dwordx4 s[12:15], s[0:1], 0x58
	v_add_u32_e32 v69, s3, v67
	v_mad_u64_u32 v[66:67], s[10:11], v66, s6, v[70:71]
	v_mov_b32_e32 v70, v67
	v_mad_u64_u32 v[70:71], s[10:11], v69, s6, v[70:71]
	v_mov_b32_e32 v67, v70
	v_lshlrev_b64 v[66:67], 2, v[66:67]
	s_waitcnt lgkmcnt(0)
	v_lshl_add_u64 v[70:71], s[14:15], 0, v[66:67]
	v_lshl_add_u64 v[66:67], s[12:13], 0, v[66:67]
	global_store_dword v[70:71], v87, off
	global_store_dword v[66:67], v88, off
.LBB758_17:
	s_or_b64 exec, exec, s[4:5]
	v_lshl_or_b32 v77, v86, 9, v68
	s_waitcnt lgkmcnt(0)
	s_barrier
	ds_read_b128 v[70:73], v77
	ds_read_b128 v[66:69], v77 offset:16
	s_waitcnt vmcnt(15) lgkmcnt(1)
	v_mfma_f32_16x16x16_bf16 v[78:81], v[30:31], v[70:71], 0
	s_mov_b32 s3, 0
	v_cmp_gt_u32_e32 vcc, 64, v0
	v_mfma_f32_16x16x16_bf16 v[30:33], v[32:33], v[72:73], v[78:81]
	s_waitcnt vmcnt(14) lgkmcnt(0)
	v_mfma_f32_16x16x16_bf16 v[30:33], v[26:27], v[66:67], v[30:33]
	v_mfma_f32_16x16x16_bf16 v[26:29], v[28:29], v[68:69], v[30:33]
	s_nop 5
	ds_read_b128 v[30:33], v77 offset:2048
	ds_read_b128 v[78:81], v77 offset:2064
	s_waitcnt vmcnt(13) lgkmcnt(1)
	v_mfma_f32_16x16x16_bf16 v[26:29], v[22:23], v[30:31], v[26:29]
	v_mfma_f32_16x16x16_bf16 v[22:25], v[24:25], v[32:33], v[26:29]
	s_waitcnt vmcnt(12) lgkmcnt(0)
	v_mfma_f32_16x16x16_bf16 v[22:25], v[18:19], v[78:79], v[22:25]
	v_mfma_f32_16x16x16_bf16 v[18:21], v[20:21], v[80:81], v[22:25]
	s_nop 5
	ds_read_b128 v[22:25], v77 offset:4096
	ds_read_b128 v[26:29], v77 offset:4112
	s_waitcnt vmcnt(11) lgkmcnt(1)
	v_mfma_f32_16x16x16_bf16 v[18:21], v[14:15], v[22:23], v[18:21]
	v_mfma_f32_16x16x16_bf16 v[14:17], v[16:17], v[24:25], v[18:21]
	s_waitcnt vmcnt(10) lgkmcnt(0)
	v_mfma_f32_16x16x16_bf16 v[14:17], v[10:11], v[26:27], v[14:17]
	v_mfma_f32_16x16x16_bf16 v[10:13], v[12:13], v[28:29], v[14:17]
	s_nop 5
	ds_read_b128 v[14:17], v77 offset:6144
	ds_read_b128 v[18:21], v77 offset:6160
	s_waitcnt lgkmcnt(0)
	s_barrier
	s_waitcnt vmcnt(9)
	v_mfma_f32_16x16x16_bf16 v[10:13], v[6:7], v[14:15], v[10:13]
	v_mfma_f32_16x16x16_bf16 v[6:9], v[8:9], v[16:17], v[10:13]
	s_waitcnt vmcnt(8)
	v_mfma_f32_16x16x16_bf16 v[6:9], v[2:3], v[18:19], v[6:9]
	v_mfma_f32_16x16x16_bf16 v[2:5], v[4:5], v[20:21], v[6:9]
	s_waitcnt vmcnt(7)
	v_mfma_f32_16x16x16_bf16 v[6:9], v[46:47], v[70:71], 0
	v_mfma_f32_16x16x16_bf16 v[6:9], v[48:49], v[72:73], v[6:9]
	s_nop 3
	v_bfe_u32 v10, v3, 16, 1
	v_bfe_u32 v11, v2, 16, 1
	v_add3_u32 v2, v2, v11, s8
	s_waitcnt vmcnt(6)
	v_mfma_f32_16x16x16_bf16 v[6:9], v[38:39], v[66:67], v[6:9]
	v_add3_u32 v3, v3, v10, s8
	v_perm_b32 v10, v3, v2, s9
	v_bfe_u32 v2, v5, 16, 1
	v_mfma_f32_16x16x16_bf16 v[6:9], v[40:41], v[68:69], v[6:9]
	v_bfe_u32 v3, v4, 16, 1
	v_add3_u32 v3, v4, v3, s8
	v_add3_u32 v2, v5, v2, s8
	s_waitcnt vmcnt(5)
	v_mfma_f32_16x16x16_bf16 v[6:9], v[42:43], v[30:31], v[6:9]
	v_perm_b32 v11, v2, v3, s9
	v_mfma_f32_16x16x16_bf16 v[6:9], v[44:45], v[32:33], v[6:9]
	s_waitcnt vmcnt(4)
	v_mfma_f32_16x16x16_bf16 v[6:9], v[34:35], v[78:79], v[6:9]
	v_mfma_f32_16x16x16_bf16 v[6:9], v[36:37], v[80:81], v[6:9]
	s_waitcnt vmcnt(3)
	v_mfma_f32_16x16x16_bf16 v[6:9], v[58:59], v[22:23], v[6:9]
	;; [unrolled: 3-line block ×5, first 2 shown]
	v_mfma_f32_16x16x16_bf16 v[2:5], v[52:53], v[20:21], v[6:9]
	s_nop 6
	v_bfe_u32 v6, v3, 16, 1
	v_bfe_u32 v7, v2, 16, 1
	v_add3_u32 v2, v2, v7, s8
	v_add3_u32 v3, v3, v6, s8
	v_perm_b32 v2, v3, v2, s9
	v_bfe_u32 v3, v5, 16, 1
	v_bfe_u32 v6, v4, 16, 1
	v_add3_u32 v4, v4, v6, s8
	v_add3_u32 v3, v5, v3, s8
	v_perm_b32 v3, v3, v4, s9
	ds_write2st64_b64 v1, v[10:11], v[2:3] offset1:1
	s_waitcnt lgkmcnt(0)
	s_barrier
	s_and_saveexec_b64 s[4:5], vcc
	s_cbranch_execz .LBB758_20
; %bb.18:
	s_load_dwordx2 s[4:5], s[0:1], 0x68
	s_lshl_b32 s0, s6, 7
	s_mul_i32 s1, s7, s2
	v_lshlrev_b32_e32 v3, 6, v76
	s_mul_hi_u32 s7, s1, s0
	s_mul_i32 s6, s1, s0
	v_lshlrev_b32_e32 v2, 4, v0
	v_lshl_or_b32 v0, v0, 10, v3
	s_lshl_b64 s[6:7], s[6:7], 1
	v_lshlrev_b32_e32 v1, 5, v86
	v_and_b32_e32 v2, 16, v2
	v_and_b32_e32 v0, 0x1a00, v0
	s_waitcnt lgkmcnt(0)
	s_add_u32 s1, s4, s6
	v_or3_b32 v2, v0, v1, v2
	s_addc_u32 s4, s5, s7
	s_lshl_b32 s2, s26, 7
	s_lshl_b64 s[2:3], s[2:3], 1
	ds_read_b128 v[4:7], v2 offset:128
	ds_read_b128 v[8:11], v2
	s_add_u32 s2, s1, s2
	s_addc_u32 s3, s4, s3
	v_add_u32_e32 v3, s40, v86
	v_lshl_add_u64 v[0:1], v[74:75], 1, s[2:3]
	v_mad_u64_u32 v[12:13], s[2:3], v3, s0, 0
	v_lshl_add_u64 v[12:13], v[12:13], 1, v[0:1]
	v_add_u32_e32 v3, 4, v3
	s_waitcnt lgkmcnt(0)
	global_store_dwordx4 v[12:13], v[8:11], off
	v_cmp_ne_u32_e32 vcc, 3, v86
	s_nop 0
	v_mad_u64_u32 v[8:9], s[2:3], v3, s0, 0
	v_lshl_add_u64 v[8:9], v[8:9], 1, v[0:1]
	global_store_dwordx4 v[8:9], v[4:7], off
	s_and_b64 exec, exec, vcc
	s_cbranch_execz .LBB758_20
; %bb.19:
	ds_read_b128 v[2:5], v2 offset:256
	v_add3_u32 v6, s40, v86, 8
	v_mad_u64_u32 v[6:7], s[0:1], v6, s0, 0
	v_lshl_add_u64 v[0:1], v[6:7], 1, v[0:1]
	s_waitcnt lgkmcnt(0)
	global_store_dwordx4 v[0:1], v[2:5], off
.LBB758_20:
	s_endpgm
	.section	.rodata,"a",@progbits
	.p2align	6, 0x0
	.amdhsa_kernel _Z39paged_attention_ll4mi_QKV_mfma16_kernelI14__hip_bfloat16S0_LN4vllm18Fp8KVCacheDataTypeE0ES0_Li32ELi128ELi256ELb0ELi11EEvPKT_PKT0_S8_ifPKiSA_SA_iPKfiiiPfSD_PS3_PT2_iSC_SC_
		.amdhsa_group_segment_fixed_size 8192
		.amdhsa_private_segment_fixed_size 0
		.amdhsa_kernarg_size 400
		.amdhsa_user_sgpr_count 2
		.amdhsa_user_sgpr_dispatch_ptr 0
		.amdhsa_user_sgpr_queue_ptr 0
		.amdhsa_user_sgpr_kernarg_segment_ptr 1
		.amdhsa_user_sgpr_dispatch_id 0
		.amdhsa_user_sgpr_kernarg_preload_length 0
		.amdhsa_user_sgpr_kernarg_preload_offset 0
		.amdhsa_user_sgpr_private_segment_size 0
		.amdhsa_uses_dynamic_stack 0
		.amdhsa_enable_private_segment 0
		.amdhsa_system_sgpr_workgroup_id_x 1
		.amdhsa_system_sgpr_workgroup_id_y 1
		.amdhsa_system_sgpr_workgroup_id_z 1
		.amdhsa_system_sgpr_workgroup_info 0
		.amdhsa_system_vgpr_workitem_id 0
		.amdhsa_next_free_vgpr 96
		.amdhsa_next_free_sgpr 42
		.amdhsa_accum_offset 96
		.amdhsa_reserve_vcc 1
		.amdhsa_float_round_mode_32 0
		.amdhsa_float_round_mode_16_64 0
		.amdhsa_float_denorm_mode_32 3
		.amdhsa_float_denorm_mode_16_64 3
		.amdhsa_dx10_clamp 1
		.amdhsa_ieee_mode 1
		.amdhsa_fp16_overflow 0
		.amdhsa_tg_split 0
		.amdhsa_exception_fp_ieee_invalid_op 0
		.amdhsa_exception_fp_denorm_src 0
		.amdhsa_exception_fp_ieee_div_zero 0
		.amdhsa_exception_fp_ieee_overflow 0
		.amdhsa_exception_fp_ieee_underflow 0
		.amdhsa_exception_fp_ieee_inexact 0
		.amdhsa_exception_int_div_zero 0
	.end_amdhsa_kernel
	.section	.text._Z39paged_attention_ll4mi_QKV_mfma16_kernelI14__hip_bfloat16S0_LN4vllm18Fp8KVCacheDataTypeE0ES0_Li32ELi128ELi256ELb0ELi11EEvPKT_PKT0_S8_ifPKiSA_SA_iPKfiiiPfSD_PS3_PT2_iSC_SC_,"axG",@progbits,_Z39paged_attention_ll4mi_QKV_mfma16_kernelI14__hip_bfloat16S0_LN4vllm18Fp8KVCacheDataTypeE0ES0_Li32ELi128ELi256ELb0ELi11EEvPKT_PKT0_S8_ifPKiSA_SA_iPKfiiiPfSD_PS3_PT2_iSC_SC_,comdat
.Lfunc_end758:
	.size	_Z39paged_attention_ll4mi_QKV_mfma16_kernelI14__hip_bfloat16S0_LN4vllm18Fp8KVCacheDataTypeE0ES0_Li32ELi128ELi256ELb0ELi11EEvPKT_PKT0_S8_ifPKiSA_SA_iPKfiiiPfSD_PS3_PT2_iSC_SC_, .Lfunc_end758-_Z39paged_attention_ll4mi_QKV_mfma16_kernelI14__hip_bfloat16S0_LN4vllm18Fp8KVCacheDataTypeE0ES0_Li32ELi128ELi256ELb0ELi11EEvPKT_PKT0_S8_ifPKiSA_SA_iPKfiiiPfSD_PS3_PT2_iSC_SC_
                                        ; -- End function
	.section	.AMDGPU.csdata,"",@progbits
; Kernel info:
; codeLenInByte = 4888
; NumSgprs: 48
; NumVgprs: 96
; NumAgprs: 0
; TotalNumVgprs: 96
; ScratchSize: 0
; MemoryBound: 0
; FloatMode: 240
; IeeeMode: 1
; LDSByteSize: 8192 bytes/workgroup (compile time only)
; SGPRBlocks: 5
; VGPRBlocks: 11
; NumSGPRsForWavesPerEU: 48
; NumVGPRsForWavesPerEU: 96
; AccumOffset: 96
; Occupancy: 5
; WaveLimiterHint : 1
; COMPUTE_PGM_RSRC2:SCRATCH_EN: 0
; COMPUTE_PGM_RSRC2:USER_SGPR: 2
; COMPUTE_PGM_RSRC2:TRAP_HANDLER: 0
; COMPUTE_PGM_RSRC2:TGID_X_EN: 1
; COMPUTE_PGM_RSRC2:TGID_Y_EN: 1
; COMPUTE_PGM_RSRC2:TGID_Z_EN: 1
; COMPUTE_PGM_RSRC2:TIDIG_COMP_CNT: 0
; COMPUTE_PGM_RSRC3_GFX90A:ACCUM_OFFSET: 23
; COMPUTE_PGM_RSRC3_GFX90A:TG_SPLIT: 0
	.section	.text._Z39paged_attention_ll4mi_QKV_mfma16_kernelI14__hip_bfloat16S0_LN4vllm18Fp8KVCacheDataTypeE0ES0_Li32ELi128ELi256ELb0ELi12EEvPKT_PKT0_S8_ifPKiSA_SA_iPKfiiiPfSD_PS3_PT2_iSC_SC_,"axG",@progbits,_Z39paged_attention_ll4mi_QKV_mfma16_kernelI14__hip_bfloat16S0_LN4vllm18Fp8KVCacheDataTypeE0ES0_Li32ELi128ELi256ELb0ELi12EEvPKT_PKT0_S8_ifPKiSA_SA_iPKfiiiPfSD_PS3_PT2_iSC_SC_,comdat
	.protected	_Z39paged_attention_ll4mi_QKV_mfma16_kernelI14__hip_bfloat16S0_LN4vllm18Fp8KVCacheDataTypeE0ES0_Li32ELi128ELi256ELb0ELi12EEvPKT_PKT0_S8_ifPKiSA_SA_iPKfiiiPfSD_PS3_PT2_iSC_SC_ ; -- Begin function _Z39paged_attention_ll4mi_QKV_mfma16_kernelI14__hip_bfloat16S0_LN4vllm18Fp8KVCacheDataTypeE0ES0_Li32ELi128ELi256ELb0ELi12EEvPKT_PKT0_S8_ifPKiSA_SA_iPKfiiiPfSD_PS3_PT2_iSC_SC_
	.globl	_Z39paged_attention_ll4mi_QKV_mfma16_kernelI14__hip_bfloat16S0_LN4vllm18Fp8KVCacheDataTypeE0ES0_Li32ELi128ELi256ELb0ELi12EEvPKT_PKT0_S8_ifPKiSA_SA_iPKfiiiPfSD_PS3_PT2_iSC_SC_
	.p2align	8
	.type	_Z39paged_attention_ll4mi_QKV_mfma16_kernelI14__hip_bfloat16S0_LN4vllm18Fp8KVCacheDataTypeE0ES0_Li32ELi128ELi256ELb0ELi12EEvPKT_PKT0_S8_ifPKiSA_SA_iPKfiiiPfSD_PS3_PT2_iSC_SC_,@function
_Z39paged_attention_ll4mi_QKV_mfma16_kernelI14__hip_bfloat16S0_LN4vllm18Fp8KVCacheDataTypeE0ES0_Li32ELi128ELi256ELb0ELi12EEvPKT_PKT0_S8_ifPKiSA_SA_iPKfiiiPfSD_PS3_PT2_iSC_SC_: ; @_Z39paged_attention_ll4mi_QKV_mfma16_kernelI14__hip_bfloat16S0_LN4vllm18Fp8KVCacheDataTypeE0ES0_Li32ELi128ELi256ELb0ELi12EEvPKT_PKT0_S8_ifPKiSA_SA_iPKfiiiPfSD_PS3_PT2_iSC_SC_
; %bb.0:
	s_load_dwordx2 s[8:9], s[0:1], 0x30
	s_mov_b32 s26, s3
	s_mov_b64 s[6:7], 0
	s_waitcnt lgkmcnt(0)
	s_cmp_lg_u64 s[8:9], 0
	s_cselect_b64 s[10:11], -1, 0
	s_and_b64 vcc, exec, s[10:11]
	s_cbranch_vccz .LBB759_7
; %bb.1:
	s_add_i32 s12, s2, 1
	s_mov_b32 s13, 0
	s_lshl_b64 s[14:15], s[12:13], 2
	s_add_u32 s14, s8, s14
	s_mov_b32 s3, s13
	s_addc_u32 s15, s9, s15
	s_lshl_b64 s[12:13], s[2:3], 2
	s_add_u32 s12, s8, s12
	s_addc_u32 s13, s9, s13
	s_load_dword s5, s[14:15], 0x0
	s_load_dword s16, s[12:13], 0x0
	s_waitcnt lgkmcnt(0)
	s_sub_i32 s5, s5, s16
	s_cmp_eq_u32 s5, 1
	s_cselect_b64 s[12:13], -1, 0
	s_andn2_b64 vcc, exec, s[6:7]
	s_cbranch_vccnz .LBB759_3
.LBB759_2:
	s_mov_b32 s3, 0
	s_mov_b64 s[12:13], -1
.LBB759_3:
	s_andn2_b64 vcc, exec, s[12:13]
	s_cbranch_vccnz .LBB759_19
; %bb.4:
	s_load_dwordx2 s[6:7], s[0:1], 0x28
	s_lshl_b64 s[12:13], s[2:3], 2
	s_waitcnt lgkmcnt(0)
	s_add_u32 s6, s6, s12
	s_addc_u32 s7, s7, s13
	s_load_dword s33, s[6:7], 0x0
	s_lshl_b32 s18, s26, 8
	s_waitcnt lgkmcnt(0)
	s_cmp_ge_i32 s18, s33
	s_cbranch_scc1 .LBB759_19
; %bb.5:
	s_load_dwordx2 s[6:7], s[0:1], 0x20
	s_load_dword s5, s[0:1], 0x38
	s_add_i32 s14, s33, 31
	s_ashr_i32 s15, s14, 31
	v_and_b32_e32 v1, 0xcf, v0
	s_lshr_b32 s15, s15, 27
	v_add_u32_e32 v1, s18, v1
	s_add_i32 s14, s14, s15
	v_ashrrev_i32_e32 v2, 31, v1
	s_ashr_i32 s19, s14, 5
	v_lshrrev_b32_e32 v4, 27, v2
	s_add_i32 s19, s19, -1
	s_waitcnt lgkmcnt(0)
	s_mul_i32 s14, s2, s5
	s_mov_b32 s15, 0
	v_add_u32_e32 v2, v1, v4
	s_lshl_b64 s[14:15], s[14:15], 2
	v_ashrrev_i32_e32 v2, 5, v2
	v_mov_b32_e32 v5, s19
	v_cmp_gt_i32_e32 vcc, s33, v1
	s_add_u32 s6, s6, s14
	s_addc_u32 s7, s7, s15
	v_cndmask_b32_e32 v2, v5, v2, vcc
	v_ashrrev_i32_e32 v3, 31, v2
	v_lshl_add_u64 v[6:7], v[2:3], 2, s[6:7]
	v_or_b32_e32 v2, 16, v1
	v_add_u32_e32 v3, v2, v4
	v_ashrrev_i32_e32 v3, 5, v3
	v_cmp_gt_i32_e32 vcc, s33, v2
	s_nop 1
	v_cndmask_b32_e32 v2, v5, v3, vcc
	v_ashrrev_i32_e32 v3, 31, v2
	v_lshl_add_u64 v[8:9], v[2:3], 2, s[6:7]
	v_or_b32_e32 v2, 32, v1
	v_add_u32_e32 v3, v2, v4
	v_ashrrev_i32_e32 v3, 5, v3
	v_cmp_gt_i32_e32 vcc, s33, v2
	v_or_b32_e32 v1, 48, v1
	s_nop 0
	v_cndmask_b32_e32 v2, v5, v3, vcc
	v_ashrrev_i32_e32 v3, 31, v2
	v_lshl_add_u64 v[10:11], v[2:3], 2, s[6:7]
	v_add_u32_e32 v2, v1, v4
	v_ashrrev_i32_e32 v2, 5, v2
	v_cmp_gt_i32_e32 vcc, s33, v1
	s_nop 1
	v_cndmask_b32_e32 v2, v5, v2, vcc
	v_ashrrev_i32_e32 v3, 31, v2
	v_lshl_add_u64 v[12:13], v[2:3], 2, s[6:7]
	global_load_dword v2, v[6:7], off
	global_load_dword v5, v[8:9], off
	;; [unrolled: 1-line block ×4, first 2 shown]
	s_andn2_b64 vcc, exec, s[10:11]
	s_cbranch_vccnz .LBB759_8
; %bb.6:
	s_add_u32 s8, s8, s12
	s_addc_u32 s9, s9, s13
	s_load_dword s5, s[8:9], 0x0
	s_branch .LBB759_9
.LBB759_7:
	s_mov_b64 s[12:13], 0
	s_branch .LBB759_2
.LBB759_8:
	s_mov_b32 s5, s2
.LBB759_9:
	s_load_dwordx4 s[12:15], s[0:1], 0x8
	s_load_dwordx4 s[8:11], s[0:1], 0x48
	v_and_b32_e32 v76, 15, v0
	s_waitcnt lgkmcnt(0)
	s_movk_i32 s11, 0xbf
	v_lshlrev_b32_e32 v74, 3, v76
	v_cmp_lt_u32_e32 vcc, s11, v0
	s_and_saveexec_b64 s[16:17], vcc
	s_xor_b64 s[16:17], exec, s[16:17]
; %bb.10:
	v_mov_b32_e32 v75, 0
; %bb.11:
	s_or_saveexec_b64 s[16:17], s[16:17]
	v_lshrrev_b32_e32 v77, 6, v0
	v_and_b32_e32 v86, 63, v0
	v_bfe_u32 v1, v0, 4, 2
	s_mul_i32 s40, s4, 12
	s_xor_b64 exec, exec, s[16:17]
	s_cbranch_execz .LBB759_13
; %bb.12:
	s_load_dwordx2 s[20:21], s[0:1], 0x0
	s_ashr_i32 s11, s8, 31
	s_mul_hi_u32 s22, s5, s8
	s_mul_i32 s11, s5, s11
	s_add_i32 s23, s22, s11
	s_mul_i32 s22, s5, s8
	v_lshl_or_b32 v3, v77, 2, v1
	s_lshl_b64 s[22:23], s[22:23], 1
	s_waitcnt lgkmcnt(0)
	s_add_u32 s20, s20, s22
	v_add_lshl_u32 v6, v3, s40, 7
	s_addc_u32 s21, s21, s23
	v_ashrrev_i32_e32 v7, 31, v6
	v_mov_b32_e32 v75, 0
	v_lshl_add_u64 v[6:7], v[6:7], 1, s[20:21]
	v_lshlrev_b32_e32 v8, 1, v74
	v_mov_b32_e32 v9, v75
	v_lshl_add_u64 v[6:7], v[6:7], 0, v[8:9]
	global_load_dwordx4 v[6:9], v[6:7], off
	v_and_b32_e32 v10, 3, v0
	v_lshlrev_b32_e32 v11, 9, v76
	v_lshlrev_b32_e32 v3, 5, v3
	;; [unrolled: 1-line block ×3, first 2 shown]
	v_and_b32_e32 v11, 0x1800, v11
	v_or3_b32 v3, v11, v10, v3
	s_waitcnt vmcnt(0)
	ds_write_b128 v3, v[6:9]
.LBB759_13:
	s_or_b64 exec, exec, s[16:17]
	s_mul_i32 s4, s4, s10
	s_mov_b32 s5, 0
	s_lshl_b64 s[4:5], s[4:5], 1
	s_add_u32 s10, s12, s4
	s_addc_u32 s11, s13, s5
	s_waitcnt vmcnt(3)
	v_mad_i64_i32 v[2:3], s[12:13], v2, s9, 0
	v_lshl_add_u64 v[6:7], v[2:3], 1, s[10:11]
	v_lshlrev_b64 v[2:3], 1, v[74:75]
	v_lshlrev_b32_e32 v50, 9, v1
	v_lshl_add_u64 v[6:7], v[6:7], 0, v[2:3]
	v_mov_b32_e32 v51, 0
	v_lshl_add_u64 v[8:9], v[6:7], 0, v[50:51]
	s_load_dword s27, s[0:1], 0x98
	s_load_dword s8, s[0:1], 0x1c
	s_waitcnt lgkmcnt(0)
	s_barrier
	global_load_dwordx4 v[38:41], v[8:9], off
	s_waitcnt vmcnt(3)
	v_mad_i64_i32 v[10:11], s[12:13], v5, s9, 0
	v_mov_b32_e32 v5, 0x100
	v_lshl_add_u64 v[10:11], v[10:11], 1, s[10:11]
	v_lshl_or_b32 v54, v76, 4, v5
	v_mov_b32_e32 v55, v51
	v_lshl_add_u64 v[22:23], v[10:11], 0, v[54:55]
	v_lshl_add_u64 v[10:11], v[22:23], 0, v[50:51]
	global_load_dwordx4 v[42:45], v[10:11], off
	global_load_dwordx4 v[18:21], v[8:9], off offset:2048
	global_load_dwordx4 v[26:29], v[10:11], off offset:2048
	v_or_b32_e32 v56, 0x1000, v50
	v_mov_b32_e32 v57, v51
	v_or_b32_e32 v52, 0x1800, v50
	v_mov_b32_e32 v53, v51
	v_lshl_add_u64 v[8:9], v[6:7], 0, v[56:57]
	v_lshl_add_u64 v[6:7], v[6:7], 0, v[52:53]
	global_load_dwordx4 v[14:17], v[8:9], off
	global_load_dwordx4 v[10:13], v[6:7], off
	v_lshl_add_u64 v[8:9], v[22:23], 0, v[56:57]
	global_load_dwordx4 v[30:33], v[8:9], off
	s_waitcnt vmcnt(8)
	v_mad_i64_i32 v[4:5], s[12:13], v4, s9, 0
	v_lshl_add_u64 v[4:5], v[4:5], 1, s[10:11]
	v_lshl_add_u64 v[60:61], v[4:5], 0, v[2:3]
	v_add_u32_e32 v2, -12, v76
	v_cmp_gt_u32_e32 vcc, 12, v76
	v_lshl_add_u64 v[6:7], v[22:23], 0, v[52:53]
	global_load_dwordx4 v[22:25], v[6:7], off
	v_cndmask_b32_e32 v2, v2, v76, vcc
	v_lshl_add_u64 v[58:59], v[60:61], 0, v[50:51]
	v_lshl_add_u32 v62, v2, 5, v50
	global_load_dwordx4 v[34:37], v[58:59], off
	ds_read_b128 v[6:9], v62
	ds_read_b128 v[2:5], v62 offset:2048
	s_waitcnt vmcnt(9)
	v_mad_i64_i32 v[72:73], s[12:13], v46, s9, 0
	s_ashr_i32 s12, s18, 31
	v_and_or_b32 v80, v0, 48, s18
	v_or_b32_e32 v84, 64, v80
	v_mov_b32_e32 v81, s19
	v_cmp_gt_i32_e32 vcc, s33, v80
	v_or_b32_e32 v85, 0x80, v80
	v_or_b32_e32 v87, 0xc0, v80
	s_mov_b32 s41, 0xff7fffff
	s_waitcnt vmcnt(7) lgkmcnt(1)
	v_mfma_f32_16x16x16_bf16 v[68:71], v[42:43], v[6:7], 0
	v_mfma_f32_16x16x16_bf16 v[64:67], v[38:39], v[6:7], 0
	;; [unrolled: 1-line block ×3, first 2 shown]
	ds_read_b128 v[46:49], v62 offset:4096
	ds_read_b128 v[38:41], v62 offset:6144
	v_lshl_add_u64 v[62:63], v[72:73], 1, s[10:11]
	v_lshl_add_u64 v[82:83], v[62:63], 0, v[54:55]
	v_mfma_f32_16x16x16_bf16 v[42:45], v[44:45], v[8:9], v[68:71]
	v_lshl_add_u64 v[54:55], v[60:61], 0, v[56:57]
	s_lshr_b32 s10, s12, 27
	v_lshl_add_u64 v[78:79], v[82:83], 0, v[56:57]
	s_waitcnt vmcnt(6) lgkmcnt(2)
	v_mfma_f32_16x16x16_bf16 v[62:65], v[18:19], v[2:3], v[64:67]
	v_add_u32_e32 v68, s10, v80
	v_add_u32_e32 v69, s10, v84
	v_lshl_add_u64 v[70:71], v[82:83], 0, v[50:51]
	v_lshl_add_u64 v[66:67], v[60:61], 0, v[52:53]
	global_load_dwordx4 v[58:61], v[58:59], off offset:2048
	s_waitcnt vmcnt(6)
	v_mfma_f32_16x16x16_bf16 v[42:45], v[26:27], v[2:3], v[42:45]
	v_ashrrev_i32_e32 v50, 5, v68
	v_ashrrev_i32_e32 v56, 5, v69
	v_add_u32_e32 v72, s10, v85
	v_mfma_f32_16x16x16_bf16 v[18:21], v[20:21], v[4:5], v[62:65]
	v_add_u32_e32 v73, s10, v87
	s_add_u32 s4, s14, s4
	s_addc_u32 s5, s15, s5
	v_mfma_f32_16x16x16_bf16 v[26:29], v[28:29], v[4:5], v[42:45]
	v_ashrrev_i32_e32 v62, 5, v72
	v_ashrrev_i32_e32 v72, 5, v73
	s_waitcnt vmcnt(5) lgkmcnt(1)
	v_mfma_f32_16x16x16_bf16 v[18:21], v[14:15], v[46:47], v[18:21]
	global_load_dwordx4 v[42:45], v[54:55], off
	v_cndmask_b32_e32 v14, v81, v50, vcc
	v_cmp_gt_i32_e32 vcc, s33, v84
	s_waitcnt vmcnt(4)
	v_mfma_f32_16x16x16_bf16 v[26:29], v[30:31], v[46:47], v[26:29]
	v_ashrrev_i32_e32 v15, 31, v14
	v_cndmask_b32_e32 v30, v81, v56, vcc
	v_ashrrev_i32_e32 v31, 31, v30
	v_lshl_add_u64 v[14:15], v[14:15], 2, s[6:7]
	v_lshl_add_u64 v[30:31], v[30:31], 2, s[6:7]
	global_load_dword v92, v[14:15], off
	global_load_dword v84, v[30:31], off
	v_mfma_f32_16x16x16_bf16 v[14:17], v[16:17], v[48:49], v[18:21]
	v_cmp_gt_i32_e32 vcc, s33, v85
	s_nop 1
	global_load_dwordx4 v[18:21], v[66:67], off
	s_waitcnt lgkmcnt(0)
	v_mfma_f32_16x16x16_bf16 v[14:17], v[10:11], v[38:39], v[14:17]
	v_cndmask_b32_e32 v10, v81, v62, vcc
	v_ashrrev_i32_e32 v11, 31, v10
	v_lshl_add_u64 v[10:11], v[10:11], 2, s[6:7]
	v_mfma_f32_16x16x16_bf16 v[66:69], v[12:13], v[40:41], v[14:17]
	global_load_dword v85, v[10:11], off
	global_load_dwordx4 v[62:65], v[70:71], off offset:2048
	v_cmp_gt_i32_e32 vcc, s33, v87
	v_lshl_add_u64 v[14:15], v[82:83], 0, v[52:53]
	global_load_dwordx4 v[88:91], v[14:15], off
	global_load_dwordx4 v[54:57], v[70:71], off
	v_cndmask_b32_e32 v10, v81, v72, vcc
	global_load_dwordx4 v[78:81], v[78:79], off
	v_ashrrev_i32_e32 v11, 31, v10
	v_lshl_add_u64 v[10:11], v[10:11], 2, s[6:7]
	global_load_dword v93, v[10:11], off
	s_waitcnt vmcnt(11)
	v_mfma_f32_16x16x16_bf16 v[10:13], v[34:35], v[6:7], 0
	v_and_b32_e32 v14, 16, v0
	v_lshlrev_b32_e32 v50, 1, v14
	v_lshl_or_b32 v87, v77, 4, v76
	v_mfma_f32_16x16x16_bf16 v[10:13], v[36:37], v[8:9], v[10:13]
	v_lshl_add_u64 v[36:37], s[4:5], 0, v[50:51]
	v_lshlrev_b32_e32 v50, 6, v87
	v_pk_mul_f32 v[82:83], s[8:9], v[68:69] op_sel_hi:[0,1]
	v_mfma_f32_16x16x16_bf16 v[26:29], v[32:33], v[48:49], v[26:29]
	s_waitcnt vmcnt(8)
	v_mad_i64_i32 v[14:15], s[4:5], v92, s9, 0
	v_mfma_f32_16x16x16_bf16 v[10:13], v[58:59], v[2:3], v[10:13]
	v_lshl_add_u64 v[58:59], v[36:37], 0, v[50:51]
	v_or_b32_e32 v50, 0x1000, v50
	v_mfma_f32_16x16x16_bf16 v[10:13], v[60:61], v[4:5], v[10:13]
	v_lshlrev_b64 v[60:61], 1, v[14:15]
	v_lshl_add_u64 v[14:15], v[58:59], 0, v[60:61]
	v_mfma_f32_16x16x16_bf16 v[10:13], v[42:43], v[46:47], v[10:13]
	v_mfma_f32_16x16x16_bf16 v[10:13], v[44:45], v[48:49], v[10:13]
	v_mfma_f32_16x16x16_bf16 v[26:29], v[22:23], v[38:39], v[26:29]
	s_waitcnt vmcnt(6)
	v_mfma_f32_16x16x16_bf16 v[10:13], v[18:19], v[38:39], v[10:13]
	v_mfma_f32_16x16x16_bf16 v[70:73], v[24:25], v[40:41], v[26:29]
	global_load_dwordx4 v[30:33], v[14:15], off
	s_nop 2
	global_load_dwordx4 v[26:29], v[14:15], off offset:16
	v_mad_i64_i32 v[14:15], s[4:5], v84, s9, 0
	v_lshlrev_b64 v[34:35], 1, v[14:15]
	v_mfma_f32_16x16x16_bf16 v[42:45], v[20:21], v[40:41], v[10:13]
	v_pk_mul_f32 v[70:71], s[8:9], v[70:71] op_sel_hi:[0,1]
	s_nop 1
	v_lshl_add_u64 v[10:11], v[58:59], 0, v[34:35]
	global_load_dwordx4 v[22:25], v[10:11], off
	global_load_dwordx4 v[18:21], v[10:11], off offset:16
	s_waitcnt vmcnt(6)
	v_mfma_f32_16x16x16_bf16 v[10:13], v[54:55], v[6:7], 0
	v_mad_i64_i32 v[6:7], s[4:5], v85, s9, 0
	v_lshlrev_b64 v[52:53], 1, v[6:7]
	v_mfma_f32_16x16x16_bf16 v[6:9], v[56:57], v[8:9], v[10:13]
	v_pk_mul_f32 v[84:85], s[8:9], v[72:73] op_sel_hi:[0,1]
	v_mfma_f32_16x16x16_bf16 v[6:9], v[62:63], v[2:3], v[6:9]
	s_waitcnt vmcnt(4)
	v_mad_i64_i32 v[2:3], s[4:5], v93, s9, 0
	v_lshlrev_b64 v[62:63], 1, v[2:3]
	v_mfma_f32_16x16x16_bf16 v[54:57], v[64:65], v[4:5], v[6:9]
	v_lshl_add_u64 v[64:65], v[36:37], 0, v[50:51]
	v_pk_mul_f32 v[50:51], s[8:9], v[66:67] op_sel_hi:[0,1]
	v_lshl_add_u64 v[10:11], v[58:59], 0, v[52:53]
	v_mfma_f32_16x16x16_bf16 v[54:57], v[78:79], v[46:47], v[54:57]
	v_pk_mul_f32 v[78:79], s[8:9], v[42:43] op_sel_hi:[0,1]
	v_lshl_add_u64 v[2:3], v[58:59], 0, v[62:63]
	v_lshl_add_u64 v[58:59], v[64:65], 0, v[60:61]
	v_mfma_f32_16x16x16_bf16 v[46:49], v[80:81], v[48:49], v[54:57]
	v_pk_mul_f32 v[80:81], s[8:9], v[44:45] op_sel_hi:[0,1]
	v_lshl_add_u64 v[34:35], v[64:65], 0, v[34:35]
	v_lshl_add_u64 v[52:53], v[64:65], 0, v[52:53]
	v_mfma_f32_16x16x16_bf16 v[36:39], v[88:89], v[38:39], v[46:49]
	global_load_dwordx4 v[14:17], v[10:11], off
	s_nop 0
	global_load_dwordx4 v[10:13], v[10:11], off offset:16
	s_nop 0
	global_load_dwordx4 v[6:9], v[2:3], off
	s_nop 0
	global_load_dwordx4 v[2:5], v[2:3], off offset:16
	v_mfma_f32_16x16x16_bf16 v[36:39], v[90:91], v[40:41], v[36:39]
	s_nop 6
	v_pk_mul_f32 v[72:73], s[8:9], v[36:37] op_sel_hi:[0,1]
	v_and_b32_e32 v36, 0xc0, v0
	v_add_u32_e32 v36, s18, v36
	v_lshl_or_b32 v36, v1, 2, v36
	v_pk_mul_f32 v[66:67], s[8:9], v[38:39] op_sel_hi:[0,1]
	v_or_b32_e32 v39, 1, v36
	v_mov_b32_e32 v37, 0xff7fffff
	v_cmp_gt_i32_e64 s[28:29], s33, v36
	v_cmp_gt_i32_e64 s[30:31], s33, v39
	v_or_b32_e32 v40, 3, v36
	v_cndmask_b32_e64 v38, v37, v50, s[28:29]
	v_cndmask_b32_e64 v39, v37, v51, s[30:31]
	v_max3_f32 v38, v38, s41, v39
	v_or_b32_e32 v39, 2, v36
	v_cmp_gt_i32_e64 s[34:35], s33, v39
	v_cmp_gt_i32_e64 s[36:37], s33, v40
	s_nop 0
	v_cndmask_b32_e64 v39, v37, v82, s[34:35]
	v_cndmask_b32_e64 v40, v37, v83, s[36:37]
	v_max3_f32 v38, v38, v39, v40
	v_or_b32_e32 v39, 16, v36
	v_or_b32_e32 v40, 17, v36
	v_cmp_gt_i32_e64 s[22:23], s33, v39
	v_cmp_gt_i32_e64 s[24:25], s33, v40
	s_nop 0
	v_cndmask_b32_e64 v39, v37, v70, s[22:23]
	v_cndmask_b32_e64 v40, v37, v71, s[24:25]
	v_max3_f32 v38, v38, v39, v40
	v_or_b32_e32 v39, 18, v36
	v_or_b32_e32 v40, 19, v36
	v_cmp_gt_i32_e64 s[18:19], s33, v39
	v_cmp_gt_i32_e64 s[20:21], s33, v40
	s_nop 0
	v_cndmask_b32_e64 v39, v37, v84, s[18:19]
	v_cndmask_b32_e64 v40, v37, v85, s[20:21]
	v_max3_f32 v38, v38, v39, v40
	v_or_b32_e32 v39, 32, v36
	v_or_b32_e32 v40, 33, v36
	v_cmp_gt_i32_e64 s[14:15], s33, v39
	v_cmp_gt_i32_e64 s[16:17], s33, v40
	s_nop 0
	v_cndmask_b32_e64 v39, v37, v78, s[14:15]
	v_cndmask_b32_e64 v40, v37, v79, s[16:17]
	v_max3_f32 v38, v38, v39, v40
	v_or_b32_e32 v39, 34, v36
	v_or_b32_e32 v40, 35, v36
	v_cmp_gt_i32_e64 s[10:11], s33, v39
	v_cmp_gt_i32_e64 s[12:13], s33, v40
	s_nop 0
	v_cndmask_b32_e64 v39, v37, v80, s[10:11]
	v_cndmask_b32_e64 v40, v37, v81, s[12:13]
	v_max3_f32 v38, v38, v39, v40
	v_or_b32_e32 v39, 48, v36
	v_or_b32_e32 v40, 49, v36
	v_cmp_gt_i32_e64 s[6:7], s33, v39
	v_cmp_gt_i32_e64 s[8:9], s33, v40
	s_nop 0
	v_cndmask_b32_e64 v39, v37, v72, s[6:7]
	v_cndmask_b32_e64 v40, v37, v73, s[8:9]
	v_max3_f32 v38, v38, v39, v40
	v_or_b32_e32 v39, 50, v36
	v_or_b32_e32 v36, 51, v36
	v_cmp_gt_i32_e32 vcc, s33, v39
	v_cmp_gt_i32_e64 s[4:5], s33, v36
	s_nop 0
	v_cndmask_b32_e32 v39, v37, v66, vcc
	v_cndmask_b32_e64 v36, v37, v67, s[4:5]
	v_max3_f32 v54, v38, v39, v36
	v_mbcnt_lo_u32_b32 v36, -1, 0
	v_mbcnt_hi_u32_b32 v55, -1, v36
	v_and_b32_e32 v36, 64, v55
	v_add_u32_e32 v56, 64, v36
	v_xor_b32_e32 v36, 32, v55
	v_cmp_lt_i32_e64 s[38:39], v36, v56
	global_load_dwordx4 v[46:49], v[58:59], off
	global_load_dwordx4 v[38:41], v[58:59], off offset:16
	v_cndmask_b32_e64 v36, v55, v36, s[38:39]
	v_lshlrev_b32_e32 v89, 2, v36
	ds_bpermute_b32 v57, v89, v54
	global_load_dwordx4 v[42:45], v[34:35], off
	s_nop 0
	global_load_dwordx4 v[34:37], v[34:35], off offset:16
	s_waitcnt lgkmcnt(0)
	v_max_f32_e32 v57, v57, v57
	v_max_f32_e32 v68, v54, v57
	v_xor_b32_e32 v54, 16, v55
	v_cmp_lt_i32_e64 s[38:39], v54, v56
	s_nop 1
	v_cndmask_b32_e64 v54, v55, v54, s[38:39]
	v_lshlrev_b32_e32 v90, 2, v54
	ds_bpermute_b32 v69, v90, v68
	global_load_dwordx4 v[58:61], v[52:53], off
	global_load_dwordx4 v[54:57], v[52:53], off offset:16
	v_lshl_add_u64 v[52:53], v[64:65], 0, v[62:63]
	s_waitcnt lgkmcnt(0)
	v_max_f32_e32 v62, v69, v69
	v_max_f32_e32 v88, v68, v62
	v_sub_f32_e32 v50, v50, v88
	v_mul_f32_e32 v50, 0x3fb8aa3b, v50
	v_exp_f32_e32 v68, v50
	v_sub_f32_e32 v50, v51, v88
	v_mul_f32_e32 v50, 0x3fb8aa3b, v50
	v_exp_f32_e32 v69, v50
	global_load_dwordx4 v[62:65], v[52:53], off
	s_nop 0
	global_load_dwordx4 v[50:53], v[52:53], off offset:16
	v_sub_f32_e32 v82, v82, v88
	v_mul_f32_e32 v82, 0x3fb8aa3b, v82
	v_sub_f32_e32 v83, v83, v88
	v_exp_f32_e32 v82, v82
	v_mul_f32_e32 v83, 0x3fb8aa3b, v83
	v_sub_f32_e32 v70, v70, v88
	v_exp_f32_e32 v83, v83
	v_mul_f32_e32 v70, 0x3fb8aa3b, v70
	v_sub_f32_e32 v71, v71, v88
	v_cndmask_b32_e64 v68, 0, v68, s[28:29]
	v_exp_f32_e32 v70, v70
	v_mul_f32_e32 v71, 0x3fb8aa3b, v71
	v_sub_f32_e32 v84, v84, v88
	v_add_f32_e32 v91, 0, v68
	v_cndmask_b32_e64 v69, 0, v69, s[30:31]
	v_exp_f32_e32 v71, v71
	v_mul_f32_e32 v84, 0x3fb8aa3b, v84
	v_sub_f32_e32 v85, v85, v88
	v_add_f32_e32 v91, v91, v69
	;; [unrolled: 5-line block ×10, first 2 shown]
	v_cndmask_b32_e64 v80, 0, v80, s[10:11]
	v_exp_f32_e32 v66, v66
	v_mul_f32_e32 v67, 0x3fb8aa3b, v67
	v_add_f32_e32 v91, v91, v80
	v_cndmask_b32_e64 v81, 0, v81, s[12:13]
	v_exp_f32_e32 v67, v67
	v_add_f32_e32 v91, v91, v81
	v_cndmask_b32_e64 v72, 0, v72, s[6:7]
	v_add_f32_e32 v91, v91, v72
	v_cndmask_b32_e64 v73, 0, v73, s[8:9]
	v_add_f32_e32 v91, v91, v73
	v_cndmask_b32_e32 v66, 0, v66, vcc
	v_add_f32_e32 v91, v91, v66
	v_cndmask_b32_e64 v67, 0, v67, s[4:5]
	v_add_f32_e32 v91, v91, v67
	ds_bpermute_b32 v89, v89, v91
	v_cmp_gt_u32_e32 vcc, 16, v86
	s_waitcnt lgkmcnt(0)
	s_barrier
	v_add_f32_e32 v89, v91, v89
	ds_bpermute_b32 v90, v90, v89
	s_and_saveexec_b64 s[4:5], vcc
	s_cbranch_execz .LBB759_15
; %bb.14:
	s_waitcnt lgkmcnt(0)
	v_add_f32_e32 v86, v89, v90
	v_lshlrev_b32_e32 v87, 2, v87
	ds_write2st64_b32 v87, v88, v86 offset1:1
.LBB759_15:
	s_or_b64 exec, exec, s[4:5]
	v_lshlrev_b32_e32 v87, 2, v76
	s_load_dword s6, s[0:1], 0x94
	s_waitcnt lgkmcnt(0)
	s_barrier
	ds_read2_b32 v[88:89], v87 offset1:16
	ds_read2_b32 v[90:91], v87 offset0:32 offset1:48
	ds_read2_b32 v[92:93], v87 offset0:64 offset1:80
	s_movk_i32 s8, 0x7fff
	s_mov_b32 s9, 0x7060302
	s_waitcnt lgkmcnt(2)
	v_max3_f32 v86, v88, s41, v89
	s_waitcnt lgkmcnt(1)
	v_max3_f32 v86, v86, v90, v91
	v_sub_f32_e32 v88, v88, v86
	v_mul_f32_e32 v88, 0x3fb8aa3b, v88
	v_exp_f32_e32 v94, v88
	v_sub_f32_e32 v88, v89, v86
	v_mul_f32_e32 v88, 0x3fb8aa3b, v88
	v_exp_f32_e32 v95, v88
	;; [unrolled: 3-line block ×3, first 2 shown]
	ds_read2_b32 v[88:89], v87 offset0:96 offset1:112
	v_sub_f32_e32 v87, v91, v86
	v_mul_f32_e32 v87, 0x3fb8aa3b, v87
	v_exp_f32_e32 v91, v87
	s_waitcnt lgkmcnt(1)
	v_fma_f32 v87, v94, v92, 0
	v_fmac_f32_e32 v87, v95, v93
	s_waitcnt lgkmcnt(0)
	v_fmac_f32_e32 v87, v90, v88
	v_fmac_f32_e32 v87, v91, v89
	v_add_f32_e32 v88, 0x358637bd, v87
	v_div_scale_f32 v89, s[4:5], v88, v88, 1.0
	v_rcp_f32_e32 v92, v89
	s_barrier
	v_fma_f32 v93, -v89, v92, 1.0
	v_fmac_f32_e32 v92, v93, v92
	v_div_scale_f32 v93, vcc, 1.0, v88, 1.0
	v_mul_f32_e32 v1, v93, v92
	v_fma_f32 v77, -v89, v1, v93
	v_fmac_f32_e32 v1, v77, v92
	v_fma_f32 v77, -v89, v1, v93
	v_lshrrev_b32_e32 v89, 6, v0
	v_div_fmas_f32 v1, v77, v92, v1
	v_cmp_eq_u32_e32 vcc, 1, v89
	v_div_fixup_f32 v1, v1, v88, 1.0
	s_mul_i32 s7, s27, 12
	v_cndmask_b32_e32 v77, v94, v95, vcc
	v_cmp_eq_u32_e32 vcc, 2, v89
	s_nop 1
	v_cndmask_b32_e32 v77, v77, v90, vcc
	v_cmp_eq_u32_e32 vcc, 3, v89
	s_nop 1
	v_cndmask_b32_e32 v77, v77, v91, vcc
	v_mul_f32_e32 v88, v77, v1
	v_pk_mul_f32 v[68:69], v[88:89], v[68:69] op_sel_hi:[0,1]
	v_bfe_u32 v1, v69, 16, 1
	v_bfe_u32 v77, v68, 16, 1
	v_pk_mul_f32 v[82:83], v[88:89], v[82:83] op_sel_hi:[0,1]
	v_add3_u32 v68, v68, v77, s8
	v_add3_u32 v1, v69, v1, s8
	v_perm_b32 v90, v1, v68, s9
	v_bfe_u32 v1, v83, 16, 1
	v_bfe_u32 v68, v82, 16, 1
	v_add3_u32 v68, v82, v68, s8
	v_add3_u32 v1, v83, v1, s8
	v_bfe_u32 v83, v0, 4, 2
	v_perm_b32 v91, v1, v68, s9
	v_lshlrev_b32_e32 v1, 3, v83
	v_lshlrev_b32_e32 v68, 5, v76
	;; [unrolled: 1-line block ×3, first 2 shown]
	v_pk_mul_f32 v[70:71], v[88:89], v[70:71] op_sel_hi:[0,1]
	v_or3_b32 v82, v69, v68, v1
	v_bfe_u32 v1, v71, 16, 1
	v_bfe_u32 v69, v70, 16, 1
	v_pk_mul_f32 v[84:85], v[88:89], v[84:85] op_sel_hi:[0,1]
	v_add3_u32 v69, v70, v69, s8
	v_add3_u32 v1, v71, v1, s8
	v_perm_b32 v70, v1, v69, s9
	v_bfe_u32 v1, v85, 16, 1
	v_bfe_u32 v69, v84, 16, 1
	v_add3_u32 v69, v84, v69, s8
	v_add3_u32 v1, v85, v1, s8
	v_pk_mul_f32 v[78:79], v[88:89], v[78:79] op_sel_hi:[0,1]
	v_perm_b32 v71, v1, v69, s9
	v_bfe_u32 v1, v79, 16, 1
	v_bfe_u32 v69, v78, 16, 1
	ds_write2st64_b64 v82, v[90:91], v[70:71] offset1:1
	v_pk_mul_f32 v[70:71], v[88:89], v[80:81] op_sel_hi:[0,1]
	v_add3_u32 v69, v78, v69, s8
	v_add3_u32 v1, v79, v1, s8
	v_perm_b32 v78, v1, v69, s9
	v_bfe_u32 v1, v71, 16, 1
	v_bfe_u32 v69, v70, 16, 1
	v_add3_u32 v69, v70, v69, s8
	v_add3_u32 v1, v71, v1, s8
	v_pk_mul_f32 v[70:71], v[88:89], v[72:73] op_sel_hi:[0,1]
	v_perm_b32 v79, v1, v69, s9
	v_bfe_u32 v1, v71, 16, 1
	v_bfe_u32 v69, v70, 16, 1
	v_pk_mul_f32 v[66:67], v[88:89], v[66:67] op_sel_hi:[0,1]
	v_add3_u32 v69, v70, v69, s8
	v_add3_u32 v1, v71, v1, s8
	v_perm_b32 v70, v1, v69, s9
	v_bfe_u32 v1, v67, 16, 1
	v_bfe_u32 v69, v66, 16, 1
	v_add3_u32 v66, v66, v69, s8
	v_add3_u32 v1, v67, v1, s8
	v_perm_b32 v71, v1, v66, s9
	v_cmp_gt_u32_e32 vcc, 12, v0
	ds_write2st64_b64 v82, v[78:79], v[70:71] offset0:2 offset1:3
	s_and_saveexec_b64 s[4:5], vcc
	s_cbranch_execz .LBB759_17
; %bb.16:
	s_mov_b32 s41, 0
	v_mov_b32_e32 v77, 0
	v_lshl_add_u64 v[66:67], s[40:41], 0, v[76:77]
	v_mov_b32_e32 v1, s7
	v_mad_u64_u32 v[66:67], s[10:11], s2, v1, v[66:67]
	s_mul_i32 s3, s3, s7
	v_mov_b32_e32 v70, s26
	v_mov_b32_e32 v71, v77
	s_load_dwordx4 s[12:15], s[0:1], 0x58
	v_add_u32_e32 v1, s3, v67
	v_mad_u64_u32 v[66:67], s[10:11], v66, s6, v[70:71]
	v_mov_b32_e32 v70, v67
	v_mad_u64_u32 v[70:71], s[10:11], v1, s6, v[70:71]
	v_mov_b32_e32 v67, v70
	v_lshlrev_b64 v[66:67], 2, v[66:67]
	s_waitcnt lgkmcnt(0)
	v_lshl_add_u64 v[70:71], s[14:15], 0, v[66:67]
	v_lshl_add_u64 v[66:67], s[12:13], 0, v[66:67]
	global_store_dword v[70:71], v86, off
	global_store_dword v[66:67], v87, off
.LBB759_17:
	s_or_b64 exec, exec, s[4:5]
	v_lshl_or_b32 v1, v83, 9, v68
	s_waitcnt lgkmcnt(0)
	s_barrier
	ds_read_b128 v[70:73], v1
	ds_read_b128 v[66:69], v1 offset:16
	s_waitcnt vmcnt(15) lgkmcnt(1)
	v_mfma_f32_16x16x16_bf16 v[78:81], v[30:31], v[70:71], 0
	s_mov_b32 s3, 0
	v_cmp_gt_u32_e32 vcc, 64, v0
	v_mfma_f32_16x16x16_bf16 v[30:33], v[32:33], v[72:73], v[78:81]
	s_waitcnt vmcnt(14) lgkmcnt(0)
	v_mfma_f32_16x16x16_bf16 v[30:33], v[26:27], v[66:67], v[30:33]
	v_mfma_f32_16x16x16_bf16 v[26:29], v[28:29], v[68:69], v[30:33]
	s_nop 5
	ds_read_b128 v[30:33], v1 offset:2048
	ds_read_b128 v[78:81], v1 offset:2064
	s_waitcnt vmcnt(13) lgkmcnt(1)
	v_mfma_f32_16x16x16_bf16 v[26:29], v[22:23], v[30:31], v[26:29]
	v_mfma_f32_16x16x16_bf16 v[22:25], v[24:25], v[32:33], v[26:29]
	s_waitcnt vmcnt(12) lgkmcnt(0)
	v_mfma_f32_16x16x16_bf16 v[22:25], v[18:19], v[78:79], v[22:25]
	v_mfma_f32_16x16x16_bf16 v[18:21], v[20:21], v[80:81], v[22:25]
	s_nop 5
	ds_read_b128 v[22:25], v1 offset:4096
	ds_read_b128 v[26:29], v1 offset:4112
	s_waitcnt vmcnt(11) lgkmcnt(1)
	v_mfma_f32_16x16x16_bf16 v[18:21], v[14:15], v[22:23], v[18:21]
	v_mfma_f32_16x16x16_bf16 v[14:17], v[16:17], v[24:25], v[18:21]
	s_waitcnt vmcnt(10) lgkmcnt(0)
	v_mfma_f32_16x16x16_bf16 v[14:17], v[10:11], v[26:27], v[14:17]
	v_mfma_f32_16x16x16_bf16 v[10:13], v[12:13], v[28:29], v[14:17]
	s_nop 5
	ds_read_b128 v[14:17], v1 offset:6144
	ds_read_b128 v[18:21], v1 offset:6160
	s_waitcnt lgkmcnt(0)
	s_barrier
	s_waitcnt vmcnt(9)
	v_mfma_f32_16x16x16_bf16 v[10:13], v[6:7], v[14:15], v[10:13]
	v_mfma_f32_16x16x16_bf16 v[6:9], v[8:9], v[16:17], v[10:13]
	s_waitcnt vmcnt(8)
	v_mfma_f32_16x16x16_bf16 v[6:9], v[2:3], v[18:19], v[6:9]
	v_mfma_f32_16x16x16_bf16 v[2:5], v[4:5], v[20:21], v[6:9]
	;; [unrolled: 3-line block ×3, first 2 shown]
	s_nop 3
	v_bfe_u32 v1, v3, 16, 1
	v_bfe_u32 v10, v2, 16, 1
	v_add3_u32 v2, v2, v10, s8
	s_waitcnt vmcnt(6)
	v_mfma_f32_16x16x16_bf16 v[6:9], v[38:39], v[66:67], v[6:9]
	v_add3_u32 v1, v3, v1, s8
	v_perm_b32 v10, v1, v2, s9
	v_bfe_u32 v1, v5, 16, 1
	v_mfma_f32_16x16x16_bf16 v[6:9], v[40:41], v[68:69], v[6:9]
	v_bfe_u32 v2, v4, 16, 1
	v_add3_u32 v2, v4, v2, s8
	v_add3_u32 v1, v5, v1, s8
	s_waitcnt vmcnt(5)
	v_mfma_f32_16x16x16_bf16 v[6:9], v[42:43], v[30:31], v[6:9]
	v_perm_b32 v11, v1, v2, s9
	v_mfma_f32_16x16x16_bf16 v[6:9], v[44:45], v[32:33], v[6:9]
	s_waitcnt vmcnt(4)
	v_mfma_f32_16x16x16_bf16 v[6:9], v[34:35], v[78:79], v[6:9]
	v_mfma_f32_16x16x16_bf16 v[6:9], v[36:37], v[80:81], v[6:9]
	s_waitcnt vmcnt(3)
	v_mfma_f32_16x16x16_bf16 v[6:9], v[58:59], v[22:23], v[6:9]
	;; [unrolled: 3-line block ×5, first 2 shown]
	v_mfma_f32_16x16x16_bf16 v[2:5], v[52:53], v[20:21], v[6:9]
	s_nop 6
	v_bfe_u32 v1, v3, 16, 1
	v_bfe_u32 v6, v2, 16, 1
	v_add3_u32 v2, v2, v6, s8
	v_add3_u32 v1, v3, v1, s8
	v_perm_b32 v2, v1, v2, s9
	v_bfe_u32 v1, v5, 16, 1
	v_bfe_u32 v3, v4, 16, 1
	v_add3_u32 v3, v4, v3, s8
	v_add3_u32 v1, v5, v1, s8
	v_perm_b32 v3, v1, v3, s9
	ds_write2st64_b64 v82, v[10:11], v[2:3] offset1:1
	s_waitcnt lgkmcnt(0)
	s_barrier
	s_and_saveexec_b64 s[4:5], vcc
	s_cbranch_execz .LBB759_19
; %bb.18:
	s_load_dwordx2 s[0:1], s[0:1], 0x68
	s_lshl_b32 s6, s6, 7
	s_mul_i32 s2, s7, s2
	s_mul_hi_u32 s5, s2, s6
	s_mul_i32 s4, s2, s6
	s_lshl_b64 s[4:5], s[4:5], 1
	v_lshlrev_b32_e32 v3, 6, v76
	s_waitcnt lgkmcnt(0)
	s_add_u32 s4, s0, s4
	v_lshlrev_b32_e32 v2, 4, v0
	v_lshl_or_b32 v0, v0, 10, v3
	s_addc_u32 s5, s1, s5
	s_lshl_b32 s2, s26, 7
	v_lshlrev_b32_e32 v1, 5, v83
	v_and_b32_e32 v2, 16, v2
	v_and_b32_e32 v0, 0x1a00, v0
	s_lshl_b64 s[0:1], s[2:3], 1
	v_or3_b32 v0, v0, v1, v2
	s_add_u32 s0, s4, s0
	ds_read_b128 v[2:5], v0
	ds_read_b128 v[6:9], v0 offset:128
	ds_read_b128 v[10:13], v0 offset:256
	s_addc_u32 s1, s5, s1
	v_or_b32_e32 v16, s40, v83
	v_lshl_add_u64 v[0:1], v[74:75], 1, s[0:1]
	v_mad_u64_u32 v[14:15], s[0:1], v16, s6, 0
	v_lshl_add_u64 v[14:15], v[14:15], 1, v[0:1]
	s_waitcnt lgkmcnt(2)
	global_store_dwordx4 v[14:15], v[2:5], off
	s_nop 1
	v_add_u32_e32 v2, 4, v16
	v_mad_u64_u32 v[2:3], s[0:1], v2, s6, 0
	v_lshl_add_u64 v[2:3], v[2:3], 1, v[0:1]
	s_waitcnt lgkmcnt(1)
	global_store_dwordx4 v[2:3], v[6:9], off
	v_add_u32_e32 v2, 8, v16
	v_mad_u64_u32 v[2:3], s[0:1], v2, s6, 0
	v_lshl_add_u64 v[0:1], v[2:3], 1, v[0:1]
	s_waitcnt lgkmcnt(0)
	global_store_dwordx4 v[0:1], v[10:13], off
.LBB759_19:
	s_endpgm
	.section	.rodata,"a",@progbits
	.p2align	6, 0x0
	.amdhsa_kernel _Z39paged_attention_ll4mi_QKV_mfma16_kernelI14__hip_bfloat16S0_LN4vllm18Fp8KVCacheDataTypeE0ES0_Li32ELi128ELi256ELb0ELi12EEvPKT_PKT0_S8_ifPKiSA_SA_iPKfiiiPfSD_PS3_PT2_iSC_SC_
		.amdhsa_group_segment_fixed_size 8192
		.amdhsa_private_segment_fixed_size 0
		.amdhsa_kernarg_size 400
		.amdhsa_user_sgpr_count 2
		.amdhsa_user_sgpr_dispatch_ptr 0
		.amdhsa_user_sgpr_queue_ptr 0
		.amdhsa_user_sgpr_kernarg_segment_ptr 1
		.amdhsa_user_sgpr_dispatch_id 0
		.amdhsa_user_sgpr_kernarg_preload_length 0
		.amdhsa_user_sgpr_kernarg_preload_offset 0
		.amdhsa_user_sgpr_private_segment_size 0
		.amdhsa_uses_dynamic_stack 0
		.amdhsa_enable_private_segment 0
		.amdhsa_system_sgpr_workgroup_id_x 1
		.amdhsa_system_sgpr_workgroup_id_y 1
		.amdhsa_system_sgpr_workgroup_id_z 1
		.amdhsa_system_sgpr_workgroup_info 0
		.amdhsa_system_vgpr_workitem_id 0
		.amdhsa_next_free_vgpr 96
		.amdhsa_next_free_sgpr 42
		.amdhsa_accum_offset 96
		.amdhsa_reserve_vcc 1
		.amdhsa_float_round_mode_32 0
		.amdhsa_float_round_mode_16_64 0
		.amdhsa_float_denorm_mode_32 3
		.amdhsa_float_denorm_mode_16_64 3
		.amdhsa_dx10_clamp 1
		.amdhsa_ieee_mode 1
		.amdhsa_fp16_overflow 0
		.amdhsa_tg_split 0
		.amdhsa_exception_fp_ieee_invalid_op 0
		.amdhsa_exception_fp_denorm_src 0
		.amdhsa_exception_fp_ieee_div_zero 0
		.amdhsa_exception_fp_ieee_overflow 0
		.amdhsa_exception_fp_ieee_underflow 0
		.amdhsa_exception_fp_ieee_inexact 0
		.amdhsa_exception_int_div_zero 0
	.end_amdhsa_kernel
	.section	.text._Z39paged_attention_ll4mi_QKV_mfma16_kernelI14__hip_bfloat16S0_LN4vllm18Fp8KVCacheDataTypeE0ES0_Li32ELi128ELi256ELb0ELi12EEvPKT_PKT0_S8_ifPKiSA_SA_iPKfiiiPfSD_PS3_PT2_iSC_SC_,"axG",@progbits,_Z39paged_attention_ll4mi_QKV_mfma16_kernelI14__hip_bfloat16S0_LN4vllm18Fp8KVCacheDataTypeE0ES0_Li32ELi128ELi256ELb0ELi12EEvPKT_PKT0_S8_ifPKiSA_SA_iPKfiiiPfSD_PS3_PT2_iSC_SC_,comdat
.Lfunc_end759:
	.size	_Z39paged_attention_ll4mi_QKV_mfma16_kernelI14__hip_bfloat16S0_LN4vllm18Fp8KVCacheDataTypeE0ES0_Li32ELi128ELi256ELb0ELi12EEvPKT_PKT0_S8_ifPKiSA_SA_iPKfiiiPfSD_PS3_PT2_iSC_SC_, .Lfunc_end759-_Z39paged_attention_ll4mi_QKV_mfma16_kernelI14__hip_bfloat16S0_LN4vllm18Fp8KVCacheDataTypeE0ES0_Li32ELi128ELi256ELb0ELi12EEvPKT_PKT0_S8_ifPKiSA_SA_iPKfiiiPfSD_PS3_PT2_iSC_SC_
                                        ; -- End function
	.section	.AMDGPU.csdata,"",@progbits
; Kernel info:
; codeLenInByte = 4876
; NumSgprs: 48
; NumVgprs: 96
; NumAgprs: 0
; TotalNumVgprs: 96
; ScratchSize: 0
; MemoryBound: 0
; FloatMode: 240
; IeeeMode: 1
; LDSByteSize: 8192 bytes/workgroup (compile time only)
; SGPRBlocks: 5
; VGPRBlocks: 11
; NumSGPRsForWavesPerEU: 48
; NumVGPRsForWavesPerEU: 96
; AccumOffset: 96
; Occupancy: 5
; WaveLimiterHint : 1
; COMPUTE_PGM_RSRC2:SCRATCH_EN: 0
; COMPUTE_PGM_RSRC2:USER_SGPR: 2
; COMPUTE_PGM_RSRC2:TRAP_HANDLER: 0
; COMPUTE_PGM_RSRC2:TGID_X_EN: 1
; COMPUTE_PGM_RSRC2:TGID_Y_EN: 1
; COMPUTE_PGM_RSRC2:TGID_Z_EN: 1
; COMPUTE_PGM_RSRC2:TIDIG_COMP_CNT: 0
; COMPUTE_PGM_RSRC3_GFX90A:ACCUM_OFFSET: 23
; COMPUTE_PGM_RSRC3_GFX90A:TG_SPLIT: 0
	.section	.text._Z39paged_attention_ll4mi_QKV_mfma16_kernelI14__hip_bfloat16S0_LN4vllm18Fp8KVCacheDataTypeE0ES0_Li32ELi128ELi256ELb0ELi13EEvPKT_PKT0_S8_ifPKiSA_SA_iPKfiiiPfSD_PS3_PT2_iSC_SC_,"axG",@progbits,_Z39paged_attention_ll4mi_QKV_mfma16_kernelI14__hip_bfloat16S0_LN4vllm18Fp8KVCacheDataTypeE0ES0_Li32ELi128ELi256ELb0ELi13EEvPKT_PKT0_S8_ifPKiSA_SA_iPKfiiiPfSD_PS3_PT2_iSC_SC_,comdat
	.protected	_Z39paged_attention_ll4mi_QKV_mfma16_kernelI14__hip_bfloat16S0_LN4vllm18Fp8KVCacheDataTypeE0ES0_Li32ELi128ELi256ELb0ELi13EEvPKT_PKT0_S8_ifPKiSA_SA_iPKfiiiPfSD_PS3_PT2_iSC_SC_ ; -- Begin function _Z39paged_attention_ll4mi_QKV_mfma16_kernelI14__hip_bfloat16S0_LN4vllm18Fp8KVCacheDataTypeE0ES0_Li32ELi128ELi256ELb0ELi13EEvPKT_PKT0_S8_ifPKiSA_SA_iPKfiiiPfSD_PS3_PT2_iSC_SC_
	.globl	_Z39paged_attention_ll4mi_QKV_mfma16_kernelI14__hip_bfloat16S0_LN4vllm18Fp8KVCacheDataTypeE0ES0_Li32ELi128ELi256ELb0ELi13EEvPKT_PKT0_S8_ifPKiSA_SA_iPKfiiiPfSD_PS3_PT2_iSC_SC_
	.p2align	8
	.type	_Z39paged_attention_ll4mi_QKV_mfma16_kernelI14__hip_bfloat16S0_LN4vllm18Fp8KVCacheDataTypeE0ES0_Li32ELi128ELi256ELb0ELi13EEvPKT_PKT0_S8_ifPKiSA_SA_iPKfiiiPfSD_PS3_PT2_iSC_SC_,@function
_Z39paged_attention_ll4mi_QKV_mfma16_kernelI14__hip_bfloat16S0_LN4vllm18Fp8KVCacheDataTypeE0ES0_Li32ELi128ELi256ELb0ELi13EEvPKT_PKT0_S8_ifPKiSA_SA_iPKfiiiPfSD_PS3_PT2_iSC_SC_: ; @_Z39paged_attention_ll4mi_QKV_mfma16_kernelI14__hip_bfloat16S0_LN4vllm18Fp8KVCacheDataTypeE0ES0_Li32ELi128ELi256ELb0ELi13EEvPKT_PKT0_S8_ifPKiSA_SA_iPKfiiiPfSD_PS3_PT2_iSC_SC_
; %bb.0:
	s_load_dwordx2 s[8:9], s[0:1], 0x30
	s_mov_b32 s26, s3
	s_mov_b64 s[6:7], 0
	s_waitcnt lgkmcnt(0)
	s_cmp_lg_u64 s[8:9], 0
	s_cselect_b64 s[10:11], -1, 0
	s_and_b64 vcc, exec, s[10:11]
	s_cbranch_vccz .LBB760_7
; %bb.1:
	s_add_i32 s12, s2, 1
	s_mov_b32 s13, 0
	s_lshl_b64 s[14:15], s[12:13], 2
	s_add_u32 s14, s8, s14
	s_mov_b32 s3, s13
	s_addc_u32 s15, s9, s15
	s_lshl_b64 s[12:13], s[2:3], 2
	s_add_u32 s12, s8, s12
	s_addc_u32 s13, s9, s13
	s_load_dword s5, s[14:15], 0x0
	s_load_dword s16, s[12:13], 0x0
	s_waitcnt lgkmcnt(0)
	s_sub_i32 s5, s5, s16
	s_cmp_eq_u32 s5, 1
	s_cselect_b64 s[12:13], -1, 0
	s_andn2_b64 vcc, exec, s[6:7]
	s_cbranch_vccnz .LBB760_3
.LBB760_2:
	s_mov_b32 s3, 0
	s_mov_b64 s[12:13], -1
.LBB760_3:
	s_andn2_b64 vcc, exec, s[12:13]
	s_cbranch_vccnz .LBB760_20
; %bb.4:
	s_load_dwordx2 s[6:7], s[0:1], 0x28
	s_lshl_b64 s[12:13], s[2:3], 2
	s_waitcnt lgkmcnt(0)
	s_add_u32 s6, s6, s12
	s_addc_u32 s7, s7, s13
	s_load_dword s33, s[6:7], 0x0
	s_lshl_b32 s18, s26, 8
	s_waitcnt lgkmcnt(0)
	s_cmp_ge_i32 s18, s33
	s_cbranch_scc1 .LBB760_20
; %bb.5:
	s_load_dwordx2 s[6:7], s[0:1], 0x20
	s_load_dword s5, s[0:1], 0x38
	s_add_i32 s14, s33, 31
	s_ashr_i32 s15, s14, 31
	v_and_b32_e32 v1, 0xcf, v0
	s_lshr_b32 s15, s15, 27
	v_add_u32_e32 v1, s18, v1
	s_add_i32 s14, s14, s15
	v_ashrrev_i32_e32 v2, 31, v1
	s_ashr_i32 s19, s14, 5
	v_lshrrev_b32_e32 v4, 27, v2
	s_add_i32 s19, s19, -1
	s_waitcnt lgkmcnt(0)
	s_mul_i32 s14, s2, s5
	s_mov_b32 s15, 0
	v_add_u32_e32 v2, v1, v4
	s_lshl_b64 s[14:15], s[14:15], 2
	v_ashrrev_i32_e32 v2, 5, v2
	v_mov_b32_e32 v5, s19
	v_cmp_gt_i32_e32 vcc, s33, v1
	s_add_u32 s6, s6, s14
	s_addc_u32 s7, s7, s15
	v_cndmask_b32_e32 v2, v5, v2, vcc
	v_ashrrev_i32_e32 v3, 31, v2
	v_lshl_add_u64 v[6:7], v[2:3], 2, s[6:7]
	v_or_b32_e32 v2, 16, v1
	v_add_u32_e32 v3, v2, v4
	v_ashrrev_i32_e32 v3, 5, v3
	v_cmp_gt_i32_e32 vcc, s33, v2
	s_nop 1
	v_cndmask_b32_e32 v2, v5, v3, vcc
	v_ashrrev_i32_e32 v3, 31, v2
	v_lshl_add_u64 v[8:9], v[2:3], 2, s[6:7]
	v_or_b32_e32 v2, 32, v1
	v_add_u32_e32 v3, v2, v4
	v_ashrrev_i32_e32 v3, 5, v3
	v_cmp_gt_i32_e32 vcc, s33, v2
	v_or_b32_e32 v1, 48, v1
	s_nop 0
	v_cndmask_b32_e32 v2, v5, v3, vcc
	v_ashrrev_i32_e32 v3, 31, v2
	v_lshl_add_u64 v[10:11], v[2:3], 2, s[6:7]
	v_add_u32_e32 v2, v1, v4
	v_ashrrev_i32_e32 v2, 5, v2
	v_cmp_gt_i32_e32 vcc, s33, v1
	s_nop 1
	v_cndmask_b32_e32 v2, v5, v2, vcc
	v_ashrrev_i32_e32 v3, 31, v2
	v_lshl_add_u64 v[12:13], v[2:3], 2, s[6:7]
	global_load_dword v2, v[6:7], off
	global_load_dword v5, v[8:9], off
	;; [unrolled: 1-line block ×4, first 2 shown]
	s_andn2_b64 vcc, exec, s[10:11]
	s_cbranch_vccnz .LBB760_8
; %bb.6:
	s_add_u32 s8, s8, s12
	s_addc_u32 s9, s9, s13
	s_load_dword s5, s[8:9], 0x0
	s_branch .LBB760_9
.LBB760_7:
	s_mov_b64 s[12:13], 0
	s_branch .LBB760_2
.LBB760_8:
	s_mov_b32 s5, s2
.LBB760_9:
	s_load_dwordx4 s[12:15], s[0:1], 0x8
	s_load_dwordx4 s[8:11], s[0:1], 0x48
	v_lshrrev_b32_e32 v86, 6, v0
	v_bfe_u32 v1, v0, 4, 2
	v_lshl_or_b32 v3, v86, 2, v1
	v_and_b32_e32 v76, 15, v0
	v_lshlrev_b32_e32 v74, 3, v76
	v_cmp_lt_u32_e32 vcc, 12, v3
	s_and_saveexec_b64 s[16:17], vcc
	s_xor_b64 s[16:17], exec, s[16:17]
; %bb.10:
	v_mov_b32_e32 v75, 0
                                        ; implicit-def: $vgpr3
; %bb.11:
	s_or_saveexec_b64 s[16:17], s[16:17]
	v_and_b32_e32 v77, 63, v0
	s_mul_i32 s40, s4, 13
	s_xor_b64 exec, exec, s[16:17]
	s_cbranch_execz .LBB760_13
; %bb.12:
	s_load_dwordx2 s[20:21], s[0:1], 0x0
	s_waitcnt lgkmcnt(0)
	s_ashr_i32 s11, s8, 31
	s_mul_hi_u32 s22, s5, s8
	s_mul_i32 s11, s5, s11
	s_add_i32 s23, s22, s11
	s_mul_i32 s22, s5, s8
	s_lshl_b64 s[22:23], s[22:23], 1
	s_add_u32 s20, s20, s22
	v_add_lshl_u32 v6, v3, s40, 7
	s_addc_u32 s21, s21, s23
	v_ashrrev_i32_e32 v7, 31, v6
	v_mov_b32_e32 v75, 0
	v_lshl_add_u64 v[6:7], v[6:7], 1, s[20:21]
	v_lshlrev_b32_e32 v8, 1, v74
	v_mov_b32_e32 v9, v75
	v_lshl_add_u64 v[6:7], v[6:7], 0, v[8:9]
	global_load_dwordx4 v[6:9], v[6:7], off
	v_and_b32_e32 v10, 3, v0
	v_lshlrev_b32_e32 v11, 9, v76
	v_lshlrev_b32_e32 v3, 5, v3
	;; [unrolled: 1-line block ×3, first 2 shown]
	v_and_b32_e32 v11, 0x1800, v11
	v_or3_b32 v3, v11, v10, v3
	s_waitcnt vmcnt(0)
	ds_write_b128 v3, v[6:9]
.LBB760_13:
	s_or_b64 exec, exec, s[16:17]
	s_waitcnt lgkmcnt(0)
	s_mul_i32 s4, s4, s10
	s_mov_b32 s5, 0
	s_lshl_b64 s[4:5], s[4:5], 1
	s_add_u32 s10, s12, s4
	s_addc_u32 s11, s13, s5
	s_waitcnt vmcnt(3)
	v_mad_i64_i32 v[2:3], s[12:13], v2, s9, 0
	v_lshl_add_u64 v[6:7], v[2:3], 1, s[10:11]
	v_lshlrev_b64 v[2:3], 1, v[74:75]
	v_lshlrev_b32_e32 v50, 9, v1
	v_lshl_add_u64 v[6:7], v[6:7], 0, v[2:3]
	v_mov_b32_e32 v51, 0
	v_lshl_add_u64 v[8:9], v[6:7], 0, v[50:51]
	s_load_dword s27, s[0:1], 0x98
	s_load_dword s8, s[0:1], 0x1c
	s_waitcnt lgkmcnt(0)
	s_barrier
	global_load_dwordx4 v[38:41], v[8:9], off
	s_waitcnt vmcnt(3)
	v_mad_i64_i32 v[10:11], s[12:13], v5, s9, 0
	v_mov_b32_e32 v5, 0x100
	v_lshl_add_u64 v[10:11], v[10:11], 1, s[10:11]
	v_lshl_or_b32 v54, v76, 4, v5
	v_mov_b32_e32 v55, v51
	v_lshl_add_u64 v[22:23], v[10:11], 0, v[54:55]
	v_lshl_add_u64 v[10:11], v[22:23], 0, v[50:51]
	global_load_dwordx4 v[42:45], v[10:11], off
	global_load_dwordx4 v[18:21], v[8:9], off offset:2048
	global_load_dwordx4 v[26:29], v[10:11], off offset:2048
	v_or_b32_e32 v56, 0x1000, v50
	v_mov_b32_e32 v57, v51
	v_or_b32_e32 v52, 0x1800, v50
	v_mov_b32_e32 v53, v51
	v_lshl_add_u64 v[8:9], v[6:7], 0, v[56:57]
	v_lshl_add_u64 v[6:7], v[6:7], 0, v[52:53]
	global_load_dwordx4 v[14:17], v[8:9], off
	global_load_dwordx4 v[10:13], v[6:7], off
	v_lshl_add_u64 v[8:9], v[22:23], 0, v[56:57]
	global_load_dwordx4 v[30:33], v[8:9], off
	s_waitcnt vmcnt(8)
	v_mad_i64_i32 v[4:5], s[12:13], v4, s9, 0
	v_lshl_add_u64 v[4:5], v[4:5], 1, s[10:11]
	v_lshl_add_u64 v[60:61], v[4:5], 0, v[2:3]
	v_add_u32_e32 v2, -13, v76
	v_cmp_gt_u32_e32 vcc, 13, v76
	v_lshl_add_u64 v[6:7], v[22:23], 0, v[52:53]
	global_load_dwordx4 v[22:25], v[6:7], off
	v_cndmask_b32_e32 v2, v2, v76, vcc
	v_lshl_add_u64 v[58:59], v[60:61], 0, v[50:51]
	v_lshl_add_u32 v62, v2, 5, v50
	global_load_dwordx4 v[34:37], v[58:59], off
	ds_read_b128 v[6:9], v62
	ds_read_b128 v[2:5], v62 offset:2048
	s_waitcnt vmcnt(9)
	v_mad_i64_i32 v[72:73], s[12:13], v46, s9, 0
	s_ashr_i32 s12, s18, 31
	v_and_or_b32 v80, v0, 48, s18
	v_or_b32_e32 v84, 64, v80
	v_mov_b32_e32 v81, s19
	v_cmp_gt_i32_e32 vcc, s33, v80
	v_or_b32_e32 v85, 0x80, v80
	v_or_b32_e32 v87, 0xc0, v80
	s_mov_b32 s41, 0xff7fffff
	s_waitcnt vmcnt(7) lgkmcnt(1)
	v_mfma_f32_16x16x16_bf16 v[68:71], v[42:43], v[6:7], 0
	v_mfma_f32_16x16x16_bf16 v[64:67], v[38:39], v[6:7], 0
	;; [unrolled: 1-line block ×3, first 2 shown]
	ds_read_b128 v[46:49], v62 offset:4096
	ds_read_b128 v[38:41], v62 offset:6144
	v_lshl_add_u64 v[62:63], v[72:73], 1, s[10:11]
	v_lshl_add_u64 v[82:83], v[62:63], 0, v[54:55]
	v_mfma_f32_16x16x16_bf16 v[42:45], v[44:45], v[8:9], v[68:71]
	v_lshl_add_u64 v[54:55], v[60:61], 0, v[56:57]
	s_lshr_b32 s10, s12, 27
	v_lshl_add_u64 v[78:79], v[82:83], 0, v[56:57]
	s_waitcnt vmcnt(6) lgkmcnt(2)
	v_mfma_f32_16x16x16_bf16 v[62:65], v[18:19], v[2:3], v[64:67]
	v_add_u32_e32 v68, s10, v80
	v_add_u32_e32 v69, s10, v84
	v_lshl_add_u64 v[70:71], v[82:83], 0, v[50:51]
	v_lshl_add_u64 v[66:67], v[60:61], 0, v[52:53]
	global_load_dwordx4 v[58:61], v[58:59], off offset:2048
	s_waitcnt vmcnt(6)
	v_mfma_f32_16x16x16_bf16 v[42:45], v[26:27], v[2:3], v[42:45]
	v_ashrrev_i32_e32 v50, 5, v68
	v_ashrrev_i32_e32 v56, 5, v69
	v_add_u32_e32 v72, s10, v85
	v_mfma_f32_16x16x16_bf16 v[18:21], v[20:21], v[4:5], v[62:65]
	v_add_u32_e32 v73, s10, v87
	s_add_u32 s4, s14, s4
	s_addc_u32 s5, s15, s5
	v_mfma_f32_16x16x16_bf16 v[26:29], v[28:29], v[4:5], v[42:45]
	v_ashrrev_i32_e32 v62, 5, v72
	v_ashrrev_i32_e32 v72, 5, v73
	s_waitcnt vmcnt(5) lgkmcnt(1)
	v_mfma_f32_16x16x16_bf16 v[18:21], v[14:15], v[46:47], v[18:21]
	global_load_dwordx4 v[42:45], v[54:55], off
	v_cndmask_b32_e32 v14, v81, v50, vcc
	v_cmp_gt_i32_e32 vcc, s33, v84
	s_waitcnt vmcnt(4)
	v_mfma_f32_16x16x16_bf16 v[26:29], v[30:31], v[46:47], v[26:29]
	v_ashrrev_i32_e32 v15, 31, v14
	v_cndmask_b32_e32 v30, v81, v56, vcc
	v_ashrrev_i32_e32 v31, 31, v30
	v_lshl_add_u64 v[14:15], v[14:15], 2, s[6:7]
	v_lshl_add_u64 v[30:31], v[30:31], 2, s[6:7]
	global_load_dword v92, v[14:15], off
	global_load_dword v84, v[30:31], off
	v_mfma_f32_16x16x16_bf16 v[14:17], v[16:17], v[48:49], v[18:21]
	v_cmp_gt_i32_e32 vcc, s33, v85
	s_nop 1
	global_load_dwordx4 v[18:21], v[66:67], off
	s_waitcnt lgkmcnt(0)
	v_mfma_f32_16x16x16_bf16 v[14:17], v[10:11], v[38:39], v[14:17]
	v_cndmask_b32_e32 v10, v81, v62, vcc
	v_ashrrev_i32_e32 v11, 31, v10
	v_lshl_add_u64 v[10:11], v[10:11], 2, s[6:7]
	v_mfma_f32_16x16x16_bf16 v[66:69], v[12:13], v[40:41], v[14:17]
	global_load_dword v85, v[10:11], off
	global_load_dwordx4 v[62:65], v[70:71], off offset:2048
	v_cmp_gt_i32_e32 vcc, s33, v87
	v_lshl_add_u64 v[14:15], v[82:83], 0, v[52:53]
	global_load_dwordx4 v[88:91], v[14:15], off
	global_load_dwordx4 v[54:57], v[70:71], off
	v_cndmask_b32_e32 v10, v81, v72, vcc
	global_load_dwordx4 v[78:81], v[78:79], off
	v_ashrrev_i32_e32 v11, 31, v10
	v_lshl_add_u64 v[10:11], v[10:11], 2, s[6:7]
	global_load_dword v93, v[10:11], off
	s_waitcnt vmcnt(11)
	v_mfma_f32_16x16x16_bf16 v[10:13], v[34:35], v[6:7], 0
	v_and_b32_e32 v14, 16, v0
	v_lshlrev_b32_e32 v50, 1, v14
	v_lshl_or_b32 v87, v86, 4, v76
	v_mfma_f32_16x16x16_bf16 v[10:13], v[36:37], v[8:9], v[10:13]
	v_lshl_add_u64 v[36:37], s[4:5], 0, v[50:51]
	v_lshlrev_b32_e32 v50, 6, v87
	v_pk_mul_f32 v[82:83], s[8:9], v[68:69] op_sel_hi:[0,1]
	v_mfma_f32_16x16x16_bf16 v[26:29], v[32:33], v[48:49], v[26:29]
	s_waitcnt vmcnt(8)
	v_mad_i64_i32 v[14:15], s[4:5], v92, s9, 0
	v_mfma_f32_16x16x16_bf16 v[10:13], v[58:59], v[2:3], v[10:13]
	v_lshl_add_u64 v[58:59], v[36:37], 0, v[50:51]
	v_or_b32_e32 v50, 0x1000, v50
	v_mfma_f32_16x16x16_bf16 v[10:13], v[60:61], v[4:5], v[10:13]
	v_lshlrev_b64 v[60:61], 1, v[14:15]
	v_lshl_add_u64 v[14:15], v[58:59], 0, v[60:61]
	v_mfma_f32_16x16x16_bf16 v[10:13], v[42:43], v[46:47], v[10:13]
	v_mfma_f32_16x16x16_bf16 v[10:13], v[44:45], v[48:49], v[10:13]
	;; [unrolled: 1-line block ×3, first 2 shown]
	s_waitcnt vmcnt(6)
	v_mfma_f32_16x16x16_bf16 v[10:13], v[18:19], v[38:39], v[10:13]
	v_mfma_f32_16x16x16_bf16 v[70:73], v[24:25], v[40:41], v[26:29]
	global_load_dwordx4 v[30:33], v[14:15], off
	s_nop 2
	global_load_dwordx4 v[26:29], v[14:15], off offset:16
	v_mad_i64_i32 v[14:15], s[4:5], v84, s9, 0
	v_lshlrev_b64 v[34:35], 1, v[14:15]
	v_mfma_f32_16x16x16_bf16 v[42:45], v[20:21], v[40:41], v[10:13]
	v_pk_mul_f32 v[70:71], s[8:9], v[70:71] op_sel_hi:[0,1]
	s_nop 1
	v_lshl_add_u64 v[10:11], v[58:59], 0, v[34:35]
	global_load_dwordx4 v[22:25], v[10:11], off
	global_load_dwordx4 v[18:21], v[10:11], off offset:16
	s_waitcnt vmcnt(6)
	v_mfma_f32_16x16x16_bf16 v[10:13], v[54:55], v[6:7], 0
	v_mad_i64_i32 v[6:7], s[4:5], v85, s9, 0
	v_lshlrev_b64 v[52:53], 1, v[6:7]
	v_mfma_f32_16x16x16_bf16 v[6:9], v[56:57], v[8:9], v[10:13]
	v_pk_mul_f32 v[84:85], s[8:9], v[72:73] op_sel_hi:[0,1]
	v_mfma_f32_16x16x16_bf16 v[6:9], v[62:63], v[2:3], v[6:9]
	s_waitcnt vmcnt(4)
	v_mad_i64_i32 v[2:3], s[4:5], v93, s9, 0
	v_lshlrev_b64 v[62:63], 1, v[2:3]
	v_mfma_f32_16x16x16_bf16 v[54:57], v[64:65], v[4:5], v[6:9]
	v_lshl_add_u64 v[64:65], v[36:37], 0, v[50:51]
	v_pk_mul_f32 v[50:51], s[8:9], v[66:67] op_sel_hi:[0,1]
	v_lshl_add_u64 v[10:11], v[58:59], 0, v[52:53]
	v_mfma_f32_16x16x16_bf16 v[54:57], v[78:79], v[46:47], v[54:57]
	v_pk_mul_f32 v[78:79], s[8:9], v[42:43] op_sel_hi:[0,1]
	v_lshl_add_u64 v[2:3], v[58:59], 0, v[62:63]
	v_lshl_add_u64 v[58:59], v[64:65], 0, v[60:61]
	v_mfma_f32_16x16x16_bf16 v[46:49], v[80:81], v[48:49], v[54:57]
	v_pk_mul_f32 v[80:81], s[8:9], v[44:45] op_sel_hi:[0,1]
	v_lshl_add_u64 v[34:35], v[64:65], 0, v[34:35]
	v_lshl_add_u64 v[52:53], v[64:65], 0, v[52:53]
	v_mfma_f32_16x16x16_bf16 v[36:39], v[88:89], v[38:39], v[46:49]
	global_load_dwordx4 v[14:17], v[10:11], off
	s_nop 0
	global_load_dwordx4 v[10:13], v[10:11], off offset:16
	s_nop 0
	global_load_dwordx4 v[6:9], v[2:3], off
	s_nop 0
	global_load_dwordx4 v[2:5], v[2:3], off offset:16
	v_mfma_f32_16x16x16_bf16 v[36:39], v[90:91], v[40:41], v[36:39]
	s_nop 6
	v_pk_mul_f32 v[72:73], s[8:9], v[36:37] op_sel_hi:[0,1]
	v_and_b32_e32 v36, 0xc0, v0
	v_add_u32_e32 v36, s18, v36
	v_lshl_or_b32 v36, v1, 2, v36
	v_pk_mul_f32 v[66:67], s[8:9], v[38:39] op_sel_hi:[0,1]
	v_or_b32_e32 v39, 1, v36
	v_mov_b32_e32 v37, 0xff7fffff
	v_cmp_gt_i32_e64 s[28:29], s33, v36
	v_cmp_gt_i32_e64 s[30:31], s33, v39
	v_or_b32_e32 v40, 3, v36
	v_cndmask_b32_e64 v38, v37, v50, s[28:29]
	v_cndmask_b32_e64 v39, v37, v51, s[30:31]
	v_max3_f32 v38, v38, s41, v39
	v_or_b32_e32 v39, 2, v36
	v_cmp_gt_i32_e64 s[34:35], s33, v39
	v_cmp_gt_i32_e64 s[36:37], s33, v40
	s_nop 0
	v_cndmask_b32_e64 v39, v37, v82, s[34:35]
	v_cndmask_b32_e64 v40, v37, v83, s[36:37]
	v_max3_f32 v38, v38, v39, v40
	v_or_b32_e32 v39, 16, v36
	v_or_b32_e32 v40, 17, v36
	v_cmp_gt_i32_e64 s[22:23], s33, v39
	v_cmp_gt_i32_e64 s[24:25], s33, v40
	s_nop 0
	v_cndmask_b32_e64 v39, v37, v70, s[22:23]
	v_cndmask_b32_e64 v40, v37, v71, s[24:25]
	v_max3_f32 v38, v38, v39, v40
	v_or_b32_e32 v39, 18, v36
	;; [unrolled: 8-line block ×6, first 2 shown]
	v_or_b32_e32 v36, 51, v36
	v_cmp_gt_i32_e32 vcc, s33, v39
	v_cmp_gt_i32_e64 s[4:5], s33, v36
	s_nop 0
	v_cndmask_b32_e32 v39, v37, v66, vcc
	v_cndmask_b32_e64 v36, v37, v67, s[4:5]
	v_max3_f32 v54, v38, v39, v36
	v_mbcnt_lo_u32_b32 v36, -1, 0
	v_mbcnt_hi_u32_b32 v55, -1, v36
	v_and_b32_e32 v36, 64, v55
	v_add_u32_e32 v56, 64, v36
	v_xor_b32_e32 v36, 32, v55
	v_cmp_lt_i32_e64 s[38:39], v36, v56
	global_load_dwordx4 v[46:49], v[58:59], off
	global_load_dwordx4 v[38:41], v[58:59], off offset:16
	v_cndmask_b32_e64 v36, v55, v36, s[38:39]
	v_lshlrev_b32_e32 v89, 2, v36
	ds_bpermute_b32 v57, v89, v54
	global_load_dwordx4 v[42:45], v[34:35], off
	s_nop 0
	global_load_dwordx4 v[34:37], v[34:35], off offset:16
	s_waitcnt lgkmcnt(0)
	v_max_f32_e32 v57, v57, v57
	v_max_f32_e32 v68, v54, v57
	v_xor_b32_e32 v54, 16, v55
	v_cmp_lt_i32_e64 s[38:39], v54, v56
	s_nop 1
	v_cndmask_b32_e64 v54, v55, v54, s[38:39]
	v_lshlrev_b32_e32 v90, 2, v54
	ds_bpermute_b32 v69, v90, v68
	global_load_dwordx4 v[58:61], v[52:53], off
	global_load_dwordx4 v[54:57], v[52:53], off offset:16
	v_lshl_add_u64 v[52:53], v[64:65], 0, v[62:63]
	s_waitcnt lgkmcnt(0)
	v_max_f32_e32 v62, v69, v69
	v_max_f32_e32 v88, v68, v62
	v_sub_f32_e32 v50, v50, v88
	v_mul_f32_e32 v50, 0x3fb8aa3b, v50
	v_exp_f32_e32 v68, v50
	v_sub_f32_e32 v50, v51, v88
	v_mul_f32_e32 v50, 0x3fb8aa3b, v50
	v_exp_f32_e32 v69, v50
	global_load_dwordx4 v[62:65], v[52:53], off
	s_nop 0
	global_load_dwordx4 v[50:53], v[52:53], off offset:16
	v_sub_f32_e32 v82, v82, v88
	v_mul_f32_e32 v82, 0x3fb8aa3b, v82
	v_sub_f32_e32 v83, v83, v88
	v_exp_f32_e32 v82, v82
	v_mul_f32_e32 v83, 0x3fb8aa3b, v83
	v_sub_f32_e32 v70, v70, v88
	v_exp_f32_e32 v83, v83
	v_mul_f32_e32 v70, 0x3fb8aa3b, v70
	v_sub_f32_e32 v71, v71, v88
	v_cndmask_b32_e64 v68, 0, v68, s[28:29]
	v_exp_f32_e32 v70, v70
	v_mul_f32_e32 v71, 0x3fb8aa3b, v71
	v_sub_f32_e32 v84, v84, v88
	v_add_f32_e32 v91, 0, v68
	v_cndmask_b32_e64 v69, 0, v69, s[30:31]
	v_exp_f32_e32 v71, v71
	v_mul_f32_e32 v84, 0x3fb8aa3b, v84
	v_sub_f32_e32 v85, v85, v88
	v_add_f32_e32 v91, v91, v69
	;; [unrolled: 5-line block ×10, first 2 shown]
	v_cndmask_b32_e64 v80, 0, v80, s[10:11]
	v_exp_f32_e32 v66, v66
	v_mul_f32_e32 v67, 0x3fb8aa3b, v67
	v_add_f32_e32 v91, v91, v80
	v_cndmask_b32_e64 v81, 0, v81, s[12:13]
	v_exp_f32_e32 v67, v67
	v_add_f32_e32 v91, v91, v81
	v_cndmask_b32_e64 v72, 0, v72, s[6:7]
	v_add_f32_e32 v91, v91, v72
	v_cndmask_b32_e64 v73, 0, v73, s[8:9]
	v_add_f32_e32 v91, v91, v73
	v_cndmask_b32_e32 v66, 0, v66, vcc
	v_add_f32_e32 v91, v91, v66
	v_cndmask_b32_e64 v67, 0, v67, s[4:5]
	v_add_f32_e32 v91, v91, v67
	ds_bpermute_b32 v89, v89, v91
	v_cmp_gt_u32_e64 s[4:5], 16, v77
	s_waitcnt lgkmcnt(0)
	s_barrier
	v_add_f32_e32 v89, v91, v89
	ds_bpermute_b32 v90, v90, v89
	s_and_saveexec_b64 s[6:7], s[4:5]
	s_cbranch_execz .LBB760_15
; %bb.14:
	s_waitcnt lgkmcnt(0)
	v_add_f32_e32 v77, v89, v90
	v_lshlrev_b32_e32 v87, 2, v87
	ds_write2st64_b32 v87, v88, v77 offset1:1
.LBB760_15:
	s_or_b64 exec, exec, s[6:7]
	v_lshlrev_b32_e32 v77, 2, v76
	s_load_dword s8, s[0:1], 0x94
	s_waitcnt lgkmcnt(0)
	s_barrier
	ds_read2_b32 v[88:89], v77 offset1:16
	ds_read2_b32 v[90:91], v77 offset0:32 offset1:48
	ds_read2_b32 v[92:93], v77 offset0:64 offset1:80
	;; [unrolled: 1-line block ×3, first 2 shown]
	s_movk_i32 s10, 0x7fff
	s_waitcnt lgkmcnt(3)
	v_max3_f32 v87, v88, s41, v89
	s_waitcnt lgkmcnt(2)
	v_max3_f32 v87, v87, v90, v91
	v_sub_f32_e32 v88, v88, v87
	v_mul_f32_e32 v88, 0x3fb8aa3b, v88
	v_exp_f32_e32 v86, v88
	v_sub_f32_e32 v88, v89, v87
	v_mul_f32_e32 v88, 0x3fb8aa3b, v88
	v_exp_f32_e32 v89, v88
	v_sub_f32_e32 v88, v90, v87
	v_mul_f32_e32 v88, 0x3fb8aa3b, v88
	v_sub_f32_e32 v77, v91, v87
	v_exp_f32_e32 v90, v88
	v_mul_f32_e32 v77, 0x3fb8aa3b, v77
	v_exp_f32_e32 v77, v77
	s_waitcnt lgkmcnt(1)
	v_fma_f32 v88, v86, v92, 0
	v_fmac_f32_e32 v88, v89, v93
	s_waitcnt lgkmcnt(0)
	v_fmac_f32_e32 v88, v90, v94
	v_fmac_f32_e32 v88, v77, v95
	v_add_f32_e32 v91, 0x358637bd, v88
	v_div_scale_f32 v92, s[6:7], v91, v91, 1.0
	v_rcp_f32_e32 v93, v92
	s_mov_b32 s11, 0x7060302
	s_barrier
	v_fma_f32 v94, -v92, v93, 1.0
	v_fmac_f32_e32 v93, v94, v93
	v_div_scale_f32 v94, vcc, 1.0, v91, 1.0
	v_mul_f32_e32 v95, v94, v93
	v_fma_f32 v1, -v92, v95, v94
	v_fmac_f32_e32 v95, v1, v93
	v_fma_f32 v1, -v92, v95, v94
	v_div_fmas_f32 v1, v1, v93, v95
	v_div_fixup_f32 v1, v1, v91, 1.0
	v_lshrrev_b32_e32 v91, 6, v0
	v_cmp_eq_u32_e32 vcc, 1, v91
	s_mul_i32 s9, s27, 13
	s_nop 0
	v_cndmask_b32_e32 v86, v86, v89, vcc
	v_cmp_eq_u32_e32 vcc, 2, v91
	s_nop 1
	v_cndmask_b32_e32 v86, v86, v90, vcc
	v_cmp_eq_u32_e32 vcc, 3, v91
	s_nop 1
	v_cndmask_b32_e32 v77, v86, v77, vcc
	v_mul_f32_e32 v90, v77, v1
	v_pk_mul_f32 v[68:69], v[90:91], v[68:69] op_sel_hi:[0,1]
	v_bfe_u32 v1, v69, 16, 1
	v_bfe_u32 v77, v68, 16, 1
	v_pk_mul_f32 v[82:83], v[90:91], v[82:83] op_sel_hi:[0,1]
	v_add3_u32 v68, v68, v77, s10
	v_add3_u32 v1, v69, v1, s10
	v_perm_b32 v92, v1, v68, s11
	v_bfe_u32 v1, v83, 16, 1
	v_bfe_u32 v68, v82, 16, 1
	v_add3_u32 v68, v82, v68, s10
	v_add3_u32 v1, v83, v1, s10
	v_bfe_u32 v86, v0, 4, 2
	v_perm_b32 v93, v1, v68, s11
	v_lshlrev_b32_e32 v1, 3, v86
	v_lshlrev_b32_e32 v68, 5, v76
	;; [unrolled: 1-line block ×3, first 2 shown]
	v_pk_mul_f32 v[70:71], v[90:91], v[70:71] op_sel_hi:[0,1]
	v_or3_b32 v1, v69, v68, v1
	v_bfe_u32 v69, v71, 16, 1
	v_bfe_u32 v77, v70, 16, 1
	v_pk_mul_f32 v[82:83], v[90:91], v[84:85] op_sel_hi:[0,1]
	v_add3_u32 v70, v70, v77, s10
	v_add3_u32 v69, v71, v69, s10
	v_perm_b32 v70, v69, v70, s11
	v_bfe_u32 v69, v83, 16, 1
	v_bfe_u32 v71, v82, 16, 1
	v_add3_u32 v71, v82, v71, s10
	v_add3_u32 v69, v83, v69, s10
	v_pk_mul_f32 v[78:79], v[90:91], v[78:79] op_sel_hi:[0,1]
	v_perm_b32 v71, v69, v71, s11
	v_bfe_u32 v69, v79, 16, 1
	v_bfe_u32 v77, v78, 16, 1
	ds_write2st64_b64 v1, v[92:93], v[70:71] offset1:1
	v_pk_mul_f32 v[70:71], v[90:91], v[80:81] op_sel_hi:[0,1]
	v_add3_u32 v77, v78, v77, s10
	v_add3_u32 v69, v79, v69, s10
	v_perm_b32 v78, v69, v77, s11
	v_bfe_u32 v69, v71, 16, 1
	v_bfe_u32 v77, v70, 16, 1
	v_add3_u32 v70, v70, v77, s10
	v_add3_u32 v69, v71, v69, s10
	v_perm_b32 v79, v69, v70, s11
	v_pk_mul_f32 v[70:71], v[90:91], v[72:73] op_sel_hi:[0,1]
	v_bfe_u32 v69, v71, 16, 1
	v_bfe_u32 v72, v70, 16, 1
	v_pk_mul_f32 v[66:67], v[90:91], v[66:67] op_sel_hi:[0,1]
	v_add3_u32 v70, v70, v72, s10
	v_add3_u32 v69, v71, v69, s10
	v_perm_b32 v70, v69, v70, s11
	v_bfe_u32 v69, v67, 16, 1
	v_bfe_u32 v71, v66, 16, 1
	v_add3_u32 v66, v66, v71, s10
	v_add3_u32 v67, v67, v69, s10
	v_perm_b32 v71, v67, v66, s11
	v_cmp_gt_u32_e32 vcc, 13, v0
	ds_write2st64_b64 v1, v[78:79], v[70:71] offset0:2 offset1:3
	s_and_saveexec_b64 s[6:7], vcc
	s_cbranch_execz .LBB760_17
; %bb.16:
	s_mov_b32 s41, 0
	v_mov_b32_e32 v77, 0
	v_lshl_add_u64 v[66:67], s[40:41], 0, v[76:77]
	v_mov_b32_e32 v69, s9
	v_mad_u64_u32 v[66:67], s[16:17], s2, v69, v[66:67]
	s_mul_i32 s3, s3, s9
	v_mov_b32_e32 v70, s26
	v_mov_b32_e32 v71, v77
	s_load_dwordx4 s[12:15], s[0:1], 0x58
	v_add_u32_e32 v69, s3, v67
	v_mad_u64_u32 v[66:67], s[16:17], v66, s8, v[70:71]
	v_mov_b32_e32 v70, v67
	v_mad_u64_u32 v[70:71], s[16:17], v69, s8, v[70:71]
	v_mov_b32_e32 v67, v70
	v_lshlrev_b64 v[66:67], 2, v[66:67]
	s_waitcnt lgkmcnt(0)
	v_lshl_add_u64 v[70:71], s[14:15], 0, v[66:67]
	v_lshl_add_u64 v[66:67], s[12:13], 0, v[66:67]
	global_store_dword v[70:71], v87, off
	global_store_dword v[66:67], v88, off
.LBB760_17:
	s_or_b64 exec, exec, s[6:7]
	v_lshl_or_b32 v77, v86, 9, v68
	s_waitcnt lgkmcnt(0)
	s_barrier
	ds_read_b128 v[70:73], v77
	ds_read_b128 v[66:69], v77 offset:16
	s_waitcnt vmcnt(15) lgkmcnt(1)
	v_mfma_f32_16x16x16_bf16 v[78:81], v[30:31], v[70:71], 0
	s_mov_b32 s3, 0
	v_cmp_gt_u32_e32 vcc, 64, v0
	v_mfma_f32_16x16x16_bf16 v[30:33], v[32:33], v[72:73], v[78:81]
	s_waitcnt vmcnt(14) lgkmcnt(0)
	v_mfma_f32_16x16x16_bf16 v[30:33], v[26:27], v[66:67], v[30:33]
	v_mfma_f32_16x16x16_bf16 v[26:29], v[28:29], v[68:69], v[30:33]
	s_nop 5
	ds_read_b128 v[30:33], v77 offset:2048
	ds_read_b128 v[78:81], v77 offset:2064
	s_waitcnt vmcnt(13) lgkmcnt(1)
	v_mfma_f32_16x16x16_bf16 v[26:29], v[22:23], v[30:31], v[26:29]
	v_mfma_f32_16x16x16_bf16 v[22:25], v[24:25], v[32:33], v[26:29]
	s_waitcnt vmcnt(12) lgkmcnt(0)
	v_mfma_f32_16x16x16_bf16 v[22:25], v[18:19], v[78:79], v[22:25]
	v_mfma_f32_16x16x16_bf16 v[18:21], v[20:21], v[80:81], v[22:25]
	s_nop 5
	ds_read_b128 v[22:25], v77 offset:4096
	ds_read_b128 v[26:29], v77 offset:4112
	s_waitcnt vmcnt(11) lgkmcnt(1)
	v_mfma_f32_16x16x16_bf16 v[18:21], v[14:15], v[22:23], v[18:21]
	v_mfma_f32_16x16x16_bf16 v[14:17], v[16:17], v[24:25], v[18:21]
	s_waitcnt vmcnt(10) lgkmcnt(0)
	v_mfma_f32_16x16x16_bf16 v[14:17], v[10:11], v[26:27], v[14:17]
	v_mfma_f32_16x16x16_bf16 v[10:13], v[12:13], v[28:29], v[14:17]
	s_nop 5
	ds_read_b128 v[14:17], v77 offset:6144
	ds_read_b128 v[18:21], v77 offset:6160
	s_waitcnt lgkmcnt(0)
	s_barrier
	s_waitcnt vmcnt(9)
	v_mfma_f32_16x16x16_bf16 v[10:13], v[6:7], v[14:15], v[10:13]
	v_mfma_f32_16x16x16_bf16 v[6:9], v[8:9], v[16:17], v[10:13]
	s_waitcnt vmcnt(8)
	v_mfma_f32_16x16x16_bf16 v[6:9], v[2:3], v[18:19], v[6:9]
	v_mfma_f32_16x16x16_bf16 v[2:5], v[4:5], v[20:21], v[6:9]
	;; [unrolled: 3-line block ×3, first 2 shown]
	s_nop 3
	v_bfe_u32 v10, v3, 16, 1
	v_bfe_u32 v11, v2, 16, 1
	v_add3_u32 v2, v2, v11, s10
	s_waitcnt vmcnt(6)
	v_mfma_f32_16x16x16_bf16 v[6:9], v[38:39], v[66:67], v[6:9]
	v_add3_u32 v3, v3, v10, s10
	v_perm_b32 v10, v3, v2, s11
	v_bfe_u32 v2, v5, 16, 1
	v_mfma_f32_16x16x16_bf16 v[6:9], v[40:41], v[68:69], v[6:9]
	v_bfe_u32 v3, v4, 16, 1
	v_add3_u32 v3, v4, v3, s10
	v_add3_u32 v2, v5, v2, s10
	s_waitcnt vmcnt(5)
	v_mfma_f32_16x16x16_bf16 v[6:9], v[42:43], v[30:31], v[6:9]
	v_perm_b32 v11, v2, v3, s11
	v_mfma_f32_16x16x16_bf16 v[6:9], v[44:45], v[32:33], v[6:9]
	s_waitcnt vmcnt(4)
	v_mfma_f32_16x16x16_bf16 v[6:9], v[34:35], v[78:79], v[6:9]
	v_mfma_f32_16x16x16_bf16 v[6:9], v[36:37], v[80:81], v[6:9]
	s_waitcnt vmcnt(3)
	v_mfma_f32_16x16x16_bf16 v[6:9], v[58:59], v[22:23], v[6:9]
	;; [unrolled: 3-line block ×5, first 2 shown]
	v_mfma_f32_16x16x16_bf16 v[2:5], v[52:53], v[20:21], v[6:9]
	s_nop 6
	v_bfe_u32 v6, v3, 16, 1
	v_bfe_u32 v7, v2, 16, 1
	v_add3_u32 v2, v2, v7, s10
	v_add3_u32 v3, v3, v6, s10
	v_perm_b32 v2, v3, v2, s11
	v_bfe_u32 v3, v5, 16, 1
	v_bfe_u32 v6, v4, 16, 1
	v_add3_u32 v4, v4, v6, s10
	v_add3_u32 v3, v5, v3, s10
	v_perm_b32 v3, v3, v4, s11
	ds_write2st64_b64 v1, v[10:11], v[2:3] offset1:1
	s_waitcnt lgkmcnt(0)
	s_barrier
	s_and_saveexec_b64 s[6:7], vcc
	s_cbranch_execz .LBB760_20
; %bb.18:
	s_load_dwordx2 s[6:7], s[0:1], 0x68
	s_lshl_b32 s0, s8, 7
	s_mul_i32 s1, s9, s2
	v_lshlrev_b32_e32 v3, 6, v76
	s_mul_hi_u32 s9, s1, s0
	s_mul_i32 s8, s1, s0
	v_lshlrev_b32_e32 v2, 4, v0
	v_lshl_or_b32 v0, v0, 10, v3
	s_lshl_b64 s[8:9], s[8:9], 1
	v_lshlrev_b32_e32 v1, 5, v86
	v_and_b32_e32 v2, 16, v2
	v_and_b32_e32 v0, 0x1a00, v0
	s_waitcnt lgkmcnt(0)
	s_add_u32 s1, s6, s8
	v_or3_b32 v2, v0, v1, v2
	s_addc_u32 s6, s7, s9
	s_lshl_b32 s2, s26, 7
	ds_read_b128 v[4:7], v2 offset:256
	s_lshl_b64 s[2:3], s[2:3], 1
	ds_read_b128 v[8:11], v2 offset:128
	ds_read_b128 v[12:15], v2
	s_add_u32 s2, s1, s2
	s_addc_u32 s3, s6, s3
	v_add_u32_e32 v3, s40, v86
	v_lshl_add_u64 v[0:1], v[74:75], 1, s[2:3]
	v_mad_u64_u32 v[16:17], s[2:3], v3, s0, 0
	v_lshl_add_u64 v[16:17], v[16:17], 1, v[0:1]
	s_waitcnt lgkmcnt(0)
	global_store_dwordx4 v[16:17], v[12:15], off
	s_nop 1
	v_add_u32_e32 v12, 4, v3
	v_mad_u64_u32 v[12:13], s[2:3], v12, s0, 0
	v_lshl_add_u64 v[12:13], v[12:13], 1, v[0:1]
	v_add_u32_e32 v3, 8, v3
	global_store_dwordx4 v[12:13], v[8:11], off
	s_nop 1
	v_mad_u64_u32 v[8:9], s[2:3], v3, s0, 0
	v_lshl_add_u64 v[8:9], v[8:9], 1, v[0:1]
	global_store_dwordx4 v[8:9], v[4:7], off
	s_and_b64 exec, exec, s[4:5]
	s_cbranch_execz .LBB760_20
; %bb.19:
	ds_read_b128 v[2:5], v2 offset:384
	v_add3_u32 v6, s40, v86, 12
	v_mad_u64_u32 v[6:7], s[0:1], v6, s0, 0
	v_lshl_add_u64 v[0:1], v[6:7], 1, v[0:1]
	s_waitcnt lgkmcnt(0)
	global_store_dwordx4 v[0:1], v[2:5], off
.LBB760_20:
	s_endpgm
	.section	.rodata,"a",@progbits
	.p2align	6, 0x0
	.amdhsa_kernel _Z39paged_attention_ll4mi_QKV_mfma16_kernelI14__hip_bfloat16S0_LN4vllm18Fp8KVCacheDataTypeE0ES0_Li32ELi128ELi256ELb0ELi13EEvPKT_PKT0_S8_ifPKiSA_SA_iPKfiiiPfSD_PS3_PT2_iSC_SC_
		.amdhsa_group_segment_fixed_size 8192
		.amdhsa_private_segment_fixed_size 0
		.amdhsa_kernarg_size 400
		.amdhsa_user_sgpr_count 2
		.amdhsa_user_sgpr_dispatch_ptr 0
		.amdhsa_user_sgpr_queue_ptr 0
		.amdhsa_user_sgpr_kernarg_segment_ptr 1
		.amdhsa_user_sgpr_dispatch_id 0
		.amdhsa_user_sgpr_kernarg_preload_length 0
		.amdhsa_user_sgpr_kernarg_preload_offset 0
		.amdhsa_user_sgpr_private_segment_size 0
		.amdhsa_uses_dynamic_stack 0
		.amdhsa_enable_private_segment 0
		.amdhsa_system_sgpr_workgroup_id_x 1
		.amdhsa_system_sgpr_workgroup_id_y 1
		.amdhsa_system_sgpr_workgroup_id_z 1
		.amdhsa_system_sgpr_workgroup_info 0
		.amdhsa_system_vgpr_workitem_id 0
		.amdhsa_next_free_vgpr 96
		.amdhsa_next_free_sgpr 42
		.amdhsa_accum_offset 96
		.amdhsa_reserve_vcc 1
		.amdhsa_float_round_mode_32 0
		.amdhsa_float_round_mode_16_64 0
		.amdhsa_float_denorm_mode_32 3
		.amdhsa_float_denorm_mode_16_64 3
		.amdhsa_dx10_clamp 1
		.amdhsa_ieee_mode 1
		.amdhsa_fp16_overflow 0
		.amdhsa_tg_split 0
		.amdhsa_exception_fp_ieee_invalid_op 0
		.amdhsa_exception_fp_denorm_src 0
		.amdhsa_exception_fp_ieee_div_zero 0
		.amdhsa_exception_fp_ieee_overflow 0
		.amdhsa_exception_fp_ieee_underflow 0
		.amdhsa_exception_fp_ieee_inexact 0
		.amdhsa_exception_int_div_zero 0
	.end_amdhsa_kernel
	.section	.text._Z39paged_attention_ll4mi_QKV_mfma16_kernelI14__hip_bfloat16S0_LN4vllm18Fp8KVCacheDataTypeE0ES0_Li32ELi128ELi256ELb0ELi13EEvPKT_PKT0_S8_ifPKiSA_SA_iPKfiiiPfSD_PS3_PT2_iSC_SC_,"axG",@progbits,_Z39paged_attention_ll4mi_QKV_mfma16_kernelI14__hip_bfloat16S0_LN4vllm18Fp8KVCacheDataTypeE0ES0_Li32ELi128ELi256ELb0ELi13EEvPKT_PKT0_S8_ifPKiSA_SA_iPKfiiiPfSD_PS3_PT2_iSC_SC_,comdat
.Lfunc_end760:
	.size	_Z39paged_attention_ll4mi_QKV_mfma16_kernelI14__hip_bfloat16S0_LN4vllm18Fp8KVCacheDataTypeE0ES0_Li32ELi128ELi256ELb0ELi13EEvPKT_PKT0_S8_ifPKiSA_SA_iPKfiiiPfSD_PS3_PT2_iSC_SC_, .Lfunc_end760-_Z39paged_attention_ll4mi_QKV_mfma16_kernelI14__hip_bfloat16S0_LN4vllm18Fp8KVCacheDataTypeE0ES0_Li32ELi128ELi256ELb0ELi13EEvPKT_PKT0_S8_ifPKiSA_SA_iPKfiiiPfSD_PS3_PT2_iSC_SC_
                                        ; -- End function
	.section	.AMDGPU.csdata,"",@progbits
; Kernel info:
; codeLenInByte = 4928
; NumSgprs: 48
; NumVgprs: 96
; NumAgprs: 0
; TotalNumVgprs: 96
; ScratchSize: 0
; MemoryBound: 0
; FloatMode: 240
; IeeeMode: 1
; LDSByteSize: 8192 bytes/workgroup (compile time only)
; SGPRBlocks: 5
; VGPRBlocks: 11
; NumSGPRsForWavesPerEU: 48
; NumVGPRsForWavesPerEU: 96
; AccumOffset: 96
; Occupancy: 5
; WaveLimiterHint : 1
; COMPUTE_PGM_RSRC2:SCRATCH_EN: 0
; COMPUTE_PGM_RSRC2:USER_SGPR: 2
; COMPUTE_PGM_RSRC2:TRAP_HANDLER: 0
; COMPUTE_PGM_RSRC2:TGID_X_EN: 1
; COMPUTE_PGM_RSRC2:TGID_Y_EN: 1
; COMPUTE_PGM_RSRC2:TGID_Z_EN: 1
; COMPUTE_PGM_RSRC2:TIDIG_COMP_CNT: 0
; COMPUTE_PGM_RSRC3_GFX90A:ACCUM_OFFSET: 23
; COMPUTE_PGM_RSRC3_GFX90A:TG_SPLIT: 0
	.section	.text._Z39paged_attention_ll4mi_QKV_mfma16_kernelI14__hip_bfloat16S0_LN4vllm18Fp8KVCacheDataTypeE0ES0_Li32ELi128ELi256ELb0ELi14EEvPKT_PKT0_S8_ifPKiSA_SA_iPKfiiiPfSD_PS3_PT2_iSC_SC_,"axG",@progbits,_Z39paged_attention_ll4mi_QKV_mfma16_kernelI14__hip_bfloat16S0_LN4vllm18Fp8KVCacheDataTypeE0ES0_Li32ELi128ELi256ELb0ELi14EEvPKT_PKT0_S8_ifPKiSA_SA_iPKfiiiPfSD_PS3_PT2_iSC_SC_,comdat
	.protected	_Z39paged_attention_ll4mi_QKV_mfma16_kernelI14__hip_bfloat16S0_LN4vllm18Fp8KVCacheDataTypeE0ES0_Li32ELi128ELi256ELb0ELi14EEvPKT_PKT0_S8_ifPKiSA_SA_iPKfiiiPfSD_PS3_PT2_iSC_SC_ ; -- Begin function _Z39paged_attention_ll4mi_QKV_mfma16_kernelI14__hip_bfloat16S0_LN4vllm18Fp8KVCacheDataTypeE0ES0_Li32ELi128ELi256ELb0ELi14EEvPKT_PKT0_S8_ifPKiSA_SA_iPKfiiiPfSD_PS3_PT2_iSC_SC_
	.globl	_Z39paged_attention_ll4mi_QKV_mfma16_kernelI14__hip_bfloat16S0_LN4vllm18Fp8KVCacheDataTypeE0ES0_Li32ELi128ELi256ELb0ELi14EEvPKT_PKT0_S8_ifPKiSA_SA_iPKfiiiPfSD_PS3_PT2_iSC_SC_
	.p2align	8
	.type	_Z39paged_attention_ll4mi_QKV_mfma16_kernelI14__hip_bfloat16S0_LN4vllm18Fp8KVCacheDataTypeE0ES0_Li32ELi128ELi256ELb0ELi14EEvPKT_PKT0_S8_ifPKiSA_SA_iPKfiiiPfSD_PS3_PT2_iSC_SC_,@function
_Z39paged_attention_ll4mi_QKV_mfma16_kernelI14__hip_bfloat16S0_LN4vllm18Fp8KVCacheDataTypeE0ES0_Li32ELi128ELi256ELb0ELi14EEvPKT_PKT0_S8_ifPKiSA_SA_iPKfiiiPfSD_PS3_PT2_iSC_SC_: ; @_Z39paged_attention_ll4mi_QKV_mfma16_kernelI14__hip_bfloat16S0_LN4vllm18Fp8KVCacheDataTypeE0ES0_Li32ELi128ELi256ELb0ELi14EEvPKT_PKT0_S8_ifPKiSA_SA_iPKfiiiPfSD_PS3_PT2_iSC_SC_
; %bb.0:
	s_load_dwordx2 s[8:9], s[0:1], 0x30
	s_mov_b32 s26, s3
	s_mov_b64 s[6:7], 0
	s_waitcnt lgkmcnt(0)
	s_cmp_lg_u64 s[8:9], 0
	s_cselect_b64 s[10:11], -1, 0
	s_and_b64 vcc, exec, s[10:11]
	s_cbranch_vccz .LBB761_7
; %bb.1:
	s_add_i32 s12, s2, 1
	s_mov_b32 s13, 0
	s_lshl_b64 s[14:15], s[12:13], 2
	s_add_u32 s14, s8, s14
	s_mov_b32 s3, s13
	s_addc_u32 s15, s9, s15
	s_lshl_b64 s[12:13], s[2:3], 2
	s_add_u32 s12, s8, s12
	s_addc_u32 s13, s9, s13
	s_load_dword s5, s[14:15], 0x0
	s_load_dword s16, s[12:13], 0x0
	s_waitcnt lgkmcnt(0)
	s_sub_i32 s5, s5, s16
	s_cmp_eq_u32 s5, 1
	s_cselect_b64 s[12:13], -1, 0
	s_andn2_b64 vcc, exec, s[6:7]
	s_cbranch_vccnz .LBB761_3
.LBB761_2:
	s_mov_b32 s3, 0
	s_mov_b64 s[12:13], -1
.LBB761_3:
	s_andn2_b64 vcc, exec, s[12:13]
	s_cbranch_vccnz .LBB761_20
; %bb.4:
	s_load_dwordx2 s[6:7], s[0:1], 0x28
	s_lshl_b64 s[12:13], s[2:3], 2
	s_waitcnt lgkmcnt(0)
	s_add_u32 s6, s6, s12
	s_addc_u32 s7, s7, s13
	s_load_dword s33, s[6:7], 0x0
	s_lshl_b32 s18, s26, 8
	s_waitcnt lgkmcnt(0)
	s_cmp_ge_i32 s18, s33
	s_cbranch_scc1 .LBB761_20
; %bb.5:
	s_load_dwordx2 s[6:7], s[0:1], 0x20
	s_load_dword s5, s[0:1], 0x38
	s_add_i32 s14, s33, 31
	s_ashr_i32 s15, s14, 31
	v_and_b32_e32 v1, 0xcf, v0
	s_lshr_b32 s15, s15, 27
	v_add_u32_e32 v1, s18, v1
	s_add_i32 s14, s14, s15
	v_ashrrev_i32_e32 v2, 31, v1
	s_ashr_i32 s19, s14, 5
	v_lshrrev_b32_e32 v4, 27, v2
	s_add_i32 s19, s19, -1
	s_waitcnt lgkmcnt(0)
	s_mul_i32 s14, s2, s5
	s_mov_b32 s15, 0
	v_add_u32_e32 v2, v1, v4
	s_lshl_b64 s[14:15], s[14:15], 2
	v_ashrrev_i32_e32 v2, 5, v2
	v_mov_b32_e32 v5, s19
	v_cmp_gt_i32_e32 vcc, s33, v1
	s_add_u32 s6, s6, s14
	s_addc_u32 s7, s7, s15
	v_cndmask_b32_e32 v2, v5, v2, vcc
	v_ashrrev_i32_e32 v3, 31, v2
	v_lshl_add_u64 v[6:7], v[2:3], 2, s[6:7]
	v_or_b32_e32 v2, 16, v1
	v_add_u32_e32 v3, v2, v4
	v_ashrrev_i32_e32 v3, 5, v3
	v_cmp_gt_i32_e32 vcc, s33, v2
	s_nop 1
	v_cndmask_b32_e32 v2, v5, v3, vcc
	v_ashrrev_i32_e32 v3, 31, v2
	v_lshl_add_u64 v[8:9], v[2:3], 2, s[6:7]
	v_or_b32_e32 v2, 32, v1
	v_add_u32_e32 v3, v2, v4
	v_ashrrev_i32_e32 v3, 5, v3
	v_cmp_gt_i32_e32 vcc, s33, v2
	v_or_b32_e32 v1, 48, v1
	s_nop 0
	v_cndmask_b32_e32 v2, v5, v3, vcc
	v_ashrrev_i32_e32 v3, 31, v2
	v_lshl_add_u64 v[10:11], v[2:3], 2, s[6:7]
	v_add_u32_e32 v2, v1, v4
	v_ashrrev_i32_e32 v2, 5, v2
	v_cmp_gt_i32_e32 vcc, s33, v1
	s_nop 1
	v_cndmask_b32_e32 v2, v5, v2, vcc
	v_ashrrev_i32_e32 v3, 31, v2
	v_lshl_add_u64 v[12:13], v[2:3], 2, s[6:7]
	global_load_dword v2, v[6:7], off
	global_load_dword v5, v[8:9], off
	;; [unrolled: 1-line block ×4, first 2 shown]
	s_andn2_b64 vcc, exec, s[10:11]
	s_cbranch_vccnz .LBB761_8
; %bb.6:
	s_add_u32 s8, s8, s12
	s_addc_u32 s9, s9, s13
	s_load_dword s5, s[8:9], 0x0
	s_branch .LBB761_9
.LBB761_7:
	s_mov_b64 s[12:13], 0
	s_branch .LBB761_2
.LBB761_8:
	s_mov_b32 s5, s2
.LBB761_9:
	s_load_dwordx4 s[12:15], s[0:1], 0x8
	s_load_dwordx4 s[8:11], s[0:1], 0x48
	v_lshrrev_b32_e32 v86, 6, v0
	v_bfe_u32 v1, v0, 4, 2
	v_lshl_or_b32 v3, v86, 2, v1
	v_and_b32_e32 v76, 15, v0
	v_lshlrev_b32_e32 v74, 3, v76
	v_cmp_lt_u32_e32 vcc, 13, v3
	s_and_saveexec_b64 s[16:17], vcc
	s_xor_b64 s[16:17], exec, s[16:17]
; %bb.10:
	v_mov_b32_e32 v75, 0
                                        ; implicit-def: $vgpr3
; %bb.11:
	s_or_saveexec_b64 s[16:17], s[16:17]
	v_and_b32_e32 v77, 63, v0
	s_mul_i32 s40, s4, 14
	s_xor_b64 exec, exec, s[16:17]
	s_cbranch_execz .LBB761_13
; %bb.12:
	s_load_dwordx2 s[20:21], s[0:1], 0x0
	s_waitcnt lgkmcnt(0)
	s_ashr_i32 s11, s8, 31
	s_mul_hi_u32 s22, s5, s8
	s_mul_i32 s11, s5, s11
	s_add_i32 s23, s22, s11
	s_mul_i32 s22, s5, s8
	s_lshl_b64 s[22:23], s[22:23], 1
	s_add_u32 s20, s20, s22
	v_add_lshl_u32 v6, v3, s40, 7
	s_addc_u32 s21, s21, s23
	v_ashrrev_i32_e32 v7, 31, v6
	v_mov_b32_e32 v75, 0
	v_lshl_add_u64 v[6:7], v[6:7], 1, s[20:21]
	v_lshlrev_b32_e32 v8, 1, v74
	v_mov_b32_e32 v9, v75
	v_lshl_add_u64 v[6:7], v[6:7], 0, v[8:9]
	global_load_dwordx4 v[6:9], v[6:7], off
	v_and_b32_e32 v10, 3, v0
	v_lshlrev_b32_e32 v11, 9, v76
	v_lshlrev_b32_e32 v3, 5, v3
	;; [unrolled: 1-line block ×3, first 2 shown]
	v_and_b32_e32 v11, 0x1800, v11
	v_or3_b32 v3, v11, v10, v3
	s_waitcnt vmcnt(0)
	ds_write_b128 v3, v[6:9]
.LBB761_13:
	s_or_b64 exec, exec, s[16:17]
	s_waitcnt lgkmcnt(0)
	s_mul_i32 s4, s4, s10
	s_mov_b32 s5, 0
	s_lshl_b64 s[4:5], s[4:5], 1
	s_add_u32 s10, s12, s4
	s_addc_u32 s11, s13, s5
	s_waitcnt vmcnt(3)
	v_mad_i64_i32 v[2:3], s[12:13], v2, s9, 0
	v_lshl_add_u64 v[6:7], v[2:3], 1, s[10:11]
	v_lshlrev_b64 v[2:3], 1, v[74:75]
	v_lshlrev_b32_e32 v50, 9, v1
	v_lshl_add_u64 v[6:7], v[6:7], 0, v[2:3]
	v_mov_b32_e32 v51, 0
	v_lshl_add_u64 v[8:9], v[6:7], 0, v[50:51]
	s_load_dword s27, s[0:1], 0x98
	s_load_dword s8, s[0:1], 0x1c
	s_waitcnt lgkmcnt(0)
	s_barrier
	global_load_dwordx4 v[38:41], v[8:9], off
	s_waitcnt vmcnt(3)
	v_mad_i64_i32 v[10:11], s[12:13], v5, s9, 0
	v_mov_b32_e32 v5, 0x100
	v_lshl_add_u64 v[10:11], v[10:11], 1, s[10:11]
	v_lshl_or_b32 v54, v76, 4, v5
	v_mov_b32_e32 v55, v51
	v_lshl_add_u64 v[22:23], v[10:11], 0, v[54:55]
	v_lshl_add_u64 v[10:11], v[22:23], 0, v[50:51]
	global_load_dwordx4 v[42:45], v[10:11], off
	global_load_dwordx4 v[18:21], v[8:9], off offset:2048
	global_load_dwordx4 v[26:29], v[10:11], off offset:2048
	v_or_b32_e32 v56, 0x1000, v50
	v_mov_b32_e32 v57, v51
	v_or_b32_e32 v52, 0x1800, v50
	v_mov_b32_e32 v53, v51
	v_lshl_add_u64 v[8:9], v[6:7], 0, v[56:57]
	v_lshl_add_u64 v[6:7], v[6:7], 0, v[52:53]
	global_load_dwordx4 v[14:17], v[8:9], off
	global_load_dwordx4 v[10:13], v[6:7], off
	v_lshl_add_u64 v[8:9], v[22:23], 0, v[56:57]
	global_load_dwordx4 v[30:33], v[8:9], off
	s_waitcnt vmcnt(8)
	v_mad_i64_i32 v[4:5], s[12:13], v4, s9, 0
	v_lshl_add_u64 v[4:5], v[4:5], 1, s[10:11]
	v_lshl_add_u64 v[60:61], v[4:5], 0, v[2:3]
	v_add_u32_e32 v2, -14, v76
	v_cmp_gt_u32_e32 vcc, 14, v76
	v_lshl_add_u64 v[6:7], v[22:23], 0, v[52:53]
	global_load_dwordx4 v[22:25], v[6:7], off
	v_cndmask_b32_e32 v2, v2, v76, vcc
	v_lshl_add_u64 v[58:59], v[60:61], 0, v[50:51]
	v_lshl_add_u32 v62, v2, 5, v50
	global_load_dwordx4 v[34:37], v[58:59], off
	ds_read_b128 v[6:9], v62
	ds_read_b128 v[2:5], v62 offset:2048
	s_waitcnt vmcnt(9)
	v_mad_i64_i32 v[72:73], s[12:13], v46, s9, 0
	s_ashr_i32 s12, s18, 31
	v_and_or_b32 v80, v0, 48, s18
	v_or_b32_e32 v84, 64, v80
	v_mov_b32_e32 v81, s19
	v_cmp_gt_i32_e32 vcc, s33, v80
	v_or_b32_e32 v85, 0x80, v80
	v_or_b32_e32 v87, 0xc0, v80
	s_mov_b32 s41, 0xff7fffff
	s_waitcnt vmcnt(7) lgkmcnt(1)
	v_mfma_f32_16x16x16_bf16 v[68:71], v[42:43], v[6:7], 0
	v_mfma_f32_16x16x16_bf16 v[64:67], v[38:39], v[6:7], 0
	;; [unrolled: 1-line block ×3, first 2 shown]
	ds_read_b128 v[46:49], v62 offset:4096
	ds_read_b128 v[38:41], v62 offset:6144
	v_lshl_add_u64 v[62:63], v[72:73], 1, s[10:11]
	v_lshl_add_u64 v[82:83], v[62:63], 0, v[54:55]
	v_mfma_f32_16x16x16_bf16 v[42:45], v[44:45], v[8:9], v[68:71]
	v_lshl_add_u64 v[54:55], v[60:61], 0, v[56:57]
	s_lshr_b32 s10, s12, 27
	v_lshl_add_u64 v[78:79], v[82:83], 0, v[56:57]
	s_waitcnt vmcnt(6) lgkmcnt(2)
	v_mfma_f32_16x16x16_bf16 v[62:65], v[18:19], v[2:3], v[64:67]
	v_add_u32_e32 v68, s10, v80
	v_add_u32_e32 v69, s10, v84
	v_lshl_add_u64 v[70:71], v[82:83], 0, v[50:51]
	v_lshl_add_u64 v[66:67], v[60:61], 0, v[52:53]
	global_load_dwordx4 v[58:61], v[58:59], off offset:2048
	s_waitcnt vmcnt(6)
	v_mfma_f32_16x16x16_bf16 v[42:45], v[26:27], v[2:3], v[42:45]
	v_ashrrev_i32_e32 v50, 5, v68
	v_ashrrev_i32_e32 v56, 5, v69
	v_add_u32_e32 v72, s10, v85
	v_mfma_f32_16x16x16_bf16 v[18:21], v[20:21], v[4:5], v[62:65]
	v_add_u32_e32 v73, s10, v87
	s_add_u32 s4, s14, s4
	s_addc_u32 s5, s15, s5
	v_mfma_f32_16x16x16_bf16 v[26:29], v[28:29], v[4:5], v[42:45]
	v_ashrrev_i32_e32 v62, 5, v72
	v_ashrrev_i32_e32 v72, 5, v73
	s_waitcnt vmcnt(5) lgkmcnt(1)
	v_mfma_f32_16x16x16_bf16 v[18:21], v[14:15], v[46:47], v[18:21]
	global_load_dwordx4 v[42:45], v[54:55], off
	v_cndmask_b32_e32 v14, v81, v50, vcc
	v_cmp_gt_i32_e32 vcc, s33, v84
	s_waitcnt vmcnt(4)
	v_mfma_f32_16x16x16_bf16 v[26:29], v[30:31], v[46:47], v[26:29]
	v_ashrrev_i32_e32 v15, 31, v14
	v_cndmask_b32_e32 v30, v81, v56, vcc
	v_ashrrev_i32_e32 v31, 31, v30
	v_lshl_add_u64 v[14:15], v[14:15], 2, s[6:7]
	v_lshl_add_u64 v[30:31], v[30:31], 2, s[6:7]
	global_load_dword v92, v[14:15], off
	global_load_dword v84, v[30:31], off
	v_mfma_f32_16x16x16_bf16 v[14:17], v[16:17], v[48:49], v[18:21]
	v_cmp_gt_i32_e32 vcc, s33, v85
	s_nop 1
	global_load_dwordx4 v[18:21], v[66:67], off
	s_waitcnt lgkmcnt(0)
	v_mfma_f32_16x16x16_bf16 v[14:17], v[10:11], v[38:39], v[14:17]
	v_cndmask_b32_e32 v10, v81, v62, vcc
	v_ashrrev_i32_e32 v11, 31, v10
	v_lshl_add_u64 v[10:11], v[10:11], 2, s[6:7]
	v_mfma_f32_16x16x16_bf16 v[66:69], v[12:13], v[40:41], v[14:17]
	global_load_dword v85, v[10:11], off
	global_load_dwordx4 v[62:65], v[70:71], off offset:2048
	v_cmp_gt_i32_e32 vcc, s33, v87
	v_lshl_add_u64 v[14:15], v[82:83], 0, v[52:53]
	global_load_dwordx4 v[88:91], v[14:15], off
	global_load_dwordx4 v[54:57], v[70:71], off
	v_cndmask_b32_e32 v10, v81, v72, vcc
	global_load_dwordx4 v[78:81], v[78:79], off
	v_ashrrev_i32_e32 v11, 31, v10
	v_lshl_add_u64 v[10:11], v[10:11], 2, s[6:7]
	global_load_dword v93, v[10:11], off
	s_waitcnt vmcnt(11)
	v_mfma_f32_16x16x16_bf16 v[10:13], v[34:35], v[6:7], 0
	v_and_b32_e32 v14, 16, v0
	v_lshlrev_b32_e32 v50, 1, v14
	v_lshl_or_b32 v87, v86, 4, v76
	v_mfma_f32_16x16x16_bf16 v[10:13], v[36:37], v[8:9], v[10:13]
	v_lshl_add_u64 v[36:37], s[4:5], 0, v[50:51]
	v_lshlrev_b32_e32 v50, 6, v87
	v_pk_mul_f32 v[82:83], s[8:9], v[68:69] op_sel_hi:[0,1]
	v_mfma_f32_16x16x16_bf16 v[26:29], v[32:33], v[48:49], v[26:29]
	s_waitcnt vmcnt(8)
	v_mad_i64_i32 v[14:15], s[4:5], v92, s9, 0
	v_mfma_f32_16x16x16_bf16 v[10:13], v[58:59], v[2:3], v[10:13]
	v_lshl_add_u64 v[58:59], v[36:37], 0, v[50:51]
	v_or_b32_e32 v50, 0x1000, v50
	v_mfma_f32_16x16x16_bf16 v[10:13], v[60:61], v[4:5], v[10:13]
	v_lshlrev_b64 v[60:61], 1, v[14:15]
	v_lshl_add_u64 v[14:15], v[58:59], 0, v[60:61]
	v_mfma_f32_16x16x16_bf16 v[10:13], v[42:43], v[46:47], v[10:13]
	v_mfma_f32_16x16x16_bf16 v[10:13], v[44:45], v[48:49], v[10:13]
	;; [unrolled: 1-line block ×3, first 2 shown]
	s_waitcnt vmcnt(6)
	v_mfma_f32_16x16x16_bf16 v[10:13], v[18:19], v[38:39], v[10:13]
	v_mfma_f32_16x16x16_bf16 v[70:73], v[24:25], v[40:41], v[26:29]
	global_load_dwordx4 v[30:33], v[14:15], off
	s_nop 2
	global_load_dwordx4 v[26:29], v[14:15], off offset:16
	v_mad_i64_i32 v[14:15], s[4:5], v84, s9, 0
	v_lshlrev_b64 v[34:35], 1, v[14:15]
	v_mfma_f32_16x16x16_bf16 v[42:45], v[20:21], v[40:41], v[10:13]
	v_pk_mul_f32 v[70:71], s[8:9], v[70:71] op_sel_hi:[0,1]
	s_nop 1
	v_lshl_add_u64 v[10:11], v[58:59], 0, v[34:35]
	global_load_dwordx4 v[22:25], v[10:11], off
	global_load_dwordx4 v[18:21], v[10:11], off offset:16
	s_waitcnt vmcnt(6)
	v_mfma_f32_16x16x16_bf16 v[10:13], v[54:55], v[6:7], 0
	v_mad_i64_i32 v[6:7], s[4:5], v85, s9, 0
	v_lshlrev_b64 v[52:53], 1, v[6:7]
	v_mfma_f32_16x16x16_bf16 v[6:9], v[56:57], v[8:9], v[10:13]
	v_pk_mul_f32 v[84:85], s[8:9], v[72:73] op_sel_hi:[0,1]
	v_mfma_f32_16x16x16_bf16 v[6:9], v[62:63], v[2:3], v[6:9]
	s_waitcnt vmcnt(4)
	v_mad_i64_i32 v[2:3], s[4:5], v93, s9, 0
	v_lshlrev_b64 v[62:63], 1, v[2:3]
	v_mfma_f32_16x16x16_bf16 v[54:57], v[64:65], v[4:5], v[6:9]
	v_lshl_add_u64 v[64:65], v[36:37], 0, v[50:51]
	v_pk_mul_f32 v[50:51], s[8:9], v[66:67] op_sel_hi:[0,1]
	v_lshl_add_u64 v[10:11], v[58:59], 0, v[52:53]
	v_mfma_f32_16x16x16_bf16 v[54:57], v[78:79], v[46:47], v[54:57]
	v_pk_mul_f32 v[78:79], s[8:9], v[42:43] op_sel_hi:[0,1]
	v_lshl_add_u64 v[2:3], v[58:59], 0, v[62:63]
	v_lshl_add_u64 v[58:59], v[64:65], 0, v[60:61]
	v_mfma_f32_16x16x16_bf16 v[46:49], v[80:81], v[48:49], v[54:57]
	v_pk_mul_f32 v[80:81], s[8:9], v[44:45] op_sel_hi:[0,1]
	v_lshl_add_u64 v[34:35], v[64:65], 0, v[34:35]
	v_lshl_add_u64 v[52:53], v[64:65], 0, v[52:53]
	v_mfma_f32_16x16x16_bf16 v[36:39], v[88:89], v[38:39], v[46:49]
	global_load_dwordx4 v[14:17], v[10:11], off
	s_nop 0
	global_load_dwordx4 v[10:13], v[10:11], off offset:16
	s_nop 0
	global_load_dwordx4 v[6:9], v[2:3], off
	s_nop 0
	global_load_dwordx4 v[2:5], v[2:3], off offset:16
	v_mfma_f32_16x16x16_bf16 v[36:39], v[90:91], v[40:41], v[36:39]
	s_nop 6
	v_pk_mul_f32 v[72:73], s[8:9], v[36:37] op_sel_hi:[0,1]
	v_and_b32_e32 v36, 0xc0, v0
	v_add_u32_e32 v36, s18, v36
	v_lshl_or_b32 v36, v1, 2, v36
	v_pk_mul_f32 v[66:67], s[8:9], v[38:39] op_sel_hi:[0,1]
	v_or_b32_e32 v39, 1, v36
	v_mov_b32_e32 v37, 0xff7fffff
	v_cmp_gt_i32_e64 s[28:29], s33, v36
	v_cmp_gt_i32_e64 s[30:31], s33, v39
	v_or_b32_e32 v40, 3, v36
	v_cndmask_b32_e64 v38, v37, v50, s[28:29]
	v_cndmask_b32_e64 v39, v37, v51, s[30:31]
	v_max3_f32 v38, v38, s41, v39
	v_or_b32_e32 v39, 2, v36
	v_cmp_gt_i32_e64 s[34:35], s33, v39
	v_cmp_gt_i32_e64 s[36:37], s33, v40
	s_nop 0
	v_cndmask_b32_e64 v39, v37, v82, s[34:35]
	v_cndmask_b32_e64 v40, v37, v83, s[36:37]
	v_max3_f32 v38, v38, v39, v40
	v_or_b32_e32 v39, 16, v36
	v_or_b32_e32 v40, 17, v36
	v_cmp_gt_i32_e64 s[22:23], s33, v39
	v_cmp_gt_i32_e64 s[24:25], s33, v40
	s_nop 0
	v_cndmask_b32_e64 v39, v37, v70, s[22:23]
	v_cndmask_b32_e64 v40, v37, v71, s[24:25]
	v_max3_f32 v38, v38, v39, v40
	v_or_b32_e32 v39, 18, v36
	v_or_b32_e32 v40, 19, v36
	v_cmp_gt_i32_e64 s[18:19], s33, v39
	v_cmp_gt_i32_e64 s[20:21], s33, v40
	s_nop 0
	v_cndmask_b32_e64 v39, v37, v84, s[18:19]
	v_cndmask_b32_e64 v40, v37, v85, s[20:21]
	v_max3_f32 v38, v38, v39, v40
	v_or_b32_e32 v39, 32, v36
	v_or_b32_e32 v40, 33, v36
	v_cmp_gt_i32_e64 s[14:15], s33, v39
	v_cmp_gt_i32_e64 s[16:17], s33, v40
	s_nop 0
	v_cndmask_b32_e64 v39, v37, v78, s[14:15]
	v_cndmask_b32_e64 v40, v37, v79, s[16:17]
	v_max3_f32 v38, v38, v39, v40
	v_or_b32_e32 v39, 34, v36
	v_or_b32_e32 v40, 35, v36
	v_cmp_gt_i32_e64 s[10:11], s33, v39
	v_cmp_gt_i32_e64 s[12:13], s33, v40
	s_nop 0
	v_cndmask_b32_e64 v39, v37, v80, s[10:11]
	v_cndmask_b32_e64 v40, v37, v81, s[12:13]
	v_max3_f32 v38, v38, v39, v40
	v_or_b32_e32 v39, 48, v36
	v_or_b32_e32 v40, 49, v36
	v_cmp_gt_i32_e64 s[6:7], s33, v39
	v_cmp_gt_i32_e64 s[8:9], s33, v40
	s_nop 0
	v_cndmask_b32_e64 v39, v37, v72, s[6:7]
	v_cndmask_b32_e64 v40, v37, v73, s[8:9]
	v_max3_f32 v38, v38, v39, v40
	v_or_b32_e32 v39, 50, v36
	v_or_b32_e32 v36, 51, v36
	v_cmp_gt_i32_e32 vcc, s33, v39
	v_cmp_gt_i32_e64 s[4:5], s33, v36
	s_nop 0
	v_cndmask_b32_e32 v39, v37, v66, vcc
	v_cndmask_b32_e64 v36, v37, v67, s[4:5]
	v_max3_f32 v54, v38, v39, v36
	v_mbcnt_lo_u32_b32 v36, -1, 0
	v_mbcnt_hi_u32_b32 v55, -1, v36
	v_and_b32_e32 v36, 64, v55
	v_add_u32_e32 v56, 64, v36
	v_xor_b32_e32 v36, 32, v55
	v_cmp_lt_i32_e64 s[38:39], v36, v56
	global_load_dwordx4 v[46:49], v[58:59], off
	global_load_dwordx4 v[38:41], v[58:59], off offset:16
	v_cndmask_b32_e64 v36, v55, v36, s[38:39]
	v_lshlrev_b32_e32 v89, 2, v36
	ds_bpermute_b32 v57, v89, v54
	global_load_dwordx4 v[42:45], v[34:35], off
	s_nop 0
	global_load_dwordx4 v[34:37], v[34:35], off offset:16
	s_waitcnt lgkmcnt(0)
	v_max_f32_e32 v57, v57, v57
	v_max_f32_e32 v68, v54, v57
	v_xor_b32_e32 v54, 16, v55
	v_cmp_lt_i32_e64 s[38:39], v54, v56
	s_nop 1
	v_cndmask_b32_e64 v54, v55, v54, s[38:39]
	v_lshlrev_b32_e32 v90, 2, v54
	ds_bpermute_b32 v69, v90, v68
	global_load_dwordx4 v[58:61], v[52:53], off
	global_load_dwordx4 v[54:57], v[52:53], off offset:16
	v_lshl_add_u64 v[52:53], v[64:65], 0, v[62:63]
	s_waitcnt lgkmcnt(0)
	v_max_f32_e32 v62, v69, v69
	v_max_f32_e32 v88, v68, v62
	v_sub_f32_e32 v50, v50, v88
	v_mul_f32_e32 v50, 0x3fb8aa3b, v50
	v_exp_f32_e32 v68, v50
	v_sub_f32_e32 v50, v51, v88
	v_mul_f32_e32 v50, 0x3fb8aa3b, v50
	v_exp_f32_e32 v69, v50
	global_load_dwordx4 v[62:65], v[52:53], off
	s_nop 0
	global_load_dwordx4 v[50:53], v[52:53], off offset:16
	v_sub_f32_e32 v82, v82, v88
	v_mul_f32_e32 v82, 0x3fb8aa3b, v82
	v_sub_f32_e32 v83, v83, v88
	v_exp_f32_e32 v82, v82
	v_mul_f32_e32 v83, 0x3fb8aa3b, v83
	v_sub_f32_e32 v70, v70, v88
	v_exp_f32_e32 v83, v83
	v_mul_f32_e32 v70, 0x3fb8aa3b, v70
	v_sub_f32_e32 v71, v71, v88
	v_cndmask_b32_e64 v68, 0, v68, s[28:29]
	v_exp_f32_e32 v70, v70
	v_mul_f32_e32 v71, 0x3fb8aa3b, v71
	v_sub_f32_e32 v84, v84, v88
	v_add_f32_e32 v91, 0, v68
	v_cndmask_b32_e64 v69, 0, v69, s[30:31]
	v_exp_f32_e32 v71, v71
	v_mul_f32_e32 v84, 0x3fb8aa3b, v84
	v_sub_f32_e32 v85, v85, v88
	v_add_f32_e32 v91, v91, v69
	;; [unrolled: 5-line block ×10, first 2 shown]
	v_cndmask_b32_e64 v80, 0, v80, s[10:11]
	v_exp_f32_e32 v66, v66
	v_mul_f32_e32 v67, 0x3fb8aa3b, v67
	v_add_f32_e32 v91, v91, v80
	v_cndmask_b32_e64 v81, 0, v81, s[12:13]
	v_exp_f32_e32 v67, v67
	v_add_f32_e32 v91, v91, v81
	v_cndmask_b32_e64 v72, 0, v72, s[6:7]
	v_add_f32_e32 v91, v91, v72
	v_cndmask_b32_e64 v73, 0, v73, s[8:9]
	v_add_f32_e32 v91, v91, v73
	v_cndmask_b32_e32 v66, 0, v66, vcc
	v_add_f32_e32 v91, v91, v66
	v_cndmask_b32_e64 v67, 0, v67, s[4:5]
	v_add_f32_e32 v91, v91, v67
	ds_bpermute_b32 v89, v89, v91
	v_cmp_gt_u32_e32 vcc, 16, v77
	s_waitcnt lgkmcnt(0)
	s_barrier
	v_add_f32_e32 v89, v91, v89
	ds_bpermute_b32 v90, v90, v89
	s_and_saveexec_b64 s[4:5], vcc
	s_cbranch_execz .LBB761_15
; %bb.14:
	s_waitcnt lgkmcnt(0)
	v_add_f32_e32 v77, v89, v90
	v_lshlrev_b32_e32 v87, 2, v87
	ds_write2st64_b32 v87, v88, v77 offset1:1
.LBB761_15:
	s_or_b64 exec, exec, s[4:5]
	v_lshlrev_b32_e32 v77, 2, v76
	s_load_dword s6, s[0:1], 0x94
	s_waitcnt lgkmcnt(0)
	s_barrier
	ds_read2_b32 v[88:89], v77 offset1:16
	ds_read2_b32 v[90:91], v77 offset0:32 offset1:48
	ds_read2_b32 v[92:93], v77 offset0:64 offset1:80
	;; [unrolled: 1-line block ×3, first 2 shown]
	s_movk_i32 s8, 0x7fff
	s_waitcnt lgkmcnt(3)
	v_max3_f32 v87, v88, s41, v89
	s_waitcnt lgkmcnt(2)
	v_max3_f32 v87, v87, v90, v91
	v_sub_f32_e32 v88, v88, v87
	v_mul_f32_e32 v88, 0x3fb8aa3b, v88
	v_exp_f32_e32 v86, v88
	v_sub_f32_e32 v88, v89, v87
	v_mul_f32_e32 v88, 0x3fb8aa3b, v88
	v_exp_f32_e32 v89, v88
	v_sub_f32_e32 v88, v90, v87
	v_mul_f32_e32 v88, 0x3fb8aa3b, v88
	v_sub_f32_e32 v77, v91, v87
	v_exp_f32_e32 v90, v88
	v_mul_f32_e32 v77, 0x3fb8aa3b, v77
	v_exp_f32_e32 v77, v77
	s_waitcnt lgkmcnt(1)
	v_fma_f32 v88, v86, v92, 0
	v_fmac_f32_e32 v88, v89, v93
	s_waitcnt lgkmcnt(0)
	v_fmac_f32_e32 v88, v90, v94
	v_fmac_f32_e32 v88, v77, v95
	v_add_f32_e32 v91, 0x358637bd, v88
	v_div_scale_f32 v92, s[4:5], v91, v91, 1.0
	v_rcp_f32_e32 v93, v92
	s_mov_b32 s9, 0x7060302
	s_barrier
	v_fma_f32 v94, -v92, v93, 1.0
	v_fmac_f32_e32 v93, v94, v93
	v_div_scale_f32 v94, vcc, 1.0, v91, 1.0
	v_mul_f32_e32 v95, v94, v93
	v_fma_f32 v1, -v92, v95, v94
	v_fmac_f32_e32 v95, v1, v93
	v_fma_f32 v1, -v92, v95, v94
	v_div_fmas_f32 v1, v1, v93, v95
	v_div_fixup_f32 v1, v1, v91, 1.0
	v_lshrrev_b32_e32 v91, 6, v0
	v_cmp_eq_u32_e32 vcc, 1, v91
	s_mul_i32 s7, s27, 14
	s_nop 0
	v_cndmask_b32_e32 v86, v86, v89, vcc
	v_cmp_eq_u32_e32 vcc, 2, v91
	s_nop 1
	v_cndmask_b32_e32 v86, v86, v90, vcc
	v_cmp_eq_u32_e32 vcc, 3, v91
	s_nop 1
	v_cndmask_b32_e32 v77, v86, v77, vcc
	v_mul_f32_e32 v90, v77, v1
	v_pk_mul_f32 v[68:69], v[90:91], v[68:69] op_sel_hi:[0,1]
	v_bfe_u32 v1, v69, 16, 1
	v_bfe_u32 v77, v68, 16, 1
	v_pk_mul_f32 v[82:83], v[90:91], v[82:83] op_sel_hi:[0,1]
	v_add3_u32 v68, v68, v77, s8
	v_add3_u32 v1, v69, v1, s8
	v_perm_b32 v92, v1, v68, s9
	v_bfe_u32 v1, v83, 16, 1
	v_bfe_u32 v68, v82, 16, 1
	v_add3_u32 v68, v82, v68, s8
	v_add3_u32 v1, v83, v1, s8
	v_bfe_u32 v86, v0, 4, 2
	v_perm_b32 v93, v1, v68, s9
	v_lshlrev_b32_e32 v1, 3, v86
	v_lshlrev_b32_e32 v68, 5, v76
	;; [unrolled: 1-line block ×3, first 2 shown]
	v_pk_mul_f32 v[70:71], v[90:91], v[70:71] op_sel_hi:[0,1]
	v_or3_b32 v1, v69, v68, v1
	v_bfe_u32 v69, v71, 16, 1
	v_bfe_u32 v77, v70, 16, 1
	v_pk_mul_f32 v[82:83], v[90:91], v[84:85] op_sel_hi:[0,1]
	v_add3_u32 v70, v70, v77, s8
	v_add3_u32 v69, v71, v69, s8
	v_perm_b32 v70, v69, v70, s9
	v_bfe_u32 v69, v83, 16, 1
	v_bfe_u32 v71, v82, 16, 1
	v_add3_u32 v71, v82, v71, s8
	v_add3_u32 v69, v83, v69, s8
	v_pk_mul_f32 v[78:79], v[90:91], v[78:79] op_sel_hi:[0,1]
	v_perm_b32 v71, v69, v71, s9
	v_bfe_u32 v69, v79, 16, 1
	v_bfe_u32 v77, v78, 16, 1
	ds_write2st64_b64 v1, v[92:93], v[70:71] offset1:1
	v_pk_mul_f32 v[70:71], v[90:91], v[80:81] op_sel_hi:[0,1]
	v_add3_u32 v77, v78, v77, s8
	v_add3_u32 v69, v79, v69, s8
	v_perm_b32 v78, v69, v77, s9
	v_bfe_u32 v69, v71, 16, 1
	v_bfe_u32 v77, v70, 16, 1
	v_add3_u32 v70, v70, v77, s8
	v_add3_u32 v69, v71, v69, s8
	v_perm_b32 v79, v69, v70, s9
	v_pk_mul_f32 v[70:71], v[90:91], v[72:73] op_sel_hi:[0,1]
	v_bfe_u32 v69, v71, 16, 1
	v_bfe_u32 v72, v70, 16, 1
	v_pk_mul_f32 v[66:67], v[90:91], v[66:67] op_sel_hi:[0,1]
	v_add3_u32 v70, v70, v72, s8
	v_add3_u32 v69, v71, v69, s8
	v_perm_b32 v70, v69, v70, s9
	v_bfe_u32 v69, v67, 16, 1
	v_bfe_u32 v71, v66, 16, 1
	v_add3_u32 v66, v66, v71, s8
	v_add3_u32 v67, v67, v69, s8
	v_perm_b32 v71, v67, v66, s9
	v_cmp_gt_u32_e32 vcc, 14, v0
	ds_write2st64_b64 v1, v[78:79], v[70:71] offset0:2 offset1:3
	s_and_saveexec_b64 s[4:5], vcc
	s_cbranch_execz .LBB761_17
; %bb.16:
	s_mov_b32 s41, 0
	v_mov_b32_e32 v77, 0
	v_lshl_add_u64 v[66:67], s[40:41], 0, v[76:77]
	v_mov_b32_e32 v69, s7
	v_mad_u64_u32 v[66:67], s[10:11], s2, v69, v[66:67]
	s_mul_i32 s3, s3, s7
	v_mov_b32_e32 v70, s26
	v_mov_b32_e32 v71, v77
	s_load_dwordx4 s[12:15], s[0:1], 0x58
	v_add_u32_e32 v69, s3, v67
	v_mad_u64_u32 v[66:67], s[10:11], v66, s6, v[70:71]
	v_mov_b32_e32 v70, v67
	v_mad_u64_u32 v[70:71], s[10:11], v69, s6, v[70:71]
	v_mov_b32_e32 v67, v70
	v_lshlrev_b64 v[66:67], 2, v[66:67]
	s_waitcnt lgkmcnt(0)
	v_lshl_add_u64 v[70:71], s[14:15], 0, v[66:67]
	v_lshl_add_u64 v[66:67], s[12:13], 0, v[66:67]
	global_store_dword v[70:71], v87, off
	global_store_dword v[66:67], v88, off
.LBB761_17:
	s_or_b64 exec, exec, s[4:5]
	v_lshl_or_b32 v77, v86, 9, v68
	s_waitcnt lgkmcnt(0)
	s_barrier
	ds_read_b128 v[70:73], v77
	ds_read_b128 v[66:69], v77 offset:16
	s_waitcnt vmcnt(15) lgkmcnt(1)
	v_mfma_f32_16x16x16_bf16 v[78:81], v[30:31], v[70:71], 0
	s_mov_b32 s3, 0
	v_cmp_gt_u32_e32 vcc, 64, v0
	v_mfma_f32_16x16x16_bf16 v[30:33], v[32:33], v[72:73], v[78:81]
	s_waitcnt vmcnt(14) lgkmcnt(0)
	v_mfma_f32_16x16x16_bf16 v[30:33], v[26:27], v[66:67], v[30:33]
	v_mfma_f32_16x16x16_bf16 v[26:29], v[28:29], v[68:69], v[30:33]
	s_nop 5
	ds_read_b128 v[30:33], v77 offset:2048
	ds_read_b128 v[78:81], v77 offset:2064
	s_waitcnt vmcnt(13) lgkmcnt(1)
	v_mfma_f32_16x16x16_bf16 v[26:29], v[22:23], v[30:31], v[26:29]
	v_mfma_f32_16x16x16_bf16 v[22:25], v[24:25], v[32:33], v[26:29]
	s_waitcnt vmcnt(12) lgkmcnt(0)
	v_mfma_f32_16x16x16_bf16 v[22:25], v[18:19], v[78:79], v[22:25]
	v_mfma_f32_16x16x16_bf16 v[18:21], v[20:21], v[80:81], v[22:25]
	s_nop 5
	ds_read_b128 v[22:25], v77 offset:4096
	ds_read_b128 v[26:29], v77 offset:4112
	s_waitcnt vmcnt(11) lgkmcnt(1)
	v_mfma_f32_16x16x16_bf16 v[18:21], v[14:15], v[22:23], v[18:21]
	v_mfma_f32_16x16x16_bf16 v[14:17], v[16:17], v[24:25], v[18:21]
	s_waitcnt vmcnt(10) lgkmcnt(0)
	v_mfma_f32_16x16x16_bf16 v[14:17], v[10:11], v[26:27], v[14:17]
	v_mfma_f32_16x16x16_bf16 v[10:13], v[12:13], v[28:29], v[14:17]
	s_nop 5
	ds_read_b128 v[14:17], v77 offset:6144
	ds_read_b128 v[18:21], v77 offset:6160
	s_waitcnt lgkmcnt(0)
	s_barrier
	s_waitcnt vmcnt(9)
	v_mfma_f32_16x16x16_bf16 v[10:13], v[6:7], v[14:15], v[10:13]
	v_mfma_f32_16x16x16_bf16 v[6:9], v[8:9], v[16:17], v[10:13]
	s_waitcnt vmcnt(8)
	v_mfma_f32_16x16x16_bf16 v[6:9], v[2:3], v[18:19], v[6:9]
	v_mfma_f32_16x16x16_bf16 v[2:5], v[4:5], v[20:21], v[6:9]
	;; [unrolled: 3-line block ×3, first 2 shown]
	s_nop 3
	v_bfe_u32 v10, v3, 16, 1
	v_bfe_u32 v11, v2, 16, 1
	v_add3_u32 v2, v2, v11, s8
	s_waitcnt vmcnt(6)
	v_mfma_f32_16x16x16_bf16 v[6:9], v[38:39], v[66:67], v[6:9]
	v_add3_u32 v3, v3, v10, s8
	v_perm_b32 v10, v3, v2, s9
	v_bfe_u32 v2, v5, 16, 1
	v_mfma_f32_16x16x16_bf16 v[6:9], v[40:41], v[68:69], v[6:9]
	v_bfe_u32 v3, v4, 16, 1
	v_add3_u32 v3, v4, v3, s8
	v_add3_u32 v2, v5, v2, s8
	s_waitcnt vmcnt(5)
	v_mfma_f32_16x16x16_bf16 v[6:9], v[42:43], v[30:31], v[6:9]
	v_perm_b32 v11, v2, v3, s9
	v_mfma_f32_16x16x16_bf16 v[6:9], v[44:45], v[32:33], v[6:9]
	s_waitcnt vmcnt(4)
	v_mfma_f32_16x16x16_bf16 v[6:9], v[34:35], v[78:79], v[6:9]
	v_mfma_f32_16x16x16_bf16 v[6:9], v[36:37], v[80:81], v[6:9]
	s_waitcnt vmcnt(3)
	v_mfma_f32_16x16x16_bf16 v[6:9], v[58:59], v[22:23], v[6:9]
	v_mfma_f32_16x16x16_bf16 v[6:9], v[60:61], v[24:25], v[6:9]
	s_waitcnt vmcnt(2)
	v_mfma_f32_16x16x16_bf16 v[6:9], v[54:55], v[26:27], v[6:9]
	v_mfma_f32_16x16x16_bf16 v[6:9], v[56:57], v[28:29], v[6:9]
	s_waitcnt vmcnt(1)
	v_mfma_f32_16x16x16_bf16 v[6:9], v[62:63], v[14:15], v[6:9]
	v_mfma_f32_16x16x16_bf16 v[6:9], v[64:65], v[16:17], v[6:9]
	s_waitcnt vmcnt(0)
	v_mfma_f32_16x16x16_bf16 v[6:9], v[50:51], v[18:19], v[6:9]
	v_mfma_f32_16x16x16_bf16 v[2:5], v[52:53], v[20:21], v[6:9]
	s_nop 6
	v_bfe_u32 v6, v3, 16, 1
	v_bfe_u32 v7, v2, 16, 1
	v_add3_u32 v2, v2, v7, s8
	v_add3_u32 v3, v3, v6, s8
	v_perm_b32 v2, v3, v2, s9
	v_bfe_u32 v3, v5, 16, 1
	v_bfe_u32 v6, v4, 16, 1
	v_add3_u32 v4, v4, v6, s8
	v_add3_u32 v3, v5, v3, s8
	v_perm_b32 v3, v3, v4, s9
	ds_write2st64_b64 v1, v[10:11], v[2:3] offset1:1
	s_waitcnt lgkmcnt(0)
	s_barrier
	s_and_saveexec_b64 s[4:5], vcc
	s_cbranch_execz .LBB761_20
; %bb.18:
	s_load_dwordx2 s[4:5], s[0:1], 0x68
	s_lshl_b32 s0, s6, 7
	s_mul_i32 s1, s7, s2
	v_lshlrev_b32_e32 v3, 6, v76
	s_mul_hi_u32 s7, s1, s0
	s_mul_i32 s6, s1, s0
	v_lshlrev_b32_e32 v2, 4, v0
	v_lshl_or_b32 v0, v0, 10, v3
	s_lshl_b64 s[6:7], s[6:7], 1
	v_lshlrev_b32_e32 v1, 5, v86
	v_and_b32_e32 v2, 16, v2
	v_and_b32_e32 v0, 0x1a00, v0
	s_waitcnt lgkmcnt(0)
	s_add_u32 s1, s4, s6
	v_or3_b32 v2, v0, v1, v2
	s_addc_u32 s4, s5, s7
	s_lshl_b32 s2, s26, 7
	ds_read_b128 v[4:7], v2 offset:256
	s_lshl_b64 s[2:3], s[2:3], 1
	ds_read_b128 v[8:11], v2 offset:128
	ds_read_b128 v[12:15], v2
	s_add_u32 s2, s1, s2
	s_addc_u32 s3, s4, s3
	v_add_u32_e32 v18, s40, v86
	v_lshl_add_u64 v[0:1], v[74:75], 1, s[2:3]
	v_mad_u64_u32 v[16:17], s[2:3], v18, s0, 0
	v_lshl_add_u64 v[16:17], v[16:17], 1, v[0:1]
	s_waitcnt lgkmcnt(0)
	global_store_dwordx4 v[16:17], v[12:15], off
	v_or_b32_e32 v3, 12, v86
	v_cmp_gt_u32_e32 vcc, 14, v3
	v_add_u32_e32 v12, 4, v18
	v_mad_u64_u32 v[12:13], s[2:3], v12, s0, 0
	v_lshl_add_u64 v[12:13], v[12:13], 1, v[0:1]
	global_store_dwordx4 v[12:13], v[8:11], off
	s_nop 1
	v_add_u32_e32 v8, 8, v18
	v_mad_u64_u32 v[8:9], s[2:3], v8, s0, 0
	v_lshl_add_u64 v[8:9], v[8:9], 1, v[0:1]
	global_store_dwordx4 v[8:9], v[4:7], off
	s_and_b64 exec, exec, vcc
	s_cbranch_execz .LBB761_20
; %bb.19:
	ds_read_b128 v[4:7], v2 offset:384
	v_add_u32_e32 v2, s40, v3
	v_mad_u64_u32 v[2:3], s[0:1], v2, s0, 0
	v_lshl_add_u64 v[0:1], v[2:3], 1, v[0:1]
	s_waitcnt lgkmcnt(0)
	global_store_dwordx4 v[0:1], v[4:7], off
.LBB761_20:
	s_endpgm
	.section	.rodata,"a",@progbits
	.p2align	6, 0x0
	.amdhsa_kernel _Z39paged_attention_ll4mi_QKV_mfma16_kernelI14__hip_bfloat16S0_LN4vllm18Fp8KVCacheDataTypeE0ES0_Li32ELi128ELi256ELb0ELi14EEvPKT_PKT0_S8_ifPKiSA_SA_iPKfiiiPfSD_PS3_PT2_iSC_SC_
		.amdhsa_group_segment_fixed_size 8192
		.amdhsa_private_segment_fixed_size 0
		.amdhsa_kernarg_size 400
		.amdhsa_user_sgpr_count 2
		.amdhsa_user_sgpr_dispatch_ptr 0
		.amdhsa_user_sgpr_queue_ptr 0
		.amdhsa_user_sgpr_kernarg_segment_ptr 1
		.amdhsa_user_sgpr_dispatch_id 0
		.amdhsa_user_sgpr_kernarg_preload_length 0
		.amdhsa_user_sgpr_kernarg_preload_offset 0
		.amdhsa_user_sgpr_private_segment_size 0
		.amdhsa_uses_dynamic_stack 0
		.amdhsa_enable_private_segment 0
		.amdhsa_system_sgpr_workgroup_id_x 1
		.amdhsa_system_sgpr_workgroup_id_y 1
		.amdhsa_system_sgpr_workgroup_id_z 1
		.amdhsa_system_sgpr_workgroup_info 0
		.amdhsa_system_vgpr_workitem_id 0
		.amdhsa_next_free_vgpr 96
		.amdhsa_next_free_sgpr 42
		.amdhsa_accum_offset 96
		.amdhsa_reserve_vcc 1
		.amdhsa_float_round_mode_32 0
		.amdhsa_float_round_mode_16_64 0
		.amdhsa_float_denorm_mode_32 3
		.amdhsa_float_denorm_mode_16_64 3
		.amdhsa_dx10_clamp 1
		.amdhsa_ieee_mode 1
		.amdhsa_fp16_overflow 0
		.amdhsa_tg_split 0
		.amdhsa_exception_fp_ieee_invalid_op 0
		.amdhsa_exception_fp_denorm_src 0
		.amdhsa_exception_fp_ieee_div_zero 0
		.amdhsa_exception_fp_ieee_overflow 0
		.amdhsa_exception_fp_ieee_underflow 0
		.amdhsa_exception_fp_ieee_inexact 0
		.amdhsa_exception_int_div_zero 0
	.end_amdhsa_kernel
	.section	.text._Z39paged_attention_ll4mi_QKV_mfma16_kernelI14__hip_bfloat16S0_LN4vllm18Fp8KVCacheDataTypeE0ES0_Li32ELi128ELi256ELb0ELi14EEvPKT_PKT0_S8_ifPKiSA_SA_iPKfiiiPfSD_PS3_PT2_iSC_SC_,"axG",@progbits,_Z39paged_attention_ll4mi_QKV_mfma16_kernelI14__hip_bfloat16S0_LN4vllm18Fp8KVCacheDataTypeE0ES0_Li32ELi128ELi256ELb0ELi14EEvPKT_PKT0_S8_ifPKiSA_SA_iPKfiiiPfSD_PS3_PT2_iSC_SC_,comdat
.Lfunc_end761:
	.size	_Z39paged_attention_ll4mi_QKV_mfma16_kernelI14__hip_bfloat16S0_LN4vllm18Fp8KVCacheDataTypeE0ES0_Li32ELi128ELi256ELb0ELi14EEvPKT_PKT0_S8_ifPKiSA_SA_iPKfiiiPfSD_PS3_PT2_iSC_SC_, .Lfunc_end761-_Z39paged_attention_ll4mi_QKV_mfma16_kernelI14__hip_bfloat16S0_LN4vllm18Fp8KVCacheDataTypeE0ES0_Li32ELi128ELi256ELb0ELi14EEvPKT_PKT0_S8_ifPKiSA_SA_iPKfiiiPfSD_PS3_PT2_iSC_SC_
                                        ; -- End function
	.section	.AMDGPU.csdata,"",@progbits
; Kernel info:
; codeLenInByte = 4924
; NumSgprs: 48
; NumVgprs: 96
; NumAgprs: 0
; TotalNumVgprs: 96
; ScratchSize: 0
; MemoryBound: 0
; FloatMode: 240
; IeeeMode: 1
; LDSByteSize: 8192 bytes/workgroup (compile time only)
; SGPRBlocks: 5
; VGPRBlocks: 11
; NumSGPRsForWavesPerEU: 48
; NumVGPRsForWavesPerEU: 96
; AccumOffset: 96
; Occupancy: 5
; WaveLimiterHint : 1
; COMPUTE_PGM_RSRC2:SCRATCH_EN: 0
; COMPUTE_PGM_RSRC2:USER_SGPR: 2
; COMPUTE_PGM_RSRC2:TRAP_HANDLER: 0
; COMPUTE_PGM_RSRC2:TGID_X_EN: 1
; COMPUTE_PGM_RSRC2:TGID_Y_EN: 1
; COMPUTE_PGM_RSRC2:TGID_Z_EN: 1
; COMPUTE_PGM_RSRC2:TIDIG_COMP_CNT: 0
; COMPUTE_PGM_RSRC3_GFX90A:ACCUM_OFFSET: 23
; COMPUTE_PGM_RSRC3_GFX90A:TG_SPLIT: 0
	.section	.text._Z39paged_attention_ll4mi_QKV_mfma16_kernelI14__hip_bfloat16S0_LN4vllm18Fp8KVCacheDataTypeE0ES0_Li32ELi128ELi256ELb0ELi15EEvPKT_PKT0_S8_ifPKiSA_SA_iPKfiiiPfSD_PS3_PT2_iSC_SC_,"axG",@progbits,_Z39paged_attention_ll4mi_QKV_mfma16_kernelI14__hip_bfloat16S0_LN4vllm18Fp8KVCacheDataTypeE0ES0_Li32ELi128ELi256ELb0ELi15EEvPKT_PKT0_S8_ifPKiSA_SA_iPKfiiiPfSD_PS3_PT2_iSC_SC_,comdat
	.protected	_Z39paged_attention_ll4mi_QKV_mfma16_kernelI14__hip_bfloat16S0_LN4vllm18Fp8KVCacheDataTypeE0ES0_Li32ELi128ELi256ELb0ELi15EEvPKT_PKT0_S8_ifPKiSA_SA_iPKfiiiPfSD_PS3_PT2_iSC_SC_ ; -- Begin function _Z39paged_attention_ll4mi_QKV_mfma16_kernelI14__hip_bfloat16S0_LN4vllm18Fp8KVCacheDataTypeE0ES0_Li32ELi128ELi256ELb0ELi15EEvPKT_PKT0_S8_ifPKiSA_SA_iPKfiiiPfSD_PS3_PT2_iSC_SC_
	.globl	_Z39paged_attention_ll4mi_QKV_mfma16_kernelI14__hip_bfloat16S0_LN4vllm18Fp8KVCacheDataTypeE0ES0_Li32ELi128ELi256ELb0ELi15EEvPKT_PKT0_S8_ifPKiSA_SA_iPKfiiiPfSD_PS3_PT2_iSC_SC_
	.p2align	8
	.type	_Z39paged_attention_ll4mi_QKV_mfma16_kernelI14__hip_bfloat16S0_LN4vllm18Fp8KVCacheDataTypeE0ES0_Li32ELi128ELi256ELb0ELi15EEvPKT_PKT0_S8_ifPKiSA_SA_iPKfiiiPfSD_PS3_PT2_iSC_SC_,@function
_Z39paged_attention_ll4mi_QKV_mfma16_kernelI14__hip_bfloat16S0_LN4vllm18Fp8KVCacheDataTypeE0ES0_Li32ELi128ELi256ELb0ELi15EEvPKT_PKT0_S8_ifPKiSA_SA_iPKfiiiPfSD_PS3_PT2_iSC_SC_: ; @_Z39paged_attention_ll4mi_QKV_mfma16_kernelI14__hip_bfloat16S0_LN4vllm18Fp8KVCacheDataTypeE0ES0_Li32ELi128ELi256ELb0ELi15EEvPKT_PKT0_S8_ifPKiSA_SA_iPKfiiiPfSD_PS3_PT2_iSC_SC_
; %bb.0:
	s_load_dwordx2 s[8:9], s[0:1], 0x30
	s_mov_b32 s26, s3
	s_mov_b64 s[6:7], 0
	s_waitcnt lgkmcnt(0)
	s_cmp_lg_u64 s[8:9], 0
	s_cselect_b64 s[10:11], -1, 0
	s_and_b64 vcc, exec, s[10:11]
	s_cbranch_vccz .LBB762_7
; %bb.1:
	s_add_i32 s12, s2, 1
	s_mov_b32 s13, 0
	s_lshl_b64 s[14:15], s[12:13], 2
	s_add_u32 s14, s8, s14
	s_mov_b32 s3, s13
	s_addc_u32 s15, s9, s15
	s_lshl_b64 s[12:13], s[2:3], 2
	s_add_u32 s12, s8, s12
	s_addc_u32 s13, s9, s13
	s_load_dword s5, s[14:15], 0x0
	s_load_dword s16, s[12:13], 0x0
	s_waitcnt lgkmcnt(0)
	s_sub_i32 s5, s5, s16
	s_cmp_eq_u32 s5, 1
	s_cselect_b64 s[12:13], -1, 0
	s_andn2_b64 vcc, exec, s[6:7]
	s_cbranch_vccnz .LBB762_3
.LBB762_2:
	s_mov_b32 s3, 0
	s_mov_b64 s[12:13], -1
.LBB762_3:
	s_andn2_b64 vcc, exec, s[12:13]
	s_cbranch_vccnz .LBB762_20
; %bb.4:
	s_load_dwordx2 s[6:7], s[0:1], 0x28
	s_lshl_b64 s[12:13], s[2:3], 2
	s_waitcnt lgkmcnt(0)
	s_add_u32 s6, s6, s12
	s_addc_u32 s7, s7, s13
	s_load_dword s33, s[6:7], 0x0
	s_lshl_b32 s18, s26, 8
	s_waitcnt lgkmcnt(0)
	s_cmp_ge_i32 s18, s33
	s_cbranch_scc1 .LBB762_20
; %bb.5:
	s_load_dwordx2 s[6:7], s[0:1], 0x20
	s_load_dword s5, s[0:1], 0x38
	s_add_i32 s14, s33, 31
	s_ashr_i32 s15, s14, 31
	v_and_b32_e32 v1, 0xcf, v0
	s_lshr_b32 s15, s15, 27
	v_add_u32_e32 v1, s18, v1
	s_add_i32 s14, s14, s15
	v_ashrrev_i32_e32 v2, 31, v1
	s_ashr_i32 s19, s14, 5
	v_lshrrev_b32_e32 v8, 27, v2
	s_add_i32 s19, s19, -1
	s_waitcnt lgkmcnt(0)
	s_mul_i32 s14, s2, s5
	s_mov_b32 s15, 0
	v_add_u32_e32 v2, v1, v8
	s_lshl_b64 s[14:15], s[14:15], 2
	v_ashrrev_i32_e32 v2, 5, v2
	v_mov_b32_e32 v9, s19
	v_cmp_gt_i32_e32 vcc, s33, v1
	s_add_u32 s6, s6, s14
	s_addc_u32 s7, s7, s15
	v_cndmask_b32_e32 v2, v9, v2, vcc
	v_ashrrev_i32_e32 v3, 31, v2
	v_lshl_add_u64 v[4:5], v[2:3], 2, s[6:7]
	v_or_b32_e32 v2, 16, v1
	v_add_u32_e32 v3, v2, v8
	v_ashrrev_i32_e32 v3, 5, v3
	v_cmp_gt_i32_e32 vcc, s33, v2
	s_nop 1
	v_cndmask_b32_e32 v2, v9, v3, vcc
	v_ashrrev_i32_e32 v3, 31, v2
	v_lshl_add_u64 v[6:7], v[2:3], 2, s[6:7]
	v_or_b32_e32 v2, 32, v1
	v_add_u32_e32 v3, v2, v8
	v_ashrrev_i32_e32 v3, 5, v3
	v_cmp_gt_i32_e32 vcc, s33, v2
	v_or_b32_e32 v1, 48, v1
	s_nop 0
	v_cndmask_b32_e32 v2, v9, v3, vcc
	v_ashrrev_i32_e32 v3, 31, v2
	v_lshl_add_u64 v[10:11], v[2:3], 2, s[6:7]
	v_add_u32_e32 v2, v1, v8
	v_ashrrev_i32_e32 v2, 5, v2
	v_cmp_gt_i32_e32 vcc, s33, v1
	s_nop 1
	v_cndmask_b32_e32 v2, v9, v2, vcc
	v_ashrrev_i32_e32 v3, 31, v2
	v_lshl_add_u64 v[12:13], v[2:3], 2, s[6:7]
	global_load_dword v2, v[4:5], off
	global_load_dword v9, v[6:7], off
	;; [unrolled: 1-line block ×4, first 2 shown]
	s_andn2_b64 vcc, exec, s[10:11]
	s_cbranch_vccnz .LBB762_8
; %bb.6:
	s_add_u32 s8, s8, s12
	s_addc_u32 s9, s9, s13
	s_load_dword s5, s[8:9], 0x0
	s_branch .LBB762_9
.LBB762_7:
	s_mov_b64 s[12:13], 0
	s_branch .LBB762_2
.LBB762_8:
	s_mov_b32 s5, s2
.LBB762_9:
	s_load_dwordx4 s[12:15], s[0:1], 0x8
	s_load_dwordx4 s[8:11], s[0:1], 0x48
	v_lshrrev_b32_e32 v1, 6, v0
	v_bfe_u32 v86, v0, 4, 2
	v_lshl_or_b32 v3, v1, 2, v86
	v_and_b32_e32 v76, 15, v0
	v_lshlrev_b32_e32 v6, 3, v76
	v_cmp_lt_u32_e32 vcc, 14, v3
	s_and_saveexec_b64 s[16:17], vcc
	s_xor_b64 s[16:17], exec, s[16:17]
; %bb.10:
	v_mov_b32_e32 v7, 0
                                        ; implicit-def: $vgpr3
; %bb.11:
	s_or_saveexec_b64 s[16:17], s[16:17]
	s_mul_i32 s40, s4, 15
	s_xor_b64 exec, exec, s[16:17]
	s_cbranch_execz .LBB762_13
; %bb.12:
	s_load_dwordx2 s[20:21], s[0:1], 0x0
	s_waitcnt lgkmcnt(0)
	s_ashr_i32 s11, s8, 31
	s_mul_hi_u32 s22, s5, s8
	s_mul_i32 s11, s5, s11
	s_add_i32 s23, s22, s11
	s_mul_i32 s22, s5, s8
	s_lshl_b64 s[22:23], s[22:23], 1
	s_add_u32 s20, s20, s22
	v_add_lshl_u32 v4, v3, s40, 7
	v_mov_b32_e32 v7, 0
	s_addc_u32 s21, s21, s23
	v_ashrrev_i32_e32 v5, 31, v4
	v_mov_b64_e32 v[12:13], v[6:7]
	v_lshl_add_u64 v[4:5], v[4:5], 1, s[20:21]
	v_lshlrev_b32_e32 v6, 1, v12
	v_mov_b32_e32 v7, v13
	v_lshl_add_u64 v[4:5], v[4:5], 0, v[6:7]
	global_load_dwordx4 v[4:7], v[4:5], off
	v_and_b32_e32 v10, 3, v0
	v_lshlrev_b32_e32 v11, 9, v76
	v_lshlrev_b32_e32 v3, 5, v3
	;; [unrolled: 1-line block ×3, first 2 shown]
	v_and_b32_e32 v11, 0x1800, v11
	v_or3_b32 v3, v11, v10, v3
	s_waitcnt vmcnt(0)
	ds_write_b128 v3, v[4:7]
	v_mov_b64_e32 v[6:7], v[12:13]
.LBB762_13:
	s_or_b64 exec, exec, s[16:17]
	s_waitcnt lgkmcnt(0)
	s_mov_b32 s5, 0
	s_mul_i32 s4, s4, s10
	s_lshl_b64 s[4:5], s[4:5], 1
	s_add_u32 s10, s12, s4
	v_mov_b32_e32 v55, 0
	s_addc_u32 s11, s13, s5
	s_waitcnt vmcnt(3)
	v_mad_i64_i32 v[2:3], s[12:13], v2, s9, 0
	s_waitcnt vmcnt(2)
	v_mad_i64_i32 v[10:11], s[12:13], v9, s9, 0
	v_mov_b32_e32 v9, 0x100
	s_load_dword s27, s[0:1], 0x98
	s_load_dword s8, s[0:1], 0x1c
	s_waitcnt lgkmcnt(0)
	s_barrier
	v_lshl_add_u64 v[2:3], v[2:3], 1, s[10:11]
	scratch_store_dwordx2 off, v[6:7], off  ; 8-byte Folded Spill
	v_lshlrev_b64 v[6:7], 1, v[6:7]
	v_lshl_add_u64 v[10:11], v[10:11], 1, s[10:11]
	v_lshl_or_b32 v56, v76, 4, v9
	v_mov_b32_e32 v57, v55
	v_lshlrev_b32_e32 v54, 9, v86
	v_lshl_add_u64 v[2:3], v[2:3], 0, v[6:7]
	v_lshl_add_u64 v[18:19], v[10:11], 0, v[56:57]
	;; [unrolled: 1-line block ×4, first 2 shown]
	global_load_dwordx4 v[14:17], v[4:5], off
	global_load_dwordx4 v[10:13], v[20:21], off
	s_waitcnt vmcnt(4)
	v_mad_i64_i32 v[8:9], s[12:13], v8, s9, 0
	v_lshl_add_u64 v[8:9], v[8:9], 1, s[10:11]
	v_lshl_add_u64 v[60:61], v[8:9], 0, v[6:7]
	;; [unrolled: 1-line block ×3, first 2 shown]
	global_load_dwordx4 v[6:9], v[46:47], off
	global_load_dwordx4 v[42:45], v[4:5], off offset:2048
	global_load_dwordx4 v[38:41], v[20:21], off offset:2048
	v_or_b32_e32 v62, 0x1000, v54
	v_mov_b32_e32 v63, v55
	v_lshl_add_u64 v[4:5], v[2:3], 0, v[62:63]
	global_load_dwordx4 v[30:33], v[4:5], off
	v_or_b32_e32 v58, 0x1800, v54
	v_mov_b32_e32 v59, v55
	v_lshl_add_u64 v[2:3], v[2:3], 0, v[58:59]
	global_load_dwordx4 v[22:25], v[2:3], off
	v_lshl_add_u64 v[4:5], v[18:19], 0, v[62:63]
	global_load_dwordx4 v[26:29], v[4:5], off
	;; [unrolled: 2-line block ×3, first 2 shown]
	v_cmp_ne_u32_e32 vcc, 15, v76
	s_waitcnt vmcnt(10)
	v_mad_i64_i32 v[64:65], s[12:13], v34, s9, 0
	v_cndmask_b32_e32 v2, 0, v76, vcc
	v_lshl_or_b32 v48, v2, 5, v54
	ds_read_b128 v[2:5], v48
	ds_read_b128 v[34:37], v48 offset:2048
	global_load_dwordx4 v[78:81], v[46:47], off offset:2048
	ds_read_b128 v[50:53], v48 offset:4096
	ds_read_b128 v[46:49], v48 offset:6144
	s_ashr_i32 s12, s18, 31
	v_and_or_b32 v74, v0, 48, s18
	v_mov_b32_e32 v75, s19
	v_cmp_gt_i32_e32 vcc, s33, v74
	v_or_b32_e32 v87, 64, v74
	v_or_b32_e32 v88, 0x80, v74
	;; [unrolled: 1-line block ×3, first 2 shown]
	s_mov_b32 s41, 0xff7fffff
	s_waitcnt vmcnt(7) lgkmcnt(3)
	v_mfma_f32_16x16x16_bf16 v[82:85], v[6:7], v[2:3], 0
	v_lshl_add_u64 v[6:7], v[64:65], 1, s[10:11]
	s_lshr_b32 s10, s12, 27
	v_lshl_add_u64 v[6:7], v[6:7], 0, v[56:57]
	v_mfma_f32_16x16x16_bf16 v[70:73], v[10:11], v[2:3], 0
	v_lshl_add_u64 v[64:65], v[6:7], 0, v[54:55]
	v_lshl_add_u64 v[56:57], v[60:61], 0, v[58:59]
	s_add_u32 s4, s14, s4
	v_mfma_f32_16x16x16_bf16 v[66:69], v[14:15], v[2:3], 0
	s_addc_u32 s5, s15, s5
	v_mfma_f32_16x16x16_bf16 v[10:13], v[12:13], v[4:5], v[70:73]
	v_mfma_f32_16x16x16_bf16 v[14:17], v[16:17], v[4:5], v[66:69]
	s_nop 1
	v_lshl_add_u64 v[72:73], v[6:7], 0, v[62:63]
	global_load_dwordx4 v[92:95], v[72:73], off
	s_waitcnt vmcnt(6) lgkmcnt(2)
	v_mfma_f32_16x16x16_bf16 v[10:13], v[38:39], v[34:35], v[10:13]
	v_add_u32_e32 v66, s10, v74
	v_ashrrev_i32_e32 v54, 5, v66
	v_add_u32_e32 v67, s10, v87
	v_mfma_f32_16x16x16_bf16 v[14:17], v[42:43], v[34:35], v[14:17]
	v_lshl_add_u64 v[42:43], v[60:61], 0, v[62:63]
	v_ashrrev_i32_e32 v60, 5, v67
	v_add_u32_e32 v68, s10, v88
	v_mfma_f32_16x16x16_bf16 v[10:13], v[40:41], v[36:37], v[10:13]
	global_load_dwordx4 v[38:41], v[42:43], off
	v_cndmask_b32_e32 v42, v75, v54, vcc
	v_ashrrev_i32_e32 v43, 31, v42
	v_mfma_f32_16x16x16_bf16 v[14:17], v[44:45], v[36:37], v[14:17]
	v_cmp_gt_i32_e32 vcc, s33, v87
	v_ashrrev_i32_e32 v66, 5, v68
	v_add_u32_e32 v69, s10, v89
	s_waitcnt vmcnt(6) lgkmcnt(1)
	v_mfma_f32_16x16x16_bf16 v[14:17], v[30:31], v[50:51], v[14:17]
	v_lshl_add_u64 v[30:31], v[42:43], 2, s[6:7]
	global_load_dwordx4 v[42:45], v[56:57], off
	v_ashrrev_i32_e32 v68, 5, v69
	global_load_dword v30, v[30:31], off
	s_waitcnt vmcnt(6)
	v_mfma_f32_16x16x16_bf16 v[10:13], v[26:27], v[50:51], v[10:13]
	v_cndmask_b32_e32 v26, v75, v60, vcc
	v_ashrrev_i32_e32 v27, 31, v26
	v_lshl_add_u64 v[26:27], v[26:27], 2, s[6:7]
	global_load_dwordx4 v[60:63], v[64:65], off
	global_load_dword v56, v[26:27], off
	v_mfma_f32_16x16x16_bf16 v[14:17], v[32:33], v[52:53], v[14:17]
	v_cmp_gt_i32_e32 vcc, s33, v88
	v_lshl_or_b32 v87, v1, 4, v76
	s_nop 0
	v_cndmask_b32_e32 v26, v75, v66, vcc
	v_ashrrev_i32_e32 v27, 31, v26
	s_waitcnt lgkmcnt(0)
	v_mfma_f32_16x16x16_bf16 v[14:17], v[22:23], v[46:47], v[14:17]
	v_lshl_add_u64 v[22:23], v[26:27], 2, s[6:7]
	global_load_dword v57, v[22:23], off
	v_cmp_gt_i32_e32 vcc, s33, v89
	global_load_dwordx4 v[64:67], v[64:65], off offset:2048
	v_mfma_f32_16x16x16_bf16 v[10:13], v[28:29], v[52:53], v[10:13]
	s_waitcnt vmcnt(9)
	v_mfma_f32_16x16x16_bf16 v[10:13], v[18:19], v[46:47], v[10:13]
	v_cndmask_b32_e32 v18, v75, v68, vcc
	v_ashrrev_i32_e32 v19, 31, v18
	v_mfma_f32_16x16x16_bf16 v[88:91], v[20:21], v[48:49], v[10:13]
	s_nop 3
	v_lshl_add_u64 v[10:11], v[6:7], 0, v[58:59]
	global_load_dwordx4 v[72:75], v[10:11], off
	v_mfma_f32_16x16x16_bf16 v[68:71], v[24:25], v[48:49], v[14:17]
	v_and_b32_e32 v10, 16, v0
	v_lshlrev_b32_e32 v54, 1, v10
	v_lshl_add_u64 v[58:59], s[4:5], 0, v[54:55]
	v_lshl_add_u64 v[14:15], v[18:19], 2, s[6:7]
	global_load_dword v77, v[14:15], off
	v_mfma_f32_16x16x16_bf16 v[6:9], v[8:9], v[4:5], v[82:85]
	v_lshlrev_b32_e32 v54, 6, v87
	s_waitcnt vmcnt(6)
	v_mad_i64_i32 v[10:11], s[4:5], v30, s9, 0
	v_mfma_f32_16x16x16_bf16 v[6:9], v[78:79], v[34:35], v[6:9]
	v_lshl_add_u64 v[78:79], v[58:59], 0, v[54:55]
	v_pk_mul_f32 v[82:83], s[8:9], v[70:71] op_sel_hi:[0,1]
	v_pk_mul_f32 v[70:71], s[8:9], v[88:89] op_sel_hi:[0,1]
	v_mfma_f32_16x16x16_bf16 v[6:9], v[80:81], v[36:37], v[6:9]
	v_lshlrev_b64 v[80:81], 1, v[10:11]
	v_lshl_add_u64 v[10:11], v[78:79], 0, v[80:81]
	global_load_dwordx4 v[30:33], v[10:11], off
	global_load_dwordx4 v[26:29], v[10:11], off offset:16
	v_mfma_f32_16x16x16_bf16 v[6:9], v[38:39], v[50:51], v[6:9]
	s_waitcnt vmcnt(6)
	v_mad_i64_i32 v[10:11], s[4:5], v56, s9, 0
	v_pk_mul_f32 v[84:85], s[8:9], v[90:91] op_sel_hi:[0,1]
	v_mfma_f32_16x16x16_bf16 v[6:9], v[40:41], v[52:53], v[6:9]
	v_or_b32_e32 v54, 0x1000, v54
	v_mfma_f32_16x16x16_bf16 v[6:9], v[42:43], v[46:47], v[6:9]
	v_lshlrev_b64 v[42:43], 1, v[10:11]
	v_mfma_f32_16x16x16_bf16 v[38:41], v[44:45], v[48:49], v[6:9]
	s_nop 4
	v_lshl_add_u64 v[6:7], v[78:79], 0, v[42:43]
	global_load_dwordx4 v[22:25], v[6:7], off
	global_load_dwordx4 v[18:21], v[6:7], off offset:16
	v_mfma_f32_16x16x16_bf16 v[6:9], v[60:61], v[2:3], 0
	s_waitcnt vmcnt(7)
	v_mad_i64_i32 v[2:3], s[4:5], v57, s9, 0
	v_lshlrev_b64 v[56:57], 1, v[2:3]
	v_mfma_f32_16x16x16_bf16 v[2:5], v[62:63], v[4:5], v[6:9]
	s_waitcnt vmcnt(6)
	v_mfma_f32_16x16x16_bf16 v[2:5], v[64:65], v[34:35], v[2:5]
	s_nop 0
	v_lshl_add_u64 v[6:7], v[78:79], 0, v[56:57]
	global_load_dwordx4 v[14:17], v[6:7], off
	global_load_dwordx4 v[10:13], v[6:7], off offset:16
	s_waitcnt vmcnt(6)
	v_mad_i64_i32 v[6:7], s[4:5], v77, s9, 0
	v_mfma_f32_16x16x16_bf16 v[34:37], v[66:67], v[36:37], v[2:5]
	v_lshlrev_b64 v[62:63], 1, v[6:7]
	v_lshl_add_u64 v[64:65], v[58:59], 0, v[54:55]
	v_lshl_add_u64 v[44:45], v[64:65], 0, v[80:81]
	v_mfma_f32_16x16x16_bf16 v[34:37], v[92:93], v[50:51], v[34:37]
	v_pk_mul_f32 v[50:51], s[8:9], v[68:69] op_sel_hi:[0,1]
	v_lshl_add_u64 v[2:3], v[78:79], 0, v[62:63]
	v_pk_mul_f32 v[78:79], s[8:9], v[38:39] op_sel_hi:[0,1]
	v_mfma_f32_16x16x16_bf16 v[34:37], v[94:95], v[52:53], v[34:37]
	v_pk_mul_f32 v[80:81], s[8:9], v[40:41] op_sel_hi:[0,1]
	global_load_dwordx4 v[6:9], v[2:3], off
	s_nop 0
	global_load_dwordx4 v[2:5], v[2:3], off offset:16
	v_mfma_f32_16x16x16_bf16 v[34:37], v[72:73], v[46:47], v[34:37]
	v_mfma_f32_16x16x16_bf16 v[34:37], v[74:75], v[48:49], v[34:37]
	s_nop 6
	v_pk_mul_f32 v[72:73], s[8:9], v[34:35] op_sel_hi:[0,1]
	v_and_b32_e32 v34, 0xc0, v0
	v_add_u32_e32 v34, s18, v34
	v_lshl_or_b32 v34, v86, 2, v34
	v_pk_mul_f32 v[66:67], s[8:9], v[36:37] op_sel_hi:[0,1]
	v_or_b32_e32 v37, 1, v34
	v_mov_b32_e32 v35, 0xff7fffff
	v_cmp_gt_i32_e64 s[28:29], s33, v34
	v_cmp_gt_i32_e64 s[30:31], s33, v37
	v_or_b32_e32 v38, 3, v34
	v_cndmask_b32_e64 v36, v35, v50, s[28:29]
	v_cndmask_b32_e64 v37, v35, v51, s[30:31]
	v_max3_f32 v36, v36, s41, v37
	v_or_b32_e32 v37, 2, v34
	v_cmp_gt_i32_e64 s[34:35], s33, v37
	v_cmp_gt_i32_e64 s[36:37], s33, v38
	s_nop 0
	v_cndmask_b32_e64 v37, v35, v82, s[34:35]
	v_cndmask_b32_e64 v38, v35, v83, s[36:37]
	v_max3_f32 v36, v36, v37, v38
	v_or_b32_e32 v37, 16, v34
	v_or_b32_e32 v38, 17, v34
	v_cmp_gt_i32_e64 s[22:23], s33, v37
	v_cmp_gt_i32_e64 s[24:25], s33, v38
	s_nop 0
	v_cndmask_b32_e64 v37, v35, v70, s[22:23]
	v_cndmask_b32_e64 v38, v35, v71, s[24:25]
	v_max3_f32 v36, v36, v37, v38
	v_or_b32_e32 v37, 18, v34
	;; [unrolled: 8-line block ×6, first 2 shown]
	v_or_b32_e32 v34, 51, v34
	v_cmp_gt_i32_e32 vcc, s33, v37
	v_cmp_gt_i32_e64 s[4:5], s33, v34
	global_load_dwordx4 v[46:49], v[44:45], off
	global_load_dwordx4 v[38:41], v[44:45], off offset:16
	v_cndmask_b32_e32 v37, v35, v66, vcc
	v_cndmask_b32_e64 v34, v35, v67, s[4:5]
	v_max3_f32 v52, v36, v37, v34
	v_mbcnt_lo_u32_b32 v34, -1, 0
	v_mbcnt_hi_u32_b32 v53, -1, v34
	v_and_b32_e32 v34, 64, v53
	v_add_u32_e32 v54, 64, v34
	v_xor_b32_e32 v34, 32, v53
	v_cmp_lt_i32_e64 s[38:39], v34, v54
	s_nop 1
	v_cndmask_b32_e64 v34, v53, v34, s[38:39]
	v_lshlrev_b32_e32 v74, 2, v34
	ds_bpermute_b32 v55, v74, v52
	v_lshl_add_u64 v[34:35], v[64:65], 0, v[42:43]
	global_load_dwordx4 v[42:45], v[34:35], off
	s_nop 0
	global_load_dwordx4 v[34:37], v[34:35], off offset:16
	s_waitcnt lgkmcnt(0)
	v_max_f32_e32 v55, v55, v55
	v_max_f32_e32 v68, v52, v55
	v_xor_b32_e32 v52, 16, v53
	v_cmp_lt_i32_e64 s[38:39], v52, v54
	s_nop 1
	v_cndmask_b32_e64 v52, v53, v52, s[38:39]
	v_lshlrev_b32_e32 v75, 2, v52
	ds_bpermute_b32 v69, v75, v68
	v_lshl_add_u64 v[52:53], v[64:65], 0, v[56:57]
	global_load_dwordx4 v[58:61], v[52:53], off
	global_load_dwordx4 v[54:57], v[52:53], off offset:16
	v_lshl_add_u64 v[52:53], v[64:65], 0, v[62:63]
	s_waitcnt lgkmcnt(0)
	v_max_f32_e32 v62, v69, v69
	v_max_f32_e32 v88, v68, v62
	v_sub_f32_e32 v50, v50, v88
	v_mul_f32_e32 v50, 0x3fb8aa3b, v50
	v_exp_f32_e32 v68, v50
	v_sub_f32_e32 v50, v51, v88
	v_mul_f32_e32 v50, 0x3fb8aa3b, v50
	v_exp_f32_e32 v69, v50
	global_load_dwordx4 v[62:65], v[52:53], off
	s_nop 0
	global_load_dwordx4 v[50:53], v[52:53], off offset:16
	v_sub_f32_e32 v82, v82, v88
	v_mul_f32_e32 v82, 0x3fb8aa3b, v82
	v_sub_f32_e32 v83, v83, v88
	v_exp_f32_e32 v82, v82
	v_mul_f32_e32 v83, 0x3fb8aa3b, v83
	v_sub_f32_e32 v70, v70, v88
	v_exp_f32_e32 v83, v83
	v_mul_f32_e32 v70, 0x3fb8aa3b, v70
	v_sub_f32_e32 v71, v71, v88
	v_cndmask_b32_e64 v68, 0, v68, s[28:29]
	v_exp_f32_e32 v70, v70
	v_mul_f32_e32 v71, 0x3fb8aa3b, v71
	v_sub_f32_e32 v84, v84, v88
	v_add_f32_e32 v77, 0, v68
	v_cndmask_b32_e64 v69, 0, v69, s[30:31]
	v_exp_f32_e32 v71, v71
	v_mul_f32_e32 v84, 0x3fb8aa3b, v84
	v_sub_f32_e32 v85, v85, v88
	v_add_f32_e32 v77, v77, v69
	;; [unrolled: 5-line block ×10, first 2 shown]
	v_cndmask_b32_e64 v80, 0, v80, s[10:11]
	v_exp_f32_e32 v66, v66
	v_mul_f32_e32 v67, 0x3fb8aa3b, v67
	v_add_f32_e32 v77, v77, v80
	v_cndmask_b32_e64 v81, 0, v81, s[12:13]
	v_exp_f32_e32 v67, v67
	v_add_f32_e32 v77, v77, v81
	v_cndmask_b32_e64 v72, 0, v72, s[6:7]
	v_add_f32_e32 v77, v77, v72
	v_cndmask_b32_e64 v73, 0, v73, s[8:9]
	v_add_f32_e32 v77, v77, v73
	v_cndmask_b32_e32 v66, 0, v66, vcc
	v_add_f32_e32 v77, v77, v66
	v_cndmask_b32_e64 v67, 0, v67, s[4:5]
	v_add_f32_e32 v77, v77, v67
	ds_bpermute_b32 v74, v74, v77
	s_waitcnt lgkmcnt(0)
	s_barrier
	v_add_f32_e32 v89, v77, v74
	ds_bpermute_b32 v90, v75, v89
	v_and_b32_e32 v74, 63, v0
	v_cmp_gt_u32_e32 vcc, 16, v74
	s_and_saveexec_b64 s[4:5], vcc
	s_cbranch_execz .LBB762_15
; %bb.14:
	s_waitcnt lgkmcnt(0)
	v_add_f32_e32 v74, v89, v90
	v_lshlrev_b32_e32 v75, 2, v87
	ds_write2st64_b32 v75, v88, v74 offset1:1
.LBB762_15:
	s_or_b64 exec, exec, s[4:5]
	v_lshlrev_b32_e32 v77, 2, v76
	s_load_dword s6, s[0:1], 0x94
	s_waitcnt lgkmcnt(0)
	s_barrier
	ds_read2_b32 v[74:75], v77 offset1:16
	ds_read2_b32 v[88:89], v77 offset0:32 offset1:48
	ds_read2_b32 v[90:91], v77 offset0:64 offset1:80
	s_movk_i32 s8, 0x7fff
	s_mov_b32 s9, 0x7060302
	s_waitcnt lgkmcnt(2)
	v_max3_f32 v87, v74, s41, v75
	s_waitcnt lgkmcnt(1)
	v_max3_f32 v87, v87, v88, v89
	v_sub_f32_e32 v74, v74, v87
	v_mul_f32_e32 v74, 0x3fb8aa3b, v74
	v_exp_f32_e32 v92, v74
	v_sub_f32_e32 v74, v75, v87
	v_mul_f32_e32 v74, 0x3fb8aa3b, v74
	v_exp_f32_e32 v93, v74
	;; [unrolled: 3-line block ×3, first 2 shown]
	ds_read2_b32 v[74:75], v77 offset0:96 offset1:112
	v_sub_f32_e32 v77, v89, v87
	v_mul_f32_e32 v77, 0x3fb8aa3b, v77
	v_exp_f32_e32 v77, v77
	s_waitcnt lgkmcnt(1)
	v_fma_f32 v88, v92, v90, 0
	v_fmac_f32_e32 v88, v93, v91
	s_waitcnt lgkmcnt(0)
	v_fmac_f32_e32 v88, v94, v74
	v_fmac_f32_e32 v88, v77, v75
	v_add_f32_e32 v74, 0x358637bd, v88
	v_div_scale_f32 v75, s[4:5], v74, v74, 1.0
	v_rcp_f32_e32 v89, v75
	s_barrier
	v_fma_f32 v90, -v75, v89, 1.0
	v_fmac_f32_e32 v89, v90, v89
	v_div_scale_f32 v90, vcc, 1.0, v74, 1.0
	v_mul_f32_e32 v91, v90, v89
	v_fma_f32 v95, -v75, v91, v90
	v_fmac_f32_e32 v91, v95, v89
	v_fma_f32 v75, -v75, v91, v90
	v_div_fmas_f32 v75, v75, v89, v91
	v_cmp_eq_u32_e32 vcc, 1, v1
	v_div_fixup_f32 v74, v75, v74, 1.0
	s_mul_i32 s7, s27, 15
	v_cndmask_b32_e32 v75, v92, v93, vcc
	v_cmp_eq_u32_e32 vcc, 2, v1
	s_nop 1
	v_cndmask_b32_e32 v75, v75, v94, vcc
	v_cmp_eq_u32_e32 vcc, 3, v1
	v_lshlrev_b32_e32 v1, 11, v1
	s_nop 0
	v_cndmask_b32_e32 v75, v75, v77, vcc
	v_mul_f32_e32 v74, v75, v74
	v_pk_mul_f32 v[68:69], v[74:75], v[68:69] op_sel_hi:[0,1]
	v_pk_mul_f32 v[82:83], v[74:75], v[82:83] op_sel_hi:[0,1]
	v_bfe_u32 v75, v69, 16, 1
	v_bfe_u32 v77, v68, 16, 1
	v_add3_u32 v68, v68, v77, s8
	v_add3_u32 v69, v69, v75, s8
	v_perm_b32 v90, v69, v68, s9
	v_bfe_u32 v68, v83, 16, 1
	v_bfe_u32 v69, v82, 16, 1
	v_add3_u32 v69, v82, v69, s8
	v_add3_u32 v68, v83, v68, s8
	v_perm_b32 v91, v68, v69, s9
	v_lshlrev_b32_e32 v69, 3, v86
	v_lshlrev_b32_e32 v68, 5, v76
	v_pk_mul_f32 v[70:71], v[74:75], v[70:71] op_sel_hi:[0,1]
	v_or3_b32 v1, v1, v68, v69
	v_pk_mul_f32 v[82:83], v[74:75], v[84:85] op_sel_hi:[0,1]
	v_bfe_u32 v69, v71, 16, 1
	v_bfe_u32 v75, v70, 16, 1
	v_add3_u32 v70, v70, v75, s8
	v_add3_u32 v69, v71, v69, s8
	v_perm_b32 v70, v69, v70, s9
	v_bfe_u32 v69, v83, 16, 1
	v_bfe_u32 v71, v82, 16, 1
	v_add3_u32 v71, v82, v71, s8
	v_add3_u32 v69, v83, v69, s8
	v_perm_b32 v71, v69, v71, s9
	v_pk_mul_f32 v[78:79], v[74:75], v[78:79] op_sel_hi:[0,1]
	ds_write2st64_b64 v1, v[90:91], v[70:71] offset1:1
	v_pk_mul_f32 v[70:71], v[74:75], v[80:81] op_sel_hi:[0,1]
	v_bfe_u32 v69, v79, 16, 1
	v_bfe_u32 v75, v78, 16, 1
	v_add3_u32 v75, v78, v75, s8
	v_add3_u32 v69, v79, v69, s8
	v_perm_b32 v78, v69, v75, s9
	v_bfe_u32 v69, v71, 16, 1
	v_bfe_u32 v75, v70, 16, 1
	v_add3_u32 v70, v70, v75, s8
	v_add3_u32 v69, v71, v69, s8
	v_perm_b32 v79, v69, v70, s9
	v_pk_mul_f32 v[70:71], v[74:75], v[72:73] op_sel_hi:[0,1]
	v_bfe_u32 v69, v71, 16, 1
	v_bfe_u32 v72, v70, 16, 1
	v_pk_mul_f32 v[66:67], v[74:75], v[66:67] op_sel_hi:[0,1]
	v_add3_u32 v70, v70, v72, s8
	v_add3_u32 v69, v71, v69, s8
	v_perm_b32 v70, v69, v70, s9
	v_bfe_u32 v69, v67, 16, 1
	v_bfe_u32 v71, v66, 16, 1
	v_add3_u32 v66, v66, v71, s8
	v_add3_u32 v67, v67, v69, s8
	v_perm_b32 v71, v67, v66, s9
	v_cmp_gt_u32_e32 vcc, 15, v0
	ds_write2st64_b64 v1, v[78:79], v[70:71] offset0:2 offset1:3
	s_and_saveexec_b64 s[4:5], vcc
	s_cbranch_execz .LBB762_17
; %bb.16:
	s_mov_b32 s41, 0
	v_mov_b32_e32 v77, 0
	v_lshl_add_u64 v[66:67], s[40:41], 0, v[76:77]
	v_mov_b32_e32 v69, s7
	v_mad_u64_u32 v[66:67], s[10:11], s2, v69, v[66:67]
	s_mul_i32 s3, s3, s7
	v_mov_b32_e32 v70, s26
	v_mov_b32_e32 v71, v77
	s_load_dwordx4 s[12:15], s[0:1], 0x58
	v_add_u32_e32 v69, s3, v67
	v_mad_u64_u32 v[66:67], s[10:11], v66, s6, v[70:71]
	v_mov_b32_e32 v70, v67
	v_mad_u64_u32 v[70:71], s[10:11], v69, s6, v[70:71]
	v_mov_b32_e32 v67, v70
	v_lshlrev_b64 v[66:67], 2, v[66:67]
	s_waitcnt lgkmcnt(0)
	v_lshl_add_u64 v[70:71], s[14:15], 0, v[66:67]
	v_lshl_add_u64 v[66:67], s[12:13], 0, v[66:67]
	global_store_dword v[70:71], v87, off
	global_store_dword v[66:67], v88, off
.LBB762_17:
	s_or_b64 exec, exec, s[4:5]
	v_lshl_or_b32 v74, v86, 9, v68
	s_waitcnt lgkmcnt(0)
	s_barrier
	ds_read_b128 v[70:73], v74
	ds_read_b128 v[66:69], v74 offset:16
	s_waitcnt vmcnt(15) lgkmcnt(1)
	v_mfma_f32_16x16x16_bf16 v[78:81], v[30:31], v[70:71], 0
	s_mov_b32 s3, 0
	v_cmp_gt_u32_e32 vcc, 64, v0
	v_mfma_f32_16x16x16_bf16 v[30:33], v[32:33], v[72:73], v[78:81]
	s_waitcnt vmcnt(14) lgkmcnt(0)
	v_mfma_f32_16x16x16_bf16 v[30:33], v[26:27], v[66:67], v[30:33]
	v_mfma_f32_16x16x16_bf16 v[26:29], v[28:29], v[68:69], v[30:33]
	s_nop 5
	ds_read_b128 v[30:33], v74 offset:2048
	ds_read_b128 v[78:81], v74 offset:2064
	s_waitcnt vmcnt(13) lgkmcnt(1)
	v_mfma_f32_16x16x16_bf16 v[26:29], v[22:23], v[30:31], v[26:29]
	v_mfma_f32_16x16x16_bf16 v[22:25], v[24:25], v[32:33], v[26:29]
	s_waitcnt vmcnt(12) lgkmcnt(0)
	v_mfma_f32_16x16x16_bf16 v[22:25], v[18:19], v[78:79], v[22:25]
	v_mfma_f32_16x16x16_bf16 v[18:21], v[20:21], v[80:81], v[22:25]
	s_nop 5
	ds_read_b128 v[22:25], v74 offset:4096
	ds_read_b128 v[26:29], v74 offset:4112
	s_waitcnt vmcnt(11) lgkmcnt(1)
	v_mfma_f32_16x16x16_bf16 v[18:21], v[14:15], v[22:23], v[18:21]
	v_mfma_f32_16x16x16_bf16 v[14:17], v[16:17], v[24:25], v[18:21]
	s_waitcnt vmcnt(10) lgkmcnt(0)
	v_mfma_f32_16x16x16_bf16 v[14:17], v[10:11], v[26:27], v[14:17]
	v_mfma_f32_16x16x16_bf16 v[10:13], v[12:13], v[28:29], v[14:17]
	s_nop 5
	ds_read_b128 v[14:17], v74 offset:6144
	ds_read_b128 v[18:21], v74 offset:6160
	s_waitcnt lgkmcnt(0)
	s_barrier
	s_waitcnt vmcnt(9)
	v_mfma_f32_16x16x16_bf16 v[10:13], v[6:7], v[14:15], v[10:13]
	v_mfma_f32_16x16x16_bf16 v[6:9], v[8:9], v[16:17], v[10:13]
	s_waitcnt vmcnt(8)
	v_mfma_f32_16x16x16_bf16 v[6:9], v[2:3], v[18:19], v[6:9]
	v_mfma_f32_16x16x16_bf16 v[2:5], v[4:5], v[20:21], v[6:9]
	;; [unrolled: 3-line block ×3, first 2 shown]
	s_nop 3
	v_bfe_u32 v10, v3, 16, 1
	v_bfe_u32 v11, v2, 16, 1
	v_add3_u32 v2, v2, v11, s8
	s_waitcnt vmcnt(6)
	v_mfma_f32_16x16x16_bf16 v[6:9], v[38:39], v[66:67], v[6:9]
	v_add3_u32 v3, v3, v10, s8
	v_perm_b32 v10, v3, v2, s9
	v_bfe_u32 v2, v5, 16, 1
	v_mfma_f32_16x16x16_bf16 v[6:9], v[40:41], v[68:69], v[6:9]
	v_bfe_u32 v3, v4, 16, 1
	v_add3_u32 v3, v4, v3, s8
	v_add3_u32 v2, v5, v2, s8
	s_waitcnt vmcnt(5)
	v_mfma_f32_16x16x16_bf16 v[6:9], v[42:43], v[30:31], v[6:9]
	v_perm_b32 v11, v2, v3, s9
	v_mfma_f32_16x16x16_bf16 v[6:9], v[44:45], v[32:33], v[6:9]
	s_waitcnt vmcnt(4)
	v_mfma_f32_16x16x16_bf16 v[6:9], v[34:35], v[78:79], v[6:9]
	v_mfma_f32_16x16x16_bf16 v[6:9], v[36:37], v[80:81], v[6:9]
	s_waitcnt vmcnt(3)
	v_mfma_f32_16x16x16_bf16 v[6:9], v[58:59], v[22:23], v[6:9]
	v_mfma_f32_16x16x16_bf16 v[6:9], v[60:61], v[24:25], v[6:9]
	s_waitcnt vmcnt(2)
	v_mfma_f32_16x16x16_bf16 v[6:9], v[54:55], v[26:27], v[6:9]
	v_mfma_f32_16x16x16_bf16 v[6:9], v[56:57], v[28:29], v[6:9]
	s_waitcnt vmcnt(1)
	v_mfma_f32_16x16x16_bf16 v[6:9], v[62:63], v[14:15], v[6:9]
	v_mfma_f32_16x16x16_bf16 v[6:9], v[64:65], v[16:17], v[6:9]
	s_waitcnt vmcnt(0)
	v_mfma_f32_16x16x16_bf16 v[6:9], v[50:51], v[18:19], v[6:9]
	v_mfma_f32_16x16x16_bf16 v[2:5], v[52:53], v[20:21], v[6:9]
	s_nop 6
	v_bfe_u32 v6, v3, 16, 1
	v_bfe_u32 v7, v2, 16, 1
	v_add3_u32 v2, v2, v7, s8
	v_add3_u32 v3, v3, v6, s8
	v_perm_b32 v2, v3, v2, s9
	v_bfe_u32 v3, v5, 16, 1
	v_bfe_u32 v6, v4, 16, 1
	v_add3_u32 v4, v4, v6, s8
	v_add3_u32 v3, v5, v3, s8
	v_perm_b32 v3, v3, v4, s9
	ds_write2st64_b64 v1, v[10:11], v[2:3] offset1:1
	s_waitcnt lgkmcnt(0)
	s_barrier
	s_and_saveexec_b64 s[4:5], vcc
	s_cbranch_execz .LBB762_20
; %bb.18:
	v_lshlrev_b32_e32 v3, 6, v76
	v_lshlrev_b32_e32 v2, 4, v0
	v_lshl_or_b32 v0, v0, 10, v3
	v_lshlrev_b32_e32 v1, 5, v86
	v_and_b32_e32 v2, 16, v2
	v_and_b32_e32 v0, 0x1a00, v0
	v_or3_b32 v2, v0, v1, v2
	scratch_load_dwordx2 v[0:1], off, off   ; 8-byte Folded Reload
	s_load_dwordx2 s[4:5], s[0:1], 0x68
	s_lshl_b32 s0, s6, 7
	s_mul_i32 s1, s7, s2
	s_mul_hi_u32 s7, s1, s0
	s_mul_i32 s6, s1, s0
	s_lshl_b64 s[6:7], s[6:7], 1
	s_waitcnt lgkmcnt(0)
	s_add_u32 s1, s4, s6
	s_addc_u32 s4, s5, s7
	s_lshl_b32 s2, s26, 7
	ds_read_b128 v[4:7], v2 offset:256
	s_lshl_b64 s[2:3], s[2:3], 1
	ds_read_b128 v[8:11], v2 offset:128
	ds_read_b128 v[12:15], v2
	s_add_u32 s2, s1, s2
	s_addc_u32 s3, s4, s3
	v_add_u32_e32 v3, s40, v86
	v_cmp_ne_u32_e32 vcc, 3, v86
	s_waitcnt vmcnt(0)
	v_lshl_add_u64 v[0:1], v[0:1], 1, s[2:3]
	v_mad_u64_u32 v[16:17], s[2:3], v3, s0, 0
	v_lshl_add_u64 v[16:17], v[16:17], 1, v[0:1]
	s_waitcnt lgkmcnt(0)
	global_store_dwordx4 v[16:17], v[12:15], off
	s_nop 1
	v_add_u32_e32 v12, 4, v3
	v_mad_u64_u32 v[12:13], s[2:3], v12, s0, 0
	v_lshl_add_u64 v[12:13], v[12:13], 1, v[0:1]
	v_add_u32_e32 v3, 8, v3
	global_store_dwordx4 v[12:13], v[8:11], off
	s_nop 1
	v_mad_u64_u32 v[8:9], s[2:3], v3, s0, 0
	v_lshl_add_u64 v[8:9], v[8:9], 1, v[0:1]
	global_store_dwordx4 v[8:9], v[4:7], off
	s_and_b64 exec, exec, vcc
	s_cbranch_execz .LBB762_20
; %bb.19:
	ds_read_b128 v[2:5], v2 offset:384
	v_add3_u32 v6, s40, v86, 12
	v_mad_u64_u32 v[6:7], s[0:1], v6, s0, 0
	v_lshl_add_u64 v[0:1], v[6:7], 1, v[0:1]
	s_waitcnt lgkmcnt(0)
	global_store_dwordx4 v[0:1], v[2:5], off
.LBB762_20:
	s_endpgm
	.section	.rodata,"a",@progbits
	.p2align	6, 0x0
	.amdhsa_kernel _Z39paged_attention_ll4mi_QKV_mfma16_kernelI14__hip_bfloat16S0_LN4vllm18Fp8KVCacheDataTypeE0ES0_Li32ELi128ELi256ELb0ELi15EEvPKT_PKT0_S8_ifPKiSA_SA_iPKfiiiPfSD_PS3_PT2_iSC_SC_
		.amdhsa_group_segment_fixed_size 8192
		.amdhsa_private_segment_fixed_size 12
		.amdhsa_kernarg_size 400
		.amdhsa_user_sgpr_count 2
		.amdhsa_user_sgpr_dispatch_ptr 0
		.amdhsa_user_sgpr_queue_ptr 0
		.amdhsa_user_sgpr_kernarg_segment_ptr 1
		.amdhsa_user_sgpr_dispatch_id 0
		.amdhsa_user_sgpr_kernarg_preload_length 0
		.amdhsa_user_sgpr_kernarg_preload_offset 0
		.amdhsa_user_sgpr_private_segment_size 0
		.amdhsa_uses_dynamic_stack 0
		.amdhsa_enable_private_segment 1
		.amdhsa_system_sgpr_workgroup_id_x 1
		.amdhsa_system_sgpr_workgroup_id_y 1
		.amdhsa_system_sgpr_workgroup_id_z 1
		.amdhsa_system_sgpr_workgroup_info 0
		.amdhsa_system_vgpr_workitem_id 0
		.amdhsa_next_free_vgpr 96
		.amdhsa_next_free_sgpr 42
		.amdhsa_accum_offset 96
		.amdhsa_reserve_vcc 1
		.amdhsa_float_round_mode_32 0
		.amdhsa_float_round_mode_16_64 0
		.amdhsa_float_denorm_mode_32 3
		.amdhsa_float_denorm_mode_16_64 3
		.amdhsa_dx10_clamp 1
		.amdhsa_ieee_mode 1
		.amdhsa_fp16_overflow 0
		.amdhsa_tg_split 0
		.amdhsa_exception_fp_ieee_invalid_op 0
		.amdhsa_exception_fp_denorm_src 0
		.amdhsa_exception_fp_ieee_div_zero 0
		.amdhsa_exception_fp_ieee_overflow 0
		.amdhsa_exception_fp_ieee_underflow 0
		.amdhsa_exception_fp_ieee_inexact 0
		.amdhsa_exception_int_div_zero 0
	.end_amdhsa_kernel
	.section	.text._Z39paged_attention_ll4mi_QKV_mfma16_kernelI14__hip_bfloat16S0_LN4vllm18Fp8KVCacheDataTypeE0ES0_Li32ELi128ELi256ELb0ELi15EEvPKT_PKT0_S8_ifPKiSA_SA_iPKfiiiPfSD_PS3_PT2_iSC_SC_,"axG",@progbits,_Z39paged_attention_ll4mi_QKV_mfma16_kernelI14__hip_bfloat16S0_LN4vllm18Fp8KVCacheDataTypeE0ES0_Li32ELi128ELi256ELb0ELi15EEvPKT_PKT0_S8_ifPKiSA_SA_iPKfiiiPfSD_PS3_PT2_iSC_SC_,comdat
.Lfunc_end762:
	.size	_Z39paged_attention_ll4mi_QKV_mfma16_kernelI14__hip_bfloat16S0_LN4vllm18Fp8KVCacheDataTypeE0ES0_Li32ELi128ELi256ELb0ELi15EEvPKT_PKT0_S8_ifPKiSA_SA_iPKfiiiPfSD_PS3_PT2_iSC_SC_, .Lfunc_end762-_Z39paged_attention_ll4mi_QKV_mfma16_kernelI14__hip_bfloat16S0_LN4vllm18Fp8KVCacheDataTypeE0ES0_Li32ELi128ELi256ELb0ELi15EEvPKT_PKT0_S8_ifPKiSA_SA_iPKfiiiPfSD_PS3_PT2_iSC_SC_
                                        ; -- End function
	.section	.AMDGPU.csdata,"",@progbits
; Kernel info:
; codeLenInByte = 4936
; NumSgprs: 48
; NumVgprs: 96
; NumAgprs: 0
; TotalNumVgprs: 96
; ScratchSize: 12
; MemoryBound: 0
; FloatMode: 240
; IeeeMode: 1
; LDSByteSize: 8192 bytes/workgroup (compile time only)
; SGPRBlocks: 5
; VGPRBlocks: 11
; NumSGPRsForWavesPerEU: 48
; NumVGPRsForWavesPerEU: 96
; AccumOffset: 96
; Occupancy: 5
; WaveLimiterHint : 1
; COMPUTE_PGM_RSRC2:SCRATCH_EN: 1
; COMPUTE_PGM_RSRC2:USER_SGPR: 2
; COMPUTE_PGM_RSRC2:TRAP_HANDLER: 0
; COMPUTE_PGM_RSRC2:TGID_X_EN: 1
; COMPUTE_PGM_RSRC2:TGID_Y_EN: 1
; COMPUTE_PGM_RSRC2:TGID_Z_EN: 1
; COMPUTE_PGM_RSRC2:TIDIG_COMP_CNT: 0
; COMPUTE_PGM_RSRC3_GFX90A:ACCUM_OFFSET: 23
; COMPUTE_PGM_RSRC3_GFX90A:TG_SPLIT: 0
	.section	.text._Z39paged_attention_ll4mi_QKV_mfma16_kernelI14__hip_bfloat16S0_LN4vllm18Fp8KVCacheDataTypeE0ES0_Li32ELi128ELi256ELb0ELi16EEvPKT_PKT0_S8_ifPKiSA_SA_iPKfiiiPfSD_PS3_PT2_iSC_SC_,"axG",@progbits,_Z39paged_attention_ll4mi_QKV_mfma16_kernelI14__hip_bfloat16S0_LN4vllm18Fp8KVCacheDataTypeE0ES0_Li32ELi128ELi256ELb0ELi16EEvPKT_PKT0_S8_ifPKiSA_SA_iPKfiiiPfSD_PS3_PT2_iSC_SC_,comdat
	.protected	_Z39paged_attention_ll4mi_QKV_mfma16_kernelI14__hip_bfloat16S0_LN4vllm18Fp8KVCacheDataTypeE0ES0_Li32ELi128ELi256ELb0ELi16EEvPKT_PKT0_S8_ifPKiSA_SA_iPKfiiiPfSD_PS3_PT2_iSC_SC_ ; -- Begin function _Z39paged_attention_ll4mi_QKV_mfma16_kernelI14__hip_bfloat16S0_LN4vllm18Fp8KVCacheDataTypeE0ES0_Li32ELi128ELi256ELb0ELi16EEvPKT_PKT0_S8_ifPKiSA_SA_iPKfiiiPfSD_PS3_PT2_iSC_SC_
	.globl	_Z39paged_attention_ll4mi_QKV_mfma16_kernelI14__hip_bfloat16S0_LN4vllm18Fp8KVCacheDataTypeE0ES0_Li32ELi128ELi256ELb0ELi16EEvPKT_PKT0_S8_ifPKiSA_SA_iPKfiiiPfSD_PS3_PT2_iSC_SC_
	.p2align	8
	.type	_Z39paged_attention_ll4mi_QKV_mfma16_kernelI14__hip_bfloat16S0_LN4vllm18Fp8KVCacheDataTypeE0ES0_Li32ELi128ELi256ELb0ELi16EEvPKT_PKT0_S8_ifPKiSA_SA_iPKfiiiPfSD_PS3_PT2_iSC_SC_,@function
_Z39paged_attention_ll4mi_QKV_mfma16_kernelI14__hip_bfloat16S0_LN4vllm18Fp8KVCacheDataTypeE0ES0_Li32ELi128ELi256ELb0ELi16EEvPKT_PKT0_S8_ifPKiSA_SA_iPKfiiiPfSD_PS3_PT2_iSC_SC_: ; @_Z39paged_attention_ll4mi_QKV_mfma16_kernelI14__hip_bfloat16S0_LN4vllm18Fp8KVCacheDataTypeE0ES0_Li32ELi128ELi256ELb0ELi16EEvPKT_PKT0_S8_ifPKiSA_SA_iPKfiiiPfSD_PS3_PT2_iSC_SC_
; %bb.0:
	s_load_dwordx2 s[8:9], s[0:1], 0x30
	s_mov_b32 s26, s3
	s_mov_b64 s[6:7], 0
	s_waitcnt lgkmcnt(0)
	s_cmp_lg_u64 s[8:9], 0
	s_cselect_b64 s[10:11], -1, 0
	s_and_b64 vcc, exec, s[10:11]
	s_cbranch_vccz .LBB763_7
; %bb.1:
	s_add_i32 s12, s2, 1
	s_mov_b32 s13, 0
	s_lshl_b64 s[14:15], s[12:13], 2
	s_add_u32 s14, s8, s14
	s_mov_b32 s3, s13
	s_addc_u32 s15, s9, s15
	s_lshl_b64 s[12:13], s[2:3], 2
	s_add_u32 s12, s8, s12
	s_addc_u32 s13, s9, s13
	s_load_dword s5, s[14:15], 0x0
	s_load_dword s16, s[12:13], 0x0
	s_waitcnt lgkmcnt(0)
	s_sub_i32 s5, s5, s16
	s_cmp_eq_u32 s5, 1
	s_cselect_b64 s[12:13], -1, 0
	s_andn2_b64 vcc, exec, s[6:7]
	s_cbranch_vccnz .LBB763_3
.LBB763_2:
	s_mov_b32 s3, 0
	s_mov_b64 s[12:13], -1
.LBB763_3:
	s_andn2_b64 vcc, exec, s[12:13]
	s_cbranch_vccnz .LBB763_19
; %bb.4:
	s_load_dwordx2 s[6:7], s[0:1], 0x28
	s_lshl_b64 s[12:13], s[2:3], 2
	s_waitcnt lgkmcnt(0)
	s_add_u32 s6, s6, s12
	s_addc_u32 s7, s7, s13
	s_load_dword s38, s[6:7], 0x0
	s_lshl_b32 s18, s26, 8
	s_waitcnt lgkmcnt(0)
	s_cmp_ge_i32 s18, s38
	s_cbranch_scc1 .LBB763_19
; %bb.5:
	s_load_dwordx2 s[6:7], s[0:1], 0x20
	s_load_dword s5, s[0:1], 0x38
	s_add_i32 s14, s38, 31
	s_ashr_i32 s15, s14, 31
	v_and_b32_e32 v1, 0xcf, v0
	s_lshr_b32 s15, s15, 27
	v_add_u32_e32 v1, s18, v1
	s_add_i32 s14, s14, s15
	v_ashrrev_i32_e32 v2, 31, v1
	s_ashr_i32 s19, s14, 5
	v_lshrrev_b32_e32 v6, 27, v2
	s_add_i32 s19, s19, -1
	s_waitcnt lgkmcnt(0)
	s_mul_i32 s14, s2, s5
	s_mov_b32 s15, 0
	v_add_u32_e32 v2, v1, v6
	s_lshl_b64 s[14:15], s[14:15], 2
	v_ashrrev_i32_e32 v2, 5, v2
	v_mov_b32_e32 v7, s19
	v_cmp_gt_i32_e32 vcc, s38, v1
	s_add_u32 s6, s6, s14
	s_addc_u32 s7, s7, s15
	v_cndmask_b32_e32 v2, v7, v2, vcc
	v_ashrrev_i32_e32 v3, 31, v2
	v_lshl_add_u64 v[4:5], v[2:3], 2, s[6:7]
	v_or_b32_e32 v2, 16, v1
	v_add_u32_e32 v3, v2, v6
	v_ashrrev_i32_e32 v3, 5, v3
	v_cmp_gt_i32_e32 vcc, s38, v2
	s_nop 1
	v_cndmask_b32_e32 v2, v7, v3, vcc
	v_ashrrev_i32_e32 v3, 31, v2
	v_lshl_add_u64 v[8:9], v[2:3], 2, s[6:7]
	v_or_b32_e32 v2, 32, v1
	v_add_u32_e32 v3, v2, v6
	v_ashrrev_i32_e32 v3, 5, v3
	v_cmp_gt_i32_e32 vcc, s38, v2
	v_or_b32_e32 v1, 48, v1
	s_nop 0
	v_cndmask_b32_e32 v2, v7, v3, vcc
	v_ashrrev_i32_e32 v3, 31, v2
	v_lshl_add_u64 v[10:11], v[2:3], 2, s[6:7]
	v_add_u32_e32 v2, v1, v6
	v_ashrrev_i32_e32 v2, 5, v2
	v_cmp_gt_i32_e32 vcc, s38, v1
	s_nop 1
	v_cndmask_b32_e32 v2, v7, v2, vcc
	v_ashrrev_i32_e32 v3, 31, v2
	v_lshl_add_u64 v[12:13], v[2:3], 2, s[6:7]
	global_load_dword v2, v[4:5], off
	global_load_dword v7, v[8:9], off
	;; [unrolled: 1-line block ×4, first 2 shown]
	s_andn2_b64 vcc, exec, s[10:11]
	s_cbranch_vccnz .LBB763_8
; %bb.6:
	s_add_u32 s8, s8, s12
	s_addc_u32 s9, s9, s13
	s_load_dword s5, s[8:9], 0x0
	s_branch .LBB763_9
.LBB763_7:
	s_mov_b64 s[12:13], 0
	s_branch .LBB763_2
.LBB763_8:
	s_mov_b32 s5, s2
.LBB763_9:
	s_load_dwordx4 s[12:15], s[0:1], 0x8
	s_load_dwordx4 s[8:11], s[0:1], 0x48
	v_and_b32_e32 v1, 15, v0
	s_waitcnt lgkmcnt(0)
	s_movk_i32 s11, 0xff
	v_lshlrev_b32_e32 v12, 3, v1
	v_cmp_lt_u32_e32 vcc, s11, v0
	s_and_saveexec_b64 s[16:17], vcc
	s_xor_b64 s[16:17], exec, s[16:17]
; %bb.10:
	v_mov_b32_e32 v13, 0
; %bb.11:
	s_or_saveexec_b64 s[16:17], s[16:17]
	v_lshrrev_b32_e32 v95, 6, v0
	s_lshl_b32 s27, s4, 4
	v_bfe_u32 v85, v0, 4, 2
	s_xor_b64 exec, exec, s[16:17]
	s_cbranch_execz .LBB763_13
; %bb.12:
	s_load_dwordx2 s[20:21], s[0:1], 0x0
	s_ashr_i32 s11, s8, 31
	s_mul_hi_u32 s22, s5, s8
	s_mul_i32 s11, s5, s11
	s_add_i32 s23, s22, s11
	s_mul_i32 s22, s5, s8
	v_lshl_or_b32 v1, v95, 2, v85
	s_lshl_b64 s[22:23], s[22:23], 1
	s_waitcnt lgkmcnt(0)
	s_add_u32 s20, s20, s22
	v_add_lshl_u32 v4, v1, s27, 7
	s_addc_u32 s21, s21, s23
	v_ashrrev_i32_e32 v5, 31, v4
	v_mov_b32_e32 v13, 0
	v_lshl_add_u64 v[4:5], v[4:5], 1, s[20:21]
	v_lshlrev_b32_e32 v8, 1, v12
	v_mov_b32_e32 v9, v13
	v_lshl_add_u64 v[4:5], v[4:5], 0, v[8:9]
	global_load_dwordx4 v[8:11], v[4:5], off
	v_and_b32_e32 v4, 15, v0
	v_and_b32_e32 v3, 3, v0
	v_lshlrev_b32_e32 v4, 9, v4
	v_lshlrev_b32_e32 v1, 5, v1
	;; [unrolled: 1-line block ×3, first 2 shown]
	v_and_b32_e32 v4, 0x1800, v4
	v_or3_b32 v1, v4, v3, v1
	s_waitcnt vmcnt(0)
	ds_write_b128 v1, v[8:11]
.LBB763_13:
	s_or_b64 exec, exec, s[16:17]
	s_mul_i32 s4, s4, s10
	s_mov_b32 s5, 0
	s_lshl_b64 s[4:5], s[4:5], 1
	s_add_u32 s10, s12, s4
	s_addc_u32 s11, s13, s5
	s_waitcnt vmcnt(3)
	v_mad_i64_i32 v[2:3], s[12:13], v2, s9, 0
	v_mov_b32_e32 v55, 0
	s_waitcnt vmcnt(2)
	v_mad_i64_i32 v[8:9], s[12:13], v7, s9, 0
	v_mov_b32_e32 v1, 0x100
	v_and_b32_e32 v94, 15, v0
	v_lshl_add_u64 v[2:3], v[2:3], 1, s[10:11]
	v_lshlrev_b64 v[4:5], 1, v[12:13]
	v_lshl_add_u64 v[8:9], v[8:9], 1, s[10:11]
	v_lshl_or_b32 v56, v94, 4, v1
	v_mov_b32_e32 v57, v55
	v_lshlrev_b32_e32 v54, 9, v85
	v_lshl_add_u64 v[2:3], v[2:3], 0, v[4:5]
	v_lshl_add_u64 v[20:21], v[8:9], 0, v[56:57]
	;; [unrolled: 1-line block ×4, first 2 shown]
	s_load_dword s33, s[0:1], 0x98
	s_load_dword s8, s[0:1], 0x1c
	s_waitcnt lgkmcnt(0)
	s_barrier
	scratch_store_dwordx2 off, v[12:13], off offset:4 ; 8-byte Folded Spill
	global_load_dwordx4 v[14:17], v[18:19], off
	s_waitcnt vmcnt(3)
	v_mad_i64_i32 v[6:7], s[12:13], v6, s9, 0
	global_load_dwordx4 v[10:13], v[22:23], off
	v_lshl_add_u64 v[6:7], v[6:7], 1, s[10:11]
	v_lshl_add_u64 v[60:61], v[6:7], 0, v[4:5]
	;; [unrolled: 1-line block ×3, first 2 shown]
	global_load_dwordx4 v[6:9], v[46:47], off
	global_load_dwordx4 v[42:45], v[18:19], off offset:2048
	global_load_dwordx4 v[38:41], v[22:23], off offset:2048
	v_or_b32_e32 v62, 0x1000, v54
	v_mov_b32_e32 v63, v55
	v_lshl_add_u64 v[4:5], v[2:3], 0, v[62:63]
	global_load_dwordx4 v[30:33], v[4:5], off
	v_or_b32_e32 v58, 0x1800, v54
	v_mov_b32_e32 v59, v55
	v_lshl_add_u64 v[2:3], v[2:3], 0, v[58:59]
	global_load_dwordx4 v[22:25], v[2:3], off
	v_lshl_add_u64 v[4:5], v[20:21], 0, v[62:63]
	global_load_dwordx4 v[26:29], v[4:5], off
	;; [unrolled: 2-line block ×3, first 2 shown]
	v_lshl_or_b32 v49, v94, 5, v54
	ds_read_b128 v[2:5], v49
	s_waitcnt vmcnt(10)
	v_mad_i64_i32 v[64:65], s[12:13], v34, s9, 0
	ds_read_b128 v[34:37], v49 offset:2048
	global_load_dwordx4 v[76:79], v[46:47], off offset:2048
	s_ashr_i32 s12, s18, 31
	v_and_or_b32 v1, v0, 48, s18
	ds_read_b128 v[50:53], v49 offset:4096
	v_mov_b32_e32 v74, s19
	v_cmp_gt_i32_e32 vcc, s38, v1
	v_or_b32_e32 v75, 64, v1
	v_or_b32_e32 v86, 0x80, v1
	scratch_store_dword off, v49, off       ; 4-byte Folded Spill
	v_or_b32_e32 v87, 0xc0, v1
	s_mov_b32 s40, 0xff7fffff
	s_waitcnt vmcnt(8) lgkmcnt(2)
	v_mfma_f32_16x16x16_bf16 v[80:83], v[6:7], v[2:3], 0
	v_lshl_add_u64 v[6:7], v[64:65], 1, s[10:11]
	s_lshr_b32 s10, s12, 27
	v_lshl_add_u64 v[6:7], v[6:7], 0, v[56:57]
	v_mfma_f32_16x16x16_bf16 v[70:73], v[10:11], v[2:3], 0
	v_lshl_add_u64 v[64:65], v[6:7], 0, v[54:55]
	v_lshl_add_u64 v[56:57], v[60:61], 0, v[58:59]
	s_add_u32 s4, s14, s4
	v_mfma_f32_16x16x16_bf16 v[66:69], v[14:15], v[2:3], 0
	s_addc_u32 s5, s15, s5
	v_mfma_f32_16x16x16_bf16 v[10:13], v[12:13], v[4:5], v[70:73]
	v_mfma_f32_16x16x16_bf16 v[14:17], v[16:17], v[4:5], v[66:69]
	s_nop 1
	v_lshl_add_u64 v[72:73], v[6:7], 0, v[62:63]
	s_waitcnt vmcnt(6) lgkmcnt(1)
	v_mfma_f32_16x16x16_bf16 v[10:13], v[38:39], v[34:35], v[10:13]
	v_add_u32_e32 v66, s10, v1
	v_ashrrev_i32_e32 v54, 5, v66
	v_add_u32_e32 v67, s10, v75
	v_mfma_f32_16x16x16_bf16 v[14:17], v[42:43], v[34:35], v[14:17]
	v_lshl_add_u64 v[42:43], v[60:61], 0, v[62:63]
	v_ashrrev_i32_e32 v60, 5, v67
	v_add_u32_e32 v68, s10, v86
	v_mfma_f32_16x16x16_bf16 v[10:13], v[40:41], v[36:37], v[10:13]
	global_load_dwordx4 v[38:41], v[42:43], off
	v_cndmask_b32_e32 v42, v74, v54, vcc
	v_ashrrev_i32_e32 v43, 31, v42
	v_mfma_f32_16x16x16_bf16 v[14:17], v[44:45], v[36:37], v[14:17]
	v_cmp_gt_i32_e32 vcc, s38, v75
	ds_read_b128 v[46:49], v49 offset:6144
	v_ashrrev_i32_e32 v66, 5, v68
	s_waitcnt vmcnt(6) lgkmcnt(1)
	v_mfma_f32_16x16x16_bf16 v[14:17], v[30:31], v[50:51], v[14:17]
	v_lshl_add_u64 v[30:31], v[42:43], 2, s[6:7]
	global_load_dwordx4 v[42:45], v[56:57], off
	v_add_u32_e32 v69, s10, v87
	global_load_dword v30, v[30:31], off
	s_waitcnt vmcnt(6)
	v_mfma_f32_16x16x16_bf16 v[10:13], v[26:27], v[50:51], v[10:13]
	v_cndmask_b32_e32 v26, v74, v60, vcc
	v_ashrrev_i32_e32 v27, 31, v26
	v_lshl_add_u64 v[26:27], v[26:27], 2, s[6:7]
	global_load_dwordx4 v[60:63], v[64:65], off
	global_load_dword v56, v[26:27], off
	v_mfma_f32_16x16x16_bf16 v[14:17], v[32:33], v[52:53], v[14:17]
	v_cmp_gt_i32_e32 vcc, s38, v86
	v_ashrrev_i32_e32 v68, 5, v69
	v_and_b32_e32 v1, 16, v0
	v_cndmask_b32_e32 v26, v74, v66, vcc
	v_ashrrev_i32_e32 v27, 31, v26
	s_waitcnt lgkmcnt(0)
	v_mfma_f32_16x16x16_bf16 v[14:17], v[22:23], v[46:47], v[14:17]
	v_lshl_add_u64 v[22:23], v[26:27], 2, s[6:7]
	global_load_dword v57, v[22:23], off
	v_cmp_gt_i32_e32 vcc, s38, v87
	global_load_dwordx4 v[64:67], v[64:65], off offset:2048
	v_mfma_f32_16x16x16_bf16 v[10:13], v[28:29], v[52:53], v[10:13]
	v_lshlrev_b32_e32 v54, 1, v1
	v_lshl_or_b32 v1, v95, 4, v94
	s_waitcnt vmcnt(9)
	v_mfma_f32_16x16x16_bf16 v[10:13], v[18:19], v[46:47], v[10:13]
	v_cndmask_b32_e32 v18, v74, v68, vcc
	global_load_dwordx4 v[72:75], v[72:73], off
	v_ashrrev_i32_e32 v19, 31, v18
	v_mfma_f32_16x16x16_bf16 v[90:93], v[20:21], v[48:49], v[10:13]
	s_nop 2
	v_lshl_add_u64 v[10:11], v[6:7], 0, v[58:59]
	global_load_dwordx4 v[86:89], v[10:11], off
	v_mfma_f32_16x16x16_bf16 v[68:71], v[24:25], v[48:49], v[14:17]
	v_lshl_add_u64 v[58:59], s[4:5], 0, v[54:55]
	v_lshlrev_b32_e32 v54, 6, v1
	s_waitcnt vmcnt(6)
	v_mad_i64_i32 v[10:11], s[4:5], v30, s9, 0
	v_lshl_add_u64 v[14:15], v[18:19], 2, s[6:7]
	global_load_dword v84, v[14:15], off
	v_mfma_f32_16x16x16_bf16 v[6:9], v[8:9], v[4:5], v[80:83]
	v_mfma_f32_16x16x16_bf16 v[6:9], v[76:77], v[34:35], v[6:9]
	v_lshl_add_u64 v[76:77], v[58:59], 0, v[54:55]
	s_nop 0
	v_pk_mul_f32 v[80:81], s[8:9], v[70:71] op_sel_hi:[0,1]
	v_pk_mul_f32 v[70:71], s[8:9], v[90:91] op_sel_hi:[0,1]
	v_mfma_f32_16x16x16_bf16 v[6:9], v[78:79], v[36:37], v[6:9]
	v_lshlrev_b64 v[78:79], 1, v[10:11]
	v_lshl_add_u64 v[10:11], v[76:77], 0, v[78:79]
	global_load_dwordx4 v[30:33], v[10:11], off
	global_load_dwordx4 v[26:29], v[10:11], off offset:16
	v_mfma_f32_16x16x16_bf16 v[6:9], v[38:39], v[50:51], v[6:9]
	s_waitcnt vmcnt(7)
	v_mad_i64_i32 v[10:11], s[4:5], v56, s9, 0
	v_pk_mul_f32 v[82:83], s[8:9], v[92:93] op_sel_hi:[0,1]
	v_mfma_f32_16x16x16_bf16 v[6:9], v[40:41], v[52:53], v[6:9]
	v_or_b32_e32 v54, 0x1000, v54
	v_mfma_f32_16x16x16_bf16 v[6:9], v[42:43], v[46:47], v[6:9]
	v_lshlrev_b64 v[42:43], 1, v[10:11]
	v_mfma_f32_16x16x16_bf16 v[38:41], v[44:45], v[48:49], v[6:9]
	s_nop 4
	v_lshl_add_u64 v[6:7], v[76:77], 0, v[42:43]
	global_load_dwordx4 v[22:25], v[6:7], off
	global_load_dwordx4 v[18:21], v[6:7], off offset:16
	v_mfma_f32_16x16x16_bf16 v[6:9], v[60:61], v[2:3], 0
	s_waitcnt vmcnt(8)
	v_mad_i64_i32 v[2:3], s[4:5], v57, s9, 0
	v_lshlrev_b64 v[56:57], 1, v[2:3]
	v_mfma_f32_16x16x16_bf16 v[2:5], v[62:63], v[4:5], v[6:9]
	s_waitcnt vmcnt(7)
	v_mfma_f32_16x16x16_bf16 v[2:5], v[64:65], v[34:35], v[2:5]
	s_nop 0
	v_lshl_add_u64 v[6:7], v[76:77], 0, v[56:57]
	global_load_dwordx4 v[14:17], v[6:7], off
	global_load_dwordx4 v[10:13], v[6:7], off offset:16
	v_lshl_add_u64 v[64:65], v[58:59], 0, v[54:55]
	v_mfma_f32_16x16x16_bf16 v[34:37], v[66:67], v[36:37], v[2:5]
	v_lshl_add_u64 v[44:45], v[64:65], 0, v[78:79]
	v_pk_mul_f32 v[78:79], s[8:9], v[40:41] op_sel_hi:[0,1]
	s_waitcnt vmcnt(6)
	v_mad_i64_i32 v[6:7], s[4:5], v84, s9, 0
	v_mfma_f32_16x16x16_bf16 v[34:37], v[72:73], v[50:51], v[34:37]
	v_pk_mul_f32 v[50:51], s[8:9], v[68:69] op_sel_hi:[0,1]
	v_lshlrev_b64 v[62:63], 1, v[6:7]
	v_lshl_add_u64 v[2:3], v[76:77], 0, v[62:63]
	v_mfma_f32_16x16x16_bf16 v[34:37], v[74:75], v[52:53], v[34:37]
	v_pk_mul_f32 v[76:77], s[8:9], v[38:39] op_sel_hi:[0,1]
	global_load_dwordx4 v[6:9], v[2:3], off
	s_nop 0
	global_load_dwordx4 v[2:5], v[2:3], off offset:16
	v_mfma_f32_16x16x16_bf16 v[34:37], v[86:87], v[46:47], v[34:37]
	v_mfma_f32_16x16x16_bf16 v[34:37], v[88:89], v[48:49], v[34:37]
	s_nop 6
	v_pk_mul_f32 v[72:73], s[8:9], v[34:35] op_sel_hi:[0,1]
	v_and_b32_e32 v34, 0xc0, v0
	v_add_u32_e32 v34, s18, v34
	v_lshl_or_b32 v34, v85, 2, v34
	v_pk_mul_f32 v[66:67], s[8:9], v[36:37] op_sel_hi:[0,1]
	v_or_b32_e32 v37, 1, v34
	v_mov_b32_e32 v35, 0xff7fffff
	v_cmp_gt_i32_e64 s[28:29], s38, v34
	v_cmp_gt_i32_e64 s[30:31], s38, v37
	v_or_b32_e32 v38, 3, v34
	v_cndmask_b32_e64 v36, v35, v50, s[28:29]
	v_cndmask_b32_e64 v37, v35, v51, s[30:31]
	v_max3_f32 v36, v36, s40, v37
	v_or_b32_e32 v37, 2, v34
	v_cmp_gt_i32_e64 s[34:35], s38, v37
	v_cmp_gt_i32_e64 s[36:37], s38, v38
	s_nop 0
	v_cndmask_b32_e64 v37, v35, v80, s[34:35]
	v_cndmask_b32_e64 v38, v35, v81, s[36:37]
	v_max3_f32 v36, v36, v37, v38
	v_or_b32_e32 v37, 16, v34
	v_or_b32_e32 v38, 17, v34
	v_cmp_gt_i32_e64 s[22:23], s38, v37
	v_cmp_gt_i32_e64 s[24:25], s38, v38
	s_nop 0
	v_cndmask_b32_e64 v37, v35, v70, s[22:23]
	v_cndmask_b32_e64 v38, v35, v71, s[24:25]
	v_max3_f32 v36, v36, v37, v38
	v_or_b32_e32 v37, 18, v34
	;; [unrolled: 8-line block ×6, first 2 shown]
	v_or_b32_e32 v34, 51, v34
	v_cmp_gt_i32_e32 vcc, s38, v37
	v_cmp_gt_i32_e64 s[4:5], s38, v34
	global_load_dwordx4 v[46:49], v[44:45], off
	global_load_dwordx4 v[38:41], v[44:45], off offset:16
	v_cndmask_b32_e32 v37, v35, v66, vcc
	v_cndmask_b32_e64 v34, v35, v67, s[4:5]
	v_max3_f32 v52, v36, v37, v34
	v_mbcnt_lo_u32_b32 v34, -1, 0
	v_mbcnt_hi_u32_b32 v53, -1, v34
	v_and_b32_e32 v34, 64, v53
	v_add_u32_e32 v54, 64, v34
	v_xor_b32_e32 v34, 32, v53
	v_cmp_lt_i32_e64 s[38:39], v34, v54
	s_nop 1
	v_cndmask_b32_e64 v34, v53, v34, s[38:39]
	v_lshlrev_b32_e32 v74, 2, v34
	ds_bpermute_b32 v55, v74, v52
	v_lshl_add_u64 v[34:35], v[64:65], 0, v[42:43]
	global_load_dwordx4 v[42:45], v[34:35], off
	s_nop 0
	global_load_dwordx4 v[34:37], v[34:35], off offset:16
	s_waitcnt lgkmcnt(0)
	v_max_f32_e32 v55, v55, v55
	v_max_f32_e32 v68, v52, v55
	v_xor_b32_e32 v52, 16, v53
	v_cmp_lt_i32_e64 s[38:39], v52, v54
	s_nop 1
	v_cndmask_b32_e64 v52, v53, v52, s[38:39]
	v_lshlrev_b32_e32 v75, 2, v52
	ds_bpermute_b32 v69, v75, v68
	v_lshl_add_u64 v[52:53], v[64:65], 0, v[56:57]
	global_load_dwordx4 v[58:61], v[52:53], off
	global_load_dwordx4 v[54:57], v[52:53], off offset:16
	v_lshl_add_u64 v[52:53], v[64:65], 0, v[62:63]
	s_waitcnt lgkmcnt(0)
	v_max_f32_e32 v62, v69, v69
	v_max_f32_e32 v89, v68, v62
	v_sub_f32_e32 v50, v50, v89
	v_mul_f32_e32 v50, 0x3fb8aa3b, v50
	v_exp_f32_e32 v68, v50
	v_sub_f32_e32 v50, v51, v89
	v_mul_f32_e32 v50, 0x3fb8aa3b, v50
	v_exp_f32_e32 v69, v50
	global_load_dwordx4 v[62:65], v[52:53], off
	s_nop 0
	global_load_dwordx4 v[50:53], v[52:53], off offset:16
	v_sub_f32_e32 v80, v80, v89
	v_mul_f32_e32 v80, 0x3fb8aa3b, v80
	v_sub_f32_e32 v81, v81, v89
	v_exp_f32_e32 v80, v80
	v_mul_f32_e32 v81, 0x3fb8aa3b, v81
	v_sub_f32_e32 v70, v70, v89
	v_exp_f32_e32 v81, v81
	v_mul_f32_e32 v70, 0x3fb8aa3b, v70
	v_sub_f32_e32 v71, v71, v89
	v_cndmask_b32_e64 v68, 0, v68, s[28:29]
	v_exp_f32_e32 v70, v70
	v_mul_f32_e32 v71, 0x3fb8aa3b, v71
	v_sub_f32_e32 v82, v82, v89
	v_add_f32_e32 v84, 0, v68
	v_cndmask_b32_e64 v69, 0, v69, s[30:31]
	v_exp_f32_e32 v71, v71
	v_mul_f32_e32 v82, 0x3fb8aa3b, v82
	v_sub_f32_e32 v83, v83, v89
	v_add_f32_e32 v84, v84, v69
	;; [unrolled: 5-line block ×10, first 2 shown]
	v_cndmask_b32_e64 v78, 0, v78, s[10:11]
	v_exp_f32_e32 v66, v66
	v_mul_f32_e32 v67, 0x3fb8aa3b, v67
	v_add_f32_e32 v84, v84, v78
	v_cndmask_b32_e64 v79, 0, v79, s[12:13]
	v_exp_f32_e32 v67, v67
	v_add_f32_e32 v84, v84, v79
	v_cndmask_b32_e64 v72, 0, v72, s[6:7]
	v_add_f32_e32 v84, v84, v72
	v_cndmask_b32_e64 v73, 0, v73, s[8:9]
	v_add_f32_e32 v84, v84, v73
	v_cndmask_b32_e32 v66, 0, v66, vcc
	v_add_f32_e32 v84, v84, v66
	v_cndmask_b32_e64 v67, 0, v67, s[4:5]
	v_add_f32_e32 v84, v84, v67
	ds_bpermute_b32 v74, v74, v84
	s_waitcnt lgkmcnt(0)
	s_barrier
	v_add_f32_e32 v90, v84, v74
	ds_bpermute_b32 v91, v75, v90
	v_and_b32_e32 v74, 63, v0
	v_cmp_gt_u32_e32 vcc, 16, v74
	s_and_saveexec_b64 s[4:5], vcc
	s_cbranch_execz .LBB763_15
; %bb.14:
	s_waitcnt lgkmcnt(0)
	v_add_f32_e32 v74, v90, v91
	v_lshlrev_b32_e32 v1, 2, v1
	ds_write2st64_b32 v1, v89, v74 offset1:1
.LBB763_15:
	s_or_b64 exec, exec, s[4:5]
	v_and_b32_e32 v94, 15, v0
	v_lshlrev_b32_e32 v1, 2, v94
	s_load_dword s6, s[0:1], 0x94
	s_waitcnt lgkmcnt(0)
	s_barrier
	ds_read2_b32 v[74:75], v1 offset1:16
	ds_read2_b32 v[88:89], v1 offset0:32 offset1:48
	ds_read2_b32 v[90:91], v1 offset0:64 offset1:80
	s_movk_i32 s8, 0x7fff
	s_mov_b32 s9, 0x7060302
	s_waitcnt lgkmcnt(2)
	v_max3_f32 v84, v74, s40, v75
	s_waitcnt lgkmcnt(1)
	v_max3_f32 v87, v84, v88, v89
	v_sub_f32_e32 v74, v74, v87
	v_mul_f32_e32 v74, 0x3fb8aa3b, v74
	v_exp_f32_e32 v84, v74
	v_sub_f32_e32 v74, v75, v87
	v_mul_f32_e32 v74, 0x3fb8aa3b, v74
	v_exp_f32_e32 v86, v74
	;; [unrolled: 3-line block ×3, first 2 shown]
	ds_read2_b32 v[74:75], v1 offset0:96 offset1:112
	v_sub_f32_e32 v1, v89, v87
	v_mul_f32_e32 v1, 0x3fb8aa3b, v1
	v_exp_f32_e32 v1, v1
	s_waitcnt lgkmcnt(1)
	v_fma_f32 v88, v84, v90, 0
	v_fmac_f32_e32 v88, v86, v91
	s_waitcnt lgkmcnt(0)
	v_fmac_f32_e32 v88, v92, v74
	v_fmac_f32_e32 v88, v1, v75
	v_add_f32_e32 v74, 0x358637bd, v88
	v_div_scale_f32 v75, s[4:5], v74, v74, 1.0
	v_rcp_f32_e32 v89, v75
	s_barrier
	v_fma_f32 v90, -v75, v89, 1.0
	v_fmac_f32_e32 v89, v90, v89
	v_div_scale_f32 v90, vcc, 1.0, v74, 1.0
	v_mul_f32_e32 v91, v90, v89
	v_fma_f32 v93, -v75, v91, v90
	v_fmac_f32_e32 v91, v93, v89
	v_fma_f32 v75, -v75, v91, v90
	v_div_fmas_f32 v75, v75, v89, v91
	v_lshrrev_b32_e32 v89, 6, v0
	v_cmp_eq_u32_e32 vcc, 1, v89
	v_div_fixup_f32 v74, v75, v74, 1.0
	s_lshl_b32 s7, s33, 4
	v_cndmask_b32_e32 v75, v84, v86, vcc
	v_cmp_eq_u32_e32 vcc, 2, v89
	s_nop 1
	v_cndmask_b32_e32 v75, v75, v92, vcc
	v_cmp_eq_u32_e32 vcc, 3, v89
	s_nop 1
	v_cndmask_b32_e32 v1, v75, v1, vcc
	v_mul_f32_e32 v74, v1, v74
	v_pk_mul_f32 v[68:69], v[74:75], v[68:69] op_sel_hi:[0,1]
	v_pk_mul_f32 v[80:81], v[74:75], v[80:81] op_sel_hi:[0,1]
	v_bfe_u32 v1, v69, 16, 1
	v_bfe_u32 v75, v68, 16, 1
	v_add3_u32 v68, v68, v75, s8
	v_add3_u32 v1, v69, v1, s8
	v_perm_b32 v68, v1, v68, s9
	v_bfe_u32 v1, v81, 16, 1
	v_bfe_u32 v69, v80, 16, 1
	v_add3_u32 v69, v80, v69, s8
	v_add3_u32 v1, v81, v1, s8
	v_bfe_u32 v81, v0, 4, 2
	v_lshlrev_b32_e32 v75, 5, v94
	v_perm_b32 v69, v1, v69, s9
	v_lshlrev_b32_e32 v1, 3, v81
	v_lshlrev_b32_e32 v80, 11, v89
	v_pk_mul_f32 v[70:71], v[74:75], v[70:71] op_sel_hi:[0,1]
	v_or3_b32 v80, v80, v75, v1
	v_pk_mul_f32 v[82:83], v[74:75], v[82:83] op_sel_hi:[0,1]
	v_bfe_u32 v1, v71, 16, 1
	v_bfe_u32 v75, v70, 16, 1
	v_add3_u32 v70, v70, v75, s8
	v_add3_u32 v1, v71, v1, s8
	v_perm_b32 v70, v1, v70, s9
	v_bfe_u32 v1, v83, 16, 1
	v_bfe_u32 v71, v82, 16, 1
	v_add3_u32 v71, v82, v71, s8
	v_add3_u32 v1, v83, v1, s8
	v_perm_b32 v71, v1, v71, s9
	ds_write2st64_b64 v80, v[68:69], v[70:71] offset1:1
	v_pk_mul_f32 v[70:71], v[74:75], v[76:77] op_sel_hi:[0,1]
	v_pk_mul_f32 v[68:69], v[74:75], v[78:79] op_sel_hi:[0,1]
	v_bfe_u32 v1, v71, 16, 1
	v_bfe_u32 v75, v70, 16, 1
	v_add3_u32 v70, v70, v75, s8
	v_add3_u32 v1, v71, v1, s8
	v_perm_b32 v70, v1, v70, s9
	v_bfe_u32 v1, v69, 16, 1
	v_bfe_u32 v71, v68, 16, 1
	v_add3_u32 v68, v68, v71, s8
	v_add3_u32 v1, v69, v1, s8
	v_perm_b32 v71, v1, v68, s9
	v_pk_mul_f32 v[68:69], v[74:75], v[72:73] op_sel_hi:[0,1]
	v_bfe_u32 v1, v69, 16, 1
	v_bfe_u32 v72, v68, 16, 1
	v_pk_mul_f32 v[66:67], v[74:75], v[66:67] op_sel_hi:[0,1]
	v_add3_u32 v68, v68, v72, s8
	v_add3_u32 v1, v69, v1, s8
	v_perm_b32 v68, v1, v68, s9
	v_bfe_u32 v1, v67, 16, 1
	v_bfe_u32 v69, v66, 16, 1
	v_add3_u32 v66, v66, v69, s8
	v_add3_u32 v1, v67, v1, s8
	v_perm_b32 v69, v1, v66, s9
	v_cmp_gt_u32_e32 vcc, 16, v0
	ds_write2st64_b64 v80, v[70:71], v[68:69] offset0:2 offset1:3
	s_and_saveexec_b64 s[4:5], vcc
	s_cbranch_execz .LBB763_17
; %bb.16:
	v_or_b32_e32 v66, s27, v0
	v_mov_b32_e32 v67, 0
	v_mov_b32_e32 v1, s7
	v_mad_u64_u32 v[68:69], s[10:11], s2, v1, v[66:67]
	v_mov_b32_e32 v66, s26
	s_load_dwordx4 s[12:15], s[0:1], 0x58
	s_mul_i32 s3, s3, s7
	v_mad_u64_u32 v[66:67], s[10:11], v68, s6, v[66:67]
	v_add_u32_e32 v1, s3, v69
	v_mov_b32_e32 v68, v67
	v_mad_u64_u32 v[68:69], s[10:11], v1, s6, v[68:69]
	v_mov_b32_e32 v67, v68
	v_lshlrev_b64 v[66:67], 2, v[66:67]
	s_waitcnt lgkmcnt(0)
	v_lshl_add_u64 v[68:69], s[14:15], 0, v[66:67]
	v_lshl_add_u64 v[66:67], s[12:13], 0, v[66:67]
	global_store_dword v[68:69], v87, off
	global_store_dword v[66:67], v88, off
.LBB763_17:
	s_or_b64 exec, exec, s[4:5]
	s_waitcnt lgkmcnt(0)
	s_barrier
	scratch_load_dword v1, off, off         ; 4-byte Folded Reload
	s_mov_b32 s3, 0
	v_cmp_gt_u32_e32 vcc, 64, v0
	s_waitcnt vmcnt(0)
	ds_read_b128 v[70:73], v1
	ds_read_b128 v[66:69], v1 offset:16
	s_waitcnt lgkmcnt(1)
	v_mfma_f32_16x16x16_bf16 v[74:77], v[30:31], v[70:71], 0
	v_mfma_f32_16x16x16_bf16 v[30:33], v[32:33], v[72:73], v[74:77]
	s_waitcnt lgkmcnt(0)
	v_mfma_f32_16x16x16_bf16 v[30:33], v[26:27], v[66:67], v[30:33]
	v_mfma_f32_16x16x16_bf16 v[26:29], v[28:29], v[68:69], v[30:33]
	s_nop 5
	ds_read_b128 v[30:33], v1 offset:2048
	ds_read_b128 v[74:77], v1 offset:2064
	s_waitcnt lgkmcnt(1)
	v_mfma_f32_16x16x16_bf16 v[26:29], v[22:23], v[30:31], v[26:29]
	v_mfma_f32_16x16x16_bf16 v[22:25], v[24:25], v[32:33], v[26:29]
	s_waitcnt lgkmcnt(0)
	v_mfma_f32_16x16x16_bf16 v[22:25], v[18:19], v[74:75], v[22:25]
	v_mfma_f32_16x16x16_bf16 v[18:21], v[20:21], v[76:77], v[22:25]
	s_nop 5
	ds_read_b128 v[22:25], v1 offset:4096
	;; [unrolled: 9-line block ×3, first 2 shown]
	ds_read_b128 v[18:21], v1 offset:6160
	s_waitcnt lgkmcnt(0)
	s_barrier
	v_mfma_f32_16x16x16_bf16 v[10:13], v[6:7], v[14:15], v[10:13]
	v_mfma_f32_16x16x16_bf16 v[6:9], v[8:9], v[16:17], v[10:13]
	;; [unrolled: 1-line block ×6, first 2 shown]
	s_nop 4
	v_bfe_u32 v1, v3, 16, 1
	v_bfe_u32 v10, v2, 16, 1
	v_add3_u32 v2, v2, v10, s8
	v_mfma_f32_16x16x16_bf16 v[6:9], v[38:39], v[66:67], v[6:9]
	v_add3_u32 v1, v3, v1, s8
	v_perm_b32 v10, v1, v2, s9
	v_bfe_u32 v1, v5, 16, 1
	v_mfma_f32_16x16x16_bf16 v[6:9], v[40:41], v[68:69], v[6:9]
	v_bfe_u32 v2, v4, 16, 1
	v_add3_u32 v2, v4, v2, s8
	v_add3_u32 v1, v5, v1, s8
	v_mfma_f32_16x16x16_bf16 v[6:9], v[42:43], v[30:31], v[6:9]
	v_perm_b32 v11, v1, v2, s9
	v_mfma_f32_16x16x16_bf16 v[6:9], v[44:45], v[32:33], v[6:9]
	v_mfma_f32_16x16x16_bf16 v[6:9], v[34:35], v[74:75], v[6:9]
	;; [unrolled: 1-line block ×11, first 2 shown]
	s_nop 6
	v_bfe_u32 v1, v3, 16, 1
	v_bfe_u32 v6, v2, 16, 1
	v_add3_u32 v2, v2, v6, s8
	v_add3_u32 v1, v3, v1, s8
	v_perm_b32 v2, v1, v2, s9
	v_bfe_u32 v1, v5, 16, 1
	v_bfe_u32 v3, v4, 16, 1
	v_add3_u32 v3, v4, v3, s8
	v_add3_u32 v1, v5, v1, s8
	v_perm_b32 v3, v1, v3, s9
	ds_write2st64_b64 v80, v[10:11], v[2:3] offset1:1
	s_waitcnt lgkmcnt(0)
	s_barrier
	s_and_saveexec_b64 s[4:5], vcc
	s_cbranch_execz .LBB763_19
; %bb.18:
	v_and_b32_e32 v3, 15, v0
	v_lshlrev_b32_e32 v3, 6, v3
	v_lshlrev_b32_e32 v2, 4, v0
	v_lshl_or_b32 v0, v0, 10, v3
	v_lshlrev_b32_e32 v1, 5, v81
	v_and_b32_e32 v2, 16, v2
	v_and_b32_e32 v0, 0x1a00, v0
	v_or3_b32 v12, v0, v1, v2
	ds_read_b128 v[0:3], v12
	ds_read_b128 v[4:7], v12 offset:128
	ds_read_b128 v[8:11], v12 offset:256
	;; [unrolled: 1-line block ×3, first 2 shown]
	scratch_load_dwordx2 v[16:17], off, off offset:4 ; 8-byte Folded Reload
	s_load_dwordx2 s[0:1], s[0:1], 0x68
	s_lshl_b32 s6, s6, 7
	s_mul_i32 s2, s7, s2
	s_mul_hi_u32 s5, s2, s6
	s_mul_i32 s4, s2, s6
	s_lshl_b64 s[4:5], s[4:5], 1
	s_waitcnt lgkmcnt(0)
	s_add_u32 s4, s0, s4
	s_addc_u32 s5, s1, s5
	s_lshl_b32 s2, s26, 7
	s_lshl_b64 s[0:1], s[2:3], 1
	s_add_u32 s0, s4, s0
	s_addc_u32 s1, s5, s1
	v_or_b32_e32 v20, s27, v81
	s_waitcnt vmcnt(0)
	v_lshl_add_u64 v[16:17], v[16:17], 1, s[0:1]
	v_mad_u64_u32 v[18:19], s[0:1], v20, s6, 0
	v_lshl_add_u64 v[18:19], v[18:19], 1, v[16:17]
	global_store_dwordx4 v[18:19], v[0:3], off
	s_nop 1
	v_or_b32_e32 v0, 4, v20
	v_mad_u64_u32 v[0:1], s[0:1], v0, s6, 0
	v_lshl_add_u64 v[0:1], v[0:1], 1, v[16:17]
	global_store_dwordx4 v[0:1], v[4:7], off
	v_or_b32_e32 v0, 8, v20
	v_mad_u64_u32 v[0:1], s[0:1], v0, s6, 0
	v_lshl_add_u64 v[0:1], v[0:1], 1, v[16:17]
	global_store_dwordx4 v[0:1], v[8:11], off
	;; [unrolled: 4-line block ×3, first 2 shown]
.LBB763_19:
	s_endpgm
	.section	.rodata,"a",@progbits
	.p2align	6, 0x0
	.amdhsa_kernel _Z39paged_attention_ll4mi_QKV_mfma16_kernelI14__hip_bfloat16S0_LN4vllm18Fp8KVCacheDataTypeE0ES0_Li32ELi128ELi256ELb0ELi16EEvPKT_PKT0_S8_ifPKiSA_SA_iPKfiiiPfSD_PS3_PT2_iSC_SC_
		.amdhsa_group_segment_fixed_size 8192
		.amdhsa_private_segment_fixed_size 16
		.amdhsa_kernarg_size 400
		.amdhsa_user_sgpr_count 2
		.amdhsa_user_sgpr_dispatch_ptr 0
		.amdhsa_user_sgpr_queue_ptr 0
		.amdhsa_user_sgpr_kernarg_segment_ptr 1
		.amdhsa_user_sgpr_dispatch_id 0
		.amdhsa_user_sgpr_kernarg_preload_length 0
		.amdhsa_user_sgpr_kernarg_preload_offset 0
		.amdhsa_user_sgpr_private_segment_size 0
		.amdhsa_uses_dynamic_stack 0
		.amdhsa_enable_private_segment 1
		.amdhsa_system_sgpr_workgroup_id_x 1
		.amdhsa_system_sgpr_workgroup_id_y 1
		.amdhsa_system_sgpr_workgroup_id_z 1
		.amdhsa_system_sgpr_workgroup_info 0
		.amdhsa_system_vgpr_workitem_id 0
		.amdhsa_next_free_vgpr 96
		.amdhsa_next_free_sgpr 41
		.amdhsa_accum_offset 96
		.amdhsa_reserve_vcc 1
		.amdhsa_float_round_mode_32 0
		.amdhsa_float_round_mode_16_64 0
		.amdhsa_float_denorm_mode_32 3
		.amdhsa_float_denorm_mode_16_64 3
		.amdhsa_dx10_clamp 1
		.amdhsa_ieee_mode 1
		.amdhsa_fp16_overflow 0
		.amdhsa_tg_split 0
		.amdhsa_exception_fp_ieee_invalid_op 0
		.amdhsa_exception_fp_denorm_src 0
		.amdhsa_exception_fp_ieee_div_zero 0
		.amdhsa_exception_fp_ieee_overflow 0
		.amdhsa_exception_fp_ieee_underflow 0
		.amdhsa_exception_fp_ieee_inexact 0
		.amdhsa_exception_int_div_zero 0
	.end_amdhsa_kernel
	.section	.text._Z39paged_attention_ll4mi_QKV_mfma16_kernelI14__hip_bfloat16S0_LN4vllm18Fp8KVCacheDataTypeE0ES0_Li32ELi128ELi256ELb0ELi16EEvPKT_PKT0_S8_ifPKiSA_SA_iPKfiiiPfSD_PS3_PT2_iSC_SC_,"axG",@progbits,_Z39paged_attention_ll4mi_QKV_mfma16_kernelI14__hip_bfloat16S0_LN4vllm18Fp8KVCacheDataTypeE0ES0_Li32ELi128ELi256ELb0ELi16EEvPKT_PKT0_S8_ifPKiSA_SA_iPKfiiiPfSD_PS3_PT2_iSC_SC_,comdat
.Lfunc_end763:
	.size	_Z39paged_attention_ll4mi_QKV_mfma16_kernelI14__hip_bfloat16S0_LN4vllm18Fp8KVCacheDataTypeE0ES0_Li32ELi128ELi256ELb0ELi16EEvPKT_PKT0_S8_ifPKiSA_SA_iPKfiiiPfSD_PS3_PT2_iSC_SC_, .Lfunc_end763-_Z39paged_attention_ll4mi_QKV_mfma16_kernelI14__hip_bfloat16S0_LN4vllm18Fp8KVCacheDataTypeE0ES0_Li32ELi128ELi256ELb0ELi16EEvPKT_PKT0_S8_ifPKiSA_SA_iPKfiiiPfSD_PS3_PT2_iSC_SC_
                                        ; -- End function
	.section	.AMDGPU.csdata,"",@progbits
; Kernel info:
; codeLenInByte = 4884
; NumSgprs: 47
; NumVgprs: 96
; NumAgprs: 0
; TotalNumVgprs: 96
; ScratchSize: 16
; MemoryBound: 0
; FloatMode: 240
; IeeeMode: 1
; LDSByteSize: 8192 bytes/workgroup (compile time only)
; SGPRBlocks: 5
; VGPRBlocks: 11
; NumSGPRsForWavesPerEU: 47
; NumVGPRsForWavesPerEU: 96
; AccumOffset: 96
; Occupancy: 5
; WaveLimiterHint : 1
; COMPUTE_PGM_RSRC2:SCRATCH_EN: 1
; COMPUTE_PGM_RSRC2:USER_SGPR: 2
; COMPUTE_PGM_RSRC2:TRAP_HANDLER: 0
; COMPUTE_PGM_RSRC2:TGID_X_EN: 1
; COMPUTE_PGM_RSRC2:TGID_Y_EN: 1
; COMPUTE_PGM_RSRC2:TGID_Z_EN: 1
; COMPUTE_PGM_RSRC2:TIDIG_COMP_CNT: 0
; COMPUTE_PGM_RSRC3_GFX90A:ACCUM_OFFSET: 23
; COMPUTE_PGM_RSRC3_GFX90A:TG_SPLIT: 0
	.section	.text._Z39paged_attention_ll4mi_QKV_mfma16_kernelI14__hip_bfloat16S0_LN4vllm18Fp8KVCacheDataTypeE0ES0_Li32ELi128ELi256ELb0ELi1EEvPKT_PKT0_S8_ifPKiSA_SA_iPKfiiiPfSD_PS3_PT2_iSC_SC_,"axG",@progbits,_Z39paged_attention_ll4mi_QKV_mfma16_kernelI14__hip_bfloat16S0_LN4vllm18Fp8KVCacheDataTypeE0ES0_Li32ELi128ELi256ELb0ELi1EEvPKT_PKT0_S8_ifPKiSA_SA_iPKfiiiPfSD_PS3_PT2_iSC_SC_,comdat
	.protected	_Z39paged_attention_ll4mi_QKV_mfma16_kernelI14__hip_bfloat16S0_LN4vllm18Fp8KVCacheDataTypeE0ES0_Li32ELi128ELi256ELb0ELi1EEvPKT_PKT0_S8_ifPKiSA_SA_iPKfiiiPfSD_PS3_PT2_iSC_SC_ ; -- Begin function _Z39paged_attention_ll4mi_QKV_mfma16_kernelI14__hip_bfloat16S0_LN4vllm18Fp8KVCacheDataTypeE0ES0_Li32ELi128ELi256ELb0ELi1EEvPKT_PKT0_S8_ifPKiSA_SA_iPKfiiiPfSD_PS3_PT2_iSC_SC_
	.globl	_Z39paged_attention_ll4mi_QKV_mfma16_kernelI14__hip_bfloat16S0_LN4vllm18Fp8KVCacheDataTypeE0ES0_Li32ELi128ELi256ELb0ELi1EEvPKT_PKT0_S8_ifPKiSA_SA_iPKfiiiPfSD_PS3_PT2_iSC_SC_
	.p2align	8
	.type	_Z39paged_attention_ll4mi_QKV_mfma16_kernelI14__hip_bfloat16S0_LN4vllm18Fp8KVCacheDataTypeE0ES0_Li32ELi128ELi256ELb0ELi1EEvPKT_PKT0_S8_ifPKiSA_SA_iPKfiiiPfSD_PS3_PT2_iSC_SC_,@function
_Z39paged_attention_ll4mi_QKV_mfma16_kernelI14__hip_bfloat16S0_LN4vllm18Fp8KVCacheDataTypeE0ES0_Li32ELi128ELi256ELb0ELi1EEvPKT_PKT0_S8_ifPKiSA_SA_iPKfiiiPfSD_PS3_PT2_iSC_SC_: ; @_Z39paged_attention_ll4mi_QKV_mfma16_kernelI14__hip_bfloat16S0_LN4vllm18Fp8KVCacheDataTypeE0ES0_Li32ELi128ELi256ELb0ELi1EEvPKT_PKT0_S8_ifPKiSA_SA_iPKfiiiPfSD_PS3_PT2_iSC_SC_
; %bb.0:
	s_load_dwordx2 s[8:9], s[0:1], 0x30
	s_mov_b32 s5, s3
	s_mov_b64 s[6:7], 0
	s_waitcnt lgkmcnt(0)
	s_cmp_lg_u64 s[8:9], 0
	s_cselect_b64 s[10:11], -1, 0
	s_and_b64 vcc, exec, s[10:11]
	s_cbranch_vccz .LBB764_7
; %bb.1:
	s_add_i32 s12, s2, 1
	s_mov_b32 s13, 0
	s_lshl_b64 s[14:15], s[12:13], 2
	s_add_u32 s14, s8, s14
	s_mov_b32 s3, s13
	s_addc_u32 s15, s9, s15
	s_lshl_b64 s[12:13], s[2:3], 2
	s_add_u32 s12, s8, s12
	s_addc_u32 s13, s9, s13
	s_load_dword s16, s[14:15], 0x0
	s_load_dword s17, s[12:13], 0x0
	s_waitcnt lgkmcnt(0)
	s_sub_i32 s12, s16, s17
	s_cmp_eq_u32 s12, 1
	s_cselect_b64 s[12:13], -1, 0
	s_andn2_b64 vcc, exec, s[6:7]
	s_cbranch_vccnz .LBB764_3
.LBB764_2:
	s_mov_b32 s3, 0
	s_mov_b64 s[12:13], -1
.LBB764_3:
	s_andn2_b64 vcc, exec, s[12:13]
	s_cbranch_vccnz .LBB764_19
; %bb.4:
	s_load_dwordx2 s[6:7], s[0:1], 0x28
	s_lshl_b64 s[12:13], s[2:3], 2
	s_waitcnt lgkmcnt(0)
	s_add_u32 s6, s6, s12
	s_addc_u32 s7, s7, s13
	s_load_dword s26, s[6:7], 0x0
	s_lshl_b32 s18, s5, 8
	s_waitcnt lgkmcnt(0)
	s_cmp_ge_i32 s18, s26
	s_cbranch_scc1 .LBB764_19
; %bb.5:
	s_load_dwordx2 s[6:7], s[0:1], 0x20
	s_load_dword s14, s[0:1], 0x38
	s_add_i32 s15, s26, 31
	s_ashr_i32 s16, s15, 31
	v_and_b32_e32 v1, 0xcf, v0
	s_lshr_b32 s16, s16, 27
	v_add_u32_e32 v1, s18, v1
	s_add_i32 s15, s15, s16
	v_ashrrev_i32_e32 v2, 31, v1
	s_ashr_i32 s19, s15, 5
	v_lshrrev_b32_e32 v6, 27, v2
	s_add_i32 s19, s19, -1
	s_waitcnt lgkmcnt(0)
	s_mul_i32 s14, s2, s14
	s_mov_b32 s15, 0
	v_add_u32_e32 v2, v1, v6
	s_lshl_b64 s[14:15], s[14:15], 2
	v_ashrrev_i32_e32 v2, 5, v2
	v_mov_b32_e32 v7, s19
	v_cmp_gt_i32_e32 vcc, s26, v1
	s_add_u32 s6, s6, s14
	s_addc_u32 s7, s7, s15
	v_cndmask_b32_e32 v2, v7, v2, vcc
	v_ashrrev_i32_e32 v3, 31, v2
	v_lshl_add_u64 v[4:5], v[2:3], 2, s[6:7]
	v_or_b32_e32 v2, 16, v1
	v_add_u32_e32 v3, v2, v6
	v_ashrrev_i32_e32 v3, 5, v3
	v_cmp_gt_i32_e32 vcc, s26, v2
	s_nop 1
	v_cndmask_b32_e32 v2, v7, v3, vcc
	v_ashrrev_i32_e32 v3, 31, v2
	v_lshl_add_u64 v[8:9], v[2:3], 2, s[6:7]
	v_or_b32_e32 v2, 32, v1
	v_add_u32_e32 v3, v2, v6
	v_ashrrev_i32_e32 v3, 5, v3
	v_cmp_gt_i32_e32 vcc, s26, v2
	v_or_b32_e32 v1, 48, v1
	s_nop 0
	v_cndmask_b32_e32 v2, v7, v3, vcc
	v_ashrrev_i32_e32 v3, 31, v2
	v_lshl_add_u64 v[10:11], v[2:3], 2, s[6:7]
	v_add_u32_e32 v2, v1, v6
	v_ashrrev_i32_e32 v2, 5, v2
	v_cmp_gt_i32_e32 vcc, s26, v1
	s_nop 1
	v_cndmask_b32_e32 v2, v7, v2, vcc
	v_ashrrev_i32_e32 v3, 31, v2
	v_lshl_add_u64 v[12:13], v[2:3], 2, s[6:7]
	global_load_dword v2, v[4:5], off
	global_load_dword v6, v[8:9], off
	;; [unrolled: 1-line block ×4, first 2 shown]
	s_andn2_b64 vcc, exec, s[10:11]
	s_cbranch_vccnz .LBB764_8
; %bb.6:
	s_add_u32 s8, s8, s12
	s_addc_u32 s9, s9, s13
	s_load_dword s20, s[8:9], 0x0
	s_branch .LBB764_9
.LBB764_7:
	s_mov_b64 s[12:13], 0
	s_branch .LBB764_2
.LBB764_8:
	s_mov_b32 s20, s2
.LBB764_9:
	s_load_dwordx4 s[12:15], s[0:1], 0x8
	s_load_dwordx4 s[8:11], s[0:1], 0x48
	v_lshrrev_b32_e32 v67, 6, v0
	v_bfe_u32 v87, v0, 4, 2
	v_lshl_or_b32 v1, v67, 2, v87
	v_and_b32_e32 v22, 15, v0
	v_lshlrev_b32_e32 v4, 3, v22
	v_cmp_ne_u32_e32 vcc, 0, v1
	s_and_saveexec_b64 s[16:17], vcc
	s_xor_b64 s[16:17], exec, s[16:17]
; %bb.10:
	v_mov_b32_e32 v5, 0
; %bb.11:
	s_andn2_saveexec_b64 s[16:17], s[16:17]
	s_cbranch_execz .LBB764_13
; %bb.12:
	s_load_dwordx2 s[22:23], s[0:1], 0x0
	s_waitcnt lgkmcnt(0)
	s_ashr_i32 s11, s8, 31
	s_mul_hi_u32 s21, s20, s8
	s_mul_i32 s11, s20, s11
	s_add_i32 s21, s21, s11
	s_mul_i32 s20, s20, s8
	s_lshl_b64 s[20:21], s[20:21], 1
	s_add_u32 s8, s22, s20
	s_addc_u32 s11, s23, s21
	s_lshl_b32 s20, s4, 7
	s_ashr_i32 s21, s20, 31
	s_lshl_b64 s[20:21], s[20:21], 1
	s_add_u32 s20, s8, s20
	s_addc_u32 s21, s11, s21
	v_lshlrev_b32_e32 v1, 1, v4
	global_load_dwordx4 v[8:11], v1, s[20:21]
	v_and_b32_e32 v1, 3, v0
	v_lshlrev_b32_e32 v3, 9, v22
	v_lshlrev_b32_e32 v1, 9, v1
	s_movk_i32 s8, 0x1800
	v_mov_b32_e32 v5, 0
	v_and_or_b32 v1, v3, s8, v1
	s_waitcnt vmcnt(0)
	ds_write_b128 v1, v[8:11]
.LBB764_13:
	s_or_b64 exec, exec, s[16:17]
	s_waitcnt lgkmcnt(0)
	s_mul_i32 s10, s4, s10
	s_mov_b32 s11, 0
	s_lshl_b64 s[10:11], s[10:11], 1
	s_add_u32 s12, s12, s10
	s_addc_u32 s13, s13, s11
	s_waitcnt vmcnt(3)
	v_mad_i64_i32 v[2:3], s[16:17], v2, s9, 0
	v_mov_b32_e32 v25, 0
	s_waitcnt vmcnt(2)
	v_mad_i64_i32 v[6:7], s[16:17], v6, s9, 0
	v_mov_b32_e32 v1, 0x100
	s_waitcnt vmcnt(1)
	v_mad_i64_i32 v[16:17], s[16:17], v16, s9, 0
	s_barrier
	v_lshlrev_b32_e32 v24, 9, v87
	v_lshl_add_u64 v[2:3], v[2:3], 1, s[12:13]
	scratch_store_dwordx2 off, v[4:5], off  ; 8-byte Folded Spill
	v_lshlrev_b64 v[4:5], 1, v[4:5]
	v_lshl_add_u64 v[6:7], v[6:7], 1, s[12:13]
	v_lshl_or_b32 v54, v22, 4, v1
	v_mov_b32_e32 v55, v25
	v_lshl_add_u64 v[16:17], v[16:17], 1, s[12:13]
	v_lshl_add_u64 v[2:3], v[2:3], 0, v[4:5]
	;; [unrolled: 1-line block ×4, first 2 shown]
	v_or_b32_e32 v60, 0x1000, v24
	v_mov_b32_e32 v61, v25
	v_lshl_add_u64 v[14:15], v[2:3], 0, v[24:25]
	v_lshl_add_u64 v[20:21], v[18:19], 0, v[24:25]
	;; [unrolled: 1-line block ×4, first 2 shown]
	v_or_b32_e32 v56, 0x1800, v24
	v_mov_b32_e32 v57, v25
	global_load_dwordx4 v[10:13], v[14:15], off
	global_load_dwordx4 v[6:9], v[20:21], off
	;; [unrolled: 1-line block ×3, first 2 shown]
	global_load_dwordx4 v[34:37], v[14:15], off offset:2048
	global_load_dwordx4 v[30:33], v[20:21], off offset:2048
	global_load_dwordx4 v[26:29], v[4:5], off
	v_lshl_add_u64 v[4:5], v[18:19], 0, v[60:61]
	v_lshl_add_u64 v[2:3], v[2:3], 0, v[56:57]
	global_load_dwordx4 v[14:17], v[4:5], off
	s_waitcnt vmcnt(8)
	v_mad_i64_i32 v[64:65], s[16:17], v42, s9, 0
	global_load_dwordx4 v[2:5], v[2:3], off
	s_ashr_i32 s8, s18, 31
	v_and_or_b32 v1, v0, 48, s18
	s_lshr_b32 s8, s8, 27
	v_mov_b32_e32 v74, s19
	v_cmp_gt_i32_e32 vcc, s26, v1
	v_or_b32_e32 v75, 64, v1
	v_or_b32_e32 v84, 0x80, v1
	v_add_u32_e32 v86, s8, v84
	v_or_b32_e32 v85, 0xc0, v1
	s_add_u32 s10, s14, s10
	s_addc_u32 s11, s15, s11
	s_mov_b32 s33, 0xff7fffff
	ds_read_b128 v[42:45], v24 offset:2048
	s_waitcnt vmcnt(0)
	scratch_store_dwordx4 off, v[2:5], off offset:8 ; 16-byte Folded Spill
	s_nop 1
	v_lshl_add_u64 v[2:3], v[18:19], 0, v[56:57]
	global_load_dwordx4 v[18:21], v[2:3], off
	ds_read_b128 v[2:5], v24
	s_waitcnt lgkmcnt(0)
	v_mfma_f32_16x16x16_bf16 v[76:79], v[6:7], v[2:3], 0
	v_lshl_add_u64 v[6:7], v[64:65], 1, s[12:13]
	v_lshl_add_u64 v[54:55], v[6:7], 0, v[54:55]
	ds_read_b128 v[50:53], v24 offset:4096
	ds_read_b128 v[46:49], v24 offset:6144
	v_mfma_f32_16x16x16_bf16 v[6:9], v[8:9], v[4:5], v[76:79]
	global_load_dwordx4 v[80:83], v[62:63], off offset:2048
	v_lshl_add_u64 v[64:65], v[58:59], 0, v[56:57]
	v_lshl_add_u64 v[72:73], v[54:55], 0, v[60:61]
	v_mfma_f32_16x16x16_bf16 v[6:9], v[30:31], v[42:43], v[6:9]
	v_add_u32_e32 v76, s8, v85
	v_ashrrev_i32_e32 v76, 5, v76
	v_mfma_f32_16x16x16_bf16 v[6:9], v[32:33], v[44:45], v[6:9]
	s_waitcnt lgkmcnt(1)
	v_mfma_f32_16x16x16_bf16 v[6:9], v[14:15], v[50:51], v[6:9]
	v_mfma_f32_16x16x16_bf16 v[6:9], v[16:17], v[52:53], v[6:9]
	scratch_load_dwordx4 v[14:17], off, off offset:8 ; 16-byte Folded Reload
	v_mfma_f32_16x16x16_bf16 v[68:71], v[10:11], v[2:3], 0
	v_mfma_f32_16x16x16_bf16 v[10:13], v[12:13], v[4:5], v[68:71]
	;; [unrolled: 1-line block ×3, first 2 shown]
	s_nop 4
	v_add_u32_e32 v70, s8, v1
	v_ashrrev_i32_e32 v66, 5, v70
	v_cndmask_b32_e32 v30, v74, v66, vcc
	v_mfma_f32_16x16x16_bf16 v[10:13], v[36:37], v[44:45], v[10:13]
	global_load_dwordx4 v[34:37], v[64:65], off
	v_lshl_add_u64 v[62:63], v[58:59], 0, v[60:61]
	global_load_dwordx4 v[58:61], v[62:63], off
	v_add_u32_e32 v71, s8, v75
	v_ashrrev_i32_e32 v31, 31, v30
	v_ashrrev_i32_e32 v70, 5, v71
	v_lshl_add_u64 v[30:31], v[30:31], 2, s[6:7]
	v_cmp_gt_i32_e32 vcc, s26, v75
	v_mfma_f32_16x16x16_bf16 v[10:13], v[26:27], v[50:51], v[10:13]
	global_load_dword v94, v[30:31], off
	v_cndmask_b32_e32 v30, v74, v70, vcc
	v_ashrrev_i32_e32 v71, 5, v86
	v_ashrrev_i32_e32 v31, 31, v30
	v_cmp_gt_i32_e32 vcc, s26, v84
	v_lshl_add_u64 v[26:27], v[30:31], 2, s[6:7]
	v_mov_b32_e32 v30, v22
	v_cndmask_b32_e32 v22, v74, v71, vcc
	v_mfma_f32_16x16x16_bf16 v[10:13], v[28:29], v[52:53], v[10:13]
	v_ashrrev_i32_e32 v23, 31, v22
	v_lshl_add_u64 v[22:23], v[22:23], 2, s[6:7]
	v_cmp_gt_i32_e32 vcc, s26, v85
	global_load_dword v84, v[22:23], off
	v_lshl_add_u64 v[68:69], v[54:55], 0, v[24:25]
	v_cndmask_b32_e32 v22, v74, v76, vcc
	v_ashrrev_i32_e32 v23, 31, v22
	global_load_dword v95, v[26:27], off
	v_mov_b32_e32 v66, v87
	v_mfma_f32_16x16x16_bf16 v[90:93], v[38:39], v[2:3], 0
	v_and_b32_e32 v1, 16, v0
	v_lshlrev_b32_e32 v24, 1, v1
	v_lshl_or_b32 v1, v67, 4, v30
	s_waitcnt vmcnt(5) lgkmcnt(0)
	v_mfma_f32_16x16x16_bf16 v[10:13], v[14:15], v[46:47], v[10:13]
	v_lshl_add_u64 v[14:15], v[22:23], 2, s[6:7]
	global_load_dword v85, v[14:15], off
	v_lshl_add_u64 v[14:15], v[54:55], 0, v[56:57]
	global_load_dwordx4 v[86:89], v[14:15], off
	global_load_dwordx4 v[62:65], v[68:69], off
	;; [unrolled: 1-line block ×3, first 2 shown]
	v_mfma_f32_16x16x16_bf16 v[38:41], v[40:41], v[4:5], v[90:93]
	global_load_dwordx4 v[68:71], v[68:69], off offset:2048
	v_lshl_add_u64 v[56:57], s[10:11], 0, v[24:25]
	v_lshlrev_b32_e32 v24, 6, v1
	v_mfma_f32_16x16x16_bf16 v[6:9], v[18:19], v[46:47], v[6:9]
	v_mov_b32_e32 v22, v30
	s_load_dword s6, s[0:1], 0x1c
	v_and_b32_e32 v23, 63, v0
	v_mfma_f32_16x16x16_bf16 v[72:75], v[20:21], v[48:49], v[6:9]
	v_mfma_f32_16x16x16_bf16 v[6:9], v[80:81], v[42:43], v[38:41]
	v_lshl_add_u64 v[80:81], v[56:57], 0, v[24:25]
	s_waitcnt lgkmcnt(0)
	s_nop 3
	v_pk_mul_f32 v[72:73], s[6:7], v[72:73] op_sel_hi:[0,1]
	v_or_b32_e32 v24, 0x1000, v24
	v_mfma_f32_16x16x16_bf16 v[6:9], v[82:83], v[44:45], v[6:9]
	s_waitcnt vmcnt(8)
	v_mfma_f32_16x16x16_bf16 v[6:9], v[58:59], v[50:51], v[6:9]
	v_mfma_f32_16x16x16_bf16 v[6:9], v[60:61], v[52:53], v[6:9]
	;; [unrolled: 1-line block ×3, first 2 shown]
	s_waitcnt vmcnt(7)
	s_nop 1
	v_mad_i64_i32 v[10:11], s[10:11], v94, s9, 0
	v_lshlrev_b64 v[58:59], 1, v[10:11]
	v_mfma_f32_16x16x16_bf16 v[6:9], v[34:35], v[46:47], v[6:9]
	v_lshl_add_u64 v[10:11], v[80:81], 0, v[58:59]
	global_load_dwordx4 v[30:33], v[10:11], off
	global_load_dwordx4 v[26:29], v[10:11], off offset:16
	s_waitcnt vmcnt(7)
	v_mad_i64_i32 v[10:11], s[10:11], v95, s9, 0
	v_lshlrev_b64 v[34:35], 1, v[10:11]
	v_mfma_f32_16x16x16_bf16 v[36:39], v[36:37], v[48:49], v[6:9]
	v_mov_b32_e32 v94, v66
	v_pk_mul_f32 v[82:83], s[6:7], v[92:93] op_sel_hi:[0,1]
	s_nop 0
	v_lshl_add_u64 v[6:7], v[80:81], 0, v[34:35]
	global_load_dwordx4 v[10:13], v[6:7], off
	global_load_dwordx4 v[18:21], v[6:7], off offset:16
	s_waitcnt vmcnt(6)
	v_mfma_f32_16x16x16_bf16 v[6:9], v[62:63], v[2:3], 0
	v_mad_i64_i32 v[2:3], s[10:11], v84, s9, 0
	v_lshlrev_b64 v[54:55], 1, v[2:3]
	v_mfma_f32_16x16x16_bf16 v[2:5], v[64:65], v[4:5], v[6:9]
	v_lshl_add_u64 v[64:65], v[56:57], 0, v[24:25]
	v_lshl_add_u64 v[34:35], v[64:65], 0, v[34:35]
	s_nop 1
	v_lshl_add_u64 v[6:7], v[80:81], 0, v[54:55]
	global_load_dwordx4 v[14:17], v[6:7], off
	s_nop 0
	global_load_dwordx4 v[6:9], v[6:7], off offset:16
	s_waitcnt vmcnt(6)
	v_mfma_f32_16x16x16_bf16 v[2:5], v[68:69], v[42:43], v[2:5]
	s_waitcnt vmcnt(0)
	scratch_store_dwordx4 off, v[6:9], off offset:8 ; 16-byte Folded Spill
	v_mfma_f32_16x16x16_bf16 v[40:43], v[70:71], v[44:45], v[2:5]
	s_nop 0
	v_mad_i64_i32 v[6:7], s[8:9], v85, s9, 0
	v_lshlrev_b64 v[62:63], 1, v[6:7]
	v_mfma_f32_16x16x16_bf16 v[40:43], v[76:77], v[50:51], v[40:43]
	v_lshl_add_u64 v[2:3], v[80:81], 0, v[62:63]
	v_pk_mul_f32 v[80:81], s[6:7], v[38:39] op_sel_hi:[0,1]
	v_pk_mul_f32 v[50:51], s[6:7], v[90:91] op_sel_hi:[0,1]
	v_mfma_f32_16x16x16_bf16 v[40:43], v[78:79], v[52:53], v[40:43]
	v_pk_mul_f32 v[78:79], s[6:7], v[36:37] op_sel_hi:[0,1]
	v_pk_mul_f32 v[84:85], s[6:7], v[74:75] op_sel_hi:[0,1]
	v_lshl_add_u64 v[44:45], v[64:65], 0, v[58:59]
	v_mfma_f32_16x16x16_bf16 v[40:43], v[86:87], v[46:47], v[40:43]
	global_load_dwordx4 v[6:9], v[2:3], off
	s_nop 0
	global_load_dwordx4 v[2:5], v[2:3], off offset:16
	v_mfma_f32_16x16x16_bf16 v[36:39], v[88:89], v[48:49], v[40:43]
	s_nop 6
	v_pk_mul_f32 v[76:77], s[6:7], v[36:37] op_sel_hi:[0,1]
	v_and_b32_e32 v36, 0xc0, v0
	v_add_u32_e32 v36, s18, v36
	v_lshl_or_b32 v36, v94, 2, v36
	v_pk_mul_f32 v[68:69], s[6:7], v[38:39] op_sel_hi:[0,1]
	v_or_b32_e32 v39, 1, v36
	v_mov_b32_e32 v37, 0xff7fffff
	v_cmp_gt_i32_e64 s[28:29], s26, v36
	v_cmp_gt_i32_e64 s[30:31], s26, v39
	v_or_b32_e32 v40, 3, v36
	v_cndmask_b32_e64 v38, v37, v50, s[28:29]
	v_cndmask_b32_e64 v39, v37, v51, s[30:31]
	v_max3_f32 v38, v38, s33, v39
	v_or_b32_e32 v39, 2, v36
	v_cmp_gt_i32_e64 s[34:35], s26, v39
	v_cmp_gt_i32_e64 s[36:37], s26, v40
	s_nop 0
	v_cndmask_b32_e64 v39, v37, v82, s[34:35]
	v_cndmask_b32_e64 v40, v37, v83, s[36:37]
	v_max3_f32 v38, v38, v39, v40
	v_or_b32_e32 v39, 16, v36
	v_or_b32_e32 v40, 17, v36
	v_cmp_gt_i32_e64 s[22:23], s26, v39
	v_cmp_gt_i32_e64 s[24:25], s26, v40
	s_nop 0
	v_cndmask_b32_e64 v39, v37, v72, s[22:23]
	v_cndmask_b32_e64 v40, v37, v73, s[24:25]
	v_max3_f32 v38, v38, v39, v40
	v_or_b32_e32 v39, 18, v36
	;; [unrolled: 8-line block ×6, first 2 shown]
	v_or_b32_e32 v36, 51, v36
	v_cmp_gt_i32_e32 vcc, s26, v39
	v_cmp_gt_i32_e64 s[26:27], s26, v36
	s_nop 0
	v_cndmask_b32_e32 v39, v37, v68, vcc
	v_cndmask_b32_e64 v36, v37, v69, s[26:27]
	v_max3_f32 v52, v38, v39, v36
	v_mbcnt_lo_u32_b32 v36, -1, 0
	v_mbcnt_hi_u32_b32 v53, -1, v36
	v_and_b32_e32 v36, 64, v53
	v_add_u32_e32 v56, 64, v36
	v_xor_b32_e32 v36, 32, v53
	v_cmp_lt_i32_e64 s[38:39], v36, v56
	global_load_dwordx4 v[46:49], v[44:45], off
	global_load_dwordx4 v[38:41], v[44:45], off offset:16
	v_cndmask_b32_e64 v36, v53, v36, s[38:39]
	v_lshlrev_b32_e32 v74, 2, v36
	ds_bpermute_b32 v57, v74, v52
	global_load_dwordx4 v[42:45], v[34:35], off
	s_nop 0
	global_load_dwordx4 v[34:37], v[34:35], off offset:16
	s_waitcnt lgkmcnt(0)
	v_max_f32_e32 v57, v57, v57
	v_max_f32_e32 v66, v52, v57
	v_xor_b32_e32 v52, 16, v53
	v_cmp_lt_i32_e64 s[38:39], v52, v56
	s_nop 1
	v_cndmask_b32_e64 v52, v53, v52, s[38:39]
	v_lshlrev_b32_e32 v75, 2, v52
	ds_bpermute_b32 v70, v75, v66
	v_lshl_add_u64 v[52:53], v[64:65], 0, v[54:55]
	global_load_dwordx4 v[58:61], v[52:53], off
	global_load_dwordx4 v[54:57], v[52:53], off offset:16
	v_lshl_add_u64 v[52:53], v[64:65], 0, v[62:63]
	s_waitcnt lgkmcnt(0)
	v_max_f32_e32 v62, v70, v70
	v_max_f32_e32 v66, v66, v62
	v_sub_f32_e32 v50, v50, v66
	v_mul_f32_e32 v50, 0x3fb8aa3b, v50
	v_exp_f32_e32 v70, v50
	v_sub_f32_e32 v50, v51, v66
	v_mul_f32_e32 v50, 0x3fb8aa3b, v50
	v_exp_f32_e32 v71, v50
	global_load_dwordx4 v[62:65], v[52:53], off
	s_nop 0
	global_load_dwordx4 v[50:53], v[52:53], off offset:16
	v_sub_f32_e32 v82, v82, v66
	v_mul_f32_e32 v82, 0x3fb8aa3b, v82
	v_sub_f32_e32 v83, v83, v66
	v_exp_f32_e32 v82, v82
	v_mul_f32_e32 v83, 0x3fb8aa3b, v83
	v_sub_f32_e32 v72, v72, v66
	v_exp_f32_e32 v83, v83
	v_mul_f32_e32 v72, 0x3fb8aa3b, v72
	v_sub_f32_e32 v73, v73, v66
	v_cndmask_b32_e64 v70, 0, v70, s[28:29]
	v_exp_f32_e32 v72, v72
	v_mul_f32_e32 v73, 0x3fb8aa3b, v73
	v_sub_f32_e32 v84, v84, v66
	v_add_f32_e32 v86, 0, v70
	v_cndmask_b32_e64 v71, 0, v71, s[30:31]
	v_exp_f32_e32 v73, v73
	v_mul_f32_e32 v84, 0x3fb8aa3b, v84
	v_sub_f32_e32 v85, v85, v66
	v_add_f32_e32 v86, v86, v71
	;; [unrolled: 5-line block ×10, first 2 shown]
	v_cndmask_b32_e64 v80, 0, v80, s[10:11]
	v_exp_f32_e32 v68, v68
	v_mul_f32_e32 v69, 0x3fb8aa3b, v69
	v_add_f32_e32 v86, v86, v80
	v_cndmask_b32_e64 v81, 0, v81, s[12:13]
	v_exp_f32_e32 v69, v69
	v_add_f32_e32 v86, v86, v81
	v_cndmask_b32_e64 v76, 0, v76, s[6:7]
	v_add_f32_e32 v86, v86, v76
	v_cndmask_b32_e64 v77, 0, v77, s[8:9]
	v_add_f32_e32 v86, v86, v77
	v_cndmask_b32_e32 v68, 0, v68, vcc
	v_add_f32_e32 v86, v86, v68
	v_cndmask_b32_e64 v69, 0, v69, s[26:27]
	v_add_f32_e32 v86, v86, v69
	ds_bpermute_b32 v74, v74, v86
	v_cmp_lt_u32_e64 s[6:7], 15, v23
	v_cmp_gt_u32_e32 vcc, 16, v23
	s_waitcnt lgkmcnt(0)
	s_barrier
	v_add_f32_e32 v90, v86, v74
	ds_bpermute_b32 v91, v75, v90
	s_waitcnt lgkmcnt(0)
	s_and_saveexec_b64 s[8:9], vcc
	s_cbranch_execz .LBB764_15
; %bb.14:
	v_add_f32_e32 v74, v90, v91
	v_lshlrev_b32_e32 v1, 2, v1
	ds_write2st64_b32 v1, v66, v74 offset1:1
.LBB764_15:
	s_or_b64 exec, exec, s[8:9]
	v_mov_b32_e32 v95, v22
	v_lshlrev_b32_e32 v1, 2, v95
	s_load_dwordx2 s[8:9], s[0:1], 0x94
	s_waitcnt lgkmcnt(0)
	s_barrier
	ds_read2_b32 v[74:75], v1 offset1:16
	ds_read2_b32 v[86:87], v1 offset0:32 offset1:48
	ds_read2_b32 v[90:91], v1 offset0:64 offset1:80
	s_movk_i32 s12, 0x7fff
	s_mov_b32 s13, 0x7060302
	s_waitcnt lgkmcnt(2)
	v_max3_f32 v66, v74, s33, v75
	s_waitcnt lgkmcnt(1)
	v_max3_f32 v88, v66, v86, v87
	v_sub_f32_e32 v66, v74, v88
	v_sub_f32_e32 v74, v75, v88
	v_mul_f32_e32 v74, 0x3fb8aa3b, v74
	v_mul_f32_e32 v66, 0x3fb8aa3b, v66
	v_exp_f32_e32 v92, v74
	v_sub_f32_e32 v74, v86, v88
	v_exp_f32_e32 v66, v66
	v_mul_f32_e32 v74, 0x3fb8aa3b, v74
	v_exp_f32_e32 v86, v74
	ds_read2_b32 v[74:75], v1 offset0:96 offset1:112
	v_sub_f32_e32 v1, v87, v88
	v_mul_f32_e32 v1, 0x3fb8aa3b, v1
	v_exp_f32_e32 v1, v1
	s_waitcnt lgkmcnt(1)
	v_fma_f32 v89, v66, v90, 0
	v_fmac_f32_e32 v89, v92, v91
	s_waitcnt lgkmcnt(0)
	v_fmac_f32_e32 v89, v86, v74
	v_fmac_f32_e32 v89, v1, v75
	v_add_f32_e32 v74, 0x358637bd, v89
	v_div_scale_f32 v75, s[10:11], v74, v74, 1.0
	v_rcp_f32_e32 v87, v75
	s_barrier
	v_fma_f32 v90, -v75, v87, 1.0
	v_fmac_f32_e32 v87, v90, v87
	v_div_scale_f32 v90, vcc, 1.0, v74, 1.0
	v_mul_f32_e32 v91, v90, v87
	v_fma_f32 v93, -v75, v91, v90
	v_fmac_f32_e32 v91, v93, v87
	v_fma_f32 v75, -v75, v91, v90
	v_div_fmas_f32 v75, v75, v87, v91
	v_cmp_eq_u32_e32 vcc, 1, v67
	v_div_fixup_f32 v74, v75, v74, 1.0
	s_nop 0
	v_cndmask_b32_e32 v66, v66, v92, vcc
	v_cmp_eq_u32_e32 vcc, 2, v67
	s_nop 1
	v_cndmask_b32_e32 v66, v66, v86, vcc
	v_cmp_eq_u32_e32 vcc, 3, v67
	s_nop 1
	v_cndmask_b32_e32 v1, v66, v1, vcc
	v_mul_f32_e32 v74, v1, v74
	v_pk_mul_f32 v[70:71], v[74:75], v[70:71] op_sel_hi:[0,1]
	v_bfe_u32 v1, v71, 16, 1
	v_bfe_u32 v66, v70, 16, 1
	v_pk_mul_f32 v[82:83], v[74:75], v[82:83] op_sel_hi:[0,1]
	v_add3_u32 v66, v70, v66, s12
	v_add3_u32 v1, v71, v1, s12
	v_perm_b32 v70, v1, v66, s13
	v_bfe_u32 v1, v83, 16, 1
	v_bfe_u32 v66, v82, 16, 1
	v_add3_u32 v66, v82, v66, s12
	v_add3_u32 v1, v83, v1, s12
	v_lshlrev_b32_e32 v75, 11, v67
	v_perm_b32 v71, v1, v66, s13
	v_lshlrev_b32_e32 v1, 3, v94
	v_lshlrev_b32_e32 v66, 5, v95
	v_pk_mul_f32 v[72:73], v[74:75], v[72:73] op_sel_hi:[0,1]
	v_or3_b32 v82, v75, v66, v1
	v_pk_mul_f32 v[84:85], v[74:75], v[84:85] op_sel_hi:[0,1]
	v_bfe_u32 v1, v73, 16, 1
	v_bfe_u32 v75, v72, 16, 1
	v_add3_u32 v72, v72, v75, s12
	v_add3_u32 v1, v73, v1, s12
	v_perm_b32 v72, v1, v72, s13
	v_bfe_u32 v1, v85, 16, 1
	v_bfe_u32 v73, v84, 16, 1
	v_add3_u32 v73, v84, v73, s12
	v_add3_u32 v1, v85, v1, s12
	v_perm_b32 v73, v1, v73, s13
	ds_write2st64_b64 v82, v[70:71], v[72:73] offset1:1
	v_pk_mul_f32 v[72:73], v[74:75], v[78:79] op_sel_hi:[0,1]
	v_pk_mul_f32 v[70:71], v[74:75], v[80:81] op_sel_hi:[0,1]
	v_bfe_u32 v1, v73, 16, 1
	v_bfe_u32 v75, v72, 16, 1
	v_add3_u32 v72, v72, v75, s12
	v_add3_u32 v1, v73, v1, s12
	v_perm_b32 v72, v1, v72, s13
	v_bfe_u32 v1, v71, 16, 1
	v_bfe_u32 v73, v70, 16, 1
	v_add3_u32 v70, v70, v73, s12
	v_add3_u32 v1, v71, v1, s12
	v_perm_b32 v73, v1, v70, s13
	v_pk_mul_f32 v[70:71], v[74:75], v[76:77] op_sel_hi:[0,1]
	v_pk_mul_f32 v[68:69], v[74:75], v[68:69] op_sel_hi:[0,1]
	v_bfe_u32 v1, v71, 16, 1
	v_bfe_u32 v74, v70, 16, 1
	v_add3_u32 v70, v70, v74, s12
	v_add3_u32 v1, v71, v1, s12
	v_perm_b32 v70, v1, v70, s13
	v_bfe_u32 v1, v69, 16, 1
	v_bfe_u32 v71, v68, 16, 1
	v_add3_u32 v68, v68, v71, s12
	v_add3_u32 v1, v69, v1, s12
	v_perm_b32 v71, v1, v68, s13
	v_cmp_eq_u32_e32 vcc, 0, v0
	ds_write2st64_b64 v82, v[72:73], v[70:71] offset0:2 offset1:3
	s_and_saveexec_b64 s[10:11], vcc
	s_cbranch_execz .LBB764_17
; %bb.16:
	s_mul_i32 s3, s3, s9
	s_mul_hi_u32 s14, s2, s9
	s_add_i32 s14, s14, s3
	s_mul_i32 s3, s2, s9
	s_add_u32 s3, s3, s4
	s_addc_u32 s14, s14, 0
	s_load_dwordx4 s[16:19], s[0:1], 0x58
	s_mul_i32 s14, s14, s8
	s_mul_hi_u32 s15, s3, s8
	s_add_i32 s15, s15, s14
	s_mul_i32 s3, s3, s8
	s_add_u32 s14, s3, s5
	s_addc_u32 s15, s15, 0
	s_lshl_b64 s[14:15], s[14:15], 2
	s_waitcnt lgkmcnt(0)
	s_add_u32 s18, s18, s14
	s_addc_u32 s19, s19, s15
	s_add_u32 s14, s16, s14
	s_addc_u32 s15, s17, s15
	global_store_dword v25, v88, s[18:19]
	global_store_dword v25, v89, s[14:15]
.LBB764_17:
	s_or_b64 exec, exec, s[10:11]
	v_lshl_or_b32 v1, v94, 9, v66
	s_waitcnt lgkmcnt(0)
	s_barrier
	ds_read_b128 v[70:73], v1
	ds_read_b128 v[66:69], v1 offset:16
	s_waitcnt lgkmcnt(1)
	v_mfma_f32_16x16x16_bf16 v[74:77], v[30:31], v[70:71], 0
	s_mov_b32 s3, 0
	v_cmp_gt_u32_e32 vcc, 64, v0
	s_xor_b64 s[6:7], s[6:7], -1
	v_mfma_f32_16x16x16_bf16 v[30:33], v[32:33], v[72:73], v[74:77]
	s_and_b64 s[6:7], vcc, s[6:7]
	s_waitcnt lgkmcnt(0)
	v_mfma_f32_16x16x16_bf16 v[30:33], v[26:27], v[66:67], v[30:33]
	v_mfma_f32_16x16x16_bf16 v[26:29], v[28:29], v[68:69], v[30:33]
	s_nop 5
	ds_read_b128 v[30:33], v1 offset:2048
	ds_read_b128 v[74:77], v1 offset:2064
	s_waitcnt lgkmcnt(1)
	v_mfma_f32_16x16x16_bf16 v[26:29], v[10:11], v[30:31], v[26:29]
	v_mfma_f32_16x16x16_bf16 v[22:25], v[12:13], v[32:33], v[26:29]
	s_waitcnt lgkmcnt(0)
	v_mfma_f32_16x16x16_bf16 v[22:25], v[18:19], v[74:75], v[22:25]
	v_mfma_f32_16x16x16_bf16 v[18:21], v[20:21], v[76:77], v[22:25]
	s_nop 5
	ds_read_b128 v[22:25], v1 offset:4096
	ds_read_b128 v[26:29], v1 offset:4112
	scratch_load_dwordx4 v[10:13], off, off offset:8 ; 16-byte Folded Reload
	s_waitcnt lgkmcnt(1)
	v_mfma_f32_16x16x16_bf16 v[18:21], v[14:15], v[22:23], v[18:21]
	v_mfma_f32_16x16x16_bf16 v[14:17], v[16:17], v[24:25], v[18:21]
	s_waitcnt vmcnt(0) lgkmcnt(0)
	v_mfma_f32_16x16x16_bf16 v[14:17], v[10:11], v[26:27], v[14:17]
	v_mfma_f32_16x16x16_bf16 v[10:13], v[12:13], v[28:29], v[14:17]
	s_nop 5
	ds_read_b128 v[14:17], v1 offset:6144
	ds_read_b128 v[18:21], v1 offset:6160
	s_waitcnt lgkmcnt(0)
	s_barrier
	v_mfma_f32_16x16x16_bf16 v[10:13], v[6:7], v[14:15], v[10:13]
	v_mfma_f32_16x16x16_bf16 v[6:9], v[8:9], v[16:17], v[10:13]
	;; [unrolled: 1-line block ×6, first 2 shown]
	s_nop 4
	v_bfe_u32 v1, v3, 16, 1
	v_bfe_u32 v10, v2, 16, 1
	v_add3_u32 v2, v2, v10, s12
	v_mfma_f32_16x16x16_bf16 v[6:9], v[38:39], v[66:67], v[6:9]
	v_add3_u32 v1, v3, v1, s12
	v_perm_b32 v10, v1, v2, s13
	v_bfe_u32 v1, v5, 16, 1
	v_mfma_f32_16x16x16_bf16 v[6:9], v[40:41], v[68:69], v[6:9]
	v_bfe_u32 v2, v4, 16, 1
	v_add3_u32 v2, v4, v2, s12
	v_add3_u32 v1, v5, v1, s12
	v_mfma_f32_16x16x16_bf16 v[6:9], v[42:43], v[30:31], v[6:9]
	v_perm_b32 v11, v1, v2, s13
	v_mfma_f32_16x16x16_bf16 v[6:9], v[44:45], v[32:33], v[6:9]
	v_mfma_f32_16x16x16_bf16 v[6:9], v[34:35], v[74:75], v[6:9]
	v_mfma_f32_16x16x16_bf16 v[6:9], v[36:37], v[76:77], v[6:9]
	v_mfma_f32_16x16x16_bf16 v[6:9], v[58:59], v[22:23], v[6:9]
	v_mfma_f32_16x16x16_bf16 v[6:9], v[60:61], v[24:25], v[6:9]
	v_mfma_f32_16x16x16_bf16 v[6:9], v[54:55], v[26:27], v[6:9]
	v_mfma_f32_16x16x16_bf16 v[6:9], v[56:57], v[28:29], v[6:9]
	v_mfma_f32_16x16x16_bf16 v[6:9], v[62:63], v[14:15], v[6:9]
	v_mfma_f32_16x16x16_bf16 v[6:9], v[64:65], v[16:17], v[6:9]
	v_mfma_f32_16x16x16_bf16 v[6:9], v[50:51], v[18:19], v[6:9]
	v_mfma_f32_16x16x16_bf16 v[2:5], v[52:53], v[20:21], v[6:9]
	s_nop 6
	v_bfe_u32 v1, v3, 16, 1
	v_bfe_u32 v6, v2, 16, 1
	v_add3_u32 v2, v2, v6, s12
	v_add3_u32 v1, v3, v1, s12
	v_perm_b32 v2, v1, v2, s13
	v_bfe_u32 v1, v5, 16, 1
	v_bfe_u32 v3, v4, 16, 1
	v_add3_u32 v3, v4, v3, s12
	v_add3_u32 v1, v5, v1, s12
	v_perm_b32 v3, v1, v3, s13
	ds_write2st64_b64 v82, v[10:11], v[2:3] offset1:1
	s_waitcnt lgkmcnt(0)
	s_barrier
	s_mov_b64 s[10:11], exec
	scratch_load_dwordx2 v[4:5], off, off   ; 8-byte Folded Reload
	s_and_b64 s[6:7], s[10:11], s[6:7]
	s_mov_b64 exec, s[6:7]
	s_cbranch_execz .LBB764_19
; %bb.18:
	s_load_dwordx2 s[0:1], s[0:1], 0x68
	s_mul_i32 s2, s9, s2
	s_lshl_b32 s8, s8, 7
	s_mul_hi_u32 s7, s2, s8
	s_mul_i32 s6, s2, s8
	s_lshl_b64 s[6:7], s[6:7], 1
	v_lshlrev_b32_e32 v3, 6, v95
	s_waitcnt lgkmcnt(0)
	s_add_u32 s6, s0, s6
	v_lshlrev_b32_e32 v2, 4, v0
	v_lshl_or_b32 v0, v0, 10, v3
	s_addc_u32 s7, s1, s7
	s_lshl_b32 s2, s5, 7
	v_lshlrev_b32_e32 v1, 5, v94
	v_and_b32_e32 v2, 16, v2
	v_and_b32_e32 v0, 0x1a00, v0
	s_lshl_b64 s[0:1], s[2:3], 1
	v_or3_b32 v0, v0, v1, v2
	s_add_u32 s2, s6, s0
	ds_read_b128 v[0:3], v0
	s_addc_u32 s3, s7, s1
	s_mul_hi_u32 s1, s8, s4
	s_mul_i32 s0, s8, s4
	s_lshl_b64 s[0:1], s[0:1], 1
	s_add_u32 s0, s2, s0
	s_addc_u32 s1, s3, s1
	s_waitcnt vmcnt(0)
	v_lshl_add_u64 v[4:5], v[4:5], 1, s[0:1]
	s_waitcnt lgkmcnt(0)
	global_store_dwordx4 v[4:5], v[0:3], off
.LBB764_19:
	s_endpgm
	.section	.rodata,"a",@progbits
	.p2align	6, 0x0
	.amdhsa_kernel _Z39paged_attention_ll4mi_QKV_mfma16_kernelI14__hip_bfloat16S0_LN4vllm18Fp8KVCacheDataTypeE0ES0_Li32ELi128ELi256ELb0ELi1EEvPKT_PKT0_S8_ifPKiSA_SA_iPKfiiiPfSD_PS3_PT2_iSC_SC_
		.amdhsa_group_segment_fixed_size 8192
		.amdhsa_private_segment_fixed_size 28
		.amdhsa_kernarg_size 400
		.amdhsa_user_sgpr_count 2
		.amdhsa_user_sgpr_dispatch_ptr 0
		.amdhsa_user_sgpr_queue_ptr 0
		.amdhsa_user_sgpr_kernarg_segment_ptr 1
		.amdhsa_user_sgpr_dispatch_id 0
		.amdhsa_user_sgpr_kernarg_preload_length 0
		.amdhsa_user_sgpr_kernarg_preload_offset 0
		.amdhsa_user_sgpr_private_segment_size 0
		.amdhsa_uses_dynamic_stack 0
		.amdhsa_enable_private_segment 1
		.amdhsa_system_sgpr_workgroup_id_x 1
		.amdhsa_system_sgpr_workgroup_id_y 1
		.amdhsa_system_sgpr_workgroup_id_z 1
		.amdhsa_system_sgpr_workgroup_info 0
		.amdhsa_system_vgpr_workitem_id 0
		.amdhsa_next_free_vgpr 96
		.amdhsa_next_free_sgpr 40
		.amdhsa_accum_offset 96
		.amdhsa_reserve_vcc 1
		.amdhsa_float_round_mode_32 0
		.amdhsa_float_round_mode_16_64 0
		.amdhsa_float_denorm_mode_32 3
		.amdhsa_float_denorm_mode_16_64 3
		.amdhsa_dx10_clamp 1
		.amdhsa_ieee_mode 1
		.amdhsa_fp16_overflow 0
		.amdhsa_tg_split 0
		.amdhsa_exception_fp_ieee_invalid_op 0
		.amdhsa_exception_fp_denorm_src 0
		.amdhsa_exception_fp_ieee_div_zero 0
		.amdhsa_exception_fp_ieee_overflow 0
		.amdhsa_exception_fp_ieee_underflow 0
		.amdhsa_exception_fp_ieee_inexact 0
		.amdhsa_exception_int_div_zero 0
	.end_amdhsa_kernel
	.section	.text._Z39paged_attention_ll4mi_QKV_mfma16_kernelI14__hip_bfloat16S0_LN4vllm18Fp8KVCacheDataTypeE0ES0_Li32ELi128ELi256ELb0ELi1EEvPKT_PKT0_S8_ifPKiSA_SA_iPKfiiiPfSD_PS3_PT2_iSC_SC_,"axG",@progbits,_Z39paged_attention_ll4mi_QKV_mfma16_kernelI14__hip_bfloat16S0_LN4vllm18Fp8KVCacheDataTypeE0ES0_Li32ELi128ELi256ELb0ELi1EEvPKT_PKT0_S8_ifPKiSA_SA_iPKfiiiPfSD_PS3_PT2_iSC_SC_,comdat
.Lfunc_end764:
	.size	_Z39paged_attention_ll4mi_QKV_mfma16_kernelI14__hip_bfloat16S0_LN4vllm18Fp8KVCacheDataTypeE0ES0_Li32ELi128ELi256ELb0ELi1EEvPKT_PKT0_S8_ifPKiSA_SA_iPKfiiiPfSD_PS3_PT2_iSC_SC_, .Lfunc_end764-_Z39paged_attention_ll4mi_QKV_mfma16_kernelI14__hip_bfloat16S0_LN4vllm18Fp8KVCacheDataTypeE0ES0_Li32ELi128ELi256ELb0ELi1EEvPKT_PKT0_S8_ifPKiSA_SA_iPKfiiiPfSD_PS3_PT2_iSC_SC_
                                        ; -- End function
	.section	.AMDGPU.csdata,"",@progbits
; Kernel info:
; codeLenInByte = 4760
; NumSgprs: 46
; NumVgprs: 96
; NumAgprs: 0
; TotalNumVgprs: 96
; ScratchSize: 28
; MemoryBound: 0
; FloatMode: 240
; IeeeMode: 1
; LDSByteSize: 8192 bytes/workgroup (compile time only)
; SGPRBlocks: 5
; VGPRBlocks: 11
; NumSGPRsForWavesPerEU: 46
; NumVGPRsForWavesPerEU: 96
; AccumOffset: 96
; Occupancy: 5
; WaveLimiterHint : 1
; COMPUTE_PGM_RSRC2:SCRATCH_EN: 1
; COMPUTE_PGM_RSRC2:USER_SGPR: 2
; COMPUTE_PGM_RSRC2:TRAP_HANDLER: 0
; COMPUTE_PGM_RSRC2:TGID_X_EN: 1
; COMPUTE_PGM_RSRC2:TGID_Y_EN: 1
; COMPUTE_PGM_RSRC2:TGID_Z_EN: 1
; COMPUTE_PGM_RSRC2:TIDIG_COMP_CNT: 0
; COMPUTE_PGM_RSRC3_GFX90A:ACCUM_OFFSET: 23
; COMPUTE_PGM_RSRC3_GFX90A:TG_SPLIT: 0
	.section	.text._Z39paged_attention_ll4mi_QKV_mfma16_kernelI14__hip_bfloat16S0_LN4vllm18Fp8KVCacheDataTypeE0ES0_Li32ELi128ELi256ELb0ELi2EEvPKT_PKT0_S8_ifPKiSA_SA_iPKfiiiPfSD_PS3_PT2_iSC_SC_,"axG",@progbits,_Z39paged_attention_ll4mi_QKV_mfma16_kernelI14__hip_bfloat16S0_LN4vllm18Fp8KVCacheDataTypeE0ES0_Li32ELi128ELi256ELb0ELi2EEvPKT_PKT0_S8_ifPKiSA_SA_iPKfiiiPfSD_PS3_PT2_iSC_SC_,comdat
	.protected	_Z39paged_attention_ll4mi_QKV_mfma16_kernelI14__hip_bfloat16S0_LN4vllm18Fp8KVCacheDataTypeE0ES0_Li32ELi128ELi256ELb0ELi2EEvPKT_PKT0_S8_ifPKiSA_SA_iPKfiiiPfSD_PS3_PT2_iSC_SC_ ; -- Begin function _Z39paged_attention_ll4mi_QKV_mfma16_kernelI14__hip_bfloat16S0_LN4vllm18Fp8KVCacheDataTypeE0ES0_Li32ELi128ELi256ELb0ELi2EEvPKT_PKT0_S8_ifPKiSA_SA_iPKfiiiPfSD_PS3_PT2_iSC_SC_
	.globl	_Z39paged_attention_ll4mi_QKV_mfma16_kernelI14__hip_bfloat16S0_LN4vllm18Fp8KVCacheDataTypeE0ES0_Li32ELi128ELi256ELb0ELi2EEvPKT_PKT0_S8_ifPKiSA_SA_iPKfiiiPfSD_PS3_PT2_iSC_SC_
	.p2align	8
	.type	_Z39paged_attention_ll4mi_QKV_mfma16_kernelI14__hip_bfloat16S0_LN4vllm18Fp8KVCacheDataTypeE0ES0_Li32ELi128ELi256ELb0ELi2EEvPKT_PKT0_S8_ifPKiSA_SA_iPKfiiiPfSD_PS3_PT2_iSC_SC_,@function
_Z39paged_attention_ll4mi_QKV_mfma16_kernelI14__hip_bfloat16S0_LN4vllm18Fp8KVCacheDataTypeE0ES0_Li32ELi128ELi256ELb0ELi2EEvPKT_PKT0_S8_ifPKiSA_SA_iPKfiiiPfSD_PS3_PT2_iSC_SC_: ; @_Z39paged_attention_ll4mi_QKV_mfma16_kernelI14__hip_bfloat16S0_LN4vllm18Fp8KVCacheDataTypeE0ES0_Li32ELi128ELi256ELb0ELi2EEvPKT_PKT0_S8_ifPKiSA_SA_iPKfiiiPfSD_PS3_PT2_iSC_SC_
; %bb.0:
	s_load_dwordx2 s[8:9], s[0:1], 0x30
	s_mov_b32 s26, s3
	s_mov_b64 s[6:7], 0
	s_waitcnt lgkmcnt(0)
	s_cmp_lg_u64 s[8:9], 0
	s_cselect_b64 s[10:11], -1, 0
	s_and_b64 vcc, exec, s[10:11]
	s_cbranch_vccz .LBB765_7
; %bb.1:
	s_add_i32 s12, s2, 1
	s_mov_b32 s13, 0
	s_lshl_b64 s[14:15], s[12:13], 2
	s_add_u32 s14, s8, s14
	s_mov_b32 s3, s13
	s_addc_u32 s15, s9, s15
	s_lshl_b64 s[12:13], s[2:3], 2
	s_add_u32 s12, s8, s12
	s_addc_u32 s13, s9, s13
	s_load_dword s5, s[14:15], 0x0
	s_load_dword s16, s[12:13], 0x0
	s_waitcnt lgkmcnt(0)
	s_sub_i32 s5, s5, s16
	s_cmp_eq_u32 s5, 1
	s_cselect_b64 s[12:13], -1, 0
	s_andn2_b64 vcc, exec, s[6:7]
	s_cbranch_vccnz .LBB765_3
.LBB765_2:
	s_mov_b32 s3, 0
	s_mov_b64 s[12:13], -1
.LBB765_3:
	s_andn2_b64 vcc, exec, s[12:13]
	s_cbranch_vccnz .LBB765_19
; %bb.4:
	s_load_dwordx2 s[6:7], s[0:1], 0x28
	s_lshl_b64 s[12:13], s[2:3], 2
	s_waitcnt lgkmcnt(0)
	s_add_u32 s6, s6, s12
	s_addc_u32 s7, s7, s13
	s_load_dword s38, s[6:7], 0x0
	s_lshl_b32 s18, s26, 8
	s_waitcnt lgkmcnt(0)
	s_cmp_ge_i32 s18, s38
	s_cbranch_scc1 .LBB765_19
; %bb.5:
	s_load_dwordx2 s[6:7], s[0:1], 0x20
	s_load_dword s5, s[0:1], 0x38
	s_add_i32 s14, s38, 31
	s_ashr_i32 s15, s14, 31
	v_and_b32_e32 v1, 0xcf, v0
	s_lshr_b32 s15, s15, 27
	v_add_u32_e32 v1, s18, v1
	s_add_i32 s14, s14, s15
	v_ashrrev_i32_e32 v2, 31, v1
	s_ashr_i32 s19, s14, 5
	v_lshrrev_b32_e32 v6, 27, v2
	s_add_i32 s19, s19, -1
	s_waitcnt lgkmcnt(0)
	s_mul_i32 s14, s2, s5
	s_mov_b32 s15, 0
	v_add_u32_e32 v2, v1, v6
	s_lshl_b64 s[14:15], s[14:15], 2
	v_ashrrev_i32_e32 v2, 5, v2
	v_mov_b32_e32 v7, s19
	v_cmp_gt_i32_e32 vcc, s38, v1
	s_add_u32 s6, s6, s14
	s_addc_u32 s7, s7, s15
	v_cndmask_b32_e32 v2, v7, v2, vcc
	v_ashrrev_i32_e32 v3, 31, v2
	v_lshl_add_u64 v[4:5], v[2:3], 2, s[6:7]
	v_or_b32_e32 v2, 16, v1
	v_add_u32_e32 v3, v2, v6
	v_ashrrev_i32_e32 v3, 5, v3
	v_cmp_gt_i32_e32 vcc, s38, v2
	s_nop 1
	v_cndmask_b32_e32 v2, v7, v3, vcc
	v_ashrrev_i32_e32 v3, 31, v2
	v_lshl_add_u64 v[8:9], v[2:3], 2, s[6:7]
	v_or_b32_e32 v2, 32, v1
	v_add_u32_e32 v3, v2, v6
	v_ashrrev_i32_e32 v3, 5, v3
	v_cmp_gt_i32_e32 vcc, s38, v2
	v_or_b32_e32 v1, 48, v1
	s_nop 0
	v_cndmask_b32_e32 v2, v7, v3, vcc
	v_ashrrev_i32_e32 v3, 31, v2
	v_lshl_add_u64 v[10:11], v[2:3], 2, s[6:7]
	v_add_u32_e32 v2, v1, v6
	v_ashrrev_i32_e32 v2, 5, v2
	v_cmp_gt_i32_e32 vcc, s38, v1
	s_nop 1
	v_cndmask_b32_e32 v2, v7, v2, vcc
	v_ashrrev_i32_e32 v3, 31, v2
	v_lshl_add_u64 v[12:13], v[2:3], 2, s[6:7]
	global_load_dword v2, v[4:5], off
	global_load_dword v7, v[8:9], off
	;; [unrolled: 1-line block ×4, first 2 shown]
	s_andn2_b64 vcc, exec, s[10:11]
	s_cbranch_vccnz .LBB765_8
; %bb.6:
	s_add_u32 s8, s8, s12
	s_addc_u32 s9, s9, s13
	s_load_dword s5, s[8:9], 0x0
	s_branch .LBB765_9
.LBB765_7:
	s_mov_b64 s[12:13], 0
	s_branch .LBB765_2
.LBB765_8:
	s_mov_b32 s5, s2
.LBB765_9:
	s_load_dwordx4 s[12:15], s[0:1], 0x8
	s_load_dwordx4 s[8:11], s[0:1], 0x48
	v_lshrrev_b32_e32 v85, 6, v0
	v_bfe_u32 v86, v0, 4, 2
	v_lshl_or_b32 v3, v85, 2, v86
	v_and_b32_e32 v84, 15, v0
	v_lshlrev_b32_e32 v12, 3, v84
	v_cmp_lt_u32_e32 vcc, 1, v3
	s_and_saveexec_b64 s[16:17], vcc
	s_xor_b64 s[16:17], exec, s[16:17]
; %bb.10:
	v_mov_b32_e32 v13, 0
                                        ; implicit-def: $vgpr3
; %bb.11:
	s_or_saveexec_b64 s[16:17], s[16:17]
	s_lshl_b32 s27, s4, 1
	s_xor_b64 exec, exec, s[16:17]
	s_cbranch_execz .LBB765_13
; %bb.12:
	s_load_dwordx2 s[20:21], s[0:1], 0x0
	s_waitcnt lgkmcnt(0)
	s_ashr_i32 s11, s8, 31
	s_mul_hi_u32 s22, s5, s8
	s_mul_i32 s11, s5, s11
	s_add_i32 s23, s22, s11
	s_mul_i32 s22, s5, s8
	s_lshl_b64 s[22:23], s[22:23], 1
	s_add_u32 s20, s20, s22
	v_add_lshl_u32 v4, v86, s27, 7
	s_addc_u32 s21, s21, s23
	v_ashrrev_i32_e32 v5, 31, v4
	v_mov_b32_e32 v13, 0
	v_lshl_add_u64 v[4:5], v[4:5], 1, s[20:21]
	v_lshlrev_b32_e32 v8, 1, v12
	v_mov_b32_e32 v9, v13
	v_lshl_add_u64 v[4:5], v[4:5], 0, v[8:9]
	global_load_dwordx4 v[8:11], v[4:5], off
	v_and_b32_e32 v4, 3, v0
	v_lshlrev_b32_e32 v5, 9, v84
	v_lshlrev_b32_e32 v3, 5, v3
	;; [unrolled: 1-line block ×3, first 2 shown]
	v_and_b32_e32 v5, 0x1800, v5
	v_or3_b32 v3, v5, v4, v3
	s_waitcnt vmcnt(0)
	ds_write_b128 v3, v[8:11]
.LBB765_13:
	s_or_b64 exec, exec, s[16:17]
	s_waitcnt lgkmcnt(0)
	s_mul_i32 s4, s4, s10
	s_mov_b32 s5, 0
	s_lshl_b64 s[4:5], s[4:5], 1
	s_add_u32 s10, s12, s4
	s_addc_u32 s11, s13, s5
	s_waitcnt vmcnt(3)
	v_mad_i64_i32 v[2:3], s[12:13], v2, s9, 0
	v_mov_b32_e32 v55, 0
	s_waitcnt vmcnt(2)
	v_mad_i64_i32 v[8:9], s[12:13], v7, s9, 0
	v_mov_b32_e32 v7, 0x100
	v_lshl_add_u64 v[2:3], v[2:3], 1, s[10:11]
	v_lshlrev_b64 v[4:5], 1, v[12:13]
	v_lshl_add_u64 v[8:9], v[8:9], 1, s[10:11]
	v_lshl_or_b32 v56, v84, 4, v7
	v_mov_b32_e32 v57, v55
	v_lshlrev_b32_e32 v54, 9, v86
	v_lshl_add_u64 v[2:3], v[2:3], 0, v[4:5]
	v_lshl_add_u64 v[20:21], v[8:9], 0, v[56:57]
	;; [unrolled: 1-line block ×4, first 2 shown]
	s_load_dword s33, s[0:1], 0x98
	s_load_dword s8, s[0:1], 0x1c
	s_waitcnt lgkmcnt(0)
	s_barrier
	scratch_store_dwordx2 off, v[12:13], off ; 8-byte Folded Spill
	global_load_dwordx4 v[14:17], v[18:19], off
	s_waitcnt vmcnt(3)
	v_mad_i64_i32 v[6:7], s[12:13], v6, s9, 0
	global_load_dwordx4 v[10:13], v[22:23], off
	v_lshl_add_u64 v[6:7], v[6:7], 1, s[10:11]
	v_lshl_add_u64 v[60:61], v[6:7], 0, v[4:5]
	;; [unrolled: 1-line block ×3, first 2 shown]
	global_load_dwordx4 v[6:9], v[46:47], off
	global_load_dwordx4 v[42:45], v[18:19], off offset:2048
	global_load_dwordx4 v[38:41], v[22:23], off offset:2048
	v_or_b32_e32 v62, 0x1000, v54
	v_mov_b32_e32 v63, v55
	v_lshl_add_u64 v[4:5], v[2:3], 0, v[62:63]
	global_load_dwordx4 v[30:33], v[4:5], off
	v_or_b32_e32 v58, 0x1800, v54
	v_mov_b32_e32 v59, v55
	v_lshl_add_u64 v[2:3], v[2:3], 0, v[58:59]
	global_load_dwordx4 v[22:25], v[2:3], off
	v_lshl_add_u64 v[4:5], v[20:21], 0, v[62:63]
	global_load_dwordx4 v[26:29], v[4:5], off
	;; [unrolled: 2-line block ×3, first 2 shown]
	v_and_b32_e32 v2, 1, v0
	v_lshl_or_b32 v48, v2, 5, v54
	ds_read_b128 v[2:5], v48
	s_waitcnt vmcnt(10)
	v_mad_i64_i32 v[64:65], s[12:13], v34, s9, 0
	ds_read_b128 v[34:37], v48 offset:2048
	global_load_dwordx4 v[76:79], v[46:47], off offset:2048
	ds_read_b128 v[50:53], v48 offset:4096
	ds_read_b128 v[46:49], v48 offset:6144
	s_ashr_i32 s12, s18, 31
	v_and_or_b32 v74, v0, 48, s18
	v_mov_b32_e32 v75, s19
	v_cmp_gt_i32_e32 vcc, s38, v74
	v_or_b32_e32 v87, 64, v74
	v_or_b32_e32 v88, 0x80, v74
	;; [unrolled: 1-line block ×3, first 2 shown]
	s_mov_b32 s40, 0xff7fffff
	s_waitcnt vmcnt(7) lgkmcnt(3)
	v_mfma_f32_16x16x16_bf16 v[80:83], v[6:7], v[2:3], 0
	v_lshl_add_u64 v[6:7], v[64:65], 1, s[10:11]
	s_lshr_b32 s10, s12, 27
	v_lshl_add_u64 v[6:7], v[6:7], 0, v[56:57]
	v_mfma_f32_16x16x16_bf16 v[70:73], v[10:11], v[2:3], 0
	v_lshl_add_u64 v[64:65], v[6:7], 0, v[54:55]
	v_lshl_add_u64 v[56:57], v[60:61], 0, v[58:59]
	s_add_u32 s4, s14, s4
	v_mfma_f32_16x16x16_bf16 v[66:69], v[14:15], v[2:3], 0
	s_addc_u32 s5, s15, s5
	v_mfma_f32_16x16x16_bf16 v[10:13], v[12:13], v[4:5], v[70:73]
	v_mfma_f32_16x16x16_bf16 v[14:17], v[16:17], v[4:5], v[66:69]
	s_nop 1
	v_lshl_add_u64 v[72:73], v[6:7], 0, v[62:63]
	global_load_dwordx4 v[92:95], v[72:73], off
	s_waitcnt vmcnt(6) lgkmcnt(2)
	v_mfma_f32_16x16x16_bf16 v[10:13], v[38:39], v[34:35], v[10:13]
	v_add_u32_e32 v66, s10, v74
	v_ashrrev_i32_e32 v54, 5, v66
	v_add_u32_e32 v67, s10, v87
	v_mfma_f32_16x16x16_bf16 v[14:17], v[42:43], v[34:35], v[14:17]
	v_lshl_add_u64 v[42:43], v[60:61], 0, v[62:63]
	v_ashrrev_i32_e32 v60, 5, v67
	v_add_u32_e32 v68, s10, v88
	v_mfma_f32_16x16x16_bf16 v[10:13], v[40:41], v[36:37], v[10:13]
	global_load_dwordx4 v[38:41], v[42:43], off
	v_cndmask_b32_e32 v42, v75, v54, vcc
	v_ashrrev_i32_e32 v43, 31, v42
	v_mfma_f32_16x16x16_bf16 v[14:17], v[44:45], v[36:37], v[14:17]
	v_cmp_gt_i32_e32 vcc, s38, v87
	v_ashrrev_i32_e32 v66, 5, v68
	v_add_u32_e32 v69, s10, v89
	s_waitcnt vmcnt(6) lgkmcnt(1)
	v_mfma_f32_16x16x16_bf16 v[14:17], v[30:31], v[50:51], v[14:17]
	v_lshl_add_u64 v[30:31], v[42:43], 2, s[6:7]
	global_load_dwordx4 v[42:45], v[56:57], off
	v_ashrrev_i32_e32 v68, 5, v69
	global_load_dword v30, v[30:31], off
	s_waitcnt vmcnt(6)
	v_mfma_f32_16x16x16_bf16 v[10:13], v[26:27], v[50:51], v[10:13]
	v_cndmask_b32_e32 v26, v75, v60, vcc
	v_ashrrev_i32_e32 v27, 31, v26
	v_lshl_add_u64 v[26:27], v[26:27], 2, s[6:7]
	global_load_dwordx4 v[60:63], v[64:65], off
	global_load_dword v56, v[26:27], off
	v_mfma_f32_16x16x16_bf16 v[14:17], v[32:33], v[52:53], v[14:17]
	v_cmp_gt_i32_e32 vcc, s38, v88
	v_lshl_or_b32 v87, v85, 4, v84
	v_mov_b32_e32 v84, v85
	v_cndmask_b32_e32 v26, v75, v66, vcc
	v_ashrrev_i32_e32 v27, 31, v26
	s_waitcnt lgkmcnt(0)
	v_mfma_f32_16x16x16_bf16 v[14:17], v[22:23], v[46:47], v[14:17]
	v_lshl_add_u64 v[22:23], v[26:27], 2, s[6:7]
	global_load_dword v57, v[22:23], off
	v_cmp_gt_i32_e32 vcc, s38, v89
	global_load_dwordx4 v[64:67], v[64:65], off offset:2048
	v_mfma_f32_16x16x16_bf16 v[10:13], v[28:29], v[52:53], v[10:13]
	v_and_b32_e32 v85, 63, v0
	s_waitcnt vmcnt(9)
	v_mfma_f32_16x16x16_bf16 v[10:13], v[18:19], v[46:47], v[10:13]
	v_cndmask_b32_e32 v18, v75, v68, vcc
	v_ashrrev_i32_e32 v19, 31, v18
	v_mfma_f32_16x16x16_bf16 v[88:91], v[20:21], v[48:49], v[10:13]
	s_nop 3
	v_lshl_add_u64 v[10:11], v[6:7], 0, v[58:59]
	global_load_dwordx4 v[72:75], v[10:11], off
	v_mfma_f32_16x16x16_bf16 v[68:71], v[24:25], v[48:49], v[14:17]
	v_and_b32_e32 v10, 16, v0
	v_lshlrev_b32_e32 v54, 1, v10
	v_lshl_add_u64 v[58:59], s[4:5], 0, v[54:55]
	v_lshl_add_u64 v[14:15], v[18:19], 2, s[6:7]
	global_load_dword v1, v[14:15], off
	v_mfma_f32_16x16x16_bf16 v[6:9], v[8:9], v[4:5], v[80:83]
	v_lshlrev_b32_e32 v54, 6, v87
	s_waitcnt vmcnt(6)
	v_mad_i64_i32 v[10:11], s[4:5], v30, s9, 0
	v_mfma_f32_16x16x16_bf16 v[6:9], v[76:77], v[34:35], v[6:9]
	v_lshl_add_u64 v[76:77], v[58:59], 0, v[54:55]
	v_pk_mul_f32 v[80:81], s[8:9], v[70:71] op_sel_hi:[0,1]
	v_pk_mul_f32 v[70:71], s[8:9], v[88:89] op_sel_hi:[0,1]
	v_mfma_f32_16x16x16_bf16 v[6:9], v[78:79], v[36:37], v[6:9]
	v_lshlrev_b64 v[78:79], 1, v[10:11]
	v_lshl_add_u64 v[10:11], v[76:77], 0, v[78:79]
	global_load_dwordx4 v[30:33], v[10:11], off
	global_load_dwordx4 v[26:29], v[10:11], off offset:16
	v_mfma_f32_16x16x16_bf16 v[6:9], v[38:39], v[50:51], v[6:9]
	s_waitcnt vmcnt(6)
	v_mad_i64_i32 v[10:11], s[4:5], v56, s9, 0
	v_pk_mul_f32 v[82:83], s[8:9], v[90:91] op_sel_hi:[0,1]
	v_mfma_f32_16x16x16_bf16 v[6:9], v[40:41], v[52:53], v[6:9]
	v_or_b32_e32 v54, 0x1000, v54
	v_mfma_f32_16x16x16_bf16 v[6:9], v[42:43], v[46:47], v[6:9]
	v_lshlrev_b64 v[42:43], 1, v[10:11]
	v_mfma_f32_16x16x16_bf16 v[38:41], v[44:45], v[48:49], v[6:9]
	s_nop 4
	v_lshl_add_u64 v[6:7], v[76:77], 0, v[42:43]
	global_load_dwordx4 v[22:25], v[6:7], off
	global_load_dwordx4 v[18:21], v[6:7], off offset:16
	v_mfma_f32_16x16x16_bf16 v[6:9], v[60:61], v[2:3], 0
	s_waitcnt vmcnt(7)
	v_mad_i64_i32 v[2:3], s[4:5], v57, s9, 0
	v_lshlrev_b64 v[56:57], 1, v[2:3]
	v_mfma_f32_16x16x16_bf16 v[2:5], v[62:63], v[4:5], v[6:9]
	s_waitcnt vmcnt(6)
	v_mfma_f32_16x16x16_bf16 v[2:5], v[64:65], v[34:35], v[2:5]
	s_nop 0
	v_lshl_add_u64 v[6:7], v[76:77], 0, v[56:57]
	global_load_dwordx4 v[14:17], v[6:7], off
	global_load_dwordx4 v[10:13], v[6:7], off offset:16
	s_waitcnt vmcnt(6)
	v_mad_i64_i32 v[6:7], s[4:5], v1, s9, 0
	v_mfma_f32_16x16x16_bf16 v[34:37], v[66:67], v[36:37], v[2:5]
	v_and_b32_e32 v1, 0xc0, v0
	v_add_u32_e32 v1, s18, v1
	v_lshl_or_b32 v1, v86, 2, v1
	v_mfma_f32_16x16x16_bf16 v[34:37], v[92:93], v[50:51], v[34:37]
	v_pk_mul_f32 v[50:51], s[8:9], v[68:69] op_sel_hi:[0,1]
	v_cmp_gt_i32_e64 s[28:29], s38, v1
	v_lshlrev_b64 v[62:63], 1, v[6:7]
	v_mfma_f32_16x16x16_bf16 v[34:37], v[94:95], v[52:53], v[34:37]
	v_lshl_add_u64 v[2:3], v[76:77], 0, v[62:63]
	v_pk_mul_f32 v[76:77], s[8:9], v[38:39] op_sel_hi:[0,1]
	v_lshl_add_u64 v[64:65], v[58:59], 0, v[54:55]
	v_mfma_f32_16x16x16_bf16 v[34:37], v[72:73], v[46:47], v[34:37]
	v_lshl_add_u64 v[44:45], v[64:65], 0, v[78:79]
	v_pk_mul_f32 v[78:79], s[8:9], v[40:41] op_sel_hi:[0,1]
	global_load_dwordx4 v[6:9], v[2:3], off
	s_nop 0
	global_load_dwordx4 v[2:5], v[2:3], off offset:16
	v_mfma_f32_16x16x16_bf16 v[34:37], v[74:75], v[48:49], v[34:37]
	global_load_dwordx4 v[46:49], v[44:45], off
	global_load_dwordx4 v[38:41], v[44:45], off offset:16
	s_nop 4
	v_pk_mul_f32 v[66:67], s[8:9], v[36:37] op_sel_hi:[0,1]
	v_or_b32_e32 v36, 1, v1
	v_pk_mul_f32 v[72:73], s[8:9], v[34:35] op_sel_hi:[0,1]
	v_mov_b32_e32 v34, 0xff7fffff
	v_cmp_gt_i32_e64 s[30:31], s38, v36
	v_cndmask_b32_e64 v35, v34, v50, s[28:29]
	v_or_b32_e32 v37, 3, v1
	v_cndmask_b32_e64 v36, v34, v51, s[30:31]
	v_max3_f32 v35, v35, s40, v36
	v_or_b32_e32 v36, 2, v1
	v_cmp_gt_i32_e64 s[34:35], s38, v36
	v_cmp_gt_i32_e64 s[36:37], s38, v37
	s_nop 0
	v_cndmask_b32_e64 v36, v34, v80, s[34:35]
	v_cndmask_b32_e64 v37, v34, v81, s[36:37]
	v_max3_f32 v35, v35, v36, v37
	v_or_b32_e32 v36, 16, v1
	v_or_b32_e32 v37, 17, v1
	v_cmp_gt_i32_e64 s[22:23], s38, v36
	v_cmp_gt_i32_e64 s[24:25], s38, v37
	s_nop 0
	v_cndmask_b32_e64 v36, v34, v70, s[22:23]
	v_cndmask_b32_e64 v37, v34, v71, s[24:25]
	v_max3_f32 v35, v35, v36, v37
	v_or_b32_e32 v36, 18, v1
	;; [unrolled: 8-line block ×6, first 2 shown]
	v_or_b32_e32 v1, 51, v1
	v_cmp_gt_i32_e32 vcc, s38, v36
	v_cmp_gt_i32_e64 s[4:5], s38, v1
	s_nop 0
	v_cndmask_b32_e32 v36, v34, v66, vcc
	v_cndmask_b32_e64 v1, v34, v67, s[4:5]
	v_mbcnt_lo_u32_b32 v34, -1, 0
	v_mbcnt_hi_u32_b32 v52, -1, v34
	v_and_b32_e32 v34, 64, v52
	v_add_u32_e32 v53, 64, v34
	v_xor_b32_e32 v34, 32, v52
	v_cmp_lt_i32_e64 s[38:39], v34, v53
	v_max3_f32 v1, v35, v36, v1
	s_nop 0
	v_cndmask_b32_e64 v34, v52, v34, s[38:39]
	v_lshlrev_b32_e32 v74, 2, v34
	ds_bpermute_b32 v54, v74, v1
	v_lshl_add_u64 v[34:35], v[64:65], 0, v[42:43]
	global_load_dwordx4 v[42:45], v[34:35], off
	s_nop 0
	global_load_dwordx4 v[34:37], v[34:35], off offset:16
	s_waitcnt lgkmcnt(0)
	v_max_f32_e32 v54, v54, v54
	v_max_f32_e32 v1, v1, v54
	v_xor_b32_e32 v54, 16, v52
	v_cmp_lt_i32_e64 s[38:39], v54, v53
	s_nop 1
	v_cndmask_b32_e64 v52, v52, v54, s[38:39]
	v_lshlrev_b32_e32 v75, 2, v52
	ds_bpermute_b32 v68, v75, v1
	v_lshl_add_u64 v[52:53], v[64:65], 0, v[56:57]
	global_load_dwordx4 v[58:61], v[52:53], off
	global_load_dwordx4 v[54:57], v[52:53], off offset:16
	v_lshl_add_u64 v[52:53], v[64:65], 0, v[62:63]
	s_waitcnt lgkmcnt(0)
	v_max_f32_e32 v62, v68, v68
	v_max_f32_e32 v88, v1, v62
	v_sub_f32_e32 v1, v50, v88
	v_sub_f32_e32 v50, v51, v88
	v_mul_f32_e32 v50, 0x3fb8aa3b, v50
	v_exp_f32_e32 v69, v50
	global_load_dwordx4 v[62:65], v[52:53], off
	s_nop 0
	global_load_dwordx4 v[50:53], v[52:53], off offset:16
	v_mul_f32_e32 v1, 0x3fb8aa3b, v1
	v_exp_f32_e32 v1, v1
	v_sub_f32_e32 v80, v80, v88
	v_mul_f32_e32 v80, 0x3fb8aa3b, v80
	v_sub_f32_e32 v81, v81, v88
	v_exp_f32_e32 v80, v80
	v_mul_f32_e32 v81, 0x3fb8aa3b, v81
	v_sub_f32_e32 v70, v70, v88
	v_exp_f32_e32 v81, v81
	v_mul_f32_e32 v70, 0x3fb8aa3b, v70
	v_sub_f32_e32 v71, v71, v88
	v_cndmask_b32_e64 v68, 0, v1, s[28:29]
	v_exp_f32_e32 v70, v70
	v_mul_f32_e32 v71, 0x3fb8aa3b, v71
	v_sub_f32_e32 v82, v82, v88
	v_add_f32_e32 v1, 0, v68
	v_cndmask_b32_e64 v69, 0, v69, s[30:31]
	v_exp_f32_e32 v71, v71
	v_mul_f32_e32 v82, 0x3fb8aa3b, v82
	v_sub_f32_e32 v83, v83, v88
	v_add_f32_e32 v1, v1, v69
	;; [unrolled: 5-line block ×10, first 2 shown]
	v_cndmask_b32_e64 v78, 0, v78, s[10:11]
	v_exp_f32_e32 v66, v66
	v_mul_f32_e32 v67, 0x3fb8aa3b, v67
	v_add_f32_e32 v1, v1, v78
	v_cndmask_b32_e64 v79, 0, v79, s[12:13]
	v_exp_f32_e32 v67, v67
	v_add_f32_e32 v1, v1, v79
	v_cndmask_b32_e64 v72, 0, v72, s[6:7]
	v_add_f32_e32 v1, v1, v72
	v_cndmask_b32_e64 v73, 0, v73, s[8:9]
	v_add_f32_e32 v1, v1, v73
	v_cndmask_b32_e32 v66, 0, v66, vcc
	v_add_f32_e32 v1, v1, v66
	v_cndmask_b32_e64 v67, 0, v67, s[4:5]
	v_add_f32_e32 v1, v1, v67
	ds_bpermute_b32 v74, v74, v1
	v_cmp_gt_u32_e32 vcc, 16, v85
	s_waitcnt lgkmcnt(0)
	s_barrier
	v_add_f32_e32 v89, v1, v74
	ds_bpermute_b32 v90, v75, v89
	s_and_saveexec_b64 s[4:5], vcc
	s_cbranch_execz .LBB765_15
; %bb.14:
	s_waitcnt lgkmcnt(0)
	v_add_f32_e32 v1, v89, v90
	v_lshlrev_b32_e32 v74, 2, v87
	ds_write2st64_b32 v74, v88, v1 offset1:1
.LBB765_15:
	s_or_b64 exec, exec, s[4:5]
	v_and_b32_e32 v86, 15, v0
	v_lshlrev_b32_e32 v1, 2, v86
	s_load_dword s6, s[0:1], 0x94
	s_waitcnt lgkmcnt(0)
	s_barrier
	ds_read2_b32 v[74:75], v1 offset1:16
	ds_read2_b32 v[88:89], v1 offset0:32 offset1:48
	ds_read2_b32 v[90:91], v1 offset0:64 offset1:80
	s_movk_i32 s8, 0x7fff
	s_mov_b32 s9, 0x7060302
	s_waitcnt lgkmcnt(2)
	v_max3_f32 v87, v74, s40, v75
	s_waitcnt lgkmcnt(1)
	v_max3_f32 v87, v87, v88, v89
	v_sub_f32_e32 v74, v74, v87
	v_mul_f32_e32 v74, 0x3fb8aa3b, v74
	v_exp_f32_e32 v92, v74
	v_sub_f32_e32 v74, v75, v87
	v_mul_f32_e32 v74, 0x3fb8aa3b, v74
	v_exp_f32_e32 v93, v74
	;; [unrolled: 3-line block ×3, first 2 shown]
	ds_read2_b32 v[74:75], v1 offset0:96 offset1:112
	v_sub_f32_e32 v1, v89, v87
	v_mul_f32_e32 v1, 0x3fb8aa3b, v1
	v_exp_f32_e32 v1, v1
	s_waitcnt lgkmcnt(1)
	v_fma_f32 v88, v92, v90, 0
	v_fmac_f32_e32 v88, v93, v91
	s_waitcnt lgkmcnt(0)
	v_fmac_f32_e32 v88, v94, v74
	v_fmac_f32_e32 v88, v1, v75
	v_add_f32_e32 v74, 0x358637bd, v88
	v_div_scale_f32 v75, s[4:5], v74, v74, 1.0
	v_rcp_f32_e32 v89, v75
	s_barrier
	v_fma_f32 v90, -v75, v89, 1.0
	v_fmac_f32_e32 v89, v90, v89
	v_div_scale_f32 v90, vcc, 1.0, v74, 1.0
	v_mul_f32_e32 v91, v90, v89
	v_fma_f32 v95, -v75, v91, v90
	v_fmac_f32_e32 v91, v95, v89
	v_fma_f32 v75, -v75, v91, v90
	v_div_fmas_f32 v75, v75, v89, v91
	v_cmp_eq_u32_e32 vcc, 1, v84
	v_div_fixup_f32 v74, v75, v74, 1.0
	s_lshl_b32 s7, s33, 1
	v_cndmask_b32_e32 v75, v92, v93, vcc
	v_cmp_eq_u32_e32 vcc, 2, v84
	s_nop 1
	v_cndmask_b32_e32 v75, v75, v94, vcc
	v_cmp_eq_u32_e32 vcc, 3, v84
	s_nop 1
	v_cndmask_b32_e32 v1, v75, v1, vcc
	v_mul_f32_e32 v74, v1, v74
	v_pk_mul_f32 v[68:69], v[74:75], v[68:69] op_sel_hi:[0,1]
	v_pk_mul_f32 v[80:81], v[74:75], v[80:81] op_sel_hi:[0,1]
	v_bfe_u32 v1, v69, 16, 1
	v_bfe_u32 v75, v68, 16, 1
	v_add3_u32 v68, v68, v75, s8
	v_add3_u32 v1, v69, v1, s8
	v_perm_b32 v90, v1, v68, s9
	v_bfe_u32 v1, v81, 16, 1
	v_bfe_u32 v68, v80, 16, 1
	v_add3_u32 v68, v80, v68, s8
	v_add3_u32 v1, v81, v1, s8
	v_bfe_u32 v81, v0, 4, 2
	v_perm_b32 v91, v1, v68, s9
	v_lshlrev_b32_e32 v1, 3, v81
	v_lshlrev_b32_e32 v68, 5, v86
	v_lshlrev_b32_e32 v69, 11, v84
	v_pk_mul_f32 v[70:71], v[74:75], v[70:71] op_sel_hi:[0,1]
	v_or3_b32 v80, v69, v68, v1
	v_bfe_u32 v1, v71, 16, 1
	v_bfe_u32 v69, v70, 16, 1
	v_pk_mul_f32 v[82:83], v[74:75], v[82:83] op_sel_hi:[0,1]
	v_add3_u32 v69, v70, v69, s8
	v_add3_u32 v1, v71, v1, s8
	v_perm_b32 v70, v1, v69, s9
	v_bfe_u32 v1, v83, 16, 1
	v_bfe_u32 v69, v82, 16, 1
	v_add3_u32 v69, v82, v69, s8
	v_add3_u32 v1, v83, v1, s8
	v_pk_mul_f32 v[76:77], v[74:75], v[76:77] op_sel_hi:[0,1]
	v_perm_b32 v71, v1, v69, s9
	v_bfe_u32 v1, v77, 16, 1
	v_bfe_u32 v69, v76, 16, 1
	ds_write2st64_b64 v80, v[90:91], v[70:71] offset1:1
	v_pk_mul_f32 v[70:71], v[74:75], v[78:79] op_sel_hi:[0,1]
	v_add3_u32 v69, v76, v69, s8
	v_add3_u32 v1, v77, v1, s8
	v_perm_b32 v76, v1, v69, s9
	v_bfe_u32 v1, v71, 16, 1
	v_bfe_u32 v69, v70, 16, 1
	v_add3_u32 v69, v70, v69, s8
	v_add3_u32 v1, v71, v1, s8
	v_pk_mul_f32 v[70:71], v[74:75], v[72:73] op_sel_hi:[0,1]
	v_perm_b32 v77, v1, v69, s9
	v_bfe_u32 v1, v71, 16, 1
	v_bfe_u32 v69, v70, 16, 1
	v_pk_mul_f32 v[66:67], v[74:75], v[66:67] op_sel_hi:[0,1]
	v_add3_u32 v69, v70, v69, s8
	v_add3_u32 v1, v71, v1, s8
	v_perm_b32 v70, v1, v69, s9
	v_bfe_u32 v1, v67, 16, 1
	v_bfe_u32 v69, v66, 16, 1
	v_add3_u32 v66, v66, v69, s8
	v_add3_u32 v1, v67, v1, s8
	v_perm_b32 v71, v1, v66, s9
	v_cmp_gt_u32_e32 vcc, 2, v0
	ds_write2st64_b64 v80, v[76:77], v[70:71] offset0:2 offset1:3
	s_and_saveexec_b64 s[4:5], vcc
	s_cbranch_execz .LBB765_17
; %bb.16:
	v_or_b32_e32 v66, s27, v0
	v_mov_b32_e32 v67, 0
	v_mov_b32_e32 v1, s7
	v_mad_u64_u32 v[70:71], s[10:11], s2, v1, v[66:67]
	v_mov_b32_e32 v66, s26
	s_load_dwordx4 s[12:15], s[0:1], 0x58
	s_mul_i32 s3, s3, s7
	v_mad_u64_u32 v[66:67], s[10:11], v70, s6, v[66:67]
	v_add_u32_e32 v1, s3, v71
	v_mov_b32_e32 v70, v67
	v_mad_u64_u32 v[70:71], s[10:11], v1, s6, v[70:71]
	v_mov_b32_e32 v67, v70
	v_lshlrev_b64 v[66:67], 2, v[66:67]
	s_waitcnt lgkmcnt(0)
	v_lshl_add_u64 v[70:71], s[14:15], 0, v[66:67]
	v_lshl_add_u64 v[66:67], s[12:13], 0, v[66:67]
	global_store_dword v[70:71], v87, off
	global_store_dword v[66:67], v88, off
.LBB765_17:
	s_or_b64 exec, exec, s[4:5]
	v_lshl_or_b32 v1, v81, 9, v68
	s_waitcnt lgkmcnt(0)
	s_barrier
	ds_read_b128 v[70:73], v1
	ds_read_b128 v[66:69], v1 offset:16
	s_waitcnt vmcnt(15) lgkmcnt(1)
	v_mfma_f32_16x16x16_bf16 v[74:77], v[30:31], v[70:71], 0
	v_cmp_gt_u32_e32 vcc, 64, v0
	v_cmp_gt_u32_e64 s[4:5], 32, v85
	s_mov_b32 s3, 0
	v_mfma_f32_16x16x16_bf16 v[30:33], v[32:33], v[72:73], v[74:77]
	s_and_b64 s[4:5], vcc, s[4:5]
	s_waitcnt vmcnt(14) lgkmcnt(0)
	v_mfma_f32_16x16x16_bf16 v[30:33], v[26:27], v[66:67], v[30:33]
	v_mfma_f32_16x16x16_bf16 v[26:29], v[28:29], v[68:69], v[30:33]
	s_nop 5
	ds_read_b128 v[30:33], v1 offset:2048
	ds_read_b128 v[74:77], v1 offset:2064
	s_waitcnt vmcnt(13) lgkmcnt(1)
	v_mfma_f32_16x16x16_bf16 v[26:29], v[22:23], v[30:31], v[26:29]
	v_mfma_f32_16x16x16_bf16 v[22:25], v[24:25], v[32:33], v[26:29]
	s_waitcnt vmcnt(12) lgkmcnt(0)
	v_mfma_f32_16x16x16_bf16 v[22:25], v[18:19], v[74:75], v[22:25]
	v_mfma_f32_16x16x16_bf16 v[18:21], v[20:21], v[76:77], v[22:25]
	s_nop 5
	ds_read_b128 v[22:25], v1 offset:4096
	ds_read_b128 v[26:29], v1 offset:4112
	s_waitcnt vmcnt(11) lgkmcnt(1)
	v_mfma_f32_16x16x16_bf16 v[18:21], v[14:15], v[22:23], v[18:21]
	v_mfma_f32_16x16x16_bf16 v[14:17], v[16:17], v[24:25], v[18:21]
	s_waitcnt vmcnt(10) lgkmcnt(0)
	v_mfma_f32_16x16x16_bf16 v[14:17], v[10:11], v[26:27], v[14:17]
	v_mfma_f32_16x16x16_bf16 v[10:13], v[12:13], v[28:29], v[14:17]
	s_nop 5
	ds_read_b128 v[14:17], v1 offset:6144
	ds_read_b128 v[18:21], v1 offset:6160
	s_waitcnt lgkmcnt(0)
	s_barrier
	s_waitcnt vmcnt(9)
	v_mfma_f32_16x16x16_bf16 v[10:13], v[6:7], v[14:15], v[10:13]
	v_mfma_f32_16x16x16_bf16 v[6:9], v[8:9], v[16:17], v[10:13]
	s_waitcnt vmcnt(8)
	v_mfma_f32_16x16x16_bf16 v[6:9], v[2:3], v[18:19], v[6:9]
	v_mfma_f32_16x16x16_bf16 v[2:5], v[4:5], v[20:21], v[6:9]
	;; [unrolled: 3-line block ×3, first 2 shown]
	s_nop 3
	v_bfe_u32 v1, v3, 16, 1
	v_bfe_u32 v10, v2, 16, 1
	v_add3_u32 v2, v2, v10, s8
	s_waitcnt vmcnt(6)
	v_mfma_f32_16x16x16_bf16 v[6:9], v[38:39], v[66:67], v[6:9]
	v_add3_u32 v1, v3, v1, s8
	v_perm_b32 v10, v1, v2, s9
	v_bfe_u32 v1, v5, 16, 1
	v_mfma_f32_16x16x16_bf16 v[6:9], v[40:41], v[68:69], v[6:9]
	v_bfe_u32 v2, v4, 16, 1
	v_add3_u32 v2, v4, v2, s8
	v_add3_u32 v1, v5, v1, s8
	s_waitcnt vmcnt(5)
	v_mfma_f32_16x16x16_bf16 v[6:9], v[42:43], v[30:31], v[6:9]
	v_perm_b32 v11, v1, v2, s9
	v_mfma_f32_16x16x16_bf16 v[6:9], v[44:45], v[32:33], v[6:9]
	s_waitcnt vmcnt(4)
	v_mfma_f32_16x16x16_bf16 v[6:9], v[34:35], v[74:75], v[6:9]
	v_mfma_f32_16x16x16_bf16 v[6:9], v[36:37], v[76:77], v[6:9]
	s_waitcnt vmcnt(3)
	v_mfma_f32_16x16x16_bf16 v[6:9], v[58:59], v[22:23], v[6:9]
	;; [unrolled: 3-line block ×5, first 2 shown]
	v_mfma_f32_16x16x16_bf16 v[2:5], v[52:53], v[20:21], v[6:9]
	s_nop 6
	v_bfe_u32 v1, v3, 16, 1
	v_bfe_u32 v6, v2, 16, 1
	v_add3_u32 v2, v2, v6, s8
	v_add3_u32 v1, v3, v1, s8
	v_perm_b32 v2, v1, v2, s9
	v_bfe_u32 v1, v5, 16, 1
	v_bfe_u32 v3, v4, 16, 1
	v_add3_u32 v3, v4, v3, s8
	v_add3_u32 v1, v5, v1, s8
	v_perm_b32 v3, v1, v3, s9
	ds_write2st64_b64 v80, v[10:11], v[2:3] offset1:1
	s_waitcnt lgkmcnt(0)
	s_barrier
	s_and_saveexec_b64 s[8:9], s[4:5]
	s_cbranch_execz .LBB765_19
; %bb.18:
	scratch_load_dwordx2 v[6:7], off, off   ; 8-byte Folded Reload
	s_load_dwordx2 s[0:1], s[0:1], 0x68
	s_mul_i32 s2, s7, s2
	s_lshl_b32 s6, s6, 7
	v_lshlrev_b32_e32 v3, 6, v86
	s_mul_hi_u32 s5, s2, s6
	s_mul_i32 s4, s2, s6
	v_lshlrev_b32_e32 v2, 4, v0
	v_lshl_or_b32 v0, v0, 10, v3
	s_lshl_b64 s[4:5], s[4:5], 1
	v_lshlrev_b32_e32 v1, 5, v81
	v_and_b32_e32 v2, 16, v2
	v_and_b32_e32 v0, 0x1a00, v0
	s_waitcnt lgkmcnt(0)
	s_add_u32 s4, s0, s4
	v_or3_b32 v0, v0, v1, v2
	s_addc_u32 s5, s1, s5
	s_lshl_b32 s2, s26, 7
	ds_read_b128 v[2:5], v0
	s_lshl_b64 s[0:1], s[2:3], 1
	s_add_u32 s0, s4, s0
	v_or_b32_e32 v0, s27, v81
	s_addc_u32 s1, s5, s1
	v_mad_u64_u32 v[0:1], s[2:3], s6, v0, 0
	v_lshl_add_u64 v[0:1], v[0:1], 1, s[0:1]
	s_waitcnt vmcnt(0)
	v_lshl_add_u64 v[0:1], v[6:7], 1, v[0:1]
	s_waitcnt lgkmcnt(0)
	global_store_dwordx4 v[0:1], v[2:5], off
.LBB765_19:
	s_endpgm
	.section	.rodata,"a",@progbits
	.p2align	6, 0x0
	.amdhsa_kernel _Z39paged_attention_ll4mi_QKV_mfma16_kernelI14__hip_bfloat16S0_LN4vllm18Fp8KVCacheDataTypeE0ES0_Li32ELi128ELi256ELb0ELi2EEvPKT_PKT0_S8_ifPKiSA_SA_iPKfiiiPfSD_PS3_PT2_iSC_SC_
		.amdhsa_group_segment_fixed_size 8192
		.amdhsa_private_segment_fixed_size 12
		.amdhsa_kernarg_size 400
		.amdhsa_user_sgpr_count 2
		.amdhsa_user_sgpr_dispatch_ptr 0
		.amdhsa_user_sgpr_queue_ptr 0
		.amdhsa_user_sgpr_kernarg_segment_ptr 1
		.amdhsa_user_sgpr_dispatch_id 0
		.amdhsa_user_sgpr_kernarg_preload_length 0
		.amdhsa_user_sgpr_kernarg_preload_offset 0
		.amdhsa_user_sgpr_private_segment_size 0
		.amdhsa_uses_dynamic_stack 0
		.amdhsa_enable_private_segment 1
		.amdhsa_system_sgpr_workgroup_id_x 1
		.amdhsa_system_sgpr_workgroup_id_y 1
		.amdhsa_system_sgpr_workgroup_id_z 1
		.amdhsa_system_sgpr_workgroup_info 0
		.amdhsa_system_vgpr_workitem_id 0
		.amdhsa_next_free_vgpr 96
		.amdhsa_next_free_sgpr 41
		.amdhsa_accum_offset 96
		.amdhsa_reserve_vcc 1
		.amdhsa_float_round_mode_32 0
		.amdhsa_float_round_mode_16_64 0
		.amdhsa_float_denorm_mode_32 3
		.amdhsa_float_denorm_mode_16_64 3
		.amdhsa_dx10_clamp 1
		.amdhsa_ieee_mode 1
		.amdhsa_fp16_overflow 0
		.amdhsa_tg_split 0
		.amdhsa_exception_fp_ieee_invalid_op 0
		.amdhsa_exception_fp_denorm_src 0
		.amdhsa_exception_fp_ieee_div_zero 0
		.amdhsa_exception_fp_ieee_overflow 0
		.amdhsa_exception_fp_ieee_underflow 0
		.amdhsa_exception_fp_ieee_inexact 0
		.amdhsa_exception_int_div_zero 0
	.end_amdhsa_kernel
	.section	.text._Z39paged_attention_ll4mi_QKV_mfma16_kernelI14__hip_bfloat16S0_LN4vllm18Fp8KVCacheDataTypeE0ES0_Li32ELi128ELi256ELb0ELi2EEvPKT_PKT0_S8_ifPKiSA_SA_iPKfiiiPfSD_PS3_PT2_iSC_SC_,"axG",@progbits,_Z39paged_attention_ll4mi_QKV_mfma16_kernelI14__hip_bfloat16S0_LN4vllm18Fp8KVCacheDataTypeE0ES0_Li32ELi128ELi256ELb0ELi2EEvPKT_PKT0_S8_ifPKiSA_SA_iPKfiiiPfSD_PS3_PT2_iSC_SC_,comdat
.Lfunc_end765:
	.size	_Z39paged_attention_ll4mi_QKV_mfma16_kernelI14__hip_bfloat16S0_LN4vllm18Fp8KVCacheDataTypeE0ES0_Li32ELi128ELi256ELb0ELi2EEvPKT_PKT0_S8_ifPKiSA_SA_iPKfiiiPfSD_PS3_PT2_iSC_SC_, .Lfunc_end765-_Z39paged_attention_ll4mi_QKV_mfma16_kernelI14__hip_bfloat16S0_LN4vllm18Fp8KVCacheDataTypeE0ES0_Li32ELi128ELi256ELb0ELi2EEvPKT_PKT0_S8_ifPKiSA_SA_iPKfiiiPfSD_PS3_PT2_iSC_SC_
                                        ; -- End function
	.section	.AMDGPU.csdata,"",@progbits
; Kernel info:
; codeLenInByte = 4804
; NumSgprs: 47
; NumVgprs: 96
; NumAgprs: 0
; TotalNumVgprs: 96
; ScratchSize: 12
; MemoryBound: 0
; FloatMode: 240
; IeeeMode: 1
; LDSByteSize: 8192 bytes/workgroup (compile time only)
; SGPRBlocks: 5
; VGPRBlocks: 11
; NumSGPRsForWavesPerEU: 47
; NumVGPRsForWavesPerEU: 96
; AccumOffset: 96
; Occupancy: 5
; WaveLimiterHint : 1
; COMPUTE_PGM_RSRC2:SCRATCH_EN: 1
; COMPUTE_PGM_RSRC2:USER_SGPR: 2
; COMPUTE_PGM_RSRC2:TRAP_HANDLER: 0
; COMPUTE_PGM_RSRC2:TGID_X_EN: 1
; COMPUTE_PGM_RSRC2:TGID_Y_EN: 1
; COMPUTE_PGM_RSRC2:TGID_Z_EN: 1
; COMPUTE_PGM_RSRC2:TIDIG_COMP_CNT: 0
; COMPUTE_PGM_RSRC3_GFX90A:ACCUM_OFFSET: 23
; COMPUTE_PGM_RSRC3_GFX90A:TG_SPLIT: 0
	.section	.text._Z39paged_attention_ll4mi_QKV_mfma16_kernelI14__hip_bfloat16S0_LN4vllm18Fp8KVCacheDataTypeE0ES0_Li32ELi128ELi256ELb0ELi3EEvPKT_PKT0_S8_ifPKiSA_SA_iPKfiiiPfSD_PS3_PT2_iSC_SC_,"axG",@progbits,_Z39paged_attention_ll4mi_QKV_mfma16_kernelI14__hip_bfloat16S0_LN4vllm18Fp8KVCacheDataTypeE0ES0_Li32ELi128ELi256ELb0ELi3EEvPKT_PKT0_S8_ifPKiSA_SA_iPKfiiiPfSD_PS3_PT2_iSC_SC_,comdat
	.protected	_Z39paged_attention_ll4mi_QKV_mfma16_kernelI14__hip_bfloat16S0_LN4vllm18Fp8KVCacheDataTypeE0ES0_Li32ELi128ELi256ELb0ELi3EEvPKT_PKT0_S8_ifPKiSA_SA_iPKfiiiPfSD_PS3_PT2_iSC_SC_ ; -- Begin function _Z39paged_attention_ll4mi_QKV_mfma16_kernelI14__hip_bfloat16S0_LN4vllm18Fp8KVCacheDataTypeE0ES0_Li32ELi128ELi256ELb0ELi3EEvPKT_PKT0_S8_ifPKiSA_SA_iPKfiiiPfSD_PS3_PT2_iSC_SC_
	.globl	_Z39paged_attention_ll4mi_QKV_mfma16_kernelI14__hip_bfloat16S0_LN4vllm18Fp8KVCacheDataTypeE0ES0_Li32ELi128ELi256ELb0ELi3EEvPKT_PKT0_S8_ifPKiSA_SA_iPKfiiiPfSD_PS3_PT2_iSC_SC_
	.p2align	8
	.type	_Z39paged_attention_ll4mi_QKV_mfma16_kernelI14__hip_bfloat16S0_LN4vllm18Fp8KVCacheDataTypeE0ES0_Li32ELi128ELi256ELb0ELi3EEvPKT_PKT0_S8_ifPKiSA_SA_iPKfiiiPfSD_PS3_PT2_iSC_SC_,@function
_Z39paged_attention_ll4mi_QKV_mfma16_kernelI14__hip_bfloat16S0_LN4vllm18Fp8KVCacheDataTypeE0ES0_Li32ELi128ELi256ELb0ELi3EEvPKT_PKT0_S8_ifPKiSA_SA_iPKfiiiPfSD_PS3_PT2_iSC_SC_: ; @_Z39paged_attention_ll4mi_QKV_mfma16_kernelI14__hip_bfloat16S0_LN4vllm18Fp8KVCacheDataTypeE0ES0_Li32ELi128ELi256ELb0ELi3EEvPKT_PKT0_S8_ifPKiSA_SA_iPKfiiiPfSD_PS3_PT2_iSC_SC_
; %bb.0:
	s_load_dwordx2 s[8:9], s[0:1], 0x30
	s_mov_b32 s26, s3
	s_mov_b64 s[6:7], 0
	s_waitcnt lgkmcnt(0)
	s_cmp_lg_u64 s[8:9], 0
	s_cselect_b64 s[10:11], -1, 0
	s_and_b64 vcc, exec, s[10:11]
	s_cbranch_vccz .LBB766_7
; %bb.1:
	s_add_i32 s12, s2, 1
	s_mov_b32 s13, 0
	s_lshl_b64 s[14:15], s[12:13], 2
	s_add_u32 s14, s8, s14
	s_mov_b32 s3, s13
	s_addc_u32 s15, s9, s15
	s_lshl_b64 s[12:13], s[2:3], 2
	s_add_u32 s12, s8, s12
	s_addc_u32 s13, s9, s13
	s_load_dword s5, s[14:15], 0x0
	s_load_dword s16, s[12:13], 0x0
	s_waitcnt lgkmcnt(0)
	s_sub_i32 s5, s5, s16
	s_cmp_eq_u32 s5, 1
	s_cselect_b64 s[12:13], -1, 0
	s_andn2_b64 vcc, exec, s[6:7]
	s_cbranch_vccnz .LBB766_3
.LBB766_2:
	s_mov_b32 s3, 0
	s_mov_b64 s[12:13], -1
.LBB766_3:
	s_andn2_b64 vcc, exec, s[12:13]
	s_cbranch_vccnz .LBB766_19
; %bb.4:
	s_load_dwordx2 s[6:7], s[0:1], 0x28
	s_lshl_b64 s[12:13], s[2:3], 2
	s_waitcnt lgkmcnt(0)
	s_add_u32 s6, s6, s12
	s_addc_u32 s7, s7, s13
	s_load_dword s33, s[6:7], 0x0
	s_lshl_b32 s18, s26, 8
	s_waitcnt lgkmcnt(0)
	s_cmp_ge_i32 s18, s33
	s_cbranch_scc1 .LBB766_19
; %bb.5:
	s_load_dwordx2 s[6:7], s[0:1], 0x20
	s_load_dword s5, s[0:1], 0x38
	s_add_i32 s14, s33, 31
	s_ashr_i32 s15, s14, 31
	v_and_b32_e32 v1, 0xcf, v0
	s_lshr_b32 s15, s15, 27
	v_add_u32_e32 v1, s18, v1
	s_add_i32 s14, s14, s15
	v_ashrrev_i32_e32 v2, 31, v1
	s_ashr_i32 s19, s14, 5
	v_lshrrev_b32_e32 v4, 27, v2
	s_add_i32 s19, s19, -1
	s_waitcnt lgkmcnt(0)
	s_mul_i32 s14, s2, s5
	s_mov_b32 s15, 0
	v_add_u32_e32 v2, v1, v4
	s_lshl_b64 s[14:15], s[14:15], 2
	v_ashrrev_i32_e32 v2, 5, v2
	v_mov_b32_e32 v5, s19
	v_cmp_gt_i32_e32 vcc, s33, v1
	s_add_u32 s6, s6, s14
	s_addc_u32 s7, s7, s15
	v_cndmask_b32_e32 v2, v5, v2, vcc
	v_ashrrev_i32_e32 v3, 31, v2
	v_lshl_add_u64 v[6:7], v[2:3], 2, s[6:7]
	v_or_b32_e32 v2, 16, v1
	v_add_u32_e32 v3, v2, v4
	v_ashrrev_i32_e32 v3, 5, v3
	v_cmp_gt_i32_e32 vcc, s33, v2
	s_nop 1
	v_cndmask_b32_e32 v2, v5, v3, vcc
	v_ashrrev_i32_e32 v3, 31, v2
	v_lshl_add_u64 v[8:9], v[2:3], 2, s[6:7]
	v_or_b32_e32 v2, 32, v1
	v_add_u32_e32 v3, v2, v4
	v_ashrrev_i32_e32 v3, 5, v3
	v_cmp_gt_i32_e32 vcc, s33, v2
	v_or_b32_e32 v1, 48, v1
	s_nop 0
	v_cndmask_b32_e32 v2, v5, v3, vcc
	v_ashrrev_i32_e32 v3, 31, v2
	v_lshl_add_u64 v[10:11], v[2:3], 2, s[6:7]
	v_add_u32_e32 v2, v1, v4
	v_ashrrev_i32_e32 v2, 5, v2
	v_cmp_gt_i32_e32 vcc, s33, v1
	s_nop 1
	v_cndmask_b32_e32 v2, v5, v2, vcc
	v_ashrrev_i32_e32 v3, 31, v2
	v_lshl_add_u64 v[12:13], v[2:3], 2, s[6:7]
	global_load_dword v2, v[6:7], off
	global_load_dword v5, v[8:9], off
	;; [unrolled: 1-line block ×4, first 2 shown]
	s_andn2_b64 vcc, exec, s[10:11]
	s_cbranch_vccnz .LBB766_8
; %bb.6:
	s_add_u32 s8, s8, s12
	s_addc_u32 s9, s9, s13
	s_load_dword s5, s[8:9], 0x0
	s_branch .LBB766_9
.LBB766_7:
	s_mov_b64 s[12:13], 0
	s_branch .LBB766_2
.LBB766_8:
	s_mov_b32 s5, s2
.LBB766_9:
	s_load_dwordx4 s[12:15], s[0:1], 0x8
	s_load_dwordx4 s[8:11], s[0:1], 0x48
	v_lshrrev_b32_e32 v77, 6, v0
	v_bfe_u32 v1, v0, 4, 2
	v_lshl_or_b32 v3, v77, 2, v1
	v_and_b32_e32 v76, 15, v0
	s_mul_i32 s40, s4, 3
	v_lshlrev_b32_e32 v74, 3, v76
	v_cmp_lt_u32_e32 vcc, 2, v3
	s_and_saveexec_b64 s[16:17], vcc
	s_xor_b64 s[16:17], exec, s[16:17]
; %bb.10:
	v_mov_b32_e32 v75, 0
                                        ; implicit-def: $vgpr3
; %bb.11:
	s_or_saveexec_b64 s[16:17], s[16:17]
	v_and_b32_e32 v87, 63, v0
	v_add_u32_e32 v6, s40, v1
	scratch_store_dword off, v6, off        ; 4-byte Folded Spill
	s_xor_b64 exec, exec, s[16:17]
	s_cbranch_execz .LBB766_13
; %bb.12:
	scratch_load_dword v6, off, off         ; 4-byte Folded Reload
	s_load_dwordx2 s[20:21], s[0:1], 0x0
	s_waitcnt lgkmcnt(0)
	s_ashr_i32 s11, s8, 31
	s_mul_hi_u32 s22, s5, s8
	s_mul_i32 s11, s5, s11
	s_add_i32 s23, s22, s11
	s_mul_i32 s22, s5, s8
	s_lshl_b64 s[22:23], s[22:23], 1
	s_add_u32 s20, s20, s22
	s_addc_u32 s21, s21, s23
	v_mov_b32_e32 v75, 0
	v_lshlrev_b32_e32 v8, 1, v74
	v_mov_b32_e32 v9, v75
	v_and_b32_e32 v10, 3, v0
	v_lshlrev_b32_e32 v11, 9, v76
	v_lshlrev_b32_e32 v3, 5, v3
	;; [unrolled: 1-line block ×3, first 2 shown]
	v_and_b32_e32 v11, 0x1800, v11
	v_or3_b32 v3, v11, v10, v3
	s_waitcnt vmcnt(0)
	v_lshlrev_b32_e32 v6, 7, v6
	v_ashrrev_i32_e32 v7, 31, v6
	v_lshl_add_u64 v[6:7], v[6:7], 1, s[20:21]
	v_lshl_add_u64 v[6:7], v[6:7], 0, v[8:9]
	global_load_dwordx4 v[6:9], v[6:7], off
	s_waitcnt vmcnt(0)
	ds_write_b128 v3, v[6:9]
.LBB766_13:
	s_or_b64 exec, exec, s[16:17]
	s_waitcnt lgkmcnt(0)
	s_mul_i32 s4, s4, s10
	s_mov_b32 s5, 0
	s_lshl_b64 s[4:5], s[4:5], 1
	s_add_u32 s10, s12, s4
	s_addc_u32 s11, s13, s5
	s_waitcnt vmcnt(4)
	v_mad_i64_i32 v[2:3], s[12:13], v2, s9, 0
	v_lshl_add_u64 v[6:7], v[2:3], 1, s[10:11]
	v_lshlrev_b64 v[2:3], 1, v[74:75]
	v_lshlrev_b32_e32 v46, 9, v1
	v_lshl_add_u64 v[6:7], v[6:7], 0, v[2:3]
	v_mov_b32_e32 v47, 0
	v_lshl_add_u64 v[8:9], v[6:7], 0, v[46:47]
	s_load_dword s27, s[0:1], 0x98
	s_load_dword s8, s[0:1], 0x1c
	s_waitcnt lgkmcnt(0)
	s_barrier
	global_load_dwordx4 v[38:41], v[8:9], off
	s_waitcnt vmcnt(4)
	v_mad_i64_i32 v[10:11], s[12:13], v5, s9, 0
	v_mov_b32_e32 v5, 0x100
	v_lshl_add_u64 v[10:11], v[10:11], 1, s[10:11]
	v_lshl_or_b32 v50, v76, 4, v5
	v_mov_b32_e32 v51, v47
	v_lshl_add_u64 v[22:23], v[10:11], 0, v[50:51]
	v_lshl_add_u64 v[10:11], v[22:23], 0, v[46:47]
	global_load_dwordx4 v[42:45], v[10:11], off
	global_load_dwordx4 v[18:21], v[8:9], off offset:2048
	global_load_dwordx4 v[26:29], v[10:11], off offset:2048
	v_or_b32_e32 v52, 0x1000, v46
	v_mov_b32_e32 v53, v47
	v_or_b32_e32 v48, 0x1800, v46
	v_mov_b32_e32 v49, v47
	v_lshl_add_u64 v[8:9], v[6:7], 0, v[52:53]
	v_lshl_add_u64 v[6:7], v[6:7], 0, v[48:49]
	global_load_dwordx4 v[14:17], v[8:9], off
	global_load_dwordx4 v[10:13], v[6:7], off
	v_lshl_add_u64 v[8:9], v[22:23], 0, v[52:53]
	global_load_dwordx4 v[30:33], v[8:9], off
	s_waitcnt vmcnt(9)
	v_mad_i64_i32 v[4:5], s[12:13], v4, s9, 0
	v_lshl_add_u64 v[4:5], v[4:5], 1, s[10:11]
	v_lshl_add_u64 v[56:57], v[4:5], 0, v[2:3]
	v_mul_lo_u16_e32 v2, 0x56, v76
	v_mov_b32_e32 v3, 3
	v_mul_lo_u16_sdwa v2, v2, v3 dst_sel:DWORD dst_unused:UNUSED_PAD src0_sel:BYTE_1 src1_sel:DWORD
	v_sub_u16_e32 v2, v76, v2
	v_and_b32_e32 v2, 0xff, v2
	v_lshl_add_u64 v[6:7], v[22:23], 0, v[48:49]
	global_load_dwordx4 v[22:25], v[6:7], off
	v_lshl_add_u64 v[54:55], v[56:57], 0, v[46:47]
	v_lshl_add_u32 v59, v2, 5, v46
	global_load_dwordx4 v[34:37], v[54:55], off
	ds_read_b128 v[6:9], v59
	ds_read_b128 v[2:5], v59 offset:2048
	v_and_or_b32 v72, v0, 48, s18
	v_or_b32_e32 v80, 64, v72
	v_mov_b32_e32 v73, s19
	v_cmp_gt_i32_e32 vcc, s33, v72
	v_or_b32_e32 v81, 0x80, v72
	v_or_b32_e32 v84, 0xc0, v72
	s_mov_b32 s41, 0xff7fffff
	s_waitcnt vmcnt(7) lgkmcnt(1)
	v_mfma_f32_16x16x16_bf16 v[64:67], v[42:43], v[6:7], 0
	v_mfma_f32_16x16x16_bf16 v[60:63], v[38:39], v[6:7], 0
	v_mad_i64_i32 v[38:39], s[12:13], v58, s9, 0
	v_lshl_add_u64 v[68:69], v[38:39], 1, s[10:11]
	v_mfma_f32_16x16x16_bf16 v[60:63], v[40:41], v[8:9], v[60:63]
	v_lshl_add_u64 v[82:83], v[68:69], 0, v[50:51]
	v_lshl_add_u64 v[50:51], v[56:57], 0, v[52:53]
	s_ashr_i32 s12, s18, 31
	v_mfma_f32_16x16x16_bf16 v[64:67], v[44:45], v[8:9], v[64:67]
	ds_read_b128 v[42:45], v59 offset:4096
	ds_read_b128 v[38:41], v59 offset:6144
	v_lshl_add_u64 v[78:79], v[82:83], 0, v[52:53]
	global_load_dwordx4 v[50:53], v[50:51], off
	s_waitcnt vmcnt(7) lgkmcnt(2)
	v_mfma_f32_16x16x16_bf16 v[58:61], v[18:19], v[2:3], v[60:63]
	s_lshr_b32 s10, s12, 27
	v_add_u32_e32 v68, s10, v72
	v_add_u32_e32 v69, s10, v80
	s_waitcnt vmcnt(6)
	v_mfma_f32_16x16x16_bf16 v[62:65], v[26:27], v[2:3], v[64:67]
	v_lshl_add_u64 v[70:71], v[82:83], 0, v[46:47]
	v_ashrrev_i32_e32 v46, 5, v68
	v_add_u32_e32 v85, s10, v81
	v_lshl_add_u64 v[66:67], v[56:57], 0, v[48:49]
	global_load_dwordx4 v[54:57], v[54:55], off offset:2048
	v_mfma_f32_16x16x16_bf16 v[18:21], v[20:21], v[4:5], v[58:61]
	v_add_u32_e32 v88, s10, v84
	s_add_u32 s4, s14, s4
	s_addc_u32 s5, s15, s5
	v_mfma_f32_16x16x16_bf16 v[26:29], v[28:29], v[4:5], v[62:65]
	v_ashrrev_i32_e32 v58, 5, v69
	s_waitcnt vmcnt(6) lgkmcnt(1)
	v_mfma_f32_16x16x16_bf16 v[18:21], v[14:15], v[42:43], v[18:21]
	v_cndmask_b32_e32 v14, v73, v46, vcc
	v_cmp_gt_i32_e32 vcc, s33, v80
	v_ashrrev_i32_e32 v15, 31, v14
	s_waitcnt vmcnt(4)
	v_mfma_f32_16x16x16_bf16 v[26:29], v[30:31], v[42:43], v[26:29]
	v_cndmask_b32_e32 v30, v73, v58, vcc
	v_ashrrev_i32_e32 v31, 31, v30
	v_lshl_add_u64 v[14:15], v[14:15], 2, s[6:7]
	v_lshl_add_u64 v[30:31], v[30:31], 2, s[6:7]
	global_load_dword v89, v[14:15], off
	global_load_dword v94, v[30:31], off
	v_mfma_f32_16x16x16_bf16 v[14:17], v[16:17], v[44:45], v[18:21]
	global_load_dwordx4 v[58:61], v[70:71], off
	v_ashrrev_i32_e32 v62, 5, v85
	v_cmp_gt_i32_e32 vcc, s33, v81
	global_load_dwordx4 v[18:21], v[66:67], off
	s_waitcnt lgkmcnt(0)
	v_mfma_f32_16x16x16_bf16 v[14:17], v[10:11], v[38:39], v[14:17]
	v_cndmask_b32_e32 v10, v73, v62, vcc
	global_load_dwordx4 v[62:65], v[70:71], off offset:2048
	v_ashrrev_i32_e32 v11, 31, v10
	v_lshl_add_u64 v[10:11], v[10:11], 2, s[6:7]
	global_load_dword v95, v[10:11], off
	v_mfma_f32_16x16x16_bf16 v[66:69], v[12:13], v[40:41], v[14:17]
	global_load_dwordx4 v[78:81], v[78:79], off
	v_ashrrev_i32_e32 v85, 5, v88
	v_cmp_gt_i32_e32 vcc, s33, v84
	v_lshl_add_u64 v[14:15], v[82:83], 0, v[48:49]
	global_load_dwordx4 v[90:93], v[14:15], off
	v_cndmask_b32_e32 v10, v73, v85, vcc
	v_ashrrev_i32_e32 v11, 31, v10
	v_lshl_add_u64 v[10:11], v[10:11], 2, s[6:7]
	global_load_dword v84, v[10:11], off
	s_waitcnt vmcnt(11)
	v_mfma_f32_16x16x16_bf16 v[10:13], v[34:35], v[6:7], 0
	v_and_b32_e32 v14, 16, v0
	v_lshlrev_b32_e32 v46, 1, v14
	v_lshl_or_b32 v88, v77, 4, v76
	v_mfma_f32_16x16x16_bf16 v[10:13], v[36:37], v[8:9], v[10:13]
	v_lshl_add_u64 v[36:37], s[4:5], 0, v[46:47]
	v_lshlrev_b32_e32 v46, 6, v88
	v_lshl_add_u64 v[48:49], v[36:37], 0, v[46:47]
	v_mfma_f32_16x16x16_bf16 v[26:29], v[32:33], v[44:45], v[26:29]
	v_or_b32_e32 v46, 0x1000, v46
	s_waitcnt vmcnt(8)
	v_mad_i64_i32 v[14:15], s[4:5], v89, s9, 0
	v_mfma_f32_16x16x16_bf16 v[10:13], v[54:55], v[2:3], v[10:13]
	v_lshlrev_b64 v[82:83], 1, v[14:15]
	v_lshl_add_u64 v[14:15], v[48:49], 0, v[82:83]
	v_mfma_f32_16x16x16_bf16 v[10:13], v[56:57], v[4:5], v[10:13]
	v_mfma_f32_16x16x16_bf16 v[10:13], v[50:51], v[42:43], v[10:13]
	;; [unrolled: 1-line block ×4, first 2 shown]
	s_waitcnt vmcnt(5)
	v_mfma_f32_16x16x16_bf16 v[10:13], v[18:19], v[38:39], v[10:13]
	v_mfma_f32_16x16x16_bf16 v[70:73], v[24:25], v[40:41], v[26:29]
	global_load_dwordx4 v[30:33], v[14:15], off
	s_nop 2
	global_load_dwordx4 v[26:29], v[14:15], off offset:16
	v_mad_i64_i32 v[14:15], s[4:5], v94, s9, 0
	v_lshlrev_b64 v[34:35], 1, v[14:15]
	v_mfma_f32_16x16x16_bf16 v[54:57], v[20:21], v[40:41], v[10:13]
	v_pk_mul_f32 v[70:71], s[8:9], v[70:71] op_sel_hi:[0,1]
	s_nop 1
	v_lshl_add_u64 v[10:11], v[48:49], 0, v[34:35]
	global_load_dwordx4 v[22:25], v[10:11], off
	global_load_dwordx4 v[18:21], v[10:11], off offset:16
	v_mfma_f32_16x16x16_bf16 v[10:13], v[58:59], v[6:7], 0
	s_waitcnt vmcnt(7)
	v_mad_i64_i32 v[6:7], s[4:5], v95, s9, 0
	v_lshlrev_b64 v[50:51], 1, v[6:7]
	v_mfma_f32_16x16x16_bf16 v[6:9], v[60:61], v[8:9], v[10:13]
	v_mfma_f32_16x16x16_bf16 v[6:9], v[62:63], v[2:3], v[6:9]
	s_waitcnt vmcnt(4)
	v_mad_i64_i32 v[2:3], s[4:5], v84, s9, 0
	v_pk_mul_f32 v[84:85], s[8:9], v[72:73] op_sel_hi:[0,1]
	v_mfma_f32_16x16x16_bf16 v[58:61], v[64:65], v[4:5], v[6:9]
	v_lshl_add_u64 v[64:65], v[36:37], 0, v[46:47]
	v_pk_mul_f32 v[62:63], s[8:9], v[66:67] op_sel_hi:[0,1]
	v_lshl_add_u64 v[94:95], v[64:65], 0, v[82:83]
	v_mfma_f32_16x16x16_bf16 v[58:61], v[78:79], v[42:43], v[58:61]
	v_pk_mul_f32 v[82:83], s[8:9], v[68:69] op_sel_hi:[0,1]
	v_pk_mul_f32 v[78:79], s[8:9], v[54:55] op_sel_hi:[0,1]
	v_lshlrev_b64 v[52:53], 1, v[2:3]
	v_mfma_f32_16x16x16_bf16 v[42:45], v[80:81], v[44:45], v[58:61]
	v_pk_mul_f32 v[80:81], s[8:9], v[56:57] op_sel_hi:[0,1]
	v_lshl_add_u64 v[10:11], v[48:49], 0, v[50:51]
	v_lshl_add_u64 v[2:3], v[48:49], 0, v[52:53]
	v_mfma_f32_16x16x16_bf16 v[36:39], v[90:91], v[38:39], v[42:45]
	v_lshl_add_u64 v[34:35], v[64:65], 0, v[34:35]
	v_lshl_add_u64 v[50:51], v[64:65], 0, v[50:51]
	global_load_dwordx4 v[14:17], v[10:11], off
	s_nop 0
	global_load_dwordx4 v[10:13], v[10:11], off offset:16
	v_mfma_f32_16x16x16_bf16 v[36:39], v[92:93], v[40:41], v[36:39]
	global_load_dwordx4 v[6:9], v[2:3], off
	s_nop 0
	global_load_dwordx4 v[2:5], v[2:3], off offset:16
	s_nop 3
	v_pk_mul_f32 v[72:73], s[8:9], v[36:37] op_sel_hi:[0,1]
	v_and_b32_e32 v36, 0xc0, v0
	v_add_u32_e32 v36, s18, v36
	v_lshl_or_b32 v36, v1, 2, v36
	v_pk_mul_f32 v[66:67], s[8:9], v[38:39] op_sel_hi:[0,1]
	v_or_b32_e32 v39, 1, v36
	v_mov_b32_e32 v37, 0xff7fffff
	v_cmp_gt_i32_e64 s[28:29], s33, v36
	v_cmp_gt_i32_e64 s[30:31], s33, v39
	v_or_b32_e32 v40, 3, v36
	v_cndmask_b32_e64 v38, v37, v62, s[28:29]
	v_cndmask_b32_e64 v39, v37, v63, s[30:31]
	v_max3_f32 v38, v38, s41, v39
	v_or_b32_e32 v39, 2, v36
	v_cmp_gt_i32_e64 s[34:35], s33, v39
	v_cmp_gt_i32_e64 s[36:37], s33, v40
	s_nop 0
	v_cndmask_b32_e64 v39, v37, v82, s[34:35]
	v_cndmask_b32_e64 v40, v37, v83, s[36:37]
	v_max3_f32 v38, v38, v39, v40
	v_or_b32_e32 v39, 16, v36
	v_or_b32_e32 v40, 17, v36
	v_cmp_gt_i32_e64 s[22:23], s33, v39
	v_cmp_gt_i32_e64 s[24:25], s33, v40
	s_nop 0
	v_cndmask_b32_e64 v39, v37, v70, s[22:23]
	v_cndmask_b32_e64 v40, v37, v71, s[24:25]
	v_max3_f32 v38, v38, v39, v40
	v_or_b32_e32 v39, 18, v36
	;; [unrolled: 8-line block ×6, first 2 shown]
	v_or_b32_e32 v36, 51, v36
	v_cmp_gt_i32_e32 vcc, s33, v39
	v_cmp_gt_i32_e64 s[4:5], s33, v36
	s_nop 0
	v_cndmask_b32_e32 v39, v37, v66, vcc
	v_cndmask_b32_e64 v36, v37, v67, s[4:5]
	v_max3_f32 v54, v38, v39, v36
	v_mbcnt_lo_u32_b32 v36, -1, 0
	v_mbcnt_hi_u32_b32 v55, -1, v36
	v_and_b32_e32 v36, 64, v55
	v_add_u32_e32 v56, 64, v36
	v_xor_b32_e32 v36, 32, v55
	v_cmp_lt_i32_e64 s[38:39], v36, v56
	global_load_dwordx4 v[46:49], v[94:95], off
	global_load_dwordx4 v[38:41], v[94:95], off offset:16
	v_cndmask_b32_e64 v36, v55, v36, s[38:39]
	v_lshlrev_b32_e32 v90, 2, v36
	ds_bpermute_b32 v57, v90, v54
	global_load_dwordx4 v[42:45], v[34:35], off
	s_nop 0
	global_load_dwordx4 v[34:37], v[34:35], off offset:16
	s_waitcnt lgkmcnt(0)
	v_max_f32_e32 v57, v57, v57
	v_max_f32_e32 v68, v54, v57
	v_xor_b32_e32 v54, 16, v55
	v_cmp_lt_i32_e64 s[38:39], v54, v56
	s_nop 1
	v_cndmask_b32_e64 v54, v55, v54, s[38:39]
	v_lshlrev_b32_e32 v91, 2, v54
	ds_bpermute_b32 v69, v91, v68
	global_load_dwordx4 v[58:61], v[50:51], off
	global_load_dwordx4 v[54:57], v[50:51], off offset:16
	v_lshl_add_u64 v[50:51], v[64:65], 0, v[52:53]
	s_waitcnt lgkmcnt(0)
	v_max_f32_e32 v52, v69, v69
	v_max_f32_e32 v89, v68, v52
	v_sub_f32_e32 v52, v62, v89
	v_mul_f32_e32 v52, 0x3fb8aa3b, v52
	v_exp_f32_e32 v68, v52
	v_sub_f32_e32 v52, v63, v89
	v_mul_f32_e32 v52, 0x3fb8aa3b, v52
	v_exp_f32_e32 v69, v52
	global_load_dwordx4 v[62:65], v[50:51], off
	s_nop 0
	global_load_dwordx4 v[50:53], v[50:51], off offset:16
	v_sub_f32_e32 v82, v82, v89
	v_mul_f32_e32 v82, 0x3fb8aa3b, v82
	v_sub_f32_e32 v83, v83, v89
	v_exp_f32_e32 v82, v82
	v_mul_f32_e32 v83, 0x3fb8aa3b, v83
	v_sub_f32_e32 v70, v70, v89
	v_exp_f32_e32 v83, v83
	v_mul_f32_e32 v70, 0x3fb8aa3b, v70
	v_sub_f32_e32 v71, v71, v89
	v_cndmask_b32_e64 v68, 0, v68, s[28:29]
	v_exp_f32_e32 v70, v70
	v_mul_f32_e32 v71, 0x3fb8aa3b, v71
	v_sub_f32_e32 v84, v84, v89
	v_add_f32_e32 v92, 0, v68
	v_cndmask_b32_e64 v69, 0, v69, s[30:31]
	v_exp_f32_e32 v71, v71
	v_mul_f32_e32 v84, 0x3fb8aa3b, v84
	v_sub_f32_e32 v85, v85, v89
	v_add_f32_e32 v92, v92, v69
	;; [unrolled: 5-line block ×10, first 2 shown]
	v_cndmask_b32_e64 v80, 0, v80, s[10:11]
	v_exp_f32_e32 v66, v66
	v_mul_f32_e32 v67, 0x3fb8aa3b, v67
	v_add_f32_e32 v92, v92, v80
	v_cndmask_b32_e64 v81, 0, v81, s[12:13]
	v_exp_f32_e32 v67, v67
	v_add_f32_e32 v92, v92, v81
	v_cndmask_b32_e64 v72, 0, v72, s[6:7]
	v_add_f32_e32 v92, v92, v72
	v_cndmask_b32_e64 v73, 0, v73, s[8:9]
	v_add_f32_e32 v92, v92, v73
	v_cndmask_b32_e32 v66, 0, v66, vcc
	v_add_f32_e32 v92, v92, v66
	v_cndmask_b32_e64 v67, 0, v67, s[4:5]
	v_add_f32_e32 v92, v92, v67
	ds_bpermute_b32 v90, v90, v92
	v_cmp_gt_u32_e32 vcc, 16, v87
	s_waitcnt lgkmcnt(0)
	s_barrier
	v_add_f32_e32 v90, v92, v90
	ds_bpermute_b32 v91, v91, v90
	s_and_saveexec_b64 s[4:5], vcc
	s_cbranch_execz .LBB766_15
; %bb.14:
	s_waitcnt lgkmcnt(0)
	v_add_f32_e32 v87, v90, v91
	v_lshlrev_b32_e32 v88, 2, v88
	ds_write2st64_b32 v88, v89, v87 offset1:1
.LBB766_15:
	s_or_b64 exec, exec, s[4:5]
	v_lshlrev_b32_e32 v94, 2, v76
	s_load_dword s6, s[0:1], 0x94
	s_waitcnt lgkmcnt(0)
	s_barrier
	ds_read2_b32 v[88:89], v94 offset1:16
	ds_read2_b32 v[90:91], v94 offset0:32 offset1:48
	ds_read2_b32 v[92:93], v94 offset0:64 offset1:80
	;; [unrolled: 1-line block ×3, first 2 shown]
	s_movk_i32 s8, 0x7fff
	s_waitcnt lgkmcnt(3)
	v_max3_f32 v87, v88, s41, v89
	s_waitcnt lgkmcnt(2)
	v_max3_f32 v87, v87, v90, v91
	v_sub_f32_e32 v88, v88, v87
	v_mul_f32_e32 v88, 0x3fb8aa3b, v88
	v_exp_f32_e32 v86, v88
	v_sub_f32_e32 v88, v89, v87
	v_mul_f32_e32 v88, 0x3fb8aa3b, v88
	v_exp_f32_e32 v89, v88
	;; [unrolled: 3-line block ×4, first 2 shown]
	s_waitcnt lgkmcnt(1)
	v_fma_f32 v88, v86, v92, 0
	v_fmac_f32_e32 v88, v89, v93
	s_waitcnt lgkmcnt(0)
	v_fmac_f32_e32 v88, v90, v94
	v_fmac_f32_e32 v88, v91, v95
	v_add_f32_e32 v92, 0x358637bd, v88
	v_div_scale_f32 v93, s[4:5], v92, v92, 1.0
	v_rcp_f32_e32 v94, v93
	s_mov_b32 s9, 0x7060302
	s_barrier
	v_fma_f32 v95, -v93, v94, 1.0
	v_fmac_f32_e32 v94, v95, v94
	v_div_scale_f32 v95, vcc, 1.0, v92, 1.0
	v_mul_f32_e32 v1, v95, v94
	v_fma_f32 v77, -v93, v1, v95
	v_fmac_f32_e32 v1, v77, v94
	v_fma_f32 v77, -v93, v1, v95
	v_div_fmas_f32 v1, v77, v94, v1
	v_lshrrev_b32_e32 v94, 6, v0
	v_cmp_eq_u32_e32 vcc, 1, v94
	v_div_fixup_f32 v1, v1, v92, 1.0
	s_nop 0
	v_cndmask_b32_e32 v77, v86, v89, vcc
	v_cmp_eq_u32_e32 vcc, 2, v94
	s_mul_i32 s7, s27, 3
	s_nop 0
	v_cndmask_b32_e32 v77, v77, v90, vcc
	v_cmp_eq_u32_e32 vcc, 3, v94
	s_nop 1
	v_cndmask_b32_e32 v77, v77, v91, vcc
	v_mul_f32_e32 v90, v77, v1
	v_pk_mul_f32 v[68:69], v[90:91], v[68:69] op_sel_hi:[0,1]
	v_bfe_u32 v1, v69, 16, 1
	v_bfe_u32 v77, v68, 16, 1
	v_pk_mul_f32 v[82:83], v[90:91], v[82:83] op_sel_hi:[0,1]
	v_add3_u32 v68, v68, v77, s8
	v_add3_u32 v1, v69, v1, s8
	v_perm_b32 v92, v1, v68, s9
	v_bfe_u32 v1, v83, 16, 1
	v_bfe_u32 v68, v82, 16, 1
	v_add3_u32 v68, v82, v68, s8
	v_add3_u32 v1, v83, v1, s8
	v_bfe_u32 v83, v0, 4, 2
	v_perm_b32 v93, v1, v68, s9
	v_lshlrev_b32_e32 v1, 3, v83
	v_lshlrev_b32_e32 v68, 5, v76
	;; [unrolled: 1-line block ×3, first 2 shown]
	v_pk_mul_f32 v[70:71], v[90:91], v[70:71] op_sel_hi:[0,1]
	v_or3_b32 v82, v69, v68, v1
	v_bfe_u32 v1, v71, 16, 1
	v_bfe_u32 v69, v70, 16, 1
	v_pk_mul_f32 v[84:85], v[90:91], v[84:85] op_sel_hi:[0,1]
	v_add3_u32 v69, v70, v69, s8
	v_add3_u32 v1, v71, v1, s8
	v_perm_b32 v70, v1, v69, s9
	v_bfe_u32 v1, v85, 16, 1
	v_bfe_u32 v69, v84, 16, 1
	v_add3_u32 v69, v84, v69, s8
	v_add3_u32 v1, v85, v1, s8
	v_pk_mul_f32 v[78:79], v[90:91], v[78:79] op_sel_hi:[0,1]
	v_perm_b32 v71, v1, v69, s9
	v_bfe_u32 v1, v79, 16, 1
	v_bfe_u32 v69, v78, 16, 1
	ds_write2st64_b64 v82, v[92:93], v[70:71] offset1:1
	v_pk_mul_f32 v[70:71], v[90:91], v[80:81] op_sel_hi:[0,1]
	v_add3_u32 v69, v78, v69, s8
	v_add3_u32 v1, v79, v1, s8
	v_perm_b32 v78, v1, v69, s9
	v_bfe_u32 v1, v71, 16, 1
	v_bfe_u32 v69, v70, 16, 1
	v_add3_u32 v69, v70, v69, s8
	v_add3_u32 v1, v71, v1, s8
	v_pk_mul_f32 v[70:71], v[90:91], v[72:73] op_sel_hi:[0,1]
	v_perm_b32 v79, v1, v69, s9
	v_bfe_u32 v1, v71, 16, 1
	v_bfe_u32 v69, v70, 16, 1
	v_pk_mul_f32 v[66:67], v[90:91], v[66:67] op_sel_hi:[0,1]
	v_add3_u32 v69, v70, v69, s8
	v_add3_u32 v1, v71, v1, s8
	v_perm_b32 v70, v1, v69, s9
	v_bfe_u32 v1, v67, 16, 1
	v_bfe_u32 v69, v66, 16, 1
	v_add3_u32 v66, v66, v69, s8
	v_add3_u32 v1, v67, v1, s8
	v_perm_b32 v71, v1, v66, s9
	v_cmp_gt_u32_e32 vcc, 3, v0
	ds_write2st64_b64 v82, v[78:79], v[70:71] offset0:2 offset1:3
	s_and_saveexec_b64 s[4:5], vcc
	s_cbranch_execz .LBB766_17
; %bb.16:
	s_mov_b32 s41, 0
	v_mov_b32_e32 v77, 0
	v_lshl_add_u64 v[66:67], s[40:41], 0, v[76:77]
	v_mov_b32_e32 v1, s7
	v_mad_u64_u32 v[66:67], s[10:11], s2, v1, v[66:67]
	s_mul_i32 s3, s3, s7
	v_mov_b32_e32 v70, s26
	v_mov_b32_e32 v71, v77
	s_load_dwordx4 s[12:15], s[0:1], 0x58
	v_add_u32_e32 v1, s3, v67
	v_mad_u64_u32 v[66:67], s[10:11], v66, s6, v[70:71]
	v_mov_b32_e32 v70, v67
	v_mad_u64_u32 v[70:71], s[10:11], v1, s6, v[70:71]
	v_mov_b32_e32 v67, v70
	v_lshlrev_b64 v[66:67], 2, v[66:67]
	s_waitcnt lgkmcnt(0)
	v_lshl_add_u64 v[70:71], s[14:15], 0, v[66:67]
	v_lshl_add_u64 v[66:67], s[12:13], 0, v[66:67]
	global_store_dword v[70:71], v87, off
	global_store_dword v[66:67], v88, off
.LBB766_17:
	s_or_b64 exec, exec, s[4:5]
	v_lshl_or_b32 v1, v83, 9, v68
	s_waitcnt lgkmcnt(0)
	s_barrier
	ds_read_b128 v[70:73], v1
	ds_read_b128 v[66:69], v1 offset:16
	s_waitcnt vmcnt(15) lgkmcnt(1)
	v_mfma_f32_16x16x16_bf16 v[78:81], v[30:31], v[70:71], 0
	v_cmp_gt_u32_e32 vcc, 64, v0
	v_cmp_ne_u32_e64 s[4:5], 3, v83
	s_mov_b32 s3, 0
	v_mfma_f32_16x16x16_bf16 v[30:33], v[32:33], v[72:73], v[78:81]
	s_and_b64 s[4:5], vcc, s[4:5]
	s_waitcnt vmcnt(14) lgkmcnt(0)
	v_mfma_f32_16x16x16_bf16 v[30:33], v[26:27], v[66:67], v[30:33]
	v_mfma_f32_16x16x16_bf16 v[26:29], v[28:29], v[68:69], v[30:33]
	s_nop 5
	ds_read_b128 v[30:33], v1 offset:2048
	ds_read_b128 v[78:81], v1 offset:2064
	s_waitcnt vmcnt(13) lgkmcnt(1)
	v_mfma_f32_16x16x16_bf16 v[26:29], v[22:23], v[30:31], v[26:29]
	v_mfma_f32_16x16x16_bf16 v[22:25], v[24:25], v[32:33], v[26:29]
	s_waitcnt vmcnt(12) lgkmcnt(0)
	v_mfma_f32_16x16x16_bf16 v[22:25], v[18:19], v[78:79], v[22:25]
	v_mfma_f32_16x16x16_bf16 v[18:21], v[20:21], v[80:81], v[22:25]
	s_nop 5
	ds_read_b128 v[22:25], v1 offset:4096
	ds_read_b128 v[26:29], v1 offset:4112
	s_waitcnt vmcnt(11) lgkmcnt(1)
	v_mfma_f32_16x16x16_bf16 v[18:21], v[14:15], v[22:23], v[18:21]
	v_mfma_f32_16x16x16_bf16 v[14:17], v[16:17], v[24:25], v[18:21]
	s_waitcnt vmcnt(10) lgkmcnt(0)
	v_mfma_f32_16x16x16_bf16 v[14:17], v[10:11], v[26:27], v[14:17]
	v_mfma_f32_16x16x16_bf16 v[10:13], v[12:13], v[28:29], v[14:17]
	s_nop 5
	ds_read_b128 v[14:17], v1 offset:6144
	ds_read_b128 v[18:21], v1 offset:6160
	s_waitcnt lgkmcnt(0)
	s_barrier
	s_waitcnt vmcnt(9)
	v_mfma_f32_16x16x16_bf16 v[10:13], v[6:7], v[14:15], v[10:13]
	v_mfma_f32_16x16x16_bf16 v[6:9], v[8:9], v[16:17], v[10:13]
	s_waitcnt vmcnt(8)
	v_mfma_f32_16x16x16_bf16 v[6:9], v[2:3], v[18:19], v[6:9]
	v_mfma_f32_16x16x16_bf16 v[2:5], v[4:5], v[20:21], v[6:9]
	;; [unrolled: 3-line block ×3, first 2 shown]
	s_nop 3
	v_bfe_u32 v1, v3, 16, 1
	v_bfe_u32 v10, v2, 16, 1
	v_add3_u32 v2, v2, v10, s8
	s_waitcnt vmcnt(6)
	v_mfma_f32_16x16x16_bf16 v[6:9], v[38:39], v[66:67], v[6:9]
	v_add3_u32 v1, v3, v1, s8
	v_perm_b32 v10, v1, v2, s9
	v_bfe_u32 v1, v5, 16, 1
	v_mfma_f32_16x16x16_bf16 v[6:9], v[40:41], v[68:69], v[6:9]
	v_bfe_u32 v2, v4, 16, 1
	v_add3_u32 v2, v4, v2, s8
	v_add3_u32 v1, v5, v1, s8
	s_waitcnt vmcnt(5)
	v_mfma_f32_16x16x16_bf16 v[6:9], v[42:43], v[30:31], v[6:9]
	v_perm_b32 v11, v1, v2, s9
	v_mfma_f32_16x16x16_bf16 v[6:9], v[44:45], v[32:33], v[6:9]
	s_waitcnt vmcnt(4)
	v_mfma_f32_16x16x16_bf16 v[6:9], v[34:35], v[78:79], v[6:9]
	v_mfma_f32_16x16x16_bf16 v[6:9], v[36:37], v[80:81], v[6:9]
	s_waitcnt vmcnt(3)
	v_mfma_f32_16x16x16_bf16 v[6:9], v[58:59], v[22:23], v[6:9]
	;; [unrolled: 3-line block ×5, first 2 shown]
	v_mfma_f32_16x16x16_bf16 v[2:5], v[52:53], v[20:21], v[6:9]
	s_nop 6
	v_bfe_u32 v1, v3, 16, 1
	v_bfe_u32 v6, v2, 16, 1
	v_add3_u32 v2, v2, v6, s8
	v_add3_u32 v1, v3, v1, s8
	v_perm_b32 v2, v1, v2, s9
	v_bfe_u32 v1, v5, 16, 1
	v_bfe_u32 v3, v4, 16, 1
	v_add3_u32 v3, v4, v3, s8
	v_add3_u32 v1, v5, v1, s8
	v_perm_b32 v3, v1, v3, s9
	ds_write2st64_b64 v82, v[10:11], v[2:3] offset1:1
	s_waitcnt lgkmcnt(0)
	s_barrier
	s_and_saveexec_b64 s[8:9], s[4:5]
	s_cbranch_execz .LBB766_19
; %bb.18:
	scratch_load_dword v4, off, off         ; 4-byte Folded Reload
	s_load_dwordx2 s[0:1], s[0:1], 0x68
	s_mul_i32 s2, s7, s2
	s_lshl_b32 s6, s6, 7
	v_lshlrev_b32_e32 v3, 6, v76
	s_mul_hi_u32 s5, s2, s6
	s_mul_i32 s4, s2, s6
	v_lshlrev_b32_e32 v2, 4, v0
	v_lshl_or_b32 v0, v0, 10, v3
	s_lshl_b64 s[4:5], s[4:5], 1
	v_lshlrev_b32_e32 v1, 5, v83
	v_and_b32_e32 v2, 16, v2
	v_and_b32_e32 v0, 0x1a00, v0
	s_waitcnt lgkmcnt(0)
	s_add_u32 s4, s0, s4
	v_or3_b32 v0, v0, v1, v2
	s_addc_u32 s5, s1, s5
	s_lshl_b32 s2, s26, 7
	ds_read_b128 v[0:3], v0
	s_lshl_b64 s[0:1], s[2:3], 1
	s_add_u32 s0, s4, s0
	s_addc_u32 s1, s5, s1
	s_waitcnt vmcnt(0)
	v_mad_u64_u32 v[4:5], s[2:3], s6, v4, 0
	v_lshl_add_u64 v[4:5], v[4:5], 1, s[0:1]
	v_lshl_add_u64 v[4:5], v[74:75], 1, v[4:5]
	s_waitcnt lgkmcnt(0)
	global_store_dwordx4 v[4:5], v[0:3], off
.LBB766_19:
	s_endpgm
	.section	.rodata,"a",@progbits
	.p2align	6, 0x0
	.amdhsa_kernel _Z39paged_attention_ll4mi_QKV_mfma16_kernelI14__hip_bfloat16S0_LN4vllm18Fp8KVCacheDataTypeE0ES0_Li32ELi128ELi256ELb0ELi3EEvPKT_PKT0_S8_ifPKiSA_SA_iPKfiiiPfSD_PS3_PT2_iSC_SC_
		.amdhsa_group_segment_fixed_size 8192
		.amdhsa_private_segment_fixed_size 8
		.amdhsa_kernarg_size 400
		.amdhsa_user_sgpr_count 2
		.amdhsa_user_sgpr_dispatch_ptr 0
		.amdhsa_user_sgpr_queue_ptr 0
		.amdhsa_user_sgpr_kernarg_segment_ptr 1
		.amdhsa_user_sgpr_dispatch_id 0
		.amdhsa_user_sgpr_kernarg_preload_length 0
		.amdhsa_user_sgpr_kernarg_preload_offset 0
		.amdhsa_user_sgpr_private_segment_size 0
		.amdhsa_uses_dynamic_stack 0
		.amdhsa_enable_private_segment 1
		.amdhsa_system_sgpr_workgroup_id_x 1
		.amdhsa_system_sgpr_workgroup_id_y 1
		.amdhsa_system_sgpr_workgroup_id_z 1
		.amdhsa_system_sgpr_workgroup_info 0
		.amdhsa_system_vgpr_workitem_id 0
		.amdhsa_next_free_vgpr 96
		.amdhsa_next_free_sgpr 42
		.amdhsa_accum_offset 96
		.amdhsa_reserve_vcc 1
		.amdhsa_float_round_mode_32 0
		.amdhsa_float_round_mode_16_64 0
		.amdhsa_float_denorm_mode_32 3
		.amdhsa_float_denorm_mode_16_64 3
		.amdhsa_dx10_clamp 1
		.amdhsa_ieee_mode 1
		.amdhsa_fp16_overflow 0
		.amdhsa_tg_split 0
		.amdhsa_exception_fp_ieee_invalid_op 0
		.amdhsa_exception_fp_denorm_src 0
		.amdhsa_exception_fp_ieee_div_zero 0
		.amdhsa_exception_fp_ieee_overflow 0
		.amdhsa_exception_fp_ieee_underflow 0
		.amdhsa_exception_fp_ieee_inexact 0
		.amdhsa_exception_int_div_zero 0
	.end_amdhsa_kernel
	.section	.text._Z39paged_attention_ll4mi_QKV_mfma16_kernelI14__hip_bfloat16S0_LN4vllm18Fp8KVCacheDataTypeE0ES0_Li32ELi128ELi256ELb0ELi3EEvPKT_PKT0_S8_ifPKiSA_SA_iPKfiiiPfSD_PS3_PT2_iSC_SC_,"axG",@progbits,_Z39paged_attention_ll4mi_QKV_mfma16_kernelI14__hip_bfloat16S0_LN4vllm18Fp8KVCacheDataTypeE0ES0_Li32ELi128ELi256ELb0ELi3EEvPKT_PKT0_S8_ifPKiSA_SA_iPKfiiiPfSD_PS3_PT2_iSC_SC_,comdat
.Lfunc_end766:
	.size	_Z39paged_attention_ll4mi_QKV_mfma16_kernelI14__hip_bfloat16S0_LN4vllm18Fp8KVCacheDataTypeE0ES0_Li32ELi128ELi256ELb0ELi3EEvPKT_PKT0_S8_ifPKiSA_SA_iPKfiiiPfSD_PS3_PT2_iSC_SC_, .Lfunc_end766-_Z39paged_attention_ll4mi_QKV_mfma16_kernelI14__hip_bfloat16S0_LN4vllm18Fp8KVCacheDataTypeE0ES0_Li32ELi128ELi256ELb0ELi3EEvPKT_PKT0_S8_ifPKiSA_SA_iPKfiiiPfSD_PS3_PT2_iSC_SC_
                                        ; -- End function
	.section	.AMDGPU.csdata,"",@progbits
; Kernel info:
; codeLenInByte = 4840
; NumSgprs: 48
; NumVgprs: 96
; NumAgprs: 0
; TotalNumVgprs: 96
; ScratchSize: 8
; MemoryBound: 0
; FloatMode: 240
; IeeeMode: 1
; LDSByteSize: 8192 bytes/workgroup (compile time only)
; SGPRBlocks: 5
; VGPRBlocks: 11
; NumSGPRsForWavesPerEU: 48
; NumVGPRsForWavesPerEU: 96
; AccumOffset: 96
; Occupancy: 5
; WaveLimiterHint : 1
; COMPUTE_PGM_RSRC2:SCRATCH_EN: 1
; COMPUTE_PGM_RSRC2:USER_SGPR: 2
; COMPUTE_PGM_RSRC2:TRAP_HANDLER: 0
; COMPUTE_PGM_RSRC2:TGID_X_EN: 1
; COMPUTE_PGM_RSRC2:TGID_Y_EN: 1
; COMPUTE_PGM_RSRC2:TGID_Z_EN: 1
; COMPUTE_PGM_RSRC2:TIDIG_COMP_CNT: 0
; COMPUTE_PGM_RSRC3_GFX90A:ACCUM_OFFSET: 23
; COMPUTE_PGM_RSRC3_GFX90A:TG_SPLIT: 0
	.section	.text._Z39paged_attention_ll4mi_QKV_mfma16_kernelI14__hip_bfloat16S0_LN4vllm18Fp8KVCacheDataTypeE0ES0_Li32ELi128ELi256ELb0ELi4EEvPKT_PKT0_S8_ifPKiSA_SA_iPKfiiiPfSD_PS3_PT2_iSC_SC_,"axG",@progbits,_Z39paged_attention_ll4mi_QKV_mfma16_kernelI14__hip_bfloat16S0_LN4vllm18Fp8KVCacheDataTypeE0ES0_Li32ELi128ELi256ELb0ELi4EEvPKT_PKT0_S8_ifPKiSA_SA_iPKfiiiPfSD_PS3_PT2_iSC_SC_,comdat
	.protected	_Z39paged_attention_ll4mi_QKV_mfma16_kernelI14__hip_bfloat16S0_LN4vllm18Fp8KVCacheDataTypeE0ES0_Li32ELi128ELi256ELb0ELi4EEvPKT_PKT0_S8_ifPKiSA_SA_iPKfiiiPfSD_PS3_PT2_iSC_SC_ ; -- Begin function _Z39paged_attention_ll4mi_QKV_mfma16_kernelI14__hip_bfloat16S0_LN4vllm18Fp8KVCacheDataTypeE0ES0_Li32ELi128ELi256ELb0ELi4EEvPKT_PKT0_S8_ifPKiSA_SA_iPKfiiiPfSD_PS3_PT2_iSC_SC_
	.globl	_Z39paged_attention_ll4mi_QKV_mfma16_kernelI14__hip_bfloat16S0_LN4vllm18Fp8KVCacheDataTypeE0ES0_Li32ELi128ELi256ELb0ELi4EEvPKT_PKT0_S8_ifPKiSA_SA_iPKfiiiPfSD_PS3_PT2_iSC_SC_
	.p2align	8
	.type	_Z39paged_attention_ll4mi_QKV_mfma16_kernelI14__hip_bfloat16S0_LN4vllm18Fp8KVCacheDataTypeE0ES0_Li32ELi128ELi256ELb0ELi4EEvPKT_PKT0_S8_ifPKiSA_SA_iPKfiiiPfSD_PS3_PT2_iSC_SC_,@function
_Z39paged_attention_ll4mi_QKV_mfma16_kernelI14__hip_bfloat16S0_LN4vllm18Fp8KVCacheDataTypeE0ES0_Li32ELi128ELi256ELb0ELi4EEvPKT_PKT0_S8_ifPKiSA_SA_iPKfiiiPfSD_PS3_PT2_iSC_SC_: ; @_Z39paged_attention_ll4mi_QKV_mfma16_kernelI14__hip_bfloat16S0_LN4vllm18Fp8KVCacheDataTypeE0ES0_Li32ELi128ELi256ELb0ELi4EEvPKT_PKT0_S8_ifPKiSA_SA_iPKfiiiPfSD_PS3_PT2_iSC_SC_
; %bb.0:
	s_load_dwordx2 s[8:9], s[0:1], 0x30
	s_mov_b32 s28, s3
	s_mov_b64 s[6:7], 0
	s_waitcnt lgkmcnt(0)
	s_cmp_lg_u64 s[8:9], 0
	s_cselect_b64 s[10:11], -1, 0
	s_and_b64 vcc, exec, s[10:11]
	s_cbranch_vccz .LBB767_7
; %bb.1:
	s_add_i32 s12, s2, 1
	s_mov_b32 s13, 0
	s_lshl_b64 s[14:15], s[12:13], 2
	s_add_u32 s14, s8, s14
	s_mov_b32 s3, s13
	s_addc_u32 s15, s9, s15
	s_lshl_b64 s[12:13], s[2:3], 2
	s_add_u32 s12, s8, s12
	s_addc_u32 s13, s9, s13
	s_load_dword s5, s[14:15], 0x0
	s_load_dword s16, s[12:13], 0x0
	s_waitcnt lgkmcnt(0)
	s_sub_i32 s5, s5, s16
	s_cmp_eq_u32 s5, 1
	s_cselect_b64 s[12:13], -1, 0
	s_andn2_b64 vcc, exec, s[6:7]
	s_cbranch_vccnz .LBB767_3
.LBB767_2:
	s_mov_b32 s3, 0
	s_mov_b64 s[12:13], -1
.LBB767_3:
	s_andn2_b64 vcc, exec, s[12:13]
	s_cbranch_vccnz .LBB767_19
; %bb.4:
	s_load_dwordx2 s[6:7], s[0:1], 0x28
	s_lshl_b64 s[12:13], s[2:3], 2
	s_waitcnt lgkmcnt(0)
	s_add_u32 s6, s6, s12
	s_addc_u32 s7, s7, s13
	s_load_dword s40, s[6:7], 0x0
	s_lshl_b32 s18, s28, 8
	s_waitcnt lgkmcnt(0)
	s_cmp_ge_i32 s18, s40
	s_cbranch_scc1 .LBB767_19
; %bb.5:
	s_load_dwordx2 s[6:7], s[0:1], 0x20
	s_load_dword s5, s[0:1], 0x38
	s_add_i32 s14, s40, 31
	s_ashr_i32 s15, s14, 31
	v_and_b32_e32 v1, 0xcf, v0
	s_lshr_b32 s15, s15, 27
	v_add_u32_e32 v1, s18, v1
	s_add_i32 s14, s14, s15
	v_ashrrev_i32_e32 v2, 31, v1
	s_ashr_i32 s19, s14, 5
	v_lshrrev_b32_e32 v6, 27, v2
	s_add_i32 s19, s19, -1
	s_waitcnt lgkmcnt(0)
	s_mul_i32 s14, s2, s5
	s_mov_b32 s15, 0
	v_add_u32_e32 v2, v1, v6
	s_lshl_b64 s[14:15], s[14:15], 2
	v_ashrrev_i32_e32 v2, 5, v2
	v_mov_b32_e32 v7, s19
	v_cmp_gt_i32_e32 vcc, s40, v1
	s_add_u32 s6, s6, s14
	s_addc_u32 s7, s7, s15
	v_cndmask_b32_e32 v2, v7, v2, vcc
	v_ashrrev_i32_e32 v3, 31, v2
	v_lshl_add_u64 v[4:5], v[2:3], 2, s[6:7]
	v_or_b32_e32 v2, 16, v1
	v_add_u32_e32 v3, v2, v6
	v_ashrrev_i32_e32 v3, 5, v3
	v_cmp_gt_i32_e32 vcc, s40, v2
	s_nop 1
	v_cndmask_b32_e32 v2, v7, v3, vcc
	v_ashrrev_i32_e32 v3, 31, v2
	v_lshl_add_u64 v[8:9], v[2:3], 2, s[6:7]
	v_or_b32_e32 v2, 32, v1
	v_add_u32_e32 v3, v2, v6
	v_ashrrev_i32_e32 v3, 5, v3
	v_cmp_gt_i32_e32 vcc, s40, v2
	v_or_b32_e32 v1, 48, v1
	s_nop 0
	v_cndmask_b32_e32 v2, v7, v3, vcc
	v_ashrrev_i32_e32 v3, 31, v2
	v_lshl_add_u64 v[10:11], v[2:3], 2, s[6:7]
	v_add_u32_e32 v2, v1, v6
	v_ashrrev_i32_e32 v2, 5, v2
	v_cmp_gt_i32_e32 vcc, s40, v1
	s_nop 1
	v_cndmask_b32_e32 v2, v7, v2, vcc
	v_ashrrev_i32_e32 v3, 31, v2
	v_lshl_add_u64 v[12:13], v[2:3], 2, s[6:7]
	global_load_dword v2, v[4:5], off
	global_load_dword v7, v[8:9], off
	;; [unrolled: 1-line block ×4, first 2 shown]
	s_andn2_b64 vcc, exec, s[10:11]
	s_cbranch_vccnz .LBB767_8
; %bb.6:
	s_add_u32 s8, s8, s12
	s_addc_u32 s9, s9, s13
	s_load_dword s5, s[8:9], 0x0
	s_branch .LBB767_9
.LBB767_7:
	s_mov_b64 s[12:13], 0
	s_branch .LBB767_2
.LBB767_8:
	s_mov_b32 s5, s2
.LBB767_9:
	s_load_dwordx4 s[12:15], s[0:1], 0x8
	s_load_dwordx4 s[8:11], s[0:1], 0x48
	v_and_b32_e32 v3, 15, v0
	v_bfe_u32 v49, v0, 4, 2
	s_lshl_b32 s29, s4, 2
	v_lshlrev_b32_e32 v94, 3, v3
	v_cmp_gt_u32_e64 s[30:31], 64, v0
	v_cmp_lt_u32_e32 vcc, 63, v0
	s_and_saveexec_b64 s[16:17], vcc
	s_xor_b64 s[16:17], exec, s[16:17]
; %bb.10:
	v_mov_b32_e32 v95, 0
; %bb.11:
	s_or_saveexec_b64 s[16:17], s[16:17]
	v_or_b32_e32 v1, s29, v49
	v_lshrrev_b32_e32 v12, 6, v0
	scratch_store_dword off, v1, off        ; 4-byte Folded Spill
	v_and_b32_e32 v35, 3, v0
	v_lshlrev_b32_e32 v1, 5, v49
	scratch_store_dword off, v1, off offset:4 ; 4-byte Folded Spill
	s_xor_b64 exec, exec, s[16:17]
	s_cbranch_execz .LBB767_13
; %bb.12:
	scratch_load_dword v1, off, off         ; 4-byte Folded Reload
	s_load_dwordx2 s[20:21], s[0:1], 0x0
	s_waitcnt lgkmcnt(0)
	s_ashr_i32 s11, s8, 31
	s_mul_hi_u32 s22, s5, s8
	s_mul_i32 s11, s5, s11
	s_add_i32 s23, s22, s11
	s_mul_i32 s22, s5, s8
	s_lshl_b64 s[22:23], s[22:23], 1
	s_add_u32 s20, s20, s22
	s_addc_u32 s21, s21, s23
	v_mov_b32_e32 v95, 0
	v_lshlrev_b32_e32 v8, 1, v94
	v_mov_b32_e32 v9, v95
	s_waitcnt vmcnt(0)
	v_lshlrev_b32_e32 v4, 7, v1
	v_ashrrev_i32_e32 v5, 31, v4
	v_lshl_add_u64 v[4:5], v[4:5], 1, s[20:21]
	v_lshl_add_u64 v[4:5], v[4:5], 0, v[8:9]
	global_load_dwordx4 v[8:11], v[4:5], off
	v_and_b32_e32 v5, 15, v0
	v_lshlrev_b32_e32 v1, 5, v49
	v_lshlrev_b32_e32 v5, 9, v5
	v_lshl_or_b32 v3, v12, 7, v1
	v_lshlrev_b32_e32 v4, 9, v35
	v_and_b32_e32 v5, 0x1800, v5
	v_or3_b32 v3, v5, v4, v3
	s_waitcnt vmcnt(0)
	ds_write_b128 v3, v[8:11]
.LBB767_13:
	s_or_b64 exec, exec, s[16:17]
	s_waitcnt lgkmcnt(0)
	s_mul_i32 s4, s4, s10
	s_mov_b32 s5, 0
	s_lshl_b64 s[4:5], s[4:5], 1
	s_add_u32 s10, s12, s4
	s_addc_u32 s11, s13, s5
	s_waitcnt vmcnt(5)
	v_mad_i64_i32 v[2:3], s[12:13], v2, s9, 0
	v_mov_b32_e32 v55, 0
	s_waitcnt vmcnt(4)
	v_mad_i64_i32 v[8:9], s[12:13], v7, s9, 0
	v_mov_b32_e32 v7, 0x100
	v_and_b32_e32 v89, 15, v0
	v_lshl_add_u64 v[2:3], v[2:3], 1, s[10:11]
	v_lshlrev_b64 v[4:5], 1, v[94:95]
	v_lshl_add_u64 v[8:9], v[8:9], 1, s[10:11]
	v_lshl_or_b32 v56, v89, 4, v7
	v_mov_b32_e32 v57, v55
	v_lshlrev_b32_e32 v54, 9, v49
	v_lshl_add_u64 v[2:3], v[2:3], 0, v[4:5]
	v_lshl_add_u64 v[20:21], v[8:9], 0, v[56:57]
	;; [unrolled: 1-line block ×4, first 2 shown]
	s_load_dword s33, s[0:1], 0x98
	s_load_dword s8, s[0:1], 0x1c
	s_waitcnt lgkmcnt(0)
	s_barrier
	global_load_dwordx4 v[14:17], v[18:19], off
	v_mov_b32_e32 v89, v12
	global_load_dwordx4 v[10:13], v[22:23], off
	s_waitcnt vmcnt(5)
	v_mad_i64_i32 v[6:7], s[12:13], v6, s9, 0
	v_lshl_add_u64 v[6:7], v[6:7], 1, s[10:11]
	v_lshl_add_u64 v[60:61], v[6:7], 0, v[4:5]
	;; [unrolled: 1-line block ×3, first 2 shown]
	global_load_dwordx4 v[6:9], v[46:47], off
	global_load_dwordx4 v[42:45], v[18:19], off offset:2048
	global_load_dwordx4 v[38:41], v[22:23], off offset:2048
	v_or_b32_e32 v62, 0x1000, v54
	v_mov_b32_e32 v63, v55
	v_lshl_add_u64 v[4:5], v[2:3], 0, v[62:63]
	global_load_dwordx4 v[30:33], v[4:5], off
	v_or_b32_e32 v58, 0x1800, v54
	v_mov_b32_e32 v59, v55
	v_lshl_add_u64 v[2:3], v[2:3], 0, v[58:59]
	global_load_dwordx4 v[22:25], v[2:3], off
	v_lshl_add_u64 v[4:5], v[20:21], 0, v[62:63]
	global_load_dwordx4 v[26:29], v[4:5], off
	;; [unrolled: 2-line block ×3, first 2 shown]
	v_lshl_or_b32 v48, v35, 5, v54
	ds_read_b128 v[2:5], v48
	s_waitcnt vmcnt(11)
	v_mad_i64_i32 v[64:65], s[12:13], v34, s9, 0
	ds_read_b128 v[34:37], v48 offset:2048
	global_load_dwordx4 v[76:79], v[46:47], off offset:2048
	v_mov_b32_e32 v1, v49
	ds_read_b128 v[50:53], v48 offset:4096
	ds_read_b128 v[46:49], v48 offset:6144
	s_ashr_i32 s12, s18, 31
	v_and_or_b32 v74, v0, 48, s18
	v_mov_b32_e32 v75, s19
	v_cmp_gt_i32_e32 vcc, s40, v74
	v_or_b32_e32 v84, 64, v74
	v_or_b32_e32 v85, 0x80, v74
	;; [unrolled: 1-line block ×3, first 2 shown]
	s_mov_b32 s42, 0xff7fffff
	s_waitcnt vmcnt(7) lgkmcnt(3)
	v_mfma_f32_16x16x16_bf16 v[80:83], v[6:7], v[2:3], 0
	v_lshl_add_u64 v[6:7], v[64:65], 1, s[10:11]
	s_lshr_b32 s10, s12, 27
	v_lshl_add_u64 v[6:7], v[6:7], 0, v[56:57]
	v_mfma_f32_16x16x16_bf16 v[70:73], v[10:11], v[2:3], 0
	v_lshl_add_u64 v[64:65], v[6:7], 0, v[54:55]
	v_lshl_add_u64 v[56:57], v[60:61], 0, v[58:59]
	s_add_u32 s4, s14, s4
	v_mfma_f32_16x16x16_bf16 v[66:69], v[14:15], v[2:3], 0
	s_addc_u32 s5, s15, s5
	v_mfma_f32_16x16x16_bf16 v[10:13], v[12:13], v[4:5], v[70:73]
	v_mfma_f32_16x16x16_bf16 v[14:17], v[16:17], v[4:5], v[66:69]
	s_nop 1
	v_lshl_add_u64 v[72:73], v[6:7], 0, v[62:63]
	s_waitcnt vmcnt(5) lgkmcnt(2)
	v_mfma_f32_16x16x16_bf16 v[10:13], v[38:39], v[34:35], v[10:13]
	v_add_u32_e32 v66, s10, v74
	v_ashrrev_i32_e32 v54, 5, v66
	v_add_u32_e32 v67, s10, v84
	v_mfma_f32_16x16x16_bf16 v[14:17], v[42:43], v[34:35], v[14:17]
	v_lshl_add_u64 v[42:43], v[60:61], 0, v[62:63]
	v_ashrrev_i32_e32 v60, 5, v67
	v_add_u32_e32 v68, s10, v85
	v_mfma_f32_16x16x16_bf16 v[10:13], v[40:41], v[36:37], v[10:13]
	global_load_dwordx4 v[38:41], v[42:43], off
	v_cndmask_b32_e32 v42, v75, v54, vcc
	v_ashrrev_i32_e32 v43, 31, v42
	v_mfma_f32_16x16x16_bf16 v[14:17], v[44:45], v[36:37], v[14:17]
	v_cmp_gt_i32_e32 vcc, s40, v84
	v_ashrrev_i32_e32 v66, 5, v68
	v_add_u32_e32 v69, s10, v86
	s_waitcnt vmcnt(5) lgkmcnt(1)
	v_mfma_f32_16x16x16_bf16 v[14:17], v[30:31], v[50:51], v[14:17]
	v_lshl_add_u64 v[30:31], v[42:43], 2, s[6:7]
	global_load_dwordx4 v[42:45], v[56:57], off
	v_ashrrev_i32_e32 v68, 5, v69
	global_load_dword v30, v[30:31], off
	s_waitcnt vmcnt(5)
	v_mfma_f32_16x16x16_bf16 v[10:13], v[26:27], v[50:51], v[10:13]
	v_cndmask_b32_e32 v26, v75, v60, vcc
	v_ashrrev_i32_e32 v27, 31, v26
	v_lshl_add_u64 v[26:27], v[26:27], 2, s[6:7]
	global_load_dwordx4 v[60:63], v[64:65], off
	global_load_dword v56, v[26:27], off
	v_mfma_f32_16x16x16_bf16 v[14:17], v[32:33], v[52:53], v[14:17]
	v_cmp_gt_i32_e32 vcc, s40, v85
	s_nop 1
	v_cndmask_b32_e32 v26, v75, v66, vcc
	v_ashrrev_i32_e32 v27, 31, v26
	s_waitcnt lgkmcnt(0)
	v_mfma_f32_16x16x16_bf16 v[14:17], v[22:23], v[46:47], v[14:17]
	v_lshl_add_u64 v[22:23], v[26:27], 2, s[6:7]
	global_load_dword v57, v[22:23], off
	v_cmp_gt_i32_e32 vcc, s40, v86
	global_load_dwordx4 v[64:67], v[64:65], off offset:2048
	v_mfma_f32_16x16x16_bf16 v[10:13], v[28:29], v[52:53], v[10:13]
	global_load_dwordx4 v[84:87], v[72:73], off
	s_waitcnt vmcnt(9)
	v_mfma_f32_16x16x16_bf16 v[10:13], v[18:19], v[46:47], v[10:13]
	v_cndmask_b32_e32 v18, v75, v68, vcc
	v_ashrrev_i32_e32 v19, 31, v18
	v_mfma_f32_16x16x16_bf16 v[90:93], v[20:21], v[48:49], v[10:13]
	s_nop 3
	v_lshl_add_u64 v[10:11], v[6:7], 0, v[58:59]
	global_load_dwordx4 v[72:75], v[10:11], off
	v_mfma_f32_16x16x16_bf16 v[68:71], v[24:25], v[48:49], v[14:17]
	v_and_b32_e32 v10, 16, v0
	v_lshlrev_b32_e32 v54, 1, v10
	v_and_b32_e32 v10, 15, v0
	v_lshl_add_u64 v[14:15], v[18:19], 2, s[6:7]
	global_load_dword v88, v[14:15], off
	v_mfma_f32_16x16x16_bf16 v[6:9], v[8:9], v[4:5], v[80:83]
	v_lshl_or_b32 v89, v89, 4, v10
	v_lshl_add_u64 v[58:59], s[4:5], 0, v[54:55]
	v_lshlrev_b32_e32 v54, 6, v89
	s_waitcnt vmcnt(10)
	v_mfma_f32_16x16x16_bf16 v[6:9], v[76:77], v[34:35], v[6:9]
	v_lshl_add_u64 v[76:77], v[58:59], 0, v[54:55]
	v_pk_mul_f32 v[80:81], s[8:9], v[70:71] op_sel_hi:[0,1]
	v_pk_mul_f32 v[70:71], s[8:9], v[90:91] op_sel_hi:[0,1]
	v_mfma_f32_16x16x16_bf16 v[6:9], v[78:79], v[36:37], v[6:9]
	v_pk_mul_f32 v[82:83], s[8:9], v[92:93] op_sel_hi:[0,1]
	v_or_b32_e32 v54, 0x1000, v54
	s_waitcnt vmcnt(7)
	v_mad_i64_i32 v[10:11], s[4:5], v30, s9, 0
	v_mfma_f32_16x16x16_bf16 v[6:9], v[38:39], v[50:51], v[6:9]
	v_lshlrev_b64 v[78:79], 1, v[10:11]
	v_lshl_add_u64 v[10:11], v[76:77], 0, v[78:79]
	global_load_dwordx4 v[30:33], v[10:11], off
	global_load_dwordx4 v[26:29], v[10:11], off offset:16
	v_mfma_f32_16x16x16_bf16 v[6:9], v[40:41], v[52:53], v[6:9]
	s_waitcnt vmcnt(7)
	v_mad_i64_i32 v[10:11], s[4:5], v56, s9, 0
	v_mfma_f32_16x16x16_bf16 v[6:9], v[42:43], v[46:47], v[6:9]
	v_lshlrev_b64 v[42:43], 1, v[10:11]
	v_mfma_f32_16x16x16_bf16 v[38:41], v[44:45], v[48:49], v[6:9]
	s_nop 4
	v_lshl_add_u64 v[6:7], v[76:77], 0, v[42:43]
	global_load_dwordx4 v[22:25], v[6:7], off
	global_load_dwordx4 v[18:21], v[6:7], off offset:16
	v_mfma_f32_16x16x16_bf16 v[6:9], v[60:61], v[2:3], 0
	s_waitcnt vmcnt(8)
	v_mad_i64_i32 v[2:3], s[4:5], v57, s9, 0
	v_lshlrev_b64 v[56:57], 1, v[2:3]
	v_mfma_f32_16x16x16_bf16 v[2:5], v[62:63], v[4:5], v[6:9]
	s_waitcnt vmcnt(7)
	v_mfma_f32_16x16x16_bf16 v[2:5], v[64:65], v[34:35], v[2:5]
	s_nop 0
	v_lshl_add_u64 v[6:7], v[76:77], 0, v[56:57]
	global_load_dwordx4 v[14:17], v[6:7], off
	global_load_dwordx4 v[10:13], v[6:7], off offset:16
	v_lshl_add_u64 v[64:65], v[58:59], 0, v[54:55]
	v_mfma_f32_16x16x16_bf16 v[34:37], v[66:67], v[36:37], v[2:5]
	v_lshl_add_u64 v[44:45], v[64:65], 0, v[78:79]
	v_pk_mul_f32 v[78:79], s[8:9], v[40:41] op_sel_hi:[0,1]
	s_waitcnt vmcnt(6)
	v_mad_i64_i32 v[6:7], s[4:5], v88, s9, 0
	v_mfma_f32_16x16x16_bf16 v[34:37], v[84:85], v[50:51], v[34:37]
	v_pk_mul_f32 v[50:51], s[8:9], v[68:69] op_sel_hi:[0,1]
	v_lshlrev_b64 v[62:63], 1, v[6:7]
	v_lshl_add_u64 v[2:3], v[76:77], 0, v[62:63]
	v_mfma_f32_16x16x16_bf16 v[34:37], v[86:87], v[52:53], v[34:37]
	v_pk_mul_f32 v[76:77], s[8:9], v[38:39] op_sel_hi:[0,1]
	global_load_dwordx4 v[6:9], v[2:3], off
	s_nop 0
	global_load_dwordx4 v[2:5], v[2:3], off offset:16
	v_mfma_f32_16x16x16_bf16 v[34:37], v[72:73], v[46:47], v[34:37]
	v_mfma_f32_16x16x16_bf16 v[34:37], v[74:75], v[48:49], v[34:37]
	s_nop 6
	v_pk_mul_f32 v[72:73], s[8:9], v[34:35] op_sel_hi:[0,1]
	v_and_b32_e32 v34, 0xc0, v0
	v_add_u32_e32 v34, s18, v34
	v_lshl_or_b32 v34, v1, 2, v34
	v_pk_mul_f32 v[66:67], s[8:9], v[36:37] op_sel_hi:[0,1]
	v_or_b32_e32 v37, 1, v34
	v_mov_b32_e32 v35, 0xff7fffff
	v_cmp_gt_i32_e64 s[4:5], s40, v34
	v_cmp_gt_i32_e64 s[34:35], s40, v37
	v_or_b32_e32 v38, 3, v34
	v_cndmask_b32_e64 v36, v35, v50, s[4:5]
	v_cndmask_b32_e64 v37, v35, v51, s[34:35]
	v_max3_f32 v36, v36, s42, v37
	v_or_b32_e32 v37, 2, v34
	v_cmp_gt_i32_e64 s[36:37], s40, v37
	v_cmp_gt_i32_e64 s[38:39], s40, v38
	v_and_b32_e32 v1, 63, v0
	v_cndmask_b32_e64 v37, v35, v80, s[36:37]
	v_cndmask_b32_e64 v38, v35, v81, s[38:39]
	v_max3_f32 v36, v36, v37, v38
	v_or_b32_e32 v37, 16, v34
	v_or_b32_e32 v38, 17, v34
	v_cmp_gt_i32_e64 s[24:25], s40, v37
	v_cmp_gt_i32_e64 s[26:27], s40, v38
	s_nop 0
	v_cndmask_b32_e64 v37, v35, v70, s[24:25]
	v_cndmask_b32_e64 v38, v35, v71, s[26:27]
	v_max3_f32 v36, v36, v37, v38
	v_or_b32_e32 v37, 18, v34
	v_or_b32_e32 v38, 19, v34
	v_cmp_gt_i32_e64 s[20:21], s40, v37
	v_cmp_gt_i32_e64 s[22:23], s40, v38
	s_nop 0
	;; [unrolled: 8-line block ×5, first 2 shown]
	v_cndmask_b32_e64 v37, v35, v72, s[8:9]
	v_cndmask_b32_e64 v38, v35, v73, s[10:11]
	v_max3_f32 v36, v36, v37, v38
	v_or_b32_e32 v37, 50, v34
	v_or_b32_e32 v34, 51, v34
	v_cmp_gt_i32_e32 vcc, s40, v37
	v_cmp_gt_i32_e64 s[6:7], s40, v34
	global_load_dwordx4 v[46:49], v[44:45], off
	global_load_dwordx4 v[38:41], v[44:45], off offset:16
	v_cndmask_b32_e32 v37, v35, v66, vcc
	v_cndmask_b32_e64 v34, v35, v67, s[6:7]
	v_max3_f32 v52, v36, v37, v34
	v_mbcnt_lo_u32_b32 v34, -1, 0
	v_mbcnt_hi_u32_b32 v53, -1, v34
	v_and_b32_e32 v34, 64, v53
	v_add_u32_e32 v54, 64, v34
	v_xor_b32_e32 v34, 32, v53
	v_cmp_lt_i32_e64 s[40:41], v34, v54
	s_nop 1
	v_cndmask_b32_e64 v34, v53, v34, s[40:41]
	v_lshlrev_b32_e32 v74, 2, v34
	ds_bpermute_b32 v55, v74, v52
	v_lshl_add_u64 v[34:35], v[64:65], 0, v[42:43]
	global_load_dwordx4 v[42:45], v[34:35], off
	s_nop 0
	global_load_dwordx4 v[34:37], v[34:35], off offset:16
	s_waitcnt lgkmcnt(0)
	v_max_f32_e32 v55, v55, v55
	v_max_f32_e32 v68, v52, v55
	v_xor_b32_e32 v52, 16, v53
	v_cmp_lt_i32_e64 s[40:41], v52, v54
	s_nop 1
	v_cndmask_b32_e64 v52, v53, v52, s[40:41]
	v_lshlrev_b32_e32 v75, 2, v52
	ds_bpermute_b32 v69, v75, v68
	v_lshl_add_u64 v[52:53], v[64:65], 0, v[56:57]
	global_load_dwordx4 v[58:61], v[52:53], off
	global_load_dwordx4 v[54:57], v[52:53], off offset:16
	v_lshl_add_u64 v[52:53], v[64:65], 0, v[62:63]
	s_waitcnt lgkmcnt(0)
	v_max_f32_e32 v62, v69, v69
	v_max_f32_e32 v90, v68, v62
	v_sub_f32_e32 v50, v50, v90
	v_mul_f32_e32 v50, 0x3fb8aa3b, v50
	v_exp_f32_e32 v68, v50
	v_sub_f32_e32 v50, v51, v90
	v_mul_f32_e32 v50, 0x3fb8aa3b, v50
	v_exp_f32_e32 v69, v50
	global_load_dwordx4 v[62:65], v[52:53], off
	s_nop 0
	global_load_dwordx4 v[50:53], v[52:53], off offset:16
	v_sub_f32_e32 v80, v80, v90
	v_mul_f32_e32 v80, 0x3fb8aa3b, v80
	v_sub_f32_e32 v81, v81, v90
	v_exp_f32_e32 v80, v80
	v_mul_f32_e32 v81, 0x3fb8aa3b, v81
	v_sub_f32_e32 v70, v70, v90
	v_exp_f32_e32 v81, v81
	v_mul_f32_e32 v70, 0x3fb8aa3b, v70
	v_sub_f32_e32 v71, v71, v90
	v_cndmask_b32_e64 v68, 0, v68, s[4:5]
	v_exp_f32_e32 v70, v70
	v_mul_f32_e32 v71, 0x3fb8aa3b, v71
	v_sub_f32_e32 v82, v82, v90
	v_add_f32_e32 v84, 0, v68
	v_cndmask_b32_e64 v69, 0, v69, s[34:35]
	v_exp_f32_e32 v71, v71
	v_mul_f32_e32 v82, 0x3fb8aa3b, v82
	v_sub_f32_e32 v83, v83, v90
	v_add_f32_e32 v84, v84, v69
	;; [unrolled: 5-line block ×10, first 2 shown]
	v_cndmask_b32_e64 v78, 0, v78, s[12:13]
	v_exp_f32_e32 v66, v66
	v_mul_f32_e32 v67, 0x3fb8aa3b, v67
	v_add_f32_e32 v84, v84, v78
	v_cndmask_b32_e64 v79, 0, v79, s[14:15]
	v_exp_f32_e32 v67, v67
	v_add_f32_e32 v84, v84, v79
	v_cndmask_b32_e64 v72, 0, v72, s[8:9]
	v_add_f32_e32 v84, v84, v72
	v_cndmask_b32_e64 v73, 0, v73, s[10:11]
	v_add_f32_e32 v84, v84, v73
	v_cndmask_b32_e32 v66, 0, v66, vcc
	v_add_f32_e32 v84, v84, v66
	v_cndmask_b32_e64 v67, 0, v67, s[6:7]
	v_add_f32_e32 v84, v84, v67
	ds_bpermute_b32 v74, v74, v84
	v_cmp_gt_u32_e32 vcc, 16, v1
	s_waitcnt lgkmcnt(0)
	s_barrier
	v_add_f32_e32 v91, v84, v74
	ds_bpermute_b32 v92, v75, v91
	s_and_saveexec_b64 s[4:5], vcc
	s_cbranch_execz .LBB767_15
; %bb.14:
	s_waitcnt lgkmcnt(0)
	v_add_f32_e32 v74, v91, v92
	v_lshlrev_b32_e32 v75, 2, v89
	ds_write2st64_b32 v75, v90, v74 offset1:1
.LBB767_15:
	s_or_b64 exec, exec, s[4:5]
	v_and_b32_e32 v1, 15, v0
	v_lshlrev_b32_e32 v89, 2, v1
	s_load_dword s6, s[0:1], 0x94
	s_waitcnt lgkmcnt(0)
	s_barrier
	ds_read2_b32 v[74:75], v89 offset1:16
	ds_read2_b32 v[84:85], v89 offset0:32 offset1:48
	s_movk_i32 s8, 0x7fff
	s_mov_b32 s9, 0x7060302
	s_lshl_b32 s7, s33, 2
	s_waitcnt lgkmcnt(1)
	v_max3_f32 v86, v74, s42, v75
	s_waitcnt lgkmcnt(0)
	v_max3_f32 v88, v86, v84, v85
	v_sub_f32_e32 v74, v74, v88
	v_mul_f32_e32 v74, 0x3fb8aa3b, v74
	v_exp_f32_e32 v90, v74
	v_sub_f32_e32 v74, v75, v88
	v_mul_f32_e32 v74, 0x3fb8aa3b, v74
	ds_read2_b32 v[86:87], v89 offset0:64 offset1:80
	v_exp_f32_e32 v91, v74
	v_sub_f32_e32 v74, v84, v88
	v_mul_f32_e32 v74, 0x3fb8aa3b, v74
	v_exp_f32_e32 v84, v74
	ds_read2_b32 v[74:75], v89 offset0:96 offset1:112
	v_sub_f32_e32 v85, v85, v88
	v_mul_f32_e32 v85, 0x3fb8aa3b, v85
	v_exp_f32_e32 v85, v85
	s_waitcnt lgkmcnt(1)
	v_fma_f32 v89, v90, v86, 0
	v_fmac_f32_e32 v89, v91, v87
	s_waitcnt lgkmcnt(0)
	v_fmac_f32_e32 v89, v84, v74
	v_fmac_f32_e32 v89, v85, v75
	v_add_f32_e32 v74, 0x358637bd, v89
	v_div_scale_f32 v75, s[4:5], v74, v74, 1.0
	v_rcp_f32_e32 v86, v75
	s_barrier
	v_fma_f32 v87, -v75, v86, 1.0
	v_fmac_f32_e32 v86, v87, v86
	v_div_scale_f32 v87, vcc, 1.0, v74, 1.0
	v_mul_f32_e32 v92, v87, v86
	v_fma_f32 v93, -v75, v92, v87
	v_fmac_f32_e32 v92, v93, v86
	v_fma_f32 v75, -v75, v92, v87
	v_div_fmas_f32 v75, v75, v86, v92
	v_lshrrev_b32_e32 v86, 6, v0
	v_cmp_eq_u32_e32 vcc, 1, v86
	v_div_fixup_f32 v74, v75, v74, 1.0
	s_nop 0
	v_cndmask_b32_e32 v75, v90, v91, vcc
	v_cmp_eq_u32_e32 vcc, 2, v86
	s_nop 1
	v_cndmask_b32_e32 v75, v75, v84, vcc
	v_cmp_eq_u32_e32 vcc, 3, v86
	s_nop 1
	v_cndmask_b32_e32 v75, v75, v85, vcc
	v_mul_f32_e32 v74, v75, v74
	v_pk_mul_f32 v[68:69], v[74:75], v[68:69] op_sel_hi:[0,1]
	v_pk_mul_f32 v[80:81], v[74:75], v[80:81] op_sel_hi:[0,1]
	v_bfe_u32 v75, v69, 16, 1
	v_bfe_u32 v84, v68, 16, 1
	v_add3_u32 v68, v68, v84, s8
	v_add3_u32 v69, v69, v75, s8
	v_perm_b32 v84, v69, v68, s9
	v_bfe_u32 v68, v81, 16, 1
	v_bfe_u32 v69, v80, 16, 1
	v_add3_u32 v69, v80, v69, s8
	v_add3_u32 v68, v81, v68, s8
	v_bfe_u32 v81, v0, 4, 2
	v_lshlrev_b32_e32 v75, 11, v86
	v_perm_b32 v85, v68, v69, s9
	v_lshlrev_b32_e32 v69, 3, v81
	v_lshlrev_b32_e32 v68, 5, v1
	v_pk_mul_f32 v[70:71], v[74:75], v[70:71] op_sel_hi:[0,1]
	v_or3_b32 v80, v75, v68, v69
	v_pk_mul_f32 v[82:83], v[74:75], v[82:83] op_sel_hi:[0,1]
	v_bfe_u32 v69, v71, 16, 1
	v_bfe_u32 v75, v70, 16, 1
	v_add3_u32 v70, v70, v75, s8
	v_add3_u32 v69, v71, v69, s8
	v_perm_b32 v70, v69, v70, s9
	v_bfe_u32 v69, v83, 16, 1
	v_bfe_u32 v71, v82, 16, 1
	v_add3_u32 v71, v82, v71, s8
	v_add3_u32 v69, v83, v69, s8
	v_perm_b32 v71, v69, v71, s9
	v_pk_mul_f32 v[76:77], v[74:75], v[76:77] op_sel_hi:[0,1]
	ds_write2st64_b64 v80, v[84:85], v[70:71] offset1:1
	v_pk_mul_f32 v[70:71], v[74:75], v[78:79] op_sel_hi:[0,1]
	v_bfe_u32 v69, v77, 16, 1
	v_bfe_u32 v75, v76, 16, 1
	v_add3_u32 v75, v76, v75, s8
	v_add3_u32 v69, v77, v69, s8
	v_perm_b32 v76, v69, v75, s9
	v_bfe_u32 v69, v71, 16, 1
	v_bfe_u32 v75, v70, 16, 1
	v_add3_u32 v70, v70, v75, s8
	v_add3_u32 v69, v71, v69, s8
	v_perm_b32 v77, v69, v70, s9
	v_pk_mul_f32 v[70:71], v[74:75], v[72:73] op_sel_hi:[0,1]
	v_bfe_u32 v69, v71, 16, 1
	v_bfe_u32 v72, v70, 16, 1
	v_pk_mul_f32 v[66:67], v[74:75], v[66:67] op_sel_hi:[0,1]
	v_add3_u32 v70, v70, v72, s8
	v_add3_u32 v69, v71, v69, s8
	v_perm_b32 v70, v69, v70, s9
	v_bfe_u32 v69, v67, 16, 1
	v_bfe_u32 v71, v66, 16, 1
	v_add3_u32 v66, v66, v71, s8
	v_add3_u32 v67, v67, v69, s8
	v_perm_b32 v71, v67, v66, s9
	v_cmp_gt_u32_e32 vcc, 4, v0
	ds_write2st64_b64 v80, v[76:77], v[70:71] offset0:2 offset1:3
	s_and_saveexec_b64 s[4:5], vcc
	s_cbranch_execz .LBB767_17
; %bb.16:
	v_or_b32_e32 v66, s29, v0
	v_mov_b32_e32 v67, 0
	v_mov_b32_e32 v69, s7
	v_mad_u64_u32 v[70:71], s[10:11], s2, v69, v[66:67]
	v_mov_b32_e32 v66, s28
	s_load_dwordx4 s[12:15], s[0:1], 0x58
	s_mul_i32 s3, s3, s7
	v_mad_u64_u32 v[66:67], s[10:11], v70, s6, v[66:67]
	v_add_u32_e32 v69, s3, v71
	v_mov_b32_e32 v70, v67
	v_mad_u64_u32 v[70:71], s[10:11], v69, s6, v[70:71]
	v_mov_b32_e32 v67, v70
	v_lshlrev_b64 v[66:67], 2, v[66:67]
	s_waitcnt lgkmcnt(0)
	v_lshl_add_u64 v[70:71], s[14:15], 0, v[66:67]
	v_lshl_add_u64 v[66:67], s[12:13], 0, v[66:67]
	global_store_dword v[70:71], v88, off
	global_store_dword v[66:67], v89, off
.LBB767_17:
	s_or_b64 exec, exec, s[4:5]
	v_lshl_or_b32 v1, v81, 9, v68
	s_waitcnt lgkmcnt(0)
	s_barrier
	ds_read_b128 v[70:73], v1
	ds_read_b128 v[66:69], v1 offset:16
	s_waitcnt vmcnt(15) lgkmcnt(1)
	v_mfma_f32_16x16x16_bf16 v[74:77], v[30:31], v[70:71], 0
	s_mov_b32 s3, 0
	v_mfma_f32_16x16x16_bf16 v[30:33], v[32:33], v[72:73], v[74:77]
	s_waitcnt vmcnt(14) lgkmcnt(0)
	v_mfma_f32_16x16x16_bf16 v[30:33], v[26:27], v[66:67], v[30:33]
	v_mfma_f32_16x16x16_bf16 v[26:29], v[28:29], v[68:69], v[30:33]
	s_nop 5
	ds_read_b128 v[30:33], v1 offset:2048
	ds_read_b128 v[74:77], v1 offset:2064
	s_waitcnt vmcnt(13) lgkmcnt(1)
	v_mfma_f32_16x16x16_bf16 v[26:29], v[22:23], v[30:31], v[26:29]
	v_mfma_f32_16x16x16_bf16 v[22:25], v[24:25], v[32:33], v[26:29]
	s_waitcnt vmcnt(12) lgkmcnt(0)
	v_mfma_f32_16x16x16_bf16 v[22:25], v[18:19], v[74:75], v[22:25]
	v_mfma_f32_16x16x16_bf16 v[18:21], v[20:21], v[76:77], v[22:25]
	s_nop 5
	ds_read_b128 v[22:25], v1 offset:4096
	ds_read_b128 v[26:29], v1 offset:4112
	s_waitcnt vmcnt(11) lgkmcnt(1)
	v_mfma_f32_16x16x16_bf16 v[18:21], v[14:15], v[22:23], v[18:21]
	v_mfma_f32_16x16x16_bf16 v[14:17], v[16:17], v[24:25], v[18:21]
	s_waitcnt vmcnt(10) lgkmcnt(0)
	v_mfma_f32_16x16x16_bf16 v[14:17], v[10:11], v[26:27], v[14:17]
	v_mfma_f32_16x16x16_bf16 v[10:13], v[12:13], v[28:29], v[14:17]
	s_nop 5
	ds_read_b128 v[14:17], v1 offset:6144
	ds_read_b128 v[18:21], v1 offset:6160
	s_waitcnt lgkmcnt(0)
	s_barrier
	s_waitcnt vmcnt(9)
	v_mfma_f32_16x16x16_bf16 v[10:13], v[6:7], v[14:15], v[10:13]
	v_mfma_f32_16x16x16_bf16 v[6:9], v[8:9], v[16:17], v[10:13]
	s_waitcnt vmcnt(8)
	v_mfma_f32_16x16x16_bf16 v[6:9], v[2:3], v[18:19], v[6:9]
	v_mfma_f32_16x16x16_bf16 v[2:5], v[4:5], v[20:21], v[6:9]
	;; [unrolled: 3-line block ×3, first 2 shown]
	s_nop 3
	v_bfe_u32 v1, v3, 16, 1
	v_bfe_u32 v10, v2, 16, 1
	v_add3_u32 v2, v2, v10, s8
	s_waitcnt vmcnt(6)
	v_mfma_f32_16x16x16_bf16 v[6:9], v[38:39], v[66:67], v[6:9]
	v_add3_u32 v1, v3, v1, s8
	v_perm_b32 v10, v1, v2, s9
	v_bfe_u32 v1, v5, 16, 1
	v_mfma_f32_16x16x16_bf16 v[6:9], v[40:41], v[68:69], v[6:9]
	v_bfe_u32 v2, v4, 16, 1
	v_add3_u32 v2, v4, v2, s8
	v_add3_u32 v1, v5, v1, s8
	s_waitcnt vmcnt(5)
	v_mfma_f32_16x16x16_bf16 v[6:9], v[42:43], v[30:31], v[6:9]
	v_perm_b32 v11, v1, v2, s9
	v_mfma_f32_16x16x16_bf16 v[6:9], v[44:45], v[32:33], v[6:9]
	s_waitcnt vmcnt(4)
	v_mfma_f32_16x16x16_bf16 v[6:9], v[34:35], v[74:75], v[6:9]
	v_mfma_f32_16x16x16_bf16 v[6:9], v[36:37], v[76:77], v[6:9]
	s_waitcnt vmcnt(3)
	v_mfma_f32_16x16x16_bf16 v[6:9], v[58:59], v[22:23], v[6:9]
	;; [unrolled: 3-line block ×5, first 2 shown]
	v_mfma_f32_16x16x16_bf16 v[2:5], v[52:53], v[20:21], v[6:9]
	s_nop 6
	v_bfe_u32 v1, v3, 16, 1
	v_bfe_u32 v6, v2, 16, 1
	v_add3_u32 v2, v2, v6, s8
	v_add3_u32 v1, v3, v1, s8
	v_perm_b32 v2, v1, v2, s9
	v_bfe_u32 v1, v5, 16, 1
	v_bfe_u32 v3, v4, 16, 1
	v_add3_u32 v3, v4, v3, s8
	v_add3_u32 v1, v5, v1, s8
	v_perm_b32 v3, v1, v3, s9
	ds_write2st64_b64 v80, v[10:11], v[2:3] offset1:1
	s_waitcnt lgkmcnt(0)
	s_barrier
	s_and_saveexec_b64 s[4:5], s[30:31]
	s_cbranch_execz .LBB767_19
; %bb.18:
	v_and_b32_e32 v2, 15, v0
	v_lshlrev_b32_e32 v2, 6, v2
	v_lshlrev_b32_e32 v1, 4, v0
	v_lshl_or_b32 v0, v0, 10, v2
	scratch_load_dword v2, off, off offset:4 ; 4-byte Folded Reload
	scratch_load_dword v4, off, off         ; 4-byte Folded Reload
	s_load_dwordx2 s[0:1], s[0:1], 0x68
	s_lshl_b32 s6, s6, 7
	s_mul_i32 s2, s7, s2
	s_mul_hi_u32 s5, s2, s6
	s_mul_i32 s4, s2, s6
	s_lshl_b64 s[4:5], s[4:5], 1
	v_and_b32_e32 v1, 16, v1
	v_and_b32_e32 v0, 0x1a00, v0
	s_waitcnt lgkmcnt(0)
	s_add_u32 s4, s0, s4
	s_addc_u32 s5, s1, s5
	s_lshl_b32 s2, s28, 7
	s_lshl_b64 s[0:1], s[2:3], 1
	s_add_u32 s0, s4, s0
	s_addc_u32 s1, s5, s1
	s_waitcnt vmcnt(1)
	v_or3_b32 v0, v0, v2, v1
	ds_read_b128 v[0:3], v0
	s_waitcnt vmcnt(0)
	v_mad_u64_u32 v[4:5], s[2:3], s6, v4, 0
	v_lshl_add_u64 v[4:5], v[4:5], 1, s[0:1]
	v_lshl_add_u64 v[4:5], v[94:95], 1, v[4:5]
	s_waitcnt lgkmcnt(0)
	global_store_dwordx4 v[4:5], v[0:3], off
.LBB767_19:
	s_endpgm
	.section	.rodata,"a",@progbits
	.p2align	6, 0x0
	.amdhsa_kernel _Z39paged_attention_ll4mi_QKV_mfma16_kernelI14__hip_bfloat16S0_LN4vllm18Fp8KVCacheDataTypeE0ES0_Li32ELi128ELi256ELb0ELi4EEvPKT_PKT0_S8_ifPKiSA_SA_iPKfiiiPfSD_PS3_PT2_iSC_SC_
		.amdhsa_group_segment_fixed_size 8192
		.amdhsa_private_segment_fixed_size 12
		.amdhsa_kernarg_size 400
		.amdhsa_user_sgpr_count 2
		.amdhsa_user_sgpr_dispatch_ptr 0
		.amdhsa_user_sgpr_queue_ptr 0
		.amdhsa_user_sgpr_kernarg_segment_ptr 1
		.amdhsa_user_sgpr_dispatch_id 0
		.amdhsa_user_sgpr_kernarg_preload_length 0
		.amdhsa_user_sgpr_kernarg_preload_offset 0
		.amdhsa_user_sgpr_private_segment_size 0
		.amdhsa_uses_dynamic_stack 0
		.amdhsa_enable_private_segment 1
		.amdhsa_system_sgpr_workgroup_id_x 1
		.amdhsa_system_sgpr_workgroup_id_y 1
		.amdhsa_system_sgpr_workgroup_id_z 1
		.amdhsa_system_sgpr_workgroup_info 0
		.amdhsa_system_vgpr_workitem_id 0
		.amdhsa_next_free_vgpr 96
		.amdhsa_next_free_sgpr 43
		.amdhsa_accum_offset 96
		.amdhsa_reserve_vcc 1
		.amdhsa_float_round_mode_32 0
		.amdhsa_float_round_mode_16_64 0
		.amdhsa_float_denorm_mode_32 3
		.amdhsa_float_denorm_mode_16_64 3
		.amdhsa_dx10_clamp 1
		.amdhsa_ieee_mode 1
		.amdhsa_fp16_overflow 0
		.amdhsa_tg_split 0
		.amdhsa_exception_fp_ieee_invalid_op 0
		.amdhsa_exception_fp_denorm_src 0
		.amdhsa_exception_fp_ieee_div_zero 0
		.amdhsa_exception_fp_ieee_overflow 0
		.amdhsa_exception_fp_ieee_underflow 0
		.amdhsa_exception_fp_ieee_inexact 0
		.amdhsa_exception_int_div_zero 0
	.end_amdhsa_kernel
	.section	.text._Z39paged_attention_ll4mi_QKV_mfma16_kernelI14__hip_bfloat16S0_LN4vllm18Fp8KVCacheDataTypeE0ES0_Li32ELi128ELi256ELb0ELi4EEvPKT_PKT0_S8_ifPKiSA_SA_iPKfiiiPfSD_PS3_PT2_iSC_SC_,"axG",@progbits,_Z39paged_attention_ll4mi_QKV_mfma16_kernelI14__hip_bfloat16S0_LN4vllm18Fp8KVCacheDataTypeE0ES0_Li32ELi128ELi256ELb0ELi4EEvPKT_PKT0_S8_ifPKiSA_SA_iPKfiiiPfSD_PS3_PT2_iSC_SC_,comdat
.Lfunc_end767:
	.size	_Z39paged_attention_ll4mi_QKV_mfma16_kernelI14__hip_bfloat16S0_LN4vllm18Fp8KVCacheDataTypeE0ES0_Li32ELi128ELi256ELb0ELi4EEvPKT_PKT0_S8_ifPKiSA_SA_iPKfiiiPfSD_PS3_PT2_iSC_SC_, .Lfunc_end767-_Z39paged_attention_ll4mi_QKV_mfma16_kernelI14__hip_bfloat16S0_LN4vllm18Fp8KVCacheDataTypeE0ES0_Li32ELi128ELi256ELb0ELi4EEvPKT_PKT0_S8_ifPKiSA_SA_iPKfiiiPfSD_PS3_PT2_iSC_SC_
                                        ; -- End function
	.section	.AMDGPU.csdata,"",@progbits
; Kernel info:
; codeLenInByte = 4848
; NumSgprs: 49
; NumVgprs: 96
; NumAgprs: 0
; TotalNumVgprs: 96
; ScratchSize: 12
; MemoryBound: 0
; FloatMode: 240
; IeeeMode: 1
; LDSByteSize: 8192 bytes/workgroup (compile time only)
; SGPRBlocks: 6
; VGPRBlocks: 11
; NumSGPRsForWavesPerEU: 49
; NumVGPRsForWavesPerEU: 96
; AccumOffset: 96
; Occupancy: 5
; WaveLimiterHint : 1
; COMPUTE_PGM_RSRC2:SCRATCH_EN: 1
; COMPUTE_PGM_RSRC2:USER_SGPR: 2
; COMPUTE_PGM_RSRC2:TRAP_HANDLER: 0
; COMPUTE_PGM_RSRC2:TGID_X_EN: 1
; COMPUTE_PGM_RSRC2:TGID_Y_EN: 1
; COMPUTE_PGM_RSRC2:TGID_Z_EN: 1
; COMPUTE_PGM_RSRC2:TIDIG_COMP_CNT: 0
; COMPUTE_PGM_RSRC3_GFX90A:ACCUM_OFFSET: 23
; COMPUTE_PGM_RSRC3_GFX90A:TG_SPLIT: 0
	.section	.text._Z38paged_attention_ll4mi_QKV_mfma4_kernelIDF16_hLN4vllm18Fp8KVCacheDataTypeE1EhLi16ELi64ELi256ELb1ELi1EEvPKT_PKT0_S7_ifPKiS9_S9_iPKfiiiPfSC_PS2_PT2_iSB_SB_,"axG",@progbits,_Z38paged_attention_ll4mi_QKV_mfma4_kernelIDF16_hLN4vllm18Fp8KVCacheDataTypeE1EhLi16ELi64ELi256ELb1ELi1EEvPKT_PKT0_S7_ifPKiS9_S9_iPKfiiiPfSC_PS2_PT2_iSB_SB_,comdat
	.protected	_Z38paged_attention_ll4mi_QKV_mfma4_kernelIDF16_hLN4vllm18Fp8KVCacheDataTypeE1EhLi16ELi64ELi256ELb1ELi1EEvPKT_PKT0_S7_ifPKiS9_S9_iPKfiiiPfSC_PS2_PT2_iSB_SB_ ; -- Begin function _Z38paged_attention_ll4mi_QKV_mfma4_kernelIDF16_hLN4vllm18Fp8KVCacheDataTypeE1EhLi16ELi64ELi256ELb1ELi1EEvPKT_PKT0_S7_ifPKiS9_S9_iPKfiiiPfSC_PS2_PT2_iSB_SB_
	.globl	_Z38paged_attention_ll4mi_QKV_mfma4_kernelIDF16_hLN4vllm18Fp8KVCacheDataTypeE1EhLi16ELi64ELi256ELb1ELi1EEvPKT_PKT0_S7_ifPKiS9_S9_iPKfiiiPfSC_PS2_PT2_iSB_SB_
	.p2align	8
	.type	_Z38paged_attention_ll4mi_QKV_mfma4_kernelIDF16_hLN4vllm18Fp8KVCacheDataTypeE1EhLi16ELi64ELi256ELb1ELi1EEvPKT_PKT0_S7_ifPKiS9_S9_iPKfiiiPfSC_PS2_PT2_iSB_SB_,@function
_Z38paged_attention_ll4mi_QKV_mfma4_kernelIDF16_hLN4vllm18Fp8KVCacheDataTypeE1EhLi16ELi64ELi256ELb1ELi1EEvPKT_PKT0_S7_ifPKiS9_S9_iPKfiiiPfSC_PS2_PT2_iSB_SB_: ; @_Z38paged_attention_ll4mi_QKV_mfma4_kernelIDF16_hLN4vllm18Fp8KVCacheDataTypeE1EhLi16ELi64ELi256ELb1ELi1EEvPKT_PKT0_S7_ifPKiS9_S9_iPKfiiiPfSC_PS2_PT2_iSB_SB_
; %bb.0:
	s_load_dwordx2 s[8:9], s[0:1], 0x30
	s_mov_b32 s20, s3
	s_mov_b64 s[6:7], 0
	s_waitcnt lgkmcnt(0)
	s_cmp_lg_u64 s[8:9], 0
	s_cselect_b64 s[10:11], -1, 0
	s_and_b64 vcc, exec, s[10:11]
	s_cbranch_vccz .LBB768_10
; %bb.1:
	s_add_i32 s12, s2, 1
	s_mov_b32 s13, 0
	s_lshl_b64 s[14:15], s[12:13], 2
	s_add_u32 s14, s8, s14
	s_mov_b32 s3, s13
	s_addc_u32 s15, s9, s15
	s_lshl_b64 s[12:13], s[2:3], 2
	s_add_u32 s12, s8, s12
	s_addc_u32 s13, s9, s13
	s_load_dword s5, s[14:15], 0x0
	s_load_dword s16, s[12:13], 0x0
	s_waitcnt lgkmcnt(0)
	s_sub_i32 s5, s5, s16
	s_cmp_eq_u32 s5, 1
	s_cselect_b64 s[12:13], -1, 0
	s_andn2_b64 vcc, exec, s[6:7]
	s_cbranch_vccnz .LBB768_3
.LBB768_2:
	s_mov_b32 s3, 0
	s_mov_b64 s[12:13], -1
.LBB768_3:
	s_andn2_b64 vcc, exec, s[12:13]
	s_cbranch_vccnz .LBB768_25
; %bb.4:
	s_load_dword s5, s[0:1], 0x9c
	s_load_dwordx2 s[6:7], s[0:1], 0x28
	s_add_u32 s24, s0, 0x90
	s_addc_u32 s25, s1, 0
	s_lshl_b64 s[28:29], s[2:3], 2
	s_waitcnt lgkmcnt(0)
	s_and_b32 s5, s5, 0xffff
	s_add_u32 s6, s6, s28
	s_addc_u32 s7, s7, s29
	s_load_dword s3, s[6:7], 0x0
	s_mul_i32 s5, s20, s5
	s_waitcnt lgkmcnt(0)
	s_cmp_ge_i32 s5, s3
	s_cbranch_scc1 .LBB768_25
; %bb.5:
	v_and_b32_e32 v2, 0xc0, v0
	v_add_u32_e32 v4, s5, v2
	v_lshrrev_b32_e32 v1, 6, v0
	v_cmp_gt_i32_e64 s[6:7], s3, v4
	v_cmp_le_i32_e32 vcc, s3, v4
                                        ; implicit-def: $sgpr30
                                        ; implicit-def: $sgpr21
	s_and_saveexec_b64 s[12:13], vcc
	s_xor_b64 s[12:13], exec, s[12:13]
	s_cbranch_execz .LBB768_7
; %bb.6:
	v_mul_u32_u24_e32 v2, 20, v1
	v_or_b32_e32 v2, 0xa00, v2
	v_mov_b32_e32 v3, 0xa50
	v_mov_b32_e32 v4, 0xff7fffff
	v_mad_u32_u24 v3, v1, 20, v3
	ds_write2_b32 v2, v4, v4 offset1:1
	v_mov_b32_e32 v2, 0
	ds_write2_b32 v3, v2, v2 offset1:1
	v_mov_b32_e32 v3, 0xa08
	s_mov_b32 s21, 0xff7fffff
	s_mov_b32 s30, 0
	v_mad_u32_u24 v3, v1, 20, v3
	v_mov_b32_e32 v5, 0xa58
	v_mad_u32_u24 v5, v1, 20, v5
	ds_write2_b32 v3, v4, v4 offset1:1
	ds_write2_b32 v5, v2, v2 offset1:1
                                        ; implicit-def: $vgpr4
.LBB768_7:
	s_or_saveexec_b64 s[26:27], s[12:13]
	s_load_dwordx2 s[22:23], s[0:1], 0x68
	s_load_dwordx4 s[16:19], s[0:1], 0x58
	s_load_dword s33, s[24:25], 0x4
	s_load_dwordx4 s[12:15], s[0:1], 0x80
	v_and_b32_e32 v32, 63, v0
	v_and_b32_e32 v33, 3, v0
	v_mov_b32_e32 v21, s30
	v_mov_b32_e32 v24, s21
	;; [unrolled: 1-line block ×5, first 2 shown]
                                        ; implicit-def: $vgpr6_vgpr7
                                        ; implicit-def: $vgpr2_vgpr3
                                        ; implicit-def: $vgpr14_vgpr15
                                        ; implicit-def: $vgpr10_vgpr11
	s_xor_b64 exec, exec, s[26:27]
	s_cbranch_execz .LBB768_19
; %bb.8:
	s_load_dwordx2 s[30:31], s[0:1], 0x20
	s_load_dword s21, s[0:1], 0x38
	s_add_i32 s34, s3, 15
	s_ashr_i32 s35, s34, 31
	s_lshr_b32 s35, s35, 28
	v_add_u32_e32 v34, s5, v0
	s_add_i32 s34, s34, s35
	v_ashrrev_i32_e32 v2, 31, v34
	s_ashr_i32 s34, s34, 4
	v_lshrrev_b32_e32 v2, 28, v2
	s_add_i32 s36, s34, -1
	s_waitcnt lgkmcnt(0)
	s_mul_i32 s34, s2, s21
	s_mov_b32 s35, 0
	v_add_u32_e32 v2, v34, v2
	s_lshl_b64 s[34:35], s[34:35], 2
	v_ashrrev_i32_e32 v2, 4, v2
	v_mov_b32_e32 v3, s36
	v_cmp_gt_i32_e32 vcc, s3, v34
	s_add_u32 s30, s30, s34
	s_addc_u32 s31, s31, s35
	v_cndmask_b32_e32 v2, v3, v2, vcc
	v_ashrrev_i32_e32 v3, 31, v2
	v_lshl_add_u64 v[6:7], v[2:3], 2, s[30:31]
	v_ashrrev_i32_e32 v2, 31, v4
	v_lshrrev_b32_e32 v2, 28, v2
	v_add_u32_e32 v2, v4, v2
	v_ashrrev_i32_e32 v4, 4, v2
	v_min_i32_e32 v2, s36, v4
	v_ashrrev_i32_e32 v3, 31, v2
	v_lshl_add_u64 v[8:9], v[2:3], 2, s[30:31]
	v_add_u32_e32 v2, 1, v4
	v_min_i32_e32 v2, s36, v2
	v_ashrrev_i32_e32 v3, 31, v2
	v_lshl_add_u64 v[10:11], v[2:3], 2, s[30:31]
	v_add_u32_e32 v2, 2, v4
	;; [unrolled: 4-line block ×3, first 2 shown]
	v_min_i32_e32 v2, s36, v2
	v_ashrrev_i32_e32 v3, 31, v2
	v_lshl_add_u64 v[14:15], v[2:3], 2, s[30:31]
	global_load_dword v4, v[6:7], off
	global_load_dword v3, v[8:9], off
	;; [unrolled: 1-line block ×5, first 2 shown]
	s_load_dwordx2 s[34:35], s[0:1], 0x8
	s_andn2_b64 vcc, exec, s[10:11]
	s_cbranch_vccnz .LBB768_11
; %bb.9:
	s_add_u32 s8, s8, s28
	s_addc_u32 s9, s9, s29
	s_load_dword s5, s[8:9], 0x0
	s_branch .LBB768_12
.LBB768_10:
	s_mov_b64 s[12:13], 0
	s_branch .LBB768_2
.LBB768_11:
	s_mov_b32 s5, s2
.LBB768_12:
	s_load_dwordx2 s[28:29], s[0:1], 0x10
	s_load_dwordx4 s[8:11], s[0:1], 0x48
	v_cmp_eq_u32_e32 vcc, 0, v33
	s_mov_b32 s31, 0
	v_mov_b32_e32 v31, 0
	v_mov_b32_e32 v10, 0
	;; [unrolled: 1-line block ×5, first 2 shown]
	s_and_saveexec_b64 s[36:37], vcc
	s_cbranch_execz .LBB768_14
; %bb.13:
	s_load_dwordx2 s[38:39], s[0:1], 0x0
	s_waitcnt lgkmcnt(0)
	s_ashr_i32 s11, s8, 31
	s_mul_hi_u32 s21, s5, s8
	s_mul_i32 s11, s5, s11
	s_add_i32 s41, s21, s11
	s_mul_i32 s40, s5, s8
	s_lshl_b64 s[40:41], s[40:41], 1
	s_add_u32 s5, s38, s40
	s_addc_u32 s8, s39, s41
	s_lshl_b32 s30, s4, 6
	s_lshl_b64 s[38:39], s[30:31], 1
	s_add_u32 s38, s5, s38
	s_addc_u32 s39, s8, s39
	v_lshlrev_b32_e32 v5, 2, v32
	global_load_dwordx4 v[10:13], v5, s[38:39]
.LBB768_14:
	s_or_b64 exec, exec, s[36:37]
	s_waitcnt lgkmcnt(0)
	s_mul_i32 s8, s4, s10
	s_add_u32 s10, s8, s34
	s_addc_u32 s11, 0, s35
	v_mov_b64_e32 v[6:7], s[10:11]
	s_waitcnt vmcnt(4)
	v_mad_i64_i32 v[4:5], s[10:11], v4, s9, v[6:7]
	v_lshlrev_b32_e32 v6, 4, v0
	v_and_b32_e32 v30, 0xf0, v6
	v_lshl_add_u64 v[4:5], v[4:5], 0, v[30:31]
	global_load_dwordx4 v[26:29], v[4:5], off
	global_load_dwordx4 v[22:25], v[4:5], off offset:256
	global_load_dwordx4 v[18:21], v[4:5], off offset:512
	;; [unrolled: 1-line block ×3, first 2 shown]
	v_mov_b32_e32 v30, 0
	s_and_saveexec_b64 s[10:11], vcc
	s_cbranch_execz .LBB768_16
; %bb.15:
	s_load_dwordx2 s[34:35], s[0:1], 0x40
	s_mov_b32 s5, s31
	s_lshl_b64 s[30:31], s[4:5], 2
	v_mov_b32_e32 v31, 1.0
	s_waitcnt lgkmcnt(0)
	s_add_u32 s30, s34, s30
	s_addc_u32 s31, s35, s31
	s_load_dword s5, s[30:31], 0x0
	s_waitcnt lgkmcnt(0)
	v_mov_b32_e32 v30, s5
.LBB768_16:
	s_or_b64 exec, exec, s[10:11]
	s_add_u32 s10, s28, s8
	s_waitcnt vmcnt(7)
	v_mul_hi_i32 v4, v3, s9
	s_addc_u32 s11, s29, 0
	v_lshlrev_b32_e32 v38, 4, v32
	v_mov_b32_e32 v39, 0
	v_ashrrev_i32_e32 v4, 31, v4
	v_lshl_add_u64 v[40:41], s[10:11], 0, v[38:39]
	v_lshrrev_b32_e32 v38, 29, v4
	v_mad_i64_i32 v[4:5], s[10:11], v3, s9, v[38:39]
	s_waitcnt vmcnt(6)
	v_mul_hi_i32 v3, v2, s9
	v_ashrrev_i32_e32 v3, 31, v3
	s_waitcnt vmcnt(5)
	v_mul_hi_i32 v37, v36, s9
	v_lshrrev_b32_e32 v38, 29, v3
	v_ashrrev_i32_e32 v37, 31, v37
	v_mad_i64_i32 v[2:3], s[10:11], v2, s9, v[38:39]
	v_lshrrev_b32_e32 v38, 29, v37
	v_mad_i64_i32 v[36:37], s[10:11], v36, s9, v[38:39]
	s_waitcnt vmcnt(4)
	v_mul_hi_i32 v38, v35, s9
	v_ashrrev_i32_e32 v38, 31, v38
	v_lshrrev_b32_e32 v38, 29, v38
	v_and_b32_e32 v4, -8, v4
	v_mad_i64_i32 v[38:39], s[8:9], v35, s9, v[38:39]
	v_lshl_add_u64 v[42:43], v[40:41], 0, v[4:5]
	v_and_b32_e32 v2, -8, v2
	v_and_b32_e32 v36, -8, v36
	;; [unrolled: 1-line block ×3, first 2 shown]
	v_lshl_add_u64 v[44:45], v[40:41], 0, v[2:3]
	global_load_dwordx4 v[6:9], v[42:43], off
	global_load_dwordx4 v[2:5], v[44:45], off
	v_lshl_add_u64 v[36:37], v[40:41], 0, v[36:37]
	v_lshl_add_u64 v[38:39], v[40:41], 0, v[38:39]
	s_waitcnt vmcnt(5)
	v_cvt_pk_f32_fp8_e32 v[40:41], v26
	v_cvt_pk_f32_fp8_sdwa v[42:43], v26 src0_sel:WORD_1
	v_cvt_pk_f32_fp8_e32 v[44:45], v27
	v_cvt_pk_f32_fp8_sdwa v[26:27], v27 src0_sel:WORD_1
	v_cvt_pkrtz_f16_f32 v40, v40, v41
	v_cvt_pkrtz_f16_f32 v41, v42, v43
	;; [unrolled: 1-line block ×4, first 2 shown]
	v_mfma_f32_4x4x4_16b_f16 a[0:3], v[10:11], v[40:41], 0 cbsz:4
	v_cvt_pk_f32_fp8_e32 v[26:27], v28
	v_cvt_pk_f32_fp8_sdwa v[40:41], v28 src0_sel:WORD_1
	v_mfma_f32_4x4x4_16b_f16 a[0:3], v[12:13], v[42:43], a[0:3] cbsz:4
	v_cvt_pk_f32_fp8_e32 v[42:43], v29
	v_cvt_pk_f32_fp8_sdwa v[28:29], v29 src0_sel:WORD_1
	v_cvt_pkrtz_f16_f32 v26, v26, v27
	v_cvt_pkrtz_f16_f32 v27, v40, v41
	v_cvt_pkrtz_f16_f32 v40, v42, v43
	v_cvt_pkrtz_f16_f32 v41, v28, v29
	v_mfma_f32_4x4x4_16b_f16 a[0:3], v[10:11], v[26:27], a[0:3] cbsz:4 abid:1
	s_waitcnt vmcnt(4)
	v_cvt_pk_f32_fp8_e32 v[26:27], v22
	v_cvt_pk_f32_fp8_sdwa v[28:29], v22 src0_sel:WORD_1
	v_mfma_f32_4x4x4_16b_f16 a[0:3], v[12:13], v[40:41], a[0:3] cbsz:4 abid:1
	v_cvt_pk_f32_fp8_e32 v[40:41], v23
	v_cvt_pk_f32_fp8_sdwa v[22:23], v23 src0_sel:WORD_1
	v_cvt_pkrtz_f16_f32 v26, v26, v27
	v_cvt_pkrtz_f16_f32 v27, v28, v29
	v_cvt_pkrtz_f16_f32 v28, v40, v41
	v_cvt_pkrtz_f16_f32 v29, v22, v23
	v_mfma_f32_4x4x4_16b_f16 a[0:3], v[10:11], v[26:27], a[0:3] cbsz:4 abid:2
	v_cvt_pk_f32_fp8_e32 v[22:23], v24
	v_cvt_pk_f32_fp8_sdwa v[26:27], v24 src0_sel:WORD_1
	v_mfma_f32_4x4x4_16b_f16 a[0:3], v[12:13], v[28:29], a[0:3] cbsz:4 abid:2
	v_cvt_pk_f32_fp8_e32 v[28:29], v25
	v_cvt_pk_f32_fp8_sdwa v[24:25], v25 src0_sel:WORD_1
	v_cvt_pkrtz_f16_f32 v22, v22, v23
	v_cvt_pkrtz_f16_f32 v23, v26, v27
	v_cvt_pkrtz_f16_f32 v26, v28, v29
	v_cvt_pkrtz_f16_f32 v27, v24, v25
	v_mfma_f32_4x4x4_16b_f16 a[0:3], v[10:11], v[22:23], a[0:3] cbsz:4 abid:3
	s_waitcnt vmcnt(3)
	v_cvt_pk_f32_fp8_e32 v[22:23], v18
	v_cvt_pk_f32_fp8_sdwa v[24:25], v18 src0_sel:WORD_1
	v_mfma_f32_4x4x4_16b_f16 a[0:3], v[12:13], v[26:27], a[0:3] cbsz:4 abid:3
	v_cvt_pk_f32_fp8_e32 v[26:27], v19
	v_cvt_pk_f32_fp8_sdwa v[18:19], v19 src0_sel:WORD_1
	v_cvt_pkrtz_f16_f32 v22, v22, v23
	v_cvt_pkrtz_f16_f32 v23, v24, v25
	v_cvt_pkrtz_f16_f32 v24, v26, v27
	v_cvt_pkrtz_f16_f32 v25, v18, v19
	v_mfma_f32_4x4x4_16b_f16 a[0:3], v[10:11], v[22:23], a[0:3] cbsz:4 abid:4
	v_cvt_pk_f32_fp8_e32 v[18:19], v20
	v_cvt_pk_f32_fp8_sdwa v[22:23], v20 src0_sel:WORD_1
	v_mfma_f32_4x4x4_16b_f16 a[0:3], v[12:13], v[24:25], a[0:3] cbsz:4 abid:4
	;; [unrolled: 21-line block ×3, first 2 shown]
	v_cvt_pk_f32_fp8_e32 v[20:21], v17
	v_cvt_pk_f32_fp8_sdwa v[16:17], v17 src0_sel:WORD_1
	s_load_dword s0, s[0:1], 0x1c
	v_cvt_pkrtz_f16_f32 v14, v14, v15
	v_cvt_pkrtz_f16_f32 v15, v18, v19
	s_load_dword s1, s[12:13], 0x0
	v_cvt_pkrtz_f16_f32 v18, v20, v21
	v_mfma_f32_4x4x4_16b_f16 a[0:3], v[10:11], v[14:15], a[0:3] cbsz:4 abid:7
	v_cvt_pkrtz_f16_f32 v19, v16, v17
	s_waitcnt lgkmcnt(0)
	v_mov_b32_e32 v10, s0
	v_cmp_eq_u32_e32 vcc, 1, v33
	v_mfma_f32_4x4x4_16b_f16 a[0:3], v[12:13], v[18:19], a[0:3] cbsz:4 abid:7
	v_mul_f32_e32 v18, s1, v10
	v_mov_b32_e32 v25, 0xff7fffff
	s_nop 2
	v_accvgpr_read_b32 v11, a1
	v_accvgpr_read_b32 v10, a0
	v_pk_mul_f32 v[20:21], v[10:11], v[18:19] op_sel_hi:[1,0]
	global_load_dwordx4 v[14:17], v[36:37], off
	global_load_dwordx4 v[10:13], v[38:39], off
	v_accvgpr_read_b32 v23, a3
	v_accvgpr_read_b32 v22, a2
	v_pk_mul_f32 v[18:19], v[22:23], v[18:19] op_sel_hi:[1,0]
	v_mfma_f32_4x4x1_16b_f32 a[0:3], v20, v31, 0
	v_cndmask_b32_e64 v20, 0, 1.0, vcc
	v_cmp_eq_u32_e32 vcc, 2, v33
	s_nop 0
	v_mfma_f32_4x4x1_16b_f32 a[0:3], v21, v20, a[0:3]
	v_cndmask_b32_e64 v20, 0, 1.0, vcc
	v_cmp_eq_u32_e32 vcc, 3, v33
	s_nop 0
	v_mfma_f32_4x4x1_16b_f32 a[0:3], v18, v20, a[0:3]
	v_cndmask_b32_e64 v18, 0, 1.0, vcc
	s_nop 1
	v_mfma_f32_4x4x1_16b_f32 a[0:3], v19, v18, a[0:3]
	v_and_b32_e32 v18, -4, v34
	v_subrev_u32_e32 v19, s3, v18
	v_add_u32_e32 v20, 1, v19
	v_cvt_f32_i32_e32 v20, v20
	v_add_u32_e32 v21, 2, v19
	v_cvt_f32_i32_e32 v21, v21
	v_accvgpr_read_b32 v22, a0
	v_fma_f32 v20, v30, v20, v22
	v_accvgpr_read_b32 v22, a1
	v_fma_f32 v21, v30, v21, v22
	v_add_u32_e32 v22, 3, v19
	v_cvt_f32_i32_e32 v22, v22
	v_add_u32_e32 v19, 4, v19
	v_max_f32_e32 v24, 0xff7fffff, v20
	v_cmp_gt_i32_e32 vcc, s3, v18
	v_cvt_f32_i32_e32 v19, v19
	v_accvgpr_read_b32 v23, a2
	v_cndmask_b32_e32 v24, v25, v24, vcc
	v_or_b32_e32 v25, 1, v18
	v_max_f32_e32 v26, v24, v21
	v_cmp_gt_i32_e64 s[0:1], s3, v25
	v_fma_f32 v22, v30, v22, v23
	v_or_b32_e32 v18, 2, v18
	v_cndmask_b32_e64 v24, v24, v26, s[0:1]
	v_accvgpr_read_b32 v23, a3
	v_max_f32_e32 v25, v24, v22
	v_cmp_gt_i32_e64 s[8:9], s3, v18
	v_fmac_f32_e32 v23, v30, v19
	v_lshlrev_b32_e32 v19, 2, v0
	v_cndmask_b32_e64 v18, v24, v25, s[8:9]
	v_or_b32_e32 v24, 3, v34
	v_max_f32_e32 v25, v18, v23
	v_cmp_gt_i32_e64 s[10:11], s3, v24
	v_and_or_b32 v19, v19, 48, v33
	s_nop 0
	v_cndmask_b32_e64 v18, v18, v25, s[10:11]
	;;#ASMSTART
	v_nop
 v_nop
 v_max_f32_dpp v18, v18, v18 row_ror:4
	;;#ASMEND
	v_lshlrev_b32_e32 v25, 2, v19
	;;#ASMSTART
	v_nop
 v_nop
 v_max_f32_dpp v18, v18, v18 row_ror:8
	;;#ASMEND
	ds_bpermute_b32 v18, v25, v18
	s_waitcnt lgkmcnt(0)
	;;#ASMSTART
	v_nop
 v_nop
 v_max_f32_dpp v18, v18, v18 row_ror:4
	;;#ASMEND
	s_nop 0
	;;#ASMSTART
	v_nop
 v_nop
 v_max_f32_dpp v24, v18, v18 row_ror:8
	;;#ASMEND
	s_nop 0
	v_sub_f32_e32 v18, v20, v24
	v_mul_f32_e32 v18, 0x3fb8aa3b, v18
	v_sub_f32_e32 v19, v21, v24
	v_exp_f32_e32 v18, v18
	v_mul_f32_e32 v19, 0x3fb8aa3b, v19
	v_sub_f32_e32 v21, v22, v24
	v_exp_f32_e32 v19, v19
	;; [unrolled: 3-line block ×3, first 2 shown]
	v_mul_f32_e32 v22, 0x3fb8aa3b, v22
	v_exp_f32_e32 v22, v22
	v_cndmask_b32_e32 v18, 0, v18, vcc
	v_add_f32_e32 v20, 0, v18
	v_cndmask_b32_e64 v19, 0, v19, s[0:1]
	v_add_f32_e32 v23, v20, v19
	v_cndmask_b32_e64 v20, 0, v21, s[8:9]
	;; [unrolled: 2-line block ×3, first 2 shown]
	v_add_f32_e32 v22, v23, v21
	;;#ASMSTART
	v_nop
 v_nop
 v_add_f32_dpp v22, v22, v22 row_ror:4
	;;#ASMEND
	v_cmp_gt_u32_e32 vcc, 4, v32
	;;#ASMSTART
	v_nop
 v_nop
 v_add_f32_dpp v22, v22, v22 row_ror:8
	;;#ASMEND
	ds_bpermute_b32 v22, v25, v22
	s_waitcnt lgkmcnt(0)
	;;#ASMSTART
	v_nop
 v_nop
 v_add_f32_dpp v22, v22, v22 row_ror:4
	;;#ASMEND
	s_nop 0
	;;#ASMSTART
	v_nop
 v_nop
 v_add_f32_dpp v22, v22, v22 row_ror:8
	;;#ASMEND
	s_and_saveexec_b64 s[0:1], vcc
	s_cbranch_execz .LBB768_18
; %bb.17:
	v_mul_u32_u24_e32 v23, 20, v1
	v_lshl_add_u32 v23, v33, 2, v23
	v_add_u32_e32 v23, 0x800, v23
	ds_write2_b32 v23, v24, v22 offset0:128 offset1:148
.LBB768_18:
	s_or_b64 exec, exec, s[0:1]
.LBB768_19:
	s_or_b64 exec, exec, s[26:27]
	s_waitcnt lgkmcnt(0)
	s_barrier
	s_load_dword s0, s[24:25], 0x8
	v_lshlrev_b32_e32 v22, 2, v33
	v_add_u32_e32 v30, 0x800, v22
	ds_read2_b32 v[22:23], v30 offset0:128 offset1:133
	ds_read2_b32 v[26:27], v30 offset0:138 offset1:143
	s_mul_i32 s1, s33, s2
	s_waitcnt lgkmcnt(0)
	s_mul_i32 s0, s1, s0
	s_mov_b32 s1, 0xff7fffff
	v_max3_f32 v25, v22, s1, v23
	v_max3_f32 v25, v25, v26, v27
	v_sub_f32_e32 v22, v22, v25
	ds_read2_b32 v[28:29], v30 offset0:148 offset1:153
	v_mul_f32_e32 v22, 0x3fb8aa3b, v22
	v_sub_f32_e32 v23, v23, v25
	v_sub_f32_e32 v26, v26, v25
	v_exp_f32_e32 v34, v22
	v_mul_f32_e32 v23, 0x3fb8aa3b, v23
	v_mul_f32_e32 v26, 0x3fb8aa3b, v26
	v_exp_f32_e32 v23, v23
	ds_read2_b32 v[30:31], v30 offset0:158 offset1:163
	v_exp_f32_e32 v35, v26
	v_sub_f32_e32 v26, v27, v25
	v_mul_f32_e32 v26, 0x3fb8aa3b, v26
	v_exp_f32_e32 v27, v26
	s_waitcnt lgkmcnt(1)
	v_fma_f32 v26, v34, v28, 0
	v_fmac_f32_e32 v26, v23, v29
	s_waitcnt lgkmcnt(0)
	v_fmac_f32_e32 v26, v35, v30
	v_mov_b32_e32 v22, 0
	v_fmac_f32_e32 v26, v27, v31
	s_mov_b32 s1, 0
	v_cmp_eq_u32_e32 vcc, 0, v33
	s_and_saveexec_b64 s[2:3], vcc
	s_cbranch_execz .LBB768_21
; %bb.20:
	s_lshl_b64 s[8:9], s[0:1], 2
	s_add_u32 s5, s16, s8
	s_mov_b32 s21, s1
	s_addc_u32 s12, s17, s9
	s_lshl_b64 s[10:11], s[20:21], 2
	s_add_u32 s5, s5, s10
	s_addc_u32 s12, s12, s11
	s_add_u32 s8, s18, s8
	s_addc_u32 s9, s19, s9
	;; [unrolled: 2-line block ×3, first 2 shown]
	s_mul_i32 s8, s33, s4
	s_mov_b32 s9, s1
	s_lshl_b64 s[8:9], s[8:9], 2
	s_add_u32 s10, s5, s8
	s_addc_u32 s11, s12, s9
	s_add_u32 s8, s13, s8
	s_addc_u32 s9, s16, s9
	global_store_dword v22, v25, s[8:9]
	global_store_dword v22, v26, s[10:11]
.LBB768_21:
	s_or_b64 exec, exec, s[2:3]
	v_mov_b32_e32 v23, 0
	s_and_saveexec_b64 s[2:3], s[6:7]
	s_cbranch_execz .LBB768_23
; %bb.22:
	v_add_f32_e32 v22, 0x358637bd, v26
	v_div_scale_f32 v23, s[6:7], v22, v22, 1.0
	v_rcp_f32_e32 v26, v23
	v_div_scale_f32 v27, vcc, 1.0, v22, 1.0
	v_sub_f32_e32 v24, v24, v25
	v_fma_f32 v28, -v23, v26, 1.0
	v_fmac_f32_e32 v26, v28, v26
	v_mul_f32_e32 v28, v27, v26
	v_fma_f32 v29, -v23, v28, v27
	v_mul_f32_e32 v24, 0x3fb8aa3b, v24
	v_fmac_f32_e32 v28, v29, v26
	v_exp_f32_e32 v24, v24
	v_fma_f32 v23, -v23, v28, v27
	v_div_fmas_f32 v23, v23, v26, v28
	v_div_fixup_f32 v22, v23, v22, 1.0
	v_mul_f32_e32 v22, v24, v22
	v_pk_mul_f32 v[20:21], v[20:21], v[22:23] op_sel_hi:[1,0]
	v_pk_mul_f32 v[18:19], v[18:19], v[22:23] op_sel_hi:[1,0]
	v_cvt_f16_f32_e32 v22, v20
	v_cvt_f16_f32_e32 v18, v18
	;; [unrolled: 1-line block ×4, first 2 shown]
	s_waitcnt vmcnt(3)
	v_cvt_pk_f32_fp8_e32 v[20:21], v6
	v_cvt_pk_f32_fp8_e32 v[24:25], v7
	v_pack_b32_f16 v18, v18, v19
	v_pack_b32_f16 v19, v22, v23
	v_cvt_pk_f32_fp8_sdwa v[22:23], v6 src0_sel:WORD_1
	v_cvt_pkrtz_f16_f32 v6, v20, v21
	v_cvt_pk_f32_fp8_sdwa v[20:21], v7 src0_sel:WORD_1
	s_load_dword s6, s[14:15], 0x0
	v_cvt_pkrtz_f16_f32 v7, v22, v23
	v_cvt_pkrtz_f16_f32 v22, v24, v25
	;; [unrolled: 1-line block ×3, first 2 shown]
	v_mfma_f32_4x4x4_16b_f16 a[0:3], v[18:19], v[6:7], 0 cbsz:4
	v_cvt_pk_f32_fp8_e32 v[6:7], v8
	v_cvt_pk_f32_fp8_sdwa v[20:21], v8 src0_sel:WORD_1
	v_mfma_f32_4x4x4_16b_f16 a[0:3], v[18:19], v[22:23], a[0:3] cbsz:4 abid:1
	v_cvt_pk_f32_fp8_e32 v[22:23], v9
	v_cvt_pk_f32_fp8_sdwa v[8:9], v9 src0_sel:WORD_1
	v_cvt_pkrtz_f16_f32 v6, v6, v7
	v_cvt_pkrtz_f16_f32 v7, v20, v21
	;; [unrolled: 1-line block ×4, first 2 shown]
	v_mfma_f32_4x4x4_16b_f16 a[0:3], v[18:19], v[6:7], a[0:3] cbsz:4 abid:2
	s_waitcnt vmcnt(2)
	v_cvt_pk_f32_fp8_e32 v[6:7], v2
	v_cvt_pk_f32_fp8_sdwa v[8:9], v2 src0_sel:WORD_1
	v_mfma_f32_4x4x4_16b_f16 a[0:3], v[18:19], v[20:21], a[0:3] cbsz:4 abid:3
	v_cvt_pk_f32_fp8_e32 v[20:21], v3
	v_cvt_pkrtz_f16_f32 v2, v6, v7
	v_cvt_pk_f32_fp8_sdwa v[6:7], v3 src0_sel:WORD_1
	v_cvt_pkrtz_f16_f32 v3, v8, v9
	v_cvt_pkrtz_f16_f32 v8, v20, v21
	s_mov_b32 s1, 0x5040100
	v_mfma_f32_4x4x4_16b_f16 a[0:3], v[18:19], v[2:3], a[0:3] cbsz:4 abid:4
	v_cvt_pkrtz_f16_f32 v9, v6, v7
	v_cvt_pk_f32_fp8_e32 v[2:3], v4
	v_cvt_pk_f32_fp8_sdwa v[6:7], v4 src0_sel:WORD_1
	v_mfma_f32_4x4x4_16b_f16 a[0:3], v[18:19], v[8:9], a[0:3] cbsz:4 abid:5
	v_cvt_pk_f32_fp8_e32 v[8:9], v5
	v_cvt_pk_f32_fp8_sdwa v[4:5], v5 src0_sel:WORD_1
	v_cvt_pkrtz_f16_f32 v2, v2, v3
	v_cvt_pkrtz_f16_f32 v3, v6, v7
	v_cvt_pkrtz_f16_f32 v6, v8, v9
	v_cvt_pkrtz_f16_f32 v7, v4, v5
	v_mfma_f32_4x4x4_16b_f16 a[0:3], v[18:19], v[2:3], a[0:3] cbsz:4 abid:6
	s_waitcnt vmcnt(1)
	v_cvt_pk_f32_fp8_e32 v[2:3], v14
	v_cvt_pk_f32_fp8_sdwa v[4:5], v14 src0_sel:WORD_1
	v_mfma_f32_4x4x4_16b_f16 a[0:3], v[18:19], v[6:7], a[0:3] cbsz:4 abid:7
	v_cvt_pk_f32_fp8_e32 v[6:7], v15
	v_cvt_pk_f32_fp8_sdwa v[8:9], v15 src0_sel:WORD_1
	v_cvt_pkrtz_f16_f32 v2, v2, v3
	v_cvt_pkrtz_f16_f32 v3, v4, v5
	;; [unrolled: 1-line block ×4, first 2 shown]
	v_mfma_f32_4x4x4_16b_f16 a[0:3], v[18:19], v[2:3], a[0:3] cbsz:4 abid:8
	v_cvt_pk_f32_fp8_e32 v[2:3], v16
	v_cvt_pk_f32_fp8_e32 v[6:7], v17
	v_mfma_f32_4x4x4_16b_f16 a[0:3], v[18:19], v[4:5], a[0:3] cbsz:4 abid:9
	v_cvt_pk_f32_fp8_sdwa v[4:5], v16 src0_sel:WORD_1
	v_cvt_pk_f32_fp8_sdwa v[8:9], v17 src0_sel:WORD_1
	v_cvt_pkrtz_f16_f32 v2, v2, v3
	v_cvt_pkrtz_f16_f32 v3, v4, v5
	;; [unrolled: 1-line block ×3, first 2 shown]
	s_nop 0
	v_mfma_f32_4x4x4_16b_f16 a[0:3], v[18:19], v[2:3], a[0:3] cbsz:4 abid:10
	v_cvt_pkrtz_f16_f32 v5, v8, v9
	s_waitcnt vmcnt(0)
	v_cvt_pk_f32_fp8_e32 v[2:3], v10
	v_cvt_pk_f32_fp8_e32 v[6:7], v11
	v_mfma_f32_4x4x4_16b_f16 a[0:3], v[18:19], v[4:5], a[0:3] cbsz:4 abid:11
	v_cvt_pk_f32_fp8_sdwa v[4:5], v10 src0_sel:WORD_1
	v_cvt_pk_f32_fp8_sdwa v[8:9], v11 src0_sel:WORD_1
	v_cvt_pkrtz_f16_f32 v2, v2, v3
	v_cvt_pkrtz_f16_f32 v3, v4, v5
	;; [unrolled: 1-line block ×3, first 2 shown]
	s_nop 0
	v_mfma_f32_4x4x4_16b_f16 a[0:3], v[18:19], v[2:3], a[0:3] cbsz:4 abid:12
	v_cvt_pkrtz_f16_f32 v5, v8, v9
	v_cvt_pk_f32_fp8_e32 v[2:3], v12
	v_cvt_pk_f32_fp8_e32 v[6:7], v13
	v_mfma_f32_4x4x4_16b_f16 a[0:3], v[18:19], v[4:5], a[0:3] cbsz:4 abid:13
	v_cvt_pk_f32_fp8_sdwa v[4:5], v12 src0_sel:WORD_1
	v_cvt_pk_f32_fp8_sdwa v[8:9], v13 src0_sel:WORD_1
	v_cvt_pkrtz_f16_f32 v2, v2, v3
	v_cvt_pkrtz_f16_f32 v3, v4, v5
	;; [unrolled: 1-line block ×3, first 2 shown]
	s_nop 0
	v_mfma_f32_4x4x4_16b_f16 a[0:3], v[18:19], v[2:3], a[0:3] cbsz:4 abid:14
	v_cvt_pkrtz_f16_f32 v5, v8, v9
	s_nop 1
	v_mfma_f32_4x4x4_16b_f16 a[0:3], v[18:19], v[4:5], a[0:3] cbsz:4 abid:15
	s_nop 4
	v_accvgpr_read_b32 v5, a1
	v_accvgpr_read_b32 v3, a3
	;; [unrolled: 1-line block ×4, first 2 shown]
	s_waitcnt lgkmcnt(0)
	v_pk_mul_f32 v[2:3], v[2:3], s[6:7] op_sel_hi:[1,0]
	v_pk_mul_f32 v[4:5], v[4:5], s[6:7] op_sel_hi:[1,0]
	v_cvt_f16_f32_e32 v2, v2
	v_cvt_f16_f32_e32 v4, v4
	;; [unrolled: 1-line block ×4, first 2 shown]
	v_perm_b32 v22, v5, v4, s1
	v_perm_b32 v23, v3, v2, s1
.LBB768_23:
	s_or_b64 exec, exec, s[2:3]
	v_lshlrev_b32_e32 v1, 3, v1
	v_mad_u32_u24 v1, v32, 40, v1
	v_cmp_gt_u32_e32 vcc, 64, v0
	ds_write_b64 v1, v[22:23]
	s_waitcnt lgkmcnt(0)
	s_barrier
	s_and_saveexec_b64 s[2:3], vcc
	s_cbranch_execz .LBB768_25
; %bb.24:
	v_mul_u32_u24_e32 v1, 40, v32
	s_waitcnt vmcnt(2)
	ds_read2_b64 v[2:5], v1 offset1:1
	ds_read2_b64 v[6:9], v1 offset0:2 offset1:3
	s_lshl_b32 s0, s0, 6
	s_mov_b32 s1, 0
	s_lshl_b64 s[2:3], s[0:1], 1
	s_add_u32 s2, s22, s2
	s_addc_u32 s3, s23, s3
	s_lshl_b32 s0, s20, 6
	s_lshl_b64 s[0:1], s[0:1], 1
	s_waitcnt lgkmcnt(1)
	v_pk_add_f16 v2, v2, 0
	s_add_u32 s0, s2, s0
	s_mul_i32 s2, s4, s33
	v_pk_add_f16 v2, v2, v4
	s_addc_u32 s1, s3, s1
	v_lshl_or_b32 v0, s2, 6, v0
	v_mov_b32_e32 v1, 0
	s_waitcnt lgkmcnt(0)
	v_pk_add_f16 v2, v2, v6
	v_lshl_add_u64 v[0:1], v[0:1], 1, s[0:1]
	v_pk_add_f16 v2, v2, v8
	global_store_short v[0:1], v2, off
.LBB768_25:
	s_endpgm
	.section	.rodata,"a",@progbits
	.p2align	6, 0x0
	.amdhsa_kernel _Z38paged_attention_ll4mi_QKV_mfma4_kernelIDF16_hLN4vllm18Fp8KVCacheDataTypeE1EhLi16ELi64ELi256ELb1ELi1EEvPKT_PKT0_S7_ifPKiS9_S9_iPKfiiiPfSC_PS2_PT2_iSB_SB_
		.amdhsa_group_segment_fixed_size 2720
		.amdhsa_private_segment_fixed_size 0
		.amdhsa_kernarg_size 400
		.amdhsa_user_sgpr_count 2
		.amdhsa_user_sgpr_dispatch_ptr 0
		.amdhsa_user_sgpr_queue_ptr 0
		.amdhsa_user_sgpr_kernarg_segment_ptr 1
		.amdhsa_user_sgpr_dispatch_id 0
		.amdhsa_user_sgpr_kernarg_preload_length 0
		.amdhsa_user_sgpr_kernarg_preload_offset 0
		.amdhsa_user_sgpr_private_segment_size 0
		.amdhsa_uses_dynamic_stack 0
		.amdhsa_enable_private_segment 0
		.amdhsa_system_sgpr_workgroup_id_x 1
		.amdhsa_system_sgpr_workgroup_id_y 1
		.amdhsa_system_sgpr_workgroup_id_z 1
		.amdhsa_system_sgpr_workgroup_info 0
		.amdhsa_system_vgpr_workitem_id 0
		.amdhsa_next_free_vgpr 52
		.amdhsa_next_free_sgpr 42
		.amdhsa_accum_offset 48
		.amdhsa_reserve_vcc 1
		.amdhsa_float_round_mode_32 0
		.amdhsa_float_round_mode_16_64 0
		.amdhsa_float_denorm_mode_32 3
		.amdhsa_float_denorm_mode_16_64 3
		.amdhsa_dx10_clamp 1
		.amdhsa_ieee_mode 1
		.amdhsa_fp16_overflow 0
		.amdhsa_tg_split 0
		.amdhsa_exception_fp_ieee_invalid_op 0
		.amdhsa_exception_fp_denorm_src 0
		.amdhsa_exception_fp_ieee_div_zero 0
		.amdhsa_exception_fp_ieee_overflow 0
		.amdhsa_exception_fp_ieee_underflow 0
		.amdhsa_exception_fp_ieee_inexact 0
		.amdhsa_exception_int_div_zero 0
	.end_amdhsa_kernel
	.section	.text._Z38paged_attention_ll4mi_QKV_mfma4_kernelIDF16_hLN4vllm18Fp8KVCacheDataTypeE1EhLi16ELi64ELi256ELb1ELi1EEvPKT_PKT0_S7_ifPKiS9_S9_iPKfiiiPfSC_PS2_PT2_iSB_SB_,"axG",@progbits,_Z38paged_attention_ll4mi_QKV_mfma4_kernelIDF16_hLN4vllm18Fp8KVCacheDataTypeE1EhLi16ELi64ELi256ELb1ELi1EEvPKT_PKT0_S7_ifPKiS9_S9_iPKfiiiPfSC_PS2_PT2_iSB_SB_,comdat
.Lfunc_end768:
	.size	_Z38paged_attention_ll4mi_QKV_mfma4_kernelIDF16_hLN4vllm18Fp8KVCacheDataTypeE1EhLi16ELi64ELi256ELb1ELi1EEvPKT_PKT0_S7_ifPKiS9_S9_iPKfiiiPfSC_PS2_PT2_iSB_SB_, .Lfunc_end768-_Z38paged_attention_ll4mi_QKV_mfma4_kernelIDF16_hLN4vllm18Fp8KVCacheDataTypeE1EhLi16ELi64ELi256ELb1ELi1EEvPKT_PKT0_S7_ifPKiS9_S9_iPKfiiiPfSC_PS2_PT2_iSB_SB_
                                        ; -- End function
	.section	.AMDGPU.csdata,"",@progbits
; Kernel info:
; codeLenInByte = 3916
; NumSgprs: 48
; NumVgprs: 46
; NumAgprs: 4
; TotalNumVgprs: 52
; ScratchSize: 0
; MemoryBound: 0
; FloatMode: 240
; IeeeMode: 1
; LDSByteSize: 2720 bytes/workgroup (compile time only)
; SGPRBlocks: 5
; VGPRBlocks: 6
; NumSGPRsForWavesPerEU: 48
; NumVGPRsForWavesPerEU: 52
; AccumOffset: 48
; Occupancy: 8
; WaveLimiterHint : 1
; COMPUTE_PGM_RSRC2:SCRATCH_EN: 0
; COMPUTE_PGM_RSRC2:USER_SGPR: 2
; COMPUTE_PGM_RSRC2:TRAP_HANDLER: 0
; COMPUTE_PGM_RSRC2:TGID_X_EN: 1
; COMPUTE_PGM_RSRC2:TGID_Y_EN: 1
; COMPUTE_PGM_RSRC2:TGID_Z_EN: 1
; COMPUTE_PGM_RSRC2:TIDIG_COMP_CNT: 0
; COMPUTE_PGM_RSRC3_GFX90A:ACCUM_OFFSET: 11
; COMPUTE_PGM_RSRC3_GFX90A:TG_SPLIT: 0
	.section	.text._Z38paged_attention_ll4mi_QKV_mfma4_kernelIDF16_hLN4vllm18Fp8KVCacheDataTypeE1EhLi16ELi64ELi256ELb1ELi2EEvPKT_PKT0_S7_ifPKiS9_S9_iPKfiiiPfSC_PS2_PT2_iSB_SB_,"axG",@progbits,_Z38paged_attention_ll4mi_QKV_mfma4_kernelIDF16_hLN4vllm18Fp8KVCacheDataTypeE1EhLi16ELi64ELi256ELb1ELi2EEvPKT_PKT0_S7_ifPKiS9_S9_iPKfiiiPfSC_PS2_PT2_iSB_SB_,comdat
	.protected	_Z38paged_attention_ll4mi_QKV_mfma4_kernelIDF16_hLN4vllm18Fp8KVCacheDataTypeE1EhLi16ELi64ELi256ELb1ELi2EEvPKT_PKT0_S7_ifPKiS9_S9_iPKfiiiPfSC_PS2_PT2_iSB_SB_ ; -- Begin function _Z38paged_attention_ll4mi_QKV_mfma4_kernelIDF16_hLN4vllm18Fp8KVCacheDataTypeE1EhLi16ELi64ELi256ELb1ELi2EEvPKT_PKT0_S7_ifPKiS9_S9_iPKfiiiPfSC_PS2_PT2_iSB_SB_
	.globl	_Z38paged_attention_ll4mi_QKV_mfma4_kernelIDF16_hLN4vllm18Fp8KVCacheDataTypeE1EhLi16ELi64ELi256ELb1ELi2EEvPKT_PKT0_S7_ifPKiS9_S9_iPKfiiiPfSC_PS2_PT2_iSB_SB_
	.p2align	8
	.type	_Z38paged_attention_ll4mi_QKV_mfma4_kernelIDF16_hLN4vllm18Fp8KVCacheDataTypeE1EhLi16ELi64ELi256ELb1ELi2EEvPKT_PKT0_S7_ifPKiS9_S9_iPKfiiiPfSC_PS2_PT2_iSB_SB_,@function
_Z38paged_attention_ll4mi_QKV_mfma4_kernelIDF16_hLN4vllm18Fp8KVCacheDataTypeE1EhLi16ELi64ELi256ELb1ELi2EEvPKT_PKT0_S7_ifPKiS9_S9_iPKfiiiPfSC_PS2_PT2_iSB_SB_: ; @_Z38paged_attention_ll4mi_QKV_mfma4_kernelIDF16_hLN4vllm18Fp8KVCacheDataTypeE1EhLi16ELi64ELi256ELb1ELi2EEvPKT_PKT0_S7_ifPKiS9_S9_iPKfiiiPfSC_PS2_PT2_iSB_SB_
; %bb.0:
	s_load_dwordx2 s[16:17], s[0:1], 0x30
	s_mov_b32 s20, s3
	s_mov_b64 s[6:7], 0
	s_waitcnt lgkmcnt(0)
	s_cmp_lg_u64 s[16:17], 0
	s_cselect_b64 s[18:19], -1, 0
	s_and_b64 vcc, exec, s[18:19]
	s_cbranch_vccz .LBB769_10
; %bb.1:
	s_add_i32 s8, s2, 1
	s_mov_b32 s9, 0
	s_lshl_b64 s[10:11], s[8:9], 2
	s_add_u32 s10, s16, s10
	s_mov_b32 s3, s9
	s_addc_u32 s11, s17, s11
	s_lshl_b64 s[8:9], s[2:3], 2
	s_add_u32 s8, s16, s8
	s_addc_u32 s9, s17, s9
	s_load_dword s5, s[10:11], 0x0
	s_load_dword s12, s[8:9], 0x0
	s_waitcnt lgkmcnt(0)
	s_sub_i32 s5, s5, s12
	s_cmp_eq_u32 s5, 1
	s_cselect_b64 s[8:9], -1, 0
	s_andn2_b64 vcc, exec, s[6:7]
	s_cbranch_vccnz .LBB769_3
.LBB769_2:
	s_mov_b32 s3, 0
	s_mov_b64 s[8:9], -1
.LBB769_3:
	s_andn2_b64 vcc, exec, s[8:9]
	s_cbranch_vccnz .LBB769_25
; %bb.4:
	s_load_dword s5, s[0:1], 0x9c
	s_load_dwordx2 s[6:7], s[0:1], 0x28
	s_add_u32 s24, s0, 0x90
	s_addc_u32 s25, s1, 0
	s_lshl_b64 s[28:29], s[2:3], 2
	s_waitcnt lgkmcnt(0)
	s_and_b32 s5, s5, 0xffff
	s_add_u32 s6, s6, s28
	s_addc_u32 s7, s7, s29
	s_load_dword s3, s[6:7], 0x0
	s_mul_i32 s5, s20, s5
	s_waitcnt lgkmcnt(0)
	s_cmp_ge_i32 s5, s3
	s_cbranch_scc1 .LBB769_25
; %bb.5:
	v_and_b32_e32 v2, 0xc0, v0
	v_add_u32_e32 v4, s5, v2
	v_lshrrev_b32_e32 v1, 6, v0
	v_cmp_gt_i32_e64 s[6:7], s3, v4
	v_cmp_le_i32_e32 vcc, s3, v4
                                        ; implicit-def: $sgpr30
                                        ; implicit-def: $sgpr21
	s_and_saveexec_b64 s[8:9], vcc
	s_xor_b64 s[8:9], exec, s[8:9]
	s_cbranch_execz .LBB769_7
; %bb.6:
	v_mul_u32_u24_e32 v2, 20, v1
	v_or_b32_e32 v2, 0xa00, v2
	v_mov_b32_e32 v3, 0xa50
	v_mov_b32_e32 v4, 0xff7fffff
	v_mad_u32_u24 v3, v1, 20, v3
	ds_write2_b32 v2, v4, v4 offset1:1
	v_mov_b32_e32 v2, 0
	ds_write2_b32 v3, v2, v2 offset1:1
	v_mov_b32_e32 v3, 0xa08
	s_mov_b32 s21, 0xff7fffff
	s_mov_b32 s30, 0
	v_mad_u32_u24 v3, v1, 20, v3
	v_mov_b32_e32 v5, 0xa58
	v_mad_u32_u24 v5, v1, 20, v5
	ds_write2_b32 v3, v4, v4 offset1:1
	ds_write2_b32 v5, v2, v2 offset1:1
                                        ; implicit-def: $vgpr4
.LBB769_7:
	s_or_saveexec_b64 s[26:27], s[8:9]
	s_load_dwordx2 s[22:23], s[0:1], 0x68
	s_load_dwordx4 s[12:15], s[0:1], 0x58
	s_load_dword s33, s[24:25], 0x4
	s_load_dwordx4 s[8:11], s[0:1], 0x80
	v_and_b32_e32 v38, 63, v0
	v_and_b32_e32 v39, 3, v0
	s_lshl_b32 s38, s4, 1
	v_mov_b32_e32 v21, s30
	v_mov_b32_e32 v24, s21
	;; [unrolled: 1-line block ×5, first 2 shown]
                                        ; implicit-def: $vgpr14_vgpr15
                                        ; implicit-def: $vgpr6_vgpr7
                                        ; implicit-def: $vgpr10_vgpr11
                                        ; implicit-def: $vgpr2_vgpr3
	s_xor_b64 exec, exec, s[26:27]
	s_cbranch_execz .LBB769_19
; %bb.8:
	s_load_dwordx2 s[30:31], s[0:1], 0x20
	s_load_dword s21, s[0:1], 0x38
	s_add_i32 s34, s3, 15
	s_ashr_i32 s35, s34, 31
	s_lshr_b32 s35, s35, 28
	v_add_u32_e32 v40, s5, v0
	s_add_i32 s34, s34, s35
	v_ashrrev_i32_e32 v2, 31, v40
	s_ashr_i32 s34, s34, 4
	v_lshrrev_b32_e32 v2, 28, v2
	s_add_i32 s36, s34, -1
	s_waitcnt lgkmcnt(0)
	s_mul_i32 s34, s2, s21
	s_mov_b32 s35, 0
	v_add_u32_e32 v2, v40, v2
	s_lshl_b64 s[34:35], s[34:35], 2
	v_ashrrev_i32_e32 v2, 4, v2
	v_mov_b32_e32 v3, s36
	v_cmp_gt_i32_e32 vcc, s3, v40
	s_add_u32 s30, s30, s34
	s_addc_u32 s31, s31, s35
	v_cndmask_b32_e32 v2, v3, v2, vcc
	v_ashrrev_i32_e32 v3, 31, v2
	v_lshl_add_u64 v[8:9], v[2:3], 2, s[30:31]
	v_ashrrev_i32_e32 v2, 31, v4
	v_lshrrev_b32_e32 v2, 28, v2
	v_add_u32_e32 v2, v4, v2
	v_ashrrev_i32_e32 v4, 4, v2
	v_min_i32_e32 v2, s36, v4
	v_ashrrev_i32_e32 v3, 31, v2
	v_lshl_add_u64 v[10:11], v[2:3], 2, s[30:31]
	v_add_u32_e32 v2, 1, v4
	v_min_i32_e32 v2, s36, v2
	v_ashrrev_i32_e32 v3, 31, v2
	v_lshl_add_u64 v[12:13], v[2:3], 2, s[30:31]
	v_add_u32_e32 v2, 2, v4
	;; [unrolled: 4-line block ×3, first 2 shown]
	v_min_i32_e32 v2, s36, v2
	v_ashrrev_i32_e32 v3, 31, v2
	v_lshl_add_u64 v[16:17], v[2:3], 2, s[30:31]
	global_load_dword v2, v[8:9], off
	global_load_dword v7, v[10:11], off
	;; [unrolled: 1-line block ×5, first 2 shown]
	s_load_dwordx2 s[30:31], s[0:1], 0x8
	s_andn2_b64 vcc, exec, s[18:19]
	s_cbranch_vccnz .LBB769_11
; %bb.9:
	s_add_u32 s16, s16, s28
	s_addc_u32 s17, s17, s29
	s_load_dword s5, s[16:17], 0x0
	s_branch .LBB769_12
.LBB769_10:
	s_mov_b64 s[8:9], 0
	s_branch .LBB769_2
.LBB769_11:
	s_mov_b32 s5, s2
.LBB769_12:
	s_load_dwordx2 s[28:29], s[0:1], 0x10
	s_load_dwordx4 s[16:19], s[0:1], 0x48
	v_cmp_gt_u32_e32 vcc, 2, v39
	s_mov_b32 s37, 0
	v_mov_b32_e32 v3, 0
	v_mov_b32_e32 v18, 0
	;; [unrolled: 1-line block ×5, first 2 shown]
	s_and_saveexec_b64 s[34:35], vcc
	s_cbranch_execz .LBB769_14
; %bb.13:
	s_load_dwordx2 s[40:41], s[0:1], 0x0
	s_waitcnt lgkmcnt(0)
	s_ashr_i32 s19, s16, 31
	s_mul_hi_u32 s21, s5, s16
	s_mul_i32 s19, s5, s19
	s_add_i32 s43, s21, s19
	s_mul_i32 s42, s5, s16
	s_lshl_b64 s[42:43], s[42:43], 1
	s_add_u32 s5, s40, s42
	s_addc_u32 s16, s41, s43
	s_lshl_b32 s36, s4, 7
	s_lshl_b64 s[36:37], s[36:37], 1
	s_add_u32 s36, s5, s36
	v_lshlrev_b32_e32 v8, 3, v39
	v_lshrrev_b32_e32 v9, 2, v38
	s_addc_u32 s37, s16, s37
	v_add_lshl_u32 v8, v8, v9, 4
	global_load_dwordx4 v[18:21], v8, s[36:37]
.LBB769_14:
	s_or_b64 exec, exec, s[34:35]
	s_waitcnt lgkmcnt(0)
	s_mul_i32 s16, s4, s18
	s_add_u32 s4, s16, s30
	s_addc_u32 s5, 0, s31
	v_mov_b64_e32 v[8:9], s[4:5]
	s_waitcnt vmcnt(4)
	v_mad_i64_i32 v[8:9], s[4:5], v2, s17, v[8:9]
	v_lshlrev_b32_e32 v2, 4, v0
	v_and_b32_e32 v2, 0xf0, v2
	v_lshl_add_u64 v[8:9], v[8:9], 0, v[2:3]
	global_load_dwordx4 v[34:37], v[8:9], off
	global_load_dwordx4 v[30:33], v[8:9], off offset:256
	global_load_dwordx4 v[26:29], v[8:9], off offset:512
	;; [unrolled: 1-line block ×3, first 2 shown]
	v_mov_b32_e32 v41, 0
	s_and_saveexec_b64 s[4:5], vcc
	s_cbranch_execz .LBB769_16
; %bb.15:
	s_load_dwordx2 s[18:19], s[0:1], 0x40
	v_or_b32_e32 v8, s38, v39
	v_mov_b32_e32 v9, 0
	s_waitcnt lgkmcnt(0)
	v_lshl_add_u64 v[8:9], v[8:9], 2, s[18:19]
	global_load_dword v41, v[8:9], off
.LBB769_16:
	s_or_b64 exec, exec, s[4:5]
	s_waitcnt vmcnt(7)
	v_mul_hi_i32 v8, v7, s17
	s_add_u32 s4, s28, s16
	v_ashrrev_i32_e32 v8, 31, v8
	s_addc_u32 s5, s29, 0
	v_lshlrev_b32_e32 v2, 4, v38
	v_lshrrev_b32_e32 v10, 29, v8
	v_mov_b32_e32 v11, 0
	v_lshl_add_u64 v[2:3], s[4:5], 0, v[2:3]
	v_mad_i64_i32 v[8:9], s[4:5], v7, s17, v[10:11]
	s_waitcnt vmcnt(6)
	v_mul_hi_i32 v7, v6, s17
	v_ashrrev_i32_e32 v7, 31, v7
	v_lshrrev_b32_e32 v10, 29, v7
	v_mad_i64_i32 v[6:7], s[4:5], v6, s17, v[10:11]
	s_waitcnt vmcnt(5)
	v_mul_hi_i32 v10, v5, s17
	v_and_b32_e32 v8, -8, v8
	v_ashrrev_i32_e32 v10, 31, v10
	v_lshl_add_u64 v[12:13], v[2:3], 0, v[8:9]
	v_and_b32_e32 v6, -8, v6
	v_lshrrev_b32_e32 v10, 29, v10
	v_lshl_add_u64 v[42:43], v[2:3], 0, v[6:7]
	global_load_dwordx4 v[14:17], v[12:13], off
	global_load_dwordx4 v[6:9], v[42:43], off
	v_mad_i64_i32 v[12:13], s[4:5], v5, s17, v[10:11]
	s_waitcnt vmcnt(6)
	v_mul_hi_i32 v5, v4, s17
	v_ashrrev_i32_e32 v5, 31, v5
	v_lshrrev_b32_e32 v10, 29, v5
	v_and_b32_e32 v12, -8, v12
	v_mad_i64_i32 v[4:5], s[4:5], v4, s17, v[10:11]
	s_waitcnt vmcnt(5)
	v_cvt_pk_f32_fp8_e32 v[46:47], v34
	v_lshl_add_u64 v[42:43], v[2:3], 0, v[12:13]
	v_and_b32_e32 v4, -8, v4
	v_lshl_add_u64 v[44:45], v[2:3], 0, v[4:5]
	global_load_dwordx4 v[10:13], v[42:43], off
	global_load_dwordx4 v[2:5], v[44:45], off
	v_cvt_pk_f32_fp8_sdwa v[42:43], v34 src0_sel:WORD_1
	v_cvt_pk_f32_fp8_e32 v[44:45], v35
	v_cvt_pkrtz_f16_f32 v34, v46, v47
	v_cvt_pk_f32_fp8_sdwa v[46:47], v35 src0_sel:WORD_1
	v_cvt_pkrtz_f16_f32 v35, v42, v43
	v_cvt_pkrtz_f16_f32 v42, v44, v45
	v_cvt_pk_f32_fp8_e32 v[44:45], v37
	v_mfma_f32_4x4x4_16b_f16 a[0:3], v[18:19], v[34:35], 0 cbsz:4
	v_cvt_pkrtz_f16_f32 v43, v46, v47
	v_cvt_pk_f32_fp8_e32 v[34:35], v36
	s_load_dword s0, s[0:1], 0x1c
	v_mfma_f32_4x4x4_16b_f16 a[0:3], v[20:21], v[42:43], a[0:3] cbsz:4
	v_cvt_pk_f32_fp8_sdwa v[42:43], v36 src0_sel:WORD_1
	v_cvt_pk_f32_fp8_sdwa v[36:37], v37 src0_sel:WORD_1
	v_cvt_pkrtz_f16_f32 v34, v34, v35
	s_load_dword s1, s[8:9], 0x0
	v_cvt_pkrtz_f16_f32 v35, v42, v43
	v_cvt_pkrtz_f16_f32 v43, v36, v37
	s_waitcnt vmcnt(6)
	v_cvt_pk_f32_fp8_sdwa v[36:37], v30 src0_sel:WORD_1
	v_mfma_f32_4x4x4_16b_f16 a[0:3], v[18:19], v[34:35], a[0:3] cbsz:4 abid:1
	v_cvt_pk_f32_fp8_e32 v[34:35], v30
	v_cvt_pkrtz_f16_f32 v42, v44, v45
	v_cmp_eq_u32_e32 vcc, 0, v39
	v_cvt_pkrtz_f16_f32 v30, v34, v35
	v_cvt_pk_f32_fp8_sdwa v[34:35], v31 src0_sel:WORD_1
	v_mfma_f32_4x4x4_16b_f16 a[0:3], v[20:21], v[42:43], a[0:3] cbsz:4 abid:1
	v_cvt_pk_f32_fp8_e32 v[42:43], v31
	v_cvt_pkrtz_f16_f32 v31, v36, v37
	v_cvt_pkrtz_f16_f32 v37, v34, v35
	v_cvt_pk_f32_fp8_sdwa v[34:35], v32 src0_sel:WORD_1
	v_mfma_f32_4x4x4_16b_f16 a[0:3], v[18:19], v[30:31], a[0:3] cbsz:4 abid:2
	v_cvt_pk_f32_fp8_e32 v[30:31], v32
	v_cvt_pkrtz_f16_f32 v36, v42, v43
	v_cvt_pkrtz_f16_f32 v30, v30, v31
	s_nop 0
	v_mfma_f32_4x4x4_16b_f16 a[0:3], v[20:21], v[36:37], a[0:3] cbsz:4 abid:2
	v_cvt_pk_f32_fp8_e32 v[36:37], v33
	v_cvt_pk_f32_fp8_sdwa v[32:33], v33 src0_sel:WORD_1
	v_cvt_pkrtz_f16_f32 v31, v34, v35
	v_cvt_pkrtz_f16_f32 v34, v36, v37
	s_nop 0
	v_mfma_f32_4x4x4_16b_f16 a[0:3], v[18:19], v[30:31], a[0:3] cbsz:4 abid:3
	s_waitcnt vmcnt(5)
	v_cvt_pk_f32_fp8_e32 v[30:31], v26
	v_cvt_pkrtz_f16_f32 v35, v32, v33
	v_cvt_pk_f32_fp8_sdwa v[32:33], v26 src0_sel:WORD_1
	v_cvt_pkrtz_f16_f32 v26, v30, v31
	v_cvt_pk_f32_fp8_sdwa v[30:31], v27 src0_sel:WORD_1
	v_mfma_f32_4x4x4_16b_f16 a[0:3], v[20:21], v[34:35], a[0:3] cbsz:4 abid:3
	v_cvt_pk_f32_fp8_e32 v[34:35], v27
	v_cvt_pkrtz_f16_f32 v27, v32, v33
	v_cvt_pkrtz_f16_f32 v33, v30, v31
	v_cvt_pk_f32_fp8_sdwa v[30:31], v28 src0_sel:WORD_1
	v_mfma_f32_4x4x4_16b_f16 a[0:3], v[18:19], v[26:27], a[0:3] cbsz:4 abid:4
	v_cvt_pk_f32_fp8_e32 v[26:27], v28
	v_cvt_pkrtz_f16_f32 v32, v34, v35
	v_cvt_pkrtz_f16_f32 v26, v26, v27
	s_nop 0
	v_mfma_f32_4x4x4_16b_f16 a[0:3], v[20:21], v[32:33], a[0:3] cbsz:4 abid:4
	v_cvt_pk_f32_fp8_e32 v[32:33], v29
	v_cvt_pk_f32_fp8_sdwa v[28:29], v29 src0_sel:WORD_1
	v_cvt_pkrtz_f16_f32 v27, v30, v31
	v_cvt_pkrtz_f16_f32 v30, v32, v33
	s_nop 0
	v_mfma_f32_4x4x4_16b_f16 a[0:3], v[18:19], v[26:27], a[0:3] cbsz:4 abid:5
	s_waitcnt vmcnt(4)
	v_cvt_pk_f32_fp8_e32 v[26:27], v22
	v_cvt_pkrtz_f16_f32 v31, v28, v29
	v_cvt_pk_f32_fp8_sdwa v[28:29], v22 src0_sel:WORD_1
	v_cvt_pkrtz_f16_f32 v22, v26, v27
	v_cvt_pk_f32_fp8_sdwa v[26:27], v23 src0_sel:WORD_1
	v_mfma_f32_4x4x4_16b_f16 a[0:3], v[20:21], v[30:31], a[0:3] cbsz:4 abid:5
	v_cvt_pk_f32_fp8_e32 v[30:31], v23
	v_cvt_pkrtz_f16_f32 v23, v28, v29
	v_cvt_pkrtz_f16_f32 v29, v26, v27
	v_cvt_pk_f32_fp8_sdwa v[26:27], v24 src0_sel:WORD_1
	v_mfma_f32_4x4x4_16b_f16 a[0:3], v[18:19], v[22:23], a[0:3] cbsz:4 abid:6
	v_cvt_pk_f32_fp8_e32 v[22:23], v24
	v_cvt_pkrtz_f16_f32 v28, v30, v31
	v_cvt_pkrtz_f16_f32 v22, v22, v23
	s_nop 0
	v_mfma_f32_4x4x4_16b_f16 a[0:3], v[20:21], v[28:29], a[0:3] cbsz:4 abid:6
	v_cvt_pk_f32_fp8_e32 v[28:29], v25
	v_cvt_pk_f32_fp8_sdwa v[24:25], v25 src0_sel:WORD_1
	v_cvt_pkrtz_f16_f32 v23, v26, v27
	v_cvt_pkrtz_f16_f32 v26, v28, v29
	s_nop 0
	v_mfma_f32_4x4x4_16b_f16 a[0:3], v[18:19], v[22:23], a[0:3] cbsz:4 abid:7
	v_cvt_pkrtz_f16_f32 v27, v24, v25
	s_waitcnt lgkmcnt(0)
	v_mov_b32_e32 v18, s0
	v_mov_b32_e32 v25, 0xff7fffff
	v_mfma_f32_4x4x4_16b_f16 a[0:3], v[20:21], v[26:27], a[0:3] cbsz:4 abid:7
	v_mul_f32_e32 v20, s1, v18
	s_nop 3
	v_accvgpr_read_b32 v23, a1
	v_accvgpr_read_b32 v22, a0
	v_pk_mul_f32 v[22:23], v[22:23], v[20:21] op_sel_hi:[1,0]
	v_accvgpr_read_b32 v19, a3
	v_accvgpr_read_b32 v18, a2
	v_pk_mul_f32 v[18:19], v[18:19], v[20:21] op_sel_hi:[1,0]
	v_cndmask_b32_e64 v20, 0, 1.0, vcc
	v_cmp_eq_u32_e32 vcc, 1, v39
	s_nop 0
	v_mfma_f32_4x4x1_16b_f32 a[0:3], v22, v20, 0
	v_cndmask_b32_e64 v20, 0, 1.0, vcc
	v_cmp_eq_u32_e32 vcc, 2, v39
	s_nop 0
	v_mfma_f32_4x4x1_16b_f32 a[0:3], v23, v20, a[0:3]
	;; [unrolled: 4-line block ×3, first 2 shown]
	v_cndmask_b32_e64 v18, 0, 1.0, vcc
	s_nop 1
	v_mfma_f32_4x4x1_16b_f32 a[0:3], v19, v18, a[0:3]
	v_and_b32_e32 v18, -4, v40
	v_subrev_u32_e32 v19, s3, v18
	v_add_u32_e32 v20, 1, v19
	v_cvt_f32_i32_e32 v20, v20
	v_add_u32_e32 v21, 2, v19
	v_cvt_f32_i32_e32 v21, v21
	v_accvgpr_read_b32 v22, a0
	v_fma_f32 v20, v41, v20, v22
	v_accvgpr_read_b32 v22, a1
	v_fma_f32 v21, v41, v21, v22
	v_add_u32_e32 v22, 3, v19
	v_cvt_f32_i32_e32 v22, v22
	v_add_u32_e32 v19, 4, v19
	v_max_f32_e32 v24, 0xff7fffff, v20
	v_cmp_gt_i32_e32 vcc, s3, v18
	v_cvt_f32_i32_e32 v19, v19
	v_accvgpr_read_b32 v23, a2
	v_cndmask_b32_e32 v24, v25, v24, vcc
	v_or_b32_e32 v25, 1, v18
	v_max_f32_e32 v26, v24, v21
	v_cmp_gt_i32_e64 s[0:1], s3, v25
	v_fma_f32 v22, v41, v22, v23
	v_or_b32_e32 v18, 2, v18
	v_cndmask_b32_e64 v24, v24, v26, s[0:1]
	v_accvgpr_read_b32 v23, a3
	v_max_f32_e32 v25, v24, v22
	v_cmp_gt_i32_e64 s[4:5], s3, v18
	v_fmac_f32_e32 v23, v41, v19
	v_lshlrev_b32_e32 v19, 2, v0
	v_cndmask_b32_e64 v18, v24, v25, s[4:5]
	v_or_b32_e32 v24, 3, v40
	v_max_f32_e32 v25, v18, v23
	v_cmp_gt_i32_e64 s[8:9], s3, v24
	v_and_or_b32 v19, v19, 48, v39
	s_nop 0
	v_cndmask_b32_e64 v18, v18, v25, s[8:9]
	;;#ASMSTART
	v_nop
 v_nop
 v_max_f32_dpp v18, v18, v18 row_ror:4
	;;#ASMEND
	v_lshlrev_b32_e32 v25, 2, v19
	;;#ASMSTART
	v_nop
 v_nop
 v_max_f32_dpp v18, v18, v18 row_ror:8
	;;#ASMEND
	ds_bpermute_b32 v18, v25, v18
	s_waitcnt lgkmcnt(0)
	;;#ASMSTART
	v_nop
 v_nop
 v_max_f32_dpp v18, v18, v18 row_ror:4
	;;#ASMEND
	s_nop 0
	;;#ASMSTART
	v_nop
 v_nop
 v_max_f32_dpp v24, v18, v18 row_ror:8
	;;#ASMEND
	s_nop 0
	v_sub_f32_e32 v18, v20, v24
	v_mul_f32_e32 v18, 0x3fb8aa3b, v18
	v_sub_f32_e32 v19, v21, v24
	v_exp_f32_e32 v18, v18
	v_mul_f32_e32 v19, 0x3fb8aa3b, v19
	v_sub_f32_e32 v21, v22, v24
	v_exp_f32_e32 v19, v19
	;; [unrolled: 3-line block ×3, first 2 shown]
	v_mul_f32_e32 v22, 0x3fb8aa3b, v22
	v_exp_f32_e32 v22, v22
	v_cndmask_b32_e32 v18, 0, v18, vcc
	v_add_f32_e32 v20, 0, v18
	v_cndmask_b32_e64 v19, 0, v19, s[0:1]
	v_add_f32_e32 v23, v20, v19
	v_cndmask_b32_e64 v20, 0, v21, s[4:5]
	;; [unrolled: 2-line block ×3, first 2 shown]
	v_add_f32_e32 v22, v23, v21
	;;#ASMSTART
	v_nop
 v_nop
 v_add_f32_dpp v22, v22, v22 row_ror:4
	;;#ASMEND
	v_cmp_gt_u32_e32 vcc, 4, v38
	;;#ASMSTART
	v_nop
 v_nop
 v_add_f32_dpp v22, v22, v22 row_ror:8
	;;#ASMEND
	ds_bpermute_b32 v22, v25, v22
	s_waitcnt lgkmcnt(0)
	;;#ASMSTART
	v_nop
 v_nop
 v_add_f32_dpp v22, v22, v22 row_ror:4
	;;#ASMEND
	s_nop 0
	;;#ASMSTART
	v_nop
 v_nop
 v_add_f32_dpp v22, v22, v22 row_ror:8
	;;#ASMEND
	s_and_saveexec_b64 s[0:1], vcc
	s_cbranch_execz .LBB769_18
; %bb.17:
	v_mul_u32_u24_e32 v23, 20, v1
	v_lshl_add_u32 v23, v39, 2, v23
	v_add_u32_e32 v23, 0x800, v23
	ds_write2_b32 v23, v24, v22 offset0:128 offset1:148
.LBB769_18:
	s_or_b64 exec, exec, s[0:1]
.LBB769_19:
	s_or_b64 exec, exec, s[26:27]
	s_waitcnt lgkmcnt(0)
	s_barrier
	s_load_dword s0, s[24:25], 0x8
	v_lshlrev_b32_e32 v22, 2, v39
	v_add_u32_e32 v30, 0x800, v22
	ds_read2_b32 v[22:23], v30 offset0:128 offset1:133
	ds_read2_b32 v[26:27], v30 offset0:138 offset1:143
	s_mul_i32 s1, s2, s33
	s_waitcnt lgkmcnt(0)
	s_mul_i32 s1, s1, s0
	s_lshl_b32 s0, s1, 1
	s_mov_b32 s1, 0xff7fffff
	v_max3_f32 v25, v22, s1, v23
	v_max3_f32 v25, v25, v26, v27
	v_sub_f32_e32 v22, v22, v25
	v_mul_f32_e32 v22, 0x3fb8aa3b, v22
	ds_read2_b32 v[28:29], v30 offset0:148 offset1:153
	v_exp_f32_e32 v31, v22
	v_sub_f32_e32 v22, v23, v25
	v_sub_f32_e32 v26, v26, v25
	v_mul_f32_e32 v22, 0x3fb8aa3b, v22
	v_mul_f32_e32 v26, 0x3fb8aa3b, v26
	v_exp_f32_e32 v32, v22
	ds_read2_b32 v[22:23], v30 offset0:158 offset1:163
	v_exp_f32_e32 v30, v26
	v_sub_f32_e32 v26, v27, v25
	v_mul_f32_e32 v26, 0x3fb8aa3b, v26
	v_exp_f32_e32 v27, v26
	s_waitcnt lgkmcnt(1)
	v_fma_f32 v26, v31, v28, 0
	v_fmac_f32_e32 v26, v32, v29
	s_waitcnt lgkmcnt(0)
	v_fmac_f32_e32 v26, v30, v22
	v_fmac_f32_e32 v26, v27, v23
	v_cmp_gt_u32_e32 vcc, 2, v39
	s_and_saveexec_b64 s[2:3], vcc
	s_cbranch_execz .LBB769_21
; %bb.20:
	s_mov_b32 s1, 0
	s_lshl_b64 s[4:5], s[0:1], 2
	s_add_u32 s12, s12, s4
	s_mov_b32 s21, s1
	s_addc_u32 s13, s13, s5
	s_lshl_b64 s[8:9], s[20:21], 2
	s_add_u32 s12, s12, s8
	s_addc_u32 s13, s13, s9
	s_add_u32 s1, s14, s4
	s_addc_u32 s5, s15, s5
	v_or_b32_e32 v22, s38, v39
	s_add_u32 s4, s1, s8
	v_mul_lo_u32 v22, s33, v22
	v_mov_b32_e32 v23, 0
	s_addc_u32 s5, s5, s9
	v_lshlrev_b64 v[22:23], 2, v[22:23]
	v_lshl_add_u64 v[28:29], s[12:13], 0, v[22:23]
	v_lshl_add_u64 v[22:23], s[4:5], 0, v[22:23]
	global_store_dword v[22:23], v25, off
	global_store_dword v[28:29], v26, off
.LBB769_21:
	s_or_b64 exec, exec, s[2:3]
	v_mov_b32_e32 v22, 0
	v_mov_b32_e32 v23, 0
	s_and_saveexec_b64 s[2:3], s[6:7]
	s_cbranch_execz .LBB769_23
; %bb.22:
	v_add_f32_e32 v22, 0x358637bd, v26
	v_div_scale_f32 v23, s[4:5], v22, v22, 1.0
	v_rcp_f32_e32 v26, v23
	v_div_scale_f32 v27, vcc, 1.0, v22, 1.0
	v_sub_f32_e32 v24, v24, v25
	v_fma_f32 v28, -v23, v26, 1.0
	v_fmac_f32_e32 v26, v28, v26
	v_mul_f32_e32 v28, v27, v26
	v_fma_f32 v29, -v23, v28, v27
	v_mul_f32_e32 v24, 0x3fb8aa3b, v24
	v_fmac_f32_e32 v28, v29, v26
	v_exp_f32_e32 v24, v24
	v_fma_f32 v23, -v23, v28, v27
	v_div_fmas_f32 v23, v23, v26, v28
	v_div_fixup_f32 v22, v23, v22, 1.0
	v_mul_f32_e32 v22, v24, v22
	v_pk_mul_f32 v[20:21], v[20:21], v[22:23] op_sel_hi:[1,0]
	v_pk_mul_f32 v[18:19], v[18:19], v[22:23] op_sel_hi:[1,0]
	v_cvt_f16_f32_e32 v22, v20
	v_cvt_f16_f32_e32 v18, v18
	;; [unrolled: 1-line block ×4, first 2 shown]
	s_waitcnt vmcnt(3)
	v_cvt_pk_f32_fp8_e32 v[20:21], v14
	v_cvt_pk_f32_fp8_e32 v[24:25], v15
	v_pack_b32_f16 v18, v18, v19
	v_pack_b32_f16 v19, v22, v23
	v_cvt_pk_f32_fp8_sdwa v[22:23], v14 src0_sel:WORD_1
	v_cvt_pkrtz_f16_f32 v14, v20, v21
	v_cvt_pk_f32_fp8_sdwa v[20:21], v15 src0_sel:WORD_1
	s_load_dword s4, s[10:11], 0x0
	v_cvt_pkrtz_f16_f32 v15, v22, v23
	v_cvt_pkrtz_f16_f32 v22, v24, v25
	;; [unrolled: 1-line block ×3, first 2 shown]
	v_mfma_f32_4x4x4_16b_f16 a[0:3], v[18:19], v[14:15], 0 cbsz:4
	v_cvt_pk_f32_fp8_e32 v[14:15], v16
	v_cvt_pk_f32_fp8_sdwa v[20:21], v16 src0_sel:WORD_1
	v_mfma_f32_4x4x4_16b_f16 a[0:3], v[18:19], v[22:23], a[0:3] cbsz:4 abid:1
	v_cvt_pk_f32_fp8_e32 v[22:23], v17
	v_cvt_pk_f32_fp8_sdwa v[16:17], v17 src0_sel:WORD_1
	v_cvt_pkrtz_f16_f32 v14, v14, v15
	v_cvt_pkrtz_f16_f32 v15, v20, v21
	v_cvt_pkrtz_f16_f32 v20, v22, v23
	v_cvt_pkrtz_f16_f32 v21, v16, v17
	v_mfma_f32_4x4x4_16b_f16 a[0:3], v[18:19], v[14:15], a[0:3] cbsz:4 abid:2
	s_waitcnt vmcnt(2)
	v_cvt_pk_f32_fp8_e32 v[14:15], v6
	v_cvt_pk_f32_fp8_sdwa v[16:17], v6 src0_sel:WORD_1
	v_mfma_f32_4x4x4_16b_f16 a[0:3], v[18:19], v[20:21], a[0:3] cbsz:4 abid:3
	v_cvt_pk_f32_fp8_e32 v[20:21], v7
	v_cvt_pkrtz_f16_f32 v6, v14, v15
	v_cvt_pk_f32_fp8_sdwa v[14:15], v7 src0_sel:WORD_1
	v_cvt_pkrtz_f16_f32 v7, v16, v17
	v_cvt_pkrtz_f16_f32 v16, v20, v21
	s_mov_b32 s1, 0x5040100
	v_mfma_f32_4x4x4_16b_f16 a[0:3], v[18:19], v[6:7], a[0:3] cbsz:4 abid:4
	v_cvt_pkrtz_f16_f32 v17, v14, v15
	v_cvt_pk_f32_fp8_e32 v[6:7], v8
	v_cvt_pk_f32_fp8_sdwa v[14:15], v8 src0_sel:WORD_1
	v_mfma_f32_4x4x4_16b_f16 a[0:3], v[18:19], v[16:17], a[0:3] cbsz:4 abid:5
	v_cvt_pk_f32_fp8_e32 v[16:17], v9
	v_cvt_pk_f32_fp8_sdwa v[8:9], v9 src0_sel:WORD_1
	v_cvt_pkrtz_f16_f32 v6, v6, v7
	v_cvt_pkrtz_f16_f32 v7, v14, v15
	;; [unrolled: 1-line block ×4, first 2 shown]
	v_mfma_f32_4x4x4_16b_f16 a[0:3], v[18:19], v[6:7], a[0:3] cbsz:4 abid:6
	s_waitcnt vmcnt(1)
	v_cvt_pk_f32_fp8_e32 v[6:7], v10
	v_cvt_pk_f32_fp8_sdwa v[8:9], v10 src0_sel:WORD_1
	v_mfma_f32_4x4x4_16b_f16 a[0:3], v[18:19], v[14:15], a[0:3] cbsz:4 abid:7
	v_cvt_pk_f32_fp8_e32 v[14:15], v11
	v_cvt_pk_f32_fp8_sdwa v[10:11], v11 src0_sel:WORD_1
	v_cvt_pkrtz_f16_f32 v6, v6, v7
	v_cvt_pkrtz_f16_f32 v7, v8, v9
	;; [unrolled: 1-line block ×4, first 2 shown]
	v_mfma_f32_4x4x4_16b_f16 a[0:3], v[18:19], v[6:7], a[0:3] cbsz:4 abid:8
	v_cvt_pk_f32_fp8_e32 v[6:7], v12
	v_cvt_pk_f32_fp8_e32 v[10:11], v13
	v_mfma_f32_4x4x4_16b_f16 a[0:3], v[18:19], v[8:9], a[0:3] cbsz:4 abid:9
	v_cvt_pk_f32_fp8_sdwa v[8:9], v12 src0_sel:WORD_1
	v_cvt_pk_f32_fp8_sdwa v[12:13], v13 src0_sel:WORD_1
	v_cvt_pkrtz_f16_f32 v6, v6, v7
	v_cvt_pkrtz_f16_f32 v7, v8, v9
	;; [unrolled: 1-line block ×3, first 2 shown]
	s_nop 0
	v_mfma_f32_4x4x4_16b_f16 a[0:3], v[18:19], v[6:7], a[0:3] cbsz:4 abid:10
	s_waitcnt vmcnt(0)
	v_cvt_pk_f32_fp8_e32 v[6:7], v2
	v_cvt_pkrtz_f16_f32 v9, v12, v13
	v_cvt_pk_f32_fp8_e32 v[10:11], v3
	s_nop 0
	v_mfma_f32_4x4x4_16b_f16 a[0:3], v[18:19], v[8:9], a[0:3] cbsz:4 abid:11
	v_cvt_pk_f32_fp8_sdwa v[8:9], v2 src0_sel:WORD_1
	v_cvt_pkrtz_f16_f32 v2, v6, v7
	v_cvt_pk_f32_fp8_sdwa v[6:7], v3 src0_sel:WORD_1
	v_cvt_pkrtz_f16_f32 v3, v8, v9
	v_cvt_pkrtz_f16_f32 v8, v10, v11
	s_nop 0
	v_mfma_f32_4x4x4_16b_f16 a[0:3], v[18:19], v[2:3], a[0:3] cbsz:4 abid:12
	v_cvt_pkrtz_f16_f32 v9, v6, v7
	v_cvt_pk_f32_fp8_e32 v[2:3], v4
	v_cvt_pk_f32_fp8_sdwa v[6:7], v4 src0_sel:WORD_1
	v_mfma_f32_4x4x4_16b_f16 a[0:3], v[18:19], v[8:9], a[0:3] cbsz:4 abid:13
	v_cvt_pk_f32_fp8_e32 v[8:9], v5
	v_cvt_pk_f32_fp8_sdwa v[4:5], v5 src0_sel:WORD_1
	v_cvt_pkrtz_f16_f32 v2, v2, v3
	v_cvt_pkrtz_f16_f32 v3, v6, v7
	;; [unrolled: 1-line block ×4, first 2 shown]
	v_mfma_f32_4x4x4_16b_f16 a[0:3], v[18:19], v[2:3], a[0:3] cbsz:4 abid:14
	s_nop 1
	v_mfma_f32_4x4x4_16b_f16 a[0:3], v[18:19], v[6:7], a[0:3] cbsz:4 abid:15
	s_nop 4
	v_accvgpr_read_b32 v5, a1
	v_accvgpr_read_b32 v3, a3
	;; [unrolled: 1-line block ×4, first 2 shown]
	s_waitcnt lgkmcnt(0)
	v_pk_mul_f32 v[2:3], v[2:3], s[4:5] op_sel_hi:[1,0]
	v_pk_mul_f32 v[4:5], v[4:5], s[4:5] op_sel_hi:[1,0]
	v_cvt_f16_f32_e32 v2, v2
	v_cvt_f16_f32_e32 v4, v4
	;; [unrolled: 1-line block ×4, first 2 shown]
	v_perm_b32 v22, v5, v4, s1
	v_perm_b32 v23, v3, v2, s1
.LBB769_23:
	s_or_b64 exec, exec, s[2:3]
	v_lshlrev_b32_e32 v1, 3, v1
	v_mad_u32_u24 v1, v38, 40, v1
	v_cmp_gt_u32_e32 vcc, 64, v0
	ds_write_b64 v1, v[22:23]
	s_waitcnt lgkmcnt(0)
	s_barrier
	s_and_saveexec_b64 s[2:3], vcc
	s_cbranch_execz .LBB769_25
; %bb.24:
	s_mov_b32 s1, 0
	s_lshl_b32 s0, s0, 6
	v_mul_u32_u24_e32 v1, 40, v38
	s_lshl_b64 s[2:3], s[0:1], 1
	s_waitcnt vmcnt(0)
	ds_read2_b64 v[2:5], v1 offset1:1
	ds_read2_b64 v[6:9], v1 offset0:2 offset1:3
	s_add_u32 s2, s22, s2
	s_addc_u32 s3, s23, s3
	s_lshl_b32 s0, s20, 6
	s_lshl_b64 s[0:1], s[0:1], 1
	s_add_u32 s0, s2, s0
	s_addc_u32 s1, s3, s1
	s_lshl_b32 s2, s33, 6
	s_waitcnt lgkmcnt(1)
	v_pk_add_f16 v1, v2, 0
	s_mul_i32 s3, s2, s38
	v_pk_add_f16 v1, v1, v4
	v_or_b32_e32 v2, s3, v0
	v_mov_b32_e32 v3, 0
	s_add_i32 s3, s3, s2
	s_waitcnt lgkmcnt(0)
	v_pk_add_f16 v1, v1, v6
	v_lshl_add_u64 v[4:5], v[2:3], 1, s[0:1]
	v_or_b32_e32 v2, s3, v0
	v_pk_add_f16 v6, v1, v8
	v_lshl_add_u64 v[0:1], v[2:3], 1, s[0:1]
	global_store_short v[4:5], v6, off
	global_store_short_d16_hi v[0:1], v6, off
.LBB769_25:
	s_endpgm
	.section	.rodata,"a",@progbits
	.p2align	6, 0x0
	.amdhsa_kernel _Z38paged_attention_ll4mi_QKV_mfma4_kernelIDF16_hLN4vllm18Fp8KVCacheDataTypeE1EhLi16ELi64ELi256ELb1ELi2EEvPKT_PKT0_S7_ifPKiS9_S9_iPKfiiiPfSC_PS2_PT2_iSB_SB_
		.amdhsa_group_segment_fixed_size 2720
		.amdhsa_private_segment_fixed_size 0
		.amdhsa_kernarg_size 400
		.amdhsa_user_sgpr_count 2
		.amdhsa_user_sgpr_dispatch_ptr 0
		.amdhsa_user_sgpr_queue_ptr 0
		.amdhsa_user_sgpr_kernarg_segment_ptr 1
		.amdhsa_user_sgpr_dispatch_id 0
		.amdhsa_user_sgpr_kernarg_preload_length 0
		.amdhsa_user_sgpr_kernarg_preload_offset 0
		.amdhsa_user_sgpr_private_segment_size 0
		.amdhsa_uses_dynamic_stack 0
		.amdhsa_enable_private_segment 0
		.amdhsa_system_sgpr_workgroup_id_x 1
		.amdhsa_system_sgpr_workgroup_id_y 1
		.amdhsa_system_sgpr_workgroup_id_z 1
		.amdhsa_system_sgpr_workgroup_info 0
		.amdhsa_system_vgpr_workitem_id 0
		.amdhsa_next_free_vgpr 52
		.amdhsa_next_free_sgpr 44
		.amdhsa_accum_offset 48
		.amdhsa_reserve_vcc 1
		.amdhsa_float_round_mode_32 0
		.amdhsa_float_round_mode_16_64 0
		.amdhsa_float_denorm_mode_32 3
		.amdhsa_float_denorm_mode_16_64 3
		.amdhsa_dx10_clamp 1
		.amdhsa_ieee_mode 1
		.amdhsa_fp16_overflow 0
		.amdhsa_tg_split 0
		.amdhsa_exception_fp_ieee_invalid_op 0
		.amdhsa_exception_fp_denorm_src 0
		.amdhsa_exception_fp_ieee_div_zero 0
		.amdhsa_exception_fp_ieee_overflow 0
		.amdhsa_exception_fp_ieee_underflow 0
		.amdhsa_exception_fp_ieee_inexact 0
		.amdhsa_exception_int_div_zero 0
	.end_amdhsa_kernel
	.section	.text._Z38paged_attention_ll4mi_QKV_mfma4_kernelIDF16_hLN4vllm18Fp8KVCacheDataTypeE1EhLi16ELi64ELi256ELb1ELi2EEvPKT_PKT0_S7_ifPKiS9_S9_iPKfiiiPfSC_PS2_PT2_iSB_SB_,"axG",@progbits,_Z38paged_attention_ll4mi_QKV_mfma4_kernelIDF16_hLN4vllm18Fp8KVCacheDataTypeE1EhLi16ELi64ELi256ELb1ELi2EEvPKT_PKT0_S7_ifPKiS9_S9_iPKfiiiPfSC_PS2_PT2_iSB_SB_,comdat
.Lfunc_end769:
	.size	_Z38paged_attention_ll4mi_QKV_mfma4_kernelIDF16_hLN4vllm18Fp8KVCacheDataTypeE1EhLi16ELi64ELi256ELb1ELi2EEvPKT_PKT0_S7_ifPKiS9_S9_iPKfiiiPfSC_PS2_PT2_iSB_SB_, .Lfunc_end769-_Z38paged_attention_ll4mi_QKV_mfma4_kernelIDF16_hLN4vllm18Fp8KVCacheDataTypeE1EhLi16ELi64ELi256ELb1ELi2EEvPKT_PKT0_S7_ifPKiS9_S9_iPKfiiiPfSC_PS2_PT2_iSB_SB_
                                        ; -- End function
	.section	.AMDGPU.csdata,"",@progbits
; Kernel info:
; codeLenInByte = 4000
; NumSgprs: 50
; NumVgprs: 48
; NumAgprs: 4
; TotalNumVgprs: 52
; ScratchSize: 0
; MemoryBound: 0
; FloatMode: 240
; IeeeMode: 1
; LDSByteSize: 2720 bytes/workgroup (compile time only)
; SGPRBlocks: 6
; VGPRBlocks: 6
; NumSGPRsForWavesPerEU: 50
; NumVGPRsForWavesPerEU: 52
; AccumOffset: 48
; Occupancy: 8
; WaveLimiterHint : 1
; COMPUTE_PGM_RSRC2:SCRATCH_EN: 0
; COMPUTE_PGM_RSRC2:USER_SGPR: 2
; COMPUTE_PGM_RSRC2:TRAP_HANDLER: 0
; COMPUTE_PGM_RSRC2:TGID_X_EN: 1
; COMPUTE_PGM_RSRC2:TGID_Y_EN: 1
; COMPUTE_PGM_RSRC2:TGID_Z_EN: 1
; COMPUTE_PGM_RSRC2:TIDIG_COMP_CNT: 0
; COMPUTE_PGM_RSRC3_GFX90A:ACCUM_OFFSET: 11
; COMPUTE_PGM_RSRC3_GFX90A:TG_SPLIT: 0
	.section	.text._Z38paged_attention_ll4mi_QKV_mfma4_kernelIDF16_hLN4vllm18Fp8KVCacheDataTypeE1EhLi16ELi64ELi256ELb1ELi3EEvPKT_PKT0_S7_ifPKiS9_S9_iPKfiiiPfSC_PS2_PT2_iSB_SB_,"axG",@progbits,_Z38paged_attention_ll4mi_QKV_mfma4_kernelIDF16_hLN4vllm18Fp8KVCacheDataTypeE1EhLi16ELi64ELi256ELb1ELi3EEvPKT_PKT0_S7_ifPKiS9_S9_iPKfiiiPfSC_PS2_PT2_iSB_SB_,comdat
	.protected	_Z38paged_attention_ll4mi_QKV_mfma4_kernelIDF16_hLN4vllm18Fp8KVCacheDataTypeE1EhLi16ELi64ELi256ELb1ELi3EEvPKT_PKT0_S7_ifPKiS9_S9_iPKfiiiPfSC_PS2_PT2_iSB_SB_ ; -- Begin function _Z38paged_attention_ll4mi_QKV_mfma4_kernelIDF16_hLN4vllm18Fp8KVCacheDataTypeE1EhLi16ELi64ELi256ELb1ELi3EEvPKT_PKT0_S7_ifPKiS9_S9_iPKfiiiPfSC_PS2_PT2_iSB_SB_
	.globl	_Z38paged_attention_ll4mi_QKV_mfma4_kernelIDF16_hLN4vllm18Fp8KVCacheDataTypeE1EhLi16ELi64ELi256ELb1ELi3EEvPKT_PKT0_S7_ifPKiS9_S9_iPKfiiiPfSC_PS2_PT2_iSB_SB_
	.p2align	8
	.type	_Z38paged_attention_ll4mi_QKV_mfma4_kernelIDF16_hLN4vllm18Fp8KVCacheDataTypeE1EhLi16ELi64ELi256ELb1ELi3EEvPKT_PKT0_S7_ifPKiS9_S9_iPKfiiiPfSC_PS2_PT2_iSB_SB_,@function
_Z38paged_attention_ll4mi_QKV_mfma4_kernelIDF16_hLN4vllm18Fp8KVCacheDataTypeE1EhLi16ELi64ELi256ELb1ELi3EEvPKT_PKT0_S7_ifPKiS9_S9_iPKfiiiPfSC_PS2_PT2_iSB_SB_: ; @_Z38paged_attention_ll4mi_QKV_mfma4_kernelIDF16_hLN4vllm18Fp8KVCacheDataTypeE1EhLi16ELi64ELi256ELb1ELi3EEvPKT_PKT0_S7_ifPKiS9_S9_iPKfiiiPfSC_PS2_PT2_iSB_SB_
; %bb.0:
	s_load_dwordx2 s[16:17], s[0:1], 0x30
	s_mov_b32 s20, s3
	s_mov_b64 s[6:7], 0
	s_waitcnt lgkmcnt(0)
	s_cmp_lg_u64 s[16:17], 0
	s_cselect_b64 s[18:19], -1, 0
	s_and_b64 vcc, exec, s[18:19]
	s_cbranch_vccz .LBB770_10
; %bb.1:
	s_add_i32 s8, s2, 1
	s_mov_b32 s9, 0
	s_lshl_b64 s[10:11], s[8:9], 2
	s_add_u32 s10, s16, s10
	s_mov_b32 s3, s9
	s_addc_u32 s11, s17, s11
	s_lshl_b64 s[8:9], s[2:3], 2
	s_add_u32 s8, s16, s8
	s_addc_u32 s9, s17, s9
	s_load_dword s5, s[10:11], 0x0
	s_load_dword s12, s[8:9], 0x0
	s_waitcnt lgkmcnt(0)
	s_sub_i32 s5, s5, s12
	s_cmp_eq_u32 s5, 1
	s_cselect_b64 s[8:9], -1, 0
	s_andn2_b64 vcc, exec, s[6:7]
	s_cbranch_vccnz .LBB770_3
.LBB770_2:
	s_mov_b32 s3, 0
	s_mov_b64 s[8:9], -1
.LBB770_3:
	s_andn2_b64 vcc, exec, s[8:9]
	s_cbranch_vccnz .LBB770_25
; %bb.4:
	s_load_dword s5, s[0:1], 0x9c
	s_load_dwordx2 s[6:7], s[0:1], 0x28
	s_add_u32 s24, s0, 0x90
	s_addc_u32 s25, s1, 0
	s_lshl_b64 s[28:29], s[2:3], 2
	s_waitcnt lgkmcnt(0)
	s_and_b32 s5, s5, 0xffff
	s_add_u32 s6, s6, s28
	s_addc_u32 s7, s7, s29
	s_load_dword s3, s[6:7], 0x0
	s_mul_i32 s5, s20, s5
	s_waitcnt lgkmcnt(0)
	s_cmp_ge_i32 s5, s3
	s_cbranch_scc1 .LBB770_25
; %bb.5:
	v_and_b32_e32 v2, 0xc0, v0
	v_add_u32_e32 v4, s5, v2
	v_lshrrev_b32_e32 v1, 6, v0
	v_cmp_gt_i32_e64 s[6:7], s3, v4
	v_cmp_le_i32_e32 vcc, s3, v4
                                        ; implicit-def: $sgpr30
                                        ; implicit-def: $sgpr21
	s_and_saveexec_b64 s[8:9], vcc
	s_xor_b64 s[8:9], exec, s[8:9]
	s_cbranch_execz .LBB770_7
; %bb.6:
	v_mul_u32_u24_e32 v2, 20, v1
	v_or_b32_e32 v2, 0xa00, v2
	v_mov_b32_e32 v3, 0xa50
	v_mov_b32_e32 v4, 0xff7fffff
	v_mad_u32_u24 v3, v1, 20, v3
	ds_write2_b32 v2, v4, v4 offset1:1
	v_mov_b32_e32 v2, 0
	ds_write2_b32 v3, v2, v2 offset1:1
	v_mov_b32_e32 v3, 0xa08
	s_mov_b32 s21, 0xff7fffff
	s_mov_b32 s30, 0
	v_mad_u32_u24 v3, v1, 20, v3
	v_mov_b32_e32 v5, 0xa58
	v_mad_u32_u24 v5, v1, 20, v5
	ds_write2_b32 v3, v4, v4 offset1:1
	ds_write2_b32 v5, v2, v2 offset1:1
                                        ; implicit-def: $vgpr4
.LBB770_7:
	s_or_saveexec_b64 s[26:27], s[8:9]
	s_load_dwordx2 s[22:23], s[0:1], 0x68
	s_load_dwordx4 s[12:15], s[0:1], 0x58
	s_load_dword s33, s[24:25], 0x4
	s_load_dwordx4 s[8:11], s[0:1], 0x80
	v_and_b32_e32 v32, 63, v0
	v_and_b32_e32 v33, 3, v0
	s_mul_i32 s38, s4, 3
	v_mov_b32_e32 v21, s30
	v_mov_b32_e32 v24, s21
	;; [unrolled: 1-line block ×5, first 2 shown]
                                        ; implicit-def: $vgpr6_vgpr7
                                        ; implicit-def: $vgpr2_vgpr3
                                        ; implicit-def: $vgpr14_vgpr15
                                        ; implicit-def: $vgpr10_vgpr11
	s_xor_b64 exec, exec, s[26:27]
	s_cbranch_execz .LBB770_19
; %bb.8:
	s_load_dwordx2 s[30:31], s[0:1], 0x20
	s_load_dword s21, s[0:1], 0x38
	s_add_i32 s34, s3, 15
	s_ashr_i32 s35, s34, 31
	s_lshr_b32 s35, s35, 28
	v_add_u32_e32 v34, s5, v0
	s_add_i32 s34, s34, s35
	v_ashrrev_i32_e32 v2, 31, v34
	s_ashr_i32 s34, s34, 4
	v_lshrrev_b32_e32 v2, 28, v2
	s_add_i32 s36, s34, -1
	s_waitcnt lgkmcnt(0)
	s_mul_i32 s34, s2, s21
	s_mov_b32 s35, 0
	v_add_u32_e32 v2, v34, v2
	s_lshl_b64 s[34:35], s[34:35], 2
	v_ashrrev_i32_e32 v2, 4, v2
	v_mov_b32_e32 v3, s36
	v_cmp_gt_i32_e32 vcc, s3, v34
	s_add_u32 s30, s30, s34
	s_addc_u32 s31, s31, s35
	v_cndmask_b32_e32 v2, v3, v2, vcc
	v_ashrrev_i32_e32 v3, 31, v2
	v_lshl_add_u64 v[6:7], v[2:3], 2, s[30:31]
	v_ashrrev_i32_e32 v2, 31, v4
	v_lshrrev_b32_e32 v2, 28, v2
	v_add_u32_e32 v2, v4, v2
	v_ashrrev_i32_e32 v4, 4, v2
	v_min_i32_e32 v2, s36, v4
	v_ashrrev_i32_e32 v3, 31, v2
	v_lshl_add_u64 v[8:9], v[2:3], 2, s[30:31]
	v_add_u32_e32 v2, 1, v4
	v_min_i32_e32 v2, s36, v2
	v_ashrrev_i32_e32 v3, 31, v2
	v_lshl_add_u64 v[10:11], v[2:3], 2, s[30:31]
	v_add_u32_e32 v2, 2, v4
	;; [unrolled: 4-line block ×3, first 2 shown]
	v_min_i32_e32 v2, s36, v2
	v_ashrrev_i32_e32 v3, 31, v2
	v_lshl_add_u64 v[14:15], v[2:3], 2, s[30:31]
	global_load_dword v2, v[6:7], off
	global_load_dword v5, v[8:9], off
	;; [unrolled: 1-line block ×5, first 2 shown]
	s_load_dwordx2 s[30:31], s[0:1], 0x8
	s_andn2_b64 vcc, exec, s[18:19]
	s_cbranch_vccnz .LBB770_11
; %bb.9:
	s_add_u32 s16, s16, s28
	s_addc_u32 s17, s17, s29
	s_load_dword s5, s[16:17], 0x0
	s_branch .LBB770_12
.LBB770_10:
	s_mov_b64 s[8:9], 0
	s_branch .LBB770_2
.LBB770_11:
	s_mov_b32 s5, s2
.LBB770_12:
	s_load_dwordx2 s[28:29], s[0:1], 0x10
	s_load_dwordx4 s[16:19], s[0:1], 0x48
	v_cmp_ne_u32_e32 vcc, 3, v33
	s_mov_b32 s37, 0
	v_mov_b32_e32 v3, 0
	v_mov_b32_e32 v10, 0
	;; [unrolled: 1-line block ×5, first 2 shown]
	s_and_saveexec_b64 s[34:35], vcc
	s_cbranch_execz .LBB770_14
; %bb.13:
	s_load_dwordx2 s[40:41], s[0:1], 0x0
	s_waitcnt lgkmcnt(0)
	s_ashr_i32 s19, s16, 31
	s_mul_hi_u32 s21, s5, s16
	s_mul_i32 s19, s5, s19
	s_add_i32 s43, s21, s19
	s_mul_i32 s42, s5, s16
	s_lshl_b64 s[42:43], s[42:43], 1
	s_add_u32 s5, s40, s42
	s_mul_i32 s36, s4, 0xc0
	s_addc_u32 s16, s41, s43
	s_lshl_b64 s[36:37], s[36:37], 1
	s_add_u32 s36, s5, s36
	v_lshlrev_b32_e32 v6, 3, v33
	v_lshrrev_b32_e32 v7, 2, v32
	s_addc_u32 s37, s16, s37
	v_add_lshl_u32 v6, v6, v7, 4
	global_load_dwordx4 v[10:13], v6, s[36:37]
.LBB770_14:
	s_or_b64 exec, exec, s[34:35]
	s_waitcnt lgkmcnt(0)
	s_mul_i32 s16, s4, s18
	s_add_u32 s4, s16, s30
	s_addc_u32 s5, 0, s31
	v_mov_b64_e32 v[6:7], s[4:5]
	s_waitcnt vmcnt(4)
	v_mad_i64_i32 v[6:7], s[4:5], v2, s17, v[6:7]
	v_lshlrev_b32_e32 v2, 4, v0
	v_and_b32_e32 v2, 0xf0, v2
	v_lshl_add_u64 v[6:7], v[6:7], 0, v[2:3]
	global_load_dwordx4 v[26:29], v[6:7], off
	global_load_dwordx4 v[22:25], v[6:7], off offset:256
	global_load_dwordx4 v[18:21], v[6:7], off offset:512
	;; [unrolled: 1-line block ×3, first 2 shown]
	v_mov_b32_e32 v31, 1.0
	v_mov_b32_e32 v30, 0
	s_and_saveexec_b64 s[4:5], vcc
	s_cbranch_execz .LBB770_16
; %bb.15:
	s_load_dwordx2 s[18:19], s[0:1], 0x40
	v_add_u32_e32 v30, s38, v33
	v_mov_b32_e32 v31, 0
	s_waitcnt lgkmcnt(0)
	v_lshl_add_u64 v[6:7], v[30:31], 2, s[18:19]
	global_load_dword v30, v[6:7], off
.LBB770_16:
	s_or_b64 exec, exec, s[4:5]
	s_add_u32 s4, s28, s16
	s_addc_u32 s5, s29, 0
	v_lshlrev_b32_e32 v2, 4, v32
	v_lshl_add_u64 v[38:39], s[4:5], 0, v[2:3]
	s_waitcnt vmcnt(7)
	v_mul_hi_i32 v2, v5, s17
	v_ashrrev_i32_e32 v2, 31, v2
	v_lshrrev_b32_e32 v40, 29, v2
	v_mov_b32_e32 v41, 0
	v_mad_i64_i32 v[2:3], s[4:5], v5, s17, v[40:41]
	v_and_b32_e32 v2, -8, v2
	v_lshl_add_u64 v[42:43], v[38:39], 0, v[2:3]
	s_waitcnt vmcnt(6)
	v_mul_hi_i32 v2, v4, s17
	v_ashrrev_i32_e32 v2, 31, v2
	s_waitcnt vmcnt(5)
	v_mul_hi_i32 v37, v36, s17
	v_lshrrev_b32_e32 v40, 29, v2
	v_ashrrev_i32_e32 v37, 31, v37
	v_mad_i64_i32 v[2:3], s[4:5], v4, s17, v[40:41]
	v_lshrrev_b32_e32 v40, 29, v37
	v_mad_i64_i32 v[36:37], s[4:5], v36, s17, v[40:41]
	s_waitcnt vmcnt(4)
	v_mul_hi_i32 v40, v35, s17
	v_ashrrev_i32_e32 v40, 31, v40
	v_and_b32_e32 v2, -8, v2
	v_lshrrev_b32_e32 v40, 29, v40
	v_lshl_add_u64 v[44:45], v[38:39], 0, v[2:3]
	global_load_dwordx4 v[6:9], v[42:43], off
	global_load_dwordx4 v[2:5], v[44:45], off
	v_mad_i64_i32 v[40:41], s[4:5], v35, s17, v[40:41]
	s_waitcnt vmcnt(5)
	v_cvt_pk_f32_fp8_e32 v[42:43], v26
	v_and_b32_e32 v36, -8, v36
	v_and_b32_e32 v40, -8, v40
	v_lshl_add_u64 v[36:37], v[38:39], 0, v[36:37]
	v_lshl_add_u64 v[38:39], v[38:39], 0, v[40:41]
	v_cvt_pk_f32_fp8_sdwa v[40:41], v26 src0_sel:WORD_1
	v_cvt_pk_f32_fp8_e32 v[44:45], v27
	v_cvt_pkrtz_f16_f32 v26, v42, v43
	v_cvt_pk_f32_fp8_sdwa v[42:43], v27 src0_sel:WORD_1
	v_cvt_pkrtz_f16_f32 v27, v40, v41
	v_cvt_pkrtz_f16_f32 v40, v44, v45
	s_load_dword s0, s[0:1], 0x1c
	v_mfma_f32_4x4x4_16b_f16 a[0:3], v[10:11], v[26:27], 0 cbsz:4
	v_cvt_pkrtz_f16_f32 v41, v42, v43
	v_cvt_pk_f32_fp8_e32 v[26:27], v28
	v_cvt_pk_f32_fp8_e32 v[42:43], v29
	v_mfma_f32_4x4x4_16b_f16 a[0:3], v[12:13], v[40:41], a[0:3] cbsz:4
	v_cvt_pk_f32_fp8_sdwa v[40:41], v28 src0_sel:WORD_1
	v_cvt_pk_f32_fp8_sdwa v[28:29], v29 src0_sel:WORD_1
	v_cvt_pkrtz_f16_f32 v26, v26, v27
	s_load_dword s1, s[8:9], 0x0
	v_cvt_pkrtz_f16_f32 v27, v40, v41
	v_cvt_pkrtz_f16_f32 v41, v28, v29
	s_waitcnt vmcnt(4)
	v_cvt_pk_f32_fp8_sdwa v[28:29], v22 src0_sel:WORD_1
	v_mfma_f32_4x4x4_16b_f16 a[0:3], v[10:11], v[26:27], a[0:3] cbsz:4 abid:1
	v_cvt_pk_f32_fp8_e32 v[26:27], v22
	v_cvt_pkrtz_f16_f32 v40, v42, v43
	v_cmp_eq_u32_e32 vcc, 0, v33
	v_cvt_pkrtz_f16_f32 v22, v26, v27
	v_cvt_pk_f32_fp8_sdwa v[26:27], v23 src0_sel:WORD_1
	v_mfma_f32_4x4x4_16b_f16 a[0:3], v[12:13], v[40:41], a[0:3] cbsz:4 abid:1
	v_cvt_pk_f32_fp8_e32 v[40:41], v23
	v_cvt_pkrtz_f16_f32 v23, v28, v29
	v_cvt_pkrtz_f16_f32 v29, v26, v27
	v_cvt_pk_f32_fp8_sdwa v[26:27], v24 src0_sel:WORD_1
	v_mfma_f32_4x4x4_16b_f16 a[0:3], v[10:11], v[22:23], a[0:3] cbsz:4 abid:2
	v_cvt_pk_f32_fp8_e32 v[22:23], v24
	v_cvt_pkrtz_f16_f32 v28, v40, v41
	v_cvt_pkrtz_f16_f32 v22, v22, v23
	s_nop 0
	v_mfma_f32_4x4x4_16b_f16 a[0:3], v[12:13], v[28:29], a[0:3] cbsz:4 abid:2
	v_cvt_pk_f32_fp8_e32 v[28:29], v25
	v_cvt_pk_f32_fp8_sdwa v[24:25], v25 src0_sel:WORD_1
	v_cvt_pkrtz_f16_f32 v23, v26, v27
	v_cvt_pkrtz_f16_f32 v26, v28, v29
	s_nop 0
	v_mfma_f32_4x4x4_16b_f16 a[0:3], v[10:11], v[22:23], a[0:3] cbsz:4 abid:3
	s_waitcnt vmcnt(3)
	v_cvt_pk_f32_fp8_e32 v[22:23], v18
	v_cvt_pkrtz_f16_f32 v27, v24, v25
	v_cvt_pk_f32_fp8_sdwa v[24:25], v18 src0_sel:WORD_1
	v_cvt_pkrtz_f16_f32 v18, v22, v23
	v_cvt_pk_f32_fp8_sdwa v[22:23], v19 src0_sel:WORD_1
	v_mfma_f32_4x4x4_16b_f16 a[0:3], v[12:13], v[26:27], a[0:3] cbsz:4 abid:3
	v_cvt_pk_f32_fp8_e32 v[26:27], v19
	v_cvt_pkrtz_f16_f32 v19, v24, v25
	v_cvt_pkrtz_f16_f32 v25, v22, v23
	v_cvt_pk_f32_fp8_sdwa v[22:23], v20 src0_sel:WORD_1
	v_mfma_f32_4x4x4_16b_f16 a[0:3], v[10:11], v[18:19], a[0:3] cbsz:4 abid:4
	v_cvt_pk_f32_fp8_e32 v[18:19], v20
	v_cvt_pkrtz_f16_f32 v24, v26, v27
	v_cvt_pkrtz_f16_f32 v18, v18, v19
	s_nop 0
	v_mfma_f32_4x4x4_16b_f16 a[0:3], v[12:13], v[24:25], a[0:3] cbsz:4 abid:4
	v_cvt_pk_f32_fp8_e32 v[24:25], v21
	v_cvt_pk_f32_fp8_sdwa v[20:21], v21 src0_sel:WORD_1
	v_cvt_pkrtz_f16_f32 v19, v22, v23
	v_cvt_pkrtz_f16_f32 v22, v24, v25
	s_nop 0
	v_mfma_f32_4x4x4_16b_f16 a[0:3], v[10:11], v[18:19], a[0:3] cbsz:4 abid:5
	s_waitcnt vmcnt(2)
	v_cvt_pk_f32_fp8_e32 v[18:19], v14
	v_cvt_pkrtz_f16_f32 v23, v20, v21
	v_cvt_pk_f32_fp8_sdwa v[20:21], v14 src0_sel:WORD_1
	v_mov_b32_e32 v25, 0xff7fffff
	v_cvt_pkrtz_f16_f32 v14, v18, v19
	v_cvt_pk_f32_fp8_sdwa v[18:19], v15 src0_sel:WORD_1
	v_mfma_f32_4x4x4_16b_f16 a[0:3], v[12:13], v[22:23], a[0:3] cbsz:4 abid:5
	v_cvt_pk_f32_fp8_e32 v[22:23], v15
	v_cvt_pkrtz_f16_f32 v15, v20, v21
	v_cvt_pkrtz_f16_f32 v21, v18, v19
	v_cvt_pk_f32_fp8_sdwa v[18:19], v16 src0_sel:WORD_1
	v_mfma_f32_4x4x4_16b_f16 a[0:3], v[10:11], v[14:15], a[0:3] cbsz:4 abid:6
	v_cvt_pk_f32_fp8_e32 v[14:15], v16
	v_cvt_pkrtz_f16_f32 v20, v22, v23
	v_cvt_pkrtz_f16_f32 v14, v14, v15
	s_nop 0
	v_mfma_f32_4x4x4_16b_f16 a[0:3], v[12:13], v[20:21], a[0:3] cbsz:4 abid:6
	v_cvt_pk_f32_fp8_e32 v[20:21], v17
	v_cvt_pk_f32_fp8_sdwa v[16:17], v17 src0_sel:WORD_1
	v_cvt_pkrtz_f16_f32 v15, v18, v19
	v_cvt_pkrtz_f16_f32 v18, v20, v21
	s_nop 0
	v_mfma_f32_4x4x4_16b_f16 a[0:3], v[10:11], v[14:15], a[0:3] cbsz:4 abid:7
	v_cvt_pkrtz_f16_f32 v19, v16, v17
	s_waitcnt lgkmcnt(0)
	v_mov_b32_e32 v10, s0
	v_mfma_f32_4x4x4_16b_f16 a[0:3], v[12:13], v[18:19], a[0:3] cbsz:4 abid:7
	v_mul_f32_e32 v12, s1, v10
	s_nop 3
	v_accvgpr_read_b32 v15, a1
	v_accvgpr_read_b32 v14, a0
	v_pk_mul_f32 v[14:15], v[14:15], v[12:13] op_sel_hi:[1,0]
	v_accvgpr_read_b32 v11, a3
	v_accvgpr_read_b32 v10, a2
	v_pk_mul_f32 v[18:19], v[10:11], v[12:13] op_sel_hi:[1,0]
	v_cndmask_b32_e64 v10, 0, 1.0, vcc
	v_cmp_eq_u32_e32 vcc, 1, v33
	s_nop 0
	v_mfma_f32_4x4x1_16b_f32 a[0:3], v14, v10, 0
	v_cndmask_b32_e64 v10, 0, 1.0, vcc
	v_cmp_eq_u32_e32 vcc, 2, v33
	s_nop 0
	v_mfma_f32_4x4x1_16b_f32 a[0:3], v15, v10, a[0:3]
	v_cndmask_b32_e64 v10, 0, 1.0, vcc
	s_nop 1
	v_mfma_f32_4x4x1_16b_f32 a[0:3], v18, v10, a[0:3]
	global_load_dwordx4 v[14:17], v[36:37], off
	global_load_dwordx4 v[10:13], v[38:39], off
	v_and_b32_e32 v18, -4, v34
	v_mfma_f32_4x4x1_16b_f32 a[0:3], v19, v31, a[0:3]
	v_subrev_u32_e32 v19, s3, v18
	v_add_u32_e32 v20, 1, v19
	v_cvt_f32_i32_e32 v20, v20
	v_add_u32_e32 v21, 2, v19
	v_cvt_f32_i32_e32 v21, v21
	v_accvgpr_read_b32 v22, a0
	v_fma_f32 v20, v30, v20, v22
	v_accvgpr_read_b32 v22, a1
	v_fma_f32 v21, v30, v21, v22
	v_add_u32_e32 v22, 3, v19
	v_cvt_f32_i32_e32 v22, v22
	v_add_u32_e32 v19, 4, v19
	v_max_f32_e32 v24, 0xff7fffff, v20
	v_cmp_gt_i32_e32 vcc, s3, v18
	v_cvt_f32_i32_e32 v19, v19
	v_accvgpr_read_b32 v23, a2
	v_cndmask_b32_e32 v24, v25, v24, vcc
	v_or_b32_e32 v25, 1, v18
	v_max_f32_e32 v26, v24, v21
	v_cmp_gt_i32_e64 s[0:1], s3, v25
	v_fma_f32 v22, v30, v22, v23
	v_or_b32_e32 v18, 2, v18
	v_cndmask_b32_e64 v24, v24, v26, s[0:1]
	v_accvgpr_read_b32 v23, a3
	v_max_f32_e32 v25, v24, v22
	v_cmp_gt_i32_e64 s[4:5], s3, v18
	v_fmac_f32_e32 v23, v30, v19
	v_lshlrev_b32_e32 v19, 2, v0
	v_cndmask_b32_e64 v18, v24, v25, s[4:5]
	v_or_b32_e32 v24, 3, v34
	v_max_f32_e32 v25, v18, v23
	v_cmp_gt_i32_e64 s[8:9], s3, v24
	v_and_or_b32 v19, v19, 48, v33
	s_nop 0
	v_cndmask_b32_e64 v18, v18, v25, s[8:9]
	;;#ASMSTART
	v_nop
 v_nop
 v_max_f32_dpp v18, v18, v18 row_ror:4
	;;#ASMEND
	v_lshlrev_b32_e32 v25, 2, v19
	;;#ASMSTART
	v_nop
 v_nop
 v_max_f32_dpp v18, v18, v18 row_ror:8
	;;#ASMEND
	ds_bpermute_b32 v18, v25, v18
	s_waitcnt lgkmcnt(0)
	;;#ASMSTART
	v_nop
 v_nop
 v_max_f32_dpp v18, v18, v18 row_ror:4
	;;#ASMEND
	s_nop 0
	;;#ASMSTART
	v_nop
 v_nop
 v_max_f32_dpp v24, v18, v18 row_ror:8
	;;#ASMEND
	s_nop 0
	v_sub_f32_e32 v18, v20, v24
	v_mul_f32_e32 v18, 0x3fb8aa3b, v18
	v_sub_f32_e32 v19, v21, v24
	v_exp_f32_e32 v18, v18
	v_mul_f32_e32 v19, 0x3fb8aa3b, v19
	v_sub_f32_e32 v21, v22, v24
	v_exp_f32_e32 v19, v19
	;; [unrolled: 3-line block ×3, first 2 shown]
	v_mul_f32_e32 v22, 0x3fb8aa3b, v22
	v_exp_f32_e32 v22, v22
	v_cndmask_b32_e32 v18, 0, v18, vcc
	v_add_f32_e32 v20, 0, v18
	v_cndmask_b32_e64 v19, 0, v19, s[0:1]
	v_add_f32_e32 v23, v20, v19
	v_cndmask_b32_e64 v20, 0, v21, s[4:5]
	;; [unrolled: 2-line block ×3, first 2 shown]
	v_add_f32_e32 v22, v23, v21
	;;#ASMSTART
	v_nop
 v_nop
 v_add_f32_dpp v22, v22, v22 row_ror:4
	;;#ASMEND
	v_cmp_gt_u32_e32 vcc, 4, v32
	;;#ASMSTART
	v_nop
 v_nop
 v_add_f32_dpp v22, v22, v22 row_ror:8
	;;#ASMEND
	ds_bpermute_b32 v22, v25, v22
	s_waitcnt lgkmcnt(0)
	;;#ASMSTART
	v_nop
 v_nop
 v_add_f32_dpp v22, v22, v22 row_ror:4
	;;#ASMEND
	s_nop 0
	;;#ASMSTART
	v_nop
 v_nop
 v_add_f32_dpp v22, v22, v22 row_ror:8
	;;#ASMEND
	s_and_saveexec_b64 s[0:1], vcc
	s_cbranch_execz .LBB770_18
; %bb.17:
	v_mul_u32_u24_e32 v23, 20, v1
	v_lshl_add_u32 v23, v33, 2, v23
	v_add_u32_e32 v23, 0x800, v23
	ds_write2_b32 v23, v24, v22 offset0:128 offset1:148
.LBB770_18:
	s_or_b64 exec, exec, s[0:1]
.LBB770_19:
	s_or_b64 exec, exec, s[26:27]
	s_waitcnt lgkmcnt(0)
	s_barrier
	s_load_dword s0, s[24:25], 0x8
	v_lshlrev_b32_e32 v22, 2, v33
	v_add_u32_e32 v30, 0x800, v22
	ds_read2_b32 v[22:23], v30 offset0:128 offset1:133
	ds_read2_b32 v[26:27], v30 offset0:138 offset1:143
	s_mul_i32 s1, s2, s33
	s_waitcnt lgkmcnt(0)
	s_mul_i32 s0, s1, s0
	s_mov_b32 s1, 0xff7fffff
	v_max3_f32 v25, v22, s1, v23
	v_max3_f32 v25, v25, v26, v27
	v_sub_f32_e32 v22, v22, v25
	v_mul_f32_e32 v22, 0x3fb8aa3b, v22
	ds_read2_b32 v[28:29], v30 offset0:148 offset1:153
	v_exp_f32_e32 v31, v22
	v_sub_f32_e32 v22, v23, v25
	v_sub_f32_e32 v26, v26, v25
	v_mul_f32_e32 v22, 0x3fb8aa3b, v22
	v_mul_f32_e32 v26, 0x3fb8aa3b, v26
	v_exp_f32_e32 v34, v22
	ds_read2_b32 v[22:23], v30 offset0:158 offset1:163
	v_exp_f32_e32 v30, v26
	v_sub_f32_e32 v26, v27, v25
	v_mul_f32_e32 v26, 0x3fb8aa3b, v26
	v_exp_f32_e32 v27, v26
	s_waitcnt lgkmcnt(1)
	v_fma_f32 v26, v31, v28, 0
	v_fmac_f32_e32 v26, v34, v29
	s_waitcnt lgkmcnt(0)
	v_fmac_f32_e32 v26, v30, v22
	s_mul_i32 s0, s0, 3
	v_fmac_f32_e32 v26, v27, v23
	v_cmp_ne_u32_e32 vcc, 3, v33
	s_and_saveexec_b64 s[2:3], vcc
	s_cbranch_execz .LBB770_21
; %bb.20:
	s_mov_b32 s1, 0
	s_lshl_b64 s[4:5], s[0:1], 2
	s_add_u32 s12, s12, s4
	s_mov_b32 s21, s1
	s_addc_u32 s13, s13, s5
	s_lshl_b64 s[8:9], s[20:21], 2
	s_add_u32 s12, s12, s8
	s_addc_u32 s13, s13, s9
	s_add_u32 s1, s14, s4
	s_addc_u32 s5, s15, s5
	v_add_u32_e32 v22, s38, v33
	s_add_u32 s4, s1, s8
	v_mul_lo_u32 v22, s33, v22
	v_mov_b32_e32 v23, 0
	s_addc_u32 s5, s5, s9
	v_lshlrev_b64 v[22:23], 2, v[22:23]
	v_lshl_add_u64 v[28:29], s[12:13], 0, v[22:23]
	v_lshl_add_u64 v[22:23], s[4:5], 0, v[22:23]
	global_store_dword v[22:23], v25, off
	global_store_dword v[28:29], v26, off
.LBB770_21:
	s_or_b64 exec, exec, s[2:3]
	v_mov_b32_e32 v22, 0
	v_mov_b32_e32 v23, 0
	s_and_saveexec_b64 s[2:3], s[6:7]
	s_cbranch_execz .LBB770_23
; %bb.22:
	v_add_f32_e32 v22, 0x358637bd, v26
	v_div_scale_f32 v23, s[4:5], v22, v22, 1.0
	v_rcp_f32_e32 v26, v23
	v_div_scale_f32 v27, vcc, 1.0, v22, 1.0
	v_sub_f32_e32 v24, v24, v25
	v_fma_f32 v28, -v23, v26, 1.0
	v_fmac_f32_e32 v26, v28, v26
	v_mul_f32_e32 v28, v27, v26
	v_fma_f32 v29, -v23, v28, v27
	v_mul_f32_e32 v24, 0x3fb8aa3b, v24
	v_fmac_f32_e32 v28, v29, v26
	v_exp_f32_e32 v24, v24
	v_fma_f32 v23, -v23, v28, v27
	v_div_fmas_f32 v23, v23, v26, v28
	v_div_fixup_f32 v22, v23, v22, 1.0
	v_mul_f32_e32 v22, v24, v22
	v_pk_mul_f32 v[20:21], v[20:21], v[22:23] op_sel_hi:[1,0]
	v_pk_mul_f32 v[18:19], v[18:19], v[22:23] op_sel_hi:[1,0]
	v_cvt_f16_f32_e32 v22, v20
	v_cvt_f16_f32_e32 v18, v18
	;; [unrolled: 1-line block ×4, first 2 shown]
	s_waitcnt vmcnt(3)
	v_cvt_pk_f32_fp8_e32 v[20:21], v6
	v_cvt_pk_f32_fp8_e32 v[24:25], v7
	v_pack_b32_f16 v18, v18, v19
	v_pack_b32_f16 v19, v22, v23
	v_cvt_pk_f32_fp8_sdwa v[22:23], v6 src0_sel:WORD_1
	v_cvt_pkrtz_f16_f32 v6, v20, v21
	v_cvt_pk_f32_fp8_sdwa v[20:21], v7 src0_sel:WORD_1
	s_load_dword s4, s[10:11], 0x0
	v_cvt_pkrtz_f16_f32 v7, v22, v23
	v_cvt_pkrtz_f16_f32 v22, v24, v25
	;; [unrolled: 1-line block ×3, first 2 shown]
	v_mfma_f32_4x4x4_16b_f16 a[0:3], v[18:19], v[6:7], 0 cbsz:4
	v_cvt_pk_f32_fp8_e32 v[6:7], v8
	v_cvt_pk_f32_fp8_sdwa v[20:21], v8 src0_sel:WORD_1
	v_mfma_f32_4x4x4_16b_f16 a[0:3], v[18:19], v[22:23], a[0:3] cbsz:4 abid:1
	v_cvt_pk_f32_fp8_e32 v[22:23], v9
	v_cvt_pk_f32_fp8_sdwa v[8:9], v9 src0_sel:WORD_1
	v_cvt_pkrtz_f16_f32 v6, v6, v7
	v_cvt_pkrtz_f16_f32 v7, v20, v21
	;; [unrolled: 1-line block ×4, first 2 shown]
	v_mfma_f32_4x4x4_16b_f16 a[0:3], v[18:19], v[6:7], a[0:3] cbsz:4 abid:2
	s_waitcnt vmcnt(2)
	v_cvt_pk_f32_fp8_e32 v[6:7], v2
	v_cvt_pk_f32_fp8_sdwa v[8:9], v2 src0_sel:WORD_1
	v_mfma_f32_4x4x4_16b_f16 a[0:3], v[18:19], v[20:21], a[0:3] cbsz:4 abid:3
	v_cvt_pk_f32_fp8_e32 v[20:21], v3
	v_cvt_pkrtz_f16_f32 v2, v6, v7
	v_cvt_pk_f32_fp8_sdwa v[6:7], v3 src0_sel:WORD_1
	v_cvt_pkrtz_f16_f32 v3, v8, v9
	v_cvt_pkrtz_f16_f32 v8, v20, v21
	s_mov_b32 s1, 0x5040100
	v_mfma_f32_4x4x4_16b_f16 a[0:3], v[18:19], v[2:3], a[0:3] cbsz:4 abid:4
	v_cvt_pkrtz_f16_f32 v9, v6, v7
	v_cvt_pk_f32_fp8_e32 v[2:3], v4
	v_cvt_pk_f32_fp8_sdwa v[6:7], v4 src0_sel:WORD_1
	v_mfma_f32_4x4x4_16b_f16 a[0:3], v[18:19], v[8:9], a[0:3] cbsz:4 abid:5
	v_cvt_pk_f32_fp8_e32 v[8:9], v5
	v_cvt_pk_f32_fp8_sdwa v[4:5], v5 src0_sel:WORD_1
	v_cvt_pkrtz_f16_f32 v2, v2, v3
	v_cvt_pkrtz_f16_f32 v3, v6, v7
	;; [unrolled: 1-line block ×4, first 2 shown]
	v_mfma_f32_4x4x4_16b_f16 a[0:3], v[18:19], v[2:3], a[0:3] cbsz:4 abid:6
	s_waitcnt vmcnt(1)
	v_cvt_pk_f32_fp8_e32 v[2:3], v14
	v_cvt_pk_f32_fp8_sdwa v[4:5], v14 src0_sel:WORD_1
	v_mfma_f32_4x4x4_16b_f16 a[0:3], v[18:19], v[6:7], a[0:3] cbsz:4 abid:7
	v_cvt_pk_f32_fp8_e32 v[6:7], v15
	v_cvt_pk_f32_fp8_sdwa v[8:9], v15 src0_sel:WORD_1
	v_cvt_pkrtz_f16_f32 v2, v2, v3
	v_cvt_pkrtz_f16_f32 v3, v4, v5
	;; [unrolled: 1-line block ×4, first 2 shown]
	v_mfma_f32_4x4x4_16b_f16 a[0:3], v[18:19], v[2:3], a[0:3] cbsz:4 abid:8
	v_cvt_pk_f32_fp8_e32 v[2:3], v16
	v_cvt_pk_f32_fp8_e32 v[6:7], v17
	v_mfma_f32_4x4x4_16b_f16 a[0:3], v[18:19], v[4:5], a[0:3] cbsz:4 abid:9
	v_cvt_pk_f32_fp8_sdwa v[4:5], v16 src0_sel:WORD_1
	v_cvt_pk_f32_fp8_sdwa v[8:9], v17 src0_sel:WORD_1
	v_cvt_pkrtz_f16_f32 v2, v2, v3
	v_cvt_pkrtz_f16_f32 v3, v4, v5
	;; [unrolled: 1-line block ×3, first 2 shown]
	s_nop 0
	v_mfma_f32_4x4x4_16b_f16 a[0:3], v[18:19], v[2:3], a[0:3] cbsz:4 abid:10
	v_cvt_pkrtz_f16_f32 v5, v8, v9
	s_waitcnt vmcnt(0)
	v_cvt_pk_f32_fp8_e32 v[2:3], v10
	v_cvt_pk_f32_fp8_e32 v[6:7], v11
	v_mfma_f32_4x4x4_16b_f16 a[0:3], v[18:19], v[4:5], a[0:3] cbsz:4 abid:11
	v_cvt_pk_f32_fp8_sdwa v[4:5], v10 src0_sel:WORD_1
	v_cvt_pk_f32_fp8_sdwa v[8:9], v11 src0_sel:WORD_1
	v_cvt_pkrtz_f16_f32 v2, v2, v3
	v_cvt_pkrtz_f16_f32 v3, v4, v5
	;; [unrolled: 1-line block ×3, first 2 shown]
	s_nop 0
	v_mfma_f32_4x4x4_16b_f16 a[0:3], v[18:19], v[2:3], a[0:3] cbsz:4 abid:12
	v_cvt_pkrtz_f16_f32 v5, v8, v9
	v_cvt_pk_f32_fp8_e32 v[2:3], v12
	v_cvt_pk_f32_fp8_e32 v[6:7], v13
	v_mfma_f32_4x4x4_16b_f16 a[0:3], v[18:19], v[4:5], a[0:3] cbsz:4 abid:13
	v_cvt_pk_f32_fp8_sdwa v[4:5], v12 src0_sel:WORD_1
	v_cvt_pk_f32_fp8_sdwa v[8:9], v13 src0_sel:WORD_1
	v_cvt_pkrtz_f16_f32 v2, v2, v3
	v_cvt_pkrtz_f16_f32 v3, v4, v5
	;; [unrolled: 1-line block ×3, first 2 shown]
	s_nop 0
	v_mfma_f32_4x4x4_16b_f16 a[0:3], v[18:19], v[2:3], a[0:3] cbsz:4 abid:14
	v_cvt_pkrtz_f16_f32 v5, v8, v9
	s_nop 1
	v_mfma_f32_4x4x4_16b_f16 a[0:3], v[18:19], v[4:5], a[0:3] cbsz:4 abid:15
	s_nop 4
	v_accvgpr_read_b32 v5, a1
	v_accvgpr_read_b32 v3, a3
	;; [unrolled: 1-line block ×4, first 2 shown]
	s_waitcnt lgkmcnt(0)
	v_pk_mul_f32 v[2:3], v[2:3], s[4:5] op_sel_hi:[1,0]
	v_pk_mul_f32 v[4:5], v[4:5], s[4:5] op_sel_hi:[1,0]
	v_cvt_f16_f32_e32 v2, v2
	v_cvt_f16_f32_e32 v4, v4
	;; [unrolled: 1-line block ×4, first 2 shown]
	v_perm_b32 v22, v5, v4, s1
	v_perm_b32 v23, v3, v2, s1
.LBB770_23:
	s_or_b64 exec, exec, s[2:3]
	v_lshlrev_b32_e32 v1, 3, v1
	v_mad_u32_u24 v1, v32, 40, v1
	v_cmp_gt_u32_e32 vcc, 64, v0
	ds_write_b64 v1, v[22:23]
	s_waitcnt lgkmcnt(0)
	s_barrier
	s_and_saveexec_b64 s[2:3], vcc
	s_cbranch_execz .LBB770_25
; %bb.24:
	v_mul_u32_u24_e32 v1, 40, v32
	s_waitcnt vmcnt(2)
	ds_read2_b64 v[2:5], v1 offset1:1
	ds_read2_b64 v[6:9], v1 offset0:2 offset1:3
	s_mov_b32 s1, 0
	s_lshl_b32 s0, s0, 6
	s_lshl_b64 s[2:3], s[0:1], 1
	s_add_u32 s2, s22, s2
	s_addc_u32 s3, s23, s3
	s_lshl_b32 s0, s20, 6
	s_lshl_b64 s[0:1], s[0:1], 1
	s_waitcnt lgkmcnt(1)
	v_pk_add_f16 v1, v2, 0
	v_pk_add_f16 v2, v3, 0
	s_add_u32 s0, s2, s0
	v_pk_add_f16 v2, v2, v5
	s_addc_u32 s1, s3, s1
	s_lshl_b32 s2, s33, 6
	v_pk_add_f16 v1, v1, v4
	s_waitcnt lgkmcnt(0)
	v_pk_add_f16 v2, v2, v7
	s_mul_i32 s3, s2, s38
	v_pk_add_f16 v1, v1, v6
	v_pk_add_f16 v6, v2, v9
	v_or_b32_e32 v2, s3, v0
	v_mov_b32_e32 v3, 0
	s_add_i32 s3, s3, s2
	v_pk_add_f16 v1, v1, v8
	v_lshl_add_u64 v[4:5], v[2:3], 1, s[0:1]
	v_or_b32_e32 v2, s3, v0
	s_add_i32 s3, s3, s2
	global_store_short v[4:5], v1, off
	v_lshl_add_u64 v[4:5], v[2:3], 1, s[0:1]
	v_or_b32_e32 v2, s3, v0
	global_store_short_d16_hi v[4:5], v1, off
	v_lshl_add_u64 v[0:1], v[2:3], 1, s[0:1]
	global_store_short v[0:1], v6, off
.LBB770_25:
	s_endpgm
	.section	.rodata,"a",@progbits
	.p2align	6, 0x0
	.amdhsa_kernel _Z38paged_attention_ll4mi_QKV_mfma4_kernelIDF16_hLN4vllm18Fp8KVCacheDataTypeE1EhLi16ELi64ELi256ELb1ELi3EEvPKT_PKT0_S7_ifPKiS9_S9_iPKfiiiPfSC_PS2_PT2_iSB_SB_
		.amdhsa_group_segment_fixed_size 2720
		.amdhsa_private_segment_fixed_size 0
		.amdhsa_kernarg_size 400
		.amdhsa_user_sgpr_count 2
		.amdhsa_user_sgpr_dispatch_ptr 0
		.amdhsa_user_sgpr_queue_ptr 0
		.amdhsa_user_sgpr_kernarg_segment_ptr 1
		.amdhsa_user_sgpr_dispatch_id 0
		.amdhsa_user_sgpr_kernarg_preload_length 0
		.amdhsa_user_sgpr_kernarg_preload_offset 0
		.amdhsa_user_sgpr_private_segment_size 0
		.amdhsa_uses_dynamic_stack 0
		.amdhsa_enable_private_segment 0
		.amdhsa_system_sgpr_workgroup_id_x 1
		.amdhsa_system_sgpr_workgroup_id_y 1
		.amdhsa_system_sgpr_workgroup_id_z 1
		.amdhsa_system_sgpr_workgroup_info 0
		.amdhsa_system_vgpr_workitem_id 0
		.amdhsa_next_free_vgpr 52
		.amdhsa_next_free_sgpr 44
		.amdhsa_accum_offset 48
		.amdhsa_reserve_vcc 1
		.amdhsa_float_round_mode_32 0
		.amdhsa_float_round_mode_16_64 0
		.amdhsa_float_denorm_mode_32 3
		.amdhsa_float_denorm_mode_16_64 3
		.amdhsa_dx10_clamp 1
		.amdhsa_ieee_mode 1
		.amdhsa_fp16_overflow 0
		.amdhsa_tg_split 0
		.amdhsa_exception_fp_ieee_invalid_op 0
		.amdhsa_exception_fp_denorm_src 0
		.amdhsa_exception_fp_ieee_div_zero 0
		.amdhsa_exception_fp_ieee_overflow 0
		.amdhsa_exception_fp_ieee_underflow 0
		.amdhsa_exception_fp_ieee_inexact 0
		.amdhsa_exception_int_div_zero 0
	.end_amdhsa_kernel
	.section	.text._Z38paged_attention_ll4mi_QKV_mfma4_kernelIDF16_hLN4vllm18Fp8KVCacheDataTypeE1EhLi16ELi64ELi256ELb1ELi3EEvPKT_PKT0_S7_ifPKiS9_S9_iPKfiiiPfSC_PS2_PT2_iSB_SB_,"axG",@progbits,_Z38paged_attention_ll4mi_QKV_mfma4_kernelIDF16_hLN4vllm18Fp8KVCacheDataTypeE1EhLi16ELi64ELi256ELb1ELi3EEvPKT_PKT0_S7_ifPKiS9_S9_iPKfiiiPfSC_PS2_PT2_iSB_SB_,comdat
.Lfunc_end770:
	.size	_Z38paged_attention_ll4mi_QKV_mfma4_kernelIDF16_hLN4vllm18Fp8KVCacheDataTypeE1EhLi16ELi64ELi256ELb1ELi3EEvPKT_PKT0_S7_ifPKiS9_S9_iPKfiiiPfSC_PS2_PT2_iSB_SB_, .Lfunc_end770-_Z38paged_attention_ll4mi_QKV_mfma4_kernelIDF16_hLN4vllm18Fp8KVCacheDataTypeE1EhLi16ELi64ELi256ELb1ELi3EEvPKT_PKT0_S7_ifPKiS9_S9_iPKfiiiPfSC_PS2_PT2_iSB_SB_
                                        ; -- End function
	.section	.AMDGPU.csdata,"",@progbits
; Kernel info:
; codeLenInByte = 4048
; NumSgprs: 50
; NumVgprs: 46
; NumAgprs: 4
; TotalNumVgprs: 52
; ScratchSize: 0
; MemoryBound: 0
; FloatMode: 240
; IeeeMode: 1
; LDSByteSize: 2720 bytes/workgroup (compile time only)
; SGPRBlocks: 6
; VGPRBlocks: 6
; NumSGPRsForWavesPerEU: 50
; NumVGPRsForWavesPerEU: 52
; AccumOffset: 48
; Occupancy: 8
; WaveLimiterHint : 1
; COMPUTE_PGM_RSRC2:SCRATCH_EN: 0
; COMPUTE_PGM_RSRC2:USER_SGPR: 2
; COMPUTE_PGM_RSRC2:TRAP_HANDLER: 0
; COMPUTE_PGM_RSRC2:TGID_X_EN: 1
; COMPUTE_PGM_RSRC2:TGID_Y_EN: 1
; COMPUTE_PGM_RSRC2:TGID_Z_EN: 1
; COMPUTE_PGM_RSRC2:TIDIG_COMP_CNT: 0
; COMPUTE_PGM_RSRC3_GFX90A:ACCUM_OFFSET: 11
; COMPUTE_PGM_RSRC3_GFX90A:TG_SPLIT: 0
	.section	.text._Z38paged_attention_ll4mi_QKV_mfma4_kernelIDF16_hLN4vllm18Fp8KVCacheDataTypeE1EhLi16ELi64ELi256ELb1ELi4EEvPKT_PKT0_S7_ifPKiS9_S9_iPKfiiiPfSC_PS2_PT2_iSB_SB_,"axG",@progbits,_Z38paged_attention_ll4mi_QKV_mfma4_kernelIDF16_hLN4vllm18Fp8KVCacheDataTypeE1EhLi16ELi64ELi256ELb1ELi4EEvPKT_PKT0_S7_ifPKiS9_S9_iPKfiiiPfSC_PS2_PT2_iSB_SB_,comdat
	.protected	_Z38paged_attention_ll4mi_QKV_mfma4_kernelIDF16_hLN4vllm18Fp8KVCacheDataTypeE1EhLi16ELi64ELi256ELb1ELi4EEvPKT_PKT0_S7_ifPKiS9_S9_iPKfiiiPfSC_PS2_PT2_iSB_SB_ ; -- Begin function _Z38paged_attention_ll4mi_QKV_mfma4_kernelIDF16_hLN4vllm18Fp8KVCacheDataTypeE1EhLi16ELi64ELi256ELb1ELi4EEvPKT_PKT0_S7_ifPKiS9_S9_iPKfiiiPfSC_PS2_PT2_iSB_SB_
	.globl	_Z38paged_attention_ll4mi_QKV_mfma4_kernelIDF16_hLN4vllm18Fp8KVCacheDataTypeE1EhLi16ELi64ELi256ELb1ELi4EEvPKT_PKT0_S7_ifPKiS9_S9_iPKfiiiPfSC_PS2_PT2_iSB_SB_
	.p2align	8
	.type	_Z38paged_attention_ll4mi_QKV_mfma4_kernelIDF16_hLN4vllm18Fp8KVCacheDataTypeE1EhLi16ELi64ELi256ELb1ELi4EEvPKT_PKT0_S7_ifPKiS9_S9_iPKfiiiPfSC_PS2_PT2_iSB_SB_,@function
_Z38paged_attention_ll4mi_QKV_mfma4_kernelIDF16_hLN4vllm18Fp8KVCacheDataTypeE1EhLi16ELi64ELi256ELb1ELi4EEvPKT_PKT0_S7_ifPKiS9_S9_iPKfiiiPfSC_PS2_PT2_iSB_SB_: ; @_Z38paged_attention_ll4mi_QKV_mfma4_kernelIDF16_hLN4vllm18Fp8KVCacheDataTypeE1EhLi16ELi64ELi256ELb1ELi4EEvPKT_PKT0_S7_ifPKiS9_S9_iPKfiiiPfSC_PS2_PT2_iSB_SB_
; %bb.0:
	s_load_dwordx2 s[16:17], s[0:1], 0x30
	s_mov_b32 s24, s3
	s_mov_b64 s[6:7], 0
	s_waitcnt lgkmcnt(0)
	s_cmp_lg_u64 s[16:17], 0
	s_cselect_b64 s[18:19], -1, 0
	s_and_b64 vcc, exec, s[18:19]
	s_cbranch_vccz .LBB771_18
; %bb.1:
	s_add_i32 s8, s2, 1
	s_mov_b32 s9, 0
	s_lshl_b64 s[10:11], s[8:9], 2
	s_add_u32 s10, s16, s10
	s_mov_b32 s3, s9
	s_addc_u32 s11, s17, s11
	s_lshl_b64 s[8:9], s[2:3], 2
	s_add_u32 s8, s16, s8
	s_addc_u32 s9, s17, s9
	s_load_dword s5, s[10:11], 0x0
	s_load_dword s12, s[8:9], 0x0
	s_mov_b64 s[34:35], s[2:3]
	s_waitcnt lgkmcnt(0)
	s_sub_i32 s5, s5, s12
	s_cmp_eq_u32 s5, 1
	s_cselect_b64 s[8:9], -1, 0
	s_andn2_b64 vcc, exec, s[6:7]
	s_cbranch_vccnz .LBB771_3
.LBB771_2:
	s_mov_b32 s3, 0
	s_mov_b64 s[8:9], -1
	s_mov_b64 s[34:35], s[2:3]
.LBB771_3:
	s_andn2_b64 vcc, exec, s[8:9]
	s_cbranch_vccnz .LBB771_17
; %bb.4:
	s_load_dword s3, s[0:1], 0x9c
	s_load_dwordx2 s[6:7], s[0:1], 0x28
	s_add_u32 s28, s0, 0x90
	s_addc_u32 s29, s1, 0
	s_lshl_b64 s[38:39], s[34:35], 2
	s_waitcnt lgkmcnt(0)
	s_and_b32 s5, s3, 0xffff
	s_add_u32 s6, s6, s38
	s_addc_u32 s7, s7, s39
	s_load_dword s3, s[6:7], 0x0
	s_mul_i32 s5, s24, s5
	s_waitcnt lgkmcnt(0)
	s_cmp_ge_i32 s5, s3
	s_cbranch_scc1 .LBB771_17
; %bb.5:
	v_and_b32_e32 v2, 0xc0, v0
	v_and_b32_e32 v25, 3, v0
	s_lshl_b32 s33, s4, 2
	v_add_u32_e32 v4, s5, v2
	v_lshrrev_b32_e32 v1, 6, v0
	v_cmp_gt_i32_e64 s[6:7], s3, v4
	v_cmp_le_i32_e32 vcc, s3, v4
	v_or_b32_e32 v22, s33, v25
                                        ; implicit-def: $sgpr21
                                        ; implicit-def: $sgpr20
	s_and_saveexec_b64 s[8:9], vcc
	s_xor_b64 s[8:9], exec, s[8:9]
	s_cbranch_execz .LBB771_7
; %bb.6:
	v_mul_u32_u24_e32 v2, 20, v1
	v_or_b32_e32 v2, 0xa00, v2
	v_mov_b32_e32 v3, 0xa50
	v_mov_b32_e32 v4, 0xff7fffff
	v_mad_u32_u24 v3, v1, 20, v3
	ds_write2_b32 v2, v4, v4 offset1:1
	v_mov_b32_e32 v2, 0
	ds_write2_b32 v3, v2, v2 offset1:1
	v_mov_b32_e32 v3, 0xa08
	s_mov_b32 s20, 0xff7fffff
	s_mov_b32 s21, 0
	v_mad_u32_u24 v3, v1, 20, v3
	v_mov_b32_e32 v5, 0xa58
	v_or_b32_e32 v22, s33, v25
	v_mad_u32_u24 v5, v1, 20, v5
	ds_write2_b32 v3, v4, v4 offset1:1
	ds_write2_b32 v5, v2, v2 offset1:1
                                        ; implicit-def: $vgpr4
.LBB771_7:
	s_or_saveexec_b64 s[30:31], s[8:9]
	s_load_dwordx2 s[26:27], s[0:1], 0x68
	s_load_dwordx4 s[12:15], s[0:1], 0x58
	s_load_dword s44, s[28:29], 0x4
	s_load_dwordx4 s[8:11], s[0:1], 0x80
	v_and_b32_e32 v24, 63, v0
	v_mov_b32_e32 v21, s21
	v_mov_b32_e32 v26, s20
	;; [unrolled: 1-line block ×5, first 2 shown]
                                        ; implicit-def: $vgpr14_vgpr15
                                        ; implicit-def: $vgpr10_vgpr11
                                        ; implicit-def: $vgpr6_vgpr7
                                        ; implicit-def: $vgpr2_vgpr3
	s_xor_b64 exec, exec, s[30:31]
	s_cbranch_execz .LBB771_13
; %bb.8:
	s_load_dwordx2 s[20:21], s[0:1], 0x20
	s_load_dword s22, s[0:1], 0x38
	s_add_i32 s23, s3, 15
	s_ashr_i32 s25, s23, 31
	s_lshr_b32 s25, s25, 28
	v_add_u32_e32 v26, s5, v0
	s_add_i32 s23, s23, s25
	v_ashrrev_i32_e32 v2, 31, v26
	s_ashr_i32 s23, s23, 4
	v_lshrrev_b32_e32 v2, 28, v2
	s_add_i32 s25, s23, -1
	s_waitcnt lgkmcnt(0)
	s_mul_i32 s40, s2, s22
	s_mov_b32 s41, 0
	v_add_u32_e32 v2, v26, v2
	s_lshl_b64 s[22:23], s[40:41], 2
	v_ashrrev_i32_e32 v2, 4, v2
	v_mov_b32_e32 v3, s25
	v_cmp_gt_i32_e32 vcc, s3, v26
	s_add_u32 s20, s20, s22
	s_addc_u32 s21, s21, s23
	v_cndmask_b32_e32 v2, v3, v2, vcc
	v_ashrrev_i32_e32 v3, 31, v2
	v_lshl_add_u64 v[8:9], v[2:3], 2, s[20:21]
	v_ashrrev_i32_e32 v2, 31, v4
	v_lshrrev_b32_e32 v2, 28, v2
	v_add_u32_e32 v2, v4, v2
	v_ashrrev_i32_e32 v4, 4, v2
	v_min_i32_e32 v2, s25, v4
	v_ashrrev_i32_e32 v3, 31, v2
	v_lshl_add_u64 v[10:11], v[2:3], 2, s[20:21]
	v_add_u32_e32 v2, 1, v4
	v_min_i32_e32 v2, s25, v2
	v_ashrrev_i32_e32 v3, 31, v2
	v_lshl_add_u64 v[12:13], v[2:3], 2, s[20:21]
	v_add_u32_e32 v2, 2, v4
	;; [unrolled: 4-line block ×3, first 2 shown]
	v_min_i32_e32 v2, s25, v2
	v_ashrrev_i32_e32 v3, 31, v2
	v_lshl_add_u64 v[16:17], v[2:3], 2, s[20:21]
	global_load_dword v6, v[8:9], off
	global_load_dword v5, v[10:11], off
	;; [unrolled: 1-line block ×5, first 2 shown]
	s_load_dwordx2 s[42:43], s[0:1], 0x40
	s_load_dwordx4 s[20:23], s[0:1], 0x0
	s_load_dwordx2 s[36:37], s[0:1], 0x10
	s_andn2_b64 vcc, exec, s[18:19]
	s_cbranch_vccnz .LBB771_10
; %bb.9:
	s_add_u32 s16, s16, s38
	s_addc_u32 s17, s17, s39
	s_load_dword s40, s[16:17], 0x0
	s_waitcnt lgkmcnt(0)
	s_mov_b64 s[34:35], s[40:41]
.LBB771_10:
	s_load_dwordx4 s[16:19], s[0:1], 0x48
	s_load_dword s5, s[0:1], 0x1c
	v_lshlrev_b32_e32 v10, 3, v25
	v_cmp_eq_u32_e32 vcc, 0, v25
	s_waitcnt lgkmcnt(0)
	s_ashr_i32 s1, s16, 31
	s_mul_hi_u32 s19, s34, s16
	s_mul_i32 s1, s34, s1
	s_mul_i32 s25, s35, s16
	s_add_i32 s1, s19, s1
	s_mul_i32 s0, s34, s16
	s_add_i32 s1, s1, s25
	s_lshl_b64 s[0:1], s[0:1], 1
	s_add_u32 s16, s20, s0
	s_addc_u32 s19, s21, s1
	s_lshl_b32 s40, s4, 8
	s_lshl_b64 s[0:1], s[40:41], 1
	s_add_u32 s0, s16, s0
	s_addc_u32 s1, s19, s1
	s_mul_i32 s4, s4, s18
	s_add_u32 s18, s4, s22
	s_addc_u32 s19, 0, s23
	v_mov_b64_e32 v[8:9], s[18:19]
	s_waitcnt vmcnt(4)
	v_mad_i64_i32 v[6:7], s[18:19], v6, s17, v[8:9]
	v_lshlrev_b32_e32 v8, 4, v0
	v_and_b32_e32 v8, 0xf0, v8
	v_mov_b32_e32 v9, 0
	v_lshl_add_u64 v[6:7], v[6:7], 0, v[8:9]
	v_lshrrev_b32_e32 v8, 2, v24
	v_add_lshl_u32 v8, v10, v8, 4
	global_load_dwordx4 v[28:31], v[6:7], off
	global_load_dwordx4 v[32:35], v[6:7], off offset:256
	global_load_dwordx4 v[18:21], v[6:7], off offset:512
	global_load_dwordx4 v[36:39], v8, s[0:1]
	global_load_dwordx4 v[40:43], v[6:7], off offset:768
	v_mov_b32_e32 v23, v9
	v_lshl_add_u64 v[10:11], v[22:23], 2, s[42:43]
	global_load_dword v23, v[10:11], off
	s_waitcnt vmcnt(9)
	v_mul_hi_i32 v8, v5, s17
	s_add_u32 s0, s36, s4
	s_waitcnt vmcnt(8)
	v_mul_hi_i32 v10, v4, s17
	v_ashrrev_i32_e32 v13, 31, v8
	s_addc_u32 s1, s37, 0
	v_lshlrev_b32_e32 v8, 4, v24
	s_waitcnt vmcnt(7)
	v_mul_hi_i32 v11, v3, s17
	v_ashrrev_i32_e32 v14, 31, v10
	v_lshl_add_u64 v[6:7], s[0:1], 0, v[8:9]
	v_lshrrev_b32_e32 v8, 29, v13
	s_waitcnt vmcnt(6)
	v_mul_hi_i32 v12, v2, s17
	v_ashrrev_i32_e32 v15, 31, v11
	v_mad_i64_i32 v[10:11], s[0:1], v5, s17, v[8:9]
	v_lshrrev_b32_e32 v8, 29, v14
	v_ashrrev_i32_e32 v12, 31, v12
	v_and_b32_e32 v10, -8, v10
	v_mad_i64_i32 v[4:5], s[0:1], v4, s17, v[8:9]
	v_lshrrev_b32_e32 v8, 29, v15
	v_lshl_add_u64 v[44:45], v[6:7], 0, v[10:11]
	v_mad_i64_i32 v[10:11], s[0:1], v3, s17, v[8:9]
	v_lshrrev_b32_e32 v8, 29, v12
	v_mad_i64_i32 v[2:3], s[0:1], v2, s17, v[8:9]
	v_and_b32_e32 v4, -8, v4
	v_and_b32_e32 v10, -8, v10
	;; [unrolled: 1-line block ×3, first 2 shown]
	v_lshl_add_u64 v[4:5], v[6:7], 0, v[4:5]
	v_lshl_add_u64 v[46:47], v[6:7], 0, v[10:11]
	global_load_dwordx4 v[14:17], v[44:45], off
	global_load_dwordx4 v[10:13], v[4:5], off
	v_lshl_add_u64 v[44:45], v[6:7], 0, v[2:3]
	global_load_dwordx4 v[6:9], v[46:47], off
	global_load_dwordx4 v[2:5], v[44:45], off
	s_load_dword s0, s[8:9], 0x0
	s_waitcnt vmcnt(9)
	v_cvt_pk_f32_fp8_e32 v[44:45], v28
	v_cvt_pk_f32_fp8_sdwa v[46:47], v28 src0_sel:WORD_1
	v_cvt_pk_f32_fp8_e32 v[48:49], v29
	v_cvt_pk_f32_fp8_sdwa v[28:29], v29 src0_sel:WORD_1
	;; [unrolled: 2-line block ×3, first 2 shown]
	v_cvt_pkrtz_f16_f32 v44, v44, v45
	v_cvt_pkrtz_f16_f32 v45, v46, v47
	v_cvt_pk_f32_fp8_e32 v[54:55], v31
	v_cvt_pk_f32_fp8_sdwa v[30:31], v31 src0_sel:WORD_1
	s_waitcnt vmcnt(6)
	v_mfma_f32_4x4x4_16b_f16 a[0:3], v[36:37], v[44:45], 0 cbsz:4
	v_cvt_pkrtz_f16_f32 v46, v48, v49
	v_cvt_pkrtz_f16_f32 v47, v28, v29
	v_cvt_pk_f32_fp8_e32 v[56:57], v32
	v_cvt_pk_f32_fp8_sdwa v[58:59], v32 src0_sel:WORD_1
	v_mfma_f32_4x4x4_16b_f16 a[0:3], v[38:39], v[46:47], a[0:3] cbsz:4
	v_cvt_pkrtz_f16_f32 v28, v50, v51
	v_cvt_pkrtz_f16_f32 v29, v52, v53
	v_cvt_pk_f32_fp8_e32 v[60:61], v33
	v_cvt_pk_f32_fp8_sdwa v[32:33], v33 src0_sel:WORD_1
	v_mfma_f32_4x4x4_16b_f16 a[0:3], v[36:37], v[28:29], a[0:3] cbsz:4 abid:1
	v_cvt_pkrtz_f16_f32 v48, v54, v55
	v_cvt_pkrtz_f16_f32 v49, v30, v31
	v_cvt_pk_f32_fp8_e32 v[62:63], v34
	v_cvt_pk_f32_fp8_sdwa v[64:65], v34 src0_sel:WORD_1
	v_mfma_f32_4x4x4_16b_f16 a[0:3], v[38:39], v[48:49], a[0:3] cbsz:4 abid:1
	;; [unrolled: 5-line block ×5, first 2 shown]
	v_cvt_pkrtz_f16_f32 v28, v66, v67
	v_cvt_pkrtz_f16_f32 v29, v34, v35
	;; [unrolled: 1-line block ×4, first 2 shown]
	v_mfma_f32_4x4x4_16b_f16 a[0:3], v[38:39], v[28:29], a[0:3] cbsz:4 abid:3
	v_cvt_pk_f32_fp8_e32 v[74:75], v20
	v_cvt_pkrtz_f16_f32 v29, v18, v19
	v_mfma_f32_4x4x4_16b_f16 a[0:3], v[36:37], v[30:31], a[0:3] cbsz:4 abid:4
	v_cvt_pk_f32_fp8_sdwa v[18:19], v20 src0_sel:WORD_1
	v_cvt_pkrtz_f16_f32 v28, v72, v73
	v_cvt_pkrtz_f16_f32 v30, v74, v75
	;; [unrolled: 1-line block ×3, first 2 shown]
	v_mfma_f32_4x4x4_16b_f16 a[0:3], v[38:39], v[28:29], a[0:3] cbsz:4 abid:4
	v_cvt_pk_f32_fp8_e32 v[28:29], v21
	v_cvt_pk_f32_fp8_sdwa v[20:21], v21 src0_sel:WORD_1
	v_mfma_f32_4x4x4_16b_f16 a[0:3], v[36:37], v[30:31], a[0:3] cbsz:4 abid:5
	s_waitcnt vmcnt(5)
	v_cvt_pk_f32_fp8_sdwa v[30:31], v41 src0_sel:WORD_1
	v_cvt_pkrtz_f16_f32 v18, v28, v29
	v_cvt_pkrtz_f16_f32 v19, v20, v21
	v_cvt_pk_f32_fp8_e32 v[20:21], v40
	v_cvt_pk_f32_fp8_e32 v[28:29], v41
	v_mfma_f32_4x4x4_16b_f16 a[0:3], v[38:39], v[18:19], a[0:3] cbsz:4 abid:5
	v_cvt_pk_f32_fp8_sdwa v[18:19], v40 src0_sel:WORD_1
	v_cvt_pkrtz_f16_f32 v20, v20, v21
	v_cvt_pkrtz_f16_f32 v21, v18, v19
	s_nop 1
	v_mfma_f32_4x4x4_16b_f16 a[0:3], v[36:37], v[20:21], a[0:3] cbsz:4 abid:6
	v_cvt_pkrtz_f16_f32 v18, v28, v29
	v_cvt_pkrtz_f16_f32 v19, v30, v31
	v_cvt_pk_f32_fp8_sdwa v[20:21], v42 src0_sel:WORD_1
	v_cvt_pk_f32_fp8_e32 v[28:29], v43
	v_mfma_f32_4x4x4_16b_f16 a[0:3], v[38:39], v[18:19], a[0:3] cbsz:4 abid:6
	v_cvt_pk_f32_fp8_e32 v[18:19], v42
	v_cvt_pk_f32_fp8_sdwa v[30:31], v43 src0_sel:WORD_1
	v_cvt_pkrtz_f16_f32 v18, v18, v19
	v_cvt_pkrtz_f16_f32 v19, v20, v21
	;; [unrolled: 1-line block ×4, first 2 shown]
	v_mfma_f32_4x4x4_16b_f16 a[0:3], v[36:37], v[18:19], a[0:3] cbsz:4 abid:7
	v_mov_b32_e32 v18, s5
	s_nop 0
	v_mfma_f32_4x4x4_16b_f16 a[0:3], v[38:39], v[20:21], a[0:3] cbsz:4 abid:7
	s_waitcnt lgkmcnt(0)
	v_mul_f32_e32 v20, s0, v18
	s_nop 2
	v_accvgpr_read_b32 v29, a1
	v_accvgpr_read_b32 v28, a0
	v_pk_mul_f32 v[28:29], v[28:29], v[20:21] op_sel_hi:[1,0]
	v_accvgpr_read_b32 v19, a3
	v_accvgpr_read_b32 v18, a2
	v_pk_mul_f32 v[18:19], v[18:19], v[20:21] op_sel_hi:[1,0]
	v_cndmask_b32_e64 v20, 0, 1.0, vcc
	v_cmp_eq_u32_e32 vcc, 1, v25
	s_nop 0
	v_mfma_f32_4x4x1_16b_f32 a[0:3], v28, v20, 0
	v_cndmask_b32_e64 v20, 0, 1.0, vcc
	v_cmp_eq_u32_e32 vcc, 2, v25
	s_nop 0
	v_mfma_f32_4x4x1_16b_f32 a[0:3], v29, v20, a[0:3]
	v_cndmask_b32_e64 v20, 0, 1.0, vcc
	v_cmp_eq_u32_e32 vcc, 3, v25
	v_mov_b32_e32 v29, 0xff7fffff
	v_mfma_f32_4x4x1_16b_f32 a[0:3], v18, v20, a[0:3]
	v_cndmask_b32_e64 v18, 0, 1.0, vcc
	s_nop 1
	v_mfma_f32_4x4x1_16b_f32 a[0:3], v19, v18, a[0:3]
	v_and_b32_e32 v18, -4, v26
	v_subrev_u32_e32 v19, s3, v18
	v_add_u32_e32 v20, 1, v19
	v_cvt_f32_i32_e32 v20, v20
	v_add_u32_e32 v21, 2, v19
	v_cvt_f32_i32_e32 v21, v21
	v_accvgpr_read_b32 v27, a0
	s_waitcnt vmcnt(4)
	v_fma_f32 v20, v23, v20, v27
	v_accvgpr_read_b32 v27, a1
	v_fma_f32 v21, v23, v21, v27
	v_add_u32_e32 v27, 3, v19
	v_cvt_f32_i32_e32 v27, v27
	v_add_u32_e32 v19, 4, v19
	v_cvt_f32_i32_e32 v19, v19
	v_accvgpr_read_b32 v28, a2
	v_fma_f32 v27, v23, v27, v28
	v_accvgpr_read_b32 v28, a3
	v_fmac_f32_e32 v28, v23, v19
	v_max_f32_e32 v23, 0xff7fffff, v20
	v_cmp_gt_i32_e32 vcc, s3, v18
	v_lshlrev_b32_e32 v19, 2, v0
	v_and_or_b32 v19, v19, 48, v25
	v_cndmask_b32_e32 v23, v29, v23, vcc
	v_or_b32_e32 v29, 1, v18
	v_max_f32_e32 v30, v23, v21
	v_cmp_gt_i32_e64 s[0:1], s3, v29
	v_or_b32_e32 v18, 2, v18
	v_cmp_gt_i32_e64 s[4:5], s3, v18
	v_cndmask_b32_e64 v23, v23, v30, s[0:1]
	v_max_f32_e32 v29, v23, v27
	v_cndmask_b32_e64 v18, v23, v29, s[4:5]
	v_or_b32_e32 v23, 3, v26
	v_max_f32_e32 v26, v18, v28
	v_cmp_gt_i32_e64 s[8:9], s3, v23
	v_lshlrev_b32_e32 v23, 2, v19
	s_nop 0
	v_cndmask_b32_e64 v18, v18, v26, s[8:9]
	;;#ASMSTART
	v_nop
 v_nop
 v_max_f32_dpp v18, v18, v18 row_ror:4
	;;#ASMEND
	s_nop 0
	;;#ASMSTART
	v_nop
 v_nop
 v_max_f32_dpp v18, v18, v18 row_ror:8
	;;#ASMEND
	ds_bpermute_b32 v18, v23, v18
	s_waitcnt lgkmcnt(0)
	;;#ASMSTART
	v_nop
 v_nop
 v_max_f32_dpp v18, v18, v18 row_ror:4
	;;#ASMEND
	s_nop 0
	;;#ASMSTART
	v_nop
 v_nop
 v_max_f32_dpp v26, v18, v18 row_ror:8
	;;#ASMEND
	s_nop 0
	v_sub_f32_e32 v18, v20, v26
	v_mul_f32_e32 v18, 0x3fb8aa3b, v18
	v_sub_f32_e32 v19, v21, v26
	v_exp_f32_e32 v18, v18
	v_mul_f32_e32 v19, 0x3fb8aa3b, v19
	v_sub_f32_e32 v21, v27, v26
	v_exp_f32_e32 v19, v19
	;; [unrolled: 3-line block ×3, first 2 shown]
	v_mul_f32_e32 v27, 0x3fb8aa3b, v27
	v_exp_f32_e32 v27, v27
	v_cndmask_b32_e32 v18, 0, v18, vcc
	v_add_f32_e32 v20, 0, v18
	v_cndmask_b32_e64 v19, 0, v19, s[0:1]
	v_add_f32_e32 v28, v20, v19
	v_cndmask_b32_e64 v20, 0, v21, s[4:5]
	;; [unrolled: 2-line block ×3, first 2 shown]
	v_add_f32_e32 v27, v28, v21
	;;#ASMSTART
	v_nop
 v_nop
 v_add_f32_dpp v27, v27, v27 row_ror:4
	;;#ASMEND
	v_cmp_gt_u32_e32 vcc, 4, v24
	;;#ASMSTART
	v_nop
 v_nop
 v_add_f32_dpp v27, v27, v27 row_ror:8
	;;#ASMEND
	ds_bpermute_b32 v23, v23, v27
	s_waitcnt lgkmcnt(0)
	;;#ASMSTART
	v_nop
 v_nop
 v_add_f32_dpp v23, v23, v23 row_ror:4
	;;#ASMEND
	s_nop 0
	;;#ASMSTART
	v_nop
 v_nop
 v_add_f32_dpp v23, v23, v23 row_ror:8
	;;#ASMEND
	s_and_saveexec_b64 s[0:1], vcc
	s_cbranch_execz .LBB771_12
; %bb.11:
	v_mul_u32_u24_e32 v27, 20, v1
	v_lshl_add_u32 v27, v25, 2, v27
	v_add_u32_e32 v27, 0x800, v27
	ds_write2_b32 v27, v26, v23 offset0:128 offset1:148
.LBB771_12:
	s_or_b64 exec, exec, s[0:1]
.LBB771_13:
	s_or_b64 exec, exec, s[30:31]
	v_lshlrev_b32_e32 v23, 2, v25
	v_add_u32_e32 v23, 0x800, v23
	s_waitcnt lgkmcnt(0)
	s_barrier
	s_load_dword s0, s[28:29], 0x8
	ds_read2_b32 v[28:29], v23 offset0:128 offset1:133
	ds_read2_b32 v[30:31], v23 offset0:138 offset1:143
	s_mov_b32 s4, 0xff7fffff
	s_mul_i32 s1, s2, s44
	ds_read2_b32 v[32:33], v23 offset0:148 offset1:153
	s_waitcnt lgkmcnt(0)
	v_max3_f32 v25, v28, s4, v29
	s_mul_i32 s1, s1, s0
	v_max3_f32 v25, v25, v30, v31
	s_lshl_b32 s0, s1, 2
	s_mov_b32 s1, 0
	v_sub_f32_e32 v27, v28, v25
	v_sub_f32_e32 v28, v29, v25
	s_lshl_b64 s[2:3], s[0:1], 2
	v_mul_f32_e32 v27, 0x3fb8aa3b, v27
	v_mul_f32_e32 v28, 0x3fb8aa3b, v28
	s_mov_b32 s25, s1
	s_add_u32 s1, s12, s2
	v_exp_f32_e32 v27, v27
	v_exp_f32_e32 v34, v28
	ds_read2_b32 v[28:29], v23 offset0:158 offset1:163
	v_sub_f32_e32 v23, v30, v25
	s_addc_u32 s8, s13, s3
	v_mul_f32_e32 v23, 0x3fb8aa3b, v23
	v_sub_f32_e32 v30, v31, v25
	s_add_u32 s4, s14, s2
	v_exp_f32_e32 v23, v23
	v_mul_f32_e32 v30, 0x3fb8aa3b, v30
	s_addc_u32 s5, s15, s3
	s_lshl_b64 s[2:3], s[24:25], 2
	v_exp_f32_e32 v30, v30
	s_add_u32 s4, s4, s2
	v_fma_f32 v27, v27, v32, 0
	s_addc_u32 s5, s5, s3
	v_fmac_f32_e32 v27, v34, v33
	s_waitcnt lgkmcnt(0)
	v_fmac_f32_e32 v27, v23, v28
	s_add_u32 s2, s1, s2
	v_mul_lo_u32 v22, s44, v22
	v_mov_b32_e32 v23, 0
	v_fmac_f32_e32 v27, v30, v29
	s_addc_u32 s3, s8, s3
	v_lshlrev_b64 v[28:29], 2, v[22:23]
	v_lshl_add_u64 v[30:31], s[4:5], 0, v[28:29]
	v_lshl_add_u64 v[28:29], s[2:3], 0, v[28:29]
	v_mov_b32_e32 v22, v23
	global_store_dword v[30:31], v25, off
	global_store_dword v[28:29], v27, off
	s_and_saveexec_b64 s[2:3], s[6:7]
	s_cbranch_execz .LBB771_15
; %bb.14:
	v_add_f32_e32 v22, 0x358637bd, v27
	v_div_scale_f32 v23, s[4:5], v22, v22, 1.0
	v_rcp_f32_e32 v27, v23
	v_div_scale_f32 v28, vcc, 1.0, v22, 1.0
	v_sub_f32_e32 v25, v26, v25
	v_fma_f32 v29, -v23, v27, 1.0
	v_fmac_f32_e32 v27, v29, v27
	v_mul_f32_e32 v29, v28, v27
	v_fma_f32 v30, -v23, v29, v28
	v_mul_f32_e32 v25, 0x3fb8aa3b, v25
	v_fmac_f32_e32 v29, v30, v27
	v_exp_f32_e32 v25, v25
	v_fma_f32 v23, -v23, v29, v28
	v_div_fmas_f32 v23, v23, v27, v29
	v_div_fixup_f32 v22, v23, v22, 1.0
	v_mul_f32_e32 v22, v25, v22
	v_pk_mul_f32 v[20:21], v[20:21], v[22:23] op_sel_hi:[1,0]
	v_pk_mul_f32 v[18:19], v[18:19], v[22:23] op_sel_hi:[1,0]
	v_cvt_f16_f32_e32 v22, v20
	v_cvt_f16_f32_e32 v18, v18
	v_cvt_f16_f32_e32 v19, v19
	v_cvt_f16_f32_e32 v23, v21
	s_waitcnt vmcnt(5)
	v_cvt_pk_f32_fp8_e32 v[20:21], v14
	v_cvt_pk_f32_fp8_e32 v[26:27], v15
	v_pack_b32_f16 v18, v18, v19
	v_pack_b32_f16 v19, v22, v23
	v_cvt_pk_f32_fp8_sdwa v[22:23], v14 src0_sel:WORD_1
	v_cvt_pkrtz_f16_f32 v14, v20, v21
	v_cvt_pk_f32_fp8_sdwa v[20:21], v15 src0_sel:WORD_1
	s_load_dword s4, s[10:11], 0x0
	v_cvt_pkrtz_f16_f32 v15, v22, v23
	v_cvt_pkrtz_f16_f32 v22, v26, v27
	;; [unrolled: 1-line block ×3, first 2 shown]
	v_mfma_f32_4x4x4_16b_f16 a[0:3], v[18:19], v[14:15], 0 cbsz:4
	v_cvt_pk_f32_fp8_e32 v[14:15], v16
	v_cvt_pk_f32_fp8_sdwa v[20:21], v16 src0_sel:WORD_1
	v_mfma_f32_4x4x4_16b_f16 a[0:3], v[18:19], v[22:23], a[0:3] cbsz:4 abid:1
	v_cvt_pk_f32_fp8_e32 v[22:23], v17
	v_cvt_pk_f32_fp8_sdwa v[16:17], v17 src0_sel:WORD_1
	v_cvt_pkrtz_f16_f32 v14, v14, v15
	v_cvt_pkrtz_f16_f32 v15, v20, v21
	;; [unrolled: 1-line block ×4, first 2 shown]
	v_mfma_f32_4x4x4_16b_f16 a[0:3], v[18:19], v[14:15], a[0:3] cbsz:4 abid:2
	s_waitcnt vmcnt(4)
	v_cvt_pk_f32_fp8_e32 v[14:15], v10
	v_cvt_pk_f32_fp8_sdwa v[16:17], v10 src0_sel:WORD_1
	v_mfma_f32_4x4x4_16b_f16 a[0:3], v[18:19], v[20:21], a[0:3] cbsz:4 abid:3
	v_cvt_pk_f32_fp8_e32 v[20:21], v11
	v_cvt_pkrtz_f16_f32 v10, v14, v15
	v_cvt_pk_f32_fp8_sdwa v[14:15], v11 src0_sel:WORD_1
	v_cvt_pkrtz_f16_f32 v11, v16, v17
	v_cvt_pkrtz_f16_f32 v16, v20, v21
	s_mov_b32 s1, 0x5040100
	v_mfma_f32_4x4x4_16b_f16 a[0:3], v[18:19], v[10:11], a[0:3] cbsz:4 abid:4
	v_cvt_pkrtz_f16_f32 v17, v14, v15
	v_cvt_pk_f32_fp8_e32 v[10:11], v12
	v_cvt_pk_f32_fp8_sdwa v[14:15], v12 src0_sel:WORD_1
	v_mfma_f32_4x4x4_16b_f16 a[0:3], v[18:19], v[16:17], a[0:3] cbsz:4 abid:5
	v_cvt_pk_f32_fp8_e32 v[16:17], v13
	v_cvt_pk_f32_fp8_sdwa v[12:13], v13 src0_sel:WORD_1
	v_cvt_pkrtz_f16_f32 v10, v10, v11
	v_cvt_pkrtz_f16_f32 v11, v14, v15
	;; [unrolled: 1-line block ×4, first 2 shown]
	v_mfma_f32_4x4x4_16b_f16 a[0:3], v[18:19], v[10:11], a[0:3] cbsz:4 abid:6
	s_waitcnt vmcnt(3)
	v_cvt_pk_f32_fp8_e32 v[10:11], v6
	v_cvt_pk_f32_fp8_sdwa v[12:13], v6 src0_sel:WORD_1
	v_mfma_f32_4x4x4_16b_f16 a[0:3], v[18:19], v[14:15], a[0:3] cbsz:4 abid:7
	v_cvt_pk_f32_fp8_e32 v[14:15], v7
	v_cvt_pkrtz_f16_f32 v6, v10, v11
	v_cvt_pk_f32_fp8_sdwa v[10:11], v7 src0_sel:WORD_1
	v_cvt_pkrtz_f16_f32 v7, v12, v13
	v_cvt_pkrtz_f16_f32 v12, v14, v15
	;; [unrolled: 1-line block ×3, first 2 shown]
	v_mfma_f32_4x4x4_16b_f16 a[0:3], v[18:19], v[6:7], a[0:3] cbsz:4 abid:8
	v_cvt_pk_f32_fp8_e32 v[6:7], v8
	v_cvt_pk_f32_fp8_sdwa v[10:11], v8 src0_sel:WORD_1
	v_mfma_f32_4x4x4_16b_f16 a[0:3], v[18:19], v[12:13], a[0:3] cbsz:4 abid:9
	v_cvt_pk_f32_fp8_e32 v[12:13], v9
	v_cvt_pk_f32_fp8_sdwa v[8:9], v9 src0_sel:WORD_1
	v_cvt_pkrtz_f16_f32 v6, v6, v7
	v_cvt_pkrtz_f16_f32 v7, v10, v11
	;; [unrolled: 1-line block ×4, first 2 shown]
	v_mfma_f32_4x4x4_16b_f16 a[0:3], v[18:19], v[6:7], a[0:3] cbsz:4 abid:10
	s_waitcnt vmcnt(2)
	v_cvt_pk_f32_fp8_e32 v[6:7], v2
	v_cvt_pk_f32_fp8_sdwa v[8:9], v2 src0_sel:WORD_1
	v_mfma_f32_4x4x4_16b_f16 a[0:3], v[18:19], v[10:11], a[0:3] cbsz:4 abid:11
	v_cvt_pk_f32_fp8_e32 v[10:11], v3
	v_cvt_pkrtz_f16_f32 v2, v6, v7
	v_cvt_pk_f32_fp8_sdwa v[6:7], v3 src0_sel:WORD_1
	v_cvt_pkrtz_f16_f32 v3, v8, v9
	v_cvt_pkrtz_f16_f32 v8, v10, v11
	;; [unrolled: 1-line block ×3, first 2 shown]
	v_mfma_f32_4x4x4_16b_f16 a[0:3], v[18:19], v[2:3], a[0:3] cbsz:4 abid:12
	v_cvt_pk_f32_fp8_e32 v[2:3], v4
	v_cvt_pk_f32_fp8_sdwa v[6:7], v4 src0_sel:WORD_1
	v_mfma_f32_4x4x4_16b_f16 a[0:3], v[18:19], v[8:9], a[0:3] cbsz:4 abid:13
	v_cvt_pk_f32_fp8_e32 v[8:9], v5
	v_cvt_pk_f32_fp8_sdwa v[4:5], v5 src0_sel:WORD_1
	v_cvt_pkrtz_f16_f32 v2, v2, v3
	v_cvt_pkrtz_f16_f32 v3, v6, v7
	;; [unrolled: 1-line block ×4, first 2 shown]
	v_mfma_f32_4x4x4_16b_f16 a[0:3], v[18:19], v[2:3], a[0:3] cbsz:4 abid:14
	s_nop 1
	v_mfma_f32_4x4x4_16b_f16 a[0:3], v[18:19], v[6:7], a[0:3] cbsz:4 abid:15
	s_nop 4
	v_accvgpr_read_b32 v5, a1
	v_accvgpr_read_b32 v3, a3
	;; [unrolled: 1-line block ×4, first 2 shown]
	s_waitcnt lgkmcnt(0)
	v_pk_mul_f32 v[2:3], v[2:3], s[4:5] op_sel_hi:[1,0]
	v_pk_mul_f32 v[4:5], v[4:5], s[4:5] op_sel_hi:[1,0]
	v_cvt_f16_f32_e32 v2, v2
	v_cvt_f16_f32_e32 v4, v4
	;; [unrolled: 1-line block ×4, first 2 shown]
	v_perm_b32 v22, v5, v4, s1
	v_perm_b32 v23, v3, v2, s1
.LBB771_15:
	s_or_b64 exec, exec, s[2:3]
	v_lshlrev_b32_e32 v1, 3, v1
	v_mad_u32_u24 v1, v24, 40, v1
	v_cmp_gt_u32_e32 vcc, 64, v0
	ds_write_b64 v1, v[22:23]
	s_waitcnt lgkmcnt(0)
	s_barrier
	s_and_saveexec_b64 s[2:3], vcc
	s_cbranch_execz .LBB771_17
; %bb.16:
	v_mul_u32_u24_e32 v1, 40, v24
	s_waitcnt vmcnt(2)
	ds_read2_b64 v[2:5], v1 offset1:1
	ds_read2_b64 v[6:9], v1 offset0:2 offset1:3
	s_mov_b32 s1, 0
	s_lshl_b32 s0, s0, 6
	s_lshl_b64 s[2:3], s[0:1], 1
	s_add_u32 s2, s26, s2
	s_addc_u32 s3, s27, s3
	s_lshl_b32 s0, s24, 6
	s_lshl_b64 s[0:1], s[0:1], 1
	s_waitcnt lgkmcnt(1)
	v_pk_add_f16 v1, v2, 0
	v_pk_add_f16 v2, v3, 0
	s_add_u32 s0, s2, s0
	v_pk_add_f16 v2, v2, v5
	s_addc_u32 s1, s3, s1
	s_lshl_b32 s2, s44, 6
	v_pk_add_f16 v1, v1, v4
	s_waitcnt lgkmcnt(0)
	v_pk_add_f16 v2, v2, v7
	s_mul_i32 s3, s2, s33
	v_pk_add_f16 v1, v1, v6
	v_pk_add_f16 v6, v2, v9
	v_or_b32_e32 v2, s3, v0
	v_mov_b32_e32 v3, 0
	s_add_i32 s3, s3, s2
	v_pk_add_f16 v1, v1, v8
	v_lshl_add_u64 v[4:5], v[2:3], 1, s[0:1]
	v_or_b32_e32 v2, s3, v0
	s_add_i32 s3, s3, s2
	global_store_short v[4:5], v1, off
	v_lshl_add_u64 v[4:5], v[2:3], 1, s[0:1]
	v_or_b32_e32 v2, s3, v0
	s_add_i32 s3, s3, s2
	global_store_short_d16_hi v[4:5], v1, off
	v_lshl_add_u64 v[4:5], v[2:3], 1, s[0:1]
	v_or_b32_e32 v2, s3, v0
	v_lshl_add_u64 v[0:1], v[2:3], 1, s[0:1]
	global_store_short v[4:5], v6, off
	global_store_short_d16_hi v[0:1], v6, off
.LBB771_17:
	s_endpgm
.LBB771_18:
	s_mov_b64 s[8:9], 0
                                        ; implicit-def: $sgpr34_sgpr35
	s_branch .LBB771_2
	.section	.rodata,"a",@progbits
	.p2align	6, 0x0
	.amdhsa_kernel _Z38paged_attention_ll4mi_QKV_mfma4_kernelIDF16_hLN4vllm18Fp8KVCacheDataTypeE1EhLi16ELi64ELi256ELb1ELi4EEvPKT_PKT0_S7_ifPKiS9_S9_iPKfiiiPfSC_PS2_PT2_iSB_SB_
		.amdhsa_group_segment_fixed_size 2720
		.amdhsa_private_segment_fixed_size 0
		.amdhsa_kernarg_size 400
		.amdhsa_user_sgpr_count 2
		.amdhsa_user_sgpr_dispatch_ptr 0
		.amdhsa_user_sgpr_queue_ptr 0
		.amdhsa_user_sgpr_kernarg_segment_ptr 1
		.amdhsa_user_sgpr_dispatch_id 0
		.amdhsa_user_sgpr_kernarg_preload_length 0
		.amdhsa_user_sgpr_kernarg_preload_offset 0
		.amdhsa_user_sgpr_private_segment_size 0
		.amdhsa_uses_dynamic_stack 0
		.amdhsa_enable_private_segment 0
		.amdhsa_system_sgpr_workgroup_id_x 1
		.amdhsa_system_sgpr_workgroup_id_y 1
		.amdhsa_system_sgpr_workgroup_id_z 1
		.amdhsa_system_sgpr_workgroup_info 0
		.amdhsa_system_vgpr_workitem_id 0
		.amdhsa_next_free_vgpr 80
		.amdhsa_next_free_sgpr 45
		.amdhsa_accum_offset 76
		.amdhsa_reserve_vcc 1
		.amdhsa_float_round_mode_32 0
		.amdhsa_float_round_mode_16_64 0
		.amdhsa_float_denorm_mode_32 3
		.amdhsa_float_denorm_mode_16_64 3
		.amdhsa_dx10_clamp 1
		.amdhsa_ieee_mode 1
		.amdhsa_fp16_overflow 0
		.amdhsa_tg_split 0
		.amdhsa_exception_fp_ieee_invalid_op 0
		.amdhsa_exception_fp_denorm_src 0
		.amdhsa_exception_fp_ieee_div_zero 0
		.amdhsa_exception_fp_ieee_overflow 0
		.amdhsa_exception_fp_ieee_underflow 0
		.amdhsa_exception_fp_ieee_inexact 0
		.amdhsa_exception_int_div_zero 0
	.end_amdhsa_kernel
	.section	.text._Z38paged_attention_ll4mi_QKV_mfma4_kernelIDF16_hLN4vllm18Fp8KVCacheDataTypeE1EhLi16ELi64ELi256ELb1ELi4EEvPKT_PKT0_S7_ifPKiS9_S9_iPKfiiiPfSC_PS2_PT2_iSB_SB_,"axG",@progbits,_Z38paged_attention_ll4mi_QKV_mfma4_kernelIDF16_hLN4vllm18Fp8KVCacheDataTypeE1EhLi16ELi64ELi256ELb1ELi4EEvPKT_PKT0_S7_ifPKiS9_S9_iPKfiiiPfSC_PS2_PT2_iSB_SB_,comdat
.Lfunc_end771:
	.size	_Z38paged_attention_ll4mi_QKV_mfma4_kernelIDF16_hLN4vllm18Fp8KVCacheDataTypeE1EhLi16ELi64ELi256ELb1ELi4EEvPKT_PKT0_S7_ifPKiS9_S9_iPKfiiiPfSC_PS2_PT2_iSB_SB_, .Lfunc_end771-_Z38paged_attention_ll4mi_QKV_mfma4_kernelIDF16_hLN4vllm18Fp8KVCacheDataTypeE1EhLi16ELi64ELi256ELb1ELi4EEvPKT_PKT0_S7_ifPKiS9_S9_iPKfiiiPfSC_PS2_PT2_iSB_SB_
                                        ; -- End function
	.section	.AMDGPU.csdata,"",@progbits
; Kernel info:
; codeLenInByte = 3972
; NumSgprs: 51
; NumVgprs: 76
; NumAgprs: 4
; TotalNumVgprs: 80
; ScratchSize: 0
; MemoryBound: 0
; FloatMode: 240
; IeeeMode: 1
; LDSByteSize: 2720 bytes/workgroup (compile time only)
; SGPRBlocks: 6
; VGPRBlocks: 9
; NumSGPRsForWavesPerEU: 51
; NumVGPRsForWavesPerEU: 80
; AccumOffset: 76
; Occupancy: 6
; WaveLimiterHint : 1
; COMPUTE_PGM_RSRC2:SCRATCH_EN: 0
; COMPUTE_PGM_RSRC2:USER_SGPR: 2
; COMPUTE_PGM_RSRC2:TRAP_HANDLER: 0
; COMPUTE_PGM_RSRC2:TGID_X_EN: 1
; COMPUTE_PGM_RSRC2:TGID_Y_EN: 1
; COMPUTE_PGM_RSRC2:TGID_Z_EN: 1
; COMPUTE_PGM_RSRC2:TIDIG_COMP_CNT: 0
; COMPUTE_PGM_RSRC3_GFX90A:ACCUM_OFFSET: 18
; COMPUTE_PGM_RSRC3_GFX90A:TG_SPLIT: 0
	.section	.text._Z39paged_attention_ll4mi_QKV_mfma16_kernelIDF16_hLN4vllm18Fp8KVCacheDataTypeE1EhLi16ELi64ELi256ELb1ELi5EEvPKT_PKT0_S7_ifPKiS9_S9_iPKfiiiPfSC_PS2_PT2_iSB_SB_,"axG",@progbits,_Z39paged_attention_ll4mi_QKV_mfma16_kernelIDF16_hLN4vllm18Fp8KVCacheDataTypeE1EhLi16ELi64ELi256ELb1ELi5EEvPKT_PKT0_S7_ifPKiS9_S9_iPKfiiiPfSC_PS2_PT2_iSB_SB_,comdat
	.protected	_Z39paged_attention_ll4mi_QKV_mfma16_kernelIDF16_hLN4vllm18Fp8KVCacheDataTypeE1EhLi16ELi64ELi256ELb1ELi5EEvPKT_PKT0_S7_ifPKiS9_S9_iPKfiiiPfSC_PS2_PT2_iSB_SB_ ; -- Begin function _Z39paged_attention_ll4mi_QKV_mfma16_kernelIDF16_hLN4vllm18Fp8KVCacheDataTypeE1EhLi16ELi64ELi256ELb1ELi5EEvPKT_PKT0_S7_ifPKiS9_S9_iPKfiiiPfSC_PS2_PT2_iSB_SB_
	.globl	_Z39paged_attention_ll4mi_QKV_mfma16_kernelIDF16_hLN4vllm18Fp8KVCacheDataTypeE1EhLi16ELi64ELi256ELb1ELi5EEvPKT_PKT0_S7_ifPKiS9_S9_iPKfiiiPfSC_PS2_PT2_iSB_SB_
	.p2align	8
	.type	_Z39paged_attention_ll4mi_QKV_mfma16_kernelIDF16_hLN4vllm18Fp8KVCacheDataTypeE1EhLi16ELi64ELi256ELb1ELi5EEvPKT_PKT0_S7_ifPKiS9_S9_iPKfiiiPfSC_PS2_PT2_iSB_SB_,@function
_Z39paged_attention_ll4mi_QKV_mfma16_kernelIDF16_hLN4vllm18Fp8KVCacheDataTypeE1EhLi16ELi64ELi256ELb1ELi5EEvPKT_PKT0_S7_ifPKiS9_S9_iPKfiiiPfSC_PS2_PT2_iSB_SB_: ; @_Z39paged_attention_ll4mi_QKV_mfma16_kernelIDF16_hLN4vllm18Fp8KVCacheDataTypeE1EhLi16ELi64ELi256ELb1ELi5EEvPKT_PKT0_S7_ifPKiS9_S9_iPKfiiiPfSC_PS2_PT2_iSB_SB_
; %bb.0:
	s_load_dwordx2 s[6:7], s[0:1], 0x30
	s_mov_b32 s28, s3
	s_mov_b64 s[8:9], 0
	s_waitcnt lgkmcnt(0)
	s_cmp_lg_u64 s[6:7], 0
	s_cselect_b64 s[10:11], -1, 0
	s_and_b64 vcc, exec, s[10:11]
	s_cbranch_vccz .LBB772_7
; %bb.1:
	s_add_i32 s12, s2, 1
	s_mov_b32 s13, 0
	s_lshl_b64 s[14:15], s[12:13], 2
	s_add_u32 s14, s6, s14
	s_mov_b32 s3, s13
	s_addc_u32 s15, s7, s15
	s_lshl_b64 s[12:13], s[2:3], 2
	s_add_u32 s12, s6, s12
	s_addc_u32 s13, s7, s13
	s_load_dword s5, s[14:15], 0x0
	s_load_dword s16, s[12:13], 0x0
	s_waitcnt lgkmcnt(0)
	s_sub_i32 s5, s5, s16
	s_cmp_eq_u32 s5, 1
	s_cselect_b64 s[12:13], -1, 0
	s_andn2_b64 vcc, exec, s[8:9]
	s_cbranch_vccnz .LBB772_3
.LBB772_2:
	s_mov_b32 s3, 0
	s_mov_b64 s[12:13], -1
.LBB772_3:
	s_andn2_b64 vcc, exec, s[12:13]
	s_cbranch_vccnz .LBB772_20
; %bb.4:
	s_load_dwordx2 s[8:9], s[0:1], 0x28
	s_lshl_b64 s[12:13], s[2:3], 2
	s_waitcnt lgkmcnt(0)
	s_add_u32 s8, s8, s12
	s_addc_u32 s9, s9, s13
	s_load_dword s29, s[8:9], 0x0
	s_lshl_b32 s16, s28, 8
	s_waitcnt lgkmcnt(0)
	s_cmp_ge_i32 s16, s29
	s_cbranch_scc1 .LBB772_20
; %bb.5:
	s_load_dwordx2 s[8:9], s[0:1], 0x20
	s_load_dword s5, s[0:1], 0x38
	s_add_i32 s14, s29, 15
	s_ashr_i32 s15, s14, 31
	v_and_b32_e32 v1, 0xcf, v0
	s_lshr_b32 s15, s15, 28
	v_add_u32_e32 v1, s16, v1
	s_add_i32 s14, s14, s15
	v_ashrrev_i32_e32 v2, 31, v1
	s_ashr_i32 s17, s14, 4
	v_lshrrev_b32_e32 v4, 28, v2
	s_add_i32 s17, s17, -1
	s_waitcnt lgkmcnt(0)
	s_mul_i32 s14, s2, s5
	s_mov_b32 s15, 0
	v_add_u32_e32 v2, v1, v4
	s_lshl_b64 s[14:15], s[14:15], 2
	v_ashrrev_i32_e32 v2, 4, v2
	v_mov_b32_e32 v5, s17
	v_cmp_gt_i32_e32 vcc, s29, v1
	s_add_u32 s8, s8, s14
	s_addc_u32 s9, s9, s15
	v_cndmask_b32_e32 v2, v5, v2, vcc
	v_ashrrev_i32_e32 v3, 31, v2
	v_lshl_add_u64 v[6:7], v[2:3], 2, s[8:9]
	v_or_b32_e32 v2, 16, v1
	v_add_u32_e32 v3, v2, v4
	v_ashrrev_i32_e32 v3, 4, v3
	v_cmp_gt_i32_e32 vcc, s29, v2
	s_load_dwordx2 s[14:15], s[0:1], 0x8
	s_nop 0
	v_cndmask_b32_e32 v2, v5, v3, vcc
	v_ashrrev_i32_e32 v3, 31, v2
	v_lshl_add_u64 v[8:9], v[2:3], 2, s[8:9]
	v_or_b32_e32 v2, 32, v1
	v_add_u32_e32 v3, v2, v4
	v_ashrrev_i32_e32 v3, 4, v3
	v_cmp_gt_i32_e32 vcc, s29, v2
	v_or_b32_e32 v1, 48, v1
	s_nop 0
	v_cndmask_b32_e32 v2, v5, v3, vcc
	v_ashrrev_i32_e32 v3, 31, v2
	v_lshl_add_u64 v[10:11], v[2:3], 2, s[8:9]
	v_add_u32_e32 v2, v1, v4
	v_ashrrev_i32_e32 v2, 4, v2
	v_cmp_gt_i32_e32 vcc, s29, v1
	s_nop 1
	v_cndmask_b32_e32 v2, v5, v2, vcc
	v_ashrrev_i32_e32 v3, 31, v2
	v_lshl_add_u64 v[12:13], v[2:3], 2, s[8:9]
	global_load_dword v5, v[6:7], off
	global_load_dword v4, v[8:9], off
	;; [unrolled: 1-line block ×4, first 2 shown]
	s_andn2_b64 vcc, exec, s[10:11]
	s_cbranch_vccnz .LBB772_8
; %bb.6:
	s_add_u32 s6, s6, s12
	s_addc_u32 s7, s7, s13
	s_load_dword s5, s[6:7], 0x0
	s_branch .LBB772_9
.LBB772_7:
	s_mov_b64 s[12:13], 0
	s_branch .LBB772_2
.LBB772_8:
	s_mov_b32 s5, s2
.LBB772_9:
	s_load_dwordx2 s[6:7], s[0:1], 0x10
	s_load_dwordx4 s[44:47], s[0:1], 0x48
	v_lshrrev_b32_e32 v29, 6, v0
	v_bfe_u32 v42, v0, 4, 2
	v_lshl_or_b32 v6, v29, 2, v42
	v_and_b32_e32 v28, 15, v0
	v_lshlrev_b32_e32 v1, 3, v28
	v_cmp_gt_u32_e32 vcc, 5, v6
	v_cmp_gt_u32_e64 s[30:31], 8, v28
	s_mul_i32 s48, s4, 5
	s_and_b64 s[12:13], s[30:31], vcc
	v_lshlrev_b32_e32 v26, 1, v1
	v_lshlrev_b32_e32 v1, 4, v0
	s_and_saveexec_b64 s[10:11], s[12:13]
	s_cbranch_execz .LBB772_11
; %bb.10:
	s_load_dwordx2 s[12:13], s[0:1], 0x0
	s_waitcnt lgkmcnt(0)
	s_ashr_i32 s18, s44, 31
	s_mul_hi_u32 s19, s5, s44
	s_mul_i32 s18, s5, s18
	s_add_i32 s19, s19, s18
	s_mul_i32 s18, s5, s44
	s_lshl_b64 s[18:19], s[18:19], 1
	s_add_u32 s12, s12, s18
	v_add_lshl_u32 v8, v6, s48, 6
	s_addc_u32 s13, s13, s19
	v_ashrrev_i32_e32 v9, 31, v8
	v_lshl_add_u64 v[8:9], v[8:9], 1, s[12:13]
	v_mov_b32_e32 v27, 0
	v_lshl_add_u64 v[8:9], v[8:9], 0, v[26:27]
	global_load_dwordx4 v[8:11], v[8:9], off
	v_lshlrev_b32_e32 v12, 8, v28
	v_lshlrev_b32_e32 v6, 5, v6
	v_and_b32_e32 v7, 16, v1
	v_and_b32_e32 v12, 0xe00, v12
	v_or3_b32 v6, v12, v6, v7
	s_waitcnt vmcnt(0)
	ds_write_b128 v6, v[8:11]
.LBB772_11:
	s_or_b64 exec, exec, s[10:11]
	s_waitcnt lgkmcnt(0)
	s_mul_i32 s10, s4, s46
	s_add_u32 s4, s14, s10
	s_addc_u32 s5, s15, 0
	v_and_b32_e32 v32, 48, v0
	v_and_b32_e32 v30, 0xf0, v1
	v_mov_b32_e32 v31, 0
	v_lshl_add_u64 v[6:7], s[4:5], 0, v[30:31]
	v_lshlrev_b32_e32 v30, 4, v32
	v_lshl_add_u64 v[6:7], v[6:7], 0, v[30:31]
	s_waitcnt vmcnt(3)
	v_mad_i64_i32 v[8:9], s[4:5], v5, s45, v[6:7]
	s_waitcnt vmcnt(2)
	v_mad_i64_i32 v[4:5], s[4:5], v4, s45, v[6:7]
	s_barrier
	global_load_dwordx4 v[22:25], v[8:9], off
	global_load_dwordx4 v[18:21], v[4:5], off
	s_waitcnt vmcnt(3)
	v_mad_i64_i32 v[4:5], s[4:5], v3, s45, v[6:7]
	s_waitcnt vmcnt(2)
	v_mad_i64_i32 v[2:3], s[4:5], v2, s45, v[6:7]
	global_load_dwordx4 v[14:17], v[4:5], off
	global_load_dwordx4 v[6:9], v[2:3], off
	v_mul_lo_u16_e32 v2, 52, v28
	v_mov_b32_e32 v3, 5
	v_mul_lo_u16_sdwa v2, v2, v3 dst_sel:DWORD dst_unused:UNUSED_PAD src0_sel:BYTE_1 src1_sel:DWORD
	v_sub_u16_e32 v2, v28, v2
	v_lshlrev_b32_sdwa v2, v3, v2 dst_sel:DWORD dst_unused:UNUSED_PAD src0_sel:DWORD src1_sel:BYTE_0
	v_lshl_add_u32 v2, v42, 9, v2
	ds_read_b128 v[10:13], v2
	ds_read_b128 v[2:5], v2 offset:16
	v_and_b32_e32 v27, 63, v0
	v_cmp_gt_u32_e32 vcc, 5, v28
	v_mov_b32_e32 v43, 0
	s_and_saveexec_b64 s[4:5], vcc
	s_cbranch_execz .LBB772_13
; %bb.12:
	s_load_dwordx2 s[12:13], s[0:1], 0x40
	v_add_u32_e32 v34, s48, v28
	v_ashrrev_i32_e32 v35, 31, v34
	s_waitcnt lgkmcnt(0)
	v_lshl_add_u64 v[34:35], v[34:35], 2, s[12:13]
	global_load_dword v43, v[34:35], off
.LBB772_13:
	s_or_b64 exec, exec, s[4:5]
	v_or_b32_e32 v62, s16, v32
	v_ashrrev_i32_e32 v30, 4, v62
	v_mov_b32_e32 v63, s17
	v_cmp_gt_i32_e32 vcc, s29, v62
	s_waitcnt vmcnt(2)
	v_cvt_pk_f32_fp8_e32 v[52:53], v20
	v_cvt_pk_f32_fp8_sdwa v[54:55], v20 src0_sel:WORD_1
	v_cndmask_b32_e32 v20, v63, v30, vcc
	v_cvt_pk_f32_fp8_e32 v[56:57], v21
	v_cvt_pk_f32_fp8_sdwa v[58:59], v21 src0_sel:WORD_1
	v_ashrrev_i32_e32 v21, 31, v20
	v_cvt_pk_f32_fp8_e32 v[40:41], v22
	v_cvt_pk_f32_fp8_sdwa v[44:45], v22 src0_sel:WORD_1
	v_lshl_add_u64 v[20:21], v[20:21], 2, s[8:9]
	v_cvt_pk_f32_fp8_e32 v[46:47], v18
	v_cvt_pk_f32_fp8_sdwa v[48:49], v18 src0_sel:WORD_1
	global_load_dword v64, v[20:21], off
	v_cvt_pk_f32_fp8_e32 v[34:35], v23
	v_cvt_pk_f32_fp8_sdwa v[32:33], v23 src0_sel:WORD_1
	v_cvt_pkrtz_f16_f32 v20, v40, v41
	v_cvt_pkrtz_f16_f32 v21, v44, v45
	v_cvt_pk_f32_fp8_e32 v[36:37], v24
	v_cvt_pk_f32_fp8_sdwa v[38:39], v24 src0_sel:WORD_1
	v_cvt_pk_f32_fp8_e32 v[50:51], v19
	v_cvt_pk_f32_fp8_sdwa v[18:19], v19 src0_sel:WORD_1
	v_cvt_pkrtz_f16_f32 v44, v46, v47
	v_cvt_pkrtz_f16_f32 v45, v48, v49
	v_cvt_pk_f32_fp8_e32 v[22:23], v25
	s_waitcnt vmcnt(2)
	v_cvt_pk_f32_fp8_e32 v[40:41], v14
	v_cvt_pk_f32_fp8_sdwa v[46:47], v14 src0_sel:WORD_1
	v_cvt_pkrtz_f16_f32 v48, v34, v35
	v_cvt_pkrtz_f16_f32 v49, v32, v33
	v_or_b32_e32 v14, 64, v62
	v_or_b32_e32 v32, 0xc0, v62
	v_cvt_pk_f32_fp8_sdwa v[24:25], v25 src0_sel:WORD_1
	s_load_dword s11, s[0:1], 0x1c
	s_load_dwordx4 s[40:43], s[0:1], 0x80
	v_cvt_pkrtz_f16_f32 v36, v36, v37
	v_cvt_pkrtz_f16_f32 v37, v38, v39
	v_or_b32_e32 v65, 0x80, v62
	v_ashrrev_i32_e32 v62, 4, v14
	v_cmp_gt_i32_e32 vcc, s29, v32
	v_ashrrev_i32_e32 v66, 4, v32
	v_cmp_gt_i32_e64 s[4:5], s29, v14
	v_cvt_pkrtz_f16_f32 v38, v50, v51
	v_cvt_pkrtz_f16_f32 v39, v18, v19
	s_waitcnt lgkmcnt(0)
	v_mfma_f32_16x16x16_f16 v[32:35], v[20:21], v[10:11], 0
	s_add_u32 s6, s6, s10
	v_lshlrev_b32_e32 v30, 4, v28
	v_cndmask_b32_e64 v50, v63, v62, s[4:5]
	v_cvt_pkrtz_f16_f32 v62, v22, v23
	v_mfma_f32_16x16x16_f16 v[20:23], v[44:45], v[10:11], 0
	v_lshl_or_b32 v30, v29, 8, v30
	s_addc_u32 s7, s7, 0
	v_ashrrev_i32_e32 v14, 4, v65
	v_lshl_add_u64 v[18:19], s[6:7], 0, v[30:31]
	v_cmp_gt_i32_e64 s[6:7], s29, v65
	v_mfma_f32_16x16x16_f16 v[30:33], v[48:49], v[12:13], v[32:35]
	v_cndmask_b32_e32 v48, v63, v66, vcc
	s_load_dword s4, s[40:41], 0x0
	v_cvt_pk_f32_fp8_e32 v[60:61], v15
	v_cndmask_b32_e64 v34, v63, v14, s[6:7]
	v_cvt_pkrtz_f16_f32 v63, v24, v25
	v_cvt_pkrtz_f16_f32 v24, v52, v53
	;; [unrolled: 1-line block ×3, first 2 shown]
	v_mfma_f32_16x16x16_f16 v[20:23], v[38:39], v[12:13], v[20:23]
	v_cvt_pkrtz_f16_f32 v40, v40, v41
	v_cvt_pkrtz_f16_f32 v41, v46, v47
	v_ashrrev_i32_e32 v51, 31, v50
	v_mfma_f32_16x16x16_f16 v[20:23], v[24:25], v[2:3], v[20:23]
	v_mov_b32_e32 v24, s11
	s_waitcnt lgkmcnt(0)
	v_mul_f32_e32 v54, s4, v24
	v_cvt_pk_f32_fp8_sdwa v[24:25], v15 src0_sel:WORD_1
	v_mfma_f32_16x16x16_f16 v[30:33], v[36:37], v[2:3], v[30:33]
	v_ashrrev_i32_e32 v35, 31, v34
	v_ashrrev_i32_e32 v49, 31, v48
	v_lshl_add_u64 v[36:37], v[50:51], 2, s[8:9]
	v_lshl_add_u64 v[34:35], v[34:35], 2, s[8:9]
	;; [unrolled: 1-line block ×3, first 2 shown]
	global_load_dword v14, v[36:37], off
	global_load_dword v44, v[34:35], off
	global_load_dword v45, v[46:47], off
	v_cvt_pkrtz_f16_f32 v46, v60, v61
	v_cvt_pk_f32_fp8_e32 v[48:49], v16
	v_cvt_pk_f32_fp8_sdwa v[50:51], v16 src0_sel:WORD_1
	v_cvt_pkrtz_f16_f32 v47, v24, v25
	v_mfma_f32_16x16x16_f16 v[36:39], v[62:63], v[4:5], v[30:33]
	v_cvt_pkrtz_f16_f32 v24, v48, v49
	v_cvt_pkrtz_f16_f32 v25, v50, v51
	;; [unrolled: 1-line block ×3, first 2 shown]
	v_mfma_f32_16x16x16_f16 v[30:33], v[40:41], v[10:11], 0
	v_cvt_pk_f32_fp8_e32 v[40:41], v17
	v_cvt_pk_f32_fp8_sdwa v[16:17], v17 src0_sel:WORD_1
	v_cvt_pkrtz_f16_f32 v53, v58, v59
	v_mfma_f32_16x16x16_f16 v[46:49], v[46:47], v[12:13], v[30:33]
	s_mov_b32 s33, 0xff7fffff
	s_waitcnt vmcnt(3)
	v_mad_i64_i32 v[34:35], s[4:5], v64, s45, v[18:19]
	v_cvt_pkrtz_f16_f32 v32, v40, v41
	v_cvt_pkrtz_f16_f32 v33, v16, v17
	v_mfma_f32_16x16x16_f16 v[46:49], v[24:25], v[2:3], v[46:49]
	v_cvt_pk_f32_fp8_e32 v[16:17], v6
	v_cvt_pk_f32_fp8_sdwa v[24:25], v6 src0_sel:WORD_1
	v_pk_mul_f32 v[30:31], v[54:55], v[38:39] op_sel_hi:[0,1]
	v_mfma_f32_16x16x16_f16 v[46:49], v[32:33], v[4:5], v[46:49]
	v_cvt_pk_f32_fp8_e32 v[32:33], v7
	v_cvt_pkrtz_f16_f32 v16, v16, v17
	v_cvt_pkrtz_f16_f32 v17, v24, v25
	v_cvt_pk_f32_fp8_sdwa v[6:7], v7 src0_sel:WORD_1
	v_pk_mul_f32 v[38:39], v[54:55], v[36:37] op_sel_hi:[0,1]
	v_cvt_pkrtz_f16_f32 v24, v32, v33
	v_cvt_pk_f32_fp8_e32 v[32:33], v8
	v_cvt_pk_f32_fp8_sdwa v[36:37], v8 src0_sel:WORD_1
	v_cvt_pkrtz_f16_f32 v25, v6, v7
	v_mfma_f32_16x16x16_f16 v[20:23], v[52:53], v[4:5], v[20:23]
	v_mfma_f32_16x16x16_f16 v[50:53], v[16:17], v[10:11], 0
	v_cvt_pkrtz_f16_f32 v10, v32, v33
	v_cvt_pkrtz_f16_f32 v11, v36, v37
	v_cvt_pk_f32_fp8_e32 v[16:17], v9
	v_cvt_pk_f32_fp8_sdwa v[32:33], v9 src0_sel:WORD_1
	v_mfma_f32_16x16x16_f16 v[6:9], v[24:25], v[12:13], v[50:53]
	s_nop 0
	v_pk_mul_f32 v[36:37], v[54:55], v[22:23] op_sel_hi:[0,1]
	v_cvt_pkrtz_f16_f32 v12, v16, v17
	v_cvt_pkrtz_f16_f32 v13, v32, v33
	v_mfma_f32_16x16x16_f16 v[6:9], v[10:11], v[2:3], v[6:9]
	v_pk_mul_f32 v[40:41], v[54:55], v[20:21] op_sel_hi:[0,1]
	v_pk_mul_f32 v[24:25], v[54:55], v[48:49] op_sel_hi:[0,1]
	;; [unrolled: 1-line block ×3, first 2 shown]
	v_mfma_f32_16x16x16_f16 v[2:5], v[12:13], v[4:5], v[6:9]
	s_nop 6
	v_pk_mul_f32 v[22:23], v[54:55], v[2:3] op_sel_hi:[0,1]
	v_and_b32_e32 v2, 0xc0, v0
	v_add_u32_e32 v2, s16, v2
	v_lshl_or_b32 v2, v42, 2, v2
	v_or_b32_e32 v3, 1, v2
	v_pk_mul_f32 v[20:21], v[54:55], v[4:5] op_sel_hi:[0,1]
	v_subrev_u32_e32 v4, s29, v3
	v_add_u32_e32 v6, 1, v4
	v_add_u32_e32 v7, 2, v4
	;; [unrolled: 1-line block ×3, first 2 shown]
	v_cvt_f32_i32_e32 v6, v6
	v_cvt_f32_i32_e32 v7, v7
	;; [unrolled: 1-line block ×3, first 2 shown]
	v_add_u32_e32 v9, 19, v4
	v_fmac_f32_e32 v39, v43, v6
	v_fma_f32 v30, v43, v7, v30
	v_fmac_f32_e32 v31, v43, v8
	v_add_u32_e32 v6, 16, v4
	v_add_u32_e32 v7, 17, v4
	;; [unrolled: 1-line block ×3, first 2 shown]
	v_cvt_f32_i32_e32 v6, v6
	v_cvt_f32_i32_e32 v7, v7
	;; [unrolled: 1-line block ×4, first 2 shown]
	v_fma_f32 v40, v43, v6, v40
	v_fmac_f32_e32 v41, v43, v7
	v_fma_f32 v36, v43, v8, v36
	v_add_u32_e32 v6, 32, v4
	v_add_u32_e32 v7, 33, v4
	;; [unrolled: 1-line block ×3, first 2 shown]
	v_cvt_f32_i32_e32 v6, v6
	v_cvt_f32_i32_e32 v7, v7
	;; [unrolled: 1-line block ×4, first 2 shown]
	v_fmac_f32_e32 v37, v43, v9
	v_add_u32_e32 v9, 35, v4
	v_fma_f32 v32, v43, v6, v32
	v_fmac_f32_e32 v33, v43, v7
	v_fma_f32 v24, v43, v8, v24
	v_add_u32_e32 v6, 48, v4
	v_add_u32_e32 v7, 49, v4
	;; [unrolled: 1-line block ×4, first 2 shown]
	v_cvt_f32_i32_e32 v4, v4
	v_cvt_f32_i32_e32 v6, v6
	;; [unrolled: 1-line block ×3, first 2 shown]
	v_fma_f32 v5, v43, v5, v38
	v_fmac_f32_e32 v21, v43, v4
	v_mov_b32_e32 v4, 0xff7fffff
	v_cmp_gt_i32_e64 s[4:5], s29, v2
	v_cmp_gt_i32_e64 s[34:35], s29, v3
	v_fma_f32 v22, v43, v6, v22
	v_cndmask_b32_e64 v6, v4, v5, s[4:5]
	v_cndmask_b32_e64 v3, v4, v39, s[34:35]
	v_fmac_f32_e32 v23, v43, v7
	v_max3_f32 v3, v6, s33, v3
	v_or_b32_e32 v6, 2, v2
	v_or_b32_e32 v7, 3, v2
	v_cmp_gt_i32_e64 s[36:37], s29, v6
	v_cmp_gt_i32_e64 s[38:39], s29, v7
	v_cvt_f32_i32_e32 v9, v9
	v_cndmask_b32_e64 v6, v4, v30, s[36:37]
	v_cndmask_b32_e64 v7, v4, v31, s[38:39]
	v_max3_f32 v3, v3, v6, v7
	v_or_b32_e32 v6, 16, v2
	v_or_b32_e32 v7, 17, v2
	v_cmp_gt_i32_e64 s[24:25], s29, v6
	v_cmp_gt_i32_e64 s[26:27], s29, v7
	v_fmac_f32_e32 v25, v43, v9
	v_cndmask_b32_e64 v6, v4, v40, s[24:25]
	v_cndmask_b32_e64 v7, v4, v41, s[26:27]
	v_max3_f32 v3, v3, v6, v7
	v_or_b32_e32 v6, 18, v2
	v_or_b32_e32 v7, 19, v2
	v_cmp_gt_i32_e64 s[20:21], s29, v6
	v_cmp_gt_i32_e64 s[22:23], s29, v7
	v_cvt_f32_i32_e32 v8, v8
	v_cndmask_b32_e64 v6, v4, v36, s[20:21]
	v_cndmask_b32_e64 v7, v4, v37, s[22:23]
	v_max3_f32 v3, v3, v6, v7
	v_or_b32_e32 v6, 32, v2
	v_or_b32_e32 v7, 33, v2
	v_cmp_gt_i32_e64 s[16:17], s29, v6
	v_cmp_gt_i32_e64 s[18:19], s29, v7
	v_fma_f32 v20, v43, v8, v20
	v_cndmask_b32_e64 v6, v4, v32, s[16:17]
	v_cndmask_b32_e64 v7, v4, v33, s[18:19]
	v_max3_f32 v3, v3, v6, v7
	v_or_b32_e32 v6, 34, v2
	v_or_b32_e32 v7, 35, v2
	v_cmp_gt_i32_e64 s[12:13], s29, v6
	v_cmp_gt_i32_e64 s[14:15], s29, v7
	s_nop 0
	v_cndmask_b32_e64 v6, v4, v24, s[12:13]
	v_cndmask_b32_e64 v7, v4, v25, s[14:15]
	v_max3_f32 v3, v3, v6, v7
	v_or_b32_e32 v6, 48, v2
	v_or_b32_e32 v7, 49, v2
	v_cmp_gt_i32_e64 s[8:9], s29, v6
	v_cmp_gt_i32_e64 s[10:11], s29, v7
	s_nop 0
	v_cndmask_b32_e64 v6, v4, v22, s[8:9]
	v_cndmask_b32_e64 v7, v4, v23, s[10:11]
	v_max3_f32 v3, v3, v6, v7
	v_or_b32_e32 v6, 50, v2
	v_or_b32_e32 v2, 51, v2
	v_cmp_gt_i32_e32 vcc, s29, v6
	v_cmp_gt_i32_e64 s[6:7], s29, v2
	s_nop 0
	v_cndmask_b32_e32 v6, v4, v20, vcc
	v_cndmask_b32_e64 v2, v4, v21, s[6:7]
	v_max3_f32 v4, v3, v6, v2
	v_mbcnt_lo_u32_b32 v2, -1, 0
	v_mbcnt_hi_u32_b32 v6, -1, v2
	v_and_b32_e32 v2, 64, v6
	v_add_u32_e32 v7, 64, v2
	v_xor_b32_e32 v2, 32, v6
	v_cmp_lt_i32_e64 s[40:41], v2, v7
	s_nop 1
	v_cndmask_b32_e64 v2, v6, v2, s[40:41]
	v_lshlrev_b32_e32 v43, 2, v2
	ds_bpermute_b32 v8, v43, v4
	s_waitcnt vmcnt(2)
	v_mad_i64_i32 v[2:3], s[40:41], v14, s45, v[18:19]
	global_load_dwordx4 v[14:17], v[34:35], off
	global_load_dwordx4 v[10:13], v[2:3], off
	v_xor_b32_e32 v3, 16, v6
	v_cmp_lt_i32_e64 s[40:41], v3, v7
	s_waitcnt lgkmcnt(0)
	v_max_f32_e32 v2, v8, v8
	v_max_f32_e32 v2, v4, v2
	v_cndmask_b32_e64 v3, v6, v3, s[40:41]
	v_lshlrev_b32_e32 v46, 2, v3
	ds_bpermute_b32 v3, v46, v2
	s_waitcnt vmcnt(3)
	v_mad_i64_i32 v[34:35], s[40:41], v44, s45, v[18:19]
	s_waitcnt vmcnt(2)
	v_mad_i64_i32 v[18:19], s[40:41], v45, s45, v[18:19]
	s_waitcnt lgkmcnt(0)
	v_max_f32_e32 v3, v3, v3
	v_max_f32_e32 v38, v2, v3
	v_sub_f32_e32 v2, v5, v38
	v_mul_f32_e32 v2, 0x3fb8aa3b, v2
	v_exp_f32_e32 v44, v2
	v_sub_f32_e32 v2, v39, v38
	v_mul_f32_e32 v2, 0x3fb8aa3b, v2
	v_exp_f32_e32 v39, v2
	global_load_dwordx4 v[6:9], v[34:35], off
	global_load_dwordx4 v[2:5], v[18:19], off
	v_sub_f32_e32 v30, v30, v38
	v_mul_f32_e32 v30, 0x3fb8aa3b, v30
	v_sub_f32_e32 v31, v31, v38
	v_exp_f32_e32 v30, v30
	v_mul_f32_e32 v31, 0x3fb8aa3b, v31
	v_exp_f32_e32 v31, v31
	v_cndmask_b32_e64 v18, 0, v44, s[4:5]
	v_add_f32_e32 v34, 0, v18
	v_cndmask_b32_e64 v19, 0, v39, s[34:35]
	v_add_f32_e32 v35, v34, v19
	;; [unrolled: 2-line block ×3, first 2 shown]
	v_cndmask_b32_e64 v35, 0, v31, s[38:39]
	v_sub_f32_e32 v31, v40, v38
	v_mul_f32_e32 v31, 0x3fb8aa3b, v31
	v_sub_f32_e32 v39, v41, v38
	v_exp_f32_e32 v31, v31
	v_mul_f32_e32 v39, 0x3fb8aa3b, v39
	v_sub_f32_e32 v36, v36, v38
	v_exp_f32_e32 v39, v39
	v_mul_f32_e32 v36, 0x3fb8aa3b, v36
	v_sub_f32_e32 v37, v37, v38
	v_exp_f32_e32 v36, v36
	v_mul_f32_e32 v37, 0x3fb8aa3b, v37
	v_sub_f32_e32 v32, v32, v38
	v_exp_f32_e32 v37, v37
	v_mul_f32_e32 v32, 0x3fb8aa3b, v32
	v_sub_f32_e32 v33, v33, v38
	v_add_f32_e32 v40, v30, v35
	v_cndmask_b32_e64 v30, 0, v31, s[24:25]
	v_exp_f32_e32 v32, v32
	v_mul_f32_e32 v33, 0x3fb8aa3b, v33
	v_sub_f32_e32 v24, v24, v38
	v_add_f32_e32 v40, v40, v30
	v_cndmask_b32_e64 v31, 0, v39, s[26:27]
	v_exp_f32_e32 v33, v33
	;; [unrolled: 5-line block ×7, first 2 shown]
	v_mul_f32_e32 v21, 0x3fb8aa3b, v21
	v_add_f32_e32 v39, v39, v24
	v_cndmask_b32_e64 v25, 0, v25, s[14:15]
	v_exp_f32_e32 v21, v21
	v_add_f32_e32 v39, v39, v25
	v_cndmask_b32_e64 v22, 0, v22, s[8:9]
	v_add_f32_e32 v39, v39, v22
	v_cndmask_b32_e64 v23, 0, v23, s[10:11]
	v_add_f32_e32 v39, v39, v23
	v_cndmask_b32_e32 v20, 0, v20, vcc
	v_add_f32_e32 v39, v39, v20
	v_cndmask_b32_e64 v21, 0, v21, s[6:7]
	v_add_f32_e32 v39, v39, v21
	ds_bpermute_b32 v40, v43, v39
	s_load_dword s9, s[0:1], 0x98
	v_cmp_gt_u32_e64 s[6:7], 16, v27
	s_waitcnt lgkmcnt(0)
	s_barrier
	v_add_f32_e32 v40, v39, v40
	ds_bpermute_b32 v41, v46, v40
	v_lshlrev_b32_e32 v39, 2, v28
	s_waitcnt lgkmcnt(0)
	s_and_saveexec_b64 s[4:5], s[6:7]
	s_cbranch_execz .LBB772_15
; %bb.14:
	v_add_f32_e32 v27, v40, v41
	v_lshl_or_b32 v40, v29, 6, v39
	ds_write2st64_b32 v40, v38, v27 offset1:1
.LBB772_15:
	s_or_b64 exec, exec, s[4:5]
	s_load_dword s8, s[0:1], 0x94
	s_waitcnt lgkmcnt(0)
	s_barrier
	ds_read2_b32 v[40:41], v39 offset1:16
	ds_read2_b32 v[44:45], v39 offset0:32 offset1:48
	ds_read2_b32 v[46:47], v39 offset0:64 offset1:80
	s_mul_i32 s9, s9, 5
	s_waitcnt lgkmcnt(2)
	v_max3_f32 v27, v40, s33, v41
	s_waitcnt lgkmcnt(1)
	v_max3_f32 v27, v27, v44, v45
	v_sub_f32_e32 v38, v40, v27
	v_mul_f32_e32 v38, 0x3fb8aa3b, v38
	v_exp_f32_e32 v43, v38
	v_sub_f32_e32 v38, v41, v27
	v_mul_f32_e32 v38, 0x3fb8aa3b, v38
	v_exp_f32_e32 v48, v38
	;; [unrolled: 3-line block ×3, first 2 shown]
	ds_read2_b32 v[40:41], v39 offset0:96 offset1:112
	v_sub_f32_e32 v38, v45, v27
	v_mul_f32_e32 v38, 0x3fb8aa3b, v38
	v_exp_f32_e32 v39, v38
	s_waitcnt lgkmcnt(1)
	v_fma_f32 v38, v43, v46, 0
	v_fmac_f32_e32 v38, v48, v47
	s_waitcnt lgkmcnt(0)
	v_fmac_f32_e32 v38, v44, v40
	v_fmac_f32_e32 v38, v39, v41
	v_add_f32_e32 v40, 0x358637bd, v38
	v_div_scale_f32 v41, s[4:5], v40, v40, 1.0
	v_rcp_f32_e32 v45, v41
	s_barrier
	v_fma_f32 v46, -v41, v45, 1.0
	v_fmac_f32_e32 v45, v46, v45
	v_div_scale_f32 v46, vcc, 1.0, v40, 1.0
	v_mul_f32_e32 v47, v46, v45
	v_fma_f32 v49, -v41, v47, v46
	v_fmac_f32_e32 v47, v49, v45
	v_fma_f32 v41, -v41, v47, v46
	v_div_fmas_f32 v41, v41, v45, v47
	v_cmp_eq_u32_e32 vcc, 1, v29
	v_div_fixup_f32 v40, v41, v40, 1.0
	s_nop 0
	v_cndmask_b32_e32 v41, v43, v48, vcc
	v_cmp_eq_u32_e32 vcc, 2, v29
	s_nop 1
	v_cndmask_b32_e32 v41, v41, v44, vcc
	v_cmp_eq_u32_e32 vcc, 3, v29
	v_lshlrev_b32_e32 v29, 11, v29
	s_nop 0
	v_cndmask_b32_e32 v39, v41, v39, vcc
	v_mul_f32_e32 v40, v39, v40
	v_pk_mul_f32 v[18:19], v[40:41], v[18:19] op_sel_hi:[0,1]
	v_pk_mul_f32 v[34:35], v[40:41], v[34:35] op_sel_hi:[0,1]
	v_cvt_f16_f32_e32 v18, v18
	v_cvt_f16_f32_e32 v19, v19
	v_pk_mul_f32 v[36:37], v[40:41], v[36:37] op_sel_hi:[0,1]
	v_pk_mul_f32 v[30:31], v[40:41], v[30:31] op_sel_hi:[0,1]
	v_cvt_f16_f32_e32 v39, v34
	v_cvt_f16_f32_e32 v35, v35
	;; [unrolled: 1-line block ×6, first 2 shown]
	v_pack_b32_f16 v34, v18, v19
	v_lshlrev_b32_e32 v18, 3, v42
	v_lshlrev_b32_e32 v19, 5, v28
	v_pack_b32_f16 v35, v39, v35
	v_or3_b32 v18, v29, v19, v18
	v_pack_b32_f16 v30, v30, v31
	v_pack_b32_f16 v31, v36, v37
	ds_write2st64_b64 v18, v[34:35], v[30:31] offset1:1
	v_pk_mul_f32 v[24:25], v[40:41], v[24:25] op_sel_hi:[0,1]
	v_pk_mul_f32 v[30:31], v[40:41], v[32:33] op_sel_hi:[0,1]
	;; [unrolled: 1-line block ×4, first 2 shown]
	v_cvt_f16_f32_e32 v29, v30
	v_cvt_f16_f32_e32 v30, v31
	;; [unrolled: 1-line block ×8, first 2 shown]
	v_pack_b32_f16 v20, v29, v30
	v_pack_b32_f16 v21, v24, v25
	;; [unrolled: 1-line block ×4, first 2 shown]
	v_cmp_gt_u32_e32 vcc, 5, v0
	ds_write2st64_b64 v18, v[20:21], v[22:23] offset0:2 offset1:3
	s_and_saveexec_b64 s[4:5], vcc
	s_cbranch_execz .LBB772_17
; %bb.16:
	s_mov_b32 s49, 0
	v_mov_b32_e32 v29, 0
	v_lshl_add_u64 v[20:21], s[48:49], 0, v[28:29]
	v_mov_b32_e32 v22, s9
	v_mad_u64_u32 v[20:21], s[10:11], s2, v22, v[20:21]
	s_mul_i32 s3, s3, s9
	v_mov_b32_e32 v28, s28
	s_load_dwordx4 s[12:15], s[0:1], 0x58
	v_add_u32_e32 v23, s3, v21
	v_mad_u64_u32 v[20:21], s[10:11], v20, s8, v[28:29]
	v_mov_b32_e32 v22, v21
	v_mad_u64_u32 v[22:23], s[10:11], v23, s8, v[22:23]
	v_mov_b32_e32 v21, v22
	v_lshlrev_b64 v[20:21], 2, v[20:21]
	s_waitcnt lgkmcnt(0)
	v_lshl_add_u64 v[22:23], s[14:15], 0, v[20:21]
	v_lshl_add_u64 v[20:21], s[12:13], 0, v[20:21]
	global_store_dword v[22:23], v27, off
	global_store_dword v[20:21], v38, off
.LBB772_17:
	s_or_b64 exec, exec, s[4:5]
	s_waitcnt vmcnt(3)
	v_cvt_pk_f32_fp8_e32 v[20:21], v14
	v_cvt_pk_f32_fp8_sdwa v[22:23], v14 src0_sel:WORD_1
	v_lshl_or_b32 v14, v42, 9, v19
	s_waitcnt lgkmcnt(0)
	s_barrier
	v_cvt_pk_f32_fp8_e32 v[24:25], v15
	v_cvt_pkrtz_f16_f32 v32, v20, v21
	v_cvt_pkrtz_f16_f32 v33, v22, v23
	v_cvt_pk_f32_fp8_sdwa v[28:29], v15 src0_sel:WORD_1
	ds_read_b128 v[20:23], v14
	v_cvt_pkrtz_f16_f32 v24, v24, v25
	v_cvt_pk_f32_fp8_e32 v[36:37], v16
	v_cvt_pkrtz_f16_f32 v25, v28, v29
	ds_read_b128 v[28:31], v14 offset:16
	v_cvt_pk_f32_fp8_sdwa v[38:39], v16 src0_sel:WORD_1
	s_waitcnt lgkmcnt(1)
	v_mfma_f32_16x16x16_f16 v[32:35], v[32:33], v[20:21], 0
	v_cvt_pkrtz_f16_f32 v36, v36, v37
	s_load_dword s4, s[42:43], 0x0
	v_cvt_pkrtz_f16_f32 v37, v38, v39
	v_cvt_pk_f32_fp8_e32 v[38:39], v17
	v_cvt_pk_f32_fp8_sdwa v[16:17], v17 src0_sel:WORD_1
	v_mfma_f32_16x16x16_f16 v[20:23], v[24:25], v[22:23], v[32:35]
	v_cmp_gt_u32_e32 vcc, 64, v0
	v_cvt_pkrtz_f16_f32 v24, v38, v39
	v_cvt_pkrtz_f16_f32 v25, v16, v17
	s_waitcnt lgkmcnt(0)
	v_mfma_f32_16x16x16_f16 v[20:23], v[36:37], v[28:29], v[20:23]
	s_waitcnt vmcnt(2)
	v_cvt_pk_f32_fp8_e32 v[16:17], v10
	v_cvt_pk_f32_fp8_e32 v[28:29], v11
	v_cvt_pk_f32_fp8_sdwa v[36:37], v12 src0_sel:WORD_1
	v_mfma_f32_16x16x16_f16 v[20:23], v[24:25], v[30:31], v[20:23]
	v_cvt_pk_f32_fp8_sdwa v[24:25], v10 src0_sel:WORD_1
	v_cvt_pkrtz_f16_f32 v10, v16, v17
	v_cvt_pk_f32_fp8_sdwa v[16:17], v11 src0_sel:WORD_1
	ds_read_b128 v[32:35], v14 offset:2064
	v_cvt_pkrtz_f16_f32 v11, v24, v25
	v_cvt_pkrtz_f16_f32 v24, v28, v29
	ds_read_b128 v[28:31], v14 offset:2048
	v_cvt_pkrtz_f16_f32 v25, v16, v17
	v_cvt_pk_f32_fp8_e32 v[16:17], v12
	s_waitcnt lgkmcnt(0)
	v_mfma_f32_16x16x16_f16 v[20:23], v[10:11], v[28:29], v[20:23]
	v_cvt_pkrtz_f16_f32 v10, v16, v17
	v_cvt_pkrtz_f16_f32 v11, v36, v37
	v_cvt_pk_f32_fp8_e32 v[16:17], v13
	v_mfma_f32_16x16x16_f16 v[20:23], v[24:25], v[30:31], v[20:23]
	v_cvt_pk_f32_fp8_sdwa v[24:25], v13 src0_sel:WORD_1
	ds_read_b128 v[28:31], v14 offset:4112
	v_cvt_pkrtz_f16_f32 v16, v16, v17
	v_mfma_f32_16x16x16_f16 v[10:13], v[10:11], v[32:33], v[20:23]
	v_cvt_pkrtz_f16_f32 v17, v24, v25
	s_waitcnt vmcnt(1)
	v_cvt_pk_f32_fp8_sdwa v[24:25], v7 src0_sel:WORD_1
	v_cvt_pk_f32_fp8_sdwa v[32:33], v8 src0_sel:WORD_1
	v_cvt_pk_f32_fp8_e32 v[20:21], v6
	v_mfma_f32_16x16x16_f16 v[10:13], v[16:17], v[34:35], v[10:13]
	v_cvt_pk_f32_fp8_sdwa v[16:17], v6 src0_sel:WORD_1
	v_cvt_pk_f32_fp8_e32 v[22:23], v7
	v_cvt_pkrtz_f16_f32 v6, v20, v21
	s_mov_b32 s3, 0
	v_cvt_pkrtz_f16_f32 v7, v16, v17
	v_cvt_pkrtz_f16_f32 v16, v22, v23
	ds_read_b128 v[20:23], v14 offset:4096
	v_cvt_pkrtz_f16_f32 v17, v24, v25
	v_cvt_pk_f32_fp8_e32 v[24:25], v8
	s_waitcnt lgkmcnt(0)
	v_mfma_f32_16x16x16_f16 v[10:13], v[6:7], v[20:21], v[10:13]
	v_cvt_pkrtz_f16_f32 v6, v24, v25
	v_cvt_pkrtz_f16_f32 v7, v32, v33
	v_cvt_pk_f32_fp8_e32 v[20:21], v9
	v_mfma_f32_16x16x16_f16 v[10:13], v[16:17], v[22:23], v[10:13]
	v_cvt_pk_f32_fp8_sdwa v[16:17], v9 src0_sel:WORD_1
	s_waitcnt vmcnt(0)
	v_cvt_pk_f32_fp8_sdwa v[24:25], v4 src0_sel:WORD_1
	v_cvt_pkrtz_f16_f32 v20, v20, v21
	v_mfma_f32_16x16x16_f16 v[6:9], v[6:7], v[28:29], v[10:13]
	v_cvt_pkrtz_f16_f32 v21, v16, v17
	v_cvt_pk_f32_fp8_e32 v[16:17], v3
	v_mov_b32_e32 v27, 0
	v_cvt_pk_f32_fp8_e32 v[10:11], v2
	v_cvt_pk_f32_fp8_sdwa v[12:13], v2 src0_sel:WORD_1
	v_mfma_f32_16x16x16_f16 v[6:9], v[20:21], v[30:31], v[6:9]
	v_cvt_pk_f32_fp8_sdwa v[20:21], v3 src0_sel:WORD_1
	v_cvt_pkrtz_f16_f32 v2, v10, v11
	v_cvt_pkrtz_f16_f32 v3, v12, v13
	ds_read_b128 v[10:13], v14 offset:6144
	v_cvt_pkrtz_f16_f32 v22, v16, v17
	v_cvt_pkrtz_f16_f32 v23, v20, v21
	v_cvt_pk_f32_fp8_e32 v[20:21], v4
	s_waitcnt lgkmcnt(0)
	v_mfma_f32_16x16x16_f16 v[6:9], v[2:3], v[10:11], v[6:9]
	ds_read_b128 v[14:17], v14 offset:6160
	v_cvt_pkrtz_f16_f32 v2, v20, v21
	v_cvt_pkrtz_f16_f32 v3, v24, v25
	v_cvt_pk_f32_fp8_e32 v[10:11], v5
	v_mfma_f32_16x16x16_f16 v[6:9], v[22:23], v[12:13], v[6:9]
	v_cvt_pk_f32_fp8_sdwa v[12:13], v5 src0_sel:WORD_1
	s_waitcnt lgkmcnt(0)
	v_cvt_pkrtz_f16_f32 v10, v10, v11
	v_mfma_f32_16x16x16_f16 v[2:5], v[2:3], v[14:15], v[6:9]
	v_cvt_pkrtz_f16_f32 v11, v12, v13
	s_barrier
	s_nop 0
	v_mfma_f32_16x16x16_f16 v[2:5], v[10:11], v[16:17], v[2:5]
	s_nop 6
	v_pk_mul_f32 v[4:5], v[4:5], s[4:5] op_sel_hi:[1,0]
	v_pk_mul_f32 v[2:3], v[2:3], s[4:5] op_sel_hi:[1,0]
	v_cvt_f16_f32_e32 v4, v4
	v_cvt_f16_f32_e32 v2, v2
	;; [unrolled: 1-line block ×4, first 2 shown]
	s_and_b64 s[4:5], vcc, s[30:31]
	v_pack_b32_f16 v2, v2, v3
	v_pack_b32_f16 v3, v4, v5
	ds_write_b64 v18, v[2:3]
	s_waitcnt lgkmcnt(0)
	s_barrier
	s_and_saveexec_b64 s[10:11], s[4:5]
	s_cbranch_execz .LBB772_20
; %bb.18:
	s_load_dwordx2 s[4:5], s[0:1], 0x68
	s_lshl_b32 s0, s8, 6
	s_mul_i32 s1, s9, s2
	s_mul_hi_u32 s9, s1, s0
	s_mul_i32 s8, s1, s0
	v_lshlrev_b32_e32 v0, 10, v0
	s_lshl_b64 s[8:9], s[8:9], 1
	v_and_b32_e32 v0, 0x1800, v0
	v_lshlrev_b32_e32 v2, 5, v42
	v_and_b32_e32 v1, 16, v1
	s_waitcnt lgkmcnt(0)
	s_add_u32 s1, s4, s8
	v_or3_b32 v2, v0, v2, v1
	s_addc_u32 s4, s5, s9
	s_lshl_b32 s2, s28, 6
	s_lshl_b64 s[2:3], s[2:3], 1
	ds_read_b128 v[4:7], v2
	s_add_u32 s2, s1, s2
	s_addc_u32 s3, s4, s3
	v_add_u32_e32 v3, s48, v42
	v_lshl_add_u64 v[0:1], s[2:3], 0, v[26:27]
	v_mad_u64_u32 v[8:9], s[2:3], v3, s0, 0
	v_lshl_add_u64 v[8:9], v[8:9], 1, v[0:1]
	s_waitcnt lgkmcnt(0)
	global_store_dwordx4 v[8:9], v[4:7], off
	s_and_b64 exec, exec, s[6:7]
	s_cbranch_execz .LBB772_20
; %bb.19:
	ds_read_b128 v[2:5], v2 offset:128
	v_add3_u32 v6, s48, v42, 4
	v_mad_u64_u32 v[6:7], s[0:1], v6, s0, 0
	v_lshl_add_u64 v[0:1], v[6:7], 1, v[0:1]
	s_waitcnt lgkmcnt(0)
	global_store_dwordx4 v[0:1], v[2:5], off
.LBB772_20:
	s_endpgm
	.section	.rodata,"a",@progbits
	.p2align	6, 0x0
	.amdhsa_kernel _Z39paged_attention_ll4mi_QKV_mfma16_kernelIDF16_hLN4vllm18Fp8KVCacheDataTypeE1EhLi16ELi64ELi256ELb1ELi5EEvPKT_PKT0_S7_ifPKiS9_S9_iPKfiiiPfSC_PS2_PT2_iSB_SB_
		.amdhsa_group_segment_fixed_size 8192
		.amdhsa_private_segment_fixed_size 0
		.amdhsa_kernarg_size 400
		.amdhsa_user_sgpr_count 2
		.amdhsa_user_sgpr_dispatch_ptr 0
		.amdhsa_user_sgpr_queue_ptr 0
		.amdhsa_user_sgpr_kernarg_segment_ptr 1
		.amdhsa_user_sgpr_dispatch_id 0
		.amdhsa_user_sgpr_kernarg_preload_length 0
		.amdhsa_user_sgpr_kernarg_preload_offset 0
		.amdhsa_user_sgpr_private_segment_size 0
		.amdhsa_uses_dynamic_stack 0
		.amdhsa_enable_private_segment 0
		.amdhsa_system_sgpr_workgroup_id_x 1
		.amdhsa_system_sgpr_workgroup_id_y 1
		.amdhsa_system_sgpr_workgroup_id_z 1
		.amdhsa_system_sgpr_workgroup_info 0
		.amdhsa_system_vgpr_workitem_id 0
		.amdhsa_next_free_vgpr 67
		.amdhsa_next_free_sgpr 50
		.amdhsa_accum_offset 68
		.amdhsa_reserve_vcc 1
		.amdhsa_float_round_mode_32 0
		.amdhsa_float_round_mode_16_64 0
		.amdhsa_float_denorm_mode_32 3
		.amdhsa_float_denorm_mode_16_64 3
		.amdhsa_dx10_clamp 1
		.amdhsa_ieee_mode 1
		.amdhsa_fp16_overflow 0
		.amdhsa_tg_split 0
		.amdhsa_exception_fp_ieee_invalid_op 0
		.amdhsa_exception_fp_denorm_src 0
		.amdhsa_exception_fp_ieee_div_zero 0
		.amdhsa_exception_fp_ieee_overflow 0
		.amdhsa_exception_fp_ieee_underflow 0
		.amdhsa_exception_fp_ieee_inexact 0
		.amdhsa_exception_int_div_zero 0
	.end_amdhsa_kernel
	.section	.text._Z39paged_attention_ll4mi_QKV_mfma16_kernelIDF16_hLN4vllm18Fp8KVCacheDataTypeE1EhLi16ELi64ELi256ELb1ELi5EEvPKT_PKT0_S7_ifPKiS9_S9_iPKfiiiPfSC_PS2_PT2_iSB_SB_,"axG",@progbits,_Z39paged_attention_ll4mi_QKV_mfma16_kernelIDF16_hLN4vllm18Fp8KVCacheDataTypeE1EhLi16ELi64ELi256ELb1ELi5EEvPKT_PKT0_S7_ifPKiS9_S9_iPKfiiiPfSC_PS2_PT2_iSB_SB_,comdat
.Lfunc_end772:
	.size	_Z39paged_attention_ll4mi_QKV_mfma16_kernelIDF16_hLN4vllm18Fp8KVCacheDataTypeE1EhLi16ELi64ELi256ELb1ELi5EEvPKT_PKT0_S7_ifPKiS9_S9_iPKfiiiPfSC_PS2_PT2_iSB_SB_, .Lfunc_end772-_Z39paged_attention_ll4mi_QKV_mfma16_kernelIDF16_hLN4vllm18Fp8KVCacheDataTypeE1EhLi16ELi64ELi256ELb1ELi5EEvPKT_PKT0_S7_ifPKiS9_S9_iPKfiiiPfSC_PS2_PT2_iSB_SB_
                                        ; -- End function
	.section	.AMDGPU.csdata,"",@progbits
; Kernel info:
; codeLenInByte = 4844
; NumSgprs: 56
; NumVgprs: 67
; NumAgprs: 0
; TotalNumVgprs: 67
; ScratchSize: 0
; MemoryBound: 0
; FloatMode: 240
; IeeeMode: 1
; LDSByteSize: 8192 bytes/workgroup (compile time only)
; SGPRBlocks: 6
; VGPRBlocks: 8
; NumSGPRsForWavesPerEU: 56
; NumVGPRsForWavesPerEU: 67
; AccumOffset: 68
; Occupancy: 7
; WaveLimiterHint : 1
; COMPUTE_PGM_RSRC2:SCRATCH_EN: 0
; COMPUTE_PGM_RSRC2:USER_SGPR: 2
; COMPUTE_PGM_RSRC2:TRAP_HANDLER: 0
; COMPUTE_PGM_RSRC2:TGID_X_EN: 1
; COMPUTE_PGM_RSRC2:TGID_Y_EN: 1
; COMPUTE_PGM_RSRC2:TGID_Z_EN: 1
; COMPUTE_PGM_RSRC2:TIDIG_COMP_CNT: 0
; COMPUTE_PGM_RSRC3_GFX90A:ACCUM_OFFSET: 16
; COMPUTE_PGM_RSRC3_GFX90A:TG_SPLIT: 0
	.section	.text._Z39paged_attention_ll4mi_QKV_mfma16_kernelIDF16_hLN4vllm18Fp8KVCacheDataTypeE1EhLi16ELi64ELi256ELb1ELi6EEvPKT_PKT0_S7_ifPKiS9_S9_iPKfiiiPfSC_PS2_PT2_iSB_SB_,"axG",@progbits,_Z39paged_attention_ll4mi_QKV_mfma16_kernelIDF16_hLN4vllm18Fp8KVCacheDataTypeE1EhLi16ELi64ELi256ELb1ELi6EEvPKT_PKT0_S7_ifPKiS9_S9_iPKfiiiPfSC_PS2_PT2_iSB_SB_,comdat
	.protected	_Z39paged_attention_ll4mi_QKV_mfma16_kernelIDF16_hLN4vllm18Fp8KVCacheDataTypeE1EhLi16ELi64ELi256ELb1ELi6EEvPKT_PKT0_S7_ifPKiS9_S9_iPKfiiiPfSC_PS2_PT2_iSB_SB_ ; -- Begin function _Z39paged_attention_ll4mi_QKV_mfma16_kernelIDF16_hLN4vllm18Fp8KVCacheDataTypeE1EhLi16ELi64ELi256ELb1ELi6EEvPKT_PKT0_S7_ifPKiS9_S9_iPKfiiiPfSC_PS2_PT2_iSB_SB_
	.globl	_Z39paged_attention_ll4mi_QKV_mfma16_kernelIDF16_hLN4vllm18Fp8KVCacheDataTypeE1EhLi16ELi64ELi256ELb1ELi6EEvPKT_PKT0_S7_ifPKiS9_S9_iPKfiiiPfSC_PS2_PT2_iSB_SB_
	.p2align	8
	.type	_Z39paged_attention_ll4mi_QKV_mfma16_kernelIDF16_hLN4vllm18Fp8KVCacheDataTypeE1EhLi16ELi64ELi256ELb1ELi6EEvPKT_PKT0_S7_ifPKiS9_S9_iPKfiiiPfSC_PS2_PT2_iSB_SB_,@function
_Z39paged_attention_ll4mi_QKV_mfma16_kernelIDF16_hLN4vllm18Fp8KVCacheDataTypeE1EhLi16ELi64ELi256ELb1ELi6EEvPKT_PKT0_S7_ifPKiS9_S9_iPKfiiiPfSC_PS2_PT2_iSB_SB_: ; @_Z39paged_attention_ll4mi_QKV_mfma16_kernelIDF16_hLN4vllm18Fp8KVCacheDataTypeE1EhLi16ELi64ELi256ELb1ELi6EEvPKT_PKT0_S7_ifPKiS9_S9_iPKfiiiPfSC_PS2_PT2_iSB_SB_
; %bb.0:
	s_load_dwordx2 s[6:7], s[0:1], 0x30
	s_mov_b32 s28, s3
	s_mov_b64 s[8:9], 0
	s_waitcnt lgkmcnt(0)
	s_cmp_lg_u64 s[6:7], 0
	s_cselect_b64 s[10:11], -1, 0
	s_and_b64 vcc, exec, s[10:11]
	s_cbranch_vccz .LBB773_7
; %bb.1:
	s_add_i32 s12, s2, 1
	s_mov_b32 s13, 0
	s_lshl_b64 s[14:15], s[12:13], 2
	s_add_u32 s14, s6, s14
	s_mov_b32 s3, s13
	s_addc_u32 s15, s7, s15
	s_lshl_b64 s[12:13], s[2:3], 2
	s_add_u32 s12, s6, s12
	s_addc_u32 s13, s7, s13
	s_load_dword s5, s[14:15], 0x0
	s_load_dword s16, s[12:13], 0x0
	s_waitcnt lgkmcnt(0)
	s_sub_i32 s5, s5, s16
	s_cmp_eq_u32 s5, 1
	s_cselect_b64 s[12:13], -1, 0
	s_andn2_b64 vcc, exec, s[8:9]
	s_cbranch_vccnz .LBB773_3
.LBB773_2:
	s_mov_b32 s3, 0
	s_mov_b64 s[12:13], -1
.LBB773_3:
	s_andn2_b64 vcc, exec, s[12:13]
	s_cbranch_vccnz .LBB773_20
; %bb.4:
	s_load_dwordx2 s[8:9], s[0:1], 0x28
	s_lshl_b64 s[12:13], s[2:3], 2
	s_waitcnt lgkmcnt(0)
	s_add_u32 s8, s8, s12
	s_addc_u32 s9, s9, s13
	s_load_dword s29, s[8:9], 0x0
	s_lshl_b32 s16, s28, 8
	s_waitcnt lgkmcnt(0)
	s_cmp_ge_i32 s16, s29
	s_cbranch_scc1 .LBB773_20
; %bb.5:
	s_load_dwordx2 s[8:9], s[0:1], 0x20
	s_load_dword s5, s[0:1], 0x38
	s_add_i32 s14, s29, 15
	s_ashr_i32 s15, s14, 31
	v_and_b32_e32 v1, 0xcf, v0
	s_lshr_b32 s15, s15, 28
	v_add_u32_e32 v1, s16, v1
	s_add_i32 s14, s14, s15
	v_ashrrev_i32_e32 v2, 31, v1
	s_ashr_i32 s17, s14, 4
	v_lshrrev_b32_e32 v4, 28, v2
	s_add_i32 s17, s17, -1
	s_waitcnt lgkmcnt(0)
	s_mul_i32 s14, s2, s5
	s_mov_b32 s15, 0
	v_add_u32_e32 v2, v1, v4
	s_lshl_b64 s[14:15], s[14:15], 2
	v_ashrrev_i32_e32 v2, 4, v2
	v_mov_b32_e32 v5, s17
	v_cmp_gt_i32_e32 vcc, s29, v1
	s_add_u32 s8, s8, s14
	s_addc_u32 s9, s9, s15
	v_cndmask_b32_e32 v2, v5, v2, vcc
	v_ashrrev_i32_e32 v3, 31, v2
	v_lshl_add_u64 v[6:7], v[2:3], 2, s[8:9]
	v_or_b32_e32 v2, 16, v1
	v_add_u32_e32 v3, v2, v4
	v_ashrrev_i32_e32 v3, 4, v3
	v_cmp_gt_i32_e32 vcc, s29, v2
	s_load_dwordx2 s[14:15], s[0:1], 0x8
	s_nop 0
	v_cndmask_b32_e32 v2, v5, v3, vcc
	v_ashrrev_i32_e32 v3, 31, v2
	v_lshl_add_u64 v[8:9], v[2:3], 2, s[8:9]
	v_or_b32_e32 v2, 32, v1
	v_add_u32_e32 v3, v2, v4
	v_ashrrev_i32_e32 v3, 4, v3
	v_cmp_gt_i32_e32 vcc, s29, v2
	v_or_b32_e32 v1, 48, v1
	s_nop 0
	v_cndmask_b32_e32 v2, v5, v3, vcc
	v_ashrrev_i32_e32 v3, 31, v2
	v_lshl_add_u64 v[10:11], v[2:3], 2, s[8:9]
	v_add_u32_e32 v2, v1, v4
	v_ashrrev_i32_e32 v2, 4, v2
	v_cmp_gt_i32_e32 vcc, s29, v1
	s_nop 1
	v_cndmask_b32_e32 v2, v5, v2, vcc
	v_ashrrev_i32_e32 v3, 31, v2
	v_lshl_add_u64 v[12:13], v[2:3], 2, s[8:9]
	global_load_dword v5, v[6:7], off
	global_load_dword v4, v[8:9], off
	;; [unrolled: 1-line block ×4, first 2 shown]
	s_andn2_b64 vcc, exec, s[10:11]
	s_cbranch_vccnz .LBB773_8
; %bb.6:
	s_add_u32 s6, s6, s12
	s_addc_u32 s7, s7, s13
	s_load_dword s5, s[6:7], 0x0
	s_branch .LBB773_9
.LBB773_7:
	s_mov_b64 s[12:13], 0
	s_branch .LBB773_2
.LBB773_8:
	s_mov_b32 s5, s2
.LBB773_9:
	s_load_dwordx2 s[6:7], s[0:1], 0x10
	s_load_dwordx4 s[44:47], s[0:1], 0x48
	v_lshrrev_b32_e32 v29, 6, v0
	v_bfe_u32 v42, v0, 4, 2
	v_lshl_or_b32 v6, v29, 2, v42
	v_and_b32_e32 v28, 15, v0
	v_lshlrev_b32_e32 v1, 3, v28
	v_cmp_gt_u32_e32 vcc, 6, v6
	v_cmp_gt_u32_e64 s[30:31], 8, v28
	s_mul_i32 s48, s4, 6
	s_and_b64 s[12:13], s[30:31], vcc
	v_lshlrev_b32_e32 v26, 1, v1
	v_lshlrev_b32_e32 v1, 4, v0
	s_and_saveexec_b64 s[10:11], s[12:13]
	s_cbranch_execz .LBB773_11
; %bb.10:
	s_load_dwordx2 s[12:13], s[0:1], 0x0
	s_waitcnt lgkmcnt(0)
	s_ashr_i32 s18, s44, 31
	s_mul_hi_u32 s19, s5, s44
	s_mul_i32 s18, s5, s18
	s_add_i32 s19, s19, s18
	s_mul_i32 s18, s5, s44
	s_lshl_b64 s[18:19], s[18:19], 1
	s_add_u32 s12, s12, s18
	v_add_lshl_u32 v8, v6, s48, 6
	s_addc_u32 s13, s13, s19
	v_ashrrev_i32_e32 v9, 31, v8
	v_lshl_add_u64 v[8:9], v[8:9], 1, s[12:13]
	v_mov_b32_e32 v27, 0
	v_lshl_add_u64 v[8:9], v[8:9], 0, v[26:27]
	global_load_dwordx4 v[8:11], v[8:9], off
	v_lshlrev_b32_e32 v12, 8, v28
	v_lshlrev_b32_e32 v6, 5, v6
	v_and_b32_e32 v7, 16, v1
	v_and_b32_e32 v12, 0xe00, v12
	v_or3_b32 v6, v12, v6, v7
	s_waitcnt vmcnt(0)
	ds_write_b128 v6, v[8:11]
.LBB773_11:
	s_or_b64 exec, exec, s[10:11]
	s_waitcnt lgkmcnt(0)
	s_mul_i32 s10, s4, s46
	s_add_u32 s4, s14, s10
	s_addc_u32 s5, s15, 0
	v_and_b32_e32 v32, 48, v0
	v_and_b32_e32 v30, 0xf0, v1
	v_mov_b32_e32 v31, 0
	v_lshl_add_u64 v[6:7], s[4:5], 0, v[30:31]
	v_lshlrev_b32_e32 v30, 4, v32
	v_lshl_add_u64 v[6:7], v[6:7], 0, v[30:31]
	s_waitcnt vmcnt(3)
	v_mad_i64_i32 v[8:9], s[4:5], v5, s45, v[6:7]
	s_waitcnt vmcnt(2)
	v_mad_i64_i32 v[4:5], s[4:5], v4, s45, v[6:7]
	s_barrier
	global_load_dwordx4 v[22:25], v[8:9], off
	global_load_dwordx4 v[18:21], v[4:5], off
	s_waitcnt vmcnt(3)
	v_mad_i64_i32 v[4:5], s[4:5], v3, s45, v[6:7]
	s_waitcnt vmcnt(2)
	v_mad_i64_i32 v[2:3], s[4:5], v2, s45, v[6:7]
	global_load_dwordx4 v[14:17], v[4:5], off
	global_load_dwordx4 v[6:9], v[2:3], off
	v_mul_lo_u16_e32 v2, 43, v28
	v_mov_b32_e32 v3, 6
	v_mul_lo_u16_sdwa v2, v2, v3 dst_sel:DWORD dst_unused:UNUSED_PAD src0_sel:BYTE_1 src1_sel:DWORD
	v_sub_u16_e32 v2, v28, v2
	v_mov_b32_e32 v3, 5
	v_lshlrev_b32_sdwa v2, v3, v2 dst_sel:DWORD dst_unused:UNUSED_PAD src0_sel:DWORD src1_sel:BYTE_0
	v_lshl_add_u32 v2, v42, 9, v2
	ds_read_b128 v[10:13], v2
	ds_read_b128 v[2:5], v2 offset:16
	v_and_b32_e32 v27, 63, v0
	v_cmp_gt_u32_e32 vcc, 6, v28
	v_mov_b32_e32 v43, 0
	s_and_saveexec_b64 s[4:5], vcc
	s_cbranch_execz .LBB773_13
; %bb.12:
	s_load_dwordx2 s[12:13], s[0:1], 0x40
	v_add_u32_e32 v34, s48, v28
	v_ashrrev_i32_e32 v35, 31, v34
	s_waitcnt lgkmcnt(0)
	v_lshl_add_u64 v[34:35], v[34:35], 2, s[12:13]
	global_load_dword v43, v[34:35], off
.LBB773_13:
	s_or_b64 exec, exec, s[4:5]
	v_or_b32_e32 v62, s16, v32
	v_ashrrev_i32_e32 v30, 4, v62
	v_mov_b32_e32 v63, s17
	v_cmp_gt_i32_e32 vcc, s29, v62
	s_waitcnt vmcnt(2)
	v_cvt_pk_f32_fp8_e32 v[52:53], v20
	v_cvt_pk_f32_fp8_sdwa v[54:55], v20 src0_sel:WORD_1
	v_cndmask_b32_e32 v20, v63, v30, vcc
	v_cvt_pk_f32_fp8_e32 v[56:57], v21
	v_cvt_pk_f32_fp8_sdwa v[58:59], v21 src0_sel:WORD_1
	v_ashrrev_i32_e32 v21, 31, v20
	v_cvt_pk_f32_fp8_e32 v[40:41], v22
	v_cvt_pk_f32_fp8_sdwa v[44:45], v22 src0_sel:WORD_1
	v_lshl_add_u64 v[20:21], v[20:21], 2, s[8:9]
	v_cvt_pk_f32_fp8_e32 v[46:47], v18
	v_cvt_pk_f32_fp8_sdwa v[48:49], v18 src0_sel:WORD_1
	global_load_dword v64, v[20:21], off
	v_cvt_pk_f32_fp8_e32 v[34:35], v23
	v_cvt_pk_f32_fp8_sdwa v[32:33], v23 src0_sel:WORD_1
	v_cvt_pkrtz_f16_f32 v20, v40, v41
	v_cvt_pkrtz_f16_f32 v21, v44, v45
	v_cvt_pk_f32_fp8_e32 v[36:37], v24
	v_cvt_pk_f32_fp8_sdwa v[38:39], v24 src0_sel:WORD_1
	v_cvt_pk_f32_fp8_e32 v[50:51], v19
	v_cvt_pk_f32_fp8_sdwa v[18:19], v19 src0_sel:WORD_1
	v_cvt_pkrtz_f16_f32 v44, v46, v47
	v_cvt_pkrtz_f16_f32 v45, v48, v49
	v_cvt_pk_f32_fp8_e32 v[22:23], v25
	s_waitcnt vmcnt(2)
	v_cvt_pk_f32_fp8_e32 v[40:41], v14
	v_cvt_pk_f32_fp8_sdwa v[46:47], v14 src0_sel:WORD_1
	v_cvt_pkrtz_f16_f32 v48, v34, v35
	v_cvt_pkrtz_f16_f32 v49, v32, v33
	v_or_b32_e32 v14, 64, v62
	v_or_b32_e32 v32, 0xc0, v62
	v_cvt_pk_f32_fp8_sdwa v[24:25], v25 src0_sel:WORD_1
	s_load_dword s11, s[0:1], 0x1c
	s_load_dwordx4 s[40:43], s[0:1], 0x80
	v_cvt_pkrtz_f16_f32 v36, v36, v37
	v_cvt_pkrtz_f16_f32 v37, v38, v39
	v_or_b32_e32 v65, 0x80, v62
	v_ashrrev_i32_e32 v62, 4, v14
	v_cmp_gt_i32_e32 vcc, s29, v32
	v_ashrrev_i32_e32 v66, 4, v32
	v_cmp_gt_i32_e64 s[4:5], s29, v14
	v_cvt_pkrtz_f16_f32 v38, v50, v51
	v_cvt_pkrtz_f16_f32 v39, v18, v19
	s_waitcnt lgkmcnt(0)
	v_mfma_f32_16x16x16_f16 v[32:35], v[20:21], v[10:11], 0
	s_add_u32 s6, s6, s10
	v_lshlrev_b32_e32 v30, 4, v28
	v_cndmask_b32_e64 v50, v63, v62, s[4:5]
	v_cvt_pkrtz_f16_f32 v62, v22, v23
	v_mfma_f32_16x16x16_f16 v[20:23], v[44:45], v[10:11], 0
	v_lshl_or_b32 v30, v29, 8, v30
	s_addc_u32 s7, s7, 0
	v_ashrrev_i32_e32 v14, 4, v65
	v_lshl_add_u64 v[18:19], s[6:7], 0, v[30:31]
	v_cmp_gt_i32_e64 s[6:7], s29, v65
	v_mfma_f32_16x16x16_f16 v[30:33], v[48:49], v[12:13], v[32:35]
	v_cndmask_b32_e32 v48, v63, v66, vcc
	s_load_dword s4, s[40:41], 0x0
	v_cvt_pk_f32_fp8_e32 v[60:61], v15
	v_cndmask_b32_e64 v34, v63, v14, s[6:7]
	v_cvt_pkrtz_f16_f32 v63, v24, v25
	v_cvt_pkrtz_f16_f32 v24, v52, v53
	;; [unrolled: 1-line block ×3, first 2 shown]
	v_mfma_f32_16x16x16_f16 v[20:23], v[38:39], v[12:13], v[20:23]
	v_cvt_pkrtz_f16_f32 v40, v40, v41
	v_cvt_pkrtz_f16_f32 v41, v46, v47
	v_ashrrev_i32_e32 v51, 31, v50
	v_mfma_f32_16x16x16_f16 v[20:23], v[24:25], v[2:3], v[20:23]
	v_mov_b32_e32 v24, s11
	s_waitcnt lgkmcnt(0)
	v_mul_f32_e32 v54, s4, v24
	v_cvt_pk_f32_fp8_sdwa v[24:25], v15 src0_sel:WORD_1
	v_mfma_f32_16x16x16_f16 v[30:33], v[36:37], v[2:3], v[30:33]
	v_ashrrev_i32_e32 v35, 31, v34
	v_ashrrev_i32_e32 v49, 31, v48
	v_lshl_add_u64 v[36:37], v[50:51], 2, s[8:9]
	v_lshl_add_u64 v[34:35], v[34:35], 2, s[8:9]
	;; [unrolled: 1-line block ×3, first 2 shown]
	global_load_dword v14, v[36:37], off
	global_load_dword v44, v[34:35], off
	;; [unrolled: 1-line block ×3, first 2 shown]
	v_cvt_pkrtz_f16_f32 v46, v60, v61
	v_cvt_pk_f32_fp8_e32 v[48:49], v16
	v_cvt_pk_f32_fp8_sdwa v[50:51], v16 src0_sel:WORD_1
	v_cvt_pkrtz_f16_f32 v47, v24, v25
	v_mfma_f32_16x16x16_f16 v[36:39], v[62:63], v[4:5], v[30:33]
	v_cvt_pkrtz_f16_f32 v24, v48, v49
	v_cvt_pkrtz_f16_f32 v25, v50, v51
	;; [unrolled: 1-line block ×3, first 2 shown]
	v_mfma_f32_16x16x16_f16 v[30:33], v[40:41], v[10:11], 0
	v_cvt_pk_f32_fp8_e32 v[40:41], v17
	v_cvt_pk_f32_fp8_sdwa v[16:17], v17 src0_sel:WORD_1
	v_cvt_pkrtz_f16_f32 v53, v58, v59
	v_mfma_f32_16x16x16_f16 v[46:49], v[46:47], v[12:13], v[30:33]
	s_mov_b32 s33, 0xff7fffff
	s_waitcnt vmcnt(3)
	v_mad_i64_i32 v[34:35], s[4:5], v64, s45, v[18:19]
	v_cvt_pkrtz_f16_f32 v32, v40, v41
	v_cvt_pkrtz_f16_f32 v33, v16, v17
	v_mfma_f32_16x16x16_f16 v[46:49], v[24:25], v[2:3], v[46:49]
	v_cvt_pk_f32_fp8_e32 v[16:17], v6
	v_cvt_pk_f32_fp8_sdwa v[24:25], v6 src0_sel:WORD_1
	v_pk_mul_f32 v[30:31], v[54:55], v[38:39] op_sel_hi:[0,1]
	v_mfma_f32_16x16x16_f16 v[46:49], v[32:33], v[4:5], v[46:49]
	v_cvt_pk_f32_fp8_e32 v[32:33], v7
	v_cvt_pkrtz_f16_f32 v16, v16, v17
	v_cvt_pkrtz_f16_f32 v17, v24, v25
	v_cvt_pk_f32_fp8_sdwa v[6:7], v7 src0_sel:WORD_1
	v_pk_mul_f32 v[38:39], v[54:55], v[36:37] op_sel_hi:[0,1]
	v_cvt_pkrtz_f16_f32 v24, v32, v33
	v_cvt_pk_f32_fp8_e32 v[32:33], v8
	v_cvt_pk_f32_fp8_sdwa v[36:37], v8 src0_sel:WORD_1
	v_cvt_pkrtz_f16_f32 v25, v6, v7
	v_mfma_f32_16x16x16_f16 v[20:23], v[52:53], v[4:5], v[20:23]
	v_mfma_f32_16x16x16_f16 v[50:53], v[16:17], v[10:11], 0
	v_cvt_pkrtz_f16_f32 v10, v32, v33
	v_cvt_pkrtz_f16_f32 v11, v36, v37
	v_cvt_pk_f32_fp8_e32 v[16:17], v9
	v_cvt_pk_f32_fp8_sdwa v[32:33], v9 src0_sel:WORD_1
	v_mfma_f32_16x16x16_f16 v[6:9], v[24:25], v[12:13], v[50:53]
	s_nop 0
	v_pk_mul_f32 v[36:37], v[54:55], v[22:23] op_sel_hi:[0,1]
	v_cvt_pkrtz_f16_f32 v12, v16, v17
	v_cvt_pkrtz_f16_f32 v13, v32, v33
	v_mfma_f32_16x16x16_f16 v[6:9], v[10:11], v[2:3], v[6:9]
	v_pk_mul_f32 v[40:41], v[54:55], v[20:21] op_sel_hi:[0,1]
	v_pk_mul_f32 v[24:25], v[54:55], v[48:49] op_sel_hi:[0,1]
	;; [unrolled: 1-line block ×3, first 2 shown]
	v_mfma_f32_16x16x16_f16 v[2:5], v[12:13], v[4:5], v[6:9]
	s_nop 6
	v_pk_mul_f32 v[22:23], v[54:55], v[2:3] op_sel_hi:[0,1]
	v_and_b32_e32 v2, 0xc0, v0
	v_add_u32_e32 v2, s16, v2
	v_lshl_or_b32 v2, v42, 2, v2
	v_or_b32_e32 v3, 1, v2
	v_pk_mul_f32 v[20:21], v[54:55], v[4:5] op_sel_hi:[0,1]
	v_subrev_u32_e32 v4, s29, v3
	v_add_u32_e32 v6, 1, v4
	v_add_u32_e32 v7, 2, v4
	;; [unrolled: 1-line block ×3, first 2 shown]
	v_cvt_f32_i32_e32 v6, v6
	v_cvt_f32_i32_e32 v7, v7
	;; [unrolled: 1-line block ×3, first 2 shown]
	v_add_u32_e32 v9, 19, v4
	v_fmac_f32_e32 v39, v43, v6
	v_fma_f32 v30, v43, v7, v30
	v_fmac_f32_e32 v31, v43, v8
	v_add_u32_e32 v6, 16, v4
	v_add_u32_e32 v7, 17, v4
	;; [unrolled: 1-line block ×3, first 2 shown]
	v_cvt_f32_i32_e32 v6, v6
	v_cvt_f32_i32_e32 v7, v7
	;; [unrolled: 1-line block ×4, first 2 shown]
	v_fma_f32 v40, v43, v6, v40
	v_fmac_f32_e32 v41, v43, v7
	v_fma_f32 v36, v43, v8, v36
	v_add_u32_e32 v6, 32, v4
	v_add_u32_e32 v7, 33, v4
	;; [unrolled: 1-line block ×3, first 2 shown]
	v_cvt_f32_i32_e32 v6, v6
	v_cvt_f32_i32_e32 v7, v7
	;; [unrolled: 1-line block ×4, first 2 shown]
	v_fmac_f32_e32 v37, v43, v9
	v_add_u32_e32 v9, 35, v4
	v_fma_f32 v32, v43, v6, v32
	v_fmac_f32_e32 v33, v43, v7
	v_fma_f32 v24, v43, v8, v24
	v_add_u32_e32 v6, 48, v4
	v_add_u32_e32 v7, 49, v4
	;; [unrolled: 1-line block ×4, first 2 shown]
	v_cvt_f32_i32_e32 v4, v4
	v_cvt_f32_i32_e32 v6, v6
	;; [unrolled: 1-line block ×3, first 2 shown]
	v_fma_f32 v5, v43, v5, v38
	v_fmac_f32_e32 v21, v43, v4
	v_mov_b32_e32 v4, 0xff7fffff
	v_cmp_gt_i32_e64 s[4:5], s29, v2
	v_cmp_gt_i32_e64 s[34:35], s29, v3
	v_fma_f32 v22, v43, v6, v22
	v_cndmask_b32_e64 v6, v4, v5, s[4:5]
	v_cndmask_b32_e64 v3, v4, v39, s[34:35]
	v_fmac_f32_e32 v23, v43, v7
	v_max3_f32 v3, v6, s33, v3
	v_or_b32_e32 v6, 2, v2
	v_or_b32_e32 v7, 3, v2
	v_cmp_gt_i32_e64 s[36:37], s29, v6
	v_cmp_gt_i32_e64 s[38:39], s29, v7
	v_cvt_f32_i32_e32 v9, v9
	v_cndmask_b32_e64 v6, v4, v30, s[36:37]
	v_cndmask_b32_e64 v7, v4, v31, s[38:39]
	v_max3_f32 v3, v3, v6, v7
	v_or_b32_e32 v6, 16, v2
	v_or_b32_e32 v7, 17, v2
	v_cmp_gt_i32_e64 s[24:25], s29, v6
	v_cmp_gt_i32_e64 s[26:27], s29, v7
	v_fmac_f32_e32 v25, v43, v9
	v_cndmask_b32_e64 v6, v4, v40, s[24:25]
	v_cndmask_b32_e64 v7, v4, v41, s[26:27]
	v_max3_f32 v3, v3, v6, v7
	v_or_b32_e32 v6, 18, v2
	v_or_b32_e32 v7, 19, v2
	v_cmp_gt_i32_e64 s[20:21], s29, v6
	v_cmp_gt_i32_e64 s[22:23], s29, v7
	v_cvt_f32_i32_e32 v8, v8
	v_cndmask_b32_e64 v6, v4, v36, s[20:21]
	v_cndmask_b32_e64 v7, v4, v37, s[22:23]
	v_max3_f32 v3, v3, v6, v7
	v_or_b32_e32 v6, 32, v2
	v_or_b32_e32 v7, 33, v2
	v_cmp_gt_i32_e64 s[16:17], s29, v6
	v_cmp_gt_i32_e64 s[18:19], s29, v7
	v_fma_f32 v20, v43, v8, v20
	v_cndmask_b32_e64 v6, v4, v32, s[16:17]
	v_cndmask_b32_e64 v7, v4, v33, s[18:19]
	v_max3_f32 v3, v3, v6, v7
	v_or_b32_e32 v6, 34, v2
	v_or_b32_e32 v7, 35, v2
	v_cmp_gt_i32_e64 s[12:13], s29, v6
	v_cmp_gt_i32_e64 s[14:15], s29, v7
	s_nop 0
	v_cndmask_b32_e64 v6, v4, v24, s[12:13]
	v_cndmask_b32_e64 v7, v4, v25, s[14:15]
	v_max3_f32 v3, v3, v6, v7
	v_or_b32_e32 v6, 48, v2
	v_or_b32_e32 v7, 49, v2
	v_cmp_gt_i32_e64 s[8:9], s29, v6
	v_cmp_gt_i32_e64 s[10:11], s29, v7
	s_nop 0
	v_cndmask_b32_e64 v6, v4, v22, s[8:9]
	v_cndmask_b32_e64 v7, v4, v23, s[10:11]
	v_max3_f32 v3, v3, v6, v7
	v_or_b32_e32 v6, 50, v2
	v_or_b32_e32 v2, 51, v2
	v_cmp_gt_i32_e32 vcc, s29, v6
	v_cmp_gt_i32_e64 s[6:7], s29, v2
	s_nop 0
	v_cndmask_b32_e32 v6, v4, v20, vcc
	v_cndmask_b32_e64 v2, v4, v21, s[6:7]
	v_max3_f32 v4, v3, v6, v2
	v_mbcnt_lo_u32_b32 v2, -1, 0
	v_mbcnt_hi_u32_b32 v6, -1, v2
	v_and_b32_e32 v2, 64, v6
	v_add_u32_e32 v7, 64, v2
	v_xor_b32_e32 v2, 32, v6
	v_cmp_lt_i32_e64 s[40:41], v2, v7
	s_nop 1
	v_cndmask_b32_e64 v2, v6, v2, s[40:41]
	v_lshlrev_b32_e32 v43, 2, v2
	ds_bpermute_b32 v8, v43, v4
	s_waitcnt vmcnt(2)
	v_mad_i64_i32 v[2:3], s[40:41], v14, s45, v[18:19]
	global_load_dwordx4 v[14:17], v[34:35], off
	global_load_dwordx4 v[10:13], v[2:3], off
	v_xor_b32_e32 v3, 16, v6
	v_cmp_lt_i32_e64 s[40:41], v3, v7
	s_waitcnt lgkmcnt(0)
	v_max_f32_e32 v2, v8, v8
	v_max_f32_e32 v2, v4, v2
	v_cndmask_b32_e64 v3, v6, v3, s[40:41]
	v_lshlrev_b32_e32 v46, 2, v3
	ds_bpermute_b32 v3, v46, v2
	s_waitcnt vmcnt(3)
	v_mad_i64_i32 v[34:35], s[40:41], v44, s45, v[18:19]
	s_waitcnt vmcnt(2)
	v_mad_i64_i32 v[18:19], s[40:41], v45, s45, v[18:19]
	s_waitcnt lgkmcnt(0)
	v_max_f32_e32 v3, v3, v3
	v_max_f32_e32 v38, v2, v3
	v_sub_f32_e32 v2, v5, v38
	v_mul_f32_e32 v2, 0x3fb8aa3b, v2
	v_exp_f32_e32 v44, v2
	v_sub_f32_e32 v2, v39, v38
	v_mul_f32_e32 v2, 0x3fb8aa3b, v2
	v_exp_f32_e32 v39, v2
	global_load_dwordx4 v[6:9], v[34:35], off
	global_load_dwordx4 v[2:5], v[18:19], off
	v_sub_f32_e32 v30, v30, v38
	v_mul_f32_e32 v30, 0x3fb8aa3b, v30
	v_sub_f32_e32 v31, v31, v38
	v_exp_f32_e32 v30, v30
	v_mul_f32_e32 v31, 0x3fb8aa3b, v31
	v_exp_f32_e32 v31, v31
	v_cndmask_b32_e64 v18, 0, v44, s[4:5]
	v_add_f32_e32 v34, 0, v18
	v_cndmask_b32_e64 v19, 0, v39, s[34:35]
	v_add_f32_e32 v35, v34, v19
	;; [unrolled: 2-line block ×3, first 2 shown]
	v_cndmask_b32_e64 v35, 0, v31, s[38:39]
	v_sub_f32_e32 v31, v40, v38
	v_mul_f32_e32 v31, 0x3fb8aa3b, v31
	v_sub_f32_e32 v39, v41, v38
	v_exp_f32_e32 v31, v31
	v_mul_f32_e32 v39, 0x3fb8aa3b, v39
	v_sub_f32_e32 v36, v36, v38
	v_exp_f32_e32 v39, v39
	;; [unrolled: 3-line block ×4, first 2 shown]
	v_mul_f32_e32 v32, 0x3fb8aa3b, v32
	v_sub_f32_e32 v33, v33, v38
	v_add_f32_e32 v40, v30, v35
	v_cndmask_b32_e64 v30, 0, v31, s[24:25]
	v_exp_f32_e32 v32, v32
	v_mul_f32_e32 v33, 0x3fb8aa3b, v33
	v_sub_f32_e32 v24, v24, v38
	v_add_f32_e32 v40, v40, v30
	v_cndmask_b32_e64 v31, 0, v39, s[26:27]
	v_exp_f32_e32 v33, v33
	;; [unrolled: 5-line block ×7, first 2 shown]
	v_mul_f32_e32 v21, 0x3fb8aa3b, v21
	v_add_f32_e32 v39, v39, v24
	v_cndmask_b32_e64 v25, 0, v25, s[14:15]
	v_exp_f32_e32 v21, v21
	v_add_f32_e32 v39, v39, v25
	v_cndmask_b32_e64 v22, 0, v22, s[8:9]
	v_add_f32_e32 v39, v39, v22
	v_cndmask_b32_e64 v23, 0, v23, s[10:11]
	v_add_f32_e32 v39, v39, v23
	v_cndmask_b32_e32 v20, 0, v20, vcc
	v_add_f32_e32 v39, v39, v20
	v_cndmask_b32_e64 v21, 0, v21, s[6:7]
	v_add_f32_e32 v39, v39, v21
	ds_bpermute_b32 v40, v43, v39
	s_load_dword s7, s[0:1], 0x98
	v_cmp_gt_u32_e32 vcc, 16, v27
	s_waitcnt lgkmcnt(0)
	s_barrier
	v_add_f32_e32 v40, v39, v40
	ds_bpermute_b32 v41, v46, v40
	v_lshlrev_b32_e32 v39, 2, v28
	s_waitcnt lgkmcnt(0)
	s_and_saveexec_b64 s[4:5], vcc
	s_cbranch_execz .LBB773_15
; %bb.14:
	v_add_f32_e32 v27, v40, v41
	v_lshl_or_b32 v40, v29, 6, v39
	ds_write2st64_b32 v40, v38, v27 offset1:1
.LBB773_15:
	s_or_b64 exec, exec, s[4:5]
	s_load_dword s6, s[0:1], 0x94
	s_waitcnt lgkmcnt(0)
	s_barrier
	ds_read2_b32 v[40:41], v39 offset1:16
	ds_read2_b32 v[44:45], v39 offset0:32 offset1:48
	ds_read2_b32 v[46:47], v39 offset0:64 offset1:80
	s_mul_i32 s7, s7, 6
	s_waitcnt lgkmcnt(2)
	v_max3_f32 v27, v40, s33, v41
	s_waitcnt lgkmcnt(1)
	v_max3_f32 v27, v27, v44, v45
	v_sub_f32_e32 v38, v40, v27
	v_mul_f32_e32 v38, 0x3fb8aa3b, v38
	v_exp_f32_e32 v43, v38
	v_sub_f32_e32 v38, v41, v27
	v_mul_f32_e32 v38, 0x3fb8aa3b, v38
	v_exp_f32_e32 v48, v38
	v_sub_f32_e32 v38, v44, v27
	v_mul_f32_e32 v38, 0x3fb8aa3b, v38
	v_exp_f32_e32 v44, v38
	ds_read2_b32 v[40:41], v39 offset0:96 offset1:112
	v_sub_f32_e32 v38, v45, v27
	v_mul_f32_e32 v38, 0x3fb8aa3b, v38
	v_exp_f32_e32 v39, v38
	s_waitcnt lgkmcnt(1)
	v_fma_f32 v38, v43, v46, 0
	v_fmac_f32_e32 v38, v48, v47
	s_waitcnt lgkmcnt(0)
	v_fmac_f32_e32 v38, v44, v40
	v_fmac_f32_e32 v38, v39, v41
	v_add_f32_e32 v40, 0x358637bd, v38
	v_div_scale_f32 v41, s[4:5], v40, v40, 1.0
	v_rcp_f32_e32 v45, v41
	s_barrier
	v_fma_f32 v46, -v41, v45, 1.0
	v_fmac_f32_e32 v45, v46, v45
	v_div_scale_f32 v46, vcc, 1.0, v40, 1.0
	v_mul_f32_e32 v47, v46, v45
	v_fma_f32 v49, -v41, v47, v46
	v_fmac_f32_e32 v47, v49, v45
	v_fma_f32 v41, -v41, v47, v46
	v_div_fmas_f32 v41, v41, v45, v47
	v_cmp_eq_u32_e32 vcc, 1, v29
	v_div_fixup_f32 v40, v41, v40, 1.0
	s_nop 0
	v_cndmask_b32_e32 v41, v43, v48, vcc
	v_cmp_eq_u32_e32 vcc, 2, v29
	s_nop 1
	v_cndmask_b32_e32 v41, v41, v44, vcc
	v_cmp_eq_u32_e32 vcc, 3, v29
	v_lshlrev_b32_e32 v29, 11, v29
	s_nop 0
	v_cndmask_b32_e32 v39, v41, v39, vcc
	v_mul_f32_e32 v40, v39, v40
	v_pk_mul_f32 v[18:19], v[40:41], v[18:19] op_sel_hi:[0,1]
	v_pk_mul_f32 v[34:35], v[40:41], v[34:35] op_sel_hi:[0,1]
	v_cvt_f16_f32_e32 v18, v18
	v_cvt_f16_f32_e32 v19, v19
	v_pk_mul_f32 v[36:37], v[40:41], v[36:37] op_sel_hi:[0,1]
	v_pk_mul_f32 v[30:31], v[40:41], v[30:31] op_sel_hi:[0,1]
	v_cvt_f16_f32_e32 v39, v34
	v_cvt_f16_f32_e32 v35, v35
	;; [unrolled: 1-line block ×6, first 2 shown]
	v_pack_b32_f16 v34, v18, v19
	v_lshlrev_b32_e32 v18, 3, v42
	v_lshlrev_b32_e32 v19, 5, v28
	v_pack_b32_f16 v35, v39, v35
	v_or3_b32 v18, v29, v19, v18
	v_pack_b32_f16 v30, v30, v31
	v_pack_b32_f16 v31, v36, v37
	ds_write2st64_b64 v18, v[34:35], v[30:31] offset1:1
	v_pk_mul_f32 v[24:25], v[40:41], v[24:25] op_sel_hi:[0,1]
	v_pk_mul_f32 v[30:31], v[40:41], v[32:33] op_sel_hi:[0,1]
	;; [unrolled: 1-line block ×4, first 2 shown]
	v_cvt_f16_f32_e32 v29, v30
	v_cvt_f16_f32_e32 v30, v31
	;; [unrolled: 1-line block ×8, first 2 shown]
	v_pack_b32_f16 v20, v29, v30
	v_pack_b32_f16 v21, v24, v25
	;; [unrolled: 1-line block ×4, first 2 shown]
	v_cmp_gt_u32_e32 vcc, 6, v0
	ds_write2st64_b64 v18, v[20:21], v[22:23] offset0:2 offset1:3
	s_and_saveexec_b64 s[4:5], vcc
	s_cbranch_execz .LBB773_17
; %bb.16:
	s_mov_b32 s49, 0
	v_mov_b32_e32 v29, 0
	v_lshl_add_u64 v[20:21], s[48:49], 0, v[28:29]
	v_mov_b32_e32 v22, s7
	v_mad_u64_u32 v[20:21], s[12:13], s2, v22, v[20:21]
	s_mul_i32 s3, s3, s7
	v_mov_b32_e32 v28, s28
	s_load_dwordx4 s[8:11], s[0:1], 0x58
	v_add_u32_e32 v23, s3, v21
	v_mad_u64_u32 v[20:21], s[12:13], v20, s6, v[28:29]
	v_mov_b32_e32 v22, v21
	v_mad_u64_u32 v[22:23], s[12:13], v23, s6, v[22:23]
	v_mov_b32_e32 v21, v22
	v_lshlrev_b64 v[20:21], 2, v[20:21]
	s_waitcnt lgkmcnt(0)
	v_lshl_add_u64 v[22:23], s[10:11], 0, v[20:21]
	v_lshl_add_u64 v[20:21], s[8:9], 0, v[20:21]
	global_store_dword v[22:23], v27, off
	global_store_dword v[20:21], v38, off
.LBB773_17:
	s_or_b64 exec, exec, s[4:5]
	s_waitcnt vmcnt(3)
	v_cvt_pk_f32_fp8_e32 v[20:21], v14
	v_cvt_pk_f32_fp8_sdwa v[22:23], v14 src0_sel:WORD_1
	v_lshl_or_b32 v14, v42, 9, v19
	s_waitcnt lgkmcnt(0)
	s_barrier
	v_cvt_pk_f32_fp8_e32 v[24:25], v15
	v_cvt_pkrtz_f16_f32 v32, v20, v21
	v_cvt_pkrtz_f16_f32 v33, v22, v23
	v_cvt_pk_f32_fp8_sdwa v[28:29], v15 src0_sel:WORD_1
	ds_read_b128 v[20:23], v14
	v_cvt_pkrtz_f16_f32 v24, v24, v25
	v_cvt_pk_f32_fp8_e32 v[36:37], v16
	v_cvt_pkrtz_f16_f32 v25, v28, v29
	ds_read_b128 v[28:31], v14 offset:16
	v_cvt_pk_f32_fp8_sdwa v[38:39], v16 src0_sel:WORD_1
	s_waitcnt lgkmcnt(1)
	v_mfma_f32_16x16x16_f16 v[32:35], v[32:33], v[20:21], 0
	v_cvt_pkrtz_f16_f32 v36, v36, v37
	s_load_dword s4, s[42:43], 0x0
	v_cvt_pkrtz_f16_f32 v37, v38, v39
	v_cvt_pk_f32_fp8_e32 v[38:39], v17
	v_cvt_pk_f32_fp8_sdwa v[16:17], v17 src0_sel:WORD_1
	v_mfma_f32_16x16x16_f16 v[20:23], v[24:25], v[22:23], v[32:35]
	v_cmp_gt_u32_e32 vcc, 64, v0
	v_cvt_pkrtz_f16_f32 v24, v38, v39
	v_cvt_pkrtz_f16_f32 v25, v16, v17
	s_waitcnt lgkmcnt(0)
	v_mfma_f32_16x16x16_f16 v[20:23], v[36:37], v[28:29], v[20:23]
	s_waitcnt vmcnt(2)
	v_cvt_pk_f32_fp8_e32 v[16:17], v10
	v_cvt_pk_f32_fp8_e32 v[28:29], v11
	v_cvt_pk_f32_fp8_sdwa v[36:37], v12 src0_sel:WORD_1
	v_mfma_f32_16x16x16_f16 v[20:23], v[24:25], v[30:31], v[20:23]
	v_cvt_pk_f32_fp8_sdwa v[24:25], v10 src0_sel:WORD_1
	v_cvt_pkrtz_f16_f32 v10, v16, v17
	v_cvt_pk_f32_fp8_sdwa v[16:17], v11 src0_sel:WORD_1
	ds_read_b128 v[32:35], v14 offset:2064
	v_cvt_pkrtz_f16_f32 v11, v24, v25
	v_cvt_pkrtz_f16_f32 v24, v28, v29
	ds_read_b128 v[28:31], v14 offset:2048
	v_cvt_pkrtz_f16_f32 v25, v16, v17
	v_cvt_pk_f32_fp8_e32 v[16:17], v12
	s_waitcnt lgkmcnt(0)
	v_mfma_f32_16x16x16_f16 v[20:23], v[10:11], v[28:29], v[20:23]
	v_cvt_pkrtz_f16_f32 v10, v16, v17
	v_cvt_pkrtz_f16_f32 v11, v36, v37
	v_cvt_pk_f32_fp8_e32 v[16:17], v13
	v_mfma_f32_16x16x16_f16 v[20:23], v[24:25], v[30:31], v[20:23]
	v_cvt_pk_f32_fp8_sdwa v[24:25], v13 src0_sel:WORD_1
	ds_read_b128 v[28:31], v14 offset:4112
	v_cvt_pkrtz_f16_f32 v16, v16, v17
	v_mfma_f32_16x16x16_f16 v[10:13], v[10:11], v[32:33], v[20:23]
	v_cvt_pkrtz_f16_f32 v17, v24, v25
	s_waitcnt vmcnt(1)
	v_cvt_pk_f32_fp8_sdwa v[24:25], v7 src0_sel:WORD_1
	v_cvt_pk_f32_fp8_sdwa v[32:33], v8 src0_sel:WORD_1
	v_cvt_pk_f32_fp8_e32 v[20:21], v6
	v_mfma_f32_16x16x16_f16 v[10:13], v[16:17], v[34:35], v[10:13]
	v_cvt_pk_f32_fp8_sdwa v[16:17], v6 src0_sel:WORD_1
	v_cvt_pk_f32_fp8_e32 v[22:23], v7
	v_cvt_pkrtz_f16_f32 v6, v20, v21
	s_mov_b32 s3, 0
	v_cvt_pkrtz_f16_f32 v7, v16, v17
	v_cvt_pkrtz_f16_f32 v16, v22, v23
	ds_read_b128 v[20:23], v14 offset:4096
	v_cvt_pkrtz_f16_f32 v17, v24, v25
	v_cvt_pk_f32_fp8_e32 v[24:25], v8
	s_waitcnt lgkmcnt(0)
	v_mfma_f32_16x16x16_f16 v[10:13], v[6:7], v[20:21], v[10:13]
	v_cvt_pkrtz_f16_f32 v6, v24, v25
	v_cvt_pkrtz_f16_f32 v7, v32, v33
	v_cvt_pk_f32_fp8_e32 v[20:21], v9
	v_mfma_f32_16x16x16_f16 v[10:13], v[16:17], v[22:23], v[10:13]
	v_cvt_pk_f32_fp8_sdwa v[16:17], v9 src0_sel:WORD_1
	s_waitcnt vmcnt(0)
	v_cvt_pk_f32_fp8_sdwa v[24:25], v4 src0_sel:WORD_1
	v_cvt_pkrtz_f16_f32 v20, v20, v21
	v_mfma_f32_16x16x16_f16 v[6:9], v[6:7], v[28:29], v[10:13]
	v_cvt_pkrtz_f16_f32 v21, v16, v17
	v_cvt_pk_f32_fp8_e32 v[16:17], v3
	v_mov_b32_e32 v27, 0
	v_cvt_pk_f32_fp8_e32 v[10:11], v2
	v_cvt_pk_f32_fp8_sdwa v[12:13], v2 src0_sel:WORD_1
	v_mfma_f32_16x16x16_f16 v[6:9], v[20:21], v[30:31], v[6:9]
	v_cvt_pk_f32_fp8_sdwa v[20:21], v3 src0_sel:WORD_1
	v_cvt_pkrtz_f16_f32 v2, v10, v11
	v_cvt_pkrtz_f16_f32 v3, v12, v13
	ds_read_b128 v[10:13], v14 offset:6144
	v_cvt_pkrtz_f16_f32 v22, v16, v17
	v_cvt_pkrtz_f16_f32 v23, v20, v21
	v_cvt_pk_f32_fp8_e32 v[20:21], v4
	s_waitcnt lgkmcnt(0)
	v_mfma_f32_16x16x16_f16 v[6:9], v[2:3], v[10:11], v[6:9]
	ds_read_b128 v[14:17], v14 offset:6160
	v_cvt_pkrtz_f16_f32 v2, v20, v21
	v_cvt_pkrtz_f16_f32 v3, v24, v25
	v_cvt_pk_f32_fp8_e32 v[10:11], v5
	v_mfma_f32_16x16x16_f16 v[6:9], v[22:23], v[12:13], v[6:9]
	v_cvt_pk_f32_fp8_sdwa v[12:13], v5 src0_sel:WORD_1
	s_waitcnt lgkmcnt(0)
	v_cvt_pkrtz_f16_f32 v10, v10, v11
	v_mfma_f32_16x16x16_f16 v[2:5], v[2:3], v[14:15], v[6:9]
	v_cvt_pkrtz_f16_f32 v11, v12, v13
	s_barrier
	s_nop 0
	v_mfma_f32_16x16x16_f16 v[2:5], v[10:11], v[16:17], v[2:5]
	s_nop 6
	v_pk_mul_f32 v[4:5], v[4:5], s[4:5] op_sel_hi:[1,0]
	v_pk_mul_f32 v[2:3], v[2:3], s[4:5] op_sel_hi:[1,0]
	v_cvt_f16_f32_e32 v4, v4
	v_cvt_f16_f32_e32 v2, v2
	;; [unrolled: 1-line block ×4, first 2 shown]
	s_and_b64 s[4:5], vcc, s[30:31]
	v_pack_b32_f16 v2, v2, v3
	v_pack_b32_f16 v3, v4, v5
	ds_write_b64 v18, v[2:3]
	s_waitcnt lgkmcnt(0)
	s_barrier
	s_and_saveexec_b64 s[8:9], s[4:5]
	s_cbranch_execz .LBB773_20
; %bb.18:
	s_load_dwordx2 s[4:5], s[0:1], 0x68
	s_lshl_b32 s0, s6, 6
	s_mul_i32 s1, s7, s2
	s_mul_hi_u32 s7, s1, s0
	s_mul_i32 s6, s1, s0
	v_lshlrev_b32_e32 v0, 10, v0
	s_lshl_b64 s[6:7], s[6:7], 1
	v_and_b32_e32 v0, 0x1800, v0
	v_lshlrev_b32_e32 v3, 5, v42
	v_and_b32_e32 v1, 16, v1
	s_waitcnt lgkmcnt(0)
	s_add_u32 s1, s4, s6
	v_or3_b32 v3, v0, v3, v1
	s_addc_u32 s4, s5, s7
	s_lshl_b32 s2, s28, 6
	s_lshl_b64 s[2:3], s[2:3], 1
	ds_read_b128 v[4:7], v3
	s_add_u32 s2, s1, s2
	s_addc_u32 s3, s4, s3
	v_add_u32_e32 v8, s48, v42
	v_or_b32_e32 v2, 4, v42
	v_lshl_add_u64 v[0:1], s[2:3], 0, v[26:27]
	v_mad_u64_u32 v[8:9], s[2:3], v8, s0, 0
	v_lshl_add_u64 v[8:9], v[8:9], 1, v[0:1]
	v_cmp_gt_u32_e32 vcc, 6, v2
	s_waitcnt lgkmcnt(0)
	global_store_dwordx4 v[8:9], v[4:7], off
	s_and_b64 exec, exec, vcc
	s_cbranch_execz .LBB773_20
; %bb.19:
	ds_read_b128 v[4:7], v3 offset:128
	v_add_u32_e32 v2, s48, v2
	v_mad_u64_u32 v[2:3], s[0:1], v2, s0, 0
	v_lshl_add_u64 v[0:1], v[2:3], 1, v[0:1]
	s_waitcnt lgkmcnt(0)
	global_store_dwordx4 v[0:1], v[4:7], off
.LBB773_20:
	s_endpgm
	.section	.rodata,"a",@progbits
	.p2align	6, 0x0
	.amdhsa_kernel _Z39paged_attention_ll4mi_QKV_mfma16_kernelIDF16_hLN4vllm18Fp8KVCacheDataTypeE1EhLi16ELi64ELi256ELb1ELi6EEvPKT_PKT0_S7_ifPKiS9_S9_iPKfiiiPfSC_PS2_PT2_iSB_SB_
		.amdhsa_group_segment_fixed_size 8192
		.amdhsa_private_segment_fixed_size 0
		.amdhsa_kernarg_size 400
		.amdhsa_user_sgpr_count 2
		.amdhsa_user_sgpr_dispatch_ptr 0
		.amdhsa_user_sgpr_queue_ptr 0
		.amdhsa_user_sgpr_kernarg_segment_ptr 1
		.amdhsa_user_sgpr_dispatch_id 0
		.amdhsa_user_sgpr_kernarg_preload_length 0
		.amdhsa_user_sgpr_kernarg_preload_offset 0
		.amdhsa_user_sgpr_private_segment_size 0
		.amdhsa_uses_dynamic_stack 0
		.amdhsa_enable_private_segment 0
		.amdhsa_system_sgpr_workgroup_id_x 1
		.amdhsa_system_sgpr_workgroup_id_y 1
		.amdhsa_system_sgpr_workgroup_id_z 1
		.amdhsa_system_sgpr_workgroup_info 0
		.amdhsa_system_vgpr_workitem_id 0
		.amdhsa_next_free_vgpr 67
		.amdhsa_next_free_sgpr 50
		.amdhsa_accum_offset 68
		.amdhsa_reserve_vcc 1
		.amdhsa_float_round_mode_32 0
		.amdhsa_float_round_mode_16_64 0
		.amdhsa_float_denorm_mode_32 3
		.amdhsa_float_denorm_mode_16_64 3
		.amdhsa_dx10_clamp 1
		.amdhsa_ieee_mode 1
		.amdhsa_fp16_overflow 0
		.amdhsa_tg_split 0
		.amdhsa_exception_fp_ieee_invalid_op 0
		.amdhsa_exception_fp_denorm_src 0
		.amdhsa_exception_fp_ieee_div_zero 0
		.amdhsa_exception_fp_ieee_overflow 0
		.amdhsa_exception_fp_ieee_underflow 0
		.amdhsa_exception_fp_ieee_inexact 0
		.amdhsa_exception_int_div_zero 0
	.end_amdhsa_kernel
	.section	.text._Z39paged_attention_ll4mi_QKV_mfma16_kernelIDF16_hLN4vllm18Fp8KVCacheDataTypeE1EhLi16ELi64ELi256ELb1ELi6EEvPKT_PKT0_S7_ifPKiS9_S9_iPKfiiiPfSC_PS2_PT2_iSB_SB_,"axG",@progbits,_Z39paged_attention_ll4mi_QKV_mfma16_kernelIDF16_hLN4vllm18Fp8KVCacheDataTypeE1EhLi16ELi64ELi256ELb1ELi6EEvPKT_PKT0_S7_ifPKiS9_S9_iPKfiiiPfSC_PS2_PT2_iSB_SB_,comdat
.Lfunc_end773:
	.size	_Z39paged_attention_ll4mi_QKV_mfma16_kernelIDF16_hLN4vllm18Fp8KVCacheDataTypeE1EhLi16ELi64ELi256ELb1ELi6EEvPKT_PKT0_S7_ifPKiS9_S9_iPKfiiiPfSC_PS2_PT2_iSB_SB_, .Lfunc_end773-_Z39paged_attention_ll4mi_QKV_mfma16_kernelIDF16_hLN4vllm18Fp8KVCacheDataTypeE1EhLi16ELi64ELi256ELb1ELi6EEvPKT_PKT0_S7_ifPKiS9_S9_iPKfiiiPfSC_PS2_PT2_iSB_SB_
                                        ; -- End function
	.section	.AMDGPU.csdata,"",@progbits
; Kernel info:
; codeLenInByte = 4848
; NumSgprs: 56
; NumVgprs: 67
; NumAgprs: 0
; TotalNumVgprs: 67
; ScratchSize: 0
; MemoryBound: 0
; FloatMode: 240
; IeeeMode: 1
; LDSByteSize: 8192 bytes/workgroup (compile time only)
; SGPRBlocks: 6
; VGPRBlocks: 8
; NumSGPRsForWavesPerEU: 56
; NumVGPRsForWavesPerEU: 67
; AccumOffset: 68
; Occupancy: 7
; WaveLimiterHint : 1
; COMPUTE_PGM_RSRC2:SCRATCH_EN: 0
; COMPUTE_PGM_RSRC2:USER_SGPR: 2
; COMPUTE_PGM_RSRC2:TRAP_HANDLER: 0
; COMPUTE_PGM_RSRC2:TGID_X_EN: 1
; COMPUTE_PGM_RSRC2:TGID_Y_EN: 1
; COMPUTE_PGM_RSRC2:TGID_Z_EN: 1
; COMPUTE_PGM_RSRC2:TIDIG_COMP_CNT: 0
; COMPUTE_PGM_RSRC3_GFX90A:ACCUM_OFFSET: 16
; COMPUTE_PGM_RSRC3_GFX90A:TG_SPLIT: 0
	.section	.text._Z39paged_attention_ll4mi_QKV_mfma16_kernelIDF16_hLN4vllm18Fp8KVCacheDataTypeE1EhLi16ELi64ELi256ELb1ELi7EEvPKT_PKT0_S7_ifPKiS9_S9_iPKfiiiPfSC_PS2_PT2_iSB_SB_,"axG",@progbits,_Z39paged_attention_ll4mi_QKV_mfma16_kernelIDF16_hLN4vllm18Fp8KVCacheDataTypeE1EhLi16ELi64ELi256ELb1ELi7EEvPKT_PKT0_S7_ifPKiS9_S9_iPKfiiiPfSC_PS2_PT2_iSB_SB_,comdat
	.protected	_Z39paged_attention_ll4mi_QKV_mfma16_kernelIDF16_hLN4vllm18Fp8KVCacheDataTypeE1EhLi16ELi64ELi256ELb1ELi7EEvPKT_PKT0_S7_ifPKiS9_S9_iPKfiiiPfSC_PS2_PT2_iSB_SB_ ; -- Begin function _Z39paged_attention_ll4mi_QKV_mfma16_kernelIDF16_hLN4vllm18Fp8KVCacheDataTypeE1EhLi16ELi64ELi256ELb1ELi7EEvPKT_PKT0_S7_ifPKiS9_S9_iPKfiiiPfSC_PS2_PT2_iSB_SB_
	.globl	_Z39paged_attention_ll4mi_QKV_mfma16_kernelIDF16_hLN4vllm18Fp8KVCacheDataTypeE1EhLi16ELi64ELi256ELb1ELi7EEvPKT_PKT0_S7_ifPKiS9_S9_iPKfiiiPfSC_PS2_PT2_iSB_SB_
	.p2align	8
	.type	_Z39paged_attention_ll4mi_QKV_mfma16_kernelIDF16_hLN4vllm18Fp8KVCacheDataTypeE1EhLi16ELi64ELi256ELb1ELi7EEvPKT_PKT0_S7_ifPKiS9_S9_iPKfiiiPfSC_PS2_PT2_iSB_SB_,@function
_Z39paged_attention_ll4mi_QKV_mfma16_kernelIDF16_hLN4vllm18Fp8KVCacheDataTypeE1EhLi16ELi64ELi256ELb1ELi7EEvPKT_PKT0_S7_ifPKiS9_S9_iPKfiiiPfSC_PS2_PT2_iSB_SB_: ; @_Z39paged_attention_ll4mi_QKV_mfma16_kernelIDF16_hLN4vllm18Fp8KVCacheDataTypeE1EhLi16ELi64ELi256ELb1ELi7EEvPKT_PKT0_S7_ifPKiS9_S9_iPKfiiiPfSC_PS2_PT2_iSB_SB_
; %bb.0:
	s_load_dwordx2 s[6:7], s[0:1], 0x30
	s_mov_b32 s28, s3
	s_mov_b64 s[8:9], 0
	s_waitcnt lgkmcnt(0)
	s_cmp_lg_u64 s[6:7], 0
	s_cselect_b64 s[10:11], -1, 0
	s_and_b64 vcc, exec, s[10:11]
	s_cbranch_vccz .LBB774_7
; %bb.1:
	s_add_i32 s12, s2, 1
	s_mov_b32 s13, 0
	s_lshl_b64 s[14:15], s[12:13], 2
	s_add_u32 s14, s6, s14
	s_mov_b32 s3, s13
	s_addc_u32 s15, s7, s15
	s_lshl_b64 s[12:13], s[2:3], 2
	s_add_u32 s12, s6, s12
	s_addc_u32 s13, s7, s13
	s_load_dword s5, s[14:15], 0x0
	s_load_dword s16, s[12:13], 0x0
	s_waitcnt lgkmcnt(0)
	s_sub_i32 s5, s5, s16
	s_cmp_eq_u32 s5, 1
	s_cselect_b64 s[12:13], -1, 0
	s_andn2_b64 vcc, exec, s[8:9]
	s_cbranch_vccnz .LBB774_3
.LBB774_2:
	s_mov_b32 s3, 0
	s_mov_b64 s[12:13], -1
.LBB774_3:
	s_andn2_b64 vcc, exec, s[12:13]
	s_cbranch_vccnz .LBB774_20
; %bb.4:
	s_load_dwordx2 s[8:9], s[0:1], 0x28
	s_lshl_b64 s[12:13], s[2:3], 2
	s_waitcnt lgkmcnt(0)
	s_add_u32 s8, s8, s12
	s_addc_u32 s9, s9, s13
	s_load_dword s29, s[8:9], 0x0
	s_lshl_b32 s16, s28, 8
	s_waitcnt lgkmcnt(0)
	s_cmp_ge_i32 s16, s29
	s_cbranch_scc1 .LBB774_20
; %bb.5:
	s_load_dwordx2 s[8:9], s[0:1], 0x20
	s_load_dword s5, s[0:1], 0x38
	s_add_i32 s14, s29, 15
	s_ashr_i32 s15, s14, 31
	v_and_b32_e32 v1, 0xcf, v0
	s_lshr_b32 s15, s15, 28
	v_add_u32_e32 v1, s16, v1
	s_add_i32 s14, s14, s15
	v_ashrrev_i32_e32 v2, 31, v1
	s_ashr_i32 s17, s14, 4
	v_lshrrev_b32_e32 v4, 28, v2
	s_add_i32 s17, s17, -1
	s_waitcnt lgkmcnt(0)
	s_mul_i32 s14, s2, s5
	s_mov_b32 s15, 0
	v_add_u32_e32 v2, v1, v4
	s_lshl_b64 s[14:15], s[14:15], 2
	v_ashrrev_i32_e32 v2, 4, v2
	v_mov_b32_e32 v5, s17
	v_cmp_gt_i32_e32 vcc, s29, v1
	s_add_u32 s8, s8, s14
	s_addc_u32 s9, s9, s15
	v_cndmask_b32_e32 v2, v5, v2, vcc
	v_ashrrev_i32_e32 v3, 31, v2
	v_lshl_add_u64 v[6:7], v[2:3], 2, s[8:9]
	v_or_b32_e32 v2, 16, v1
	v_add_u32_e32 v3, v2, v4
	v_ashrrev_i32_e32 v3, 4, v3
	v_cmp_gt_i32_e32 vcc, s29, v2
	s_load_dwordx2 s[14:15], s[0:1], 0x8
	s_nop 0
	v_cndmask_b32_e32 v2, v5, v3, vcc
	v_ashrrev_i32_e32 v3, 31, v2
	v_lshl_add_u64 v[8:9], v[2:3], 2, s[8:9]
	v_or_b32_e32 v2, 32, v1
	v_add_u32_e32 v3, v2, v4
	v_ashrrev_i32_e32 v3, 4, v3
	v_cmp_gt_i32_e32 vcc, s29, v2
	v_or_b32_e32 v1, 48, v1
	s_nop 0
	v_cndmask_b32_e32 v2, v5, v3, vcc
	v_ashrrev_i32_e32 v3, 31, v2
	v_lshl_add_u64 v[10:11], v[2:3], 2, s[8:9]
	v_add_u32_e32 v2, v1, v4
	v_ashrrev_i32_e32 v2, 4, v2
	v_cmp_gt_i32_e32 vcc, s29, v1
	s_nop 1
	v_cndmask_b32_e32 v2, v5, v2, vcc
	v_ashrrev_i32_e32 v3, 31, v2
	v_lshl_add_u64 v[12:13], v[2:3], 2, s[8:9]
	global_load_dword v5, v[6:7], off
	global_load_dword v4, v[8:9], off
	;; [unrolled: 1-line block ×4, first 2 shown]
	s_andn2_b64 vcc, exec, s[10:11]
	s_cbranch_vccnz .LBB774_8
; %bb.6:
	s_add_u32 s6, s6, s12
	s_addc_u32 s7, s7, s13
	s_load_dword s5, s[6:7], 0x0
	s_branch .LBB774_9
.LBB774_7:
	s_mov_b64 s[12:13], 0
	s_branch .LBB774_2
.LBB774_8:
	s_mov_b32 s5, s2
.LBB774_9:
	s_load_dwordx2 s[6:7], s[0:1], 0x10
	s_load_dwordx4 s[44:47], s[0:1], 0x48
	v_lshrrev_b32_e32 v29, 6, v0
	v_bfe_u32 v42, v0, 4, 2
	v_lshl_or_b32 v6, v29, 2, v42
	v_and_b32_e32 v28, 15, v0
	v_lshlrev_b32_e32 v1, 3, v28
	v_cmp_gt_u32_e32 vcc, 7, v6
	v_cmp_gt_u32_e64 s[30:31], 8, v28
	s_mul_i32 s48, s4, 7
	s_and_b64 s[12:13], s[30:31], vcc
	v_lshlrev_b32_e32 v26, 1, v1
	v_lshlrev_b32_e32 v1, 4, v0
	s_and_saveexec_b64 s[10:11], s[12:13]
	s_cbranch_execz .LBB774_11
; %bb.10:
	s_load_dwordx2 s[12:13], s[0:1], 0x0
	s_waitcnt lgkmcnt(0)
	s_ashr_i32 s18, s44, 31
	s_mul_hi_u32 s19, s5, s44
	s_mul_i32 s18, s5, s18
	s_add_i32 s19, s19, s18
	s_mul_i32 s18, s5, s44
	s_lshl_b64 s[18:19], s[18:19], 1
	s_add_u32 s12, s12, s18
	v_add_lshl_u32 v8, v6, s48, 6
	s_addc_u32 s13, s13, s19
	v_ashrrev_i32_e32 v9, 31, v8
	v_lshl_add_u64 v[8:9], v[8:9], 1, s[12:13]
	v_mov_b32_e32 v27, 0
	v_lshl_add_u64 v[8:9], v[8:9], 0, v[26:27]
	global_load_dwordx4 v[8:11], v[8:9], off
	v_lshlrev_b32_e32 v12, 8, v28
	v_lshlrev_b32_e32 v6, 5, v6
	v_and_b32_e32 v7, 16, v1
	v_and_b32_e32 v12, 0xe00, v12
	v_or3_b32 v6, v12, v6, v7
	s_waitcnt vmcnt(0)
	ds_write_b128 v6, v[8:11]
.LBB774_11:
	s_or_b64 exec, exec, s[10:11]
	s_waitcnt lgkmcnt(0)
	s_mul_i32 s10, s4, s46
	s_add_u32 s4, s14, s10
	s_addc_u32 s5, s15, 0
	v_and_b32_e32 v32, 48, v0
	v_and_b32_e32 v30, 0xf0, v1
	v_mov_b32_e32 v31, 0
	v_lshl_add_u64 v[6:7], s[4:5], 0, v[30:31]
	v_lshlrev_b32_e32 v30, 4, v32
	v_lshl_add_u64 v[6:7], v[6:7], 0, v[30:31]
	s_waitcnt vmcnt(3)
	v_mad_i64_i32 v[8:9], s[4:5], v5, s45, v[6:7]
	s_waitcnt vmcnt(2)
	v_mad_i64_i32 v[4:5], s[4:5], v4, s45, v[6:7]
	s_barrier
	global_load_dwordx4 v[22:25], v[8:9], off
	global_load_dwordx4 v[18:21], v[4:5], off
	s_waitcnt vmcnt(3)
	v_mad_i64_i32 v[4:5], s[4:5], v3, s45, v[6:7]
	s_waitcnt vmcnt(2)
	v_mad_i64_i32 v[2:3], s[4:5], v2, s45, v[6:7]
	global_load_dwordx4 v[14:17], v[4:5], off
	global_load_dwordx4 v[6:9], v[2:3], off
	v_mul_lo_u16_e32 v2, 37, v28
	v_mov_b32_e32 v3, 7
	v_mul_lo_u16_sdwa v2, v2, v3 dst_sel:DWORD dst_unused:UNUSED_PAD src0_sel:BYTE_1 src1_sel:DWORD
	v_sub_u16_e32 v2, v28, v2
	v_mov_b32_e32 v3, 5
	v_lshlrev_b32_sdwa v2, v3, v2 dst_sel:DWORD dst_unused:UNUSED_PAD src0_sel:DWORD src1_sel:BYTE_0
	v_lshl_add_u32 v2, v42, 9, v2
	ds_read_b128 v[10:13], v2
	ds_read_b128 v[2:5], v2 offset:16
	v_and_b32_e32 v27, 63, v0
	v_cmp_gt_u32_e32 vcc, 7, v28
	v_mov_b32_e32 v43, 0
	s_and_saveexec_b64 s[4:5], vcc
	s_cbranch_execz .LBB774_13
; %bb.12:
	s_load_dwordx2 s[12:13], s[0:1], 0x40
	v_add_u32_e32 v34, s48, v28
	v_ashrrev_i32_e32 v35, 31, v34
	s_waitcnt lgkmcnt(0)
	v_lshl_add_u64 v[34:35], v[34:35], 2, s[12:13]
	global_load_dword v43, v[34:35], off
.LBB774_13:
	s_or_b64 exec, exec, s[4:5]
	v_or_b32_e32 v62, s16, v32
	v_ashrrev_i32_e32 v30, 4, v62
	v_mov_b32_e32 v63, s17
	v_cmp_gt_i32_e32 vcc, s29, v62
	s_waitcnt vmcnt(2)
	v_cvt_pk_f32_fp8_e32 v[52:53], v20
	v_cvt_pk_f32_fp8_sdwa v[54:55], v20 src0_sel:WORD_1
	v_cndmask_b32_e32 v20, v63, v30, vcc
	v_cvt_pk_f32_fp8_e32 v[56:57], v21
	v_cvt_pk_f32_fp8_sdwa v[58:59], v21 src0_sel:WORD_1
	v_ashrrev_i32_e32 v21, 31, v20
	v_cvt_pk_f32_fp8_e32 v[40:41], v22
	v_cvt_pk_f32_fp8_sdwa v[44:45], v22 src0_sel:WORD_1
	v_lshl_add_u64 v[20:21], v[20:21], 2, s[8:9]
	v_cvt_pk_f32_fp8_e32 v[46:47], v18
	v_cvt_pk_f32_fp8_sdwa v[48:49], v18 src0_sel:WORD_1
	global_load_dword v64, v[20:21], off
	v_cvt_pk_f32_fp8_e32 v[34:35], v23
	v_cvt_pk_f32_fp8_sdwa v[32:33], v23 src0_sel:WORD_1
	v_cvt_pkrtz_f16_f32 v20, v40, v41
	v_cvt_pkrtz_f16_f32 v21, v44, v45
	v_cvt_pk_f32_fp8_e32 v[36:37], v24
	v_cvt_pk_f32_fp8_sdwa v[38:39], v24 src0_sel:WORD_1
	v_cvt_pk_f32_fp8_e32 v[50:51], v19
	v_cvt_pk_f32_fp8_sdwa v[18:19], v19 src0_sel:WORD_1
	v_cvt_pkrtz_f16_f32 v44, v46, v47
	v_cvt_pkrtz_f16_f32 v45, v48, v49
	v_cvt_pk_f32_fp8_e32 v[22:23], v25
	s_waitcnt vmcnt(2)
	v_cvt_pk_f32_fp8_e32 v[40:41], v14
	v_cvt_pk_f32_fp8_sdwa v[46:47], v14 src0_sel:WORD_1
	v_cvt_pkrtz_f16_f32 v48, v34, v35
	v_cvt_pkrtz_f16_f32 v49, v32, v33
	v_or_b32_e32 v14, 64, v62
	v_or_b32_e32 v32, 0xc0, v62
	v_cvt_pk_f32_fp8_sdwa v[24:25], v25 src0_sel:WORD_1
	s_load_dword s11, s[0:1], 0x1c
	s_load_dwordx4 s[40:43], s[0:1], 0x80
	v_cvt_pkrtz_f16_f32 v36, v36, v37
	v_cvt_pkrtz_f16_f32 v37, v38, v39
	v_or_b32_e32 v65, 0x80, v62
	v_ashrrev_i32_e32 v62, 4, v14
	v_cmp_gt_i32_e32 vcc, s29, v32
	v_ashrrev_i32_e32 v66, 4, v32
	v_cmp_gt_i32_e64 s[4:5], s29, v14
	v_cvt_pkrtz_f16_f32 v38, v50, v51
	v_cvt_pkrtz_f16_f32 v39, v18, v19
	s_waitcnt lgkmcnt(0)
	v_mfma_f32_16x16x16_f16 v[32:35], v[20:21], v[10:11], 0
	s_add_u32 s6, s6, s10
	v_lshlrev_b32_e32 v30, 4, v28
	v_cndmask_b32_e64 v50, v63, v62, s[4:5]
	v_cvt_pkrtz_f16_f32 v62, v22, v23
	v_mfma_f32_16x16x16_f16 v[20:23], v[44:45], v[10:11], 0
	v_lshl_or_b32 v30, v29, 8, v30
	s_addc_u32 s7, s7, 0
	v_ashrrev_i32_e32 v14, 4, v65
	v_lshl_add_u64 v[18:19], s[6:7], 0, v[30:31]
	v_cmp_gt_i32_e64 s[6:7], s29, v65
	v_mfma_f32_16x16x16_f16 v[30:33], v[48:49], v[12:13], v[32:35]
	v_cndmask_b32_e32 v48, v63, v66, vcc
	s_load_dword s4, s[40:41], 0x0
	v_cvt_pk_f32_fp8_e32 v[60:61], v15
	v_cndmask_b32_e64 v34, v63, v14, s[6:7]
	v_cvt_pkrtz_f16_f32 v63, v24, v25
	v_cvt_pkrtz_f16_f32 v24, v52, v53
	;; [unrolled: 1-line block ×3, first 2 shown]
	v_mfma_f32_16x16x16_f16 v[20:23], v[38:39], v[12:13], v[20:23]
	v_cvt_pkrtz_f16_f32 v40, v40, v41
	v_cvt_pkrtz_f16_f32 v41, v46, v47
	v_ashrrev_i32_e32 v51, 31, v50
	v_mfma_f32_16x16x16_f16 v[20:23], v[24:25], v[2:3], v[20:23]
	v_mov_b32_e32 v24, s11
	s_waitcnt lgkmcnt(0)
	v_mul_f32_e32 v54, s4, v24
	v_cvt_pk_f32_fp8_sdwa v[24:25], v15 src0_sel:WORD_1
	v_mfma_f32_16x16x16_f16 v[30:33], v[36:37], v[2:3], v[30:33]
	v_ashrrev_i32_e32 v35, 31, v34
	v_ashrrev_i32_e32 v49, 31, v48
	v_lshl_add_u64 v[36:37], v[50:51], 2, s[8:9]
	v_lshl_add_u64 v[34:35], v[34:35], 2, s[8:9]
	v_lshl_add_u64 v[46:47], v[48:49], 2, s[8:9]
	global_load_dword v14, v[36:37], off
	global_load_dword v44, v[34:35], off
	;; [unrolled: 1-line block ×3, first 2 shown]
	v_cvt_pkrtz_f16_f32 v46, v60, v61
	v_cvt_pk_f32_fp8_e32 v[48:49], v16
	v_cvt_pk_f32_fp8_sdwa v[50:51], v16 src0_sel:WORD_1
	v_cvt_pkrtz_f16_f32 v47, v24, v25
	v_mfma_f32_16x16x16_f16 v[36:39], v[62:63], v[4:5], v[30:33]
	v_cvt_pkrtz_f16_f32 v24, v48, v49
	v_cvt_pkrtz_f16_f32 v25, v50, v51
	;; [unrolled: 1-line block ×3, first 2 shown]
	v_mfma_f32_16x16x16_f16 v[30:33], v[40:41], v[10:11], 0
	v_cvt_pk_f32_fp8_e32 v[40:41], v17
	v_cvt_pk_f32_fp8_sdwa v[16:17], v17 src0_sel:WORD_1
	v_cvt_pkrtz_f16_f32 v53, v58, v59
	v_mfma_f32_16x16x16_f16 v[46:49], v[46:47], v[12:13], v[30:33]
	s_mov_b32 s33, 0xff7fffff
	s_waitcnt vmcnt(3)
	v_mad_i64_i32 v[34:35], s[4:5], v64, s45, v[18:19]
	v_cvt_pkrtz_f16_f32 v32, v40, v41
	v_cvt_pkrtz_f16_f32 v33, v16, v17
	v_mfma_f32_16x16x16_f16 v[46:49], v[24:25], v[2:3], v[46:49]
	v_cvt_pk_f32_fp8_e32 v[16:17], v6
	v_cvt_pk_f32_fp8_sdwa v[24:25], v6 src0_sel:WORD_1
	v_pk_mul_f32 v[30:31], v[54:55], v[38:39] op_sel_hi:[0,1]
	v_mfma_f32_16x16x16_f16 v[46:49], v[32:33], v[4:5], v[46:49]
	v_cvt_pk_f32_fp8_e32 v[32:33], v7
	v_cvt_pkrtz_f16_f32 v16, v16, v17
	v_cvt_pkrtz_f16_f32 v17, v24, v25
	v_cvt_pk_f32_fp8_sdwa v[6:7], v7 src0_sel:WORD_1
	v_pk_mul_f32 v[38:39], v[54:55], v[36:37] op_sel_hi:[0,1]
	v_cvt_pkrtz_f16_f32 v24, v32, v33
	v_cvt_pk_f32_fp8_e32 v[32:33], v8
	v_cvt_pk_f32_fp8_sdwa v[36:37], v8 src0_sel:WORD_1
	v_cvt_pkrtz_f16_f32 v25, v6, v7
	v_mfma_f32_16x16x16_f16 v[20:23], v[52:53], v[4:5], v[20:23]
	v_mfma_f32_16x16x16_f16 v[50:53], v[16:17], v[10:11], 0
	v_cvt_pkrtz_f16_f32 v10, v32, v33
	v_cvt_pkrtz_f16_f32 v11, v36, v37
	v_cvt_pk_f32_fp8_e32 v[16:17], v9
	v_cvt_pk_f32_fp8_sdwa v[32:33], v9 src0_sel:WORD_1
	v_mfma_f32_16x16x16_f16 v[6:9], v[24:25], v[12:13], v[50:53]
	s_nop 0
	v_pk_mul_f32 v[36:37], v[54:55], v[22:23] op_sel_hi:[0,1]
	v_cvt_pkrtz_f16_f32 v12, v16, v17
	v_cvt_pkrtz_f16_f32 v13, v32, v33
	v_mfma_f32_16x16x16_f16 v[6:9], v[10:11], v[2:3], v[6:9]
	v_pk_mul_f32 v[40:41], v[54:55], v[20:21] op_sel_hi:[0,1]
	v_pk_mul_f32 v[24:25], v[54:55], v[48:49] op_sel_hi:[0,1]
	;; [unrolled: 1-line block ×3, first 2 shown]
	v_mfma_f32_16x16x16_f16 v[2:5], v[12:13], v[4:5], v[6:9]
	s_nop 6
	v_pk_mul_f32 v[22:23], v[54:55], v[2:3] op_sel_hi:[0,1]
	v_and_b32_e32 v2, 0xc0, v0
	v_add_u32_e32 v2, s16, v2
	v_lshl_or_b32 v2, v42, 2, v2
	v_or_b32_e32 v3, 1, v2
	v_pk_mul_f32 v[20:21], v[54:55], v[4:5] op_sel_hi:[0,1]
	v_subrev_u32_e32 v4, s29, v3
	v_add_u32_e32 v6, 1, v4
	v_add_u32_e32 v7, 2, v4
	;; [unrolled: 1-line block ×3, first 2 shown]
	v_cvt_f32_i32_e32 v6, v6
	v_cvt_f32_i32_e32 v7, v7
	;; [unrolled: 1-line block ×3, first 2 shown]
	v_add_u32_e32 v9, 19, v4
	v_fmac_f32_e32 v39, v43, v6
	v_fma_f32 v30, v43, v7, v30
	v_fmac_f32_e32 v31, v43, v8
	v_add_u32_e32 v6, 16, v4
	v_add_u32_e32 v7, 17, v4
	;; [unrolled: 1-line block ×3, first 2 shown]
	v_cvt_f32_i32_e32 v6, v6
	v_cvt_f32_i32_e32 v7, v7
	;; [unrolled: 1-line block ×4, first 2 shown]
	v_fma_f32 v40, v43, v6, v40
	v_fmac_f32_e32 v41, v43, v7
	v_fma_f32 v36, v43, v8, v36
	v_add_u32_e32 v6, 32, v4
	v_add_u32_e32 v7, 33, v4
	;; [unrolled: 1-line block ×3, first 2 shown]
	v_cvt_f32_i32_e32 v6, v6
	v_cvt_f32_i32_e32 v7, v7
	;; [unrolled: 1-line block ×4, first 2 shown]
	v_fmac_f32_e32 v37, v43, v9
	v_add_u32_e32 v9, 35, v4
	v_fma_f32 v32, v43, v6, v32
	v_fmac_f32_e32 v33, v43, v7
	v_fma_f32 v24, v43, v8, v24
	v_add_u32_e32 v6, 48, v4
	v_add_u32_e32 v7, 49, v4
	;; [unrolled: 1-line block ×4, first 2 shown]
	v_cvt_f32_i32_e32 v4, v4
	v_cvt_f32_i32_e32 v6, v6
	;; [unrolled: 1-line block ×3, first 2 shown]
	v_fma_f32 v5, v43, v5, v38
	v_fmac_f32_e32 v21, v43, v4
	v_mov_b32_e32 v4, 0xff7fffff
	v_cmp_gt_i32_e64 s[4:5], s29, v2
	v_cmp_gt_i32_e64 s[34:35], s29, v3
	v_fma_f32 v22, v43, v6, v22
	v_cndmask_b32_e64 v6, v4, v5, s[4:5]
	v_cndmask_b32_e64 v3, v4, v39, s[34:35]
	v_fmac_f32_e32 v23, v43, v7
	v_max3_f32 v3, v6, s33, v3
	v_or_b32_e32 v6, 2, v2
	v_or_b32_e32 v7, 3, v2
	v_cmp_gt_i32_e64 s[36:37], s29, v6
	v_cmp_gt_i32_e64 s[38:39], s29, v7
	v_cvt_f32_i32_e32 v9, v9
	v_cndmask_b32_e64 v6, v4, v30, s[36:37]
	v_cndmask_b32_e64 v7, v4, v31, s[38:39]
	v_max3_f32 v3, v3, v6, v7
	v_or_b32_e32 v6, 16, v2
	v_or_b32_e32 v7, 17, v2
	v_cmp_gt_i32_e64 s[24:25], s29, v6
	v_cmp_gt_i32_e64 s[26:27], s29, v7
	v_fmac_f32_e32 v25, v43, v9
	v_cndmask_b32_e64 v6, v4, v40, s[24:25]
	v_cndmask_b32_e64 v7, v4, v41, s[26:27]
	v_max3_f32 v3, v3, v6, v7
	v_or_b32_e32 v6, 18, v2
	v_or_b32_e32 v7, 19, v2
	v_cmp_gt_i32_e64 s[20:21], s29, v6
	v_cmp_gt_i32_e64 s[22:23], s29, v7
	v_cvt_f32_i32_e32 v8, v8
	v_cndmask_b32_e64 v6, v4, v36, s[20:21]
	v_cndmask_b32_e64 v7, v4, v37, s[22:23]
	v_max3_f32 v3, v3, v6, v7
	v_or_b32_e32 v6, 32, v2
	v_or_b32_e32 v7, 33, v2
	v_cmp_gt_i32_e64 s[16:17], s29, v6
	v_cmp_gt_i32_e64 s[18:19], s29, v7
	v_fma_f32 v20, v43, v8, v20
	v_cndmask_b32_e64 v6, v4, v32, s[16:17]
	v_cndmask_b32_e64 v7, v4, v33, s[18:19]
	v_max3_f32 v3, v3, v6, v7
	v_or_b32_e32 v6, 34, v2
	v_or_b32_e32 v7, 35, v2
	v_cmp_gt_i32_e64 s[12:13], s29, v6
	v_cmp_gt_i32_e64 s[14:15], s29, v7
	s_nop 0
	v_cndmask_b32_e64 v6, v4, v24, s[12:13]
	v_cndmask_b32_e64 v7, v4, v25, s[14:15]
	v_max3_f32 v3, v3, v6, v7
	v_or_b32_e32 v6, 48, v2
	v_or_b32_e32 v7, 49, v2
	v_cmp_gt_i32_e64 s[8:9], s29, v6
	v_cmp_gt_i32_e64 s[10:11], s29, v7
	s_nop 0
	v_cndmask_b32_e64 v6, v4, v22, s[8:9]
	v_cndmask_b32_e64 v7, v4, v23, s[10:11]
	v_max3_f32 v3, v3, v6, v7
	v_or_b32_e32 v6, 50, v2
	v_or_b32_e32 v2, 51, v2
	v_cmp_gt_i32_e32 vcc, s29, v6
	v_cmp_gt_i32_e64 s[6:7], s29, v2
	s_nop 0
	v_cndmask_b32_e32 v6, v4, v20, vcc
	v_cndmask_b32_e64 v2, v4, v21, s[6:7]
	v_max3_f32 v4, v3, v6, v2
	v_mbcnt_lo_u32_b32 v2, -1, 0
	v_mbcnt_hi_u32_b32 v6, -1, v2
	v_and_b32_e32 v2, 64, v6
	v_add_u32_e32 v7, 64, v2
	v_xor_b32_e32 v2, 32, v6
	v_cmp_lt_i32_e64 s[40:41], v2, v7
	s_nop 1
	v_cndmask_b32_e64 v2, v6, v2, s[40:41]
	v_lshlrev_b32_e32 v43, 2, v2
	ds_bpermute_b32 v8, v43, v4
	s_waitcnt vmcnt(2)
	v_mad_i64_i32 v[2:3], s[40:41], v14, s45, v[18:19]
	global_load_dwordx4 v[14:17], v[34:35], off
	global_load_dwordx4 v[10:13], v[2:3], off
	v_xor_b32_e32 v3, 16, v6
	v_cmp_lt_i32_e64 s[40:41], v3, v7
	s_waitcnt lgkmcnt(0)
	v_max_f32_e32 v2, v8, v8
	v_max_f32_e32 v2, v4, v2
	v_cndmask_b32_e64 v3, v6, v3, s[40:41]
	v_lshlrev_b32_e32 v46, 2, v3
	ds_bpermute_b32 v3, v46, v2
	s_waitcnt vmcnt(3)
	v_mad_i64_i32 v[34:35], s[40:41], v44, s45, v[18:19]
	s_waitcnt vmcnt(2)
	v_mad_i64_i32 v[18:19], s[40:41], v45, s45, v[18:19]
	s_waitcnt lgkmcnt(0)
	v_max_f32_e32 v3, v3, v3
	v_max_f32_e32 v38, v2, v3
	v_sub_f32_e32 v2, v5, v38
	v_mul_f32_e32 v2, 0x3fb8aa3b, v2
	v_exp_f32_e32 v44, v2
	v_sub_f32_e32 v2, v39, v38
	v_mul_f32_e32 v2, 0x3fb8aa3b, v2
	v_exp_f32_e32 v39, v2
	global_load_dwordx4 v[6:9], v[34:35], off
	global_load_dwordx4 v[2:5], v[18:19], off
	v_sub_f32_e32 v30, v30, v38
	v_mul_f32_e32 v30, 0x3fb8aa3b, v30
	v_sub_f32_e32 v31, v31, v38
	v_exp_f32_e32 v30, v30
	v_mul_f32_e32 v31, 0x3fb8aa3b, v31
	v_exp_f32_e32 v31, v31
	v_cndmask_b32_e64 v18, 0, v44, s[4:5]
	v_add_f32_e32 v34, 0, v18
	v_cndmask_b32_e64 v19, 0, v39, s[34:35]
	v_add_f32_e32 v35, v34, v19
	;; [unrolled: 2-line block ×3, first 2 shown]
	v_cndmask_b32_e64 v35, 0, v31, s[38:39]
	v_sub_f32_e32 v31, v40, v38
	v_mul_f32_e32 v31, 0x3fb8aa3b, v31
	v_sub_f32_e32 v39, v41, v38
	v_exp_f32_e32 v31, v31
	v_mul_f32_e32 v39, 0x3fb8aa3b, v39
	v_sub_f32_e32 v36, v36, v38
	v_exp_f32_e32 v39, v39
	;; [unrolled: 3-line block ×4, first 2 shown]
	v_mul_f32_e32 v32, 0x3fb8aa3b, v32
	v_sub_f32_e32 v33, v33, v38
	v_add_f32_e32 v40, v30, v35
	v_cndmask_b32_e64 v30, 0, v31, s[24:25]
	v_exp_f32_e32 v32, v32
	v_mul_f32_e32 v33, 0x3fb8aa3b, v33
	v_sub_f32_e32 v24, v24, v38
	v_add_f32_e32 v40, v40, v30
	v_cndmask_b32_e64 v31, 0, v39, s[26:27]
	v_exp_f32_e32 v33, v33
	;; [unrolled: 5-line block ×7, first 2 shown]
	v_mul_f32_e32 v21, 0x3fb8aa3b, v21
	v_add_f32_e32 v39, v39, v24
	v_cndmask_b32_e64 v25, 0, v25, s[14:15]
	v_exp_f32_e32 v21, v21
	v_add_f32_e32 v39, v39, v25
	v_cndmask_b32_e64 v22, 0, v22, s[8:9]
	v_add_f32_e32 v39, v39, v22
	v_cndmask_b32_e64 v23, 0, v23, s[10:11]
	v_add_f32_e32 v39, v39, v23
	v_cndmask_b32_e32 v20, 0, v20, vcc
	v_add_f32_e32 v39, v39, v20
	v_cndmask_b32_e64 v21, 0, v21, s[6:7]
	v_add_f32_e32 v39, v39, v21
	ds_bpermute_b32 v40, v43, v39
	s_load_dword s7, s[0:1], 0x98
	v_cmp_gt_u32_e32 vcc, 16, v27
	s_waitcnt lgkmcnt(0)
	s_barrier
	v_add_f32_e32 v40, v39, v40
	ds_bpermute_b32 v41, v46, v40
	v_lshlrev_b32_e32 v39, 2, v28
	s_waitcnt lgkmcnt(0)
	s_and_saveexec_b64 s[4:5], vcc
	s_cbranch_execz .LBB774_15
; %bb.14:
	v_add_f32_e32 v27, v40, v41
	v_lshl_or_b32 v40, v29, 6, v39
	ds_write2st64_b32 v40, v38, v27 offset1:1
.LBB774_15:
	s_or_b64 exec, exec, s[4:5]
	s_load_dword s6, s[0:1], 0x94
	s_waitcnt lgkmcnt(0)
	s_barrier
	ds_read2_b32 v[40:41], v39 offset1:16
	ds_read2_b32 v[44:45], v39 offset0:32 offset1:48
	ds_read2_b32 v[46:47], v39 offset0:64 offset1:80
	s_mul_i32 s7, s7, 7
	s_waitcnt lgkmcnt(2)
	v_max3_f32 v27, v40, s33, v41
	s_waitcnt lgkmcnt(1)
	v_max3_f32 v27, v27, v44, v45
	v_sub_f32_e32 v38, v40, v27
	v_mul_f32_e32 v38, 0x3fb8aa3b, v38
	v_exp_f32_e32 v43, v38
	v_sub_f32_e32 v38, v41, v27
	v_mul_f32_e32 v38, 0x3fb8aa3b, v38
	v_exp_f32_e32 v48, v38
	;; [unrolled: 3-line block ×3, first 2 shown]
	ds_read2_b32 v[40:41], v39 offset0:96 offset1:112
	v_sub_f32_e32 v38, v45, v27
	v_mul_f32_e32 v38, 0x3fb8aa3b, v38
	v_exp_f32_e32 v39, v38
	s_waitcnt lgkmcnt(1)
	v_fma_f32 v38, v43, v46, 0
	v_fmac_f32_e32 v38, v48, v47
	s_waitcnt lgkmcnt(0)
	v_fmac_f32_e32 v38, v44, v40
	v_fmac_f32_e32 v38, v39, v41
	v_add_f32_e32 v40, 0x358637bd, v38
	v_div_scale_f32 v41, s[4:5], v40, v40, 1.0
	v_rcp_f32_e32 v45, v41
	s_barrier
	v_fma_f32 v46, -v41, v45, 1.0
	v_fmac_f32_e32 v45, v46, v45
	v_div_scale_f32 v46, vcc, 1.0, v40, 1.0
	v_mul_f32_e32 v47, v46, v45
	v_fma_f32 v49, -v41, v47, v46
	v_fmac_f32_e32 v47, v49, v45
	v_fma_f32 v41, -v41, v47, v46
	v_div_fmas_f32 v41, v41, v45, v47
	v_cmp_eq_u32_e32 vcc, 1, v29
	v_div_fixup_f32 v40, v41, v40, 1.0
	s_nop 0
	v_cndmask_b32_e32 v41, v43, v48, vcc
	v_cmp_eq_u32_e32 vcc, 2, v29
	s_nop 1
	v_cndmask_b32_e32 v41, v41, v44, vcc
	v_cmp_eq_u32_e32 vcc, 3, v29
	v_lshlrev_b32_e32 v29, 11, v29
	s_nop 0
	v_cndmask_b32_e32 v39, v41, v39, vcc
	v_mul_f32_e32 v40, v39, v40
	v_pk_mul_f32 v[18:19], v[40:41], v[18:19] op_sel_hi:[0,1]
	v_pk_mul_f32 v[34:35], v[40:41], v[34:35] op_sel_hi:[0,1]
	v_cvt_f16_f32_e32 v18, v18
	v_cvt_f16_f32_e32 v19, v19
	v_pk_mul_f32 v[36:37], v[40:41], v[36:37] op_sel_hi:[0,1]
	v_pk_mul_f32 v[30:31], v[40:41], v[30:31] op_sel_hi:[0,1]
	v_cvt_f16_f32_e32 v39, v34
	v_cvt_f16_f32_e32 v35, v35
	;; [unrolled: 1-line block ×6, first 2 shown]
	v_pack_b32_f16 v34, v18, v19
	v_lshlrev_b32_e32 v18, 3, v42
	v_lshlrev_b32_e32 v19, 5, v28
	v_pack_b32_f16 v35, v39, v35
	v_or3_b32 v18, v29, v19, v18
	v_pack_b32_f16 v30, v30, v31
	v_pack_b32_f16 v31, v36, v37
	ds_write2st64_b64 v18, v[34:35], v[30:31] offset1:1
	v_pk_mul_f32 v[24:25], v[40:41], v[24:25] op_sel_hi:[0,1]
	v_pk_mul_f32 v[30:31], v[40:41], v[32:33] op_sel_hi:[0,1]
	;; [unrolled: 1-line block ×4, first 2 shown]
	v_cvt_f16_f32_e32 v29, v30
	v_cvt_f16_f32_e32 v30, v31
	;; [unrolled: 1-line block ×8, first 2 shown]
	v_pack_b32_f16 v20, v29, v30
	v_pack_b32_f16 v21, v24, v25
	;; [unrolled: 1-line block ×4, first 2 shown]
	v_cmp_gt_u32_e32 vcc, 7, v0
	ds_write2st64_b64 v18, v[20:21], v[22:23] offset0:2 offset1:3
	s_and_saveexec_b64 s[4:5], vcc
	s_cbranch_execz .LBB774_17
; %bb.16:
	s_mov_b32 s49, 0
	v_mov_b32_e32 v29, 0
	v_lshl_add_u64 v[20:21], s[48:49], 0, v[28:29]
	v_mov_b32_e32 v22, s7
	v_mad_u64_u32 v[20:21], s[12:13], s2, v22, v[20:21]
	s_mul_i32 s3, s3, s7
	v_mov_b32_e32 v28, s28
	s_load_dwordx4 s[8:11], s[0:1], 0x58
	v_add_u32_e32 v23, s3, v21
	v_mad_u64_u32 v[20:21], s[12:13], v20, s6, v[28:29]
	v_mov_b32_e32 v22, v21
	v_mad_u64_u32 v[22:23], s[12:13], v23, s6, v[22:23]
	v_mov_b32_e32 v21, v22
	v_lshlrev_b64 v[20:21], 2, v[20:21]
	s_waitcnt lgkmcnt(0)
	v_lshl_add_u64 v[22:23], s[10:11], 0, v[20:21]
	v_lshl_add_u64 v[20:21], s[8:9], 0, v[20:21]
	global_store_dword v[22:23], v27, off
	global_store_dword v[20:21], v38, off
.LBB774_17:
	s_or_b64 exec, exec, s[4:5]
	s_waitcnt vmcnt(3)
	v_cvt_pk_f32_fp8_e32 v[20:21], v14
	v_cvt_pk_f32_fp8_sdwa v[22:23], v14 src0_sel:WORD_1
	v_lshl_or_b32 v14, v42, 9, v19
	s_waitcnt lgkmcnt(0)
	s_barrier
	v_cvt_pk_f32_fp8_e32 v[24:25], v15
	v_cvt_pkrtz_f16_f32 v32, v20, v21
	v_cvt_pkrtz_f16_f32 v33, v22, v23
	v_cvt_pk_f32_fp8_sdwa v[28:29], v15 src0_sel:WORD_1
	ds_read_b128 v[20:23], v14
	v_cvt_pkrtz_f16_f32 v24, v24, v25
	v_cvt_pk_f32_fp8_e32 v[36:37], v16
	v_cvt_pkrtz_f16_f32 v25, v28, v29
	ds_read_b128 v[28:31], v14 offset:16
	v_cvt_pk_f32_fp8_sdwa v[38:39], v16 src0_sel:WORD_1
	s_waitcnt lgkmcnt(1)
	v_mfma_f32_16x16x16_f16 v[32:35], v[32:33], v[20:21], 0
	v_cvt_pkrtz_f16_f32 v36, v36, v37
	s_load_dword s4, s[42:43], 0x0
	v_cvt_pkrtz_f16_f32 v37, v38, v39
	v_cvt_pk_f32_fp8_e32 v[38:39], v17
	v_cvt_pk_f32_fp8_sdwa v[16:17], v17 src0_sel:WORD_1
	v_mfma_f32_16x16x16_f16 v[20:23], v[24:25], v[22:23], v[32:35]
	v_cmp_gt_u32_e32 vcc, 64, v0
	v_cvt_pkrtz_f16_f32 v24, v38, v39
	v_cvt_pkrtz_f16_f32 v25, v16, v17
	s_waitcnt lgkmcnt(0)
	v_mfma_f32_16x16x16_f16 v[20:23], v[36:37], v[28:29], v[20:23]
	s_waitcnt vmcnt(2)
	v_cvt_pk_f32_fp8_e32 v[16:17], v10
	v_cvt_pk_f32_fp8_e32 v[28:29], v11
	v_cvt_pk_f32_fp8_sdwa v[36:37], v12 src0_sel:WORD_1
	v_mfma_f32_16x16x16_f16 v[20:23], v[24:25], v[30:31], v[20:23]
	v_cvt_pk_f32_fp8_sdwa v[24:25], v10 src0_sel:WORD_1
	v_cvt_pkrtz_f16_f32 v10, v16, v17
	v_cvt_pk_f32_fp8_sdwa v[16:17], v11 src0_sel:WORD_1
	ds_read_b128 v[32:35], v14 offset:2064
	v_cvt_pkrtz_f16_f32 v11, v24, v25
	v_cvt_pkrtz_f16_f32 v24, v28, v29
	ds_read_b128 v[28:31], v14 offset:2048
	v_cvt_pkrtz_f16_f32 v25, v16, v17
	v_cvt_pk_f32_fp8_e32 v[16:17], v12
	s_waitcnt lgkmcnt(0)
	v_mfma_f32_16x16x16_f16 v[20:23], v[10:11], v[28:29], v[20:23]
	v_cvt_pkrtz_f16_f32 v10, v16, v17
	v_cvt_pkrtz_f16_f32 v11, v36, v37
	v_cvt_pk_f32_fp8_e32 v[16:17], v13
	v_mfma_f32_16x16x16_f16 v[20:23], v[24:25], v[30:31], v[20:23]
	v_cvt_pk_f32_fp8_sdwa v[24:25], v13 src0_sel:WORD_1
	ds_read_b128 v[28:31], v14 offset:4112
	v_cvt_pkrtz_f16_f32 v16, v16, v17
	v_mfma_f32_16x16x16_f16 v[10:13], v[10:11], v[32:33], v[20:23]
	v_cvt_pkrtz_f16_f32 v17, v24, v25
	s_waitcnt vmcnt(1)
	v_cvt_pk_f32_fp8_sdwa v[24:25], v7 src0_sel:WORD_1
	v_cvt_pk_f32_fp8_sdwa v[32:33], v8 src0_sel:WORD_1
	v_cvt_pk_f32_fp8_e32 v[20:21], v6
	v_mfma_f32_16x16x16_f16 v[10:13], v[16:17], v[34:35], v[10:13]
	v_cvt_pk_f32_fp8_sdwa v[16:17], v6 src0_sel:WORD_1
	v_cvt_pk_f32_fp8_e32 v[22:23], v7
	v_cvt_pkrtz_f16_f32 v6, v20, v21
	s_mov_b32 s3, 0
	v_cvt_pkrtz_f16_f32 v7, v16, v17
	v_cvt_pkrtz_f16_f32 v16, v22, v23
	ds_read_b128 v[20:23], v14 offset:4096
	v_cvt_pkrtz_f16_f32 v17, v24, v25
	v_cvt_pk_f32_fp8_e32 v[24:25], v8
	s_waitcnt lgkmcnt(0)
	v_mfma_f32_16x16x16_f16 v[10:13], v[6:7], v[20:21], v[10:13]
	v_cvt_pkrtz_f16_f32 v6, v24, v25
	v_cvt_pkrtz_f16_f32 v7, v32, v33
	v_cvt_pk_f32_fp8_e32 v[20:21], v9
	v_mfma_f32_16x16x16_f16 v[10:13], v[16:17], v[22:23], v[10:13]
	v_cvt_pk_f32_fp8_sdwa v[16:17], v9 src0_sel:WORD_1
	s_waitcnt vmcnt(0)
	v_cvt_pk_f32_fp8_sdwa v[24:25], v4 src0_sel:WORD_1
	v_cvt_pkrtz_f16_f32 v20, v20, v21
	v_mfma_f32_16x16x16_f16 v[6:9], v[6:7], v[28:29], v[10:13]
	v_cvt_pkrtz_f16_f32 v21, v16, v17
	v_cvt_pk_f32_fp8_e32 v[16:17], v3
	v_mov_b32_e32 v27, 0
	v_cvt_pk_f32_fp8_e32 v[10:11], v2
	v_cvt_pk_f32_fp8_sdwa v[12:13], v2 src0_sel:WORD_1
	v_mfma_f32_16x16x16_f16 v[6:9], v[20:21], v[30:31], v[6:9]
	v_cvt_pk_f32_fp8_sdwa v[20:21], v3 src0_sel:WORD_1
	v_cvt_pkrtz_f16_f32 v2, v10, v11
	v_cvt_pkrtz_f16_f32 v3, v12, v13
	ds_read_b128 v[10:13], v14 offset:6144
	v_cvt_pkrtz_f16_f32 v22, v16, v17
	v_cvt_pkrtz_f16_f32 v23, v20, v21
	v_cvt_pk_f32_fp8_e32 v[20:21], v4
	s_waitcnt lgkmcnt(0)
	v_mfma_f32_16x16x16_f16 v[6:9], v[2:3], v[10:11], v[6:9]
	ds_read_b128 v[14:17], v14 offset:6160
	v_cvt_pkrtz_f16_f32 v2, v20, v21
	v_cvt_pkrtz_f16_f32 v3, v24, v25
	v_cvt_pk_f32_fp8_e32 v[10:11], v5
	v_mfma_f32_16x16x16_f16 v[6:9], v[22:23], v[12:13], v[6:9]
	v_cvt_pk_f32_fp8_sdwa v[12:13], v5 src0_sel:WORD_1
	s_waitcnt lgkmcnt(0)
	v_cvt_pkrtz_f16_f32 v10, v10, v11
	v_mfma_f32_16x16x16_f16 v[2:5], v[2:3], v[14:15], v[6:9]
	v_cvt_pkrtz_f16_f32 v11, v12, v13
	s_barrier
	s_nop 0
	v_mfma_f32_16x16x16_f16 v[2:5], v[10:11], v[16:17], v[2:5]
	s_nop 6
	v_pk_mul_f32 v[4:5], v[4:5], s[4:5] op_sel_hi:[1,0]
	v_pk_mul_f32 v[2:3], v[2:3], s[4:5] op_sel_hi:[1,0]
	v_cvt_f16_f32_e32 v4, v4
	v_cvt_f16_f32_e32 v2, v2
	;; [unrolled: 1-line block ×4, first 2 shown]
	s_and_b64 s[4:5], vcc, s[30:31]
	v_pack_b32_f16 v2, v2, v3
	v_pack_b32_f16 v3, v4, v5
	ds_write_b64 v18, v[2:3]
	s_waitcnt lgkmcnt(0)
	s_barrier
	s_and_saveexec_b64 s[8:9], s[4:5]
	s_cbranch_execz .LBB774_20
; %bb.18:
	s_load_dwordx2 s[4:5], s[0:1], 0x68
	s_lshl_b32 s0, s6, 6
	s_mul_i32 s1, s7, s2
	s_mul_hi_u32 s7, s1, s0
	s_mul_i32 s6, s1, s0
	v_lshlrev_b32_e32 v0, 10, v0
	s_lshl_b64 s[6:7], s[6:7], 1
	v_and_b32_e32 v0, 0x1800, v0
	v_lshlrev_b32_e32 v2, 5, v42
	v_and_b32_e32 v1, 16, v1
	s_waitcnt lgkmcnt(0)
	s_add_u32 s1, s4, s6
	v_or3_b32 v2, v0, v2, v1
	s_addc_u32 s4, s5, s7
	s_lshl_b32 s2, s28, 6
	s_lshl_b64 s[2:3], s[2:3], 1
	ds_read_b128 v[4:7], v2
	s_add_u32 s2, s1, s2
	s_addc_u32 s3, s4, s3
	v_add_u32_e32 v3, s48, v42
	v_lshl_add_u64 v[0:1], s[2:3], 0, v[26:27]
	v_mad_u64_u32 v[8:9], s[2:3], v3, s0, 0
	v_lshl_add_u64 v[8:9], v[8:9], 1, v[0:1]
	v_cmp_ne_u32_e32 vcc, 3, v42
	s_waitcnt lgkmcnt(0)
	global_store_dwordx4 v[8:9], v[4:7], off
	s_and_b64 exec, exec, vcc
	s_cbranch_execz .LBB774_20
; %bb.19:
	ds_read_b128 v[2:5], v2 offset:128
	v_add3_u32 v6, s48, v42, 4
	v_mad_u64_u32 v[6:7], s[0:1], v6, s0, 0
	v_lshl_add_u64 v[0:1], v[6:7], 1, v[0:1]
	s_waitcnt lgkmcnt(0)
	global_store_dwordx4 v[0:1], v[2:5], off
.LBB774_20:
	s_endpgm
	.section	.rodata,"a",@progbits
	.p2align	6, 0x0
	.amdhsa_kernel _Z39paged_attention_ll4mi_QKV_mfma16_kernelIDF16_hLN4vllm18Fp8KVCacheDataTypeE1EhLi16ELi64ELi256ELb1ELi7EEvPKT_PKT0_S7_ifPKiS9_S9_iPKfiiiPfSC_PS2_PT2_iSB_SB_
		.amdhsa_group_segment_fixed_size 8192
		.amdhsa_private_segment_fixed_size 0
		.amdhsa_kernarg_size 400
		.amdhsa_user_sgpr_count 2
		.amdhsa_user_sgpr_dispatch_ptr 0
		.amdhsa_user_sgpr_queue_ptr 0
		.amdhsa_user_sgpr_kernarg_segment_ptr 1
		.amdhsa_user_sgpr_dispatch_id 0
		.amdhsa_user_sgpr_kernarg_preload_length 0
		.amdhsa_user_sgpr_kernarg_preload_offset 0
		.amdhsa_user_sgpr_private_segment_size 0
		.amdhsa_uses_dynamic_stack 0
		.amdhsa_enable_private_segment 0
		.amdhsa_system_sgpr_workgroup_id_x 1
		.amdhsa_system_sgpr_workgroup_id_y 1
		.amdhsa_system_sgpr_workgroup_id_z 1
		.amdhsa_system_sgpr_workgroup_info 0
		.amdhsa_system_vgpr_workitem_id 0
		.amdhsa_next_free_vgpr 67
		.amdhsa_next_free_sgpr 50
		.amdhsa_accum_offset 68
		.amdhsa_reserve_vcc 1
		.amdhsa_float_round_mode_32 0
		.amdhsa_float_round_mode_16_64 0
		.amdhsa_float_denorm_mode_32 3
		.amdhsa_float_denorm_mode_16_64 3
		.amdhsa_dx10_clamp 1
		.amdhsa_ieee_mode 1
		.amdhsa_fp16_overflow 0
		.amdhsa_tg_split 0
		.amdhsa_exception_fp_ieee_invalid_op 0
		.amdhsa_exception_fp_denorm_src 0
		.amdhsa_exception_fp_ieee_div_zero 0
		.amdhsa_exception_fp_ieee_overflow 0
		.amdhsa_exception_fp_ieee_underflow 0
		.amdhsa_exception_fp_ieee_inexact 0
		.amdhsa_exception_int_div_zero 0
	.end_amdhsa_kernel
	.section	.text._Z39paged_attention_ll4mi_QKV_mfma16_kernelIDF16_hLN4vllm18Fp8KVCacheDataTypeE1EhLi16ELi64ELi256ELb1ELi7EEvPKT_PKT0_S7_ifPKiS9_S9_iPKfiiiPfSC_PS2_PT2_iSB_SB_,"axG",@progbits,_Z39paged_attention_ll4mi_QKV_mfma16_kernelIDF16_hLN4vllm18Fp8KVCacheDataTypeE1EhLi16ELi64ELi256ELb1ELi7EEvPKT_PKT0_S7_ifPKiS9_S9_iPKfiiiPfSC_PS2_PT2_iSB_SB_,comdat
.Lfunc_end774:
	.size	_Z39paged_attention_ll4mi_QKV_mfma16_kernelIDF16_hLN4vllm18Fp8KVCacheDataTypeE1EhLi16ELi64ELi256ELb1ELi7EEvPKT_PKT0_S7_ifPKiS9_S9_iPKfiiiPfSC_PS2_PT2_iSB_SB_, .Lfunc_end774-_Z39paged_attention_ll4mi_QKV_mfma16_kernelIDF16_hLN4vllm18Fp8KVCacheDataTypeE1EhLi16ELi64ELi256ELb1ELi7EEvPKT_PKT0_S7_ifPKiS9_S9_iPKfiiiPfSC_PS2_PT2_iSB_SB_
                                        ; -- End function
	.section	.AMDGPU.csdata,"",@progbits
; Kernel info:
; codeLenInByte = 4848
; NumSgprs: 56
; NumVgprs: 67
; NumAgprs: 0
; TotalNumVgprs: 67
; ScratchSize: 0
; MemoryBound: 0
; FloatMode: 240
; IeeeMode: 1
; LDSByteSize: 8192 bytes/workgroup (compile time only)
; SGPRBlocks: 6
; VGPRBlocks: 8
; NumSGPRsForWavesPerEU: 56
; NumVGPRsForWavesPerEU: 67
; AccumOffset: 68
; Occupancy: 7
; WaveLimiterHint : 1
; COMPUTE_PGM_RSRC2:SCRATCH_EN: 0
; COMPUTE_PGM_RSRC2:USER_SGPR: 2
; COMPUTE_PGM_RSRC2:TRAP_HANDLER: 0
; COMPUTE_PGM_RSRC2:TGID_X_EN: 1
; COMPUTE_PGM_RSRC2:TGID_Y_EN: 1
; COMPUTE_PGM_RSRC2:TGID_Z_EN: 1
; COMPUTE_PGM_RSRC2:TIDIG_COMP_CNT: 0
; COMPUTE_PGM_RSRC3_GFX90A:ACCUM_OFFSET: 16
; COMPUTE_PGM_RSRC3_GFX90A:TG_SPLIT: 0
	.section	.text._Z39paged_attention_ll4mi_QKV_mfma16_kernelIDF16_hLN4vllm18Fp8KVCacheDataTypeE1EhLi16ELi64ELi256ELb1ELi8EEvPKT_PKT0_S7_ifPKiS9_S9_iPKfiiiPfSC_PS2_PT2_iSB_SB_,"axG",@progbits,_Z39paged_attention_ll4mi_QKV_mfma16_kernelIDF16_hLN4vllm18Fp8KVCacheDataTypeE1EhLi16ELi64ELi256ELb1ELi8EEvPKT_PKT0_S7_ifPKiS9_S9_iPKfiiiPfSC_PS2_PT2_iSB_SB_,comdat
	.protected	_Z39paged_attention_ll4mi_QKV_mfma16_kernelIDF16_hLN4vllm18Fp8KVCacheDataTypeE1EhLi16ELi64ELi256ELb1ELi8EEvPKT_PKT0_S7_ifPKiS9_S9_iPKfiiiPfSC_PS2_PT2_iSB_SB_ ; -- Begin function _Z39paged_attention_ll4mi_QKV_mfma16_kernelIDF16_hLN4vllm18Fp8KVCacheDataTypeE1EhLi16ELi64ELi256ELb1ELi8EEvPKT_PKT0_S7_ifPKiS9_S9_iPKfiiiPfSC_PS2_PT2_iSB_SB_
	.globl	_Z39paged_attention_ll4mi_QKV_mfma16_kernelIDF16_hLN4vllm18Fp8KVCacheDataTypeE1EhLi16ELi64ELi256ELb1ELi8EEvPKT_PKT0_S7_ifPKiS9_S9_iPKfiiiPfSC_PS2_PT2_iSB_SB_
	.p2align	8
	.type	_Z39paged_attention_ll4mi_QKV_mfma16_kernelIDF16_hLN4vllm18Fp8KVCacheDataTypeE1EhLi16ELi64ELi256ELb1ELi8EEvPKT_PKT0_S7_ifPKiS9_S9_iPKfiiiPfSC_PS2_PT2_iSB_SB_,@function
_Z39paged_attention_ll4mi_QKV_mfma16_kernelIDF16_hLN4vllm18Fp8KVCacheDataTypeE1EhLi16ELi64ELi256ELb1ELi8EEvPKT_PKT0_S7_ifPKiS9_S9_iPKfiiiPfSC_PS2_PT2_iSB_SB_: ; @_Z39paged_attention_ll4mi_QKV_mfma16_kernelIDF16_hLN4vllm18Fp8KVCacheDataTypeE1EhLi16ELi64ELi256ELb1ELi8EEvPKT_PKT0_S7_ifPKiS9_S9_iPKfiiiPfSC_PS2_PT2_iSB_SB_
; %bb.0:
	s_load_dwordx2 s[8:9], s[0:1], 0x30
	s_mov_b32 s16, s3
	s_mov_b64 s[6:7], 0
	s_waitcnt lgkmcnt(0)
	s_cmp_lg_u64 s[8:9], 0
	s_cselect_b64 s[10:11], -1, 0
	s_and_b64 vcc, exec, s[10:11]
	s_cbranch_vccz .LBB775_7
; %bb.1:
	s_add_i32 s12, s2, 1
	s_mov_b32 s13, 0
	s_lshl_b64 s[14:15], s[12:13], 2
	s_add_u32 s14, s8, s14
	s_mov_b32 s3, s13
	s_addc_u32 s15, s9, s15
	s_lshl_b64 s[12:13], s[2:3], 2
	s_add_u32 s12, s8, s12
	s_addc_u32 s13, s9, s13
	s_load_dword s5, s[14:15], 0x0
	s_load_dword s17, s[12:13], 0x0
	s_waitcnt lgkmcnt(0)
	s_sub_i32 s5, s5, s17
	s_cmp_eq_u32 s5, 1
	s_cselect_b64 s[12:13], -1, 0
	s_andn2_b64 vcc, exec, s[6:7]
	s_cbranch_vccnz .LBB775_3
.LBB775_2:
	s_mov_b32 s3, 0
	s_mov_b64 s[12:13], -1
.LBB775_3:
	s_andn2_b64 vcc, exec, s[12:13]
	s_cbranch_vccnz .LBB775_19
; %bb.4:
	s_load_dwordx2 s[6:7], s[0:1], 0x28
	s_lshl_b64 s[12:13], s[2:3], 2
	s_waitcnt lgkmcnt(0)
	s_add_u32 s6, s6, s12
	s_addc_u32 s7, s7, s13
	s_load_dword s33, s[6:7], 0x0
	s_lshl_b32 s20, s16, 8
	s_waitcnt lgkmcnt(0)
	s_cmp_ge_i32 s20, s33
	s_cbranch_scc1 .LBB775_19
; %bb.5:
	s_load_dwordx2 s[6:7], s[0:1], 0x20
	s_load_dword s5, s[0:1], 0x38
	s_add_i32 s14, s33, 15
	s_ashr_i32 s15, s14, 31
	v_and_b32_e32 v1, 0xcf, v0
	s_lshr_b32 s15, s15, 28
	v_add_u32_e32 v1, s20, v1
	s_add_i32 s14, s14, s15
	v_ashrrev_i32_e32 v2, 31, v1
	s_ashr_i32 s21, s14, 4
	v_lshrrev_b32_e32 v4, 28, v2
	s_add_i32 s21, s21, -1
	s_waitcnt lgkmcnt(0)
	s_mul_i32 s14, s2, s5
	s_mov_b32 s15, 0
	v_add_u32_e32 v2, v1, v4
	s_lshl_b64 s[14:15], s[14:15], 2
	v_ashrrev_i32_e32 v2, 4, v2
	v_mov_b32_e32 v5, s21
	v_cmp_gt_i32_e32 vcc, s33, v1
	s_add_u32 s6, s6, s14
	s_addc_u32 s7, s7, s15
	v_cndmask_b32_e32 v2, v5, v2, vcc
	v_ashrrev_i32_e32 v3, 31, v2
	v_lshl_add_u64 v[6:7], v[2:3], 2, s[6:7]
	v_or_b32_e32 v2, 16, v1
	v_add_u32_e32 v3, v2, v4
	v_ashrrev_i32_e32 v3, 4, v3
	v_cmp_gt_i32_e32 vcc, s33, v2
	s_load_dwordx2 s[14:15], s[0:1], 0x8
	s_nop 0
	v_cndmask_b32_e32 v2, v5, v3, vcc
	v_ashrrev_i32_e32 v3, 31, v2
	v_lshl_add_u64 v[8:9], v[2:3], 2, s[6:7]
	v_or_b32_e32 v2, 32, v1
	v_add_u32_e32 v3, v2, v4
	v_ashrrev_i32_e32 v3, 4, v3
	v_cmp_gt_i32_e32 vcc, s33, v2
	v_or_b32_e32 v1, 48, v1
	s_nop 0
	v_cndmask_b32_e32 v2, v5, v3, vcc
	v_ashrrev_i32_e32 v3, 31, v2
	v_lshl_add_u64 v[10:11], v[2:3], 2, s[6:7]
	v_add_u32_e32 v2, v1, v4
	v_ashrrev_i32_e32 v2, 4, v2
	v_cmp_gt_i32_e32 vcc, s33, v1
	s_nop 1
	v_cndmask_b32_e32 v2, v5, v2, vcc
	v_ashrrev_i32_e32 v3, 31, v2
	v_lshl_add_u64 v[12:13], v[2:3], 2, s[6:7]
	global_load_dword v5, v[6:7], off
	global_load_dword v4, v[8:9], off
	;; [unrolled: 1-line block ×4, first 2 shown]
	s_andn2_b64 vcc, exec, s[10:11]
	s_cbranch_vccnz .LBB775_8
; %bb.6:
	s_add_u32 s8, s8, s12
	s_addc_u32 s9, s9, s13
	s_load_dword s5, s[8:9], 0x0
	s_branch .LBB775_9
.LBB775_7:
	s_mov_b64 s[12:13], 0
	s_branch .LBB775_2
.LBB775_8:
	s_mov_b32 s5, s2
.LBB775_9:
	s_load_dwordx2 s[8:9], s[0:1], 0x10
	s_load_dwordx4 s[44:47], s[0:1], 0x48
	v_and_b32_e32 v46, 15, v0
	s_movk_i32 s10, 0x80
	v_lshlrev_b32_e32 v6, 3, v46
	v_cmp_gt_u32_e32 vcc, s10, v0
	v_cmp_gt_u32_e64 s[18:19], 8, v46
	v_lshrrev_b32_e32 v45, 6, v0
	v_bfe_u32 v1, v0, 4, 2
	s_lshl_b32 s17, s4, 3
	s_and_b64 s[12:13], vcc, s[18:19]
	v_lshlrev_b32_e32 v26, 1, v6
	v_lshlrev_b32_e32 v44, 4, v0
	s_and_saveexec_b64 s[10:11], s[12:13]
	s_cbranch_execz .LBB775_11
; %bb.10:
	s_load_dwordx2 s[12:13], s[0:1], 0x0
	s_waitcnt lgkmcnt(0)
	s_ashr_i32 s22, s44, 31
	s_mul_hi_u32 s23, s5, s44
	s_mul_i32 s22, s5, s22
	s_add_i32 s23, s23, s22
	s_mul_i32 s22, s5, s44
	v_lshl_or_b32 v10, v45, 2, v1
	s_lshl_b64 s[22:23], s[22:23], 1
	s_add_u32 s12, s12, s22
	v_add_lshl_u32 v6, v10, s17, 6
	s_addc_u32 s13, s13, s23
	v_ashrrev_i32_e32 v7, 31, v6
	v_lshl_add_u64 v[6:7], v[6:7], 1, s[12:13]
	v_mov_b32_e32 v27, 0
	v_lshl_add_u64 v[6:7], v[6:7], 0, v[26:27]
	global_load_dwordx4 v[6:9], v[6:7], off
	v_lshlrev_b32_e32 v12, 8, v46
	v_lshlrev_b32_e32 v10, 5, v10
	v_and_b32_e32 v11, 16, v44
	v_and_b32_e32 v12, 0xe00, v12
	v_or3_b32 v10, v12, v10, v11
	s_waitcnt vmcnt(0)
	ds_write_b128 v10, v[6:9]
.LBB775_11:
	s_or_b64 exec, exec, s[10:11]
	s_waitcnt lgkmcnt(0)
	s_mul_i32 s10, s4, s46
	s_add_u32 s4, s14, s10
	s_addc_u32 s5, s15, 0
	v_and_b32_e32 v30, 48, v0
	v_and_b32_e32 v28, 0xf0, v44
	v_mov_b32_e32 v29, 0
	v_lshl_add_u64 v[6:7], s[4:5], 0, v[28:29]
	v_lshlrev_b32_e32 v28, 4, v30
	v_lshl_add_u64 v[6:7], v[6:7], 0, v[28:29]
	s_waitcnt vmcnt(3)
	v_mad_i64_i32 v[8:9], s[4:5], v5, s45, v[6:7]
	s_waitcnt vmcnt(2)
	v_mad_i64_i32 v[4:5], s[4:5], v4, s45, v[6:7]
	s_barrier
	global_load_dwordx4 v[22:25], v[8:9], off
	global_load_dwordx4 v[18:21], v[4:5], off
	s_waitcnt vmcnt(3)
	v_mad_i64_i32 v[4:5], s[4:5], v3, s45, v[6:7]
	s_waitcnt vmcnt(2)
	v_mad_i64_i32 v[2:3], s[4:5], v2, s45, v[6:7]
	global_load_dwordx4 v[14:17], v[4:5], off
	global_load_dwordx4 v[6:9], v[2:3], off
	v_and_b32_e32 v2, 7, v0
	v_lshlrev_b32_e32 v2, 5, v2
	v_lshl_or_b32 v2, v1, 9, v2
	ds_read_b128 v[10:13], v2
	ds_read_b128 v[2:5], v2 offset:16
	v_and_b32_e32 v27, 63, v0
	v_mov_b32_e32 v47, 0
	s_and_saveexec_b64 s[4:5], s[18:19]
	s_cbranch_execz .LBB775_13
; %bb.12:
	s_load_dwordx2 s[12:13], s[0:1], 0x40
	v_or_b32_e32 v32, s17, v46
	v_ashrrev_i32_e32 v33, 31, v32
	s_waitcnt lgkmcnt(0)
	v_lshl_add_u64 v[32:33], v[32:33], 2, s[12:13]
	global_load_dword v47, v[32:33], off
.LBB775_13:
	s_or_b64 exec, exec, s[4:5]
	v_or_b32_e32 v49, s20, v30
	v_ashrrev_i32_e32 v28, 4, v49
	v_mov_b32_e32 v63, s21
	v_cmp_gt_i32_e32 vcc, s33, v49
	s_waitcnt vmcnt(3)
	v_cvt_pk_f32_fp8_e32 v[38:39], v22
	v_cvt_pk_f32_fp8_sdwa v[40:41], v22 src0_sel:WORD_1
	v_cndmask_b32_e32 v30, v63, v28, vcc
	v_ashrrev_i32_e32 v31, 31, v30
	v_lshl_add_u64 v[30:31], v[30:31], 2, s[6:7]
	global_load_dword v48, v[30:31], off
	v_cvt_pk_f32_fp8_e32 v[42:43], v23
	v_cvt_pk_f32_fp8_sdwa v[30:31], v23 src0_sel:WORD_1
	v_cvt_pk_f32_fp8_e32 v[34:35], v24
	v_cvt_pk_f32_fp8_sdwa v[36:37], v24 src0_sel:WORD_1
	;; [unrolled: 2-line block ×3, first 2 shown]
	s_waitcnt vmcnt(3)
	v_cvt_pk_f32_fp8_e32 v[24:25], v18
	v_cvt_pk_f32_fp8_sdwa v[50:51], v18 src0_sel:WORD_1
	v_cvt_pk_f32_fp8_e32 v[54:55], v20
	v_cvt_pk_f32_fp8_sdwa v[56:57], v20 src0_sel:WORD_1
	;; [unrolled: 2-line block ×3, first 2 shown]
	v_cvt_pkrtz_f16_f32 v20, v38, v39
	v_cvt_pkrtz_f16_f32 v21, v40, v41
	s_add_u32 s4, s8, s10
	v_cvt_pk_f32_fp8_e32 v[52:53], v19
	v_cvt_pk_f32_fp8_sdwa v[18:19], v19 src0_sel:WORD_1
	v_lshlrev_b32_e32 v28, 4, v46
	v_lshl_or_b32 v28, v45, 8, v28
	s_addc_u32 s5, s9, 0
	v_lshl_add_u64 v[28:29], s[4:5], 0, v[28:29]
	s_load_dword s4, s[0:1], 0x1c
	s_load_dwordx4 s[40:43], s[0:1], 0x80
	v_cvt_pkrtz_f16_f32 v24, v24, v25
	v_cvt_pkrtz_f16_f32 v25, v50, v51
	;; [unrolled: 1-line block ×6, first 2 shown]
	s_waitcnt lgkmcnt(0)
	v_mfma_f32_16x16x16_f16 v[18:21], v[20:21], v[10:11], 0
	s_waitcnt vmcnt(2)
	v_cvt_pk_f32_fp8_e32 v[38:39], v14
	v_cvt_pk_f32_fp8_sdwa v[40:41], v14 src0_sel:WORD_1
	v_or_b32_e32 v14, 64, v49
	v_or_b32_e32 v64, 0x80, v49
	v_ashrrev_i32_e32 v62, 4, v14
	v_cvt_pkrtz_f16_f32 v50, v34, v35
	v_cvt_pkrtz_f16_f32 v51, v36, v37
	v_cmp_gt_i32_e32 vcc, s33, v14
	s_load_dword s44, s[0:1], 0x98
	s_load_dword s5, s[40:41], 0x0
	v_or_b32_e32 v49, 0xc0, v49
	v_ashrrev_i32_e32 v65, 4, v64
	v_cndmask_b32_e32 v62, v63, v62, vcc
	v_cmp_gt_i32_e32 vcc, s33, v64
	v_cvt_pkrtz_f16_f32 v35, v22, v23
	v_mfma_f32_16x16x16_f16 v[22:25], v[24:25], v[10:11], 0
	v_ashrrev_i32_e32 v66, 4, v49
	v_cndmask_b32_e32 v64, v63, v65, vcc
	v_cmp_gt_i32_e32 vcc, s33, v49
	v_mfma_f32_16x16x16_f16 v[18:21], v[42:43], v[12:13], v[18:21]
	v_ashrrev_i32_e32 v65, 31, v64
	v_cndmask_b32_e32 v66, v63, v66, vcc
	v_ashrrev_i32_e32 v63, 31, v62
	v_cvt_pkrtz_f16_f32 v34, v32, v33
	v_ashrrev_i32_e32 v67, 31, v66
	v_cvt_pkrtz_f16_f32 v54, v54, v55
	v_cvt_pkrtz_f16_f32 v55, v56, v57
	;; [unrolled: 1-line block ×4, first 2 shown]
	v_lshl_add_u64 v[38:39], v[62:63], 2, s[6:7]
	v_lshl_add_u64 v[40:41], v[64:65], 2, s[6:7]
	v_mov_b32_e32 v14, s4
	v_cvt_pk_f32_fp8_e32 v[30:31], v15
	v_mfma_f32_16x16x16_f16 v[22:25], v[52:53], v[12:13], v[22:25]
	v_lshl_add_u64 v[42:43], v[66:67], 2, s[6:7]
	v_cvt_pkrtz_f16_f32 v36, v58, v59
	v_cvt_pkrtz_f16_f32 v37, v60, v61
	v_mfma_f32_16x16x16_f16 v[18:21], v[50:51], v[2:3], v[18:21]
	global_load_dword v50, v[38:39], off
	global_load_dword v51, v[40:41], off
	;; [unrolled: 1-line block ×3, first 2 shown]
	s_waitcnt lgkmcnt(0)
	v_mul_f32_e32 v40, s5, v14
	v_cvt_pk_f32_fp8_sdwa v[14:15], v15 src0_sel:WORD_1
	v_mfma_f32_16x16x16_f16 v[22:25], v[54:55], v[2:3], v[22:25]
	v_cvt_pk_f32_fp8_e32 v[38:39], v16
	v_cvt_pk_f32_fp8_sdwa v[42:43], v16 src0_sel:WORD_1
	s_mov_b32 s46, 0xff7fffff
	v_mfma_f32_16x16x16_f16 v[18:21], v[34:35], v[4:5], v[18:21]
	v_cvt_pkrtz_f16_f32 v34, v30, v31
	v_cvt_pkrtz_f16_f32 v35, v14, v15
	;; [unrolled: 1-line block ×3, first 2 shown]
	v_mfma_f32_16x16x16_f16 v[30:33], v[32:33], v[10:11], 0
	v_cvt_pkrtz_f16_f32 v39, v42, v43
	v_cvt_pk_f32_fp8_e32 v[42:43], v17
	v_mfma_f32_16x16x16_f16 v[22:25], v[36:37], v[4:5], v[22:25]
	s_waitcnt vmcnt(3)
	v_mad_i64_i32 v[36:37], s[4:5], v48, s45, v[28:29]
	v_cvt_pk_f32_fp8_sdwa v[48:49], v17 src0_sel:WORD_1
	v_mfma_f32_16x16x16_f16 v[14:17], v[34:35], v[12:13], v[30:33]
	v_cvt_pk_f32_fp8_e32 v[34:35], v8
	s_nop 1
	v_pk_mul_f32 v[30:31], v[40:41], v[20:21] op_sel_hi:[0,1]
	v_cvt_pkrtz_f16_f32 v20, v42, v43
	v_cvt_pkrtz_f16_f32 v21, v48, v49
	v_mfma_f32_16x16x16_f16 v[14:17], v[38:39], v[2:3], v[14:17]
	v_pk_mul_f32 v[38:39], v[40:41], v[18:19] op_sel_hi:[0,1]
	v_cvt_pk_f32_fp8_e32 v[18:19], v6
	v_cvt_pk_f32_fp8_sdwa v[32:33], v6 src0_sel:WORD_1
	v_mfma_f32_16x16x16_f16 v[14:17], v[20:21], v[4:5], v[14:17]
	v_cvt_pk_f32_fp8_e32 v[20:21], v7
	v_cvt_pkrtz_f16_f32 v18, v18, v19
	v_cvt_pkrtz_f16_f32 v19, v32, v33
	v_cvt_pk_f32_fp8_sdwa v[6:7], v7 src0_sel:WORD_1
	v_cvt_pkrtz_f16_f32 v32, v20, v21
	v_cvt_pk_f32_fp8_sdwa v[42:43], v8 src0_sel:WORD_1
	v_mfma_f32_16x16x16_f16 v[18:21], v[18:19], v[10:11], 0
	v_cvt_pkrtz_f16_f32 v33, v6, v7
	v_cvt_pkrtz_f16_f32 v10, v34, v35
	v_cvt_pkrtz_f16_f32 v11, v42, v43
	v_cvt_pk_f32_fp8_e32 v[34:35], v9
	v_cvt_pk_f32_fp8_sdwa v[42:43], v9 src0_sel:WORD_1
	v_mfma_f32_16x16x16_f16 v[6:9], v[32:33], v[12:13], v[18:21]
	v_pk_mul_f32 v[32:33], v[40:41], v[24:25] op_sel_hi:[0,1]
	v_cvt_pkrtz_f16_f32 v12, v34, v35
	v_cvt_pkrtz_f16_f32 v13, v42, v43
	v_mfma_f32_16x16x16_f16 v[6:9], v[10:11], v[2:3], v[6:9]
	v_pk_mul_f32 v[34:35], v[40:41], v[22:23] op_sel_hi:[0,1]
	v_pk_mul_f32 v[22:23], v[40:41], v[16:17] op_sel_hi:[0,1]
	;; [unrolled: 1-line block ×3, first 2 shown]
	v_mfma_f32_16x16x16_f16 v[2:5], v[12:13], v[4:5], v[6:9]
	s_nop 6
	v_pk_mul_f32 v[20:21], v[40:41], v[2:3] op_sel_hi:[0,1]
	v_and_b32_e32 v2, 0xc0, v0
	v_add_u32_e32 v2, s20, v2
	v_lshl_or_b32 v2, v1, 2, v2
	v_or_b32_e32 v3, 1, v2
	v_pk_mul_f32 v[18:19], v[40:41], v[4:5] op_sel_hi:[0,1]
	v_subrev_u32_e32 v4, s33, v3
	v_add_u32_e32 v6, 1, v4
	v_add_u32_e32 v7, 2, v4
	;; [unrolled: 1-line block ×3, first 2 shown]
	v_cvt_f32_i32_e32 v6, v6
	v_cvt_f32_i32_e32 v7, v7
	;; [unrolled: 1-line block ×3, first 2 shown]
	v_add_u32_e32 v9, 19, v4
	v_fmac_f32_e32 v39, v47, v6
	v_fma_f32 v30, v47, v7, v30
	v_fmac_f32_e32 v31, v47, v8
	v_add_u32_e32 v6, 16, v4
	v_add_u32_e32 v7, 17, v4
	;; [unrolled: 1-line block ×3, first 2 shown]
	v_cvt_f32_i32_e32 v6, v6
	v_cvt_f32_i32_e32 v7, v7
	;; [unrolled: 1-line block ×4, first 2 shown]
	v_fma_f32 v34, v47, v6, v34
	v_fmac_f32_e32 v35, v47, v7
	v_fma_f32 v40, v47, v8, v32
	v_add_u32_e32 v6, 32, v4
	v_add_u32_e32 v7, 33, v4
	;; [unrolled: 1-line block ×3, first 2 shown]
	v_cvt_f32_i32_e32 v6, v6
	v_cvt_f32_i32_e32 v7, v7
	;; [unrolled: 1-line block ×4, first 2 shown]
	v_fmac_f32_e32 v33, v47, v9
	v_add_u32_e32 v9, 35, v4
	v_fma_f32 v24, v47, v6, v24
	v_fmac_f32_e32 v25, v47, v7
	v_fma_f32 v22, v47, v8, v22
	v_add_u32_e32 v6, 48, v4
	v_add_u32_e32 v7, 49, v4
	;; [unrolled: 1-line block ×4, first 2 shown]
	v_cvt_f32_i32_e32 v4, v4
	v_cvt_f32_i32_e32 v6, v6
	;; [unrolled: 1-line block ×3, first 2 shown]
	v_fma_f32 v5, v47, v5, v38
	v_fmac_f32_e32 v19, v47, v4
	v_mov_b32_e32 v4, 0xff7fffff
	v_cmp_gt_i32_e64 s[4:5], s33, v2
	v_cmp_gt_i32_e64 s[20:21], s33, v3
	v_fma_f32 v20, v47, v6, v20
	v_cndmask_b32_e64 v6, v4, v5, s[4:5]
	v_cndmask_b32_e64 v3, v4, v39, s[20:21]
	v_fmac_f32_e32 v21, v47, v7
	v_max3_f32 v3, v6, s46, v3
	v_or_b32_e32 v6, 2, v2
	v_or_b32_e32 v7, 3, v2
	v_cmp_gt_i32_e64 s[22:23], s33, v6
	v_cmp_gt_i32_e64 s[24:25], s33, v7
	v_cvt_f32_i32_e32 v9, v9
	v_cndmask_b32_e64 v6, v4, v30, s[22:23]
	v_cndmask_b32_e64 v7, v4, v31, s[24:25]
	v_max3_f32 v3, v3, v6, v7
	v_or_b32_e32 v6, 16, v2
	v_or_b32_e32 v7, 17, v2
	v_cmp_gt_i32_e64 s[26:27], s33, v6
	v_cmp_gt_i32_e64 s[28:29], s33, v7
	v_fmac_f32_e32 v23, v47, v9
	v_cndmask_b32_e64 v6, v4, v34, s[26:27]
	v_cndmask_b32_e64 v7, v4, v35, s[28:29]
	v_max3_f32 v3, v3, v6, v7
	v_or_b32_e32 v6, 18, v2
	v_or_b32_e32 v7, 19, v2
	v_cmp_gt_i32_e64 s[30:31], s33, v6
	v_cmp_gt_i32_e64 s[34:35], s33, v7
	v_cvt_f32_i32_e32 v8, v8
	v_cndmask_b32_e64 v6, v4, v40, s[30:31]
	v_cndmask_b32_e64 v7, v4, v33, s[34:35]
	v_max3_f32 v3, v3, v6, v7
	v_or_b32_e32 v6, 32, v2
	v_or_b32_e32 v7, 33, v2
	v_cmp_gt_i32_e64 s[36:37], s33, v6
	v_cmp_gt_i32_e64 s[38:39], s33, v7
	v_fma_f32 v18, v47, v8, v18
	v_cndmask_b32_e64 v6, v4, v24, s[36:37]
	v_cndmask_b32_e64 v7, v4, v25, s[38:39]
	v_max3_f32 v3, v3, v6, v7
	v_or_b32_e32 v6, 34, v2
	v_or_b32_e32 v7, 35, v2
	v_cmp_gt_i32_e64 s[12:13], s33, v6
	v_cmp_gt_i32_e64 s[14:15], s33, v7
	s_nop 0
	v_cndmask_b32_e64 v6, v4, v22, s[12:13]
	v_cndmask_b32_e64 v7, v4, v23, s[14:15]
	v_max3_f32 v3, v3, v6, v7
	v_or_b32_e32 v6, 48, v2
	v_or_b32_e32 v7, 49, v2
	v_cmp_gt_i32_e64 s[8:9], s33, v6
	v_cmp_gt_i32_e64 s[10:11], s33, v7
	s_nop 0
	v_cndmask_b32_e64 v6, v4, v20, s[8:9]
	v_cndmask_b32_e64 v7, v4, v21, s[10:11]
	v_max3_f32 v3, v3, v6, v7
	v_or_b32_e32 v6, 50, v2
	v_or_b32_e32 v2, 51, v2
	v_cmp_gt_i32_e32 vcc, s33, v6
	v_cmp_gt_i32_e64 s[6:7], s33, v2
	s_nop 0
	v_cndmask_b32_e32 v6, v4, v18, vcc
	v_cndmask_b32_e64 v2, v4, v19, s[6:7]
	v_max3_f32 v4, v3, v6, v2
	v_mbcnt_lo_u32_b32 v2, -1, 0
	v_mbcnt_hi_u32_b32 v6, -1, v2
	v_and_b32_e32 v2, 64, v6
	v_add_u32_e32 v7, 64, v2
	v_xor_b32_e32 v2, 32, v6
	v_cmp_lt_i32_e64 s[40:41], v2, v7
	s_nop 1
	v_cndmask_b32_e64 v2, v6, v2, s[40:41]
	v_lshlrev_b32_e32 v41, 2, v2
	ds_bpermute_b32 v8, v41, v4
	s_waitcnt vmcnt(2)
	v_mad_i64_i32 v[2:3], s[40:41], v50, s45, v[28:29]
	global_load_dwordx4 v[14:17], v[36:37], off
	global_load_dwordx4 v[10:13], v[2:3], off
	v_xor_b32_e32 v3, 16, v6
	v_cmp_lt_i32_e64 s[40:41], v3, v7
	s_waitcnt lgkmcnt(0)
	v_max_f32_e32 v2, v8, v8
	v_max_f32_e32 v2, v4, v2
	v_cndmask_b32_e64 v3, v6, v3, s[40:41]
	v_lshlrev_b32_e32 v42, 2, v3
	ds_bpermute_b32 v3, v42, v2
	s_waitcnt vmcnt(3)
	v_mad_i64_i32 v[36:37], s[40:41], v51, s45, v[28:29]
	s_waitcnt vmcnt(2)
	v_mad_i64_i32 v[28:29], s[40:41], v52, s45, v[28:29]
	s_waitcnt lgkmcnt(0)
	v_max_f32_e32 v3, v3, v3
	v_max_f32_e32 v32, v2, v3
	v_sub_f32_e32 v2, v5, v32
	v_mul_f32_e32 v2, 0x3fb8aa3b, v2
	v_exp_f32_e32 v38, v2
	v_sub_f32_e32 v2, v39, v32
	v_mul_f32_e32 v2, 0x3fb8aa3b, v2
	v_exp_f32_e32 v39, v2
	global_load_dwordx4 v[6:9], v[36:37], off
	global_load_dwordx4 v[2:5], v[28:29], off
	v_sub_f32_e32 v29, v30, v32
	v_sub_f32_e32 v30, v31, v32
	v_mul_f32_e32 v29, 0x3fb8aa3b, v29
	v_mul_f32_e32 v30, 0x3fb8aa3b, v30
	v_exp_f32_e32 v29, v29
	v_exp_f32_e32 v30, v30
	v_cndmask_b32_e64 v36, 0, v38, s[4:5]
	v_cndmask_b32_e64 v37, 0, v39, s[20:21]
	;; [unrolled: 1-line block ×4, first 2 shown]
	v_sub_f32_e32 v29, v34, v32
	v_sub_f32_e32 v30, v35, v32
	v_mul_f32_e32 v29, 0x3fb8aa3b, v29
	v_mul_f32_e32 v30, 0x3fb8aa3b, v30
	v_exp_f32_e32 v29, v29
	v_exp_f32_e32 v30, v30
	v_add_f32_e32 v28, 0, v36
	v_add_f32_e32 v28, v28, v37
	;; [unrolled: 1-line block ×4, first 2 shown]
	v_cndmask_b32_e64 v28, 0, v29, s[26:27]
	v_cndmask_b32_e64 v29, 0, v30, s[28:29]
	v_sub_f32_e32 v30, v40, v32
	v_mul_f32_e32 v30, 0x3fb8aa3b, v30
	v_sub_f32_e32 v33, v33, v32
	v_exp_f32_e32 v30, v30
	v_mul_f32_e32 v33, 0x3fb8aa3b, v33
	v_sub_f32_e32 v24, v24, v32
	v_exp_f32_e32 v33, v33
	;; [unrolled: 3-line block ×3, first 2 shown]
	v_mul_f32_e32 v25, 0x3fb8aa3b, v25
	v_sub_f32_e32 v22, v22, v32
	v_add_f32_e32 v31, v31, v28
	v_exp_f32_e32 v25, v25
	v_mul_f32_e32 v22, 0x3fb8aa3b, v22
	v_sub_f32_e32 v23, v23, v32
	v_add_f32_e32 v31, v31, v29
	v_cndmask_b32_e64 v30, 0, v30, s[30:31]
	v_exp_f32_e32 v22, v22
	v_mul_f32_e32 v23, 0x3fb8aa3b, v23
	v_sub_f32_e32 v20, v20, v32
	v_add_f32_e32 v34, v31, v30
	v_cndmask_b32_e64 v31, 0, v33, s[34:35]
	;; [unrolled: 5-line block ×5, first 2 shown]
	v_exp_f32_e32 v18, v18
	v_mul_f32_e32 v19, 0x3fb8aa3b, v19
	v_add_f32_e32 v33, v33, v22
	v_cndmask_b32_e64 v23, 0, v23, s[14:15]
	v_exp_f32_e32 v19, v19
	v_add_f32_e32 v33, v33, v23
	v_cndmask_b32_e64 v20, 0, v20, s[8:9]
	v_add_f32_e32 v33, v33, v20
	v_cndmask_b32_e64 v21, 0, v21, s[10:11]
	v_add_f32_e32 v33, v33, v21
	v_cndmask_b32_e32 v18, 0, v18, vcc
	v_add_f32_e32 v33, v33, v18
	v_cndmask_b32_e64 v19, 0, v19, s[6:7]
	v_add_f32_e32 v33, v33, v19
	ds_bpermute_b32 v34, v41, v33
	v_cmp_gt_u32_e32 vcc, 16, v27
	s_waitcnt lgkmcnt(0)
	s_barrier
	v_add_f32_e32 v34, v33, v34
	ds_bpermute_b32 v35, v42, v34
	v_lshlrev_b32_e32 v33, 2, v46
	s_and_saveexec_b64 s[4:5], vcc
	s_cbranch_execz .LBB775_15
; %bb.14:
	s_waitcnt lgkmcnt(0)
	v_add_f32_e32 v27, v34, v35
	v_lshl_or_b32 v34, v45, 6, v33
	ds_write2st64_b32 v34, v32, v27 offset1:1
.LBB775_15:
	s_or_b64 exec, exec, s[4:5]
	s_load_dword s6, s[0:1], 0x94
	s_waitcnt lgkmcnt(0)
	s_barrier
	ds_read2_b32 v[34:35], v33 offset1:16
	ds_read2_b32 v[40:41], v33 offset0:32 offset1:48
	ds_read2_b32 v[42:43], v33 offset0:64 offset1:80
	s_lshl_b32 s7, s44, 3
	s_waitcnt lgkmcnt(2)
	v_max3_f32 v27, v34, s46, v35
	s_waitcnt lgkmcnt(1)
	v_max3_f32 v27, v27, v40, v41
	v_sub_f32_e32 v32, v34, v27
	v_mul_f32_e32 v32, 0x3fb8aa3b, v32
	v_exp_f32_e32 v47, v32
	v_sub_f32_e32 v32, v35, v27
	v_mul_f32_e32 v32, 0x3fb8aa3b, v32
	v_exp_f32_e32 v48, v32
	;; [unrolled: 3-line block ×3, first 2 shown]
	ds_read2_b32 v[34:35], v33 offset0:96 offset1:112
	v_sub_f32_e32 v32, v41, v27
	v_mul_f32_e32 v32, 0x3fb8aa3b, v32
	v_exp_f32_e32 v33, v32
	s_waitcnt lgkmcnt(1)
	v_fma_f32 v32, v47, v42, 0
	v_fmac_f32_e32 v32, v48, v43
	s_waitcnt lgkmcnt(0)
	v_fmac_f32_e32 v32, v40, v34
	v_fmac_f32_e32 v32, v33, v35
	v_add_f32_e32 v34, 0x358637bd, v32
	v_div_scale_f32 v35, s[4:5], v34, v34, 1.0
	v_rcp_f32_e32 v41, v35
	s_barrier
	v_fma_f32 v42, -v35, v41, 1.0
	v_fmac_f32_e32 v41, v42, v41
	v_div_scale_f32 v42, vcc, 1.0, v34, 1.0
	v_mul_f32_e32 v43, v42, v41
	v_fma_f32 v49, -v35, v43, v42
	v_fmac_f32_e32 v43, v49, v41
	v_fma_f32 v35, -v35, v43, v42
	v_div_fmas_f32 v35, v35, v41, v43
	v_cmp_eq_u32_e32 vcc, 1, v45
	v_div_fixup_f32 v34, v35, v34, 1.0
	s_nop 0
	v_cndmask_b32_e32 v35, v47, v48, vcc
	v_cmp_eq_u32_e32 vcc, 2, v45
	s_nop 1
	v_cndmask_b32_e32 v35, v35, v40, vcc
	v_cmp_eq_u32_e32 vcc, 3, v45
	s_nop 1
	v_cndmask_b32_e32 v33, v35, v33, vcc
	v_mul_f32_e32 v34, v33, v34
	v_pk_mul_f32 v[36:37], v[34:35], v[36:37] op_sel_hi:[0,1]
	v_pk_mul_f32 v[38:39], v[34:35], v[38:39] op_sel_hi:[0,1]
	v_cvt_f16_f32_e32 v33, v36
	v_cvt_f16_f32_e32 v35, v37
	;; [unrolled: 1-line block ×4, first 2 shown]
	v_cmp_gt_u32_e32 vcc, 8, v0
	v_pack_b32_f16 v36, v33, v35
	v_lshlrev_b32_e32 v35, 3, v1
	v_pk_mul_f32 v[30:31], v[34:35], v[30:31] op_sel_hi:[0,1]
	v_pk_mul_f32 v[28:29], v[34:35], v[28:29] op_sel_hi:[0,1]
	v_pack_b32_f16 v37, v37, v38
	v_cvt_f16_f32_e32 v38, v28
	v_cvt_f16_f32_e32 v29, v29
	;; [unrolled: 1-line block ×4, first 2 shown]
	v_lshlrev_b32_e32 v33, 5, v46
	v_lshlrev_b32_e32 v28, 11, v45
	v_or3_b32 v28, v28, v33, v35
	v_pack_b32_f16 v30, v38, v29
	v_pack_b32_f16 v31, v39, v31
	v_pk_mul_f32 v[22:23], v[34:35], v[22:23] op_sel_hi:[0,1]
	v_pk_mul_f32 v[24:25], v[34:35], v[24:25] op_sel_hi:[0,1]
	;; [unrolled: 1-line block ×4, first 2 shown]
	ds_write2st64_b64 v28, v[36:37], v[30:31] offset1:1
	v_cvt_f16_f32_e32 v24, v24
	v_cvt_f16_f32_e32 v25, v25
	;; [unrolled: 1-line block ×8, first 2 shown]
	v_pack_b32_f16 v18, v24, v25
	v_pack_b32_f16 v19, v22, v23
	;; [unrolled: 1-line block ×4, first 2 shown]
	ds_write2st64_b64 v28, v[18:19], v[20:21] offset0:2 offset1:3
	s_and_saveexec_b64 s[4:5], vcc
	s_cbranch_execz .LBB775_17
; %bb.16:
	v_or_b32_e32 v18, s17, v0
	v_mov_b32_e32 v19, 0
	v_mov_b32_e32 v20, s7
	v_mad_u64_u32 v[20:21], s[12:13], s2, v20, v[18:19]
	v_mov_b32_e32 v18, s16
	s_load_dwordx4 s[8:11], s[0:1], 0x58
	s_mul_i32 s3, s3, s7
	v_mad_u64_u32 v[18:19], s[12:13], v20, s6, v[18:19]
	v_add_u32_e32 v21, s3, v21
	v_mov_b32_e32 v20, v19
	v_mad_u64_u32 v[20:21], s[12:13], v21, s6, v[20:21]
	v_mov_b32_e32 v19, v20
	v_lshlrev_b64 v[18:19], 2, v[18:19]
	s_waitcnt lgkmcnt(0)
	v_lshl_add_u64 v[20:21], s[10:11], 0, v[18:19]
	v_lshl_add_u64 v[18:19], s[8:9], 0, v[18:19]
	global_store_dword v[20:21], v27, off
	global_store_dword v[18:19], v32, off
.LBB775_17:
	s_or_b64 exec, exec, s[4:5]
	s_waitcnt vmcnt(3)
	v_cvt_pk_f32_fp8_e32 v[18:19], v14
	v_cvt_pk_f32_fp8_sdwa v[20:21], v14 src0_sel:WORD_1
	v_lshl_or_b32 v14, v1, 9, v33
	s_waitcnt lgkmcnt(0)
	s_barrier
	v_cvt_pk_f32_fp8_e32 v[22:23], v15
	v_cvt_pkrtz_f16_f32 v30, v18, v19
	v_cvt_pkrtz_f16_f32 v31, v20, v21
	v_cvt_pk_f32_fp8_sdwa v[24:25], v15 src0_sel:WORD_1
	ds_read_b128 v[18:21], v14
	v_cvt_pkrtz_f16_f32 v34, v22, v23
	v_cvt_pk_f32_fp8_e32 v[36:37], v16
	v_cvt_pkrtz_f16_f32 v35, v24, v25
	ds_read_b128 v[22:25], v14 offset:16
	v_cvt_pk_f32_fp8_sdwa v[38:39], v16 src0_sel:WORD_1
	s_waitcnt lgkmcnt(1)
	v_mfma_f32_16x16x16_f16 v[30:33], v[30:31], v[18:19], 0
	v_cvt_pkrtz_f16_f32 v36, v36, v37
	s_load_dword s4, s[42:43], 0x0
	v_cvt_pkrtz_f16_f32 v37, v38, v39
	v_cvt_pk_f32_fp8_e32 v[38:39], v17
	v_mfma_f32_16x16x16_f16 v[18:21], v[34:35], v[20:21], v[30:33]
	s_waitcnt vmcnt(2)
	v_cvt_pk_f32_fp8_e32 v[34:35], v12
	v_cmp_gt_u32_e32 vcc, 64, v0
	s_mov_b32 s3, 0
	v_cvt_pk_f32_fp8_sdwa v[30:31], v17 src0_sel:WORD_1
	v_cvt_pkrtz_f16_f32 v32, v38, v39
	s_waitcnt lgkmcnt(0)
	v_mfma_f32_16x16x16_f16 v[16:19], v[36:37], v[22:23], v[18:21]
	v_cvt_pk_f32_fp8_sdwa v[22:23], v10 src0_sel:WORD_1
	v_cvt_pkrtz_f16_f32 v33, v30, v31
	v_cvt_pk_f32_fp8_sdwa v[30:31], v11 src0_sel:WORD_1
	v_cvt_pk_f32_fp8_e32 v[20:21], v10
	v_mfma_f32_16x16x16_f16 v[16:19], v[32:33], v[24:25], v[16:19]
	v_cvt_pk_f32_fp8_e32 v[24:25], v11
	v_cvt_pkrtz_f16_f32 v10, v20, v21
	v_cvt_pkrtz_f16_f32 v11, v22, v23
	ds_read_b128 v[20:23], v14 offset:2048
	v_cvt_pkrtz_f16_f32 v24, v24, v25
	v_cvt_pkrtz_f16_f32 v25, v30, v31
	ds_read_b128 v[30:33], v14 offset:2064
	v_cvt_pk_f32_fp8_sdwa v[36:37], v12 src0_sel:WORD_1
	s_waitcnt lgkmcnt(1)
	v_mfma_f32_16x16x16_f16 v[16:19], v[10:11], v[20:21], v[16:19]
	v_cvt_pkrtz_f16_f32 v10, v34, v35
	v_cvt_pk_f32_fp8_e32 v[20:21], v13
	v_cvt_pkrtz_f16_f32 v11, v36, v37
	v_mfma_f32_16x16x16_f16 v[16:19], v[24:25], v[22:23], v[16:19]
	v_cvt_pk_f32_fp8_sdwa v[22:23], v13 src0_sel:WORD_1
	v_cvt_pkrtz_f16_f32 v20, v20, v21
	v_mov_b32_e32 v27, 0
	s_waitcnt lgkmcnt(0)
	v_mfma_f32_16x16x16_f16 v[10:13], v[10:11], v[30:31], v[16:19]
	v_cvt_pkrtz_f16_f32 v21, v22, v23
	s_waitcnt vmcnt(1)
	v_cvt_pk_f32_fp8_sdwa v[22:23], v7 src0_sel:WORD_1
	v_cvt_pk_f32_fp8_e32 v[30:31], v8
	v_cvt_pk_f32_fp8_e32 v[16:17], v6
	v_cvt_pk_f32_fp8_sdwa v[18:19], v6 src0_sel:WORD_1
	v_mfma_f32_16x16x16_f16 v[10:13], v[20:21], v[32:33], v[10:13]
	v_cvt_pk_f32_fp8_e32 v[20:21], v7
	v_cvt_pkrtz_f16_f32 v6, v16, v17
	v_cvt_pkrtz_f16_f32 v7, v18, v19
	ds_read_b128 v[16:19], v14 offset:4096
	v_cvt_pkrtz_f16_f32 v24, v20, v21
	v_cvt_pkrtz_f16_f32 v25, v22, v23
	ds_read_b128 v[20:23], v14 offset:4112
	v_cvt_pk_f32_fp8_sdwa v[32:33], v8 src0_sel:WORD_1
	s_waitcnt lgkmcnt(1)
	v_mfma_f32_16x16x16_f16 v[10:13], v[6:7], v[16:17], v[10:13]
	v_cvt_pkrtz_f16_f32 v6, v30, v31
	v_cvt_pk_f32_fp8_e32 v[16:17], v9
	v_cvt_pkrtz_f16_f32 v7, v32, v33
	v_mfma_f32_16x16x16_f16 v[10:13], v[24:25], v[18:19], v[10:13]
	v_cvt_pk_f32_fp8_sdwa v[18:19], v9 src0_sel:WORD_1
	v_cvt_pkrtz_f16_f32 v16, v16, v17
	v_cvt_pkrtz_f16_f32 v17, v18, v19
	s_waitcnt lgkmcnt(0)
	v_mfma_f32_16x16x16_f16 v[6:9], v[6:7], v[20:21], v[10:13]
	s_waitcnt vmcnt(0)
	v_cvt_pk_f32_fp8_sdwa v[18:19], v3 src0_sel:WORD_1
	s_nop 0
	v_cvt_pkrtz_f16_f32 v21, v18, v19
	v_cvt_pk_f32_fp8_e32 v[10:11], v2
	v_cvt_pk_f32_fp8_sdwa v[12:13], v2 src0_sel:WORD_1
	v_mfma_f32_16x16x16_f16 v[6:9], v[16:17], v[22:23], v[6:9]
	v_cvt_pk_f32_fp8_e32 v[16:17], v3
	v_cvt_pkrtz_f16_f32 v2, v10, v11
	v_cvt_pkrtz_f16_f32 v3, v12, v13
	ds_read_b128 v[10:13], v14 offset:6144
	v_cvt_pkrtz_f16_f32 v20, v16, v17
	v_cvt_pk_f32_fp8_e32 v[18:19], v4
	v_cvt_pk_f32_fp8_sdwa v[22:23], v4 src0_sel:WORD_1
	s_waitcnt lgkmcnt(0)
	v_mfma_f32_16x16x16_f16 v[6:9], v[2:3], v[10:11], v[6:9]
	ds_read_b128 v[14:17], v14 offset:6160
	v_cvt_pkrtz_f16_f32 v2, v18, v19
	v_cvt_pkrtz_f16_f32 v3, v22, v23
	v_cvt_pk_f32_fp8_e32 v[10:11], v5
	v_mfma_f32_16x16x16_f16 v[6:9], v[20:21], v[12:13], v[6:9]
	v_cvt_pk_f32_fp8_sdwa v[12:13], v5 src0_sel:WORD_1
	s_waitcnt lgkmcnt(0)
	v_cvt_pkrtz_f16_f32 v10, v10, v11
	v_mfma_f32_16x16x16_f16 v[2:5], v[2:3], v[14:15], v[6:9]
	v_cvt_pkrtz_f16_f32 v11, v12, v13
	s_barrier
	s_nop 0
	v_mfma_f32_16x16x16_f16 v[2:5], v[10:11], v[16:17], v[2:5]
	s_nop 6
	v_pk_mul_f32 v[4:5], v[4:5], s[4:5] op_sel_hi:[1,0]
	v_pk_mul_f32 v[2:3], v[2:3], s[4:5] op_sel_hi:[1,0]
	v_cvt_f16_f32_e32 v4, v4
	v_cvt_f16_f32_e32 v2, v2
	;; [unrolled: 1-line block ×4, first 2 shown]
	s_and_b64 s[4:5], vcc, s[18:19]
	v_pack_b32_f16 v2, v2, v3
	v_pack_b32_f16 v3, v4, v5
	ds_write_b64 v28, v[2:3]
	s_waitcnt lgkmcnt(0)
	s_barrier
	s_and_saveexec_b64 s[8:9], s[4:5]
	s_cbranch_execz .LBB775_19
; %bb.18:
	s_load_dwordx2 s[0:1], s[0:1], 0x68
	s_lshl_b32 s6, s6, 6
	s_mul_i32 s2, s7, s2
	s_mul_hi_u32 s5, s2, s6
	s_mul_i32 s4, s2, s6
	s_lshl_b64 s[4:5], s[4:5], 1
	v_lshlrev_b32_e32 v0, 10, v0
	s_waitcnt lgkmcnt(0)
	s_add_u32 s4, s0, s4
	v_and_b32_e32 v0, 0x1800, v0
	v_lshlrev_b32_e32 v2, 5, v1
	v_and_b32_e32 v3, 16, v44
	s_addc_u32 s5, s1, s5
	s_lshl_b32 s2, s16, 6
	v_or3_b32 v0, v0, v2, v3
	s_lshl_b64 s[0:1], s[2:3], 1
	ds_read_b128 v[2:5], v0
	ds_read_b128 v[6:9], v0 offset:128
	s_add_u32 s0, s4, s0
	s_addc_u32 s1, s5, s1
	v_or_b32_e32 v12, s17, v1
	v_lshl_add_u64 v[10:11], s[0:1], 0, v[26:27]
	v_mad_u64_u32 v[0:1], s[0:1], v12, s6, 0
	v_lshl_add_u64 v[0:1], v[0:1], 1, v[10:11]
	s_waitcnt lgkmcnt(1)
	global_store_dwordx4 v[0:1], v[2:5], off
	v_or_b32_e32 v0, 4, v12
	v_mad_u64_u32 v[0:1], s[0:1], v0, s6, 0
	v_lshl_add_u64 v[0:1], v[0:1], 1, v[10:11]
	s_waitcnt lgkmcnt(0)
	global_store_dwordx4 v[0:1], v[6:9], off
.LBB775_19:
	s_endpgm
	.section	.rodata,"a",@progbits
	.p2align	6, 0x0
	.amdhsa_kernel _Z39paged_attention_ll4mi_QKV_mfma16_kernelIDF16_hLN4vllm18Fp8KVCacheDataTypeE1EhLi16ELi64ELi256ELb1ELi8EEvPKT_PKT0_S7_ifPKiS9_S9_iPKfiiiPfSC_PS2_PT2_iSB_SB_
		.amdhsa_group_segment_fixed_size 8192
		.amdhsa_private_segment_fixed_size 0
		.amdhsa_kernarg_size 400
		.amdhsa_user_sgpr_count 2
		.amdhsa_user_sgpr_dispatch_ptr 0
		.amdhsa_user_sgpr_queue_ptr 0
		.amdhsa_user_sgpr_kernarg_segment_ptr 1
		.amdhsa_user_sgpr_dispatch_id 0
		.amdhsa_user_sgpr_kernarg_preload_length 0
		.amdhsa_user_sgpr_kernarg_preload_offset 0
		.amdhsa_user_sgpr_private_segment_size 0
		.amdhsa_uses_dynamic_stack 0
		.amdhsa_enable_private_segment 0
		.amdhsa_system_sgpr_workgroup_id_x 1
		.amdhsa_system_sgpr_workgroup_id_y 1
		.amdhsa_system_sgpr_workgroup_id_z 1
		.amdhsa_system_sgpr_workgroup_info 0
		.amdhsa_system_vgpr_workitem_id 0
		.amdhsa_next_free_vgpr 68
		.amdhsa_next_free_sgpr 48
		.amdhsa_accum_offset 68
		.amdhsa_reserve_vcc 1
		.amdhsa_float_round_mode_32 0
		.amdhsa_float_round_mode_16_64 0
		.amdhsa_float_denorm_mode_32 3
		.amdhsa_float_denorm_mode_16_64 3
		.amdhsa_dx10_clamp 1
		.amdhsa_ieee_mode 1
		.amdhsa_fp16_overflow 0
		.amdhsa_tg_split 0
		.amdhsa_exception_fp_ieee_invalid_op 0
		.amdhsa_exception_fp_denorm_src 0
		.amdhsa_exception_fp_ieee_div_zero 0
		.amdhsa_exception_fp_ieee_overflow 0
		.amdhsa_exception_fp_ieee_underflow 0
		.amdhsa_exception_fp_ieee_inexact 0
		.amdhsa_exception_int_div_zero 0
	.end_amdhsa_kernel
	.section	.text._Z39paged_attention_ll4mi_QKV_mfma16_kernelIDF16_hLN4vllm18Fp8KVCacheDataTypeE1EhLi16ELi64ELi256ELb1ELi8EEvPKT_PKT0_S7_ifPKiS9_S9_iPKfiiiPfSC_PS2_PT2_iSB_SB_,"axG",@progbits,_Z39paged_attention_ll4mi_QKV_mfma16_kernelIDF16_hLN4vllm18Fp8KVCacheDataTypeE1EhLi16ELi64ELi256ELb1ELi8EEvPKT_PKT0_S7_ifPKiS9_S9_iPKfiiiPfSC_PS2_PT2_iSB_SB_,comdat
.Lfunc_end775:
	.size	_Z39paged_attention_ll4mi_QKV_mfma16_kernelIDF16_hLN4vllm18Fp8KVCacheDataTypeE1EhLi16ELi64ELi256ELb1ELi8EEvPKT_PKT0_S7_ifPKiS9_S9_iPKfiiiPfSC_PS2_PT2_iSB_SB_, .Lfunc_end775-_Z39paged_attention_ll4mi_QKV_mfma16_kernelIDF16_hLN4vllm18Fp8KVCacheDataTypeE1EhLi16ELi64ELi256ELb1ELi8EEvPKT_PKT0_S7_ifPKiS9_S9_iPKfiiiPfSC_PS2_PT2_iSB_SB_
                                        ; -- End function
	.section	.AMDGPU.csdata,"",@progbits
; Kernel info:
; codeLenInByte = 4800
; NumSgprs: 54
; NumVgprs: 68
; NumAgprs: 0
; TotalNumVgprs: 68
; ScratchSize: 0
; MemoryBound: 0
; FloatMode: 240
; IeeeMode: 1
; LDSByteSize: 8192 bytes/workgroup (compile time only)
; SGPRBlocks: 6
; VGPRBlocks: 8
; NumSGPRsForWavesPerEU: 54
; NumVGPRsForWavesPerEU: 68
; AccumOffset: 68
; Occupancy: 7
; WaveLimiterHint : 1
; COMPUTE_PGM_RSRC2:SCRATCH_EN: 0
; COMPUTE_PGM_RSRC2:USER_SGPR: 2
; COMPUTE_PGM_RSRC2:TRAP_HANDLER: 0
; COMPUTE_PGM_RSRC2:TGID_X_EN: 1
; COMPUTE_PGM_RSRC2:TGID_Y_EN: 1
; COMPUTE_PGM_RSRC2:TGID_Z_EN: 1
; COMPUTE_PGM_RSRC2:TIDIG_COMP_CNT: 0
; COMPUTE_PGM_RSRC3_GFX90A:ACCUM_OFFSET: 16
; COMPUTE_PGM_RSRC3_GFX90A:TG_SPLIT: 0
	.section	.text._Z39paged_attention_ll4mi_QKV_mfma16_kernelIDF16_hLN4vllm18Fp8KVCacheDataTypeE1EhLi16ELi64ELi256ELb1ELi9EEvPKT_PKT0_S7_ifPKiS9_S9_iPKfiiiPfSC_PS2_PT2_iSB_SB_,"axG",@progbits,_Z39paged_attention_ll4mi_QKV_mfma16_kernelIDF16_hLN4vllm18Fp8KVCacheDataTypeE1EhLi16ELi64ELi256ELb1ELi9EEvPKT_PKT0_S7_ifPKiS9_S9_iPKfiiiPfSC_PS2_PT2_iSB_SB_,comdat
	.protected	_Z39paged_attention_ll4mi_QKV_mfma16_kernelIDF16_hLN4vllm18Fp8KVCacheDataTypeE1EhLi16ELi64ELi256ELb1ELi9EEvPKT_PKT0_S7_ifPKiS9_S9_iPKfiiiPfSC_PS2_PT2_iSB_SB_ ; -- Begin function _Z39paged_attention_ll4mi_QKV_mfma16_kernelIDF16_hLN4vllm18Fp8KVCacheDataTypeE1EhLi16ELi64ELi256ELb1ELi9EEvPKT_PKT0_S7_ifPKiS9_S9_iPKfiiiPfSC_PS2_PT2_iSB_SB_
	.globl	_Z39paged_attention_ll4mi_QKV_mfma16_kernelIDF16_hLN4vllm18Fp8KVCacheDataTypeE1EhLi16ELi64ELi256ELb1ELi9EEvPKT_PKT0_S7_ifPKiS9_S9_iPKfiiiPfSC_PS2_PT2_iSB_SB_
	.p2align	8
	.type	_Z39paged_attention_ll4mi_QKV_mfma16_kernelIDF16_hLN4vllm18Fp8KVCacheDataTypeE1EhLi16ELi64ELi256ELb1ELi9EEvPKT_PKT0_S7_ifPKiS9_S9_iPKfiiiPfSC_PS2_PT2_iSB_SB_,@function
_Z39paged_attention_ll4mi_QKV_mfma16_kernelIDF16_hLN4vllm18Fp8KVCacheDataTypeE1EhLi16ELi64ELi256ELb1ELi9EEvPKT_PKT0_S7_ifPKiS9_S9_iPKfiiiPfSC_PS2_PT2_iSB_SB_: ; @_Z39paged_attention_ll4mi_QKV_mfma16_kernelIDF16_hLN4vllm18Fp8KVCacheDataTypeE1EhLi16ELi64ELi256ELb1ELi9EEvPKT_PKT0_S7_ifPKiS9_S9_iPKfiiiPfSC_PS2_PT2_iSB_SB_
; %bb.0:
	s_load_dwordx2 s[6:7], s[0:1], 0x30
	s_mov_b32 s28, s3
	s_mov_b64 s[8:9], 0
	s_waitcnt lgkmcnt(0)
	s_cmp_lg_u64 s[6:7], 0
	s_cselect_b64 s[10:11], -1, 0
	s_and_b64 vcc, exec, s[10:11]
	s_cbranch_vccz .LBB776_7
; %bb.1:
	s_add_i32 s12, s2, 1
	s_mov_b32 s13, 0
	s_lshl_b64 s[14:15], s[12:13], 2
	s_add_u32 s14, s6, s14
	s_mov_b32 s3, s13
	s_addc_u32 s15, s7, s15
	s_lshl_b64 s[12:13], s[2:3], 2
	s_add_u32 s12, s6, s12
	s_addc_u32 s13, s7, s13
	s_load_dword s5, s[14:15], 0x0
	s_load_dword s16, s[12:13], 0x0
	s_waitcnt lgkmcnt(0)
	s_sub_i32 s5, s5, s16
	s_cmp_eq_u32 s5, 1
	s_cselect_b64 s[12:13], -1, 0
	s_andn2_b64 vcc, exec, s[8:9]
	s_cbranch_vccnz .LBB776_3
.LBB776_2:
	s_mov_b32 s3, 0
	s_mov_b64 s[12:13], -1
.LBB776_3:
	s_andn2_b64 vcc, exec, s[12:13]
	s_cbranch_vccnz .LBB776_20
; %bb.4:
	s_load_dwordx2 s[8:9], s[0:1], 0x28
	s_lshl_b64 s[12:13], s[2:3], 2
	s_waitcnt lgkmcnt(0)
	s_add_u32 s8, s8, s12
	s_addc_u32 s9, s9, s13
	s_load_dword s29, s[8:9], 0x0
	s_lshl_b32 s16, s28, 8
	s_waitcnt lgkmcnt(0)
	s_cmp_ge_i32 s16, s29
	s_cbranch_scc1 .LBB776_20
; %bb.5:
	s_load_dwordx2 s[8:9], s[0:1], 0x20
	s_load_dword s5, s[0:1], 0x38
	s_add_i32 s14, s29, 15
	s_ashr_i32 s15, s14, 31
	v_and_b32_e32 v1, 0xcf, v0
	s_lshr_b32 s15, s15, 28
	v_add_u32_e32 v1, s16, v1
	s_add_i32 s14, s14, s15
	v_ashrrev_i32_e32 v2, 31, v1
	s_ashr_i32 s17, s14, 4
	v_lshrrev_b32_e32 v4, 28, v2
	s_add_i32 s17, s17, -1
	s_waitcnt lgkmcnt(0)
	s_mul_i32 s14, s2, s5
	s_mov_b32 s15, 0
	v_add_u32_e32 v2, v1, v4
	s_lshl_b64 s[14:15], s[14:15], 2
	v_ashrrev_i32_e32 v2, 4, v2
	v_mov_b32_e32 v5, s17
	v_cmp_gt_i32_e32 vcc, s29, v1
	s_add_u32 s8, s8, s14
	s_addc_u32 s9, s9, s15
	v_cndmask_b32_e32 v2, v5, v2, vcc
	v_ashrrev_i32_e32 v3, 31, v2
	v_lshl_add_u64 v[6:7], v[2:3], 2, s[8:9]
	v_or_b32_e32 v2, 16, v1
	v_add_u32_e32 v3, v2, v4
	v_ashrrev_i32_e32 v3, 4, v3
	v_cmp_gt_i32_e32 vcc, s29, v2
	s_load_dwordx2 s[14:15], s[0:1], 0x8
	s_nop 0
	v_cndmask_b32_e32 v2, v5, v3, vcc
	v_ashrrev_i32_e32 v3, 31, v2
	v_lshl_add_u64 v[8:9], v[2:3], 2, s[8:9]
	v_or_b32_e32 v2, 32, v1
	v_add_u32_e32 v3, v2, v4
	v_ashrrev_i32_e32 v3, 4, v3
	v_cmp_gt_i32_e32 vcc, s29, v2
	v_or_b32_e32 v1, 48, v1
	s_nop 0
	v_cndmask_b32_e32 v2, v5, v3, vcc
	v_ashrrev_i32_e32 v3, 31, v2
	v_lshl_add_u64 v[10:11], v[2:3], 2, s[8:9]
	v_add_u32_e32 v2, v1, v4
	v_ashrrev_i32_e32 v2, 4, v2
	v_cmp_gt_i32_e32 vcc, s29, v1
	s_nop 1
	v_cndmask_b32_e32 v2, v5, v2, vcc
	v_ashrrev_i32_e32 v3, 31, v2
	v_lshl_add_u64 v[12:13], v[2:3], 2, s[8:9]
	global_load_dword v5, v[6:7], off
	global_load_dword v4, v[8:9], off
	;; [unrolled: 1-line block ×4, first 2 shown]
	s_andn2_b64 vcc, exec, s[10:11]
	s_cbranch_vccnz .LBB776_8
; %bb.6:
	s_add_u32 s6, s6, s12
	s_addc_u32 s7, s7, s13
	s_load_dword s5, s[6:7], 0x0
	s_branch .LBB776_9
.LBB776_7:
	s_mov_b64 s[12:13], 0
	s_branch .LBB776_2
.LBB776_8:
	s_mov_b32 s5, s2
.LBB776_9:
	s_load_dwordx2 s[6:7], s[0:1], 0x10
	s_load_dwordx4 s[44:47], s[0:1], 0x48
	v_lshrrev_b32_e32 v29, 6, v0
	v_bfe_u32 v42, v0, 4, 2
	v_lshl_or_b32 v6, v29, 2, v42
	v_and_b32_e32 v28, 15, v0
	v_lshlrev_b32_e32 v1, 3, v28
	v_cmp_gt_u32_e32 vcc, 9, v6
	v_cmp_gt_u32_e64 s[30:31], 8, v28
	s_mul_i32 s48, s4, 9
	s_and_b64 s[12:13], s[30:31], vcc
	v_lshlrev_b32_e32 v26, 1, v1
	v_lshlrev_b32_e32 v1, 4, v0
	s_and_saveexec_b64 s[10:11], s[12:13]
	s_cbranch_execz .LBB776_11
; %bb.10:
	s_load_dwordx2 s[12:13], s[0:1], 0x0
	s_waitcnt lgkmcnt(0)
	s_ashr_i32 s18, s44, 31
	s_mul_hi_u32 s19, s5, s44
	s_mul_i32 s18, s5, s18
	s_add_i32 s19, s19, s18
	s_mul_i32 s18, s5, s44
	s_lshl_b64 s[18:19], s[18:19], 1
	s_add_u32 s12, s12, s18
	v_add_lshl_u32 v8, v6, s48, 6
	s_addc_u32 s13, s13, s19
	v_ashrrev_i32_e32 v9, 31, v8
	v_lshl_add_u64 v[8:9], v[8:9], 1, s[12:13]
	v_mov_b32_e32 v27, 0
	v_lshl_add_u64 v[8:9], v[8:9], 0, v[26:27]
	global_load_dwordx4 v[8:11], v[8:9], off
	v_lshlrev_b32_e32 v12, 8, v28
	v_lshlrev_b32_e32 v6, 5, v6
	v_and_b32_e32 v7, 16, v1
	v_and_b32_e32 v12, 0xe00, v12
	v_or3_b32 v6, v12, v6, v7
	s_waitcnt vmcnt(0)
	ds_write_b128 v6, v[8:11]
.LBB776_11:
	s_or_b64 exec, exec, s[10:11]
	s_waitcnt lgkmcnt(0)
	s_mul_i32 s10, s4, s46
	s_add_u32 s4, s14, s10
	s_addc_u32 s5, s15, 0
	v_and_b32_e32 v32, 48, v0
	v_and_b32_e32 v30, 0xf0, v1
	v_mov_b32_e32 v31, 0
	v_lshl_add_u64 v[6:7], s[4:5], 0, v[30:31]
	v_lshlrev_b32_e32 v30, 4, v32
	v_lshl_add_u64 v[6:7], v[6:7], 0, v[30:31]
	s_waitcnt vmcnt(3)
	v_mad_i64_i32 v[8:9], s[4:5], v5, s45, v[6:7]
	s_waitcnt vmcnt(2)
	v_mad_i64_i32 v[4:5], s[4:5], v4, s45, v[6:7]
	s_barrier
	global_load_dwordx4 v[22:25], v[8:9], off
	global_load_dwordx4 v[18:21], v[4:5], off
	s_waitcnt vmcnt(3)
	v_mad_i64_i32 v[4:5], s[4:5], v3, s45, v[6:7]
	s_waitcnt vmcnt(2)
	v_mad_i64_i32 v[2:3], s[4:5], v2, s45, v[6:7]
	global_load_dwordx4 v[14:17], v[4:5], off
	global_load_dwordx4 v[6:9], v[2:3], off
	v_add_u32_e32 v2, -9, v28
	v_cmp_gt_u32_e32 vcc, 9, v28
	v_and_b32_e32 v27, 63, v0
	v_mov_b32_e32 v43, 0
	v_cndmask_b32_e32 v2, v2, v28, vcc
	v_lshlrev_b32_e32 v2, 5, v2
	v_lshl_add_u32 v2, v42, 9, v2
	ds_read_b128 v[10:13], v2
	ds_read_b128 v[2:5], v2 offset:16
	s_and_saveexec_b64 s[4:5], vcc
	s_cbranch_execz .LBB776_13
; %bb.12:
	s_load_dwordx2 s[12:13], s[0:1], 0x40
	v_add_u32_e32 v34, s48, v28
	v_ashrrev_i32_e32 v35, 31, v34
	s_waitcnt lgkmcnt(0)
	v_lshl_add_u64 v[34:35], v[34:35], 2, s[12:13]
	global_load_dword v43, v[34:35], off
.LBB776_13:
	s_or_b64 exec, exec, s[4:5]
	v_or_b32_e32 v62, s16, v32
	v_ashrrev_i32_e32 v30, 4, v62
	v_mov_b32_e32 v63, s17
	v_cmp_gt_i32_e32 vcc, s29, v62
	s_waitcnt vmcnt(2)
	v_cvt_pk_f32_fp8_e32 v[52:53], v20
	v_cvt_pk_f32_fp8_sdwa v[54:55], v20 src0_sel:WORD_1
	v_cndmask_b32_e32 v20, v63, v30, vcc
	v_cvt_pk_f32_fp8_e32 v[56:57], v21
	v_cvt_pk_f32_fp8_sdwa v[58:59], v21 src0_sel:WORD_1
	v_ashrrev_i32_e32 v21, 31, v20
	v_cvt_pk_f32_fp8_e32 v[40:41], v22
	v_cvt_pk_f32_fp8_sdwa v[44:45], v22 src0_sel:WORD_1
	v_lshl_add_u64 v[20:21], v[20:21], 2, s[8:9]
	v_cvt_pk_f32_fp8_e32 v[46:47], v18
	v_cvt_pk_f32_fp8_sdwa v[48:49], v18 src0_sel:WORD_1
	global_load_dword v64, v[20:21], off
	v_cvt_pk_f32_fp8_e32 v[34:35], v23
	v_cvt_pk_f32_fp8_sdwa v[32:33], v23 src0_sel:WORD_1
	v_cvt_pkrtz_f16_f32 v20, v40, v41
	v_cvt_pkrtz_f16_f32 v21, v44, v45
	v_cvt_pk_f32_fp8_e32 v[36:37], v24
	v_cvt_pk_f32_fp8_sdwa v[38:39], v24 src0_sel:WORD_1
	v_cvt_pk_f32_fp8_e32 v[50:51], v19
	v_cvt_pk_f32_fp8_sdwa v[18:19], v19 src0_sel:WORD_1
	v_cvt_pkrtz_f16_f32 v44, v46, v47
	v_cvt_pkrtz_f16_f32 v45, v48, v49
	v_cvt_pk_f32_fp8_e32 v[22:23], v25
	s_waitcnt vmcnt(2)
	v_cvt_pk_f32_fp8_e32 v[40:41], v14
	v_cvt_pk_f32_fp8_sdwa v[46:47], v14 src0_sel:WORD_1
	v_cvt_pkrtz_f16_f32 v48, v34, v35
	v_cvt_pkrtz_f16_f32 v49, v32, v33
	v_or_b32_e32 v14, 64, v62
	v_or_b32_e32 v32, 0xc0, v62
	v_cvt_pk_f32_fp8_sdwa v[24:25], v25 src0_sel:WORD_1
	s_load_dword s11, s[0:1], 0x1c
	s_load_dwordx4 s[40:43], s[0:1], 0x80
	v_cvt_pkrtz_f16_f32 v36, v36, v37
	v_cvt_pkrtz_f16_f32 v37, v38, v39
	v_or_b32_e32 v65, 0x80, v62
	v_ashrrev_i32_e32 v62, 4, v14
	v_cmp_gt_i32_e32 vcc, s29, v32
	v_ashrrev_i32_e32 v66, 4, v32
	v_cmp_gt_i32_e64 s[4:5], s29, v14
	v_cvt_pkrtz_f16_f32 v38, v50, v51
	v_cvt_pkrtz_f16_f32 v39, v18, v19
	s_waitcnt lgkmcnt(0)
	v_mfma_f32_16x16x16_f16 v[32:35], v[20:21], v[10:11], 0
	s_add_u32 s6, s6, s10
	v_lshlrev_b32_e32 v30, 4, v28
	v_cndmask_b32_e64 v50, v63, v62, s[4:5]
	v_cvt_pkrtz_f16_f32 v62, v22, v23
	v_mfma_f32_16x16x16_f16 v[20:23], v[44:45], v[10:11], 0
	v_lshl_or_b32 v30, v29, 8, v30
	s_addc_u32 s7, s7, 0
	v_ashrrev_i32_e32 v14, 4, v65
	v_lshl_add_u64 v[18:19], s[6:7], 0, v[30:31]
	v_cmp_gt_i32_e64 s[6:7], s29, v65
	v_mfma_f32_16x16x16_f16 v[30:33], v[48:49], v[12:13], v[32:35]
	v_cndmask_b32_e32 v48, v63, v66, vcc
	s_load_dword s4, s[40:41], 0x0
	v_cvt_pk_f32_fp8_e32 v[60:61], v15
	v_cndmask_b32_e64 v34, v63, v14, s[6:7]
	v_cvt_pkrtz_f16_f32 v63, v24, v25
	v_cvt_pkrtz_f16_f32 v24, v52, v53
	;; [unrolled: 1-line block ×3, first 2 shown]
	v_mfma_f32_16x16x16_f16 v[20:23], v[38:39], v[12:13], v[20:23]
	v_cvt_pkrtz_f16_f32 v40, v40, v41
	v_cvt_pkrtz_f16_f32 v41, v46, v47
	v_ashrrev_i32_e32 v51, 31, v50
	v_mfma_f32_16x16x16_f16 v[20:23], v[24:25], v[2:3], v[20:23]
	v_mov_b32_e32 v24, s11
	s_waitcnt lgkmcnt(0)
	v_mul_f32_e32 v54, s4, v24
	v_cvt_pk_f32_fp8_sdwa v[24:25], v15 src0_sel:WORD_1
	v_mfma_f32_16x16x16_f16 v[30:33], v[36:37], v[2:3], v[30:33]
	v_ashrrev_i32_e32 v35, 31, v34
	v_ashrrev_i32_e32 v49, 31, v48
	v_lshl_add_u64 v[36:37], v[50:51], 2, s[8:9]
	v_lshl_add_u64 v[34:35], v[34:35], 2, s[8:9]
	;; [unrolled: 1-line block ×3, first 2 shown]
	global_load_dword v14, v[36:37], off
	global_load_dword v44, v[34:35], off
	;; [unrolled: 1-line block ×3, first 2 shown]
	v_cvt_pkrtz_f16_f32 v46, v60, v61
	v_cvt_pk_f32_fp8_e32 v[48:49], v16
	v_cvt_pk_f32_fp8_sdwa v[50:51], v16 src0_sel:WORD_1
	v_cvt_pkrtz_f16_f32 v47, v24, v25
	v_mfma_f32_16x16x16_f16 v[36:39], v[62:63], v[4:5], v[30:33]
	v_cvt_pkrtz_f16_f32 v24, v48, v49
	v_cvt_pkrtz_f16_f32 v25, v50, v51
	;; [unrolled: 1-line block ×3, first 2 shown]
	v_mfma_f32_16x16x16_f16 v[30:33], v[40:41], v[10:11], 0
	v_cvt_pk_f32_fp8_e32 v[40:41], v17
	v_cvt_pk_f32_fp8_sdwa v[16:17], v17 src0_sel:WORD_1
	v_cvt_pkrtz_f16_f32 v53, v58, v59
	v_mfma_f32_16x16x16_f16 v[46:49], v[46:47], v[12:13], v[30:33]
	s_mov_b32 s33, 0xff7fffff
	s_waitcnt vmcnt(3)
	v_mad_i64_i32 v[34:35], s[4:5], v64, s45, v[18:19]
	v_cvt_pkrtz_f16_f32 v32, v40, v41
	v_cvt_pkrtz_f16_f32 v33, v16, v17
	v_mfma_f32_16x16x16_f16 v[46:49], v[24:25], v[2:3], v[46:49]
	v_cvt_pk_f32_fp8_e32 v[16:17], v6
	v_cvt_pk_f32_fp8_sdwa v[24:25], v6 src0_sel:WORD_1
	v_pk_mul_f32 v[30:31], v[54:55], v[38:39] op_sel_hi:[0,1]
	v_mfma_f32_16x16x16_f16 v[46:49], v[32:33], v[4:5], v[46:49]
	v_cvt_pk_f32_fp8_e32 v[32:33], v7
	v_cvt_pkrtz_f16_f32 v16, v16, v17
	v_cvt_pkrtz_f16_f32 v17, v24, v25
	v_cvt_pk_f32_fp8_sdwa v[6:7], v7 src0_sel:WORD_1
	v_pk_mul_f32 v[38:39], v[54:55], v[36:37] op_sel_hi:[0,1]
	v_cvt_pkrtz_f16_f32 v24, v32, v33
	v_cvt_pk_f32_fp8_e32 v[32:33], v8
	v_cvt_pk_f32_fp8_sdwa v[36:37], v8 src0_sel:WORD_1
	v_cvt_pkrtz_f16_f32 v25, v6, v7
	v_mfma_f32_16x16x16_f16 v[20:23], v[52:53], v[4:5], v[20:23]
	v_mfma_f32_16x16x16_f16 v[50:53], v[16:17], v[10:11], 0
	v_cvt_pkrtz_f16_f32 v10, v32, v33
	v_cvt_pkrtz_f16_f32 v11, v36, v37
	v_cvt_pk_f32_fp8_e32 v[16:17], v9
	v_cvt_pk_f32_fp8_sdwa v[32:33], v9 src0_sel:WORD_1
	v_mfma_f32_16x16x16_f16 v[6:9], v[24:25], v[12:13], v[50:53]
	s_nop 0
	v_pk_mul_f32 v[36:37], v[54:55], v[22:23] op_sel_hi:[0,1]
	v_cvt_pkrtz_f16_f32 v12, v16, v17
	v_cvt_pkrtz_f16_f32 v13, v32, v33
	v_mfma_f32_16x16x16_f16 v[6:9], v[10:11], v[2:3], v[6:9]
	v_pk_mul_f32 v[40:41], v[54:55], v[20:21] op_sel_hi:[0,1]
	v_pk_mul_f32 v[24:25], v[54:55], v[48:49] op_sel_hi:[0,1]
	;; [unrolled: 1-line block ×3, first 2 shown]
	v_mfma_f32_16x16x16_f16 v[2:5], v[12:13], v[4:5], v[6:9]
	s_nop 6
	v_pk_mul_f32 v[22:23], v[54:55], v[2:3] op_sel_hi:[0,1]
	v_and_b32_e32 v2, 0xc0, v0
	v_add_u32_e32 v2, s16, v2
	v_lshl_or_b32 v2, v42, 2, v2
	v_or_b32_e32 v3, 1, v2
	v_pk_mul_f32 v[20:21], v[54:55], v[4:5] op_sel_hi:[0,1]
	v_subrev_u32_e32 v4, s29, v3
	v_add_u32_e32 v6, 1, v4
	v_add_u32_e32 v7, 2, v4
	;; [unrolled: 1-line block ×3, first 2 shown]
	v_cvt_f32_i32_e32 v6, v6
	v_cvt_f32_i32_e32 v7, v7
	;; [unrolled: 1-line block ×3, first 2 shown]
	v_add_u32_e32 v9, 19, v4
	v_fmac_f32_e32 v39, v43, v6
	v_fma_f32 v30, v43, v7, v30
	v_fmac_f32_e32 v31, v43, v8
	v_add_u32_e32 v6, 16, v4
	v_add_u32_e32 v7, 17, v4
	;; [unrolled: 1-line block ×3, first 2 shown]
	v_cvt_f32_i32_e32 v6, v6
	v_cvt_f32_i32_e32 v7, v7
	;; [unrolled: 1-line block ×4, first 2 shown]
	v_fma_f32 v40, v43, v6, v40
	v_fmac_f32_e32 v41, v43, v7
	v_fma_f32 v36, v43, v8, v36
	v_add_u32_e32 v6, 32, v4
	v_add_u32_e32 v7, 33, v4
	;; [unrolled: 1-line block ×3, first 2 shown]
	v_cvt_f32_i32_e32 v6, v6
	v_cvt_f32_i32_e32 v7, v7
	;; [unrolled: 1-line block ×4, first 2 shown]
	v_fmac_f32_e32 v37, v43, v9
	v_add_u32_e32 v9, 35, v4
	v_fma_f32 v32, v43, v6, v32
	v_fmac_f32_e32 v33, v43, v7
	v_fma_f32 v24, v43, v8, v24
	v_add_u32_e32 v6, 48, v4
	v_add_u32_e32 v7, 49, v4
	;; [unrolled: 1-line block ×4, first 2 shown]
	v_cvt_f32_i32_e32 v4, v4
	v_cvt_f32_i32_e32 v6, v6
	;; [unrolled: 1-line block ×3, first 2 shown]
	v_fma_f32 v5, v43, v5, v38
	v_fmac_f32_e32 v21, v43, v4
	v_mov_b32_e32 v4, 0xff7fffff
	v_cmp_gt_i32_e64 s[4:5], s29, v2
	v_cmp_gt_i32_e64 s[34:35], s29, v3
	v_fma_f32 v22, v43, v6, v22
	v_cndmask_b32_e64 v6, v4, v5, s[4:5]
	v_cndmask_b32_e64 v3, v4, v39, s[34:35]
	v_fmac_f32_e32 v23, v43, v7
	v_max3_f32 v3, v6, s33, v3
	v_or_b32_e32 v6, 2, v2
	v_or_b32_e32 v7, 3, v2
	v_cmp_gt_i32_e64 s[36:37], s29, v6
	v_cmp_gt_i32_e64 s[38:39], s29, v7
	v_cvt_f32_i32_e32 v9, v9
	v_cndmask_b32_e64 v6, v4, v30, s[36:37]
	v_cndmask_b32_e64 v7, v4, v31, s[38:39]
	v_max3_f32 v3, v3, v6, v7
	v_or_b32_e32 v6, 16, v2
	v_or_b32_e32 v7, 17, v2
	v_cmp_gt_i32_e64 s[24:25], s29, v6
	v_cmp_gt_i32_e64 s[26:27], s29, v7
	v_fmac_f32_e32 v25, v43, v9
	v_cndmask_b32_e64 v6, v4, v40, s[24:25]
	v_cndmask_b32_e64 v7, v4, v41, s[26:27]
	v_max3_f32 v3, v3, v6, v7
	v_or_b32_e32 v6, 18, v2
	v_or_b32_e32 v7, 19, v2
	v_cmp_gt_i32_e64 s[20:21], s29, v6
	v_cmp_gt_i32_e64 s[22:23], s29, v7
	v_cvt_f32_i32_e32 v8, v8
	v_cndmask_b32_e64 v6, v4, v36, s[20:21]
	v_cndmask_b32_e64 v7, v4, v37, s[22:23]
	v_max3_f32 v3, v3, v6, v7
	v_or_b32_e32 v6, 32, v2
	v_or_b32_e32 v7, 33, v2
	v_cmp_gt_i32_e64 s[16:17], s29, v6
	v_cmp_gt_i32_e64 s[18:19], s29, v7
	v_fma_f32 v20, v43, v8, v20
	v_cndmask_b32_e64 v6, v4, v32, s[16:17]
	v_cndmask_b32_e64 v7, v4, v33, s[18:19]
	v_max3_f32 v3, v3, v6, v7
	v_or_b32_e32 v6, 34, v2
	v_or_b32_e32 v7, 35, v2
	v_cmp_gt_i32_e64 s[12:13], s29, v6
	v_cmp_gt_i32_e64 s[14:15], s29, v7
	s_nop 0
	v_cndmask_b32_e64 v6, v4, v24, s[12:13]
	v_cndmask_b32_e64 v7, v4, v25, s[14:15]
	v_max3_f32 v3, v3, v6, v7
	v_or_b32_e32 v6, 48, v2
	v_or_b32_e32 v7, 49, v2
	v_cmp_gt_i32_e64 s[8:9], s29, v6
	v_cmp_gt_i32_e64 s[10:11], s29, v7
	s_nop 0
	v_cndmask_b32_e64 v6, v4, v22, s[8:9]
	v_cndmask_b32_e64 v7, v4, v23, s[10:11]
	v_max3_f32 v3, v3, v6, v7
	v_or_b32_e32 v6, 50, v2
	v_or_b32_e32 v2, 51, v2
	v_cmp_gt_i32_e32 vcc, s29, v6
	v_cmp_gt_i32_e64 s[6:7], s29, v2
	s_nop 0
	v_cndmask_b32_e32 v6, v4, v20, vcc
	v_cndmask_b32_e64 v2, v4, v21, s[6:7]
	v_max3_f32 v4, v3, v6, v2
	v_mbcnt_lo_u32_b32 v2, -1, 0
	v_mbcnt_hi_u32_b32 v6, -1, v2
	v_and_b32_e32 v2, 64, v6
	v_add_u32_e32 v7, 64, v2
	v_xor_b32_e32 v2, 32, v6
	v_cmp_lt_i32_e64 s[40:41], v2, v7
	s_nop 1
	v_cndmask_b32_e64 v2, v6, v2, s[40:41]
	v_lshlrev_b32_e32 v43, 2, v2
	ds_bpermute_b32 v8, v43, v4
	s_waitcnt vmcnt(2)
	v_mad_i64_i32 v[2:3], s[40:41], v14, s45, v[18:19]
	global_load_dwordx4 v[14:17], v[34:35], off
	global_load_dwordx4 v[10:13], v[2:3], off
	v_xor_b32_e32 v3, 16, v6
	v_cmp_lt_i32_e64 s[40:41], v3, v7
	s_waitcnt lgkmcnt(0)
	v_max_f32_e32 v2, v8, v8
	v_max_f32_e32 v2, v4, v2
	v_cndmask_b32_e64 v3, v6, v3, s[40:41]
	v_lshlrev_b32_e32 v46, 2, v3
	ds_bpermute_b32 v3, v46, v2
	s_waitcnt vmcnt(3)
	v_mad_i64_i32 v[34:35], s[40:41], v44, s45, v[18:19]
	s_waitcnt vmcnt(2)
	v_mad_i64_i32 v[18:19], s[40:41], v45, s45, v[18:19]
	s_waitcnt lgkmcnt(0)
	v_max_f32_e32 v3, v3, v3
	v_max_f32_e32 v38, v2, v3
	v_sub_f32_e32 v2, v5, v38
	v_mul_f32_e32 v2, 0x3fb8aa3b, v2
	v_exp_f32_e32 v44, v2
	v_sub_f32_e32 v2, v39, v38
	v_mul_f32_e32 v2, 0x3fb8aa3b, v2
	v_exp_f32_e32 v39, v2
	global_load_dwordx4 v[6:9], v[34:35], off
	global_load_dwordx4 v[2:5], v[18:19], off
	v_sub_f32_e32 v30, v30, v38
	v_mul_f32_e32 v30, 0x3fb8aa3b, v30
	v_sub_f32_e32 v31, v31, v38
	v_exp_f32_e32 v30, v30
	v_mul_f32_e32 v31, 0x3fb8aa3b, v31
	v_exp_f32_e32 v31, v31
	v_cndmask_b32_e64 v18, 0, v44, s[4:5]
	v_add_f32_e32 v34, 0, v18
	v_cndmask_b32_e64 v19, 0, v39, s[34:35]
	v_add_f32_e32 v35, v34, v19
	;; [unrolled: 2-line block ×3, first 2 shown]
	v_cndmask_b32_e64 v35, 0, v31, s[38:39]
	v_sub_f32_e32 v31, v40, v38
	v_mul_f32_e32 v31, 0x3fb8aa3b, v31
	v_sub_f32_e32 v39, v41, v38
	v_exp_f32_e32 v31, v31
	v_mul_f32_e32 v39, 0x3fb8aa3b, v39
	v_sub_f32_e32 v36, v36, v38
	v_exp_f32_e32 v39, v39
	;; [unrolled: 3-line block ×4, first 2 shown]
	v_mul_f32_e32 v32, 0x3fb8aa3b, v32
	v_sub_f32_e32 v33, v33, v38
	v_add_f32_e32 v40, v30, v35
	v_cndmask_b32_e64 v30, 0, v31, s[24:25]
	v_exp_f32_e32 v32, v32
	v_mul_f32_e32 v33, 0x3fb8aa3b, v33
	v_sub_f32_e32 v24, v24, v38
	v_add_f32_e32 v40, v40, v30
	v_cndmask_b32_e64 v31, 0, v39, s[26:27]
	v_exp_f32_e32 v33, v33
	;; [unrolled: 5-line block ×7, first 2 shown]
	v_mul_f32_e32 v21, 0x3fb8aa3b, v21
	v_add_f32_e32 v39, v39, v24
	v_cndmask_b32_e64 v25, 0, v25, s[14:15]
	v_exp_f32_e32 v21, v21
	v_add_f32_e32 v39, v39, v25
	v_cndmask_b32_e64 v22, 0, v22, s[8:9]
	v_add_f32_e32 v39, v39, v22
	v_cndmask_b32_e64 v23, 0, v23, s[10:11]
	v_add_f32_e32 v39, v39, v23
	v_cndmask_b32_e32 v20, 0, v20, vcc
	v_add_f32_e32 v39, v39, v20
	v_cndmask_b32_e64 v21, 0, v21, s[6:7]
	v_add_f32_e32 v39, v39, v21
	ds_bpermute_b32 v40, v43, v39
	s_load_dword s9, s[0:1], 0x98
	v_cmp_gt_u32_e64 s[6:7], 16, v27
	s_waitcnt lgkmcnt(0)
	s_barrier
	v_add_f32_e32 v40, v39, v40
	ds_bpermute_b32 v41, v46, v40
	v_lshlrev_b32_e32 v39, 2, v28
	s_waitcnt lgkmcnt(0)
	s_and_saveexec_b64 s[4:5], s[6:7]
	s_cbranch_execz .LBB776_15
; %bb.14:
	v_add_f32_e32 v27, v40, v41
	v_lshl_or_b32 v40, v29, 6, v39
	ds_write2st64_b32 v40, v38, v27 offset1:1
.LBB776_15:
	s_or_b64 exec, exec, s[4:5]
	s_load_dword s8, s[0:1], 0x94
	s_waitcnt lgkmcnt(0)
	s_barrier
	ds_read2_b32 v[40:41], v39 offset1:16
	ds_read2_b32 v[44:45], v39 offset0:32 offset1:48
	ds_read2_b32 v[46:47], v39 offset0:64 offset1:80
	s_mul_i32 s9, s9, 9
	s_waitcnt lgkmcnt(2)
	v_max3_f32 v27, v40, s33, v41
	s_waitcnt lgkmcnt(1)
	v_max3_f32 v27, v27, v44, v45
	v_sub_f32_e32 v38, v40, v27
	v_mul_f32_e32 v38, 0x3fb8aa3b, v38
	v_exp_f32_e32 v43, v38
	v_sub_f32_e32 v38, v41, v27
	v_mul_f32_e32 v38, 0x3fb8aa3b, v38
	v_exp_f32_e32 v48, v38
	;; [unrolled: 3-line block ×3, first 2 shown]
	ds_read2_b32 v[40:41], v39 offset0:96 offset1:112
	v_sub_f32_e32 v38, v45, v27
	v_mul_f32_e32 v38, 0x3fb8aa3b, v38
	v_exp_f32_e32 v39, v38
	s_waitcnt lgkmcnt(1)
	v_fma_f32 v38, v43, v46, 0
	v_fmac_f32_e32 v38, v48, v47
	s_waitcnt lgkmcnt(0)
	v_fmac_f32_e32 v38, v44, v40
	v_fmac_f32_e32 v38, v39, v41
	v_add_f32_e32 v40, 0x358637bd, v38
	v_div_scale_f32 v41, s[4:5], v40, v40, 1.0
	v_rcp_f32_e32 v45, v41
	s_barrier
	v_fma_f32 v46, -v41, v45, 1.0
	v_fmac_f32_e32 v45, v46, v45
	v_div_scale_f32 v46, vcc, 1.0, v40, 1.0
	v_mul_f32_e32 v47, v46, v45
	v_fma_f32 v49, -v41, v47, v46
	v_fmac_f32_e32 v47, v49, v45
	v_fma_f32 v41, -v41, v47, v46
	v_div_fmas_f32 v41, v41, v45, v47
	v_cmp_eq_u32_e32 vcc, 1, v29
	v_div_fixup_f32 v40, v41, v40, 1.0
	s_nop 0
	v_cndmask_b32_e32 v41, v43, v48, vcc
	v_cmp_eq_u32_e32 vcc, 2, v29
	s_nop 1
	v_cndmask_b32_e32 v41, v41, v44, vcc
	v_cmp_eq_u32_e32 vcc, 3, v29
	v_lshlrev_b32_e32 v29, 11, v29
	s_nop 0
	v_cndmask_b32_e32 v39, v41, v39, vcc
	v_mul_f32_e32 v40, v39, v40
	v_pk_mul_f32 v[18:19], v[40:41], v[18:19] op_sel_hi:[0,1]
	v_pk_mul_f32 v[34:35], v[40:41], v[34:35] op_sel_hi:[0,1]
	v_cvt_f16_f32_e32 v18, v18
	v_cvt_f16_f32_e32 v19, v19
	v_pk_mul_f32 v[36:37], v[40:41], v[36:37] op_sel_hi:[0,1]
	v_pk_mul_f32 v[30:31], v[40:41], v[30:31] op_sel_hi:[0,1]
	v_cvt_f16_f32_e32 v39, v34
	v_cvt_f16_f32_e32 v35, v35
	;; [unrolled: 1-line block ×6, first 2 shown]
	v_pack_b32_f16 v34, v18, v19
	v_lshlrev_b32_e32 v18, 3, v42
	v_lshlrev_b32_e32 v19, 5, v28
	v_pack_b32_f16 v35, v39, v35
	v_or3_b32 v18, v29, v19, v18
	v_pack_b32_f16 v30, v30, v31
	v_pack_b32_f16 v31, v36, v37
	ds_write2st64_b64 v18, v[34:35], v[30:31] offset1:1
	v_pk_mul_f32 v[24:25], v[40:41], v[24:25] op_sel_hi:[0,1]
	v_pk_mul_f32 v[30:31], v[40:41], v[32:33] op_sel_hi:[0,1]
	;; [unrolled: 1-line block ×4, first 2 shown]
	v_cvt_f16_f32_e32 v29, v30
	v_cvt_f16_f32_e32 v30, v31
	;; [unrolled: 1-line block ×8, first 2 shown]
	v_pack_b32_f16 v20, v29, v30
	v_pack_b32_f16 v21, v24, v25
	;; [unrolled: 1-line block ×4, first 2 shown]
	v_cmp_gt_u32_e32 vcc, 9, v0
	ds_write2st64_b64 v18, v[20:21], v[22:23] offset0:2 offset1:3
	s_and_saveexec_b64 s[4:5], vcc
	s_cbranch_execz .LBB776_17
; %bb.16:
	s_mov_b32 s49, 0
	v_mov_b32_e32 v29, 0
	v_lshl_add_u64 v[20:21], s[48:49], 0, v[28:29]
	v_mov_b32_e32 v22, s9
	v_mad_u64_u32 v[20:21], s[10:11], s2, v22, v[20:21]
	s_mul_i32 s3, s3, s9
	v_mov_b32_e32 v28, s28
	s_load_dwordx4 s[12:15], s[0:1], 0x58
	v_add_u32_e32 v23, s3, v21
	v_mad_u64_u32 v[20:21], s[10:11], v20, s8, v[28:29]
	v_mov_b32_e32 v22, v21
	v_mad_u64_u32 v[22:23], s[10:11], v23, s8, v[22:23]
	v_mov_b32_e32 v21, v22
	v_lshlrev_b64 v[20:21], 2, v[20:21]
	s_waitcnt lgkmcnt(0)
	v_lshl_add_u64 v[22:23], s[14:15], 0, v[20:21]
	v_lshl_add_u64 v[20:21], s[12:13], 0, v[20:21]
	global_store_dword v[22:23], v27, off
	global_store_dword v[20:21], v38, off
.LBB776_17:
	s_or_b64 exec, exec, s[4:5]
	s_waitcnt vmcnt(3)
	v_cvt_pk_f32_fp8_e32 v[20:21], v14
	v_cvt_pk_f32_fp8_sdwa v[22:23], v14 src0_sel:WORD_1
	v_lshl_or_b32 v14, v42, 9, v19
	s_waitcnt lgkmcnt(0)
	s_barrier
	v_cvt_pk_f32_fp8_e32 v[24:25], v15
	v_cvt_pkrtz_f16_f32 v32, v20, v21
	v_cvt_pkrtz_f16_f32 v33, v22, v23
	v_cvt_pk_f32_fp8_sdwa v[28:29], v15 src0_sel:WORD_1
	ds_read_b128 v[20:23], v14
	v_cvt_pkrtz_f16_f32 v24, v24, v25
	v_cvt_pk_f32_fp8_e32 v[36:37], v16
	v_cvt_pkrtz_f16_f32 v25, v28, v29
	ds_read_b128 v[28:31], v14 offset:16
	v_cvt_pk_f32_fp8_sdwa v[38:39], v16 src0_sel:WORD_1
	s_waitcnt lgkmcnt(1)
	v_mfma_f32_16x16x16_f16 v[32:35], v[32:33], v[20:21], 0
	v_cvt_pkrtz_f16_f32 v36, v36, v37
	s_load_dword s4, s[42:43], 0x0
	v_cvt_pkrtz_f16_f32 v37, v38, v39
	v_cvt_pk_f32_fp8_e32 v[38:39], v17
	v_cvt_pk_f32_fp8_sdwa v[16:17], v17 src0_sel:WORD_1
	v_mfma_f32_16x16x16_f16 v[20:23], v[24:25], v[22:23], v[32:35]
	v_cmp_gt_u32_e32 vcc, 64, v0
	v_cvt_pkrtz_f16_f32 v24, v38, v39
	v_cvt_pkrtz_f16_f32 v25, v16, v17
	s_waitcnt lgkmcnt(0)
	v_mfma_f32_16x16x16_f16 v[20:23], v[36:37], v[28:29], v[20:23]
	s_waitcnt vmcnt(2)
	v_cvt_pk_f32_fp8_e32 v[16:17], v10
	v_cvt_pk_f32_fp8_e32 v[28:29], v11
	v_cvt_pk_f32_fp8_sdwa v[36:37], v12 src0_sel:WORD_1
	v_mfma_f32_16x16x16_f16 v[20:23], v[24:25], v[30:31], v[20:23]
	v_cvt_pk_f32_fp8_sdwa v[24:25], v10 src0_sel:WORD_1
	v_cvt_pkrtz_f16_f32 v10, v16, v17
	v_cvt_pk_f32_fp8_sdwa v[16:17], v11 src0_sel:WORD_1
	ds_read_b128 v[32:35], v14 offset:2064
	v_cvt_pkrtz_f16_f32 v11, v24, v25
	v_cvt_pkrtz_f16_f32 v24, v28, v29
	ds_read_b128 v[28:31], v14 offset:2048
	v_cvt_pkrtz_f16_f32 v25, v16, v17
	v_cvt_pk_f32_fp8_e32 v[16:17], v12
	s_waitcnt lgkmcnt(0)
	v_mfma_f32_16x16x16_f16 v[20:23], v[10:11], v[28:29], v[20:23]
	v_cvt_pkrtz_f16_f32 v10, v16, v17
	v_cvt_pkrtz_f16_f32 v11, v36, v37
	v_cvt_pk_f32_fp8_e32 v[16:17], v13
	v_mfma_f32_16x16x16_f16 v[20:23], v[24:25], v[30:31], v[20:23]
	v_cvt_pk_f32_fp8_sdwa v[24:25], v13 src0_sel:WORD_1
	ds_read_b128 v[28:31], v14 offset:4112
	v_cvt_pkrtz_f16_f32 v16, v16, v17
	v_mfma_f32_16x16x16_f16 v[10:13], v[10:11], v[32:33], v[20:23]
	v_cvt_pkrtz_f16_f32 v17, v24, v25
	s_waitcnt vmcnt(1)
	v_cvt_pk_f32_fp8_sdwa v[24:25], v7 src0_sel:WORD_1
	v_cvt_pk_f32_fp8_sdwa v[32:33], v8 src0_sel:WORD_1
	v_cvt_pk_f32_fp8_e32 v[20:21], v6
	v_mfma_f32_16x16x16_f16 v[10:13], v[16:17], v[34:35], v[10:13]
	v_cvt_pk_f32_fp8_sdwa v[16:17], v6 src0_sel:WORD_1
	v_cvt_pk_f32_fp8_e32 v[22:23], v7
	v_cvt_pkrtz_f16_f32 v6, v20, v21
	s_mov_b32 s3, 0
	v_cvt_pkrtz_f16_f32 v7, v16, v17
	v_cvt_pkrtz_f16_f32 v16, v22, v23
	ds_read_b128 v[20:23], v14 offset:4096
	v_cvt_pkrtz_f16_f32 v17, v24, v25
	v_cvt_pk_f32_fp8_e32 v[24:25], v8
	s_waitcnt lgkmcnt(0)
	v_mfma_f32_16x16x16_f16 v[10:13], v[6:7], v[20:21], v[10:13]
	v_cvt_pkrtz_f16_f32 v6, v24, v25
	v_cvt_pkrtz_f16_f32 v7, v32, v33
	v_cvt_pk_f32_fp8_e32 v[20:21], v9
	v_mfma_f32_16x16x16_f16 v[10:13], v[16:17], v[22:23], v[10:13]
	v_cvt_pk_f32_fp8_sdwa v[16:17], v9 src0_sel:WORD_1
	s_waitcnt vmcnt(0)
	v_cvt_pk_f32_fp8_sdwa v[24:25], v4 src0_sel:WORD_1
	v_cvt_pkrtz_f16_f32 v20, v20, v21
	v_mfma_f32_16x16x16_f16 v[6:9], v[6:7], v[28:29], v[10:13]
	v_cvt_pkrtz_f16_f32 v21, v16, v17
	v_cvt_pk_f32_fp8_e32 v[16:17], v3
	v_mov_b32_e32 v27, 0
	v_cvt_pk_f32_fp8_e32 v[10:11], v2
	v_cvt_pk_f32_fp8_sdwa v[12:13], v2 src0_sel:WORD_1
	v_mfma_f32_16x16x16_f16 v[6:9], v[20:21], v[30:31], v[6:9]
	v_cvt_pk_f32_fp8_sdwa v[20:21], v3 src0_sel:WORD_1
	v_cvt_pkrtz_f16_f32 v2, v10, v11
	v_cvt_pkrtz_f16_f32 v3, v12, v13
	ds_read_b128 v[10:13], v14 offset:6144
	v_cvt_pkrtz_f16_f32 v22, v16, v17
	v_cvt_pkrtz_f16_f32 v23, v20, v21
	v_cvt_pk_f32_fp8_e32 v[20:21], v4
	s_waitcnt lgkmcnt(0)
	v_mfma_f32_16x16x16_f16 v[6:9], v[2:3], v[10:11], v[6:9]
	ds_read_b128 v[14:17], v14 offset:6160
	v_cvt_pkrtz_f16_f32 v2, v20, v21
	v_cvt_pkrtz_f16_f32 v3, v24, v25
	v_cvt_pk_f32_fp8_e32 v[10:11], v5
	v_mfma_f32_16x16x16_f16 v[6:9], v[22:23], v[12:13], v[6:9]
	v_cvt_pk_f32_fp8_sdwa v[12:13], v5 src0_sel:WORD_1
	s_waitcnt lgkmcnt(0)
	v_cvt_pkrtz_f16_f32 v10, v10, v11
	v_mfma_f32_16x16x16_f16 v[2:5], v[2:3], v[14:15], v[6:9]
	v_cvt_pkrtz_f16_f32 v11, v12, v13
	s_barrier
	s_nop 0
	v_mfma_f32_16x16x16_f16 v[2:5], v[10:11], v[16:17], v[2:5]
	s_nop 6
	v_pk_mul_f32 v[4:5], v[4:5], s[4:5] op_sel_hi:[1,0]
	v_pk_mul_f32 v[2:3], v[2:3], s[4:5] op_sel_hi:[1,0]
	v_cvt_f16_f32_e32 v4, v4
	v_cvt_f16_f32_e32 v2, v2
	;; [unrolled: 1-line block ×4, first 2 shown]
	s_and_b64 s[4:5], vcc, s[30:31]
	v_pack_b32_f16 v2, v2, v3
	v_pack_b32_f16 v3, v4, v5
	ds_write_b64 v18, v[2:3]
	s_waitcnt lgkmcnt(0)
	s_barrier
	s_and_saveexec_b64 s[10:11], s[4:5]
	s_cbranch_execz .LBB776_20
; %bb.18:
	s_load_dwordx2 s[4:5], s[0:1], 0x68
	s_lshl_b32 s0, s8, 6
	s_mul_i32 s1, s9, s2
	s_mul_hi_u32 s9, s1, s0
	s_mul_i32 s8, s1, s0
	v_lshlrev_b32_e32 v0, 10, v0
	s_lshl_b64 s[8:9], s[8:9], 1
	v_and_b32_e32 v0, 0x1800, v0
	v_lshlrev_b32_e32 v2, 5, v42
	v_and_b32_e32 v1, 16, v1
	s_waitcnt lgkmcnt(0)
	s_add_u32 s1, s4, s8
	v_or3_b32 v2, v0, v2, v1
	s_addc_u32 s4, s5, s9
	s_lshl_b32 s2, s28, 6
	s_lshl_b64 s[2:3], s[2:3], 1
	ds_read_b128 v[4:7], v2 offset:128
	ds_read_b128 v[8:11], v2
	s_add_u32 s2, s1, s2
	s_addc_u32 s3, s4, s3
	v_add_u32_e32 v3, s48, v42
	v_lshl_add_u64 v[0:1], s[2:3], 0, v[26:27]
	v_mad_u64_u32 v[12:13], s[2:3], v3, s0, 0
	v_lshl_add_u64 v[12:13], v[12:13], 1, v[0:1]
	v_add_u32_e32 v3, 4, v3
	s_waitcnt lgkmcnt(0)
	global_store_dwordx4 v[12:13], v[8:11], off
	s_nop 1
	v_mad_u64_u32 v[8:9], s[2:3], v3, s0, 0
	v_lshl_add_u64 v[8:9], v[8:9], 1, v[0:1]
	global_store_dwordx4 v[8:9], v[4:7], off
	s_and_b64 exec, exec, s[6:7]
	s_cbranch_execz .LBB776_20
; %bb.19:
	ds_read_b128 v[2:5], v2 offset:256
	v_add3_u32 v6, s48, v42, 8
	v_mad_u64_u32 v[6:7], s[0:1], v6, s0, 0
	v_lshl_add_u64 v[0:1], v[6:7], 1, v[0:1]
	s_waitcnt lgkmcnt(0)
	global_store_dwordx4 v[0:1], v[2:5], off
.LBB776_20:
	s_endpgm
	.section	.rodata,"a",@progbits
	.p2align	6, 0x0
	.amdhsa_kernel _Z39paged_attention_ll4mi_QKV_mfma16_kernelIDF16_hLN4vllm18Fp8KVCacheDataTypeE1EhLi16ELi64ELi256ELb1ELi9EEvPKT_PKT0_S7_ifPKiS9_S9_iPKfiiiPfSC_PS2_PT2_iSB_SB_
		.amdhsa_group_segment_fixed_size 8192
		.amdhsa_private_segment_fixed_size 0
		.amdhsa_kernarg_size 400
		.amdhsa_user_sgpr_count 2
		.amdhsa_user_sgpr_dispatch_ptr 0
		.amdhsa_user_sgpr_queue_ptr 0
		.amdhsa_user_sgpr_kernarg_segment_ptr 1
		.amdhsa_user_sgpr_dispatch_id 0
		.amdhsa_user_sgpr_kernarg_preload_length 0
		.amdhsa_user_sgpr_kernarg_preload_offset 0
		.amdhsa_user_sgpr_private_segment_size 0
		.amdhsa_uses_dynamic_stack 0
		.amdhsa_enable_private_segment 0
		.amdhsa_system_sgpr_workgroup_id_x 1
		.amdhsa_system_sgpr_workgroup_id_y 1
		.amdhsa_system_sgpr_workgroup_id_z 1
		.amdhsa_system_sgpr_workgroup_info 0
		.amdhsa_system_vgpr_workitem_id 0
		.amdhsa_next_free_vgpr 67
		.amdhsa_next_free_sgpr 50
		.amdhsa_accum_offset 68
		.amdhsa_reserve_vcc 1
		.amdhsa_float_round_mode_32 0
		.amdhsa_float_round_mode_16_64 0
		.amdhsa_float_denorm_mode_32 3
		.amdhsa_float_denorm_mode_16_64 3
		.amdhsa_dx10_clamp 1
		.amdhsa_ieee_mode 1
		.amdhsa_fp16_overflow 0
		.amdhsa_tg_split 0
		.amdhsa_exception_fp_ieee_invalid_op 0
		.amdhsa_exception_fp_denorm_src 0
		.amdhsa_exception_fp_ieee_div_zero 0
		.amdhsa_exception_fp_ieee_overflow 0
		.amdhsa_exception_fp_ieee_underflow 0
		.amdhsa_exception_fp_ieee_inexact 0
		.amdhsa_exception_int_div_zero 0
	.end_amdhsa_kernel
	.section	.text._Z39paged_attention_ll4mi_QKV_mfma16_kernelIDF16_hLN4vllm18Fp8KVCacheDataTypeE1EhLi16ELi64ELi256ELb1ELi9EEvPKT_PKT0_S7_ifPKiS9_S9_iPKfiiiPfSC_PS2_PT2_iSB_SB_,"axG",@progbits,_Z39paged_attention_ll4mi_QKV_mfma16_kernelIDF16_hLN4vllm18Fp8KVCacheDataTypeE1EhLi16ELi64ELi256ELb1ELi9EEvPKT_PKT0_S7_ifPKiS9_S9_iPKfiiiPfSC_PS2_PT2_iSB_SB_,comdat
.Lfunc_end776:
	.size	_Z39paged_attention_ll4mi_QKV_mfma16_kernelIDF16_hLN4vllm18Fp8KVCacheDataTypeE1EhLi16ELi64ELi256ELb1ELi9EEvPKT_PKT0_S7_ifPKiS9_S9_iPKfiiiPfSC_PS2_PT2_iSB_SB_, .Lfunc_end776-_Z39paged_attention_ll4mi_QKV_mfma16_kernelIDF16_hLN4vllm18Fp8KVCacheDataTypeE1EhLi16ELi64ELi256ELb1ELi9EEvPKT_PKT0_S7_ifPKiS9_S9_iPKfiiiPfSC_PS2_PT2_iSB_SB_
                                        ; -- End function
	.section	.AMDGPU.csdata,"",@progbits
; Kernel info:
; codeLenInByte = 4868
; NumSgprs: 56
; NumVgprs: 67
; NumAgprs: 0
; TotalNumVgprs: 67
; ScratchSize: 0
; MemoryBound: 0
; FloatMode: 240
; IeeeMode: 1
; LDSByteSize: 8192 bytes/workgroup (compile time only)
; SGPRBlocks: 6
; VGPRBlocks: 8
; NumSGPRsForWavesPerEU: 56
; NumVGPRsForWavesPerEU: 67
; AccumOffset: 68
; Occupancy: 7
; WaveLimiterHint : 1
; COMPUTE_PGM_RSRC2:SCRATCH_EN: 0
; COMPUTE_PGM_RSRC2:USER_SGPR: 2
; COMPUTE_PGM_RSRC2:TRAP_HANDLER: 0
; COMPUTE_PGM_RSRC2:TGID_X_EN: 1
; COMPUTE_PGM_RSRC2:TGID_Y_EN: 1
; COMPUTE_PGM_RSRC2:TGID_Z_EN: 1
; COMPUTE_PGM_RSRC2:TIDIG_COMP_CNT: 0
; COMPUTE_PGM_RSRC3_GFX90A:ACCUM_OFFSET: 16
; COMPUTE_PGM_RSRC3_GFX90A:TG_SPLIT: 0
	.section	.text._Z39paged_attention_ll4mi_QKV_mfma16_kernelIDF16_hLN4vllm18Fp8KVCacheDataTypeE1EhLi16ELi64ELi256ELb1ELi10EEvPKT_PKT0_S7_ifPKiS9_S9_iPKfiiiPfSC_PS2_PT2_iSB_SB_,"axG",@progbits,_Z39paged_attention_ll4mi_QKV_mfma16_kernelIDF16_hLN4vllm18Fp8KVCacheDataTypeE1EhLi16ELi64ELi256ELb1ELi10EEvPKT_PKT0_S7_ifPKiS9_S9_iPKfiiiPfSC_PS2_PT2_iSB_SB_,comdat
	.protected	_Z39paged_attention_ll4mi_QKV_mfma16_kernelIDF16_hLN4vllm18Fp8KVCacheDataTypeE1EhLi16ELi64ELi256ELb1ELi10EEvPKT_PKT0_S7_ifPKiS9_S9_iPKfiiiPfSC_PS2_PT2_iSB_SB_ ; -- Begin function _Z39paged_attention_ll4mi_QKV_mfma16_kernelIDF16_hLN4vllm18Fp8KVCacheDataTypeE1EhLi16ELi64ELi256ELb1ELi10EEvPKT_PKT0_S7_ifPKiS9_S9_iPKfiiiPfSC_PS2_PT2_iSB_SB_
	.globl	_Z39paged_attention_ll4mi_QKV_mfma16_kernelIDF16_hLN4vllm18Fp8KVCacheDataTypeE1EhLi16ELi64ELi256ELb1ELi10EEvPKT_PKT0_S7_ifPKiS9_S9_iPKfiiiPfSC_PS2_PT2_iSB_SB_
	.p2align	8
	.type	_Z39paged_attention_ll4mi_QKV_mfma16_kernelIDF16_hLN4vllm18Fp8KVCacheDataTypeE1EhLi16ELi64ELi256ELb1ELi10EEvPKT_PKT0_S7_ifPKiS9_S9_iPKfiiiPfSC_PS2_PT2_iSB_SB_,@function
_Z39paged_attention_ll4mi_QKV_mfma16_kernelIDF16_hLN4vllm18Fp8KVCacheDataTypeE1EhLi16ELi64ELi256ELb1ELi10EEvPKT_PKT0_S7_ifPKiS9_S9_iPKfiiiPfSC_PS2_PT2_iSB_SB_: ; @_Z39paged_attention_ll4mi_QKV_mfma16_kernelIDF16_hLN4vllm18Fp8KVCacheDataTypeE1EhLi16ELi64ELi256ELb1ELi10EEvPKT_PKT0_S7_ifPKiS9_S9_iPKfiiiPfSC_PS2_PT2_iSB_SB_
; %bb.0:
	s_load_dwordx2 s[6:7], s[0:1], 0x30
	s_mov_b32 s28, s3
	s_mov_b64 s[8:9], 0
	s_waitcnt lgkmcnt(0)
	s_cmp_lg_u64 s[6:7], 0
	s_cselect_b64 s[10:11], -1, 0
	s_and_b64 vcc, exec, s[10:11]
	s_cbranch_vccz .LBB777_7
; %bb.1:
	s_add_i32 s12, s2, 1
	s_mov_b32 s13, 0
	s_lshl_b64 s[14:15], s[12:13], 2
	s_add_u32 s14, s6, s14
	s_mov_b32 s3, s13
	s_addc_u32 s15, s7, s15
	s_lshl_b64 s[12:13], s[2:3], 2
	s_add_u32 s12, s6, s12
	s_addc_u32 s13, s7, s13
	s_load_dword s5, s[14:15], 0x0
	s_load_dword s16, s[12:13], 0x0
	s_waitcnt lgkmcnt(0)
	s_sub_i32 s5, s5, s16
	s_cmp_eq_u32 s5, 1
	s_cselect_b64 s[12:13], -1, 0
	s_andn2_b64 vcc, exec, s[8:9]
	s_cbranch_vccnz .LBB777_3
.LBB777_2:
	s_mov_b32 s3, 0
	s_mov_b64 s[12:13], -1
.LBB777_3:
	s_andn2_b64 vcc, exec, s[12:13]
	s_cbranch_vccnz .LBB777_20
; %bb.4:
	s_load_dwordx2 s[8:9], s[0:1], 0x28
	s_lshl_b64 s[12:13], s[2:3], 2
	s_waitcnt lgkmcnt(0)
	s_add_u32 s8, s8, s12
	s_addc_u32 s9, s9, s13
	s_load_dword s29, s[8:9], 0x0
	s_lshl_b32 s16, s28, 8
	s_waitcnt lgkmcnt(0)
	s_cmp_ge_i32 s16, s29
	s_cbranch_scc1 .LBB777_20
; %bb.5:
	s_load_dwordx2 s[8:9], s[0:1], 0x20
	s_load_dword s5, s[0:1], 0x38
	s_add_i32 s14, s29, 15
	s_ashr_i32 s15, s14, 31
	v_and_b32_e32 v1, 0xcf, v0
	s_lshr_b32 s15, s15, 28
	v_add_u32_e32 v1, s16, v1
	s_add_i32 s14, s14, s15
	v_ashrrev_i32_e32 v2, 31, v1
	s_ashr_i32 s17, s14, 4
	v_lshrrev_b32_e32 v4, 28, v2
	s_add_i32 s17, s17, -1
	s_waitcnt lgkmcnt(0)
	s_mul_i32 s14, s2, s5
	s_mov_b32 s15, 0
	v_add_u32_e32 v2, v1, v4
	s_lshl_b64 s[14:15], s[14:15], 2
	v_ashrrev_i32_e32 v2, 4, v2
	v_mov_b32_e32 v5, s17
	v_cmp_gt_i32_e32 vcc, s29, v1
	s_add_u32 s8, s8, s14
	s_addc_u32 s9, s9, s15
	v_cndmask_b32_e32 v2, v5, v2, vcc
	v_ashrrev_i32_e32 v3, 31, v2
	v_lshl_add_u64 v[6:7], v[2:3], 2, s[8:9]
	v_or_b32_e32 v2, 16, v1
	v_add_u32_e32 v3, v2, v4
	v_ashrrev_i32_e32 v3, 4, v3
	v_cmp_gt_i32_e32 vcc, s29, v2
	s_load_dwordx2 s[14:15], s[0:1], 0x8
	s_nop 0
	v_cndmask_b32_e32 v2, v5, v3, vcc
	v_ashrrev_i32_e32 v3, 31, v2
	v_lshl_add_u64 v[8:9], v[2:3], 2, s[8:9]
	v_or_b32_e32 v2, 32, v1
	v_add_u32_e32 v3, v2, v4
	v_ashrrev_i32_e32 v3, 4, v3
	v_cmp_gt_i32_e32 vcc, s29, v2
	v_or_b32_e32 v1, 48, v1
	s_nop 0
	v_cndmask_b32_e32 v2, v5, v3, vcc
	v_ashrrev_i32_e32 v3, 31, v2
	v_lshl_add_u64 v[10:11], v[2:3], 2, s[8:9]
	v_add_u32_e32 v2, v1, v4
	v_ashrrev_i32_e32 v2, 4, v2
	v_cmp_gt_i32_e32 vcc, s29, v1
	s_nop 1
	v_cndmask_b32_e32 v2, v5, v2, vcc
	v_ashrrev_i32_e32 v3, 31, v2
	v_lshl_add_u64 v[12:13], v[2:3], 2, s[8:9]
	global_load_dword v5, v[6:7], off
	global_load_dword v4, v[8:9], off
	global_load_dword v3, v[10:11], off
	global_load_dword v2, v[12:13], off
	s_andn2_b64 vcc, exec, s[10:11]
	s_cbranch_vccnz .LBB777_8
; %bb.6:
	s_add_u32 s6, s6, s12
	s_addc_u32 s7, s7, s13
	s_load_dword s5, s[6:7], 0x0
	s_branch .LBB777_9
.LBB777_7:
	s_mov_b64 s[12:13], 0
	s_branch .LBB777_2
.LBB777_8:
	s_mov_b32 s5, s2
.LBB777_9:
	s_load_dwordx2 s[6:7], s[0:1], 0x10
	s_load_dwordx4 s[44:47], s[0:1], 0x48
	v_lshrrev_b32_e32 v29, 6, v0
	v_bfe_u32 v42, v0, 4, 2
	v_lshl_or_b32 v6, v29, 2, v42
	v_and_b32_e32 v28, 15, v0
	v_lshlrev_b32_e32 v1, 3, v28
	v_cmp_gt_u32_e32 vcc, 10, v6
	v_cmp_gt_u32_e64 s[30:31], 8, v28
	s_mul_i32 s48, s4, 10
	s_and_b64 s[12:13], s[30:31], vcc
	v_lshlrev_b32_e32 v26, 1, v1
	v_lshlrev_b32_e32 v1, 4, v0
	s_and_saveexec_b64 s[10:11], s[12:13]
	s_cbranch_execz .LBB777_11
; %bb.10:
	s_load_dwordx2 s[12:13], s[0:1], 0x0
	s_waitcnt lgkmcnt(0)
	s_ashr_i32 s18, s44, 31
	s_mul_hi_u32 s19, s5, s44
	s_mul_i32 s18, s5, s18
	s_add_i32 s19, s19, s18
	s_mul_i32 s18, s5, s44
	s_lshl_b64 s[18:19], s[18:19], 1
	s_add_u32 s12, s12, s18
	v_add_lshl_u32 v8, v6, s48, 6
	s_addc_u32 s13, s13, s19
	v_ashrrev_i32_e32 v9, 31, v8
	v_lshl_add_u64 v[8:9], v[8:9], 1, s[12:13]
	v_mov_b32_e32 v27, 0
	v_lshl_add_u64 v[8:9], v[8:9], 0, v[26:27]
	global_load_dwordx4 v[8:11], v[8:9], off
	v_lshlrev_b32_e32 v12, 8, v28
	v_lshlrev_b32_e32 v6, 5, v6
	v_and_b32_e32 v7, 16, v1
	v_and_b32_e32 v12, 0xe00, v12
	v_or3_b32 v6, v12, v6, v7
	s_waitcnt vmcnt(0)
	ds_write_b128 v6, v[8:11]
.LBB777_11:
	s_or_b64 exec, exec, s[10:11]
	s_waitcnt lgkmcnt(0)
	s_mul_i32 s10, s4, s46
	s_add_u32 s4, s14, s10
	s_addc_u32 s5, s15, 0
	v_and_b32_e32 v32, 48, v0
	v_and_b32_e32 v30, 0xf0, v1
	v_mov_b32_e32 v31, 0
	v_lshl_add_u64 v[6:7], s[4:5], 0, v[30:31]
	v_lshlrev_b32_e32 v30, 4, v32
	v_lshl_add_u64 v[6:7], v[6:7], 0, v[30:31]
	s_waitcnt vmcnt(3)
	v_mad_i64_i32 v[8:9], s[4:5], v5, s45, v[6:7]
	s_waitcnt vmcnt(2)
	v_mad_i64_i32 v[4:5], s[4:5], v4, s45, v[6:7]
	s_barrier
	global_load_dwordx4 v[22:25], v[8:9], off
	global_load_dwordx4 v[18:21], v[4:5], off
	s_waitcnt vmcnt(3)
	v_mad_i64_i32 v[4:5], s[4:5], v3, s45, v[6:7]
	s_waitcnt vmcnt(2)
	v_mad_i64_i32 v[2:3], s[4:5], v2, s45, v[6:7]
	global_load_dwordx4 v[14:17], v[4:5], off
	global_load_dwordx4 v[6:9], v[2:3], off
	v_add_u32_e32 v2, -10, v28
	v_cmp_gt_u32_e32 vcc, 10, v28
	v_and_b32_e32 v27, 63, v0
	v_mov_b32_e32 v43, 0
	v_cndmask_b32_e32 v2, v2, v28, vcc
	v_lshlrev_b32_e32 v2, 5, v2
	v_lshl_add_u32 v2, v42, 9, v2
	ds_read_b128 v[10:13], v2
	ds_read_b128 v[2:5], v2 offset:16
	s_and_saveexec_b64 s[4:5], vcc
	s_cbranch_execz .LBB777_13
; %bb.12:
	s_load_dwordx2 s[12:13], s[0:1], 0x40
	v_add_u32_e32 v34, s48, v28
	v_ashrrev_i32_e32 v35, 31, v34
	s_waitcnt lgkmcnt(0)
	v_lshl_add_u64 v[34:35], v[34:35], 2, s[12:13]
	global_load_dword v43, v[34:35], off
.LBB777_13:
	s_or_b64 exec, exec, s[4:5]
	v_or_b32_e32 v62, s16, v32
	v_ashrrev_i32_e32 v30, 4, v62
	v_mov_b32_e32 v63, s17
	v_cmp_gt_i32_e32 vcc, s29, v62
	s_waitcnt vmcnt(2)
	v_cvt_pk_f32_fp8_e32 v[52:53], v20
	v_cvt_pk_f32_fp8_sdwa v[54:55], v20 src0_sel:WORD_1
	v_cndmask_b32_e32 v20, v63, v30, vcc
	v_cvt_pk_f32_fp8_e32 v[56:57], v21
	v_cvt_pk_f32_fp8_sdwa v[58:59], v21 src0_sel:WORD_1
	v_ashrrev_i32_e32 v21, 31, v20
	v_cvt_pk_f32_fp8_e32 v[40:41], v22
	v_cvt_pk_f32_fp8_sdwa v[44:45], v22 src0_sel:WORD_1
	v_lshl_add_u64 v[20:21], v[20:21], 2, s[8:9]
	v_cvt_pk_f32_fp8_e32 v[46:47], v18
	v_cvt_pk_f32_fp8_sdwa v[48:49], v18 src0_sel:WORD_1
	global_load_dword v64, v[20:21], off
	v_cvt_pk_f32_fp8_e32 v[34:35], v23
	v_cvt_pk_f32_fp8_sdwa v[32:33], v23 src0_sel:WORD_1
	v_cvt_pkrtz_f16_f32 v20, v40, v41
	v_cvt_pkrtz_f16_f32 v21, v44, v45
	v_cvt_pk_f32_fp8_e32 v[36:37], v24
	v_cvt_pk_f32_fp8_sdwa v[38:39], v24 src0_sel:WORD_1
	v_cvt_pk_f32_fp8_e32 v[50:51], v19
	v_cvt_pk_f32_fp8_sdwa v[18:19], v19 src0_sel:WORD_1
	v_cvt_pkrtz_f16_f32 v44, v46, v47
	v_cvt_pkrtz_f16_f32 v45, v48, v49
	v_cvt_pk_f32_fp8_e32 v[22:23], v25
	s_waitcnt vmcnt(2)
	v_cvt_pk_f32_fp8_e32 v[40:41], v14
	v_cvt_pk_f32_fp8_sdwa v[46:47], v14 src0_sel:WORD_1
	v_cvt_pkrtz_f16_f32 v48, v34, v35
	v_cvt_pkrtz_f16_f32 v49, v32, v33
	v_or_b32_e32 v14, 64, v62
	v_or_b32_e32 v32, 0xc0, v62
	v_cvt_pk_f32_fp8_sdwa v[24:25], v25 src0_sel:WORD_1
	s_load_dword s11, s[0:1], 0x1c
	s_load_dwordx4 s[40:43], s[0:1], 0x80
	v_cvt_pkrtz_f16_f32 v36, v36, v37
	v_cvt_pkrtz_f16_f32 v37, v38, v39
	v_or_b32_e32 v65, 0x80, v62
	v_ashrrev_i32_e32 v62, 4, v14
	v_cmp_gt_i32_e32 vcc, s29, v32
	v_ashrrev_i32_e32 v66, 4, v32
	v_cmp_gt_i32_e64 s[4:5], s29, v14
	v_cvt_pkrtz_f16_f32 v38, v50, v51
	v_cvt_pkrtz_f16_f32 v39, v18, v19
	s_waitcnt lgkmcnt(0)
	v_mfma_f32_16x16x16_f16 v[32:35], v[20:21], v[10:11], 0
	s_add_u32 s6, s6, s10
	v_lshlrev_b32_e32 v30, 4, v28
	v_cndmask_b32_e64 v50, v63, v62, s[4:5]
	v_cvt_pkrtz_f16_f32 v62, v22, v23
	v_mfma_f32_16x16x16_f16 v[20:23], v[44:45], v[10:11], 0
	v_lshl_or_b32 v30, v29, 8, v30
	s_addc_u32 s7, s7, 0
	v_ashrrev_i32_e32 v14, 4, v65
	v_lshl_add_u64 v[18:19], s[6:7], 0, v[30:31]
	v_cmp_gt_i32_e64 s[6:7], s29, v65
	v_mfma_f32_16x16x16_f16 v[30:33], v[48:49], v[12:13], v[32:35]
	v_cndmask_b32_e32 v48, v63, v66, vcc
	s_load_dword s4, s[40:41], 0x0
	v_cvt_pk_f32_fp8_e32 v[60:61], v15
	v_cndmask_b32_e64 v34, v63, v14, s[6:7]
	v_cvt_pkrtz_f16_f32 v63, v24, v25
	v_cvt_pkrtz_f16_f32 v24, v52, v53
	;; [unrolled: 1-line block ×3, first 2 shown]
	v_mfma_f32_16x16x16_f16 v[20:23], v[38:39], v[12:13], v[20:23]
	v_cvt_pkrtz_f16_f32 v40, v40, v41
	v_cvt_pkrtz_f16_f32 v41, v46, v47
	v_ashrrev_i32_e32 v51, 31, v50
	v_mfma_f32_16x16x16_f16 v[20:23], v[24:25], v[2:3], v[20:23]
	v_mov_b32_e32 v24, s11
	s_waitcnt lgkmcnt(0)
	v_mul_f32_e32 v54, s4, v24
	v_cvt_pk_f32_fp8_sdwa v[24:25], v15 src0_sel:WORD_1
	v_mfma_f32_16x16x16_f16 v[30:33], v[36:37], v[2:3], v[30:33]
	v_ashrrev_i32_e32 v35, 31, v34
	v_ashrrev_i32_e32 v49, 31, v48
	v_lshl_add_u64 v[36:37], v[50:51], 2, s[8:9]
	v_lshl_add_u64 v[34:35], v[34:35], 2, s[8:9]
	;; [unrolled: 1-line block ×3, first 2 shown]
	global_load_dword v14, v[36:37], off
	global_load_dword v44, v[34:35], off
	;; [unrolled: 1-line block ×3, first 2 shown]
	v_cvt_pkrtz_f16_f32 v46, v60, v61
	v_cvt_pk_f32_fp8_e32 v[48:49], v16
	v_cvt_pk_f32_fp8_sdwa v[50:51], v16 src0_sel:WORD_1
	v_cvt_pkrtz_f16_f32 v47, v24, v25
	v_mfma_f32_16x16x16_f16 v[36:39], v[62:63], v[4:5], v[30:33]
	v_cvt_pkrtz_f16_f32 v24, v48, v49
	v_cvt_pkrtz_f16_f32 v25, v50, v51
	;; [unrolled: 1-line block ×3, first 2 shown]
	v_mfma_f32_16x16x16_f16 v[30:33], v[40:41], v[10:11], 0
	v_cvt_pk_f32_fp8_e32 v[40:41], v17
	v_cvt_pk_f32_fp8_sdwa v[16:17], v17 src0_sel:WORD_1
	v_cvt_pkrtz_f16_f32 v53, v58, v59
	v_mfma_f32_16x16x16_f16 v[46:49], v[46:47], v[12:13], v[30:33]
	s_mov_b32 s33, 0xff7fffff
	s_waitcnt vmcnt(3)
	v_mad_i64_i32 v[34:35], s[4:5], v64, s45, v[18:19]
	v_cvt_pkrtz_f16_f32 v32, v40, v41
	v_cvt_pkrtz_f16_f32 v33, v16, v17
	v_mfma_f32_16x16x16_f16 v[46:49], v[24:25], v[2:3], v[46:49]
	v_cvt_pk_f32_fp8_e32 v[16:17], v6
	v_cvt_pk_f32_fp8_sdwa v[24:25], v6 src0_sel:WORD_1
	v_pk_mul_f32 v[30:31], v[54:55], v[38:39] op_sel_hi:[0,1]
	v_mfma_f32_16x16x16_f16 v[46:49], v[32:33], v[4:5], v[46:49]
	v_cvt_pk_f32_fp8_e32 v[32:33], v7
	v_cvt_pkrtz_f16_f32 v16, v16, v17
	v_cvt_pkrtz_f16_f32 v17, v24, v25
	v_cvt_pk_f32_fp8_sdwa v[6:7], v7 src0_sel:WORD_1
	v_pk_mul_f32 v[38:39], v[54:55], v[36:37] op_sel_hi:[0,1]
	v_cvt_pkrtz_f16_f32 v24, v32, v33
	v_cvt_pk_f32_fp8_e32 v[32:33], v8
	v_cvt_pk_f32_fp8_sdwa v[36:37], v8 src0_sel:WORD_1
	v_cvt_pkrtz_f16_f32 v25, v6, v7
	v_mfma_f32_16x16x16_f16 v[20:23], v[52:53], v[4:5], v[20:23]
	v_mfma_f32_16x16x16_f16 v[50:53], v[16:17], v[10:11], 0
	v_cvt_pkrtz_f16_f32 v10, v32, v33
	v_cvt_pkrtz_f16_f32 v11, v36, v37
	v_cvt_pk_f32_fp8_e32 v[16:17], v9
	v_cvt_pk_f32_fp8_sdwa v[32:33], v9 src0_sel:WORD_1
	v_mfma_f32_16x16x16_f16 v[6:9], v[24:25], v[12:13], v[50:53]
	s_nop 0
	v_pk_mul_f32 v[36:37], v[54:55], v[22:23] op_sel_hi:[0,1]
	v_cvt_pkrtz_f16_f32 v12, v16, v17
	v_cvt_pkrtz_f16_f32 v13, v32, v33
	v_mfma_f32_16x16x16_f16 v[6:9], v[10:11], v[2:3], v[6:9]
	v_pk_mul_f32 v[40:41], v[54:55], v[20:21] op_sel_hi:[0,1]
	v_pk_mul_f32 v[24:25], v[54:55], v[48:49] op_sel_hi:[0,1]
	v_pk_mul_f32 v[32:33], v[54:55], v[46:47] op_sel_hi:[0,1]
	v_mfma_f32_16x16x16_f16 v[2:5], v[12:13], v[4:5], v[6:9]
	s_nop 6
	v_pk_mul_f32 v[22:23], v[54:55], v[2:3] op_sel_hi:[0,1]
	v_and_b32_e32 v2, 0xc0, v0
	v_add_u32_e32 v2, s16, v2
	v_lshl_or_b32 v2, v42, 2, v2
	v_or_b32_e32 v3, 1, v2
	v_pk_mul_f32 v[20:21], v[54:55], v[4:5] op_sel_hi:[0,1]
	v_subrev_u32_e32 v4, s29, v3
	v_add_u32_e32 v6, 1, v4
	v_add_u32_e32 v7, 2, v4
	;; [unrolled: 1-line block ×3, first 2 shown]
	v_cvt_f32_i32_e32 v6, v6
	v_cvt_f32_i32_e32 v7, v7
	;; [unrolled: 1-line block ×3, first 2 shown]
	v_add_u32_e32 v9, 19, v4
	v_fmac_f32_e32 v39, v43, v6
	v_fma_f32 v30, v43, v7, v30
	v_fmac_f32_e32 v31, v43, v8
	v_add_u32_e32 v6, 16, v4
	v_add_u32_e32 v7, 17, v4
	;; [unrolled: 1-line block ×3, first 2 shown]
	v_cvt_f32_i32_e32 v6, v6
	v_cvt_f32_i32_e32 v7, v7
	v_cvt_f32_i32_e32 v8, v8
	v_cvt_f32_i32_e32 v9, v9
	v_fma_f32 v40, v43, v6, v40
	v_fmac_f32_e32 v41, v43, v7
	v_fma_f32 v36, v43, v8, v36
	v_add_u32_e32 v6, 32, v4
	v_add_u32_e32 v7, 33, v4
	;; [unrolled: 1-line block ×3, first 2 shown]
	v_cvt_f32_i32_e32 v6, v6
	v_cvt_f32_i32_e32 v7, v7
	;; [unrolled: 1-line block ×4, first 2 shown]
	v_fmac_f32_e32 v37, v43, v9
	v_add_u32_e32 v9, 35, v4
	v_fma_f32 v32, v43, v6, v32
	v_fmac_f32_e32 v33, v43, v7
	v_fma_f32 v24, v43, v8, v24
	v_add_u32_e32 v6, 48, v4
	v_add_u32_e32 v7, 49, v4
	;; [unrolled: 1-line block ×4, first 2 shown]
	v_cvt_f32_i32_e32 v4, v4
	v_cvt_f32_i32_e32 v6, v6
	;; [unrolled: 1-line block ×3, first 2 shown]
	v_fma_f32 v5, v43, v5, v38
	v_fmac_f32_e32 v21, v43, v4
	v_mov_b32_e32 v4, 0xff7fffff
	v_cmp_gt_i32_e64 s[4:5], s29, v2
	v_cmp_gt_i32_e64 s[34:35], s29, v3
	v_fma_f32 v22, v43, v6, v22
	v_cndmask_b32_e64 v6, v4, v5, s[4:5]
	v_cndmask_b32_e64 v3, v4, v39, s[34:35]
	v_fmac_f32_e32 v23, v43, v7
	v_max3_f32 v3, v6, s33, v3
	v_or_b32_e32 v6, 2, v2
	v_or_b32_e32 v7, 3, v2
	v_cmp_gt_i32_e64 s[36:37], s29, v6
	v_cmp_gt_i32_e64 s[38:39], s29, v7
	v_cvt_f32_i32_e32 v9, v9
	v_cndmask_b32_e64 v6, v4, v30, s[36:37]
	v_cndmask_b32_e64 v7, v4, v31, s[38:39]
	v_max3_f32 v3, v3, v6, v7
	v_or_b32_e32 v6, 16, v2
	v_or_b32_e32 v7, 17, v2
	v_cmp_gt_i32_e64 s[24:25], s29, v6
	v_cmp_gt_i32_e64 s[26:27], s29, v7
	v_fmac_f32_e32 v25, v43, v9
	v_cndmask_b32_e64 v6, v4, v40, s[24:25]
	v_cndmask_b32_e64 v7, v4, v41, s[26:27]
	v_max3_f32 v3, v3, v6, v7
	v_or_b32_e32 v6, 18, v2
	v_or_b32_e32 v7, 19, v2
	v_cmp_gt_i32_e64 s[20:21], s29, v6
	v_cmp_gt_i32_e64 s[22:23], s29, v7
	v_cvt_f32_i32_e32 v8, v8
	v_cndmask_b32_e64 v6, v4, v36, s[20:21]
	v_cndmask_b32_e64 v7, v4, v37, s[22:23]
	v_max3_f32 v3, v3, v6, v7
	v_or_b32_e32 v6, 32, v2
	v_or_b32_e32 v7, 33, v2
	v_cmp_gt_i32_e64 s[16:17], s29, v6
	v_cmp_gt_i32_e64 s[18:19], s29, v7
	v_fma_f32 v20, v43, v8, v20
	v_cndmask_b32_e64 v6, v4, v32, s[16:17]
	v_cndmask_b32_e64 v7, v4, v33, s[18:19]
	v_max3_f32 v3, v3, v6, v7
	v_or_b32_e32 v6, 34, v2
	v_or_b32_e32 v7, 35, v2
	v_cmp_gt_i32_e64 s[12:13], s29, v6
	v_cmp_gt_i32_e64 s[14:15], s29, v7
	s_nop 0
	v_cndmask_b32_e64 v6, v4, v24, s[12:13]
	v_cndmask_b32_e64 v7, v4, v25, s[14:15]
	v_max3_f32 v3, v3, v6, v7
	v_or_b32_e32 v6, 48, v2
	v_or_b32_e32 v7, 49, v2
	v_cmp_gt_i32_e64 s[8:9], s29, v6
	v_cmp_gt_i32_e64 s[10:11], s29, v7
	s_nop 0
	v_cndmask_b32_e64 v6, v4, v22, s[8:9]
	v_cndmask_b32_e64 v7, v4, v23, s[10:11]
	v_max3_f32 v3, v3, v6, v7
	v_or_b32_e32 v6, 50, v2
	v_or_b32_e32 v2, 51, v2
	v_cmp_gt_i32_e32 vcc, s29, v6
	v_cmp_gt_i32_e64 s[6:7], s29, v2
	s_nop 0
	v_cndmask_b32_e32 v6, v4, v20, vcc
	v_cndmask_b32_e64 v2, v4, v21, s[6:7]
	v_max3_f32 v4, v3, v6, v2
	v_mbcnt_lo_u32_b32 v2, -1, 0
	v_mbcnt_hi_u32_b32 v6, -1, v2
	v_and_b32_e32 v2, 64, v6
	v_add_u32_e32 v7, 64, v2
	v_xor_b32_e32 v2, 32, v6
	v_cmp_lt_i32_e64 s[40:41], v2, v7
	s_nop 1
	v_cndmask_b32_e64 v2, v6, v2, s[40:41]
	v_lshlrev_b32_e32 v43, 2, v2
	ds_bpermute_b32 v8, v43, v4
	s_waitcnt vmcnt(2)
	v_mad_i64_i32 v[2:3], s[40:41], v14, s45, v[18:19]
	global_load_dwordx4 v[14:17], v[34:35], off
	global_load_dwordx4 v[10:13], v[2:3], off
	v_xor_b32_e32 v3, 16, v6
	v_cmp_lt_i32_e64 s[40:41], v3, v7
	s_waitcnt lgkmcnt(0)
	v_max_f32_e32 v2, v8, v8
	v_max_f32_e32 v2, v4, v2
	v_cndmask_b32_e64 v3, v6, v3, s[40:41]
	v_lshlrev_b32_e32 v46, 2, v3
	ds_bpermute_b32 v3, v46, v2
	s_waitcnt vmcnt(3)
	v_mad_i64_i32 v[34:35], s[40:41], v44, s45, v[18:19]
	s_waitcnt vmcnt(2)
	v_mad_i64_i32 v[18:19], s[40:41], v45, s45, v[18:19]
	s_waitcnt lgkmcnt(0)
	v_max_f32_e32 v3, v3, v3
	v_max_f32_e32 v38, v2, v3
	v_sub_f32_e32 v2, v5, v38
	v_mul_f32_e32 v2, 0x3fb8aa3b, v2
	v_exp_f32_e32 v44, v2
	v_sub_f32_e32 v2, v39, v38
	v_mul_f32_e32 v2, 0x3fb8aa3b, v2
	v_exp_f32_e32 v39, v2
	global_load_dwordx4 v[6:9], v[34:35], off
	global_load_dwordx4 v[2:5], v[18:19], off
	v_sub_f32_e32 v30, v30, v38
	v_mul_f32_e32 v30, 0x3fb8aa3b, v30
	v_sub_f32_e32 v31, v31, v38
	v_exp_f32_e32 v30, v30
	v_mul_f32_e32 v31, 0x3fb8aa3b, v31
	v_exp_f32_e32 v31, v31
	v_cndmask_b32_e64 v18, 0, v44, s[4:5]
	v_add_f32_e32 v34, 0, v18
	v_cndmask_b32_e64 v19, 0, v39, s[34:35]
	v_add_f32_e32 v35, v34, v19
	;; [unrolled: 2-line block ×3, first 2 shown]
	v_cndmask_b32_e64 v35, 0, v31, s[38:39]
	v_sub_f32_e32 v31, v40, v38
	v_mul_f32_e32 v31, 0x3fb8aa3b, v31
	v_sub_f32_e32 v39, v41, v38
	v_exp_f32_e32 v31, v31
	v_mul_f32_e32 v39, 0x3fb8aa3b, v39
	v_sub_f32_e32 v36, v36, v38
	v_exp_f32_e32 v39, v39
	;; [unrolled: 3-line block ×4, first 2 shown]
	v_mul_f32_e32 v32, 0x3fb8aa3b, v32
	v_sub_f32_e32 v33, v33, v38
	v_add_f32_e32 v40, v30, v35
	v_cndmask_b32_e64 v30, 0, v31, s[24:25]
	v_exp_f32_e32 v32, v32
	v_mul_f32_e32 v33, 0x3fb8aa3b, v33
	v_sub_f32_e32 v24, v24, v38
	v_add_f32_e32 v40, v40, v30
	v_cndmask_b32_e64 v31, 0, v39, s[26:27]
	v_exp_f32_e32 v33, v33
	;; [unrolled: 5-line block ×7, first 2 shown]
	v_mul_f32_e32 v21, 0x3fb8aa3b, v21
	v_add_f32_e32 v39, v39, v24
	v_cndmask_b32_e64 v25, 0, v25, s[14:15]
	v_exp_f32_e32 v21, v21
	v_add_f32_e32 v39, v39, v25
	v_cndmask_b32_e64 v22, 0, v22, s[8:9]
	v_add_f32_e32 v39, v39, v22
	v_cndmask_b32_e64 v23, 0, v23, s[10:11]
	v_add_f32_e32 v39, v39, v23
	v_cndmask_b32_e32 v20, 0, v20, vcc
	v_add_f32_e32 v39, v39, v20
	v_cndmask_b32_e64 v21, 0, v21, s[6:7]
	v_add_f32_e32 v39, v39, v21
	ds_bpermute_b32 v40, v43, v39
	s_load_dword s7, s[0:1], 0x98
	v_cmp_gt_u32_e32 vcc, 16, v27
	s_waitcnt lgkmcnt(0)
	s_barrier
	v_add_f32_e32 v40, v39, v40
	ds_bpermute_b32 v41, v46, v40
	v_lshlrev_b32_e32 v39, 2, v28
	s_waitcnt lgkmcnt(0)
	s_and_saveexec_b64 s[4:5], vcc
	s_cbranch_execz .LBB777_15
; %bb.14:
	v_add_f32_e32 v27, v40, v41
	v_lshl_or_b32 v40, v29, 6, v39
	ds_write2st64_b32 v40, v38, v27 offset1:1
.LBB777_15:
	s_or_b64 exec, exec, s[4:5]
	s_load_dword s6, s[0:1], 0x94
	s_waitcnt lgkmcnt(0)
	s_barrier
	ds_read2_b32 v[40:41], v39 offset1:16
	ds_read2_b32 v[44:45], v39 offset0:32 offset1:48
	ds_read2_b32 v[46:47], v39 offset0:64 offset1:80
	s_mul_i32 s7, s7, 10
	s_waitcnt lgkmcnt(2)
	v_max3_f32 v27, v40, s33, v41
	s_waitcnt lgkmcnt(1)
	v_max3_f32 v27, v27, v44, v45
	v_sub_f32_e32 v38, v40, v27
	v_mul_f32_e32 v38, 0x3fb8aa3b, v38
	v_exp_f32_e32 v43, v38
	v_sub_f32_e32 v38, v41, v27
	v_mul_f32_e32 v38, 0x3fb8aa3b, v38
	v_exp_f32_e32 v48, v38
	;; [unrolled: 3-line block ×3, first 2 shown]
	ds_read2_b32 v[40:41], v39 offset0:96 offset1:112
	v_sub_f32_e32 v38, v45, v27
	v_mul_f32_e32 v38, 0x3fb8aa3b, v38
	v_exp_f32_e32 v39, v38
	s_waitcnt lgkmcnt(1)
	v_fma_f32 v38, v43, v46, 0
	v_fmac_f32_e32 v38, v48, v47
	s_waitcnt lgkmcnt(0)
	v_fmac_f32_e32 v38, v44, v40
	v_fmac_f32_e32 v38, v39, v41
	v_add_f32_e32 v40, 0x358637bd, v38
	v_div_scale_f32 v41, s[4:5], v40, v40, 1.0
	v_rcp_f32_e32 v45, v41
	s_barrier
	v_fma_f32 v46, -v41, v45, 1.0
	v_fmac_f32_e32 v45, v46, v45
	v_div_scale_f32 v46, vcc, 1.0, v40, 1.0
	v_mul_f32_e32 v47, v46, v45
	v_fma_f32 v49, -v41, v47, v46
	v_fmac_f32_e32 v47, v49, v45
	v_fma_f32 v41, -v41, v47, v46
	v_div_fmas_f32 v41, v41, v45, v47
	v_cmp_eq_u32_e32 vcc, 1, v29
	v_div_fixup_f32 v40, v41, v40, 1.0
	s_nop 0
	v_cndmask_b32_e32 v41, v43, v48, vcc
	v_cmp_eq_u32_e32 vcc, 2, v29
	s_nop 1
	v_cndmask_b32_e32 v41, v41, v44, vcc
	v_cmp_eq_u32_e32 vcc, 3, v29
	v_lshlrev_b32_e32 v29, 11, v29
	s_nop 0
	v_cndmask_b32_e32 v39, v41, v39, vcc
	v_mul_f32_e32 v40, v39, v40
	v_pk_mul_f32 v[18:19], v[40:41], v[18:19] op_sel_hi:[0,1]
	v_pk_mul_f32 v[34:35], v[40:41], v[34:35] op_sel_hi:[0,1]
	v_cvt_f16_f32_e32 v18, v18
	v_cvt_f16_f32_e32 v19, v19
	v_pk_mul_f32 v[36:37], v[40:41], v[36:37] op_sel_hi:[0,1]
	v_pk_mul_f32 v[30:31], v[40:41], v[30:31] op_sel_hi:[0,1]
	v_cvt_f16_f32_e32 v39, v34
	v_cvt_f16_f32_e32 v35, v35
	;; [unrolled: 1-line block ×6, first 2 shown]
	v_pack_b32_f16 v34, v18, v19
	v_lshlrev_b32_e32 v18, 3, v42
	v_lshlrev_b32_e32 v19, 5, v28
	v_pack_b32_f16 v35, v39, v35
	v_or3_b32 v18, v29, v19, v18
	v_pack_b32_f16 v30, v30, v31
	v_pack_b32_f16 v31, v36, v37
	ds_write2st64_b64 v18, v[34:35], v[30:31] offset1:1
	v_pk_mul_f32 v[24:25], v[40:41], v[24:25] op_sel_hi:[0,1]
	v_pk_mul_f32 v[30:31], v[40:41], v[32:33] op_sel_hi:[0,1]
	;; [unrolled: 1-line block ×4, first 2 shown]
	v_cvt_f16_f32_e32 v29, v30
	v_cvt_f16_f32_e32 v30, v31
	;; [unrolled: 1-line block ×8, first 2 shown]
	v_pack_b32_f16 v20, v29, v30
	v_pack_b32_f16 v21, v24, v25
	;; [unrolled: 1-line block ×4, first 2 shown]
	v_cmp_gt_u32_e32 vcc, 10, v0
	ds_write2st64_b64 v18, v[20:21], v[22:23] offset0:2 offset1:3
	s_and_saveexec_b64 s[4:5], vcc
	s_cbranch_execz .LBB777_17
; %bb.16:
	s_mov_b32 s49, 0
	v_mov_b32_e32 v29, 0
	v_lshl_add_u64 v[20:21], s[48:49], 0, v[28:29]
	v_mov_b32_e32 v22, s7
	v_mad_u64_u32 v[20:21], s[12:13], s2, v22, v[20:21]
	s_mul_i32 s3, s3, s7
	v_mov_b32_e32 v28, s28
	s_load_dwordx4 s[8:11], s[0:1], 0x58
	v_add_u32_e32 v23, s3, v21
	v_mad_u64_u32 v[20:21], s[12:13], v20, s6, v[28:29]
	v_mov_b32_e32 v22, v21
	v_mad_u64_u32 v[22:23], s[12:13], v23, s6, v[22:23]
	v_mov_b32_e32 v21, v22
	v_lshlrev_b64 v[20:21], 2, v[20:21]
	s_waitcnt lgkmcnt(0)
	v_lshl_add_u64 v[22:23], s[10:11], 0, v[20:21]
	v_lshl_add_u64 v[20:21], s[8:9], 0, v[20:21]
	global_store_dword v[22:23], v27, off
	global_store_dword v[20:21], v38, off
.LBB777_17:
	s_or_b64 exec, exec, s[4:5]
	s_waitcnt vmcnt(3)
	v_cvt_pk_f32_fp8_e32 v[20:21], v14
	v_cvt_pk_f32_fp8_sdwa v[22:23], v14 src0_sel:WORD_1
	v_lshl_or_b32 v14, v42, 9, v19
	s_waitcnt lgkmcnt(0)
	s_barrier
	v_cvt_pk_f32_fp8_e32 v[24:25], v15
	v_cvt_pkrtz_f16_f32 v32, v20, v21
	v_cvt_pkrtz_f16_f32 v33, v22, v23
	v_cvt_pk_f32_fp8_sdwa v[28:29], v15 src0_sel:WORD_1
	ds_read_b128 v[20:23], v14
	v_cvt_pkrtz_f16_f32 v24, v24, v25
	v_cvt_pk_f32_fp8_e32 v[36:37], v16
	v_cvt_pkrtz_f16_f32 v25, v28, v29
	ds_read_b128 v[28:31], v14 offset:16
	v_cvt_pk_f32_fp8_sdwa v[38:39], v16 src0_sel:WORD_1
	s_waitcnt lgkmcnt(1)
	v_mfma_f32_16x16x16_f16 v[32:35], v[32:33], v[20:21], 0
	v_cvt_pkrtz_f16_f32 v36, v36, v37
	s_load_dword s4, s[42:43], 0x0
	v_cvt_pkrtz_f16_f32 v37, v38, v39
	v_cvt_pk_f32_fp8_e32 v[38:39], v17
	v_cvt_pk_f32_fp8_sdwa v[16:17], v17 src0_sel:WORD_1
	v_mfma_f32_16x16x16_f16 v[20:23], v[24:25], v[22:23], v[32:35]
	v_cmp_gt_u32_e32 vcc, 64, v0
	v_cvt_pkrtz_f16_f32 v24, v38, v39
	v_cvt_pkrtz_f16_f32 v25, v16, v17
	s_waitcnt lgkmcnt(0)
	v_mfma_f32_16x16x16_f16 v[20:23], v[36:37], v[28:29], v[20:23]
	s_waitcnt vmcnt(2)
	v_cvt_pk_f32_fp8_e32 v[16:17], v10
	v_cvt_pk_f32_fp8_e32 v[28:29], v11
	v_cvt_pk_f32_fp8_sdwa v[36:37], v12 src0_sel:WORD_1
	v_mfma_f32_16x16x16_f16 v[20:23], v[24:25], v[30:31], v[20:23]
	v_cvt_pk_f32_fp8_sdwa v[24:25], v10 src0_sel:WORD_1
	v_cvt_pkrtz_f16_f32 v10, v16, v17
	v_cvt_pk_f32_fp8_sdwa v[16:17], v11 src0_sel:WORD_1
	ds_read_b128 v[32:35], v14 offset:2064
	v_cvt_pkrtz_f16_f32 v11, v24, v25
	v_cvt_pkrtz_f16_f32 v24, v28, v29
	ds_read_b128 v[28:31], v14 offset:2048
	v_cvt_pkrtz_f16_f32 v25, v16, v17
	v_cvt_pk_f32_fp8_e32 v[16:17], v12
	s_waitcnt lgkmcnt(0)
	v_mfma_f32_16x16x16_f16 v[20:23], v[10:11], v[28:29], v[20:23]
	v_cvt_pkrtz_f16_f32 v10, v16, v17
	v_cvt_pkrtz_f16_f32 v11, v36, v37
	v_cvt_pk_f32_fp8_e32 v[16:17], v13
	v_mfma_f32_16x16x16_f16 v[20:23], v[24:25], v[30:31], v[20:23]
	v_cvt_pk_f32_fp8_sdwa v[24:25], v13 src0_sel:WORD_1
	ds_read_b128 v[28:31], v14 offset:4112
	v_cvt_pkrtz_f16_f32 v16, v16, v17
	v_mfma_f32_16x16x16_f16 v[10:13], v[10:11], v[32:33], v[20:23]
	v_cvt_pkrtz_f16_f32 v17, v24, v25
	s_waitcnt vmcnt(1)
	v_cvt_pk_f32_fp8_sdwa v[24:25], v7 src0_sel:WORD_1
	v_cvt_pk_f32_fp8_sdwa v[32:33], v8 src0_sel:WORD_1
	v_cvt_pk_f32_fp8_e32 v[20:21], v6
	v_mfma_f32_16x16x16_f16 v[10:13], v[16:17], v[34:35], v[10:13]
	v_cvt_pk_f32_fp8_sdwa v[16:17], v6 src0_sel:WORD_1
	v_cvt_pk_f32_fp8_e32 v[22:23], v7
	v_cvt_pkrtz_f16_f32 v6, v20, v21
	s_mov_b32 s3, 0
	v_cvt_pkrtz_f16_f32 v7, v16, v17
	v_cvt_pkrtz_f16_f32 v16, v22, v23
	ds_read_b128 v[20:23], v14 offset:4096
	v_cvt_pkrtz_f16_f32 v17, v24, v25
	v_cvt_pk_f32_fp8_e32 v[24:25], v8
	s_waitcnt lgkmcnt(0)
	v_mfma_f32_16x16x16_f16 v[10:13], v[6:7], v[20:21], v[10:13]
	v_cvt_pkrtz_f16_f32 v6, v24, v25
	v_cvt_pkrtz_f16_f32 v7, v32, v33
	v_cvt_pk_f32_fp8_e32 v[20:21], v9
	v_mfma_f32_16x16x16_f16 v[10:13], v[16:17], v[22:23], v[10:13]
	v_cvt_pk_f32_fp8_sdwa v[16:17], v9 src0_sel:WORD_1
	s_waitcnt vmcnt(0)
	v_cvt_pk_f32_fp8_sdwa v[24:25], v4 src0_sel:WORD_1
	v_cvt_pkrtz_f16_f32 v20, v20, v21
	v_mfma_f32_16x16x16_f16 v[6:9], v[6:7], v[28:29], v[10:13]
	v_cvt_pkrtz_f16_f32 v21, v16, v17
	v_cvt_pk_f32_fp8_e32 v[16:17], v3
	v_mov_b32_e32 v27, 0
	v_cvt_pk_f32_fp8_e32 v[10:11], v2
	v_cvt_pk_f32_fp8_sdwa v[12:13], v2 src0_sel:WORD_1
	v_mfma_f32_16x16x16_f16 v[6:9], v[20:21], v[30:31], v[6:9]
	v_cvt_pk_f32_fp8_sdwa v[20:21], v3 src0_sel:WORD_1
	v_cvt_pkrtz_f16_f32 v2, v10, v11
	v_cvt_pkrtz_f16_f32 v3, v12, v13
	ds_read_b128 v[10:13], v14 offset:6144
	v_cvt_pkrtz_f16_f32 v22, v16, v17
	v_cvt_pkrtz_f16_f32 v23, v20, v21
	v_cvt_pk_f32_fp8_e32 v[20:21], v4
	s_waitcnt lgkmcnt(0)
	v_mfma_f32_16x16x16_f16 v[6:9], v[2:3], v[10:11], v[6:9]
	ds_read_b128 v[14:17], v14 offset:6160
	v_cvt_pkrtz_f16_f32 v2, v20, v21
	v_cvt_pkrtz_f16_f32 v3, v24, v25
	v_cvt_pk_f32_fp8_e32 v[10:11], v5
	v_mfma_f32_16x16x16_f16 v[6:9], v[22:23], v[12:13], v[6:9]
	v_cvt_pk_f32_fp8_sdwa v[12:13], v5 src0_sel:WORD_1
	s_waitcnt lgkmcnt(0)
	v_cvt_pkrtz_f16_f32 v10, v10, v11
	v_mfma_f32_16x16x16_f16 v[2:5], v[2:3], v[14:15], v[6:9]
	v_cvt_pkrtz_f16_f32 v11, v12, v13
	s_barrier
	s_nop 0
	v_mfma_f32_16x16x16_f16 v[2:5], v[10:11], v[16:17], v[2:5]
	s_nop 6
	v_pk_mul_f32 v[4:5], v[4:5], s[4:5] op_sel_hi:[1,0]
	v_pk_mul_f32 v[2:3], v[2:3], s[4:5] op_sel_hi:[1,0]
	v_cvt_f16_f32_e32 v4, v4
	v_cvt_f16_f32_e32 v2, v2
	;; [unrolled: 1-line block ×4, first 2 shown]
	s_and_b64 s[4:5], vcc, s[30:31]
	v_pack_b32_f16 v2, v2, v3
	v_pack_b32_f16 v3, v4, v5
	ds_write_b64 v18, v[2:3]
	s_waitcnt lgkmcnt(0)
	s_barrier
	s_and_saveexec_b64 s[8:9], s[4:5]
	s_cbranch_execz .LBB777_20
; %bb.18:
	s_load_dwordx2 s[4:5], s[0:1], 0x68
	s_lshl_b32 s0, s6, 6
	s_mul_i32 s1, s7, s2
	s_mul_hi_u32 s7, s1, s0
	s_mul_i32 s6, s1, s0
	v_lshlrev_b32_e32 v0, 10, v0
	s_lshl_b64 s[6:7], s[6:7], 1
	v_and_b32_e32 v0, 0x1800, v0
	v_lshlrev_b32_e32 v2, 5, v42
	v_and_b32_e32 v1, 16, v1
	s_waitcnt lgkmcnt(0)
	s_add_u32 s1, s4, s6
	v_or3_b32 v2, v0, v2, v1
	s_addc_u32 s4, s5, s7
	s_lshl_b32 s2, s28, 6
	s_lshl_b64 s[2:3], s[2:3], 1
	ds_read_b128 v[4:7], v2 offset:128
	ds_read_b128 v[8:11], v2
	s_add_u32 s2, s1, s2
	s_addc_u32 s3, s4, s3
	v_add_u32_e32 v14, s48, v42
	v_lshl_add_u64 v[0:1], s[2:3], 0, v[26:27]
	v_mad_u64_u32 v[12:13], s[2:3], v14, s0, 0
	v_lshl_add_u64 v[12:13], v[12:13], 1, v[0:1]
	s_waitcnt lgkmcnt(0)
	global_store_dwordx4 v[12:13], v[8:11], off
	v_or_b32_e32 v3, 8, v42
	v_cmp_gt_u32_e32 vcc, 10, v3
	v_add_u32_e32 v8, 4, v14
	v_mad_u64_u32 v[8:9], s[2:3], v8, s0, 0
	v_lshl_add_u64 v[8:9], v[8:9], 1, v[0:1]
	global_store_dwordx4 v[8:9], v[4:7], off
	s_and_b64 exec, exec, vcc
	s_cbranch_execz .LBB777_20
; %bb.19:
	ds_read_b128 v[4:7], v2 offset:256
	v_add_u32_e32 v2, s48, v3
	v_mad_u64_u32 v[2:3], s[0:1], v2, s0, 0
	v_lshl_add_u64 v[0:1], v[2:3], 1, v[0:1]
	s_waitcnt lgkmcnt(0)
	global_store_dwordx4 v[0:1], v[4:7], off
.LBB777_20:
	s_endpgm
	.section	.rodata,"a",@progbits
	.p2align	6, 0x0
	.amdhsa_kernel _Z39paged_attention_ll4mi_QKV_mfma16_kernelIDF16_hLN4vllm18Fp8KVCacheDataTypeE1EhLi16ELi64ELi256ELb1ELi10EEvPKT_PKT0_S7_ifPKiS9_S9_iPKfiiiPfSC_PS2_PT2_iSB_SB_
		.amdhsa_group_segment_fixed_size 8192
		.amdhsa_private_segment_fixed_size 0
		.amdhsa_kernarg_size 400
		.amdhsa_user_sgpr_count 2
		.amdhsa_user_sgpr_dispatch_ptr 0
		.amdhsa_user_sgpr_queue_ptr 0
		.amdhsa_user_sgpr_kernarg_segment_ptr 1
		.amdhsa_user_sgpr_dispatch_id 0
		.amdhsa_user_sgpr_kernarg_preload_length 0
		.amdhsa_user_sgpr_kernarg_preload_offset 0
		.amdhsa_user_sgpr_private_segment_size 0
		.amdhsa_uses_dynamic_stack 0
		.amdhsa_enable_private_segment 0
		.amdhsa_system_sgpr_workgroup_id_x 1
		.amdhsa_system_sgpr_workgroup_id_y 1
		.amdhsa_system_sgpr_workgroup_id_z 1
		.amdhsa_system_sgpr_workgroup_info 0
		.amdhsa_system_vgpr_workitem_id 0
		.amdhsa_next_free_vgpr 67
		.amdhsa_next_free_sgpr 50
		.amdhsa_accum_offset 68
		.amdhsa_reserve_vcc 1
		.amdhsa_float_round_mode_32 0
		.amdhsa_float_round_mode_16_64 0
		.amdhsa_float_denorm_mode_32 3
		.amdhsa_float_denorm_mode_16_64 3
		.amdhsa_dx10_clamp 1
		.amdhsa_ieee_mode 1
		.amdhsa_fp16_overflow 0
		.amdhsa_tg_split 0
		.amdhsa_exception_fp_ieee_invalid_op 0
		.amdhsa_exception_fp_denorm_src 0
		.amdhsa_exception_fp_ieee_div_zero 0
		.amdhsa_exception_fp_ieee_overflow 0
		.amdhsa_exception_fp_ieee_underflow 0
		.amdhsa_exception_fp_ieee_inexact 0
		.amdhsa_exception_int_div_zero 0
	.end_amdhsa_kernel
	.section	.text._Z39paged_attention_ll4mi_QKV_mfma16_kernelIDF16_hLN4vllm18Fp8KVCacheDataTypeE1EhLi16ELi64ELi256ELb1ELi10EEvPKT_PKT0_S7_ifPKiS9_S9_iPKfiiiPfSC_PS2_PT2_iSB_SB_,"axG",@progbits,_Z39paged_attention_ll4mi_QKV_mfma16_kernelIDF16_hLN4vllm18Fp8KVCacheDataTypeE1EhLi16ELi64ELi256ELb1ELi10EEvPKT_PKT0_S7_ifPKiS9_S9_iPKfiiiPfSC_PS2_PT2_iSB_SB_,comdat
.Lfunc_end777:
	.size	_Z39paged_attention_ll4mi_QKV_mfma16_kernelIDF16_hLN4vllm18Fp8KVCacheDataTypeE1EhLi16ELi64ELi256ELb1ELi10EEvPKT_PKT0_S7_ifPKiS9_S9_iPKfiiiPfSC_PS2_PT2_iSB_SB_, .Lfunc_end777-_Z39paged_attention_ll4mi_QKV_mfma16_kernelIDF16_hLN4vllm18Fp8KVCacheDataTypeE1EhLi16ELi64ELi256ELb1ELi10EEvPKT_PKT0_S7_ifPKiS9_S9_iPKfiiiPfSC_PS2_PT2_iSB_SB_
                                        ; -- End function
	.section	.AMDGPU.csdata,"",@progbits
; Kernel info:
; codeLenInByte = 4864
; NumSgprs: 56
; NumVgprs: 67
; NumAgprs: 0
; TotalNumVgprs: 67
; ScratchSize: 0
; MemoryBound: 0
; FloatMode: 240
; IeeeMode: 1
; LDSByteSize: 8192 bytes/workgroup (compile time only)
; SGPRBlocks: 6
; VGPRBlocks: 8
; NumSGPRsForWavesPerEU: 56
; NumVGPRsForWavesPerEU: 67
; AccumOffset: 68
; Occupancy: 7
; WaveLimiterHint : 1
; COMPUTE_PGM_RSRC2:SCRATCH_EN: 0
; COMPUTE_PGM_RSRC2:USER_SGPR: 2
; COMPUTE_PGM_RSRC2:TRAP_HANDLER: 0
; COMPUTE_PGM_RSRC2:TGID_X_EN: 1
; COMPUTE_PGM_RSRC2:TGID_Y_EN: 1
; COMPUTE_PGM_RSRC2:TGID_Z_EN: 1
; COMPUTE_PGM_RSRC2:TIDIG_COMP_CNT: 0
; COMPUTE_PGM_RSRC3_GFX90A:ACCUM_OFFSET: 16
; COMPUTE_PGM_RSRC3_GFX90A:TG_SPLIT: 0
	.section	.text._Z39paged_attention_ll4mi_QKV_mfma16_kernelIDF16_hLN4vllm18Fp8KVCacheDataTypeE1EhLi16ELi64ELi256ELb1ELi11EEvPKT_PKT0_S7_ifPKiS9_S9_iPKfiiiPfSC_PS2_PT2_iSB_SB_,"axG",@progbits,_Z39paged_attention_ll4mi_QKV_mfma16_kernelIDF16_hLN4vllm18Fp8KVCacheDataTypeE1EhLi16ELi64ELi256ELb1ELi11EEvPKT_PKT0_S7_ifPKiS9_S9_iPKfiiiPfSC_PS2_PT2_iSB_SB_,comdat
	.protected	_Z39paged_attention_ll4mi_QKV_mfma16_kernelIDF16_hLN4vllm18Fp8KVCacheDataTypeE1EhLi16ELi64ELi256ELb1ELi11EEvPKT_PKT0_S7_ifPKiS9_S9_iPKfiiiPfSC_PS2_PT2_iSB_SB_ ; -- Begin function _Z39paged_attention_ll4mi_QKV_mfma16_kernelIDF16_hLN4vllm18Fp8KVCacheDataTypeE1EhLi16ELi64ELi256ELb1ELi11EEvPKT_PKT0_S7_ifPKiS9_S9_iPKfiiiPfSC_PS2_PT2_iSB_SB_
	.globl	_Z39paged_attention_ll4mi_QKV_mfma16_kernelIDF16_hLN4vllm18Fp8KVCacheDataTypeE1EhLi16ELi64ELi256ELb1ELi11EEvPKT_PKT0_S7_ifPKiS9_S9_iPKfiiiPfSC_PS2_PT2_iSB_SB_
	.p2align	8
	.type	_Z39paged_attention_ll4mi_QKV_mfma16_kernelIDF16_hLN4vllm18Fp8KVCacheDataTypeE1EhLi16ELi64ELi256ELb1ELi11EEvPKT_PKT0_S7_ifPKiS9_S9_iPKfiiiPfSC_PS2_PT2_iSB_SB_,@function
_Z39paged_attention_ll4mi_QKV_mfma16_kernelIDF16_hLN4vllm18Fp8KVCacheDataTypeE1EhLi16ELi64ELi256ELb1ELi11EEvPKT_PKT0_S7_ifPKiS9_S9_iPKfiiiPfSC_PS2_PT2_iSB_SB_: ; @_Z39paged_attention_ll4mi_QKV_mfma16_kernelIDF16_hLN4vllm18Fp8KVCacheDataTypeE1EhLi16ELi64ELi256ELb1ELi11EEvPKT_PKT0_S7_ifPKiS9_S9_iPKfiiiPfSC_PS2_PT2_iSB_SB_
; %bb.0:
	s_load_dwordx2 s[6:7], s[0:1], 0x30
	s_mov_b32 s28, s3
	s_mov_b64 s[8:9], 0
	s_waitcnt lgkmcnt(0)
	s_cmp_lg_u64 s[6:7], 0
	s_cselect_b64 s[10:11], -1, 0
	s_and_b64 vcc, exec, s[10:11]
	s_cbranch_vccz .LBB778_7
; %bb.1:
	s_add_i32 s12, s2, 1
	s_mov_b32 s13, 0
	s_lshl_b64 s[14:15], s[12:13], 2
	s_add_u32 s14, s6, s14
	s_mov_b32 s3, s13
	s_addc_u32 s15, s7, s15
	s_lshl_b64 s[12:13], s[2:3], 2
	s_add_u32 s12, s6, s12
	s_addc_u32 s13, s7, s13
	s_load_dword s5, s[14:15], 0x0
	s_load_dword s16, s[12:13], 0x0
	s_waitcnt lgkmcnt(0)
	s_sub_i32 s5, s5, s16
	s_cmp_eq_u32 s5, 1
	s_cselect_b64 s[12:13], -1, 0
	s_andn2_b64 vcc, exec, s[8:9]
	s_cbranch_vccnz .LBB778_3
.LBB778_2:
	s_mov_b32 s3, 0
	s_mov_b64 s[12:13], -1
.LBB778_3:
	s_andn2_b64 vcc, exec, s[12:13]
	s_cbranch_vccnz .LBB778_20
; %bb.4:
	s_load_dwordx2 s[8:9], s[0:1], 0x28
	s_lshl_b64 s[12:13], s[2:3], 2
	s_waitcnt lgkmcnt(0)
	s_add_u32 s8, s8, s12
	s_addc_u32 s9, s9, s13
	s_load_dword s29, s[8:9], 0x0
	s_lshl_b32 s16, s28, 8
	s_waitcnt lgkmcnt(0)
	s_cmp_ge_i32 s16, s29
	s_cbranch_scc1 .LBB778_20
; %bb.5:
	s_load_dwordx2 s[8:9], s[0:1], 0x20
	s_load_dword s5, s[0:1], 0x38
	s_add_i32 s14, s29, 15
	s_ashr_i32 s15, s14, 31
	v_and_b32_e32 v1, 0xcf, v0
	s_lshr_b32 s15, s15, 28
	v_add_u32_e32 v1, s16, v1
	s_add_i32 s14, s14, s15
	v_ashrrev_i32_e32 v2, 31, v1
	s_ashr_i32 s17, s14, 4
	v_lshrrev_b32_e32 v4, 28, v2
	s_add_i32 s17, s17, -1
	s_waitcnt lgkmcnt(0)
	s_mul_i32 s14, s2, s5
	s_mov_b32 s15, 0
	v_add_u32_e32 v2, v1, v4
	s_lshl_b64 s[14:15], s[14:15], 2
	v_ashrrev_i32_e32 v2, 4, v2
	v_mov_b32_e32 v5, s17
	v_cmp_gt_i32_e32 vcc, s29, v1
	s_add_u32 s8, s8, s14
	s_addc_u32 s9, s9, s15
	v_cndmask_b32_e32 v2, v5, v2, vcc
	v_ashrrev_i32_e32 v3, 31, v2
	v_lshl_add_u64 v[6:7], v[2:3], 2, s[8:9]
	v_or_b32_e32 v2, 16, v1
	v_add_u32_e32 v3, v2, v4
	v_ashrrev_i32_e32 v3, 4, v3
	v_cmp_gt_i32_e32 vcc, s29, v2
	s_load_dwordx2 s[14:15], s[0:1], 0x8
	s_nop 0
	v_cndmask_b32_e32 v2, v5, v3, vcc
	v_ashrrev_i32_e32 v3, 31, v2
	v_lshl_add_u64 v[8:9], v[2:3], 2, s[8:9]
	v_or_b32_e32 v2, 32, v1
	v_add_u32_e32 v3, v2, v4
	v_ashrrev_i32_e32 v3, 4, v3
	v_cmp_gt_i32_e32 vcc, s29, v2
	v_or_b32_e32 v1, 48, v1
	s_nop 0
	v_cndmask_b32_e32 v2, v5, v3, vcc
	v_ashrrev_i32_e32 v3, 31, v2
	v_lshl_add_u64 v[10:11], v[2:3], 2, s[8:9]
	v_add_u32_e32 v2, v1, v4
	v_ashrrev_i32_e32 v2, 4, v2
	v_cmp_gt_i32_e32 vcc, s29, v1
	s_nop 1
	v_cndmask_b32_e32 v2, v5, v2, vcc
	v_ashrrev_i32_e32 v3, 31, v2
	v_lshl_add_u64 v[12:13], v[2:3], 2, s[8:9]
	global_load_dword v5, v[6:7], off
	global_load_dword v4, v[8:9], off
	;; [unrolled: 1-line block ×4, first 2 shown]
	s_andn2_b64 vcc, exec, s[10:11]
	s_cbranch_vccnz .LBB778_8
; %bb.6:
	s_add_u32 s6, s6, s12
	s_addc_u32 s7, s7, s13
	s_load_dword s5, s[6:7], 0x0
	s_branch .LBB778_9
.LBB778_7:
	s_mov_b64 s[12:13], 0
	s_branch .LBB778_2
.LBB778_8:
	s_mov_b32 s5, s2
.LBB778_9:
	s_load_dwordx2 s[6:7], s[0:1], 0x10
	s_load_dwordx4 s[44:47], s[0:1], 0x48
	v_lshrrev_b32_e32 v29, 6, v0
	v_bfe_u32 v42, v0, 4, 2
	v_lshl_or_b32 v6, v29, 2, v42
	v_and_b32_e32 v28, 15, v0
	v_lshlrev_b32_e32 v1, 3, v28
	v_cmp_gt_u32_e32 vcc, 11, v6
	v_cmp_gt_u32_e64 s[30:31], 8, v28
	s_mul_i32 s48, s4, 11
	s_and_b64 s[12:13], s[30:31], vcc
	v_lshlrev_b32_e32 v26, 1, v1
	v_lshlrev_b32_e32 v1, 4, v0
	s_and_saveexec_b64 s[10:11], s[12:13]
	s_cbranch_execz .LBB778_11
; %bb.10:
	s_load_dwordx2 s[12:13], s[0:1], 0x0
	s_waitcnt lgkmcnt(0)
	s_ashr_i32 s18, s44, 31
	s_mul_hi_u32 s19, s5, s44
	s_mul_i32 s18, s5, s18
	s_add_i32 s19, s19, s18
	s_mul_i32 s18, s5, s44
	s_lshl_b64 s[18:19], s[18:19], 1
	s_add_u32 s12, s12, s18
	v_add_lshl_u32 v8, v6, s48, 6
	s_addc_u32 s13, s13, s19
	v_ashrrev_i32_e32 v9, 31, v8
	v_lshl_add_u64 v[8:9], v[8:9], 1, s[12:13]
	v_mov_b32_e32 v27, 0
	v_lshl_add_u64 v[8:9], v[8:9], 0, v[26:27]
	global_load_dwordx4 v[8:11], v[8:9], off
	v_lshlrev_b32_e32 v12, 8, v28
	v_lshlrev_b32_e32 v6, 5, v6
	v_and_b32_e32 v7, 16, v1
	v_and_b32_e32 v12, 0xe00, v12
	v_or3_b32 v6, v12, v6, v7
	s_waitcnt vmcnt(0)
	ds_write_b128 v6, v[8:11]
.LBB778_11:
	s_or_b64 exec, exec, s[10:11]
	s_waitcnt lgkmcnt(0)
	s_mul_i32 s10, s4, s46
	s_add_u32 s4, s14, s10
	s_addc_u32 s5, s15, 0
	v_and_b32_e32 v32, 48, v0
	v_and_b32_e32 v30, 0xf0, v1
	v_mov_b32_e32 v31, 0
	v_lshl_add_u64 v[6:7], s[4:5], 0, v[30:31]
	v_lshlrev_b32_e32 v30, 4, v32
	v_lshl_add_u64 v[6:7], v[6:7], 0, v[30:31]
	s_waitcnt vmcnt(3)
	v_mad_i64_i32 v[8:9], s[4:5], v5, s45, v[6:7]
	s_waitcnt vmcnt(2)
	v_mad_i64_i32 v[4:5], s[4:5], v4, s45, v[6:7]
	s_barrier
	global_load_dwordx4 v[22:25], v[8:9], off
	global_load_dwordx4 v[18:21], v[4:5], off
	s_waitcnt vmcnt(3)
	v_mad_i64_i32 v[4:5], s[4:5], v3, s45, v[6:7]
	s_waitcnt vmcnt(2)
	v_mad_i64_i32 v[2:3], s[4:5], v2, s45, v[6:7]
	global_load_dwordx4 v[14:17], v[4:5], off
	global_load_dwordx4 v[6:9], v[2:3], off
	v_add_u32_e32 v2, -11, v28
	v_cmp_gt_u32_e32 vcc, 11, v28
	v_and_b32_e32 v27, 63, v0
	v_mov_b32_e32 v43, 0
	v_cndmask_b32_e32 v2, v2, v28, vcc
	v_lshlrev_b32_e32 v2, 5, v2
	v_lshl_add_u32 v2, v42, 9, v2
	ds_read_b128 v[10:13], v2
	ds_read_b128 v[2:5], v2 offset:16
	s_and_saveexec_b64 s[4:5], vcc
	s_cbranch_execz .LBB778_13
; %bb.12:
	s_load_dwordx2 s[12:13], s[0:1], 0x40
	v_add_u32_e32 v34, s48, v28
	v_ashrrev_i32_e32 v35, 31, v34
	s_waitcnt lgkmcnt(0)
	v_lshl_add_u64 v[34:35], v[34:35], 2, s[12:13]
	global_load_dword v43, v[34:35], off
.LBB778_13:
	s_or_b64 exec, exec, s[4:5]
	v_or_b32_e32 v62, s16, v32
	v_ashrrev_i32_e32 v30, 4, v62
	v_mov_b32_e32 v63, s17
	v_cmp_gt_i32_e32 vcc, s29, v62
	s_waitcnt vmcnt(2)
	v_cvt_pk_f32_fp8_e32 v[52:53], v20
	v_cvt_pk_f32_fp8_sdwa v[54:55], v20 src0_sel:WORD_1
	v_cndmask_b32_e32 v20, v63, v30, vcc
	v_cvt_pk_f32_fp8_e32 v[56:57], v21
	v_cvt_pk_f32_fp8_sdwa v[58:59], v21 src0_sel:WORD_1
	v_ashrrev_i32_e32 v21, 31, v20
	v_cvt_pk_f32_fp8_e32 v[40:41], v22
	v_cvt_pk_f32_fp8_sdwa v[44:45], v22 src0_sel:WORD_1
	v_lshl_add_u64 v[20:21], v[20:21], 2, s[8:9]
	v_cvt_pk_f32_fp8_e32 v[46:47], v18
	v_cvt_pk_f32_fp8_sdwa v[48:49], v18 src0_sel:WORD_1
	global_load_dword v64, v[20:21], off
	v_cvt_pk_f32_fp8_e32 v[34:35], v23
	v_cvt_pk_f32_fp8_sdwa v[32:33], v23 src0_sel:WORD_1
	v_cvt_pkrtz_f16_f32 v20, v40, v41
	v_cvt_pkrtz_f16_f32 v21, v44, v45
	v_cvt_pk_f32_fp8_e32 v[36:37], v24
	v_cvt_pk_f32_fp8_sdwa v[38:39], v24 src0_sel:WORD_1
	v_cvt_pk_f32_fp8_e32 v[50:51], v19
	v_cvt_pk_f32_fp8_sdwa v[18:19], v19 src0_sel:WORD_1
	v_cvt_pkrtz_f16_f32 v44, v46, v47
	v_cvt_pkrtz_f16_f32 v45, v48, v49
	v_cvt_pk_f32_fp8_e32 v[22:23], v25
	s_waitcnt vmcnt(2)
	v_cvt_pk_f32_fp8_e32 v[40:41], v14
	v_cvt_pk_f32_fp8_sdwa v[46:47], v14 src0_sel:WORD_1
	v_cvt_pkrtz_f16_f32 v48, v34, v35
	v_cvt_pkrtz_f16_f32 v49, v32, v33
	v_or_b32_e32 v14, 64, v62
	v_or_b32_e32 v32, 0xc0, v62
	v_cvt_pk_f32_fp8_sdwa v[24:25], v25 src0_sel:WORD_1
	s_load_dword s11, s[0:1], 0x1c
	s_load_dwordx4 s[40:43], s[0:1], 0x80
	v_cvt_pkrtz_f16_f32 v36, v36, v37
	v_cvt_pkrtz_f16_f32 v37, v38, v39
	v_or_b32_e32 v65, 0x80, v62
	v_ashrrev_i32_e32 v62, 4, v14
	v_cmp_gt_i32_e32 vcc, s29, v32
	v_ashrrev_i32_e32 v66, 4, v32
	v_cmp_gt_i32_e64 s[4:5], s29, v14
	v_cvt_pkrtz_f16_f32 v38, v50, v51
	v_cvt_pkrtz_f16_f32 v39, v18, v19
	s_waitcnt lgkmcnt(0)
	v_mfma_f32_16x16x16_f16 v[32:35], v[20:21], v[10:11], 0
	s_add_u32 s6, s6, s10
	v_lshlrev_b32_e32 v30, 4, v28
	v_cndmask_b32_e64 v50, v63, v62, s[4:5]
	v_cvt_pkrtz_f16_f32 v62, v22, v23
	v_mfma_f32_16x16x16_f16 v[20:23], v[44:45], v[10:11], 0
	v_lshl_or_b32 v30, v29, 8, v30
	s_addc_u32 s7, s7, 0
	v_ashrrev_i32_e32 v14, 4, v65
	v_lshl_add_u64 v[18:19], s[6:7], 0, v[30:31]
	v_cmp_gt_i32_e64 s[6:7], s29, v65
	v_mfma_f32_16x16x16_f16 v[30:33], v[48:49], v[12:13], v[32:35]
	v_cndmask_b32_e32 v48, v63, v66, vcc
	s_load_dword s4, s[40:41], 0x0
	v_cvt_pk_f32_fp8_e32 v[60:61], v15
	v_cndmask_b32_e64 v34, v63, v14, s[6:7]
	v_cvt_pkrtz_f16_f32 v63, v24, v25
	v_cvt_pkrtz_f16_f32 v24, v52, v53
	;; [unrolled: 1-line block ×3, first 2 shown]
	v_mfma_f32_16x16x16_f16 v[20:23], v[38:39], v[12:13], v[20:23]
	v_cvt_pkrtz_f16_f32 v40, v40, v41
	v_cvt_pkrtz_f16_f32 v41, v46, v47
	v_ashrrev_i32_e32 v51, 31, v50
	v_mfma_f32_16x16x16_f16 v[20:23], v[24:25], v[2:3], v[20:23]
	v_mov_b32_e32 v24, s11
	s_waitcnt lgkmcnt(0)
	v_mul_f32_e32 v54, s4, v24
	v_cvt_pk_f32_fp8_sdwa v[24:25], v15 src0_sel:WORD_1
	v_mfma_f32_16x16x16_f16 v[30:33], v[36:37], v[2:3], v[30:33]
	v_ashrrev_i32_e32 v35, 31, v34
	v_ashrrev_i32_e32 v49, 31, v48
	v_lshl_add_u64 v[36:37], v[50:51], 2, s[8:9]
	v_lshl_add_u64 v[34:35], v[34:35], 2, s[8:9]
	;; [unrolled: 1-line block ×3, first 2 shown]
	global_load_dword v14, v[36:37], off
	global_load_dword v44, v[34:35], off
	;; [unrolled: 1-line block ×3, first 2 shown]
	v_cvt_pkrtz_f16_f32 v46, v60, v61
	v_cvt_pk_f32_fp8_e32 v[48:49], v16
	v_cvt_pk_f32_fp8_sdwa v[50:51], v16 src0_sel:WORD_1
	v_cvt_pkrtz_f16_f32 v47, v24, v25
	v_mfma_f32_16x16x16_f16 v[36:39], v[62:63], v[4:5], v[30:33]
	v_cvt_pkrtz_f16_f32 v24, v48, v49
	v_cvt_pkrtz_f16_f32 v25, v50, v51
	v_cvt_pkrtz_f16_f32 v52, v56, v57
	v_mfma_f32_16x16x16_f16 v[30:33], v[40:41], v[10:11], 0
	v_cvt_pk_f32_fp8_e32 v[40:41], v17
	v_cvt_pk_f32_fp8_sdwa v[16:17], v17 src0_sel:WORD_1
	v_cvt_pkrtz_f16_f32 v53, v58, v59
	v_mfma_f32_16x16x16_f16 v[46:49], v[46:47], v[12:13], v[30:33]
	s_mov_b32 s33, 0xff7fffff
	s_waitcnt vmcnt(3)
	v_mad_i64_i32 v[34:35], s[4:5], v64, s45, v[18:19]
	v_cvt_pkrtz_f16_f32 v32, v40, v41
	v_cvt_pkrtz_f16_f32 v33, v16, v17
	v_mfma_f32_16x16x16_f16 v[46:49], v[24:25], v[2:3], v[46:49]
	v_cvt_pk_f32_fp8_e32 v[16:17], v6
	v_cvt_pk_f32_fp8_sdwa v[24:25], v6 src0_sel:WORD_1
	v_pk_mul_f32 v[30:31], v[54:55], v[38:39] op_sel_hi:[0,1]
	v_mfma_f32_16x16x16_f16 v[46:49], v[32:33], v[4:5], v[46:49]
	v_cvt_pk_f32_fp8_e32 v[32:33], v7
	v_cvt_pkrtz_f16_f32 v16, v16, v17
	v_cvt_pkrtz_f16_f32 v17, v24, v25
	v_cvt_pk_f32_fp8_sdwa v[6:7], v7 src0_sel:WORD_1
	v_pk_mul_f32 v[38:39], v[54:55], v[36:37] op_sel_hi:[0,1]
	v_cvt_pkrtz_f16_f32 v24, v32, v33
	v_cvt_pk_f32_fp8_e32 v[32:33], v8
	v_cvt_pk_f32_fp8_sdwa v[36:37], v8 src0_sel:WORD_1
	v_cvt_pkrtz_f16_f32 v25, v6, v7
	v_mfma_f32_16x16x16_f16 v[20:23], v[52:53], v[4:5], v[20:23]
	v_mfma_f32_16x16x16_f16 v[50:53], v[16:17], v[10:11], 0
	v_cvt_pkrtz_f16_f32 v10, v32, v33
	v_cvt_pkrtz_f16_f32 v11, v36, v37
	v_cvt_pk_f32_fp8_e32 v[16:17], v9
	v_cvt_pk_f32_fp8_sdwa v[32:33], v9 src0_sel:WORD_1
	v_mfma_f32_16x16x16_f16 v[6:9], v[24:25], v[12:13], v[50:53]
	s_nop 0
	v_pk_mul_f32 v[36:37], v[54:55], v[22:23] op_sel_hi:[0,1]
	v_cvt_pkrtz_f16_f32 v12, v16, v17
	v_cvt_pkrtz_f16_f32 v13, v32, v33
	v_mfma_f32_16x16x16_f16 v[6:9], v[10:11], v[2:3], v[6:9]
	v_pk_mul_f32 v[40:41], v[54:55], v[20:21] op_sel_hi:[0,1]
	v_pk_mul_f32 v[24:25], v[54:55], v[48:49] op_sel_hi:[0,1]
	;; [unrolled: 1-line block ×3, first 2 shown]
	v_mfma_f32_16x16x16_f16 v[2:5], v[12:13], v[4:5], v[6:9]
	s_nop 6
	v_pk_mul_f32 v[22:23], v[54:55], v[2:3] op_sel_hi:[0,1]
	v_and_b32_e32 v2, 0xc0, v0
	v_add_u32_e32 v2, s16, v2
	v_lshl_or_b32 v2, v42, 2, v2
	v_or_b32_e32 v3, 1, v2
	v_pk_mul_f32 v[20:21], v[54:55], v[4:5] op_sel_hi:[0,1]
	v_subrev_u32_e32 v4, s29, v3
	v_add_u32_e32 v6, 1, v4
	v_add_u32_e32 v7, 2, v4
	v_add_u32_e32 v8, 3, v4
	v_cvt_f32_i32_e32 v6, v6
	v_cvt_f32_i32_e32 v7, v7
	v_cvt_f32_i32_e32 v8, v8
	v_add_u32_e32 v9, 19, v4
	v_fmac_f32_e32 v39, v43, v6
	v_fma_f32 v30, v43, v7, v30
	v_fmac_f32_e32 v31, v43, v8
	v_add_u32_e32 v6, 16, v4
	v_add_u32_e32 v7, 17, v4
	;; [unrolled: 1-line block ×3, first 2 shown]
	v_cvt_f32_i32_e32 v6, v6
	v_cvt_f32_i32_e32 v7, v7
	;; [unrolled: 1-line block ×4, first 2 shown]
	v_fma_f32 v40, v43, v6, v40
	v_fmac_f32_e32 v41, v43, v7
	v_fma_f32 v36, v43, v8, v36
	v_add_u32_e32 v6, 32, v4
	v_add_u32_e32 v7, 33, v4
	;; [unrolled: 1-line block ×3, first 2 shown]
	v_cvt_f32_i32_e32 v6, v6
	v_cvt_f32_i32_e32 v7, v7
	;; [unrolled: 1-line block ×4, first 2 shown]
	v_fmac_f32_e32 v37, v43, v9
	v_add_u32_e32 v9, 35, v4
	v_fma_f32 v32, v43, v6, v32
	v_fmac_f32_e32 v33, v43, v7
	v_fma_f32 v24, v43, v8, v24
	v_add_u32_e32 v6, 48, v4
	v_add_u32_e32 v7, 49, v4
	;; [unrolled: 1-line block ×4, first 2 shown]
	v_cvt_f32_i32_e32 v4, v4
	v_cvt_f32_i32_e32 v6, v6
	;; [unrolled: 1-line block ×3, first 2 shown]
	v_fma_f32 v5, v43, v5, v38
	v_fmac_f32_e32 v21, v43, v4
	v_mov_b32_e32 v4, 0xff7fffff
	v_cmp_gt_i32_e64 s[4:5], s29, v2
	v_cmp_gt_i32_e64 s[34:35], s29, v3
	v_fma_f32 v22, v43, v6, v22
	v_cndmask_b32_e64 v6, v4, v5, s[4:5]
	v_cndmask_b32_e64 v3, v4, v39, s[34:35]
	v_fmac_f32_e32 v23, v43, v7
	v_max3_f32 v3, v6, s33, v3
	v_or_b32_e32 v6, 2, v2
	v_or_b32_e32 v7, 3, v2
	v_cmp_gt_i32_e64 s[36:37], s29, v6
	v_cmp_gt_i32_e64 s[38:39], s29, v7
	v_cvt_f32_i32_e32 v9, v9
	v_cndmask_b32_e64 v6, v4, v30, s[36:37]
	v_cndmask_b32_e64 v7, v4, v31, s[38:39]
	v_max3_f32 v3, v3, v6, v7
	v_or_b32_e32 v6, 16, v2
	v_or_b32_e32 v7, 17, v2
	v_cmp_gt_i32_e64 s[24:25], s29, v6
	v_cmp_gt_i32_e64 s[26:27], s29, v7
	v_fmac_f32_e32 v25, v43, v9
	v_cndmask_b32_e64 v6, v4, v40, s[24:25]
	v_cndmask_b32_e64 v7, v4, v41, s[26:27]
	v_max3_f32 v3, v3, v6, v7
	v_or_b32_e32 v6, 18, v2
	v_or_b32_e32 v7, 19, v2
	v_cmp_gt_i32_e64 s[20:21], s29, v6
	v_cmp_gt_i32_e64 s[22:23], s29, v7
	v_cvt_f32_i32_e32 v8, v8
	v_cndmask_b32_e64 v6, v4, v36, s[20:21]
	v_cndmask_b32_e64 v7, v4, v37, s[22:23]
	v_max3_f32 v3, v3, v6, v7
	v_or_b32_e32 v6, 32, v2
	v_or_b32_e32 v7, 33, v2
	v_cmp_gt_i32_e64 s[16:17], s29, v6
	v_cmp_gt_i32_e64 s[18:19], s29, v7
	v_fma_f32 v20, v43, v8, v20
	v_cndmask_b32_e64 v6, v4, v32, s[16:17]
	v_cndmask_b32_e64 v7, v4, v33, s[18:19]
	v_max3_f32 v3, v3, v6, v7
	v_or_b32_e32 v6, 34, v2
	v_or_b32_e32 v7, 35, v2
	v_cmp_gt_i32_e64 s[12:13], s29, v6
	v_cmp_gt_i32_e64 s[14:15], s29, v7
	s_nop 0
	v_cndmask_b32_e64 v6, v4, v24, s[12:13]
	v_cndmask_b32_e64 v7, v4, v25, s[14:15]
	v_max3_f32 v3, v3, v6, v7
	v_or_b32_e32 v6, 48, v2
	v_or_b32_e32 v7, 49, v2
	v_cmp_gt_i32_e64 s[8:9], s29, v6
	v_cmp_gt_i32_e64 s[10:11], s29, v7
	s_nop 0
	v_cndmask_b32_e64 v6, v4, v22, s[8:9]
	v_cndmask_b32_e64 v7, v4, v23, s[10:11]
	v_max3_f32 v3, v3, v6, v7
	v_or_b32_e32 v6, 50, v2
	v_or_b32_e32 v2, 51, v2
	v_cmp_gt_i32_e32 vcc, s29, v6
	v_cmp_gt_i32_e64 s[6:7], s29, v2
	s_nop 0
	v_cndmask_b32_e32 v6, v4, v20, vcc
	v_cndmask_b32_e64 v2, v4, v21, s[6:7]
	v_max3_f32 v4, v3, v6, v2
	v_mbcnt_lo_u32_b32 v2, -1, 0
	v_mbcnt_hi_u32_b32 v6, -1, v2
	v_and_b32_e32 v2, 64, v6
	v_add_u32_e32 v7, 64, v2
	v_xor_b32_e32 v2, 32, v6
	v_cmp_lt_i32_e64 s[40:41], v2, v7
	s_nop 1
	v_cndmask_b32_e64 v2, v6, v2, s[40:41]
	v_lshlrev_b32_e32 v43, 2, v2
	ds_bpermute_b32 v8, v43, v4
	s_waitcnt vmcnt(2)
	v_mad_i64_i32 v[2:3], s[40:41], v14, s45, v[18:19]
	global_load_dwordx4 v[14:17], v[34:35], off
	global_load_dwordx4 v[10:13], v[2:3], off
	v_xor_b32_e32 v3, 16, v6
	v_cmp_lt_i32_e64 s[40:41], v3, v7
	s_waitcnt lgkmcnt(0)
	v_max_f32_e32 v2, v8, v8
	v_max_f32_e32 v2, v4, v2
	v_cndmask_b32_e64 v3, v6, v3, s[40:41]
	v_lshlrev_b32_e32 v46, 2, v3
	ds_bpermute_b32 v3, v46, v2
	s_waitcnt vmcnt(3)
	v_mad_i64_i32 v[34:35], s[40:41], v44, s45, v[18:19]
	s_waitcnt vmcnt(2)
	v_mad_i64_i32 v[18:19], s[40:41], v45, s45, v[18:19]
	s_waitcnt lgkmcnt(0)
	v_max_f32_e32 v3, v3, v3
	v_max_f32_e32 v38, v2, v3
	v_sub_f32_e32 v2, v5, v38
	v_mul_f32_e32 v2, 0x3fb8aa3b, v2
	v_exp_f32_e32 v44, v2
	v_sub_f32_e32 v2, v39, v38
	v_mul_f32_e32 v2, 0x3fb8aa3b, v2
	v_exp_f32_e32 v39, v2
	global_load_dwordx4 v[6:9], v[34:35], off
	global_load_dwordx4 v[2:5], v[18:19], off
	v_sub_f32_e32 v30, v30, v38
	v_mul_f32_e32 v30, 0x3fb8aa3b, v30
	v_sub_f32_e32 v31, v31, v38
	v_exp_f32_e32 v30, v30
	v_mul_f32_e32 v31, 0x3fb8aa3b, v31
	v_exp_f32_e32 v31, v31
	v_cndmask_b32_e64 v18, 0, v44, s[4:5]
	v_add_f32_e32 v34, 0, v18
	v_cndmask_b32_e64 v19, 0, v39, s[34:35]
	v_add_f32_e32 v35, v34, v19
	;; [unrolled: 2-line block ×3, first 2 shown]
	v_cndmask_b32_e64 v35, 0, v31, s[38:39]
	v_sub_f32_e32 v31, v40, v38
	v_mul_f32_e32 v31, 0x3fb8aa3b, v31
	v_sub_f32_e32 v39, v41, v38
	v_exp_f32_e32 v31, v31
	v_mul_f32_e32 v39, 0x3fb8aa3b, v39
	v_sub_f32_e32 v36, v36, v38
	v_exp_f32_e32 v39, v39
	v_mul_f32_e32 v36, 0x3fb8aa3b, v36
	v_sub_f32_e32 v37, v37, v38
	v_exp_f32_e32 v36, v36
	v_mul_f32_e32 v37, 0x3fb8aa3b, v37
	v_sub_f32_e32 v32, v32, v38
	v_exp_f32_e32 v37, v37
	v_mul_f32_e32 v32, 0x3fb8aa3b, v32
	v_sub_f32_e32 v33, v33, v38
	v_add_f32_e32 v40, v30, v35
	v_cndmask_b32_e64 v30, 0, v31, s[24:25]
	v_exp_f32_e32 v32, v32
	v_mul_f32_e32 v33, 0x3fb8aa3b, v33
	v_sub_f32_e32 v24, v24, v38
	v_add_f32_e32 v40, v40, v30
	v_cndmask_b32_e64 v31, 0, v39, s[26:27]
	v_exp_f32_e32 v33, v33
	;; [unrolled: 5-line block ×7, first 2 shown]
	v_mul_f32_e32 v21, 0x3fb8aa3b, v21
	v_add_f32_e32 v39, v39, v24
	v_cndmask_b32_e64 v25, 0, v25, s[14:15]
	v_exp_f32_e32 v21, v21
	v_add_f32_e32 v39, v39, v25
	v_cndmask_b32_e64 v22, 0, v22, s[8:9]
	v_add_f32_e32 v39, v39, v22
	v_cndmask_b32_e64 v23, 0, v23, s[10:11]
	v_add_f32_e32 v39, v39, v23
	v_cndmask_b32_e32 v20, 0, v20, vcc
	v_add_f32_e32 v39, v39, v20
	v_cndmask_b32_e64 v21, 0, v21, s[6:7]
	v_add_f32_e32 v39, v39, v21
	ds_bpermute_b32 v40, v43, v39
	s_load_dword s7, s[0:1], 0x98
	v_cmp_gt_u32_e32 vcc, 16, v27
	s_waitcnt lgkmcnt(0)
	s_barrier
	v_add_f32_e32 v40, v39, v40
	ds_bpermute_b32 v41, v46, v40
	v_lshlrev_b32_e32 v39, 2, v28
	s_waitcnt lgkmcnt(0)
	s_and_saveexec_b64 s[4:5], vcc
	s_cbranch_execz .LBB778_15
; %bb.14:
	v_add_f32_e32 v27, v40, v41
	v_lshl_or_b32 v40, v29, 6, v39
	ds_write2st64_b32 v40, v38, v27 offset1:1
.LBB778_15:
	s_or_b64 exec, exec, s[4:5]
	s_load_dword s6, s[0:1], 0x94
	s_waitcnt lgkmcnt(0)
	s_barrier
	ds_read2_b32 v[40:41], v39 offset1:16
	ds_read2_b32 v[44:45], v39 offset0:32 offset1:48
	ds_read2_b32 v[46:47], v39 offset0:64 offset1:80
	s_mul_i32 s7, s7, 11
	s_waitcnt lgkmcnt(2)
	v_max3_f32 v27, v40, s33, v41
	s_waitcnt lgkmcnt(1)
	v_max3_f32 v27, v27, v44, v45
	v_sub_f32_e32 v38, v40, v27
	v_mul_f32_e32 v38, 0x3fb8aa3b, v38
	v_exp_f32_e32 v43, v38
	v_sub_f32_e32 v38, v41, v27
	v_mul_f32_e32 v38, 0x3fb8aa3b, v38
	v_exp_f32_e32 v48, v38
	;; [unrolled: 3-line block ×3, first 2 shown]
	ds_read2_b32 v[40:41], v39 offset0:96 offset1:112
	v_sub_f32_e32 v38, v45, v27
	v_mul_f32_e32 v38, 0x3fb8aa3b, v38
	v_exp_f32_e32 v39, v38
	s_waitcnt lgkmcnt(1)
	v_fma_f32 v38, v43, v46, 0
	v_fmac_f32_e32 v38, v48, v47
	s_waitcnt lgkmcnt(0)
	v_fmac_f32_e32 v38, v44, v40
	v_fmac_f32_e32 v38, v39, v41
	v_add_f32_e32 v40, 0x358637bd, v38
	v_div_scale_f32 v41, s[4:5], v40, v40, 1.0
	v_rcp_f32_e32 v45, v41
	s_barrier
	v_fma_f32 v46, -v41, v45, 1.0
	v_fmac_f32_e32 v45, v46, v45
	v_div_scale_f32 v46, vcc, 1.0, v40, 1.0
	v_mul_f32_e32 v47, v46, v45
	v_fma_f32 v49, -v41, v47, v46
	v_fmac_f32_e32 v47, v49, v45
	v_fma_f32 v41, -v41, v47, v46
	v_div_fmas_f32 v41, v41, v45, v47
	v_cmp_eq_u32_e32 vcc, 1, v29
	v_div_fixup_f32 v40, v41, v40, 1.0
	s_nop 0
	v_cndmask_b32_e32 v41, v43, v48, vcc
	v_cmp_eq_u32_e32 vcc, 2, v29
	s_nop 1
	v_cndmask_b32_e32 v41, v41, v44, vcc
	v_cmp_eq_u32_e32 vcc, 3, v29
	v_lshlrev_b32_e32 v29, 11, v29
	s_nop 0
	v_cndmask_b32_e32 v39, v41, v39, vcc
	v_mul_f32_e32 v40, v39, v40
	v_pk_mul_f32 v[18:19], v[40:41], v[18:19] op_sel_hi:[0,1]
	v_pk_mul_f32 v[34:35], v[40:41], v[34:35] op_sel_hi:[0,1]
	v_cvt_f16_f32_e32 v18, v18
	v_cvt_f16_f32_e32 v19, v19
	v_pk_mul_f32 v[36:37], v[40:41], v[36:37] op_sel_hi:[0,1]
	v_pk_mul_f32 v[30:31], v[40:41], v[30:31] op_sel_hi:[0,1]
	v_cvt_f16_f32_e32 v39, v34
	v_cvt_f16_f32_e32 v35, v35
	;; [unrolled: 1-line block ×6, first 2 shown]
	v_pack_b32_f16 v34, v18, v19
	v_lshlrev_b32_e32 v18, 3, v42
	v_lshlrev_b32_e32 v19, 5, v28
	v_pack_b32_f16 v35, v39, v35
	v_or3_b32 v18, v29, v19, v18
	v_pack_b32_f16 v30, v30, v31
	v_pack_b32_f16 v31, v36, v37
	ds_write2st64_b64 v18, v[34:35], v[30:31] offset1:1
	v_pk_mul_f32 v[24:25], v[40:41], v[24:25] op_sel_hi:[0,1]
	v_pk_mul_f32 v[30:31], v[40:41], v[32:33] op_sel_hi:[0,1]
	;; [unrolled: 1-line block ×4, first 2 shown]
	v_cvt_f16_f32_e32 v29, v30
	v_cvt_f16_f32_e32 v30, v31
	;; [unrolled: 1-line block ×8, first 2 shown]
	v_pack_b32_f16 v20, v29, v30
	v_pack_b32_f16 v21, v24, v25
	;; [unrolled: 1-line block ×4, first 2 shown]
	v_cmp_gt_u32_e32 vcc, 11, v0
	ds_write2st64_b64 v18, v[20:21], v[22:23] offset0:2 offset1:3
	s_and_saveexec_b64 s[4:5], vcc
	s_cbranch_execz .LBB778_17
; %bb.16:
	s_mov_b32 s49, 0
	v_mov_b32_e32 v29, 0
	v_lshl_add_u64 v[20:21], s[48:49], 0, v[28:29]
	v_mov_b32_e32 v22, s7
	v_mad_u64_u32 v[20:21], s[12:13], s2, v22, v[20:21]
	s_mul_i32 s3, s3, s7
	v_mov_b32_e32 v28, s28
	s_load_dwordx4 s[8:11], s[0:1], 0x58
	v_add_u32_e32 v23, s3, v21
	v_mad_u64_u32 v[20:21], s[12:13], v20, s6, v[28:29]
	v_mov_b32_e32 v22, v21
	v_mad_u64_u32 v[22:23], s[12:13], v23, s6, v[22:23]
	v_mov_b32_e32 v21, v22
	v_lshlrev_b64 v[20:21], 2, v[20:21]
	s_waitcnt lgkmcnt(0)
	v_lshl_add_u64 v[22:23], s[10:11], 0, v[20:21]
	v_lshl_add_u64 v[20:21], s[8:9], 0, v[20:21]
	global_store_dword v[22:23], v27, off
	global_store_dword v[20:21], v38, off
.LBB778_17:
	s_or_b64 exec, exec, s[4:5]
	s_waitcnt vmcnt(3)
	v_cvt_pk_f32_fp8_e32 v[20:21], v14
	v_cvt_pk_f32_fp8_sdwa v[22:23], v14 src0_sel:WORD_1
	v_lshl_or_b32 v14, v42, 9, v19
	s_waitcnt lgkmcnt(0)
	s_barrier
	v_cvt_pk_f32_fp8_e32 v[24:25], v15
	v_cvt_pkrtz_f16_f32 v32, v20, v21
	v_cvt_pkrtz_f16_f32 v33, v22, v23
	v_cvt_pk_f32_fp8_sdwa v[28:29], v15 src0_sel:WORD_1
	ds_read_b128 v[20:23], v14
	v_cvt_pkrtz_f16_f32 v24, v24, v25
	v_cvt_pk_f32_fp8_e32 v[36:37], v16
	v_cvt_pkrtz_f16_f32 v25, v28, v29
	ds_read_b128 v[28:31], v14 offset:16
	v_cvt_pk_f32_fp8_sdwa v[38:39], v16 src0_sel:WORD_1
	s_waitcnt lgkmcnt(1)
	v_mfma_f32_16x16x16_f16 v[32:35], v[32:33], v[20:21], 0
	v_cvt_pkrtz_f16_f32 v36, v36, v37
	s_load_dword s4, s[42:43], 0x0
	v_cvt_pkrtz_f16_f32 v37, v38, v39
	v_cvt_pk_f32_fp8_e32 v[38:39], v17
	v_cvt_pk_f32_fp8_sdwa v[16:17], v17 src0_sel:WORD_1
	v_mfma_f32_16x16x16_f16 v[20:23], v[24:25], v[22:23], v[32:35]
	v_cmp_gt_u32_e32 vcc, 64, v0
	v_cvt_pkrtz_f16_f32 v24, v38, v39
	v_cvt_pkrtz_f16_f32 v25, v16, v17
	s_waitcnt lgkmcnt(0)
	v_mfma_f32_16x16x16_f16 v[20:23], v[36:37], v[28:29], v[20:23]
	s_waitcnt vmcnt(2)
	v_cvt_pk_f32_fp8_e32 v[16:17], v10
	v_cvt_pk_f32_fp8_e32 v[28:29], v11
	v_cvt_pk_f32_fp8_sdwa v[36:37], v12 src0_sel:WORD_1
	v_mfma_f32_16x16x16_f16 v[20:23], v[24:25], v[30:31], v[20:23]
	v_cvt_pk_f32_fp8_sdwa v[24:25], v10 src0_sel:WORD_1
	v_cvt_pkrtz_f16_f32 v10, v16, v17
	v_cvt_pk_f32_fp8_sdwa v[16:17], v11 src0_sel:WORD_1
	ds_read_b128 v[32:35], v14 offset:2064
	v_cvt_pkrtz_f16_f32 v11, v24, v25
	v_cvt_pkrtz_f16_f32 v24, v28, v29
	ds_read_b128 v[28:31], v14 offset:2048
	v_cvt_pkrtz_f16_f32 v25, v16, v17
	v_cvt_pk_f32_fp8_e32 v[16:17], v12
	s_waitcnt lgkmcnt(0)
	v_mfma_f32_16x16x16_f16 v[20:23], v[10:11], v[28:29], v[20:23]
	v_cvt_pkrtz_f16_f32 v10, v16, v17
	v_cvt_pkrtz_f16_f32 v11, v36, v37
	v_cvt_pk_f32_fp8_e32 v[16:17], v13
	v_mfma_f32_16x16x16_f16 v[20:23], v[24:25], v[30:31], v[20:23]
	v_cvt_pk_f32_fp8_sdwa v[24:25], v13 src0_sel:WORD_1
	ds_read_b128 v[28:31], v14 offset:4112
	v_cvt_pkrtz_f16_f32 v16, v16, v17
	v_mfma_f32_16x16x16_f16 v[10:13], v[10:11], v[32:33], v[20:23]
	v_cvt_pkrtz_f16_f32 v17, v24, v25
	s_waitcnt vmcnt(1)
	v_cvt_pk_f32_fp8_sdwa v[24:25], v7 src0_sel:WORD_1
	v_cvt_pk_f32_fp8_sdwa v[32:33], v8 src0_sel:WORD_1
	v_cvt_pk_f32_fp8_e32 v[20:21], v6
	v_mfma_f32_16x16x16_f16 v[10:13], v[16:17], v[34:35], v[10:13]
	v_cvt_pk_f32_fp8_sdwa v[16:17], v6 src0_sel:WORD_1
	v_cvt_pk_f32_fp8_e32 v[22:23], v7
	v_cvt_pkrtz_f16_f32 v6, v20, v21
	s_mov_b32 s3, 0
	v_cvt_pkrtz_f16_f32 v7, v16, v17
	v_cvt_pkrtz_f16_f32 v16, v22, v23
	ds_read_b128 v[20:23], v14 offset:4096
	v_cvt_pkrtz_f16_f32 v17, v24, v25
	v_cvt_pk_f32_fp8_e32 v[24:25], v8
	s_waitcnt lgkmcnt(0)
	v_mfma_f32_16x16x16_f16 v[10:13], v[6:7], v[20:21], v[10:13]
	v_cvt_pkrtz_f16_f32 v6, v24, v25
	v_cvt_pkrtz_f16_f32 v7, v32, v33
	v_cvt_pk_f32_fp8_e32 v[20:21], v9
	v_mfma_f32_16x16x16_f16 v[10:13], v[16:17], v[22:23], v[10:13]
	v_cvt_pk_f32_fp8_sdwa v[16:17], v9 src0_sel:WORD_1
	s_waitcnt vmcnt(0)
	v_cvt_pk_f32_fp8_sdwa v[24:25], v4 src0_sel:WORD_1
	v_cvt_pkrtz_f16_f32 v20, v20, v21
	v_mfma_f32_16x16x16_f16 v[6:9], v[6:7], v[28:29], v[10:13]
	v_cvt_pkrtz_f16_f32 v21, v16, v17
	v_cvt_pk_f32_fp8_e32 v[16:17], v3
	v_mov_b32_e32 v27, 0
	v_cvt_pk_f32_fp8_e32 v[10:11], v2
	v_cvt_pk_f32_fp8_sdwa v[12:13], v2 src0_sel:WORD_1
	v_mfma_f32_16x16x16_f16 v[6:9], v[20:21], v[30:31], v[6:9]
	v_cvt_pk_f32_fp8_sdwa v[20:21], v3 src0_sel:WORD_1
	v_cvt_pkrtz_f16_f32 v2, v10, v11
	v_cvt_pkrtz_f16_f32 v3, v12, v13
	ds_read_b128 v[10:13], v14 offset:6144
	v_cvt_pkrtz_f16_f32 v22, v16, v17
	v_cvt_pkrtz_f16_f32 v23, v20, v21
	v_cvt_pk_f32_fp8_e32 v[20:21], v4
	s_waitcnt lgkmcnt(0)
	v_mfma_f32_16x16x16_f16 v[6:9], v[2:3], v[10:11], v[6:9]
	ds_read_b128 v[14:17], v14 offset:6160
	v_cvt_pkrtz_f16_f32 v2, v20, v21
	v_cvt_pkrtz_f16_f32 v3, v24, v25
	v_cvt_pk_f32_fp8_e32 v[10:11], v5
	v_mfma_f32_16x16x16_f16 v[6:9], v[22:23], v[12:13], v[6:9]
	v_cvt_pk_f32_fp8_sdwa v[12:13], v5 src0_sel:WORD_1
	s_waitcnt lgkmcnt(0)
	v_cvt_pkrtz_f16_f32 v10, v10, v11
	v_mfma_f32_16x16x16_f16 v[2:5], v[2:3], v[14:15], v[6:9]
	v_cvt_pkrtz_f16_f32 v11, v12, v13
	s_barrier
	s_nop 0
	v_mfma_f32_16x16x16_f16 v[2:5], v[10:11], v[16:17], v[2:5]
	s_nop 6
	v_pk_mul_f32 v[4:5], v[4:5], s[4:5] op_sel_hi:[1,0]
	v_pk_mul_f32 v[2:3], v[2:3], s[4:5] op_sel_hi:[1,0]
	v_cvt_f16_f32_e32 v4, v4
	v_cvt_f16_f32_e32 v2, v2
	;; [unrolled: 1-line block ×4, first 2 shown]
	s_and_b64 s[4:5], vcc, s[30:31]
	v_pack_b32_f16 v2, v2, v3
	v_pack_b32_f16 v3, v4, v5
	ds_write_b64 v18, v[2:3]
	s_waitcnt lgkmcnt(0)
	s_barrier
	s_and_saveexec_b64 s[8:9], s[4:5]
	s_cbranch_execz .LBB778_20
; %bb.18:
	s_load_dwordx2 s[4:5], s[0:1], 0x68
	s_lshl_b32 s0, s6, 6
	s_mul_i32 s1, s7, s2
	s_mul_hi_u32 s7, s1, s0
	s_mul_i32 s6, s1, s0
	v_lshlrev_b32_e32 v0, 10, v0
	s_lshl_b64 s[6:7], s[6:7], 1
	v_and_b32_e32 v0, 0x1800, v0
	v_lshlrev_b32_e32 v2, 5, v42
	v_and_b32_e32 v1, 16, v1
	s_waitcnt lgkmcnt(0)
	s_add_u32 s1, s4, s6
	v_or3_b32 v2, v0, v2, v1
	s_addc_u32 s4, s5, s7
	s_lshl_b32 s2, s28, 6
	s_lshl_b64 s[2:3], s[2:3], 1
	ds_read_b128 v[4:7], v2 offset:128
	ds_read_b128 v[8:11], v2
	s_add_u32 s2, s1, s2
	s_addc_u32 s3, s4, s3
	v_add_u32_e32 v3, s48, v42
	v_lshl_add_u64 v[0:1], s[2:3], 0, v[26:27]
	v_mad_u64_u32 v[12:13], s[2:3], v3, s0, 0
	v_lshl_add_u64 v[12:13], v[12:13], 1, v[0:1]
	v_add_u32_e32 v3, 4, v3
	s_waitcnt lgkmcnt(0)
	global_store_dwordx4 v[12:13], v[8:11], off
	v_cmp_ne_u32_e32 vcc, 3, v42
	s_nop 0
	v_mad_u64_u32 v[8:9], s[2:3], v3, s0, 0
	v_lshl_add_u64 v[8:9], v[8:9], 1, v[0:1]
	global_store_dwordx4 v[8:9], v[4:7], off
	s_and_b64 exec, exec, vcc
	s_cbranch_execz .LBB778_20
; %bb.19:
	ds_read_b128 v[2:5], v2 offset:256
	v_add3_u32 v6, s48, v42, 8
	v_mad_u64_u32 v[6:7], s[0:1], v6, s0, 0
	v_lshl_add_u64 v[0:1], v[6:7], 1, v[0:1]
	s_waitcnt lgkmcnt(0)
	global_store_dwordx4 v[0:1], v[2:5], off
.LBB778_20:
	s_endpgm
	.section	.rodata,"a",@progbits
	.p2align	6, 0x0
	.amdhsa_kernel _Z39paged_attention_ll4mi_QKV_mfma16_kernelIDF16_hLN4vllm18Fp8KVCacheDataTypeE1EhLi16ELi64ELi256ELb1ELi11EEvPKT_PKT0_S7_ifPKiS9_S9_iPKfiiiPfSC_PS2_PT2_iSB_SB_
		.amdhsa_group_segment_fixed_size 8192
		.amdhsa_private_segment_fixed_size 0
		.amdhsa_kernarg_size 400
		.amdhsa_user_sgpr_count 2
		.amdhsa_user_sgpr_dispatch_ptr 0
		.amdhsa_user_sgpr_queue_ptr 0
		.amdhsa_user_sgpr_kernarg_segment_ptr 1
		.amdhsa_user_sgpr_dispatch_id 0
		.amdhsa_user_sgpr_kernarg_preload_length 0
		.amdhsa_user_sgpr_kernarg_preload_offset 0
		.amdhsa_user_sgpr_private_segment_size 0
		.amdhsa_uses_dynamic_stack 0
		.amdhsa_enable_private_segment 0
		.amdhsa_system_sgpr_workgroup_id_x 1
		.amdhsa_system_sgpr_workgroup_id_y 1
		.amdhsa_system_sgpr_workgroup_id_z 1
		.amdhsa_system_sgpr_workgroup_info 0
		.amdhsa_system_vgpr_workitem_id 0
		.amdhsa_next_free_vgpr 67
		.amdhsa_next_free_sgpr 50
		.amdhsa_accum_offset 68
		.amdhsa_reserve_vcc 1
		.amdhsa_float_round_mode_32 0
		.amdhsa_float_round_mode_16_64 0
		.amdhsa_float_denorm_mode_32 3
		.amdhsa_float_denorm_mode_16_64 3
		.amdhsa_dx10_clamp 1
		.amdhsa_ieee_mode 1
		.amdhsa_fp16_overflow 0
		.amdhsa_tg_split 0
		.amdhsa_exception_fp_ieee_invalid_op 0
		.amdhsa_exception_fp_denorm_src 0
		.amdhsa_exception_fp_ieee_div_zero 0
		.amdhsa_exception_fp_ieee_overflow 0
		.amdhsa_exception_fp_ieee_underflow 0
		.amdhsa_exception_fp_ieee_inexact 0
		.amdhsa_exception_int_div_zero 0
	.end_amdhsa_kernel
	.section	.text._Z39paged_attention_ll4mi_QKV_mfma16_kernelIDF16_hLN4vllm18Fp8KVCacheDataTypeE1EhLi16ELi64ELi256ELb1ELi11EEvPKT_PKT0_S7_ifPKiS9_S9_iPKfiiiPfSC_PS2_PT2_iSB_SB_,"axG",@progbits,_Z39paged_attention_ll4mi_QKV_mfma16_kernelIDF16_hLN4vllm18Fp8KVCacheDataTypeE1EhLi16ELi64ELi256ELb1ELi11EEvPKT_PKT0_S7_ifPKiS9_S9_iPKfiiiPfSC_PS2_PT2_iSB_SB_,comdat
.Lfunc_end778:
	.size	_Z39paged_attention_ll4mi_QKV_mfma16_kernelIDF16_hLN4vllm18Fp8KVCacheDataTypeE1EhLi16ELi64ELi256ELb1ELi11EEvPKT_PKT0_S7_ifPKiS9_S9_iPKfiiiPfSC_PS2_PT2_iSB_SB_, .Lfunc_end778-_Z39paged_attention_ll4mi_QKV_mfma16_kernelIDF16_hLN4vllm18Fp8KVCacheDataTypeE1EhLi16ELi64ELi256ELb1ELi11EEvPKT_PKT0_S7_ifPKiS9_S9_iPKfiiiPfSC_PS2_PT2_iSB_SB_
                                        ; -- End function
	.section	.AMDGPU.csdata,"",@progbits
; Kernel info:
; codeLenInByte = 4868
; NumSgprs: 56
; NumVgprs: 67
; NumAgprs: 0
; TotalNumVgprs: 67
; ScratchSize: 0
; MemoryBound: 0
; FloatMode: 240
; IeeeMode: 1
; LDSByteSize: 8192 bytes/workgroup (compile time only)
; SGPRBlocks: 6
; VGPRBlocks: 8
; NumSGPRsForWavesPerEU: 56
; NumVGPRsForWavesPerEU: 67
; AccumOffset: 68
; Occupancy: 7
; WaveLimiterHint : 1
; COMPUTE_PGM_RSRC2:SCRATCH_EN: 0
; COMPUTE_PGM_RSRC2:USER_SGPR: 2
; COMPUTE_PGM_RSRC2:TRAP_HANDLER: 0
; COMPUTE_PGM_RSRC2:TGID_X_EN: 1
; COMPUTE_PGM_RSRC2:TGID_Y_EN: 1
; COMPUTE_PGM_RSRC2:TGID_Z_EN: 1
; COMPUTE_PGM_RSRC2:TIDIG_COMP_CNT: 0
; COMPUTE_PGM_RSRC3_GFX90A:ACCUM_OFFSET: 16
; COMPUTE_PGM_RSRC3_GFX90A:TG_SPLIT: 0
	.section	.text._Z39paged_attention_ll4mi_QKV_mfma16_kernelIDF16_hLN4vllm18Fp8KVCacheDataTypeE1EhLi16ELi64ELi256ELb1ELi12EEvPKT_PKT0_S7_ifPKiS9_S9_iPKfiiiPfSC_PS2_PT2_iSB_SB_,"axG",@progbits,_Z39paged_attention_ll4mi_QKV_mfma16_kernelIDF16_hLN4vllm18Fp8KVCacheDataTypeE1EhLi16ELi64ELi256ELb1ELi12EEvPKT_PKT0_S7_ifPKiS9_S9_iPKfiiiPfSC_PS2_PT2_iSB_SB_,comdat
	.protected	_Z39paged_attention_ll4mi_QKV_mfma16_kernelIDF16_hLN4vllm18Fp8KVCacheDataTypeE1EhLi16ELi64ELi256ELb1ELi12EEvPKT_PKT0_S7_ifPKiS9_S9_iPKfiiiPfSC_PS2_PT2_iSB_SB_ ; -- Begin function _Z39paged_attention_ll4mi_QKV_mfma16_kernelIDF16_hLN4vllm18Fp8KVCacheDataTypeE1EhLi16ELi64ELi256ELb1ELi12EEvPKT_PKT0_S7_ifPKiS9_S9_iPKfiiiPfSC_PS2_PT2_iSB_SB_
	.globl	_Z39paged_attention_ll4mi_QKV_mfma16_kernelIDF16_hLN4vllm18Fp8KVCacheDataTypeE1EhLi16ELi64ELi256ELb1ELi12EEvPKT_PKT0_S7_ifPKiS9_S9_iPKfiiiPfSC_PS2_PT2_iSB_SB_
	.p2align	8
	.type	_Z39paged_attention_ll4mi_QKV_mfma16_kernelIDF16_hLN4vllm18Fp8KVCacheDataTypeE1EhLi16ELi64ELi256ELb1ELi12EEvPKT_PKT0_S7_ifPKiS9_S9_iPKfiiiPfSC_PS2_PT2_iSB_SB_,@function
_Z39paged_attention_ll4mi_QKV_mfma16_kernelIDF16_hLN4vllm18Fp8KVCacheDataTypeE1EhLi16ELi64ELi256ELb1ELi12EEvPKT_PKT0_S7_ifPKiS9_S9_iPKfiiiPfSC_PS2_PT2_iSB_SB_: ; @_Z39paged_attention_ll4mi_QKV_mfma16_kernelIDF16_hLN4vllm18Fp8KVCacheDataTypeE1EhLi16ELi64ELi256ELb1ELi12EEvPKT_PKT0_S7_ifPKiS9_S9_iPKfiiiPfSC_PS2_PT2_iSB_SB_
; %bb.0:
	s_load_dwordx2 s[6:7], s[0:1], 0x30
	s_mov_b32 s28, s3
	s_mov_b64 s[8:9], 0
	s_waitcnt lgkmcnt(0)
	s_cmp_lg_u64 s[6:7], 0
	s_cselect_b64 s[10:11], -1, 0
	s_and_b64 vcc, exec, s[10:11]
	s_cbranch_vccz .LBB779_7
; %bb.1:
	s_add_i32 s12, s2, 1
	s_mov_b32 s13, 0
	s_lshl_b64 s[14:15], s[12:13], 2
	s_add_u32 s14, s6, s14
	s_mov_b32 s3, s13
	s_addc_u32 s15, s7, s15
	s_lshl_b64 s[12:13], s[2:3], 2
	s_add_u32 s12, s6, s12
	s_addc_u32 s13, s7, s13
	s_load_dword s5, s[14:15], 0x0
	s_load_dword s16, s[12:13], 0x0
	s_waitcnt lgkmcnt(0)
	s_sub_i32 s5, s5, s16
	s_cmp_eq_u32 s5, 1
	s_cselect_b64 s[12:13], -1, 0
	s_andn2_b64 vcc, exec, s[8:9]
	s_cbranch_vccnz .LBB779_3
.LBB779_2:
	s_mov_b32 s3, 0
	s_mov_b64 s[12:13], -1
.LBB779_3:
	s_andn2_b64 vcc, exec, s[12:13]
	s_cbranch_vccnz .LBB779_19
; %bb.4:
	s_load_dwordx2 s[8:9], s[0:1], 0x28
	s_lshl_b64 s[12:13], s[2:3], 2
	s_waitcnt lgkmcnt(0)
	s_add_u32 s8, s8, s12
	s_addc_u32 s9, s9, s13
	s_load_dword s29, s[8:9], 0x0
	s_lshl_b32 s16, s28, 8
	s_waitcnt lgkmcnt(0)
	s_cmp_ge_i32 s16, s29
	s_cbranch_scc1 .LBB779_19
; %bb.5:
	s_load_dwordx2 s[8:9], s[0:1], 0x20
	s_load_dword s5, s[0:1], 0x38
	s_add_i32 s14, s29, 15
	s_ashr_i32 s15, s14, 31
	v_and_b32_e32 v1, 0xcf, v0
	s_lshr_b32 s15, s15, 28
	v_add_u32_e32 v1, s16, v1
	s_add_i32 s14, s14, s15
	v_ashrrev_i32_e32 v2, 31, v1
	s_ashr_i32 s17, s14, 4
	v_lshrrev_b32_e32 v4, 28, v2
	s_add_i32 s17, s17, -1
	s_waitcnt lgkmcnt(0)
	s_mul_i32 s14, s2, s5
	s_mov_b32 s15, 0
	v_add_u32_e32 v2, v1, v4
	s_lshl_b64 s[14:15], s[14:15], 2
	v_ashrrev_i32_e32 v2, 4, v2
	v_mov_b32_e32 v5, s17
	v_cmp_gt_i32_e32 vcc, s29, v1
	s_add_u32 s8, s8, s14
	s_addc_u32 s9, s9, s15
	v_cndmask_b32_e32 v2, v5, v2, vcc
	v_ashrrev_i32_e32 v3, 31, v2
	v_lshl_add_u64 v[6:7], v[2:3], 2, s[8:9]
	v_or_b32_e32 v2, 16, v1
	v_add_u32_e32 v3, v2, v4
	v_ashrrev_i32_e32 v3, 4, v3
	v_cmp_gt_i32_e32 vcc, s29, v2
	s_load_dwordx2 s[14:15], s[0:1], 0x8
	s_nop 0
	v_cndmask_b32_e32 v2, v5, v3, vcc
	v_ashrrev_i32_e32 v3, 31, v2
	v_lshl_add_u64 v[8:9], v[2:3], 2, s[8:9]
	v_or_b32_e32 v2, 32, v1
	v_add_u32_e32 v3, v2, v4
	v_ashrrev_i32_e32 v3, 4, v3
	v_cmp_gt_i32_e32 vcc, s29, v2
	v_or_b32_e32 v1, 48, v1
	s_nop 0
	v_cndmask_b32_e32 v2, v5, v3, vcc
	v_ashrrev_i32_e32 v3, 31, v2
	v_lshl_add_u64 v[10:11], v[2:3], 2, s[8:9]
	v_add_u32_e32 v2, v1, v4
	v_ashrrev_i32_e32 v2, 4, v2
	v_cmp_gt_i32_e32 vcc, s29, v1
	s_nop 1
	v_cndmask_b32_e32 v2, v5, v2, vcc
	v_ashrrev_i32_e32 v3, 31, v2
	v_lshl_add_u64 v[12:13], v[2:3], 2, s[8:9]
	global_load_dword v5, v[6:7], off
	global_load_dword v4, v[8:9], off
	;; [unrolled: 1-line block ×4, first 2 shown]
	s_andn2_b64 vcc, exec, s[10:11]
	s_cbranch_vccnz .LBB779_8
; %bb.6:
	s_add_u32 s6, s6, s12
	s_addc_u32 s7, s7, s13
	s_load_dword s5, s[6:7], 0x0
	s_branch .LBB779_9
.LBB779_7:
	s_mov_b64 s[12:13], 0
	s_branch .LBB779_2
.LBB779_8:
	s_mov_b32 s5, s2
.LBB779_9:
	s_load_dwordx2 s[6:7], s[0:1], 0x10
	s_load_dwordx4 s[44:47], s[0:1], 0x48
	v_and_b32_e32 v28, 15, v0
	s_movk_i32 s10, 0xc0
	v_lshlrev_b32_e32 v6, 3, v28
	v_cmp_gt_u32_e32 vcc, s10, v0
	v_cmp_gt_u32_e64 s[30:31], 8, v28
	v_lshrrev_b32_e32 v29, 6, v0
	v_bfe_u32 v1, v0, 4, 2
	s_mul_i32 s48, s4, 12
	s_and_b64 s[12:13], vcc, s[30:31]
	v_lshlrev_b32_e32 v26, 1, v6
	v_lshlrev_b32_e32 v42, 4, v0
	s_and_saveexec_b64 s[10:11], s[12:13]
	s_cbranch_execz .LBB779_11
; %bb.10:
	s_load_dwordx2 s[12:13], s[0:1], 0x0
	s_waitcnt lgkmcnt(0)
	s_ashr_i32 s18, s44, 31
	s_mul_hi_u32 s19, s5, s44
	s_mul_i32 s18, s5, s18
	s_add_i32 s19, s19, s18
	s_mul_i32 s18, s5, s44
	v_lshl_or_b32 v10, v29, 2, v1
	s_lshl_b64 s[18:19], s[18:19], 1
	s_add_u32 s12, s12, s18
	v_add_lshl_u32 v6, v10, s48, 6
	s_addc_u32 s13, s13, s19
	v_ashrrev_i32_e32 v7, 31, v6
	v_lshl_add_u64 v[6:7], v[6:7], 1, s[12:13]
	v_mov_b32_e32 v27, 0
	v_lshl_add_u64 v[6:7], v[6:7], 0, v[26:27]
	global_load_dwordx4 v[6:9], v[6:7], off
	v_lshlrev_b32_e32 v12, 8, v28
	v_lshlrev_b32_e32 v10, 5, v10
	v_and_b32_e32 v11, 16, v42
	v_and_b32_e32 v12, 0xe00, v12
	v_or3_b32 v10, v12, v10, v11
	s_waitcnt vmcnt(0)
	ds_write_b128 v10, v[6:9]
.LBB779_11:
	s_or_b64 exec, exec, s[10:11]
	s_waitcnt lgkmcnt(0)
	s_mul_i32 s10, s4, s46
	s_add_u32 s4, s14, s10
	s_addc_u32 s5, s15, 0
	v_and_b32_e32 v32, 48, v0
	v_and_b32_e32 v30, 0xf0, v42
	v_mov_b32_e32 v31, 0
	v_lshl_add_u64 v[6:7], s[4:5], 0, v[30:31]
	v_lshlrev_b32_e32 v30, 4, v32
	v_lshl_add_u64 v[6:7], v[6:7], 0, v[30:31]
	s_waitcnt vmcnt(3)
	v_mad_i64_i32 v[8:9], s[4:5], v5, s45, v[6:7]
	s_waitcnt vmcnt(2)
	v_mad_i64_i32 v[4:5], s[4:5], v4, s45, v[6:7]
	s_barrier
	global_load_dwordx4 v[22:25], v[8:9], off
	global_load_dwordx4 v[18:21], v[4:5], off
	s_waitcnt vmcnt(3)
	v_mad_i64_i32 v[4:5], s[4:5], v3, s45, v[6:7]
	s_waitcnt vmcnt(2)
	v_mad_i64_i32 v[2:3], s[4:5], v2, s45, v[6:7]
	global_load_dwordx4 v[14:17], v[4:5], off
	global_load_dwordx4 v[6:9], v[2:3], off
	v_add_u32_e32 v2, -12, v28
	v_cmp_gt_u32_e32 vcc, 12, v28
	v_and_b32_e32 v27, 63, v0
	v_mov_b32_e32 v43, 0
	v_cndmask_b32_e32 v2, v2, v28, vcc
	v_lshlrev_b32_e32 v2, 5, v2
	v_lshl_add_u32 v2, v1, 9, v2
	ds_read_b128 v[10:13], v2
	ds_read_b128 v[2:5], v2 offset:16
	s_and_saveexec_b64 s[4:5], vcc
	s_cbranch_execz .LBB779_13
; %bb.12:
	s_load_dwordx2 s[12:13], s[0:1], 0x40
	v_add_u32_e32 v34, s48, v28
	v_ashrrev_i32_e32 v35, 31, v34
	s_waitcnt lgkmcnt(0)
	v_lshl_add_u64 v[34:35], v[34:35], 2, s[12:13]
	global_load_dword v43, v[34:35], off
.LBB779_13:
	s_or_b64 exec, exec, s[4:5]
	v_or_b32_e32 v62, s16, v32
	v_ashrrev_i32_e32 v30, 4, v62
	v_mov_b32_e32 v63, s17
	v_cmp_gt_i32_e32 vcc, s29, v62
	s_waitcnt vmcnt(2)
	v_cvt_pk_f32_fp8_e32 v[52:53], v20
	v_cvt_pk_f32_fp8_sdwa v[54:55], v20 src0_sel:WORD_1
	v_cndmask_b32_e32 v20, v63, v30, vcc
	v_cvt_pk_f32_fp8_e32 v[56:57], v21
	v_cvt_pk_f32_fp8_sdwa v[58:59], v21 src0_sel:WORD_1
	v_ashrrev_i32_e32 v21, 31, v20
	v_cvt_pk_f32_fp8_e32 v[40:41], v22
	v_cvt_pk_f32_fp8_sdwa v[44:45], v22 src0_sel:WORD_1
	v_lshl_add_u64 v[20:21], v[20:21], 2, s[8:9]
	v_cvt_pk_f32_fp8_e32 v[46:47], v18
	v_cvt_pk_f32_fp8_sdwa v[48:49], v18 src0_sel:WORD_1
	global_load_dword v64, v[20:21], off
	v_cvt_pk_f32_fp8_e32 v[34:35], v23
	v_cvt_pk_f32_fp8_sdwa v[32:33], v23 src0_sel:WORD_1
	v_cvt_pkrtz_f16_f32 v20, v40, v41
	v_cvt_pkrtz_f16_f32 v21, v44, v45
	v_cvt_pk_f32_fp8_e32 v[36:37], v24
	v_cvt_pk_f32_fp8_sdwa v[38:39], v24 src0_sel:WORD_1
	v_cvt_pk_f32_fp8_e32 v[50:51], v19
	v_cvt_pk_f32_fp8_sdwa v[18:19], v19 src0_sel:WORD_1
	v_cvt_pkrtz_f16_f32 v44, v46, v47
	v_cvt_pkrtz_f16_f32 v45, v48, v49
	v_cvt_pk_f32_fp8_e32 v[22:23], v25
	s_waitcnt vmcnt(2)
	v_cvt_pk_f32_fp8_e32 v[40:41], v14
	v_cvt_pk_f32_fp8_sdwa v[46:47], v14 src0_sel:WORD_1
	v_cvt_pkrtz_f16_f32 v48, v34, v35
	v_cvt_pkrtz_f16_f32 v49, v32, v33
	v_or_b32_e32 v14, 64, v62
	v_or_b32_e32 v32, 0xc0, v62
	v_cvt_pk_f32_fp8_sdwa v[24:25], v25 src0_sel:WORD_1
	s_load_dword s11, s[0:1], 0x1c
	s_load_dwordx4 s[40:43], s[0:1], 0x80
	v_cvt_pkrtz_f16_f32 v36, v36, v37
	v_cvt_pkrtz_f16_f32 v37, v38, v39
	v_or_b32_e32 v65, 0x80, v62
	v_ashrrev_i32_e32 v62, 4, v14
	v_cmp_gt_i32_e32 vcc, s29, v32
	v_ashrrev_i32_e32 v66, 4, v32
	v_cmp_gt_i32_e64 s[4:5], s29, v14
	v_cvt_pkrtz_f16_f32 v38, v50, v51
	v_cvt_pkrtz_f16_f32 v39, v18, v19
	s_waitcnt lgkmcnt(0)
	v_mfma_f32_16x16x16_f16 v[32:35], v[20:21], v[10:11], 0
	s_add_u32 s6, s6, s10
	v_lshlrev_b32_e32 v30, 4, v28
	v_cndmask_b32_e64 v50, v63, v62, s[4:5]
	v_cvt_pkrtz_f16_f32 v62, v22, v23
	v_mfma_f32_16x16x16_f16 v[20:23], v[44:45], v[10:11], 0
	v_lshl_or_b32 v30, v29, 8, v30
	s_addc_u32 s7, s7, 0
	v_ashrrev_i32_e32 v14, 4, v65
	v_lshl_add_u64 v[18:19], s[6:7], 0, v[30:31]
	v_cmp_gt_i32_e64 s[6:7], s29, v65
	v_mfma_f32_16x16x16_f16 v[30:33], v[48:49], v[12:13], v[32:35]
	v_cndmask_b32_e32 v48, v63, v66, vcc
	s_load_dword s4, s[40:41], 0x0
	v_cvt_pk_f32_fp8_e32 v[60:61], v15
	v_cndmask_b32_e64 v34, v63, v14, s[6:7]
	v_cvt_pkrtz_f16_f32 v63, v24, v25
	v_cvt_pkrtz_f16_f32 v24, v52, v53
	;; [unrolled: 1-line block ×3, first 2 shown]
	v_mfma_f32_16x16x16_f16 v[20:23], v[38:39], v[12:13], v[20:23]
	v_cvt_pkrtz_f16_f32 v40, v40, v41
	v_cvt_pkrtz_f16_f32 v41, v46, v47
	v_ashrrev_i32_e32 v51, 31, v50
	v_mfma_f32_16x16x16_f16 v[20:23], v[24:25], v[2:3], v[20:23]
	v_mov_b32_e32 v24, s11
	s_waitcnt lgkmcnt(0)
	v_mul_f32_e32 v54, s4, v24
	v_cvt_pk_f32_fp8_sdwa v[24:25], v15 src0_sel:WORD_1
	v_mfma_f32_16x16x16_f16 v[30:33], v[36:37], v[2:3], v[30:33]
	v_ashrrev_i32_e32 v35, 31, v34
	v_ashrrev_i32_e32 v49, 31, v48
	v_lshl_add_u64 v[36:37], v[50:51], 2, s[8:9]
	v_lshl_add_u64 v[34:35], v[34:35], 2, s[8:9]
	;; [unrolled: 1-line block ×3, first 2 shown]
	global_load_dword v14, v[36:37], off
	global_load_dword v44, v[34:35], off
	;; [unrolled: 1-line block ×3, first 2 shown]
	v_cvt_pkrtz_f16_f32 v46, v60, v61
	v_cvt_pk_f32_fp8_e32 v[48:49], v16
	v_cvt_pk_f32_fp8_sdwa v[50:51], v16 src0_sel:WORD_1
	v_cvt_pkrtz_f16_f32 v47, v24, v25
	v_mfma_f32_16x16x16_f16 v[36:39], v[62:63], v[4:5], v[30:33]
	v_cvt_pkrtz_f16_f32 v24, v48, v49
	v_cvt_pkrtz_f16_f32 v25, v50, v51
	;; [unrolled: 1-line block ×3, first 2 shown]
	v_mfma_f32_16x16x16_f16 v[30:33], v[40:41], v[10:11], 0
	v_cvt_pk_f32_fp8_e32 v[40:41], v17
	v_cvt_pk_f32_fp8_sdwa v[16:17], v17 src0_sel:WORD_1
	v_cvt_pkrtz_f16_f32 v53, v58, v59
	v_mfma_f32_16x16x16_f16 v[46:49], v[46:47], v[12:13], v[30:33]
	s_mov_b32 s33, 0xff7fffff
	s_waitcnt vmcnt(3)
	v_mad_i64_i32 v[34:35], s[4:5], v64, s45, v[18:19]
	v_cvt_pkrtz_f16_f32 v32, v40, v41
	v_cvt_pkrtz_f16_f32 v33, v16, v17
	v_mfma_f32_16x16x16_f16 v[46:49], v[24:25], v[2:3], v[46:49]
	v_cvt_pk_f32_fp8_e32 v[16:17], v6
	v_cvt_pk_f32_fp8_sdwa v[24:25], v6 src0_sel:WORD_1
	v_pk_mul_f32 v[30:31], v[54:55], v[38:39] op_sel_hi:[0,1]
	v_mfma_f32_16x16x16_f16 v[46:49], v[32:33], v[4:5], v[46:49]
	v_cvt_pk_f32_fp8_e32 v[32:33], v7
	v_cvt_pkrtz_f16_f32 v16, v16, v17
	v_cvt_pkrtz_f16_f32 v17, v24, v25
	v_cvt_pk_f32_fp8_sdwa v[6:7], v7 src0_sel:WORD_1
	v_pk_mul_f32 v[38:39], v[54:55], v[36:37] op_sel_hi:[0,1]
	v_cvt_pkrtz_f16_f32 v24, v32, v33
	v_cvt_pk_f32_fp8_e32 v[32:33], v8
	v_cvt_pk_f32_fp8_sdwa v[36:37], v8 src0_sel:WORD_1
	v_cvt_pkrtz_f16_f32 v25, v6, v7
	v_mfma_f32_16x16x16_f16 v[20:23], v[52:53], v[4:5], v[20:23]
	v_mfma_f32_16x16x16_f16 v[50:53], v[16:17], v[10:11], 0
	v_cvt_pkrtz_f16_f32 v10, v32, v33
	v_cvt_pkrtz_f16_f32 v11, v36, v37
	v_cvt_pk_f32_fp8_e32 v[16:17], v9
	v_cvt_pk_f32_fp8_sdwa v[32:33], v9 src0_sel:WORD_1
	v_mfma_f32_16x16x16_f16 v[6:9], v[24:25], v[12:13], v[50:53]
	s_nop 0
	v_pk_mul_f32 v[36:37], v[54:55], v[22:23] op_sel_hi:[0,1]
	v_cvt_pkrtz_f16_f32 v12, v16, v17
	v_cvt_pkrtz_f16_f32 v13, v32, v33
	v_mfma_f32_16x16x16_f16 v[6:9], v[10:11], v[2:3], v[6:9]
	v_pk_mul_f32 v[40:41], v[54:55], v[20:21] op_sel_hi:[0,1]
	v_pk_mul_f32 v[24:25], v[54:55], v[48:49] op_sel_hi:[0,1]
	;; [unrolled: 1-line block ×3, first 2 shown]
	v_mfma_f32_16x16x16_f16 v[2:5], v[12:13], v[4:5], v[6:9]
	s_nop 6
	v_pk_mul_f32 v[22:23], v[54:55], v[2:3] op_sel_hi:[0,1]
	v_and_b32_e32 v2, 0xc0, v0
	v_add_u32_e32 v2, s16, v2
	v_lshl_or_b32 v2, v1, 2, v2
	v_or_b32_e32 v3, 1, v2
	v_pk_mul_f32 v[20:21], v[54:55], v[4:5] op_sel_hi:[0,1]
	v_subrev_u32_e32 v4, s29, v3
	v_add_u32_e32 v6, 1, v4
	v_add_u32_e32 v7, 2, v4
	;; [unrolled: 1-line block ×3, first 2 shown]
	v_cvt_f32_i32_e32 v6, v6
	v_cvt_f32_i32_e32 v7, v7
	v_cvt_f32_i32_e32 v8, v8
	v_add_u32_e32 v9, 19, v4
	v_fmac_f32_e32 v39, v43, v6
	v_fma_f32 v30, v43, v7, v30
	v_fmac_f32_e32 v31, v43, v8
	v_add_u32_e32 v6, 16, v4
	v_add_u32_e32 v7, 17, v4
	;; [unrolled: 1-line block ×3, first 2 shown]
	v_cvt_f32_i32_e32 v6, v6
	v_cvt_f32_i32_e32 v7, v7
	;; [unrolled: 1-line block ×4, first 2 shown]
	v_fma_f32 v40, v43, v6, v40
	v_fmac_f32_e32 v41, v43, v7
	v_fma_f32 v36, v43, v8, v36
	v_add_u32_e32 v6, 32, v4
	v_add_u32_e32 v7, 33, v4
	;; [unrolled: 1-line block ×3, first 2 shown]
	v_cvt_f32_i32_e32 v6, v6
	v_cvt_f32_i32_e32 v7, v7
	;; [unrolled: 1-line block ×4, first 2 shown]
	v_fmac_f32_e32 v37, v43, v9
	v_add_u32_e32 v9, 35, v4
	v_fma_f32 v32, v43, v6, v32
	v_fmac_f32_e32 v33, v43, v7
	v_fma_f32 v24, v43, v8, v24
	v_add_u32_e32 v6, 48, v4
	v_add_u32_e32 v7, 49, v4
	v_add_u32_e32 v8, 50, v4
	v_add_u32_e32 v4, 51, v4
	v_cvt_f32_i32_e32 v4, v4
	v_cvt_f32_i32_e32 v6, v6
	;; [unrolled: 1-line block ×3, first 2 shown]
	v_fma_f32 v5, v43, v5, v38
	v_fmac_f32_e32 v21, v43, v4
	v_mov_b32_e32 v4, 0xff7fffff
	v_cmp_gt_i32_e64 s[4:5], s29, v2
	v_cmp_gt_i32_e64 s[34:35], s29, v3
	v_fma_f32 v22, v43, v6, v22
	v_cndmask_b32_e64 v6, v4, v5, s[4:5]
	v_cndmask_b32_e64 v3, v4, v39, s[34:35]
	v_fmac_f32_e32 v23, v43, v7
	v_max3_f32 v3, v6, s33, v3
	v_or_b32_e32 v6, 2, v2
	v_or_b32_e32 v7, 3, v2
	v_cmp_gt_i32_e64 s[36:37], s29, v6
	v_cmp_gt_i32_e64 s[38:39], s29, v7
	v_cvt_f32_i32_e32 v9, v9
	v_cndmask_b32_e64 v6, v4, v30, s[36:37]
	v_cndmask_b32_e64 v7, v4, v31, s[38:39]
	v_max3_f32 v3, v3, v6, v7
	v_or_b32_e32 v6, 16, v2
	v_or_b32_e32 v7, 17, v2
	v_cmp_gt_i32_e64 s[24:25], s29, v6
	v_cmp_gt_i32_e64 s[26:27], s29, v7
	v_fmac_f32_e32 v25, v43, v9
	v_cndmask_b32_e64 v6, v4, v40, s[24:25]
	v_cndmask_b32_e64 v7, v4, v41, s[26:27]
	v_max3_f32 v3, v3, v6, v7
	v_or_b32_e32 v6, 18, v2
	v_or_b32_e32 v7, 19, v2
	v_cmp_gt_i32_e64 s[20:21], s29, v6
	v_cmp_gt_i32_e64 s[22:23], s29, v7
	v_cvt_f32_i32_e32 v8, v8
	v_cndmask_b32_e64 v6, v4, v36, s[20:21]
	v_cndmask_b32_e64 v7, v4, v37, s[22:23]
	v_max3_f32 v3, v3, v6, v7
	v_or_b32_e32 v6, 32, v2
	v_or_b32_e32 v7, 33, v2
	v_cmp_gt_i32_e64 s[16:17], s29, v6
	v_cmp_gt_i32_e64 s[18:19], s29, v7
	v_fma_f32 v20, v43, v8, v20
	v_cndmask_b32_e64 v6, v4, v32, s[16:17]
	v_cndmask_b32_e64 v7, v4, v33, s[18:19]
	v_max3_f32 v3, v3, v6, v7
	v_or_b32_e32 v6, 34, v2
	v_or_b32_e32 v7, 35, v2
	v_cmp_gt_i32_e64 s[12:13], s29, v6
	v_cmp_gt_i32_e64 s[14:15], s29, v7
	s_nop 0
	v_cndmask_b32_e64 v6, v4, v24, s[12:13]
	v_cndmask_b32_e64 v7, v4, v25, s[14:15]
	v_max3_f32 v3, v3, v6, v7
	v_or_b32_e32 v6, 48, v2
	v_or_b32_e32 v7, 49, v2
	v_cmp_gt_i32_e64 s[8:9], s29, v6
	v_cmp_gt_i32_e64 s[10:11], s29, v7
	s_nop 0
	v_cndmask_b32_e64 v6, v4, v22, s[8:9]
	v_cndmask_b32_e64 v7, v4, v23, s[10:11]
	v_max3_f32 v3, v3, v6, v7
	v_or_b32_e32 v6, 50, v2
	v_or_b32_e32 v2, 51, v2
	v_cmp_gt_i32_e32 vcc, s29, v6
	v_cmp_gt_i32_e64 s[6:7], s29, v2
	s_nop 0
	v_cndmask_b32_e32 v6, v4, v20, vcc
	v_cndmask_b32_e64 v2, v4, v21, s[6:7]
	v_max3_f32 v4, v3, v6, v2
	v_mbcnt_lo_u32_b32 v2, -1, 0
	v_mbcnt_hi_u32_b32 v6, -1, v2
	v_and_b32_e32 v2, 64, v6
	v_add_u32_e32 v7, 64, v2
	v_xor_b32_e32 v2, 32, v6
	v_cmp_lt_i32_e64 s[40:41], v2, v7
	s_nop 1
	v_cndmask_b32_e64 v2, v6, v2, s[40:41]
	v_lshlrev_b32_e32 v43, 2, v2
	ds_bpermute_b32 v8, v43, v4
	s_waitcnt vmcnt(2)
	v_mad_i64_i32 v[2:3], s[40:41], v14, s45, v[18:19]
	global_load_dwordx4 v[14:17], v[34:35], off
	global_load_dwordx4 v[10:13], v[2:3], off
	v_xor_b32_e32 v3, 16, v6
	v_cmp_lt_i32_e64 s[40:41], v3, v7
	s_waitcnt lgkmcnt(0)
	v_max_f32_e32 v2, v8, v8
	v_max_f32_e32 v2, v4, v2
	v_cndmask_b32_e64 v3, v6, v3, s[40:41]
	v_lshlrev_b32_e32 v46, 2, v3
	ds_bpermute_b32 v3, v46, v2
	s_waitcnt vmcnt(3)
	v_mad_i64_i32 v[34:35], s[40:41], v44, s45, v[18:19]
	s_waitcnt vmcnt(2)
	v_mad_i64_i32 v[18:19], s[40:41], v45, s45, v[18:19]
	s_waitcnt lgkmcnt(0)
	v_max_f32_e32 v3, v3, v3
	v_max_f32_e32 v38, v2, v3
	v_sub_f32_e32 v2, v5, v38
	v_mul_f32_e32 v2, 0x3fb8aa3b, v2
	v_exp_f32_e32 v44, v2
	v_sub_f32_e32 v2, v39, v38
	v_mul_f32_e32 v2, 0x3fb8aa3b, v2
	v_exp_f32_e32 v39, v2
	global_load_dwordx4 v[6:9], v[34:35], off
	global_load_dwordx4 v[2:5], v[18:19], off
	v_sub_f32_e32 v30, v30, v38
	v_mul_f32_e32 v30, 0x3fb8aa3b, v30
	v_sub_f32_e32 v31, v31, v38
	v_exp_f32_e32 v30, v30
	v_mul_f32_e32 v31, 0x3fb8aa3b, v31
	v_exp_f32_e32 v31, v31
	v_cndmask_b32_e64 v18, 0, v44, s[4:5]
	v_add_f32_e32 v34, 0, v18
	v_cndmask_b32_e64 v19, 0, v39, s[34:35]
	v_add_f32_e32 v35, v34, v19
	;; [unrolled: 2-line block ×3, first 2 shown]
	v_cndmask_b32_e64 v35, 0, v31, s[38:39]
	v_sub_f32_e32 v31, v40, v38
	v_mul_f32_e32 v31, 0x3fb8aa3b, v31
	v_sub_f32_e32 v39, v41, v38
	v_exp_f32_e32 v31, v31
	v_mul_f32_e32 v39, 0x3fb8aa3b, v39
	v_sub_f32_e32 v36, v36, v38
	v_exp_f32_e32 v39, v39
	;; [unrolled: 3-line block ×4, first 2 shown]
	v_mul_f32_e32 v32, 0x3fb8aa3b, v32
	v_sub_f32_e32 v33, v33, v38
	v_add_f32_e32 v40, v30, v35
	v_cndmask_b32_e64 v30, 0, v31, s[24:25]
	v_exp_f32_e32 v32, v32
	v_mul_f32_e32 v33, 0x3fb8aa3b, v33
	v_sub_f32_e32 v24, v24, v38
	v_add_f32_e32 v40, v40, v30
	v_cndmask_b32_e64 v31, 0, v39, s[26:27]
	v_exp_f32_e32 v33, v33
	;; [unrolled: 5-line block ×7, first 2 shown]
	v_mul_f32_e32 v21, 0x3fb8aa3b, v21
	v_add_f32_e32 v39, v39, v24
	v_cndmask_b32_e64 v25, 0, v25, s[14:15]
	v_exp_f32_e32 v21, v21
	v_add_f32_e32 v39, v39, v25
	v_cndmask_b32_e64 v22, 0, v22, s[8:9]
	v_add_f32_e32 v39, v39, v22
	v_cndmask_b32_e64 v23, 0, v23, s[10:11]
	v_add_f32_e32 v39, v39, v23
	v_cndmask_b32_e32 v20, 0, v20, vcc
	v_add_f32_e32 v39, v39, v20
	v_cndmask_b32_e64 v21, 0, v21, s[6:7]
	v_add_f32_e32 v39, v39, v21
	ds_bpermute_b32 v40, v43, v39
	s_load_dword s7, s[0:1], 0x98
	v_cmp_gt_u32_e32 vcc, 16, v27
	s_waitcnt lgkmcnt(0)
	s_barrier
	v_add_f32_e32 v40, v39, v40
	ds_bpermute_b32 v41, v46, v40
	v_lshlrev_b32_e32 v39, 2, v28
	s_waitcnt lgkmcnt(0)
	s_and_saveexec_b64 s[4:5], vcc
	s_cbranch_execz .LBB779_15
; %bb.14:
	v_add_f32_e32 v27, v40, v41
	v_lshl_or_b32 v40, v29, 6, v39
	ds_write2st64_b32 v40, v38, v27 offset1:1
.LBB779_15:
	s_or_b64 exec, exec, s[4:5]
	s_load_dword s6, s[0:1], 0x94
	s_waitcnt lgkmcnt(0)
	s_barrier
	ds_read2_b32 v[40:41], v39 offset1:16
	ds_read2_b32 v[44:45], v39 offset0:32 offset1:48
	ds_read2_b32 v[46:47], v39 offset0:64 offset1:80
	s_mul_i32 s7, s7, 12
	s_waitcnt lgkmcnt(2)
	v_max3_f32 v27, v40, s33, v41
	s_waitcnt lgkmcnt(1)
	v_max3_f32 v27, v27, v44, v45
	v_sub_f32_e32 v38, v40, v27
	v_mul_f32_e32 v38, 0x3fb8aa3b, v38
	v_exp_f32_e32 v43, v38
	v_sub_f32_e32 v38, v41, v27
	v_mul_f32_e32 v38, 0x3fb8aa3b, v38
	v_exp_f32_e32 v48, v38
	;; [unrolled: 3-line block ×3, first 2 shown]
	ds_read2_b32 v[40:41], v39 offset0:96 offset1:112
	v_sub_f32_e32 v38, v45, v27
	v_mul_f32_e32 v38, 0x3fb8aa3b, v38
	v_exp_f32_e32 v39, v38
	s_waitcnt lgkmcnt(1)
	v_fma_f32 v38, v43, v46, 0
	v_fmac_f32_e32 v38, v48, v47
	s_waitcnt lgkmcnt(0)
	v_fmac_f32_e32 v38, v44, v40
	v_fmac_f32_e32 v38, v39, v41
	v_add_f32_e32 v40, 0x358637bd, v38
	v_div_scale_f32 v41, s[4:5], v40, v40, 1.0
	v_rcp_f32_e32 v45, v41
	s_barrier
	v_fma_f32 v46, -v41, v45, 1.0
	v_fmac_f32_e32 v45, v46, v45
	v_div_scale_f32 v46, vcc, 1.0, v40, 1.0
	v_mul_f32_e32 v47, v46, v45
	v_fma_f32 v49, -v41, v47, v46
	v_fmac_f32_e32 v47, v49, v45
	v_fma_f32 v41, -v41, v47, v46
	v_div_fmas_f32 v41, v41, v45, v47
	v_cmp_eq_u32_e32 vcc, 1, v29
	v_div_fixup_f32 v40, v41, v40, 1.0
	s_nop 0
	v_cndmask_b32_e32 v41, v43, v48, vcc
	v_cmp_eq_u32_e32 vcc, 2, v29
	s_nop 1
	v_cndmask_b32_e32 v41, v41, v44, vcc
	v_cmp_eq_u32_e32 vcc, 3, v29
	v_lshlrev_b32_e32 v29, 11, v29
	s_nop 0
	v_cndmask_b32_e32 v39, v41, v39, vcc
	v_mul_f32_e32 v40, v39, v40
	v_pk_mul_f32 v[18:19], v[40:41], v[18:19] op_sel_hi:[0,1]
	v_pk_mul_f32 v[34:35], v[40:41], v[34:35] op_sel_hi:[0,1]
	v_cvt_f16_f32_e32 v18, v18
	v_cvt_f16_f32_e32 v19, v19
	v_pk_mul_f32 v[36:37], v[40:41], v[36:37] op_sel_hi:[0,1]
	v_pk_mul_f32 v[30:31], v[40:41], v[30:31] op_sel_hi:[0,1]
	v_cvt_f16_f32_e32 v39, v34
	v_cvt_f16_f32_e32 v35, v35
	;; [unrolled: 1-line block ×6, first 2 shown]
	v_pack_b32_f16 v34, v18, v19
	v_lshlrev_b32_e32 v18, 3, v1
	v_lshlrev_b32_e32 v19, 5, v28
	v_pack_b32_f16 v35, v39, v35
	v_or3_b32 v18, v29, v19, v18
	v_pack_b32_f16 v30, v30, v31
	v_pack_b32_f16 v31, v36, v37
	ds_write2st64_b64 v18, v[34:35], v[30:31] offset1:1
	v_pk_mul_f32 v[24:25], v[40:41], v[24:25] op_sel_hi:[0,1]
	v_pk_mul_f32 v[30:31], v[40:41], v[32:33] op_sel_hi:[0,1]
	;; [unrolled: 1-line block ×4, first 2 shown]
	v_cvt_f16_f32_e32 v29, v30
	v_cvt_f16_f32_e32 v30, v31
	;; [unrolled: 1-line block ×8, first 2 shown]
	v_pack_b32_f16 v20, v29, v30
	v_pack_b32_f16 v21, v24, v25
	;; [unrolled: 1-line block ×4, first 2 shown]
	v_cmp_gt_u32_e32 vcc, 12, v0
	ds_write2st64_b64 v18, v[20:21], v[22:23] offset0:2 offset1:3
	s_and_saveexec_b64 s[4:5], vcc
	s_cbranch_execz .LBB779_17
; %bb.16:
	s_mov_b32 s49, 0
	v_mov_b32_e32 v29, 0
	v_lshl_add_u64 v[20:21], s[48:49], 0, v[28:29]
	v_mov_b32_e32 v22, s7
	v_mad_u64_u32 v[20:21], s[12:13], s2, v22, v[20:21]
	s_mul_i32 s3, s3, s7
	v_mov_b32_e32 v28, s28
	s_load_dwordx4 s[8:11], s[0:1], 0x58
	v_add_u32_e32 v23, s3, v21
	v_mad_u64_u32 v[20:21], s[12:13], v20, s6, v[28:29]
	v_mov_b32_e32 v22, v21
	v_mad_u64_u32 v[22:23], s[12:13], v23, s6, v[22:23]
	v_mov_b32_e32 v21, v22
	v_lshlrev_b64 v[20:21], 2, v[20:21]
	s_waitcnt lgkmcnt(0)
	v_lshl_add_u64 v[22:23], s[10:11], 0, v[20:21]
	v_lshl_add_u64 v[20:21], s[8:9], 0, v[20:21]
	global_store_dword v[22:23], v27, off
	global_store_dword v[20:21], v38, off
.LBB779_17:
	s_or_b64 exec, exec, s[4:5]
	s_waitcnt vmcnt(3)
	v_cvt_pk_f32_fp8_e32 v[20:21], v14
	v_cvt_pk_f32_fp8_sdwa v[22:23], v14 src0_sel:WORD_1
	v_lshl_or_b32 v14, v1, 9, v19
	s_waitcnt lgkmcnt(0)
	s_barrier
	v_cvt_pk_f32_fp8_e32 v[24:25], v15
	v_cvt_pkrtz_f16_f32 v32, v20, v21
	v_cvt_pkrtz_f16_f32 v33, v22, v23
	v_cvt_pk_f32_fp8_sdwa v[28:29], v15 src0_sel:WORD_1
	ds_read_b128 v[20:23], v14
	v_cvt_pkrtz_f16_f32 v24, v24, v25
	v_cvt_pk_f32_fp8_e32 v[36:37], v16
	v_cvt_pkrtz_f16_f32 v25, v28, v29
	ds_read_b128 v[28:31], v14 offset:16
	v_cvt_pk_f32_fp8_sdwa v[38:39], v16 src0_sel:WORD_1
	s_waitcnt lgkmcnt(1)
	v_mfma_f32_16x16x16_f16 v[32:35], v[32:33], v[20:21], 0
	v_cvt_pkrtz_f16_f32 v36, v36, v37
	s_load_dword s4, s[42:43], 0x0
	v_cvt_pkrtz_f16_f32 v37, v38, v39
	v_cvt_pk_f32_fp8_e32 v[38:39], v17
	v_cvt_pk_f32_fp8_sdwa v[16:17], v17 src0_sel:WORD_1
	v_mfma_f32_16x16x16_f16 v[20:23], v[24:25], v[22:23], v[32:35]
	v_cmp_gt_u32_e32 vcc, 64, v0
	v_cvt_pkrtz_f16_f32 v24, v38, v39
	v_cvt_pkrtz_f16_f32 v25, v16, v17
	s_waitcnt lgkmcnt(0)
	v_mfma_f32_16x16x16_f16 v[20:23], v[36:37], v[28:29], v[20:23]
	s_waitcnt vmcnt(2)
	v_cvt_pk_f32_fp8_e32 v[16:17], v10
	v_cvt_pk_f32_fp8_e32 v[28:29], v11
	v_cvt_pk_f32_fp8_sdwa v[36:37], v12 src0_sel:WORD_1
	v_mfma_f32_16x16x16_f16 v[20:23], v[24:25], v[30:31], v[20:23]
	v_cvt_pk_f32_fp8_sdwa v[24:25], v10 src0_sel:WORD_1
	v_cvt_pkrtz_f16_f32 v10, v16, v17
	v_cvt_pk_f32_fp8_sdwa v[16:17], v11 src0_sel:WORD_1
	ds_read_b128 v[32:35], v14 offset:2064
	v_cvt_pkrtz_f16_f32 v11, v24, v25
	v_cvt_pkrtz_f16_f32 v24, v28, v29
	ds_read_b128 v[28:31], v14 offset:2048
	v_cvt_pkrtz_f16_f32 v25, v16, v17
	v_cvt_pk_f32_fp8_e32 v[16:17], v12
	s_waitcnt lgkmcnt(0)
	v_mfma_f32_16x16x16_f16 v[20:23], v[10:11], v[28:29], v[20:23]
	v_cvt_pkrtz_f16_f32 v10, v16, v17
	v_cvt_pkrtz_f16_f32 v11, v36, v37
	v_cvt_pk_f32_fp8_e32 v[16:17], v13
	v_mfma_f32_16x16x16_f16 v[20:23], v[24:25], v[30:31], v[20:23]
	v_cvt_pk_f32_fp8_sdwa v[24:25], v13 src0_sel:WORD_1
	ds_read_b128 v[28:31], v14 offset:4112
	v_cvt_pkrtz_f16_f32 v16, v16, v17
	v_mfma_f32_16x16x16_f16 v[10:13], v[10:11], v[32:33], v[20:23]
	v_cvt_pkrtz_f16_f32 v17, v24, v25
	s_waitcnt vmcnt(1)
	v_cvt_pk_f32_fp8_sdwa v[24:25], v7 src0_sel:WORD_1
	v_cvt_pk_f32_fp8_sdwa v[32:33], v8 src0_sel:WORD_1
	v_cvt_pk_f32_fp8_e32 v[20:21], v6
	v_mfma_f32_16x16x16_f16 v[10:13], v[16:17], v[34:35], v[10:13]
	v_cvt_pk_f32_fp8_sdwa v[16:17], v6 src0_sel:WORD_1
	v_cvt_pk_f32_fp8_e32 v[22:23], v7
	v_cvt_pkrtz_f16_f32 v6, v20, v21
	s_mov_b32 s3, 0
	v_cvt_pkrtz_f16_f32 v7, v16, v17
	v_cvt_pkrtz_f16_f32 v16, v22, v23
	ds_read_b128 v[20:23], v14 offset:4096
	v_cvt_pkrtz_f16_f32 v17, v24, v25
	v_cvt_pk_f32_fp8_e32 v[24:25], v8
	s_waitcnt lgkmcnt(0)
	v_mfma_f32_16x16x16_f16 v[10:13], v[6:7], v[20:21], v[10:13]
	v_cvt_pkrtz_f16_f32 v6, v24, v25
	v_cvt_pkrtz_f16_f32 v7, v32, v33
	v_cvt_pk_f32_fp8_e32 v[20:21], v9
	v_mfma_f32_16x16x16_f16 v[10:13], v[16:17], v[22:23], v[10:13]
	v_cvt_pk_f32_fp8_sdwa v[16:17], v9 src0_sel:WORD_1
	s_waitcnt vmcnt(0)
	v_cvt_pk_f32_fp8_sdwa v[24:25], v4 src0_sel:WORD_1
	v_cvt_pkrtz_f16_f32 v20, v20, v21
	v_mfma_f32_16x16x16_f16 v[6:9], v[6:7], v[28:29], v[10:13]
	v_cvt_pkrtz_f16_f32 v21, v16, v17
	v_cvt_pk_f32_fp8_e32 v[16:17], v3
	v_mov_b32_e32 v27, 0
	v_cvt_pk_f32_fp8_e32 v[10:11], v2
	v_cvt_pk_f32_fp8_sdwa v[12:13], v2 src0_sel:WORD_1
	v_mfma_f32_16x16x16_f16 v[6:9], v[20:21], v[30:31], v[6:9]
	v_cvt_pk_f32_fp8_sdwa v[20:21], v3 src0_sel:WORD_1
	v_cvt_pkrtz_f16_f32 v2, v10, v11
	v_cvt_pkrtz_f16_f32 v3, v12, v13
	ds_read_b128 v[10:13], v14 offset:6144
	v_cvt_pkrtz_f16_f32 v22, v16, v17
	v_cvt_pkrtz_f16_f32 v23, v20, v21
	v_cvt_pk_f32_fp8_e32 v[20:21], v4
	s_waitcnt lgkmcnt(0)
	v_mfma_f32_16x16x16_f16 v[6:9], v[2:3], v[10:11], v[6:9]
	ds_read_b128 v[14:17], v14 offset:6160
	v_cvt_pkrtz_f16_f32 v2, v20, v21
	v_cvt_pkrtz_f16_f32 v3, v24, v25
	v_cvt_pk_f32_fp8_e32 v[10:11], v5
	v_mfma_f32_16x16x16_f16 v[6:9], v[22:23], v[12:13], v[6:9]
	v_cvt_pk_f32_fp8_sdwa v[12:13], v5 src0_sel:WORD_1
	s_waitcnt lgkmcnt(0)
	v_cvt_pkrtz_f16_f32 v10, v10, v11
	v_mfma_f32_16x16x16_f16 v[2:5], v[2:3], v[14:15], v[6:9]
	v_cvt_pkrtz_f16_f32 v11, v12, v13
	s_barrier
	s_nop 0
	v_mfma_f32_16x16x16_f16 v[2:5], v[10:11], v[16:17], v[2:5]
	s_nop 6
	v_pk_mul_f32 v[4:5], v[4:5], s[4:5] op_sel_hi:[1,0]
	v_pk_mul_f32 v[2:3], v[2:3], s[4:5] op_sel_hi:[1,0]
	v_cvt_f16_f32_e32 v4, v4
	v_cvt_f16_f32_e32 v2, v2
	;; [unrolled: 1-line block ×4, first 2 shown]
	s_and_b64 s[4:5], vcc, s[30:31]
	v_pack_b32_f16 v2, v2, v3
	v_pack_b32_f16 v3, v4, v5
	ds_write_b64 v18, v[2:3]
	s_waitcnt lgkmcnt(0)
	s_barrier
	s_and_saveexec_b64 s[8:9], s[4:5]
	s_cbranch_execz .LBB779_19
; %bb.18:
	s_load_dwordx2 s[0:1], s[0:1], 0x68
	s_lshl_b32 s6, s6, 6
	s_mul_i32 s2, s7, s2
	s_mul_hi_u32 s5, s2, s6
	s_mul_i32 s4, s2, s6
	s_lshl_b64 s[4:5], s[4:5], 1
	s_waitcnt lgkmcnt(0)
	s_add_u32 s4, s0, s4
	v_lshlrev_b32_e32 v0, 10, v0
	s_addc_u32 s5, s1, s5
	s_lshl_b32 s2, s28, 6
	v_and_b32_e32 v0, 0x1800, v0
	v_lshlrev_b32_e32 v2, 5, v1
	v_and_b32_e32 v3, 16, v42
	s_lshl_b64 s[0:1], s[2:3], 1
	v_or3_b32 v0, v0, v2, v3
	s_add_u32 s0, s4, s0
	ds_read_b128 v[2:5], v0
	ds_read_b128 v[6:9], v0 offset:128
	ds_read_b128 v[10:13], v0 offset:256
	s_addc_u32 s1, s5, s1
	v_or_b32_e32 v16, s48, v1
	v_lshl_add_u64 v[0:1], s[0:1], 0, v[26:27]
	v_mad_u64_u32 v[14:15], s[0:1], v16, s6, 0
	v_lshl_add_u64 v[14:15], v[14:15], 1, v[0:1]
	s_waitcnt lgkmcnt(2)
	global_store_dwordx4 v[14:15], v[2:5], off
	s_nop 1
	v_add_u32_e32 v2, 4, v16
	v_mad_u64_u32 v[2:3], s[0:1], v2, s6, 0
	v_lshl_add_u64 v[2:3], v[2:3], 1, v[0:1]
	s_waitcnt lgkmcnt(1)
	global_store_dwordx4 v[2:3], v[6:9], off
	v_add_u32_e32 v2, 8, v16
	v_mad_u64_u32 v[2:3], s[0:1], v2, s6, 0
	v_lshl_add_u64 v[0:1], v[2:3], 1, v[0:1]
	s_waitcnt lgkmcnt(0)
	global_store_dwordx4 v[0:1], v[10:13], off
.LBB779_19:
	s_endpgm
	.section	.rodata,"a",@progbits
	.p2align	6, 0x0
	.amdhsa_kernel _Z39paged_attention_ll4mi_QKV_mfma16_kernelIDF16_hLN4vllm18Fp8KVCacheDataTypeE1EhLi16ELi64ELi256ELb1ELi12EEvPKT_PKT0_S7_ifPKiS9_S9_iPKfiiiPfSC_PS2_PT2_iSB_SB_
		.amdhsa_group_segment_fixed_size 8192
		.amdhsa_private_segment_fixed_size 0
		.amdhsa_kernarg_size 400
		.amdhsa_user_sgpr_count 2
		.amdhsa_user_sgpr_dispatch_ptr 0
		.amdhsa_user_sgpr_queue_ptr 0
		.amdhsa_user_sgpr_kernarg_segment_ptr 1
		.amdhsa_user_sgpr_dispatch_id 0
		.amdhsa_user_sgpr_kernarg_preload_length 0
		.amdhsa_user_sgpr_kernarg_preload_offset 0
		.amdhsa_user_sgpr_private_segment_size 0
		.amdhsa_uses_dynamic_stack 0
		.amdhsa_enable_private_segment 0
		.amdhsa_system_sgpr_workgroup_id_x 1
		.amdhsa_system_sgpr_workgroup_id_y 1
		.amdhsa_system_sgpr_workgroup_id_z 1
		.amdhsa_system_sgpr_workgroup_info 0
		.amdhsa_system_vgpr_workitem_id 0
		.amdhsa_next_free_vgpr 67
		.amdhsa_next_free_sgpr 50
		.amdhsa_accum_offset 68
		.amdhsa_reserve_vcc 1
		.amdhsa_float_round_mode_32 0
		.amdhsa_float_round_mode_16_64 0
		.amdhsa_float_denorm_mode_32 3
		.amdhsa_float_denorm_mode_16_64 3
		.amdhsa_dx10_clamp 1
		.amdhsa_ieee_mode 1
		.amdhsa_fp16_overflow 0
		.amdhsa_tg_split 0
		.amdhsa_exception_fp_ieee_invalid_op 0
		.amdhsa_exception_fp_denorm_src 0
		.amdhsa_exception_fp_ieee_div_zero 0
		.amdhsa_exception_fp_ieee_overflow 0
		.amdhsa_exception_fp_ieee_underflow 0
		.amdhsa_exception_fp_ieee_inexact 0
		.amdhsa_exception_int_div_zero 0
	.end_amdhsa_kernel
	.section	.text._Z39paged_attention_ll4mi_QKV_mfma16_kernelIDF16_hLN4vllm18Fp8KVCacheDataTypeE1EhLi16ELi64ELi256ELb1ELi12EEvPKT_PKT0_S7_ifPKiS9_S9_iPKfiiiPfSC_PS2_PT2_iSB_SB_,"axG",@progbits,_Z39paged_attention_ll4mi_QKV_mfma16_kernelIDF16_hLN4vllm18Fp8KVCacheDataTypeE1EhLi16ELi64ELi256ELb1ELi12EEvPKT_PKT0_S7_ifPKiS9_S9_iPKfiiiPfSC_PS2_PT2_iSB_SB_,comdat
.Lfunc_end779:
	.size	_Z39paged_attention_ll4mi_QKV_mfma16_kernelIDF16_hLN4vllm18Fp8KVCacheDataTypeE1EhLi16ELi64ELi256ELb1ELi12EEvPKT_PKT0_S7_ifPKiS9_S9_iPKfiiiPfSC_PS2_PT2_iSB_SB_, .Lfunc_end779-_Z39paged_attention_ll4mi_QKV_mfma16_kernelIDF16_hLN4vllm18Fp8KVCacheDataTypeE1EhLi16ELi64ELi256ELb1ELi12EEvPKT_PKT0_S7_ifPKiS9_S9_iPKfiiiPfSC_PS2_PT2_iSB_SB_
                                        ; -- End function
	.section	.AMDGPU.csdata,"",@progbits
; Kernel info:
; codeLenInByte = 4860
; NumSgprs: 56
; NumVgprs: 67
; NumAgprs: 0
; TotalNumVgprs: 67
; ScratchSize: 0
; MemoryBound: 0
; FloatMode: 240
; IeeeMode: 1
; LDSByteSize: 8192 bytes/workgroup (compile time only)
; SGPRBlocks: 6
; VGPRBlocks: 8
; NumSGPRsForWavesPerEU: 56
; NumVGPRsForWavesPerEU: 67
; AccumOffset: 68
; Occupancy: 7
; WaveLimiterHint : 1
; COMPUTE_PGM_RSRC2:SCRATCH_EN: 0
; COMPUTE_PGM_RSRC2:USER_SGPR: 2
; COMPUTE_PGM_RSRC2:TRAP_HANDLER: 0
; COMPUTE_PGM_RSRC2:TGID_X_EN: 1
; COMPUTE_PGM_RSRC2:TGID_Y_EN: 1
; COMPUTE_PGM_RSRC2:TGID_Z_EN: 1
; COMPUTE_PGM_RSRC2:TIDIG_COMP_CNT: 0
; COMPUTE_PGM_RSRC3_GFX90A:ACCUM_OFFSET: 16
; COMPUTE_PGM_RSRC3_GFX90A:TG_SPLIT: 0
	.section	.text._Z39paged_attention_ll4mi_QKV_mfma16_kernelIDF16_hLN4vllm18Fp8KVCacheDataTypeE1EhLi16ELi64ELi256ELb1ELi13EEvPKT_PKT0_S7_ifPKiS9_S9_iPKfiiiPfSC_PS2_PT2_iSB_SB_,"axG",@progbits,_Z39paged_attention_ll4mi_QKV_mfma16_kernelIDF16_hLN4vllm18Fp8KVCacheDataTypeE1EhLi16ELi64ELi256ELb1ELi13EEvPKT_PKT0_S7_ifPKiS9_S9_iPKfiiiPfSC_PS2_PT2_iSB_SB_,comdat
	.protected	_Z39paged_attention_ll4mi_QKV_mfma16_kernelIDF16_hLN4vllm18Fp8KVCacheDataTypeE1EhLi16ELi64ELi256ELb1ELi13EEvPKT_PKT0_S7_ifPKiS9_S9_iPKfiiiPfSC_PS2_PT2_iSB_SB_ ; -- Begin function _Z39paged_attention_ll4mi_QKV_mfma16_kernelIDF16_hLN4vllm18Fp8KVCacheDataTypeE1EhLi16ELi64ELi256ELb1ELi13EEvPKT_PKT0_S7_ifPKiS9_S9_iPKfiiiPfSC_PS2_PT2_iSB_SB_
	.globl	_Z39paged_attention_ll4mi_QKV_mfma16_kernelIDF16_hLN4vllm18Fp8KVCacheDataTypeE1EhLi16ELi64ELi256ELb1ELi13EEvPKT_PKT0_S7_ifPKiS9_S9_iPKfiiiPfSC_PS2_PT2_iSB_SB_
	.p2align	8
	.type	_Z39paged_attention_ll4mi_QKV_mfma16_kernelIDF16_hLN4vllm18Fp8KVCacheDataTypeE1EhLi16ELi64ELi256ELb1ELi13EEvPKT_PKT0_S7_ifPKiS9_S9_iPKfiiiPfSC_PS2_PT2_iSB_SB_,@function
_Z39paged_attention_ll4mi_QKV_mfma16_kernelIDF16_hLN4vllm18Fp8KVCacheDataTypeE1EhLi16ELi64ELi256ELb1ELi13EEvPKT_PKT0_S7_ifPKiS9_S9_iPKfiiiPfSC_PS2_PT2_iSB_SB_: ; @_Z39paged_attention_ll4mi_QKV_mfma16_kernelIDF16_hLN4vllm18Fp8KVCacheDataTypeE1EhLi16ELi64ELi256ELb1ELi13EEvPKT_PKT0_S7_ifPKiS9_S9_iPKfiiiPfSC_PS2_PT2_iSB_SB_
; %bb.0:
	s_load_dwordx2 s[6:7], s[0:1], 0x30
	s_mov_b32 s28, s3
	s_mov_b64 s[8:9], 0
	s_waitcnt lgkmcnt(0)
	s_cmp_lg_u64 s[6:7], 0
	s_cselect_b64 s[10:11], -1, 0
	s_and_b64 vcc, exec, s[10:11]
	s_cbranch_vccz .LBB780_7
; %bb.1:
	s_add_i32 s12, s2, 1
	s_mov_b32 s13, 0
	s_lshl_b64 s[14:15], s[12:13], 2
	s_add_u32 s14, s6, s14
	s_mov_b32 s3, s13
	s_addc_u32 s15, s7, s15
	s_lshl_b64 s[12:13], s[2:3], 2
	s_add_u32 s12, s6, s12
	s_addc_u32 s13, s7, s13
	s_load_dword s5, s[14:15], 0x0
	s_load_dword s16, s[12:13], 0x0
	s_waitcnt lgkmcnt(0)
	s_sub_i32 s5, s5, s16
	s_cmp_eq_u32 s5, 1
	s_cselect_b64 s[12:13], -1, 0
	s_andn2_b64 vcc, exec, s[8:9]
	s_cbranch_vccnz .LBB780_3
.LBB780_2:
	s_mov_b32 s3, 0
	s_mov_b64 s[12:13], -1
.LBB780_3:
	s_andn2_b64 vcc, exec, s[12:13]
	s_cbranch_vccnz .LBB780_20
; %bb.4:
	s_load_dwordx2 s[8:9], s[0:1], 0x28
	s_lshl_b64 s[12:13], s[2:3], 2
	s_waitcnt lgkmcnt(0)
	s_add_u32 s8, s8, s12
	s_addc_u32 s9, s9, s13
	s_load_dword s29, s[8:9], 0x0
	s_lshl_b32 s16, s28, 8
	s_waitcnt lgkmcnt(0)
	s_cmp_ge_i32 s16, s29
	s_cbranch_scc1 .LBB780_20
; %bb.5:
	s_load_dwordx2 s[8:9], s[0:1], 0x20
	s_load_dword s5, s[0:1], 0x38
	s_add_i32 s14, s29, 15
	s_ashr_i32 s15, s14, 31
	v_and_b32_e32 v1, 0xcf, v0
	s_lshr_b32 s15, s15, 28
	v_add_u32_e32 v1, s16, v1
	s_add_i32 s14, s14, s15
	v_ashrrev_i32_e32 v2, 31, v1
	s_ashr_i32 s17, s14, 4
	v_lshrrev_b32_e32 v4, 28, v2
	s_add_i32 s17, s17, -1
	s_waitcnt lgkmcnt(0)
	s_mul_i32 s14, s2, s5
	s_mov_b32 s15, 0
	v_add_u32_e32 v2, v1, v4
	s_lshl_b64 s[14:15], s[14:15], 2
	v_ashrrev_i32_e32 v2, 4, v2
	v_mov_b32_e32 v5, s17
	v_cmp_gt_i32_e32 vcc, s29, v1
	s_add_u32 s8, s8, s14
	s_addc_u32 s9, s9, s15
	v_cndmask_b32_e32 v2, v5, v2, vcc
	v_ashrrev_i32_e32 v3, 31, v2
	v_lshl_add_u64 v[6:7], v[2:3], 2, s[8:9]
	v_or_b32_e32 v2, 16, v1
	v_add_u32_e32 v3, v2, v4
	v_ashrrev_i32_e32 v3, 4, v3
	v_cmp_gt_i32_e32 vcc, s29, v2
	s_load_dwordx2 s[14:15], s[0:1], 0x8
	s_nop 0
	v_cndmask_b32_e32 v2, v5, v3, vcc
	v_ashrrev_i32_e32 v3, 31, v2
	v_lshl_add_u64 v[8:9], v[2:3], 2, s[8:9]
	v_or_b32_e32 v2, 32, v1
	v_add_u32_e32 v3, v2, v4
	v_ashrrev_i32_e32 v3, 4, v3
	v_cmp_gt_i32_e32 vcc, s29, v2
	v_or_b32_e32 v1, 48, v1
	s_nop 0
	v_cndmask_b32_e32 v2, v5, v3, vcc
	v_ashrrev_i32_e32 v3, 31, v2
	v_lshl_add_u64 v[10:11], v[2:3], 2, s[8:9]
	v_add_u32_e32 v2, v1, v4
	v_ashrrev_i32_e32 v2, 4, v2
	v_cmp_gt_i32_e32 vcc, s29, v1
	s_nop 1
	v_cndmask_b32_e32 v2, v5, v2, vcc
	v_ashrrev_i32_e32 v3, 31, v2
	v_lshl_add_u64 v[12:13], v[2:3], 2, s[8:9]
	global_load_dword v5, v[6:7], off
	global_load_dword v4, v[8:9], off
	global_load_dword v3, v[10:11], off
	global_load_dword v2, v[12:13], off
	s_andn2_b64 vcc, exec, s[10:11]
	s_cbranch_vccnz .LBB780_8
; %bb.6:
	s_add_u32 s6, s6, s12
	s_addc_u32 s7, s7, s13
	s_load_dword s5, s[6:7], 0x0
	s_branch .LBB780_9
.LBB780_7:
	s_mov_b64 s[12:13], 0
	s_branch .LBB780_2
.LBB780_8:
	s_mov_b32 s5, s2
.LBB780_9:
	s_load_dwordx2 s[6:7], s[0:1], 0x10
	s_load_dwordx4 s[44:47], s[0:1], 0x48
	v_lshrrev_b32_e32 v29, 6, v0
	v_bfe_u32 v42, v0, 4, 2
	v_lshl_or_b32 v6, v29, 2, v42
	v_and_b32_e32 v28, 15, v0
	v_lshlrev_b32_e32 v1, 3, v28
	v_cmp_gt_u32_e32 vcc, 13, v6
	v_cmp_gt_u32_e64 s[30:31], 8, v28
	s_mul_i32 s48, s4, 13
	s_and_b64 s[12:13], s[30:31], vcc
	v_lshlrev_b32_e32 v26, 1, v1
	v_lshlrev_b32_e32 v1, 4, v0
	s_and_saveexec_b64 s[10:11], s[12:13]
	s_cbranch_execz .LBB780_11
; %bb.10:
	s_load_dwordx2 s[12:13], s[0:1], 0x0
	s_waitcnt lgkmcnt(0)
	s_ashr_i32 s18, s44, 31
	s_mul_hi_u32 s19, s5, s44
	s_mul_i32 s18, s5, s18
	s_add_i32 s19, s19, s18
	s_mul_i32 s18, s5, s44
	s_lshl_b64 s[18:19], s[18:19], 1
	s_add_u32 s12, s12, s18
	v_add_lshl_u32 v8, v6, s48, 6
	s_addc_u32 s13, s13, s19
	v_ashrrev_i32_e32 v9, 31, v8
	v_lshl_add_u64 v[8:9], v[8:9], 1, s[12:13]
	v_mov_b32_e32 v27, 0
	v_lshl_add_u64 v[8:9], v[8:9], 0, v[26:27]
	global_load_dwordx4 v[8:11], v[8:9], off
	v_lshlrev_b32_e32 v12, 8, v28
	v_lshlrev_b32_e32 v6, 5, v6
	v_and_b32_e32 v7, 16, v1
	v_and_b32_e32 v12, 0xe00, v12
	v_or3_b32 v6, v12, v6, v7
	s_waitcnt vmcnt(0)
	ds_write_b128 v6, v[8:11]
.LBB780_11:
	s_or_b64 exec, exec, s[10:11]
	s_waitcnt lgkmcnt(0)
	s_mul_i32 s10, s4, s46
	s_add_u32 s4, s14, s10
	s_addc_u32 s5, s15, 0
	v_and_b32_e32 v32, 48, v0
	v_and_b32_e32 v30, 0xf0, v1
	v_mov_b32_e32 v31, 0
	v_lshl_add_u64 v[6:7], s[4:5], 0, v[30:31]
	v_lshlrev_b32_e32 v30, 4, v32
	v_lshl_add_u64 v[6:7], v[6:7], 0, v[30:31]
	s_waitcnt vmcnt(3)
	v_mad_i64_i32 v[8:9], s[4:5], v5, s45, v[6:7]
	s_waitcnt vmcnt(2)
	v_mad_i64_i32 v[4:5], s[4:5], v4, s45, v[6:7]
	s_barrier
	global_load_dwordx4 v[22:25], v[8:9], off
	global_load_dwordx4 v[18:21], v[4:5], off
	s_waitcnt vmcnt(3)
	v_mad_i64_i32 v[4:5], s[4:5], v3, s45, v[6:7]
	s_waitcnt vmcnt(2)
	v_mad_i64_i32 v[2:3], s[4:5], v2, s45, v[6:7]
	global_load_dwordx4 v[14:17], v[4:5], off
	global_load_dwordx4 v[6:9], v[2:3], off
	v_add_u32_e32 v2, -13, v28
	v_cmp_gt_u32_e32 vcc, 13, v28
	v_and_b32_e32 v27, 63, v0
	v_mov_b32_e32 v43, 0
	v_cndmask_b32_e32 v2, v2, v28, vcc
	v_lshlrev_b32_e32 v2, 5, v2
	v_lshl_add_u32 v2, v42, 9, v2
	ds_read_b128 v[10:13], v2
	ds_read_b128 v[2:5], v2 offset:16
	s_and_saveexec_b64 s[4:5], vcc
	s_cbranch_execz .LBB780_13
; %bb.12:
	s_load_dwordx2 s[12:13], s[0:1], 0x40
	v_add_u32_e32 v34, s48, v28
	v_ashrrev_i32_e32 v35, 31, v34
	s_waitcnt lgkmcnt(0)
	v_lshl_add_u64 v[34:35], v[34:35], 2, s[12:13]
	global_load_dword v43, v[34:35], off
.LBB780_13:
	s_or_b64 exec, exec, s[4:5]
	v_or_b32_e32 v62, s16, v32
	v_ashrrev_i32_e32 v30, 4, v62
	v_mov_b32_e32 v63, s17
	v_cmp_gt_i32_e32 vcc, s29, v62
	s_waitcnt vmcnt(2)
	v_cvt_pk_f32_fp8_e32 v[52:53], v20
	v_cvt_pk_f32_fp8_sdwa v[54:55], v20 src0_sel:WORD_1
	v_cndmask_b32_e32 v20, v63, v30, vcc
	v_cvt_pk_f32_fp8_e32 v[56:57], v21
	v_cvt_pk_f32_fp8_sdwa v[58:59], v21 src0_sel:WORD_1
	v_ashrrev_i32_e32 v21, 31, v20
	v_cvt_pk_f32_fp8_e32 v[40:41], v22
	v_cvt_pk_f32_fp8_sdwa v[44:45], v22 src0_sel:WORD_1
	v_lshl_add_u64 v[20:21], v[20:21], 2, s[8:9]
	v_cvt_pk_f32_fp8_e32 v[46:47], v18
	v_cvt_pk_f32_fp8_sdwa v[48:49], v18 src0_sel:WORD_1
	global_load_dword v64, v[20:21], off
	v_cvt_pk_f32_fp8_e32 v[34:35], v23
	v_cvt_pk_f32_fp8_sdwa v[32:33], v23 src0_sel:WORD_1
	v_cvt_pkrtz_f16_f32 v20, v40, v41
	v_cvt_pkrtz_f16_f32 v21, v44, v45
	v_cvt_pk_f32_fp8_e32 v[36:37], v24
	v_cvt_pk_f32_fp8_sdwa v[38:39], v24 src0_sel:WORD_1
	v_cvt_pk_f32_fp8_e32 v[50:51], v19
	v_cvt_pk_f32_fp8_sdwa v[18:19], v19 src0_sel:WORD_1
	v_cvt_pkrtz_f16_f32 v44, v46, v47
	v_cvt_pkrtz_f16_f32 v45, v48, v49
	v_cvt_pk_f32_fp8_e32 v[22:23], v25
	s_waitcnt vmcnt(2)
	v_cvt_pk_f32_fp8_e32 v[40:41], v14
	v_cvt_pk_f32_fp8_sdwa v[46:47], v14 src0_sel:WORD_1
	v_cvt_pkrtz_f16_f32 v48, v34, v35
	v_cvt_pkrtz_f16_f32 v49, v32, v33
	v_or_b32_e32 v14, 64, v62
	v_or_b32_e32 v32, 0xc0, v62
	v_cvt_pk_f32_fp8_sdwa v[24:25], v25 src0_sel:WORD_1
	s_load_dword s11, s[0:1], 0x1c
	s_load_dwordx4 s[40:43], s[0:1], 0x80
	v_cvt_pkrtz_f16_f32 v36, v36, v37
	v_cvt_pkrtz_f16_f32 v37, v38, v39
	v_or_b32_e32 v65, 0x80, v62
	v_ashrrev_i32_e32 v62, 4, v14
	v_cmp_gt_i32_e32 vcc, s29, v32
	v_ashrrev_i32_e32 v66, 4, v32
	v_cmp_gt_i32_e64 s[4:5], s29, v14
	v_cvt_pkrtz_f16_f32 v38, v50, v51
	v_cvt_pkrtz_f16_f32 v39, v18, v19
	s_waitcnt lgkmcnt(0)
	v_mfma_f32_16x16x16_f16 v[32:35], v[20:21], v[10:11], 0
	s_add_u32 s6, s6, s10
	v_lshlrev_b32_e32 v30, 4, v28
	v_cndmask_b32_e64 v50, v63, v62, s[4:5]
	v_cvt_pkrtz_f16_f32 v62, v22, v23
	v_mfma_f32_16x16x16_f16 v[20:23], v[44:45], v[10:11], 0
	v_lshl_or_b32 v30, v29, 8, v30
	s_addc_u32 s7, s7, 0
	v_ashrrev_i32_e32 v14, 4, v65
	v_lshl_add_u64 v[18:19], s[6:7], 0, v[30:31]
	v_cmp_gt_i32_e64 s[6:7], s29, v65
	v_mfma_f32_16x16x16_f16 v[30:33], v[48:49], v[12:13], v[32:35]
	v_cndmask_b32_e32 v48, v63, v66, vcc
	s_load_dword s4, s[40:41], 0x0
	v_cvt_pk_f32_fp8_e32 v[60:61], v15
	v_cndmask_b32_e64 v34, v63, v14, s[6:7]
	v_cvt_pkrtz_f16_f32 v63, v24, v25
	v_cvt_pkrtz_f16_f32 v24, v52, v53
	;; [unrolled: 1-line block ×3, first 2 shown]
	v_mfma_f32_16x16x16_f16 v[20:23], v[38:39], v[12:13], v[20:23]
	v_cvt_pkrtz_f16_f32 v40, v40, v41
	v_cvt_pkrtz_f16_f32 v41, v46, v47
	v_ashrrev_i32_e32 v51, 31, v50
	v_mfma_f32_16x16x16_f16 v[20:23], v[24:25], v[2:3], v[20:23]
	v_mov_b32_e32 v24, s11
	s_waitcnt lgkmcnt(0)
	v_mul_f32_e32 v54, s4, v24
	v_cvt_pk_f32_fp8_sdwa v[24:25], v15 src0_sel:WORD_1
	v_mfma_f32_16x16x16_f16 v[30:33], v[36:37], v[2:3], v[30:33]
	v_ashrrev_i32_e32 v35, 31, v34
	v_ashrrev_i32_e32 v49, 31, v48
	v_lshl_add_u64 v[36:37], v[50:51], 2, s[8:9]
	v_lshl_add_u64 v[34:35], v[34:35], 2, s[8:9]
	;; [unrolled: 1-line block ×3, first 2 shown]
	global_load_dword v14, v[36:37], off
	global_load_dword v44, v[34:35], off
	;; [unrolled: 1-line block ×3, first 2 shown]
	v_cvt_pkrtz_f16_f32 v46, v60, v61
	v_cvt_pk_f32_fp8_e32 v[48:49], v16
	v_cvt_pk_f32_fp8_sdwa v[50:51], v16 src0_sel:WORD_1
	v_cvt_pkrtz_f16_f32 v47, v24, v25
	v_mfma_f32_16x16x16_f16 v[36:39], v[62:63], v[4:5], v[30:33]
	v_cvt_pkrtz_f16_f32 v24, v48, v49
	v_cvt_pkrtz_f16_f32 v25, v50, v51
	;; [unrolled: 1-line block ×3, first 2 shown]
	v_mfma_f32_16x16x16_f16 v[30:33], v[40:41], v[10:11], 0
	v_cvt_pk_f32_fp8_e32 v[40:41], v17
	v_cvt_pk_f32_fp8_sdwa v[16:17], v17 src0_sel:WORD_1
	v_cvt_pkrtz_f16_f32 v53, v58, v59
	v_mfma_f32_16x16x16_f16 v[46:49], v[46:47], v[12:13], v[30:33]
	s_mov_b32 s33, 0xff7fffff
	s_waitcnt vmcnt(3)
	v_mad_i64_i32 v[34:35], s[4:5], v64, s45, v[18:19]
	v_cvt_pkrtz_f16_f32 v32, v40, v41
	v_cvt_pkrtz_f16_f32 v33, v16, v17
	v_mfma_f32_16x16x16_f16 v[46:49], v[24:25], v[2:3], v[46:49]
	v_cvt_pk_f32_fp8_e32 v[16:17], v6
	v_cvt_pk_f32_fp8_sdwa v[24:25], v6 src0_sel:WORD_1
	v_pk_mul_f32 v[30:31], v[54:55], v[38:39] op_sel_hi:[0,1]
	v_mfma_f32_16x16x16_f16 v[46:49], v[32:33], v[4:5], v[46:49]
	v_cvt_pk_f32_fp8_e32 v[32:33], v7
	v_cvt_pkrtz_f16_f32 v16, v16, v17
	v_cvt_pkrtz_f16_f32 v17, v24, v25
	v_cvt_pk_f32_fp8_sdwa v[6:7], v7 src0_sel:WORD_1
	v_pk_mul_f32 v[38:39], v[54:55], v[36:37] op_sel_hi:[0,1]
	v_cvt_pkrtz_f16_f32 v24, v32, v33
	v_cvt_pk_f32_fp8_e32 v[32:33], v8
	v_cvt_pk_f32_fp8_sdwa v[36:37], v8 src0_sel:WORD_1
	v_cvt_pkrtz_f16_f32 v25, v6, v7
	v_mfma_f32_16x16x16_f16 v[20:23], v[52:53], v[4:5], v[20:23]
	v_mfma_f32_16x16x16_f16 v[50:53], v[16:17], v[10:11], 0
	v_cvt_pkrtz_f16_f32 v10, v32, v33
	v_cvt_pkrtz_f16_f32 v11, v36, v37
	v_cvt_pk_f32_fp8_e32 v[16:17], v9
	v_cvt_pk_f32_fp8_sdwa v[32:33], v9 src0_sel:WORD_1
	v_mfma_f32_16x16x16_f16 v[6:9], v[24:25], v[12:13], v[50:53]
	s_nop 0
	v_pk_mul_f32 v[36:37], v[54:55], v[22:23] op_sel_hi:[0,1]
	v_cvt_pkrtz_f16_f32 v12, v16, v17
	v_cvt_pkrtz_f16_f32 v13, v32, v33
	v_mfma_f32_16x16x16_f16 v[6:9], v[10:11], v[2:3], v[6:9]
	v_pk_mul_f32 v[40:41], v[54:55], v[20:21] op_sel_hi:[0,1]
	v_pk_mul_f32 v[24:25], v[54:55], v[48:49] op_sel_hi:[0,1]
	;; [unrolled: 1-line block ×3, first 2 shown]
	v_mfma_f32_16x16x16_f16 v[2:5], v[12:13], v[4:5], v[6:9]
	s_nop 6
	v_pk_mul_f32 v[22:23], v[54:55], v[2:3] op_sel_hi:[0,1]
	v_and_b32_e32 v2, 0xc0, v0
	v_add_u32_e32 v2, s16, v2
	v_lshl_or_b32 v2, v42, 2, v2
	v_or_b32_e32 v3, 1, v2
	v_pk_mul_f32 v[20:21], v[54:55], v[4:5] op_sel_hi:[0,1]
	v_subrev_u32_e32 v4, s29, v3
	v_add_u32_e32 v6, 1, v4
	v_add_u32_e32 v7, 2, v4
	;; [unrolled: 1-line block ×3, first 2 shown]
	v_cvt_f32_i32_e32 v6, v6
	v_cvt_f32_i32_e32 v7, v7
	;; [unrolled: 1-line block ×3, first 2 shown]
	v_add_u32_e32 v9, 19, v4
	v_fmac_f32_e32 v39, v43, v6
	v_fma_f32 v30, v43, v7, v30
	v_fmac_f32_e32 v31, v43, v8
	v_add_u32_e32 v6, 16, v4
	v_add_u32_e32 v7, 17, v4
	;; [unrolled: 1-line block ×3, first 2 shown]
	v_cvt_f32_i32_e32 v6, v6
	v_cvt_f32_i32_e32 v7, v7
	;; [unrolled: 1-line block ×4, first 2 shown]
	v_fma_f32 v40, v43, v6, v40
	v_fmac_f32_e32 v41, v43, v7
	v_fma_f32 v36, v43, v8, v36
	v_add_u32_e32 v6, 32, v4
	v_add_u32_e32 v7, 33, v4
	;; [unrolled: 1-line block ×3, first 2 shown]
	v_cvt_f32_i32_e32 v6, v6
	v_cvt_f32_i32_e32 v7, v7
	;; [unrolled: 1-line block ×4, first 2 shown]
	v_fmac_f32_e32 v37, v43, v9
	v_add_u32_e32 v9, 35, v4
	v_fma_f32 v32, v43, v6, v32
	v_fmac_f32_e32 v33, v43, v7
	v_fma_f32 v24, v43, v8, v24
	v_add_u32_e32 v6, 48, v4
	v_add_u32_e32 v7, 49, v4
	;; [unrolled: 1-line block ×4, first 2 shown]
	v_cvt_f32_i32_e32 v4, v4
	v_cvt_f32_i32_e32 v6, v6
	;; [unrolled: 1-line block ×3, first 2 shown]
	v_fma_f32 v5, v43, v5, v38
	v_fmac_f32_e32 v21, v43, v4
	v_mov_b32_e32 v4, 0xff7fffff
	v_cmp_gt_i32_e64 s[4:5], s29, v2
	v_cmp_gt_i32_e64 s[34:35], s29, v3
	v_fma_f32 v22, v43, v6, v22
	v_cndmask_b32_e64 v6, v4, v5, s[4:5]
	v_cndmask_b32_e64 v3, v4, v39, s[34:35]
	v_fmac_f32_e32 v23, v43, v7
	v_max3_f32 v3, v6, s33, v3
	v_or_b32_e32 v6, 2, v2
	v_or_b32_e32 v7, 3, v2
	v_cmp_gt_i32_e64 s[36:37], s29, v6
	v_cmp_gt_i32_e64 s[38:39], s29, v7
	v_cvt_f32_i32_e32 v9, v9
	v_cndmask_b32_e64 v6, v4, v30, s[36:37]
	v_cndmask_b32_e64 v7, v4, v31, s[38:39]
	v_max3_f32 v3, v3, v6, v7
	v_or_b32_e32 v6, 16, v2
	v_or_b32_e32 v7, 17, v2
	v_cmp_gt_i32_e64 s[24:25], s29, v6
	v_cmp_gt_i32_e64 s[26:27], s29, v7
	v_fmac_f32_e32 v25, v43, v9
	v_cndmask_b32_e64 v6, v4, v40, s[24:25]
	v_cndmask_b32_e64 v7, v4, v41, s[26:27]
	v_max3_f32 v3, v3, v6, v7
	v_or_b32_e32 v6, 18, v2
	v_or_b32_e32 v7, 19, v2
	v_cmp_gt_i32_e64 s[20:21], s29, v6
	v_cmp_gt_i32_e64 s[22:23], s29, v7
	v_cvt_f32_i32_e32 v8, v8
	v_cndmask_b32_e64 v6, v4, v36, s[20:21]
	v_cndmask_b32_e64 v7, v4, v37, s[22:23]
	v_max3_f32 v3, v3, v6, v7
	v_or_b32_e32 v6, 32, v2
	v_or_b32_e32 v7, 33, v2
	v_cmp_gt_i32_e64 s[16:17], s29, v6
	v_cmp_gt_i32_e64 s[18:19], s29, v7
	v_fma_f32 v20, v43, v8, v20
	v_cndmask_b32_e64 v6, v4, v32, s[16:17]
	v_cndmask_b32_e64 v7, v4, v33, s[18:19]
	v_max3_f32 v3, v3, v6, v7
	v_or_b32_e32 v6, 34, v2
	v_or_b32_e32 v7, 35, v2
	v_cmp_gt_i32_e64 s[12:13], s29, v6
	v_cmp_gt_i32_e64 s[14:15], s29, v7
	s_nop 0
	v_cndmask_b32_e64 v6, v4, v24, s[12:13]
	v_cndmask_b32_e64 v7, v4, v25, s[14:15]
	v_max3_f32 v3, v3, v6, v7
	v_or_b32_e32 v6, 48, v2
	v_or_b32_e32 v7, 49, v2
	v_cmp_gt_i32_e64 s[8:9], s29, v6
	v_cmp_gt_i32_e64 s[10:11], s29, v7
	s_nop 0
	v_cndmask_b32_e64 v6, v4, v22, s[8:9]
	v_cndmask_b32_e64 v7, v4, v23, s[10:11]
	v_max3_f32 v3, v3, v6, v7
	v_or_b32_e32 v6, 50, v2
	v_or_b32_e32 v2, 51, v2
	v_cmp_gt_i32_e32 vcc, s29, v6
	v_cmp_gt_i32_e64 s[6:7], s29, v2
	s_nop 0
	v_cndmask_b32_e32 v6, v4, v20, vcc
	v_cndmask_b32_e64 v2, v4, v21, s[6:7]
	v_max3_f32 v4, v3, v6, v2
	v_mbcnt_lo_u32_b32 v2, -1, 0
	v_mbcnt_hi_u32_b32 v6, -1, v2
	v_and_b32_e32 v2, 64, v6
	v_add_u32_e32 v7, 64, v2
	v_xor_b32_e32 v2, 32, v6
	v_cmp_lt_i32_e64 s[40:41], v2, v7
	s_nop 1
	v_cndmask_b32_e64 v2, v6, v2, s[40:41]
	v_lshlrev_b32_e32 v43, 2, v2
	ds_bpermute_b32 v8, v43, v4
	s_waitcnt vmcnt(2)
	v_mad_i64_i32 v[2:3], s[40:41], v14, s45, v[18:19]
	global_load_dwordx4 v[14:17], v[34:35], off
	global_load_dwordx4 v[10:13], v[2:3], off
	v_xor_b32_e32 v3, 16, v6
	v_cmp_lt_i32_e64 s[40:41], v3, v7
	s_waitcnt lgkmcnt(0)
	v_max_f32_e32 v2, v8, v8
	v_max_f32_e32 v2, v4, v2
	v_cndmask_b32_e64 v3, v6, v3, s[40:41]
	v_lshlrev_b32_e32 v46, 2, v3
	ds_bpermute_b32 v3, v46, v2
	s_waitcnt vmcnt(3)
	v_mad_i64_i32 v[34:35], s[40:41], v44, s45, v[18:19]
	s_waitcnt vmcnt(2)
	v_mad_i64_i32 v[18:19], s[40:41], v45, s45, v[18:19]
	s_waitcnt lgkmcnt(0)
	v_max_f32_e32 v3, v3, v3
	v_max_f32_e32 v38, v2, v3
	v_sub_f32_e32 v2, v5, v38
	v_mul_f32_e32 v2, 0x3fb8aa3b, v2
	v_exp_f32_e32 v44, v2
	v_sub_f32_e32 v2, v39, v38
	v_mul_f32_e32 v2, 0x3fb8aa3b, v2
	v_exp_f32_e32 v39, v2
	global_load_dwordx4 v[6:9], v[34:35], off
	global_load_dwordx4 v[2:5], v[18:19], off
	v_sub_f32_e32 v30, v30, v38
	v_mul_f32_e32 v30, 0x3fb8aa3b, v30
	v_sub_f32_e32 v31, v31, v38
	v_exp_f32_e32 v30, v30
	v_mul_f32_e32 v31, 0x3fb8aa3b, v31
	v_exp_f32_e32 v31, v31
	v_cndmask_b32_e64 v18, 0, v44, s[4:5]
	v_add_f32_e32 v34, 0, v18
	v_cndmask_b32_e64 v19, 0, v39, s[34:35]
	v_add_f32_e32 v35, v34, v19
	;; [unrolled: 2-line block ×3, first 2 shown]
	v_cndmask_b32_e64 v35, 0, v31, s[38:39]
	v_sub_f32_e32 v31, v40, v38
	v_mul_f32_e32 v31, 0x3fb8aa3b, v31
	v_sub_f32_e32 v39, v41, v38
	v_exp_f32_e32 v31, v31
	v_mul_f32_e32 v39, 0x3fb8aa3b, v39
	v_sub_f32_e32 v36, v36, v38
	v_exp_f32_e32 v39, v39
	;; [unrolled: 3-line block ×4, first 2 shown]
	v_mul_f32_e32 v32, 0x3fb8aa3b, v32
	v_sub_f32_e32 v33, v33, v38
	v_add_f32_e32 v40, v30, v35
	v_cndmask_b32_e64 v30, 0, v31, s[24:25]
	v_exp_f32_e32 v32, v32
	v_mul_f32_e32 v33, 0x3fb8aa3b, v33
	v_sub_f32_e32 v24, v24, v38
	v_add_f32_e32 v40, v40, v30
	v_cndmask_b32_e64 v31, 0, v39, s[26:27]
	v_exp_f32_e32 v33, v33
	v_mul_f32_e32 v24, 0x3fb8aa3b, v24
	v_sub_f32_e32 v25, v25, v38
	v_add_f32_e32 v39, v40, v31
	v_cndmask_b32_e64 v36, 0, v36, s[20:21]
	v_exp_f32_e32 v24, v24
	v_mul_f32_e32 v25, 0x3fb8aa3b, v25
	v_sub_f32_e32 v22, v22, v38
	v_add_f32_e32 v39, v39, v36
	v_cndmask_b32_e64 v37, 0, v37, s[22:23]
	v_exp_f32_e32 v25, v25
	v_mul_f32_e32 v22, 0x3fb8aa3b, v22
	v_sub_f32_e32 v23, v23, v38
	v_add_f32_e32 v39, v39, v37
	v_cndmask_b32_e64 v32, 0, v32, s[16:17]
	v_exp_f32_e32 v22, v22
	v_mul_f32_e32 v23, 0x3fb8aa3b, v23
	v_sub_f32_e32 v20, v20, v38
	v_add_f32_e32 v39, v39, v32
	v_cndmask_b32_e64 v33, 0, v33, s[18:19]
	v_exp_f32_e32 v23, v23
	v_mul_f32_e32 v20, 0x3fb8aa3b, v20
	v_sub_f32_e32 v21, v21, v38
	v_add_f32_e32 v39, v39, v33
	v_cndmask_b32_e64 v24, 0, v24, s[12:13]
	v_exp_f32_e32 v20, v20
	v_mul_f32_e32 v21, 0x3fb8aa3b, v21
	v_add_f32_e32 v39, v39, v24
	v_cndmask_b32_e64 v25, 0, v25, s[14:15]
	v_exp_f32_e32 v21, v21
	v_add_f32_e32 v39, v39, v25
	v_cndmask_b32_e64 v22, 0, v22, s[8:9]
	v_add_f32_e32 v39, v39, v22
	v_cndmask_b32_e64 v23, 0, v23, s[10:11]
	v_add_f32_e32 v39, v39, v23
	v_cndmask_b32_e32 v20, 0, v20, vcc
	v_add_f32_e32 v39, v39, v20
	v_cndmask_b32_e64 v21, 0, v21, s[6:7]
	v_add_f32_e32 v39, v39, v21
	ds_bpermute_b32 v40, v43, v39
	s_load_dword s9, s[0:1], 0x98
	v_cmp_gt_u32_e64 s[6:7], 16, v27
	s_waitcnt lgkmcnt(0)
	s_barrier
	v_add_f32_e32 v40, v39, v40
	ds_bpermute_b32 v41, v46, v40
	v_lshlrev_b32_e32 v39, 2, v28
	s_waitcnt lgkmcnt(0)
	s_and_saveexec_b64 s[4:5], s[6:7]
	s_cbranch_execz .LBB780_15
; %bb.14:
	v_add_f32_e32 v27, v40, v41
	v_lshl_or_b32 v40, v29, 6, v39
	ds_write2st64_b32 v40, v38, v27 offset1:1
.LBB780_15:
	s_or_b64 exec, exec, s[4:5]
	s_load_dword s8, s[0:1], 0x94
	s_waitcnt lgkmcnt(0)
	s_barrier
	ds_read2_b32 v[40:41], v39 offset1:16
	ds_read2_b32 v[44:45], v39 offset0:32 offset1:48
	ds_read2_b32 v[46:47], v39 offset0:64 offset1:80
	s_mul_i32 s9, s9, 13
	s_waitcnt lgkmcnt(2)
	v_max3_f32 v27, v40, s33, v41
	s_waitcnt lgkmcnt(1)
	v_max3_f32 v27, v27, v44, v45
	v_sub_f32_e32 v38, v40, v27
	v_mul_f32_e32 v38, 0x3fb8aa3b, v38
	v_exp_f32_e32 v43, v38
	v_sub_f32_e32 v38, v41, v27
	v_mul_f32_e32 v38, 0x3fb8aa3b, v38
	v_exp_f32_e32 v48, v38
	v_sub_f32_e32 v38, v44, v27
	v_mul_f32_e32 v38, 0x3fb8aa3b, v38
	v_exp_f32_e32 v44, v38
	ds_read2_b32 v[40:41], v39 offset0:96 offset1:112
	v_sub_f32_e32 v38, v45, v27
	v_mul_f32_e32 v38, 0x3fb8aa3b, v38
	v_exp_f32_e32 v39, v38
	s_waitcnt lgkmcnt(1)
	v_fma_f32 v38, v43, v46, 0
	v_fmac_f32_e32 v38, v48, v47
	s_waitcnt lgkmcnt(0)
	v_fmac_f32_e32 v38, v44, v40
	v_fmac_f32_e32 v38, v39, v41
	v_add_f32_e32 v40, 0x358637bd, v38
	v_div_scale_f32 v41, s[4:5], v40, v40, 1.0
	v_rcp_f32_e32 v45, v41
	s_barrier
	v_fma_f32 v46, -v41, v45, 1.0
	v_fmac_f32_e32 v45, v46, v45
	v_div_scale_f32 v46, vcc, 1.0, v40, 1.0
	v_mul_f32_e32 v47, v46, v45
	v_fma_f32 v49, -v41, v47, v46
	v_fmac_f32_e32 v47, v49, v45
	v_fma_f32 v41, -v41, v47, v46
	v_div_fmas_f32 v41, v41, v45, v47
	v_cmp_eq_u32_e32 vcc, 1, v29
	v_div_fixup_f32 v40, v41, v40, 1.0
	s_nop 0
	v_cndmask_b32_e32 v41, v43, v48, vcc
	v_cmp_eq_u32_e32 vcc, 2, v29
	s_nop 1
	v_cndmask_b32_e32 v41, v41, v44, vcc
	v_cmp_eq_u32_e32 vcc, 3, v29
	v_lshlrev_b32_e32 v29, 11, v29
	s_nop 0
	v_cndmask_b32_e32 v39, v41, v39, vcc
	v_mul_f32_e32 v40, v39, v40
	v_pk_mul_f32 v[18:19], v[40:41], v[18:19] op_sel_hi:[0,1]
	v_pk_mul_f32 v[34:35], v[40:41], v[34:35] op_sel_hi:[0,1]
	v_cvt_f16_f32_e32 v18, v18
	v_cvt_f16_f32_e32 v19, v19
	v_pk_mul_f32 v[36:37], v[40:41], v[36:37] op_sel_hi:[0,1]
	v_pk_mul_f32 v[30:31], v[40:41], v[30:31] op_sel_hi:[0,1]
	v_cvt_f16_f32_e32 v39, v34
	v_cvt_f16_f32_e32 v35, v35
	;; [unrolled: 1-line block ×6, first 2 shown]
	v_pack_b32_f16 v34, v18, v19
	v_lshlrev_b32_e32 v18, 3, v42
	v_lshlrev_b32_e32 v19, 5, v28
	v_pack_b32_f16 v35, v39, v35
	v_or3_b32 v18, v29, v19, v18
	v_pack_b32_f16 v30, v30, v31
	v_pack_b32_f16 v31, v36, v37
	ds_write2st64_b64 v18, v[34:35], v[30:31] offset1:1
	v_pk_mul_f32 v[24:25], v[40:41], v[24:25] op_sel_hi:[0,1]
	v_pk_mul_f32 v[30:31], v[40:41], v[32:33] op_sel_hi:[0,1]
	;; [unrolled: 1-line block ×4, first 2 shown]
	v_cvt_f16_f32_e32 v29, v30
	v_cvt_f16_f32_e32 v30, v31
	;; [unrolled: 1-line block ×8, first 2 shown]
	v_pack_b32_f16 v20, v29, v30
	v_pack_b32_f16 v21, v24, v25
	;; [unrolled: 1-line block ×4, first 2 shown]
	v_cmp_gt_u32_e32 vcc, 13, v0
	ds_write2st64_b64 v18, v[20:21], v[22:23] offset0:2 offset1:3
	s_and_saveexec_b64 s[4:5], vcc
	s_cbranch_execz .LBB780_17
; %bb.16:
	s_mov_b32 s49, 0
	v_mov_b32_e32 v29, 0
	v_lshl_add_u64 v[20:21], s[48:49], 0, v[28:29]
	v_mov_b32_e32 v22, s9
	v_mad_u64_u32 v[20:21], s[10:11], s2, v22, v[20:21]
	s_mul_i32 s3, s3, s9
	v_mov_b32_e32 v28, s28
	s_load_dwordx4 s[12:15], s[0:1], 0x58
	v_add_u32_e32 v23, s3, v21
	v_mad_u64_u32 v[20:21], s[10:11], v20, s8, v[28:29]
	v_mov_b32_e32 v22, v21
	v_mad_u64_u32 v[22:23], s[10:11], v23, s8, v[22:23]
	v_mov_b32_e32 v21, v22
	v_lshlrev_b64 v[20:21], 2, v[20:21]
	s_waitcnt lgkmcnt(0)
	v_lshl_add_u64 v[22:23], s[14:15], 0, v[20:21]
	v_lshl_add_u64 v[20:21], s[12:13], 0, v[20:21]
	global_store_dword v[22:23], v27, off
	global_store_dword v[20:21], v38, off
.LBB780_17:
	s_or_b64 exec, exec, s[4:5]
	s_waitcnt vmcnt(3)
	v_cvt_pk_f32_fp8_e32 v[20:21], v14
	v_cvt_pk_f32_fp8_sdwa v[22:23], v14 src0_sel:WORD_1
	v_lshl_or_b32 v14, v42, 9, v19
	s_waitcnt lgkmcnt(0)
	s_barrier
	v_cvt_pk_f32_fp8_e32 v[24:25], v15
	v_cvt_pkrtz_f16_f32 v32, v20, v21
	v_cvt_pkrtz_f16_f32 v33, v22, v23
	v_cvt_pk_f32_fp8_sdwa v[28:29], v15 src0_sel:WORD_1
	ds_read_b128 v[20:23], v14
	v_cvt_pkrtz_f16_f32 v24, v24, v25
	v_cvt_pk_f32_fp8_e32 v[36:37], v16
	v_cvt_pkrtz_f16_f32 v25, v28, v29
	ds_read_b128 v[28:31], v14 offset:16
	v_cvt_pk_f32_fp8_sdwa v[38:39], v16 src0_sel:WORD_1
	s_waitcnt lgkmcnt(1)
	v_mfma_f32_16x16x16_f16 v[32:35], v[32:33], v[20:21], 0
	v_cvt_pkrtz_f16_f32 v36, v36, v37
	s_load_dword s4, s[42:43], 0x0
	v_cvt_pkrtz_f16_f32 v37, v38, v39
	v_cvt_pk_f32_fp8_e32 v[38:39], v17
	v_cvt_pk_f32_fp8_sdwa v[16:17], v17 src0_sel:WORD_1
	v_mfma_f32_16x16x16_f16 v[20:23], v[24:25], v[22:23], v[32:35]
	v_cmp_gt_u32_e32 vcc, 64, v0
	v_cvt_pkrtz_f16_f32 v24, v38, v39
	v_cvt_pkrtz_f16_f32 v25, v16, v17
	s_waitcnt lgkmcnt(0)
	v_mfma_f32_16x16x16_f16 v[20:23], v[36:37], v[28:29], v[20:23]
	s_waitcnt vmcnt(2)
	v_cvt_pk_f32_fp8_e32 v[16:17], v10
	v_cvt_pk_f32_fp8_e32 v[28:29], v11
	v_cvt_pk_f32_fp8_sdwa v[36:37], v12 src0_sel:WORD_1
	v_mfma_f32_16x16x16_f16 v[20:23], v[24:25], v[30:31], v[20:23]
	v_cvt_pk_f32_fp8_sdwa v[24:25], v10 src0_sel:WORD_1
	v_cvt_pkrtz_f16_f32 v10, v16, v17
	v_cvt_pk_f32_fp8_sdwa v[16:17], v11 src0_sel:WORD_1
	ds_read_b128 v[32:35], v14 offset:2064
	v_cvt_pkrtz_f16_f32 v11, v24, v25
	v_cvt_pkrtz_f16_f32 v24, v28, v29
	ds_read_b128 v[28:31], v14 offset:2048
	v_cvt_pkrtz_f16_f32 v25, v16, v17
	v_cvt_pk_f32_fp8_e32 v[16:17], v12
	s_waitcnt lgkmcnt(0)
	v_mfma_f32_16x16x16_f16 v[20:23], v[10:11], v[28:29], v[20:23]
	v_cvt_pkrtz_f16_f32 v10, v16, v17
	v_cvt_pkrtz_f16_f32 v11, v36, v37
	v_cvt_pk_f32_fp8_e32 v[16:17], v13
	v_mfma_f32_16x16x16_f16 v[20:23], v[24:25], v[30:31], v[20:23]
	v_cvt_pk_f32_fp8_sdwa v[24:25], v13 src0_sel:WORD_1
	ds_read_b128 v[28:31], v14 offset:4112
	v_cvt_pkrtz_f16_f32 v16, v16, v17
	v_mfma_f32_16x16x16_f16 v[10:13], v[10:11], v[32:33], v[20:23]
	v_cvt_pkrtz_f16_f32 v17, v24, v25
	s_waitcnt vmcnt(1)
	v_cvt_pk_f32_fp8_sdwa v[24:25], v7 src0_sel:WORD_1
	v_cvt_pk_f32_fp8_sdwa v[32:33], v8 src0_sel:WORD_1
	v_cvt_pk_f32_fp8_e32 v[20:21], v6
	v_mfma_f32_16x16x16_f16 v[10:13], v[16:17], v[34:35], v[10:13]
	v_cvt_pk_f32_fp8_sdwa v[16:17], v6 src0_sel:WORD_1
	v_cvt_pk_f32_fp8_e32 v[22:23], v7
	v_cvt_pkrtz_f16_f32 v6, v20, v21
	s_mov_b32 s3, 0
	v_cvt_pkrtz_f16_f32 v7, v16, v17
	v_cvt_pkrtz_f16_f32 v16, v22, v23
	ds_read_b128 v[20:23], v14 offset:4096
	v_cvt_pkrtz_f16_f32 v17, v24, v25
	v_cvt_pk_f32_fp8_e32 v[24:25], v8
	s_waitcnt lgkmcnt(0)
	v_mfma_f32_16x16x16_f16 v[10:13], v[6:7], v[20:21], v[10:13]
	v_cvt_pkrtz_f16_f32 v6, v24, v25
	v_cvt_pkrtz_f16_f32 v7, v32, v33
	v_cvt_pk_f32_fp8_e32 v[20:21], v9
	v_mfma_f32_16x16x16_f16 v[10:13], v[16:17], v[22:23], v[10:13]
	v_cvt_pk_f32_fp8_sdwa v[16:17], v9 src0_sel:WORD_1
	s_waitcnt vmcnt(0)
	v_cvt_pk_f32_fp8_sdwa v[24:25], v4 src0_sel:WORD_1
	v_cvt_pkrtz_f16_f32 v20, v20, v21
	v_mfma_f32_16x16x16_f16 v[6:9], v[6:7], v[28:29], v[10:13]
	v_cvt_pkrtz_f16_f32 v21, v16, v17
	v_cvt_pk_f32_fp8_e32 v[16:17], v3
	v_mov_b32_e32 v27, 0
	v_cvt_pk_f32_fp8_e32 v[10:11], v2
	v_cvt_pk_f32_fp8_sdwa v[12:13], v2 src0_sel:WORD_1
	v_mfma_f32_16x16x16_f16 v[6:9], v[20:21], v[30:31], v[6:9]
	v_cvt_pk_f32_fp8_sdwa v[20:21], v3 src0_sel:WORD_1
	v_cvt_pkrtz_f16_f32 v2, v10, v11
	v_cvt_pkrtz_f16_f32 v3, v12, v13
	ds_read_b128 v[10:13], v14 offset:6144
	v_cvt_pkrtz_f16_f32 v22, v16, v17
	v_cvt_pkrtz_f16_f32 v23, v20, v21
	v_cvt_pk_f32_fp8_e32 v[20:21], v4
	s_waitcnt lgkmcnt(0)
	v_mfma_f32_16x16x16_f16 v[6:9], v[2:3], v[10:11], v[6:9]
	ds_read_b128 v[14:17], v14 offset:6160
	v_cvt_pkrtz_f16_f32 v2, v20, v21
	v_cvt_pkrtz_f16_f32 v3, v24, v25
	v_cvt_pk_f32_fp8_e32 v[10:11], v5
	v_mfma_f32_16x16x16_f16 v[6:9], v[22:23], v[12:13], v[6:9]
	v_cvt_pk_f32_fp8_sdwa v[12:13], v5 src0_sel:WORD_1
	s_waitcnt lgkmcnt(0)
	v_cvt_pkrtz_f16_f32 v10, v10, v11
	v_mfma_f32_16x16x16_f16 v[2:5], v[2:3], v[14:15], v[6:9]
	v_cvt_pkrtz_f16_f32 v11, v12, v13
	s_barrier
	s_nop 0
	v_mfma_f32_16x16x16_f16 v[2:5], v[10:11], v[16:17], v[2:5]
	s_nop 6
	v_pk_mul_f32 v[4:5], v[4:5], s[4:5] op_sel_hi:[1,0]
	v_pk_mul_f32 v[2:3], v[2:3], s[4:5] op_sel_hi:[1,0]
	v_cvt_f16_f32_e32 v4, v4
	v_cvt_f16_f32_e32 v2, v2
	;; [unrolled: 1-line block ×4, first 2 shown]
	s_and_b64 s[4:5], vcc, s[30:31]
	v_pack_b32_f16 v2, v2, v3
	v_pack_b32_f16 v3, v4, v5
	ds_write_b64 v18, v[2:3]
	s_waitcnt lgkmcnt(0)
	s_barrier
	s_and_saveexec_b64 s[10:11], s[4:5]
	s_cbranch_execz .LBB780_20
; %bb.18:
	s_load_dwordx2 s[4:5], s[0:1], 0x68
	s_lshl_b32 s0, s8, 6
	s_mul_i32 s1, s9, s2
	s_mul_hi_u32 s9, s1, s0
	s_mul_i32 s8, s1, s0
	v_lshlrev_b32_e32 v0, 10, v0
	s_lshl_b64 s[8:9], s[8:9], 1
	v_and_b32_e32 v0, 0x1800, v0
	v_lshlrev_b32_e32 v2, 5, v42
	v_and_b32_e32 v1, 16, v1
	s_waitcnt lgkmcnt(0)
	s_add_u32 s1, s4, s8
	v_or3_b32 v2, v0, v2, v1
	s_addc_u32 s4, s5, s9
	s_lshl_b32 s2, s28, 6
	ds_read_b128 v[4:7], v2 offset:256
	s_lshl_b64 s[2:3], s[2:3], 1
	ds_read_b128 v[8:11], v2 offset:128
	ds_read_b128 v[12:15], v2
	s_add_u32 s2, s1, s2
	s_addc_u32 s3, s4, s3
	v_add_u32_e32 v3, s48, v42
	v_lshl_add_u64 v[0:1], s[2:3], 0, v[26:27]
	v_mad_u64_u32 v[16:17], s[2:3], v3, s0, 0
	v_lshl_add_u64 v[16:17], v[16:17], 1, v[0:1]
	s_waitcnt lgkmcnt(0)
	global_store_dwordx4 v[16:17], v[12:15], off
	s_nop 1
	v_add_u32_e32 v12, 4, v3
	v_mad_u64_u32 v[12:13], s[2:3], v12, s0, 0
	v_lshl_add_u64 v[12:13], v[12:13], 1, v[0:1]
	v_add_u32_e32 v3, 8, v3
	global_store_dwordx4 v[12:13], v[8:11], off
	s_nop 1
	v_mad_u64_u32 v[8:9], s[2:3], v3, s0, 0
	v_lshl_add_u64 v[8:9], v[8:9], 1, v[0:1]
	global_store_dwordx4 v[8:9], v[4:7], off
	s_and_b64 exec, exec, s[6:7]
	s_cbranch_execz .LBB780_20
; %bb.19:
	ds_read_b128 v[2:5], v2 offset:384
	v_add3_u32 v6, s48, v42, 12
	v_mad_u64_u32 v[6:7], s[0:1], v6, s0, 0
	v_lshl_add_u64 v[0:1], v[6:7], 1, v[0:1]
	s_waitcnt lgkmcnt(0)
	global_store_dwordx4 v[0:1], v[2:5], off
.LBB780_20:
	s_endpgm
	.section	.rodata,"a",@progbits
	.p2align	6, 0x0
	.amdhsa_kernel _Z39paged_attention_ll4mi_QKV_mfma16_kernelIDF16_hLN4vllm18Fp8KVCacheDataTypeE1EhLi16ELi64ELi256ELb1ELi13EEvPKT_PKT0_S7_ifPKiS9_S9_iPKfiiiPfSC_PS2_PT2_iSB_SB_
		.amdhsa_group_segment_fixed_size 8192
		.amdhsa_private_segment_fixed_size 0
		.amdhsa_kernarg_size 400
		.amdhsa_user_sgpr_count 2
		.amdhsa_user_sgpr_dispatch_ptr 0
		.amdhsa_user_sgpr_queue_ptr 0
		.amdhsa_user_sgpr_kernarg_segment_ptr 1
		.amdhsa_user_sgpr_dispatch_id 0
		.amdhsa_user_sgpr_kernarg_preload_length 0
		.amdhsa_user_sgpr_kernarg_preload_offset 0
		.amdhsa_user_sgpr_private_segment_size 0
		.amdhsa_uses_dynamic_stack 0
		.amdhsa_enable_private_segment 0
		.amdhsa_system_sgpr_workgroup_id_x 1
		.amdhsa_system_sgpr_workgroup_id_y 1
		.amdhsa_system_sgpr_workgroup_id_z 1
		.amdhsa_system_sgpr_workgroup_info 0
		.amdhsa_system_vgpr_workitem_id 0
		.amdhsa_next_free_vgpr 67
		.amdhsa_next_free_sgpr 50
		.amdhsa_accum_offset 68
		.amdhsa_reserve_vcc 1
		.amdhsa_float_round_mode_32 0
		.amdhsa_float_round_mode_16_64 0
		.amdhsa_float_denorm_mode_32 3
		.amdhsa_float_denorm_mode_16_64 3
		.amdhsa_dx10_clamp 1
		.amdhsa_ieee_mode 1
		.amdhsa_fp16_overflow 0
		.amdhsa_tg_split 0
		.amdhsa_exception_fp_ieee_invalid_op 0
		.amdhsa_exception_fp_denorm_src 0
		.amdhsa_exception_fp_ieee_div_zero 0
		.amdhsa_exception_fp_ieee_overflow 0
		.amdhsa_exception_fp_ieee_underflow 0
		.amdhsa_exception_fp_ieee_inexact 0
		.amdhsa_exception_int_div_zero 0
	.end_amdhsa_kernel
	.section	.text._Z39paged_attention_ll4mi_QKV_mfma16_kernelIDF16_hLN4vllm18Fp8KVCacheDataTypeE1EhLi16ELi64ELi256ELb1ELi13EEvPKT_PKT0_S7_ifPKiS9_S9_iPKfiiiPfSC_PS2_PT2_iSB_SB_,"axG",@progbits,_Z39paged_attention_ll4mi_QKV_mfma16_kernelIDF16_hLN4vllm18Fp8KVCacheDataTypeE1EhLi16ELi64ELi256ELb1ELi13EEvPKT_PKT0_S7_ifPKiS9_S9_iPKfiiiPfSC_PS2_PT2_iSB_SB_,comdat
.Lfunc_end780:
	.size	_Z39paged_attention_ll4mi_QKV_mfma16_kernelIDF16_hLN4vllm18Fp8KVCacheDataTypeE1EhLi16ELi64ELi256ELb1ELi13EEvPKT_PKT0_S7_ifPKiS9_S9_iPKfiiiPfSC_PS2_PT2_iSB_SB_, .Lfunc_end780-_Z39paged_attention_ll4mi_QKV_mfma16_kernelIDF16_hLN4vllm18Fp8KVCacheDataTypeE1EhLi16ELi64ELi256ELb1ELi13EEvPKT_PKT0_S7_ifPKiS9_S9_iPKfiiiPfSC_PS2_PT2_iSB_SB_
                                        ; -- End function
	.section	.AMDGPU.csdata,"",@progbits
; Kernel info:
; codeLenInByte = 4908
; NumSgprs: 56
; NumVgprs: 67
; NumAgprs: 0
; TotalNumVgprs: 67
; ScratchSize: 0
; MemoryBound: 0
; FloatMode: 240
; IeeeMode: 1
; LDSByteSize: 8192 bytes/workgroup (compile time only)
; SGPRBlocks: 6
; VGPRBlocks: 8
; NumSGPRsForWavesPerEU: 56
; NumVGPRsForWavesPerEU: 67
; AccumOffset: 68
; Occupancy: 7
; WaveLimiterHint : 1
; COMPUTE_PGM_RSRC2:SCRATCH_EN: 0
; COMPUTE_PGM_RSRC2:USER_SGPR: 2
; COMPUTE_PGM_RSRC2:TRAP_HANDLER: 0
; COMPUTE_PGM_RSRC2:TGID_X_EN: 1
; COMPUTE_PGM_RSRC2:TGID_Y_EN: 1
; COMPUTE_PGM_RSRC2:TGID_Z_EN: 1
; COMPUTE_PGM_RSRC2:TIDIG_COMP_CNT: 0
; COMPUTE_PGM_RSRC3_GFX90A:ACCUM_OFFSET: 16
; COMPUTE_PGM_RSRC3_GFX90A:TG_SPLIT: 0
	.section	.text._Z39paged_attention_ll4mi_QKV_mfma16_kernelIDF16_hLN4vllm18Fp8KVCacheDataTypeE1EhLi16ELi64ELi256ELb1ELi14EEvPKT_PKT0_S7_ifPKiS9_S9_iPKfiiiPfSC_PS2_PT2_iSB_SB_,"axG",@progbits,_Z39paged_attention_ll4mi_QKV_mfma16_kernelIDF16_hLN4vllm18Fp8KVCacheDataTypeE1EhLi16ELi64ELi256ELb1ELi14EEvPKT_PKT0_S7_ifPKiS9_S9_iPKfiiiPfSC_PS2_PT2_iSB_SB_,comdat
	.protected	_Z39paged_attention_ll4mi_QKV_mfma16_kernelIDF16_hLN4vllm18Fp8KVCacheDataTypeE1EhLi16ELi64ELi256ELb1ELi14EEvPKT_PKT0_S7_ifPKiS9_S9_iPKfiiiPfSC_PS2_PT2_iSB_SB_ ; -- Begin function _Z39paged_attention_ll4mi_QKV_mfma16_kernelIDF16_hLN4vllm18Fp8KVCacheDataTypeE1EhLi16ELi64ELi256ELb1ELi14EEvPKT_PKT0_S7_ifPKiS9_S9_iPKfiiiPfSC_PS2_PT2_iSB_SB_
	.globl	_Z39paged_attention_ll4mi_QKV_mfma16_kernelIDF16_hLN4vllm18Fp8KVCacheDataTypeE1EhLi16ELi64ELi256ELb1ELi14EEvPKT_PKT0_S7_ifPKiS9_S9_iPKfiiiPfSC_PS2_PT2_iSB_SB_
	.p2align	8
	.type	_Z39paged_attention_ll4mi_QKV_mfma16_kernelIDF16_hLN4vllm18Fp8KVCacheDataTypeE1EhLi16ELi64ELi256ELb1ELi14EEvPKT_PKT0_S7_ifPKiS9_S9_iPKfiiiPfSC_PS2_PT2_iSB_SB_,@function
_Z39paged_attention_ll4mi_QKV_mfma16_kernelIDF16_hLN4vllm18Fp8KVCacheDataTypeE1EhLi16ELi64ELi256ELb1ELi14EEvPKT_PKT0_S7_ifPKiS9_S9_iPKfiiiPfSC_PS2_PT2_iSB_SB_: ; @_Z39paged_attention_ll4mi_QKV_mfma16_kernelIDF16_hLN4vllm18Fp8KVCacheDataTypeE1EhLi16ELi64ELi256ELb1ELi14EEvPKT_PKT0_S7_ifPKiS9_S9_iPKfiiiPfSC_PS2_PT2_iSB_SB_
; %bb.0:
	s_load_dwordx2 s[6:7], s[0:1], 0x30
	s_mov_b32 s28, s3
	s_mov_b64 s[8:9], 0
	s_waitcnt lgkmcnt(0)
	s_cmp_lg_u64 s[6:7], 0
	s_cselect_b64 s[10:11], -1, 0
	s_and_b64 vcc, exec, s[10:11]
	s_cbranch_vccz .LBB781_7
; %bb.1:
	s_add_i32 s12, s2, 1
	s_mov_b32 s13, 0
	s_lshl_b64 s[14:15], s[12:13], 2
	s_add_u32 s14, s6, s14
	s_mov_b32 s3, s13
	s_addc_u32 s15, s7, s15
	s_lshl_b64 s[12:13], s[2:3], 2
	s_add_u32 s12, s6, s12
	s_addc_u32 s13, s7, s13
	s_load_dword s5, s[14:15], 0x0
	s_load_dword s16, s[12:13], 0x0
	s_waitcnt lgkmcnt(0)
	s_sub_i32 s5, s5, s16
	s_cmp_eq_u32 s5, 1
	s_cselect_b64 s[12:13], -1, 0
	s_andn2_b64 vcc, exec, s[8:9]
	s_cbranch_vccnz .LBB781_3
.LBB781_2:
	s_mov_b32 s3, 0
	s_mov_b64 s[12:13], -1
.LBB781_3:
	s_andn2_b64 vcc, exec, s[12:13]
	s_cbranch_vccnz .LBB781_20
; %bb.4:
	s_load_dwordx2 s[8:9], s[0:1], 0x28
	s_lshl_b64 s[12:13], s[2:3], 2
	s_waitcnt lgkmcnt(0)
	s_add_u32 s8, s8, s12
	s_addc_u32 s9, s9, s13
	s_load_dword s29, s[8:9], 0x0
	s_lshl_b32 s16, s28, 8
	s_waitcnt lgkmcnt(0)
	s_cmp_ge_i32 s16, s29
	s_cbranch_scc1 .LBB781_20
; %bb.5:
	s_load_dwordx2 s[8:9], s[0:1], 0x20
	s_load_dword s5, s[0:1], 0x38
	s_add_i32 s14, s29, 15
	s_ashr_i32 s15, s14, 31
	v_and_b32_e32 v1, 0xcf, v0
	s_lshr_b32 s15, s15, 28
	v_add_u32_e32 v1, s16, v1
	s_add_i32 s14, s14, s15
	v_ashrrev_i32_e32 v2, 31, v1
	s_ashr_i32 s17, s14, 4
	v_lshrrev_b32_e32 v4, 28, v2
	s_add_i32 s17, s17, -1
	s_waitcnt lgkmcnt(0)
	s_mul_i32 s14, s2, s5
	s_mov_b32 s15, 0
	v_add_u32_e32 v2, v1, v4
	s_lshl_b64 s[14:15], s[14:15], 2
	v_ashrrev_i32_e32 v2, 4, v2
	v_mov_b32_e32 v5, s17
	v_cmp_gt_i32_e32 vcc, s29, v1
	s_add_u32 s8, s8, s14
	s_addc_u32 s9, s9, s15
	v_cndmask_b32_e32 v2, v5, v2, vcc
	v_ashrrev_i32_e32 v3, 31, v2
	v_lshl_add_u64 v[6:7], v[2:3], 2, s[8:9]
	v_or_b32_e32 v2, 16, v1
	v_add_u32_e32 v3, v2, v4
	v_ashrrev_i32_e32 v3, 4, v3
	v_cmp_gt_i32_e32 vcc, s29, v2
	s_load_dwordx2 s[14:15], s[0:1], 0x8
	s_nop 0
	v_cndmask_b32_e32 v2, v5, v3, vcc
	v_ashrrev_i32_e32 v3, 31, v2
	v_lshl_add_u64 v[8:9], v[2:3], 2, s[8:9]
	v_or_b32_e32 v2, 32, v1
	v_add_u32_e32 v3, v2, v4
	v_ashrrev_i32_e32 v3, 4, v3
	v_cmp_gt_i32_e32 vcc, s29, v2
	v_or_b32_e32 v1, 48, v1
	s_nop 0
	v_cndmask_b32_e32 v2, v5, v3, vcc
	v_ashrrev_i32_e32 v3, 31, v2
	v_lshl_add_u64 v[10:11], v[2:3], 2, s[8:9]
	v_add_u32_e32 v2, v1, v4
	v_ashrrev_i32_e32 v2, 4, v2
	v_cmp_gt_i32_e32 vcc, s29, v1
	s_nop 1
	v_cndmask_b32_e32 v2, v5, v2, vcc
	v_ashrrev_i32_e32 v3, 31, v2
	v_lshl_add_u64 v[12:13], v[2:3], 2, s[8:9]
	global_load_dword v5, v[6:7], off
	global_load_dword v4, v[8:9], off
	;; [unrolled: 1-line block ×4, first 2 shown]
	s_andn2_b64 vcc, exec, s[10:11]
	s_cbranch_vccnz .LBB781_8
; %bb.6:
	s_add_u32 s6, s6, s12
	s_addc_u32 s7, s7, s13
	s_load_dword s5, s[6:7], 0x0
	s_branch .LBB781_9
.LBB781_7:
	s_mov_b64 s[12:13], 0
	s_branch .LBB781_2
.LBB781_8:
	s_mov_b32 s5, s2
.LBB781_9:
	s_load_dwordx2 s[6:7], s[0:1], 0x10
	s_load_dwordx4 s[44:47], s[0:1], 0x48
	v_lshrrev_b32_e32 v29, 6, v0
	v_bfe_u32 v42, v0, 4, 2
	v_lshl_or_b32 v6, v29, 2, v42
	v_and_b32_e32 v28, 15, v0
	v_lshlrev_b32_e32 v1, 3, v28
	v_cmp_gt_u32_e32 vcc, 14, v6
	v_cmp_gt_u32_e64 s[30:31], 8, v28
	s_mul_i32 s48, s4, 14
	s_and_b64 s[12:13], s[30:31], vcc
	v_lshlrev_b32_e32 v26, 1, v1
	v_lshlrev_b32_e32 v1, 4, v0
	s_and_saveexec_b64 s[10:11], s[12:13]
	s_cbranch_execz .LBB781_11
; %bb.10:
	s_load_dwordx2 s[12:13], s[0:1], 0x0
	s_waitcnt lgkmcnt(0)
	s_ashr_i32 s18, s44, 31
	s_mul_hi_u32 s19, s5, s44
	s_mul_i32 s18, s5, s18
	s_add_i32 s19, s19, s18
	s_mul_i32 s18, s5, s44
	s_lshl_b64 s[18:19], s[18:19], 1
	s_add_u32 s12, s12, s18
	v_add_lshl_u32 v8, v6, s48, 6
	s_addc_u32 s13, s13, s19
	v_ashrrev_i32_e32 v9, 31, v8
	v_lshl_add_u64 v[8:9], v[8:9], 1, s[12:13]
	v_mov_b32_e32 v27, 0
	v_lshl_add_u64 v[8:9], v[8:9], 0, v[26:27]
	global_load_dwordx4 v[8:11], v[8:9], off
	v_lshlrev_b32_e32 v12, 8, v28
	v_lshlrev_b32_e32 v6, 5, v6
	v_and_b32_e32 v7, 16, v1
	v_and_b32_e32 v12, 0xe00, v12
	v_or3_b32 v6, v12, v6, v7
	s_waitcnt vmcnt(0)
	ds_write_b128 v6, v[8:11]
.LBB781_11:
	s_or_b64 exec, exec, s[10:11]
	s_waitcnt lgkmcnt(0)
	s_mul_i32 s10, s4, s46
	s_add_u32 s4, s14, s10
	s_addc_u32 s5, s15, 0
	v_and_b32_e32 v32, 48, v0
	v_and_b32_e32 v30, 0xf0, v1
	v_mov_b32_e32 v31, 0
	v_lshl_add_u64 v[6:7], s[4:5], 0, v[30:31]
	v_lshlrev_b32_e32 v30, 4, v32
	v_lshl_add_u64 v[6:7], v[6:7], 0, v[30:31]
	s_waitcnt vmcnt(3)
	v_mad_i64_i32 v[8:9], s[4:5], v5, s45, v[6:7]
	s_waitcnt vmcnt(2)
	v_mad_i64_i32 v[4:5], s[4:5], v4, s45, v[6:7]
	s_barrier
	global_load_dwordx4 v[22:25], v[8:9], off
	global_load_dwordx4 v[18:21], v[4:5], off
	s_waitcnt vmcnt(3)
	v_mad_i64_i32 v[4:5], s[4:5], v3, s45, v[6:7]
	s_waitcnt vmcnt(2)
	v_mad_i64_i32 v[2:3], s[4:5], v2, s45, v[6:7]
	global_load_dwordx4 v[14:17], v[4:5], off
	global_load_dwordx4 v[6:9], v[2:3], off
	v_add_u32_e32 v2, -14, v28
	v_cmp_gt_u32_e32 vcc, 14, v28
	v_and_b32_e32 v27, 63, v0
	v_mov_b32_e32 v43, 0
	v_cndmask_b32_e32 v2, v2, v28, vcc
	v_lshlrev_b32_e32 v2, 5, v2
	v_lshl_add_u32 v2, v42, 9, v2
	ds_read_b128 v[10:13], v2
	ds_read_b128 v[2:5], v2 offset:16
	s_and_saveexec_b64 s[4:5], vcc
	s_cbranch_execz .LBB781_13
; %bb.12:
	s_load_dwordx2 s[12:13], s[0:1], 0x40
	v_add_u32_e32 v34, s48, v28
	v_ashrrev_i32_e32 v35, 31, v34
	s_waitcnt lgkmcnt(0)
	v_lshl_add_u64 v[34:35], v[34:35], 2, s[12:13]
	global_load_dword v43, v[34:35], off
.LBB781_13:
	s_or_b64 exec, exec, s[4:5]
	v_or_b32_e32 v62, s16, v32
	v_ashrrev_i32_e32 v30, 4, v62
	v_mov_b32_e32 v63, s17
	v_cmp_gt_i32_e32 vcc, s29, v62
	s_waitcnt vmcnt(2)
	v_cvt_pk_f32_fp8_e32 v[52:53], v20
	v_cvt_pk_f32_fp8_sdwa v[54:55], v20 src0_sel:WORD_1
	v_cndmask_b32_e32 v20, v63, v30, vcc
	v_cvt_pk_f32_fp8_e32 v[56:57], v21
	v_cvt_pk_f32_fp8_sdwa v[58:59], v21 src0_sel:WORD_1
	v_ashrrev_i32_e32 v21, 31, v20
	v_cvt_pk_f32_fp8_e32 v[40:41], v22
	v_cvt_pk_f32_fp8_sdwa v[44:45], v22 src0_sel:WORD_1
	v_lshl_add_u64 v[20:21], v[20:21], 2, s[8:9]
	v_cvt_pk_f32_fp8_e32 v[46:47], v18
	v_cvt_pk_f32_fp8_sdwa v[48:49], v18 src0_sel:WORD_1
	global_load_dword v64, v[20:21], off
	v_cvt_pk_f32_fp8_e32 v[34:35], v23
	v_cvt_pk_f32_fp8_sdwa v[32:33], v23 src0_sel:WORD_1
	v_cvt_pkrtz_f16_f32 v20, v40, v41
	v_cvt_pkrtz_f16_f32 v21, v44, v45
	v_cvt_pk_f32_fp8_e32 v[36:37], v24
	v_cvt_pk_f32_fp8_sdwa v[38:39], v24 src0_sel:WORD_1
	v_cvt_pk_f32_fp8_e32 v[50:51], v19
	v_cvt_pk_f32_fp8_sdwa v[18:19], v19 src0_sel:WORD_1
	v_cvt_pkrtz_f16_f32 v44, v46, v47
	v_cvt_pkrtz_f16_f32 v45, v48, v49
	v_cvt_pk_f32_fp8_e32 v[22:23], v25
	s_waitcnt vmcnt(2)
	v_cvt_pk_f32_fp8_e32 v[40:41], v14
	v_cvt_pk_f32_fp8_sdwa v[46:47], v14 src0_sel:WORD_1
	v_cvt_pkrtz_f16_f32 v48, v34, v35
	v_cvt_pkrtz_f16_f32 v49, v32, v33
	v_or_b32_e32 v14, 64, v62
	v_or_b32_e32 v32, 0xc0, v62
	v_cvt_pk_f32_fp8_sdwa v[24:25], v25 src0_sel:WORD_1
	s_load_dword s11, s[0:1], 0x1c
	s_load_dwordx4 s[40:43], s[0:1], 0x80
	v_cvt_pkrtz_f16_f32 v36, v36, v37
	v_cvt_pkrtz_f16_f32 v37, v38, v39
	v_or_b32_e32 v65, 0x80, v62
	v_ashrrev_i32_e32 v62, 4, v14
	v_cmp_gt_i32_e32 vcc, s29, v32
	v_ashrrev_i32_e32 v66, 4, v32
	v_cmp_gt_i32_e64 s[4:5], s29, v14
	v_cvt_pkrtz_f16_f32 v38, v50, v51
	v_cvt_pkrtz_f16_f32 v39, v18, v19
	s_waitcnt lgkmcnt(0)
	v_mfma_f32_16x16x16_f16 v[32:35], v[20:21], v[10:11], 0
	s_add_u32 s6, s6, s10
	v_lshlrev_b32_e32 v30, 4, v28
	v_cndmask_b32_e64 v50, v63, v62, s[4:5]
	v_cvt_pkrtz_f16_f32 v62, v22, v23
	v_mfma_f32_16x16x16_f16 v[20:23], v[44:45], v[10:11], 0
	v_lshl_or_b32 v30, v29, 8, v30
	s_addc_u32 s7, s7, 0
	v_ashrrev_i32_e32 v14, 4, v65
	v_lshl_add_u64 v[18:19], s[6:7], 0, v[30:31]
	v_cmp_gt_i32_e64 s[6:7], s29, v65
	v_mfma_f32_16x16x16_f16 v[30:33], v[48:49], v[12:13], v[32:35]
	v_cndmask_b32_e32 v48, v63, v66, vcc
	s_load_dword s4, s[40:41], 0x0
	v_cvt_pk_f32_fp8_e32 v[60:61], v15
	v_cndmask_b32_e64 v34, v63, v14, s[6:7]
	v_cvt_pkrtz_f16_f32 v63, v24, v25
	v_cvt_pkrtz_f16_f32 v24, v52, v53
	;; [unrolled: 1-line block ×3, first 2 shown]
	v_mfma_f32_16x16x16_f16 v[20:23], v[38:39], v[12:13], v[20:23]
	v_cvt_pkrtz_f16_f32 v40, v40, v41
	v_cvt_pkrtz_f16_f32 v41, v46, v47
	v_ashrrev_i32_e32 v51, 31, v50
	v_mfma_f32_16x16x16_f16 v[20:23], v[24:25], v[2:3], v[20:23]
	v_mov_b32_e32 v24, s11
	s_waitcnt lgkmcnt(0)
	v_mul_f32_e32 v54, s4, v24
	v_cvt_pk_f32_fp8_sdwa v[24:25], v15 src0_sel:WORD_1
	v_mfma_f32_16x16x16_f16 v[30:33], v[36:37], v[2:3], v[30:33]
	v_ashrrev_i32_e32 v35, 31, v34
	v_ashrrev_i32_e32 v49, 31, v48
	v_lshl_add_u64 v[36:37], v[50:51], 2, s[8:9]
	v_lshl_add_u64 v[34:35], v[34:35], 2, s[8:9]
	;; [unrolled: 1-line block ×3, first 2 shown]
	global_load_dword v14, v[36:37], off
	global_load_dword v44, v[34:35], off
	;; [unrolled: 1-line block ×3, first 2 shown]
	v_cvt_pkrtz_f16_f32 v46, v60, v61
	v_cvt_pk_f32_fp8_e32 v[48:49], v16
	v_cvt_pk_f32_fp8_sdwa v[50:51], v16 src0_sel:WORD_1
	v_cvt_pkrtz_f16_f32 v47, v24, v25
	v_mfma_f32_16x16x16_f16 v[36:39], v[62:63], v[4:5], v[30:33]
	v_cvt_pkrtz_f16_f32 v24, v48, v49
	v_cvt_pkrtz_f16_f32 v25, v50, v51
	;; [unrolled: 1-line block ×3, first 2 shown]
	v_mfma_f32_16x16x16_f16 v[30:33], v[40:41], v[10:11], 0
	v_cvt_pk_f32_fp8_e32 v[40:41], v17
	v_cvt_pk_f32_fp8_sdwa v[16:17], v17 src0_sel:WORD_1
	v_cvt_pkrtz_f16_f32 v53, v58, v59
	v_mfma_f32_16x16x16_f16 v[46:49], v[46:47], v[12:13], v[30:33]
	s_mov_b32 s33, 0xff7fffff
	s_waitcnt vmcnt(3)
	v_mad_i64_i32 v[34:35], s[4:5], v64, s45, v[18:19]
	v_cvt_pkrtz_f16_f32 v32, v40, v41
	v_cvt_pkrtz_f16_f32 v33, v16, v17
	v_mfma_f32_16x16x16_f16 v[46:49], v[24:25], v[2:3], v[46:49]
	v_cvt_pk_f32_fp8_e32 v[16:17], v6
	v_cvt_pk_f32_fp8_sdwa v[24:25], v6 src0_sel:WORD_1
	v_pk_mul_f32 v[30:31], v[54:55], v[38:39] op_sel_hi:[0,1]
	v_mfma_f32_16x16x16_f16 v[46:49], v[32:33], v[4:5], v[46:49]
	v_cvt_pk_f32_fp8_e32 v[32:33], v7
	v_cvt_pkrtz_f16_f32 v16, v16, v17
	v_cvt_pkrtz_f16_f32 v17, v24, v25
	v_cvt_pk_f32_fp8_sdwa v[6:7], v7 src0_sel:WORD_1
	v_pk_mul_f32 v[38:39], v[54:55], v[36:37] op_sel_hi:[0,1]
	v_cvt_pkrtz_f16_f32 v24, v32, v33
	v_cvt_pk_f32_fp8_e32 v[32:33], v8
	v_cvt_pk_f32_fp8_sdwa v[36:37], v8 src0_sel:WORD_1
	v_cvt_pkrtz_f16_f32 v25, v6, v7
	v_mfma_f32_16x16x16_f16 v[20:23], v[52:53], v[4:5], v[20:23]
	v_mfma_f32_16x16x16_f16 v[50:53], v[16:17], v[10:11], 0
	v_cvt_pkrtz_f16_f32 v10, v32, v33
	v_cvt_pkrtz_f16_f32 v11, v36, v37
	v_cvt_pk_f32_fp8_e32 v[16:17], v9
	v_cvt_pk_f32_fp8_sdwa v[32:33], v9 src0_sel:WORD_1
	v_mfma_f32_16x16x16_f16 v[6:9], v[24:25], v[12:13], v[50:53]
	s_nop 0
	v_pk_mul_f32 v[36:37], v[54:55], v[22:23] op_sel_hi:[0,1]
	v_cvt_pkrtz_f16_f32 v12, v16, v17
	v_cvt_pkrtz_f16_f32 v13, v32, v33
	v_mfma_f32_16x16x16_f16 v[6:9], v[10:11], v[2:3], v[6:9]
	v_pk_mul_f32 v[40:41], v[54:55], v[20:21] op_sel_hi:[0,1]
	v_pk_mul_f32 v[24:25], v[54:55], v[48:49] op_sel_hi:[0,1]
	;; [unrolled: 1-line block ×3, first 2 shown]
	v_mfma_f32_16x16x16_f16 v[2:5], v[12:13], v[4:5], v[6:9]
	s_nop 6
	v_pk_mul_f32 v[22:23], v[54:55], v[2:3] op_sel_hi:[0,1]
	v_and_b32_e32 v2, 0xc0, v0
	v_add_u32_e32 v2, s16, v2
	v_lshl_or_b32 v2, v42, 2, v2
	v_or_b32_e32 v3, 1, v2
	v_pk_mul_f32 v[20:21], v[54:55], v[4:5] op_sel_hi:[0,1]
	v_subrev_u32_e32 v4, s29, v3
	v_add_u32_e32 v6, 1, v4
	v_add_u32_e32 v7, 2, v4
	;; [unrolled: 1-line block ×3, first 2 shown]
	v_cvt_f32_i32_e32 v6, v6
	v_cvt_f32_i32_e32 v7, v7
	;; [unrolled: 1-line block ×3, first 2 shown]
	v_add_u32_e32 v9, 19, v4
	v_fmac_f32_e32 v39, v43, v6
	v_fma_f32 v30, v43, v7, v30
	v_fmac_f32_e32 v31, v43, v8
	v_add_u32_e32 v6, 16, v4
	v_add_u32_e32 v7, 17, v4
	;; [unrolled: 1-line block ×3, first 2 shown]
	v_cvt_f32_i32_e32 v6, v6
	v_cvt_f32_i32_e32 v7, v7
	;; [unrolled: 1-line block ×4, first 2 shown]
	v_fma_f32 v40, v43, v6, v40
	v_fmac_f32_e32 v41, v43, v7
	v_fma_f32 v36, v43, v8, v36
	v_add_u32_e32 v6, 32, v4
	v_add_u32_e32 v7, 33, v4
	;; [unrolled: 1-line block ×3, first 2 shown]
	v_cvt_f32_i32_e32 v6, v6
	v_cvt_f32_i32_e32 v7, v7
	;; [unrolled: 1-line block ×4, first 2 shown]
	v_fmac_f32_e32 v37, v43, v9
	v_add_u32_e32 v9, 35, v4
	v_fma_f32 v32, v43, v6, v32
	v_fmac_f32_e32 v33, v43, v7
	v_fma_f32 v24, v43, v8, v24
	v_add_u32_e32 v6, 48, v4
	v_add_u32_e32 v7, 49, v4
	;; [unrolled: 1-line block ×4, first 2 shown]
	v_cvt_f32_i32_e32 v4, v4
	v_cvt_f32_i32_e32 v6, v6
	v_cvt_f32_i32_e32 v7, v7
	v_fma_f32 v5, v43, v5, v38
	v_fmac_f32_e32 v21, v43, v4
	v_mov_b32_e32 v4, 0xff7fffff
	v_cmp_gt_i32_e64 s[4:5], s29, v2
	v_cmp_gt_i32_e64 s[34:35], s29, v3
	v_fma_f32 v22, v43, v6, v22
	v_cndmask_b32_e64 v6, v4, v5, s[4:5]
	v_cndmask_b32_e64 v3, v4, v39, s[34:35]
	v_fmac_f32_e32 v23, v43, v7
	v_max3_f32 v3, v6, s33, v3
	v_or_b32_e32 v6, 2, v2
	v_or_b32_e32 v7, 3, v2
	v_cmp_gt_i32_e64 s[36:37], s29, v6
	v_cmp_gt_i32_e64 s[38:39], s29, v7
	v_cvt_f32_i32_e32 v9, v9
	v_cndmask_b32_e64 v6, v4, v30, s[36:37]
	v_cndmask_b32_e64 v7, v4, v31, s[38:39]
	v_max3_f32 v3, v3, v6, v7
	v_or_b32_e32 v6, 16, v2
	v_or_b32_e32 v7, 17, v2
	v_cmp_gt_i32_e64 s[24:25], s29, v6
	v_cmp_gt_i32_e64 s[26:27], s29, v7
	v_fmac_f32_e32 v25, v43, v9
	v_cndmask_b32_e64 v6, v4, v40, s[24:25]
	v_cndmask_b32_e64 v7, v4, v41, s[26:27]
	v_max3_f32 v3, v3, v6, v7
	v_or_b32_e32 v6, 18, v2
	v_or_b32_e32 v7, 19, v2
	v_cmp_gt_i32_e64 s[20:21], s29, v6
	v_cmp_gt_i32_e64 s[22:23], s29, v7
	v_cvt_f32_i32_e32 v8, v8
	v_cndmask_b32_e64 v6, v4, v36, s[20:21]
	v_cndmask_b32_e64 v7, v4, v37, s[22:23]
	v_max3_f32 v3, v3, v6, v7
	v_or_b32_e32 v6, 32, v2
	v_or_b32_e32 v7, 33, v2
	v_cmp_gt_i32_e64 s[16:17], s29, v6
	v_cmp_gt_i32_e64 s[18:19], s29, v7
	v_fma_f32 v20, v43, v8, v20
	v_cndmask_b32_e64 v6, v4, v32, s[16:17]
	v_cndmask_b32_e64 v7, v4, v33, s[18:19]
	v_max3_f32 v3, v3, v6, v7
	v_or_b32_e32 v6, 34, v2
	v_or_b32_e32 v7, 35, v2
	v_cmp_gt_i32_e64 s[12:13], s29, v6
	v_cmp_gt_i32_e64 s[14:15], s29, v7
	s_nop 0
	v_cndmask_b32_e64 v6, v4, v24, s[12:13]
	v_cndmask_b32_e64 v7, v4, v25, s[14:15]
	v_max3_f32 v3, v3, v6, v7
	v_or_b32_e32 v6, 48, v2
	v_or_b32_e32 v7, 49, v2
	v_cmp_gt_i32_e64 s[8:9], s29, v6
	v_cmp_gt_i32_e64 s[10:11], s29, v7
	s_nop 0
	v_cndmask_b32_e64 v6, v4, v22, s[8:9]
	v_cndmask_b32_e64 v7, v4, v23, s[10:11]
	v_max3_f32 v3, v3, v6, v7
	v_or_b32_e32 v6, 50, v2
	v_or_b32_e32 v2, 51, v2
	v_cmp_gt_i32_e32 vcc, s29, v6
	v_cmp_gt_i32_e64 s[6:7], s29, v2
	s_nop 0
	v_cndmask_b32_e32 v6, v4, v20, vcc
	v_cndmask_b32_e64 v2, v4, v21, s[6:7]
	v_max3_f32 v4, v3, v6, v2
	v_mbcnt_lo_u32_b32 v2, -1, 0
	v_mbcnt_hi_u32_b32 v6, -1, v2
	v_and_b32_e32 v2, 64, v6
	v_add_u32_e32 v7, 64, v2
	v_xor_b32_e32 v2, 32, v6
	v_cmp_lt_i32_e64 s[40:41], v2, v7
	s_nop 1
	v_cndmask_b32_e64 v2, v6, v2, s[40:41]
	v_lshlrev_b32_e32 v43, 2, v2
	ds_bpermute_b32 v8, v43, v4
	s_waitcnt vmcnt(2)
	v_mad_i64_i32 v[2:3], s[40:41], v14, s45, v[18:19]
	global_load_dwordx4 v[14:17], v[34:35], off
	global_load_dwordx4 v[10:13], v[2:3], off
	v_xor_b32_e32 v3, 16, v6
	v_cmp_lt_i32_e64 s[40:41], v3, v7
	s_waitcnt lgkmcnt(0)
	v_max_f32_e32 v2, v8, v8
	v_max_f32_e32 v2, v4, v2
	v_cndmask_b32_e64 v3, v6, v3, s[40:41]
	v_lshlrev_b32_e32 v46, 2, v3
	ds_bpermute_b32 v3, v46, v2
	s_waitcnt vmcnt(3)
	v_mad_i64_i32 v[34:35], s[40:41], v44, s45, v[18:19]
	s_waitcnt vmcnt(2)
	v_mad_i64_i32 v[18:19], s[40:41], v45, s45, v[18:19]
	s_waitcnt lgkmcnt(0)
	v_max_f32_e32 v3, v3, v3
	v_max_f32_e32 v38, v2, v3
	v_sub_f32_e32 v2, v5, v38
	v_mul_f32_e32 v2, 0x3fb8aa3b, v2
	v_exp_f32_e32 v44, v2
	v_sub_f32_e32 v2, v39, v38
	v_mul_f32_e32 v2, 0x3fb8aa3b, v2
	v_exp_f32_e32 v39, v2
	global_load_dwordx4 v[6:9], v[34:35], off
	global_load_dwordx4 v[2:5], v[18:19], off
	v_sub_f32_e32 v30, v30, v38
	v_mul_f32_e32 v30, 0x3fb8aa3b, v30
	v_sub_f32_e32 v31, v31, v38
	v_exp_f32_e32 v30, v30
	v_mul_f32_e32 v31, 0x3fb8aa3b, v31
	v_exp_f32_e32 v31, v31
	v_cndmask_b32_e64 v18, 0, v44, s[4:5]
	v_add_f32_e32 v34, 0, v18
	v_cndmask_b32_e64 v19, 0, v39, s[34:35]
	v_add_f32_e32 v35, v34, v19
	;; [unrolled: 2-line block ×3, first 2 shown]
	v_cndmask_b32_e64 v35, 0, v31, s[38:39]
	v_sub_f32_e32 v31, v40, v38
	v_mul_f32_e32 v31, 0x3fb8aa3b, v31
	v_sub_f32_e32 v39, v41, v38
	v_exp_f32_e32 v31, v31
	v_mul_f32_e32 v39, 0x3fb8aa3b, v39
	v_sub_f32_e32 v36, v36, v38
	v_exp_f32_e32 v39, v39
	v_mul_f32_e32 v36, 0x3fb8aa3b, v36
	v_sub_f32_e32 v37, v37, v38
	v_exp_f32_e32 v36, v36
	v_mul_f32_e32 v37, 0x3fb8aa3b, v37
	v_sub_f32_e32 v32, v32, v38
	v_exp_f32_e32 v37, v37
	v_mul_f32_e32 v32, 0x3fb8aa3b, v32
	v_sub_f32_e32 v33, v33, v38
	v_add_f32_e32 v40, v30, v35
	v_cndmask_b32_e64 v30, 0, v31, s[24:25]
	v_exp_f32_e32 v32, v32
	v_mul_f32_e32 v33, 0x3fb8aa3b, v33
	v_sub_f32_e32 v24, v24, v38
	v_add_f32_e32 v40, v40, v30
	v_cndmask_b32_e64 v31, 0, v39, s[26:27]
	v_exp_f32_e32 v33, v33
	;; [unrolled: 5-line block ×7, first 2 shown]
	v_mul_f32_e32 v21, 0x3fb8aa3b, v21
	v_add_f32_e32 v39, v39, v24
	v_cndmask_b32_e64 v25, 0, v25, s[14:15]
	v_exp_f32_e32 v21, v21
	v_add_f32_e32 v39, v39, v25
	v_cndmask_b32_e64 v22, 0, v22, s[8:9]
	v_add_f32_e32 v39, v39, v22
	v_cndmask_b32_e64 v23, 0, v23, s[10:11]
	v_add_f32_e32 v39, v39, v23
	v_cndmask_b32_e32 v20, 0, v20, vcc
	v_add_f32_e32 v39, v39, v20
	v_cndmask_b32_e64 v21, 0, v21, s[6:7]
	v_add_f32_e32 v39, v39, v21
	ds_bpermute_b32 v40, v43, v39
	s_load_dword s7, s[0:1], 0x98
	v_cmp_gt_u32_e32 vcc, 16, v27
	s_waitcnt lgkmcnt(0)
	s_barrier
	v_add_f32_e32 v40, v39, v40
	ds_bpermute_b32 v41, v46, v40
	v_lshlrev_b32_e32 v39, 2, v28
	s_waitcnt lgkmcnt(0)
	s_and_saveexec_b64 s[4:5], vcc
	s_cbranch_execz .LBB781_15
; %bb.14:
	v_add_f32_e32 v27, v40, v41
	v_lshl_or_b32 v40, v29, 6, v39
	ds_write2st64_b32 v40, v38, v27 offset1:1
.LBB781_15:
	s_or_b64 exec, exec, s[4:5]
	s_load_dword s6, s[0:1], 0x94
	s_waitcnt lgkmcnt(0)
	s_barrier
	ds_read2_b32 v[40:41], v39 offset1:16
	ds_read2_b32 v[44:45], v39 offset0:32 offset1:48
	ds_read2_b32 v[46:47], v39 offset0:64 offset1:80
	s_mul_i32 s7, s7, 14
	s_waitcnt lgkmcnt(2)
	v_max3_f32 v27, v40, s33, v41
	s_waitcnt lgkmcnt(1)
	v_max3_f32 v27, v27, v44, v45
	v_sub_f32_e32 v38, v40, v27
	v_mul_f32_e32 v38, 0x3fb8aa3b, v38
	v_exp_f32_e32 v43, v38
	v_sub_f32_e32 v38, v41, v27
	v_mul_f32_e32 v38, 0x3fb8aa3b, v38
	v_exp_f32_e32 v48, v38
	;; [unrolled: 3-line block ×3, first 2 shown]
	ds_read2_b32 v[40:41], v39 offset0:96 offset1:112
	v_sub_f32_e32 v38, v45, v27
	v_mul_f32_e32 v38, 0x3fb8aa3b, v38
	v_exp_f32_e32 v39, v38
	s_waitcnt lgkmcnt(1)
	v_fma_f32 v38, v43, v46, 0
	v_fmac_f32_e32 v38, v48, v47
	s_waitcnt lgkmcnt(0)
	v_fmac_f32_e32 v38, v44, v40
	v_fmac_f32_e32 v38, v39, v41
	v_add_f32_e32 v40, 0x358637bd, v38
	v_div_scale_f32 v41, s[4:5], v40, v40, 1.0
	v_rcp_f32_e32 v45, v41
	s_barrier
	v_fma_f32 v46, -v41, v45, 1.0
	v_fmac_f32_e32 v45, v46, v45
	v_div_scale_f32 v46, vcc, 1.0, v40, 1.0
	v_mul_f32_e32 v47, v46, v45
	v_fma_f32 v49, -v41, v47, v46
	v_fmac_f32_e32 v47, v49, v45
	v_fma_f32 v41, -v41, v47, v46
	v_div_fmas_f32 v41, v41, v45, v47
	v_cmp_eq_u32_e32 vcc, 1, v29
	v_div_fixup_f32 v40, v41, v40, 1.0
	s_nop 0
	v_cndmask_b32_e32 v41, v43, v48, vcc
	v_cmp_eq_u32_e32 vcc, 2, v29
	s_nop 1
	v_cndmask_b32_e32 v41, v41, v44, vcc
	v_cmp_eq_u32_e32 vcc, 3, v29
	v_lshlrev_b32_e32 v29, 11, v29
	s_nop 0
	v_cndmask_b32_e32 v39, v41, v39, vcc
	v_mul_f32_e32 v40, v39, v40
	v_pk_mul_f32 v[18:19], v[40:41], v[18:19] op_sel_hi:[0,1]
	v_pk_mul_f32 v[34:35], v[40:41], v[34:35] op_sel_hi:[0,1]
	v_cvt_f16_f32_e32 v18, v18
	v_cvt_f16_f32_e32 v19, v19
	v_pk_mul_f32 v[36:37], v[40:41], v[36:37] op_sel_hi:[0,1]
	v_pk_mul_f32 v[30:31], v[40:41], v[30:31] op_sel_hi:[0,1]
	v_cvt_f16_f32_e32 v39, v34
	v_cvt_f16_f32_e32 v35, v35
	;; [unrolled: 1-line block ×6, first 2 shown]
	v_pack_b32_f16 v34, v18, v19
	v_lshlrev_b32_e32 v18, 3, v42
	v_lshlrev_b32_e32 v19, 5, v28
	v_pack_b32_f16 v35, v39, v35
	v_or3_b32 v18, v29, v19, v18
	v_pack_b32_f16 v30, v30, v31
	v_pack_b32_f16 v31, v36, v37
	ds_write2st64_b64 v18, v[34:35], v[30:31] offset1:1
	v_pk_mul_f32 v[24:25], v[40:41], v[24:25] op_sel_hi:[0,1]
	v_pk_mul_f32 v[30:31], v[40:41], v[32:33] op_sel_hi:[0,1]
	;; [unrolled: 1-line block ×4, first 2 shown]
	v_cvt_f16_f32_e32 v29, v30
	v_cvt_f16_f32_e32 v30, v31
	;; [unrolled: 1-line block ×8, first 2 shown]
	v_pack_b32_f16 v20, v29, v30
	v_pack_b32_f16 v21, v24, v25
	;; [unrolled: 1-line block ×4, first 2 shown]
	v_cmp_gt_u32_e32 vcc, 14, v0
	ds_write2st64_b64 v18, v[20:21], v[22:23] offset0:2 offset1:3
	s_and_saveexec_b64 s[4:5], vcc
	s_cbranch_execz .LBB781_17
; %bb.16:
	s_mov_b32 s49, 0
	v_mov_b32_e32 v29, 0
	v_lshl_add_u64 v[20:21], s[48:49], 0, v[28:29]
	v_mov_b32_e32 v22, s7
	v_mad_u64_u32 v[20:21], s[12:13], s2, v22, v[20:21]
	s_mul_i32 s3, s3, s7
	v_mov_b32_e32 v28, s28
	s_load_dwordx4 s[8:11], s[0:1], 0x58
	v_add_u32_e32 v23, s3, v21
	v_mad_u64_u32 v[20:21], s[12:13], v20, s6, v[28:29]
	v_mov_b32_e32 v22, v21
	v_mad_u64_u32 v[22:23], s[12:13], v23, s6, v[22:23]
	v_mov_b32_e32 v21, v22
	v_lshlrev_b64 v[20:21], 2, v[20:21]
	s_waitcnt lgkmcnt(0)
	v_lshl_add_u64 v[22:23], s[10:11], 0, v[20:21]
	v_lshl_add_u64 v[20:21], s[8:9], 0, v[20:21]
	global_store_dword v[22:23], v27, off
	global_store_dword v[20:21], v38, off
.LBB781_17:
	s_or_b64 exec, exec, s[4:5]
	s_waitcnt vmcnt(3)
	v_cvt_pk_f32_fp8_e32 v[20:21], v14
	v_cvt_pk_f32_fp8_sdwa v[22:23], v14 src0_sel:WORD_1
	v_lshl_or_b32 v14, v42, 9, v19
	s_waitcnt lgkmcnt(0)
	s_barrier
	v_cvt_pk_f32_fp8_e32 v[24:25], v15
	v_cvt_pkrtz_f16_f32 v32, v20, v21
	v_cvt_pkrtz_f16_f32 v33, v22, v23
	v_cvt_pk_f32_fp8_sdwa v[28:29], v15 src0_sel:WORD_1
	ds_read_b128 v[20:23], v14
	v_cvt_pkrtz_f16_f32 v24, v24, v25
	v_cvt_pk_f32_fp8_e32 v[36:37], v16
	v_cvt_pkrtz_f16_f32 v25, v28, v29
	ds_read_b128 v[28:31], v14 offset:16
	v_cvt_pk_f32_fp8_sdwa v[38:39], v16 src0_sel:WORD_1
	s_waitcnt lgkmcnt(1)
	v_mfma_f32_16x16x16_f16 v[32:35], v[32:33], v[20:21], 0
	v_cvt_pkrtz_f16_f32 v36, v36, v37
	s_load_dword s4, s[42:43], 0x0
	v_cvt_pkrtz_f16_f32 v37, v38, v39
	v_cvt_pk_f32_fp8_e32 v[38:39], v17
	v_cvt_pk_f32_fp8_sdwa v[16:17], v17 src0_sel:WORD_1
	v_mfma_f32_16x16x16_f16 v[20:23], v[24:25], v[22:23], v[32:35]
	v_cmp_gt_u32_e32 vcc, 64, v0
	v_cvt_pkrtz_f16_f32 v24, v38, v39
	v_cvt_pkrtz_f16_f32 v25, v16, v17
	s_waitcnt lgkmcnt(0)
	v_mfma_f32_16x16x16_f16 v[20:23], v[36:37], v[28:29], v[20:23]
	s_waitcnt vmcnt(2)
	v_cvt_pk_f32_fp8_e32 v[16:17], v10
	v_cvt_pk_f32_fp8_e32 v[28:29], v11
	v_cvt_pk_f32_fp8_sdwa v[36:37], v12 src0_sel:WORD_1
	v_mfma_f32_16x16x16_f16 v[20:23], v[24:25], v[30:31], v[20:23]
	v_cvt_pk_f32_fp8_sdwa v[24:25], v10 src0_sel:WORD_1
	v_cvt_pkrtz_f16_f32 v10, v16, v17
	v_cvt_pk_f32_fp8_sdwa v[16:17], v11 src0_sel:WORD_1
	ds_read_b128 v[32:35], v14 offset:2064
	v_cvt_pkrtz_f16_f32 v11, v24, v25
	v_cvt_pkrtz_f16_f32 v24, v28, v29
	ds_read_b128 v[28:31], v14 offset:2048
	v_cvt_pkrtz_f16_f32 v25, v16, v17
	v_cvt_pk_f32_fp8_e32 v[16:17], v12
	s_waitcnt lgkmcnt(0)
	v_mfma_f32_16x16x16_f16 v[20:23], v[10:11], v[28:29], v[20:23]
	v_cvt_pkrtz_f16_f32 v10, v16, v17
	v_cvt_pkrtz_f16_f32 v11, v36, v37
	v_cvt_pk_f32_fp8_e32 v[16:17], v13
	v_mfma_f32_16x16x16_f16 v[20:23], v[24:25], v[30:31], v[20:23]
	v_cvt_pk_f32_fp8_sdwa v[24:25], v13 src0_sel:WORD_1
	ds_read_b128 v[28:31], v14 offset:4112
	v_cvt_pkrtz_f16_f32 v16, v16, v17
	v_mfma_f32_16x16x16_f16 v[10:13], v[10:11], v[32:33], v[20:23]
	v_cvt_pkrtz_f16_f32 v17, v24, v25
	s_waitcnt vmcnt(1)
	v_cvt_pk_f32_fp8_sdwa v[24:25], v7 src0_sel:WORD_1
	v_cvt_pk_f32_fp8_sdwa v[32:33], v8 src0_sel:WORD_1
	v_cvt_pk_f32_fp8_e32 v[20:21], v6
	v_mfma_f32_16x16x16_f16 v[10:13], v[16:17], v[34:35], v[10:13]
	v_cvt_pk_f32_fp8_sdwa v[16:17], v6 src0_sel:WORD_1
	v_cvt_pk_f32_fp8_e32 v[22:23], v7
	v_cvt_pkrtz_f16_f32 v6, v20, v21
	s_mov_b32 s3, 0
	v_cvt_pkrtz_f16_f32 v7, v16, v17
	v_cvt_pkrtz_f16_f32 v16, v22, v23
	ds_read_b128 v[20:23], v14 offset:4096
	v_cvt_pkrtz_f16_f32 v17, v24, v25
	v_cvt_pk_f32_fp8_e32 v[24:25], v8
	s_waitcnt lgkmcnt(0)
	v_mfma_f32_16x16x16_f16 v[10:13], v[6:7], v[20:21], v[10:13]
	v_cvt_pkrtz_f16_f32 v6, v24, v25
	v_cvt_pkrtz_f16_f32 v7, v32, v33
	v_cvt_pk_f32_fp8_e32 v[20:21], v9
	v_mfma_f32_16x16x16_f16 v[10:13], v[16:17], v[22:23], v[10:13]
	v_cvt_pk_f32_fp8_sdwa v[16:17], v9 src0_sel:WORD_1
	s_waitcnt vmcnt(0)
	v_cvt_pk_f32_fp8_sdwa v[24:25], v4 src0_sel:WORD_1
	v_cvt_pkrtz_f16_f32 v20, v20, v21
	v_mfma_f32_16x16x16_f16 v[6:9], v[6:7], v[28:29], v[10:13]
	v_cvt_pkrtz_f16_f32 v21, v16, v17
	v_cvt_pk_f32_fp8_e32 v[16:17], v3
	v_mov_b32_e32 v27, 0
	v_cvt_pk_f32_fp8_e32 v[10:11], v2
	v_cvt_pk_f32_fp8_sdwa v[12:13], v2 src0_sel:WORD_1
	v_mfma_f32_16x16x16_f16 v[6:9], v[20:21], v[30:31], v[6:9]
	v_cvt_pk_f32_fp8_sdwa v[20:21], v3 src0_sel:WORD_1
	v_cvt_pkrtz_f16_f32 v2, v10, v11
	v_cvt_pkrtz_f16_f32 v3, v12, v13
	ds_read_b128 v[10:13], v14 offset:6144
	v_cvt_pkrtz_f16_f32 v22, v16, v17
	v_cvt_pkrtz_f16_f32 v23, v20, v21
	v_cvt_pk_f32_fp8_e32 v[20:21], v4
	s_waitcnt lgkmcnt(0)
	v_mfma_f32_16x16x16_f16 v[6:9], v[2:3], v[10:11], v[6:9]
	ds_read_b128 v[14:17], v14 offset:6160
	v_cvt_pkrtz_f16_f32 v2, v20, v21
	v_cvt_pkrtz_f16_f32 v3, v24, v25
	v_cvt_pk_f32_fp8_e32 v[10:11], v5
	v_mfma_f32_16x16x16_f16 v[6:9], v[22:23], v[12:13], v[6:9]
	v_cvt_pk_f32_fp8_sdwa v[12:13], v5 src0_sel:WORD_1
	s_waitcnt lgkmcnt(0)
	v_cvt_pkrtz_f16_f32 v10, v10, v11
	v_mfma_f32_16x16x16_f16 v[2:5], v[2:3], v[14:15], v[6:9]
	v_cvt_pkrtz_f16_f32 v11, v12, v13
	s_barrier
	s_nop 0
	v_mfma_f32_16x16x16_f16 v[2:5], v[10:11], v[16:17], v[2:5]
	s_nop 6
	v_pk_mul_f32 v[4:5], v[4:5], s[4:5] op_sel_hi:[1,0]
	v_pk_mul_f32 v[2:3], v[2:3], s[4:5] op_sel_hi:[1,0]
	v_cvt_f16_f32_e32 v4, v4
	v_cvt_f16_f32_e32 v2, v2
	;; [unrolled: 1-line block ×4, first 2 shown]
	s_and_b64 s[4:5], vcc, s[30:31]
	v_pack_b32_f16 v2, v2, v3
	v_pack_b32_f16 v3, v4, v5
	ds_write_b64 v18, v[2:3]
	s_waitcnt lgkmcnt(0)
	s_barrier
	s_and_saveexec_b64 s[8:9], s[4:5]
	s_cbranch_execz .LBB781_20
; %bb.18:
	s_load_dwordx2 s[4:5], s[0:1], 0x68
	s_lshl_b32 s0, s6, 6
	s_mul_i32 s1, s7, s2
	s_mul_hi_u32 s7, s1, s0
	s_mul_i32 s6, s1, s0
	v_lshlrev_b32_e32 v0, 10, v0
	s_lshl_b64 s[6:7], s[6:7], 1
	v_and_b32_e32 v0, 0x1800, v0
	v_lshlrev_b32_e32 v2, 5, v42
	v_and_b32_e32 v1, 16, v1
	s_waitcnt lgkmcnt(0)
	s_add_u32 s1, s4, s6
	v_or3_b32 v2, v0, v2, v1
	s_addc_u32 s4, s5, s7
	s_lshl_b32 s2, s28, 6
	ds_read_b128 v[4:7], v2 offset:256
	s_lshl_b64 s[2:3], s[2:3], 1
	ds_read_b128 v[8:11], v2 offset:128
	ds_read_b128 v[12:15], v2
	s_add_u32 s2, s1, s2
	s_addc_u32 s3, s4, s3
	v_add_u32_e32 v18, s48, v42
	v_lshl_add_u64 v[0:1], s[2:3], 0, v[26:27]
	v_mad_u64_u32 v[16:17], s[2:3], v18, s0, 0
	v_lshl_add_u64 v[16:17], v[16:17], 1, v[0:1]
	s_waitcnt lgkmcnt(0)
	global_store_dwordx4 v[16:17], v[12:15], off
	v_or_b32_e32 v3, 12, v42
	v_cmp_gt_u32_e32 vcc, 14, v3
	v_add_u32_e32 v12, 4, v18
	v_mad_u64_u32 v[12:13], s[2:3], v12, s0, 0
	v_lshl_add_u64 v[12:13], v[12:13], 1, v[0:1]
	global_store_dwordx4 v[12:13], v[8:11], off
	s_nop 1
	v_add_u32_e32 v8, 8, v18
	v_mad_u64_u32 v[8:9], s[2:3], v8, s0, 0
	v_lshl_add_u64 v[8:9], v[8:9], 1, v[0:1]
	global_store_dwordx4 v[8:9], v[4:7], off
	s_and_b64 exec, exec, vcc
	s_cbranch_execz .LBB781_20
; %bb.19:
	ds_read_b128 v[4:7], v2 offset:384
	v_add_u32_e32 v2, s48, v3
	v_mad_u64_u32 v[2:3], s[0:1], v2, s0, 0
	v_lshl_add_u64 v[0:1], v[2:3], 1, v[0:1]
	s_waitcnt lgkmcnt(0)
	global_store_dwordx4 v[0:1], v[4:7], off
.LBB781_20:
	s_endpgm
	.section	.rodata,"a",@progbits
	.p2align	6, 0x0
	.amdhsa_kernel _Z39paged_attention_ll4mi_QKV_mfma16_kernelIDF16_hLN4vllm18Fp8KVCacheDataTypeE1EhLi16ELi64ELi256ELb1ELi14EEvPKT_PKT0_S7_ifPKiS9_S9_iPKfiiiPfSC_PS2_PT2_iSB_SB_
		.amdhsa_group_segment_fixed_size 8192
		.amdhsa_private_segment_fixed_size 0
		.amdhsa_kernarg_size 400
		.amdhsa_user_sgpr_count 2
		.amdhsa_user_sgpr_dispatch_ptr 0
		.amdhsa_user_sgpr_queue_ptr 0
		.amdhsa_user_sgpr_kernarg_segment_ptr 1
		.amdhsa_user_sgpr_dispatch_id 0
		.amdhsa_user_sgpr_kernarg_preload_length 0
		.amdhsa_user_sgpr_kernarg_preload_offset 0
		.amdhsa_user_sgpr_private_segment_size 0
		.amdhsa_uses_dynamic_stack 0
		.amdhsa_enable_private_segment 0
		.amdhsa_system_sgpr_workgroup_id_x 1
		.amdhsa_system_sgpr_workgroup_id_y 1
		.amdhsa_system_sgpr_workgroup_id_z 1
		.amdhsa_system_sgpr_workgroup_info 0
		.amdhsa_system_vgpr_workitem_id 0
		.amdhsa_next_free_vgpr 67
		.amdhsa_next_free_sgpr 50
		.amdhsa_accum_offset 68
		.amdhsa_reserve_vcc 1
		.amdhsa_float_round_mode_32 0
		.amdhsa_float_round_mode_16_64 0
		.amdhsa_float_denorm_mode_32 3
		.amdhsa_float_denorm_mode_16_64 3
		.amdhsa_dx10_clamp 1
		.amdhsa_ieee_mode 1
		.amdhsa_fp16_overflow 0
		.amdhsa_tg_split 0
		.amdhsa_exception_fp_ieee_invalid_op 0
		.amdhsa_exception_fp_denorm_src 0
		.amdhsa_exception_fp_ieee_div_zero 0
		.amdhsa_exception_fp_ieee_overflow 0
		.amdhsa_exception_fp_ieee_underflow 0
		.amdhsa_exception_fp_ieee_inexact 0
		.amdhsa_exception_int_div_zero 0
	.end_amdhsa_kernel
	.section	.text._Z39paged_attention_ll4mi_QKV_mfma16_kernelIDF16_hLN4vllm18Fp8KVCacheDataTypeE1EhLi16ELi64ELi256ELb1ELi14EEvPKT_PKT0_S7_ifPKiS9_S9_iPKfiiiPfSC_PS2_PT2_iSB_SB_,"axG",@progbits,_Z39paged_attention_ll4mi_QKV_mfma16_kernelIDF16_hLN4vllm18Fp8KVCacheDataTypeE1EhLi16ELi64ELi256ELb1ELi14EEvPKT_PKT0_S7_ifPKiS9_S9_iPKfiiiPfSC_PS2_PT2_iSB_SB_,comdat
.Lfunc_end781:
	.size	_Z39paged_attention_ll4mi_QKV_mfma16_kernelIDF16_hLN4vllm18Fp8KVCacheDataTypeE1EhLi16ELi64ELi256ELb1ELi14EEvPKT_PKT0_S7_ifPKiS9_S9_iPKfiiiPfSC_PS2_PT2_iSB_SB_, .Lfunc_end781-_Z39paged_attention_ll4mi_QKV_mfma16_kernelIDF16_hLN4vllm18Fp8KVCacheDataTypeE1EhLi16ELi64ELi256ELb1ELi14EEvPKT_PKT0_S7_ifPKiS9_S9_iPKfiiiPfSC_PS2_PT2_iSB_SB_
                                        ; -- End function
	.section	.AMDGPU.csdata,"",@progbits
; Kernel info:
; codeLenInByte = 4904
; NumSgprs: 56
; NumVgprs: 67
; NumAgprs: 0
; TotalNumVgprs: 67
; ScratchSize: 0
; MemoryBound: 0
; FloatMode: 240
; IeeeMode: 1
; LDSByteSize: 8192 bytes/workgroup (compile time only)
; SGPRBlocks: 6
; VGPRBlocks: 8
; NumSGPRsForWavesPerEU: 56
; NumVGPRsForWavesPerEU: 67
; AccumOffset: 68
; Occupancy: 7
; WaveLimiterHint : 1
; COMPUTE_PGM_RSRC2:SCRATCH_EN: 0
; COMPUTE_PGM_RSRC2:USER_SGPR: 2
; COMPUTE_PGM_RSRC2:TRAP_HANDLER: 0
; COMPUTE_PGM_RSRC2:TGID_X_EN: 1
; COMPUTE_PGM_RSRC2:TGID_Y_EN: 1
; COMPUTE_PGM_RSRC2:TGID_Z_EN: 1
; COMPUTE_PGM_RSRC2:TIDIG_COMP_CNT: 0
; COMPUTE_PGM_RSRC3_GFX90A:ACCUM_OFFSET: 16
; COMPUTE_PGM_RSRC3_GFX90A:TG_SPLIT: 0
	.section	.text._Z39paged_attention_ll4mi_QKV_mfma16_kernelIDF16_hLN4vllm18Fp8KVCacheDataTypeE1EhLi16ELi64ELi256ELb1ELi15EEvPKT_PKT0_S7_ifPKiS9_S9_iPKfiiiPfSC_PS2_PT2_iSB_SB_,"axG",@progbits,_Z39paged_attention_ll4mi_QKV_mfma16_kernelIDF16_hLN4vllm18Fp8KVCacheDataTypeE1EhLi16ELi64ELi256ELb1ELi15EEvPKT_PKT0_S7_ifPKiS9_S9_iPKfiiiPfSC_PS2_PT2_iSB_SB_,comdat
	.protected	_Z39paged_attention_ll4mi_QKV_mfma16_kernelIDF16_hLN4vllm18Fp8KVCacheDataTypeE1EhLi16ELi64ELi256ELb1ELi15EEvPKT_PKT0_S7_ifPKiS9_S9_iPKfiiiPfSC_PS2_PT2_iSB_SB_ ; -- Begin function _Z39paged_attention_ll4mi_QKV_mfma16_kernelIDF16_hLN4vllm18Fp8KVCacheDataTypeE1EhLi16ELi64ELi256ELb1ELi15EEvPKT_PKT0_S7_ifPKiS9_S9_iPKfiiiPfSC_PS2_PT2_iSB_SB_
	.globl	_Z39paged_attention_ll4mi_QKV_mfma16_kernelIDF16_hLN4vllm18Fp8KVCacheDataTypeE1EhLi16ELi64ELi256ELb1ELi15EEvPKT_PKT0_S7_ifPKiS9_S9_iPKfiiiPfSC_PS2_PT2_iSB_SB_
	.p2align	8
	.type	_Z39paged_attention_ll4mi_QKV_mfma16_kernelIDF16_hLN4vllm18Fp8KVCacheDataTypeE1EhLi16ELi64ELi256ELb1ELi15EEvPKT_PKT0_S7_ifPKiS9_S9_iPKfiiiPfSC_PS2_PT2_iSB_SB_,@function
_Z39paged_attention_ll4mi_QKV_mfma16_kernelIDF16_hLN4vllm18Fp8KVCacheDataTypeE1EhLi16ELi64ELi256ELb1ELi15EEvPKT_PKT0_S7_ifPKiS9_S9_iPKfiiiPfSC_PS2_PT2_iSB_SB_: ; @_Z39paged_attention_ll4mi_QKV_mfma16_kernelIDF16_hLN4vllm18Fp8KVCacheDataTypeE1EhLi16ELi64ELi256ELb1ELi15EEvPKT_PKT0_S7_ifPKiS9_S9_iPKfiiiPfSC_PS2_PT2_iSB_SB_
; %bb.0:
	s_load_dwordx2 s[6:7], s[0:1], 0x30
	s_mov_b32 s28, s3
	s_mov_b64 s[8:9], 0
	s_waitcnt lgkmcnt(0)
	s_cmp_lg_u64 s[6:7], 0
	s_cselect_b64 s[10:11], -1, 0
	s_and_b64 vcc, exec, s[10:11]
	s_cbranch_vccz .LBB782_7
; %bb.1:
	s_add_i32 s12, s2, 1
	s_mov_b32 s13, 0
	s_lshl_b64 s[14:15], s[12:13], 2
	s_add_u32 s14, s6, s14
	s_mov_b32 s3, s13
	s_addc_u32 s15, s7, s15
	s_lshl_b64 s[12:13], s[2:3], 2
	s_add_u32 s12, s6, s12
	s_addc_u32 s13, s7, s13
	s_load_dword s5, s[14:15], 0x0
	s_load_dword s16, s[12:13], 0x0
	s_waitcnt lgkmcnt(0)
	s_sub_i32 s5, s5, s16
	s_cmp_eq_u32 s5, 1
	s_cselect_b64 s[12:13], -1, 0
	s_andn2_b64 vcc, exec, s[8:9]
	s_cbranch_vccnz .LBB782_3
.LBB782_2:
	s_mov_b32 s3, 0
	s_mov_b64 s[12:13], -1
.LBB782_3:
	s_andn2_b64 vcc, exec, s[12:13]
	s_cbranch_vccnz .LBB782_20
; %bb.4:
	s_load_dwordx2 s[8:9], s[0:1], 0x28
	s_lshl_b64 s[12:13], s[2:3], 2
	s_waitcnt lgkmcnt(0)
	s_add_u32 s8, s8, s12
	s_addc_u32 s9, s9, s13
	s_load_dword s29, s[8:9], 0x0
	s_lshl_b32 s16, s28, 8
	s_waitcnt lgkmcnt(0)
	s_cmp_ge_i32 s16, s29
	s_cbranch_scc1 .LBB782_20
; %bb.5:
	s_load_dwordx2 s[8:9], s[0:1], 0x20
	s_load_dword s5, s[0:1], 0x38
	s_add_i32 s14, s29, 15
	s_ashr_i32 s15, s14, 31
	v_and_b32_e32 v1, 0xcf, v0
	s_lshr_b32 s15, s15, 28
	v_add_u32_e32 v1, s16, v1
	s_add_i32 s14, s14, s15
	v_ashrrev_i32_e32 v2, 31, v1
	s_ashr_i32 s17, s14, 4
	v_lshrrev_b32_e32 v4, 28, v2
	s_add_i32 s17, s17, -1
	s_waitcnt lgkmcnt(0)
	s_mul_i32 s14, s2, s5
	s_mov_b32 s15, 0
	v_add_u32_e32 v2, v1, v4
	s_lshl_b64 s[14:15], s[14:15], 2
	v_ashrrev_i32_e32 v2, 4, v2
	v_mov_b32_e32 v5, s17
	v_cmp_gt_i32_e32 vcc, s29, v1
	s_add_u32 s8, s8, s14
	s_addc_u32 s9, s9, s15
	v_cndmask_b32_e32 v2, v5, v2, vcc
	v_ashrrev_i32_e32 v3, 31, v2
	v_lshl_add_u64 v[6:7], v[2:3], 2, s[8:9]
	v_or_b32_e32 v2, 16, v1
	v_add_u32_e32 v3, v2, v4
	v_ashrrev_i32_e32 v3, 4, v3
	v_cmp_gt_i32_e32 vcc, s29, v2
	s_load_dwordx2 s[14:15], s[0:1], 0x8
	s_nop 0
	v_cndmask_b32_e32 v2, v5, v3, vcc
	v_ashrrev_i32_e32 v3, 31, v2
	v_lshl_add_u64 v[8:9], v[2:3], 2, s[8:9]
	v_or_b32_e32 v2, 32, v1
	v_add_u32_e32 v3, v2, v4
	v_ashrrev_i32_e32 v3, 4, v3
	v_cmp_gt_i32_e32 vcc, s29, v2
	v_or_b32_e32 v1, 48, v1
	s_nop 0
	v_cndmask_b32_e32 v2, v5, v3, vcc
	v_ashrrev_i32_e32 v3, 31, v2
	v_lshl_add_u64 v[10:11], v[2:3], 2, s[8:9]
	v_add_u32_e32 v2, v1, v4
	v_ashrrev_i32_e32 v2, 4, v2
	v_cmp_gt_i32_e32 vcc, s29, v1
	s_nop 1
	v_cndmask_b32_e32 v2, v5, v2, vcc
	v_ashrrev_i32_e32 v3, 31, v2
	v_lshl_add_u64 v[12:13], v[2:3], 2, s[8:9]
	global_load_dword v5, v[6:7], off
	global_load_dword v4, v[8:9], off
	;; [unrolled: 1-line block ×4, first 2 shown]
	s_andn2_b64 vcc, exec, s[10:11]
	s_cbranch_vccnz .LBB782_8
; %bb.6:
	s_add_u32 s6, s6, s12
	s_addc_u32 s7, s7, s13
	s_load_dword s5, s[6:7], 0x0
	s_branch .LBB782_9
.LBB782_7:
	s_mov_b64 s[12:13], 0
	s_branch .LBB782_2
.LBB782_8:
	s_mov_b32 s5, s2
.LBB782_9:
	s_load_dwordx2 s[6:7], s[0:1], 0x10
	s_load_dwordx4 s[44:47], s[0:1], 0x48
	v_lshrrev_b32_e32 v29, 6, v0
	v_bfe_u32 v42, v0, 4, 2
	v_lshl_or_b32 v6, v29, 2, v42
	v_and_b32_e32 v28, 15, v0
	v_lshlrev_b32_e32 v1, 3, v28
	v_cmp_gt_u32_e32 vcc, 15, v6
	v_cmp_gt_u32_e64 s[30:31], 8, v28
	s_mul_i32 s48, s4, 15
	s_and_b64 s[12:13], s[30:31], vcc
	v_lshlrev_b32_e32 v26, 1, v1
	v_lshlrev_b32_e32 v1, 4, v0
	s_and_saveexec_b64 s[10:11], s[12:13]
	s_cbranch_execz .LBB782_11
; %bb.10:
	s_load_dwordx2 s[12:13], s[0:1], 0x0
	s_waitcnt lgkmcnt(0)
	s_ashr_i32 s18, s44, 31
	s_mul_hi_u32 s19, s5, s44
	s_mul_i32 s18, s5, s18
	s_add_i32 s19, s19, s18
	s_mul_i32 s18, s5, s44
	s_lshl_b64 s[18:19], s[18:19], 1
	s_add_u32 s12, s12, s18
	v_add_lshl_u32 v8, v6, s48, 6
	s_addc_u32 s13, s13, s19
	v_ashrrev_i32_e32 v9, 31, v8
	v_lshl_add_u64 v[8:9], v[8:9], 1, s[12:13]
	v_mov_b32_e32 v27, 0
	v_lshl_add_u64 v[8:9], v[8:9], 0, v[26:27]
	global_load_dwordx4 v[8:11], v[8:9], off
	v_lshlrev_b32_e32 v12, 8, v28
	v_lshlrev_b32_e32 v6, 5, v6
	v_and_b32_e32 v7, 16, v1
	v_and_b32_e32 v12, 0xe00, v12
	v_or3_b32 v6, v12, v6, v7
	s_waitcnt vmcnt(0)
	ds_write_b128 v6, v[8:11]
.LBB782_11:
	s_or_b64 exec, exec, s[10:11]
	s_waitcnt lgkmcnt(0)
	s_mul_i32 s10, s4, s46
	s_add_u32 s4, s14, s10
	v_mov_b32_e32 v31, 0
	s_addc_u32 s5, s15, 0
	v_and_b32_e32 v32, 48, v0
	v_and_b32_e32 v30, 0xf0, v1
	v_lshl_add_u64 v[6:7], s[4:5], 0, v[30:31]
	v_lshlrev_b32_e32 v30, 4, v32
	v_lshl_add_u64 v[6:7], v[6:7], 0, v[30:31]
	s_waitcnt vmcnt(3)
	v_mad_i64_i32 v[8:9], s[4:5], v5, s45, v[6:7]
	s_waitcnt vmcnt(2)
	v_mad_i64_i32 v[4:5], s[4:5], v4, s45, v[6:7]
	s_barrier
	global_load_dwordx4 v[22:25], v[8:9], off
	global_load_dwordx4 v[18:21], v[4:5], off
	s_waitcnt vmcnt(3)
	v_mad_i64_i32 v[4:5], s[4:5], v3, s45, v[6:7]
	s_waitcnt vmcnt(2)
	v_mad_i64_i32 v[2:3], s[4:5], v2, s45, v[6:7]
	global_load_dwordx4 v[14:17], v[4:5], off
	global_load_dwordx4 v[6:9], v[2:3], off
	v_cmp_ne_u32_e32 vcc, 15, v28
	v_and_b32_e32 v27, 63, v0
	v_mov_b32_e32 v43, 0
	v_cndmask_b32_e32 v2, 0, v28, vcc
	v_lshlrev_b32_e32 v2, 5, v2
	v_lshl_or_b32 v2, v42, 9, v2
	ds_read_b128 v[10:13], v2
	ds_read_b128 v[2:5], v2 offset:16
	s_and_saveexec_b64 s[4:5], vcc
	s_cbranch_execz .LBB782_13
; %bb.12:
	s_load_dwordx2 s[12:13], s[0:1], 0x40
	v_add_u32_e32 v34, s48, v28
	v_ashrrev_i32_e32 v35, 31, v34
	s_waitcnt lgkmcnt(0)
	v_lshl_add_u64 v[34:35], v[34:35], 2, s[12:13]
	global_load_dword v43, v[34:35], off
.LBB782_13:
	s_or_b64 exec, exec, s[4:5]
	v_or_b32_e32 v62, s16, v32
	v_ashrrev_i32_e32 v30, 4, v62
	v_mov_b32_e32 v63, s17
	v_cmp_gt_i32_e32 vcc, s29, v62
	s_waitcnt vmcnt(2)
	v_cvt_pk_f32_fp8_e32 v[52:53], v20
	v_cvt_pk_f32_fp8_sdwa v[54:55], v20 src0_sel:WORD_1
	v_cndmask_b32_e32 v20, v63, v30, vcc
	v_cvt_pk_f32_fp8_e32 v[56:57], v21
	v_cvt_pk_f32_fp8_sdwa v[58:59], v21 src0_sel:WORD_1
	v_ashrrev_i32_e32 v21, 31, v20
	v_cvt_pk_f32_fp8_e32 v[40:41], v22
	v_cvt_pk_f32_fp8_sdwa v[44:45], v22 src0_sel:WORD_1
	v_lshl_add_u64 v[20:21], v[20:21], 2, s[8:9]
	v_cvt_pk_f32_fp8_e32 v[46:47], v18
	v_cvt_pk_f32_fp8_sdwa v[48:49], v18 src0_sel:WORD_1
	global_load_dword v64, v[20:21], off
	v_cvt_pk_f32_fp8_e32 v[34:35], v23
	v_cvt_pk_f32_fp8_sdwa v[32:33], v23 src0_sel:WORD_1
	v_cvt_pkrtz_f16_f32 v20, v40, v41
	v_cvt_pkrtz_f16_f32 v21, v44, v45
	v_cvt_pk_f32_fp8_e32 v[36:37], v24
	v_cvt_pk_f32_fp8_sdwa v[38:39], v24 src0_sel:WORD_1
	v_cvt_pk_f32_fp8_e32 v[50:51], v19
	v_cvt_pk_f32_fp8_sdwa v[18:19], v19 src0_sel:WORD_1
	v_cvt_pkrtz_f16_f32 v44, v46, v47
	v_cvt_pkrtz_f16_f32 v45, v48, v49
	v_cvt_pk_f32_fp8_e32 v[22:23], v25
	s_waitcnt vmcnt(2)
	v_cvt_pk_f32_fp8_e32 v[40:41], v14
	v_cvt_pk_f32_fp8_sdwa v[46:47], v14 src0_sel:WORD_1
	v_cvt_pkrtz_f16_f32 v48, v34, v35
	v_cvt_pkrtz_f16_f32 v49, v32, v33
	v_or_b32_e32 v14, 64, v62
	v_or_b32_e32 v32, 0xc0, v62
	v_cvt_pk_f32_fp8_sdwa v[24:25], v25 src0_sel:WORD_1
	s_load_dword s11, s[0:1], 0x1c
	s_load_dwordx4 s[40:43], s[0:1], 0x80
	v_cvt_pkrtz_f16_f32 v36, v36, v37
	v_cvt_pkrtz_f16_f32 v37, v38, v39
	v_or_b32_e32 v65, 0x80, v62
	v_ashrrev_i32_e32 v62, 4, v14
	v_cmp_gt_i32_e32 vcc, s29, v32
	v_ashrrev_i32_e32 v66, 4, v32
	v_cmp_gt_i32_e64 s[4:5], s29, v14
	v_cvt_pkrtz_f16_f32 v38, v50, v51
	v_cvt_pkrtz_f16_f32 v39, v18, v19
	s_waitcnt lgkmcnt(0)
	v_mfma_f32_16x16x16_f16 v[32:35], v[20:21], v[10:11], 0
	s_add_u32 s6, s6, s10
	v_lshlrev_b32_e32 v30, 4, v28
	v_cndmask_b32_e64 v50, v63, v62, s[4:5]
	v_cvt_pkrtz_f16_f32 v62, v22, v23
	v_mfma_f32_16x16x16_f16 v[20:23], v[44:45], v[10:11], 0
	v_lshl_or_b32 v30, v29, 8, v30
	s_addc_u32 s7, s7, 0
	v_ashrrev_i32_e32 v14, 4, v65
	v_lshl_add_u64 v[18:19], s[6:7], 0, v[30:31]
	v_cmp_gt_i32_e64 s[6:7], s29, v65
	v_mfma_f32_16x16x16_f16 v[30:33], v[48:49], v[12:13], v[32:35]
	v_cndmask_b32_e32 v48, v63, v66, vcc
	s_load_dword s4, s[40:41], 0x0
	v_cvt_pk_f32_fp8_e32 v[60:61], v15
	v_cndmask_b32_e64 v34, v63, v14, s[6:7]
	v_cvt_pkrtz_f16_f32 v63, v24, v25
	v_cvt_pkrtz_f16_f32 v24, v52, v53
	v_cvt_pkrtz_f16_f32 v25, v54, v55
	v_mfma_f32_16x16x16_f16 v[20:23], v[38:39], v[12:13], v[20:23]
	v_cvt_pkrtz_f16_f32 v40, v40, v41
	v_cvt_pkrtz_f16_f32 v41, v46, v47
	v_ashrrev_i32_e32 v51, 31, v50
	v_mfma_f32_16x16x16_f16 v[20:23], v[24:25], v[2:3], v[20:23]
	v_mov_b32_e32 v24, s11
	s_waitcnt lgkmcnt(0)
	v_mul_f32_e32 v54, s4, v24
	v_cvt_pk_f32_fp8_sdwa v[24:25], v15 src0_sel:WORD_1
	v_mfma_f32_16x16x16_f16 v[30:33], v[36:37], v[2:3], v[30:33]
	v_ashrrev_i32_e32 v35, 31, v34
	v_ashrrev_i32_e32 v49, 31, v48
	v_lshl_add_u64 v[36:37], v[50:51], 2, s[8:9]
	v_lshl_add_u64 v[34:35], v[34:35], 2, s[8:9]
	;; [unrolled: 1-line block ×3, first 2 shown]
	global_load_dword v14, v[36:37], off
	global_load_dword v44, v[34:35], off
	;; [unrolled: 1-line block ×3, first 2 shown]
	v_cvt_pkrtz_f16_f32 v46, v60, v61
	v_cvt_pk_f32_fp8_e32 v[48:49], v16
	v_cvt_pk_f32_fp8_sdwa v[50:51], v16 src0_sel:WORD_1
	v_cvt_pkrtz_f16_f32 v47, v24, v25
	v_mfma_f32_16x16x16_f16 v[36:39], v[62:63], v[4:5], v[30:33]
	v_cvt_pkrtz_f16_f32 v24, v48, v49
	v_cvt_pkrtz_f16_f32 v25, v50, v51
	;; [unrolled: 1-line block ×3, first 2 shown]
	v_mfma_f32_16x16x16_f16 v[30:33], v[40:41], v[10:11], 0
	v_cvt_pk_f32_fp8_e32 v[40:41], v17
	v_cvt_pk_f32_fp8_sdwa v[16:17], v17 src0_sel:WORD_1
	v_cvt_pkrtz_f16_f32 v53, v58, v59
	v_mfma_f32_16x16x16_f16 v[46:49], v[46:47], v[12:13], v[30:33]
	s_mov_b32 s33, 0xff7fffff
	s_waitcnt vmcnt(3)
	v_mad_i64_i32 v[34:35], s[4:5], v64, s45, v[18:19]
	v_cvt_pkrtz_f16_f32 v32, v40, v41
	v_cvt_pkrtz_f16_f32 v33, v16, v17
	v_mfma_f32_16x16x16_f16 v[46:49], v[24:25], v[2:3], v[46:49]
	v_cvt_pk_f32_fp8_e32 v[16:17], v6
	v_cvt_pk_f32_fp8_sdwa v[24:25], v6 src0_sel:WORD_1
	v_pk_mul_f32 v[30:31], v[54:55], v[38:39] op_sel_hi:[0,1]
	v_mfma_f32_16x16x16_f16 v[46:49], v[32:33], v[4:5], v[46:49]
	v_cvt_pk_f32_fp8_e32 v[32:33], v7
	v_cvt_pkrtz_f16_f32 v16, v16, v17
	v_cvt_pkrtz_f16_f32 v17, v24, v25
	v_cvt_pk_f32_fp8_sdwa v[6:7], v7 src0_sel:WORD_1
	v_pk_mul_f32 v[38:39], v[54:55], v[36:37] op_sel_hi:[0,1]
	v_cvt_pkrtz_f16_f32 v24, v32, v33
	v_cvt_pk_f32_fp8_e32 v[32:33], v8
	v_cvt_pk_f32_fp8_sdwa v[36:37], v8 src0_sel:WORD_1
	v_cvt_pkrtz_f16_f32 v25, v6, v7
	v_mfma_f32_16x16x16_f16 v[20:23], v[52:53], v[4:5], v[20:23]
	v_mfma_f32_16x16x16_f16 v[50:53], v[16:17], v[10:11], 0
	v_cvt_pkrtz_f16_f32 v10, v32, v33
	v_cvt_pkrtz_f16_f32 v11, v36, v37
	v_cvt_pk_f32_fp8_e32 v[16:17], v9
	v_cvt_pk_f32_fp8_sdwa v[32:33], v9 src0_sel:WORD_1
	v_mfma_f32_16x16x16_f16 v[6:9], v[24:25], v[12:13], v[50:53]
	s_nop 0
	v_pk_mul_f32 v[36:37], v[54:55], v[22:23] op_sel_hi:[0,1]
	v_cvt_pkrtz_f16_f32 v12, v16, v17
	v_cvt_pkrtz_f16_f32 v13, v32, v33
	v_mfma_f32_16x16x16_f16 v[6:9], v[10:11], v[2:3], v[6:9]
	v_pk_mul_f32 v[40:41], v[54:55], v[20:21] op_sel_hi:[0,1]
	v_pk_mul_f32 v[24:25], v[54:55], v[48:49] op_sel_hi:[0,1]
	;; [unrolled: 1-line block ×3, first 2 shown]
	v_mfma_f32_16x16x16_f16 v[2:5], v[12:13], v[4:5], v[6:9]
	s_nop 6
	v_pk_mul_f32 v[22:23], v[54:55], v[2:3] op_sel_hi:[0,1]
	v_and_b32_e32 v2, 0xc0, v0
	v_add_u32_e32 v2, s16, v2
	v_lshl_or_b32 v2, v42, 2, v2
	v_or_b32_e32 v3, 1, v2
	v_pk_mul_f32 v[20:21], v[54:55], v[4:5] op_sel_hi:[0,1]
	v_subrev_u32_e32 v4, s29, v3
	v_add_u32_e32 v6, 1, v4
	v_add_u32_e32 v7, 2, v4
	;; [unrolled: 1-line block ×3, first 2 shown]
	v_cvt_f32_i32_e32 v6, v6
	v_cvt_f32_i32_e32 v7, v7
	;; [unrolled: 1-line block ×3, first 2 shown]
	v_add_u32_e32 v9, 19, v4
	v_fmac_f32_e32 v39, v43, v6
	v_fma_f32 v30, v43, v7, v30
	v_fmac_f32_e32 v31, v43, v8
	v_add_u32_e32 v6, 16, v4
	v_add_u32_e32 v7, 17, v4
	;; [unrolled: 1-line block ×3, first 2 shown]
	v_cvt_f32_i32_e32 v6, v6
	v_cvt_f32_i32_e32 v7, v7
	v_cvt_f32_i32_e32 v8, v8
	v_cvt_f32_i32_e32 v9, v9
	v_fma_f32 v40, v43, v6, v40
	v_fmac_f32_e32 v41, v43, v7
	v_fma_f32 v36, v43, v8, v36
	v_add_u32_e32 v6, 32, v4
	v_add_u32_e32 v7, 33, v4
	;; [unrolled: 1-line block ×3, first 2 shown]
	v_cvt_f32_i32_e32 v6, v6
	v_cvt_f32_i32_e32 v7, v7
	;; [unrolled: 1-line block ×4, first 2 shown]
	v_fmac_f32_e32 v37, v43, v9
	v_add_u32_e32 v9, 35, v4
	v_fma_f32 v32, v43, v6, v32
	v_fmac_f32_e32 v33, v43, v7
	v_fma_f32 v24, v43, v8, v24
	v_add_u32_e32 v6, 48, v4
	v_add_u32_e32 v7, 49, v4
	;; [unrolled: 1-line block ×4, first 2 shown]
	v_cvt_f32_i32_e32 v4, v4
	v_cvt_f32_i32_e32 v6, v6
	;; [unrolled: 1-line block ×3, first 2 shown]
	v_fma_f32 v5, v43, v5, v38
	v_fmac_f32_e32 v21, v43, v4
	v_mov_b32_e32 v4, 0xff7fffff
	v_cmp_gt_i32_e64 s[4:5], s29, v2
	v_cmp_gt_i32_e64 s[34:35], s29, v3
	v_fma_f32 v22, v43, v6, v22
	v_cndmask_b32_e64 v6, v4, v5, s[4:5]
	v_cndmask_b32_e64 v3, v4, v39, s[34:35]
	v_fmac_f32_e32 v23, v43, v7
	v_max3_f32 v3, v6, s33, v3
	v_or_b32_e32 v6, 2, v2
	v_or_b32_e32 v7, 3, v2
	v_cmp_gt_i32_e64 s[36:37], s29, v6
	v_cmp_gt_i32_e64 s[38:39], s29, v7
	v_cvt_f32_i32_e32 v9, v9
	v_cndmask_b32_e64 v6, v4, v30, s[36:37]
	v_cndmask_b32_e64 v7, v4, v31, s[38:39]
	v_max3_f32 v3, v3, v6, v7
	v_or_b32_e32 v6, 16, v2
	v_or_b32_e32 v7, 17, v2
	v_cmp_gt_i32_e64 s[24:25], s29, v6
	v_cmp_gt_i32_e64 s[26:27], s29, v7
	v_fmac_f32_e32 v25, v43, v9
	v_cndmask_b32_e64 v6, v4, v40, s[24:25]
	v_cndmask_b32_e64 v7, v4, v41, s[26:27]
	v_max3_f32 v3, v3, v6, v7
	v_or_b32_e32 v6, 18, v2
	v_or_b32_e32 v7, 19, v2
	v_cmp_gt_i32_e64 s[20:21], s29, v6
	v_cmp_gt_i32_e64 s[22:23], s29, v7
	v_cvt_f32_i32_e32 v8, v8
	v_cndmask_b32_e64 v6, v4, v36, s[20:21]
	v_cndmask_b32_e64 v7, v4, v37, s[22:23]
	v_max3_f32 v3, v3, v6, v7
	v_or_b32_e32 v6, 32, v2
	v_or_b32_e32 v7, 33, v2
	v_cmp_gt_i32_e64 s[16:17], s29, v6
	v_cmp_gt_i32_e64 s[18:19], s29, v7
	v_fma_f32 v20, v43, v8, v20
	v_cndmask_b32_e64 v6, v4, v32, s[16:17]
	v_cndmask_b32_e64 v7, v4, v33, s[18:19]
	v_max3_f32 v3, v3, v6, v7
	v_or_b32_e32 v6, 34, v2
	v_or_b32_e32 v7, 35, v2
	v_cmp_gt_i32_e64 s[12:13], s29, v6
	v_cmp_gt_i32_e64 s[14:15], s29, v7
	s_nop 0
	v_cndmask_b32_e64 v6, v4, v24, s[12:13]
	v_cndmask_b32_e64 v7, v4, v25, s[14:15]
	v_max3_f32 v3, v3, v6, v7
	v_or_b32_e32 v6, 48, v2
	v_or_b32_e32 v7, 49, v2
	v_cmp_gt_i32_e64 s[8:9], s29, v6
	v_cmp_gt_i32_e64 s[10:11], s29, v7
	s_nop 0
	v_cndmask_b32_e64 v6, v4, v22, s[8:9]
	v_cndmask_b32_e64 v7, v4, v23, s[10:11]
	v_max3_f32 v3, v3, v6, v7
	v_or_b32_e32 v6, 50, v2
	v_or_b32_e32 v2, 51, v2
	v_cmp_gt_i32_e32 vcc, s29, v6
	v_cmp_gt_i32_e64 s[6:7], s29, v2
	s_nop 0
	v_cndmask_b32_e32 v6, v4, v20, vcc
	v_cndmask_b32_e64 v2, v4, v21, s[6:7]
	v_max3_f32 v4, v3, v6, v2
	v_mbcnt_lo_u32_b32 v2, -1, 0
	v_mbcnt_hi_u32_b32 v6, -1, v2
	v_and_b32_e32 v2, 64, v6
	v_add_u32_e32 v7, 64, v2
	v_xor_b32_e32 v2, 32, v6
	v_cmp_lt_i32_e64 s[40:41], v2, v7
	s_nop 1
	v_cndmask_b32_e64 v2, v6, v2, s[40:41]
	v_lshlrev_b32_e32 v43, 2, v2
	ds_bpermute_b32 v8, v43, v4
	s_waitcnt vmcnt(2)
	v_mad_i64_i32 v[2:3], s[40:41], v14, s45, v[18:19]
	global_load_dwordx4 v[14:17], v[34:35], off
	global_load_dwordx4 v[10:13], v[2:3], off
	v_xor_b32_e32 v3, 16, v6
	v_cmp_lt_i32_e64 s[40:41], v3, v7
	s_waitcnt lgkmcnt(0)
	v_max_f32_e32 v2, v8, v8
	v_max_f32_e32 v2, v4, v2
	v_cndmask_b32_e64 v3, v6, v3, s[40:41]
	v_lshlrev_b32_e32 v46, 2, v3
	ds_bpermute_b32 v3, v46, v2
	s_waitcnt vmcnt(3)
	v_mad_i64_i32 v[34:35], s[40:41], v44, s45, v[18:19]
	s_waitcnt vmcnt(2)
	v_mad_i64_i32 v[18:19], s[40:41], v45, s45, v[18:19]
	s_waitcnt lgkmcnt(0)
	v_max_f32_e32 v3, v3, v3
	v_max_f32_e32 v38, v2, v3
	v_sub_f32_e32 v2, v5, v38
	v_mul_f32_e32 v2, 0x3fb8aa3b, v2
	v_exp_f32_e32 v44, v2
	v_sub_f32_e32 v2, v39, v38
	v_mul_f32_e32 v2, 0x3fb8aa3b, v2
	v_exp_f32_e32 v39, v2
	global_load_dwordx4 v[6:9], v[34:35], off
	global_load_dwordx4 v[2:5], v[18:19], off
	v_sub_f32_e32 v30, v30, v38
	v_mul_f32_e32 v30, 0x3fb8aa3b, v30
	v_sub_f32_e32 v31, v31, v38
	v_exp_f32_e32 v30, v30
	v_mul_f32_e32 v31, 0x3fb8aa3b, v31
	v_exp_f32_e32 v31, v31
	v_cndmask_b32_e64 v18, 0, v44, s[4:5]
	v_add_f32_e32 v34, 0, v18
	v_cndmask_b32_e64 v19, 0, v39, s[34:35]
	v_add_f32_e32 v35, v34, v19
	;; [unrolled: 2-line block ×3, first 2 shown]
	v_cndmask_b32_e64 v35, 0, v31, s[38:39]
	v_sub_f32_e32 v31, v40, v38
	v_mul_f32_e32 v31, 0x3fb8aa3b, v31
	v_sub_f32_e32 v39, v41, v38
	v_exp_f32_e32 v31, v31
	v_mul_f32_e32 v39, 0x3fb8aa3b, v39
	v_sub_f32_e32 v36, v36, v38
	v_exp_f32_e32 v39, v39
	;; [unrolled: 3-line block ×4, first 2 shown]
	v_mul_f32_e32 v32, 0x3fb8aa3b, v32
	v_sub_f32_e32 v33, v33, v38
	v_add_f32_e32 v40, v30, v35
	v_cndmask_b32_e64 v30, 0, v31, s[24:25]
	v_exp_f32_e32 v32, v32
	v_mul_f32_e32 v33, 0x3fb8aa3b, v33
	v_sub_f32_e32 v24, v24, v38
	v_add_f32_e32 v40, v40, v30
	v_cndmask_b32_e64 v31, 0, v39, s[26:27]
	v_exp_f32_e32 v33, v33
	;; [unrolled: 5-line block ×7, first 2 shown]
	v_mul_f32_e32 v21, 0x3fb8aa3b, v21
	v_add_f32_e32 v39, v39, v24
	v_cndmask_b32_e64 v25, 0, v25, s[14:15]
	v_exp_f32_e32 v21, v21
	v_add_f32_e32 v39, v39, v25
	v_cndmask_b32_e64 v22, 0, v22, s[8:9]
	v_add_f32_e32 v39, v39, v22
	v_cndmask_b32_e64 v23, 0, v23, s[10:11]
	v_add_f32_e32 v39, v39, v23
	v_cndmask_b32_e32 v20, 0, v20, vcc
	v_add_f32_e32 v39, v39, v20
	v_cndmask_b32_e64 v21, 0, v21, s[6:7]
	v_add_f32_e32 v39, v39, v21
	ds_bpermute_b32 v40, v43, v39
	s_load_dword s7, s[0:1], 0x98
	v_cmp_gt_u32_e32 vcc, 16, v27
	s_waitcnt lgkmcnt(0)
	s_barrier
	v_add_f32_e32 v40, v39, v40
	ds_bpermute_b32 v41, v46, v40
	v_lshlrev_b32_e32 v39, 2, v28
	s_waitcnt lgkmcnt(0)
	s_and_saveexec_b64 s[4:5], vcc
	s_cbranch_execz .LBB782_15
; %bb.14:
	v_add_f32_e32 v27, v40, v41
	v_lshl_or_b32 v40, v29, 6, v39
	ds_write2st64_b32 v40, v38, v27 offset1:1
.LBB782_15:
	s_or_b64 exec, exec, s[4:5]
	s_load_dword s6, s[0:1], 0x94
	s_waitcnt lgkmcnt(0)
	s_barrier
	ds_read2_b32 v[40:41], v39 offset1:16
	ds_read2_b32 v[44:45], v39 offset0:32 offset1:48
	ds_read2_b32 v[46:47], v39 offset0:64 offset1:80
	s_mul_i32 s7, s7, 15
	s_waitcnt lgkmcnt(2)
	v_max3_f32 v27, v40, s33, v41
	s_waitcnt lgkmcnt(1)
	v_max3_f32 v27, v27, v44, v45
	v_sub_f32_e32 v38, v40, v27
	v_mul_f32_e32 v38, 0x3fb8aa3b, v38
	v_exp_f32_e32 v43, v38
	v_sub_f32_e32 v38, v41, v27
	v_mul_f32_e32 v38, 0x3fb8aa3b, v38
	v_exp_f32_e32 v48, v38
	;; [unrolled: 3-line block ×3, first 2 shown]
	ds_read2_b32 v[40:41], v39 offset0:96 offset1:112
	v_sub_f32_e32 v38, v45, v27
	v_mul_f32_e32 v38, 0x3fb8aa3b, v38
	v_exp_f32_e32 v39, v38
	s_waitcnt lgkmcnt(1)
	v_fma_f32 v38, v43, v46, 0
	v_fmac_f32_e32 v38, v48, v47
	s_waitcnt lgkmcnt(0)
	v_fmac_f32_e32 v38, v44, v40
	v_fmac_f32_e32 v38, v39, v41
	v_add_f32_e32 v40, 0x358637bd, v38
	v_div_scale_f32 v41, s[4:5], v40, v40, 1.0
	v_rcp_f32_e32 v45, v41
	s_barrier
	v_fma_f32 v46, -v41, v45, 1.0
	v_fmac_f32_e32 v45, v46, v45
	v_div_scale_f32 v46, vcc, 1.0, v40, 1.0
	v_mul_f32_e32 v47, v46, v45
	v_fma_f32 v49, -v41, v47, v46
	v_fmac_f32_e32 v47, v49, v45
	v_fma_f32 v41, -v41, v47, v46
	v_div_fmas_f32 v41, v41, v45, v47
	v_cmp_eq_u32_e32 vcc, 1, v29
	v_div_fixup_f32 v40, v41, v40, 1.0
	s_nop 0
	v_cndmask_b32_e32 v41, v43, v48, vcc
	v_cmp_eq_u32_e32 vcc, 2, v29
	s_nop 1
	v_cndmask_b32_e32 v41, v41, v44, vcc
	v_cmp_eq_u32_e32 vcc, 3, v29
	v_lshlrev_b32_e32 v29, 11, v29
	s_nop 0
	v_cndmask_b32_e32 v39, v41, v39, vcc
	v_mul_f32_e32 v40, v39, v40
	v_pk_mul_f32 v[18:19], v[40:41], v[18:19] op_sel_hi:[0,1]
	v_pk_mul_f32 v[34:35], v[40:41], v[34:35] op_sel_hi:[0,1]
	v_cvt_f16_f32_e32 v18, v18
	v_cvt_f16_f32_e32 v19, v19
	v_pk_mul_f32 v[36:37], v[40:41], v[36:37] op_sel_hi:[0,1]
	v_pk_mul_f32 v[30:31], v[40:41], v[30:31] op_sel_hi:[0,1]
	v_cvt_f16_f32_e32 v39, v34
	v_cvt_f16_f32_e32 v35, v35
	;; [unrolled: 1-line block ×6, first 2 shown]
	v_pack_b32_f16 v34, v18, v19
	v_lshlrev_b32_e32 v18, 3, v42
	v_lshlrev_b32_e32 v19, 5, v28
	v_pack_b32_f16 v35, v39, v35
	v_or3_b32 v18, v29, v19, v18
	v_pack_b32_f16 v30, v30, v31
	v_pack_b32_f16 v31, v36, v37
	ds_write2st64_b64 v18, v[34:35], v[30:31] offset1:1
	v_pk_mul_f32 v[24:25], v[40:41], v[24:25] op_sel_hi:[0,1]
	v_pk_mul_f32 v[30:31], v[40:41], v[32:33] op_sel_hi:[0,1]
	;; [unrolled: 1-line block ×4, first 2 shown]
	v_cvt_f16_f32_e32 v29, v30
	v_cvt_f16_f32_e32 v30, v31
	;; [unrolled: 1-line block ×8, first 2 shown]
	v_pack_b32_f16 v20, v29, v30
	v_pack_b32_f16 v21, v24, v25
	;; [unrolled: 1-line block ×4, first 2 shown]
	v_cmp_gt_u32_e32 vcc, 15, v0
	ds_write2st64_b64 v18, v[20:21], v[22:23] offset0:2 offset1:3
	s_and_saveexec_b64 s[4:5], vcc
	s_cbranch_execz .LBB782_17
; %bb.16:
	s_mov_b32 s49, 0
	v_mov_b32_e32 v29, 0
	v_lshl_add_u64 v[20:21], s[48:49], 0, v[28:29]
	v_mov_b32_e32 v22, s7
	v_mad_u64_u32 v[20:21], s[12:13], s2, v22, v[20:21]
	s_mul_i32 s3, s3, s7
	v_mov_b32_e32 v28, s28
	s_load_dwordx4 s[8:11], s[0:1], 0x58
	v_add_u32_e32 v23, s3, v21
	v_mad_u64_u32 v[20:21], s[12:13], v20, s6, v[28:29]
	v_mov_b32_e32 v22, v21
	v_mad_u64_u32 v[22:23], s[12:13], v23, s6, v[22:23]
	v_mov_b32_e32 v21, v22
	v_lshlrev_b64 v[20:21], 2, v[20:21]
	s_waitcnt lgkmcnt(0)
	v_lshl_add_u64 v[22:23], s[10:11], 0, v[20:21]
	v_lshl_add_u64 v[20:21], s[8:9], 0, v[20:21]
	global_store_dword v[22:23], v27, off
	global_store_dword v[20:21], v38, off
.LBB782_17:
	s_or_b64 exec, exec, s[4:5]
	s_waitcnt vmcnt(3)
	v_cvt_pk_f32_fp8_e32 v[20:21], v14
	v_cvt_pk_f32_fp8_sdwa v[22:23], v14 src0_sel:WORD_1
	v_lshl_or_b32 v14, v42, 9, v19
	s_waitcnt lgkmcnt(0)
	s_barrier
	v_cvt_pk_f32_fp8_e32 v[24:25], v15
	v_cvt_pkrtz_f16_f32 v32, v20, v21
	v_cvt_pkrtz_f16_f32 v33, v22, v23
	v_cvt_pk_f32_fp8_sdwa v[28:29], v15 src0_sel:WORD_1
	ds_read_b128 v[20:23], v14
	v_cvt_pkrtz_f16_f32 v24, v24, v25
	v_cvt_pk_f32_fp8_e32 v[36:37], v16
	v_cvt_pkrtz_f16_f32 v25, v28, v29
	ds_read_b128 v[28:31], v14 offset:16
	v_cvt_pk_f32_fp8_sdwa v[38:39], v16 src0_sel:WORD_1
	s_waitcnt lgkmcnt(1)
	v_mfma_f32_16x16x16_f16 v[32:35], v[32:33], v[20:21], 0
	v_cvt_pkrtz_f16_f32 v36, v36, v37
	s_load_dword s4, s[42:43], 0x0
	v_cvt_pkrtz_f16_f32 v37, v38, v39
	v_cvt_pk_f32_fp8_e32 v[38:39], v17
	v_cvt_pk_f32_fp8_sdwa v[16:17], v17 src0_sel:WORD_1
	v_mfma_f32_16x16x16_f16 v[20:23], v[24:25], v[22:23], v[32:35]
	v_cmp_gt_u32_e32 vcc, 64, v0
	v_cvt_pkrtz_f16_f32 v24, v38, v39
	v_cvt_pkrtz_f16_f32 v25, v16, v17
	s_waitcnt lgkmcnt(0)
	v_mfma_f32_16x16x16_f16 v[20:23], v[36:37], v[28:29], v[20:23]
	s_waitcnt vmcnt(2)
	v_cvt_pk_f32_fp8_e32 v[16:17], v10
	v_cvt_pk_f32_fp8_e32 v[28:29], v11
	v_cvt_pk_f32_fp8_sdwa v[36:37], v12 src0_sel:WORD_1
	v_mfma_f32_16x16x16_f16 v[20:23], v[24:25], v[30:31], v[20:23]
	v_cvt_pk_f32_fp8_sdwa v[24:25], v10 src0_sel:WORD_1
	v_cvt_pkrtz_f16_f32 v10, v16, v17
	v_cvt_pk_f32_fp8_sdwa v[16:17], v11 src0_sel:WORD_1
	ds_read_b128 v[32:35], v14 offset:2064
	v_cvt_pkrtz_f16_f32 v11, v24, v25
	v_cvt_pkrtz_f16_f32 v24, v28, v29
	ds_read_b128 v[28:31], v14 offset:2048
	v_cvt_pkrtz_f16_f32 v25, v16, v17
	v_cvt_pk_f32_fp8_e32 v[16:17], v12
	s_waitcnt lgkmcnt(0)
	v_mfma_f32_16x16x16_f16 v[20:23], v[10:11], v[28:29], v[20:23]
	v_cvt_pkrtz_f16_f32 v10, v16, v17
	v_cvt_pkrtz_f16_f32 v11, v36, v37
	v_cvt_pk_f32_fp8_e32 v[16:17], v13
	v_mfma_f32_16x16x16_f16 v[20:23], v[24:25], v[30:31], v[20:23]
	v_cvt_pk_f32_fp8_sdwa v[24:25], v13 src0_sel:WORD_1
	ds_read_b128 v[28:31], v14 offset:4112
	v_cvt_pkrtz_f16_f32 v16, v16, v17
	v_mfma_f32_16x16x16_f16 v[10:13], v[10:11], v[32:33], v[20:23]
	v_cvt_pkrtz_f16_f32 v17, v24, v25
	s_waitcnt vmcnt(1)
	v_cvt_pk_f32_fp8_sdwa v[24:25], v7 src0_sel:WORD_1
	v_cvt_pk_f32_fp8_sdwa v[32:33], v8 src0_sel:WORD_1
	v_cvt_pk_f32_fp8_e32 v[20:21], v6
	v_mfma_f32_16x16x16_f16 v[10:13], v[16:17], v[34:35], v[10:13]
	v_cvt_pk_f32_fp8_sdwa v[16:17], v6 src0_sel:WORD_1
	v_cvt_pk_f32_fp8_e32 v[22:23], v7
	v_cvt_pkrtz_f16_f32 v6, v20, v21
	s_mov_b32 s3, 0
	v_cvt_pkrtz_f16_f32 v7, v16, v17
	v_cvt_pkrtz_f16_f32 v16, v22, v23
	ds_read_b128 v[20:23], v14 offset:4096
	v_cvt_pkrtz_f16_f32 v17, v24, v25
	v_cvt_pk_f32_fp8_e32 v[24:25], v8
	s_waitcnt lgkmcnt(0)
	v_mfma_f32_16x16x16_f16 v[10:13], v[6:7], v[20:21], v[10:13]
	v_cvt_pkrtz_f16_f32 v6, v24, v25
	v_cvt_pkrtz_f16_f32 v7, v32, v33
	v_cvt_pk_f32_fp8_e32 v[20:21], v9
	v_mfma_f32_16x16x16_f16 v[10:13], v[16:17], v[22:23], v[10:13]
	v_cvt_pk_f32_fp8_sdwa v[16:17], v9 src0_sel:WORD_1
	s_waitcnt vmcnt(0)
	v_cvt_pk_f32_fp8_sdwa v[24:25], v4 src0_sel:WORD_1
	v_cvt_pkrtz_f16_f32 v20, v20, v21
	v_mfma_f32_16x16x16_f16 v[6:9], v[6:7], v[28:29], v[10:13]
	v_cvt_pkrtz_f16_f32 v21, v16, v17
	v_cvt_pk_f32_fp8_e32 v[16:17], v3
	v_mov_b32_e32 v27, 0
	v_cvt_pk_f32_fp8_e32 v[10:11], v2
	v_cvt_pk_f32_fp8_sdwa v[12:13], v2 src0_sel:WORD_1
	v_mfma_f32_16x16x16_f16 v[6:9], v[20:21], v[30:31], v[6:9]
	v_cvt_pk_f32_fp8_sdwa v[20:21], v3 src0_sel:WORD_1
	v_cvt_pkrtz_f16_f32 v2, v10, v11
	v_cvt_pkrtz_f16_f32 v3, v12, v13
	ds_read_b128 v[10:13], v14 offset:6144
	v_cvt_pkrtz_f16_f32 v22, v16, v17
	v_cvt_pkrtz_f16_f32 v23, v20, v21
	v_cvt_pk_f32_fp8_e32 v[20:21], v4
	s_waitcnt lgkmcnt(0)
	v_mfma_f32_16x16x16_f16 v[6:9], v[2:3], v[10:11], v[6:9]
	ds_read_b128 v[14:17], v14 offset:6160
	v_cvt_pkrtz_f16_f32 v2, v20, v21
	v_cvt_pkrtz_f16_f32 v3, v24, v25
	v_cvt_pk_f32_fp8_e32 v[10:11], v5
	v_mfma_f32_16x16x16_f16 v[6:9], v[22:23], v[12:13], v[6:9]
	v_cvt_pk_f32_fp8_sdwa v[12:13], v5 src0_sel:WORD_1
	s_waitcnt lgkmcnt(0)
	v_cvt_pkrtz_f16_f32 v10, v10, v11
	v_mfma_f32_16x16x16_f16 v[2:5], v[2:3], v[14:15], v[6:9]
	v_cvt_pkrtz_f16_f32 v11, v12, v13
	s_barrier
	s_nop 0
	v_mfma_f32_16x16x16_f16 v[2:5], v[10:11], v[16:17], v[2:5]
	s_nop 6
	v_pk_mul_f32 v[4:5], v[4:5], s[4:5] op_sel_hi:[1,0]
	v_pk_mul_f32 v[2:3], v[2:3], s[4:5] op_sel_hi:[1,0]
	v_cvt_f16_f32_e32 v4, v4
	v_cvt_f16_f32_e32 v2, v2
	;; [unrolled: 1-line block ×4, first 2 shown]
	s_and_b64 s[4:5], vcc, s[30:31]
	v_pack_b32_f16 v2, v2, v3
	v_pack_b32_f16 v3, v4, v5
	ds_write_b64 v18, v[2:3]
	s_waitcnt lgkmcnt(0)
	s_barrier
	s_and_saveexec_b64 s[8:9], s[4:5]
	s_cbranch_execz .LBB782_20
; %bb.18:
	s_load_dwordx2 s[4:5], s[0:1], 0x68
	s_lshl_b32 s0, s6, 6
	s_mul_i32 s1, s7, s2
	s_mul_hi_u32 s7, s1, s0
	s_mul_i32 s6, s1, s0
	v_lshlrev_b32_e32 v0, 10, v0
	s_lshl_b64 s[6:7], s[6:7], 1
	v_and_b32_e32 v0, 0x1800, v0
	v_lshlrev_b32_e32 v2, 5, v42
	v_and_b32_e32 v1, 16, v1
	s_waitcnt lgkmcnt(0)
	s_add_u32 s1, s4, s6
	v_or3_b32 v2, v0, v2, v1
	s_addc_u32 s4, s5, s7
	s_lshl_b32 s2, s28, 6
	ds_read_b128 v[4:7], v2 offset:256
	s_lshl_b64 s[2:3], s[2:3], 1
	ds_read_b128 v[8:11], v2 offset:128
	ds_read_b128 v[12:15], v2
	s_add_u32 s2, s1, s2
	s_addc_u32 s3, s4, s3
	v_add_u32_e32 v3, s48, v42
	v_lshl_add_u64 v[0:1], s[2:3], 0, v[26:27]
	v_mad_u64_u32 v[16:17], s[2:3], v3, s0, 0
	v_lshl_add_u64 v[16:17], v[16:17], 1, v[0:1]
	s_waitcnt lgkmcnt(0)
	global_store_dwordx4 v[16:17], v[12:15], off
	v_cmp_ne_u32_e32 vcc, 3, v42
	s_nop 0
	v_add_u32_e32 v12, 4, v3
	v_mad_u64_u32 v[12:13], s[2:3], v12, s0, 0
	v_lshl_add_u64 v[12:13], v[12:13], 1, v[0:1]
	v_add_u32_e32 v3, 8, v3
	global_store_dwordx4 v[12:13], v[8:11], off
	s_nop 1
	v_mad_u64_u32 v[8:9], s[2:3], v3, s0, 0
	v_lshl_add_u64 v[8:9], v[8:9], 1, v[0:1]
	global_store_dwordx4 v[8:9], v[4:7], off
	s_and_b64 exec, exec, vcc
	s_cbranch_execz .LBB782_20
; %bb.19:
	ds_read_b128 v[2:5], v2 offset:384
	v_add3_u32 v6, s48, v42, 12
	v_mad_u64_u32 v[6:7], s[0:1], v6, s0, 0
	v_lshl_add_u64 v[0:1], v[6:7], 1, v[0:1]
	s_waitcnt lgkmcnt(0)
	global_store_dwordx4 v[0:1], v[2:5], off
.LBB782_20:
	s_endpgm
	.section	.rodata,"a",@progbits
	.p2align	6, 0x0
	.amdhsa_kernel _Z39paged_attention_ll4mi_QKV_mfma16_kernelIDF16_hLN4vllm18Fp8KVCacheDataTypeE1EhLi16ELi64ELi256ELb1ELi15EEvPKT_PKT0_S7_ifPKiS9_S9_iPKfiiiPfSC_PS2_PT2_iSB_SB_
		.amdhsa_group_segment_fixed_size 8192
		.amdhsa_private_segment_fixed_size 0
		.amdhsa_kernarg_size 400
		.amdhsa_user_sgpr_count 2
		.amdhsa_user_sgpr_dispatch_ptr 0
		.amdhsa_user_sgpr_queue_ptr 0
		.amdhsa_user_sgpr_kernarg_segment_ptr 1
		.amdhsa_user_sgpr_dispatch_id 0
		.amdhsa_user_sgpr_kernarg_preload_length 0
		.amdhsa_user_sgpr_kernarg_preload_offset 0
		.amdhsa_user_sgpr_private_segment_size 0
		.amdhsa_uses_dynamic_stack 0
		.amdhsa_enable_private_segment 0
		.amdhsa_system_sgpr_workgroup_id_x 1
		.amdhsa_system_sgpr_workgroup_id_y 1
		.amdhsa_system_sgpr_workgroup_id_z 1
		.amdhsa_system_sgpr_workgroup_info 0
		.amdhsa_system_vgpr_workitem_id 0
		.amdhsa_next_free_vgpr 67
		.amdhsa_next_free_sgpr 50
		.amdhsa_accum_offset 68
		.amdhsa_reserve_vcc 1
		.amdhsa_float_round_mode_32 0
		.amdhsa_float_round_mode_16_64 0
		.amdhsa_float_denorm_mode_32 3
		.amdhsa_float_denorm_mode_16_64 3
		.amdhsa_dx10_clamp 1
		.amdhsa_ieee_mode 1
		.amdhsa_fp16_overflow 0
		.amdhsa_tg_split 0
		.amdhsa_exception_fp_ieee_invalid_op 0
		.amdhsa_exception_fp_denorm_src 0
		.amdhsa_exception_fp_ieee_div_zero 0
		.amdhsa_exception_fp_ieee_overflow 0
		.amdhsa_exception_fp_ieee_underflow 0
		.amdhsa_exception_fp_ieee_inexact 0
		.amdhsa_exception_int_div_zero 0
	.end_amdhsa_kernel
	.section	.text._Z39paged_attention_ll4mi_QKV_mfma16_kernelIDF16_hLN4vllm18Fp8KVCacheDataTypeE1EhLi16ELi64ELi256ELb1ELi15EEvPKT_PKT0_S7_ifPKiS9_S9_iPKfiiiPfSC_PS2_PT2_iSB_SB_,"axG",@progbits,_Z39paged_attention_ll4mi_QKV_mfma16_kernelIDF16_hLN4vllm18Fp8KVCacheDataTypeE1EhLi16ELi64ELi256ELb1ELi15EEvPKT_PKT0_S7_ifPKiS9_S9_iPKfiiiPfSC_PS2_PT2_iSB_SB_,comdat
.Lfunc_end782:
	.size	_Z39paged_attention_ll4mi_QKV_mfma16_kernelIDF16_hLN4vllm18Fp8KVCacheDataTypeE1EhLi16ELi64ELi256ELb1ELi15EEvPKT_PKT0_S7_ifPKiS9_S9_iPKfiiiPfSC_PS2_PT2_iSB_SB_, .Lfunc_end782-_Z39paged_attention_ll4mi_QKV_mfma16_kernelIDF16_hLN4vllm18Fp8KVCacheDataTypeE1EhLi16ELi64ELi256ELb1ELi15EEvPKT_PKT0_S7_ifPKiS9_S9_iPKfiiiPfSC_PS2_PT2_iSB_SB_
                                        ; -- End function
	.section	.AMDGPU.csdata,"",@progbits
; Kernel info:
; codeLenInByte = 4904
; NumSgprs: 56
; NumVgprs: 67
; NumAgprs: 0
; TotalNumVgprs: 67
; ScratchSize: 0
; MemoryBound: 0
; FloatMode: 240
; IeeeMode: 1
; LDSByteSize: 8192 bytes/workgroup (compile time only)
; SGPRBlocks: 6
; VGPRBlocks: 8
; NumSGPRsForWavesPerEU: 56
; NumVGPRsForWavesPerEU: 67
; AccumOffset: 68
; Occupancy: 7
; WaveLimiterHint : 1
; COMPUTE_PGM_RSRC2:SCRATCH_EN: 0
; COMPUTE_PGM_RSRC2:USER_SGPR: 2
; COMPUTE_PGM_RSRC2:TRAP_HANDLER: 0
; COMPUTE_PGM_RSRC2:TGID_X_EN: 1
; COMPUTE_PGM_RSRC2:TGID_Y_EN: 1
; COMPUTE_PGM_RSRC2:TGID_Z_EN: 1
; COMPUTE_PGM_RSRC2:TIDIG_COMP_CNT: 0
; COMPUTE_PGM_RSRC3_GFX90A:ACCUM_OFFSET: 16
; COMPUTE_PGM_RSRC3_GFX90A:TG_SPLIT: 0
	.section	.text._Z39paged_attention_ll4mi_QKV_mfma16_kernelIDF16_hLN4vllm18Fp8KVCacheDataTypeE1EhLi16ELi64ELi256ELb1ELi16EEvPKT_PKT0_S7_ifPKiS9_S9_iPKfiiiPfSC_PS2_PT2_iSB_SB_,"axG",@progbits,_Z39paged_attention_ll4mi_QKV_mfma16_kernelIDF16_hLN4vllm18Fp8KVCacheDataTypeE1EhLi16ELi64ELi256ELb1ELi16EEvPKT_PKT0_S7_ifPKiS9_S9_iPKfiiiPfSC_PS2_PT2_iSB_SB_,comdat
	.protected	_Z39paged_attention_ll4mi_QKV_mfma16_kernelIDF16_hLN4vllm18Fp8KVCacheDataTypeE1EhLi16ELi64ELi256ELb1ELi16EEvPKT_PKT0_S7_ifPKiS9_S9_iPKfiiiPfSC_PS2_PT2_iSB_SB_ ; -- Begin function _Z39paged_attention_ll4mi_QKV_mfma16_kernelIDF16_hLN4vllm18Fp8KVCacheDataTypeE1EhLi16ELi64ELi256ELb1ELi16EEvPKT_PKT0_S7_ifPKiS9_S9_iPKfiiiPfSC_PS2_PT2_iSB_SB_
	.globl	_Z39paged_attention_ll4mi_QKV_mfma16_kernelIDF16_hLN4vllm18Fp8KVCacheDataTypeE1EhLi16ELi64ELi256ELb1ELi16EEvPKT_PKT0_S7_ifPKiS9_S9_iPKfiiiPfSC_PS2_PT2_iSB_SB_
	.p2align	8
	.type	_Z39paged_attention_ll4mi_QKV_mfma16_kernelIDF16_hLN4vllm18Fp8KVCacheDataTypeE1EhLi16ELi64ELi256ELb1ELi16EEvPKT_PKT0_S7_ifPKiS9_S9_iPKfiiiPfSC_PS2_PT2_iSB_SB_,@function
_Z39paged_attention_ll4mi_QKV_mfma16_kernelIDF16_hLN4vllm18Fp8KVCacheDataTypeE1EhLi16ELi64ELi256ELb1ELi16EEvPKT_PKT0_S7_ifPKiS9_S9_iPKfiiiPfSC_PS2_PT2_iSB_SB_: ; @_Z39paged_attention_ll4mi_QKV_mfma16_kernelIDF16_hLN4vllm18Fp8KVCacheDataTypeE1EhLi16ELi64ELi256ELb1ELi16EEvPKT_PKT0_S7_ifPKiS9_S9_iPKfiiiPfSC_PS2_PT2_iSB_SB_
; %bb.0:
	s_load_dwordx2 s[14:15], s[0:1], 0x30
	s_mov_b32 s24, s3
	s_mov_b64 s[6:7], 0
	s_waitcnt lgkmcnt(0)
	s_cmp_lg_u64 s[14:15], 0
	s_cselect_b64 s[16:17], -1, 0
	s_and_b64 vcc, exec, s[16:17]
	s_cbranch_vccz .LBB783_7
; %bb.1:
	s_add_i32 s8, s2, 1
	s_mov_b32 s9, 0
	s_lshl_b64 s[10:11], s[8:9], 2
	s_add_u32 s10, s14, s10
	s_mov_b32 s3, s9
	s_addc_u32 s11, s15, s11
	s_lshl_b64 s[8:9], s[2:3], 2
	s_add_u32 s8, s14, s8
	s_addc_u32 s9, s15, s9
	s_load_dword s5, s[10:11], 0x0
	s_load_dword s12, s[8:9], 0x0
	s_waitcnt lgkmcnt(0)
	s_sub_i32 s5, s5, s12
	s_cmp_eq_u32 s5, 1
	s_cselect_b64 s[8:9], -1, 0
	s_andn2_b64 vcc, exec, s[6:7]
	s_cbranch_vccnz .LBB783_3
.LBB783_2:
	s_mov_b32 s3, 0
	s_mov_b64 s[8:9], -1
.LBB783_3:
	s_andn2_b64 vcc, exec, s[8:9]
	s_cbranch_vccnz .LBB783_17
; %bb.4:
	s_load_dwordx2 s[6:7], s[0:1], 0x28
	s_lshl_b64 s[18:19], s[2:3], 2
	s_waitcnt lgkmcnt(0)
	s_add_u32 s6, s6, s18
	s_addc_u32 s7, s7, s19
	s_load_dword s48, s[6:7], 0x0
	s_lshl_b32 s5, s24, 8
	s_waitcnt lgkmcnt(0)
	s_cmp_ge_i32 s5, s48
	s_cbranch_scc1 .LBB783_17
; %bb.5:
	s_load_dwordx2 s[6:7], s[0:1], 0x20
	s_load_dword s8, s[0:1], 0x38
	s_add_i32 s9, s48, 15
	s_ashr_i32 s10, s9, 31
	v_and_b32_e32 v1, 0xcf, v0
	s_lshr_b32 s10, s10, 28
	v_add_u32_e32 v1, s5, v1
	s_add_i32 s9, s9, s10
	v_ashrrev_i32_e32 v2, 31, v1
	s_ashr_i32 s20, s9, 4
	v_lshrrev_b32_e32 v4, 28, v2
	s_add_i32 s20, s20, -1
	s_waitcnt lgkmcnt(0)
	s_mul_i32 s8, s2, s8
	s_mov_b32 s9, 0
	v_add_u32_e32 v2, v1, v4
	s_lshl_b64 s[8:9], s[8:9], 2
	v_ashrrev_i32_e32 v2, 4, v2
	v_mov_b32_e32 v5, s20
	v_cmp_gt_i32_e32 vcc, s48, v1
	s_add_u32 s6, s6, s8
	s_addc_u32 s7, s7, s9
	v_cndmask_b32_e32 v2, v5, v2, vcc
	v_ashrrev_i32_e32 v3, 31, v2
	v_lshl_add_u64 v[6:7], v[2:3], 2, s[6:7]
	v_or_b32_e32 v2, 16, v1
	v_add_u32_e32 v3, v2, v4
	v_ashrrev_i32_e32 v3, 4, v3
	v_cmp_gt_i32_e32 vcc, s48, v2
	s_nop 1
	v_cndmask_b32_e32 v2, v5, v3, vcc
	v_ashrrev_i32_e32 v3, 31, v2
	v_lshl_add_u64 v[8:9], v[2:3], 2, s[6:7]
	v_or_b32_e32 v2, 32, v1
	v_add_u32_e32 v3, v2, v4
	v_ashrrev_i32_e32 v3, 4, v3
	v_cmp_gt_i32_e32 vcc, s48, v2
	v_or_b32_e32 v1, 48, v1
	s_nop 0
	v_cndmask_b32_e32 v2, v5, v3, vcc
	v_ashrrev_i32_e32 v3, 31, v2
	v_lshl_add_u64 v[10:11], v[2:3], 2, s[6:7]
	v_add_u32_e32 v2, v1, v4
	v_ashrrev_i32_e32 v2, 4, v2
	v_cmp_gt_i32_e32 vcc, s48, v1
	s_nop 1
	v_cndmask_b32_e32 v2, v5, v2, vcc
	v_ashrrev_i32_e32 v3, 31, v2
	v_lshl_add_u64 v[12:13], v[2:3], 2, s[6:7]
	global_load_dword v4, v[6:7], off
	global_load_dword v3, v[8:9], off
	;; [unrolled: 1-line block ×4, first 2 shown]
	s_load_dwordx2 s[12:13], s[0:1], 0x40
	s_load_dwordx4 s[8:11], s[0:1], 0x8
	s_andn2_b64 vcc, exec, s[16:17]
	s_cbranch_vccnz .LBB783_8
; %bb.6:
	s_add_u32 s14, s14, s18
	s_addc_u32 s15, s15, s19
	s_load_dword s16, s[14:15], 0x0
	s_branch .LBB783_9
.LBB783_7:
	s_mov_b64 s[8:9], 0
	s_branch .LBB783_2
.LBB783_8:
	s_mov_b32 s16, s2
.LBB783_9:
	s_load_dwordx4 s[44:47], s[0:1], 0x48
	v_and_b32_e32 v45, 15, v0
	s_movk_i32 s14, 0x100
	v_lshlrev_b32_e32 v5, 3, v45
	v_cmp_gt_u32_e32 vcc, s14, v0
	v_cmp_gt_u32_e64 s[26:27], 8, v45
	v_lshrrev_b32_e32 v43, 6, v0
	v_and_b32_e32 v44, 63, v0
	v_bfe_u32 v1, v0, 4, 2
	s_lshl_b32 s25, s4, 4
	s_and_b64 s[18:19], vcc, s[26:27]
	v_lshlrev_b32_e32 v26, 1, v5
	v_lshlrev_b32_e32 v42, 4, v0
	s_and_saveexec_b64 s[14:15], s[18:19]
	s_cbranch_execz .LBB783_11
; %bb.10:
	s_load_dwordx2 s[18:19], s[0:1], 0x0
	s_waitcnt lgkmcnt(0)
	s_ashr_i32 s17, s44, 31
	s_mul_hi_u32 s21, s16, s44
	s_mul_i32 s17, s16, s17
	s_add_i32 s17, s21, s17
	s_mul_i32 s16, s16, s44
	v_lshl_or_b32 v5, v43, 2, v1
	s_lshl_b64 s[16:17], s[16:17], 1
	s_add_u32 s16, s18, s16
	v_add_lshl_u32 v6, v5, s25, 6
	s_addc_u32 s17, s19, s17
	v_ashrrev_i32_e32 v7, 31, v6
	v_lshl_add_u64 v[6:7], v[6:7], 1, s[16:17]
	v_mov_b32_e32 v27, 0
	v_lshl_add_u64 v[6:7], v[6:7], 0, v[26:27]
	global_load_dwordx4 v[6:9], v[6:7], off
	v_lshlrev_b32_e32 v11, 8, v45
	v_lshlrev_b32_e32 v5, 5, v5
	v_and_b32_e32 v10, 16, v42
	v_and_b32_e32 v11, 0xe00, v11
	v_or3_b32 v5, v11, v5, v10
	s_waitcnt vmcnt(0)
	ds_write_b128 v5, v[6:9]
.LBB783_11:
	s_or_b64 exec, exec, s[14:15]
	s_waitcnt lgkmcnt(0)
	s_mul_i32 s4, s4, s46
	s_add_u32 s8, s8, s4
	s_addc_u32 s9, s9, 0
	v_and_b32_e32 v8, 48, v0
	v_and_b32_e32 v30, 0xf0, v42
	v_mov_b32_e32 v31, 0
	v_lshl_add_u64 v[6:7], s[8:9], 0, v[30:31]
	v_lshlrev_b32_e32 v30, 4, v8
	v_or_b32_e32 v17, s5, v8
	v_lshl_add_u64 v[14:15], v[6:7], 0, v[30:31]
	v_ashrrev_i32_e32 v6, 4, v17
	v_mov_b32_e32 v30, s20
	v_cmp_gt_i32_e32 vcc, s48, v17
	s_load_dword s33, s[0:1], 0x98
	s_load_dwordx4 s[40:43], s[0:1], 0x80
	v_cndmask_b32_e32 v6, v30, v6, vcc
	v_ashrrev_i32_e32 v7, 31, v6
	v_lshl_add_u64 v[6:7], v[6:7], 2, s[6:7]
	s_waitcnt lgkmcnt(0)
	s_barrier
	s_waitcnt vmcnt(3)
	v_mad_i64_i32 v[4:5], s[8:9], v4, s45, v[14:15]
	global_load_dword v38, v[6:7], off
	global_load_dwordx4 v[22:25], v[4:5], off
	s_waitcnt vmcnt(4)
	v_mad_i64_i32 v[4:5], s[8:9], v3, s45, v[14:15]
	global_load_dwordx4 v[18:21], v[4:5], off
	s_waitcnt vmcnt(4)
	v_mad_i64_i32 v[2:3], s[8:9], v2, s45, v[14:15]
	global_load_dwordx4 v[10:13], v[2:3], off
	v_or_b32_e32 v28, s25, v45
	v_ashrrev_i32_e32 v29, 31, v28
	v_lshlrev_b32_e32 v46, 5, v45
	v_lshl_add_u64 v[32:33], v[28:29], 2, s[12:13]
	v_or_b32_e32 v29, 64, v17
	v_lshl_or_b32 v27, v1, 9, v46
	v_or_b32_e32 v34, 0x80, v17
	v_or_b32_e32 v36, 0xc0, v17
	v_ashrrev_i32_e32 v17, 4, v29
	v_cmp_gt_i32_e32 vcc, s48, v29
	s_waitcnt vmcnt(4)
	v_mad_i64_i32 v[14:15], s[12:13], v16, s45, v[14:15]
	ds_read_b128 v[6:9], v27
	ds_read_b128 v[2:5], v27 offset:16
	global_load_dword v49, v[32:33], off
	v_cndmask_b32_e32 v32, v30, v17, vcc
	global_load_dwordx4 v[14:17], v[14:15], off
	v_ashrrev_i32_e32 v33, 4, v34
	v_cmp_gt_i32_e32 vcc, s48, v34
	v_ashrrev_i32_e32 v37, 4, v36
	v_lshlrev_b32_e32 v35, 4, v45
	v_cndmask_b32_e32 v34, v30, v33, vcc
	v_cmp_gt_i32_e32 vcc, s48, v36
	v_ashrrev_i32_e32 v33, 31, v32
	v_lshl_add_u64 v[32:33], v[32:33], 2, s[6:7]
	v_cndmask_b32_e32 v36, v30, v37, vcc
	v_lshl_or_b32 v30, v43, 8, v35
	v_ashrrev_i32_e32 v35, 31, v34
	v_ashrrev_i32_e32 v37, 31, v36
	v_lshl_add_u64 v[34:35], v[34:35], 2, s[6:7]
	v_lshl_add_u64 v[36:37], v[36:37], 2, s[6:7]
	s_add_u32 s8, s10, s4
	s_load_dword s4, s[40:41], 0x0
	global_load_dword v48, v[32:33], off
	global_load_dword v29, v[34:35], off
	global_load_dword v47, v[36:37], off
	s_addc_u32 s9, s11, 0
	v_lshl_add_u64 v[30:31], s[8:9], 0, v[30:31]
	s_load_dword s14, s[0:1], 0x1c
	s_mov_b32 s44, 0xff7fffff
	s_waitcnt vmcnt(8)
	v_mad_i64_i32 v[32:33], s[6:7], v38, s45, v[30:31]
	s_waitcnt vmcnt(7)
	v_cvt_pk_f32_fp8_e32 v[34:35], v22
	v_cvt_pk_f32_fp8_sdwa v[36:37], v22 src0_sel:WORD_1
	v_cvt_pk_f32_fp8_e32 v[38:39], v23
	v_cvt_pk_f32_fp8_sdwa v[40:41], v23 src0_sel:WORD_1
	v_cvt_pkrtz_f16_f32 v34, v34, v35
	v_cvt_pkrtz_f16_f32 v35, v36, v37
	s_waitcnt vmcnt(6)
	v_cvt_pk_f32_fp8_e32 v[22:23], v18
	v_cvt_pk_f32_fp8_sdwa v[56:57], v18 src0_sel:WORD_1
	v_cvt_pkrtz_f16_f32 v38, v38, v39
	v_cvt_pkrtz_f16_f32 v39, v40, v41
	v_cvt_pk_f32_fp8_e32 v[50:51], v24
	v_cvt_pk_f32_fp8_sdwa v[52:53], v24 src0_sel:WORD_1
	v_cvt_pk_f32_fp8_e32 v[54:55], v25
	v_cvt_pk_f32_fp8_sdwa v[58:59], v25 src0_sel:WORD_1
	v_cvt_pkrtz_f16_f32 v36, v22, v23
	s_waitcnt lgkmcnt(0)
	v_mfma_f32_16x16x16_f16 v[22:25], v[34:35], v[6:7], 0
	v_cvt_pk_f32_fp8_e32 v[60:61], v19
	v_cvt_pkrtz_f16_f32 v37, v56, v57
	v_cvt_pk_f32_fp8_sdwa v[18:19], v19 src0_sel:WORD_1
	v_mfma_f32_16x16x16_f16 v[22:25], v[38:39], v[8:9], v[22:25]
	v_cvt_pkrtz_f16_f32 v38, v50, v51
	v_cvt_pkrtz_f16_f32 v39, v52, v53
	v_cvt_pk_f32_fp8_e32 v[40:41], v20
	v_cvt_pkrtz_f16_f32 v56, v60, v61
	v_cvt_pkrtz_f16_f32 v57, v18, v19
	v_cvt_pk_f32_fp8_sdwa v[18:19], v20 src0_sel:WORD_1
	v_mfma_f32_16x16x16_f16 v[34:37], v[36:37], v[6:7], 0
	v_cvt_pk_f32_fp8_e32 v[50:51], v21
	v_cvt_pkrtz_f16_f32 v52, v54, v55
	v_cvt_pkrtz_f16_f32 v53, v58, v59
	v_mfma_f32_16x16x16_f16 v[22:25], v[38:39], v[2:3], v[22:25]
	v_cvt_pk_f32_fp8_sdwa v[38:39], v21 src0_sel:WORD_1
	v_cvt_pkrtz_f16_f32 v40, v40, v41
	v_cvt_pkrtz_f16_f32 v41, v18, v19
	v_mfma_f32_16x16x16_f16 v[34:37], v[56:57], v[8:9], v[34:37]
	v_cvt_pkrtz_f16_f32 v50, v50, v51
	v_cvt_pkrtz_f16_f32 v51, v38, v39
	s_waitcnt vmcnt(5)
	v_cvt_pk_f32_fp8_e32 v[38:39], v10
	v_mfma_f32_16x16x16_f16 v[18:21], v[52:53], v[4:5], v[22:25]
	v_cvt_pk_f32_fp8_sdwa v[54:55], v13 src0_sel:WORD_1
	v_mov_b32_e32 v52, s14
	v_mul_f32_e32 v52, s4, v52
	v_mfma_f32_16x16x16_f16 v[22:25], v[40:41], v[2:3], v[34:37]
	v_cvt_pk_f32_fp8_sdwa v[40:41], v10 src0_sel:WORD_1
	v_mfma_f32_16x16x16_f16 v[34:37], v[50:51], v[4:5], v[22:25]
	v_cvt_pk_f32_fp8_sdwa v[50:51], v12 src0_sel:WORD_1
	s_nop 3
	v_cvt_pk_f32_fp8_e32 v[22:23], v11
	v_cvt_pkrtz_f16_f32 v24, v38, v39
	v_cvt_pkrtz_f16_f32 v25, v40, v41
	v_cvt_pk_f32_fp8_sdwa v[10:11], v11 src0_sel:WORD_1
	v_cvt_pkrtz_f16_f32 v38, v22, v23
	v_cvt_pk_f32_fp8_e32 v[40:41], v12
	v_mfma_f32_16x16x16_f16 v[22:25], v[24:25], v[6:7], 0
	v_cvt_pkrtz_f16_f32 v39, v10, v11
	v_cvt_pkrtz_f16_f32 v40, v40, v41
	;; [unrolled: 1-line block ×3, first 2 shown]
	v_cvt_pk_f32_fp8_e32 v[50:51], v13
	v_mfma_f32_16x16x16_f16 v[10:13], v[38:39], v[8:9], v[22:25]
	v_pk_mul_f32 v[38:39], v[52:53], v[18:19] op_sel_hi:[0,1]
	s_waitcnt vmcnt(3)
	v_cvt_pk_f32_fp8_e32 v[18:19], v14
	v_pk_mul_f32 v[24:25], v[52:53], v[20:21] op_sel_hi:[0,1]
	v_cvt_pkrtz_f16_f32 v20, v50, v51
	v_cvt_pkrtz_f16_f32 v21, v54, v55
	v_mfma_f32_16x16x16_f16 v[10:13], v[40:41], v[2:3], v[10:13]
	v_cvt_pk_f32_fp8_sdwa v[22:23], v14 src0_sel:WORD_1
	v_cvt_pkrtz_f16_f32 v18, v18, v19
	v_cvt_pk_f32_fp8_e32 v[40:41], v16
	v_mfma_f32_16x16x16_f16 v[10:13], v[20:21], v[4:5], v[10:13]
	v_cvt_pk_f32_fp8_e32 v[20:21], v15
	v_cvt_pkrtz_f16_f32 v19, v22, v23
	v_cvt_pk_f32_fp8_sdwa v[14:15], v15 src0_sel:WORD_1
	v_cvt_pk_f32_fp8_sdwa v[50:51], v16 src0_sel:WORD_1
	v_cvt_pkrtz_f16_f32 v22, v20, v21
	v_mfma_f32_16x16x16_f16 v[18:21], v[18:19], v[6:7], 0
	v_cvt_pkrtz_f16_f32 v23, v14, v15
	v_cvt_pkrtz_f16_f32 v14, v40, v41
	;; [unrolled: 1-line block ×3, first 2 shown]
	v_cvt_pk_f32_fp8_e32 v[40:41], v17
	v_cvt_pk_f32_fp8_sdwa v[16:17], v17 src0_sel:WORD_1
	v_mfma_f32_16x16x16_f16 v[6:9], v[22:23], v[8:9], v[18:21]
	v_pk_mul_f32 v[36:37], v[52:53], v[36:37] op_sel_hi:[0,1]
	v_pk_mul_f32 v[22:23], v[52:53], v[12:13] op_sel_hi:[0,1]
	s_nop 0
	v_cvt_pkrtz_f16_f32 v18, v40, v41
	v_cvt_pkrtz_f16_f32 v19, v16, v17
	v_mfma_f32_16x16x16_f16 v[6:9], v[14:15], v[2:3], v[6:9]
	v_pk_mul_f32 v[40:41], v[52:53], v[34:35] op_sel_hi:[0,1]
	v_pk_mul_f32 v[34:35], v[52:53], v[10:11] op_sel_hi:[0,1]
	v_mfma_f32_16x16x16_f16 v[2:5], v[18:19], v[4:5], v[6:9]
	s_nop 6
	v_pk_mul_f32 v[20:21], v[52:53], v[2:3] op_sel_hi:[0,1]
	v_and_b32_e32 v2, 0xc0, v0
	v_add_u32_e32 v2, s5, v2
	v_lshl_or_b32 v2, v1, 2, v2
	v_or_b32_e32 v3, 1, v2
	v_pk_mul_f32 v[18:19], v[52:53], v[4:5] op_sel_hi:[0,1]
	v_subrev_u32_e32 v4, s48, v3
	v_add_u32_e32 v6, 1, v4
	v_add_u32_e32 v7, 2, v4
	v_cvt_f32_i32_e32 v5, v4
	v_cvt_f32_i32_e32 v6, v6
	;; [unrolled: 1-line block ×3, first 2 shown]
	v_add_u32_e32 v8, 3, v4
	v_fma_f32 v9, v49, v5, v38
	v_fmac_f32_e32 v39, v49, v6
	v_fma_f32 v24, v49, v7, v24
	v_add_u32_e32 v5, 16, v4
	v_add_u32_e32 v6, 17, v4
	v_add_u32_e32 v7, 18, v4
	v_cvt_f32_i32_e32 v8, v8
	v_cvt_f32_i32_e32 v5, v5
	;; [unrolled: 1-line block ×4, first 2 shown]
	v_fmac_f32_e32 v25, v49, v8
	v_add_u32_e32 v8, 19, v4
	v_fma_f32 v40, v49, v5, v40
	v_fmac_f32_e32 v41, v49, v6
	v_fma_f32 v36, v49, v7, v36
	v_add_u32_e32 v5, 32, v4
	v_add_u32_e32 v6, 33, v4
	;; [unrolled: 1-line block ×3, first 2 shown]
	v_cvt_f32_i32_e32 v8, v8
	v_cvt_f32_i32_e32 v5, v5
	v_cvt_f32_i32_e32 v6, v6
	v_cvt_f32_i32_e32 v7, v7
	v_fmac_f32_e32 v37, v49, v8
	v_add_u32_e32 v8, 35, v4
	v_fma_f32 v34, v49, v5, v34
	v_fmac_f32_e32 v35, v49, v6
	v_fma_f32 v22, v49, v7, v22
	v_add_u32_e32 v5, 48, v4
	v_add_u32_e32 v6, 49, v4
	;; [unrolled: 1-line block ×4, first 2 shown]
	v_cvt_f32_i32_e32 v4, v4
	v_cvt_f32_i32_e32 v5, v5
	v_cvt_f32_i32_e32 v6, v6
	v_cmp_gt_i32_e64 s[4:5], s48, v2
	v_fmac_f32_e32 v19, v49, v4
	v_mov_b32_e32 v4, 0xff7fffff
	v_cmp_gt_i32_e64 s[28:29], s48, v3
	v_fma_f32 v20, v49, v5, v20
	v_cndmask_b32_e64 v5, v4, v9, s[4:5]
	v_cndmask_b32_e64 v3, v4, v39, s[28:29]
	v_fmac_f32_e32 v21, v49, v6
	v_max3_f32 v3, v5, s44, v3
	v_or_b32_e32 v5, 2, v2
	v_or_b32_e32 v6, 3, v2
	v_cmp_gt_i32_e64 s[30:31], s48, v5
	v_cmp_gt_i32_e64 s[34:35], s48, v6
	v_cvt_f32_i32_e32 v8, v8
	v_cndmask_b32_e64 v5, v4, v24, s[30:31]
	v_cndmask_b32_e64 v6, v4, v25, s[34:35]
	v_max3_f32 v3, v3, v5, v6
	v_or_b32_e32 v5, 16, v2
	v_or_b32_e32 v6, 17, v2
	v_cmp_gt_i32_e64 s[36:37], s48, v5
	v_cmp_gt_i32_e64 s[38:39], s48, v6
	v_fmac_f32_e32 v23, v49, v8
	v_cndmask_b32_e64 v5, v4, v40, s[36:37]
	v_cndmask_b32_e64 v6, v4, v41, s[38:39]
	v_max3_f32 v3, v3, v5, v6
	v_or_b32_e32 v5, 18, v2
	v_or_b32_e32 v6, 19, v2
	v_cmp_gt_i32_e64 s[20:21], s48, v5
	v_cmp_gt_i32_e64 s[22:23], s48, v6
	v_cvt_f32_i32_e32 v7, v7
	v_cndmask_b32_e64 v5, v4, v36, s[20:21]
	v_cndmask_b32_e64 v6, v4, v37, s[22:23]
	v_max3_f32 v3, v3, v5, v6
	v_or_b32_e32 v5, 32, v2
	v_or_b32_e32 v6, 33, v2
	v_cmp_gt_i32_e64 s[16:17], s48, v5
	v_cmp_gt_i32_e64 s[18:19], s48, v6
	v_fma_f32 v18, v49, v7, v18
	v_cndmask_b32_e64 v5, v4, v34, s[16:17]
	v_cndmask_b32_e64 v6, v4, v35, s[18:19]
	v_max3_f32 v3, v3, v5, v6
	v_or_b32_e32 v5, 34, v2
	v_or_b32_e32 v6, 35, v2
	v_cmp_gt_i32_e64 s[12:13], s48, v5
	v_cmp_gt_i32_e64 s[14:15], s48, v6
	s_nop 0
	v_cndmask_b32_e64 v5, v4, v22, s[12:13]
	v_cndmask_b32_e64 v6, v4, v23, s[14:15]
	v_max3_f32 v3, v3, v5, v6
	v_or_b32_e32 v5, 48, v2
	v_or_b32_e32 v6, 49, v2
	v_cmp_gt_i32_e64 s[8:9], s48, v5
	v_cmp_gt_i32_e64 s[10:11], s48, v6
	s_nop 0
	v_cndmask_b32_e64 v5, v4, v20, s[8:9]
	v_cndmask_b32_e64 v6, v4, v21, s[10:11]
	v_max3_f32 v3, v3, v5, v6
	v_or_b32_e32 v5, 50, v2
	v_or_b32_e32 v2, 51, v2
	v_cmp_gt_i32_e32 vcc, s48, v5
	v_cmp_gt_i32_e64 s[6:7], s48, v2
	s_nop 0
	v_cndmask_b32_e32 v5, v4, v18, vcc
	v_cndmask_b32_e64 v2, v4, v19, s[6:7]
	v_max3_f32 v4, v3, v5, v2
	v_mbcnt_lo_u32_b32 v2, -1, 0
	v_mbcnt_hi_u32_b32 v5, -1, v2
	v_and_b32_e32 v2, 64, v5
	v_add_u32_e32 v6, 64, v2
	v_xor_b32_e32 v2, 32, v5
	v_cmp_lt_i32_e64 s[40:41], v2, v6
	s_nop 1
	v_cndmask_b32_e64 v2, v5, v2, s[40:41]
	v_lshlrev_b32_e32 v49, 2, v2
	ds_bpermute_b32 v7, v49, v4
	s_waitcnt vmcnt(2)
	v_mad_i64_i32 v[2:3], s[40:41], v48, s45, v[30:31]
	global_load_dwordx4 v[14:17], v[32:33], off
	global_load_dwordx4 v[10:13], v[2:3], off
	s_waitcnt lgkmcnt(0)
	v_max_f32_e32 v2, v7, v7
	v_max_f32_e32 v7, v4, v2
	v_xor_b32_e32 v2, 16, v5
	v_cmp_lt_i32_e64 s[40:41], v2, v6
	s_nop 1
	v_cndmask_b32_e64 v2, v5, v2, s[40:41]
	v_lshlrev_b32_e32 v48, 2, v2
	ds_bpermute_b32 v6, v48, v7
	s_waitcnt vmcnt(3)
	v_mad_i64_i32 v[2:3], s[40:41], v29, s45, v[30:31]
	s_waitcnt vmcnt(2)
	v_mad_i64_i32 v[4:5], s[40:41], v47, s45, v[30:31]
	s_waitcnt lgkmcnt(0)
	v_max_f32_e32 v6, v6, v6
	v_max_f32_e32 v29, v7, v6
	v_sub_f32_e32 v6, v9, v29
	v_mul_f32_e32 v6, 0x3fb8aa3b, v6
	v_exp_f32_e32 v30, v6
	v_sub_f32_e32 v6, v39, v29
	v_mul_f32_e32 v6, 0x3fb8aa3b, v6
	v_exp_f32_e32 v31, v6
	global_load_dwordx4 v[6:9], v[2:3], off
	s_nop 0
	global_load_dwordx4 v[2:5], v[4:5], off
	v_sub_f32_e32 v24, v24, v29
	v_mul_f32_e32 v24, 0x3fb8aa3b, v24
	v_sub_f32_e32 v25, v25, v29
	v_exp_f32_e32 v24, v24
	v_mul_f32_e32 v25, 0x3fb8aa3b, v25
	v_exp_f32_e32 v25, v25
	v_cndmask_b32_e64 v30, 0, v30, s[4:5]
	v_add_f32_e32 v32, 0, v30
	v_cndmask_b32_e64 v31, 0, v31, s[28:29]
	v_add_f32_e32 v32, v32, v31
	v_cndmask_b32_e64 v38, 0, v24, s[30:31]
	v_add_f32_e32 v24, v32, v38
	v_cndmask_b32_e64 v39, 0, v25, s[34:35]
	v_sub_f32_e32 v25, v40, v29
	v_sub_f32_e32 v32, v41, v29
	v_mul_f32_e32 v25, 0x3fb8aa3b, v25
	v_mul_f32_e32 v32, 0x3fb8aa3b, v32
	v_exp_f32_e32 v25, v25
	v_exp_f32_e32 v32, v32
	v_add_f32_e32 v33, v24, v39
	v_sub_f32_e32 v22, v22, v29
	v_cndmask_b32_e64 v24, 0, v25, s[36:37]
	v_cndmask_b32_e64 v25, 0, v32, s[38:39]
	v_sub_f32_e32 v32, v36, v29
	v_mul_f32_e32 v32, 0x3fb8aa3b, v32
	v_exp_f32_e32 v32, v32
	v_sub_f32_e32 v36, v37, v29
	v_add_f32_e32 v33, v33, v24
	v_mul_f32_e32 v36, 0x3fb8aa3b, v36
	v_exp_f32_e32 v37, v36
	v_add_f32_e32 v33, v33, v25
	v_cndmask_b32_e64 v36, 0, v32, s[20:21]
	v_add_f32_e32 v32, v33, v36
	v_sub_f32_e32 v33, v34, v29
	v_mul_f32_e32 v33, 0x3fb8aa3b, v33
	v_sub_f32_e32 v34, v35, v29
	v_exp_f32_e32 v33, v33
	v_mul_f32_e32 v34, 0x3fb8aa3b, v34
	v_exp_f32_e32 v34, v34
	v_mul_f32_e32 v22, 0x3fb8aa3b, v22
	v_sub_f32_e32 v23, v23, v29
	v_exp_f32_e32 v22, v22
	v_mul_f32_e32 v23, 0x3fb8aa3b, v23
	v_sub_f32_e32 v20, v20, v29
	v_cndmask_b32_e64 v37, 0, v37, s[22:23]
	v_exp_f32_e32 v23, v23
	v_mul_f32_e32 v20, 0x3fb8aa3b, v20
	v_sub_f32_e32 v21, v21, v29
	v_add_f32_e32 v35, v32, v37
	v_cndmask_b32_e64 v32, 0, v33, s[16:17]
	v_exp_f32_e32 v20, v20
	v_mul_f32_e32 v21, 0x3fb8aa3b, v21
	v_sub_f32_e32 v18, v18, v29
	v_add_f32_e32 v35, v35, v32
	;; [unrolled: 5-line block ×3, first 2 shown]
	v_cndmask_b32_e64 v22, 0, v22, s[12:13]
	v_exp_f32_e32 v18, v18
	v_mul_f32_e32 v19, 0x3fb8aa3b, v19
	v_add_f32_e32 v34, v34, v22
	v_cndmask_b32_e64 v23, 0, v23, s[14:15]
	v_exp_f32_e32 v19, v19
	v_add_f32_e32 v34, v34, v23
	v_cndmask_b32_e64 v20, 0, v20, s[8:9]
	v_add_f32_e32 v34, v34, v20
	v_cndmask_b32_e64 v21, 0, v21, s[10:11]
	v_add_f32_e32 v34, v34, v21
	v_cndmask_b32_e32 v18, 0, v18, vcc
	v_add_f32_e32 v34, v34, v18
	v_cndmask_b32_e64 v19, 0, v19, s[6:7]
	v_add_f32_e32 v34, v34, v19
	ds_bpermute_b32 v35, v49, v34
	v_cmp_gt_u32_e32 vcc, 16, v44
	s_waitcnt lgkmcnt(0)
	s_barrier
	v_add_f32_e32 v34, v34, v35
	ds_bpermute_b32 v40, v48, v34
	v_lshlrev_b32_e32 v35, 2, v45
	s_and_saveexec_b64 s[4:5], vcc
	s_cbranch_execz .LBB783_13
; %bb.12:
	s_waitcnt lgkmcnt(0)
	v_add_f32_e32 v34, v34, v40
	v_lshl_or_b32 v40, v43, 6, v35
	ds_write2st64_b32 v40, v29, v34 offset1:1
.LBB783_13:
	s_or_b64 exec, exec, s[4:5]
	s_load_dword s6, s[0:1], 0x94
	s_waitcnt lgkmcnt(0)
	s_barrier
	ds_read2_b32 v[40:41], v35 offset1:16
	ds_read2_b32 v[44:45], v35 offset0:32 offset1:48
	ds_read2_b32 v[48:49], v35 offset0:64 offset1:80
	s_lshl_b32 s7, s33, 4
	s_waitcnt lgkmcnt(2)
	v_max3_f32 v29, v40, s44, v41
	s_waitcnt lgkmcnt(1)
	v_max3_f32 v34, v29, v44, v45
	v_sub_f32_e32 v29, v40, v34
	v_sub_f32_e32 v40, v41, v34
	v_mul_f32_e32 v40, 0x3fb8aa3b, v40
	v_mul_f32_e32 v29, 0x3fb8aa3b, v29
	v_exp_f32_e32 v47, v40
	v_sub_f32_e32 v40, v44, v34
	v_exp_f32_e32 v29, v29
	v_mul_f32_e32 v40, 0x3fb8aa3b, v40
	v_exp_f32_e32 v44, v40
	ds_read2_b32 v[40:41], v35 offset0:96 offset1:112
	v_sub_f32_e32 v35, v45, v34
	v_mul_f32_e32 v35, 0x3fb8aa3b, v35
	v_exp_f32_e32 v45, v35
	s_waitcnt lgkmcnt(1)
	v_fma_f32 v35, v29, v48, 0
	v_fmac_f32_e32 v35, v47, v49
	s_waitcnt lgkmcnt(0)
	v_fmac_f32_e32 v35, v44, v40
	v_fmac_f32_e32 v35, v45, v41
	v_add_f32_e32 v40, 0x358637bd, v35
	v_div_scale_f32 v41, s[4:5], v40, v40, 1.0
	v_rcp_f32_e32 v48, v41
	s_barrier
	v_fma_f32 v49, -v41, v48, 1.0
	v_fmac_f32_e32 v48, v49, v48
	v_div_scale_f32 v49, vcc, 1.0, v40, 1.0
	v_mul_f32_e32 v50, v49, v48
	v_fma_f32 v51, -v41, v50, v49
	v_fmac_f32_e32 v50, v51, v48
	v_fma_f32 v41, -v41, v50, v49
	v_div_fmas_f32 v41, v41, v48, v50
	v_cmp_eq_u32_e32 vcc, 1, v43
	v_div_fixup_f32 v40, v41, v40, 1.0
	s_nop 0
	v_cndmask_b32_e32 v29, v29, v47, vcc
	v_cmp_eq_u32_e32 vcc, 2, v43
	s_nop 1
	v_cndmask_b32_e32 v29, v29, v44, vcc
	v_cmp_eq_u32_e32 vcc, 3, v43
	s_nop 1
	v_cndmask_b32_e32 v29, v29, v45, vcc
	v_mul_f32_e32 v40, v29, v40
	v_pk_mul_f32 v[38:39], v[40:41], v[38:39] op_sel_hi:[0,1]
	v_pk_mul_f32 v[30:31], v[40:41], v[30:31] op_sel_hi:[0,1]
	v_cvt_f16_f32_e32 v29, v30
	v_cvt_f16_f32_e32 v30, v31
	;; [unrolled: 1-line block ×4, first 2 shown]
	v_pk_mul_f32 v[36:37], v[40:41], v[36:37] op_sel_hi:[0,1]
	v_pk_mul_f32 v[24:25], v[40:41], v[24:25] op_sel_hi:[0,1]
	v_cvt_f16_f32_e32 v25, v25
	v_pack_b32_f16 v31, v31, v38
	v_cvt_f16_f32_e32 v38, v24
	v_cvt_f16_f32_e32 v39, v36
	;; [unrolled: 1-line block ×3, first 2 shown]
	v_pack_b32_f16 v30, v29, v30
	v_lshlrev_b32_e32 v29, 3, v1
	v_lshlrev_b32_e32 v24, 11, v43
	v_or3_b32 v24, v24, v46, v29
	v_pack_b32_f16 v36, v38, v25
	v_pack_b32_f16 v37, v39, v37
	ds_write2st64_b64 v24, v[30:31], v[36:37] offset1:1
	v_pk_mul_f32 v[22:23], v[40:41], v[22:23] op_sel_hi:[0,1]
	v_pk_mul_f32 v[30:31], v[40:41], v[32:33] op_sel_hi:[0,1]
	;; [unrolled: 1-line block ×4, first 2 shown]
	v_cvt_f16_f32_e32 v25, v30
	v_cvt_f16_f32_e32 v29, v31
	;; [unrolled: 1-line block ×8, first 2 shown]
	v_pack_b32_f16 v18, v25, v29
	v_pack_b32_f16 v19, v22, v23
	v_pack_b32_f16 v20, v20, v21
	v_pack_b32_f16 v21, v30, v31
	v_cmp_gt_u32_e32 vcc, 16, v0
	ds_write2st64_b64 v24, v[18:19], v[20:21] offset0:2 offset1:3
	s_and_saveexec_b64 s[4:5], vcc
	s_cbranch_execz .LBB783_15
; %bb.14:
	v_mov_b32_e32 v29, 0
	v_mov_b32_e32 v18, s7
	s_mul_i32 s3, s3, s7
	v_mad_u64_u32 v[18:19], s[12:13], s2, v18, v[28:29]
	v_mov_b32_e32 v28, s24
	s_load_dwordx4 s[8:11], s[0:1], 0x58
	v_add_u32_e32 v21, s3, v19
	v_mad_u64_u32 v[18:19], s[12:13], v18, s6, v[28:29]
	v_mov_b32_e32 v20, v19
	v_mad_u64_u32 v[20:21], s[12:13], v21, s6, v[20:21]
	v_mov_b32_e32 v19, v20
	v_lshlrev_b64 v[18:19], 2, v[18:19]
	s_waitcnt lgkmcnt(0)
	v_lshl_add_u64 v[20:21], s[10:11], 0, v[18:19]
	v_lshl_add_u64 v[18:19], s[8:9], 0, v[18:19]
	global_store_dword v[20:21], v34, off
	global_store_dword v[18:19], v35, off
.LBB783_15:
	s_or_b64 exec, exec, s[4:5]
	s_waitcnt vmcnt(3)
	v_cvt_pk_f32_fp8_e32 v[18:19], v14
	v_cvt_pk_f32_fp8_sdwa v[20:21], v14 src0_sel:WORD_1
	s_waitcnt lgkmcnt(0)
	s_barrier
	v_cvt_pk_f32_fp8_e32 v[22:23], v15
	v_cvt_pkrtz_f16_f32 v14, v18, v19
	v_cvt_pk_f32_fp8_sdwa v[28:29], v15 src0_sel:WORD_1
	v_cvt_pkrtz_f16_f32 v15, v20, v21
	ds_read_b128 v[18:21], v27
	v_cvt_pkrtz_f16_f32 v22, v22, v23
	v_cvt_pkrtz_f16_f32 v23, v28, v29
	ds_read_b128 v[28:31], v27 offset:16
	v_cvt_pk_f32_fp8_e32 v[36:37], v16
	v_cvt_pk_f32_fp8_sdwa v[38:39], v16 src0_sel:WORD_1
	s_waitcnt lgkmcnt(1)
	v_mfma_f32_16x16x16_f16 v[32:35], v[14:15], v[18:19], 0
	s_load_dword s4, s[42:43], 0x0
	v_cvt_pkrtz_f16_f32 v14, v36, v37
	v_cvt_pkrtz_f16_f32 v15, v38, v39
	v_cvt_pk_f32_fp8_e32 v[36:37], v17
	v_mfma_f32_16x16x16_f16 v[18:21], v[22:23], v[20:21], v[32:35]
	v_cvt_pk_f32_fp8_sdwa v[22:23], v17 src0_sel:WORD_1
	v_cmp_gt_u32_e32 vcc, 64, v0
	s_mov_b32 s3, 0
	v_cvt_pkrtz_f16_f32 v32, v36, v37
	s_waitcnt lgkmcnt(0)
	v_mfma_f32_16x16x16_f16 v[14:17], v[14:15], v[28:29], v[18:21]
	v_cvt_pkrtz_f16_f32 v33, v22, v23
	s_waitcnt vmcnt(2)
	v_cvt_pk_f32_fp8_e32 v[22:23], v11
	v_cvt_pk_f32_fp8_sdwa v[28:29], v11 src0_sel:WORD_1
	v_cvt_pk_f32_fp8_e32 v[18:19], v10
	v_cvt_pk_f32_fp8_sdwa v[20:21], v10 src0_sel:WORD_1
	v_mfma_f32_16x16x16_f16 v[14:17], v[32:33], v[30:31], v[14:17]
	v_cvt_pkrtz_f16_f32 v22, v22, v23
	v_cvt_pkrtz_f16_f32 v10, v18, v19
	v_cvt_pkrtz_f16_f32 v11, v20, v21
	ds_read_b128 v[18:21], v27 offset:2048
	v_cvt_pkrtz_f16_f32 v23, v28, v29
	ds_read_b128 v[28:31], v27 offset:2064
	v_cvt_pk_f32_fp8_e32 v[32:33], v12
	v_cvt_pk_f32_fp8_sdwa v[34:35], v12 src0_sel:WORD_1
	s_waitcnt lgkmcnt(1)
	v_mfma_f32_16x16x16_f16 v[14:17], v[10:11], v[18:19], v[14:17]
	v_cvt_pk_f32_fp8_e32 v[18:19], v13
	v_cvt_pkrtz_f16_f32 v10, v32, v33
	v_cvt_pkrtz_f16_f32 v11, v34, v35
	v_mfma_f32_16x16x16_f16 v[14:17], v[22:23], v[20:21], v[14:17]
	v_cvt_pk_f32_fp8_sdwa v[20:21], v13 src0_sel:WORD_1
	v_cvt_pkrtz_f16_f32 v18, v18, v19
	v_cvt_pkrtz_f16_f32 v19, v20, v21
	s_waitcnt lgkmcnt(0)
	v_mfma_f32_16x16x16_f16 v[10:13], v[10:11], v[28:29], v[14:17]
	s_waitcnt vmcnt(1)
	v_cvt_pk_f32_fp8_sdwa v[20:21], v7 src0_sel:WORD_1
	v_cvt_pk_f32_fp8_e32 v[28:29], v8
	v_cvt_pkrtz_f16_f32 v23, v20, v21
	v_cvt_pk_f32_fp8_e32 v[14:15], v6
	v_cvt_pk_f32_fp8_sdwa v[16:17], v6 src0_sel:WORD_1
	v_mfma_f32_16x16x16_f16 v[10:13], v[18:19], v[30:31], v[10:13]
	v_cvt_pk_f32_fp8_e32 v[18:19], v7
	v_cvt_pkrtz_f16_f32 v6, v14, v15
	v_cvt_pkrtz_f16_f32 v7, v16, v17
	ds_read_b128 v[14:17], v27 offset:4096
	v_cvt_pkrtz_f16_f32 v22, v18, v19
	ds_read_b128 v[18:21], v27 offset:4112
	v_cvt_pk_f32_fp8_sdwa v[30:31], v8 src0_sel:WORD_1
	s_waitcnt lgkmcnt(1)
	v_mfma_f32_16x16x16_f16 v[10:13], v[6:7], v[14:15], v[10:13]
	v_cvt_pkrtz_f16_f32 v6, v28, v29
	v_cvt_pkrtz_f16_f32 v7, v30, v31
	v_cvt_pk_f32_fp8_e32 v[14:15], v9
	v_mfma_f32_16x16x16_f16 v[10:13], v[22:23], v[16:17], v[10:13]
	v_cvt_pk_f32_fp8_sdwa v[16:17], v9 src0_sel:WORD_1
	s_waitcnt vmcnt(0)
	v_cvt_pk_f32_fp8_sdwa v[22:23], v4 src0_sel:WORD_1
	v_cvt_pkrtz_f16_f32 v14, v14, v15
	s_waitcnt lgkmcnt(0)
	v_mfma_f32_16x16x16_f16 v[6:9], v[6:7], v[18:19], v[10:13]
	v_cvt_pkrtz_f16_f32 v15, v16, v17
	v_cvt_pk_f32_fp8_sdwa v[16:17], v3 src0_sel:WORD_1
	s_nop 0
	v_cvt_pk_f32_fp8_e32 v[10:11], v2
	v_cvt_pk_f32_fp8_sdwa v[12:13], v2 src0_sel:WORD_1
	v_mfma_f32_16x16x16_f16 v[6:9], v[14:15], v[20:21], v[6:9]
	v_cvt_pk_f32_fp8_e32 v[14:15], v3
	v_cvt_pkrtz_f16_f32 v2, v10, v11
	v_cvt_pkrtz_f16_f32 v3, v12, v13
	ds_read_b128 v[10:13], v27 offset:6144
	v_cvt_pkrtz_f16_f32 v18, v14, v15
	v_cvt_pkrtz_f16_f32 v19, v16, v17
	ds_read_b128 v[14:17], v27 offset:6160
	v_cvt_pk_f32_fp8_e32 v[20:21], v4
	s_waitcnt lgkmcnt(1)
	v_mfma_f32_16x16x16_f16 v[6:9], v[2:3], v[10:11], v[6:9]
	v_cvt_pkrtz_f16_f32 v3, v22, v23
	v_cvt_pk_f32_fp8_e32 v[10:11], v5
	v_cvt_pkrtz_f16_f32 v2, v20, v21
	v_mfma_f32_16x16x16_f16 v[6:9], v[18:19], v[12:13], v[6:9]
	v_cvt_pk_f32_fp8_sdwa v[12:13], v5 src0_sel:WORD_1
	v_cvt_pkrtz_f16_f32 v10, v10, v11
	v_mov_b32_e32 v27, 0
	s_waitcnt lgkmcnt(0)
	v_mfma_f32_16x16x16_f16 v[2:5], v[2:3], v[14:15], v[6:9]
	v_cvt_pkrtz_f16_f32 v11, v12, v13
	s_barrier
	s_nop 0
	v_mfma_f32_16x16x16_f16 v[2:5], v[10:11], v[16:17], v[2:5]
	s_nop 6
	v_pk_mul_f32 v[4:5], v[4:5], s[4:5] op_sel_hi:[1,0]
	v_pk_mul_f32 v[2:3], v[2:3], s[4:5] op_sel_hi:[1,0]
	v_cvt_f16_f32_e32 v4, v4
	v_cvt_f16_f32_e32 v2, v2
	;; [unrolled: 1-line block ×4, first 2 shown]
	s_and_b64 s[4:5], vcc, s[26:27]
	v_pack_b32_f16 v2, v2, v3
	v_pack_b32_f16 v3, v4, v5
	ds_write_b64 v24, v[2:3]
	s_waitcnt lgkmcnt(0)
	s_barrier
	s_and_saveexec_b64 s[8:9], s[4:5]
	s_cbranch_execz .LBB783_17
; %bb.16:
	s_load_dwordx2 s[0:1], s[0:1], 0x68
	s_lshl_b32 s6, s6, 6
	s_mul_i32 s2, s7, s2
	s_mul_hi_u32 s5, s2, s6
	s_mul_i32 s4, s2, s6
	s_lshl_b64 s[4:5], s[4:5], 1
	s_waitcnt lgkmcnt(0)
	s_add_u32 s4, s0, s4
	s_addc_u32 s5, s1, s5
	s_lshl_b32 s2, s24, 6
	v_lshlrev_b32_e32 v0, 10, v0
	s_lshl_b64 s[0:1], s[2:3], 1
	v_and_b32_e32 v0, 0x1800, v0
	v_lshlrev_b32_e32 v2, 5, v1
	v_and_b32_e32 v3, 16, v42
	s_add_u32 s0, s4, s0
	v_or3_b32 v0, v0, v2, v3
	s_addc_u32 s1, s5, s1
	v_or_b32_e32 v20, s25, v1
	ds_read_b128 v[2:5], v0
	ds_read_b128 v[6:9], v0 offset:128
	ds_read_b128 v[10:13], v0 offset:256
	;; [unrolled: 1-line block ×3, first 2 shown]
	v_lshl_add_u64 v[18:19], s[0:1], 0, v[26:27]
	v_mad_u64_u32 v[0:1], s[0:1], v20, s6, 0
	v_lshl_add_u64 v[0:1], v[0:1], 1, v[18:19]
	s_waitcnt lgkmcnt(3)
	global_store_dwordx4 v[0:1], v[2:5], off
	v_or_b32_e32 v0, 4, v20
	v_mad_u64_u32 v[0:1], s[0:1], v0, s6, 0
	v_lshl_add_u64 v[0:1], v[0:1], 1, v[18:19]
	s_waitcnt lgkmcnt(2)
	global_store_dwordx4 v[0:1], v[6:9], off
	v_or_b32_e32 v0, 8, v20
	;; [unrolled: 5-line block ×3, first 2 shown]
	v_mad_u64_u32 v[0:1], s[0:1], v0, s6, 0
	v_lshl_add_u64 v[0:1], v[0:1], 1, v[18:19]
	s_waitcnt lgkmcnt(0)
	global_store_dwordx4 v[0:1], v[14:17], off
.LBB783_17:
	s_endpgm
	.section	.rodata,"a",@progbits
	.p2align	6, 0x0
	.amdhsa_kernel _Z39paged_attention_ll4mi_QKV_mfma16_kernelIDF16_hLN4vllm18Fp8KVCacheDataTypeE1EhLi16ELi64ELi256ELb1ELi16EEvPKT_PKT0_S7_ifPKiS9_S9_iPKfiiiPfSC_PS2_PT2_iSB_SB_
		.amdhsa_group_segment_fixed_size 8192
		.amdhsa_private_segment_fixed_size 0
		.amdhsa_kernarg_size 400
		.amdhsa_user_sgpr_count 2
		.amdhsa_user_sgpr_dispatch_ptr 0
		.amdhsa_user_sgpr_queue_ptr 0
		.amdhsa_user_sgpr_kernarg_segment_ptr 1
		.amdhsa_user_sgpr_dispatch_id 0
		.amdhsa_user_sgpr_kernarg_preload_length 0
		.amdhsa_user_sgpr_kernarg_preload_offset 0
		.amdhsa_user_sgpr_private_segment_size 0
		.amdhsa_uses_dynamic_stack 0
		.amdhsa_enable_private_segment 0
		.amdhsa_system_sgpr_workgroup_id_x 1
		.amdhsa_system_sgpr_workgroup_id_y 1
		.amdhsa_system_sgpr_workgroup_id_z 1
		.amdhsa_system_sgpr_workgroup_info 0
		.amdhsa_system_vgpr_workitem_id 0
		.amdhsa_next_free_vgpr 62
		.amdhsa_next_free_sgpr 49
		.amdhsa_accum_offset 64
		.amdhsa_reserve_vcc 1
		.amdhsa_float_round_mode_32 0
		.amdhsa_float_round_mode_16_64 0
		.amdhsa_float_denorm_mode_32 3
		.amdhsa_float_denorm_mode_16_64 3
		.amdhsa_dx10_clamp 1
		.amdhsa_ieee_mode 1
		.amdhsa_fp16_overflow 0
		.amdhsa_tg_split 0
		.amdhsa_exception_fp_ieee_invalid_op 0
		.amdhsa_exception_fp_denorm_src 0
		.amdhsa_exception_fp_ieee_div_zero 0
		.amdhsa_exception_fp_ieee_overflow 0
		.amdhsa_exception_fp_ieee_underflow 0
		.amdhsa_exception_fp_ieee_inexact 0
		.amdhsa_exception_int_div_zero 0
	.end_amdhsa_kernel
	.section	.text._Z39paged_attention_ll4mi_QKV_mfma16_kernelIDF16_hLN4vllm18Fp8KVCacheDataTypeE1EhLi16ELi64ELi256ELb1ELi16EEvPKT_PKT0_S7_ifPKiS9_S9_iPKfiiiPfSC_PS2_PT2_iSB_SB_,"axG",@progbits,_Z39paged_attention_ll4mi_QKV_mfma16_kernelIDF16_hLN4vllm18Fp8KVCacheDataTypeE1EhLi16ELi64ELi256ELb1ELi16EEvPKT_PKT0_S7_ifPKiS9_S9_iPKfiiiPfSC_PS2_PT2_iSB_SB_,comdat
.Lfunc_end783:
	.size	_Z39paged_attention_ll4mi_QKV_mfma16_kernelIDF16_hLN4vllm18Fp8KVCacheDataTypeE1EhLi16ELi64ELi256ELb1ELi16EEvPKT_PKT0_S7_ifPKiS9_S9_iPKfiiiPfSC_PS2_PT2_iSB_SB_, .Lfunc_end783-_Z39paged_attention_ll4mi_QKV_mfma16_kernelIDF16_hLN4vllm18Fp8KVCacheDataTypeE1EhLi16ELi64ELi256ELb1ELi16EEvPKT_PKT0_S7_ifPKiS9_S9_iPKfiiiPfSC_PS2_PT2_iSB_SB_
                                        ; -- End function
	.section	.AMDGPU.csdata,"",@progbits
; Kernel info:
; codeLenInByte = 4848
; NumSgprs: 55
; NumVgprs: 62
; NumAgprs: 0
; TotalNumVgprs: 62
; ScratchSize: 0
; MemoryBound: 0
; FloatMode: 240
; IeeeMode: 1
; LDSByteSize: 8192 bytes/workgroup (compile time only)
; SGPRBlocks: 6
; VGPRBlocks: 7
; NumSGPRsForWavesPerEU: 55
; NumVGPRsForWavesPerEU: 62
; AccumOffset: 64
; Occupancy: 8
; WaveLimiterHint : 1
; COMPUTE_PGM_RSRC2:SCRATCH_EN: 0
; COMPUTE_PGM_RSRC2:USER_SGPR: 2
; COMPUTE_PGM_RSRC2:TRAP_HANDLER: 0
; COMPUTE_PGM_RSRC2:TGID_X_EN: 1
; COMPUTE_PGM_RSRC2:TGID_Y_EN: 1
; COMPUTE_PGM_RSRC2:TGID_Z_EN: 1
; COMPUTE_PGM_RSRC2:TIDIG_COMP_CNT: 0
; COMPUTE_PGM_RSRC3_GFX90A:ACCUM_OFFSET: 15
; COMPUTE_PGM_RSRC3_GFX90A:TG_SPLIT: 0
	.section	.text._Z39paged_attention_ll4mi_QKV_mfma16_kernelIDF16_hLN4vllm18Fp8KVCacheDataTypeE1EhLi16ELi64ELi256ELb1ELi1EEvPKT_PKT0_S7_ifPKiS9_S9_iPKfiiiPfSC_PS2_PT2_iSB_SB_,"axG",@progbits,_Z39paged_attention_ll4mi_QKV_mfma16_kernelIDF16_hLN4vllm18Fp8KVCacheDataTypeE1EhLi16ELi64ELi256ELb1ELi1EEvPKT_PKT0_S7_ifPKiS9_S9_iPKfiiiPfSC_PS2_PT2_iSB_SB_,comdat
	.protected	_Z39paged_attention_ll4mi_QKV_mfma16_kernelIDF16_hLN4vllm18Fp8KVCacheDataTypeE1EhLi16ELi64ELi256ELb1ELi1EEvPKT_PKT0_S7_ifPKiS9_S9_iPKfiiiPfSC_PS2_PT2_iSB_SB_ ; -- Begin function _Z39paged_attention_ll4mi_QKV_mfma16_kernelIDF16_hLN4vllm18Fp8KVCacheDataTypeE1EhLi16ELi64ELi256ELb1ELi1EEvPKT_PKT0_S7_ifPKiS9_S9_iPKfiiiPfSC_PS2_PT2_iSB_SB_
	.globl	_Z39paged_attention_ll4mi_QKV_mfma16_kernelIDF16_hLN4vllm18Fp8KVCacheDataTypeE1EhLi16ELi64ELi256ELb1ELi1EEvPKT_PKT0_S7_ifPKiS9_S9_iPKfiiiPfSC_PS2_PT2_iSB_SB_
	.p2align	8
	.type	_Z39paged_attention_ll4mi_QKV_mfma16_kernelIDF16_hLN4vllm18Fp8KVCacheDataTypeE1EhLi16ELi64ELi256ELb1ELi1EEvPKT_PKT0_S7_ifPKiS9_S9_iPKfiiiPfSC_PS2_PT2_iSB_SB_,@function
_Z39paged_attention_ll4mi_QKV_mfma16_kernelIDF16_hLN4vllm18Fp8KVCacheDataTypeE1EhLi16ELi64ELi256ELb1ELi1EEvPKT_PKT0_S7_ifPKiS9_S9_iPKfiiiPfSC_PS2_PT2_iSB_SB_: ; @_Z39paged_attention_ll4mi_QKV_mfma16_kernelIDF16_hLN4vllm18Fp8KVCacheDataTypeE1EhLi16ELi64ELi256ELb1ELi1EEvPKT_PKT0_S7_ifPKiS9_S9_iPKfiiiPfSC_PS2_PT2_iSB_SB_
; %bb.0:
	s_load_dwordx2 s[6:7], s[0:1], 0x30
	s_mov_b32 s30, s3
	s_mov_b64 s[8:9], 0
	s_waitcnt lgkmcnt(0)
	s_cmp_lg_u64 s[6:7], 0
	s_cselect_b64 s[10:11], -1, 0
	s_and_b64 vcc, exec, s[10:11]
	s_cbranch_vccz .LBB784_7
; %bb.1:
	s_add_i32 s12, s2, 1
	s_mov_b32 s13, 0
	s_lshl_b64 s[14:15], s[12:13], 2
	s_add_u32 s14, s6, s14
	s_mov_b32 s3, s13
	s_addc_u32 s15, s7, s15
	s_lshl_b64 s[12:13], s[2:3], 2
	s_add_u32 s12, s6, s12
	s_addc_u32 s13, s7, s13
	s_load_dword s5, s[14:15], 0x0
	s_load_dword s16, s[12:13], 0x0
	s_waitcnt lgkmcnt(0)
	s_sub_i32 s5, s5, s16
	s_cmp_eq_u32 s5, 1
	s_cselect_b64 s[12:13], -1, 0
	s_andn2_b64 vcc, exec, s[8:9]
	s_cbranch_vccnz .LBB784_3
.LBB784_2:
	s_mov_b32 s3, 0
	s_mov_b64 s[12:13], -1
.LBB784_3:
	s_andn2_b64 vcc, exec, s[12:13]
	s_cbranch_vccnz .LBB784_19
; %bb.4:
	s_load_dwordx2 s[8:9], s[0:1], 0x28
	s_lshl_b64 s[12:13], s[2:3], 2
	s_waitcnt lgkmcnt(0)
	s_add_u32 s8, s8, s12
	s_addc_u32 s9, s9, s13
	s_load_dword s31, s[8:9], 0x0
	s_lshl_b32 s16, s30, 8
	s_waitcnt lgkmcnt(0)
	s_cmp_ge_i32 s16, s31
	s_cbranch_scc1 .LBB784_19
; %bb.5:
	s_load_dwordx2 s[8:9], s[0:1], 0x20
	s_load_dword s5, s[0:1], 0x38
	s_add_i32 s14, s31, 15
	s_ashr_i32 s15, s14, 31
	v_and_b32_e32 v1, 0xcf, v0
	s_lshr_b32 s15, s15, 28
	v_add_u32_e32 v1, s16, v1
	s_add_i32 s14, s14, s15
	v_ashrrev_i32_e32 v2, 31, v1
	s_ashr_i32 s17, s14, 4
	v_lshrrev_b32_e32 v4, 28, v2
	s_add_i32 s17, s17, -1
	s_waitcnt lgkmcnt(0)
	s_mul_i32 s14, s2, s5
	s_mov_b32 s15, 0
	v_add_u32_e32 v2, v1, v4
	s_lshl_b64 s[14:15], s[14:15], 2
	v_ashrrev_i32_e32 v2, 4, v2
	v_mov_b32_e32 v5, s17
	v_cmp_gt_i32_e32 vcc, s31, v1
	s_add_u32 s8, s8, s14
	s_addc_u32 s9, s9, s15
	v_cndmask_b32_e32 v2, v5, v2, vcc
	v_ashrrev_i32_e32 v3, 31, v2
	v_lshl_add_u64 v[6:7], v[2:3], 2, s[8:9]
	v_or_b32_e32 v2, 16, v1
	v_add_u32_e32 v3, v2, v4
	v_ashrrev_i32_e32 v3, 4, v3
	v_cmp_gt_i32_e32 vcc, s31, v2
	s_load_dwordx2 s[14:15], s[0:1], 0x8
	s_nop 0
	v_cndmask_b32_e32 v2, v5, v3, vcc
	v_ashrrev_i32_e32 v3, 31, v2
	v_lshl_add_u64 v[8:9], v[2:3], 2, s[8:9]
	v_or_b32_e32 v2, 32, v1
	v_add_u32_e32 v3, v2, v4
	v_ashrrev_i32_e32 v3, 4, v3
	v_cmp_gt_i32_e32 vcc, s31, v2
	v_or_b32_e32 v1, 48, v1
	s_nop 0
	v_cndmask_b32_e32 v2, v5, v3, vcc
	v_ashrrev_i32_e32 v3, 31, v2
	v_lshl_add_u64 v[10:11], v[2:3], 2, s[8:9]
	v_add_u32_e32 v2, v1, v4
	v_ashrrev_i32_e32 v2, 4, v2
	v_cmp_gt_i32_e32 vcc, s31, v1
	s_nop 1
	v_cndmask_b32_e32 v2, v5, v2, vcc
	v_ashrrev_i32_e32 v3, 31, v2
	v_lshl_add_u64 v[12:13], v[2:3], 2, s[8:9]
	global_load_dword v5, v[6:7], off
	global_load_dword v4, v[8:9], off
	;; [unrolled: 1-line block ×4, first 2 shown]
	s_andn2_b64 vcc, exec, s[10:11]
	s_cbranch_vccnz .LBB784_8
; %bb.6:
	s_add_u32 s6, s6, s12
	s_addc_u32 s7, s7, s13
	s_load_dword s5, s[6:7], 0x0
	s_branch .LBB784_9
.LBB784_7:
	s_mov_b64 s[12:13], 0
	s_branch .LBB784_2
.LBB784_8:
	s_mov_b32 s5, s2
.LBB784_9:
	s_load_dwordx2 s[10:11], s[0:1], 0x10
	s_load_dwordx4 s[48:51], s[0:1], 0x48
	v_lshrrev_b32_e32 v56, 6, v0
	v_bfe_u32 v54, v0, 4, 2
	v_lshl_or_b32 v1, v56, 2, v54
	v_and_b32_e32 v57, 15, v0
	v_lshlrev_b32_e32 v6, 3, v57
	v_cmp_eq_u32_e32 vcc, 0, v1
	v_cmp_gt_u32_e64 s[6:7], 8, v57
	s_and_b64 s[18:19], s[6:7], vcc
	v_lshlrev_b32_e32 v1, 1, v6
	v_lshlrev_b32_e32 v55, 4, v0
	s_and_saveexec_b64 s[12:13], s[18:19]
	s_cbranch_execz .LBB784_11
; %bb.10:
	s_load_dwordx2 s[18:19], s[0:1], 0x0
	s_waitcnt lgkmcnt(0)
	s_ashr_i32 s20, s48, 31
	s_mul_hi_u32 s21, s5, s48
	s_mul_i32 s20, s5, s20
	s_add_i32 s21, s21, s20
	s_mul_i32 s20, s5, s48
	s_lshl_b64 s[20:21], s[20:21], 1
	s_add_u32 s5, s18, s20
	s_addc_u32 s20, s19, s21
	s_lshl_b32 s18, s4, 6
	s_ashr_i32 s19, s18, 31
	s_lshl_b64 s[18:19], s[18:19], 1
	s_add_u32 s18, s5, s18
	s_addc_u32 s19, s20, s19
	global_load_dwordx4 v[6:9], v1, s[18:19]
	v_lshlrev_b32_e32 v10, 8, v57
	v_and_b32_e32 v11, 16, v55
	s_movk_i32 s5, 0xe00
	v_and_or_b32 v10, v10, s5, v11
	s_waitcnt vmcnt(0)
	ds_write_b128 v10, v[6:9]
.LBB784_11:
	s_or_b64 exec, exec, s[12:13]
	s_waitcnt lgkmcnt(0)
	s_mul_i32 s18, s4, s50
	s_add_u32 s12, s14, s18
	s_addc_u32 s13, s15, 0
	v_and_b32_e32 v28, 48, v0
	v_and_b32_e32 v26, 0xf0, v55
	v_mov_b32_e32 v27, 0
	v_lshl_add_u64 v[6:7], s[12:13], 0, v[26:27]
	v_lshlrev_b32_e32 v26, 4, v28
	v_lshl_add_u64 v[6:7], v[6:7], 0, v[26:27]
	s_waitcnt vmcnt(3)
	v_mad_i64_i32 v[8:9], s[12:13], v5, s49, v[6:7]
	s_waitcnt vmcnt(2)
	v_mad_i64_i32 v[4:5], s[12:13], v4, s49, v[6:7]
	s_barrier
	global_load_dwordx4 v[22:25], v[8:9], off
	global_load_dwordx4 v[18:21], v[4:5], off
	s_waitcnt vmcnt(3)
	v_mad_i64_i32 v[4:5], s[12:13], v3, s49, v[6:7]
	s_waitcnt vmcnt(2)
	v_mad_i64_i32 v[2:3], s[12:13], v2, s49, v[6:7]
	global_load_dwordx4 v[14:17], v[4:5], off
	global_load_dwordx4 v[6:9], v[2:3], off
	v_lshlrev_b32_e32 v2, 9, v54
	ds_read_b128 v[10:13], v2
	ds_read_b128 v[2:5], v2 offset:16
	v_and_b32_e32 v58, 63, v0
	v_cmp_eq_u32_e32 vcc, 0, v57
	v_mov_b32_e32 v59, 0
	s_and_saveexec_b64 s[12:13], vcc
	s_cbranch_execz .LBB784_13
; %bb.12:
	s_load_dwordx2 s[14:15], s[0:1], 0x40
	s_ashr_i32 s5, s4, 31
	s_lshl_b64 s[20:21], s[4:5], 2
	s_waitcnt lgkmcnt(0)
	s_add_u32 s14, s14, s20
	s_addc_u32 s15, s15, s21
	s_load_dword s5, s[14:15], 0x0
	s_waitcnt lgkmcnt(0)
	v_mov_b32_e32 v59, s5
.LBB784_13:
	s_or_b64 exec, exec, s[12:13]
	v_or_b32_e32 v61, s16, v28
	v_ashrrev_i32_e32 v26, 4, v61
	v_mov_b32_e32 v69, s17
	v_cmp_gt_i32_e32 vcc, s31, v61
	s_waitcnt vmcnt(3)
	v_cvt_pk_f32_fp8_sdwa v[30:31], v22 src0_sel:WORD_1
	s_waitcnt vmcnt(2)
	v_cvt_pk_f32_fp8_e32 v[50:51], v18
	v_cndmask_b32_e32 v28, v69, v26, vcc
	v_ashrrev_i32_e32 v29, 31, v28
	v_lshl_add_u64 v[28:29], v[28:29], 2, s[8:9]
	global_load_dword v60, v[28:29], off
	v_cvt_pk_f32_fp8_e32 v[28:29], v22
	v_cvt_pk_f32_fp8_sdwa v[52:53], v18 src0_sel:WORD_1
	s_add_u32 s10, s10, s18
	v_lshlrev_b32_e32 v18, 4, v57
	v_lshl_or_b32 v26, v56, 8, v18
	s_addc_u32 s11, s11, 0
	v_cvt_pk_f32_fp8_e32 v[32:33], v23
	v_cvt_pk_f32_fp8_sdwa v[22:23], v23 src0_sel:WORD_1
	v_cvt_pk_f32_fp8_e32 v[34:35], v24
	v_cvt_pk_f32_fp8_sdwa v[36:37], v24 src0_sel:WORD_1
	v_cvt_pk_f32_fp8_e32 v[46:47], v19
	v_cvt_pk_f32_fp8_sdwa v[48:49], v19 src0_sel:WORD_1
	v_lshl_add_u64 v[18:19], s[10:11], 0, v[26:27]
	v_cvt_pkrtz_f16_f32 v26, v28, v29
	v_cvt_pkrtz_f16_f32 v27, v30, v31
	;; [unrolled: 1-line block ×4, first 2 shown]
	v_cvt_pk_f32_fp8_e32 v[40:41], v20
	v_cvt_pk_f32_fp8_sdwa v[42:43], v20 src0_sel:WORD_1
	v_cvt_pkrtz_f16_f32 v50, v32, v33
	v_cvt_pkrtz_f16_f32 v51, v22, v23
	;; [unrolled: 1-line block ×6, first 2 shown]
	v_cvt_pk_f32_fp8_e32 v[38:39], v25
	v_cvt_pk_f32_fp8_sdwa v[24:25], v25 src0_sel:WORD_1
	s_waitcnt lgkmcnt(1)
	v_mfma_f32_16x16x16_f16 v[26:29], v[26:27], v[10:11], 0
	s_waitcnt vmcnt(2)
	v_cvt_pk_f32_fp8_e32 v[62:63], v14
	v_cvt_pk_f32_fp8_sdwa v[64:65], v14 src0_sel:WORD_1
	v_or_b32_e32 v14, 64, v61
	v_mfma_f32_16x16x16_f16 v[30:33], v[30:31], v[10:11], 0
	s_load_dword s5, s[0:1], 0x1c
	s_load_dwordx4 s[44:47], s[0:1], 0x80
	v_or_b32_e32 v70, 0x80, v61
	v_ashrrev_i32_e32 v68, 4, v14
	v_cmp_gt_i32_e32 vcc, s31, v14
	v_cvt_pkrtz_f16_f32 v40, v40, v41
	v_cvt_pkrtz_f16_f32 v41, v42, v43
	v_cvt_pk_f32_fp8_e32 v[44:45], v21
	v_cvt_pk_f32_fp8_sdwa v[20:21], v21 src0_sel:WORD_1
	v_or_b32_e32 v61, 0xc0, v61
	v_ashrrev_i32_e32 v71, 4, v70
	v_cndmask_b32_e32 v68, v69, v68, vcc
	v_cmp_gt_i32_e32 vcc, s31, v70
	v_cvt_pkrtz_f16_f32 v38, v38, v39
	v_cvt_pkrtz_f16_f32 v39, v24, v25
	v_mfma_f32_16x16x16_f16 v[22:25], v[50:51], v[12:13], v[26:29]
	v_ashrrev_i32_e32 v72, 4, v61
	v_cndmask_b32_e32 v70, v69, v71, vcc
	v_cmp_gt_i32_e32 vcc, s31, v61
	v_mfma_f32_16x16x16_f16 v[26:29], v[36:37], v[12:13], v[30:33]
	v_ashrrev_i32_e32 v71, 31, v70
	v_cndmask_b32_e32 v72, v69, v72, vcc
	v_ashrrev_i32_e32 v69, 31, v68
	v_ashrrev_i32_e32 v73, 31, v72
	v_cvt_pkrtz_f16_f32 v30, v44, v45
	v_cvt_pkrtz_f16_f32 v31, v20, v21
	s_waitcnt lgkmcnt(0)
	v_mfma_f32_16x16x16_f16 v[20:23], v[34:35], v[2:3], v[22:25]
	v_lshl_add_u64 v[34:35], v[68:69], 2, s[8:9]
	v_lshl_add_u64 v[36:37], v[70:71], 2, s[8:9]
	v_cvt_pk_f32_fp8_e32 v[66:67], v15
	v_mfma_f32_16x16x16_f16 v[24:27], v[40:41], v[2:3], v[26:29]
	v_mov_b32_e32 v40, s5
	v_cvt_pkrtz_f16_f32 v32, v62, v63
	v_cvt_pkrtz_f16_f32 v33, v64, v65
	v_lshl_add_u64 v[28:29], v[72:73], 2, s[8:9]
	s_load_dword s8, s[44:45], 0x0
	v_mfma_f32_16x16x16_f16 v[20:23], v[38:39], v[4:5], v[20:23]
	global_load_dword v14, v[34:35], off
	global_load_dword v38, v[36:37], off
	;; [unrolled: 1-line block ×3, first 2 shown]
	v_cvt_pkrtz_f16_f32 v28, v66, v67
	v_cvt_pk_f32_fp8_e32 v[34:35], v16
	s_waitcnt lgkmcnt(0)
	v_mul_f32_e32 v48, s8, v40
	v_mfma_f32_16x16x16_f16 v[40:43], v[30:31], v[4:5], v[24:27]
	v_cvt_pk_f32_fp8_sdwa v[36:37], v16 src0_sel:WORD_1
	v_cvt_pkrtz_f16_f32 v44, v34, v35
	s_mov_b32 s5, 0xff7fffff
	v_cvt_pk_f32_fp8_sdwa v[24:25], v15 src0_sel:WORD_1
	v_cvt_pkrtz_f16_f32 v45, v36, v37
	v_cvt_pk_f32_fp8_e32 v[36:37], v17
	v_cvt_pk_f32_fp8_sdwa v[16:17], v17 src0_sel:WORD_1
	v_cvt_pkrtz_f16_f32 v29, v24, v25
	v_mfma_f32_16x16x16_f16 v[24:27], v[32:33], v[10:11], 0
	s_waitcnt vmcnt(3)
	v_mad_i64_i32 v[30:31], s[8:9], v60, s49, v[18:19]
	v_mfma_f32_16x16x16_f16 v[32:35], v[28:29], v[12:13], v[24:27]
	v_cvt_pkrtz_f16_f32 v28, v36, v37
	v_cvt_pkrtz_f16_f32 v29, v16, v17
	v_cvt_pk_f32_fp8_e32 v[16:17], v6
	s_nop 0
	v_pk_mul_f32 v[26:27], v[48:49], v[22:23] op_sel_hi:[0,1]
	v_mfma_f32_16x16x16_f16 v[22:25], v[44:45], v[2:3], v[32:35]
	v_pk_mul_f32 v[36:37], v[48:49], v[40:41] op_sel_hi:[0,1]
	v_cvt_pkrtz_f16_f32 v16, v16, v17
	s_nop 0
	v_cvt_pk_f32_fp8_sdwa v[32:33], v6 src0_sel:WORD_1
	v_pk_mul_f32 v[34:35], v[48:49], v[20:21] op_sel_hi:[0,1]
	v_mfma_f32_16x16x16_f16 v[20:23], v[28:29], v[4:5], v[22:25]
	v_cvt_pk_f32_fp8_e32 v[28:29], v8
	v_cvt_pkrtz_f16_f32 v17, v32, v33
	v_cvt_pk_f32_fp8_sdwa v[32:33], v8 src0_sel:WORD_1
	v_cvt_pk_f32_fp8_e32 v[24:25], v7
	v_cvt_pk_f32_fp8_sdwa v[6:7], v7 src0_sel:WORD_1
	v_mfma_f32_16x16x16_f16 v[44:47], v[16:17], v[10:11], 0
	v_cvt_pkrtz_f16_f32 v24, v24, v25
	v_cvt_pkrtz_f16_f32 v25, v6, v7
	;; [unrolled: 1-line block ×4, first 2 shown]
	v_cvt_pk_f32_fp8_e32 v[16:17], v9
	v_cvt_pk_f32_fp8_sdwa v[28:29], v9 src0_sel:WORD_1
	v_mfma_f32_16x16x16_f16 v[6:9], v[24:25], v[12:13], v[44:47]
	v_pk_mul_f32 v[24:25], v[48:49], v[22:23] op_sel_hi:[0,1]
	v_cvt_pkrtz_f16_f32 v12, v16, v17
	v_cvt_pkrtz_f16_f32 v13, v28, v29
	v_mfma_f32_16x16x16_f16 v[6:9], v[10:11], v[2:3], v[6:9]
	v_pk_mul_f32 v[28:29], v[48:49], v[20:21] op_sel_hi:[0,1]
	v_pk_mul_f32 v[32:33], v[48:49], v[42:43] op_sel_hi:[0,1]
	v_mfma_f32_16x16x16_f16 v[2:5], v[12:13], v[4:5], v[6:9]
	s_nop 6
	v_pk_mul_f32 v[22:23], v[48:49], v[2:3] op_sel_hi:[0,1]
	v_and_b32_e32 v2, 0xc0, v0
	v_add_u32_e32 v2, s16, v2
	v_lshl_or_b32 v2, v54, 2, v2
	v_or_b32_e32 v3, 1, v2
	v_pk_mul_f32 v[20:21], v[48:49], v[4:5] op_sel_hi:[0,1]
	v_subrev_u32_e32 v4, s31, v3
	v_add_u32_e32 v6, 1, v4
	v_add_u32_e32 v7, 2, v4
	;; [unrolled: 1-line block ×3, first 2 shown]
	v_cvt_f32_i32_e32 v6, v6
	v_cvt_f32_i32_e32 v7, v7
	;; [unrolled: 1-line block ×3, first 2 shown]
	v_add_u32_e32 v9, 19, v4
	v_fmac_f32_e32 v35, v59, v6
	v_fma_f32 v26, v59, v7, v26
	v_fmac_f32_e32 v27, v59, v8
	v_add_u32_e32 v6, 16, v4
	v_add_u32_e32 v7, 17, v4
	;; [unrolled: 1-line block ×3, first 2 shown]
	v_cvt_f32_i32_e32 v6, v6
	v_cvt_f32_i32_e32 v7, v7
	v_cvt_f32_i32_e32 v8, v8
	v_cvt_f32_i32_e32 v9, v9
	v_fma_f32 v36, v59, v6, v36
	v_fmac_f32_e32 v37, v59, v7
	v_fma_f32 v32, v59, v8, v32
	v_add_u32_e32 v6, 32, v4
	v_add_u32_e32 v7, 33, v4
	;; [unrolled: 1-line block ×3, first 2 shown]
	v_cvt_f32_i32_e32 v6, v6
	v_cvt_f32_i32_e32 v7, v7
	;; [unrolled: 1-line block ×4, first 2 shown]
	v_fmac_f32_e32 v33, v59, v9
	v_add_u32_e32 v9, 35, v4
	v_fma_f32 v28, v59, v6, v28
	v_fmac_f32_e32 v29, v59, v7
	v_fma_f32 v24, v59, v8, v24
	v_add_u32_e32 v6, 48, v4
	v_add_u32_e32 v7, 49, v4
	;; [unrolled: 1-line block ×4, first 2 shown]
	v_cvt_f32_i32_e32 v4, v4
	v_cvt_f32_i32_e32 v6, v6
	;; [unrolled: 1-line block ×3, first 2 shown]
	v_fma_f32 v5, v59, v5, v34
	v_fmac_f32_e32 v21, v59, v4
	v_mov_b32_e32 v4, 0xff7fffff
	v_cmp_gt_i32_e64 s[34:35], s31, v2
	v_cmp_gt_i32_e64 s[36:37], s31, v3
	v_fma_f32 v22, v59, v6, v22
	v_cndmask_b32_e64 v6, v4, v5, s[34:35]
	v_cndmask_b32_e64 v3, v4, v35, s[36:37]
	v_fmac_f32_e32 v23, v59, v7
	v_max3_f32 v3, v6, s5, v3
	v_or_b32_e32 v6, 2, v2
	v_or_b32_e32 v7, 3, v2
	v_cmp_gt_i32_e64 s[38:39], s31, v6
	v_cmp_gt_i32_e64 s[40:41], s31, v7
	v_cvt_f32_i32_e32 v9, v9
	v_cndmask_b32_e64 v6, v4, v26, s[38:39]
	v_cndmask_b32_e64 v7, v4, v27, s[40:41]
	v_max3_f32 v3, v3, v6, v7
	v_or_b32_e32 v6, 16, v2
	v_or_b32_e32 v7, 17, v2
	v_cmp_gt_i32_e64 s[26:27], s31, v6
	v_cmp_gt_i32_e64 s[28:29], s31, v7
	v_fmac_f32_e32 v25, v59, v9
	v_cndmask_b32_e64 v6, v4, v36, s[26:27]
	v_cndmask_b32_e64 v7, v4, v37, s[28:29]
	v_max3_f32 v3, v3, v6, v7
	v_or_b32_e32 v6, 18, v2
	v_or_b32_e32 v7, 19, v2
	v_cmp_gt_i32_e64 s[22:23], s31, v6
	v_cmp_gt_i32_e64 s[24:25], s31, v7
	v_cvt_f32_i32_e32 v8, v8
	v_cndmask_b32_e64 v6, v4, v32, s[22:23]
	v_cndmask_b32_e64 v7, v4, v33, s[24:25]
	v_max3_f32 v3, v3, v6, v7
	v_or_b32_e32 v6, 32, v2
	v_or_b32_e32 v7, 33, v2
	v_cmp_gt_i32_e64 s[18:19], s31, v6
	v_cmp_gt_i32_e64 s[20:21], s31, v7
	v_fma_f32 v20, v59, v8, v20
	v_cndmask_b32_e64 v6, v4, v28, s[18:19]
	v_cndmask_b32_e64 v7, v4, v29, s[20:21]
	v_max3_f32 v3, v3, v6, v7
	v_or_b32_e32 v6, 34, v2
	v_or_b32_e32 v7, 35, v2
	v_cmp_gt_i32_e64 s[14:15], s31, v6
	v_cmp_gt_i32_e64 s[16:17], s31, v7
	s_nop 0
	v_cndmask_b32_e64 v6, v4, v24, s[14:15]
	v_cndmask_b32_e64 v7, v4, v25, s[16:17]
	v_max3_f32 v3, v3, v6, v7
	v_or_b32_e32 v6, 48, v2
	v_or_b32_e32 v7, 49, v2
	v_cmp_gt_i32_e64 s[10:11], s31, v6
	v_cmp_gt_i32_e64 s[12:13], s31, v7
	s_nop 0
	v_cndmask_b32_e64 v6, v4, v22, s[10:11]
	v_cndmask_b32_e64 v7, v4, v23, s[12:13]
	v_max3_f32 v3, v3, v6, v7
	v_or_b32_e32 v6, 50, v2
	v_or_b32_e32 v2, 51, v2
	v_cmp_gt_i32_e32 vcc, s31, v6
	v_cmp_gt_i32_e64 s[8:9], s31, v2
	s_nop 0
	v_cndmask_b32_e32 v6, v4, v20, vcc
	v_cndmask_b32_e64 v2, v4, v21, s[8:9]
	v_max3_f32 v4, v3, v6, v2
	v_mbcnt_lo_u32_b32 v2, -1, 0
	v_mbcnt_hi_u32_b32 v6, -1, v2
	v_and_b32_e32 v2, 64, v6
	v_add_u32_e32 v7, 64, v2
	v_xor_b32_e32 v2, 32, v6
	v_cmp_lt_i32_e64 s[42:43], v2, v7
	s_nop 1
	v_cndmask_b32_e64 v2, v6, v2, s[42:43]
	v_lshlrev_b32_e32 v40, 2, v2
	ds_bpermute_b32 v8, v40, v4
	s_waitcnt vmcnt(2)
	v_mad_i64_i32 v[2:3], s[42:43], v14, s49, v[18:19]
	global_load_dwordx4 v[14:17], v[30:31], off
	global_load_dwordx4 v[10:13], v[2:3], off
	v_xor_b32_e32 v3, 16, v6
	v_cmp_lt_i32_e64 s[42:43], v3, v7
	s_waitcnt lgkmcnt(0)
	v_max_f32_e32 v2, v8, v8
	v_max_f32_e32 v2, v4, v2
	v_cndmask_b32_e64 v3, v6, v3, s[42:43]
	v_lshlrev_b32_e32 v41, 2, v3
	ds_bpermute_b32 v3, v41, v2
	s_waitcnt vmcnt(3)
	v_mad_i64_i32 v[30:31], s[42:43], v38, s49, v[18:19]
	s_waitcnt vmcnt(2)
	v_mad_i64_i32 v[18:19], s[42:43], v39, s49, v[18:19]
	s_waitcnt lgkmcnt(0)
	v_max_f32_e32 v3, v3, v3
	v_max_f32_e32 v34, v2, v3
	v_sub_f32_e32 v2, v5, v34
	v_mul_f32_e32 v2, 0x3fb8aa3b, v2
	v_exp_f32_e32 v38, v2
	v_sub_f32_e32 v2, v35, v34
	v_mul_f32_e32 v2, 0x3fb8aa3b, v2
	v_exp_f32_e32 v35, v2
	global_load_dwordx4 v[6:9], v[30:31], off
	global_load_dwordx4 v[2:5], v[18:19], off
	v_sub_f32_e32 v26, v26, v34
	v_mul_f32_e32 v26, 0x3fb8aa3b, v26
	v_sub_f32_e32 v27, v27, v34
	v_exp_f32_e32 v26, v26
	v_mul_f32_e32 v27, 0x3fb8aa3b, v27
	v_exp_f32_e32 v27, v27
	v_cndmask_b32_e64 v18, 0, v38, s[34:35]
	v_add_f32_e32 v30, 0, v18
	v_cndmask_b32_e64 v19, 0, v35, s[36:37]
	v_add_f32_e32 v31, v30, v19
	;; [unrolled: 2-line block ×3, first 2 shown]
	v_cndmask_b32_e64 v31, 0, v27, s[40:41]
	v_sub_f32_e32 v27, v36, v34
	v_mul_f32_e32 v27, 0x3fb8aa3b, v27
	v_sub_f32_e32 v35, v37, v34
	v_exp_f32_e32 v27, v27
	v_mul_f32_e32 v35, 0x3fb8aa3b, v35
	v_sub_f32_e32 v32, v32, v34
	v_exp_f32_e32 v35, v35
	;; [unrolled: 3-line block ×4, first 2 shown]
	v_mul_f32_e32 v28, 0x3fb8aa3b, v28
	v_sub_f32_e32 v29, v29, v34
	v_add_f32_e32 v36, v26, v31
	v_cndmask_b32_e64 v26, 0, v27, s[26:27]
	v_exp_f32_e32 v28, v28
	v_mul_f32_e32 v29, 0x3fb8aa3b, v29
	v_sub_f32_e32 v24, v24, v34
	v_add_f32_e32 v36, v36, v26
	v_cndmask_b32_e64 v27, 0, v35, s[28:29]
	v_exp_f32_e32 v29, v29
	;; [unrolled: 5-line block ×7, first 2 shown]
	v_mul_f32_e32 v21, 0x3fb8aa3b, v21
	v_add_f32_e32 v35, v35, v24
	v_cndmask_b32_e64 v25, 0, v25, s[16:17]
	v_exp_f32_e32 v21, v21
	v_add_f32_e32 v35, v35, v25
	v_cndmask_b32_e64 v22, 0, v22, s[10:11]
	v_add_f32_e32 v35, v35, v22
	v_cndmask_b32_e64 v23, 0, v23, s[12:13]
	v_add_f32_e32 v35, v35, v23
	v_cndmask_b32_e32 v20, 0, v20, vcc
	v_add_f32_e32 v35, v35, v20
	v_cndmask_b32_e64 v21, 0, v21, s[8:9]
	v_add_f32_e32 v35, v35, v21
	ds_bpermute_b32 v36, v40, v35
	v_cmp_gt_u32_e64 s[8:9], 16, v58
	s_waitcnt lgkmcnt(0)
	s_barrier
	v_add_f32_e32 v36, v35, v36
	ds_bpermute_b32 v37, v41, v36
	v_lshlrev_b32_e32 v35, 2, v57
	s_and_saveexec_b64 s[10:11], s[8:9]
	s_cbranch_execz .LBB784_15
; %bb.14:
	s_waitcnt lgkmcnt(0)
	v_add_f32_e32 v36, v36, v37
	v_lshl_or_b32 v37, v56, 6, v35
	ds_write2st64_b32 v37, v34, v36 offset1:1
.LBB784_15:
	s_or_b64 exec, exec, s[10:11]
	s_load_dwordx2 s[10:11], s[0:1], 0x94
	s_waitcnt lgkmcnt(0)
	s_barrier
	ds_read2_b32 v[36:37], v35 offset1:16
	ds_read2_b32 v[38:39], v35 offset0:32 offset1:48
	ds_read2_b32 v[40:41], v35 offset0:64 offset1:80
	s_waitcnt lgkmcnt(2)
	v_max3_f32 v34, v36, s5, v37
	s_waitcnt lgkmcnt(1)
	v_max3_f32 v34, v34, v38, v39
	v_sub_f32_e32 v36, v36, v34
	v_mul_f32_e32 v36, 0x3fb8aa3b, v36
	v_exp_f32_e32 v42, v36
	v_sub_f32_e32 v36, v37, v34
	v_mul_f32_e32 v36, 0x3fb8aa3b, v36
	v_exp_f32_e32 v43, v36
	;; [unrolled: 3-line block ×3, first 2 shown]
	ds_read2_b32 v[36:37], v35 offset0:96 offset1:112
	v_sub_f32_e32 v35, v39, v34
	v_mul_f32_e32 v35, 0x3fb8aa3b, v35
	v_exp_f32_e32 v39, v35
	s_waitcnt lgkmcnt(1)
	v_fma_f32 v35, v42, v40, 0
	v_fmac_f32_e32 v35, v43, v41
	s_waitcnt lgkmcnt(0)
	v_fmac_f32_e32 v35, v38, v36
	v_fmac_f32_e32 v35, v39, v37
	v_add_f32_e32 v37, 0x358637bd, v35
	v_div_scale_f32 v40, s[12:13], v37, v37, 1.0
	v_rcp_f32_e32 v41, v40
	s_barrier
	v_fma_f32 v44, -v40, v41, 1.0
	v_fmac_f32_e32 v41, v44, v41
	v_div_scale_f32 v44, vcc, 1.0, v37, 1.0
	v_mul_f32_e32 v45, v44, v41
	v_fma_f32 v46, -v40, v45, v44
	v_fmac_f32_e32 v45, v46, v41
	v_fma_f32 v40, -v40, v45, v44
	v_div_fmas_f32 v40, v40, v41, v45
	v_cmp_eq_u32_e32 vcc, 1, v56
	v_div_fixup_f32 v37, v40, v37, 1.0
	v_mov_b32_e32 v36, 0
	v_cndmask_b32_e32 v40, v42, v43, vcc
	v_cmp_eq_u32_e32 vcc, 2, v56
	s_nop 1
	v_cndmask_b32_e32 v38, v40, v38, vcc
	v_cmp_eq_u32_e32 vcc, 3, v56
	s_nop 1
	v_cndmask_b32_e32 v38, v38, v39, vcc
	v_mul_f32_e32 v38, v38, v37
	v_pk_mul_f32 v[30:31], v[38:39], v[30:31] op_sel_hi:[0,1]
	v_pk_mul_f32 v[18:19], v[38:39], v[18:19] op_sel_hi:[0,1]
	v_cvt_f16_f32_e32 v18, v18
	v_cvt_f16_f32_e32 v19, v19
	;; [unrolled: 1-line block ×4, first 2 shown]
	v_pk_mul_f32 v[32:33], v[38:39], v[32:33] op_sel_hi:[0,1]
	v_pk_mul_f32 v[26:27], v[38:39], v[26:27] op_sel_hi:[0,1]
	v_cvt_f16_f32_e32 v26, v26
	v_cvt_f16_f32_e32 v27, v27
	;; [unrolled: 1-line block ×4, first 2 shown]
	v_pack_b32_f16 v30, v18, v19
	v_pack_b32_f16 v31, v37, v31
	v_lshlrev_b32_e32 v18, 3, v54
	v_lshlrev_b32_e32 v19, 5, v57
	;; [unrolled: 1-line block ×3, first 2 shown]
	v_or3_b32 v18, v37, v19, v18
	v_pack_b32_f16 v26, v26, v27
	v_pack_b32_f16 v27, v32, v33
	ds_write2st64_b64 v18, v[30:31], v[26:27] offset1:1
	v_pk_mul_f32 v[24:25], v[38:39], v[24:25] op_sel_hi:[0,1]
	v_pk_mul_f32 v[26:27], v[38:39], v[28:29] op_sel_hi:[0,1]
	;; [unrolled: 1-line block ×4, first 2 shown]
	v_cvt_f16_f32_e32 v26, v26
	v_cvt_f16_f32_e32 v27, v27
	;; [unrolled: 1-line block ×8, first 2 shown]
	v_pack_b32_f16 v20, v26, v27
	v_pack_b32_f16 v21, v24, v25
	;; [unrolled: 1-line block ×4, first 2 shown]
	v_cmp_eq_u32_e32 vcc, 0, v0
	ds_write2st64_b64 v18, v[20:21], v[22:23] offset0:2 offset1:3
	s_and_saveexec_b64 s[12:13], vcc
	s_cbranch_execz .LBB784_17
; %bb.16:
	s_mul_i32 s3, s3, s11
	s_mul_hi_u32 s5, s2, s11
	s_add_i32 s5, s5, s3
	s_mul_i32 s3, s2, s11
	s_add_u32 s3, s3, s4
	s_addc_u32 s5, s5, 0
	s_load_dwordx4 s[16:19], s[0:1], 0x58
	s_mul_i32 s5, s5, s10
	s_mul_hi_u32 s14, s3, s10
	s_add_i32 s5, s14, s5
	s_mul_i32 s3, s3, s10
	s_add_u32 s14, s3, s30
	s_addc_u32 s15, s5, 0
	s_lshl_b64 s[14:15], s[14:15], 2
	s_waitcnt lgkmcnt(0)
	s_add_u32 s18, s18, s14
	s_addc_u32 s19, s19, s15
	s_add_u32 s14, s16, s14
	s_addc_u32 s15, s17, s15
	global_store_dword v36, v34, s[18:19]
	global_store_dword v36, v35, s[14:15]
.LBB784_17:
	s_or_b64 exec, exec, s[12:13]
	s_waitcnt vmcnt(3)
	v_cvt_pk_f32_fp8_e32 v[20:21], v14
	v_cvt_pk_f32_fp8_sdwa v[22:23], v14 src0_sel:WORD_1
	v_lshl_or_b32 v14, v54, 9, v19
	s_waitcnt lgkmcnt(0)
	s_barrier
	v_cvt_pk_f32_fp8_e32 v[24:25], v15
	v_cvt_pkrtz_f16_f32 v28, v20, v21
	v_cvt_pkrtz_f16_f32 v29, v22, v23
	v_cvt_pk_f32_fp8_sdwa v[26:27], v15 src0_sel:WORD_1
	ds_read_b128 v[20:23], v14
	v_cvt_pkrtz_f16_f32 v32, v24, v25
	v_cvt_pk_f32_fp8_e32 v[34:35], v16
	v_cvt_pkrtz_f16_f32 v33, v26, v27
	ds_read_b128 v[24:27], v14 offset:16
	v_cvt_pk_f32_fp8_sdwa v[36:37], v16 src0_sel:WORD_1
	s_waitcnt lgkmcnt(1)
	v_mfma_f32_16x16x16_f16 v[28:31], v[28:29], v[20:21], 0
	v_cvt_pkrtz_f16_f32 v34, v34, v35
	s_load_dword s12, s[46:47], 0x0
	v_cvt_pkrtz_f16_f32 v35, v36, v37
	v_cvt_pk_f32_fp8_e32 v[36:37], v17
	v_cvt_pk_f32_fp8_sdwa v[16:17], v17 src0_sel:WORD_1
	v_mfma_f32_16x16x16_f16 v[20:23], v[32:33], v[22:23], v[28:31]
	v_cmp_gt_u32_e32 vcc, 64, v0
	s_and_b64 s[6:7], s[6:7], vcc
	s_mov_b32 s3, 0
	v_cvt_pkrtz_f16_f32 v28, v36, v37
	v_cvt_pkrtz_f16_f32 v29, v16, v17
	s_waitcnt lgkmcnt(0)
	v_mfma_f32_16x16x16_f16 v[20:23], v[34:35], v[24:25], v[20:23]
	s_waitcnt vmcnt(2)
	v_cvt_pk_f32_fp8_e32 v[16:17], v10
	v_cvt_pk_f32_fp8_sdwa v[24:25], v10 src0_sel:WORD_1
	v_cvt_pk_f32_fp8_sdwa v[34:35], v12 src0_sel:WORD_1
	v_mfma_f32_16x16x16_f16 v[20:23], v[28:29], v[26:27], v[20:23]
	v_cvt_pk_f32_fp8_e32 v[26:27], v11
	v_cvt_pkrtz_f16_f32 v10, v16, v17
	v_cvt_pk_f32_fp8_sdwa v[16:17], v11 src0_sel:WORD_1
	v_cvt_pkrtz_f16_f32 v11, v24, v25
	v_cvt_pkrtz_f16_f32 v32, v26, v27
	ds_read_b128 v[24:27], v14 offset:2048
	ds_read_b128 v[28:31], v14 offset:2064
	v_cvt_pkrtz_f16_f32 v33, v16, v17
	v_cvt_pk_f32_fp8_e32 v[16:17], v12
	s_waitcnt lgkmcnt(1)
	v_mfma_f32_16x16x16_f16 v[20:23], v[10:11], v[24:25], v[20:23]
	v_cvt_pkrtz_f16_f32 v11, v34, v35
	v_cvt_pkrtz_f16_f32 v10, v16, v17
	v_cvt_pk_f32_fp8_e32 v[16:17], v13
	v_cvt_pk_f32_fp8_sdwa v[24:25], v13 src0_sel:WORD_1
	v_mfma_f32_16x16x16_f16 v[20:23], v[32:33], v[26:27], v[20:23]
	s_and_b64 s[6:7], s[6:7], s[8:9]
	v_cvt_pkrtz_f16_f32 v16, v16, v17
	v_cvt_pkrtz_f16_f32 v17, v24, v25
	s_waitcnt lgkmcnt(0)
	v_mfma_f32_16x16x16_f16 v[10:13], v[10:11], v[28:29], v[20:23]
	s_waitcnt vmcnt(1)
	v_cvt_pk_f32_fp8_sdwa v[24:25], v7 src0_sel:WORD_1
	v_cvt_pk_f32_fp8_e32 v[28:29], v8
	v_cvt_pk_f32_fp8_e32 v[20:21], v6
	v_mfma_f32_16x16x16_f16 v[10:13], v[16:17], v[30:31], v[10:13]
	v_cvt_pk_f32_fp8_sdwa v[16:17], v6 src0_sel:WORD_1
	v_cvt_pk_f32_fp8_e32 v[22:23], v7
	v_cvt_pkrtz_f16_f32 v6, v20, v21
	v_cvt_pk_f32_fp8_sdwa v[30:31], v8 src0_sel:WORD_1
	v_cvt_pkrtz_f16_f32 v7, v16, v17
	v_cvt_pkrtz_f16_f32 v16, v22, v23
	ds_read_b128 v[20:23], v14 offset:4096
	v_cvt_pkrtz_f16_f32 v17, v24, v25
	ds_read_b128 v[24:27], v14 offset:4112
	s_waitcnt lgkmcnt(1)
	v_mfma_f32_16x16x16_f16 v[10:13], v[6:7], v[20:21], v[10:13]
	v_cvt_pkrtz_f16_f32 v6, v28, v29
	v_cvt_pkrtz_f16_f32 v7, v30, v31
	v_cvt_pk_f32_fp8_e32 v[20:21], v9
	v_mfma_f32_16x16x16_f16 v[10:13], v[16:17], v[22:23], v[10:13]
	v_cvt_pk_f32_fp8_sdwa v[16:17], v9 src0_sel:WORD_1
	v_cvt_pkrtz_f16_f32 v20, v20, v21
	s_waitcnt lgkmcnt(0)
	v_mfma_f32_16x16x16_f16 v[6:9], v[6:7], v[24:25], v[10:13]
	v_cvt_pkrtz_f16_f32 v21, v16, v17
	s_waitcnt vmcnt(0)
	v_cvt_pk_f32_fp8_e32 v[16:17], v3
	v_cvt_pk_f32_fp8_sdwa v[24:25], v4 src0_sel:WORD_1
	v_cvt_pk_f32_fp8_e32 v[10:11], v2
	v_cvt_pk_f32_fp8_sdwa v[12:13], v2 src0_sel:WORD_1
	v_mfma_f32_16x16x16_f16 v[6:9], v[20:21], v[26:27], v[6:9]
	v_cvt_pk_f32_fp8_sdwa v[20:21], v3 src0_sel:WORD_1
	v_cvt_pkrtz_f16_f32 v2, v10, v11
	v_cvt_pkrtz_f16_f32 v3, v12, v13
	ds_read_b128 v[10:13], v14 offset:6144
	v_cvt_pkrtz_f16_f32 v22, v16, v17
	v_cvt_pkrtz_f16_f32 v23, v20, v21
	v_cvt_pk_f32_fp8_e32 v[20:21], v4
	s_waitcnt lgkmcnt(0)
	v_mfma_f32_16x16x16_f16 v[6:9], v[2:3], v[10:11], v[6:9]
	ds_read_b128 v[14:17], v14 offset:6160
	v_cvt_pkrtz_f16_f32 v2, v20, v21
	v_cvt_pkrtz_f16_f32 v3, v24, v25
	v_cvt_pk_f32_fp8_e32 v[10:11], v5
	v_mfma_f32_16x16x16_f16 v[6:9], v[22:23], v[12:13], v[6:9]
	v_cvt_pk_f32_fp8_sdwa v[12:13], v5 src0_sel:WORD_1
	s_waitcnt lgkmcnt(0)
	v_cvt_pkrtz_f16_f32 v10, v10, v11
	v_mfma_f32_16x16x16_f16 v[2:5], v[2:3], v[14:15], v[6:9]
	v_cvt_pkrtz_f16_f32 v11, v12, v13
	s_barrier
	s_nop 0
	v_mfma_f32_16x16x16_f16 v[2:5], v[10:11], v[16:17], v[2:5]
	s_nop 6
	v_pk_mul_f32 v[4:5], v[4:5], s[12:13] op_sel_hi:[1,0]
	v_pk_mul_f32 v[2:3], v[2:3], s[12:13] op_sel_hi:[1,0]
	v_cvt_f16_f32_e32 v4, v4
	v_cvt_f16_f32_e32 v2, v2
	;; [unrolled: 1-line block ×4, first 2 shown]
	v_pack_b32_f16 v2, v2, v3
	v_pack_b32_f16 v3, v4, v5
	ds_write_b64 v18, v[2:3]
	s_waitcnt lgkmcnt(0)
	s_barrier
	s_and_saveexec_b64 s[8:9], s[6:7]
	s_cbranch_execz .LBB784_19
; %bb.18:
	s_load_dwordx2 s[0:1], s[0:1], 0x68
	s_mul_i32 s2, s11, s2
	s_lshl_b32 s5, s10, 6
	s_mul_hi_u32 s7, s2, s5
	s_mul_i32 s6, s2, s5
	s_lshl_b64 s[6:7], s[6:7], 1
	v_lshlrev_b32_e32 v0, 10, v0
	s_waitcnt lgkmcnt(0)
	s_add_u32 s6, s0, s6
	v_and_b32_e32 v0, 0x1800, v0
	v_lshlrev_b32_e32 v2, 5, v54
	v_and_b32_e32 v3, 16, v55
	s_addc_u32 s7, s1, s7
	s_lshl_b32 s2, s30, 6
	v_or3_b32 v0, v0, v2, v3
	s_lshl_b64 s[0:1], s[2:3], 1
	ds_read_b128 v[2:5], v0
	s_add_u32 s2, s6, s0
	s_addc_u32 s3, s7, s1
	s_mul_hi_u32 s1, s5, s4
	s_mul_i32 s0, s5, s4
	s_lshl_b64 s[0:1], s[0:1], 1
	s_add_u32 s0, s2, s0
	s_addc_u32 s1, s3, s1
	s_waitcnt lgkmcnt(0)
	global_store_dwordx4 v1, v[2:5], s[0:1]
.LBB784_19:
	s_endpgm
	.section	.rodata,"a",@progbits
	.p2align	6, 0x0
	.amdhsa_kernel _Z39paged_attention_ll4mi_QKV_mfma16_kernelIDF16_hLN4vllm18Fp8KVCacheDataTypeE1EhLi16ELi64ELi256ELb1ELi1EEvPKT_PKT0_S7_ifPKiS9_S9_iPKfiiiPfSC_PS2_PT2_iSB_SB_
		.amdhsa_group_segment_fixed_size 8192
		.amdhsa_private_segment_fixed_size 0
		.amdhsa_kernarg_size 400
		.amdhsa_user_sgpr_count 2
		.amdhsa_user_sgpr_dispatch_ptr 0
		.amdhsa_user_sgpr_queue_ptr 0
		.amdhsa_user_sgpr_kernarg_segment_ptr 1
		.amdhsa_user_sgpr_dispatch_id 0
		.amdhsa_user_sgpr_kernarg_preload_length 0
		.amdhsa_user_sgpr_kernarg_preload_offset 0
		.amdhsa_user_sgpr_private_segment_size 0
		.amdhsa_uses_dynamic_stack 0
		.amdhsa_enable_private_segment 0
		.amdhsa_system_sgpr_workgroup_id_x 1
		.amdhsa_system_sgpr_workgroup_id_y 1
		.amdhsa_system_sgpr_workgroup_id_z 1
		.amdhsa_system_sgpr_workgroup_info 0
		.amdhsa_system_vgpr_workitem_id 0
		.amdhsa_next_free_vgpr 74
		.amdhsa_next_free_sgpr 52
		.amdhsa_accum_offset 76
		.amdhsa_reserve_vcc 1
		.amdhsa_float_round_mode_32 0
		.amdhsa_float_round_mode_16_64 0
		.amdhsa_float_denorm_mode_32 3
		.amdhsa_float_denorm_mode_16_64 3
		.amdhsa_dx10_clamp 1
		.amdhsa_ieee_mode 1
		.amdhsa_fp16_overflow 0
		.amdhsa_tg_split 0
		.amdhsa_exception_fp_ieee_invalid_op 0
		.amdhsa_exception_fp_denorm_src 0
		.amdhsa_exception_fp_ieee_div_zero 0
		.amdhsa_exception_fp_ieee_overflow 0
		.amdhsa_exception_fp_ieee_underflow 0
		.amdhsa_exception_fp_ieee_inexact 0
		.amdhsa_exception_int_div_zero 0
	.end_amdhsa_kernel
	.section	.text._Z39paged_attention_ll4mi_QKV_mfma16_kernelIDF16_hLN4vllm18Fp8KVCacheDataTypeE1EhLi16ELi64ELi256ELb1ELi1EEvPKT_PKT0_S7_ifPKiS9_S9_iPKfiiiPfSC_PS2_PT2_iSB_SB_,"axG",@progbits,_Z39paged_attention_ll4mi_QKV_mfma16_kernelIDF16_hLN4vllm18Fp8KVCacheDataTypeE1EhLi16ELi64ELi256ELb1ELi1EEvPKT_PKT0_S7_ifPKiS9_S9_iPKfiiiPfSC_PS2_PT2_iSB_SB_,comdat
.Lfunc_end784:
	.size	_Z39paged_attention_ll4mi_QKV_mfma16_kernelIDF16_hLN4vllm18Fp8KVCacheDataTypeE1EhLi16ELi64ELi256ELb1ELi1EEvPKT_PKT0_S7_ifPKiS9_S9_iPKfiiiPfSC_PS2_PT2_iSB_SB_, .Lfunc_end784-_Z39paged_attention_ll4mi_QKV_mfma16_kernelIDF16_hLN4vllm18Fp8KVCacheDataTypeE1EhLi16ELi64ELi256ELb1ELi1EEvPKT_PKT0_S7_ifPKiS9_S9_iPKfiiiPfSC_PS2_PT2_iSB_SB_
                                        ; -- End function
	.section	.AMDGPU.csdata,"",@progbits
; Kernel info:
; codeLenInByte = 4708
; NumSgprs: 58
; NumVgprs: 74
; NumAgprs: 0
; TotalNumVgprs: 74
; ScratchSize: 0
; MemoryBound: 0
; FloatMode: 240
; IeeeMode: 1
; LDSByteSize: 8192 bytes/workgroup (compile time only)
; SGPRBlocks: 7
; VGPRBlocks: 9
; NumSGPRsForWavesPerEU: 58
; NumVGPRsForWavesPerEU: 74
; AccumOffset: 76
; Occupancy: 6
; WaveLimiterHint : 1
; COMPUTE_PGM_RSRC2:SCRATCH_EN: 0
; COMPUTE_PGM_RSRC2:USER_SGPR: 2
; COMPUTE_PGM_RSRC2:TRAP_HANDLER: 0
; COMPUTE_PGM_RSRC2:TGID_X_EN: 1
; COMPUTE_PGM_RSRC2:TGID_Y_EN: 1
; COMPUTE_PGM_RSRC2:TGID_Z_EN: 1
; COMPUTE_PGM_RSRC2:TIDIG_COMP_CNT: 0
; COMPUTE_PGM_RSRC3_GFX90A:ACCUM_OFFSET: 18
; COMPUTE_PGM_RSRC3_GFX90A:TG_SPLIT: 0
	.section	.text._Z39paged_attention_ll4mi_QKV_mfma16_kernelIDF16_hLN4vllm18Fp8KVCacheDataTypeE1EhLi16ELi64ELi256ELb1ELi2EEvPKT_PKT0_S7_ifPKiS9_S9_iPKfiiiPfSC_PS2_PT2_iSB_SB_,"axG",@progbits,_Z39paged_attention_ll4mi_QKV_mfma16_kernelIDF16_hLN4vllm18Fp8KVCacheDataTypeE1EhLi16ELi64ELi256ELb1ELi2EEvPKT_PKT0_S7_ifPKiS9_S9_iPKfiiiPfSC_PS2_PT2_iSB_SB_,comdat
	.protected	_Z39paged_attention_ll4mi_QKV_mfma16_kernelIDF16_hLN4vllm18Fp8KVCacheDataTypeE1EhLi16ELi64ELi256ELb1ELi2EEvPKT_PKT0_S7_ifPKiS9_S9_iPKfiiiPfSC_PS2_PT2_iSB_SB_ ; -- Begin function _Z39paged_attention_ll4mi_QKV_mfma16_kernelIDF16_hLN4vllm18Fp8KVCacheDataTypeE1EhLi16ELi64ELi256ELb1ELi2EEvPKT_PKT0_S7_ifPKiS9_S9_iPKfiiiPfSC_PS2_PT2_iSB_SB_
	.globl	_Z39paged_attention_ll4mi_QKV_mfma16_kernelIDF16_hLN4vllm18Fp8KVCacheDataTypeE1EhLi16ELi64ELi256ELb1ELi2EEvPKT_PKT0_S7_ifPKiS9_S9_iPKfiiiPfSC_PS2_PT2_iSB_SB_
	.p2align	8
	.type	_Z39paged_attention_ll4mi_QKV_mfma16_kernelIDF16_hLN4vllm18Fp8KVCacheDataTypeE1EhLi16ELi64ELi256ELb1ELi2EEvPKT_PKT0_S7_ifPKiS9_S9_iPKfiiiPfSC_PS2_PT2_iSB_SB_,@function
_Z39paged_attention_ll4mi_QKV_mfma16_kernelIDF16_hLN4vllm18Fp8KVCacheDataTypeE1EhLi16ELi64ELi256ELb1ELi2EEvPKT_PKT0_S7_ifPKiS9_S9_iPKfiiiPfSC_PS2_PT2_iSB_SB_: ; @_Z39paged_attention_ll4mi_QKV_mfma16_kernelIDF16_hLN4vllm18Fp8KVCacheDataTypeE1EhLi16ELi64ELi256ELb1ELi2EEvPKT_PKT0_S7_ifPKiS9_S9_iPKfiiiPfSC_PS2_PT2_iSB_SB_
; %bb.0:
	s_load_dwordx2 s[8:9], s[0:1], 0x30
	s_mov_b32 s16, s3
	s_mov_b64 s[6:7], 0
	s_waitcnt lgkmcnt(0)
	s_cmp_lg_u64 s[8:9], 0
	s_cselect_b64 s[10:11], -1, 0
	s_and_b64 vcc, exec, s[10:11]
	s_cbranch_vccz .LBB785_7
; %bb.1:
	s_add_i32 s12, s2, 1
	s_mov_b32 s13, 0
	s_lshl_b64 s[14:15], s[12:13], 2
	s_add_u32 s14, s8, s14
	s_mov_b32 s3, s13
	s_addc_u32 s15, s9, s15
	s_lshl_b64 s[12:13], s[2:3], 2
	s_add_u32 s12, s8, s12
	s_addc_u32 s13, s9, s13
	s_load_dword s5, s[14:15], 0x0
	s_load_dword s17, s[12:13], 0x0
	s_waitcnt lgkmcnt(0)
	s_sub_i32 s5, s5, s17
	s_cmp_eq_u32 s5, 1
	s_cselect_b64 s[12:13], -1, 0
	s_andn2_b64 vcc, exec, s[6:7]
	s_cbranch_vccnz .LBB785_3
.LBB785_2:
	s_mov_b32 s3, 0
	s_mov_b64 s[12:13], -1
.LBB785_3:
	s_andn2_b64 vcc, exec, s[12:13]
	s_cbranch_vccnz .LBB785_19
; %bb.4:
	s_load_dwordx2 s[6:7], s[0:1], 0x28
	s_lshl_b64 s[12:13], s[2:3], 2
	s_waitcnt lgkmcnt(0)
	s_add_u32 s6, s6, s12
	s_addc_u32 s7, s7, s13
	s_load_dword s33, s[6:7], 0x0
	s_lshl_b32 s20, s16, 8
	s_waitcnt lgkmcnt(0)
	s_cmp_ge_i32 s20, s33
	s_cbranch_scc1 .LBB785_19
; %bb.5:
	s_load_dwordx2 s[6:7], s[0:1], 0x20
	s_load_dword s5, s[0:1], 0x38
	s_add_i32 s14, s33, 15
	s_ashr_i32 s15, s14, 31
	v_and_b32_e32 v1, 0xcf, v0
	s_lshr_b32 s15, s15, 28
	v_add_u32_e32 v1, s20, v1
	s_add_i32 s14, s14, s15
	v_ashrrev_i32_e32 v2, 31, v1
	s_ashr_i32 s21, s14, 4
	v_lshrrev_b32_e32 v4, 28, v2
	s_add_i32 s21, s21, -1
	s_waitcnt lgkmcnt(0)
	s_mul_i32 s14, s2, s5
	s_mov_b32 s15, 0
	v_add_u32_e32 v2, v1, v4
	s_lshl_b64 s[14:15], s[14:15], 2
	v_ashrrev_i32_e32 v2, 4, v2
	v_mov_b32_e32 v5, s21
	v_cmp_gt_i32_e32 vcc, s33, v1
	s_add_u32 s6, s6, s14
	s_addc_u32 s7, s7, s15
	v_cndmask_b32_e32 v2, v5, v2, vcc
	v_ashrrev_i32_e32 v3, 31, v2
	v_lshl_add_u64 v[6:7], v[2:3], 2, s[6:7]
	v_or_b32_e32 v2, 16, v1
	v_add_u32_e32 v3, v2, v4
	v_ashrrev_i32_e32 v3, 4, v3
	v_cmp_gt_i32_e32 vcc, s33, v2
	s_load_dwordx2 s[14:15], s[0:1], 0x8
	s_nop 0
	v_cndmask_b32_e32 v2, v5, v3, vcc
	v_ashrrev_i32_e32 v3, 31, v2
	v_lshl_add_u64 v[8:9], v[2:3], 2, s[6:7]
	v_or_b32_e32 v2, 32, v1
	v_add_u32_e32 v3, v2, v4
	v_ashrrev_i32_e32 v3, 4, v3
	v_cmp_gt_i32_e32 vcc, s33, v2
	v_or_b32_e32 v1, 48, v1
	s_nop 0
	v_cndmask_b32_e32 v2, v5, v3, vcc
	v_ashrrev_i32_e32 v3, 31, v2
	v_lshl_add_u64 v[10:11], v[2:3], 2, s[6:7]
	v_add_u32_e32 v2, v1, v4
	v_ashrrev_i32_e32 v2, 4, v2
	v_cmp_gt_i32_e32 vcc, s33, v1
	s_nop 1
	v_cndmask_b32_e32 v2, v5, v2, vcc
	v_ashrrev_i32_e32 v3, 31, v2
	v_lshl_add_u64 v[12:13], v[2:3], 2, s[6:7]
	global_load_dword v5, v[6:7], off
	global_load_dword v4, v[8:9], off
	;; [unrolled: 1-line block ×4, first 2 shown]
	s_andn2_b64 vcc, exec, s[10:11]
	s_cbranch_vccnz .LBB785_8
; %bb.6:
	s_add_u32 s8, s8, s12
	s_addc_u32 s9, s9, s13
	s_load_dword s5, s[8:9], 0x0
	s_branch .LBB785_9
.LBB785_7:
	s_mov_b64 s[12:13], 0
	s_branch .LBB785_2
.LBB785_8:
	s_mov_b32 s5, s2
.LBB785_9:
	s_load_dwordx2 s[8:9], s[0:1], 0x10
	s_load_dwordx4 s[44:47], s[0:1], 0x48
	v_lshrrev_b32_e32 v46, 6, v0
	v_bfe_u32 v1, v0, 4, 2
	v_lshl_or_b32 v6, v46, 2, v1
	v_and_b32_e32 v47, 15, v0
	v_lshlrev_b32_e32 v7, 3, v47
	v_cmp_gt_u32_e32 vcc, 2, v6
	v_cmp_gt_u32_e64 s[18:19], 8, v47
	s_lshl_b32 s17, s4, 1
	s_and_b64 s[12:13], s[18:19], vcc
	v_lshlrev_b32_e32 v26, 1, v7
	v_lshlrev_b32_e32 v44, 4, v0
	s_and_saveexec_b64 s[10:11], s[12:13]
	s_cbranch_execz .LBB785_11
; %bb.10:
	s_load_dwordx2 s[12:13], s[0:1], 0x0
	s_waitcnt lgkmcnt(0)
	s_ashr_i32 s22, s44, 31
	s_mul_hi_u32 s23, s5, s44
	s_mul_i32 s22, s5, s22
	s_add_i32 s23, s23, s22
	s_mul_i32 s22, s5, s44
	s_lshl_b64 s[22:23], s[22:23], 1
	s_add_u32 s12, s12, s22
	v_add_lshl_u32 v8, v1, s17, 6
	s_addc_u32 s13, s13, s23
	v_ashrrev_i32_e32 v9, 31, v8
	v_lshl_add_u64 v[8:9], v[8:9], 1, s[12:13]
	v_mov_b32_e32 v27, 0
	v_lshl_add_u64 v[8:9], v[8:9], 0, v[26:27]
	global_load_dwordx4 v[8:11], v[8:9], off
	v_lshlrev_b32_e32 v12, 8, v47
	v_lshlrev_b32_e32 v6, 5, v6
	v_and_b32_e32 v7, 16, v44
	v_and_b32_e32 v12, 0xe00, v12
	v_or3_b32 v6, v12, v6, v7
	s_waitcnt vmcnt(0)
	ds_write_b128 v6, v[8:11]
.LBB785_11:
	s_or_b64 exec, exec, s[10:11]
	s_waitcnt lgkmcnt(0)
	s_mul_i32 s10, s4, s46
	s_add_u32 s4, s14, s10
	s_addc_u32 s5, s15, 0
	v_and_b32_e32 v30, 48, v0
	v_and_b32_e32 v28, 0xf0, v44
	v_mov_b32_e32 v29, 0
	v_lshl_add_u64 v[6:7], s[4:5], 0, v[28:29]
	v_lshlrev_b32_e32 v28, 4, v30
	v_lshl_add_u64 v[6:7], v[6:7], 0, v[28:29]
	s_waitcnt vmcnt(3)
	v_mad_i64_i32 v[8:9], s[4:5], v5, s45, v[6:7]
	s_waitcnt vmcnt(2)
	v_mad_i64_i32 v[4:5], s[4:5], v4, s45, v[6:7]
	s_barrier
	global_load_dwordx4 v[22:25], v[8:9], off
	global_load_dwordx4 v[18:21], v[4:5], off
	s_waitcnt vmcnt(3)
	v_mad_i64_i32 v[4:5], s[4:5], v3, s45, v[6:7]
	s_waitcnt vmcnt(2)
	v_mad_i64_i32 v[2:3], s[4:5], v2, s45, v[6:7]
	global_load_dwordx4 v[14:17], v[4:5], off
	global_load_dwordx4 v[6:9], v[2:3], off
	v_and_b32_e32 v2, 1, v0
	v_lshlrev_b32_e32 v2, 5, v2
	v_lshl_or_b32 v2, v1, 9, v2
	ds_read_b128 v[10:13], v2
	ds_read_b128 v[2:5], v2 offset:16
	v_and_b32_e32 v45, 63, v0
	v_cmp_gt_u32_e32 vcc, 2, v47
	v_mov_b32_e32 v27, 0
	s_and_saveexec_b64 s[4:5], vcc
	s_cbranch_execz .LBB785_13
; %bb.12:
	s_load_dwordx2 s[12:13], s[0:1], 0x40
	v_or_b32_e32 v32, s17, v47
	v_ashrrev_i32_e32 v33, 31, v32
	s_waitcnt lgkmcnt(0)
	v_lshl_add_u64 v[32:33], v[32:33], 2, s[12:13]
	global_load_dword v27, v[32:33], off
.LBB785_13:
	s_or_b64 exec, exec, s[4:5]
	v_or_b32_e32 v49, s20, v30
	v_ashrrev_i32_e32 v28, 4, v49
	v_mov_b32_e32 v63, s21
	v_cmp_gt_i32_e32 vcc, s33, v49
	s_waitcnt vmcnt(3)
	v_cvt_pk_f32_fp8_e32 v[38:39], v22
	v_cvt_pk_f32_fp8_sdwa v[40:41], v22 src0_sel:WORD_1
	v_cndmask_b32_e32 v30, v63, v28, vcc
	v_ashrrev_i32_e32 v31, 31, v30
	v_lshl_add_u64 v[30:31], v[30:31], 2, s[6:7]
	global_load_dword v48, v[30:31], off
	v_cvt_pk_f32_fp8_e32 v[42:43], v23
	v_cvt_pk_f32_fp8_sdwa v[30:31], v23 src0_sel:WORD_1
	v_cvt_pk_f32_fp8_e32 v[34:35], v24
	v_cvt_pk_f32_fp8_sdwa v[36:37], v24 src0_sel:WORD_1
	;; [unrolled: 2-line block ×3, first 2 shown]
	s_waitcnt vmcnt(3)
	v_cvt_pk_f32_fp8_e32 v[24:25], v18
	v_cvt_pk_f32_fp8_sdwa v[50:51], v18 src0_sel:WORD_1
	v_cvt_pk_f32_fp8_e32 v[54:55], v20
	v_cvt_pk_f32_fp8_sdwa v[56:57], v20 src0_sel:WORD_1
	;; [unrolled: 2-line block ×3, first 2 shown]
	v_cvt_pkrtz_f16_f32 v20, v38, v39
	v_cvt_pkrtz_f16_f32 v21, v40, v41
	s_add_u32 s4, s8, s10
	v_cvt_pk_f32_fp8_e32 v[52:53], v19
	v_cvt_pk_f32_fp8_sdwa v[18:19], v19 src0_sel:WORD_1
	v_lshlrev_b32_e32 v28, 4, v47
	v_lshl_or_b32 v28, v46, 8, v28
	s_addc_u32 s5, s9, 0
	v_lshl_add_u64 v[28:29], s[4:5], 0, v[28:29]
	s_load_dword s4, s[0:1], 0x1c
	s_load_dwordx4 s[40:43], s[0:1], 0x80
	v_cvt_pkrtz_f16_f32 v24, v24, v25
	v_cvt_pkrtz_f16_f32 v25, v50, v51
	;; [unrolled: 1-line block ×6, first 2 shown]
	s_waitcnt lgkmcnt(0)
	v_mfma_f32_16x16x16_f16 v[18:21], v[20:21], v[10:11], 0
	s_waitcnt vmcnt(2)
	v_cvt_pk_f32_fp8_e32 v[38:39], v14
	v_cvt_pk_f32_fp8_sdwa v[40:41], v14 src0_sel:WORD_1
	v_or_b32_e32 v14, 64, v49
	v_or_b32_e32 v64, 0x80, v49
	v_ashrrev_i32_e32 v62, 4, v14
	v_cvt_pkrtz_f16_f32 v50, v34, v35
	v_cvt_pkrtz_f16_f32 v51, v36, v37
	v_cmp_gt_i32_e32 vcc, s33, v14
	s_load_dword s44, s[0:1], 0x98
	s_load_dword s5, s[40:41], 0x0
	v_or_b32_e32 v49, 0xc0, v49
	v_ashrrev_i32_e32 v65, 4, v64
	v_cndmask_b32_e32 v62, v63, v62, vcc
	v_cmp_gt_i32_e32 vcc, s33, v64
	v_cvt_pkrtz_f16_f32 v35, v22, v23
	v_mfma_f32_16x16x16_f16 v[22:25], v[24:25], v[10:11], 0
	v_ashrrev_i32_e32 v66, 4, v49
	v_cndmask_b32_e32 v64, v63, v65, vcc
	v_cmp_gt_i32_e32 vcc, s33, v49
	v_mfma_f32_16x16x16_f16 v[18:21], v[42:43], v[12:13], v[18:21]
	v_ashrrev_i32_e32 v65, 31, v64
	v_cndmask_b32_e32 v66, v63, v66, vcc
	v_ashrrev_i32_e32 v63, 31, v62
	v_cvt_pkrtz_f16_f32 v34, v32, v33
	v_ashrrev_i32_e32 v67, 31, v66
	v_cvt_pkrtz_f16_f32 v54, v54, v55
	v_cvt_pkrtz_f16_f32 v55, v56, v57
	;; [unrolled: 1-line block ×4, first 2 shown]
	v_lshl_add_u64 v[38:39], v[62:63], 2, s[6:7]
	v_lshl_add_u64 v[40:41], v[64:65], 2, s[6:7]
	v_mov_b32_e32 v14, s4
	v_cvt_pk_f32_fp8_e32 v[30:31], v15
	v_mfma_f32_16x16x16_f16 v[22:25], v[52:53], v[12:13], v[22:25]
	v_lshl_add_u64 v[42:43], v[66:67], 2, s[6:7]
	v_cvt_pkrtz_f16_f32 v36, v58, v59
	v_cvt_pkrtz_f16_f32 v37, v60, v61
	v_mfma_f32_16x16x16_f16 v[18:21], v[50:51], v[2:3], v[18:21]
	global_load_dword v50, v[38:39], off
	global_load_dword v51, v[40:41], off
	;; [unrolled: 1-line block ×3, first 2 shown]
	s_waitcnt lgkmcnt(0)
	v_mul_f32_e32 v40, s5, v14
	v_cvt_pk_f32_fp8_sdwa v[14:15], v15 src0_sel:WORD_1
	v_mfma_f32_16x16x16_f16 v[22:25], v[54:55], v[2:3], v[22:25]
	v_cvt_pk_f32_fp8_e32 v[38:39], v16
	v_cvt_pk_f32_fp8_sdwa v[42:43], v16 src0_sel:WORD_1
	s_mov_b32 s46, 0xff7fffff
	v_mfma_f32_16x16x16_f16 v[18:21], v[34:35], v[4:5], v[18:21]
	v_cvt_pkrtz_f16_f32 v34, v30, v31
	v_cvt_pkrtz_f16_f32 v35, v14, v15
	;; [unrolled: 1-line block ×3, first 2 shown]
	v_mfma_f32_16x16x16_f16 v[30:33], v[32:33], v[10:11], 0
	v_cvt_pkrtz_f16_f32 v39, v42, v43
	v_cvt_pk_f32_fp8_e32 v[42:43], v17
	v_mfma_f32_16x16x16_f16 v[22:25], v[36:37], v[4:5], v[22:25]
	s_waitcnt vmcnt(3)
	v_mad_i64_i32 v[36:37], s[4:5], v48, s45, v[28:29]
	v_cvt_pk_f32_fp8_sdwa v[48:49], v17 src0_sel:WORD_1
	v_mfma_f32_16x16x16_f16 v[14:17], v[34:35], v[12:13], v[30:33]
	v_cvt_pk_f32_fp8_e32 v[34:35], v8
	s_nop 1
	v_pk_mul_f32 v[30:31], v[40:41], v[20:21] op_sel_hi:[0,1]
	v_cvt_pkrtz_f16_f32 v20, v42, v43
	v_cvt_pkrtz_f16_f32 v21, v48, v49
	v_mfma_f32_16x16x16_f16 v[14:17], v[38:39], v[2:3], v[14:17]
	v_pk_mul_f32 v[38:39], v[40:41], v[18:19] op_sel_hi:[0,1]
	v_cvt_pk_f32_fp8_e32 v[18:19], v6
	v_cvt_pk_f32_fp8_sdwa v[32:33], v6 src0_sel:WORD_1
	v_mfma_f32_16x16x16_f16 v[14:17], v[20:21], v[4:5], v[14:17]
	v_cvt_pk_f32_fp8_e32 v[20:21], v7
	v_cvt_pkrtz_f16_f32 v18, v18, v19
	v_cvt_pkrtz_f16_f32 v19, v32, v33
	v_cvt_pk_f32_fp8_sdwa v[6:7], v7 src0_sel:WORD_1
	v_cvt_pkrtz_f16_f32 v32, v20, v21
	v_cvt_pk_f32_fp8_sdwa v[42:43], v8 src0_sel:WORD_1
	v_mfma_f32_16x16x16_f16 v[18:21], v[18:19], v[10:11], 0
	v_cvt_pkrtz_f16_f32 v33, v6, v7
	v_cvt_pkrtz_f16_f32 v10, v34, v35
	;; [unrolled: 1-line block ×3, first 2 shown]
	v_cvt_pk_f32_fp8_e32 v[34:35], v9
	v_cvt_pk_f32_fp8_sdwa v[42:43], v9 src0_sel:WORD_1
	v_mfma_f32_16x16x16_f16 v[6:9], v[32:33], v[12:13], v[18:21]
	v_pk_mul_f32 v[32:33], v[40:41], v[24:25] op_sel_hi:[0,1]
	v_cvt_pkrtz_f16_f32 v12, v34, v35
	v_cvt_pkrtz_f16_f32 v13, v42, v43
	v_mfma_f32_16x16x16_f16 v[6:9], v[10:11], v[2:3], v[6:9]
	v_pk_mul_f32 v[34:35], v[40:41], v[22:23] op_sel_hi:[0,1]
	v_pk_mul_f32 v[22:23], v[40:41], v[16:17] op_sel_hi:[0,1]
	;; [unrolled: 1-line block ×3, first 2 shown]
	v_mfma_f32_16x16x16_f16 v[2:5], v[12:13], v[4:5], v[6:9]
	s_nop 6
	v_pk_mul_f32 v[20:21], v[40:41], v[2:3] op_sel_hi:[0,1]
	v_and_b32_e32 v2, 0xc0, v0
	v_add_u32_e32 v2, s20, v2
	v_lshl_or_b32 v2, v1, 2, v2
	v_or_b32_e32 v3, 1, v2
	v_pk_mul_f32 v[18:19], v[40:41], v[4:5] op_sel_hi:[0,1]
	v_subrev_u32_e32 v4, s33, v3
	v_add_u32_e32 v6, 1, v4
	v_add_u32_e32 v7, 2, v4
	;; [unrolled: 1-line block ×3, first 2 shown]
	v_cvt_f32_i32_e32 v6, v6
	v_cvt_f32_i32_e32 v7, v7
	;; [unrolled: 1-line block ×3, first 2 shown]
	v_add_u32_e32 v9, 19, v4
	v_fmac_f32_e32 v39, v27, v6
	v_fma_f32 v30, v27, v7, v30
	v_fmac_f32_e32 v31, v27, v8
	v_add_u32_e32 v6, 16, v4
	v_add_u32_e32 v7, 17, v4
	;; [unrolled: 1-line block ×3, first 2 shown]
	v_cvt_f32_i32_e32 v6, v6
	v_cvt_f32_i32_e32 v7, v7
	;; [unrolled: 1-line block ×4, first 2 shown]
	v_fma_f32 v34, v27, v6, v34
	v_fmac_f32_e32 v35, v27, v7
	v_fma_f32 v32, v27, v8, v32
	v_add_u32_e32 v6, 32, v4
	v_add_u32_e32 v7, 33, v4
	v_add_u32_e32 v8, 34, v4
	v_cvt_f32_i32_e32 v6, v6
	v_cvt_f32_i32_e32 v7, v7
	;; [unrolled: 1-line block ×4, first 2 shown]
	v_fmac_f32_e32 v33, v27, v9
	v_add_u32_e32 v9, 35, v4
	v_fma_f32 v24, v27, v6, v24
	v_fmac_f32_e32 v25, v27, v7
	v_fma_f32 v22, v27, v8, v22
	v_add_u32_e32 v6, 48, v4
	v_add_u32_e32 v7, 49, v4
	;; [unrolled: 1-line block ×4, first 2 shown]
	v_cvt_f32_i32_e32 v4, v4
	v_cvt_f32_i32_e32 v6, v6
	;; [unrolled: 1-line block ×3, first 2 shown]
	v_fma_f32 v5, v27, v5, v38
	v_fmac_f32_e32 v19, v27, v4
	v_mov_b32_e32 v4, 0xff7fffff
	v_cmp_gt_i32_e64 s[4:5], s33, v2
	v_cmp_gt_i32_e64 s[20:21], s33, v3
	v_fma_f32 v20, v27, v6, v20
	v_cndmask_b32_e64 v6, v4, v5, s[4:5]
	v_cndmask_b32_e64 v3, v4, v39, s[20:21]
	v_fmac_f32_e32 v21, v27, v7
	v_max3_f32 v3, v6, s46, v3
	v_or_b32_e32 v6, 2, v2
	v_or_b32_e32 v7, 3, v2
	v_cmp_gt_i32_e64 s[22:23], s33, v6
	v_cmp_gt_i32_e64 s[24:25], s33, v7
	v_cvt_f32_i32_e32 v9, v9
	v_cndmask_b32_e64 v6, v4, v30, s[22:23]
	v_cndmask_b32_e64 v7, v4, v31, s[24:25]
	v_max3_f32 v3, v3, v6, v7
	v_or_b32_e32 v6, 16, v2
	v_or_b32_e32 v7, 17, v2
	v_cmp_gt_i32_e64 s[26:27], s33, v6
	v_cmp_gt_i32_e64 s[28:29], s33, v7
	v_fmac_f32_e32 v23, v27, v9
	v_cndmask_b32_e64 v6, v4, v34, s[26:27]
	v_cndmask_b32_e64 v7, v4, v35, s[28:29]
	v_max3_f32 v3, v3, v6, v7
	v_or_b32_e32 v6, 18, v2
	v_or_b32_e32 v7, 19, v2
	v_cmp_gt_i32_e64 s[30:31], s33, v6
	v_cmp_gt_i32_e64 s[34:35], s33, v7
	v_cvt_f32_i32_e32 v8, v8
	v_cndmask_b32_e64 v6, v4, v32, s[30:31]
	v_cndmask_b32_e64 v7, v4, v33, s[34:35]
	v_max3_f32 v3, v3, v6, v7
	v_or_b32_e32 v6, 32, v2
	v_or_b32_e32 v7, 33, v2
	v_cmp_gt_i32_e64 s[36:37], s33, v6
	v_cmp_gt_i32_e64 s[38:39], s33, v7
	v_fma_f32 v18, v27, v8, v18
	v_cndmask_b32_e64 v6, v4, v24, s[36:37]
	v_cndmask_b32_e64 v7, v4, v25, s[38:39]
	v_max3_f32 v3, v3, v6, v7
	v_or_b32_e32 v6, 34, v2
	v_or_b32_e32 v7, 35, v2
	v_cmp_gt_i32_e64 s[12:13], s33, v6
	v_cmp_gt_i32_e64 s[14:15], s33, v7
	s_nop 0
	v_cndmask_b32_e64 v6, v4, v22, s[12:13]
	v_cndmask_b32_e64 v7, v4, v23, s[14:15]
	v_max3_f32 v3, v3, v6, v7
	v_or_b32_e32 v6, 48, v2
	v_or_b32_e32 v7, 49, v2
	v_cmp_gt_i32_e64 s[8:9], s33, v6
	v_cmp_gt_i32_e64 s[10:11], s33, v7
	s_nop 0
	v_cndmask_b32_e64 v6, v4, v20, s[8:9]
	v_cndmask_b32_e64 v7, v4, v21, s[10:11]
	v_max3_f32 v3, v3, v6, v7
	v_or_b32_e32 v6, 50, v2
	v_or_b32_e32 v2, 51, v2
	v_cmp_gt_i32_e32 vcc, s33, v6
	v_cmp_gt_i32_e64 s[6:7], s33, v2
	s_nop 0
	v_cndmask_b32_e32 v6, v4, v18, vcc
	v_cndmask_b32_e64 v2, v4, v19, s[6:7]
	v_max3_f32 v4, v3, v6, v2
	v_mbcnt_lo_u32_b32 v2, -1, 0
	v_mbcnt_hi_u32_b32 v6, -1, v2
	v_and_b32_e32 v2, 64, v6
	v_add_u32_e32 v7, 64, v2
	v_xor_b32_e32 v2, 32, v6
	v_cmp_lt_i32_e64 s[40:41], v2, v7
	s_nop 1
	v_cndmask_b32_e64 v2, v6, v2, s[40:41]
	v_lshlrev_b32_e32 v40, 2, v2
	ds_bpermute_b32 v8, v40, v4
	s_waitcnt vmcnt(2)
	v_mad_i64_i32 v[2:3], s[40:41], v50, s45, v[28:29]
	global_load_dwordx4 v[14:17], v[36:37], off
	global_load_dwordx4 v[10:13], v[2:3], off
	v_xor_b32_e32 v3, 16, v6
	v_cmp_lt_i32_e64 s[40:41], v3, v7
	s_waitcnt lgkmcnt(0)
	v_max_f32_e32 v2, v8, v8
	v_max_f32_e32 v2, v4, v2
	v_cndmask_b32_e64 v3, v6, v3, s[40:41]
	v_lshlrev_b32_e32 v41, 2, v3
	ds_bpermute_b32 v3, v41, v2
	s_waitcnt vmcnt(3)
	v_mad_i64_i32 v[36:37], s[40:41], v51, s45, v[28:29]
	s_waitcnt vmcnt(2)
	v_mad_i64_i32 v[28:29], s[40:41], v52, s45, v[28:29]
	s_waitcnt lgkmcnt(0)
	v_max_f32_e32 v3, v3, v3
	v_max_f32_e32 v27, v2, v3
	v_sub_f32_e32 v2, v5, v27
	v_mul_f32_e32 v2, 0x3fb8aa3b, v2
	v_exp_f32_e32 v38, v2
	v_sub_f32_e32 v2, v39, v27
	v_mul_f32_e32 v2, 0x3fb8aa3b, v2
	v_exp_f32_e32 v39, v2
	global_load_dwordx4 v[6:9], v[36:37], off
	global_load_dwordx4 v[2:5], v[28:29], off
	v_sub_f32_e32 v29, v30, v27
	v_sub_f32_e32 v30, v31, v27
	v_mul_f32_e32 v29, 0x3fb8aa3b, v29
	v_mul_f32_e32 v30, 0x3fb8aa3b, v30
	v_exp_f32_e32 v29, v29
	v_exp_f32_e32 v30, v30
	v_cndmask_b32_e64 v36, 0, v38, s[4:5]
	v_cndmask_b32_e64 v37, 0, v39, s[20:21]
	;; [unrolled: 1-line block ×4, first 2 shown]
	v_sub_f32_e32 v29, v34, v27
	v_sub_f32_e32 v30, v35, v27
	v_mul_f32_e32 v29, 0x3fb8aa3b, v29
	v_mul_f32_e32 v30, 0x3fb8aa3b, v30
	v_exp_f32_e32 v29, v29
	v_exp_f32_e32 v30, v30
	v_add_f32_e32 v28, 0, v36
	v_add_f32_e32 v28, v28, v37
	;; [unrolled: 1-line block ×4, first 2 shown]
	v_cndmask_b32_e64 v28, 0, v29, s[26:27]
	v_cndmask_b32_e64 v29, 0, v30, s[28:29]
	v_sub_f32_e32 v30, v32, v27
	v_mul_f32_e32 v30, 0x3fb8aa3b, v30
	v_sub_f32_e32 v32, v33, v27
	v_exp_f32_e32 v30, v30
	v_mul_f32_e32 v32, 0x3fb8aa3b, v32
	v_sub_f32_e32 v24, v24, v27
	v_exp_f32_e32 v32, v32
	;; [unrolled: 3-line block ×3, first 2 shown]
	v_mul_f32_e32 v25, 0x3fb8aa3b, v25
	v_sub_f32_e32 v22, v22, v27
	v_add_f32_e32 v31, v31, v28
	v_exp_f32_e32 v25, v25
	v_mul_f32_e32 v22, 0x3fb8aa3b, v22
	v_sub_f32_e32 v23, v23, v27
	v_add_f32_e32 v31, v31, v29
	v_cndmask_b32_e64 v30, 0, v30, s[30:31]
	v_exp_f32_e32 v22, v22
	v_mul_f32_e32 v23, 0x3fb8aa3b, v23
	v_sub_f32_e32 v20, v20, v27
	v_add_f32_e32 v33, v31, v30
	v_cndmask_b32_e64 v31, 0, v32, s[34:35]
	;; [unrolled: 5-line block ×5, first 2 shown]
	v_exp_f32_e32 v18, v18
	v_mul_f32_e32 v19, 0x3fb8aa3b, v19
	v_add_f32_e32 v32, v32, v22
	v_cndmask_b32_e64 v23, 0, v23, s[14:15]
	v_exp_f32_e32 v19, v19
	v_add_f32_e32 v32, v32, v23
	v_cndmask_b32_e64 v20, 0, v20, s[8:9]
	v_add_f32_e32 v32, v32, v20
	v_cndmask_b32_e64 v21, 0, v21, s[10:11]
	v_add_f32_e32 v32, v32, v21
	v_cndmask_b32_e32 v18, 0, v18, vcc
	v_add_f32_e32 v32, v32, v18
	v_cndmask_b32_e64 v19, 0, v19, s[6:7]
	v_add_f32_e32 v32, v32, v19
	ds_bpermute_b32 v33, v40, v32
	v_cmp_gt_u32_e32 vcc, 16, v45
	s_waitcnt lgkmcnt(0)
	s_barrier
	v_add_f32_e32 v33, v32, v33
	ds_bpermute_b32 v34, v41, v33
	v_lshlrev_b32_e32 v32, 2, v47
	s_and_saveexec_b64 s[4:5], vcc
	s_cbranch_execz .LBB785_15
; %bb.14:
	s_waitcnt lgkmcnt(0)
	v_add_f32_e32 v33, v33, v34
	v_lshl_or_b32 v34, v46, 6, v32
	ds_write2st64_b32 v34, v27, v33 offset1:1
.LBB785_15:
	s_or_b64 exec, exec, s[4:5]
	s_load_dword s6, s[0:1], 0x94
	s_waitcnt lgkmcnt(0)
	s_barrier
	ds_read2_b32 v[34:35], v32 offset1:16
	ds_read2_b32 v[40:41], v32 offset0:32 offset1:48
	ds_read2_b32 v[42:43], v32 offset0:64 offset1:80
	s_lshl_b32 s7, s44, 1
	s_waitcnt lgkmcnt(2)
	v_max3_f32 v27, v34, s46, v35
	s_waitcnt lgkmcnt(1)
	v_max3_f32 v27, v27, v40, v41
	v_sub_f32_e32 v33, v34, v27
	v_sub_f32_e32 v34, v35, v27
	v_mul_f32_e32 v34, 0x3fb8aa3b, v34
	v_mul_f32_e32 v33, 0x3fb8aa3b, v33
	v_exp_f32_e32 v48, v34
	v_sub_f32_e32 v34, v40, v27
	v_exp_f32_e32 v33, v33
	v_mul_f32_e32 v34, 0x3fb8aa3b, v34
	v_exp_f32_e32 v40, v34
	ds_read2_b32 v[34:35], v32 offset0:96 offset1:112
	v_sub_f32_e32 v32, v41, v27
	v_mul_f32_e32 v32, 0x3fb8aa3b, v32
	v_exp_f32_e32 v41, v32
	s_waitcnt lgkmcnt(1)
	v_fma_f32 v32, v33, v42, 0
	v_fmac_f32_e32 v32, v48, v43
	s_waitcnt lgkmcnt(0)
	v_fmac_f32_e32 v32, v40, v34
	v_fmac_f32_e32 v32, v41, v35
	v_add_f32_e32 v34, 0x358637bd, v32
	v_div_scale_f32 v35, s[4:5], v34, v34, 1.0
	v_rcp_f32_e32 v42, v35
	s_barrier
	v_fma_f32 v43, -v35, v42, 1.0
	v_fmac_f32_e32 v42, v43, v42
	v_div_scale_f32 v43, vcc, 1.0, v34, 1.0
	v_mul_f32_e32 v49, v43, v42
	v_fma_f32 v50, -v35, v49, v43
	v_fmac_f32_e32 v49, v50, v42
	v_fma_f32 v35, -v35, v49, v43
	v_div_fmas_f32 v35, v35, v42, v49
	v_cmp_eq_u32_e32 vcc, 1, v46
	v_div_fixup_f32 v34, v35, v34, 1.0
	s_nop 0
	v_cndmask_b32_e32 v33, v33, v48, vcc
	v_cmp_eq_u32_e32 vcc, 2, v46
	s_nop 1
	v_cndmask_b32_e32 v33, v33, v40, vcc
	v_cmp_eq_u32_e32 vcc, 3, v46
	s_nop 1
	v_cndmask_b32_e32 v33, v33, v41, vcc
	v_mul_f32_e32 v34, v33, v34
	v_pk_mul_f32 v[36:37], v[34:35], v[36:37] op_sel_hi:[0,1]
	v_pk_mul_f32 v[38:39], v[34:35], v[38:39] op_sel_hi:[0,1]
	v_cvt_f16_f32_e32 v33, v36
	v_cvt_f16_f32_e32 v35, v37
	;; [unrolled: 1-line block ×4, first 2 shown]
	v_cmp_gt_u32_e32 vcc, 2, v0
	v_pack_b32_f16 v36, v33, v35
	v_lshlrev_b32_e32 v35, 3, v1
	v_pk_mul_f32 v[30:31], v[34:35], v[30:31] op_sel_hi:[0,1]
	v_pk_mul_f32 v[28:29], v[34:35], v[28:29] op_sel_hi:[0,1]
	v_pack_b32_f16 v37, v37, v38
	v_cvt_f16_f32_e32 v38, v28
	v_cvt_f16_f32_e32 v29, v29
	;; [unrolled: 1-line block ×4, first 2 shown]
	v_lshlrev_b32_e32 v33, 5, v47
	v_lshlrev_b32_e32 v28, 11, v46
	v_or3_b32 v28, v28, v33, v35
	v_pack_b32_f16 v30, v38, v29
	v_pack_b32_f16 v31, v39, v31
	v_pk_mul_f32 v[22:23], v[34:35], v[22:23] op_sel_hi:[0,1]
	v_pk_mul_f32 v[24:25], v[34:35], v[24:25] op_sel_hi:[0,1]
	;; [unrolled: 1-line block ×4, first 2 shown]
	ds_write2st64_b64 v28, v[36:37], v[30:31] offset1:1
	v_cvt_f16_f32_e32 v24, v24
	v_cvt_f16_f32_e32 v25, v25
	;; [unrolled: 1-line block ×8, first 2 shown]
	v_pack_b32_f16 v18, v24, v25
	v_pack_b32_f16 v19, v22, v23
	;; [unrolled: 1-line block ×4, first 2 shown]
	ds_write2st64_b64 v28, v[18:19], v[20:21] offset0:2 offset1:3
	s_and_saveexec_b64 s[4:5], vcc
	s_cbranch_execz .LBB785_17
; %bb.16:
	v_or_b32_e32 v18, s17, v0
	v_mov_b32_e32 v19, 0
	v_mov_b32_e32 v20, s7
	v_mad_u64_u32 v[20:21], s[12:13], s2, v20, v[18:19]
	v_mov_b32_e32 v18, s16
	s_load_dwordx4 s[8:11], s[0:1], 0x58
	s_mul_i32 s3, s3, s7
	v_mad_u64_u32 v[18:19], s[12:13], v20, s6, v[18:19]
	v_add_u32_e32 v21, s3, v21
	v_mov_b32_e32 v20, v19
	v_mad_u64_u32 v[20:21], s[12:13], v21, s6, v[20:21]
	v_mov_b32_e32 v19, v20
	v_lshlrev_b64 v[18:19], 2, v[18:19]
	s_waitcnt lgkmcnt(0)
	v_lshl_add_u64 v[20:21], s[10:11], 0, v[18:19]
	v_lshl_add_u64 v[18:19], s[8:9], 0, v[18:19]
	global_store_dword v[20:21], v27, off
	global_store_dword v[18:19], v32, off
.LBB785_17:
	s_or_b64 exec, exec, s[4:5]
	s_waitcnt vmcnt(3)
	v_cvt_pk_f32_fp8_e32 v[18:19], v14
	v_cvt_pk_f32_fp8_sdwa v[20:21], v14 src0_sel:WORD_1
	v_lshl_or_b32 v14, v1, 9, v33
	s_waitcnt lgkmcnt(0)
	s_barrier
	v_cvt_pk_f32_fp8_e32 v[22:23], v15
	v_cvt_pkrtz_f16_f32 v30, v18, v19
	v_cvt_pkrtz_f16_f32 v31, v20, v21
	v_cvt_pk_f32_fp8_sdwa v[24:25], v15 src0_sel:WORD_1
	ds_read_b128 v[18:21], v14
	v_cvt_pkrtz_f16_f32 v34, v22, v23
	v_cvt_pk_f32_fp8_e32 v[36:37], v16
	v_cvt_pkrtz_f16_f32 v35, v24, v25
	ds_read_b128 v[22:25], v14 offset:16
	v_cvt_pk_f32_fp8_sdwa v[38:39], v16 src0_sel:WORD_1
	s_waitcnt lgkmcnt(1)
	v_mfma_f32_16x16x16_f16 v[30:33], v[30:31], v[18:19], 0
	v_cvt_pkrtz_f16_f32 v36, v36, v37
	s_load_dword s4, s[42:43], 0x0
	v_cvt_pkrtz_f16_f32 v37, v38, v39
	v_cvt_pk_f32_fp8_e32 v[38:39], v17
	v_mfma_f32_16x16x16_f16 v[18:21], v[34:35], v[20:21], v[30:33]
	s_waitcnt vmcnt(2)
	v_cvt_pk_f32_fp8_e32 v[34:35], v12
	v_cmp_gt_u32_e32 vcc, 64, v0
	s_mov_b32 s3, 0
	v_cvt_pk_f32_fp8_sdwa v[30:31], v17 src0_sel:WORD_1
	v_cvt_pkrtz_f16_f32 v32, v38, v39
	s_waitcnt lgkmcnt(0)
	v_mfma_f32_16x16x16_f16 v[16:19], v[36:37], v[22:23], v[18:21]
	v_cvt_pk_f32_fp8_sdwa v[22:23], v10 src0_sel:WORD_1
	v_cvt_pkrtz_f16_f32 v33, v30, v31
	v_cvt_pk_f32_fp8_sdwa v[30:31], v11 src0_sel:WORD_1
	v_cvt_pk_f32_fp8_e32 v[20:21], v10
	v_mfma_f32_16x16x16_f16 v[16:19], v[32:33], v[24:25], v[16:19]
	v_cvt_pk_f32_fp8_e32 v[24:25], v11
	v_cvt_pkrtz_f16_f32 v10, v20, v21
	v_cvt_pkrtz_f16_f32 v11, v22, v23
	ds_read_b128 v[20:23], v14 offset:2048
	v_cvt_pkrtz_f16_f32 v24, v24, v25
	v_cvt_pkrtz_f16_f32 v25, v30, v31
	ds_read_b128 v[30:33], v14 offset:2064
	v_cvt_pk_f32_fp8_sdwa v[36:37], v12 src0_sel:WORD_1
	s_waitcnt lgkmcnt(1)
	v_mfma_f32_16x16x16_f16 v[16:19], v[10:11], v[20:21], v[16:19]
	v_cvt_pkrtz_f16_f32 v10, v34, v35
	v_cvt_pk_f32_fp8_e32 v[20:21], v13
	v_cvt_pkrtz_f16_f32 v11, v36, v37
	v_mfma_f32_16x16x16_f16 v[16:19], v[24:25], v[22:23], v[16:19]
	v_cvt_pk_f32_fp8_sdwa v[22:23], v13 src0_sel:WORD_1
	v_cvt_pkrtz_f16_f32 v20, v20, v21
	v_mov_b32_e32 v27, 0
	s_waitcnt lgkmcnt(0)
	v_mfma_f32_16x16x16_f16 v[10:13], v[10:11], v[30:31], v[16:19]
	v_cvt_pkrtz_f16_f32 v21, v22, v23
	s_waitcnt vmcnt(1)
	v_cvt_pk_f32_fp8_sdwa v[22:23], v7 src0_sel:WORD_1
	v_cvt_pk_f32_fp8_e32 v[30:31], v8
	v_cvt_pk_f32_fp8_e32 v[16:17], v6
	v_cvt_pk_f32_fp8_sdwa v[18:19], v6 src0_sel:WORD_1
	v_mfma_f32_16x16x16_f16 v[10:13], v[20:21], v[32:33], v[10:13]
	v_cvt_pk_f32_fp8_e32 v[20:21], v7
	v_cvt_pkrtz_f16_f32 v6, v16, v17
	v_cvt_pkrtz_f16_f32 v7, v18, v19
	ds_read_b128 v[16:19], v14 offset:4096
	v_cvt_pkrtz_f16_f32 v24, v20, v21
	v_cvt_pkrtz_f16_f32 v25, v22, v23
	ds_read_b128 v[20:23], v14 offset:4112
	v_cvt_pk_f32_fp8_sdwa v[32:33], v8 src0_sel:WORD_1
	s_waitcnt lgkmcnt(1)
	v_mfma_f32_16x16x16_f16 v[10:13], v[6:7], v[16:17], v[10:13]
	v_cvt_pkrtz_f16_f32 v6, v30, v31
	v_cvt_pk_f32_fp8_e32 v[16:17], v9
	v_cvt_pkrtz_f16_f32 v7, v32, v33
	v_mfma_f32_16x16x16_f16 v[10:13], v[24:25], v[18:19], v[10:13]
	v_cvt_pk_f32_fp8_sdwa v[18:19], v9 src0_sel:WORD_1
	v_cvt_pkrtz_f16_f32 v16, v16, v17
	v_cvt_pkrtz_f16_f32 v17, v18, v19
	s_waitcnt lgkmcnt(0)
	v_mfma_f32_16x16x16_f16 v[6:9], v[6:7], v[20:21], v[10:13]
	s_waitcnt vmcnt(0)
	v_cvt_pk_f32_fp8_sdwa v[18:19], v3 src0_sel:WORD_1
	s_nop 0
	v_cvt_pkrtz_f16_f32 v21, v18, v19
	v_cvt_pk_f32_fp8_e32 v[10:11], v2
	v_cvt_pk_f32_fp8_sdwa v[12:13], v2 src0_sel:WORD_1
	v_mfma_f32_16x16x16_f16 v[6:9], v[16:17], v[22:23], v[6:9]
	v_cvt_pk_f32_fp8_e32 v[16:17], v3
	v_cvt_pkrtz_f16_f32 v2, v10, v11
	v_cvt_pkrtz_f16_f32 v3, v12, v13
	ds_read_b128 v[10:13], v14 offset:6144
	v_cvt_pkrtz_f16_f32 v20, v16, v17
	v_cvt_pk_f32_fp8_e32 v[18:19], v4
	v_cvt_pk_f32_fp8_sdwa v[22:23], v4 src0_sel:WORD_1
	s_waitcnt lgkmcnt(0)
	v_mfma_f32_16x16x16_f16 v[6:9], v[2:3], v[10:11], v[6:9]
	ds_read_b128 v[14:17], v14 offset:6160
	v_cvt_pkrtz_f16_f32 v2, v18, v19
	v_cvt_pkrtz_f16_f32 v3, v22, v23
	v_cvt_pk_f32_fp8_e32 v[10:11], v5
	v_mfma_f32_16x16x16_f16 v[6:9], v[20:21], v[12:13], v[6:9]
	v_cvt_pk_f32_fp8_sdwa v[12:13], v5 src0_sel:WORD_1
	s_waitcnt lgkmcnt(0)
	v_cvt_pkrtz_f16_f32 v10, v10, v11
	v_mfma_f32_16x16x16_f16 v[2:5], v[2:3], v[14:15], v[6:9]
	v_cvt_pkrtz_f16_f32 v11, v12, v13
	s_barrier
	s_nop 0
	v_mfma_f32_16x16x16_f16 v[2:5], v[10:11], v[16:17], v[2:5]
	s_nop 6
	v_pk_mul_f32 v[4:5], v[4:5], s[4:5] op_sel_hi:[1,0]
	v_pk_mul_f32 v[2:3], v[2:3], s[4:5] op_sel_hi:[1,0]
	v_cvt_f16_f32_e32 v4, v4
	v_cvt_f16_f32_e32 v2, v2
	;; [unrolled: 1-line block ×4, first 2 shown]
	v_cmp_gt_u32_e64 s[4:5], 32, v45
	s_and_b64 s[4:5], s[4:5], vcc
	v_pack_b32_f16 v2, v2, v3
	v_pack_b32_f16 v3, v4, v5
	s_and_b64 s[4:5], s[4:5], s[18:19]
	ds_write_b64 v28, v[2:3]
	s_waitcnt lgkmcnt(0)
	s_barrier
	s_and_saveexec_b64 s[8:9], s[4:5]
	s_cbranch_execz .LBB785_19
; %bb.18:
	s_load_dwordx2 s[0:1], s[0:1], 0x68
	s_mul_i32 s2, s7, s2
	s_lshl_b32 s6, s6, 6
	s_mul_hi_u32 s5, s2, s6
	s_mul_i32 s4, s2, s6
	v_lshlrev_b32_e32 v0, 10, v0
	s_lshl_b64 s[4:5], s[4:5], 1
	v_and_b32_e32 v0, 0x1800, v0
	v_lshlrev_b32_e32 v2, 5, v1
	v_and_b32_e32 v3, 16, v44
	s_waitcnt lgkmcnt(0)
	s_add_u32 s4, s0, s4
	v_or3_b32 v0, v0, v2, v3
	s_addc_u32 s5, s1, s5
	s_lshl_b32 s2, s16, 6
	ds_read_b128 v[2:5], v0
	s_lshl_b64 s[0:1], s[2:3], 1
	s_add_u32 s0, s4, s0
	v_or_b32_e32 v0, s17, v1
	s_addc_u32 s1, s5, s1
	v_mad_u64_u32 v[0:1], s[2:3], s6, v0, 0
	v_lshl_add_u64 v[0:1], v[0:1], 1, s[0:1]
	v_lshl_add_u64 v[0:1], v[0:1], 0, v[26:27]
	s_waitcnt lgkmcnt(0)
	global_store_dwordx4 v[0:1], v[2:5], off
.LBB785_19:
	s_endpgm
	.section	.rodata,"a",@progbits
	.p2align	6, 0x0
	.amdhsa_kernel _Z39paged_attention_ll4mi_QKV_mfma16_kernelIDF16_hLN4vllm18Fp8KVCacheDataTypeE1EhLi16ELi64ELi256ELb1ELi2EEvPKT_PKT0_S7_ifPKiS9_S9_iPKfiiiPfSC_PS2_PT2_iSB_SB_
		.amdhsa_group_segment_fixed_size 8192
		.amdhsa_private_segment_fixed_size 0
		.amdhsa_kernarg_size 400
		.amdhsa_user_sgpr_count 2
		.amdhsa_user_sgpr_dispatch_ptr 0
		.amdhsa_user_sgpr_queue_ptr 0
		.amdhsa_user_sgpr_kernarg_segment_ptr 1
		.amdhsa_user_sgpr_dispatch_id 0
		.amdhsa_user_sgpr_kernarg_preload_length 0
		.amdhsa_user_sgpr_kernarg_preload_offset 0
		.amdhsa_user_sgpr_private_segment_size 0
		.amdhsa_uses_dynamic_stack 0
		.amdhsa_enable_private_segment 0
		.amdhsa_system_sgpr_workgroup_id_x 1
		.amdhsa_system_sgpr_workgroup_id_y 1
		.amdhsa_system_sgpr_workgroup_id_z 1
		.amdhsa_system_sgpr_workgroup_info 0
		.amdhsa_system_vgpr_workitem_id 0
		.amdhsa_next_free_vgpr 68
		.amdhsa_next_free_sgpr 48
		.amdhsa_accum_offset 68
		.amdhsa_reserve_vcc 1
		.amdhsa_float_round_mode_32 0
		.amdhsa_float_round_mode_16_64 0
		.amdhsa_float_denorm_mode_32 3
		.amdhsa_float_denorm_mode_16_64 3
		.amdhsa_dx10_clamp 1
		.amdhsa_ieee_mode 1
		.amdhsa_fp16_overflow 0
		.amdhsa_tg_split 0
		.amdhsa_exception_fp_ieee_invalid_op 0
		.amdhsa_exception_fp_denorm_src 0
		.amdhsa_exception_fp_ieee_div_zero 0
		.amdhsa_exception_fp_ieee_overflow 0
		.amdhsa_exception_fp_ieee_underflow 0
		.amdhsa_exception_fp_ieee_inexact 0
		.amdhsa_exception_int_div_zero 0
	.end_amdhsa_kernel
	.section	.text._Z39paged_attention_ll4mi_QKV_mfma16_kernelIDF16_hLN4vllm18Fp8KVCacheDataTypeE1EhLi16ELi64ELi256ELb1ELi2EEvPKT_PKT0_S7_ifPKiS9_S9_iPKfiiiPfSC_PS2_PT2_iSB_SB_,"axG",@progbits,_Z39paged_attention_ll4mi_QKV_mfma16_kernelIDF16_hLN4vllm18Fp8KVCacheDataTypeE1EhLi16ELi64ELi256ELb1ELi2EEvPKT_PKT0_S7_ifPKiS9_S9_iPKfiiiPfSC_PS2_PT2_iSB_SB_,comdat
.Lfunc_end785:
	.size	_Z39paged_attention_ll4mi_QKV_mfma16_kernelIDF16_hLN4vllm18Fp8KVCacheDataTypeE1EhLi16ELi64ELi256ELb1ELi2EEvPKT_PKT0_S7_ifPKiS9_S9_iPKfiiiPfSC_PS2_PT2_iSB_SB_, .Lfunc_end785-_Z39paged_attention_ll4mi_QKV_mfma16_kernelIDF16_hLN4vllm18Fp8KVCacheDataTypeE1EhLi16ELi64ELi256ELb1ELi2EEvPKT_PKT0_S7_ifPKiS9_S9_iPKfiiiPfSC_PS2_PT2_iSB_SB_
                                        ; -- End function
	.section	.AMDGPU.csdata,"",@progbits
; Kernel info:
; codeLenInByte = 4772
; NumSgprs: 54
; NumVgprs: 68
; NumAgprs: 0
; TotalNumVgprs: 68
; ScratchSize: 0
; MemoryBound: 0
; FloatMode: 240
; IeeeMode: 1
; LDSByteSize: 8192 bytes/workgroup (compile time only)
; SGPRBlocks: 6
; VGPRBlocks: 8
; NumSGPRsForWavesPerEU: 54
; NumVGPRsForWavesPerEU: 68
; AccumOffset: 68
; Occupancy: 7
; WaveLimiterHint : 1
; COMPUTE_PGM_RSRC2:SCRATCH_EN: 0
; COMPUTE_PGM_RSRC2:USER_SGPR: 2
; COMPUTE_PGM_RSRC2:TRAP_HANDLER: 0
; COMPUTE_PGM_RSRC2:TGID_X_EN: 1
; COMPUTE_PGM_RSRC2:TGID_Y_EN: 1
; COMPUTE_PGM_RSRC2:TGID_Z_EN: 1
; COMPUTE_PGM_RSRC2:TIDIG_COMP_CNT: 0
; COMPUTE_PGM_RSRC3_GFX90A:ACCUM_OFFSET: 16
; COMPUTE_PGM_RSRC3_GFX90A:TG_SPLIT: 0
	.section	.text._Z39paged_attention_ll4mi_QKV_mfma16_kernelIDF16_hLN4vllm18Fp8KVCacheDataTypeE1EhLi16ELi64ELi256ELb1ELi3EEvPKT_PKT0_S7_ifPKiS9_S9_iPKfiiiPfSC_PS2_PT2_iSB_SB_,"axG",@progbits,_Z39paged_attention_ll4mi_QKV_mfma16_kernelIDF16_hLN4vllm18Fp8KVCacheDataTypeE1EhLi16ELi64ELi256ELb1ELi3EEvPKT_PKT0_S7_ifPKiS9_S9_iPKfiiiPfSC_PS2_PT2_iSB_SB_,comdat
	.protected	_Z39paged_attention_ll4mi_QKV_mfma16_kernelIDF16_hLN4vllm18Fp8KVCacheDataTypeE1EhLi16ELi64ELi256ELb1ELi3EEvPKT_PKT0_S7_ifPKiS9_S9_iPKfiiiPfSC_PS2_PT2_iSB_SB_ ; -- Begin function _Z39paged_attention_ll4mi_QKV_mfma16_kernelIDF16_hLN4vllm18Fp8KVCacheDataTypeE1EhLi16ELi64ELi256ELb1ELi3EEvPKT_PKT0_S7_ifPKiS9_S9_iPKfiiiPfSC_PS2_PT2_iSB_SB_
	.globl	_Z39paged_attention_ll4mi_QKV_mfma16_kernelIDF16_hLN4vllm18Fp8KVCacheDataTypeE1EhLi16ELi64ELi256ELb1ELi3EEvPKT_PKT0_S7_ifPKiS9_S9_iPKfiiiPfSC_PS2_PT2_iSB_SB_
	.p2align	8
	.type	_Z39paged_attention_ll4mi_QKV_mfma16_kernelIDF16_hLN4vllm18Fp8KVCacheDataTypeE1EhLi16ELi64ELi256ELb1ELi3EEvPKT_PKT0_S7_ifPKiS9_S9_iPKfiiiPfSC_PS2_PT2_iSB_SB_,@function
_Z39paged_attention_ll4mi_QKV_mfma16_kernelIDF16_hLN4vllm18Fp8KVCacheDataTypeE1EhLi16ELi64ELi256ELb1ELi3EEvPKT_PKT0_S7_ifPKiS9_S9_iPKfiiiPfSC_PS2_PT2_iSB_SB_: ; @_Z39paged_attention_ll4mi_QKV_mfma16_kernelIDF16_hLN4vllm18Fp8KVCacheDataTypeE1EhLi16ELi64ELi256ELb1ELi3EEvPKT_PKT0_S7_ifPKiS9_S9_iPKfiiiPfSC_PS2_PT2_iSB_SB_
; %bb.0:
	s_load_dwordx2 s[8:9], s[0:1], 0x30
	s_mov_b32 s16, s3
	s_mov_b64 s[6:7], 0
	s_waitcnt lgkmcnt(0)
	s_cmp_lg_u64 s[8:9], 0
	s_cselect_b64 s[10:11], -1, 0
	s_and_b64 vcc, exec, s[10:11]
	s_cbranch_vccz .LBB786_7
; %bb.1:
	s_add_i32 s12, s2, 1
	s_mov_b32 s13, 0
	s_lshl_b64 s[14:15], s[12:13], 2
	s_add_u32 s14, s8, s14
	s_mov_b32 s3, s13
	s_addc_u32 s15, s9, s15
	s_lshl_b64 s[12:13], s[2:3], 2
	s_add_u32 s12, s8, s12
	s_addc_u32 s13, s9, s13
	s_load_dword s5, s[14:15], 0x0
	s_load_dword s17, s[12:13], 0x0
	s_waitcnt lgkmcnt(0)
	s_sub_i32 s5, s5, s17
	s_cmp_eq_u32 s5, 1
	s_cselect_b64 s[12:13], -1, 0
	s_andn2_b64 vcc, exec, s[6:7]
	s_cbranch_vccnz .LBB786_3
.LBB786_2:
	s_mov_b32 s3, 0
	s_mov_b64 s[12:13], -1
.LBB786_3:
	s_andn2_b64 vcc, exec, s[12:13]
	s_cbranch_vccnz .LBB786_19
; %bb.4:
	s_load_dwordx2 s[6:7], s[0:1], 0x28
	s_lshl_b64 s[12:13], s[2:3], 2
	s_waitcnt lgkmcnt(0)
	s_add_u32 s6, s6, s12
	s_addc_u32 s7, s7, s13
	s_load_dword s17, s[6:7], 0x0
	s_lshl_b32 s20, s16, 8
	s_waitcnt lgkmcnt(0)
	s_cmp_ge_i32 s20, s17
	s_cbranch_scc1 .LBB786_19
; %bb.5:
	s_load_dwordx2 s[6:7], s[0:1], 0x20
	s_load_dword s5, s[0:1], 0x38
	s_add_i32 s14, s17, 15
	s_ashr_i32 s15, s14, 31
	v_and_b32_e32 v1, 0xcf, v0
	s_lshr_b32 s15, s15, 28
	v_add_u32_e32 v1, s20, v1
	s_add_i32 s14, s14, s15
	v_ashrrev_i32_e32 v2, 31, v1
	s_ashr_i32 s21, s14, 4
	v_lshrrev_b32_e32 v4, 28, v2
	s_add_i32 s21, s21, -1
	s_waitcnt lgkmcnt(0)
	s_mul_i32 s14, s2, s5
	s_mov_b32 s15, 0
	v_add_u32_e32 v2, v1, v4
	s_lshl_b64 s[14:15], s[14:15], 2
	v_ashrrev_i32_e32 v2, 4, v2
	v_mov_b32_e32 v5, s21
	v_cmp_gt_i32_e32 vcc, s17, v1
	s_add_u32 s6, s6, s14
	s_addc_u32 s7, s7, s15
	v_cndmask_b32_e32 v2, v5, v2, vcc
	v_ashrrev_i32_e32 v3, 31, v2
	v_lshl_add_u64 v[6:7], v[2:3], 2, s[6:7]
	v_or_b32_e32 v2, 16, v1
	v_add_u32_e32 v3, v2, v4
	v_ashrrev_i32_e32 v3, 4, v3
	v_cmp_gt_i32_e32 vcc, s17, v2
	s_load_dwordx2 s[14:15], s[0:1], 0x8
	s_nop 0
	v_cndmask_b32_e32 v2, v5, v3, vcc
	v_ashrrev_i32_e32 v3, 31, v2
	v_lshl_add_u64 v[8:9], v[2:3], 2, s[6:7]
	v_or_b32_e32 v2, 32, v1
	v_add_u32_e32 v3, v2, v4
	v_ashrrev_i32_e32 v3, 4, v3
	v_cmp_gt_i32_e32 vcc, s17, v2
	v_or_b32_e32 v1, 48, v1
	s_nop 0
	v_cndmask_b32_e32 v2, v5, v3, vcc
	v_ashrrev_i32_e32 v3, 31, v2
	v_lshl_add_u64 v[10:11], v[2:3], 2, s[6:7]
	v_add_u32_e32 v2, v1, v4
	v_ashrrev_i32_e32 v2, 4, v2
	v_cmp_gt_i32_e32 vcc, s17, v1
	s_nop 1
	v_cndmask_b32_e32 v2, v5, v2, vcc
	v_ashrrev_i32_e32 v3, 31, v2
	v_lshl_add_u64 v[12:13], v[2:3], 2, s[6:7]
	global_load_dword v5, v[6:7], off
	global_load_dword v4, v[8:9], off
	;; [unrolled: 1-line block ×4, first 2 shown]
	s_andn2_b64 vcc, exec, s[10:11]
	s_cbranch_vccnz .LBB786_8
; %bb.6:
	s_add_u32 s8, s8, s12
	s_addc_u32 s9, s9, s13
	s_load_dword s5, s[8:9], 0x0
	s_branch .LBB786_9
.LBB786_7:
	s_mov_b64 s[12:13], 0
	s_branch .LBB786_2
.LBB786_8:
	s_mov_b32 s5, s2
.LBB786_9:
	s_load_dwordx2 s[8:9], s[0:1], 0x10
	s_load_dwordx4 s[44:47], s[0:1], 0x48
	v_lshrrev_b32_e32 v29, 6, v0
	v_bfe_u32 v46, v0, 4, 2
	v_lshl_or_b32 v6, v29, 2, v46
	v_and_b32_e32 v28, 15, v0
	s_mul_i32 s48, s4, 3
	v_lshlrev_b32_e32 v7, 3, v28
	v_cmp_gt_u32_e32 vcc, 3, v6
	v_cmp_gt_u32_e64 s[18:19], 8, v28
	v_add_u32_e32 v1, s48, v46
	s_and_b64 s[12:13], s[18:19], vcc
	v_lshlrev_b32_e32 v26, 1, v7
	v_lshlrev_b32_e32 v47, 4, v0
	s_and_saveexec_b64 s[10:11], s[12:13]
	s_cbranch_execz .LBB786_11
; %bb.10:
	s_load_dwordx2 s[12:13], s[0:1], 0x0
	s_waitcnt lgkmcnt(0)
	s_ashr_i32 s22, s44, 31
	s_mul_hi_u32 s23, s5, s44
	s_mul_i32 s22, s5, s22
	s_add_i32 s23, s23, s22
	s_mul_i32 s22, s5, s44
	s_lshl_b64 s[22:23], s[22:23], 1
	s_add_u32 s12, s12, s22
	v_lshlrev_b32_e32 v8, 6, v1
	s_addc_u32 s13, s13, s23
	v_ashrrev_i32_e32 v9, 31, v8
	v_lshl_add_u64 v[8:9], v[8:9], 1, s[12:13]
	v_mov_b32_e32 v27, 0
	v_lshl_add_u64 v[8:9], v[8:9], 0, v[26:27]
	global_load_dwordx4 v[8:11], v[8:9], off
	v_lshlrev_b32_e32 v12, 8, v28
	v_lshlrev_b32_e32 v6, 5, v6
	v_and_b32_e32 v7, 16, v47
	v_and_b32_e32 v12, 0xe00, v12
	v_or3_b32 v6, v12, v6, v7
	s_waitcnt vmcnt(0)
	ds_write_b128 v6, v[8:11]
.LBB786_11:
	s_or_b64 exec, exec, s[10:11]
	s_waitcnt lgkmcnt(0)
	s_mul_i32 s10, s4, s46
	s_add_u32 s4, s14, s10
	s_addc_u32 s5, s15, 0
	v_and_b32_e32 v32, 48, v0
	v_and_b32_e32 v30, 0xf0, v47
	v_mov_b32_e32 v31, 0
	v_lshl_add_u64 v[6:7], s[4:5], 0, v[30:31]
	v_lshlrev_b32_e32 v30, 4, v32
	v_lshl_add_u64 v[6:7], v[6:7], 0, v[30:31]
	s_waitcnt vmcnt(3)
	v_mad_i64_i32 v[8:9], s[4:5], v5, s45, v[6:7]
	s_barrier
	s_waitcnt vmcnt(2)
	v_mad_i64_i32 v[4:5], s[4:5], v4, s45, v[6:7]
	global_load_dwordx4 v[22:25], v[8:9], off
	global_load_dwordx4 v[18:21], v[4:5], off
	s_waitcnt vmcnt(3)
	v_mad_i64_i32 v[8:9], s[4:5], v3, s45, v[6:7]
	s_waitcnt vmcnt(2)
	v_mad_i64_i32 v[6:7], s[4:5], v2, s45, v[6:7]
	global_load_dwordx4 v[14:17], v[8:9], off
	global_load_dwordx4 v[2:5], v[6:7], off
	v_mul_lo_u16_e32 v6, 0x56, v28
	v_mov_b32_e32 v7, 3
	v_mul_lo_u16_sdwa v6, v6, v7 dst_sel:DWORD dst_unused:UNUSED_PAD src0_sel:BYTE_1 src1_sel:DWORD
	v_sub_u16_e32 v6, v28, v6
	v_mov_b32_e32 v7, 5
	v_lshlrev_b32_sdwa v6, v7, v6 dst_sel:DWORD dst_unused:UNUSED_PAD src0_sel:DWORD src1_sel:BYTE_0
	v_lshl_add_u32 v6, v46, 9, v6
	ds_read_b128 v[10:13], v6
	ds_read_b128 v[6:9], v6 offset:16
	v_and_b32_e32 v27, 63, v0
	v_cmp_gt_u32_e32 vcc, 3, v28
	v_mov_b32_e32 v48, 0
	s_and_saveexec_b64 s[4:5], vcc
	s_cbranch_execz .LBB786_13
; %bb.12:
	s_load_dwordx2 s[12:13], s[0:1], 0x40
	v_add_u32_e32 v34, s48, v28
	v_ashrrev_i32_e32 v35, 31, v34
	s_waitcnt lgkmcnt(0)
	v_lshl_add_u64 v[34:35], v[34:35], 2, s[12:13]
	global_load_dword v48, v[34:35], off
.LBB786_13:
	s_or_b64 exec, exec, s[4:5]
	v_or_b32_e32 v34, s20, v32
	v_ashrrev_i32_e32 v30, 4, v34
	v_mov_b32_e32 v66, s21
	v_cmp_gt_i32_e32 vcc, s17, v34
	s_waitcnt vmcnt(3)
	v_cvt_pk_f32_fp8_sdwa v[36:37], v22 src0_sel:WORD_1
	v_cvt_pk_f32_fp8_e32 v[38:39], v23
	v_cndmask_b32_e32 v32, v66, v30, vcc
	v_ashrrev_i32_e32 v33, 31, v32
	v_lshl_add_u64 v[32:33], v[32:33], 2, s[6:7]
	global_load_dword v49, v[32:33], off
	v_cvt_pk_f32_fp8_e32 v[32:33], v22
	v_cvt_pk_f32_fp8_sdwa v[22:23], v23 src0_sel:WORD_1
	s_waitcnt vmcnt(3)
	v_cvt_pk_f32_fp8_e32 v[56:57], v20
	v_cvt_pk_f32_fp8_sdwa v[58:59], v20 src0_sel:WORD_1
	v_cvt_pk_f32_fp8_e32 v[60:61], v21
	v_cvt_pk_f32_fp8_sdwa v[62:63], v21 src0_sel:WORD_1
	v_cvt_pkrtz_f16_f32 v20, v32, v33
	v_cvt_pkrtz_f16_f32 v21, v36, v37
	v_cvt_pk_f32_fp8_e32 v[50:51], v18
	v_cvt_pk_f32_fp8_sdwa v[52:53], v18 src0_sel:WORD_1
	v_cvt_pk_f32_fp8_e32 v[54:55], v19
	v_cvt_pk_f32_fp8_sdwa v[18:19], v19 src0_sel:WORD_1
	;; [unrolled: 2-line block ×3, first 2 shown]
	v_cvt_pkrtz_f16_f32 v36, v38, v39
	v_cvt_pkrtz_f16_f32 v37, v22, v23
	;; [unrolled: 1-line block ×5, first 2 shown]
	s_waitcnt lgkmcnt(1)
	v_mfma_f32_16x16x16_f16 v[18:21], v[20:21], v[10:11], 0
	v_cvt_pk_f32_fp8_e32 v[44:45], v25
	v_cvt_pk_f32_fp8_sdwa v[24:25], v25 src0_sel:WORD_1
	s_add_u32 s4, s8, s10
	v_lshlrev_b32_e32 v30, 4, v28
	s_waitcnt vmcnt(2)
	v_cvt_pk_f32_fp8_e32 v[64:65], v14
	v_cvt_pk_f32_fp8_sdwa v[52:53], v14 src0_sel:WORD_1
	v_or_b32_e32 v14, 64, v34
	v_lshl_or_b32 v30, v29, 8, v30
	v_cvt_pkrtz_f16_f32 v40, v40, v41
	v_cvt_pkrtz_f16_f32 v41, v42, v43
	v_or_b32_e32 v22, 0x80, v34
	s_addc_u32 s5, s9, 0
	v_ashrrev_i32_e32 v38, 4, v14
	v_cmp_gt_i32_e32 vcc, s17, v14
	v_or_b32_e32 v23, 0xc0, v34
	v_ashrrev_i32_e32 v43, 4, v22
	v_cvt_pkrtz_f16_f32 v34, v54, v55
	v_lshl_add_u64 v[30:31], s[4:5], 0, v[30:31]
	v_cndmask_b32_e32 v42, v66, v38, vcc
	v_mfma_f32_16x16x16_f16 v[18:21], v[36:37], v[12:13], v[18:21]
	v_cmp_gt_i32_e32 vcc, s17, v22
	s_load_dword s4, s[0:1], 0x1c
	s_load_dwordx4 s[40:43], s[0:1], 0x80
	v_ashrrev_i32_e32 v39, 4, v23
	v_cndmask_b32_e32 v54, v66, v43, vcc
	v_cmp_gt_i32_e32 vcc, s17, v23
	v_cvt_pkrtz_f16_f32 v37, v24, v25
	v_mfma_f32_16x16x16_f16 v[22:25], v[50:51], v[10:11], 0
	v_cndmask_b32_e32 v66, v66, v39, vcc
	v_ashrrev_i32_e32 v43, 31, v42
	v_ashrrev_i32_e32 v55, 31, v54
	;; [unrolled: 1-line block ×3, first 2 shown]
	s_waitcnt lgkmcnt(0)
	v_mfma_f32_16x16x16_f16 v[18:21], v[40:41], v[6:7], v[18:21]
	v_lshl_add_u64 v[40:41], v[42:43], 2, s[6:7]
	v_lshl_add_u64 v[42:43], v[54:55], 2, s[6:7]
	v_cvt_pkrtz_f16_f32 v36, v44, v45
	v_mfma_f32_16x16x16_f16 v[22:25], v[34:35], v[12:13], v[22:25]
	v_cvt_pkrtz_f16_f32 v35, v52, v53
	v_lshl_add_u64 v[44:45], v[66:67], 2, s[6:7]
	s_load_dword s33, s[0:1], 0x98
	s_load_dword s5, s[40:41], 0x0
	global_load_dword v52, v[40:41], off
	s_nop 0
	global_load_dword v43, v[42:43], off
	s_nop 0
	global_load_dword v53, v[44:45], off
	v_mov_b32_e32 v14, s4
	v_cvt_pk_f32_fp8_e32 v[32:33], v15
	v_cvt_pkrtz_f16_f32 v34, v64, v65
	s_waitcnt lgkmcnt(0)
	v_mul_f32_e32 v42, s5, v14
	v_cvt_pk_f32_fp8_sdwa v[14:15], v15 src0_sel:WORD_1
	v_cvt_pkrtz_f16_f32 v50, v56, v57
	v_cvt_pkrtz_f16_f32 v51, v58, v59
	v_mfma_f32_16x16x16_f16 v[18:21], v[36:37], v[8:9], v[18:21]
	v_cvt_pkrtz_f16_f32 v36, v32, v33
	v_cvt_pk_f32_fp8_e32 v[40:41], v16
	v_cvt_pk_f32_fp8_sdwa v[44:45], v16 src0_sel:WORD_1
	v_cvt_pkrtz_f16_f32 v37, v14, v15
	v_mfma_f32_16x16x16_f16 v[32:35], v[34:35], v[10:11], 0
	v_cvt_pkrtz_f16_f32 v40, v40, v41
	v_cvt_pkrtz_f16_f32 v41, v44, v45
	v_cvt_pk_f32_fp8_e32 v[44:45], v17
	v_mfma_f32_16x16x16_f16 v[22:25], v[50:51], v[6:7], v[22:25]
	v_cvt_pk_f32_fp8_sdwa v[50:51], v17 src0_sel:WORD_1
	v_cvt_pkrtz_f16_f32 v38, v60, v61
	v_cvt_pkrtz_f16_f32 v39, v62, v63
	v_mfma_f32_16x16x16_f16 v[14:17], v[36:37], v[12:13], v[32:35]
	s_waitcnt vmcnt(4)
	v_cvt_pk_f32_fp8_e32 v[36:37], v4
	s_mov_b32 s44, 0xff7fffff
	v_mfma_f32_16x16x16_f16 v[14:17], v[40:41], v[6:7], v[14:17]
	v_cvt_pk_f32_fp8_sdwa v[34:35], v2 src0_sel:WORD_1
	s_waitcnt vmcnt(1)
	v_pk_mul_f32 v[32:33], v[42:43], v[20:21] op_sel_hi:[0,1]
	v_cvt_pkrtz_f16_f32 v20, v44, v45
	v_cvt_pkrtz_f16_f32 v21, v50, v51
	v_pk_mul_f32 v[40:41], v[42:43], v[18:19] op_sel_hi:[0,1]
	v_cvt_pk_f32_fp8_e32 v[18:19], v2
	v_mfma_f32_16x16x16_f16 v[14:17], v[20:21], v[8:9], v[14:17]
	v_cvt_pk_f32_fp8_e32 v[20:21], v3
	v_cvt_pkrtz_f16_f32 v18, v18, v19
	v_cvt_pkrtz_f16_f32 v19, v34, v35
	v_cvt_pk_f32_fp8_sdwa v[2:3], v3 src0_sel:WORD_1
	v_cvt_pkrtz_f16_f32 v34, v20, v21
	v_cvt_pk_f32_fp8_sdwa v[44:45], v4 src0_sel:WORD_1
	v_mfma_f32_16x16x16_f16 v[18:21], v[18:19], v[10:11], 0
	v_cvt_pkrtz_f16_f32 v35, v2, v3
	v_cvt_pkrtz_f16_f32 v10, v36, v37
	v_cvt_pkrtz_f16_f32 v11, v44, v45
	v_cvt_pk_f32_fp8_e32 v[36:37], v5
	v_cvt_pk_f32_fp8_sdwa v[44:45], v5 src0_sel:WORD_1
	v_mfma_f32_16x16x16_f16 v[2:5], v[34:35], v[12:13], v[18:21]
	v_cvt_pkrtz_f16_f32 v12, v36, v37
	v_cvt_pkrtz_f16_f32 v13, v44, v45
	v_mfma_f32_16x16x16_f16 v[2:5], v[10:11], v[6:7], v[2:5]
	s_nop 0
	v_mfma_f32_16x16x16_f16 v[2:5], v[12:13], v[8:9], v[2:5]
	v_mfma_f32_16x16x16_f16 v[22:25], v[38:39], v[8:9], v[22:25]
	v_mad_i64_i32 v[38:39], s[4:5], v49, s45, v[30:31]
	s_nop 4
	v_pk_mul_f32 v[20:21], v[42:43], v[2:3] op_sel_hi:[0,1]
	v_and_b32_e32 v2, 0xc0, v0
	v_add_u32_e32 v2, s20, v2
	v_lshl_or_b32 v2, v46, 2, v2
	v_or_b32_e32 v3, 1, v2
	v_pk_mul_f32 v[18:19], v[42:43], v[4:5] op_sel_hi:[0,1]
	v_subrev_u32_e32 v4, s17, v3
	v_add_u32_e32 v6, 1, v4
	v_add_u32_e32 v7, 2, v4
	;; [unrolled: 1-line block ×3, first 2 shown]
	v_cvt_f32_i32_e32 v6, v6
	v_cvt_f32_i32_e32 v7, v7
	;; [unrolled: 1-line block ×3, first 2 shown]
	v_pk_mul_f32 v[34:35], v[42:43], v[24:25] op_sel_hi:[0,1]
	v_fmac_f32_e32 v41, v48, v6
	v_fma_f32 v32, v48, v7, v32
	v_fmac_f32_e32 v33, v48, v8
	v_add_u32_e32 v6, 16, v4
	v_add_u32_e32 v7, 17, v4
	;; [unrolled: 1-line block ×3, first 2 shown]
	v_cvt_f32_i32_e32 v6, v6
	v_cvt_f32_i32_e32 v7, v7
	;; [unrolled: 1-line block ×3, first 2 shown]
	v_pk_mul_f32 v[36:37], v[42:43], v[22:23] op_sel_hi:[0,1]
	v_pk_mul_f32 v[22:23], v[42:43], v[16:17] op_sel_hi:[0,1]
	;; [unrolled: 1-line block ×3, first 2 shown]
	v_add_u32_e32 v9, 19, v4
	v_fma_f32 v36, v48, v6, v36
	v_fmac_f32_e32 v37, v48, v7
	v_fma_f32 v42, v48, v8, v34
	v_add_u32_e32 v6, 32, v4
	v_add_u32_e32 v7, 33, v4
	;; [unrolled: 1-line block ×3, first 2 shown]
	v_cvt_f32_i32_e32 v9, v9
	v_cvt_f32_i32_e32 v6, v6
	v_cvt_f32_i32_e32 v7, v7
	v_cvt_f32_i32_e32 v8, v8
	v_cvt_f32_i32_e32 v5, v4
	v_fmac_f32_e32 v35, v48, v9
	v_add_u32_e32 v9, 35, v4
	v_fma_f32 v24, v48, v6, v24
	v_fmac_f32_e32 v25, v48, v7
	v_fma_f32 v22, v48, v8, v22
	v_add_u32_e32 v6, 48, v4
	v_add_u32_e32 v7, 49, v4
	;; [unrolled: 1-line block ×4, first 2 shown]
	v_cvt_f32_i32_e32 v4, v4
	v_cvt_f32_i32_e32 v6, v6
	;; [unrolled: 1-line block ×3, first 2 shown]
	v_fma_f32 v5, v48, v5, v40
	v_fmac_f32_e32 v19, v48, v4
	v_mov_b32_e32 v4, 0xff7fffff
	v_cmp_gt_i32_e64 s[4:5], s17, v2
	v_cmp_gt_i32_e64 s[20:21], s17, v3
	v_fma_f32 v20, v48, v6, v20
	v_cndmask_b32_e64 v6, v4, v5, s[4:5]
	v_cndmask_b32_e64 v3, v4, v41, s[20:21]
	v_fmac_f32_e32 v21, v48, v7
	v_max3_f32 v3, v6, s44, v3
	v_or_b32_e32 v6, 2, v2
	v_or_b32_e32 v7, 3, v2
	v_cmp_gt_i32_e64 s[22:23], s17, v6
	v_cmp_gt_i32_e64 s[24:25], s17, v7
	v_cvt_f32_i32_e32 v9, v9
	v_cndmask_b32_e64 v6, v4, v32, s[22:23]
	v_cndmask_b32_e64 v7, v4, v33, s[24:25]
	v_max3_f32 v3, v3, v6, v7
	v_or_b32_e32 v6, 16, v2
	v_or_b32_e32 v7, 17, v2
	v_cmp_gt_i32_e64 s[26:27], s17, v6
	v_cmp_gt_i32_e64 s[28:29], s17, v7
	v_fmac_f32_e32 v23, v48, v9
	v_cndmask_b32_e64 v6, v4, v36, s[26:27]
	v_cndmask_b32_e64 v7, v4, v37, s[28:29]
	v_max3_f32 v3, v3, v6, v7
	v_or_b32_e32 v6, 18, v2
	v_or_b32_e32 v7, 19, v2
	v_cmp_gt_i32_e64 s[30:31], s17, v6
	v_cmp_gt_i32_e64 s[34:35], s17, v7
	v_cvt_f32_i32_e32 v8, v8
	v_cndmask_b32_e64 v6, v4, v42, s[30:31]
	v_cndmask_b32_e64 v7, v4, v35, s[34:35]
	v_max3_f32 v3, v3, v6, v7
	v_or_b32_e32 v6, 32, v2
	v_or_b32_e32 v7, 33, v2
	v_cmp_gt_i32_e64 s[36:37], s17, v6
	v_cmp_gt_i32_e64 s[38:39], s17, v7
	v_fma_f32 v18, v48, v8, v18
	v_cndmask_b32_e64 v6, v4, v24, s[36:37]
	v_cndmask_b32_e64 v7, v4, v25, s[38:39]
	v_max3_f32 v3, v3, v6, v7
	v_or_b32_e32 v6, 34, v2
	v_or_b32_e32 v7, 35, v2
	v_cmp_gt_i32_e64 s[12:13], s17, v6
	v_cmp_gt_i32_e64 s[14:15], s17, v7
	s_nop 0
	v_cndmask_b32_e64 v6, v4, v22, s[12:13]
	v_cndmask_b32_e64 v7, v4, v23, s[14:15]
	v_max3_f32 v3, v3, v6, v7
	v_or_b32_e32 v6, 48, v2
	v_or_b32_e32 v7, 49, v2
	v_cmp_gt_i32_e64 s[8:9], s17, v6
	v_cmp_gt_i32_e64 s[10:11], s17, v7
	s_nop 0
	v_cndmask_b32_e64 v6, v4, v20, s[8:9]
	v_cndmask_b32_e64 v7, v4, v21, s[10:11]
	v_max3_f32 v3, v3, v6, v7
	v_or_b32_e32 v6, 50, v2
	v_or_b32_e32 v2, 51, v2
	v_cmp_gt_i32_e32 vcc, s17, v6
	v_cmp_gt_i32_e64 s[6:7], s17, v2
	s_nop 0
	v_cndmask_b32_e32 v6, v4, v18, vcc
	v_cndmask_b32_e64 v2, v4, v19, s[6:7]
	v_max3_f32 v4, v3, v6, v2
	v_mbcnt_lo_u32_b32 v2, -1, 0
	v_mbcnt_hi_u32_b32 v6, -1, v2
	v_and_b32_e32 v2, 64, v6
	v_add_u32_e32 v7, 64, v2
	v_xor_b32_e32 v2, 32, v6
	v_cmp_lt_i32_e64 s[40:41], v2, v7
	s_nop 1
	v_cndmask_b32_e64 v2, v6, v2, s[40:41]
	v_lshlrev_b32_e32 v44, 2, v2
	ds_bpermute_b32 v8, v44, v4
	v_mad_i64_i32 v[2:3], s[40:41], v52, s45, v[30:31]
	global_load_dwordx4 v[14:17], v[38:39], off
	global_load_dwordx4 v[10:13], v[2:3], off
	v_xor_b32_e32 v3, 16, v6
	v_cmp_lt_i32_e64 s[40:41], v3, v7
	s_waitcnt lgkmcnt(0)
	v_max_f32_e32 v2, v8, v8
	v_max_f32_e32 v2, v4, v2
	v_cndmask_b32_e64 v3, v6, v3, s[40:41]
	v_lshlrev_b32_e32 v45, 2, v3
	ds_bpermute_b32 v3, v45, v2
	v_mad_i64_i32 v[38:39], s[40:41], v43, s45, v[30:31]
	s_waitcnt vmcnt(2)
	v_mad_i64_i32 v[30:31], s[40:41], v53, s45, v[30:31]
	s_waitcnt lgkmcnt(0)
	v_max_f32_e32 v3, v3, v3
	v_max_f32_e32 v34, v2, v3
	v_sub_f32_e32 v2, v5, v34
	v_mul_f32_e32 v2, 0x3fb8aa3b, v2
	v_exp_f32_e32 v40, v2
	v_sub_f32_e32 v2, v41, v34
	v_mul_f32_e32 v2, 0x3fb8aa3b, v2
	v_exp_f32_e32 v41, v2
	global_load_dwordx4 v[6:9], v[38:39], off
	global_load_dwordx4 v[2:5], v[30:31], off
	v_sub_f32_e32 v31, v32, v34
	v_sub_f32_e32 v32, v33, v34
	v_mul_f32_e32 v31, 0x3fb8aa3b, v31
	v_mul_f32_e32 v32, 0x3fb8aa3b, v32
	v_exp_f32_e32 v31, v31
	v_exp_f32_e32 v32, v32
	v_cndmask_b32_e64 v38, 0, v40, s[4:5]
	v_cndmask_b32_e64 v39, 0, v41, s[20:21]
	;; [unrolled: 1-line block ×4, first 2 shown]
	v_sub_f32_e32 v31, v36, v34
	v_sub_f32_e32 v32, v37, v34
	v_mul_f32_e32 v31, 0x3fb8aa3b, v31
	v_mul_f32_e32 v32, 0x3fb8aa3b, v32
	v_exp_f32_e32 v31, v31
	v_exp_f32_e32 v32, v32
	v_add_f32_e32 v30, 0, v38
	v_add_f32_e32 v30, v30, v39
	;; [unrolled: 1-line block ×4, first 2 shown]
	v_cndmask_b32_e64 v30, 0, v31, s[26:27]
	v_cndmask_b32_e64 v31, 0, v32, s[28:29]
	v_sub_f32_e32 v32, v42, v34
	v_mul_f32_e32 v32, 0x3fb8aa3b, v32
	v_sub_f32_e32 v35, v35, v34
	v_exp_f32_e32 v32, v32
	v_mul_f32_e32 v35, 0x3fb8aa3b, v35
	v_sub_f32_e32 v24, v24, v34
	v_exp_f32_e32 v35, v35
	;; [unrolled: 3-line block ×3, first 2 shown]
	v_mul_f32_e32 v25, 0x3fb8aa3b, v25
	v_sub_f32_e32 v22, v22, v34
	v_add_f32_e32 v33, v33, v30
	v_exp_f32_e32 v25, v25
	v_mul_f32_e32 v22, 0x3fb8aa3b, v22
	v_sub_f32_e32 v23, v23, v34
	v_add_f32_e32 v33, v33, v31
	v_cndmask_b32_e64 v32, 0, v32, s[30:31]
	v_exp_f32_e32 v22, v22
	v_mul_f32_e32 v23, 0x3fb8aa3b, v23
	v_sub_f32_e32 v20, v20, v34
	v_add_f32_e32 v36, v33, v32
	v_cndmask_b32_e64 v33, 0, v35, s[34:35]
	;; [unrolled: 5-line block ×5, first 2 shown]
	v_exp_f32_e32 v18, v18
	v_mul_f32_e32 v19, 0x3fb8aa3b, v19
	v_add_f32_e32 v35, v35, v22
	v_cndmask_b32_e64 v23, 0, v23, s[14:15]
	v_exp_f32_e32 v19, v19
	v_add_f32_e32 v35, v35, v23
	v_cndmask_b32_e64 v20, 0, v20, s[8:9]
	v_add_f32_e32 v35, v35, v20
	v_cndmask_b32_e64 v21, 0, v21, s[10:11]
	v_add_f32_e32 v35, v35, v21
	v_cndmask_b32_e32 v18, 0, v18, vcc
	v_add_f32_e32 v35, v35, v18
	v_cndmask_b32_e64 v19, 0, v19, s[6:7]
	v_add_f32_e32 v35, v35, v19
	ds_bpermute_b32 v36, v44, v35
	v_cmp_gt_u32_e32 vcc, 16, v27
	s_waitcnt lgkmcnt(0)
	s_barrier
	v_add_f32_e32 v36, v35, v36
	ds_bpermute_b32 v37, v45, v36
	v_lshlrev_b32_e32 v35, 2, v28
	s_and_saveexec_b64 s[4:5], vcc
	s_cbranch_execz .LBB786_15
; %bb.14:
	s_waitcnt lgkmcnt(0)
	v_add_f32_e32 v27, v36, v37
	v_lshl_or_b32 v36, v29, 6, v35
	ds_write2st64_b32 v36, v34, v27 offset1:1
.LBB786_15:
	s_or_b64 exec, exec, s[4:5]
	s_load_dword s6, s[0:1], 0x94
	s_waitcnt lgkmcnt(0)
	s_barrier
	ds_read2_b32 v[36:37], v35 offset1:16
	ds_read2_b32 v[42:43], v35 offset0:32 offset1:48
	ds_read2_b32 v[44:45], v35 offset0:64 offset1:80
	s_mul_i32 s7, s33, 3
	s_waitcnt lgkmcnt(2)
	v_max3_f32 v27, v36, s44, v37
	s_waitcnt lgkmcnt(1)
	v_max3_f32 v27, v27, v42, v43
	v_sub_f32_e32 v34, v36, v27
	v_mul_f32_e32 v34, 0x3fb8aa3b, v34
	v_exp_f32_e32 v48, v34
	v_sub_f32_e32 v34, v37, v27
	v_mul_f32_e32 v34, 0x3fb8aa3b, v34
	v_exp_f32_e32 v49, v34
	;; [unrolled: 3-line block ×3, first 2 shown]
	ds_read2_b32 v[36:37], v35 offset0:96 offset1:112
	v_sub_f32_e32 v34, v43, v27
	v_mul_f32_e32 v34, 0x3fb8aa3b, v34
	v_exp_f32_e32 v35, v34
	s_waitcnt lgkmcnt(1)
	v_fma_f32 v34, v48, v44, 0
	v_fmac_f32_e32 v34, v49, v45
	s_waitcnt lgkmcnt(0)
	v_fmac_f32_e32 v34, v42, v36
	v_fmac_f32_e32 v34, v35, v37
	v_add_f32_e32 v36, 0x358637bd, v34
	v_div_scale_f32 v37, s[4:5], v36, v36, 1.0
	v_rcp_f32_e32 v43, v37
	s_barrier
	v_fma_f32 v44, -v37, v43, 1.0
	v_fmac_f32_e32 v43, v44, v43
	v_div_scale_f32 v44, vcc, 1.0, v36, 1.0
	v_mul_f32_e32 v45, v44, v43
	v_fma_f32 v50, -v37, v45, v44
	v_fmac_f32_e32 v45, v50, v43
	v_fma_f32 v37, -v37, v45, v44
	v_div_fmas_f32 v37, v37, v43, v45
	v_cmp_eq_u32_e32 vcc, 1, v29
	v_div_fixup_f32 v36, v37, v36, 1.0
	s_nop 0
	v_cndmask_b32_e32 v37, v48, v49, vcc
	v_cmp_eq_u32_e32 vcc, 2, v29
	s_nop 1
	v_cndmask_b32_e32 v37, v37, v42, vcc
	v_cmp_eq_u32_e32 vcc, 3, v29
	v_lshlrev_b32_e32 v29, 11, v29
	s_nop 0
	v_cndmask_b32_e32 v35, v37, v35, vcc
	v_mul_f32_e32 v36, v35, v36
	v_pk_mul_f32 v[38:39], v[36:37], v[38:39] op_sel_hi:[0,1]
	v_pk_mul_f32 v[40:41], v[36:37], v[40:41] op_sel_hi:[0,1]
	v_cvt_f16_f32_e32 v35, v38
	v_cvt_f16_f32_e32 v37, v39
	;; [unrolled: 1-line block ×4, first 2 shown]
	v_cmp_gt_u32_e32 vcc, 3, v0
	v_pack_b32_f16 v38, v35, v37
	v_lshlrev_b32_e32 v37, 3, v46
	v_pk_mul_f32 v[30:31], v[36:37], v[30:31] op_sel_hi:[0,1]
	v_pack_b32_f16 v39, v39, v40
	v_cvt_f16_f32_e32 v40, v30
	v_cvt_f16_f32_e32 v31, v31
	v_lshlrev_b32_e32 v35, 5, v28
	v_pk_mul_f32 v[32:33], v[36:37], v[32:33] op_sel_hi:[0,1]
	v_pk_mul_f32 v[22:23], v[36:37], v[22:23] op_sel_hi:[0,1]
	;; [unrolled: 1-line block ×5, first 2 shown]
	v_cvt_f16_f32_e32 v41, v32
	v_cvt_f16_f32_e32 v33, v33
	v_or3_b32 v30, v29, v35, v37
	v_pack_b32_f16 v32, v40, v31
	v_cvt_f16_f32_e32 v24, v24
	v_cvt_f16_f32_e32 v25, v25
	;; [unrolled: 1-line block ×8, first 2 shown]
	v_pack_b32_f16 v33, v41, v33
	v_pack_b32_f16 v18, v24, v25
	;; [unrolled: 1-line block ×5, first 2 shown]
	ds_write2st64_b64 v30, v[38:39], v[32:33] offset1:1
	ds_write2st64_b64 v30, v[18:19], v[20:21] offset0:2 offset1:3
	s_and_saveexec_b64 s[4:5], vcc
	s_cbranch_execz .LBB786_17
; %bb.16:
	s_mov_b32 s49, 0
	v_mov_b32_e32 v29, 0
	v_lshl_add_u64 v[18:19], s[48:49], 0, v[28:29]
	v_mov_b32_e32 v20, s7
	v_mad_u64_u32 v[18:19], s[12:13], s2, v20, v[18:19]
	s_mul_i32 s3, s3, s7
	v_mov_b32_e32 v28, s16
	s_load_dwordx4 s[8:11], s[0:1], 0x58
	v_add_u32_e32 v21, s3, v19
	v_mad_u64_u32 v[18:19], s[12:13], v18, s6, v[28:29]
	v_mov_b32_e32 v20, v19
	v_mad_u64_u32 v[20:21], s[12:13], v21, s6, v[20:21]
	v_mov_b32_e32 v19, v20
	v_lshlrev_b64 v[18:19], 2, v[18:19]
	s_waitcnt lgkmcnt(0)
	v_lshl_add_u64 v[20:21], s[10:11], 0, v[18:19]
	v_lshl_add_u64 v[18:19], s[8:9], 0, v[18:19]
	global_store_dword v[20:21], v27, off
	global_store_dword v[18:19], v34, off
.LBB786_17:
	s_or_b64 exec, exec, s[4:5]
	s_waitcnt vmcnt(3)
	v_cvt_pk_f32_fp8_e32 v[18:19], v14
	v_cvt_pk_f32_fp8_sdwa v[20:21], v14 src0_sel:WORD_1
	v_lshl_or_b32 v14, v46, 9, v35
	s_waitcnt lgkmcnt(0)
	s_barrier
	v_cvt_pk_f32_fp8_e32 v[22:23], v15
	v_cvt_pkrtz_f16_f32 v28, v18, v19
	v_cvt_pkrtz_f16_f32 v29, v20, v21
	v_cvt_pk_f32_fp8_sdwa v[24:25], v15 src0_sel:WORD_1
	ds_read_b128 v[18:21], v14
	v_cvt_pkrtz_f16_f32 v36, v22, v23
	v_cvt_pk_f32_fp8_e32 v[38:39], v16
	v_cvt_pkrtz_f16_f32 v37, v24, v25
	ds_read_b128 v[22:25], v14 offset:16
	v_cvt_pk_f32_fp8_sdwa v[40:41], v16 src0_sel:WORD_1
	s_waitcnt lgkmcnt(1)
	v_mfma_f32_16x16x16_f16 v[32:35], v[28:29], v[18:19], 0
	v_cvt_pkrtz_f16_f32 v28, v38, v39
	v_cvt_pk_f32_fp8_e32 v[38:39], v17
	v_cvt_pkrtz_f16_f32 v29, v40, v41
	v_mfma_f32_16x16x16_f16 v[18:21], v[36:37], v[20:21], v[32:35]
	s_waitcnt vmcnt(2)
	v_cvt_pk_f32_fp8_sdwa v[36:37], v12 src0_sel:WORD_1
	s_load_dword s4, s[42:43], 0x0
	v_cmp_gt_u32_e32 vcc, 64, v0
	v_cvt_pk_f32_fp8_sdwa v[32:33], v17 src0_sel:WORD_1
	v_cvt_pkrtz_f16_f32 v34, v38, v39
	s_waitcnt lgkmcnt(0)
	v_mfma_f32_16x16x16_f16 v[16:19], v[28:29], v[22:23], v[18:21]
	v_cvt_pk_f32_fp8_sdwa v[22:23], v10 src0_sel:WORD_1
	v_cvt_pkrtz_f16_f32 v35, v32, v33
	v_cvt_pk_f32_fp8_sdwa v[28:29], v11 src0_sel:WORD_1
	v_cvt_pk_f32_fp8_e32 v[20:21], v10
	v_mfma_f32_16x16x16_f16 v[16:19], v[34:35], v[24:25], v[16:19]
	v_cvt_pk_f32_fp8_e32 v[24:25], v11
	v_cvt_pkrtz_f16_f32 v10, v20, v21
	v_cvt_pkrtz_f16_f32 v11, v22, v23
	ds_read_b128 v[20:23], v14 offset:2048
	ds_read_b128 v[32:35], v14 offset:2064
	v_cvt_pkrtz_f16_f32 v24, v24, v25
	v_cvt_pkrtz_f16_f32 v25, v28, v29
	v_cvt_pk_f32_fp8_e32 v[28:29], v12
	s_waitcnt lgkmcnt(1)
	v_mfma_f32_16x16x16_f16 v[16:19], v[10:11], v[20:21], v[16:19]
	v_cvt_pkrtz_f16_f32 v11, v36, v37
	v_cvt_pk_f32_fp8_e32 v[20:21], v13
	v_cvt_pkrtz_f16_f32 v10, v28, v29
	v_mfma_f32_16x16x16_f16 v[16:19], v[24:25], v[22:23], v[16:19]
	v_cvt_pk_f32_fp8_sdwa v[22:23], v13 src0_sel:WORD_1
	v_cvt_pkrtz_f16_f32 v20, v20, v21
	s_waitcnt vmcnt(1)
	v_cvt_pk_f32_fp8_e32 v[28:29], v8
	s_waitcnt lgkmcnt(0)
	v_mfma_f32_16x16x16_f16 v[10:13], v[10:11], v[32:33], v[16:19]
	v_cvt_pkrtz_f16_f32 v21, v22, v23
	v_cvt_pk_f32_fp8_sdwa v[22:23], v7 src0_sel:WORD_1
	v_cvt_pk_f32_fp8_sdwa v[32:33], v8 src0_sel:WORD_1
	v_cvt_pk_f32_fp8_e32 v[16:17], v6
	v_cvt_pk_f32_fp8_sdwa v[18:19], v6 src0_sel:WORD_1
	v_mfma_f32_16x16x16_f16 v[10:13], v[20:21], v[34:35], v[10:13]
	v_cvt_pk_f32_fp8_e32 v[20:21], v7
	v_cvt_pkrtz_f16_f32 v6, v16, v17
	v_cvt_pkrtz_f16_f32 v7, v18, v19
	ds_read_b128 v[16:19], v14 offset:4096
	v_cvt_pkrtz_f16_f32 v24, v20, v21
	v_cvt_pkrtz_f16_f32 v25, v22, v23
	ds_read_b128 v[20:23], v14 offset:4112
	s_waitcnt lgkmcnt(1)
	v_mfma_f32_16x16x16_f16 v[10:13], v[6:7], v[16:17], v[10:13]
	v_cvt_pkrtz_f16_f32 v6, v28, v29
	v_cvt_pkrtz_f16_f32 v7, v32, v33
	v_cvt_pk_f32_fp8_e32 v[16:17], v9
	v_mfma_f32_16x16x16_f16 v[10:13], v[24:25], v[18:19], v[10:13]
	v_cvt_pk_f32_fp8_sdwa v[18:19], v9 src0_sel:WORD_1
	s_mov_b32 s3, 0
	v_cvt_pkrtz_f16_f32 v16, v16, v17
	s_waitcnt lgkmcnt(0)
	v_mfma_f32_16x16x16_f16 v[6:9], v[6:7], v[20:21], v[10:13]
	v_cvt_pkrtz_f16_f32 v17, v18, v19
	s_waitcnt vmcnt(0)
	v_cvt_pk_f32_fp8_sdwa v[18:19], v3 src0_sel:WORD_1
	v_mov_b32_e32 v27, 0
	v_cvt_pk_f32_fp8_e32 v[10:11], v2
	v_cvt_pk_f32_fp8_sdwa v[12:13], v2 src0_sel:WORD_1
	v_mfma_f32_16x16x16_f16 v[6:9], v[16:17], v[22:23], v[6:9]
	v_cvt_pk_f32_fp8_e32 v[16:17], v3
	v_cvt_pkrtz_f16_f32 v2, v10, v11
	v_cvt_pkrtz_f16_f32 v3, v12, v13
	ds_read_b128 v[10:13], v14 offset:6144
	v_cvt_pkrtz_f16_f32 v20, v16, v17
	v_cvt_pkrtz_f16_f32 v21, v18, v19
	v_cvt_pk_f32_fp8_e32 v[18:19], v4
	v_cvt_pk_f32_fp8_sdwa v[22:23], v4 src0_sel:WORD_1
	s_waitcnt lgkmcnt(0)
	v_mfma_f32_16x16x16_f16 v[6:9], v[2:3], v[10:11], v[6:9]
	ds_read_b128 v[14:17], v14 offset:6160
	v_cvt_pkrtz_f16_f32 v2, v18, v19
	v_cvt_pkrtz_f16_f32 v3, v22, v23
	v_cvt_pk_f32_fp8_e32 v[10:11], v5
	v_mfma_f32_16x16x16_f16 v[6:9], v[20:21], v[12:13], v[6:9]
	v_cvt_pk_f32_fp8_sdwa v[12:13], v5 src0_sel:WORD_1
	s_waitcnt lgkmcnt(0)
	v_cvt_pkrtz_f16_f32 v10, v10, v11
	v_mfma_f32_16x16x16_f16 v[2:5], v[2:3], v[14:15], v[6:9]
	v_cvt_pkrtz_f16_f32 v11, v12, v13
	s_barrier
	s_nop 0
	v_mfma_f32_16x16x16_f16 v[2:5], v[10:11], v[16:17], v[2:5]
	s_nop 6
	v_pk_mul_f32 v[4:5], v[4:5], s[4:5] op_sel_hi:[1,0]
	v_pk_mul_f32 v[2:3], v[2:3], s[4:5] op_sel_hi:[1,0]
	v_cvt_f16_f32_e32 v4, v4
	v_cvt_f16_f32_e32 v2, v2
	;; [unrolled: 1-line block ×4, first 2 shown]
	v_cmp_ne_u32_e64 s[4:5], 3, v46
	s_and_b64 s[4:5], s[4:5], vcc
	v_pack_b32_f16 v2, v2, v3
	v_pack_b32_f16 v3, v4, v5
	s_and_b64 s[4:5], s[4:5], s[18:19]
	ds_write_b64 v30, v[2:3]
	s_waitcnt lgkmcnt(0)
	s_barrier
	s_and_saveexec_b64 s[8:9], s[4:5]
	s_cbranch_execz .LBB786_19
; %bb.18:
	s_load_dwordx2 s[0:1], s[0:1], 0x68
	s_mul_i32 s2, s7, s2
	s_lshl_b32 s6, s6, 6
	s_mul_hi_u32 s5, s2, s6
	s_mul_i32 s4, s2, s6
	v_lshlrev_b32_e32 v0, 10, v0
	s_lshl_b64 s[4:5], s[4:5], 1
	v_and_b32_e32 v0, 0x1800, v0
	v_lshlrev_b32_e32 v2, 5, v46
	v_and_b32_e32 v3, 16, v47
	s_waitcnt lgkmcnt(0)
	s_add_u32 s4, s0, s4
	v_or3_b32 v0, v0, v2, v3
	s_addc_u32 s5, s1, s5
	s_lshl_b32 s2, s16, 6
	ds_read_b128 v[2:5], v0
	s_lshl_b64 s[0:1], s[2:3], 1
	s_add_u32 s0, s4, s0
	s_addc_u32 s1, s5, s1
	v_mad_u64_u32 v[0:1], s[2:3], s6, v1, 0
	v_lshl_add_u64 v[0:1], v[0:1], 1, s[0:1]
	v_lshl_add_u64 v[0:1], v[0:1], 0, v[26:27]
	s_waitcnt lgkmcnt(0)
	global_store_dwordx4 v[0:1], v[2:5], off
.LBB786_19:
	s_endpgm
	.section	.rodata,"a",@progbits
	.p2align	6, 0x0
	.amdhsa_kernel _Z39paged_attention_ll4mi_QKV_mfma16_kernelIDF16_hLN4vllm18Fp8KVCacheDataTypeE1EhLi16ELi64ELi256ELb1ELi3EEvPKT_PKT0_S7_ifPKiS9_S9_iPKfiiiPfSC_PS2_PT2_iSB_SB_
		.amdhsa_group_segment_fixed_size 8192
		.amdhsa_private_segment_fixed_size 0
		.amdhsa_kernarg_size 400
		.amdhsa_user_sgpr_count 2
		.amdhsa_user_sgpr_dispatch_ptr 0
		.amdhsa_user_sgpr_queue_ptr 0
		.amdhsa_user_sgpr_kernarg_segment_ptr 1
		.amdhsa_user_sgpr_dispatch_id 0
		.amdhsa_user_sgpr_kernarg_preload_length 0
		.amdhsa_user_sgpr_kernarg_preload_offset 0
		.amdhsa_user_sgpr_private_segment_size 0
		.amdhsa_uses_dynamic_stack 0
		.amdhsa_enable_private_segment 0
		.amdhsa_system_sgpr_workgroup_id_x 1
		.amdhsa_system_sgpr_workgroup_id_y 1
		.amdhsa_system_sgpr_workgroup_id_z 1
		.amdhsa_system_sgpr_workgroup_info 0
		.amdhsa_system_vgpr_workitem_id 0
		.amdhsa_next_free_vgpr 68
		.amdhsa_next_free_sgpr 50
		.amdhsa_accum_offset 68
		.amdhsa_reserve_vcc 1
		.amdhsa_float_round_mode_32 0
		.amdhsa_float_round_mode_16_64 0
		.amdhsa_float_denorm_mode_32 3
		.amdhsa_float_denorm_mode_16_64 3
		.amdhsa_dx10_clamp 1
		.amdhsa_ieee_mode 1
		.amdhsa_fp16_overflow 0
		.amdhsa_tg_split 0
		.amdhsa_exception_fp_ieee_invalid_op 0
		.amdhsa_exception_fp_denorm_src 0
		.amdhsa_exception_fp_ieee_div_zero 0
		.amdhsa_exception_fp_ieee_overflow 0
		.amdhsa_exception_fp_ieee_underflow 0
		.amdhsa_exception_fp_ieee_inexact 0
		.amdhsa_exception_int_div_zero 0
	.end_amdhsa_kernel
	.section	.text._Z39paged_attention_ll4mi_QKV_mfma16_kernelIDF16_hLN4vllm18Fp8KVCacheDataTypeE1EhLi16ELi64ELi256ELb1ELi3EEvPKT_PKT0_S7_ifPKiS9_S9_iPKfiiiPfSC_PS2_PT2_iSB_SB_,"axG",@progbits,_Z39paged_attention_ll4mi_QKV_mfma16_kernelIDF16_hLN4vllm18Fp8KVCacheDataTypeE1EhLi16ELi64ELi256ELb1ELi3EEvPKT_PKT0_S7_ifPKiS9_S9_iPKfiiiPfSC_PS2_PT2_iSB_SB_,comdat
.Lfunc_end786:
	.size	_Z39paged_attention_ll4mi_QKV_mfma16_kernelIDF16_hLN4vllm18Fp8KVCacheDataTypeE1EhLi16ELi64ELi256ELb1ELi3EEvPKT_PKT0_S7_ifPKiS9_S9_iPKfiiiPfSC_PS2_PT2_iSB_SB_, .Lfunc_end786-_Z39paged_attention_ll4mi_QKV_mfma16_kernelIDF16_hLN4vllm18Fp8KVCacheDataTypeE1EhLi16ELi64ELi256ELb1ELi3EEvPKT_PKT0_S7_ifPKiS9_S9_iPKfiiiPfSC_PS2_PT2_iSB_SB_
                                        ; -- End function
	.section	.AMDGPU.csdata,"",@progbits
; Kernel info:
; codeLenInByte = 4808
; NumSgprs: 56
; NumVgprs: 68
; NumAgprs: 0
; TotalNumVgprs: 68
; ScratchSize: 0
; MemoryBound: 0
; FloatMode: 240
; IeeeMode: 1
; LDSByteSize: 8192 bytes/workgroup (compile time only)
; SGPRBlocks: 6
; VGPRBlocks: 8
; NumSGPRsForWavesPerEU: 56
; NumVGPRsForWavesPerEU: 68
; AccumOffset: 68
; Occupancy: 7
; WaveLimiterHint : 1
; COMPUTE_PGM_RSRC2:SCRATCH_EN: 0
; COMPUTE_PGM_RSRC2:USER_SGPR: 2
; COMPUTE_PGM_RSRC2:TRAP_HANDLER: 0
; COMPUTE_PGM_RSRC2:TGID_X_EN: 1
; COMPUTE_PGM_RSRC2:TGID_Y_EN: 1
; COMPUTE_PGM_RSRC2:TGID_Z_EN: 1
; COMPUTE_PGM_RSRC2:TIDIG_COMP_CNT: 0
; COMPUTE_PGM_RSRC3_GFX90A:ACCUM_OFFSET: 16
; COMPUTE_PGM_RSRC3_GFX90A:TG_SPLIT: 0
	.section	.text._Z39paged_attention_ll4mi_QKV_mfma16_kernelIDF16_hLN4vllm18Fp8KVCacheDataTypeE1EhLi16ELi64ELi256ELb1ELi4EEvPKT_PKT0_S7_ifPKiS9_S9_iPKfiiiPfSC_PS2_PT2_iSB_SB_,"axG",@progbits,_Z39paged_attention_ll4mi_QKV_mfma16_kernelIDF16_hLN4vllm18Fp8KVCacheDataTypeE1EhLi16ELi64ELi256ELb1ELi4EEvPKT_PKT0_S7_ifPKiS9_S9_iPKfiiiPfSC_PS2_PT2_iSB_SB_,comdat
	.protected	_Z39paged_attention_ll4mi_QKV_mfma16_kernelIDF16_hLN4vllm18Fp8KVCacheDataTypeE1EhLi16ELi64ELi256ELb1ELi4EEvPKT_PKT0_S7_ifPKiS9_S9_iPKfiiiPfSC_PS2_PT2_iSB_SB_ ; -- Begin function _Z39paged_attention_ll4mi_QKV_mfma16_kernelIDF16_hLN4vllm18Fp8KVCacheDataTypeE1EhLi16ELi64ELi256ELb1ELi4EEvPKT_PKT0_S7_ifPKiS9_S9_iPKfiiiPfSC_PS2_PT2_iSB_SB_
	.globl	_Z39paged_attention_ll4mi_QKV_mfma16_kernelIDF16_hLN4vllm18Fp8KVCacheDataTypeE1EhLi16ELi64ELi256ELb1ELi4EEvPKT_PKT0_S7_ifPKiS9_S9_iPKfiiiPfSC_PS2_PT2_iSB_SB_
	.p2align	8
	.type	_Z39paged_attention_ll4mi_QKV_mfma16_kernelIDF16_hLN4vllm18Fp8KVCacheDataTypeE1EhLi16ELi64ELi256ELb1ELi4EEvPKT_PKT0_S7_ifPKiS9_S9_iPKfiiiPfSC_PS2_PT2_iSB_SB_,@function
_Z39paged_attention_ll4mi_QKV_mfma16_kernelIDF16_hLN4vllm18Fp8KVCacheDataTypeE1EhLi16ELi64ELi256ELb1ELi4EEvPKT_PKT0_S7_ifPKiS9_S9_iPKfiiiPfSC_PS2_PT2_iSB_SB_: ; @_Z39paged_attention_ll4mi_QKV_mfma16_kernelIDF16_hLN4vllm18Fp8KVCacheDataTypeE1EhLi16ELi64ELi256ELb1ELi4EEvPKT_PKT0_S7_ifPKiS9_S9_iPKfiiiPfSC_PS2_PT2_iSB_SB_
; %bb.0:
	s_load_dwordx2 s[6:7], s[0:1], 0x30
	s_mov_b32 s14, s3
	s_mov_b64 s[8:9], 0
	s_waitcnt lgkmcnt(0)
	s_cmp_lg_u64 s[6:7], 0
	s_cselect_b64 s[10:11], -1, 0
	s_and_b64 vcc, exec, s[10:11]
	s_cbranch_vccz .LBB787_7
; %bb.1:
	s_add_i32 s12, s2, 1
	s_mov_b32 s13, 0
	s_lshl_b64 s[16:17], s[12:13], 2
	s_add_u32 s16, s6, s16
	s_mov_b32 s3, s13
	s_addc_u32 s17, s7, s17
	s_lshl_b64 s[12:13], s[2:3], 2
	s_add_u32 s12, s6, s12
	s_addc_u32 s13, s7, s13
	s_load_dword s5, s[16:17], 0x0
	s_load_dword s15, s[12:13], 0x0
	s_waitcnt lgkmcnt(0)
	s_sub_i32 s5, s5, s15
	s_cmp_eq_u32 s5, 1
	s_cselect_b64 s[12:13], -1, 0
	s_andn2_b64 vcc, exec, s[8:9]
	s_cbranch_vccnz .LBB787_3
.LBB787_2:
	s_mov_b32 s3, 0
	s_mov_b64 s[12:13], -1
.LBB787_3:
	s_andn2_b64 vcc, exec, s[12:13]
	s_cbranch_vccnz .LBB787_19
; %bb.4:
	s_load_dwordx2 s[8:9], s[0:1], 0x28
	s_lshl_b64 s[12:13], s[2:3], 2
	s_waitcnt lgkmcnt(0)
	s_add_u32 s8, s8, s12
	s_addc_u32 s9, s9, s13
	s_load_dword s33, s[8:9], 0x0
	s_lshl_b32 s18, s14, 8
	s_waitcnt lgkmcnt(0)
	s_cmp_ge_i32 s18, s33
	s_cbranch_scc1 .LBB787_19
; %bb.5:
	s_load_dwordx2 s[8:9], s[0:1], 0x20
	s_load_dword s5, s[0:1], 0x38
	s_add_i32 s15, s33, 15
	s_ashr_i32 s16, s15, 31
	v_and_b32_e32 v1, 0xcf, v0
	s_lshr_b32 s16, s16, 28
	v_add_u32_e32 v1, s18, v1
	s_add_i32 s15, s15, s16
	v_ashrrev_i32_e32 v2, 31, v1
	s_ashr_i32 s19, s15, 4
	v_lshrrev_b32_e32 v4, 28, v2
	s_add_i32 s19, s19, -1
	s_waitcnt lgkmcnt(0)
	s_mul_i32 s16, s2, s5
	s_mov_b32 s17, 0
	v_add_u32_e32 v2, v1, v4
	s_lshl_b64 s[16:17], s[16:17], 2
	v_ashrrev_i32_e32 v2, 4, v2
	v_mov_b32_e32 v5, s19
	v_cmp_gt_i32_e32 vcc, s33, v1
	s_add_u32 s8, s8, s16
	s_addc_u32 s9, s9, s17
	v_cndmask_b32_e32 v2, v5, v2, vcc
	v_ashrrev_i32_e32 v3, 31, v2
	v_lshl_add_u64 v[6:7], v[2:3], 2, s[8:9]
	v_or_b32_e32 v2, 16, v1
	v_add_u32_e32 v3, v2, v4
	v_ashrrev_i32_e32 v3, 4, v3
	v_cmp_gt_i32_e32 vcc, s33, v2
	s_load_dwordx2 s[16:17], s[0:1], 0x8
	s_nop 0
	v_cndmask_b32_e32 v2, v5, v3, vcc
	v_ashrrev_i32_e32 v3, 31, v2
	v_lshl_add_u64 v[8:9], v[2:3], 2, s[8:9]
	v_or_b32_e32 v2, 32, v1
	v_add_u32_e32 v3, v2, v4
	v_ashrrev_i32_e32 v3, 4, v3
	v_cmp_gt_i32_e32 vcc, s33, v2
	v_or_b32_e32 v1, 48, v1
	s_nop 0
	v_cndmask_b32_e32 v2, v5, v3, vcc
	v_ashrrev_i32_e32 v3, 31, v2
	v_lshl_add_u64 v[10:11], v[2:3], 2, s[8:9]
	v_add_u32_e32 v2, v1, v4
	v_ashrrev_i32_e32 v2, 4, v2
	v_cmp_gt_i32_e32 vcc, s33, v1
	s_nop 1
	v_cndmask_b32_e32 v2, v5, v2, vcc
	v_ashrrev_i32_e32 v3, 31, v2
	v_lshl_add_u64 v[12:13], v[2:3], 2, s[8:9]
	global_load_dword v5, v[6:7], off
	global_load_dword v4, v[8:9], off
	;; [unrolled: 1-line block ×4, first 2 shown]
	s_andn2_b64 vcc, exec, s[10:11]
	s_cbranch_vccnz .LBB787_8
; %bb.6:
	s_add_u32 s6, s6, s12
	s_addc_u32 s7, s7, s13
	s_load_dword s5, s[6:7], 0x0
	s_branch .LBB787_9
.LBB787_7:
	s_mov_b64 s[12:13], 0
	s_branch .LBB787_2
.LBB787_8:
	s_mov_b32 s5, s2
.LBB787_9:
	s_load_dwordx2 s[10:11], s[0:1], 0x10
	s_load_dwordx4 s[44:47], s[0:1], 0x48
	v_and_b32_e32 v48, 15, v0
	v_bfe_u32 v46, v0, 4, 2
	s_lshl_b32 s15, s4, 2
	v_lshlrev_b32_e32 v6, 3, v48
	v_cmp_gt_u32_e32 vcc, 64, v0
	v_cmp_gt_u32_e64 s[6:7], 8, v48
	v_lshrrev_b32_e32 v47, 6, v0
	v_or_b32_e32 v1, s15, v46
	s_and_b64 s[48:49], vcc, s[6:7]
	v_lshlrev_b32_e32 v26, 1, v6
	v_lshlrev_b32_e32 v44, 5, v46
	;; [unrolled: 1-line block ×3, first 2 shown]
	s_and_saveexec_b64 s[6:7], s[48:49]
	s_cbranch_execz .LBB787_11
; %bb.10:
	s_load_dwordx2 s[12:13], s[0:1], 0x0
	s_waitcnt lgkmcnt(0)
	s_ashr_i32 s20, s44, 31
	s_mul_hi_u32 s21, s5, s44
	s_mul_i32 s20, s5, s20
	s_add_i32 s21, s21, s20
	s_mul_i32 s20, s5, s44
	s_lshl_b64 s[20:21], s[20:21], 1
	s_add_u32 s12, s12, s20
	v_lshlrev_b32_e32 v6, 6, v1
	s_addc_u32 s13, s13, s21
	v_ashrrev_i32_e32 v7, 31, v6
	v_lshl_add_u64 v[6:7], v[6:7], 1, s[12:13]
	v_mov_b32_e32 v27, 0
	v_lshl_add_u64 v[6:7], v[6:7], 0, v[26:27]
	global_load_dwordx4 v[6:9], v[6:7], off
	v_lshlrev_b32_e32 v12, 8, v48
	v_lshl_or_b32 v10, v47, 7, v44
	v_and_b32_e32 v11, 16, v45
	v_and_b32_e32 v12, 0xe00, v12
	v_or3_b32 v10, v12, v10, v11
	s_waitcnt vmcnt(0)
	ds_write_b128 v10, v[6:9]
.LBB787_11:
	s_or_b64 exec, exec, s[6:7]
	s_waitcnt lgkmcnt(0)
	s_mul_i32 s6, s4, s46
	s_add_u32 s4, s16, s6
	s_addc_u32 s5, s17, 0
	v_and_b32_e32 v30, 48, v0
	v_and_b32_e32 v28, 0xf0, v45
	v_mov_b32_e32 v29, 0
	v_lshl_add_u64 v[6:7], s[4:5], 0, v[28:29]
	v_lshlrev_b32_e32 v28, 4, v30
	v_lshl_add_u64 v[6:7], v[6:7], 0, v[28:29]
	s_waitcnt vmcnt(3)
	v_mad_i64_i32 v[8:9], s[4:5], v5, s45, v[6:7]
	s_waitcnt vmcnt(2)
	v_mad_i64_i32 v[4:5], s[4:5], v4, s45, v[6:7]
	s_barrier
	global_load_dwordx4 v[22:25], v[8:9], off
	global_load_dwordx4 v[18:21], v[4:5], off
	s_waitcnt vmcnt(3)
	v_mad_i64_i32 v[4:5], s[4:5], v3, s45, v[6:7]
	s_waitcnt vmcnt(2)
	v_mad_i64_i32 v[2:3], s[4:5], v2, s45, v[6:7]
	global_load_dwordx4 v[14:17], v[4:5], off
	global_load_dwordx4 v[6:9], v[2:3], off
	v_and_b32_e32 v2, 3, v0
	v_lshlrev_b32_e32 v2, 5, v2
	v_lshl_or_b32 v2, v46, 9, v2
	ds_read_b128 v[10:13], v2
	ds_read_b128 v[2:5], v2 offset:16
	v_and_b32_e32 v27, 63, v0
	v_cmp_gt_u32_e32 vcc, 4, v48
	v_mov_b32_e32 v49, 0
	s_and_saveexec_b64 s[4:5], vcc
	s_cbranch_execz .LBB787_13
; %bb.12:
	s_load_dwordx2 s[12:13], s[0:1], 0x40
	v_or_b32_e32 v32, s15, v48
	v_ashrrev_i32_e32 v33, 31, v32
	s_waitcnt lgkmcnt(0)
	v_lshl_add_u64 v[32:33], v[32:33], 2, s[12:13]
	global_load_dword v49, v[32:33], off
.LBB787_13:
	s_or_b64 exec, exec, s[4:5]
	v_or_b32_e32 v28, s18, v30
	s_waitcnt vmcnt(3)
	v_cvt_pk_f32_fp8_e32 v[32:33], v22
	v_cvt_pk_f32_fp8_sdwa v[34:35], v22 src0_sel:WORD_1
	v_ashrrev_i32_e32 v30, 4, v28
	v_mov_b32_e32 v51, s19
	v_cmp_gt_i32_e32 vcc, s33, v28
	s_waitcnt vmcnt(1)
	v_cvt_pk_f32_fp8_e32 v[68:69], v14
	v_cvt_pk_f32_fp8_sdwa v[70:71], v14 src0_sel:WORD_1
	v_or_b32_e32 v14, 64, v28
	v_cndmask_b32_e32 v30, v51, v30, vcc
	v_lshlrev_b32_e32 v72, 4, v48
	v_cvt_pk_f32_fp8_e32 v[52:53], v18
	v_cvt_pk_f32_fp8_sdwa v[54:55], v18 src0_sel:WORD_1
	v_cvt_pk_f32_fp8_e32 v[60:61], v20
	v_cvt_pk_f32_fp8_sdwa v[62:63], v20 src0_sel:WORD_1
	v_or_b32_e32 v18, 0x80, v28
	v_ashrrev_i32_e32 v20, 4, v14
	v_cmp_gt_i32_e32 vcc, s33, v14
	v_cvt_pk_f32_fp8_e32 v[36:37], v23
	v_cvt_pk_f32_fp8_e32 v[56:57], v19
	v_cvt_pk_f32_fp8_sdwa v[58:59], v19 src0_sel:WORD_1
	v_cvt_pk_f32_fp8_e32 v[64:65], v21
	v_cvt_pk_f32_fp8_sdwa v[66:67], v21 src0_sel:WORD_1
	v_or_b32_e32 v19, 0xc0, v28
	v_lshl_or_b32 v28, v47, 8, v72
	v_ashrrev_i32_e32 v21, 4, v18
	v_cndmask_b32_e32 v72, v51, v20, vcc
	v_cmp_gt_i32_e32 vcc, s33, v18
	v_cvt_pk_f32_fp8_sdwa v[22:23], v23 src0_sel:WORD_1
	v_ashrrev_i32_e32 v73, 4, v19
	v_cndmask_b32_e32 v74, v51, v21, vcc
	v_cmp_gt_i32_e32 vcc, s33, v19
	v_cvt_pkrtz_f16_f32 v18, v32, v33
	v_cvt_pkrtz_f16_f32 v19, v34, v35
	v_ashrrev_i32_e32 v31, 31, v30
	v_lshl_add_u64 v[30:31], v[30:31], 2, s[8:9]
	v_cvt_pkrtz_f16_f32 v34, v36, v37
	v_cvt_pkrtz_f16_f32 v36, v52, v53
	;; [unrolled: 1-line block ×3, first 2 shown]
	global_load_dword v50, v[30:31], off
	v_cvt_pk_f32_fp8_e32 v[38:39], v24
	v_cvt_pk_f32_fp8_sdwa v[40:41], v24 src0_sel:WORD_1
	v_cvt_pkrtz_f16_f32 v35, v22, v23
	s_waitcnt lgkmcnt(1)
	v_mfma_f32_16x16x16_f16 v[18:21], v[18:19], v[10:11], 0
	s_add_u32 s4, s10, s6
	s_addc_u32 s5, s11, 0
	v_cvt_pkrtz_f16_f32 v22, v56, v57
	v_cvt_pkrtz_f16_f32 v23, v58, v59
	v_cvt_pk_f32_fp8_e32 v[42:43], v25
	v_cvt_pk_f32_fp8_sdwa v[24:25], v25 src0_sel:WORD_1
	v_lshl_add_u64 v[28:29], s[4:5], 0, v[28:29]
	v_cvt_pkrtz_f16_f32 v52, v38, v39
	v_cvt_pkrtz_f16_f32 v53, v40, v41
	v_mfma_f32_16x16x16_f16 v[38:41], v[36:37], v[10:11], 0
	s_load_dword s4, s[0:1], 0x1c
	s_load_dwordx4 s[40:43], s[0:1], 0x80
	v_cndmask_b32_e32 v76, v51, v73, vcc
	v_ashrrev_i32_e32 v73, 31, v72
	v_mfma_f32_16x16x16_f16 v[18:21], v[34:35], v[12:13], v[18:21]
	v_ashrrev_i32_e32 v75, 31, v74
	v_ashrrev_i32_e32 v77, 31, v76
	v_cvt_pkrtz_f16_f32 v33, v24, v25
	v_mfma_f32_16x16x16_f16 v[22:25], v[22:23], v[12:13], v[38:41]
	v_cvt_pkrtz_f16_f32 v32, v42, v43
	v_lshl_add_u64 v[42:43], v[76:77], 2, s[8:9]
	s_load_dword s44, s[0:1], 0x98
	s_waitcnt lgkmcnt(0)
	s_load_dword s5, s[40:41], 0x0
	v_lshl_add_u64 v[38:39], v[72:73], 2, s[8:9]
	v_lshl_add_u64 v[40:41], v[74:75], 2, s[8:9]
	v_mfma_f32_16x16x16_f16 v[18:21], v[52:53], v[2:3], v[18:21]
	global_load_dword v52, v[38:39], off
	s_nop 0
	global_load_dword v41, v[40:41], off
	s_nop 0
	global_load_dword v53, v[42:43], off
	v_cvt_pkrtz_f16_f32 v54, v60, v61
	v_cvt_pkrtz_f16_f32 v55, v62, v63
	;; [unrolled: 1-line block ×4, first 2 shown]
	v_mov_b32_e32 v14, s4
	v_cvt_pk_f32_fp8_e32 v[30:31], v15
	v_cvt_pkrtz_f16_f32 v34, v68, v69
	v_cvt_pkrtz_f16_f32 v35, v70, v71
	v_mfma_f32_16x16x16_f16 v[22:25], v[54:55], v[2:3], v[22:25]
	s_waitcnt lgkmcnt(0)
	v_mul_f32_e32 v40, s5, v14
	v_cvt_pk_f32_fp8_sdwa v[14:15], v15 src0_sel:WORD_1
	v_cvt_pkrtz_f16_f32 v38, v30, v31
	v_mfma_f32_16x16x16_f16 v[22:25], v[36:37], v[4:5], v[22:25]
	v_cvt_pk_f32_fp8_e32 v[42:43], v16
	v_cvt_pkrtz_f16_f32 v39, v14, v15
	s_mov_b32 s40, 0xff7fffff
	v_mfma_f32_16x16x16_f16 v[18:21], v[32:33], v[4:5], v[18:21]
	s_waitcnt vmcnt(3)
	v_mad_i64_i32 v[36:37], s[4:5], v50, s45, v[28:29]
	v_cvt_pk_f32_fp8_sdwa v[50:51], v16 src0_sel:WORD_1
	v_mfma_f32_16x16x16_f16 v[30:33], v[34:35], v[10:11], 0
	v_cvt_pkrtz_f16_f32 v34, v42, v43
	v_cvt_pk_f32_fp8_e32 v[42:43], v17
	v_cvt_pkrtz_f16_f32 v35, v50, v51
	v_cvt_pk_f32_fp8_sdwa v[50:51], v17 src0_sel:WORD_1
	v_mfma_f32_16x16x16_f16 v[14:17], v[38:39], v[12:13], v[30:33]
	s_waitcnt vmcnt(1)
	v_pk_mul_f32 v[38:39], v[40:41], v[18:19] op_sel_hi:[0,1]
	s_nop 0
	v_pk_mul_f32 v[30:31], v[40:41], v[20:21] op_sel_hi:[0,1]
	v_cvt_pkrtz_f16_f32 v20, v42, v43
	v_cvt_pkrtz_f16_f32 v21, v50, v51
	v_mfma_f32_16x16x16_f16 v[14:17], v[34:35], v[2:3], v[14:17]
	v_cvt_pk_f32_fp8_e32 v[18:19], v6
	v_cvt_pk_f32_fp8_sdwa v[32:33], v6 src0_sel:WORD_1
	v_cvt_pk_f32_fp8_e32 v[34:35], v8
	v_mfma_f32_16x16x16_f16 v[14:17], v[20:21], v[4:5], v[14:17]
	v_cvt_pk_f32_fp8_e32 v[20:21], v7
	v_cvt_pkrtz_f16_f32 v18, v18, v19
	v_cvt_pkrtz_f16_f32 v19, v32, v33
	v_cvt_pk_f32_fp8_sdwa v[6:7], v7 src0_sel:WORD_1
	v_cvt_pkrtz_f16_f32 v32, v20, v21
	v_cvt_pk_f32_fp8_sdwa v[42:43], v8 src0_sel:WORD_1
	v_mfma_f32_16x16x16_f16 v[18:21], v[18:19], v[10:11], 0
	v_cvt_pkrtz_f16_f32 v33, v6, v7
	v_cvt_pkrtz_f16_f32 v10, v34, v35
	;; [unrolled: 1-line block ×3, first 2 shown]
	v_cvt_pk_f32_fp8_e32 v[34:35], v9
	v_cvt_pk_f32_fp8_sdwa v[42:43], v9 src0_sel:WORD_1
	v_mfma_f32_16x16x16_f16 v[6:9], v[32:33], v[12:13], v[18:21]
	v_pk_mul_f32 v[32:33], v[40:41], v[24:25] op_sel_hi:[0,1]
	v_cvt_pkrtz_f16_f32 v12, v34, v35
	v_cvt_pkrtz_f16_f32 v13, v42, v43
	v_mfma_f32_16x16x16_f16 v[6:9], v[10:11], v[2:3], v[6:9]
	v_pk_mul_f32 v[34:35], v[40:41], v[22:23] op_sel_hi:[0,1]
	v_pk_mul_f32 v[22:23], v[40:41], v[16:17] op_sel_hi:[0,1]
	;; [unrolled: 1-line block ×3, first 2 shown]
	v_mfma_f32_16x16x16_f16 v[2:5], v[12:13], v[4:5], v[6:9]
	s_nop 6
	v_pk_mul_f32 v[20:21], v[40:41], v[2:3] op_sel_hi:[0,1]
	v_and_b32_e32 v2, 0xc0, v0
	v_add_u32_e32 v2, s18, v2
	v_lshl_or_b32 v2, v46, 2, v2
	v_or_b32_e32 v3, 1, v2
	v_pk_mul_f32 v[18:19], v[40:41], v[4:5] op_sel_hi:[0,1]
	v_subrev_u32_e32 v4, s33, v3
	v_add_u32_e32 v6, 1, v4
	v_add_u32_e32 v7, 2, v4
	;; [unrolled: 1-line block ×3, first 2 shown]
	v_cvt_f32_i32_e32 v6, v6
	v_cvt_f32_i32_e32 v7, v7
	;; [unrolled: 1-line block ×3, first 2 shown]
	v_add_u32_e32 v9, 19, v4
	v_fmac_f32_e32 v39, v49, v6
	v_fma_f32 v30, v49, v7, v30
	v_fmac_f32_e32 v31, v49, v8
	v_add_u32_e32 v6, 16, v4
	v_add_u32_e32 v7, 17, v4
	;; [unrolled: 1-line block ×3, first 2 shown]
	v_cvt_f32_i32_e32 v6, v6
	v_cvt_f32_i32_e32 v7, v7
	;; [unrolled: 1-line block ×4, first 2 shown]
	v_fma_f32 v34, v49, v6, v34
	v_fmac_f32_e32 v35, v49, v7
	v_fma_f32 v40, v49, v8, v32
	v_add_u32_e32 v6, 32, v4
	v_add_u32_e32 v7, 33, v4
	;; [unrolled: 1-line block ×3, first 2 shown]
	v_cvt_f32_i32_e32 v6, v6
	v_cvt_f32_i32_e32 v7, v7
	;; [unrolled: 1-line block ×4, first 2 shown]
	v_fmac_f32_e32 v33, v49, v9
	v_add_u32_e32 v9, 35, v4
	v_fma_f32 v24, v49, v6, v24
	v_fmac_f32_e32 v25, v49, v7
	v_fma_f32 v22, v49, v8, v22
	v_add_u32_e32 v6, 48, v4
	v_add_u32_e32 v7, 49, v4
	;; [unrolled: 1-line block ×4, first 2 shown]
	v_cvt_f32_i32_e32 v4, v4
	v_cvt_f32_i32_e32 v6, v6
	;; [unrolled: 1-line block ×3, first 2 shown]
	v_fma_f32 v5, v49, v5, v38
	v_fmac_f32_e32 v19, v49, v4
	v_mov_b32_e32 v4, 0xff7fffff
	v_cmp_gt_i32_e64 s[16:17], s33, v2
	v_cmp_gt_i32_e64 s[18:19], s33, v3
	v_fma_f32 v20, v49, v6, v20
	v_cndmask_b32_e64 v6, v4, v5, s[16:17]
	v_cndmask_b32_e64 v3, v4, v39, s[18:19]
	v_fmac_f32_e32 v21, v49, v7
	v_max3_f32 v3, v6, s40, v3
	v_or_b32_e32 v6, 2, v2
	v_or_b32_e32 v7, 3, v2
	v_cmp_gt_i32_e64 s[20:21], s33, v6
	v_cmp_gt_i32_e64 s[22:23], s33, v7
	v_cvt_f32_i32_e32 v9, v9
	v_cndmask_b32_e64 v6, v4, v30, s[20:21]
	v_cndmask_b32_e64 v7, v4, v31, s[22:23]
	v_max3_f32 v3, v3, v6, v7
	v_or_b32_e32 v6, 16, v2
	v_or_b32_e32 v7, 17, v2
	v_cmp_gt_i32_e64 s[24:25], s33, v6
	v_cmp_gt_i32_e64 s[26:27], s33, v7
	v_fmac_f32_e32 v23, v49, v9
	v_cndmask_b32_e64 v6, v4, v34, s[24:25]
	v_cndmask_b32_e64 v7, v4, v35, s[26:27]
	v_max3_f32 v3, v3, v6, v7
	v_or_b32_e32 v6, 18, v2
	v_or_b32_e32 v7, 19, v2
	v_cmp_gt_i32_e64 s[28:29], s33, v6
	v_cmp_gt_i32_e64 s[30:31], s33, v7
	v_cvt_f32_i32_e32 v8, v8
	v_cndmask_b32_e64 v6, v4, v40, s[28:29]
	v_cndmask_b32_e64 v7, v4, v33, s[30:31]
	v_max3_f32 v3, v3, v6, v7
	v_or_b32_e32 v6, 32, v2
	v_or_b32_e32 v7, 33, v2
	v_cmp_gt_i32_e64 s[34:35], s33, v6
	v_cmp_gt_i32_e64 s[36:37], s33, v7
	v_fma_f32 v18, v49, v8, v18
	v_cndmask_b32_e64 v6, v4, v24, s[34:35]
	v_cndmask_b32_e64 v7, v4, v25, s[36:37]
	v_max3_f32 v3, v3, v6, v7
	v_or_b32_e32 v6, 34, v2
	v_or_b32_e32 v7, 35, v2
	v_cmp_gt_i32_e64 s[10:11], s33, v6
	v_cmp_gt_i32_e64 s[12:13], s33, v7
	s_nop 0
	v_cndmask_b32_e64 v6, v4, v22, s[10:11]
	v_cndmask_b32_e64 v7, v4, v23, s[12:13]
	v_max3_f32 v3, v3, v6, v7
	v_or_b32_e32 v6, 48, v2
	v_or_b32_e32 v7, 49, v2
	v_cmp_gt_i32_e64 s[6:7], s33, v6
	v_cmp_gt_i32_e64 s[8:9], s33, v7
	s_nop 0
	v_cndmask_b32_e64 v6, v4, v20, s[6:7]
	v_cndmask_b32_e64 v7, v4, v21, s[8:9]
	v_max3_f32 v3, v3, v6, v7
	v_or_b32_e32 v6, 50, v2
	v_or_b32_e32 v2, 51, v2
	v_cmp_gt_i32_e32 vcc, s33, v6
	v_cmp_gt_i32_e64 s[4:5], s33, v2
	s_nop 0
	v_cndmask_b32_e32 v6, v4, v18, vcc
	v_cndmask_b32_e64 v2, v4, v19, s[4:5]
	v_max3_f32 v4, v3, v6, v2
	v_mbcnt_lo_u32_b32 v2, -1, 0
	v_mbcnt_hi_u32_b32 v6, -1, v2
	v_and_b32_e32 v2, 64, v6
	v_add_u32_e32 v7, 64, v2
	v_xor_b32_e32 v2, 32, v6
	v_cmp_lt_i32_e64 s[38:39], v2, v7
	s_nop 1
	v_cndmask_b32_e64 v2, v6, v2, s[38:39]
	v_lshlrev_b32_e32 v42, 2, v2
	ds_bpermute_b32 v8, v42, v4
	v_mad_i64_i32 v[2:3], s[38:39], v52, s45, v[28:29]
	global_load_dwordx4 v[14:17], v[36:37], off
	global_load_dwordx4 v[10:13], v[2:3], off
	v_xor_b32_e32 v3, 16, v6
	v_cmp_lt_i32_e64 s[38:39], v3, v7
	s_waitcnt lgkmcnt(0)
	v_max_f32_e32 v2, v8, v8
	v_max_f32_e32 v2, v4, v2
	v_cndmask_b32_e64 v3, v6, v3, s[38:39]
	v_lshlrev_b32_e32 v43, 2, v3
	ds_bpermute_b32 v3, v43, v2
	v_mad_i64_i32 v[36:37], s[38:39], v41, s45, v[28:29]
	s_waitcnt vmcnt(2)
	v_mad_i64_i32 v[28:29], s[38:39], v53, s45, v[28:29]
	s_waitcnt lgkmcnt(0)
	v_max_f32_e32 v3, v3, v3
	v_max_f32_e32 v32, v2, v3
	v_sub_f32_e32 v2, v5, v32
	v_mul_f32_e32 v2, 0x3fb8aa3b, v2
	v_exp_f32_e32 v38, v2
	v_sub_f32_e32 v2, v39, v32
	v_mul_f32_e32 v2, 0x3fb8aa3b, v2
	v_exp_f32_e32 v39, v2
	global_load_dwordx4 v[6:9], v[36:37], off
	global_load_dwordx4 v[2:5], v[28:29], off
	v_sub_f32_e32 v29, v30, v32
	v_sub_f32_e32 v30, v31, v32
	v_mul_f32_e32 v29, 0x3fb8aa3b, v29
	v_mul_f32_e32 v30, 0x3fb8aa3b, v30
	v_exp_f32_e32 v29, v29
	v_exp_f32_e32 v30, v30
	v_cndmask_b32_e64 v36, 0, v38, s[16:17]
	v_cndmask_b32_e64 v37, 0, v39, s[18:19]
	v_cndmask_b32_e64 v38, 0, v29, s[20:21]
	v_cndmask_b32_e64 v39, 0, v30, s[22:23]
	v_sub_f32_e32 v29, v34, v32
	v_sub_f32_e32 v30, v35, v32
	v_mul_f32_e32 v29, 0x3fb8aa3b, v29
	v_mul_f32_e32 v30, 0x3fb8aa3b, v30
	v_exp_f32_e32 v29, v29
	v_exp_f32_e32 v30, v30
	v_add_f32_e32 v28, 0, v36
	v_add_f32_e32 v28, v28, v37
	;; [unrolled: 1-line block ×4, first 2 shown]
	v_cndmask_b32_e64 v28, 0, v29, s[24:25]
	v_cndmask_b32_e64 v29, 0, v30, s[26:27]
	v_sub_f32_e32 v30, v40, v32
	v_mul_f32_e32 v30, 0x3fb8aa3b, v30
	v_sub_f32_e32 v33, v33, v32
	v_exp_f32_e32 v30, v30
	v_mul_f32_e32 v33, 0x3fb8aa3b, v33
	v_sub_f32_e32 v24, v24, v32
	v_exp_f32_e32 v33, v33
	;; [unrolled: 3-line block ×3, first 2 shown]
	v_mul_f32_e32 v25, 0x3fb8aa3b, v25
	v_sub_f32_e32 v22, v22, v32
	v_add_f32_e32 v31, v31, v28
	v_exp_f32_e32 v25, v25
	v_mul_f32_e32 v22, 0x3fb8aa3b, v22
	v_sub_f32_e32 v23, v23, v32
	v_add_f32_e32 v31, v31, v29
	v_cndmask_b32_e64 v30, 0, v30, s[28:29]
	v_exp_f32_e32 v22, v22
	v_mul_f32_e32 v23, 0x3fb8aa3b, v23
	v_sub_f32_e32 v20, v20, v32
	v_add_f32_e32 v34, v31, v30
	v_cndmask_b32_e64 v31, 0, v33, s[30:31]
	;; [unrolled: 5-line block ×5, first 2 shown]
	v_exp_f32_e32 v18, v18
	v_mul_f32_e32 v19, 0x3fb8aa3b, v19
	v_add_f32_e32 v33, v33, v22
	v_cndmask_b32_e64 v23, 0, v23, s[12:13]
	v_exp_f32_e32 v19, v19
	v_add_f32_e32 v33, v33, v23
	v_cndmask_b32_e64 v20, 0, v20, s[6:7]
	v_add_f32_e32 v33, v33, v20
	v_cndmask_b32_e64 v21, 0, v21, s[8:9]
	v_add_f32_e32 v33, v33, v21
	v_cndmask_b32_e32 v18, 0, v18, vcc
	v_add_f32_e32 v33, v33, v18
	v_cndmask_b32_e64 v19, 0, v19, s[4:5]
	v_add_f32_e32 v33, v33, v19
	ds_bpermute_b32 v34, v42, v33
	v_cmp_gt_u32_e32 vcc, 16, v27
	s_waitcnt lgkmcnt(0)
	s_barrier
	v_add_f32_e32 v34, v33, v34
	ds_bpermute_b32 v35, v43, v34
	v_lshlrev_b32_e32 v33, 2, v48
	s_and_saveexec_b64 s[4:5], vcc
	s_cbranch_execz .LBB787_15
; %bb.14:
	s_waitcnt lgkmcnt(0)
	v_add_f32_e32 v27, v34, v35
	v_lshl_or_b32 v34, v47, 6, v33
	ds_write2st64_b32 v34, v32, v27 offset1:1
.LBB787_15:
	s_or_b64 exec, exec, s[4:5]
	s_load_dword s6, s[0:1], 0x94
	s_waitcnt lgkmcnt(0)
	s_barrier
	ds_read2_b32 v[34:35], v33 offset1:16
	ds_read2_b32 v[40:41], v33 offset0:32 offset1:48
	ds_read2_b32 v[42:43], v33 offset0:64 offset1:80
	s_lshl_b32 s7, s44, 2
	s_waitcnt lgkmcnt(2)
	v_max3_f32 v27, v34, s40, v35
	s_waitcnt lgkmcnt(1)
	v_max3_f32 v27, v27, v40, v41
	v_sub_f32_e32 v32, v34, v27
	v_mul_f32_e32 v32, 0x3fb8aa3b, v32
	v_exp_f32_e32 v49, v32
	v_sub_f32_e32 v32, v35, v27
	v_mul_f32_e32 v32, 0x3fb8aa3b, v32
	v_exp_f32_e32 v50, v32
	;; [unrolled: 3-line block ×3, first 2 shown]
	ds_read2_b32 v[34:35], v33 offset0:96 offset1:112
	v_sub_f32_e32 v32, v41, v27
	v_mul_f32_e32 v32, 0x3fb8aa3b, v32
	v_exp_f32_e32 v33, v32
	s_waitcnt lgkmcnt(1)
	v_fma_f32 v32, v49, v42, 0
	v_fmac_f32_e32 v32, v50, v43
	s_waitcnt lgkmcnt(0)
	v_fmac_f32_e32 v32, v40, v34
	v_fmac_f32_e32 v32, v33, v35
	v_add_f32_e32 v34, 0x358637bd, v32
	v_div_scale_f32 v35, s[4:5], v34, v34, 1.0
	v_rcp_f32_e32 v41, v35
	s_barrier
	v_fma_f32 v42, -v35, v41, 1.0
	v_fmac_f32_e32 v41, v42, v41
	v_div_scale_f32 v42, vcc, 1.0, v34, 1.0
	v_mul_f32_e32 v43, v42, v41
	v_fma_f32 v51, -v35, v43, v42
	v_fmac_f32_e32 v43, v51, v41
	v_fma_f32 v35, -v35, v43, v42
	v_div_fmas_f32 v35, v35, v41, v43
	v_cmp_eq_u32_e32 vcc, 1, v47
	v_div_fixup_f32 v34, v35, v34, 1.0
	s_nop 0
	v_cndmask_b32_e32 v35, v49, v50, vcc
	v_cmp_eq_u32_e32 vcc, 2, v47
	s_nop 1
	v_cndmask_b32_e32 v35, v35, v40, vcc
	v_cmp_eq_u32_e32 vcc, 3, v47
	s_nop 1
	v_cndmask_b32_e32 v33, v35, v33, vcc
	v_mul_f32_e32 v34, v33, v34
	v_pk_mul_f32 v[36:37], v[34:35], v[36:37] op_sel_hi:[0,1]
	v_pk_mul_f32 v[38:39], v[34:35], v[38:39] op_sel_hi:[0,1]
	v_cvt_f16_f32_e32 v33, v36
	v_cvt_f16_f32_e32 v35, v37
	;; [unrolled: 1-line block ×4, first 2 shown]
	v_cmp_gt_u32_e32 vcc, 4, v0
	v_pack_b32_f16 v36, v33, v35
	v_lshlrev_b32_e32 v35, 3, v46
	v_pk_mul_f32 v[30:31], v[34:35], v[30:31] op_sel_hi:[0,1]
	v_pk_mul_f32 v[28:29], v[34:35], v[28:29] op_sel_hi:[0,1]
	v_pack_b32_f16 v37, v37, v38
	v_cvt_f16_f32_e32 v38, v28
	v_cvt_f16_f32_e32 v29, v29
	;; [unrolled: 1-line block ×4, first 2 shown]
	v_lshlrev_b32_e32 v33, 5, v48
	v_lshlrev_b32_e32 v28, 11, v47
	v_or3_b32 v28, v28, v33, v35
	v_pack_b32_f16 v30, v38, v29
	v_pack_b32_f16 v31, v39, v31
	v_pk_mul_f32 v[22:23], v[34:35], v[22:23] op_sel_hi:[0,1]
	v_pk_mul_f32 v[24:25], v[34:35], v[24:25] op_sel_hi:[0,1]
	;; [unrolled: 1-line block ×4, first 2 shown]
	ds_write2st64_b64 v28, v[36:37], v[30:31] offset1:1
	v_cvt_f16_f32_e32 v24, v24
	v_cvt_f16_f32_e32 v25, v25
	;; [unrolled: 1-line block ×8, first 2 shown]
	v_pack_b32_f16 v18, v24, v25
	v_pack_b32_f16 v19, v22, v23
	;; [unrolled: 1-line block ×4, first 2 shown]
	ds_write2st64_b64 v28, v[18:19], v[20:21] offset0:2 offset1:3
	s_and_saveexec_b64 s[4:5], vcc
	s_cbranch_execz .LBB787_17
; %bb.16:
	v_or_b32_e32 v18, s15, v0
	v_mov_b32_e32 v19, 0
	v_mov_b32_e32 v20, s7
	v_mad_u64_u32 v[20:21], s[12:13], s2, v20, v[18:19]
	v_mov_b32_e32 v18, s14
	s_load_dwordx4 s[8:11], s[0:1], 0x58
	s_mul_i32 s3, s3, s7
	v_mad_u64_u32 v[18:19], s[12:13], v20, s6, v[18:19]
	v_add_u32_e32 v21, s3, v21
	v_mov_b32_e32 v20, v19
	v_mad_u64_u32 v[20:21], s[12:13], v21, s6, v[20:21]
	v_mov_b32_e32 v19, v20
	v_lshlrev_b64 v[18:19], 2, v[18:19]
	s_waitcnt lgkmcnt(0)
	v_lshl_add_u64 v[20:21], s[10:11], 0, v[18:19]
	v_lshl_add_u64 v[18:19], s[8:9], 0, v[18:19]
	global_store_dword v[20:21], v27, off
	global_store_dword v[18:19], v32, off
.LBB787_17:
	s_or_b64 exec, exec, s[4:5]
	s_waitcnt vmcnt(3)
	v_cvt_pk_f32_fp8_e32 v[18:19], v14
	v_cvt_pk_f32_fp8_sdwa v[20:21], v14 src0_sel:WORD_1
	v_lshl_or_b32 v14, v46, 9, v33
	s_waitcnt lgkmcnt(0)
	s_barrier
	v_cvt_pk_f32_fp8_e32 v[22:23], v15
	v_cvt_pkrtz_f16_f32 v30, v18, v19
	v_cvt_pkrtz_f16_f32 v31, v20, v21
	v_cvt_pk_f32_fp8_sdwa v[24:25], v15 src0_sel:WORD_1
	ds_read_b128 v[18:21], v14
	v_cvt_pkrtz_f16_f32 v34, v22, v23
	v_cvt_pk_f32_fp8_e32 v[36:37], v16
	v_cvt_pkrtz_f16_f32 v35, v24, v25
	ds_read_b128 v[22:25], v14 offset:16
	v_cvt_pk_f32_fp8_sdwa v[38:39], v16 src0_sel:WORD_1
	s_waitcnt lgkmcnt(1)
	v_mfma_f32_16x16x16_f16 v[30:33], v[30:31], v[18:19], 0
	v_cvt_pkrtz_f16_f32 v36, v36, v37
	s_load_dword s4, s[42:43], 0x0
	v_cvt_pkrtz_f16_f32 v37, v38, v39
	v_cvt_pk_f32_fp8_e32 v[38:39], v17
	v_mfma_f32_16x16x16_f16 v[18:21], v[34:35], v[20:21], v[30:33]
	s_waitcnt vmcnt(2)
	v_cvt_pk_f32_fp8_e32 v[34:35], v12
	s_mov_b32 s3, 0
	v_mov_b32_e32 v27, 0
	v_cvt_pk_f32_fp8_sdwa v[30:31], v17 src0_sel:WORD_1
	v_cvt_pkrtz_f16_f32 v32, v38, v39
	s_waitcnt lgkmcnt(0)
	v_mfma_f32_16x16x16_f16 v[16:19], v[36:37], v[22:23], v[18:21]
	v_cvt_pk_f32_fp8_sdwa v[22:23], v10 src0_sel:WORD_1
	v_cvt_pkrtz_f16_f32 v33, v30, v31
	v_cvt_pk_f32_fp8_sdwa v[30:31], v11 src0_sel:WORD_1
	v_cvt_pk_f32_fp8_e32 v[20:21], v10
	v_mfma_f32_16x16x16_f16 v[16:19], v[32:33], v[24:25], v[16:19]
	v_cvt_pk_f32_fp8_e32 v[24:25], v11
	v_cvt_pkrtz_f16_f32 v10, v20, v21
	v_cvt_pkrtz_f16_f32 v11, v22, v23
	ds_read_b128 v[20:23], v14 offset:2048
	v_cvt_pkrtz_f16_f32 v24, v24, v25
	v_cvt_pkrtz_f16_f32 v25, v30, v31
	ds_read_b128 v[30:33], v14 offset:2064
	v_cvt_pk_f32_fp8_sdwa v[36:37], v12 src0_sel:WORD_1
	s_waitcnt lgkmcnt(1)
	v_mfma_f32_16x16x16_f16 v[16:19], v[10:11], v[20:21], v[16:19]
	v_cvt_pkrtz_f16_f32 v10, v34, v35
	v_cvt_pk_f32_fp8_e32 v[20:21], v13
	v_cvt_pkrtz_f16_f32 v11, v36, v37
	v_mfma_f32_16x16x16_f16 v[16:19], v[24:25], v[22:23], v[16:19]
	v_cvt_pk_f32_fp8_sdwa v[22:23], v13 src0_sel:WORD_1
	v_cvt_pkrtz_f16_f32 v20, v20, v21
	v_cvt_pkrtz_f16_f32 v21, v22, v23
	s_waitcnt lgkmcnt(0)
	v_mfma_f32_16x16x16_f16 v[10:13], v[10:11], v[30:31], v[16:19]
	s_waitcnt vmcnt(1)
	v_cvt_pk_f32_fp8_sdwa v[22:23], v7 src0_sel:WORD_1
	v_cvt_pk_f32_fp8_e32 v[30:31], v8
	v_cvt_pkrtz_f16_f32 v25, v22, v23
	v_cvt_pk_f32_fp8_e32 v[16:17], v6
	v_cvt_pk_f32_fp8_sdwa v[18:19], v6 src0_sel:WORD_1
	v_mfma_f32_16x16x16_f16 v[10:13], v[20:21], v[32:33], v[10:13]
	v_cvt_pk_f32_fp8_e32 v[20:21], v7
	v_cvt_pkrtz_f16_f32 v6, v16, v17
	v_cvt_pkrtz_f16_f32 v7, v18, v19
	ds_read_b128 v[16:19], v14 offset:4096
	v_cvt_pkrtz_f16_f32 v24, v20, v21
	ds_read_b128 v[20:23], v14 offset:4112
	v_cvt_pk_f32_fp8_sdwa v[32:33], v8 src0_sel:WORD_1
	s_waitcnt lgkmcnt(1)
	v_mfma_f32_16x16x16_f16 v[10:13], v[6:7], v[16:17], v[10:13]
	v_cvt_pkrtz_f16_f32 v6, v30, v31
	v_cvt_pkrtz_f16_f32 v7, v32, v33
	v_cvt_pk_f32_fp8_e32 v[16:17], v9
	v_mfma_f32_16x16x16_f16 v[10:13], v[24:25], v[18:19], v[10:13]
	v_cvt_pk_f32_fp8_sdwa v[18:19], v9 src0_sel:WORD_1
	v_cvt_pkrtz_f16_f32 v16, v16, v17
	s_waitcnt lgkmcnt(0)
	v_mfma_f32_16x16x16_f16 v[6:9], v[6:7], v[20:21], v[10:13]
	v_cvt_pkrtz_f16_f32 v17, v18, v19
	s_waitcnt vmcnt(0)
	v_cvt_pk_f32_fp8_sdwa v[18:19], v3 src0_sel:WORD_1
	v_cvt_pk_f32_fp8_e32 v[10:11], v2
	v_cvt_pk_f32_fp8_sdwa v[12:13], v2 src0_sel:WORD_1
	v_mfma_f32_16x16x16_f16 v[6:9], v[16:17], v[22:23], v[6:9]
	v_cvt_pk_f32_fp8_e32 v[16:17], v3
	v_cvt_pkrtz_f16_f32 v2, v10, v11
	v_cvt_pkrtz_f16_f32 v3, v12, v13
	ds_read_b128 v[10:13], v14 offset:6144
	v_cvt_pkrtz_f16_f32 v20, v16, v17
	v_cvt_pkrtz_f16_f32 v21, v18, v19
	v_cvt_pk_f32_fp8_e32 v[18:19], v4
	v_cvt_pk_f32_fp8_sdwa v[22:23], v4 src0_sel:WORD_1
	s_waitcnt lgkmcnt(0)
	v_mfma_f32_16x16x16_f16 v[6:9], v[2:3], v[10:11], v[6:9]
	ds_read_b128 v[14:17], v14 offset:6160
	v_cvt_pkrtz_f16_f32 v2, v18, v19
	v_cvt_pkrtz_f16_f32 v3, v22, v23
	v_cvt_pk_f32_fp8_e32 v[10:11], v5
	v_mfma_f32_16x16x16_f16 v[6:9], v[20:21], v[12:13], v[6:9]
	v_cvt_pk_f32_fp8_sdwa v[12:13], v5 src0_sel:WORD_1
	s_waitcnt lgkmcnt(0)
	v_cvt_pkrtz_f16_f32 v10, v10, v11
	v_mfma_f32_16x16x16_f16 v[2:5], v[2:3], v[14:15], v[6:9]
	v_cvt_pkrtz_f16_f32 v11, v12, v13
	s_barrier
	s_nop 0
	v_mfma_f32_16x16x16_f16 v[2:5], v[10:11], v[16:17], v[2:5]
	s_nop 6
	v_pk_mul_f32 v[4:5], v[4:5], s[4:5] op_sel_hi:[1,0]
	v_pk_mul_f32 v[2:3], v[2:3], s[4:5] op_sel_hi:[1,0]
	v_cvt_f16_f32_e32 v4, v4
	v_cvt_f16_f32_e32 v2, v2
	;; [unrolled: 1-line block ×4, first 2 shown]
	v_pack_b32_f16 v2, v2, v3
	v_pack_b32_f16 v3, v4, v5
	ds_write_b64 v28, v[2:3]
	s_waitcnt lgkmcnt(0)
	s_barrier
	s_and_saveexec_b64 s[4:5], s[48:49]
	s_cbranch_execz .LBB787_19
; %bb.18:
	s_load_dwordx2 s[0:1], s[0:1], 0x68
	s_lshl_b32 s6, s6, 6
	s_mul_i32 s2, s7, s2
	s_mul_hi_u32 s5, s2, s6
	s_mul_i32 s4, s2, s6
	v_lshlrev_b32_e32 v0, 10, v0
	s_lshl_b64 s[4:5], s[4:5], 1
	v_and_b32_e32 v0, 0x1800, v0
	v_and_b32_e32 v2, 16, v45
	s_waitcnt lgkmcnt(0)
	s_add_u32 s4, s0, s4
	v_or3_b32 v0, v0, v44, v2
	s_addc_u32 s5, s1, s5
	s_lshl_b32 s2, s14, 6
	ds_read_b128 v[2:5], v0
	s_lshl_b64 s[0:1], s[2:3], 1
	s_add_u32 s0, s4, s0
	s_addc_u32 s1, s5, s1
	v_mad_u64_u32 v[0:1], s[2:3], s6, v1, 0
	v_lshl_add_u64 v[0:1], v[0:1], 1, s[0:1]
	v_lshl_add_u64 v[0:1], v[0:1], 0, v[26:27]
	s_waitcnt lgkmcnt(0)
	global_store_dwordx4 v[0:1], v[2:5], off
.LBB787_19:
	s_endpgm
	.section	.rodata,"a",@progbits
	.p2align	6, 0x0
	.amdhsa_kernel _Z39paged_attention_ll4mi_QKV_mfma16_kernelIDF16_hLN4vllm18Fp8KVCacheDataTypeE1EhLi16ELi64ELi256ELb1ELi4EEvPKT_PKT0_S7_ifPKiS9_S9_iPKfiiiPfSC_PS2_PT2_iSB_SB_
		.amdhsa_group_segment_fixed_size 8192
		.amdhsa_private_segment_fixed_size 0
		.amdhsa_kernarg_size 400
		.amdhsa_user_sgpr_count 2
		.amdhsa_user_sgpr_dispatch_ptr 0
		.amdhsa_user_sgpr_queue_ptr 0
		.amdhsa_user_sgpr_kernarg_segment_ptr 1
		.amdhsa_user_sgpr_dispatch_id 0
		.amdhsa_user_sgpr_kernarg_preload_length 0
		.amdhsa_user_sgpr_kernarg_preload_offset 0
		.amdhsa_user_sgpr_private_segment_size 0
		.amdhsa_uses_dynamic_stack 0
		.amdhsa_enable_private_segment 0
		.amdhsa_system_sgpr_workgroup_id_x 1
		.amdhsa_system_sgpr_workgroup_id_y 1
		.amdhsa_system_sgpr_workgroup_id_z 1
		.amdhsa_system_sgpr_workgroup_info 0
		.amdhsa_system_vgpr_workitem_id 0
		.amdhsa_next_free_vgpr 78
		.amdhsa_next_free_sgpr 50
		.amdhsa_accum_offset 80
		.amdhsa_reserve_vcc 1
		.amdhsa_float_round_mode_32 0
		.amdhsa_float_round_mode_16_64 0
		.amdhsa_float_denorm_mode_32 3
		.amdhsa_float_denorm_mode_16_64 3
		.amdhsa_dx10_clamp 1
		.amdhsa_ieee_mode 1
		.amdhsa_fp16_overflow 0
		.amdhsa_tg_split 0
		.amdhsa_exception_fp_ieee_invalid_op 0
		.amdhsa_exception_fp_denorm_src 0
		.amdhsa_exception_fp_ieee_div_zero 0
		.amdhsa_exception_fp_ieee_overflow 0
		.amdhsa_exception_fp_ieee_underflow 0
		.amdhsa_exception_fp_ieee_inexact 0
		.amdhsa_exception_int_div_zero 0
	.end_amdhsa_kernel
	.section	.text._Z39paged_attention_ll4mi_QKV_mfma16_kernelIDF16_hLN4vllm18Fp8KVCacheDataTypeE1EhLi16ELi64ELi256ELb1ELi4EEvPKT_PKT0_S7_ifPKiS9_S9_iPKfiiiPfSC_PS2_PT2_iSB_SB_,"axG",@progbits,_Z39paged_attention_ll4mi_QKV_mfma16_kernelIDF16_hLN4vllm18Fp8KVCacheDataTypeE1EhLi16ELi64ELi256ELb1ELi4EEvPKT_PKT0_S7_ifPKiS9_S9_iPKfiiiPfSC_PS2_PT2_iSB_SB_,comdat
.Lfunc_end787:
	.size	_Z39paged_attention_ll4mi_QKV_mfma16_kernelIDF16_hLN4vllm18Fp8KVCacheDataTypeE1EhLi16ELi64ELi256ELb1ELi4EEvPKT_PKT0_S7_ifPKiS9_S9_iPKfiiiPfSC_PS2_PT2_iSB_SB_, .Lfunc_end787-_Z39paged_attention_ll4mi_QKV_mfma16_kernelIDF16_hLN4vllm18Fp8KVCacheDataTypeE1EhLi16ELi64ELi256ELb1ELi4EEvPKT_PKT0_S7_ifPKiS9_S9_iPKfiiiPfSC_PS2_PT2_iSB_SB_
                                        ; -- End function
	.section	.AMDGPU.csdata,"",@progbits
; Kernel info:
; codeLenInByte = 4744
; NumSgprs: 56
; NumVgprs: 78
; NumAgprs: 0
; TotalNumVgprs: 78
; ScratchSize: 0
; MemoryBound: 0
; FloatMode: 240
; IeeeMode: 1
; LDSByteSize: 8192 bytes/workgroup (compile time only)
; SGPRBlocks: 6
; VGPRBlocks: 9
; NumSGPRsForWavesPerEU: 56
; NumVGPRsForWavesPerEU: 78
; AccumOffset: 80
; Occupancy: 6
; WaveLimiterHint : 1
; COMPUTE_PGM_RSRC2:SCRATCH_EN: 0
; COMPUTE_PGM_RSRC2:USER_SGPR: 2
; COMPUTE_PGM_RSRC2:TRAP_HANDLER: 0
; COMPUTE_PGM_RSRC2:TGID_X_EN: 1
; COMPUTE_PGM_RSRC2:TGID_Y_EN: 1
; COMPUTE_PGM_RSRC2:TGID_Z_EN: 1
; COMPUTE_PGM_RSRC2:TIDIG_COMP_CNT: 0
; COMPUTE_PGM_RSRC3_GFX90A:ACCUM_OFFSET: 19
; COMPUTE_PGM_RSRC3_GFX90A:TG_SPLIT: 0
	.section	.text._Z38paged_attention_ll4mi_QKV_mfma4_kernelIDF16_hLN4vllm18Fp8KVCacheDataTypeE1EhLi16ELi64ELi256ELb0ELi1EEvPKT_PKT0_S7_ifPKiS9_S9_iPKfiiiPfSC_PS2_PT2_iSB_SB_,"axG",@progbits,_Z38paged_attention_ll4mi_QKV_mfma4_kernelIDF16_hLN4vllm18Fp8KVCacheDataTypeE1EhLi16ELi64ELi256ELb0ELi1EEvPKT_PKT0_S7_ifPKiS9_S9_iPKfiiiPfSC_PS2_PT2_iSB_SB_,comdat
	.protected	_Z38paged_attention_ll4mi_QKV_mfma4_kernelIDF16_hLN4vllm18Fp8KVCacheDataTypeE1EhLi16ELi64ELi256ELb0ELi1EEvPKT_PKT0_S7_ifPKiS9_S9_iPKfiiiPfSC_PS2_PT2_iSB_SB_ ; -- Begin function _Z38paged_attention_ll4mi_QKV_mfma4_kernelIDF16_hLN4vllm18Fp8KVCacheDataTypeE1EhLi16ELi64ELi256ELb0ELi1EEvPKT_PKT0_S7_ifPKiS9_S9_iPKfiiiPfSC_PS2_PT2_iSB_SB_
	.globl	_Z38paged_attention_ll4mi_QKV_mfma4_kernelIDF16_hLN4vllm18Fp8KVCacheDataTypeE1EhLi16ELi64ELi256ELb0ELi1EEvPKT_PKT0_S7_ifPKiS9_S9_iPKfiiiPfSC_PS2_PT2_iSB_SB_
	.p2align	8
	.type	_Z38paged_attention_ll4mi_QKV_mfma4_kernelIDF16_hLN4vllm18Fp8KVCacheDataTypeE1EhLi16ELi64ELi256ELb0ELi1EEvPKT_PKT0_S7_ifPKiS9_S9_iPKfiiiPfSC_PS2_PT2_iSB_SB_,@function
_Z38paged_attention_ll4mi_QKV_mfma4_kernelIDF16_hLN4vllm18Fp8KVCacheDataTypeE1EhLi16ELi64ELi256ELb0ELi1EEvPKT_PKT0_S7_ifPKiS9_S9_iPKfiiiPfSC_PS2_PT2_iSB_SB_: ; @_Z38paged_attention_ll4mi_QKV_mfma4_kernelIDF16_hLN4vllm18Fp8KVCacheDataTypeE1EhLi16ELi64ELi256ELb0ELi1EEvPKT_PKT0_S7_ifPKiS9_S9_iPKfiiiPfSC_PS2_PT2_iSB_SB_
; %bb.0:
	s_load_dwordx2 s[20:21], s[0:1], 0x30
	s_mov_b32 s24, s3
	s_mov_b64 s[6:7], 0
	s_waitcnt lgkmcnt(0)
	s_cmp_lg_u64 s[20:21], 0
	s_cselect_b64 s[22:23], -1, 0
	s_and_b64 vcc, exec, s[22:23]
	s_cbranch_vccz .LBB788_10
; %bb.1:
	s_add_i32 s8, s2, 1
	s_mov_b32 s9, 0
	s_lshl_b64 s[10:11], s[8:9], 2
	s_add_u32 s10, s20, s10
	s_mov_b32 s3, s9
	s_addc_u32 s11, s21, s11
	s_lshl_b64 s[8:9], s[2:3], 2
	s_add_u32 s8, s20, s8
	s_addc_u32 s9, s21, s9
	s_load_dword s5, s[10:11], 0x0
	s_load_dword s12, s[8:9], 0x0
	s_waitcnt lgkmcnt(0)
	s_sub_i32 s5, s5, s12
	s_cmp_eq_u32 s5, 1
	s_cselect_b64 s[8:9], -1, 0
	s_andn2_b64 vcc, exec, s[6:7]
	s_cbranch_vccnz .LBB788_3
.LBB788_2:
	s_mov_b32 s3, 0
	s_mov_b64 s[8:9], -1
.LBB788_3:
	s_andn2_b64 vcc, exec, s[8:9]
	s_cbranch_vccnz .LBB788_23
; %bb.4:
	s_load_dword s5, s[0:1], 0x9c
	s_load_dwordx2 s[6:7], s[0:1], 0x28
	s_add_u32 s28, s0, 0x90
	s_addc_u32 s29, s1, 0
	s_lshl_b64 s[34:35], s[2:3], 2
	s_waitcnt lgkmcnt(0)
	s_and_b32 s5, s5, 0xffff
	s_add_u32 s6, s6, s34
	s_addc_u32 s7, s7, s35
	s_load_dword s3, s[6:7], 0x0
	s_mul_i32 s10, s24, s5
	s_waitcnt lgkmcnt(0)
	s_cmp_ge_i32 s10, s3
	s_cbranch_scc1 .LBB788_23
; %bb.5:
	v_and_b32_e32 v2, 0xc0, v0
	v_add_u32_e32 v4, s10, v2
	v_lshrrev_b32_e32 v1, 6, v0
	v_cmp_gt_i32_e64 s[6:7], s3, v4
	v_cmp_le_i32_e32 vcc, s3, v4
                                        ; implicit-def: $sgpr25
                                        ; implicit-def: $sgpr11
	s_and_saveexec_b64 s[8:9], vcc
	s_xor_b64 s[8:9], exec, s[8:9]
	s_cbranch_execz .LBB788_7
; %bb.6:
	v_mul_u32_u24_e32 v2, 20, v1
	v_or_b32_e32 v2, 0xa00, v2
	v_mov_b32_e32 v3, 0xa50
	v_mov_b32_e32 v4, 0xff7fffff
	v_mad_u32_u24 v3, v1, 20, v3
	ds_write2_b32 v2, v4, v4 offset1:1
	v_mov_b32_e32 v2, 0
	ds_write2_b32 v3, v2, v2 offset1:1
	v_mov_b32_e32 v3, 0xa08
	s_mov_b32 s11, 0xff7fffff
	s_mov_b32 s25, 0
	v_mad_u32_u24 v3, v1, 20, v3
	v_mov_b32_e32 v5, 0xa58
	v_mad_u32_u24 v5, v1, 20, v5
	ds_write2_b32 v3, v4, v4 offset1:1
	ds_write2_b32 v5, v2, v2 offset1:1
                                        ; implicit-def: $vgpr4
.LBB788_7:
	s_or_saveexec_b64 s[30:31], s[8:9]
	s_load_dwordx2 s[26:27], s[0:1], 0x68
	s_load_dwordx4 s[16:19], s[0:1], 0x58
	s_load_dword s5, s[28:29], 0x4
	s_load_dwordx4 s[12:15], s[0:1], 0x80
	v_and_b32_e32 v24, 63, v0
	v_and_b32_e32 v23, 3, v0
	v_mov_b32_e32 v21, s25
	v_mov_b32_e32 v25, s11
	;; [unrolled: 1-line block ×5, first 2 shown]
                                        ; implicit-def: $vgpr6_vgpr7
                                        ; implicit-def: $vgpr2_vgpr3
                                        ; implicit-def: $vgpr14_vgpr15
                                        ; implicit-def: $vgpr10_vgpr11
	s_xor_b64 exec, exec, s[30:31]
	s_cbranch_execz .LBB788_17
; %bb.8:
	s_load_dwordx2 s[8:9], s[0:1], 0x20
	s_load_dword s11, s[0:1], 0x38
	s_add_i32 s25, s3, 15
	s_ashr_i32 s33, s25, 31
	s_lshr_b32 s33, s33, 28
	v_add_u32_e32 v18, s10, v0
	s_add_i32 s25, s25, s33
	v_ashrrev_i32_e32 v2, 31, v18
	s_ashr_i32 s25, s25, 4
	v_lshrrev_b32_e32 v2, 28, v2
	s_add_i32 s25, s25, -1
	s_waitcnt lgkmcnt(0)
	s_mul_i32 s36, s2, s11
	s_mov_b32 s37, 0
	v_add_u32_e32 v2, v18, v2
	s_lshl_b64 s[36:37], s[36:37], 2
	v_ashrrev_i32_e32 v2, 4, v2
	v_mov_b32_e32 v3, s25
	v_cmp_gt_i32_e32 vcc, s3, v18
	s_add_u32 s8, s8, s36
	s_addc_u32 s9, s9, s37
	v_cndmask_b32_e32 v2, v3, v2, vcc
	v_ashrrev_i32_e32 v3, 31, v2
	v_lshl_add_u64 v[8:9], v[2:3], 2, s[8:9]
	v_ashrrev_i32_e32 v2, 31, v4
	v_lshrrev_b32_e32 v2, 28, v2
	v_add_u32_e32 v2, v4, v2
	v_ashrrev_i32_e32 v4, 4, v2
	v_min_i32_e32 v2, s25, v4
	v_ashrrev_i32_e32 v3, 31, v2
	v_lshl_add_u64 v[10:11], v[2:3], 2, s[8:9]
	v_add_u32_e32 v2, 1, v4
	v_min_i32_e32 v2, s25, v2
	v_ashrrev_i32_e32 v3, 31, v2
	v_lshl_add_u64 v[12:13], v[2:3], 2, s[8:9]
	v_add_u32_e32 v2, 2, v4
	v_min_i32_e32 v2, s25, v2
	v_ashrrev_i32_e32 v3, 31, v2
	v_lshl_add_u64 v[14:15], v[2:3], 2, s[8:9]
	v_add_u32_e32 v2, 3, v4
	v_min_i32_e32 v2, s25, v2
	v_ashrrev_i32_e32 v3, 31, v2
	v_lshl_add_u64 v[16:17], v[2:3], 2, s[8:9]
	global_load_dword v2, v[8:9], off
	global_load_dword v7, v[10:11], off
	;; [unrolled: 1-line block ×5, first 2 shown]
	s_load_dwordx4 s[8:11], s[0:1], 0x8
	s_andn2_b64 vcc, exec, s[22:23]
	s_cbranch_vccnz .LBB788_11
; %bb.9:
	s_add_u32 s20, s20, s34
	s_addc_u32 s21, s21, s35
	s_load_dword s25, s[20:21], 0x0
	s_branch .LBB788_12
.LBB788_10:
	s_mov_b64 s[8:9], 0
	s_branch .LBB788_2
.LBB788_11:
	s_mov_b32 s25, s2
.LBB788_12:
	s_load_dwordx4 s[20:23], s[0:1], 0x48
	v_cmp_eq_u32_e32 vcc, 0, v23
	s_mov_b32 s37, 0
	v_mov_b32_e32 v19, 0
	v_mov_b32_e32 v3, 0
	v_mov_b32_e32 v10, 0
	v_mov_b32_e32 v11, 0
	v_mov_b32_e32 v12, 0
	v_mov_b32_e32 v13, 0
	s_and_saveexec_b64 s[34:35], vcc
	s_cbranch_execz .LBB788_14
; %bb.13:
	s_load_dwordx2 s[38:39], s[0:1], 0x0
	s_waitcnt lgkmcnt(0)
	s_ashr_i32 s23, s20, 31
	s_mul_hi_u32 s33, s25, s20
	s_mul_i32 s23, s25, s23
	s_add_i32 s41, s33, s23
	s_mul_i32 s40, s25, s20
	s_lshl_b64 s[40:41], s[40:41], 1
	s_add_u32 s20, s38, s40
	s_addc_u32 s23, s39, s41
	s_lshl_b32 s36, s4, 6
	s_lshl_b64 s[36:37], s[36:37], 1
	s_add_u32 s36, s20, s36
	s_addc_u32 s37, s23, s37
	v_lshlrev_b32_e32 v8, 2, v24
	global_load_dwordx4 v[10:13], v8, s[36:37]
	v_mov_b32_e32 v19, 1.0
.LBB788_14:
	s_or_b64 exec, exec, s[34:35]
	s_waitcnt lgkmcnt(0)
	s_mul_i32 s20, s4, s22
	s_add_u32 s8, s20, s8
	s_addc_u32 s9, 0, s9
	v_mov_b64_e32 v[8:9], s[8:9]
	s_waitcnt vmcnt(4)
	v_mad_i64_i32 v[8:9], s[8:9], v2, s21, v[8:9]
	v_lshlrev_b32_e32 v2, 4, v0
	v_and_b32_e32 v2, 0xf0, v2
	v_lshl_add_u64 v[8:9], v[8:9], 0, v[2:3]
	global_load_dwordx4 v[26:29], v[8:9], off
	global_load_dwordx4 v[30:33], v[8:9], off offset:256
	global_load_dwordx4 v[34:37], v[8:9], off offset:512
	;; [unrolled: 1-line block ×3, first 2 shown]
	s_waitcnt vmcnt(7)
	v_mul_hi_i32 v2, v7, s21
	s_load_dword s8, s[0:1], 0x1c
	s_add_u32 s0, s10, s20
	s_waitcnt vmcnt(6)
	v_mul_hi_i32 v8, v6, s21
	s_waitcnt vmcnt(4)
	v_mul_hi_i32 v20, v4, s21
	v_ashrrev_i32_e32 v22, 31, v2
	s_addc_u32 s1, s11, 0
	v_lshlrev_b32_e32 v2, 4, v24
	v_mul_hi_i32 v9, v5, s21
	v_ashrrev_i32_e32 v25, 31, v8
	v_ashrrev_i32_e32 v40, 31, v20
	v_lshl_add_u64 v[20:21], s[0:1], 0, v[2:3]
	v_lshrrev_b32_e32 v2, 29, v22
	v_ashrrev_i32_e32 v38, 31, v9
	v_mad_i64_i32 v[8:9], s[0:1], v7, s21, v[2:3]
	v_lshrrev_b32_e32 v2, 29, v25
	v_and_b32_e32 v8, -8, v8
	v_mad_i64_i32 v[6:7], s[0:1], v6, s21, v[2:3]
	v_lshrrev_b32_e32 v2, 29, v38
	v_lshl_add_u64 v[38:39], v[20:21], 0, v[8:9]
	v_and_b32_e32 v6, -8, v6
	v_mad_i64_i32 v[8:9], s[0:1], v5, s21, v[2:3]
	v_lshrrev_b32_e32 v2, 29, v40
	v_lshl_add_u64 v[40:41], v[20:21], 0, v[6:7]
	v_and_b32_e32 v8, -8, v8
	v_mad_i64_i32 v[42:43], s[0:1], v4, s21, v[2:3]
	v_lshl_add_u64 v[44:45], v[20:21], 0, v[8:9]
	global_load_dwordx4 v[6:9], v[38:39], off
	global_load_dwordx4 v[2:5], v[40:41], off
	v_and_b32_e32 v42, -8, v42
	v_lshl_add_u64 v[20:21], v[20:21], 0, v[42:43]
	s_load_dword s0, s[12:13], 0x0
	v_cmp_eq_u32_e32 vcc, 1, v23
	v_mov_b32_e32 v25, 0xff7fffff
	s_waitcnt vmcnt(5)
	v_cvt_pk_f32_fp8_e32 v[38:39], v26
	v_cvt_pk_f32_fp8_sdwa v[40:41], v26 src0_sel:WORD_1
	v_cvt_pk_f32_fp8_e32 v[42:43], v27
	v_cvt_pk_f32_fp8_sdwa v[26:27], v27 src0_sel:WORD_1
	;; [unrolled: 2-line block ×3, first 2 shown]
	v_cvt_pkrtz_f16_f32 v38, v38, v39
	v_cvt_pkrtz_f16_f32 v39, v40, v41
	v_cvt_pk_f32_fp8_e32 v[50:51], v29
	v_cvt_pk_f32_fp8_sdwa v[28:29], v29 src0_sel:WORD_1
	v_mfma_f32_4x4x4_16b_f16 a[0:3], v[10:11], v[38:39], 0 cbsz:4
	v_cvt_pkrtz_f16_f32 v42, v42, v43
	v_cvt_pkrtz_f16_f32 v43, v26, v27
	s_waitcnt vmcnt(4)
	v_cvt_pk_f32_fp8_e32 v[52:53], v30
	v_cvt_pk_f32_fp8_sdwa v[54:55], v30 src0_sel:WORD_1
	v_mfma_f32_4x4x4_16b_f16 a[0:3], v[12:13], v[42:43], a[0:3] cbsz:4
	v_cvt_pkrtz_f16_f32 v46, v46, v47
	v_cvt_pkrtz_f16_f32 v47, v48, v49
	v_cvt_pk_f32_fp8_e32 v[56:57], v31
	v_cvt_pk_f32_fp8_sdwa v[30:31], v31 src0_sel:WORD_1
	v_mfma_f32_4x4x4_16b_f16 a[0:3], v[10:11], v[46:47], a[0:3] cbsz:4 abid:1
	v_cvt_pkrtz_f16_f32 v48, v50, v51
	v_cvt_pkrtz_f16_f32 v49, v28, v29
	v_cvt_pk_f32_fp8_e32 v[58:59], v32
	v_cvt_pk_f32_fp8_sdwa v[60:61], v32 src0_sel:WORD_1
	v_mfma_f32_4x4x4_16b_f16 a[0:3], v[12:13], v[48:49], a[0:3] cbsz:4 abid:1
	;; [unrolled: 5-line block ×3, first 2 shown]
	v_cvt_pkrtz_f16_f32 v50, v56, v57
	v_cvt_pkrtz_f16_f32 v51, v30, v31
	s_waitcnt vmcnt(3)
	v_cvt_pk_f32_fp8_e32 v[64:65], v34
	v_cvt_pk_f32_fp8_sdwa v[66:67], v34 src0_sel:WORD_1
	v_mfma_f32_4x4x4_16b_f16 a[0:3], v[12:13], v[50:51], a[0:3] cbsz:4 abid:2
	v_cvt_pkrtz_f16_f32 v30, v58, v59
	v_cvt_pkrtz_f16_f32 v31, v60, v61
	v_cvt_pk_f32_fp8_e32 v[68:69], v35
	v_cvt_pk_f32_fp8_sdwa v[34:35], v35 src0_sel:WORD_1
	v_mfma_f32_4x4x4_16b_f16 a[0:3], v[10:11], v[30:31], a[0:3] cbsz:4 abid:3
	v_cvt_pkrtz_f16_f32 v52, v62, v63
	v_cvt_pkrtz_f16_f32 v53, v32, v33
	;; [unrolled: 5-line block ×4, first 2 shown]
	s_waitcnt vmcnt(2)
	v_cvt_pk_f32_fp8_e32 v[76:77], v14
	v_cvt_pk_f32_fp8_sdwa v[40:41], v14 src0_sel:WORD_1
	v_mfma_f32_4x4x4_16b_f16 a[0:3], v[12:13], v[38:39], a[0:3] cbsz:4 abid:4
	v_cvt_pkrtz_f16_f32 v28, v70, v71
	v_cvt_pkrtz_f16_f32 v29, v72, v73
	v_cvt_pk_f32_fp8_e32 v[26:27], v15
	v_cvt_pk_f32_fp8_sdwa v[14:15], v15 src0_sel:WORD_1
	v_mfma_f32_4x4x4_16b_f16 a[0:3], v[10:11], v[28:29], a[0:3] cbsz:4 abid:5
	v_cvt_pkrtz_f16_f32 v30, v74, v75
	v_cvt_pkrtz_f16_f32 v31, v36, v37
	;; [unrolled: 1-line block ×4, first 2 shown]
	v_mfma_f32_4x4x4_16b_f16 a[0:3], v[12:13], v[30:31], a[0:3] cbsz:4 abid:5
	v_cvt_pkrtz_f16_f32 v26, v26, v27
	v_cvt_pkrtz_f16_f32 v27, v14, v15
	v_mfma_f32_4x4x4_16b_f16 a[0:3], v[10:11], v[32:33], a[0:3] cbsz:4 abid:6
	v_cvt_pk_f32_fp8_e32 v[14:15], v16
	v_cvt_pk_f32_fp8_sdwa v[28:29], v16 src0_sel:WORD_1
	v_mfma_f32_4x4x4_16b_f16 a[0:3], v[12:13], v[26:27], a[0:3] cbsz:4 abid:6
	v_cvt_pk_f32_fp8_e32 v[26:27], v17
	v_cvt_pk_f32_fp8_sdwa v[16:17], v17 src0_sel:WORD_1
	v_cvt_pkrtz_f16_f32 v14, v14, v15
	v_cvt_pkrtz_f16_f32 v15, v28, v29
	;; [unrolled: 1-line block ×4, first 2 shown]
	v_mfma_f32_4x4x4_16b_f16 a[0:3], v[10:11], v[14:15], a[0:3] cbsz:4 abid:7
	s_waitcnt lgkmcnt(0)
	v_mov_b32_e32 v10, s8
	v_mul_f32_e32 v22, s0, v10
	v_mfma_f32_4x4x4_16b_f16 a[0:3], v[12:13], v[26:27], a[0:3] cbsz:4 abid:7
	s_nop 4
	v_accvgpr_read_b32 v11, a1
	v_accvgpr_read_b32 v10, a0
	v_pk_mul_f32 v[26:27], v[10:11], v[22:23] op_sel_hi:[1,0]
	global_load_dwordx4 v[14:17], v[44:45], off
	global_load_dwordx4 v[10:13], v[20:21], off
	v_accvgpr_read_b32 v21, a3
	v_accvgpr_read_b32 v20, a2
	v_pk_mul_f32 v[20:21], v[20:21], v[22:23] op_sel_hi:[1,0]
	v_mfma_f32_4x4x1_16b_f32 a[0:3], v26, v19, 0
	v_cndmask_b32_e64 v19, 0, 1.0, vcc
	v_cmp_eq_u32_e32 vcc, 2, v23
	s_nop 0
	v_mfma_f32_4x4x1_16b_f32 a[0:3], v27, v19, a[0:3]
	v_cndmask_b32_e64 v19, 0, 1.0, vcc
	v_cmp_eq_u32_e32 vcc, 3, v23
	s_nop 0
	v_mfma_f32_4x4x1_16b_f32 a[0:3], v20, v19, a[0:3]
	v_cndmask_b32_e64 v19, 0, 1.0, vcc
	v_lshlrev_b32_e32 v20, 2, v0
	v_and_or_b32 v20, v20, 48, v23
	v_mfma_f32_4x4x1_16b_f32 a[0:3], v21, v19, a[0:3]
	v_and_b32_e32 v19, -4, v18
	v_cmp_gt_i32_e32 vcc, s3, v19
	v_or_b32_e32 v18, 3, v18
	v_cmp_gt_i32_e64 s[10:11], s3, v18
	v_accvgpr_read_b32 v21, a0
	v_max_f32_e32 v22, v21, v21
	v_max_f32_e32 v22, 0xff7fffff, v22
	v_accvgpr_read_b32 v26, a1
	v_cndmask_b32_e32 v22, v25, v22, vcc
	v_or_b32_e32 v25, 1, v19
	v_max_f32_e32 v27, v26, v26
	v_max_f32_e32 v27, v22, v27
	v_cmp_gt_i32_e64 s[0:1], s3, v25
	v_or_b32_e32 v19, 2, v19
	v_cmp_gt_i32_e64 s[8:9], s3, v19
	v_cndmask_b32_e64 v22, v22, v27, s[0:1]
	v_accvgpr_read_b32 v27, a2
	v_max_f32_e32 v25, v27, v27
	v_max_f32_e32 v25, v22, v25
	v_cndmask_b32_e64 v19, v22, v25, s[8:9]
	v_accvgpr_read_b32 v22, a3
	v_max_f32_e32 v25, v22, v22
	v_max_f32_e32 v25, v19, v25
	v_cndmask_b32_e64 v18, v19, v25, s[10:11]
	;;#ASMSTART
	v_nop
 v_nop
 v_max_f32_dpp v18, v18, v18 row_ror:4
	;;#ASMEND
	v_lshlrev_b32_e32 v28, 2, v20
	;;#ASMSTART
	v_nop
 v_nop
 v_max_f32_dpp v18, v18, v18 row_ror:8
	;;#ASMEND
	ds_bpermute_b32 v18, v28, v18
	s_waitcnt lgkmcnt(0)
	;;#ASMSTART
	v_nop
 v_nop
 v_max_f32_dpp v18, v18, v18 row_ror:4
	;;#ASMEND
	s_nop 0
	;;#ASMSTART
	v_nop
 v_nop
 v_max_f32_dpp v25, v18, v18 row_ror:8
	;;#ASMEND
	s_nop 0
	v_sub_f32_e32 v18, v21, v25
	v_mul_f32_e32 v18, 0x3fb8aa3b, v18
	v_sub_f32_e32 v19, v26, v25
	v_exp_f32_e32 v18, v18
	v_mul_f32_e32 v19, 0x3fb8aa3b, v19
	v_sub_f32_e32 v21, v27, v25
	v_exp_f32_e32 v19, v19
	;; [unrolled: 3-line block ×3, first 2 shown]
	v_mul_f32_e32 v22, 0x3fb8aa3b, v22
	v_exp_f32_e32 v22, v22
	v_cndmask_b32_e32 v18, 0, v18, vcc
	v_add_f32_e32 v20, 0, v18
	v_cndmask_b32_e64 v19, 0, v19, s[0:1]
	v_add_f32_e32 v26, v20, v19
	v_cndmask_b32_e64 v20, 0, v21, s[8:9]
	;; [unrolled: 2-line block ×3, first 2 shown]
	v_add_f32_e32 v22, v26, v21
	;;#ASMSTART
	v_nop
 v_nop
 v_add_f32_dpp v22, v22, v22 row_ror:4
	;;#ASMEND
	v_cmp_gt_u32_e32 vcc, 4, v24
	;;#ASMSTART
	v_nop
 v_nop
 v_add_f32_dpp v22, v22, v22 row_ror:8
	;;#ASMEND
	ds_bpermute_b32 v22, v28, v22
	s_waitcnt lgkmcnt(0)
	;;#ASMSTART
	v_nop
 v_nop
 v_add_f32_dpp v22, v22, v22 row_ror:4
	;;#ASMEND
	s_nop 0
	;;#ASMSTART
	v_nop
 v_nop
 v_add_f32_dpp v22, v22, v22 row_ror:8
	;;#ASMEND
	s_and_saveexec_b64 s[0:1], vcc
	s_cbranch_execz .LBB788_16
; %bb.15:
	v_mul_u32_u24_e32 v26, 20, v1
	v_lshl_add_u32 v26, v23, 2, v26
	v_add_u32_e32 v26, 0x800, v26
	ds_write2_b32 v26, v25, v22 offset0:128 offset1:148
.LBB788_16:
	s_or_b64 exec, exec, s[0:1]
.LBB788_17:
	s_or_b64 exec, exec, s[30:31]
	s_waitcnt lgkmcnt(0)
	s_barrier
	s_load_dword s0, s[28:29], 0x8
	v_lshlrev_b32_e32 v22, 2, v23
	v_add_u32_e32 v27, 0x800, v22
	ds_read2_b32 v[28:29], v27 offset0:128 offset1:133
	ds_read2_b32 v[30:31], v27 offset0:138 offset1:143
	s_mul_i32 s1, s5, s2
	s_waitcnt lgkmcnt(0)
	s_mul_i32 s0, s1, s0
	s_mov_b32 s1, 0xff7fffff
	v_max3_f32 v22, v28, s1, v29
	v_max3_f32 v26, v22, v30, v31
	v_sub_f32_e32 v22, v28, v26
	v_sub_f32_e32 v28, v29, v26
	v_mul_f32_e32 v28, 0x3fb8aa3b, v28
	ds_read2_b32 v[32:33], v27 offset0:148 offset1:153
	v_mul_f32_e32 v22, 0x3fb8aa3b, v22
	v_exp_f32_e32 v35, v28
	ds_read2_b32 v[28:29], v27 offset0:158 offset1:163
	v_sub_f32_e32 v27, v30, v26
	v_exp_f32_e32 v34, v22
	v_mul_f32_e32 v27, 0x3fb8aa3b, v27
	v_exp_f32_e32 v30, v27
	v_sub_f32_e32 v27, v31, v26
	v_mul_f32_e32 v27, 0x3fb8aa3b, v27
	v_exp_f32_e32 v31, v27
	s_waitcnt lgkmcnt(1)
	v_fma_f32 v27, v34, v32, 0
	v_fmac_f32_e32 v27, v35, v33
	s_waitcnt lgkmcnt(0)
	v_fmac_f32_e32 v27, v30, v28
	v_mov_b32_e32 v22, 0
	v_fmac_f32_e32 v27, v31, v29
	s_mov_b32 s1, 0
	v_cmp_eq_u32_e32 vcc, 0, v23
	s_and_saveexec_b64 s[2:3], vcc
	s_cbranch_execz .LBB788_19
; %bb.18:
	s_lshl_b64 s[8:9], s[0:1], 2
	s_add_u32 s12, s16, s8
	s_mov_b32 s25, s1
	s_addc_u32 s13, s17, s9
	s_lshl_b64 s[10:11], s[24:25], 2
	s_add_u32 s12, s12, s10
	s_addc_u32 s13, s13, s11
	s_add_u32 s8, s18, s8
	s_addc_u32 s9, s19, s9
	;; [unrolled: 2-line block ×3, first 2 shown]
	s_mul_i32 s8, s5, s4
	s_mov_b32 s9, s1
	s_lshl_b64 s[8:9], s[8:9], 2
	s_add_u32 s10, s12, s8
	s_addc_u32 s11, s13, s9
	s_add_u32 s8, s16, s8
	s_addc_u32 s9, s17, s9
	global_store_dword v22, v26, s[8:9]
	global_store_dword v22, v27, s[10:11]
.LBB788_19:
	s_or_b64 exec, exec, s[2:3]
	v_mov_b32_e32 v23, 0
	s_and_saveexec_b64 s[2:3], s[6:7]
	s_cbranch_execz .LBB788_21
; %bb.20:
	v_add_f32_e32 v22, 0x358637bd, v27
	v_div_scale_f32 v23, s[6:7], v22, v22, 1.0
	v_rcp_f32_e32 v27, v23
	v_div_scale_f32 v28, vcc, 1.0, v22, 1.0
	v_sub_f32_e32 v25, v25, v26
	v_fma_f32 v29, -v23, v27, 1.0
	v_fmac_f32_e32 v27, v29, v27
	v_mul_f32_e32 v29, v28, v27
	v_fma_f32 v30, -v23, v29, v28
	v_mul_f32_e32 v25, 0x3fb8aa3b, v25
	v_fmac_f32_e32 v29, v30, v27
	v_exp_f32_e32 v25, v25
	v_fma_f32 v23, -v23, v29, v28
	v_div_fmas_f32 v23, v23, v27, v29
	v_div_fixup_f32 v22, v23, v22, 1.0
	v_mul_f32_e32 v22, v25, v22
	v_pk_mul_f32 v[20:21], v[20:21], v[22:23] op_sel_hi:[1,0]
	v_pk_mul_f32 v[18:19], v[18:19], v[22:23] op_sel_hi:[1,0]
	v_cvt_f16_f32_e32 v22, v20
	v_cvt_f16_f32_e32 v18, v18
	;; [unrolled: 1-line block ×4, first 2 shown]
	s_waitcnt vmcnt(3)
	v_cvt_pk_f32_fp8_e32 v[20:21], v6
	v_cvt_pk_f32_fp8_e32 v[26:27], v7
	v_pack_b32_f16 v18, v18, v19
	v_pack_b32_f16 v19, v22, v23
	v_cvt_pk_f32_fp8_sdwa v[22:23], v6 src0_sel:WORD_1
	v_cvt_pkrtz_f16_f32 v6, v20, v21
	v_cvt_pk_f32_fp8_sdwa v[20:21], v7 src0_sel:WORD_1
	s_load_dword s6, s[14:15], 0x0
	v_cvt_pkrtz_f16_f32 v7, v22, v23
	v_cvt_pkrtz_f16_f32 v22, v26, v27
	;; [unrolled: 1-line block ×3, first 2 shown]
	v_mfma_f32_4x4x4_16b_f16 a[0:3], v[18:19], v[6:7], 0 cbsz:4
	v_cvt_pk_f32_fp8_e32 v[6:7], v8
	v_cvt_pk_f32_fp8_sdwa v[20:21], v8 src0_sel:WORD_1
	v_mfma_f32_4x4x4_16b_f16 a[0:3], v[18:19], v[22:23], a[0:3] cbsz:4 abid:1
	v_cvt_pk_f32_fp8_e32 v[22:23], v9
	v_cvt_pk_f32_fp8_sdwa v[8:9], v9 src0_sel:WORD_1
	v_cvt_pkrtz_f16_f32 v6, v6, v7
	v_cvt_pkrtz_f16_f32 v7, v20, v21
	;; [unrolled: 1-line block ×4, first 2 shown]
	v_mfma_f32_4x4x4_16b_f16 a[0:3], v[18:19], v[6:7], a[0:3] cbsz:4 abid:2
	s_waitcnt vmcnt(2)
	v_cvt_pk_f32_fp8_e32 v[6:7], v2
	v_cvt_pk_f32_fp8_sdwa v[8:9], v2 src0_sel:WORD_1
	v_mfma_f32_4x4x4_16b_f16 a[0:3], v[18:19], v[20:21], a[0:3] cbsz:4 abid:3
	v_cvt_pk_f32_fp8_e32 v[20:21], v3
	v_cvt_pkrtz_f16_f32 v2, v6, v7
	v_cvt_pk_f32_fp8_sdwa v[6:7], v3 src0_sel:WORD_1
	v_cvt_pkrtz_f16_f32 v3, v8, v9
	v_cvt_pkrtz_f16_f32 v8, v20, v21
	s_mov_b32 s1, 0x5040100
	v_mfma_f32_4x4x4_16b_f16 a[0:3], v[18:19], v[2:3], a[0:3] cbsz:4 abid:4
	v_cvt_pkrtz_f16_f32 v9, v6, v7
	v_cvt_pk_f32_fp8_e32 v[2:3], v4
	v_cvt_pk_f32_fp8_sdwa v[6:7], v4 src0_sel:WORD_1
	v_mfma_f32_4x4x4_16b_f16 a[0:3], v[18:19], v[8:9], a[0:3] cbsz:4 abid:5
	v_cvt_pk_f32_fp8_e32 v[8:9], v5
	v_cvt_pk_f32_fp8_sdwa v[4:5], v5 src0_sel:WORD_1
	v_cvt_pkrtz_f16_f32 v2, v2, v3
	v_cvt_pkrtz_f16_f32 v3, v6, v7
	;; [unrolled: 1-line block ×4, first 2 shown]
	v_mfma_f32_4x4x4_16b_f16 a[0:3], v[18:19], v[2:3], a[0:3] cbsz:4 abid:6
	s_waitcnt vmcnt(1)
	v_cvt_pk_f32_fp8_e32 v[2:3], v14
	v_cvt_pk_f32_fp8_sdwa v[4:5], v14 src0_sel:WORD_1
	v_mfma_f32_4x4x4_16b_f16 a[0:3], v[18:19], v[6:7], a[0:3] cbsz:4 abid:7
	v_cvt_pk_f32_fp8_e32 v[6:7], v15
	v_cvt_pk_f32_fp8_sdwa v[8:9], v15 src0_sel:WORD_1
	v_cvt_pkrtz_f16_f32 v2, v2, v3
	v_cvt_pkrtz_f16_f32 v3, v4, v5
	;; [unrolled: 1-line block ×4, first 2 shown]
	v_mfma_f32_4x4x4_16b_f16 a[0:3], v[18:19], v[2:3], a[0:3] cbsz:4 abid:8
	v_cvt_pk_f32_fp8_e32 v[2:3], v16
	v_cvt_pk_f32_fp8_e32 v[6:7], v17
	v_mfma_f32_4x4x4_16b_f16 a[0:3], v[18:19], v[4:5], a[0:3] cbsz:4 abid:9
	v_cvt_pk_f32_fp8_sdwa v[4:5], v16 src0_sel:WORD_1
	v_cvt_pk_f32_fp8_sdwa v[8:9], v17 src0_sel:WORD_1
	v_cvt_pkrtz_f16_f32 v2, v2, v3
	v_cvt_pkrtz_f16_f32 v3, v4, v5
	v_cvt_pkrtz_f16_f32 v4, v6, v7
	s_nop 0
	v_mfma_f32_4x4x4_16b_f16 a[0:3], v[18:19], v[2:3], a[0:3] cbsz:4 abid:10
	v_cvt_pkrtz_f16_f32 v5, v8, v9
	s_waitcnt vmcnt(0)
	v_cvt_pk_f32_fp8_e32 v[2:3], v10
	v_cvt_pk_f32_fp8_e32 v[6:7], v11
	v_mfma_f32_4x4x4_16b_f16 a[0:3], v[18:19], v[4:5], a[0:3] cbsz:4 abid:11
	v_cvt_pk_f32_fp8_sdwa v[4:5], v10 src0_sel:WORD_1
	v_cvt_pk_f32_fp8_sdwa v[8:9], v11 src0_sel:WORD_1
	v_cvt_pkrtz_f16_f32 v2, v2, v3
	v_cvt_pkrtz_f16_f32 v3, v4, v5
	;; [unrolled: 1-line block ×3, first 2 shown]
	s_nop 0
	v_mfma_f32_4x4x4_16b_f16 a[0:3], v[18:19], v[2:3], a[0:3] cbsz:4 abid:12
	v_cvt_pkrtz_f16_f32 v5, v8, v9
	v_cvt_pk_f32_fp8_e32 v[2:3], v12
	v_cvt_pk_f32_fp8_e32 v[6:7], v13
	v_mfma_f32_4x4x4_16b_f16 a[0:3], v[18:19], v[4:5], a[0:3] cbsz:4 abid:13
	v_cvt_pk_f32_fp8_sdwa v[4:5], v12 src0_sel:WORD_1
	v_cvt_pk_f32_fp8_sdwa v[8:9], v13 src0_sel:WORD_1
	v_cvt_pkrtz_f16_f32 v2, v2, v3
	v_cvt_pkrtz_f16_f32 v3, v4, v5
	;; [unrolled: 1-line block ×3, first 2 shown]
	s_nop 0
	v_mfma_f32_4x4x4_16b_f16 a[0:3], v[18:19], v[2:3], a[0:3] cbsz:4 abid:14
	v_cvt_pkrtz_f16_f32 v5, v8, v9
	s_nop 1
	v_mfma_f32_4x4x4_16b_f16 a[0:3], v[18:19], v[4:5], a[0:3] cbsz:4 abid:15
	s_nop 4
	v_accvgpr_read_b32 v5, a1
	v_accvgpr_read_b32 v3, a3
	;; [unrolled: 1-line block ×4, first 2 shown]
	s_waitcnt lgkmcnt(0)
	v_pk_mul_f32 v[2:3], v[2:3], s[6:7] op_sel_hi:[1,0]
	v_pk_mul_f32 v[4:5], v[4:5], s[6:7] op_sel_hi:[1,0]
	v_cvt_f16_f32_e32 v2, v2
	v_cvt_f16_f32_e32 v4, v4
	;; [unrolled: 1-line block ×4, first 2 shown]
	v_perm_b32 v22, v5, v4, s1
	v_perm_b32 v23, v3, v2, s1
.LBB788_21:
	s_or_b64 exec, exec, s[2:3]
	v_lshlrev_b32_e32 v1, 3, v1
	v_mad_u32_u24 v1, v24, 40, v1
	v_cmp_gt_u32_e32 vcc, 64, v0
	ds_write_b64 v1, v[22:23]
	s_waitcnt lgkmcnt(0)
	s_barrier
	s_and_saveexec_b64 s[2:3], vcc
	s_cbranch_execz .LBB788_23
; %bb.22:
	v_mul_u32_u24_e32 v1, 40, v24
	s_waitcnt vmcnt(2)
	ds_read2_b64 v[2:5], v1 offset1:1
	ds_read2_b64 v[6:9], v1 offset0:2 offset1:3
	s_lshl_b32 s0, s0, 6
	s_mov_b32 s1, 0
	s_lshl_b64 s[2:3], s[0:1], 1
	s_add_u32 s2, s26, s2
	s_addc_u32 s3, s27, s3
	s_lshl_b32 s0, s24, 6
	s_lshl_b64 s[0:1], s[0:1], 1
	s_waitcnt lgkmcnt(1)
	v_pk_add_f16 v2, v2, 0
	s_add_u32 s0, s2, s0
	s_mul_i32 s4, s4, s5
	v_pk_add_f16 v2, v2, v4
	s_addc_u32 s1, s3, s1
	v_lshl_or_b32 v0, s4, 6, v0
	v_mov_b32_e32 v1, 0
	s_waitcnt lgkmcnt(0)
	v_pk_add_f16 v2, v2, v6
	v_lshl_add_u64 v[0:1], v[0:1], 1, s[0:1]
	v_pk_add_f16 v2, v2, v8
	global_store_short v[0:1], v2, off
.LBB788_23:
	s_endpgm
	.section	.rodata,"a",@progbits
	.p2align	6, 0x0
	.amdhsa_kernel _Z38paged_attention_ll4mi_QKV_mfma4_kernelIDF16_hLN4vllm18Fp8KVCacheDataTypeE1EhLi16ELi64ELi256ELb0ELi1EEvPKT_PKT0_S7_ifPKiS9_S9_iPKfiiiPfSC_PS2_PT2_iSB_SB_
		.amdhsa_group_segment_fixed_size 2720
		.amdhsa_private_segment_fixed_size 0
		.amdhsa_kernarg_size 400
		.amdhsa_user_sgpr_count 2
		.amdhsa_user_sgpr_dispatch_ptr 0
		.amdhsa_user_sgpr_queue_ptr 0
		.amdhsa_user_sgpr_kernarg_segment_ptr 1
		.amdhsa_user_sgpr_dispatch_id 0
		.amdhsa_user_sgpr_kernarg_preload_length 0
		.amdhsa_user_sgpr_kernarg_preload_offset 0
		.amdhsa_user_sgpr_private_segment_size 0
		.amdhsa_uses_dynamic_stack 0
		.amdhsa_enable_private_segment 0
		.amdhsa_system_sgpr_workgroup_id_x 1
		.amdhsa_system_sgpr_workgroup_id_y 1
		.amdhsa_system_sgpr_workgroup_id_z 1
		.amdhsa_system_sgpr_workgroup_info 0
		.amdhsa_system_vgpr_workitem_id 0
		.amdhsa_next_free_vgpr 84
		.amdhsa_next_free_sgpr 42
		.amdhsa_accum_offset 80
		.amdhsa_reserve_vcc 1
		.amdhsa_float_round_mode_32 0
		.amdhsa_float_round_mode_16_64 0
		.amdhsa_float_denorm_mode_32 3
		.amdhsa_float_denorm_mode_16_64 3
		.amdhsa_dx10_clamp 1
		.amdhsa_ieee_mode 1
		.amdhsa_fp16_overflow 0
		.amdhsa_tg_split 0
		.amdhsa_exception_fp_ieee_invalid_op 0
		.amdhsa_exception_fp_denorm_src 0
		.amdhsa_exception_fp_ieee_div_zero 0
		.amdhsa_exception_fp_ieee_overflow 0
		.amdhsa_exception_fp_ieee_underflow 0
		.amdhsa_exception_fp_ieee_inexact 0
		.amdhsa_exception_int_div_zero 0
	.end_amdhsa_kernel
	.section	.text._Z38paged_attention_ll4mi_QKV_mfma4_kernelIDF16_hLN4vllm18Fp8KVCacheDataTypeE1EhLi16ELi64ELi256ELb0ELi1EEvPKT_PKT0_S7_ifPKiS9_S9_iPKfiiiPfSC_PS2_PT2_iSB_SB_,"axG",@progbits,_Z38paged_attention_ll4mi_QKV_mfma4_kernelIDF16_hLN4vllm18Fp8KVCacheDataTypeE1EhLi16ELi64ELi256ELb0ELi1EEvPKT_PKT0_S7_ifPKiS9_S9_iPKfiiiPfSC_PS2_PT2_iSB_SB_,comdat
.Lfunc_end788:
	.size	_Z38paged_attention_ll4mi_QKV_mfma4_kernelIDF16_hLN4vllm18Fp8KVCacheDataTypeE1EhLi16ELi64ELi256ELb0ELi1EEvPKT_PKT0_S7_ifPKiS9_S9_iPKfiiiPfSC_PS2_PT2_iSB_SB_, .Lfunc_end788-_Z38paged_attention_ll4mi_QKV_mfma4_kernelIDF16_hLN4vllm18Fp8KVCacheDataTypeE1EhLi16ELi64ELi256ELb0ELi1EEvPKT_PKT0_S7_ifPKiS9_S9_iPKfiiiPfSC_PS2_PT2_iSB_SB_
                                        ; -- End function
	.section	.AMDGPU.csdata,"",@progbits
; Kernel info:
; codeLenInByte = 3788
; NumSgprs: 48
; NumVgprs: 78
; NumAgprs: 4
; TotalNumVgprs: 84
; ScratchSize: 0
; MemoryBound: 0
; FloatMode: 240
; IeeeMode: 1
; LDSByteSize: 2720 bytes/workgroup (compile time only)
; SGPRBlocks: 5
; VGPRBlocks: 10
; NumSGPRsForWavesPerEU: 48
; NumVGPRsForWavesPerEU: 84
; AccumOffset: 80
; Occupancy: 5
; WaveLimiterHint : 1
; COMPUTE_PGM_RSRC2:SCRATCH_EN: 0
; COMPUTE_PGM_RSRC2:USER_SGPR: 2
; COMPUTE_PGM_RSRC2:TRAP_HANDLER: 0
; COMPUTE_PGM_RSRC2:TGID_X_EN: 1
; COMPUTE_PGM_RSRC2:TGID_Y_EN: 1
; COMPUTE_PGM_RSRC2:TGID_Z_EN: 1
; COMPUTE_PGM_RSRC2:TIDIG_COMP_CNT: 0
; COMPUTE_PGM_RSRC3_GFX90A:ACCUM_OFFSET: 19
; COMPUTE_PGM_RSRC3_GFX90A:TG_SPLIT: 0
	.section	.text._Z38paged_attention_ll4mi_QKV_mfma4_kernelIDF16_hLN4vllm18Fp8KVCacheDataTypeE1EhLi16ELi64ELi256ELb0ELi2EEvPKT_PKT0_S7_ifPKiS9_S9_iPKfiiiPfSC_PS2_PT2_iSB_SB_,"axG",@progbits,_Z38paged_attention_ll4mi_QKV_mfma4_kernelIDF16_hLN4vllm18Fp8KVCacheDataTypeE1EhLi16ELi64ELi256ELb0ELi2EEvPKT_PKT0_S7_ifPKiS9_S9_iPKfiiiPfSC_PS2_PT2_iSB_SB_,comdat
	.protected	_Z38paged_attention_ll4mi_QKV_mfma4_kernelIDF16_hLN4vllm18Fp8KVCacheDataTypeE1EhLi16ELi64ELi256ELb0ELi2EEvPKT_PKT0_S7_ifPKiS9_S9_iPKfiiiPfSC_PS2_PT2_iSB_SB_ ; -- Begin function _Z38paged_attention_ll4mi_QKV_mfma4_kernelIDF16_hLN4vllm18Fp8KVCacheDataTypeE1EhLi16ELi64ELi256ELb0ELi2EEvPKT_PKT0_S7_ifPKiS9_S9_iPKfiiiPfSC_PS2_PT2_iSB_SB_
	.globl	_Z38paged_attention_ll4mi_QKV_mfma4_kernelIDF16_hLN4vllm18Fp8KVCacheDataTypeE1EhLi16ELi64ELi256ELb0ELi2EEvPKT_PKT0_S7_ifPKiS9_S9_iPKfiiiPfSC_PS2_PT2_iSB_SB_
	.p2align	8
	.type	_Z38paged_attention_ll4mi_QKV_mfma4_kernelIDF16_hLN4vllm18Fp8KVCacheDataTypeE1EhLi16ELi64ELi256ELb0ELi2EEvPKT_PKT0_S7_ifPKiS9_S9_iPKfiiiPfSC_PS2_PT2_iSB_SB_,@function
_Z38paged_attention_ll4mi_QKV_mfma4_kernelIDF16_hLN4vllm18Fp8KVCacheDataTypeE1EhLi16ELi64ELi256ELb0ELi2EEvPKT_PKT0_S7_ifPKiS9_S9_iPKfiiiPfSC_PS2_PT2_iSB_SB_: ; @_Z38paged_attention_ll4mi_QKV_mfma4_kernelIDF16_hLN4vllm18Fp8KVCacheDataTypeE1EhLi16ELi64ELi256ELb0ELi2EEvPKT_PKT0_S7_ifPKiS9_S9_iPKfiiiPfSC_PS2_PT2_iSB_SB_
; %bb.0:
	s_load_dwordx2 s[20:21], s[0:1], 0x30
	s_mov_b32 s24, s3
	s_mov_b64 s[6:7], 0
	s_waitcnt lgkmcnt(0)
	s_cmp_lg_u64 s[20:21], 0
	s_cselect_b64 s[22:23], -1, 0
	s_and_b64 vcc, exec, s[22:23]
	s_cbranch_vccz .LBB789_10
; %bb.1:
	s_add_i32 s8, s2, 1
	s_mov_b32 s9, 0
	s_lshl_b64 s[10:11], s[8:9], 2
	s_add_u32 s10, s20, s10
	s_mov_b32 s3, s9
	s_addc_u32 s11, s21, s11
	s_lshl_b64 s[8:9], s[2:3], 2
	s_add_u32 s8, s20, s8
	s_addc_u32 s9, s21, s9
	s_load_dword s5, s[10:11], 0x0
	s_load_dword s12, s[8:9], 0x0
	s_waitcnt lgkmcnt(0)
	s_sub_i32 s5, s5, s12
	s_cmp_eq_u32 s5, 1
	s_cselect_b64 s[8:9], -1, 0
	s_andn2_b64 vcc, exec, s[6:7]
	s_cbranch_vccnz .LBB789_3
.LBB789_2:
	s_mov_b32 s3, 0
	s_mov_b64 s[8:9], -1
.LBB789_3:
	s_andn2_b64 vcc, exec, s[8:9]
	s_cbranch_vccnz .LBB789_23
; %bb.4:
	s_load_dword s5, s[0:1], 0x9c
	s_load_dwordx2 s[6:7], s[0:1], 0x28
	s_add_u32 s28, s0, 0x90
	s_addc_u32 s29, s1, 0
	s_lshl_b64 s[34:35], s[2:3], 2
	s_waitcnt lgkmcnt(0)
	s_and_b32 s5, s5, 0xffff
	s_add_u32 s6, s6, s34
	s_addc_u32 s7, s7, s35
	s_load_dword s3, s[6:7], 0x0
	s_mul_i32 s10, s24, s5
	s_waitcnt lgkmcnt(0)
	s_cmp_ge_i32 s10, s3
	s_cbranch_scc1 .LBB789_23
; %bb.5:
	v_and_b32_e32 v2, 0xc0, v0
	v_add_u32_e32 v4, s10, v2
	v_lshrrev_b32_e32 v1, 6, v0
	v_cmp_gt_i32_e64 s[6:7], s3, v4
	v_cmp_le_i32_e32 vcc, s3, v4
                                        ; implicit-def: $sgpr25
                                        ; implicit-def: $sgpr11
	s_and_saveexec_b64 s[8:9], vcc
	s_xor_b64 s[8:9], exec, s[8:9]
	s_cbranch_execz .LBB789_7
; %bb.6:
	v_mul_u32_u24_e32 v2, 20, v1
	v_or_b32_e32 v2, 0xa00, v2
	v_mov_b32_e32 v3, 0xa50
	v_mov_b32_e32 v4, 0xff7fffff
	v_mad_u32_u24 v3, v1, 20, v3
	ds_write2_b32 v2, v4, v4 offset1:1
	v_mov_b32_e32 v2, 0
	ds_write2_b32 v3, v2, v2 offset1:1
	v_mov_b32_e32 v3, 0xa08
	s_mov_b32 s11, 0xff7fffff
	s_mov_b32 s25, 0
	v_mad_u32_u24 v3, v1, 20, v3
	v_mov_b32_e32 v5, 0xa58
	v_mad_u32_u24 v5, v1, 20, v5
	ds_write2_b32 v3, v4, v4 offset1:1
	ds_write2_b32 v5, v2, v2 offset1:1
                                        ; implicit-def: $vgpr4
.LBB789_7:
	s_or_saveexec_b64 s[30:31], s[8:9]
	s_load_dwordx2 s[26:27], s[0:1], 0x68
	s_load_dwordx4 s[16:19], s[0:1], 0x58
	s_load_dword s5, s[28:29], 0x4
	s_load_dwordx4 s[12:15], s[0:1], 0x80
	v_and_b32_e32 v26, 63, v0
	v_and_b32_e32 v27, 3, v0
	v_mov_b32_e32 v21, s25
	v_mov_b32_e32 v24, s11
	v_mov_b32_e32 v20, s25
	v_mov_b32_e32 v19, s25
	v_mov_b32_e32 v18, s25
                                        ; implicit-def: $vgpr14_vgpr15
                                        ; implicit-def: $vgpr10_vgpr11
                                        ; implicit-def: $vgpr6_vgpr7
                                        ; implicit-def: $vgpr2_vgpr3
	s_xor_b64 exec, exec, s[30:31]
	s_cbranch_execz .LBB789_17
; %bb.8:
	s_load_dwordx2 s[8:9], s[0:1], 0x20
	s_load_dword s11, s[0:1], 0x38
	s_add_i32 s25, s3, 15
	s_ashr_i32 s33, s25, 31
	s_lshr_b32 s33, s33, 28
	v_add_u32_e32 v28, s10, v0
	s_add_i32 s25, s25, s33
	v_ashrrev_i32_e32 v2, 31, v28
	s_ashr_i32 s25, s25, 4
	v_lshrrev_b32_e32 v2, 28, v2
	s_add_i32 s25, s25, -1
	s_waitcnt lgkmcnt(0)
	s_mul_i32 s36, s2, s11
	s_mov_b32 s37, 0
	v_add_u32_e32 v2, v28, v2
	s_lshl_b64 s[36:37], s[36:37], 2
	v_ashrrev_i32_e32 v2, 4, v2
	v_mov_b32_e32 v3, s25
	v_cmp_gt_i32_e32 vcc, s3, v28
	s_add_u32 s8, s8, s36
	s_addc_u32 s9, s9, s37
	v_cndmask_b32_e32 v2, v3, v2, vcc
	v_ashrrev_i32_e32 v3, 31, v2
	v_lshl_add_u64 v[8:9], v[2:3], 2, s[8:9]
	v_ashrrev_i32_e32 v2, 31, v4
	v_lshrrev_b32_e32 v2, 28, v2
	v_add_u32_e32 v2, v4, v2
	v_ashrrev_i32_e32 v4, 4, v2
	v_min_i32_e32 v2, s25, v4
	v_ashrrev_i32_e32 v3, 31, v2
	v_lshl_add_u64 v[10:11], v[2:3], 2, s[8:9]
	v_add_u32_e32 v2, 1, v4
	v_min_i32_e32 v2, s25, v2
	v_ashrrev_i32_e32 v3, 31, v2
	v_lshl_add_u64 v[12:13], v[2:3], 2, s[8:9]
	v_add_u32_e32 v2, 2, v4
	;; [unrolled: 4-line block ×3, first 2 shown]
	v_min_i32_e32 v2, s25, v2
	v_ashrrev_i32_e32 v3, 31, v2
	v_lshl_add_u64 v[16:17], v[2:3], 2, s[8:9]
	global_load_dword v2, v[8:9], off
	global_load_dword v7, v[10:11], off
	;; [unrolled: 1-line block ×5, first 2 shown]
	s_load_dwordx4 s[8:11], s[0:1], 0x8
	s_andn2_b64 vcc, exec, s[22:23]
	s_cbranch_vccnz .LBB789_11
; %bb.9:
	s_add_u32 s20, s20, s34
	s_addc_u32 s21, s21, s35
	s_load_dword s25, s[20:21], 0x0
	s_branch .LBB789_12
.LBB789_10:
	s_mov_b64 s[8:9], 0
	s_branch .LBB789_2
.LBB789_11:
	s_mov_b32 s25, s2
.LBB789_12:
	s_load_dwordx4 s[20:23], s[0:1], 0x48
	v_cmp_gt_u32_e32 vcc, 2, v27
	s_mov_b32 s37, 0
	v_mov_b32_e32 v3, 0
	v_mov_b32_e32 v18, 0
	;; [unrolled: 1-line block ×5, first 2 shown]
	s_and_saveexec_b64 s[34:35], vcc
	s_cbranch_execz .LBB789_14
; %bb.13:
	s_load_dwordx2 s[38:39], s[0:1], 0x0
	s_waitcnt lgkmcnt(0)
	s_ashr_i32 s23, s20, 31
	s_mul_hi_u32 s33, s25, s20
	s_mul_i32 s23, s25, s23
	s_add_i32 s41, s33, s23
	s_mul_i32 s40, s25, s20
	s_lshl_b64 s[40:41], s[40:41], 1
	s_add_u32 s20, s38, s40
	s_addc_u32 s23, s39, s41
	s_lshl_b32 s36, s4, 7
	s_lshl_b64 s[36:37], s[36:37], 1
	s_add_u32 s36, s20, s36
	v_lshlrev_b32_e32 v8, 3, v27
	v_lshrrev_b32_e32 v9, 2, v26
	s_addc_u32 s37, s23, s37
	v_add_lshl_u32 v8, v8, v9, 4
	global_load_dwordx4 v[18:21], v8, s[36:37]
.LBB789_14:
	s_or_b64 exec, exec, s[34:35]
	s_waitcnt lgkmcnt(0)
	s_mul_i32 s20, s4, s22
	s_add_u32 s8, s20, s8
	s_addc_u32 s9, 0, s9
	v_mov_b64_e32 v[8:9], s[8:9]
	s_waitcnt vmcnt(4)
	v_mad_i64_i32 v[8:9], s[8:9], v2, s21, v[8:9]
	v_lshlrev_b32_e32 v2, 4, v0
	v_and_b32_e32 v2, 0xf0, v2
	v_lshl_add_u64 v[8:9], v[8:9], 0, v[2:3]
	global_load_dwordx4 v[30:33], v[8:9], off
	global_load_dwordx4 v[34:37], v[8:9], off offset:256
	global_load_dwordx4 v[38:41], v[8:9], off offset:512
	;; [unrolled: 1-line block ×3, first 2 shown]
	s_waitcnt vmcnt(7)
	v_mul_hi_i32 v2, v7, s21
	s_load_dword s8, s[0:1], 0x1c
	s_add_u32 s0, s10, s20
	s_waitcnt vmcnt(6)
	v_mul_hi_i32 v8, v6, s21
	s_waitcnt vmcnt(5)
	v_mul_hi_i32 v9, v5, s21
	v_ashrrev_i32_e32 v11, 31, v2
	s_addc_u32 s1, s11, 0
	v_lshlrev_b32_e32 v2, 4, v26
	s_waitcnt vmcnt(4)
	v_mul_hi_i32 v10, v4, s21
	v_ashrrev_i32_e32 v12, 31, v8
	v_ashrrev_i32_e32 v13, 31, v9
	v_lshl_add_u64 v[8:9], s[0:1], 0, v[2:3]
	v_lshrrev_b32_e32 v2, 29, v11
	v_ashrrev_i32_e32 v14, 31, v10
	v_mad_i64_i32 v[10:11], s[0:1], v7, s21, v[2:3]
	v_lshrrev_b32_e32 v2, 29, v12
	v_and_b32_e32 v10, -8, v10
	v_mad_i64_i32 v[6:7], s[0:1], v6, s21, v[2:3]
	v_lshrrev_b32_e32 v2, 29, v13
	v_lshl_add_u64 v[42:43], v[8:9], 0, v[10:11]
	v_mad_i64_i32 v[10:11], s[0:1], v5, s21, v[2:3]
	v_lshrrev_b32_e32 v2, 29, v14
	v_mad_i64_i32 v[2:3], s[0:1], v4, s21, v[2:3]
	v_and_b32_e32 v6, -8, v6
	v_and_b32_e32 v10, -8, v10
	;; [unrolled: 1-line block ×3, first 2 shown]
	v_lshl_add_u64 v[6:7], v[8:9], 0, v[6:7]
	v_lshl_add_u64 v[44:45], v[8:9], 0, v[10:11]
	global_load_dwordx4 v[14:17], v[42:43], off
	global_load_dwordx4 v[10:13], v[6:7], off
	v_lshl_add_u64 v[42:43], v[8:9], 0, v[2:3]
	global_load_dwordx4 v[6:9], v[44:45], off
	global_load_dwordx4 v[2:5], v[42:43], off
	s_load_dword s0, s[12:13], 0x0
	v_cmp_eq_u32_e32 vcc, 0, v27
	s_waitcnt vmcnt(7)
	v_cvt_pk_f32_fp8_e32 v[46:47], v30
	v_cvt_pk_f32_fp8_sdwa v[48:49], v30 src0_sel:WORD_1
	v_cvt_pk_f32_fp8_e32 v[50:51], v31
	v_cvt_pk_f32_fp8_sdwa v[30:31], v31 src0_sel:WORD_1
	;; [unrolled: 2-line block ×3, first 2 shown]
	v_cvt_pkrtz_f16_f32 v42, v46, v47
	v_cvt_pkrtz_f16_f32 v43, v48, v49
	v_cvt_pk_f32_fp8_e32 v[56:57], v33
	v_cvt_pk_f32_fp8_sdwa v[32:33], v33 src0_sel:WORD_1
	v_mfma_f32_4x4x4_16b_f16 a[0:3], v[18:19], v[42:43], 0 cbsz:4
	v_cvt_pkrtz_f16_f32 v46, v50, v51
	v_cvt_pkrtz_f16_f32 v47, v30, v31
	s_waitcnt vmcnt(6)
	v_cvt_pk_f32_fp8_e32 v[58:59], v34
	v_cvt_pk_f32_fp8_sdwa v[60:61], v34 src0_sel:WORD_1
	v_mfma_f32_4x4x4_16b_f16 a[0:3], v[20:21], v[46:47], a[0:3] cbsz:4
	v_cvt_pkrtz_f16_f32 v48, v52, v53
	v_cvt_pkrtz_f16_f32 v49, v54, v55
	v_cvt_pk_f32_fp8_e32 v[62:63], v35
	v_cvt_pk_f32_fp8_sdwa v[34:35], v35 src0_sel:WORD_1
	v_mfma_f32_4x4x4_16b_f16 a[0:3], v[18:19], v[48:49], a[0:3] cbsz:4 abid:1
	v_cvt_pkrtz_f16_f32 v52, v56, v57
	v_cvt_pkrtz_f16_f32 v53, v32, v33
	v_cvt_pk_f32_fp8_e32 v[64:65], v36
	v_cvt_pk_f32_fp8_sdwa v[66:67], v36 src0_sel:WORD_1
	v_mfma_f32_4x4x4_16b_f16 a[0:3], v[20:21], v[52:53], a[0:3] cbsz:4 abid:1
	;; [unrolled: 5-line block ×3, first 2 shown]
	v_cvt_pkrtz_f16_f32 v54, v62, v63
	v_cvt_pkrtz_f16_f32 v55, v34, v35
	s_waitcnt vmcnt(5)
	v_cvt_pk_f32_fp8_e32 v[70:71], v38
	v_cvt_pk_f32_fp8_sdwa v[72:73], v38 src0_sel:WORD_1
	v_mfma_f32_4x4x4_16b_f16 a[0:3], v[20:21], v[54:55], a[0:3] cbsz:4 abid:2
	v_cvt_pkrtz_f16_f32 v34, v64, v65
	v_cvt_pkrtz_f16_f32 v35, v66, v67
	v_cvt_pk_f32_fp8_e32 v[74:75], v39
	v_cvt_pk_f32_fp8_sdwa v[38:39], v39 src0_sel:WORD_1
	v_mfma_f32_4x4x4_16b_f16 a[0:3], v[18:19], v[34:35], a[0:3] cbsz:4 abid:3
	v_cvt_pkrtz_f16_f32 v42, v68, v69
	v_cvt_pkrtz_f16_f32 v43, v36, v37
	;; [unrolled: 5-line block ×4, first 2 shown]
	s_waitcnt vmcnt(4)
	v_cvt_pk_f32_fp8_e32 v[44:45], v22
	v_cvt_pk_f32_fp8_sdwa v[30:31], v22 src0_sel:WORD_1
	v_mfma_f32_4x4x4_16b_f16 a[0:3], v[20:21], v[32:33], a[0:3] cbsz:4 abid:4
	v_cvt_pkrtz_f16_f32 v34, v76, v77
	v_cvt_pkrtz_f16_f32 v35, v78, v79
	v_cvt_pk_f32_fp8_e32 v[50:51], v23
	v_cvt_pkrtz_f16_f32 v36, v80, v81
	v_mfma_f32_4x4x4_16b_f16 a[0:3], v[18:19], v[34:35], a[0:3] cbsz:4 abid:5
	v_cvt_pkrtz_f16_f32 v37, v40, v41
	v_cvt_pk_f32_fp8_sdwa v[32:33], v23 src0_sel:WORD_1
	v_cvt_pkrtz_f16_f32 v22, v44, v45
	v_mfma_f32_4x4x4_16b_f16 a[0:3], v[20:21], v[36:37], a[0:3] cbsz:4 abid:5
	v_cvt_pkrtz_f16_f32 v23, v30, v31
	v_cvt_pkrtz_f16_f32 v30, v50, v51
	;; [unrolled: 1-line block ×3, first 2 shown]
	v_mfma_f32_4x4x4_16b_f16 a[0:3], v[18:19], v[22:23], a[0:3] cbsz:4 abid:6
	v_cvt_pk_f32_fp8_e32 v[22:23], v24
	v_cvt_pk_f32_fp8_e32 v[32:33], v25
	v_mfma_f32_4x4x4_16b_f16 a[0:3], v[20:21], v[30:31], a[0:3] cbsz:4 abid:6
	v_cvt_pk_f32_fp8_sdwa v[30:31], v24 src0_sel:WORD_1
	v_cvt_pk_f32_fp8_sdwa v[24:25], v25 src0_sel:WORD_1
	v_cvt_pkrtz_f16_f32 v22, v22, v23
	v_cvt_pkrtz_f16_f32 v23, v30, v31
	;; [unrolled: 1-line block ×3, first 2 shown]
	s_nop 0
	v_mfma_f32_4x4x4_16b_f16 a[0:3], v[18:19], v[22:23], a[0:3] cbsz:4 abid:7
	v_cvt_pkrtz_f16_f32 v31, v24, v25
	s_waitcnt lgkmcnt(0)
	v_mov_b32_e32 v18, s8
	v_mfma_f32_4x4x4_16b_f16 a[0:3], v[20:21], v[30:31], a[0:3] cbsz:4 abid:7
	v_mul_f32_e32 v20, s0, v18
	s_nop 3
	v_accvgpr_read_b32 v23, a1
	v_accvgpr_read_b32 v22, a0
	v_pk_mul_f32 v[22:23], v[22:23], v[20:21] op_sel_hi:[1,0]
	v_accvgpr_read_b32 v19, a3
	v_accvgpr_read_b32 v18, a2
	v_pk_mul_f32 v[18:19], v[18:19], v[20:21] op_sel_hi:[1,0]
	v_cndmask_b32_e64 v20, 0, 1.0, vcc
	v_cmp_eq_u32_e32 vcc, 1, v27
	s_nop 0
	v_mfma_f32_4x4x1_16b_f32 a[0:3], v22, v20, 0
	v_cndmask_b32_e64 v20, 0, 1.0, vcc
	v_cmp_eq_u32_e32 vcc, 2, v27
	v_mov_b32_e32 v22, 0xff7fffff
	v_mfma_f32_4x4x1_16b_f32 a[0:3], v23, v20, a[0:3]
	v_cndmask_b32_e64 v20, 0, 1.0, vcc
	v_cmp_eq_u32_e32 vcc, 3, v27
	s_nop 0
	v_mfma_f32_4x4x1_16b_f32 a[0:3], v18, v20, a[0:3]
	v_cndmask_b32_e64 v18, 0, 1.0, vcc
	s_nop 1
	v_mfma_f32_4x4x1_16b_f32 a[0:3], v19, v18, a[0:3]
	v_and_b32_e32 v18, -4, v28
	v_cmp_gt_i32_e32 vcc, s3, v18
	v_lshlrev_b32_e32 v19, 2, v0
	v_and_or_b32 v19, v19, 48, v27
	v_accvgpr_read_b32 v20, a0
	v_max_f32_e32 v21, v20, v20
	v_max_f32_e32 v21, 0xff7fffff, v21
	v_accvgpr_read_b32 v23, a1
	v_cndmask_b32_e32 v21, v22, v21, vcc
	v_or_b32_e32 v22, 1, v18
	v_max_f32_e32 v24, v23, v23
	v_max_f32_e32 v24, v21, v24
	v_cmp_gt_i32_e64 s[0:1], s3, v22
	v_accvgpr_read_b32 v22, a2
	v_or_b32_e32 v18, 2, v18
	v_cndmask_b32_e64 v21, v21, v24, s[0:1]
	v_max_f32_e32 v24, v22, v22
	v_max_f32_e32 v24, v21, v24
	v_cmp_gt_i32_e64 s[8:9], s3, v18
	v_accvgpr_read_b32 v25, a3
	s_nop 0
	v_cndmask_b32_e64 v18, v21, v24, s[8:9]
	v_or_b32_e32 v21, 3, v28
	v_max_f32_e32 v24, v25, v25
	v_max_f32_e32 v24, v18, v24
	v_cmp_gt_i32_e64 s[10:11], s3, v21
	v_lshlrev_b32_e32 v28, 2, v19
	s_nop 0
	v_cndmask_b32_e64 v18, v18, v24, s[10:11]
	;;#ASMSTART
	v_nop
 v_nop
 v_max_f32_dpp v18, v18, v18 row_ror:4
	;;#ASMEND
	s_nop 0
	;;#ASMSTART
	v_nop
 v_nop
 v_max_f32_dpp v18, v18, v18 row_ror:8
	;;#ASMEND
	ds_bpermute_b32 v18, v28, v18
	s_waitcnt lgkmcnt(0)
	;;#ASMSTART
	v_nop
 v_nop
 v_max_f32_dpp v18, v18, v18 row_ror:4
	;;#ASMEND
	s_nop 0
	;;#ASMSTART
	v_nop
 v_nop
 v_max_f32_dpp v24, v18, v18 row_ror:8
	;;#ASMEND
	s_nop 0
	v_sub_f32_e32 v18, v20, v24
	v_mul_f32_e32 v18, 0x3fb8aa3b, v18
	v_sub_f32_e32 v19, v23, v24
	v_exp_f32_e32 v18, v18
	v_mul_f32_e32 v19, 0x3fb8aa3b, v19
	v_sub_f32_e32 v21, v22, v24
	v_exp_f32_e32 v19, v19
	v_mul_f32_e32 v21, 0x3fb8aa3b, v21
	v_sub_f32_e32 v22, v25, v24
	v_exp_f32_e32 v21, v21
	v_mul_f32_e32 v22, 0x3fb8aa3b, v22
	v_exp_f32_e32 v22, v22
	v_cndmask_b32_e32 v18, 0, v18, vcc
	v_add_f32_e32 v20, 0, v18
	v_cndmask_b32_e64 v19, 0, v19, s[0:1]
	v_add_f32_e32 v23, v20, v19
	v_cndmask_b32_e64 v20, 0, v21, s[8:9]
	;; [unrolled: 2-line block ×3, first 2 shown]
	v_add_f32_e32 v22, v23, v21
	;;#ASMSTART
	v_nop
 v_nop
 v_add_f32_dpp v22, v22, v22 row_ror:4
	;;#ASMEND
	v_cmp_gt_u32_e32 vcc, 4, v26
	;;#ASMSTART
	v_nop
 v_nop
 v_add_f32_dpp v22, v22, v22 row_ror:8
	;;#ASMEND
	ds_bpermute_b32 v22, v28, v22
	s_waitcnt lgkmcnt(0)
	;;#ASMSTART
	v_nop
 v_nop
 v_add_f32_dpp v22, v22, v22 row_ror:4
	;;#ASMEND
	s_nop 0
	;;#ASMSTART
	v_nop
 v_nop
 v_add_f32_dpp v22, v22, v22 row_ror:8
	;;#ASMEND
	s_and_saveexec_b64 s[0:1], vcc
	s_cbranch_execz .LBB789_16
; %bb.15:
	v_mul_u32_u24_e32 v23, 20, v1
	v_lshl_add_u32 v23, v27, 2, v23
	v_add_u32_e32 v23, 0x800, v23
	ds_write2_b32 v23, v24, v22 offset0:128 offset1:148
.LBB789_16:
	s_or_b64 exec, exec, s[0:1]
.LBB789_17:
	s_or_b64 exec, exec, s[30:31]
	s_waitcnt lgkmcnt(0)
	s_barrier
	s_load_dword s0, s[28:29], 0x8
	v_lshlrev_b32_e32 v22, 2, v27
	v_add_u32_e32 v32, 0x800, v22
	ds_read2_b32 v[22:23], v32 offset0:128 offset1:133
	ds_read2_b32 v[28:29], v32 offset0:138 offset1:143
	s_mul_i32 s1, s2, s5
	s_waitcnt lgkmcnt(0)
	s_mul_i32 s1, s1, s0
	s_lshl_b32 s0, s1, 1
	s_mov_b32 s1, 0xff7fffff
	v_max3_f32 v25, v22, s1, v23
	v_max3_f32 v25, v25, v28, v29
	v_sub_f32_e32 v22, v22, v25
	v_mul_f32_e32 v22, 0x3fb8aa3b, v22
	ds_read2_b32 v[30:31], v32 offset0:148 offset1:153
	v_exp_f32_e32 v33, v22
	v_sub_f32_e32 v22, v23, v25
	v_sub_f32_e32 v28, v28, v25
	v_mul_f32_e32 v22, 0x3fb8aa3b, v22
	v_mul_f32_e32 v28, 0x3fb8aa3b, v28
	v_exp_f32_e32 v34, v22
	ds_read2_b32 v[22:23], v32 offset0:158 offset1:163
	v_exp_f32_e32 v32, v28
	v_sub_f32_e32 v28, v29, v25
	v_mul_f32_e32 v28, 0x3fb8aa3b, v28
	v_exp_f32_e32 v29, v28
	s_waitcnt lgkmcnt(1)
	v_fma_f32 v28, v33, v30, 0
	v_fmac_f32_e32 v28, v34, v31
	s_waitcnt lgkmcnt(0)
	v_fmac_f32_e32 v28, v32, v22
	s_lshl_b32 s4, s4, 1
	v_fmac_f32_e32 v28, v29, v23
	v_cmp_gt_u32_e32 vcc, 2, v27
	s_and_saveexec_b64 s[2:3], vcc
	s_cbranch_execz .LBB789_19
; %bb.18:
	s_mov_b32 s1, 0
	s_lshl_b64 s[8:9], s[0:1], 2
	s_add_u32 s12, s16, s8
	s_mov_b32 s25, s1
	s_addc_u32 s13, s17, s9
	s_lshl_b64 s[10:11], s[24:25], 2
	s_add_u32 s12, s12, s10
	s_addc_u32 s13, s13, s11
	s_add_u32 s1, s18, s8
	s_addc_u32 s9, s19, s9
	v_or_b32_e32 v22, s4, v27
	s_add_u32 s8, s1, s10
	v_mul_lo_u32 v22, s5, v22
	v_mov_b32_e32 v23, 0
	s_addc_u32 s9, s9, s11
	v_lshlrev_b64 v[22:23], 2, v[22:23]
	v_lshl_add_u64 v[30:31], s[12:13], 0, v[22:23]
	v_lshl_add_u64 v[22:23], s[8:9], 0, v[22:23]
	global_store_dword v[22:23], v25, off
	global_store_dword v[30:31], v28, off
.LBB789_19:
	s_or_b64 exec, exec, s[2:3]
	v_mov_b32_e32 v22, 0
	v_mov_b32_e32 v23, 0
	s_and_saveexec_b64 s[2:3], s[6:7]
	s_cbranch_execz .LBB789_21
; %bb.20:
	v_add_f32_e32 v22, 0x358637bd, v28
	v_div_scale_f32 v23, s[6:7], v22, v22, 1.0
	v_rcp_f32_e32 v27, v23
	v_div_scale_f32 v28, vcc, 1.0, v22, 1.0
	v_sub_f32_e32 v24, v24, v25
	v_fma_f32 v29, -v23, v27, 1.0
	v_fmac_f32_e32 v27, v29, v27
	v_mul_f32_e32 v29, v28, v27
	v_fma_f32 v30, -v23, v29, v28
	v_mul_f32_e32 v24, 0x3fb8aa3b, v24
	v_fmac_f32_e32 v29, v30, v27
	v_exp_f32_e32 v24, v24
	v_fma_f32 v23, -v23, v29, v28
	v_div_fmas_f32 v23, v23, v27, v29
	v_div_fixup_f32 v22, v23, v22, 1.0
	v_mul_f32_e32 v22, v24, v22
	v_pk_mul_f32 v[20:21], v[20:21], v[22:23] op_sel_hi:[1,0]
	v_pk_mul_f32 v[18:19], v[18:19], v[22:23] op_sel_hi:[1,0]
	v_cvt_f16_f32_e32 v22, v20
	v_cvt_f16_f32_e32 v18, v18
	;; [unrolled: 1-line block ×4, first 2 shown]
	s_waitcnt vmcnt(3)
	v_cvt_pk_f32_fp8_e32 v[20:21], v14
	v_cvt_pk_f32_fp8_e32 v[24:25], v15
	v_pack_b32_f16 v18, v18, v19
	v_pack_b32_f16 v19, v22, v23
	v_cvt_pk_f32_fp8_sdwa v[22:23], v14 src0_sel:WORD_1
	v_cvt_pkrtz_f16_f32 v14, v20, v21
	v_cvt_pk_f32_fp8_sdwa v[20:21], v15 src0_sel:WORD_1
	s_load_dword s6, s[14:15], 0x0
	v_cvt_pkrtz_f16_f32 v15, v22, v23
	v_cvt_pkrtz_f16_f32 v22, v24, v25
	v_cvt_pkrtz_f16_f32 v23, v20, v21
	v_mfma_f32_4x4x4_16b_f16 a[0:3], v[18:19], v[14:15], 0 cbsz:4
	v_cvt_pk_f32_fp8_e32 v[14:15], v16
	v_cvt_pk_f32_fp8_sdwa v[20:21], v16 src0_sel:WORD_1
	v_mfma_f32_4x4x4_16b_f16 a[0:3], v[18:19], v[22:23], a[0:3] cbsz:4 abid:1
	v_cvt_pk_f32_fp8_e32 v[22:23], v17
	v_cvt_pk_f32_fp8_sdwa v[16:17], v17 src0_sel:WORD_1
	v_cvt_pkrtz_f16_f32 v14, v14, v15
	v_cvt_pkrtz_f16_f32 v15, v20, v21
	;; [unrolled: 1-line block ×4, first 2 shown]
	v_mfma_f32_4x4x4_16b_f16 a[0:3], v[18:19], v[14:15], a[0:3] cbsz:4 abid:2
	s_waitcnt vmcnt(2)
	v_cvt_pk_f32_fp8_e32 v[14:15], v10
	v_cvt_pk_f32_fp8_sdwa v[16:17], v10 src0_sel:WORD_1
	v_mfma_f32_4x4x4_16b_f16 a[0:3], v[18:19], v[20:21], a[0:3] cbsz:4 abid:3
	v_cvt_pk_f32_fp8_e32 v[20:21], v11
	v_cvt_pkrtz_f16_f32 v10, v14, v15
	v_cvt_pk_f32_fp8_sdwa v[14:15], v11 src0_sel:WORD_1
	v_cvt_pkrtz_f16_f32 v11, v16, v17
	v_cvt_pkrtz_f16_f32 v16, v20, v21
	s_mov_b32 s1, 0x5040100
	v_mfma_f32_4x4x4_16b_f16 a[0:3], v[18:19], v[10:11], a[0:3] cbsz:4 abid:4
	v_cvt_pkrtz_f16_f32 v17, v14, v15
	v_cvt_pk_f32_fp8_e32 v[10:11], v12
	v_cvt_pk_f32_fp8_sdwa v[14:15], v12 src0_sel:WORD_1
	v_mfma_f32_4x4x4_16b_f16 a[0:3], v[18:19], v[16:17], a[0:3] cbsz:4 abid:5
	v_cvt_pk_f32_fp8_e32 v[16:17], v13
	v_cvt_pk_f32_fp8_sdwa v[12:13], v13 src0_sel:WORD_1
	v_cvt_pkrtz_f16_f32 v10, v10, v11
	v_cvt_pkrtz_f16_f32 v11, v14, v15
	;; [unrolled: 1-line block ×4, first 2 shown]
	v_mfma_f32_4x4x4_16b_f16 a[0:3], v[18:19], v[10:11], a[0:3] cbsz:4 abid:6
	s_waitcnt vmcnt(1)
	v_cvt_pk_f32_fp8_e32 v[10:11], v6
	v_cvt_pk_f32_fp8_sdwa v[12:13], v6 src0_sel:WORD_1
	v_mfma_f32_4x4x4_16b_f16 a[0:3], v[18:19], v[14:15], a[0:3] cbsz:4 abid:7
	v_cvt_pk_f32_fp8_e32 v[14:15], v7
	v_cvt_pkrtz_f16_f32 v6, v10, v11
	v_cvt_pk_f32_fp8_sdwa v[10:11], v7 src0_sel:WORD_1
	v_cvt_pkrtz_f16_f32 v7, v12, v13
	v_cvt_pkrtz_f16_f32 v12, v14, v15
	;; [unrolled: 1-line block ×3, first 2 shown]
	v_mfma_f32_4x4x4_16b_f16 a[0:3], v[18:19], v[6:7], a[0:3] cbsz:4 abid:8
	v_cvt_pk_f32_fp8_e32 v[6:7], v8
	v_cvt_pk_f32_fp8_sdwa v[10:11], v8 src0_sel:WORD_1
	v_mfma_f32_4x4x4_16b_f16 a[0:3], v[18:19], v[12:13], a[0:3] cbsz:4 abid:9
	v_cvt_pk_f32_fp8_e32 v[12:13], v9
	v_cvt_pk_f32_fp8_sdwa v[8:9], v9 src0_sel:WORD_1
	v_cvt_pkrtz_f16_f32 v6, v6, v7
	v_cvt_pkrtz_f16_f32 v7, v10, v11
	;; [unrolled: 1-line block ×4, first 2 shown]
	v_mfma_f32_4x4x4_16b_f16 a[0:3], v[18:19], v[6:7], a[0:3] cbsz:4 abid:10
	s_waitcnt vmcnt(0)
	v_cvt_pk_f32_fp8_e32 v[6:7], v2
	v_cvt_pk_f32_fp8_sdwa v[8:9], v2 src0_sel:WORD_1
	v_mfma_f32_4x4x4_16b_f16 a[0:3], v[18:19], v[10:11], a[0:3] cbsz:4 abid:11
	v_cvt_pk_f32_fp8_e32 v[10:11], v3
	v_cvt_pkrtz_f16_f32 v2, v6, v7
	v_cvt_pk_f32_fp8_sdwa v[6:7], v3 src0_sel:WORD_1
	v_cvt_pkrtz_f16_f32 v3, v8, v9
	v_cvt_pkrtz_f16_f32 v8, v10, v11
	v_cvt_pkrtz_f16_f32 v9, v6, v7
	v_mfma_f32_4x4x4_16b_f16 a[0:3], v[18:19], v[2:3], a[0:3] cbsz:4 abid:12
	v_cvt_pk_f32_fp8_e32 v[2:3], v4
	v_cvt_pk_f32_fp8_sdwa v[6:7], v4 src0_sel:WORD_1
	v_mfma_f32_4x4x4_16b_f16 a[0:3], v[18:19], v[8:9], a[0:3] cbsz:4 abid:13
	v_cvt_pk_f32_fp8_e32 v[8:9], v5
	v_cvt_pk_f32_fp8_sdwa v[4:5], v5 src0_sel:WORD_1
	v_cvt_pkrtz_f16_f32 v2, v2, v3
	v_cvt_pkrtz_f16_f32 v3, v6, v7
	v_cvt_pkrtz_f16_f32 v6, v8, v9
	v_cvt_pkrtz_f16_f32 v7, v4, v5
	v_mfma_f32_4x4x4_16b_f16 a[0:3], v[18:19], v[2:3], a[0:3] cbsz:4 abid:14
	s_nop 1
	v_mfma_f32_4x4x4_16b_f16 a[0:3], v[18:19], v[6:7], a[0:3] cbsz:4 abid:15
	s_nop 4
	v_accvgpr_read_b32 v5, a1
	v_accvgpr_read_b32 v3, a3
	;; [unrolled: 1-line block ×4, first 2 shown]
	s_waitcnt lgkmcnt(0)
	v_pk_mul_f32 v[2:3], v[2:3], s[6:7] op_sel_hi:[1,0]
	v_pk_mul_f32 v[4:5], v[4:5], s[6:7] op_sel_hi:[1,0]
	v_cvt_f16_f32_e32 v2, v2
	v_cvt_f16_f32_e32 v4, v4
	;; [unrolled: 1-line block ×4, first 2 shown]
	v_perm_b32 v22, v5, v4, s1
	v_perm_b32 v23, v3, v2, s1
.LBB789_21:
	s_or_b64 exec, exec, s[2:3]
	v_lshlrev_b32_e32 v1, 3, v1
	v_mad_u32_u24 v1, v26, 40, v1
	v_cmp_gt_u32_e32 vcc, 64, v0
	ds_write_b64 v1, v[22:23]
	s_waitcnt lgkmcnt(0)
	s_barrier
	s_and_saveexec_b64 s[2:3], vcc
	s_cbranch_execz .LBB789_23
; %bb.22:
	s_mov_b32 s1, 0
	s_lshl_b32 s0, s0, 6
	v_mul_u32_u24_e32 v1, 40, v26
	s_lshl_b64 s[2:3], s[0:1], 1
	s_waitcnt vmcnt(0)
	ds_read2_b64 v[2:5], v1 offset1:1
	ds_read2_b64 v[6:9], v1 offset0:2 offset1:3
	s_add_u32 s2, s26, s2
	s_addc_u32 s3, s27, s3
	s_lshl_b32 s0, s24, 6
	s_lshl_b64 s[0:1], s[0:1], 1
	s_add_u32 s0, s2, s0
	s_addc_u32 s1, s3, s1
	s_lshl_b32 s2, s5, 6
	s_waitcnt lgkmcnt(1)
	v_pk_add_f16 v1, v2, 0
	s_mul_i32 s3, s2, s4
	v_pk_add_f16 v1, v1, v4
	v_or_b32_e32 v2, s3, v0
	v_mov_b32_e32 v3, 0
	s_add_i32 s3, s3, s2
	s_waitcnt lgkmcnt(0)
	v_pk_add_f16 v1, v1, v6
	v_lshl_add_u64 v[4:5], v[2:3], 1, s[0:1]
	v_or_b32_e32 v2, s3, v0
	v_pk_add_f16 v6, v1, v8
	v_lshl_add_u64 v[0:1], v[2:3], 1, s[0:1]
	global_store_short v[4:5], v6, off
	global_store_short_d16_hi v[0:1], v6, off
.LBB789_23:
	s_endpgm
	.section	.rodata,"a",@progbits
	.p2align	6, 0x0
	.amdhsa_kernel _Z38paged_attention_ll4mi_QKV_mfma4_kernelIDF16_hLN4vllm18Fp8KVCacheDataTypeE1EhLi16ELi64ELi256ELb0ELi2EEvPKT_PKT0_S7_ifPKiS9_S9_iPKfiiiPfSC_PS2_PT2_iSB_SB_
		.amdhsa_group_segment_fixed_size 2720
		.amdhsa_private_segment_fixed_size 0
		.amdhsa_kernarg_size 400
		.amdhsa_user_sgpr_count 2
		.amdhsa_user_sgpr_dispatch_ptr 0
		.amdhsa_user_sgpr_queue_ptr 0
		.amdhsa_user_sgpr_kernarg_segment_ptr 1
		.amdhsa_user_sgpr_dispatch_id 0
		.amdhsa_user_sgpr_kernarg_preload_length 0
		.amdhsa_user_sgpr_kernarg_preload_offset 0
		.amdhsa_user_sgpr_private_segment_size 0
		.amdhsa_uses_dynamic_stack 0
		.amdhsa_enable_private_segment 0
		.amdhsa_system_sgpr_workgroup_id_x 1
		.amdhsa_system_sgpr_workgroup_id_y 1
		.amdhsa_system_sgpr_workgroup_id_z 1
		.amdhsa_system_sgpr_workgroup_info 0
		.amdhsa_system_vgpr_workitem_id 0
		.amdhsa_next_free_vgpr 88
		.amdhsa_next_free_sgpr 42
		.amdhsa_accum_offset 84
		.amdhsa_reserve_vcc 1
		.amdhsa_float_round_mode_32 0
		.amdhsa_float_round_mode_16_64 0
		.amdhsa_float_denorm_mode_32 3
		.amdhsa_float_denorm_mode_16_64 3
		.amdhsa_dx10_clamp 1
		.amdhsa_ieee_mode 1
		.amdhsa_fp16_overflow 0
		.amdhsa_tg_split 0
		.amdhsa_exception_fp_ieee_invalid_op 0
		.amdhsa_exception_fp_denorm_src 0
		.amdhsa_exception_fp_ieee_div_zero 0
		.amdhsa_exception_fp_ieee_overflow 0
		.amdhsa_exception_fp_ieee_underflow 0
		.amdhsa_exception_fp_ieee_inexact 0
		.amdhsa_exception_int_div_zero 0
	.end_amdhsa_kernel
	.section	.text._Z38paged_attention_ll4mi_QKV_mfma4_kernelIDF16_hLN4vllm18Fp8KVCacheDataTypeE1EhLi16ELi64ELi256ELb0ELi2EEvPKT_PKT0_S7_ifPKiS9_S9_iPKfiiiPfSC_PS2_PT2_iSB_SB_,"axG",@progbits,_Z38paged_attention_ll4mi_QKV_mfma4_kernelIDF16_hLN4vllm18Fp8KVCacheDataTypeE1EhLi16ELi64ELi256ELb0ELi2EEvPKT_PKT0_S7_ifPKiS9_S9_iPKfiiiPfSC_PS2_PT2_iSB_SB_,comdat
.Lfunc_end789:
	.size	_Z38paged_attention_ll4mi_QKV_mfma4_kernelIDF16_hLN4vllm18Fp8KVCacheDataTypeE1EhLi16ELi64ELi256ELb0ELi2EEvPKT_PKT0_S7_ifPKiS9_S9_iPKfiiiPfSC_PS2_PT2_iSB_SB_, .Lfunc_end789-_Z38paged_attention_ll4mi_QKV_mfma4_kernelIDF16_hLN4vllm18Fp8KVCacheDataTypeE1EhLi16ELi64ELi256ELb0ELi2EEvPKT_PKT0_S7_ifPKiS9_S9_iPKfiiiPfSC_PS2_PT2_iSB_SB_
                                        ; -- End function
	.section	.AMDGPU.csdata,"",@progbits
; Kernel info:
; codeLenInByte = 3860
; NumSgprs: 48
; NumVgprs: 82
; NumAgprs: 4
; TotalNumVgprs: 88
; ScratchSize: 0
; MemoryBound: 0
; FloatMode: 240
; IeeeMode: 1
; LDSByteSize: 2720 bytes/workgroup (compile time only)
; SGPRBlocks: 5
; VGPRBlocks: 10
; NumSGPRsForWavesPerEU: 48
; NumVGPRsForWavesPerEU: 88
; AccumOffset: 84
; Occupancy: 5
; WaveLimiterHint : 1
; COMPUTE_PGM_RSRC2:SCRATCH_EN: 0
; COMPUTE_PGM_RSRC2:USER_SGPR: 2
; COMPUTE_PGM_RSRC2:TRAP_HANDLER: 0
; COMPUTE_PGM_RSRC2:TGID_X_EN: 1
; COMPUTE_PGM_RSRC2:TGID_Y_EN: 1
; COMPUTE_PGM_RSRC2:TGID_Z_EN: 1
; COMPUTE_PGM_RSRC2:TIDIG_COMP_CNT: 0
; COMPUTE_PGM_RSRC3_GFX90A:ACCUM_OFFSET: 20
; COMPUTE_PGM_RSRC3_GFX90A:TG_SPLIT: 0
	.section	.text._Z38paged_attention_ll4mi_QKV_mfma4_kernelIDF16_hLN4vllm18Fp8KVCacheDataTypeE1EhLi16ELi64ELi256ELb0ELi3EEvPKT_PKT0_S7_ifPKiS9_S9_iPKfiiiPfSC_PS2_PT2_iSB_SB_,"axG",@progbits,_Z38paged_attention_ll4mi_QKV_mfma4_kernelIDF16_hLN4vllm18Fp8KVCacheDataTypeE1EhLi16ELi64ELi256ELb0ELi3EEvPKT_PKT0_S7_ifPKiS9_S9_iPKfiiiPfSC_PS2_PT2_iSB_SB_,comdat
	.protected	_Z38paged_attention_ll4mi_QKV_mfma4_kernelIDF16_hLN4vllm18Fp8KVCacheDataTypeE1EhLi16ELi64ELi256ELb0ELi3EEvPKT_PKT0_S7_ifPKiS9_S9_iPKfiiiPfSC_PS2_PT2_iSB_SB_ ; -- Begin function _Z38paged_attention_ll4mi_QKV_mfma4_kernelIDF16_hLN4vllm18Fp8KVCacheDataTypeE1EhLi16ELi64ELi256ELb0ELi3EEvPKT_PKT0_S7_ifPKiS9_S9_iPKfiiiPfSC_PS2_PT2_iSB_SB_
	.globl	_Z38paged_attention_ll4mi_QKV_mfma4_kernelIDF16_hLN4vllm18Fp8KVCacheDataTypeE1EhLi16ELi64ELi256ELb0ELi3EEvPKT_PKT0_S7_ifPKiS9_S9_iPKfiiiPfSC_PS2_PT2_iSB_SB_
	.p2align	8
	.type	_Z38paged_attention_ll4mi_QKV_mfma4_kernelIDF16_hLN4vllm18Fp8KVCacheDataTypeE1EhLi16ELi64ELi256ELb0ELi3EEvPKT_PKT0_S7_ifPKiS9_S9_iPKfiiiPfSC_PS2_PT2_iSB_SB_,@function
_Z38paged_attention_ll4mi_QKV_mfma4_kernelIDF16_hLN4vllm18Fp8KVCacheDataTypeE1EhLi16ELi64ELi256ELb0ELi3EEvPKT_PKT0_S7_ifPKiS9_S9_iPKfiiiPfSC_PS2_PT2_iSB_SB_: ; @_Z38paged_attention_ll4mi_QKV_mfma4_kernelIDF16_hLN4vllm18Fp8KVCacheDataTypeE1EhLi16ELi64ELi256ELb0ELi3EEvPKT_PKT0_S7_ifPKiS9_S9_iPKfiiiPfSC_PS2_PT2_iSB_SB_
; %bb.0:
	s_load_dwordx2 s[20:21], s[0:1], 0x30
	s_mov_b32 s24, s3
	s_mov_b64 s[6:7], 0
	s_waitcnt lgkmcnt(0)
	s_cmp_lg_u64 s[20:21], 0
	s_cselect_b64 s[22:23], -1, 0
	s_and_b64 vcc, exec, s[22:23]
	s_cbranch_vccz .LBB790_10
; %bb.1:
	s_add_i32 s8, s2, 1
	s_mov_b32 s9, 0
	s_lshl_b64 s[10:11], s[8:9], 2
	s_add_u32 s10, s20, s10
	s_mov_b32 s3, s9
	s_addc_u32 s11, s21, s11
	s_lshl_b64 s[8:9], s[2:3], 2
	s_add_u32 s8, s20, s8
	s_addc_u32 s9, s21, s9
	s_load_dword s5, s[10:11], 0x0
	s_load_dword s12, s[8:9], 0x0
	s_waitcnt lgkmcnt(0)
	s_sub_i32 s5, s5, s12
	s_cmp_eq_u32 s5, 1
	s_cselect_b64 s[8:9], -1, 0
	s_andn2_b64 vcc, exec, s[6:7]
	s_cbranch_vccnz .LBB790_3
.LBB790_2:
	s_mov_b32 s3, 0
	s_mov_b64 s[8:9], -1
.LBB790_3:
	s_andn2_b64 vcc, exec, s[8:9]
	s_cbranch_vccnz .LBB790_23
; %bb.4:
	s_load_dword s5, s[0:1], 0x9c
	s_load_dwordx2 s[6:7], s[0:1], 0x28
	s_add_u32 s28, s0, 0x90
	s_addc_u32 s29, s1, 0
	s_lshl_b64 s[34:35], s[2:3], 2
	s_waitcnt lgkmcnt(0)
	s_and_b32 s5, s5, 0xffff
	s_add_u32 s6, s6, s34
	s_addc_u32 s7, s7, s35
	s_load_dword s3, s[6:7], 0x0
	s_mul_i32 s10, s24, s5
	s_waitcnt lgkmcnt(0)
	s_cmp_ge_i32 s10, s3
	s_cbranch_scc1 .LBB790_23
; %bb.5:
	v_and_b32_e32 v2, 0xc0, v0
	v_add_u32_e32 v4, s10, v2
	v_lshrrev_b32_e32 v1, 6, v0
	v_cmp_gt_i32_e64 s[6:7], s3, v4
	v_cmp_le_i32_e32 vcc, s3, v4
                                        ; implicit-def: $sgpr25
                                        ; implicit-def: $sgpr11
	s_and_saveexec_b64 s[8:9], vcc
	s_xor_b64 s[8:9], exec, s[8:9]
	s_cbranch_execz .LBB790_7
; %bb.6:
	v_mul_u32_u24_e32 v2, 20, v1
	v_or_b32_e32 v2, 0xa00, v2
	v_mov_b32_e32 v3, 0xa50
	v_mov_b32_e32 v4, 0xff7fffff
	v_mad_u32_u24 v3, v1, 20, v3
	ds_write2_b32 v2, v4, v4 offset1:1
	v_mov_b32_e32 v2, 0
	ds_write2_b32 v3, v2, v2 offset1:1
	v_mov_b32_e32 v3, 0xa08
	s_mov_b32 s11, 0xff7fffff
	s_mov_b32 s25, 0
	v_mad_u32_u24 v3, v1, 20, v3
	v_mov_b32_e32 v5, 0xa58
	v_mad_u32_u24 v5, v1, 20, v5
	ds_write2_b32 v3, v4, v4 offset1:1
	ds_write2_b32 v5, v2, v2 offset1:1
                                        ; implicit-def: $vgpr4
.LBB790_7:
	s_or_saveexec_b64 s[30:31], s[8:9]
	s_load_dwordx2 s[26:27], s[0:1], 0x68
	s_load_dwordx4 s[16:19], s[0:1], 0x58
	s_load_dword s5, s[28:29], 0x4
	s_load_dwordx4 s[12:15], s[0:1], 0x80
	v_and_b32_e32 v24, 63, v0
	v_and_b32_e32 v22, 3, v0
	v_mov_b32_e32 v21, s25
	v_mov_b32_e32 v25, s11
	;; [unrolled: 1-line block ×5, first 2 shown]
                                        ; implicit-def: $vgpr6_vgpr7
                                        ; implicit-def: $vgpr2_vgpr3
                                        ; implicit-def: $vgpr14_vgpr15
                                        ; implicit-def: $vgpr10_vgpr11
	s_xor_b64 exec, exec, s[30:31]
	s_cbranch_execz .LBB790_17
; %bb.8:
	s_load_dwordx2 s[8:9], s[0:1], 0x20
	s_load_dword s11, s[0:1], 0x38
	s_add_i32 s25, s3, 15
	s_ashr_i32 s33, s25, 31
	s_lshr_b32 s33, s33, 28
	v_add_u32_e32 v18, s10, v0
	s_add_i32 s25, s25, s33
	v_ashrrev_i32_e32 v2, 31, v18
	s_ashr_i32 s25, s25, 4
	v_lshrrev_b32_e32 v2, 28, v2
	s_add_i32 s25, s25, -1
	s_waitcnt lgkmcnt(0)
	s_mul_i32 s36, s2, s11
	s_mov_b32 s37, 0
	v_add_u32_e32 v2, v18, v2
	s_lshl_b64 s[36:37], s[36:37], 2
	v_ashrrev_i32_e32 v2, 4, v2
	v_mov_b32_e32 v3, s25
	v_cmp_gt_i32_e32 vcc, s3, v18
	s_add_u32 s8, s8, s36
	s_addc_u32 s9, s9, s37
	v_cndmask_b32_e32 v2, v3, v2, vcc
	v_ashrrev_i32_e32 v3, 31, v2
	v_lshl_add_u64 v[8:9], v[2:3], 2, s[8:9]
	v_ashrrev_i32_e32 v2, 31, v4
	v_lshrrev_b32_e32 v2, 28, v2
	v_add_u32_e32 v2, v4, v2
	v_ashrrev_i32_e32 v4, 4, v2
	v_min_i32_e32 v2, s25, v4
	v_ashrrev_i32_e32 v3, 31, v2
	v_lshl_add_u64 v[10:11], v[2:3], 2, s[8:9]
	v_add_u32_e32 v2, 1, v4
	v_min_i32_e32 v2, s25, v2
	v_ashrrev_i32_e32 v3, 31, v2
	v_lshl_add_u64 v[12:13], v[2:3], 2, s[8:9]
	v_add_u32_e32 v2, 2, v4
	;; [unrolled: 4-line block ×3, first 2 shown]
	v_min_i32_e32 v2, s25, v2
	v_ashrrev_i32_e32 v3, 31, v2
	v_lshl_add_u64 v[16:17], v[2:3], 2, s[8:9]
	global_load_dword v2, v[8:9], off
	global_load_dword v7, v[10:11], off
	;; [unrolled: 1-line block ×5, first 2 shown]
	s_load_dwordx4 s[8:11], s[0:1], 0x8
	s_andn2_b64 vcc, exec, s[22:23]
	s_cbranch_vccnz .LBB790_11
; %bb.9:
	s_add_u32 s20, s20, s34
	s_addc_u32 s21, s21, s35
	s_load_dword s25, s[20:21], 0x0
	s_branch .LBB790_12
.LBB790_10:
	s_mov_b64 s[8:9], 0
	s_branch .LBB790_2
.LBB790_11:
	s_mov_b32 s25, s2
.LBB790_12:
	s_load_dwordx4 s[20:23], s[0:1], 0x48
	v_cmp_ne_u32_e32 vcc, 3, v22
	s_mov_b32 s37, 0
	v_mov_b32_e32 v19, 1.0
	v_mov_b32_e32 v3, 0
	v_mov_b32_e32 v10, 0
	;; [unrolled: 1-line block ×5, first 2 shown]
	s_and_saveexec_b64 s[34:35], vcc
	s_cbranch_execz .LBB790_14
; %bb.13:
	s_load_dwordx2 s[38:39], s[0:1], 0x0
	s_waitcnt lgkmcnt(0)
	s_ashr_i32 s23, s20, 31
	s_mul_hi_u32 s33, s25, s20
	s_mul_i32 s23, s25, s23
	s_add_i32 s41, s33, s23
	s_mul_i32 s40, s25, s20
	s_lshl_b64 s[40:41], s[40:41], 1
	s_add_u32 s20, s38, s40
	s_mul_i32 s36, s4, 0xc0
	s_addc_u32 s23, s39, s41
	s_lshl_b64 s[36:37], s[36:37], 1
	s_add_u32 s36, s20, s36
	v_lshlrev_b32_e32 v8, 3, v22
	v_lshrrev_b32_e32 v9, 2, v24
	s_addc_u32 s37, s23, s37
	v_add_lshl_u32 v8, v8, v9, 4
	global_load_dwordx4 v[10:13], v8, s[36:37]
	v_mov_b32_e32 v19, 0
.LBB790_14:
	s_or_b64 exec, exec, s[34:35]
	s_waitcnt lgkmcnt(0)
	s_mul_i32 s20, s4, s22
	s_add_u32 s8, s20, s8
	s_addc_u32 s9, 0, s9
	v_mov_b64_e32 v[8:9], s[8:9]
	s_waitcnt vmcnt(4)
	v_mad_i64_i32 v[8:9], s[8:9], v2, s21, v[8:9]
	v_lshlrev_b32_e32 v2, 4, v0
	v_and_b32_e32 v2, 0xf0, v2
	v_lshl_add_u64 v[8:9], v[8:9], 0, v[2:3]
	global_load_dwordx4 v[26:29], v[8:9], off
	global_load_dwordx4 v[30:33], v[8:9], off offset:256
	global_load_dwordx4 v[34:37], v[8:9], off offset:512
	;; [unrolled: 1-line block ×3, first 2 shown]
	s_waitcnt vmcnt(7)
	v_mul_hi_i32 v2, v7, s21
	s_load_dword s8, s[0:1], 0x1c
	s_add_u32 s0, s10, s20
	s_waitcnt vmcnt(6)
	v_mul_hi_i32 v8, v6, s21
	s_waitcnt vmcnt(4)
	v_mul_hi_i32 v20, v4, s21
	v_ashrrev_i32_e32 v23, 31, v2
	s_addc_u32 s1, s11, 0
	v_lshlrev_b32_e32 v2, 4, v24
	v_mul_hi_i32 v9, v5, s21
	v_ashrrev_i32_e32 v25, 31, v8
	v_ashrrev_i32_e32 v40, 31, v20
	v_lshl_add_u64 v[20:21], s[0:1], 0, v[2:3]
	v_lshrrev_b32_e32 v2, 29, v23
	v_ashrrev_i32_e32 v38, 31, v9
	v_mad_i64_i32 v[8:9], s[0:1], v7, s21, v[2:3]
	v_lshrrev_b32_e32 v2, 29, v25
	v_and_b32_e32 v8, -8, v8
	v_mad_i64_i32 v[6:7], s[0:1], v6, s21, v[2:3]
	v_lshrrev_b32_e32 v2, 29, v38
	v_lshl_add_u64 v[38:39], v[20:21], 0, v[8:9]
	v_and_b32_e32 v6, -8, v6
	v_mad_i64_i32 v[8:9], s[0:1], v5, s21, v[2:3]
	v_lshrrev_b32_e32 v2, 29, v40
	v_lshl_add_u64 v[40:41], v[20:21], 0, v[6:7]
	v_and_b32_e32 v8, -8, v8
	v_mad_i64_i32 v[42:43], s[0:1], v4, s21, v[2:3]
	v_lshl_add_u64 v[44:45], v[20:21], 0, v[8:9]
	global_load_dwordx4 v[6:9], v[38:39], off
	global_load_dwordx4 v[2:5], v[40:41], off
	v_and_b32_e32 v42, -8, v42
	v_lshl_add_u64 v[20:21], v[20:21], 0, v[42:43]
	s_load_dword s0, s[12:13], 0x0
	v_cmp_eq_u32_e32 vcc, 0, v22
	v_mov_b32_e32 v25, 0xff7fffff
	s_waitcnt vmcnt(5)
	v_cvt_pk_f32_fp8_e32 v[38:39], v26
	v_cvt_pk_f32_fp8_sdwa v[40:41], v26 src0_sel:WORD_1
	v_cvt_pk_f32_fp8_e32 v[42:43], v27
	v_cvt_pk_f32_fp8_sdwa v[26:27], v27 src0_sel:WORD_1
	;; [unrolled: 2-line block ×3, first 2 shown]
	v_cvt_pkrtz_f16_f32 v38, v38, v39
	v_cvt_pkrtz_f16_f32 v39, v40, v41
	v_cvt_pk_f32_fp8_e32 v[50:51], v29
	v_cvt_pk_f32_fp8_sdwa v[28:29], v29 src0_sel:WORD_1
	v_mfma_f32_4x4x4_16b_f16 a[0:3], v[10:11], v[38:39], 0 cbsz:4
	v_cvt_pkrtz_f16_f32 v42, v42, v43
	v_cvt_pkrtz_f16_f32 v43, v26, v27
	s_waitcnt vmcnt(4)
	v_cvt_pk_f32_fp8_e32 v[52:53], v30
	v_cvt_pk_f32_fp8_sdwa v[54:55], v30 src0_sel:WORD_1
	v_mfma_f32_4x4x4_16b_f16 a[0:3], v[12:13], v[42:43], a[0:3] cbsz:4
	v_cvt_pkrtz_f16_f32 v46, v46, v47
	v_cvt_pkrtz_f16_f32 v47, v48, v49
	v_cvt_pk_f32_fp8_e32 v[56:57], v31
	v_cvt_pk_f32_fp8_sdwa v[30:31], v31 src0_sel:WORD_1
	v_mfma_f32_4x4x4_16b_f16 a[0:3], v[10:11], v[46:47], a[0:3] cbsz:4 abid:1
	v_cvt_pkrtz_f16_f32 v48, v50, v51
	v_cvt_pkrtz_f16_f32 v49, v28, v29
	v_cvt_pk_f32_fp8_e32 v[58:59], v32
	v_cvt_pk_f32_fp8_sdwa v[60:61], v32 src0_sel:WORD_1
	v_mfma_f32_4x4x4_16b_f16 a[0:3], v[12:13], v[48:49], a[0:3] cbsz:4 abid:1
	;; [unrolled: 5-line block ×3, first 2 shown]
	v_cvt_pkrtz_f16_f32 v50, v56, v57
	v_cvt_pkrtz_f16_f32 v51, v30, v31
	s_waitcnt vmcnt(3)
	v_cvt_pk_f32_fp8_e32 v[64:65], v34
	v_cvt_pk_f32_fp8_sdwa v[66:67], v34 src0_sel:WORD_1
	v_mfma_f32_4x4x4_16b_f16 a[0:3], v[12:13], v[50:51], a[0:3] cbsz:4 abid:2
	v_cvt_pkrtz_f16_f32 v30, v58, v59
	v_cvt_pkrtz_f16_f32 v31, v60, v61
	v_cvt_pk_f32_fp8_e32 v[68:69], v35
	v_cvt_pk_f32_fp8_sdwa v[34:35], v35 src0_sel:WORD_1
	v_mfma_f32_4x4x4_16b_f16 a[0:3], v[10:11], v[30:31], a[0:3] cbsz:4 abid:3
	v_cvt_pkrtz_f16_f32 v52, v62, v63
	v_cvt_pkrtz_f16_f32 v53, v32, v33
	;; [unrolled: 5-line block ×4, first 2 shown]
	s_waitcnt vmcnt(2)
	v_cvt_pk_f32_fp8_e32 v[76:77], v14
	v_cvt_pk_f32_fp8_sdwa v[40:41], v14 src0_sel:WORD_1
	v_mfma_f32_4x4x4_16b_f16 a[0:3], v[12:13], v[38:39], a[0:3] cbsz:4 abid:4
	v_cvt_pkrtz_f16_f32 v28, v70, v71
	v_cvt_pkrtz_f16_f32 v29, v72, v73
	v_cvt_pk_f32_fp8_e32 v[26:27], v15
	v_cvt_pk_f32_fp8_sdwa v[14:15], v15 src0_sel:WORD_1
	v_mfma_f32_4x4x4_16b_f16 a[0:3], v[10:11], v[28:29], a[0:3] cbsz:4 abid:5
	v_cvt_pkrtz_f16_f32 v30, v74, v75
	v_cvt_pkrtz_f16_f32 v31, v36, v37
	;; [unrolled: 1-line block ×4, first 2 shown]
	v_mfma_f32_4x4x4_16b_f16 a[0:3], v[12:13], v[30:31], a[0:3] cbsz:4 abid:5
	v_cvt_pkrtz_f16_f32 v26, v26, v27
	v_cvt_pkrtz_f16_f32 v27, v14, v15
	v_mfma_f32_4x4x4_16b_f16 a[0:3], v[10:11], v[32:33], a[0:3] cbsz:4 abid:6
	v_cvt_pk_f32_fp8_e32 v[14:15], v16
	v_cvt_pk_f32_fp8_e32 v[28:29], v17
	v_mfma_f32_4x4x4_16b_f16 a[0:3], v[12:13], v[26:27], a[0:3] cbsz:4 abid:6
	v_cvt_pk_f32_fp8_sdwa v[26:27], v16 src0_sel:WORD_1
	v_cvt_pk_f32_fp8_sdwa v[16:17], v17 src0_sel:WORD_1
	v_cvt_pkrtz_f16_f32 v14, v14, v15
	v_cvt_pkrtz_f16_f32 v15, v26, v27
	;; [unrolled: 1-line block ×3, first 2 shown]
	s_nop 0
	v_mfma_f32_4x4x4_16b_f16 a[0:3], v[10:11], v[14:15], a[0:3] cbsz:4 abid:7
	v_cvt_pkrtz_f16_f32 v27, v16, v17
	s_waitcnt lgkmcnt(0)
	v_mov_b32_e32 v10, s8
	v_mfma_f32_4x4x4_16b_f16 a[0:3], v[12:13], v[26:27], a[0:3] cbsz:4 abid:7
	v_mul_f32_e32 v12, s0, v10
	s_nop 3
	v_accvgpr_read_b32 v15, a1
	v_accvgpr_read_b32 v14, a0
	v_pk_mul_f32 v[14:15], v[14:15], v[12:13] op_sel_hi:[1,0]
	v_accvgpr_read_b32 v11, a3
	v_accvgpr_read_b32 v10, a2
	v_pk_mul_f32 v[26:27], v[10:11], v[12:13] op_sel_hi:[1,0]
	v_cndmask_b32_e64 v10, 0, 1.0, vcc
	v_cmp_eq_u32_e32 vcc, 1, v22
	s_nop 0
	v_mfma_f32_4x4x1_16b_f32 a[0:3], v14, v10, 0
	v_cndmask_b32_e64 v10, 0, 1.0, vcc
	v_cmp_eq_u32_e32 vcc, 2, v22
	s_nop 0
	v_mfma_f32_4x4x1_16b_f32 a[0:3], v15, v10, a[0:3]
	v_cndmask_b32_e64 v10, 0, 1.0, vcc
	s_nop 1
	v_mfma_f32_4x4x1_16b_f32 a[0:3], v26, v10, a[0:3]
	global_load_dwordx4 v[14:17], v[44:45], off
	global_load_dwordx4 v[10:13], v[20:21], off
	v_mfma_f32_4x4x1_16b_f32 a[0:3], v27, v19, a[0:3]
	v_and_b32_e32 v19, -4, v18
	v_cmp_gt_i32_e32 vcc, s3, v19
	v_or_b32_e32 v18, 3, v18
	v_cmp_gt_i32_e64 s[10:11], s3, v18
	v_accvgpr_read_b32 v21, a0
	v_max_f32_e32 v23, v21, v21
	v_max_f32_e32 v23, 0xff7fffff, v23
	v_accvgpr_read_b32 v26, a1
	v_cndmask_b32_e32 v23, v25, v23, vcc
	v_or_b32_e32 v25, 1, v19
	v_max_f32_e32 v27, v26, v26
	v_max_f32_e32 v27, v23, v27
	v_cmp_gt_i32_e64 s[0:1], s3, v25
	v_or_b32_e32 v19, 2, v19
	v_cmp_gt_i32_e64 s[8:9], s3, v19
	v_cndmask_b32_e64 v23, v23, v27, s[0:1]
	v_accvgpr_read_b32 v27, a2
	v_max_f32_e32 v25, v27, v27
	v_max_f32_e32 v25, v23, v25
	v_cndmask_b32_e64 v19, v23, v25, s[8:9]
	v_accvgpr_read_b32 v23, a3
	v_max_f32_e32 v25, v23, v23
	v_max_f32_e32 v25, v19, v25
	v_lshlrev_b32_e32 v20, 2, v0
	v_cndmask_b32_e64 v18, v19, v25, s[10:11]
	v_and_or_b32 v20, v20, 48, v22
	;;#ASMSTART
	v_nop
 v_nop
 v_max_f32_dpp v18, v18, v18 row_ror:4
	;;#ASMEND
	v_lshlrev_b32_e32 v28, 2, v20
	;;#ASMSTART
	v_nop
 v_nop
 v_max_f32_dpp v18, v18, v18 row_ror:8
	;;#ASMEND
	ds_bpermute_b32 v18, v28, v18
	s_waitcnt lgkmcnt(0)
	;;#ASMSTART
	v_nop
 v_nop
 v_max_f32_dpp v18, v18, v18 row_ror:4
	;;#ASMEND
	s_nop 0
	;;#ASMSTART
	v_nop
 v_nop
 v_max_f32_dpp v25, v18, v18 row_ror:8
	;;#ASMEND
	s_nop 0
	v_sub_f32_e32 v18, v21, v25
	v_mul_f32_e32 v18, 0x3fb8aa3b, v18
	v_sub_f32_e32 v19, v26, v25
	v_exp_f32_e32 v18, v18
	v_mul_f32_e32 v19, 0x3fb8aa3b, v19
	v_sub_f32_e32 v21, v27, v25
	v_exp_f32_e32 v19, v19
	;; [unrolled: 3-line block ×3, first 2 shown]
	v_mul_f32_e32 v23, 0x3fb8aa3b, v23
	v_exp_f32_e32 v23, v23
	v_cndmask_b32_e32 v18, 0, v18, vcc
	v_add_f32_e32 v20, 0, v18
	v_cndmask_b32_e64 v19, 0, v19, s[0:1]
	v_add_f32_e32 v26, v20, v19
	v_cndmask_b32_e64 v20, 0, v21, s[8:9]
	v_add_f32_e32 v26, v26, v20
	v_cndmask_b32_e64 v21, 0, v23, s[10:11]
	v_add_f32_e32 v23, v26, v21
	;;#ASMSTART
	v_nop
 v_nop
 v_add_f32_dpp v23, v23, v23 row_ror:4
	;;#ASMEND
	v_cmp_gt_u32_e32 vcc, 4, v24
	;;#ASMSTART
	v_nop
 v_nop
 v_add_f32_dpp v23, v23, v23 row_ror:8
	;;#ASMEND
	ds_bpermute_b32 v23, v28, v23
	s_waitcnt lgkmcnt(0)
	;;#ASMSTART
	v_nop
 v_nop
 v_add_f32_dpp v23, v23, v23 row_ror:4
	;;#ASMEND
	s_nop 0
	;;#ASMSTART
	v_nop
 v_nop
 v_add_f32_dpp v23, v23, v23 row_ror:8
	;;#ASMEND
	s_and_saveexec_b64 s[0:1], vcc
	s_cbranch_execz .LBB790_16
; %bb.15:
	v_mul_u32_u24_e32 v26, 20, v1
	v_lshl_add_u32 v26, v22, 2, v26
	v_add_u32_e32 v26, 0x800, v26
	ds_write2_b32 v26, v25, v23 offset0:128 offset1:148
.LBB790_16:
	s_or_b64 exec, exec, s[0:1]
.LBB790_17:
	s_or_b64 exec, exec, s[30:31]
	s_waitcnt lgkmcnt(0)
	s_barrier
	s_load_dword s0, s[28:29], 0x8
	v_lshlrev_b32_e32 v23, 2, v22
	v_add_u32_e32 v23, 0x800, v23
	ds_read2_b32 v[28:29], v23 offset0:128 offset1:133
	ds_read2_b32 v[30:31], v23 offset0:138 offset1:143
	s_mul_i32 s1, s2, s5
	s_waitcnt lgkmcnt(0)
	s_mul_i32 s0, s1, s0
	s_mov_b32 s1, 0xff7fffff
	v_max3_f32 v26, v28, s1, v29
	v_max3_f32 v26, v26, v30, v31
	v_sub_f32_e32 v27, v28, v26
	v_sub_f32_e32 v28, v29, v26
	ds_read2_b32 v[32:33], v23 offset0:148 offset1:153
	v_mul_f32_e32 v27, 0x3fb8aa3b, v27
	v_mul_f32_e32 v28, 0x3fb8aa3b, v28
	v_exp_f32_e32 v27, v27
	v_exp_f32_e32 v34, v28
	ds_read2_b32 v[28:29], v23 offset0:158 offset1:163
	v_sub_f32_e32 v23, v30, v26
	v_mul_f32_e32 v23, 0x3fb8aa3b, v23
	v_sub_f32_e32 v30, v31, v26
	v_exp_f32_e32 v23, v23
	v_mul_f32_e32 v30, 0x3fb8aa3b, v30
	v_exp_f32_e32 v30, v30
	s_waitcnt lgkmcnt(1)
	v_fma_f32 v27, v27, v32, 0
	v_fmac_f32_e32 v27, v34, v33
	s_waitcnt lgkmcnt(0)
	v_fmac_f32_e32 v27, v23, v28
	s_mul_i32 s4, s4, 3
	s_mul_i32 s0, s0, 3
	v_fmac_f32_e32 v27, v30, v29
	v_cmp_ne_u32_e32 vcc, 3, v22
	s_and_saveexec_b64 s[2:3], vcc
	s_cbranch_execz .LBB790_19
; %bb.18:
	s_mov_b32 s1, 0
	s_lshl_b64 s[8:9], s[0:1], 2
	s_add_u32 s12, s16, s8
	s_mov_b32 s25, s1
	s_addc_u32 s13, s17, s9
	s_lshl_b64 s[10:11], s[24:25], 2
	s_add_u32 s12, s12, s10
	s_addc_u32 s13, s13, s11
	s_add_u32 s1, s18, s8
	s_addc_u32 s9, s19, s9
	v_add_u32_e32 v22, s4, v22
	s_add_u32 s8, s1, s10
	v_mul_lo_u32 v22, s5, v22
	v_mov_b32_e32 v23, 0
	s_addc_u32 s9, s9, s11
	v_lshlrev_b64 v[22:23], 2, v[22:23]
	v_lshl_add_u64 v[28:29], s[12:13], 0, v[22:23]
	v_lshl_add_u64 v[22:23], s[8:9], 0, v[22:23]
	global_store_dword v[22:23], v26, off
	global_store_dword v[28:29], v27, off
.LBB790_19:
	s_or_b64 exec, exec, s[2:3]
	v_mov_b32_e32 v22, 0
	v_mov_b32_e32 v23, 0
	s_and_saveexec_b64 s[2:3], s[6:7]
	s_cbranch_execz .LBB790_21
; %bb.20:
	v_add_f32_e32 v22, 0x358637bd, v27
	v_div_scale_f32 v23, s[6:7], v22, v22, 1.0
	v_rcp_f32_e32 v27, v23
	v_div_scale_f32 v28, vcc, 1.0, v22, 1.0
	v_sub_f32_e32 v25, v25, v26
	v_fma_f32 v29, -v23, v27, 1.0
	v_fmac_f32_e32 v27, v29, v27
	v_mul_f32_e32 v29, v28, v27
	v_fma_f32 v30, -v23, v29, v28
	v_mul_f32_e32 v25, 0x3fb8aa3b, v25
	v_fmac_f32_e32 v29, v30, v27
	v_exp_f32_e32 v25, v25
	v_fma_f32 v23, -v23, v29, v28
	v_div_fmas_f32 v23, v23, v27, v29
	v_div_fixup_f32 v22, v23, v22, 1.0
	v_mul_f32_e32 v22, v25, v22
	v_pk_mul_f32 v[20:21], v[20:21], v[22:23] op_sel_hi:[1,0]
	v_pk_mul_f32 v[18:19], v[18:19], v[22:23] op_sel_hi:[1,0]
	v_cvt_f16_f32_e32 v22, v20
	v_cvt_f16_f32_e32 v18, v18
	;; [unrolled: 1-line block ×4, first 2 shown]
	s_waitcnt vmcnt(3)
	v_cvt_pk_f32_fp8_e32 v[20:21], v6
	v_cvt_pk_f32_fp8_e32 v[26:27], v7
	v_pack_b32_f16 v18, v18, v19
	v_pack_b32_f16 v19, v22, v23
	v_cvt_pk_f32_fp8_sdwa v[22:23], v6 src0_sel:WORD_1
	v_cvt_pkrtz_f16_f32 v6, v20, v21
	v_cvt_pk_f32_fp8_sdwa v[20:21], v7 src0_sel:WORD_1
	s_load_dword s6, s[14:15], 0x0
	v_cvt_pkrtz_f16_f32 v7, v22, v23
	v_cvt_pkrtz_f16_f32 v22, v26, v27
	;; [unrolled: 1-line block ×3, first 2 shown]
	v_mfma_f32_4x4x4_16b_f16 a[0:3], v[18:19], v[6:7], 0 cbsz:4
	v_cvt_pk_f32_fp8_e32 v[6:7], v8
	v_cvt_pk_f32_fp8_sdwa v[20:21], v8 src0_sel:WORD_1
	v_mfma_f32_4x4x4_16b_f16 a[0:3], v[18:19], v[22:23], a[0:3] cbsz:4 abid:1
	v_cvt_pk_f32_fp8_e32 v[22:23], v9
	v_cvt_pk_f32_fp8_sdwa v[8:9], v9 src0_sel:WORD_1
	v_cvt_pkrtz_f16_f32 v6, v6, v7
	v_cvt_pkrtz_f16_f32 v7, v20, v21
	;; [unrolled: 1-line block ×4, first 2 shown]
	v_mfma_f32_4x4x4_16b_f16 a[0:3], v[18:19], v[6:7], a[0:3] cbsz:4 abid:2
	s_waitcnt vmcnt(2)
	v_cvt_pk_f32_fp8_e32 v[6:7], v2
	v_cvt_pk_f32_fp8_sdwa v[8:9], v2 src0_sel:WORD_1
	v_mfma_f32_4x4x4_16b_f16 a[0:3], v[18:19], v[20:21], a[0:3] cbsz:4 abid:3
	v_cvt_pk_f32_fp8_e32 v[20:21], v3
	v_cvt_pkrtz_f16_f32 v2, v6, v7
	v_cvt_pk_f32_fp8_sdwa v[6:7], v3 src0_sel:WORD_1
	v_cvt_pkrtz_f16_f32 v3, v8, v9
	v_cvt_pkrtz_f16_f32 v8, v20, v21
	s_mov_b32 s1, 0x5040100
	v_mfma_f32_4x4x4_16b_f16 a[0:3], v[18:19], v[2:3], a[0:3] cbsz:4 abid:4
	v_cvt_pkrtz_f16_f32 v9, v6, v7
	v_cvt_pk_f32_fp8_e32 v[2:3], v4
	v_cvt_pk_f32_fp8_sdwa v[6:7], v4 src0_sel:WORD_1
	v_mfma_f32_4x4x4_16b_f16 a[0:3], v[18:19], v[8:9], a[0:3] cbsz:4 abid:5
	v_cvt_pk_f32_fp8_e32 v[8:9], v5
	v_cvt_pk_f32_fp8_sdwa v[4:5], v5 src0_sel:WORD_1
	v_cvt_pkrtz_f16_f32 v2, v2, v3
	v_cvt_pkrtz_f16_f32 v3, v6, v7
	;; [unrolled: 1-line block ×4, first 2 shown]
	v_mfma_f32_4x4x4_16b_f16 a[0:3], v[18:19], v[2:3], a[0:3] cbsz:4 abid:6
	s_waitcnt vmcnt(1)
	v_cvt_pk_f32_fp8_e32 v[2:3], v14
	v_cvt_pk_f32_fp8_sdwa v[4:5], v14 src0_sel:WORD_1
	v_mfma_f32_4x4x4_16b_f16 a[0:3], v[18:19], v[6:7], a[0:3] cbsz:4 abid:7
	v_cvt_pk_f32_fp8_e32 v[6:7], v15
	v_cvt_pk_f32_fp8_sdwa v[8:9], v15 src0_sel:WORD_1
	v_cvt_pkrtz_f16_f32 v2, v2, v3
	v_cvt_pkrtz_f16_f32 v3, v4, v5
	;; [unrolled: 1-line block ×4, first 2 shown]
	v_mfma_f32_4x4x4_16b_f16 a[0:3], v[18:19], v[2:3], a[0:3] cbsz:4 abid:8
	v_cvt_pk_f32_fp8_e32 v[2:3], v16
	v_cvt_pk_f32_fp8_e32 v[6:7], v17
	v_mfma_f32_4x4x4_16b_f16 a[0:3], v[18:19], v[4:5], a[0:3] cbsz:4 abid:9
	v_cvt_pk_f32_fp8_sdwa v[4:5], v16 src0_sel:WORD_1
	v_cvt_pk_f32_fp8_sdwa v[8:9], v17 src0_sel:WORD_1
	v_cvt_pkrtz_f16_f32 v2, v2, v3
	v_cvt_pkrtz_f16_f32 v3, v4, v5
	;; [unrolled: 1-line block ×3, first 2 shown]
	s_nop 0
	v_mfma_f32_4x4x4_16b_f16 a[0:3], v[18:19], v[2:3], a[0:3] cbsz:4 abid:10
	v_cvt_pkrtz_f16_f32 v5, v8, v9
	s_waitcnt vmcnt(0)
	v_cvt_pk_f32_fp8_e32 v[2:3], v10
	v_cvt_pk_f32_fp8_e32 v[6:7], v11
	v_mfma_f32_4x4x4_16b_f16 a[0:3], v[18:19], v[4:5], a[0:3] cbsz:4 abid:11
	v_cvt_pk_f32_fp8_sdwa v[4:5], v10 src0_sel:WORD_1
	v_cvt_pk_f32_fp8_sdwa v[8:9], v11 src0_sel:WORD_1
	v_cvt_pkrtz_f16_f32 v2, v2, v3
	v_cvt_pkrtz_f16_f32 v3, v4, v5
	;; [unrolled: 1-line block ×3, first 2 shown]
	s_nop 0
	v_mfma_f32_4x4x4_16b_f16 a[0:3], v[18:19], v[2:3], a[0:3] cbsz:4 abid:12
	v_cvt_pkrtz_f16_f32 v5, v8, v9
	v_cvt_pk_f32_fp8_e32 v[2:3], v12
	v_cvt_pk_f32_fp8_e32 v[6:7], v13
	v_mfma_f32_4x4x4_16b_f16 a[0:3], v[18:19], v[4:5], a[0:3] cbsz:4 abid:13
	v_cvt_pk_f32_fp8_sdwa v[4:5], v12 src0_sel:WORD_1
	v_cvt_pk_f32_fp8_sdwa v[8:9], v13 src0_sel:WORD_1
	v_cvt_pkrtz_f16_f32 v2, v2, v3
	v_cvt_pkrtz_f16_f32 v3, v4, v5
	;; [unrolled: 1-line block ×3, first 2 shown]
	s_nop 0
	v_mfma_f32_4x4x4_16b_f16 a[0:3], v[18:19], v[2:3], a[0:3] cbsz:4 abid:14
	v_cvt_pkrtz_f16_f32 v5, v8, v9
	s_nop 1
	v_mfma_f32_4x4x4_16b_f16 a[0:3], v[18:19], v[4:5], a[0:3] cbsz:4 abid:15
	s_nop 4
	v_accvgpr_read_b32 v5, a1
	v_accvgpr_read_b32 v3, a3
	;; [unrolled: 1-line block ×4, first 2 shown]
	s_waitcnt lgkmcnt(0)
	v_pk_mul_f32 v[2:3], v[2:3], s[6:7] op_sel_hi:[1,0]
	v_pk_mul_f32 v[4:5], v[4:5], s[6:7] op_sel_hi:[1,0]
	v_cvt_f16_f32_e32 v2, v2
	v_cvt_f16_f32_e32 v4, v4
	;; [unrolled: 1-line block ×4, first 2 shown]
	v_perm_b32 v22, v5, v4, s1
	v_perm_b32 v23, v3, v2, s1
.LBB790_21:
	s_or_b64 exec, exec, s[2:3]
	v_lshlrev_b32_e32 v1, 3, v1
	v_mad_u32_u24 v1, v24, 40, v1
	v_cmp_gt_u32_e32 vcc, 64, v0
	ds_write_b64 v1, v[22:23]
	s_waitcnt lgkmcnt(0)
	s_barrier
	s_and_saveexec_b64 s[2:3], vcc
	s_cbranch_execz .LBB790_23
; %bb.22:
	v_mul_u32_u24_e32 v1, 40, v24
	s_waitcnt vmcnt(2)
	ds_read2_b64 v[2:5], v1 offset1:1
	ds_read2_b64 v[6:9], v1 offset0:2 offset1:3
	s_mov_b32 s1, 0
	s_lshl_b32 s0, s0, 6
	s_lshl_b64 s[2:3], s[0:1], 1
	s_add_u32 s2, s26, s2
	s_addc_u32 s3, s27, s3
	s_lshl_b32 s0, s24, 6
	s_lshl_b64 s[0:1], s[0:1], 1
	s_waitcnt lgkmcnt(1)
	v_pk_add_f16 v1, v2, 0
	v_pk_add_f16 v2, v3, 0
	s_add_u32 s0, s2, s0
	v_pk_add_f16 v2, v2, v5
	s_addc_u32 s1, s3, s1
	s_lshl_b32 s2, s5, 6
	v_pk_add_f16 v1, v1, v4
	s_waitcnt lgkmcnt(0)
	v_pk_add_f16 v2, v2, v7
	s_mul_i32 s3, s2, s4
	v_pk_add_f16 v1, v1, v6
	v_pk_add_f16 v6, v2, v9
	v_or_b32_e32 v2, s3, v0
	v_mov_b32_e32 v3, 0
	s_add_i32 s3, s3, s2
	v_pk_add_f16 v1, v1, v8
	v_lshl_add_u64 v[4:5], v[2:3], 1, s[0:1]
	v_or_b32_e32 v2, s3, v0
	s_add_i32 s3, s3, s2
	global_store_short v[4:5], v1, off
	v_lshl_add_u64 v[4:5], v[2:3], 1, s[0:1]
	v_or_b32_e32 v2, s3, v0
	global_store_short_d16_hi v[4:5], v1, off
	v_lshl_add_u64 v[0:1], v[2:3], 1, s[0:1]
	global_store_short v[0:1], v6, off
.LBB790_23:
	s_endpgm
	.section	.rodata,"a",@progbits
	.p2align	6, 0x0
	.amdhsa_kernel _Z38paged_attention_ll4mi_QKV_mfma4_kernelIDF16_hLN4vllm18Fp8KVCacheDataTypeE1EhLi16ELi64ELi256ELb0ELi3EEvPKT_PKT0_S7_ifPKiS9_S9_iPKfiiiPfSC_PS2_PT2_iSB_SB_
		.amdhsa_group_segment_fixed_size 2720
		.amdhsa_private_segment_fixed_size 0
		.amdhsa_kernarg_size 400
		.amdhsa_user_sgpr_count 2
		.amdhsa_user_sgpr_dispatch_ptr 0
		.amdhsa_user_sgpr_queue_ptr 0
		.amdhsa_user_sgpr_kernarg_segment_ptr 1
		.amdhsa_user_sgpr_dispatch_id 0
		.amdhsa_user_sgpr_kernarg_preload_length 0
		.amdhsa_user_sgpr_kernarg_preload_offset 0
		.amdhsa_user_sgpr_private_segment_size 0
		.amdhsa_uses_dynamic_stack 0
		.amdhsa_enable_private_segment 0
		.amdhsa_system_sgpr_workgroup_id_x 1
		.amdhsa_system_sgpr_workgroup_id_y 1
		.amdhsa_system_sgpr_workgroup_id_z 1
		.amdhsa_system_sgpr_workgroup_info 0
		.amdhsa_system_vgpr_workitem_id 0
		.amdhsa_next_free_vgpr 84
		.amdhsa_next_free_sgpr 42
		.amdhsa_accum_offset 80
		.amdhsa_reserve_vcc 1
		.amdhsa_float_round_mode_32 0
		.amdhsa_float_round_mode_16_64 0
		.amdhsa_float_denorm_mode_32 3
		.amdhsa_float_denorm_mode_16_64 3
		.amdhsa_dx10_clamp 1
		.amdhsa_ieee_mode 1
		.amdhsa_fp16_overflow 0
		.amdhsa_tg_split 0
		.amdhsa_exception_fp_ieee_invalid_op 0
		.amdhsa_exception_fp_denorm_src 0
		.amdhsa_exception_fp_ieee_div_zero 0
		.amdhsa_exception_fp_ieee_overflow 0
		.amdhsa_exception_fp_ieee_underflow 0
		.amdhsa_exception_fp_ieee_inexact 0
		.amdhsa_exception_int_div_zero 0
	.end_amdhsa_kernel
	.section	.text._Z38paged_attention_ll4mi_QKV_mfma4_kernelIDF16_hLN4vllm18Fp8KVCacheDataTypeE1EhLi16ELi64ELi256ELb0ELi3EEvPKT_PKT0_S7_ifPKiS9_S9_iPKfiiiPfSC_PS2_PT2_iSB_SB_,"axG",@progbits,_Z38paged_attention_ll4mi_QKV_mfma4_kernelIDF16_hLN4vllm18Fp8KVCacheDataTypeE1EhLi16ELi64ELi256ELb0ELi3EEvPKT_PKT0_S7_ifPKiS9_S9_iPKfiiiPfSC_PS2_PT2_iSB_SB_,comdat
.Lfunc_end790:
	.size	_Z38paged_attention_ll4mi_QKV_mfma4_kernelIDF16_hLN4vllm18Fp8KVCacheDataTypeE1EhLi16ELi64ELi256ELb0ELi3EEvPKT_PKT0_S7_ifPKiS9_S9_iPKfiiiPfSC_PS2_PT2_iSB_SB_, .Lfunc_end790-_Z38paged_attention_ll4mi_QKV_mfma4_kernelIDF16_hLN4vllm18Fp8KVCacheDataTypeE1EhLi16ELi64ELi256ELb0ELi3EEvPKT_PKT0_S7_ifPKiS9_S9_iPKfiiiPfSC_PS2_PT2_iSB_SB_
                                        ; -- End function
	.section	.AMDGPU.csdata,"",@progbits
; Kernel info:
; codeLenInByte = 3912
; NumSgprs: 48
; NumVgprs: 78
; NumAgprs: 4
; TotalNumVgprs: 84
; ScratchSize: 0
; MemoryBound: 0
; FloatMode: 240
; IeeeMode: 1
; LDSByteSize: 2720 bytes/workgroup (compile time only)
; SGPRBlocks: 5
; VGPRBlocks: 10
; NumSGPRsForWavesPerEU: 48
; NumVGPRsForWavesPerEU: 84
; AccumOffset: 80
; Occupancy: 5
; WaveLimiterHint : 1
; COMPUTE_PGM_RSRC2:SCRATCH_EN: 0
; COMPUTE_PGM_RSRC2:USER_SGPR: 2
; COMPUTE_PGM_RSRC2:TRAP_HANDLER: 0
; COMPUTE_PGM_RSRC2:TGID_X_EN: 1
; COMPUTE_PGM_RSRC2:TGID_Y_EN: 1
; COMPUTE_PGM_RSRC2:TGID_Z_EN: 1
; COMPUTE_PGM_RSRC2:TIDIG_COMP_CNT: 0
; COMPUTE_PGM_RSRC3_GFX90A:ACCUM_OFFSET: 19
; COMPUTE_PGM_RSRC3_GFX90A:TG_SPLIT: 0
	.section	.text._Z38paged_attention_ll4mi_QKV_mfma4_kernelIDF16_hLN4vllm18Fp8KVCacheDataTypeE1EhLi16ELi64ELi256ELb0ELi4EEvPKT_PKT0_S7_ifPKiS9_S9_iPKfiiiPfSC_PS2_PT2_iSB_SB_,"axG",@progbits,_Z38paged_attention_ll4mi_QKV_mfma4_kernelIDF16_hLN4vllm18Fp8KVCacheDataTypeE1EhLi16ELi64ELi256ELb0ELi4EEvPKT_PKT0_S7_ifPKiS9_S9_iPKfiiiPfSC_PS2_PT2_iSB_SB_,comdat
	.protected	_Z38paged_attention_ll4mi_QKV_mfma4_kernelIDF16_hLN4vllm18Fp8KVCacheDataTypeE1EhLi16ELi64ELi256ELb0ELi4EEvPKT_PKT0_S7_ifPKiS9_S9_iPKfiiiPfSC_PS2_PT2_iSB_SB_ ; -- Begin function _Z38paged_attention_ll4mi_QKV_mfma4_kernelIDF16_hLN4vllm18Fp8KVCacheDataTypeE1EhLi16ELi64ELi256ELb0ELi4EEvPKT_PKT0_S7_ifPKiS9_S9_iPKfiiiPfSC_PS2_PT2_iSB_SB_
	.globl	_Z38paged_attention_ll4mi_QKV_mfma4_kernelIDF16_hLN4vllm18Fp8KVCacheDataTypeE1EhLi16ELi64ELi256ELb0ELi4EEvPKT_PKT0_S7_ifPKiS9_S9_iPKfiiiPfSC_PS2_PT2_iSB_SB_
	.p2align	8
	.type	_Z38paged_attention_ll4mi_QKV_mfma4_kernelIDF16_hLN4vllm18Fp8KVCacheDataTypeE1EhLi16ELi64ELi256ELb0ELi4EEvPKT_PKT0_S7_ifPKiS9_S9_iPKfiiiPfSC_PS2_PT2_iSB_SB_,@function
_Z38paged_attention_ll4mi_QKV_mfma4_kernelIDF16_hLN4vllm18Fp8KVCacheDataTypeE1EhLi16ELi64ELi256ELb0ELi4EEvPKT_PKT0_S7_ifPKiS9_S9_iPKfiiiPfSC_PS2_PT2_iSB_SB_: ; @_Z38paged_attention_ll4mi_QKV_mfma4_kernelIDF16_hLN4vllm18Fp8KVCacheDataTypeE1EhLi16ELi64ELi256ELb0ELi4EEvPKT_PKT0_S7_ifPKiS9_S9_iPKfiiiPfSC_PS2_PT2_iSB_SB_
; %bb.0:
	s_load_dwordx2 s[8:9], s[0:1], 0x30
	s_mov_b32 s24, s3
	s_mov_b64 s[6:7], 0
	s_waitcnt lgkmcnt(0)
	s_cmp_lg_u64 s[8:9], 0
	s_cselect_b64 s[10:11], -1, 0
	s_and_b64 vcc, exec, s[10:11]
	s_cbranch_vccz .LBB791_18
; %bb.1:
	s_add_i32 s12, s2, 1
	s_mov_b32 s13, 0
	s_lshl_b64 s[14:15], s[12:13], 2
	s_add_u32 s14, s8, s14
	s_mov_b32 s3, s13
	s_addc_u32 s15, s9, s15
	s_lshl_b64 s[12:13], s[2:3], 2
	s_add_u32 s12, s8, s12
	s_addc_u32 s13, s9, s13
	s_load_dword s5, s[14:15], 0x0
	s_load_dword s16, s[12:13], 0x0
	s_mov_b64 s[34:35], s[2:3]
	s_waitcnt lgkmcnt(0)
	s_sub_i32 s5, s5, s16
	s_cmp_eq_u32 s5, 1
	s_cselect_b64 s[12:13], -1, 0
	s_andn2_b64 vcc, exec, s[6:7]
	s_cbranch_vccnz .LBB791_3
.LBB791_2:
	s_mov_b32 s3, 0
	s_mov_b64 s[12:13], -1
	s_mov_b64 s[34:35], s[2:3]
.LBB791_3:
	s_andn2_b64 vcc, exec, s[12:13]
	s_cbranch_vccnz .LBB791_17
; %bb.4:
	s_load_dword s3, s[0:1], 0x9c
	s_load_dwordx2 s[6:7], s[0:1], 0x28
	s_add_u32 s28, s0, 0x90
	s_addc_u32 s29, s1, 0
	s_lshl_b64 s[40:41], s[34:35], 2
	s_waitcnt lgkmcnt(0)
	s_and_b32 s5, s3, 0xffff
	s_add_u32 s6, s6, s40
	s_addc_u32 s7, s7, s41
	s_load_dword s3, s[6:7], 0x0
	s_mul_i32 s20, s24, s5
	s_waitcnt lgkmcnt(0)
	s_cmp_ge_i32 s20, s3
	s_cbranch_scc1 .LBB791_17
; %bb.5:
	v_and_b32_e32 v2, 0xc0, v0
	v_add_u32_e32 v4, s20, v2
	v_lshrrev_b32_e32 v1, 6, v0
	v_cmp_gt_i32_e64 s[6:7], s3, v4
	v_cmp_le_i32_e32 vcc, s3, v4
                                        ; implicit-def: $sgpr22
                                        ; implicit-def: $sgpr21
	s_and_saveexec_b64 s[12:13], vcc
	s_xor_b64 s[12:13], exec, s[12:13]
	s_cbranch_execz .LBB791_7
; %bb.6:
	v_mul_u32_u24_e32 v2, 20, v1
	v_or_b32_e32 v2, 0xa00, v2
	v_mov_b32_e32 v3, 0xa50
	v_mov_b32_e32 v4, 0xff7fffff
	v_mad_u32_u24 v3, v1, 20, v3
	ds_write2_b32 v2, v4, v4 offset1:1
	v_mov_b32_e32 v2, 0
	ds_write2_b32 v3, v2, v2 offset1:1
	v_mov_b32_e32 v3, 0xa08
	s_mov_b32 s21, 0xff7fffff
	s_mov_b32 s22, 0
	v_mad_u32_u24 v3, v1, 20, v3
	v_mov_b32_e32 v5, 0xa58
	v_mad_u32_u24 v5, v1, 20, v5
	ds_write2_b32 v3, v4, v4 offset1:1
	ds_write2_b32 v5, v2, v2 offset1:1
                                        ; implicit-def: $vgpr4
.LBB791_7:
	s_or_saveexec_b64 s[30:31], s[12:13]
	s_load_dwordx2 s[26:27], s[0:1], 0x68
	s_load_dwordx4 s[16:19], s[0:1], 0x58
	s_load_dword s5, s[28:29], 0x4
	s_load_dwordx4 s[12:15], s[0:1], 0x80
	v_and_b32_e32 v24, 63, v0
	v_and_b32_e32 v22, 3, v0
	v_mov_b32_e32 v21, s22
	v_mov_b32_e32 v25, s21
	;; [unrolled: 1-line block ×5, first 2 shown]
                                        ; implicit-def: $vgpr14_vgpr15
                                        ; implicit-def: $vgpr10_vgpr11
                                        ; implicit-def: $vgpr6_vgpr7
                                        ; implicit-def: $vgpr2_vgpr3
	s_xor_b64 exec, exec, s[30:31]
	s_cbranch_execz .LBB791_13
; %bb.8:
	s_load_dwordx2 s[22:23], s[0:1], 0x20
	s_load_dword s21, s[0:1], 0x38
	s_add_i32 s25, s3, 15
	s_ashr_i32 s33, s25, 31
	s_lshr_b32 s33, s33, 28
	v_add_u32_e32 v18, s20, v0
	s_add_i32 s25, s25, s33
	v_ashrrev_i32_e32 v2, 31, v18
	s_ashr_i32 s25, s25, 4
	v_lshrrev_b32_e32 v2, 28, v2
	s_add_i32 s25, s25, -1
	s_waitcnt lgkmcnt(0)
	s_mul_i32 s36, s2, s21
	s_mov_b32 s37, 0
	v_add_u32_e32 v2, v18, v2
	s_lshl_b64 s[38:39], s[36:37], 2
	v_ashrrev_i32_e32 v2, 4, v2
	v_mov_b32_e32 v3, s25
	v_cmp_gt_i32_e32 vcc, s3, v18
	s_add_u32 s22, s22, s38
	s_addc_u32 s23, s23, s39
	v_cndmask_b32_e32 v2, v3, v2, vcc
	v_ashrrev_i32_e32 v3, 31, v2
	v_lshl_add_u64 v[8:9], v[2:3], 2, s[22:23]
	v_ashrrev_i32_e32 v2, 31, v4
	v_lshrrev_b32_e32 v2, 28, v2
	v_add_u32_e32 v2, v4, v2
	v_ashrrev_i32_e32 v4, 4, v2
	v_min_i32_e32 v2, s25, v4
	v_ashrrev_i32_e32 v3, 31, v2
	v_lshl_add_u64 v[10:11], v[2:3], 2, s[22:23]
	v_add_u32_e32 v2, 1, v4
	v_min_i32_e32 v2, s25, v2
	v_ashrrev_i32_e32 v3, 31, v2
	v_lshl_add_u64 v[12:13], v[2:3], 2, s[22:23]
	v_add_u32_e32 v2, 2, v4
	;; [unrolled: 4-line block ×3, first 2 shown]
	v_min_i32_e32 v2, s25, v2
	v_ashrrev_i32_e32 v3, 31, v2
	v_lshl_add_u64 v[16:17], v[2:3], 2, s[22:23]
	global_load_dword v6, v[8:9], off
	global_load_dword v5, v[10:11], off
	;; [unrolled: 1-line block ×5, first 2 shown]
	s_load_dwordx4 s[20:23], s[0:1], 0x0
	s_load_dwordx2 s[38:39], s[0:1], 0x10
	s_andn2_b64 vcc, exec, s[10:11]
	s_cbranch_vccnz .LBB791_10
; %bb.9:
	s_add_u32 s8, s8, s40
	s_addc_u32 s9, s9, s41
	s_load_dword s36, s[8:9], 0x0
	s_waitcnt lgkmcnt(0)
	s_mov_b64 s[34:35], s[36:37]
.LBB791_10:
	s_load_dwordx4 s[8:11], s[0:1], 0x48
	s_load_dword s25, s[0:1], 0x1c
	v_lshlrev_b32_e32 v10, 3, v22
	v_cmp_eq_u32_e32 vcc, 0, v22
	v_mov_b32_e32 v25, 0xff7fffff
	s_waitcnt lgkmcnt(0)
	s_ashr_i32 s1, s8, 31
	s_mul_hi_u32 s11, s34, s8
	s_mul_i32 s1, s34, s1
	s_mul_i32 s33, s35, s8
	s_add_i32 s1, s11, s1
	s_mul_i32 s0, s34, s8
	s_add_i32 s1, s1, s33
	s_lshl_b64 s[0:1], s[0:1], 1
	s_add_u32 s8, s20, s0
	s_addc_u32 s11, s21, s1
	s_lshl_b32 s36, s4, 8
	s_lshl_b64 s[0:1], s[36:37], 1
	s_add_u32 s0, s8, s0
	s_addc_u32 s1, s11, s1
	s_mul_i32 s8, s4, s10
	s_add_u32 s10, s8, s22
	s_addc_u32 s11, 0, s23
	v_mov_b64_e32 v[8:9], s[10:11]
	s_waitcnt vmcnt(4)
	v_mad_i64_i32 v[6:7], s[10:11], v6, s9, v[8:9]
	v_lshlrev_b32_e32 v8, 4, v0
	v_and_b32_e32 v8, 0xf0, v8
	v_mov_b32_e32 v9, 0
	v_lshl_add_u64 v[6:7], v[6:7], 0, v[8:9]
	v_lshrrev_b32_e32 v8, 2, v24
	v_add_lshl_u32 v8, v10, v8, 4
	global_load_dwordx4 v[26:29], v[6:7], off
	global_load_dwordx4 v[30:33], v[6:7], off offset:256
	global_load_dwordx4 v[34:37], v[6:7], off offset:512
	global_load_dwordx4 v[38:41], v8, s[0:1]
	global_load_dwordx4 v[42:45], v[6:7], off offset:768
	s_waitcnt vmcnt(8)
	v_mul_hi_i32 v8, v5, s9
	s_add_u32 s0, s38, s8
	s_waitcnt vmcnt(7)
	v_mul_hi_i32 v10, v4, s9
	v_ashrrev_i32_e32 v13, 31, v8
	s_addc_u32 s1, s39, 0
	v_lshlrev_b32_e32 v8, 4, v24
	s_waitcnt vmcnt(6)
	v_mul_hi_i32 v11, v3, s9
	v_ashrrev_i32_e32 v10, 31, v10
	v_lshl_add_u64 v[20:21], s[0:1], 0, v[8:9]
	v_lshrrev_b32_e32 v8, 29, v13
	s_waitcnt vmcnt(5)
	v_mul_hi_i32 v12, v2, s9
	v_ashrrev_i32_e32 v11, 31, v11
	v_mad_i64_i32 v[6:7], s[0:1], v5, s9, v[8:9]
	v_lshrrev_b32_e32 v8, 29, v10
	v_ashrrev_i32_e32 v12, 31, v12
	v_mad_i64_i32 v[4:5], s[0:1], v4, s9, v[8:9]
	v_lshrrev_b32_e32 v8, 29, v11
	v_mad_i64_i32 v[10:11], s[0:1], v3, s9, v[8:9]
	v_lshrrev_b32_e32 v8, 29, v12
	v_mad_i64_i32 v[2:3], s[0:1], v2, s9, v[8:9]
	v_and_b32_e32 v6, -8, v6
	v_and_b32_e32 v4, -8, v4
	;; [unrolled: 1-line block ×4, first 2 shown]
	v_lshl_add_u64 v[6:7], v[20:21], 0, v[6:7]
	v_lshl_add_u64 v[4:5], v[20:21], 0, v[4:5]
	;; [unrolled: 1-line block ×4, first 2 shown]
	global_load_dwordx4 v[14:17], v[6:7], off
	global_load_dwordx4 v[10:13], v[4:5], off
	s_nop 0
	global_load_dwordx4 v[6:9], v[46:47], off
	global_load_dwordx4 v[2:5], v[20:21], off
	s_load_dword s0, s[12:13], 0x0
	v_mov_b32_e32 v19, s25
	s_waitcnt vmcnt(8)
	v_cvt_pk_f32_fp8_e32 v[20:21], v26
	v_cvt_pk_f32_fp8_sdwa v[46:47], v26 src0_sel:WORD_1
	v_cvt_pk_f32_fp8_e32 v[48:49], v27
	v_cvt_pk_f32_fp8_sdwa v[26:27], v27 src0_sel:WORD_1
	;; [unrolled: 2-line block ×3, first 2 shown]
	v_cvt_pkrtz_f16_f32 v20, v20, v21
	v_cvt_pkrtz_f16_f32 v21, v46, v47
	v_cvt_pk_f32_fp8_e32 v[54:55], v29
	v_cvt_pk_f32_fp8_sdwa v[28:29], v29 src0_sel:WORD_1
	s_waitcnt vmcnt(5)
	v_mfma_f32_4x4x4_16b_f16 a[0:3], v[38:39], v[20:21], 0 cbsz:4
	v_cvt_pkrtz_f16_f32 v46, v48, v49
	v_cvt_pkrtz_f16_f32 v47, v26, v27
	v_cvt_pk_f32_fp8_e32 v[56:57], v30
	v_cvt_pk_f32_fp8_sdwa v[58:59], v30 src0_sel:WORD_1
	v_mfma_f32_4x4x4_16b_f16 a[0:3], v[40:41], v[46:47], a[0:3] cbsz:4
	v_cvt_pkrtz_f16_f32 v26, v50, v51
	v_cvt_pkrtz_f16_f32 v27, v52, v53
	v_cvt_pk_f32_fp8_e32 v[60:61], v31
	v_cvt_pk_f32_fp8_sdwa v[30:31], v31 src0_sel:WORD_1
	v_mfma_f32_4x4x4_16b_f16 a[0:3], v[38:39], v[26:27], a[0:3] cbsz:4 abid:1
	v_cvt_pkrtz_f16_f32 v48, v54, v55
	v_cvt_pkrtz_f16_f32 v49, v28, v29
	v_cvt_pk_f32_fp8_e32 v[62:63], v32
	v_cvt_pk_f32_fp8_sdwa v[64:65], v32 src0_sel:WORD_1
	v_mfma_f32_4x4x4_16b_f16 a[0:3], v[40:41], v[48:49], a[0:3] cbsz:4 abid:1
	;; [unrolled: 5-line block ×7, first 2 shown]
	v_cvt_pkrtz_f16_f32 v20, v72, v73
	v_cvt_pkrtz_f16_f32 v21, v34, v35
	;; [unrolled: 1-line block ×4, first 2 shown]
	v_mfma_f32_4x4x4_16b_f16 a[0:3], v[40:41], v[20:21], a[0:3] cbsz:4 abid:4
	v_cvt_pkrtz_f16_f32 v20, v74, v75
	v_cvt_pkrtz_f16_f32 v21, v76, v77
	s_waitcnt vmcnt(4)
	v_cvt_pk_f32_fp8_e32 v[28:29], v43
	v_cvt_pk_f32_fp8_sdwa v[30:31], v43 src0_sel:WORD_1
	v_mfma_f32_4x4x4_16b_f16 a[0:3], v[38:39], v[20:21], a[0:3] cbsz:4 abid:5
	v_cvt_pk_f32_fp8_e32 v[20:21], v42
	v_cvt_pkrtz_f16_f32 v20, v20, v21
	v_mfma_f32_4x4x4_16b_f16 a[0:3], v[40:41], v[26:27], a[0:3] cbsz:4 abid:5
	v_cvt_pk_f32_fp8_sdwa v[26:27], v42 src0_sel:WORD_1
	s_nop 0
	v_cvt_pkrtz_f16_f32 v21, v26, v27
	s_nop 1
	v_mfma_f32_4x4x4_16b_f16 a[0:3], v[38:39], v[20:21], a[0:3] cbsz:4 abid:6
	v_cvt_pkrtz_f16_f32 v26, v28, v29
	v_cvt_pkrtz_f16_f32 v27, v30, v31
	v_cvt_pk_f32_fp8_e32 v[20:21], v44
	v_cvt_pk_f32_fp8_e32 v[28:29], v45
	v_mfma_f32_4x4x4_16b_f16 a[0:3], v[40:41], v[26:27], a[0:3] cbsz:4 abid:6
	v_cvt_pk_f32_fp8_sdwa v[26:27], v44 src0_sel:WORD_1
	v_cvt_pk_f32_fp8_sdwa v[30:31], v45 src0_sel:WORD_1
	v_cvt_pkrtz_f16_f32 v20, v20, v21
	v_cvt_pkrtz_f16_f32 v21, v26, v27
	;; [unrolled: 1-line block ×3, first 2 shown]
	s_nop 0
	v_mfma_f32_4x4x4_16b_f16 a[0:3], v[38:39], v[20:21], a[0:3] cbsz:4 abid:7
	v_cvt_pkrtz_f16_f32 v27, v30, v31
	s_nop 1
	v_mfma_f32_4x4x4_16b_f16 a[0:3], v[40:41], v[26:27], a[0:3] cbsz:4 abid:7
	s_waitcnt lgkmcnt(0)
	v_mul_f32_e32 v26, s0, v19
	v_cndmask_b32_e64 v19, 0, 1.0, vcc
	v_cmp_eq_u32_e32 vcc, 1, v22
	s_nop 0
	v_accvgpr_read_b32 v29, a1
	v_accvgpr_read_b32 v28, a0
	v_pk_mul_f32 v[28:29], v[28:29], v[26:27] op_sel_hi:[1,0]
	v_accvgpr_read_b32 v21, a3
	v_accvgpr_read_b32 v20, a2
	v_pk_mul_f32 v[20:21], v[20:21], v[26:27] op_sel_hi:[1,0]
	v_mfma_f32_4x4x1_16b_f32 a[0:3], v28, v19, 0
	v_cndmask_b32_e64 v19, 0, 1.0, vcc
	v_cmp_eq_u32_e32 vcc, 2, v22
	s_nop 0
	v_mfma_f32_4x4x1_16b_f32 a[0:3], v29, v19, a[0:3]
	v_cndmask_b32_e64 v19, 0, 1.0, vcc
	v_cmp_eq_u32_e32 vcc, 3, v22
	s_nop 0
	v_mfma_f32_4x4x1_16b_f32 a[0:3], v20, v19, a[0:3]
	v_cndmask_b32_e64 v19, 0, 1.0, vcc
	v_lshlrev_b32_e32 v20, 2, v0
	v_and_or_b32 v20, v20, 48, v22
	v_mfma_f32_4x4x1_16b_f32 a[0:3], v21, v19, a[0:3]
	v_and_b32_e32 v19, -4, v18
	v_cmp_gt_i32_e32 vcc, s3, v19
	v_or_b32_e32 v18, 3, v18
	v_cmp_gt_i32_e64 s[10:11], s3, v18
	v_accvgpr_read_b32 v21, a0
	v_max_f32_e32 v23, v21, v21
	v_max_f32_e32 v23, 0xff7fffff, v23
	v_accvgpr_read_b32 v26, a1
	v_cndmask_b32_e32 v23, v25, v23, vcc
	v_or_b32_e32 v25, 1, v19
	v_max_f32_e32 v27, v26, v26
	v_max_f32_e32 v27, v23, v27
	v_cmp_gt_i32_e64 s[0:1], s3, v25
	v_or_b32_e32 v19, 2, v19
	v_cmp_gt_i32_e64 s[8:9], s3, v19
	v_cndmask_b32_e64 v23, v23, v27, s[0:1]
	v_accvgpr_read_b32 v27, a2
	v_max_f32_e32 v25, v27, v27
	v_max_f32_e32 v25, v23, v25
	v_cndmask_b32_e64 v19, v23, v25, s[8:9]
	v_accvgpr_read_b32 v23, a3
	v_max_f32_e32 v25, v23, v23
	v_max_f32_e32 v25, v19, v25
	v_cndmask_b32_e64 v18, v19, v25, s[10:11]
	;;#ASMSTART
	v_nop
 v_nop
 v_max_f32_dpp v18, v18, v18 row_ror:4
	;;#ASMEND
	v_lshlrev_b32_e32 v28, 2, v20
	;;#ASMSTART
	v_nop
 v_nop
 v_max_f32_dpp v18, v18, v18 row_ror:8
	;;#ASMEND
	ds_bpermute_b32 v18, v28, v18
	s_waitcnt lgkmcnt(0)
	;;#ASMSTART
	v_nop
 v_nop
 v_max_f32_dpp v18, v18, v18 row_ror:4
	;;#ASMEND
	s_nop 0
	;;#ASMSTART
	v_nop
 v_nop
 v_max_f32_dpp v25, v18, v18 row_ror:8
	;;#ASMEND
	s_nop 0
	v_sub_f32_e32 v18, v21, v25
	v_mul_f32_e32 v18, 0x3fb8aa3b, v18
	v_sub_f32_e32 v19, v26, v25
	v_exp_f32_e32 v18, v18
	v_mul_f32_e32 v19, 0x3fb8aa3b, v19
	v_sub_f32_e32 v21, v27, v25
	v_exp_f32_e32 v19, v19
	;; [unrolled: 3-line block ×3, first 2 shown]
	v_mul_f32_e32 v23, 0x3fb8aa3b, v23
	v_exp_f32_e32 v23, v23
	v_cndmask_b32_e32 v18, 0, v18, vcc
	v_add_f32_e32 v20, 0, v18
	v_cndmask_b32_e64 v19, 0, v19, s[0:1]
	v_add_f32_e32 v26, v20, v19
	v_cndmask_b32_e64 v20, 0, v21, s[8:9]
	;; [unrolled: 2-line block ×3, first 2 shown]
	v_add_f32_e32 v23, v26, v21
	;;#ASMSTART
	v_nop
 v_nop
 v_add_f32_dpp v23, v23, v23 row_ror:4
	;;#ASMEND
	v_cmp_gt_u32_e32 vcc, 4, v24
	;;#ASMSTART
	v_nop
 v_nop
 v_add_f32_dpp v23, v23, v23 row_ror:8
	;;#ASMEND
	ds_bpermute_b32 v23, v28, v23
	s_waitcnt lgkmcnt(0)
	;;#ASMSTART
	v_nop
 v_nop
 v_add_f32_dpp v23, v23, v23 row_ror:4
	;;#ASMEND
	s_nop 0
	;;#ASMSTART
	v_nop
 v_nop
 v_add_f32_dpp v23, v23, v23 row_ror:8
	;;#ASMEND
	s_and_saveexec_b64 s[0:1], vcc
	s_cbranch_execz .LBB791_12
; %bb.11:
	v_mul_u32_u24_e32 v26, 20, v1
	v_lshl_add_u32 v26, v22, 2, v26
	v_add_u32_e32 v26, 0x800, v26
	ds_write2_b32 v26, v25, v23 offset0:128 offset1:148
.LBB791_12:
	s_or_b64 exec, exec, s[0:1]
.LBB791_13:
	s_or_b64 exec, exec, s[30:31]
	v_lshlrev_b32_e32 v23, 2, v22
	v_add_u32_e32 v23, 0x800, v23
	s_waitcnt lgkmcnt(0)
	s_barrier
	s_load_dword s0, s[28:29], 0x8
	ds_read2_b32 v[28:29], v23 offset0:128 offset1:133
	ds_read2_b32 v[30:31], v23 offset0:138 offset1:143
	s_mov_b32 s8, 0xff7fffff
	s_mul_i32 s1, s2, s5
	s_lshl_b32 s4, s4, 2
	s_waitcnt lgkmcnt(0)
	v_max3_f32 v26, v28, s8, v29
	s_mul_i32 s1, s1, s0
	v_max3_f32 v26, v26, v30, v31
	s_lshl_b32 s0, s1, 2
	s_mov_b32 s1, 0
	v_sub_f32_e32 v27, v28, v26
	v_sub_f32_e32 v28, v29, v26
	s_lshl_b64 s[2:3], s[0:1], 2
	ds_read2_b32 v[32:33], v23 offset0:148 offset1:153
	v_mul_f32_e32 v27, 0x3fb8aa3b, v27
	v_mul_f32_e32 v28, 0x3fb8aa3b, v28
	s_mov_b32 s25, s1
	s_add_u32 s1, s16, s2
	v_exp_f32_e32 v27, v27
	v_exp_f32_e32 v34, v28
	ds_read2_b32 v[28:29], v23 offset0:158 offset1:163
	v_sub_f32_e32 v23, v30, v26
	s_addc_u32 s10, s17, s3
	v_mul_f32_e32 v23, 0x3fb8aa3b, v23
	v_sub_f32_e32 v30, v31, v26
	s_add_u32 s8, s18, s2
	v_exp_f32_e32 v23, v23
	v_mul_f32_e32 v30, 0x3fb8aa3b, v30
	s_addc_u32 s9, s19, s3
	s_lshl_b64 s[2:3], s[24:25], 2
	v_exp_f32_e32 v30, v30
	s_add_u32 s8, s8, s2
	s_waitcnt lgkmcnt(1)
	v_fma_f32 v27, v27, v32, 0
	s_addc_u32 s9, s9, s3
	v_fmac_f32_e32 v27, v34, v33
	v_or_b32_e32 v22, s4, v22
	s_waitcnt lgkmcnt(0)
	v_fmac_f32_e32 v27, v23, v28
	s_add_u32 s2, s1, s2
	v_mul_lo_u32 v22, s5, v22
	v_mov_b32_e32 v23, 0
	v_fmac_f32_e32 v27, v30, v29
	s_addc_u32 s3, s10, s3
	v_lshlrev_b64 v[28:29], 2, v[22:23]
	v_lshl_add_u64 v[30:31], s[8:9], 0, v[28:29]
	v_lshl_add_u64 v[28:29], s[2:3], 0, v[28:29]
	v_mov_b32_e32 v22, v23
	global_store_dword v[30:31], v26, off
	global_store_dword v[28:29], v27, off
	s_and_saveexec_b64 s[2:3], s[6:7]
	s_cbranch_execz .LBB791_15
; %bb.14:
	v_add_f32_e32 v22, 0x358637bd, v27
	v_div_scale_f32 v23, s[6:7], v22, v22, 1.0
	v_rcp_f32_e32 v27, v23
	v_div_scale_f32 v28, vcc, 1.0, v22, 1.0
	v_sub_f32_e32 v25, v25, v26
	v_fma_f32 v29, -v23, v27, 1.0
	v_fmac_f32_e32 v27, v29, v27
	v_mul_f32_e32 v29, v28, v27
	v_fma_f32 v30, -v23, v29, v28
	v_mul_f32_e32 v25, 0x3fb8aa3b, v25
	v_fmac_f32_e32 v29, v30, v27
	v_exp_f32_e32 v25, v25
	v_fma_f32 v23, -v23, v29, v28
	v_div_fmas_f32 v23, v23, v27, v29
	v_div_fixup_f32 v22, v23, v22, 1.0
	v_mul_f32_e32 v22, v25, v22
	v_pk_mul_f32 v[20:21], v[20:21], v[22:23] op_sel_hi:[1,0]
	v_pk_mul_f32 v[18:19], v[18:19], v[22:23] op_sel_hi:[1,0]
	v_cvt_f16_f32_e32 v22, v20
	v_cvt_f16_f32_e32 v18, v18
	;; [unrolled: 1-line block ×4, first 2 shown]
	s_waitcnt vmcnt(5)
	v_cvt_pk_f32_fp8_e32 v[20:21], v14
	v_cvt_pk_f32_fp8_e32 v[26:27], v15
	v_pack_b32_f16 v18, v18, v19
	v_pack_b32_f16 v19, v22, v23
	v_cvt_pk_f32_fp8_sdwa v[22:23], v14 src0_sel:WORD_1
	v_cvt_pkrtz_f16_f32 v14, v20, v21
	v_cvt_pk_f32_fp8_sdwa v[20:21], v15 src0_sel:WORD_1
	s_load_dword s6, s[14:15], 0x0
	v_cvt_pkrtz_f16_f32 v15, v22, v23
	v_cvt_pkrtz_f16_f32 v22, v26, v27
	v_cvt_pkrtz_f16_f32 v23, v20, v21
	v_mfma_f32_4x4x4_16b_f16 a[0:3], v[18:19], v[14:15], 0 cbsz:4
	v_cvt_pk_f32_fp8_e32 v[14:15], v16
	v_cvt_pk_f32_fp8_sdwa v[20:21], v16 src0_sel:WORD_1
	v_mfma_f32_4x4x4_16b_f16 a[0:3], v[18:19], v[22:23], a[0:3] cbsz:4 abid:1
	v_cvt_pk_f32_fp8_e32 v[22:23], v17
	v_cvt_pk_f32_fp8_sdwa v[16:17], v17 src0_sel:WORD_1
	v_cvt_pkrtz_f16_f32 v14, v14, v15
	v_cvt_pkrtz_f16_f32 v15, v20, v21
	;; [unrolled: 1-line block ×4, first 2 shown]
	v_mfma_f32_4x4x4_16b_f16 a[0:3], v[18:19], v[14:15], a[0:3] cbsz:4 abid:2
	s_waitcnt vmcnt(4)
	v_cvt_pk_f32_fp8_e32 v[14:15], v10
	v_cvt_pk_f32_fp8_sdwa v[16:17], v10 src0_sel:WORD_1
	v_mfma_f32_4x4x4_16b_f16 a[0:3], v[18:19], v[20:21], a[0:3] cbsz:4 abid:3
	v_cvt_pk_f32_fp8_e32 v[20:21], v11
	v_cvt_pkrtz_f16_f32 v10, v14, v15
	v_cvt_pk_f32_fp8_sdwa v[14:15], v11 src0_sel:WORD_1
	v_cvt_pkrtz_f16_f32 v11, v16, v17
	v_cvt_pkrtz_f16_f32 v16, v20, v21
	s_mov_b32 s1, 0x5040100
	v_mfma_f32_4x4x4_16b_f16 a[0:3], v[18:19], v[10:11], a[0:3] cbsz:4 abid:4
	v_cvt_pkrtz_f16_f32 v17, v14, v15
	v_cvt_pk_f32_fp8_e32 v[10:11], v12
	v_cvt_pk_f32_fp8_sdwa v[14:15], v12 src0_sel:WORD_1
	v_mfma_f32_4x4x4_16b_f16 a[0:3], v[18:19], v[16:17], a[0:3] cbsz:4 abid:5
	v_cvt_pk_f32_fp8_e32 v[16:17], v13
	v_cvt_pk_f32_fp8_sdwa v[12:13], v13 src0_sel:WORD_1
	v_cvt_pkrtz_f16_f32 v10, v10, v11
	v_cvt_pkrtz_f16_f32 v11, v14, v15
	;; [unrolled: 1-line block ×4, first 2 shown]
	v_mfma_f32_4x4x4_16b_f16 a[0:3], v[18:19], v[10:11], a[0:3] cbsz:4 abid:6
	s_waitcnt vmcnt(3)
	v_cvt_pk_f32_fp8_e32 v[10:11], v6
	v_cvt_pk_f32_fp8_sdwa v[12:13], v6 src0_sel:WORD_1
	v_mfma_f32_4x4x4_16b_f16 a[0:3], v[18:19], v[14:15], a[0:3] cbsz:4 abid:7
	v_cvt_pk_f32_fp8_e32 v[14:15], v7
	v_cvt_pkrtz_f16_f32 v6, v10, v11
	v_cvt_pk_f32_fp8_sdwa v[10:11], v7 src0_sel:WORD_1
	v_cvt_pkrtz_f16_f32 v7, v12, v13
	v_cvt_pkrtz_f16_f32 v12, v14, v15
	v_cvt_pkrtz_f16_f32 v13, v10, v11
	v_mfma_f32_4x4x4_16b_f16 a[0:3], v[18:19], v[6:7], a[0:3] cbsz:4 abid:8
	v_cvt_pk_f32_fp8_e32 v[6:7], v8
	v_cvt_pk_f32_fp8_sdwa v[10:11], v8 src0_sel:WORD_1
	v_mfma_f32_4x4x4_16b_f16 a[0:3], v[18:19], v[12:13], a[0:3] cbsz:4 abid:9
	v_cvt_pk_f32_fp8_e32 v[12:13], v9
	v_cvt_pk_f32_fp8_sdwa v[8:9], v9 src0_sel:WORD_1
	v_cvt_pkrtz_f16_f32 v6, v6, v7
	v_cvt_pkrtz_f16_f32 v7, v10, v11
	;; [unrolled: 1-line block ×4, first 2 shown]
	v_mfma_f32_4x4x4_16b_f16 a[0:3], v[18:19], v[6:7], a[0:3] cbsz:4 abid:10
	s_waitcnt vmcnt(2)
	v_cvt_pk_f32_fp8_e32 v[6:7], v2
	v_cvt_pk_f32_fp8_sdwa v[8:9], v2 src0_sel:WORD_1
	v_mfma_f32_4x4x4_16b_f16 a[0:3], v[18:19], v[10:11], a[0:3] cbsz:4 abid:11
	v_cvt_pk_f32_fp8_e32 v[10:11], v3
	v_cvt_pkrtz_f16_f32 v2, v6, v7
	v_cvt_pk_f32_fp8_sdwa v[6:7], v3 src0_sel:WORD_1
	v_cvt_pkrtz_f16_f32 v3, v8, v9
	v_cvt_pkrtz_f16_f32 v8, v10, v11
	;; [unrolled: 1-line block ×3, first 2 shown]
	v_mfma_f32_4x4x4_16b_f16 a[0:3], v[18:19], v[2:3], a[0:3] cbsz:4 abid:12
	v_cvt_pk_f32_fp8_e32 v[2:3], v4
	v_cvt_pk_f32_fp8_sdwa v[6:7], v4 src0_sel:WORD_1
	v_mfma_f32_4x4x4_16b_f16 a[0:3], v[18:19], v[8:9], a[0:3] cbsz:4 abid:13
	v_cvt_pk_f32_fp8_e32 v[8:9], v5
	v_cvt_pk_f32_fp8_sdwa v[4:5], v5 src0_sel:WORD_1
	v_cvt_pkrtz_f16_f32 v2, v2, v3
	v_cvt_pkrtz_f16_f32 v3, v6, v7
	;; [unrolled: 1-line block ×4, first 2 shown]
	v_mfma_f32_4x4x4_16b_f16 a[0:3], v[18:19], v[2:3], a[0:3] cbsz:4 abid:14
	s_nop 1
	v_mfma_f32_4x4x4_16b_f16 a[0:3], v[18:19], v[6:7], a[0:3] cbsz:4 abid:15
	s_nop 4
	v_accvgpr_read_b32 v5, a1
	v_accvgpr_read_b32 v3, a3
	;; [unrolled: 1-line block ×4, first 2 shown]
	s_waitcnt lgkmcnt(0)
	v_pk_mul_f32 v[2:3], v[2:3], s[6:7] op_sel_hi:[1,0]
	v_pk_mul_f32 v[4:5], v[4:5], s[6:7] op_sel_hi:[1,0]
	v_cvt_f16_f32_e32 v2, v2
	v_cvt_f16_f32_e32 v4, v4
	;; [unrolled: 1-line block ×4, first 2 shown]
	v_perm_b32 v22, v5, v4, s1
	v_perm_b32 v23, v3, v2, s1
.LBB791_15:
	s_or_b64 exec, exec, s[2:3]
	v_lshlrev_b32_e32 v1, 3, v1
	v_mad_u32_u24 v1, v24, 40, v1
	v_cmp_gt_u32_e32 vcc, 64, v0
	ds_write_b64 v1, v[22:23]
	s_waitcnt lgkmcnt(0)
	s_barrier
	s_and_saveexec_b64 s[2:3], vcc
	s_cbranch_execz .LBB791_17
; %bb.16:
	v_mul_u32_u24_e32 v1, 40, v24
	s_waitcnt vmcnt(2)
	ds_read2_b64 v[2:5], v1 offset1:1
	ds_read2_b64 v[6:9], v1 offset0:2 offset1:3
	s_mov_b32 s1, 0
	s_lshl_b32 s0, s0, 6
	s_lshl_b64 s[2:3], s[0:1], 1
	s_add_u32 s2, s26, s2
	s_addc_u32 s3, s27, s3
	s_lshl_b32 s0, s24, 6
	s_lshl_b64 s[0:1], s[0:1], 1
	s_waitcnt lgkmcnt(1)
	v_pk_add_f16 v1, v2, 0
	v_pk_add_f16 v2, v3, 0
	s_add_u32 s0, s2, s0
	v_pk_add_f16 v2, v2, v5
	s_addc_u32 s1, s3, s1
	s_lshl_b32 s2, s5, 6
	v_pk_add_f16 v1, v1, v4
	s_waitcnt lgkmcnt(0)
	v_pk_add_f16 v2, v2, v7
	s_mul_i32 s3, s2, s4
	v_pk_add_f16 v1, v1, v6
	v_pk_add_f16 v6, v2, v9
	v_or_b32_e32 v2, s3, v0
	v_mov_b32_e32 v3, 0
	s_add_i32 s3, s3, s2
	v_pk_add_f16 v1, v1, v8
	v_lshl_add_u64 v[4:5], v[2:3], 1, s[0:1]
	v_or_b32_e32 v2, s3, v0
	s_add_i32 s3, s3, s2
	global_store_short v[4:5], v1, off
	v_lshl_add_u64 v[4:5], v[2:3], 1, s[0:1]
	v_or_b32_e32 v2, s3, v0
	s_add_i32 s3, s3, s2
	global_store_short_d16_hi v[4:5], v1, off
	v_lshl_add_u64 v[4:5], v[2:3], 1, s[0:1]
	v_or_b32_e32 v2, s3, v0
	v_lshl_add_u64 v[0:1], v[2:3], 1, s[0:1]
	global_store_short v[4:5], v6, off
	global_store_short_d16_hi v[0:1], v6, off
.LBB791_17:
	s_endpgm
.LBB791_18:
	s_mov_b64 s[12:13], 0
                                        ; implicit-def: $sgpr34_sgpr35
	s_branch .LBB791_2
	.section	.rodata,"a",@progbits
	.p2align	6, 0x0
	.amdhsa_kernel _Z38paged_attention_ll4mi_QKV_mfma4_kernelIDF16_hLN4vllm18Fp8KVCacheDataTypeE1EhLi16ELi64ELi256ELb0ELi4EEvPKT_PKT0_S7_ifPKiS9_S9_iPKfiiiPfSC_PS2_PT2_iSB_SB_
		.amdhsa_group_segment_fixed_size 2720
		.amdhsa_private_segment_fixed_size 0
		.amdhsa_kernarg_size 400
		.amdhsa_user_sgpr_count 2
		.amdhsa_user_sgpr_dispatch_ptr 0
		.amdhsa_user_sgpr_queue_ptr 0
		.amdhsa_user_sgpr_kernarg_segment_ptr 1
		.amdhsa_user_sgpr_dispatch_id 0
		.amdhsa_user_sgpr_kernarg_preload_length 0
		.amdhsa_user_sgpr_kernarg_preload_offset 0
		.amdhsa_user_sgpr_private_segment_size 0
		.amdhsa_uses_dynamic_stack 0
		.amdhsa_enable_private_segment 0
		.amdhsa_system_sgpr_workgroup_id_x 1
		.amdhsa_system_sgpr_workgroup_id_y 1
		.amdhsa_system_sgpr_workgroup_id_z 1
		.amdhsa_system_sgpr_workgroup_info 0
		.amdhsa_system_vgpr_workitem_id 0
		.amdhsa_next_free_vgpr 84
		.amdhsa_next_free_sgpr 42
		.amdhsa_accum_offset 80
		.amdhsa_reserve_vcc 1
		.amdhsa_float_round_mode_32 0
		.amdhsa_float_round_mode_16_64 0
		.amdhsa_float_denorm_mode_32 3
		.amdhsa_float_denorm_mode_16_64 3
		.amdhsa_dx10_clamp 1
		.amdhsa_ieee_mode 1
		.amdhsa_fp16_overflow 0
		.amdhsa_tg_split 0
		.amdhsa_exception_fp_ieee_invalid_op 0
		.amdhsa_exception_fp_denorm_src 0
		.amdhsa_exception_fp_ieee_div_zero 0
		.amdhsa_exception_fp_ieee_overflow 0
		.amdhsa_exception_fp_ieee_underflow 0
		.amdhsa_exception_fp_ieee_inexact 0
		.amdhsa_exception_int_div_zero 0
	.end_amdhsa_kernel
	.section	.text._Z38paged_attention_ll4mi_QKV_mfma4_kernelIDF16_hLN4vllm18Fp8KVCacheDataTypeE1EhLi16ELi64ELi256ELb0ELi4EEvPKT_PKT0_S7_ifPKiS9_S9_iPKfiiiPfSC_PS2_PT2_iSB_SB_,"axG",@progbits,_Z38paged_attention_ll4mi_QKV_mfma4_kernelIDF16_hLN4vllm18Fp8KVCacheDataTypeE1EhLi16ELi64ELi256ELb0ELi4EEvPKT_PKT0_S7_ifPKiS9_S9_iPKfiiiPfSC_PS2_PT2_iSB_SB_,comdat
.Lfunc_end791:
	.size	_Z38paged_attention_ll4mi_QKV_mfma4_kernelIDF16_hLN4vllm18Fp8KVCacheDataTypeE1EhLi16ELi64ELi256ELb0ELi4EEvPKT_PKT0_S7_ifPKiS9_S9_iPKfiiiPfSC_PS2_PT2_iSB_SB_, .Lfunc_end791-_Z38paged_attention_ll4mi_QKV_mfma4_kernelIDF16_hLN4vllm18Fp8KVCacheDataTypeE1EhLi16ELi64ELi256ELb0ELi4EEvPKT_PKT0_S7_ifPKiS9_S9_iPKfiiiPfSC_PS2_PT2_iSB_SB_
                                        ; -- End function
	.section	.AMDGPU.csdata,"",@progbits
; Kernel info:
; codeLenInByte = 3892
; NumSgprs: 48
; NumVgprs: 80
; NumAgprs: 4
; TotalNumVgprs: 84
; ScratchSize: 0
; MemoryBound: 0
; FloatMode: 240
; IeeeMode: 1
; LDSByteSize: 2720 bytes/workgroup (compile time only)
; SGPRBlocks: 5
; VGPRBlocks: 10
; NumSGPRsForWavesPerEU: 48
; NumVGPRsForWavesPerEU: 84
; AccumOffset: 80
; Occupancy: 5
; WaveLimiterHint : 1
; COMPUTE_PGM_RSRC2:SCRATCH_EN: 0
; COMPUTE_PGM_RSRC2:USER_SGPR: 2
; COMPUTE_PGM_RSRC2:TRAP_HANDLER: 0
; COMPUTE_PGM_RSRC2:TGID_X_EN: 1
; COMPUTE_PGM_RSRC2:TGID_Y_EN: 1
; COMPUTE_PGM_RSRC2:TGID_Z_EN: 1
; COMPUTE_PGM_RSRC2:TIDIG_COMP_CNT: 0
; COMPUTE_PGM_RSRC3_GFX90A:ACCUM_OFFSET: 19
; COMPUTE_PGM_RSRC3_GFX90A:TG_SPLIT: 0
	.section	.text._Z39paged_attention_ll4mi_QKV_mfma16_kernelIDF16_hLN4vllm18Fp8KVCacheDataTypeE1EhLi16ELi64ELi256ELb0ELi5EEvPKT_PKT0_S7_ifPKiS9_S9_iPKfiiiPfSC_PS2_PT2_iSB_SB_,"axG",@progbits,_Z39paged_attention_ll4mi_QKV_mfma16_kernelIDF16_hLN4vllm18Fp8KVCacheDataTypeE1EhLi16ELi64ELi256ELb0ELi5EEvPKT_PKT0_S7_ifPKiS9_S9_iPKfiiiPfSC_PS2_PT2_iSB_SB_,comdat
	.protected	_Z39paged_attention_ll4mi_QKV_mfma16_kernelIDF16_hLN4vllm18Fp8KVCacheDataTypeE1EhLi16ELi64ELi256ELb0ELi5EEvPKT_PKT0_S7_ifPKiS9_S9_iPKfiiiPfSC_PS2_PT2_iSB_SB_ ; -- Begin function _Z39paged_attention_ll4mi_QKV_mfma16_kernelIDF16_hLN4vllm18Fp8KVCacheDataTypeE1EhLi16ELi64ELi256ELb0ELi5EEvPKT_PKT0_S7_ifPKiS9_S9_iPKfiiiPfSC_PS2_PT2_iSB_SB_
	.globl	_Z39paged_attention_ll4mi_QKV_mfma16_kernelIDF16_hLN4vllm18Fp8KVCacheDataTypeE1EhLi16ELi64ELi256ELb0ELi5EEvPKT_PKT0_S7_ifPKiS9_S9_iPKfiiiPfSC_PS2_PT2_iSB_SB_
	.p2align	8
	.type	_Z39paged_attention_ll4mi_QKV_mfma16_kernelIDF16_hLN4vllm18Fp8KVCacheDataTypeE1EhLi16ELi64ELi256ELb0ELi5EEvPKT_PKT0_S7_ifPKiS9_S9_iPKfiiiPfSC_PS2_PT2_iSB_SB_,@function
_Z39paged_attention_ll4mi_QKV_mfma16_kernelIDF16_hLN4vllm18Fp8KVCacheDataTypeE1EhLi16ELi64ELi256ELb0ELi5EEvPKT_PKT0_S7_ifPKiS9_S9_iPKfiiiPfSC_PS2_PT2_iSB_SB_: ; @_Z39paged_attention_ll4mi_QKV_mfma16_kernelIDF16_hLN4vllm18Fp8KVCacheDataTypeE1EhLi16ELi64ELi256ELb0ELi5EEvPKT_PKT0_S7_ifPKiS9_S9_iPKfiiiPfSC_PS2_PT2_iSB_SB_
; %bb.0:
	s_load_dwordx2 s[12:13], s[0:1], 0x30
	s_mov_b32 s28, s3
	s_mov_b64 s[6:7], 0
	s_waitcnt lgkmcnt(0)
	s_cmp_lg_u64 s[12:13], 0
	s_cselect_b64 s[14:15], -1, 0
	s_and_b64 vcc, exec, s[14:15]
	s_cbranch_vccz .LBB792_7
; %bb.1:
	s_add_i32 s8, s2, 1
	s_mov_b32 s9, 0
	s_lshl_b64 s[10:11], s[8:9], 2
	s_add_u32 s10, s12, s10
	s_mov_b32 s3, s9
	s_addc_u32 s11, s13, s11
	s_lshl_b64 s[8:9], s[2:3], 2
	s_add_u32 s8, s12, s8
	s_addc_u32 s9, s13, s9
	s_load_dword s5, s[10:11], 0x0
	s_load_dword s16, s[8:9], 0x0
	s_waitcnt lgkmcnt(0)
	s_sub_i32 s5, s5, s16
	s_cmp_eq_u32 s5, 1
	s_cselect_b64 s[8:9], -1, 0
	s_andn2_b64 vcc, exec, s[6:7]
	s_cbranch_vccnz .LBB792_3
.LBB792_2:
	s_mov_b32 s3, 0
	s_mov_b64 s[8:9], -1
.LBB792_3:
	s_andn2_b64 vcc, exec, s[8:9]
	s_cbranch_vccnz .LBB792_18
; %bb.4:
	s_load_dwordx2 s[6:7], s[0:1], 0x28
	s_lshl_b64 s[16:17], s[2:3], 2
	s_waitcnt lgkmcnt(0)
	s_add_u32 s6, s6, s16
	s_addc_u32 s7, s7, s17
	s_load_dword s33, s[6:7], 0x0
	s_lshl_b32 s5, s28, 8
	s_waitcnt lgkmcnt(0)
	s_cmp_ge_i32 s5, s33
	s_cbranch_scc1 .LBB792_18
; %bb.5:
	s_load_dwordx2 s[6:7], s[0:1], 0x20
	s_load_dword s8, s[0:1], 0x38
	s_add_i32 s9, s33, 15
	s_ashr_i32 s10, s9, 31
	v_and_b32_e32 v1, 0xcf, v0
	s_lshr_b32 s10, s10, 28
	v_add_u32_e32 v1, s5, v1
	s_add_i32 s9, s9, s10
	v_ashrrev_i32_e32 v2, 31, v1
	s_ashr_i32 s18, s9, 4
	v_lshrrev_b32_e32 v4, 28, v2
	s_add_i32 s18, s18, -1
	s_waitcnt lgkmcnt(0)
	s_mul_i32 s8, s2, s8
	s_mov_b32 s9, 0
	v_add_u32_e32 v2, v1, v4
	s_lshl_b64 s[8:9], s[8:9], 2
	v_ashrrev_i32_e32 v2, 4, v2
	v_mov_b32_e32 v5, s18
	v_cmp_gt_i32_e32 vcc, s33, v1
	s_add_u32 s6, s6, s8
	s_addc_u32 s7, s7, s9
	v_cndmask_b32_e32 v2, v5, v2, vcc
	v_ashrrev_i32_e32 v3, 31, v2
	v_lshl_add_u64 v[8:9], v[2:3], 2, s[6:7]
	v_or_b32_e32 v2, 16, v1
	v_add_u32_e32 v3, v2, v4
	v_ashrrev_i32_e32 v3, 4, v3
	v_cmp_gt_i32_e32 vcc, s33, v2
	s_load_dwordx4 s[8:11], s[0:1], 0x8
	s_nop 0
	v_cndmask_b32_e32 v2, v5, v3, vcc
	v_ashrrev_i32_e32 v3, 31, v2
	v_lshl_add_u64 v[10:11], v[2:3], 2, s[6:7]
	v_or_b32_e32 v2, 32, v1
	v_add_u32_e32 v3, v2, v4
	v_ashrrev_i32_e32 v3, 4, v3
	v_cmp_gt_i32_e32 vcc, s33, v2
	v_or_b32_e32 v1, 48, v1
	s_nop 0
	v_cndmask_b32_e32 v2, v5, v3, vcc
	v_ashrrev_i32_e32 v3, 31, v2
	v_lshl_add_u64 v[12:13], v[2:3], 2, s[6:7]
	v_add_u32_e32 v2, v1, v4
	v_ashrrev_i32_e32 v2, 4, v2
	v_cmp_gt_i32_e32 vcc, s33, v1
	s_nop 1
	v_cndmask_b32_e32 v2, v5, v2, vcc
	v_ashrrev_i32_e32 v3, 31, v2
	v_lshl_add_u64 v[14:15], v[2:3], 2, s[6:7]
	global_load_dword v4, v[8:9], off
	global_load_dword v3, v[10:11], off
	;; [unrolled: 1-line block ×4, first 2 shown]
	s_andn2_b64 vcc, exec, s[14:15]
	s_cbranch_vccnz .LBB792_8
; %bb.6:
	s_add_u32 s12, s12, s16
	s_addc_u32 s13, s13, s17
	s_load_dword s14, s[12:13], 0x0
	s_branch .LBB792_9
.LBB792_7:
	s_mov_b64 s[8:9], 0
	s_branch .LBB792_2
.LBB792_8:
	s_mov_b32 s14, s2
.LBB792_9:
	s_load_dwordx4 s[44:47], s[0:1], 0x48
	v_lshrrev_b32_e32 v29, 6, v0
	v_bfe_u32 v42, v0, 4, 2
	v_lshl_or_b32 v5, v29, 2, v42
	v_and_b32_e32 v28, 15, v0
	v_lshlrev_b32_e32 v1, 3, v28
	v_cmp_gt_u32_e32 vcc, 5, v5
	v_cmp_gt_u32_e64 s[30:31], 8, v28
	v_and_b32_e32 v43, 63, v0
	s_mul_i32 s48, s4, 5
	s_and_b64 s[16:17], s[30:31], vcc
	v_lshlrev_b32_e32 v26, 1, v1
	v_lshlrev_b32_e32 v1, 4, v0
	s_and_saveexec_b64 s[12:13], s[16:17]
	s_cbranch_execz .LBB792_11
; %bb.10:
	s_load_dwordx2 s[16:17], s[0:1], 0x0
	s_waitcnt lgkmcnt(0)
	s_ashr_i32 s15, s44, 31
	s_mul_hi_u32 s19, s14, s44
	s_mul_i32 s15, s14, s15
	s_add_i32 s15, s19, s15
	s_mul_i32 s14, s14, s44
	s_lshl_b64 s[14:15], s[14:15], 1
	s_add_u32 s14, s16, s14
	v_add_lshl_u32 v8, v5, s48, 6
	s_addc_u32 s15, s17, s15
	v_ashrrev_i32_e32 v9, 31, v8
	v_lshl_add_u64 v[8:9], v[8:9], 1, s[14:15]
	v_mov_b32_e32 v27, 0
	v_lshl_add_u64 v[8:9], v[8:9], 0, v[26:27]
	global_load_dwordx4 v[8:11], v[8:9], off
	v_lshlrev_b32_e32 v12, 8, v28
	v_lshlrev_b32_e32 v5, 5, v5
	v_and_b32_e32 v7, 16, v1
	v_and_b32_e32 v12, 0xe00, v12
	v_or3_b32 v5, v12, v5, v7
	s_waitcnt vmcnt(0)
	ds_write_b128 v5, v[8:11]
.LBB792_11:
	s_or_b64 exec, exec, s[12:13]
	s_waitcnt lgkmcnt(0)
	s_mul_i32 s4, s4, s46
	s_add_u32 s8, s8, s4
	s_addc_u32 s9, s9, 0
	v_and_b32_e32 v7, 48, v0
	v_and_b32_e32 v30, 0xf0, v1
	v_mov_b32_e32 v31, 0
	v_lshl_add_u64 v[8:9], s[8:9], 0, v[30:31]
	v_lshlrev_b32_e32 v30, 4, v7
	v_or_b32_e32 v7, s5, v7
	v_ashrrev_i32_e32 v10, 4, v7
	v_mov_b32_e32 v12, s18
	v_cmp_gt_i32_e32 vcc, s33, v7
	v_lshl_add_u64 v[8:9], v[8:9], 0, v[30:31]
	s_load_dword s29, s[0:1], 0x98
	s_load_dwordx4 s[40:43], s[0:1], 0x80
	v_cndmask_b32_e32 v10, v12, v10, vcc
	v_ashrrev_i32_e32 v11, 31, v10
	v_lshl_add_u64 v[10:11], v[10:11], 2, s[6:7]
	s_waitcnt lgkmcnt(0)
	s_barrier
	s_waitcnt vmcnt(3)
	v_mad_i64_i32 v[4:5], s[8:9], v4, s45, v[8:9]
	global_load_dword v38, v[10:11], off
	global_load_dwordx4 v[22:25], v[4:5], off
	s_waitcnt vmcnt(4)
	v_mad_i64_i32 v[4:5], s[8:9], v3, s45, v[8:9]
	global_load_dwordx4 v[18:21], v[4:5], off
	s_waitcnt vmcnt(4)
	v_mad_i64_i32 v[2:3], s[8:9], v2, s45, v[8:9]
	global_load_dwordx4 v[2:5], v[2:3], off
	v_mul_lo_u16_e32 v10, 52, v28
	v_mov_b32_e32 v11, 5
	v_mul_lo_u16_sdwa v10, v10, v11 dst_sel:DWORD dst_unused:UNUSED_PAD src0_sel:BYTE_1 src1_sel:DWORD
	v_sub_u16_e32 v10, v28, v10
	v_or_b32_e32 v13, 64, v7
	v_or_b32_e32 v15, 0x80, v7
	v_lshlrev_b32_sdwa v10, v11, v10 dst_sel:DWORD dst_unused:UNUSED_PAD src0_sel:DWORD src1_sel:BYTE_0
	v_ashrrev_i32_e32 v11, 4, v13
	v_cmp_gt_i32_e32 vcc, s33, v13
	v_or_b32_e32 v7, 0xc0, v7
	v_ashrrev_i32_e32 v16, 4, v15
	s_add_u32 s8, s10, s4
	v_cndmask_b32_e32 v32, v12, v11, vcc
	v_cmp_gt_i32_e32 vcc, s33, v15
	v_ashrrev_i32_e32 v17, 4, v7
	s_addc_u32 s9, s11, 0
	v_cndmask_b32_e32 v34, v12, v16, vcc
	v_cmp_gt_i32_e32 vcc, s33, v7
	s_waitcnt vmcnt(4)
	v_mad_i64_i32 v[6:7], s[10:11], v6, s45, v[8:9]
	v_lshl_add_u32 v27, v42, 9, v10
	v_cndmask_b32_e32 v36, v12, v17, vcc
	global_load_dwordx4 v[10:13], v[6:7], off
	v_ashrrev_i32_e32 v33, 31, v32
	v_ashrrev_i32_e32 v35, 31, v34
	;; [unrolled: 1-line block ×3, first 2 shown]
	v_lshlrev_b32_e32 v14, 4, v28
	v_lshl_add_u64 v[32:33], v[32:33], 2, s[6:7]
	v_lshl_add_u64 v[34:35], v[34:35], 2, s[6:7]
	;; [unrolled: 1-line block ×3, first 2 shown]
	v_lshl_or_b32 v30, v29, 8, v14
	ds_read_b128 v[14:17], v27
	ds_read_b128 v[6:9], v27 offset:16
	s_load_dword s4, s[40:41], 0x0
	global_load_dword v45, v[32:33], off
	global_load_dword v27, v[34:35], off
	;; [unrolled: 1-line block ×3, first 2 shown]
	v_lshl_add_u64 v[30:31], s[8:9], 0, v[30:31]
	s_load_dword s12, s[0:1], 0x1c
	s_mov_b32 s44, 0xff7fffff
	s_waitcnt vmcnt(7)
	v_mad_i64_i32 v[32:33], s[6:7], v38, s45, v[30:31]
	s_waitcnt vmcnt(6)
	v_cvt_pk_f32_fp8_e32 v[34:35], v22
	v_cvt_pk_f32_fp8_sdwa v[36:37], v22 src0_sel:WORD_1
	v_cvt_pk_f32_fp8_e32 v[38:39], v23
	v_cvt_pk_f32_fp8_sdwa v[40:41], v23 src0_sel:WORD_1
	v_cvt_pkrtz_f16_f32 v34, v34, v35
	v_cvt_pkrtz_f16_f32 v35, v36, v37
	s_waitcnt vmcnt(5)
	v_cvt_pk_f32_fp8_e32 v[22:23], v18
	v_cvt_pk_f32_fp8_sdwa v[52:53], v18 src0_sel:WORD_1
	v_cvt_pkrtz_f16_f32 v38, v38, v39
	v_cvt_pkrtz_f16_f32 v39, v40, v41
	v_cvt_pk_f32_fp8_e32 v[46:47], v24
	v_cvt_pk_f32_fp8_sdwa v[48:49], v24 src0_sel:WORD_1
	v_cvt_pk_f32_fp8_e32 v[50:51], v25
	v_cvt_pk_f32_fp8_sdwa v[54:55], v25 src0_sel:WORD_1
	v_cvt_pkrtz_f16_f32 v36, v22, v23
	s_waitcnt lgkmcnt(0)
	v_mfma_f32_16x16x16_f16 v[22:25], v[34:35], v[14:15], 0
	v_cvt_pk_f32_fp8_e32 v[56:57], v19
	v_cvt_pkrtz_f16_f32 v37, v52, v53
	v_cvt_pk_f32_fp8_sdwa v[18:19], v19 src0_sel:WORD_1
	v_mfma_f32_16x16x16_f16 v[22:25], v[38:39], v[16:17], v[22:25]
	v_cvt_pkrtz_f16_f32 v38, v46, v47
	v_cvt_pkrtz_f16_f32 v39, v48, v49
	v_cvt_pk_f32_fp8_e32 v[40:41], v20
	v_cvt_pkrtz_f16_f32 v52, v56, v57
	v_cvt_pkrtz_f16_f32 v53, v18, v19
	v_cvt_pk_f32_fp8_sdwa v[18:19], v20 src0_sel:WORD_1
	v_mfma_f32_16x16x16_f16 v[34:37], v[36:37], v[14:15], 0
	v_cvt_pk_f32_fp8_e32 v[46:47], v21
	v_cvt_pkrtz_f16_f32 v48, v50, v51
	v_cvt_pkrtz_f16_f32 v49, v54, v55
	v_mfma_f32_16x16x16_f16 v[22:25], v[38:39], v[6:7], v[22:25]
	v_cvt_pk_f32_fp8_sdwa v[38:39], v21 src0_sel:WORD_1
	v_cvt_pkrtz_f16_f32 v40, v40, v41
	v_cvt_pkrtz_f16_f32 v41, v18, v19
	v_mfma_f32_16x16x16_f16 v[34:37], v[52:53], v[16:17], v[34:37]
	v_cvt_pkrtz_f16_f32 v46, v46, v47
	v_cvt_pkrtz_f16_f32 v47, v38, v39
	s_waitcnt vmcnt(4)
	v_cvt_pk_f32_fp8_e32 v[38:39], v2
	v_mfma_f32_16x16x16_f16 v[18:21], v[48:49], v[8:9], v[22:25]
	v_cvt_pk_f32_fp8_sdwa v[50:51], v5 src0_sel:WORD_1
	v_mov_b32_e32 v48, s12
	v_mul_f32_e32 v48, s4, v48
	v_mfma_f32_16x16x16_f16 v[22:25], v[40:41], v[6:7], v[34:37]
	v_cvt_pk_f32_fp8_sdwa v[40:41], v2 src0_sel:WORD_1
	v_mfma_f32_16x16x16_f16 v[34:37], v[46:47], v[8:9], v[22:25]
	v_cvt_pk_f32_fp8_sdwa v[46:47], v4 src0_sel:WORD_1
	s_nop 3
	v_cvt_pk_f32_fp8_e32 v[22:23], v3
	v_cvt_pkrtz_f16_f32 v24, v38, v39
	v_cvt_pkrtz_f16_f32 v25, v40, v41
	v_cvt_pk_f32_fp8_sdwa v[2:3], v3 src0_sel:WORD_1
	v_cvt_pkrtz_f16_f32 v38, v22, v23
	v_cvt_pk_f32_fp8_e32 v[40:41], v4
	v_mfma_f32_16x16x16_f16 v[22:25], v[24:25], v[14:15], 0
	v_cvt_pkrtz_f16_f32 v39, v2, v3
	v_cvt_pkrtz_f16_f32 v40, v40, v41
	v_cvt_pkrtz_f16_f32 v41, v46, v47
	v_cvt_pk_f32_fp8_e32 v[46:47], v5
	v_mfma_f32_16x16x16_f16 v[2:5], v[38:39], v[16:17], v[22:25]
	v_pk_mul_f32 v[36:37], v[48:49], v[36:37] op_sel_hi:[0,1]
	s_nop 1
	v_pk_mul_f32 v[22:23], v[48:49], v[20:21] op_sel_hi:[0,1]
	v_cvt_pkrtz_f16_f32 v20, v46, v47
	v_cvt_pkrtz_f16_f32 v21, v50, v51
	v_mfma_f32_16x16x16_f16 v[38:41], v[40:41], v[6:7], v[2:5]
	s_waitcnt vmcnt(3)
	v_cvt_pk_f32_fp8_sdwa v[24:25], v10 src0_sel:WORD_1
	v_cvt_pk_f32_fp8_e32 v[46:47], v12
	v_cvt_pk_f32_fp8_sdwa v[50:51], v12 src0_sel:WORD_1
	v_cvt_pk_f32_fp8_e32 v[4:5], v10
	v_pk_mul_f32 v[2:3], v[48:49], v[18:19] op_sel_hi:[0,1]
	v_mfma_f32_16x16x16_f16 v[18:21], v[20:21], v[8:9], v[38:41]
	v_cvt_pkrtz_f16_f32 v4, v4, v5
	v_cvt_pkrtz_f16_f32 v5, v24, v25
	s_nop 0
	v_cvt_pk_f32_fp8_e32 v[38:39], v11
	v_cvt_pk_f32_fp8_sdwa v[10:11], v11 src0_sel:WORD_1
	v_cvt_pkrtz_f16_f32 v24, v38, v39
	v_cvt_pkrtz_f16_f32 v25, v10, v11
	v_mfma_f32_16x16x16_f16 v[38:41], v[4:5], v[14:15], 0
	v_cvt_pkrtz_f16_f32 v4, v46, v47
	v_cvt_pkrtz_f16_f32 v5, v50, v51
	v_cvt_pk_f32_fp8_e32 v[14:15], v13
	v_cvt_pk_f32_fp8_sdwa v[46:47], v13 src0_sel:WORD_1
	v_mfma_f32_16x16x16_f16 v[10:13], v[24:25], v[16:17], v[38:41]
	v_cvt_pkrtz_f16_f32 v14, v14, v15
	v_cvt_pkrtz_f16_f32 v15, v46, v47
	v_mfma_f32_16x16x16_f16 v[4:7], v[4:5], v[6:7], v[10:13]
	v_pk_mul_f32 v[38:39], v[48:49], v[18:19] op_sel_hi:[0,1]
	v_pk_mul_f32 v[40:41], v[48:49], v[34:35] op_sel_hi:[0,1]
	;; [unrolled: 1-line block ×3, first 2 shown]
	v_mfma_f32_16x16x16_f16 v[4:7], v[14:15], v[8:9], v[4:7]
	s_nop 6
	v_pk_mul_f32 v[24:25], v[48:49], v[4:5] op_sel_hi:[0,1]
	v_and_b32_e32 v4, 0xc0, v0
	v_add_u32_e32 v4, s5, v4
	v_lshl_or_b32 v4, v42, 2, v4
	v_pk_mul_f32 v[18:19], v[48:49], v[6:7] op_sel_hi:[0,1]
	v_or_b32_e32 v7, 1, v4
	v_mov_b32_e32 v5, 0xff7fffff
	v_cmp_gt_i32_e64 s[4:5], s33, v4
	v_cmp_gt_i32_e64 s[34:35], s33, v7
	v_or_b32_e32 v8, 3, v4
	v_cndmask_b32_e64 v6, v5, v2, s[4:5]
	v_cndmask_b32_e64 v7, v5, v3, s[34:35]
	v_max3_f32 v6, v6, s44, v7
	v_or_b32_e32 v7, 2, v4
	v_cmp_gt_i32_e64 s[36:37], s33, v7
	v_cmp_gt_i32_e64 s[38:39], s33, v8
	s_nop 0
	v_cndmask_b32_e64 v7, v5, v22, s[36:37]
	v_cndmask_b32_e64 v8, v5, v23, s[38:39]
	v_max3_f32 v6, v6, v7, v8
	v_or_b32_e32 v7, 16, v4
	v_or_b32_e32 v8, 17, v4
	v_cmp_gt_i32_e64 s[24:25], s33, v7
	v_cmp_gt_i32_e64 s[26:27], s33, v8
	s_nop 0
	v_cndmask_b32_e64 v7, v5, v40, s[24:25]
	v_cndmask_b32_e64 v8, v5, v41, s[26:27]
	v_max3_f32 v6, v6, v7, v8
	v_or_b32_e32 v7, 18, v4
	;; [unrolled: 8-line block ×6, first 2 shown]
	v_or_b32_e32 v4, 51, v4
	v_cmp_gt_i32_e32 vcc, s33, v7
	v_cmp_gt_i32_e64 s[6:7], s33, v4
	s_nop 0
	v_cndmask_b32_e32 v7, v5, v18, vcc
	v_cndmask_b32_e64 v4, v5, v19, s[6:7]
	v_max3_f32 v6, v6, v7, v4
	v_mbcnt_lo_u32_b32 v4, -1, 0
	v_mbcnt_hi_u32_b32 v7, -1, v4
	v_and_b32_e32 v4, 64, v7
	v_add_u32_e32 v8, 64, v4
	v_xor_b32_e32 v4, 32, v7
	v_cmp_lt_i32_e64 s[40:41], v4, v8
	s_nop 1
	v_cndmask_b32_e64 v4, v7, v4, s[40:41]
	v_lshlrev_b32_e32 v46, 2, v4
	ds_bpermute_b32 v9, v46, v6
	s_waitcnt vmcnt(2)
	v_mad_i64_i32 v[4:5], s[40:41], v45, s45, v[30:31]
	global_load_dwordx4 v[14:17], v[32:33], off
	global_load_dwordx4 v[10:13], v[4:5], off
	v_xor_b32_e32 v5, 16, v7
	v_cmp_lt_i32_e64 s[40:41], v5, v8
	s_waitcnt lgkmcnt(0)
	v_max_f32_e32 v4, v9, v9
	v_max_f32_e32 v4, v6, v4
	v_cndmask_b32_e64 v5, v7, v5, s[40:41]
	v_lshlrev_b32_e32 v45, 2, v5
	ds_bpermute_b32 v5, v45, v4
	s_waitcnt vmcnt(3)
	v_mad_i64_i32 v[20:21], s[40:41], v27, s45, v[30:31]
	s_waitcnt vmcnt(2)
	v_mad_i64_i32 v[30:31], s[40:41], v44, s45, v[30:31]
	s_waitcnt lgkmcnt(0)
	v_max_f32_e32 v5, v5, v5
	v_max_f32_e32 v27, v4, v5
	v_sub_f32_e32 v2, v2, v27
	v_mul_f32_e32 v2, 0x3fb8aa3b, v2
	v_exp_f32_e32 v32, v2
	v_sub_f32_e32 v2, v3, v27
	v_mul_f32_e32 v2, 0x3fb8aa3b, v2
	v_exp_f32_e32 v33, v2
	global_load_dwordx4 v[6:9], v[20:21], off
	global_load_dwordx4 v[2:5], v[30:31], off
	v_sub_f32_e32 v22, v22, v27
	v_mul_f32_e32 v22, 0x3fb8aa3b, v22
	v_sub_f32_e32 v23, v23, v27
	v_exp_f32_e32 v22, v22
	v_mul_f32_e32 v23, 0x3fb8aa3b, v23
	v_exp_f32_e32 v23, v23
	v_cndmask_b32_e64 v20, 0, v32, s[4:5]
	v_add_f32_e32 v30, 0, v20
	v_cndmask_b32_e64 v21, 0, v33, s[34:35]
	v_add_f32_e32 v30, v30, v21
	;; [unrolled: 2-line block ×3, first 2 shown]
	v_cndmask_b32_e64 v33, 0, v23, s[38:39]
	v_sub_f32_e32 v23, v40, v27
	v_sub_f32_e32 v30, v41, v27
	v_mul_f32_e32 v23, 0x3fb8aa3b, v23
	v_mul_f32_e32 v30, 0x3fb8aa3b, v30
	v_exp_f32_e32 v23, v23
	v_exp_f32_e32 v30, v30
	v_add_f32_e32 v31, v22, v33
	v_sub_f32_e32 v34, v34, v27
	v_cndmask_b32_e64 v22, 0, v23, s[24:25]
	v_cndmask_b32_e64 v23, 0, v30, s[26:27]
	v_sub_f32_e32 v30, v36, v27
	v_mul_f32_e32 v30, 0x3fb8aa3b, v30
	v_exp_f32_e32 v30, v30
	v_sub_f32_e32 v36, v37, v27
	v_add_f32_e32 v31, v31, v22
	v_mul_f32_e32 v36, 0x3fb8aa3b, v36
	v_exp_f32_e32 v37, v36
	v_add_f32_e32 v31, v31, v23
	v_cndmask_b32_e64 v36, 0, v30, s[20:21]
	v_add_f32_e32 v30, v31, v36
	v_sub_f32_e32 v31, v38, v27
	v_mul_f32_e32 v31, 0x3fb8aa3b, v31
	v_sub_f32_e32 v38, v39, v27
	v_exp_f32_e32 v31, v31
	v_mul_f32_e32 v38, 0x3fb8aa3b, v38
	v_exp_f32_e32 v38, v38
	v_mul_f32_e32 v34, 0x3fb8aa3b, v34
	v_sub_f32_e32 v35, v35, v27
	v_exp_f32_e32 v34, v34
	v_mul_f32_e32 v35, 0x3fb8aa3b, v35
	v_sub_f32_e32 v24, v24, v27
	v_cndmask_b32_e64 v37, 0, v37, s[22:23]
	v_exp_f32_e32 v35, v35
	v_mul_f32_e32 v24, 0x3fb8aa3b, v24
	v_sub_f32_e32 v25, v25, v27
	v_add_f32_e32 v39, v30, v37
	v_cndmask_b32_e64 v30, 0, v31, s[16:17]
	v_exp_f32_e32 v24, v24
	v_mul_f32_e32 v25, 0x3fb8aa3b, v25
	v_sub_f32_e32 v18, v18, v27
	v_add_f32_e32 v39, v39, v30
	;; [unrolled: 5-line block ×3, first 2 shown]
	v_cndmask_b32_e64 v34, 0, v34, s[12:13]
	v_exp_f32_e32 v18, v18
	v_mul_f32_e32 v19, 0x3fb8aa3b, v19
	v_add_f32_e32 v38, v38, v34
	v_cndmask_b32_e64 v35, 0, v35, s[14:15]
	v_exp_f32_e32 v19, v19
	v_add_f32_e32 v38, v38, v35
	v_cndmask_b32_e64 v24, 0, v24, s[8:9]
	v_add_f32_e32 v38, v38, v24
	v_cndmask_b32_e64 v25, 0, v25, s[10:11]
	v_add_f32_e32 v38, v38, v25
	v_cndmask_b32_e32 v18, 0, v18, vcc
	v_add_f32_e32 v38, v38, v18
	v_cndmask_b32_e64 v19, 0, v19, s[6:7]
	v_add_f32_e32 v38, v38, v19
	ds_bpermute_b32 v39, v46, v38
	v_cmp_gt_u32_e64 s[6:7], 16, v43
	s_waitcnt lgkmcnt(0)
	s_barrier
	v_add_f32_e32 v39, v38, v39
	ds_bpermute_b32 v40, v45, v39
	v_lshlrev_b32_e32 v38, 2, v28
	s_and_saveexec_b64 s[4:5], s[6:7]
	s_cbranch_execz .LBB792_13
; %bb.12:
	s_waitcnt lgkmcnt(0)
	v_add_f32_e32 v39, v39, v40
	v_lshl_or_b32 v40, v29, 6, v38
	ds_write2st64_b32 v40, v27, v39 offset1:1
.LBB792_13:
	s_or_b64 exec, exec, s[4:5]
	s_load_dword s8, s[0:1], 0x94
	s_waitcnt lgkmcnt(0)
	s_barrier
	ds_read2_b32 v[40:41], v38 offset1:16
	ds_read2_b32 v[44:45], v38 offset0:32 offset1:48
	ds_read2_b32 v[46:47], v38 offset0:64 offset1:80
	s_mul_i32 s9, s29, 5
	s_waitcnt lgkmcnt(2)
	v_max3_f32 v27, v40, s44, v41
	s_waitcnt lgkmcnt(1)
	v_max3_f32 v27, v27, v44, v45
	v_sub_f32_e32 v39, v40, v27
	v_sub_f32_e32 v40, v41, v27
	v_mul_f32_e32 v40, 0x3fb8aa3b, v40
	v_mul_f32_e32 v39, 0x3fb8aa3b, v39
	v_exp_f32_e32 v43, v40
	v_sub_f32_e32 v40, v44, v27
	v_exp_f32_e32 v39, v39
	v_mul_f32_e32 v40, 0x3fb8aa3b, v40
	v_exp_f32_e32 v44, v40
	ds_read2_b32 v[40:41], v38 offset0:96 offset1:112
	v_sub_f32_e32 v38, v45, v27
	v_mul_f32_e32 v38, 0x3fb8aa3b, v38
	v_exp_f32_e32 v45, v38
	s_waitcnt lgkmcnt(1)
	v_fma_f32 v38, v39, v46, 0
	v_fmac_f32_e32 v38, v43, v47
	s_waitcnt lgkmcnt(0)
	v_fmac_f32_e32 v38, v44, v40
	v_fmac_f32_e32 v38, v45, v41
	v_add_f32_e32 v40, 0x358637bd, v38
	v_div_scale_f32 v41, s[4:5], v40, v40, 1.0
	v_rcp_f32_e32 v46, v41
	s_barrier
	v_fma_f32 v47, -v41, v46, 1.0
	v_fmac_f32_e32 v46, v47, v46
	v_div_scale_f32 v47, vcc, 1.0, v40, 1.0
	v_mul_f32_e32 v48, v47, v46
	v_fma_f32 v49, -v41, v48, v47
	v_fmac_f32_e32 v48, v49, v46
	v_fma_f32 v41, -v41, v48, v47
	v_div_fmas_f32 v41, v41, v46, v48
	v_cmp_eq_u32_e32 vcc, 1, v29
	v_div_fixup_f32 v40, v41, v40, 1.0
	s_nop 0
	v_cndmask_b32_e32 v39, v39, v43, vcc
	v_cmp_eq_u32_e32 vcc, 2, v29
	s_nop 1
	v_cndmask_b32_e32 v39, v39, v44, vcc
	v_cmp_eq_u32_e32 vcc, 3, v29
	v_lshlrev_b32_e32 v29, 11, v29
	s_nop 0
	v_cndmask_b32_e32 v39, v39, v45, vcc
	v_mul_f32_e32 v40, v39, v40
	v_pk_mul_f32 v[20:21], v[40:41], v[20:21] op_sel_hi:[0,1]
	v_pk_mul_f32 v[32:33], v[40:41], v[32:33] op_sel_hi:[0,1]
	v_cvt_f16_f32_e32 v20, v20
	v_cvt_f16_f32_e32 v21, v21
	v_pk_mul_f32 v[36:37], v[40:41], v[36:37] op_sel_hi:[0,1]
	v_pk_mul_f32 v[22:23], v[40:41], v[22:23] op_sel_hi:[0,1]
	v_cvt_f16_f32_e32 v39, v32
	v_cvt_f16_f32_e32 v33, v33
	;; [unrolled: 1-line block ×6, first 2 shown]
	v_pack_b32_f16 v32, v20, v21
	v_lshlrev_b32_e32 v20, 3, v42
	v_lshlrev_b32_e32 v21, 5, v28
	v_pack_b32_f16 v33, v39, v33
	v_or3_b32 v20, v29, v21, v20
	v_pack_b32_f16 v22, v22, v23
	v_pack_b32_f16 v23, v36, v37
	ds_write2st64_b64 v20, v[32:33], v[22:23] offset1:1
	v_pk_mul_f32 v[22:23], v[40:41], v[34:35] op_sel_hi:[0,1]
	v_pk_mul_f32 v[30:31], v[40:41], v[30:31] op_sel_hi:[0,1]
	v_cvt_f16_f32_e32 v29, v30
	v_cvt_f16_f32_e32 v30, v31
	;; [unrolled: 1-line block ×4, first 2 shown]
	v_pk_mul_f32 v[18:19], v[40:41], v[18:19] op_sel_hi:[0,1]
	v_pk_mul_f32 v[22:23], v[40:41], v[24:25] op_sel_hi:[0,1]
	v_cvt_f16_f32_e32 v22, v22
	v_cvt_f16_f32_e32 v23, v23
	;; [unrolled: 1-line block ×4, first 2 shown]
	v_pack_b32_f16 v18, v29, v30
	v_pack_b32_f16 v19, v31, v32
	;; [unrolled: 1-line block ×4, first 2 shown]
	v_cmp_gt_u32_e32 vcc, 5, v0
	ds_write2st64_b64 v20, v[18:19], v[22:23] offset0:2 offset1:3
	s_and_saveexec_b64 s[4:5], vcc
	s_cbranch_execz .LBB792_15
; %bb.14:
	s_mov_b32 s49, 0
	v_mov_b32_e32 v29, 0
	v_lshl_add_u64 v[18:19], s[48:49], 0, v[28:29]
	v_mov_b32_e32 v22, s9
	v_mad_u64_u32 v[18:19], s[10:11], s2, v22, v[18:19]
	s_mul_i32 s3, s3, s9
	v_mov_b32_e32 v28, s28
	s_load_dwordx4 s[12:15], s[0:1], 0x58
	v_add_u32_e32 v23, s3, v19
	v_mad_u64_u32 v[18:19], s[10:11], v18, s8, v[28:29]
	v_mov_b32_e32 v22, v19
	v_mad_u64_u32 v[22:23], s[10:11], v23, s8, v[22:23]
	v_mov_b32_e32 v19, v22
	v_lshlrev_b64 v[18:19], 2, v[18:19]
	s_waitcnt lgkmcnt(0)
	v_lshl_add_u64 v[22:23], s[14:15], 0, v[18:19]
	v_lshl_add_u64 v[18:19], s[12:13], 0, v[18:19]
	global_store_dword v[22:23], v27, off
	global_store_dword v[18:19], v38, off
.LBB792_15:
	s_or_b64 exec, exec, s[4:5]
	s_waitcnt vmcnt(3)
	v_cvt_pk_f32_fp8_e32 v[18:19], v14
	v_cvt_pk_f32_fp8_sdwa v[22:23], v14 src0_sel:WORD_1
	v_cvt_pk_f32_fp8_e32 v[24:25], v15
	v_lshl_or_b32 v14, v42, 9, v21
	s_waitcnt lgkmcnt(0)
	s_barrier
	v_cvt_pkrtz_f16_f32 v18, v18, v19
	v_cvt_pkrtz_f16_f32 v19, v22, v23
	v_cvt_pk_f32_fp8_sdwa v[28:29], v15 src0_sel:WORD_1
	v_cvt_pkrtz_f16_f32 v36, v24, v25
	ds_read_b128 v[22:25], v14
	v_cvt_pk_f32_fp8_e32 v[38:39], v16
	v_cvt_pkrtz_f16_f32 v37, v28, v29
	ds_read_b128 v[28:31], v14 offset:16
	v_cvt_pk_f32_fp8_sdwa v[40:41], v16 src0_sel:WORD_1
	s_waitcnt lgkmcnt(1)
	v_mfma_f32_16x16x16_f16 v[32:35], v[18:19], v[22:23], 0
	v_cvt_pkrtz_f16_f32 v18, v38, v39
	v_cvt_pk_f32_fp8_e32 v[38:39], v17
	v_cvt_pkrtz_f16_f32 v19, v40, v41
	v_mfma_f32_16x16x16_f16 v[22:25], v[36:37], v[24:25], v[32:35]
	s_waitcnt vmcnt(2)
	v_cvt_pk_f32_fp8_sdwa v[36:37], v12 src0_sel:WORD_1
	s_load_dword s4, s[42:43], 0x0
	v_cmp_gt_u32_e32 vcc, 64, v0
	v_cvt_pk_f32_fp8_sdwa v[32:33], v17 src0_sel:WORD_1
	v_cvt_pkrtz_f16_f32 v34, v38, v39
	s_waitcnt lgkmcnt(0)
	v_mfma_f32_16x16x16_f16 v[16:19], v[18:19], v[28:29], v[22:25]
	v_cvt_pk_f32_fp8_e32 v[28:29], v11
	v_cvt_pkrtz_f16_f32 v35, v32, v33
	s_mov_b32 s3, 0
	v_cvt_pk_f32_fp8_e32 v[22:23], v10
	v_cvt_pk_f32_fp8_sdwa v[24:25], v10 src0_sel:WORD_1
	v_mfma_f32_16x16x16_f16 v[16:19], v[34:35], v[30:31], v[16:19]
	v_cvt_pkrtz_f16_f32 v10, v22, v23
	v_cvt_pk_f32_fp8_sdwa v[30:31], v11 src0_sel:WORD_1
	v_cvt_pkrtz_f16_f32 v11, v24, v25
	ds_read_b128 v[22:25], v14 offset:2048
	v_cvt_pkrtz_f16_f32 v32, v28, v29
	v_cvt_pkrtz_f16_f32 v33, v30, v31
	ds_read_b128 v[28:31], v14 offset:2064
	v_cvt_pk_f32_fp8_e32 v[34:35], v12
	s_waitcnt lgkmcnt(1)
	v_mfma_f32_16x16x16_f16 v[16:19], v[10:11], v[22:23], v[16:19]
	v_cvt_pkrtz_f16_f32 v11, v36, v37
	v_cvt_pk_f32_fp8_e32 v[22:23], v13
	v_cvt_pkrtz_f16_f32 v10, v34, v35
	v_mfma_f32_16x16x16_f16 v[16:19], v[32:33], v[24:25], v[16:19]
	v_cvt_pk_f32_fp8_sdwa v[24:25], v13 src0_sel:WORD_1
	v_cvt_pkrtz_f16_f32 v22, v22, v23
	s_waitcnt vmcnt(1)
	v_cvt_pk_f32_fp8_sdwa v[32:33], v8 src0_sel:WORD_1
	s_waitcnt lgkmcnt(0)
	v_mfma_f32_16x16x16_f16 v[10:13], v[10:11], v[28:29], v[16:19]
	v_cvt_pkrtz_f16_f32 v23, v24, v25
	v_cvt_pk_f32_fp8_sdwa v[24:25], v7 src0_sel:WORD_1
	v_mov_b32_e32 v27, 0
	v_cvt_pk_f32_fp8_e32 v[16:17], v6
	v_cvt_pk_f32_fp8_sdwa v[18:19], v6 src0_sel:WORD_1
	v_mfma_f32_16x16x16_f16 v[10:13], v[22:23], v[30:31], v[10:13]
	v_cvt_pk_f32_fp8_e32 v[22:23], v7
	v_cvt_pkrtz_f16_f32 v6, v16, v17
	v_cvt_pkrtz_f16_f32 v7, v18, v19
	ds_read_b128 v[16:19], v14 offset:4096
	v_cvt_pkrtz_f16_f32 v28, v22, v23
	v_cvt_pkrtz_f16_f32 v29, v24, v25
	ds_read_b128 v[22:25], v14 offset:4112
	v_cvt_pk_f32_fp8_e32 v[30:31], v8
	s_waitcnt lgkmcnt(1)
	v_mfma_f32_16x16x16_f16 v[10:13], v[6:7], v[16:17], v[10:13]
	v_cvt_pkrtz_f16_f32 v7, v32, v33
	v_cvt_pk_f32_fp8_e32 v[16:17], v9
	v_cvt_pkrtz_f16_f32 v6, v30, v31
	v_mfma_f32_16x16x16_f16 v[10:13], v[28:29], v[18:19], v[10:13]
	v_cvt_pk_f32_fp8_sdwa v[18:19], v9 src0_sel:WORD_1
	v_cvt_pkrtz_f16_f32 v16, v16, v17
	v_cvt_pkrtz_f16_f32 v17, v18, v19
	s_waitcnt lgkmcnt(0)
	v_mfma_f32_16x16x16_f16 v[6:9], v[6:7], v[22:23], v[10:13]
	s_waitcnt vmcnt(0)
	v_cvt_pk_f32_fp8_sdwa v[18:19], v3 src0_sel:WORD_1
	s_nop 0
	v_cvt_pkrtz_f16_f32 v23, v18, v19
	v_cvt_pk_f32_fp8_e32 v[10:11], v2
	v_cvt_pk_f32_fp8_sdwa v[12:13], v2 src0_sel:WORD_1
	v_mfma_f32_16x16x16_f16 v[6:9], v[16:17], v[24:25], v[6:9]
	v_cvt_pk_f32_fp8_e32 v[16:17], v3
	v_cvt_pkrtz_f16_f32 v2, v10, v11
	v_cvt_pkrtz_f16_f32 v3, v12, v13
	ds_read_b128 v[10:13], v14 offset:6144
	v_cvt_pkrtz_f16_f32 v22, v16, v17
	v_cvt_pk_f32_fp8_e32 v[18:19], v4
	v_cvt_pk_f32_fp8_sdwa v[24:25], v4 src0_sel:WORD_1
	s_waitcnt lgkmcnt(0)
	v_mfma_f32_16x16x16_f16 v[6:9], v[2:3], v[10:11], v[6:9]
	ds_read_b128 v[14:17], v14 offset:6160
	v_cvt_pkrtz_f16_f32 v2, v18, v19
	v_cvt_pkrtz_f16_f32 v3, v24, v25
	v_cvt_pk_f32_fp8_e32 v[10:11], v5
	v_mfma_f32_16x16x16_f16 v[6:9], v[22:23], v[12:13], v[6:9]
	v_cvt_pk_f32_fp8_sdwa v[12:13], v5 src0_sel:WORD_1
	s_waitcnt lgkmcnt(0)
	v_cvt_pkrtz_f16_f32 v10, v10, v11
	v_mfma_f32_16x16x16_f16 v[2:5], v[2:3], v[14:15], v[6:9]
	v_cvt_pkrtz_f16_f32 v11, v12, v13
	s_barrier
	s_nop 0
	v_mfma_f32_16x16x16_f16 v[2:5], v[10:11], v[16:17], v[2:5]
	s_nop 6
	v_pk_mul_f32 v[4:5], v[4:5], s[4:5] op_sel_hi:[1,0]
	v_pk_mul_f32 v[2:3], v[2:3], s[4:5] op_sel_hi:[1,0]
	v_cvt_f16_f32_e32 v4, v4
	v_cvt_f16_f32_e32 v2, v2
	v_cvt_f16_f32_e32 v3, v3
	v_cvt_f16_f32_e32 v5, v5
	s_and_b64 s[4:5], vcc, s[30:31]
	v_pack_b32_f16 v2, v2, v3
	v_pack_b32_f16 v3, v4, v5
	ds_write_b64 v20, v[2:3]
	s_waitcnt lgkmcnt(0)
	s_barrier
	s_and_saveexec_b64 s[10:11], s[4:5]
	s_cbranch_execz .LBB792_18
; %bb.16:
	s_load_dwordx2 s[4:5], s[0:1], 0x68
	s_lshl_b32 s0, s8, 6
	s_mul_i32 s1, s9, s2
	s_mul_hi_u32 s9, s1, s0
	s_mul_i32 s8, s1, s0
	v_lshlrev_b32_e32 v0, 10, v0
	s_lshl_b64 s[8:9], s[8:9], 1
	v_and_b32_e32 v0, 0x1800, v0
	v_lshlrev_b32_e32 v2, 5, v42
	v_and_b32_e32 v1, 16, v1
	s_waitcnt lgkmcnt(0)
	s_add_u32 s1, s4, s8
	v_or3_b32 v2, v0, v2, v1
	s_addc_u32 s4, s5, s9
	s_lshl_b32 s2, s28, 6
	s_lshl_b64 s[2:3], s[2:3], 1
	ds_read_b128 v[4:7], v2
	s_add_u32 s2, s1, s2
	s_addc_u32 s3, s4, s3
	v_add_u32_e32 v3, s48, v42
	v_lshl_add_u64 v[0:1], s[2:3], 0, v[26:27]
	v_mad_u64_u32 v[8:9], s[2:3], v3, s0, 0
	v_lshl_add_u64 v[8:9], v[8:9], 1, v[0:1]
	s_waitcnt lgkmcnt(0)
	global_store_dwordx4 v[8:9], v[4:7], off
	s_and_b64 exec, exec, s[6:7]
	s_cbranch_execz .LBB792_18
; %bb.17:
	ds_read_b128 v[2:5], v2 offset:128
	v_add3_u32 v6, s48, v42, 4
	v_mad_u64_u32 v[6:7], s[0:1], v6, s0, 0
	v_lshl_add_u64 v[0:1], v[6:7], 1, v[0:1]
	s_waitcnt lgkmcnt(0)
	global_store_dwordx4 v[0:1], v[2:5], off
.LBB792_18:
	s_endpgm
	.section	.rodata,"a",@progbits
	.p2align	6, 0x0
	.amdhsa_kernel _Z39paged_attention_ll4mi_QKV_mfma16_kernelIDF16_hLN4vllm18Fp8KVCacheDataTypeE1EhLi16ELi64ELi256ELb0ELi5EEvPKT_PKT0_S7_ifPKiS9_S9_iPKfiiiPfSC_PS2_PT2_iSB_SB_
		.amdhsa_group_segment_fixed_size 8192
		.amdhsa_private_segment_fixed_size 0
		.amdhsa_kernarg_size 400
		.amdhsa_user_sgpr_count 2
		.amdhsa_user_sgpr_dispatch_ptr 0
		.amdhsa_user_sgpr_queue_ptr 0
		.amdhsa_user_sgpr_kernarg_segment_ptr 1
		.amdhsa_user_sgpr_dispatch_id 0
		.amdhsa_user_sgpr_kernarg_preload_length 0
		.amdhsa_user_sgpr_kernarg_preload_offset 0
		.amdhsa_user_sgpr_private_segment_size 0
		.amdhsa_uses_dynamic_stack 0
		.amdhsa_enable_private_segment 0
		.amdhsa_system_sgpr_workgroup_id_x 1
		.amdhsa_system_sgpr_workgroup_id_y 1
		.amdhsa_system_sgpr_workgroup_id_z 1
		.amdhsa_system_sgpr_workgroup_info 0
		.amdhsa_system_vgpr_workitem_id 0
		.amdhsa_next_free_vgpr 58
		.amdhsa_next_free_sgpr 50
		.amdhsa_accum_offset 60
		.amdhsa_reserve_vcc 1
		.amdhsa_float_round_mode_32 0
		.amdhsa_float_round_mode_16_64 0
		.amdhsa_float_denorm_mode_32 3
		.amdhsa_float_denorm_mode_16_64 3
		.amdhsa_dx10_clamp 1
		.amdhsa_ieee_mode 1
		.amdhsa_fp16_overflow 0
		.amdhsa_tg_split 0
		.amdhsa_exception_fp_ieee_invalid_op 0
		.amdhsa_exception_fp_denorm_src 0
		.amdhsa_exception_fp_ieee_div_zero 0
		.amdhsa_exception_fp_ieee_overflow 0
		.amdhsa_exception_fp_ieee_underflow 0
		.amdhsa_exception_fp_ieee_inexact 0
		.amdhsa_exception_int_div_zero 0
	.end_amdhsa_kernel
	.section	.text._Z39paged_attention_ll4mi_QKV_mfma16_kernelIDF16_hLN4vllm18Fp8KVCacheDataTypeE1EhLi16ELi64ELi256ELb0ELi5EEvPKT_PKT0_S7_ifPKiS9_S9_iPKfiiiPfSC_PS2_PT2_iSB_SB_,"axG",@progbits,_Z39paged_attention_ll4mi_QKV_mfma16_kernelIDF16_hLN4vllm18Fp8KVCacheDataTypeE1EhLi16ELi64ELi256ELb0ELi5EEvPKT_PKT0_S7_ifPKiS9_S9_iPKfiiiPfSC_PS2_PT2_iSB_SB_,comdat
.Lfunc_end792:
	.size	_Z39paged_attention_ll4mi_QKV_mfma16_kernelIDF16_hLN4vllm18Fp8KVCacheDataTypeE1EhLi16ELi64ELi256ELb0ELi5EEvPKT_PKT0_S7_ifPKiS9_S9_iPKfiiiPfSC_PS2_PT2_iSB_SB_, .Lfunc_end792-_Z39paged_attention_ll4mi_QKV_mfma16_kernelIDF16_hLN4vllm18Fp8KVCacheDataTypeE1EhLi16ELi64ELi256ELb0ELi5EEvPKT_PKT0_S7_ifPKiS9_S9_iPKfiiiPfSC_PS2_PT2_iSB_SB_
                                        ; -- End function
	.section	.AMDGPU.csdata,"",@progbits
; Kernel info:
; codeLenInByte = 4584
; NumSgprs: 56
; NumVgprs: 58
; NumAgprs: 0
; TotalNumVgprs: 58
; ScratchSize: 0
; MemoryBound: 0
; FloatMode: 240
; IeeeMode: 1
; LDSByteSize: 8192 bytes/workgroup (compile time only)
; SGPRBlocks: 6
; VGPRBlocks: 7
; NumSGPRsForWavesPerEU: 56
; NumVGPRsForWavesPerEU: 58
; AccumOffset: 60
; Occupancy: 8
; WaveLimiterHint : 1
; COMPUTE_PGM_RSRC2:SCRATCH_EN: 0
; COMPUTE_PGM_RSRC2:USER_SGPR: 2
; COMPUTE_PGM_RSRC2:TRAP_HANDLER: 0
; COMPUTE_PGM_RSRC2:TGID_X_EN: 1
; COMPUTE_PGM_RSRC2:TGID_Y_EN: 1
; COMPUTE_PGM_RSRC2:TGID_Z_EN: 1
; COMPUTE_PGM_RSRC2:TIDIG_COMP_CNT: 0
; COMPUTE_PGM_RSRC3_GFX90A:ACCUM_OFFSET: 14
; COMPUTE_PGM_RSRC3_GFX90A:TG_SPLIT: 0
	.section	.text._Z39paged_attention_ll4mi_QKV_mfma16_kernelIDF16_hLN4vllm18Fp8KVCacheDataTypeE1EhLi16ELi64ELi256ELb0ELi6EEvPKT_PKT0_S7_ifPKiS9_S9_iPKfiiiPfSC_PS2_PT2_iSB_SB_,"axG",@progbits,_Z39paged_attention_ll4mi_QKV_mfma16_kernelIDF16_hLN4vllm18Fp8KVCacheDataTypeE1EhLi16ELi64ELi256ELb0ELi6EEvPKT_PKT0_S7_ifPKiS9_S9_iPKfiiiPfSC_PS2_PT2_iSB_SB_,comdat
	.protected	_Z39paged_attention_ll4mi_QKV_mfma16_kernelIDF16_hLN4vllm18Fp8KVCacheDataTypeE1EhLi16ELi64ELi256ELb0ELi6EEvPKT_PKT0_S7_ifPKiS9_S9_iPKfiiiPfSC_PS2_PT2_iSB_SB_ ; -- Begin function _Z39paged_attention_ll4mi_QKV_mfma16_kernelIDF16_hLN4vllm18Fp8KVCacheDataTypeE1EhLi16ELi64ELi256ELb0ELi6EEvPKT_PKT0_S7_ifPKiS9_S9_iPKfiiiPfSC_PS2_PT2_iSB_SB_
	.globl	_Z39paged_attention_ll4mi_QKV_mfma16_kernelIDF16_hLN4vllm18Fp8KVCacheDataTypeE1EhLi16ELi64ELi256ELb0ELi6EEvPKT_PKT0_S7_ifPKiS9_S9_iPKfiiiPfSC_PS2_PT2_iSB_SB_
	.p2align	8
	.type	_Z39paged_attention_ll4mi_QKV_mfma16_kernelIDF16_hLN4vllm18Fp8KVCacheDataTypeE1EhLi16ELi64ELi256ELb0ELi6EEvPKT_PKT0_S7_ifPKiS9_S9_iPKfiiiPfSC_PS2_PT2_iSB_SB_,@function
_Z39paged_attention_ll4mi_QKV_mfma16_kernelIDF16_hLN4vllm18Fp8KVCacheDataTypeE1EhLi16ELi64ELi256ELb0ELi6EEvPKT_PKT0_S7_ifPKiS9_S9_iPKfiiiPfSC_PS2_PT2_iSB_SB_: ; @_Z39paged_attention_ll4mi_QKV_mfma16_kernelIDF16_hLN4vllm18Fp8KVCacheDataTypeE1EhLi16ELi64ELi256ELb0ELi6EEvPKT_PKT0_S7_ifPKiS9_S9_iPKfiiiPfSC_PS2_PT2_iSB_SB_
; %bb.0:
	s_load_dwordx2 s[12:13], s[0:1], 0x30
	s_mov_b32 s28, s3
	s_mov_b64 s[6:7], 0
	s_waitcnt lgkmcnt(0)
	s_cmp_lg_u64 s[12:13], 0
	s_cselect_b64 s[14:15], -1, 0
	s_and_b64 vcc, exec, s[14:15]
	s_cbranch_vccz .LBB793_7
; %bb.1:
	s_add_i32 s8, s2, 1
	s_mov_b32 s9, 0
	s_lshl_b64 s[10:11], s[8:9], 2
	s_add_u32 s10, s12, s10
	s_mov_b32 s3, s9
	s_addc_u32 s11, s13, s11
	s_lshl_b64 s[8:9], s[2:3], 2
	s_add_u32 s8, s12, s8
	s_addc_u32 s9, s13, s9
	s_load_dword s5, s[10:11], 0x0
	s_load_dword s16, s[8:9], 0x0
	s_waitcnt lgkmcnt(0)
	s_sub_i32 s5, s5, s16
	s_cmp_eq_u32 s5, 1
	s_cselect_b64 s[8:9], -1, 0
	s_andn2_b64 vcc, exec, s[6:7]
	s_cbranch_vccnz .LBB793_3
.LBB793_2:
	s_mov_b32 s3, 0
	s_mov_b64 s[8:9], -1
.LBB793_3:
	s_andn2_b64 vcc, exec, s[8:9]
	s_cbranch_vccnz .LBB793_18
; %bb.4:
	s_load_dwordx2 s[6:7], s[0:1], 0x28
	s_lshl_b64 s[16:17], s[2:3], 2
	s_waitcnt lgkmcnt(0)
	s_add_u32 s6, s6, s16
	s_addc_u32 s7, s7, s17
	s_load_dword s33, s[6:7], 0x0
	s_lshl_b32 s5, s28, 8
	s_waitcnt lgkmcnt(0)
	s_cmp_ge_i32 s5, s33
	s_cbranch_scc1 .LBB793_18
; %bb.5:
	s_load_dwordx2 s[6:7], s[0:1], 0x20
	s_load_dword s8, s[0:1], 0x38
	s_add_i32 s9, s33, 15
	s_ashr_i32 s10, s9, 31
	v_and_b32_e32 v1, 0xcf, v0
	s_lshr_b32 s10, s10, 28
	v_add_u32_e32 v1, s5, v1
	s_add_i32 s9, s9, s10
	v_ashrrev_i32_e32 v2, 31, v1
	s_ashr_i32 s18, s9, 4
	v_lshrrev_b32_e32 v4, 28, v2
	s_add_i32 s18, s18, -1
	s_waitcnt lgkmcnt(0)
	s_mul_i32 s8, s2, s8
	s_mov_b32 s9, 0
	v_add_u32_e32 v2, v1, v4
	s_lshl_b64 s[8:9], s[8:9], 2
	v_ashrrev_i32_e32 v2, 4, v2
	v_mov_b32_e32 v5, s18
	v_cmp_gt_i32_e32 vcc, s33, v1
	s_add_u32 s6, s6, s8
	s_addc_u32 s7, s7, s9
	v_cndmask_b32_e32 v2, v5, v2, vcc
	v_ashrrev_i32_e32 v3, 31, v2
	v_lshl_add_u64 v[6:7], v[2:3], 2, s[6:7]
	v_or_b32_e32 v2, 16, v1
	v_add_u32_e32 v3, v2, v4
	v_ashrrev_i32_e32 v3, 4, v3
	v_cmp_gt_i32_e32 vcc, s33, v2
	s_load_dwordx4 s[8:11], s[0:1], 0x8
	s_nop 0
	v_cndmask_b32_e32 v2, v5, v3, vcc
	v_ashrrev_i32_e32 v3, 31, v2
	v_lshl_add_u64 v[10:11], v[2:3], 2, s[6:7]
	v_or_b32_e32 v2, 32, v1
	v_add_u32_e32 v3, v2, v4
	v_ashrrev_i32_e32 v3, 4, v3
	v_cmp_gt_i32_e32 vcc, s33, v2
	v_or_b32_e32 v1, 48, v1
	s_nop 0
	v_cndmask_b32_e32 v2, v5, v3, vcc
	v_ashrrev_i32_e32 v3, 31, v2
	v_lshl_add_u64 v[12:13], v[2:3], 2, s[6:7]
	v_add_u32_e32 v2, v1, v4
	v_ashrrev_i32_e32 v2, 4, v2
	v_cmp_gt_i32_e32 vcc, s33, v1
	s_nop 1
	v_cndmask_b32_e32 v2, v5, v2, vcc
	v_ashrrev_i32_e32 v3, 31, v2
	v_lshl_add_u64 v[14:15], v[2:3], 2, s[6:7]
	global_load_dword v4, v[6:7], off
	global_load_dword v3, v[10:11], off
	;; [unrolled: 1-line block ×4, first 2 shown]
	s_andn2_b64 vcc, exec, s[14:15]
	s_cbranch_vccnz .LBB793_8
; %bb.6:
	s_add_u32 s12, s12, s16
	s_addc_u32 s13, s13, s17
	s_load_dword s14, s[12:13], 0x0
	s_branch .LBB793_9
.LBB793_7:
	s_mov_b64 s[8:9], 0
	s_branch .LBB793_2
.LBB793_8:
	s_mov_b32 s14, s2
.LBB793_9:
	s_load_dwordx4 s[44:47], s[0:1], 0x48
	v_lshrrev_b32_e32 v29, 6, v0
	v_bfe_u32 v42, v0, 4, 2
	v_lshl_or_b32 v5, v29, 2, v42
	v_and_b32_e32 v28, 15, v0
	v_lshlrev_b32_e32 v1, 3, v28
	v_cmp_gt_u32_e32 vcc, 6, v5
	v_cmp_gt_u32_e64 s[30:31], 8, v28
	v_and_b32_e32 v43, 63, v0
	s_mul_i32 s48, s4, 6
	s_and_b64 s[16:17], s[30:31], vcc
	v_lshlrev_b32_e32 v26, 1, v1
	v_lshlrev_b32_e32 v1, 4, v0
	s_and_saveexec_b64 s[12:13], s[16:17]
	s_cbranch_execz .LBB793_11
; %bb.10:
	s_load_dwordx2 s[16:17], s[0:1], 0x0
	s_waitcnt lgkmcnt(0)
	s_ashr_i32 s15, s44, 31
	s_mul_hi_u32 s19, s14, s44
	s_mul_i32 s15, s14, s15
	s_add_i32 s15, s19, s15
	s_mul_i32 s14, s14, s44
	s_lshl_b64 s[14:15], s[14:15], 1
	s_add_u32 s14, s16, s14
	v_add_lshl_u32 v6, v5, s48, 6
	s_addc_u32 s15, s17, s15
	v_ashrrev_i32_e32 v7, 31, v6
	v_lshl_add_u64 v[6:7], v[6:7], 1, s[14:15]
	v_mov_b32_e32 v27, 0
	v_lshl_add_u64 v[6:7], v[6:7], 0, v[26:27]
	global_load_dwordx4 v[10:13], v[6:7], off
	v_lshlrev_b32_e32 v7, 8, v28
	v_lshlrev_b32_e32 v5, 5, v5
	v_and_b32_e32 v6, 16, v1
	v_and_b32_e32 v7, 0xe00, v7
	v_or3_b32 v5, v7, v5, v6
	s_waitcnt vmcnt(0)
	ds_write_b128 v5, v[10:13]
.LBB793_11:
	s_or_b64 exec, exec, s[12:13]
	s_waitcnt lgkmcnt(0)
	s_mul_i32 s4, s4, s46
	s_add_u32 s8, s8, s4
	s_addc_u32 s9, s9, 0
	v_and_b32_e32 v9, 48, v0
	v_and_b32_e32 v30, 0xf0, v1
	v_mov_b32_e32 v31, 0
	v_lshl_add_u64 v[6:7], s[8:9], 0, v[30:31]
	v_lshlrev_b32_e32 v30, 4, v9
	v_or_b32_e32 v9, s5, v9
	v_ashrrev_i32_e32 v10, 4, v9
	v_mov_b32_e32 v12, s18
	v_cmp_gt_i32_e32 vcc, s33, v9
	v_lshl_add_u64 v[6:7], v[6:7], 0, v[30:31]
	s_load_dword s29, s[0:1], 0x98
	s_load_dwordx4 s[40:43], s[0:1], 0x80
	v_cndmask_b32_e32 v10, v12, v10, vcc
	v_ashrrev_i32_e32 v11, 31, v10
	v_lshl_add_u64 v[10:11], v[10:11], 2, s[6:7]
	s_waitcnt lgkmcnt(0)
	s_barrier
	s_waitcnt vmcnt(3)
	v_mad_i64_i32 v[4:5], s[8:9], v4, s45, v[6:7]
	global_load_dword v38, v[10:11], off
	global_load_dwordx4 v[22:25], v[4:5], off
	s_waitcnt vmcnt(4)
	v_mad_i64_i32 v[4:5], s[8:9], v3, s45, v[6:7]
	global_load_dwordx4 v[18:21], v[4:5], off
	s_waitcnt vmcnt(4)
	v_mad_i64_i32 v[2:3], s[8:9], v2, s45, v[6:7]
	global_load_dwordx4 v[2:5], v[2:3], off
	v_mul_lo_u16_e32 v10, 43, v28
	v_mov_b32_e32 v11, 6
	v_mul_lo_u16_sdwa v10, v10, v11 dst_sel:DWORD dst_unused:UNUSED_PAD src0_sel:BYTE_1 src1_sel:DWORD
	v_mov_b32_e32 v13, 5
	v_sub_u16_e32 v10, v28, v10
	v_or_b32_e32 v11, 64, v9
	v_or_b32_e32 v15, 0x80, v9
	v_lshlrev_b32_sdwa v10, v13, v10 dst_sel:DWORD dst_unused:UNUSED_PAD src0_sel:DWORD src1_sel:BYTE_0
	v_ashrrev_i32_e32 v13, 4, v11
	v_cmp_gt_i32_e32 vcc, s33, v11
	v_or_b32_e32 v9, 0xc0, v9
	v_ashrrev_i32_e32 v16, 4, v15
	s_add_u32 s8, s10, s4
	v_cndmask_b32_e32 v32, v12, v13, vcc
	v_cmp_gt_i32_e32 vcc, s33, v15
	v_ashrrev_i32_e32 v17, 4, v9
	s_addc_u32 s9, s11, 0
	v_cndmask_b32_e32 v34, v12, v16, vcc
	v_cmp_gt_i32_e32 vcc, s33, v9
	s_waitcnt vmcnt(4)
	v_mad_i64_i32 v[6:7], s[10:11], v8, s45, v[6:7]
	v_lshl_add_u32 v27, v42, 9, v10
	v_cndmask_b32_e32 v36, v12, v17, vcc
	global_load_dwordx4 v[10:13], v[6:7], off
	v_ashrrev_i32_e32 v33, 31, v32
	v_ashrrev_i32_e32 v35, 31, v34
	;; [unrolled: 1-line block ×3, first 2 shown]
	v_lshlrev_b32_e32 v14, 4, v28
	v_lshl_add_u64 v[32:33], v[32:33], 2, s[6:7]
	v_lshl_add_u64 v[34:35], v[34:35], 2, s[6:7]
	;; [unrolled: 1-line block ×3, first 2 shown]
	v_lshl_or_b32 v30, v29, 8, v14
	ds_read_b128 v[14:17], v27
	ds_read_b128 v[6:9], v27 offset:16
	s_load_dword s4, s[40:41], 0x0
	global_load_dword v45, v[32:33], off
	global_load_dword v27, v[34:35], off
	;; [unrolled: 1-line block ×3, first 2 shown]
	v_lshl_add_u64 v[30:31], s[8:9], 0, v[30:31]
	s_load_dword s12, s[0:1], 0x1c
	s_mov_b32 s44, 0xff7fffff
	s_waitcnt vmcnt(7)
	v_mad_i64_i32 v[32:33], s[6:7], v38, s45, v[30:31]
	s_waitcnt vmcnt(6)
	v_cvt_pk_f32_fp8_e32 v[34:35], v22
	v_cvt_pk_f32_fp8_sdwa v[36:37], v22 src0_sel:WORD_1
	v_cvt_pk_f32_fp8_e32 v[38:39], v23
	v_cvt_pk_f32_fp8_sdwa v[40:41], v23 src0_sel:WORD_1
	v_cvt_pkrtz_f16_f32 v34, v34, v35
	v_cvt_pkrtz_f16_f32 v35, v36, v37
	s_waitcnt vmcnt(5)
	v_cvt_pk_f32_fp8_e32 v[22:23], v18
	v_cvt_pk_f32_fp8_e32 v[46:47], v24
	v_cvt_pk_f32_fp8_sdwa v[48:49], v24 src0_sel:WORD_1
	v_cvt_pkrtz_f16_f32 v38, v38, v39
	v_cvt_pkrtz_f16_f32 v39, v40, v41
	v_cvt_pk_f32_fp8_e32 v[50:51], v25
	v_cvt_pk_f32_fp8_sdwa v[52:53], v18 src0_sel:WORD_1
	v_cvt_pk_f32_fp8_sdwa v[54:55], v25 src0_sel:WORD_1
	v_cvt_pkrtz_f16_f32 v36, v22, v23
	s_waitcnt lgkmcnt(0)
	v_mfma_f32_16x16x16_f16 v[22:25], v[34:35], v[14:15], 0
	v_cvt_pkrtz_f16_f32 v40, v46, v47
	v_cvt_pkrtz_f16_f32 v41, v48, v49
	v_cvt_pk_f32_fp8_e32 v[56:57], v19
	v_cvt_pkrtz_f16_f32 v37, v52, v53
	v_cvt_pk_f32_fp8_sdwa v[18:19], v19 src0_sel:WORD_1
	v_mfma_f32_16x16x16_f16 v[22:25], v[38:39], v[16:17], v[22:25]
	v_cvt_pkrtz_f16_f32 v38, v50, v51
	v_cvt_pkrtz_f16_f32 v39, v54, v55
	v_cvt_pk_f32_fp8_e32 v[52:53], v20
	v_cvt_pk_f32_fp8_sdwa v[46:47], v20 src0_sel:WORD_1
	v_mfma_f32_16x16x16_f16 v[22:25], v[40:41], v[6:7], v[22:25]
	v_cvt_pkrtz_f16_f32 v50, v56, v57
	v_cvt_pkrtz_f16_f32 v51, v18, v19
	v_cvt_pk_f32_fp8_e32 v[48:49], v21
	v_mfma_f32_16x16x16_f16 v[34:37], v[36:37], v[14:15], 0
	v_mfma_f32_16x16x16_f16 v[38:41], v[38:39], v[8:9], v[22:25]
	s_nop 2
	v_cvt_pk_f32_fp8_sdwa v[22:23], v21 src0_sel:WORD_1
	v_cvt_pkrtz_f16_f32 v24, v52, v53
	v_cvt_pkrtz_f16_f32 v25, v46, v47
	v_mfma_f32_16x16x16_f16 v[18:21], v[50:51], v[16:17], v[34:37]
	s_waitcnt vmcnt(4)
	v_cvt_pk_f32_fp8_sdwa v[46:47], v4 src0_sel:WORD_1
	s_nop 0
	v_cvt_pkrtz_f16_f32 v34, v48, v49
	v_cvt_pkrtz_f16_f32 v35, v22, v23
	v_mfma_f32_16x16x16_f16 v[18:21], v[24:25], v[6:7], v[18:21]
	v_cvt_pk_f32_fp8_e32 v[22:23], v2
	v_cvt_pk_f32_fp8_sdwa v[24:25], v2 src0_sel:WORD_1
	v_mov_b32_e32 v36, s12
	v_mfma_f32_16x16x16_f16 v[18:21], v[34:35], v[8:9], v[18:21]
	v_cvt_pk_f32_fp8_e32 v[34:35], v3
	v_cvt_pkrtz_f16_f32 v22, v22, v23
	v_cvt_pkrtz_f16_f32 v23, v24, v25
	v_cvt_pk_f32_fp8_sdwa v[2:3], v3 src0_sel:WORD_1
	v_mul_f32_e32 v50, s4, v36
	v_cvt_pkrtz_f16_f32 v34, v34, v35
	v_cvt_pk_f32_fp8_e32 v[36:37], v4
	v_cvt_pkrtz_f16_f32 v35, v2, v3
	v_mfma_f32_16x16x16_f16 v[22:25], v[22:23], v[14:15], 0
	v_cvt_pk_f32_fp8_sdwa v[48:49], v5 src0_sel:WORD_1
	v_cvt_pkrtz_f16_f32 v36, v36, v37
	v_cvt_pkrtz_f16_f32 v37, v46, v47
	v_cvt_pk_f32_fp8_e32 v[46:47], v5
	v_mfma_f32_16x16x16_f16 v[2:5], v[34:35], v[16:17], v[22:25]
	s_nop 2
	v_cvt_pkrtz_f16_f32 v24, v46, v47
	v_cvt_pkrtz_f16_f32 v25, v48, v49
	v_mfma_f32_16x16x16_f16 v[34:37], v[36:37], v[6:7], v[2:5]
	v_pk_mul_f32 v[22:23], v[50:51], v[40:41] op_sel_hi:[0,1]
	s_waitcnt vmcnt(3)
	v_cvt_pk_f32_fp8_sdwa v[40:41], v12 src0_sel:WORD_1
	v_pk_mul_f32 v[2:3], v[50:51], v[38:39] op_sel_hi:[0,1]
	v_cvt_pk_f32_fp8_e32 v[4:5], v10
	v_cvt_pk_f32_fp8_sdwa v[38:39], v10 src0_sel:WORD_1
	v_mfma_f32_16x16x16_f16 v[46:49], v[24:25], v[8:9], v[34:37]
	v_cvt_pk_f32_fp8_e32 v[24:25], v11
	v_cvt_pkrtz_f16_f32 v4, v4, v5
	v_cvt_pkrtz_f16_f32 v5, v38, v39
	v_cvt_pk_f32_fp8_sdwa v[10:11], v11 src0_sel:WORD_1
	v_cvt_pkrtz_f16_f32 v24, v24, v25
	v_cvt_pk_f32_fp8_e32 v[38:39], v12
	v_mfma_f32_16x16x16_f16 v[34:37], v[4:5], v[14:15], 0
	v_cvt_pkrtz_f16_f32 v25, v10, v11
	v_cvt_pkrtz_f16_f32 v4, v38, v39
	;; [unrolled: 1-line block ×3, first 2 shown]
	v_cvt_pk_f32_fp8_e32 v[14:15], v13
	v_cvt_pk_f32_fp8_sdwa v[38:39], v13 src0_sel:WORD_1
	v_mfma_f32_16x16x16_f16 v[10:13], v[24:25], v[16:17], v[34:37]
	v_pk_mul_f32 v[40:41], v[50:51], v[18:19] op_sel_hi:[0,1]
	v_cvt_pkrtz_f16_f32 v14, v14, v15
	v_cvt_pkrtz_f16_f32 v15, v38, v39
	v_mfma_f32_16x16x16_f16 v[4:7], v[4:5], v[6:7], v[10:13]
	v_pk_mul_f32 v[36:37], v[50:51], v[20:21] op_sel_hi:[0,1]
	v_pk_mul_f32 v[38:39], v[50:51], v[46:47] op_sel_hi:[0,1]
	;; [unrolled: 1-line block ×3, first 2 shown]
	v_mfma_f32_16x16x16_f16 v[4:7], v[14:15], v[8:9], v[4:7]
	s_nop 6
	v_pk_mul_f32 v[24:25], v[50:51], v[4:5] op_sel_hi:[0,1]
	v_and_b32_e32 v4, 0xc0, v0
	v_add_u32_e32 v4, s5, v4
	v_lshl_or_b32 v4, v42, 2, v4
	v_pk_mul_f32 v[18:19], v[50:51], v[6:7] op_sel_hi:[0,1]
	v_or_b32_e32 v7, 1, v4
	v_mov_b32_e32 v5, 0xff7fffff
	v_cmp_gt_i32_e64 s[4:5], s33, v4
	v_cmp_gt_i32_e64 s[34:35], s33, v7
	v_or_b32_e32 v8, 3, v4
	v_cndmask_b32_e64 v6, v5, v2, s[4:5]
	v_cndmask_b32_e64 v7, v5, v3, s[34:35]
	v_max3_f32 v6, v6, s44, v7
	v_or_b32_e32 v7, 2, v4
	v_cmp_gt_i32_e64 s[36:37], s33, v7
	v_cmp_gt_i32_e64 s[38:39], s33, v8
	s_nop 0
	v_cndmask_b32_e64 v7, v5, v22, s[36:37]
	v_cndmask_b32_e64 v8, v5, v23, s[38:39]
	v_max3_f32 v6, v6, v7, v8
	v_or_b32_e32 v7, 16, v4
	v_or_b32_e32 v8, 17, v4
	v_cmp_gt_i32_e64 s[24:25], s33, v7
	v_cmp_gt_i32_e64 s[26:27], s33, v8
	s_nop 0
	v_cndmask_b32_e64 v7, v5, v40, s[24:25]
	v_cndmask_b32_e64 v8, v5, v41, s[26:27]
	v_max3_f32 v6, v6, v7, v8
	v_or_b32_e32 v7, 18, v4
	;; [unrolled: 8-line block ×6, first 2 shown]
	v_or_b32_e32 v4, 51, v4
	v_cmp_gt_i32_e32 vcc, s33, v7
	v_cmp_gt_i32_e64 s[6:7], s33, v4
	s_nop 0
	v_cndmask_b32_e32 v7, v5, v18, vcc
	v_cndmask_b32_e64 v4, v5, v19, s[6:7]
	v_max3_f32 v6, v6, v7, v4
	v_mbcnt_lo_u32_b32 v4, -1, 0
	v_mbcnt_hi_u32_b32 v7, -1, v4
	v_and_b32_e32 v4, 64, v7
	v_add_u32_e32 v8, 64, v4
	v_xor_b32_e32 v4, 32, v7
	v_cmp_lt_i32_e64 s[40:41], v4, v8
	s_nop 1
	v_cndmask_b32_e64 v4, v7, v4, s[40:41]
	v_lshlrev_b32_e32 v46, 2, v4
	ds_bpermute_b32 v9, v46, v6
	s_waitcnt vmcnt(2)
	v_mad_i64_i32 v[4:5], s[40:41], v45, s45, v[30:31]
	global_load_dwordx4 v[14:17], v[32:33], off
	global_load_dwordx4 v[10:13], v[4:5], off
	v_xor_b32_e32 v5, 16, v7
	v_cmp_lt_i32_e64 s[40:41], v5, v8
	s_waitcnt lgkmcnt(0)
	v_max_f32_e32 v4, v9, v9
	v_max_f32_e32 v4, v6, v4
	v_cndmask_b32_e64 v5, v7, v5, s[40:41]
	v_lshlrev_b32_e32 v45, 2, v5
	ds_bpermute_b32 v5, v45, v4
	s_waitcnt vmcnt(3)
	v_mad_i64_i32 v[20:21], s[40:41], v27, s45, v[30:31]
	s_waitcnt vmcnt(2)
	v_mad_i64_i32 v[30:31], s[40:41], v44, s45, v[30:31]
	s_waitcnt lgkmcnt(0)
	v_max_f32_e32 v5, v5, v5
	v_max_f32_e32 v27, v4, v5
	v_sub_f32_e32 v2, v2, v27
	v_mul_f32_e32 v2, 0x3fb8aa3b, v2
	v_exp_f32_e32 v32, v2
	v_sub_f32_e32 v2, v3, v27
	v_mul_f32_e32 v2, 0x3fb8aa3b, v2
	v_exp_f32_e32 v33, v2
	global_load_dwordx4 v[6:9], v[20:21], off
	global_load_dwordx4 v[2:5], v[30:31], off
	v_sub_f32_e32 v22, v22, v27
	v_mul_f32_e32 v22, 0x3fb8aa3b, v22
	v_sub_f32_e32 v23, v23, v27
	v_exp_f32_e32 v22, v22
	v_mul_f32_e32 v23, 0x3fb8aa3b, v23
	v_exp_f32_e32 v23, v23
	v_cndmask_b32_e64 v20, 0, v32, s[4:5]
	v_add_f32_e32 v30, 0, v20
	v_cndmask_b32_e64 v21, 0, v33, s[34:35]
	v_add_f32_e32 v30, v30, v21
	;; [unrolled: 2-line block ×3, first 2 shown]
	v_cndmask_b32_e64 v33, 0, v23, s[38:39]
	v_sub_f32_e32 v23, v40, v27
	v_sub_f32_e32 v30, v41, v27
	v_mul_f32_e32 v23, 0x3fb8aa3b, v23
	v_mul_f32_e32 v30, 0x3fb8aa3b, v30
	v_exp_f32_e32 v23, v23
	v_exp_f32_e32 v30, v30
	v_add_f32_e32 v31, v22, v33
	v_sub_f32_e32 v34, v34, v27
	v_cndmask_b32_e64 v22, 0, v23, s[24:25]
	v_cndmask_b32_e64 v23, 0, v30, s[26:27]
	v_sub_f32_e32 v30, v36, v27
	v_mul_f32_e32 v30, 0x3fb8aa3b, v30
	v_exp_f32_e32 v30, v30
	v_sub_f32_e32 v36, v37, v27
	v_add_f32_e32 v31, v31, v22
	v_mul_f32_e32 v36, 0x3fb8aa3b, v36
	v_exp_f32_e32 v37, v36
	v_add_f32_e32 v31, v31, v23
	v_cndmask_b32_e64 v36, 0, v30, s[20:21]
	v_add_f32_e32 v30, v31, v36
	v_sub_f32_e32 v31, v38, v27
	v_mul_f32_e32 v31, 0x3fb8aa3b, v31
	v_sub_f32_e32 v38, v39, v27
	v_exp_f32_e32 v31, v31
	v_mul_f32_e32 v38, 0x3fb8aa3b, v38
	v_exp_f32_e32 v38, v38
	v_mul_f32_e32 v34, 0x3fb8aa3b, v34
	v_sub_f32_e32 v35, v35, v27
	v_exp_f32_e32 v34, v34
	v_mul_f32_e32 v35, 0x3fb8aa3b, v35
	v_sub_f32_e32 v24, v24, v27
	v_cndmask_b32_e64 v37, 0, v37, s[22:23]
	v_exp_f32_e32 v35, v35
	v_mul_f32_e32 v24, 0x3fb8aa3b, v24
	v_sub_f32_e32 v25, v25, v27
	v_add_f32_e32 v39, v30, v37
	v_cndmask_b32_e64 v30, 0, v31, s[16:17]
	v_exp_f32_e32 v24, v24
	v_mul_f32_e32 v25, 0x3fb8aa3b, v25
	v_sub_f32_e32 v18, v18, v27
	v_add_f32_e32 v39, v39, v30
	;; [unrolled: 5-line block ×3, first 2 shown]
	v_cndmask_b32_e64 v34, 0, v34, s[12:13]
	v_exp_f32_e32 v18, v18
	v_mul_f32_e32 v19, 0x3fb8aa3b, v19
	v_add_f32_e32 v38, v38, v34
	v_cndmask_b32_e64 v35, 0, v35, s[14:15]
	v_exp_f32_e32 v19, v19
	v_add_f32_e32 v38, v38, v35
	v_cndmask_b32_e64 v24, 0, v24, s[8:9]
	v_add_f32_e32 v38, v38, v24
	v_cndmask_b32_e64 v25, 0, v25, s[10:11]
	v_add_f32_e32 v38, v38, v25
	v_cndmask_b32_e32 v18, 0, v18, vcc
	v_add_f32_e32 v38, v38, v18
	v_cndmask_b32_e64 v19, 0, v19, s[6:7]
	v_add_f32_e32 v38, v38, v19
	ds_bpermute_b32 v39, v46, v38
	v_cmp_gt_u32_e32 vcc, 16, v43
	s_waitcnt lgkmcnt(0)
	s_barrier
	v_add_f32_e32 v39, v38, v39
	ds_bpermute_b32 v40, v45, v39
	v_lshlrev_b32_e32 v38, 2, v28
	s_and_saveexec_b64 s[4:5], vcc
	s_cbranch_execz .LBB793_13
; %bb.12:
	s_waitcnt lgkmcnt(0)
	v_add_f32_e32 v39, v39, v40
	v_lshl_or_b32 v40, v29, 6, v38
	ds_write2st64_b32 v40, v27, v39 offset1:1
.LBB793_13:
	s_or_b64 exec, exec, s[4:5]
	s_load_dword s6, s[0:1], 0x94
	s_waitcnt lgkmcnt(0)
	s_barrier
	ds_read2_b32 v[40:41], v38 offset1:16
	ds_read2_b32 v[44:45], v38 offset0:32 offset1:48
	ds_read2_b32 v[46:47], v38 offset0:64 offset1:80
	s_mul_i32 s7, s29, 6
	s_waitcnt lgkmcnt(2)
	v_max3_f32 v27, v40, s44, v41
	s_waitcnt lgkmcnt(1)
	v_max3_f32 v27, v27, v44, v45
	v_sub_f32_e32 v39, v40, v27
	v_sub_f32_e32 v40, v41, v27
	v_mul_f32_e32 v40, 0x3fb8aa3b, v40
	v_mul_f32_e32 v39, 0x3fb8aa3b, v39
	v_exp_f32_e32 v43, v40
	v_sub_f32_e32 v40, v44, v27
	v_exp_f32_e32 v39, v39
	v_mul_f32_e32 v40, 0x3fb8aa3b, v40
	v_exp_f32_e32 v44, v40
	ds_read2_b32 v[40:41], v38 offset0:96 offset1:112
	v_sub_f32_e32 v38, v45, v27
	v_mul_f32_e32 v38, 0x3fb8aa3b, v38
	v_exp_f32_e32 v45, v38
	s_waitcnt lgkmcnt(1)
	v_fma_f32 v38, v39, v46, 0
	v_fmac_f32_e32 v38, v43, v47
	s_waitcnt lgkmcnt(0)
	v_fmac_f32_e32 v38, v44, v40
	v_fmac_f32_e32 v38, v45, v41
	v_add_f32_e32 v40, 0x358637bd, v38
	v_div_scale_f32 v41, s[4:5], v40, v40, 1.0
	v_rcp_f32_e32 v46, v41
	s_barrier
	v_fma_f32 v47, -v41, v46, 1.0
	v_fmac_f32_e32 v46, v47, v46
	v_div_scale_f32 v47, vcc, 1.0, v40, 1.0
	v_mul_f32_e32 v48, v47, v46
	v_fma_f32 v49, -v41, v48, v47
	v_fmac_f32_e32 v48, v49, v46
	v_fma_f32 v41, -v41, v48, v47
	v_div_fmas_f32 v41, v41, v46, v48
	v_cmp_eq_u32_e32 vcc, 1, v29
	v_div_fixup_f32 v40, v41, v40, 1.0
	s_nop 0
	v_cndmask_b32_e32 v39, v39, v43, vcc
	v_cmp_eq_u32_e32 vcc, 2, v29
	s_nop 1
	v_cndmask_b32_e32 v39, v39, v44, vcc
	v_cmp_eq_u32_e32 vcc, 3, v29
	v_lshlrev_b32_e32 v29, 11, v29
	s_nop 0
	v_cndmask_b32_e32 v39, v39, v45, vcc
	v_mul_f32_e32 v40, v39, v40
	v_pk_mul_f32 v[20:21], v[40:41], v[20:21] op_sel_hi:[0,1]
	v_pk_mul_f32 v[32:33], v[40:41], v[32:33] op_sel_hi:[0,1]
	v_cvt_f16_f32_e32 v20, v20
	v_cvt_f16_f32_e32 v21, v21
	v_pk_mul_f32 v[36:37], v[40:41], v[36:37] op_sel_hi:[0,1]
	v_pk_mul_f32 v[22:23], v[40:41], v[22:23] op_sel_hi:[0,1]
	v_cvt_f16_f32_e32 v39, v32
	v_cvt_f16_f32_e32 v33, v33
	;; [unrolled: 1-line block ×6, first 2 shown]
	v_pack_b32_f16 v32, v20, v21
	v_lshlrev_b32_e32 v20, 3, v42
	v_lshlrev_b32_e32 v21, 5, v28
	v_pack_b32_f16 v33, v39, v33
	v_or3_b32 v20, v29, v21, v20
	v_pack_b32_f16 v22, v22, v23
	v_pack_b32_f16 v23, v36, v37
	ds_write2st64_b64 v20, v[32:33], v[22:23] offset1:1
	v_pk_mul_f32 v[22:23], v[40:41], v[34:35] op_sel_hi:[0,1]
	v_pk_mul_f32 v[30:31], v[40:41], v[30:31] op_sel_hi:[0,1]
	v_cvt_f16_f32_e32 v29, v30
	v_cvt_f16_f32_e32 v30, v31
	;; [unrolled: 1-line block ×4, first 2 shown]
	v_pk_mul_f32 v[18:19], v[40:41], v[18:19] op_sel_hi:[0,1]
	v_pk_mul_f32 v[22:23], v[40:41], v[24:25] op_sel_hi:[0,1]
	v_cvt_f16_f32_e32 v22, v22
	v_cvt_f16_f32_e32 v23, v23
	;; [unrolled: 1-line block ×4, first 2 shown]
	v_pack_b32_f16 v18, v29, v30
	v_pack_b32_f16 v19, v31, v32
	;; [unrolled: 1-line block ×4, first 2 shown]
	v_cmp_gt_u32_e32 vcc, 6, v0
	ds_write2st64_b64 v20, v[18:19], v[22:23] offset0:2 offset1:3
	s_and_saveexec_b64 s[4:5], vcc
	s_cbranch_execz .LBB793_15
; %bb.14:
	s_mov_b32 s49, 0
	v_mov_b32_e32 v29, 0
	v_lshl_add_u64 v[18:19], s[48:49], 0, v[28:29]
	v_mov_b32_e32 v22, s7
	v_mad_u64_u32 v[18:19], s[12:13], s2, v22, v[18:19]
	s_mul_i32 s3, s3, s7
	v_mov_b32_e32 v28, s28
	s_load_dwordx4 s[8:11], s[0:1], 0x58
	v_add_u32_e32 v23, s3, v19
	v_mad_u64_u32 v[18:19], s[12:13], v18, s6, v[28:29]
	v_mov_b32_e32 v22, v19
	v_mad_u64_u32 v[22:23], s[12:13], v23, s6, v[22:23]
	v_mov_b32_e32 v19, v22
	v_lshlrev_b64 v[18:19], 2, v[18:19]
	s_waitcnt lgkmcnt(0)
	v_lshl_add_u64 v[22:23], s[10:11], 0, v[18:19]
	v_lshl_add_u64 v[18:19], s[8:9], 0, v[18:19]
	global_store_dword v[22:23], v27, off
	global_store_dword v[18:19], v38, off
.LBB793_15:
	s_or_b64 exec, exec, s[4:5]
	s_waitcnt vmcnt(3)
	v_cvt_pk_f32_fp8_e32 v[18:19], v14
	v_cvt_pk_f32_fp8_sdwa v[22:23], v14 src0_sel:WORD_1
	v_cvt_pk_f32_fp8_e32 v[24:25], v15
	v_lshl_or_b32 v14, v42, 9, v21
	s_waitcnt lgkmcnt(0)
	s_barrier
	v_cvt_pkrtz_f16_f32 v18, v18, v19
	v_cvt_pkrtz_f16_f32 v19, v22, v23
	v_cvt_pk_f32_fp8_sdwa v[28:29], v15 src0_sel:WORD_1
	v_cvt_pkrtz_f16_f32 v36, v24, v25
	ds_read_b128 v[22:25], v14
	v_cvt_pk_f32_fp8_e32 v[38:39], v16
	v_cvt_pkrtz_f16_f32 v37, v28, v29
	ds_read_b128 v[28:31], v14 offset:16
	v_cvt_pk_f32_fp8_sdwa v[40:41], v16 src0_sel:WORD_1
	s_waitcnt lgkmcnt(1)
	v_mfma_f32_16x16x16_f16 v[32:35], v[18:19], v[22:23], 0
	v_cvt_pkrtz_f16_f32 v18, v38, v39
	v_cvt_pk_f32_fp8_e32 v[38:39], v17
	v_cvt_pkrtz_f16_f32 v19, v40, v41
	v_mfma_f32_16x16x16_f16 v[22:25], v[36:37], v[24:25], v[32:35]
	s_waitcnt vmcnt(2)
	v_cvt_pk_f32_fp8_sdwa v[36:37], v12 src0_sel:WORD_1
	s_load_dword s4, s[42:43], 0x0
	v_cmp_gt_u32_e32 vcc, 64, v0
	v_cvt_pk_f32_fp8_sdwa v[32:33], v17 src0_sel:WORD_1
	v_cvt_pkrtz_f16_f32 v34, v38, v39
	s_waitcnt lgkmcnt(0)
	v_mfma_f32_16x16x16_f16 v[16:19], v[18:19], v[28:29], v[22:25]
	v_cvt_pk_f32_fp8_e32 v[28:29], v11
	v_cvt_pkrtz_f16_f32 v35, v32, v33
	s_mov_b32 s3, 0
	v_cvt_pk_f32_fp8_e32 v[22:23], v10
	v_cvt_pk_f32_fp8_sdwa v[24:25], v10 src0_sel:WORD_1
	v_mfma_f32_16x16x16_f16 v[16:19], v[34:35], v[30:31], v[16:19]
	v_cvt_pkrtz_f16_f32 v10, v22, v23
	v_cvt_pk_f32_fp8_sdwa v[30:31], v11 src0_sel:WORD_1
	v_cvt_pkrtz_f16_f32 v11, v24, v25
	ds_read_b128 v[22:25], v14 offset:2048
	v_cvt_pkrtz_f16_f32 v32, v28, v29
	v_cvt_pkrtz_f16_f32 v33, v30, v31
	ds_read_b128 v[28:31], v14 offset:2064
	v_cvt_pk_f32_fp8_e32 v[34:35], v12
	s_waitcnt lgkmcnt(1)
	v_mfma_f32_16x16x16_f16 v[16:19], v[10:11], v[22:23], v[16:19]
	v_cvt_pkrtz_f16_f32 v11, v36, v37
	v_cvt_pk_f32_fp8_e32 v[22:23], v13
	v_cvt_pkrtz_f16_f32 v10, v34, v35
	v_mfma_f32_16x16x16_f16 v[16:19], v[32:33], v[24:25], v[16:19]
	v_cvt_pk_f32_fp8_sdwa v[24:25], v13 src0_sel:WORD_1
	v_cvt_pkrtz_f16_f32 v22, v22, v23
	s_waitcnt vmcnt(1)
	v_cvt_pk_f32_fp8_sdwa v[32:33], v8 src0_sel:WORD_1
	s_waitcnt lgkmcnt(0)
	v_mfma_f32_16x16x16_f16 v[10:13], v[10:11], v[28:29], v[16:19]
	v_cvt_pkrtz_f16_f32 v23, v24, v25
	v_cvt_pk_f32_fp8_sdwa v[24:25], v7 src0_sel:WORD_1
	v_mov_b32_e32 v27, 0
	v_cvt_pk_f32_fp8_e32 v[16:17], v6
	v_cvt_pk_f32_fp8_sdwa v[18:19], v6 src0_sel:WORD_1
	v_mfma_f32_16x16x16_f16 v[10:13], v[22:23], v[30:31], v[10:13]
	v_cvt_pk_f32_fp8_e32 v[22:23], v7
	v_cvt_pkrtz_f16_f32 v6, v16, v17
	v_cvt_pkrtz_f16_f32 v7, v18, v19
	ds_read_b128 v[16:19], v14 offset:4096
	v_cvt_pkrtz_f16_f32 v28, v22, v23
	v_cvt_pkrtz_f16_f32 v29, v24, v25
	ds_read_b128 v[22:25], v14 offset:4112
	v_cvt_pk_f32_fp8_e32 v[30:31], v8
	s_waitcnt lgkmcnt(1)
	v_mfma_f32_16x16x16_f16 v[10:13], v[6:7], v[16:17], v[10:13]
	v_cvt_pkrtz_f16_f32 v7, v32, v33
	v_cvt_pk_f32_fp8_e32 v[16:17], v9
	v_cvt_pkrtz_f16_f32 v6, v30, v31
	v_mfma_f32_16x16x16_f16 v[10:13], v[28:29], v[18:19], v[10:13]
	v_cvt_pk_f32_fp8_sdwa v[18:19], v9 src0_sel:WORD_1
	v_cvt_pkrtz_f16_f32 v16, v16, v17
	v_cvt_pkrtz_f16_f32 v17, v18, v19
	s_waitcnt lgkmcnt(0)
	v_mfma_f32_16x16x16_f16 v[6:9], v[6:7], v[22:23], v[10:13]
	s_waitcnt vmcnt(0)
	v_cvt_pk_f32_fp8_sdwa v[18:19], v3 src0_sel:WORD_1
	s_nop 0
	v_cvt_pkrtz_f16_f32 v23, v18, v19
	v_cvt_pk_f32_fp8_e32 v[10:11], v2
	v_cvt_pk_f32_fp8_sdwa v[12:13], v2 src0_sel:WORD_1
	v_mfma_f32_16x16x16_f16 v[6:9], v[16:17], v[24:25], v[6:9]
	v_cvt_pk_f32_fp8_e32 v[16:17], v3
	v_cvt_pkrtz_f16_f32 v2, v10, v11
	v_cvt_pkrtz_f16_f32 v3, v12, v13
	ds_read_b128 v[10:13], v14 offset:6144
	v_cvt_pkrtz_f16_f32 v22, v16, v17
	v_cvt_pk_f32_fp8_e32 v[18:19], v4
	v_cvt_pk_f32_fp8_sdwa v[24:25], v4 src0_sel:WORD_1
	s_waitcnt lgkmcnt(0)
	v_mfma_f32_16x16x16_f16 v[6:9], v[2:3], v[10:11], v[6:9]
	ds_read_b128 v[14:17], v14 offset:6160
	v_cvt_pkrtz_f16_f32 v2, v18, v19
	v_cvt_pkrtz_f16_f32 v3, v24, v25
	v_cvt_pk_f32_fp8_e32 v[10:11], v5
	v_mfma_f32_16x16x16_f16 v[6:9], v[22:23], v[12:13], v[6:9]
	v_cvt_pk_f32_fp8_sdwa v[12:13], v5 src0_sel:WORD_1
	s_waitcnt lgkmcnt(0)
	v_cvt_pkrtz_f16_f32 v10, v10, v11
	v_mfma_f32_16x16x16_f16 v[2:5], v[2:3], v[14:15], v[6:9]
	v_cvt_pkrtz_f16_f32 v11, v12, v13
	s_barrier
	s_nop 0
	v_mfma_f32_16x16x16_f16 v[2:5], v[10:11], v[16:17], v[2:5]
	s_nop 6
	v_pk_mul_f32 v[4:5], v[4:5], s[4:5] op_sel_hi:[1,0]
	v_pk_mul_f32 v[2:3], v[2:3], s[4:5] op_sel_hi:[1,0]
	v_cvt_f16_f32_e32 v4, v4
	v_cvt_f16_f32_e32 v2, v2
	;; [unrolled: 1-line block ×4, first 2 shown]
	s_and_b64 s[4:5], vcc, s[30:31]
	v_pack_b32_f16 v2, v2, v3
	v_pack_b32_f16 v3, v4, v5
	ds_write_b64 v20, v[2:3]
	s_waitcnt lgkmcnt(0)
	s_barrier
	s_and_saveexec_b64 s[8:9], s[4:5]
	s_cbranch_execz .LBB793_18
; %bb.16:
	s_load_dwordx2 s[4:5], s[0:1], 0x68
	s_lshl_b32 s0, s6, 6
	s_mul_i32 s1, s7, s2
	s_mul_hi_u32 s7, s1, s0
	s_mul_i32 s6, s1, s0
	v_lshlrev_b32_e32 v0, 10, v0
	s_lshl_b64 s[6:7], s[6:7], 1
	v_and_b32_e32 v0, 0x1800, v0
	v_lshlrev_b32_e32 v3, 5, v42
	v_and_b32_e32 v1, 16, v1
	s_waitcnt lgkmcnt(0)
	s_add_u32 s1, s4, s6
	v_or3_b32 v3, v0, v3, v1
	s_addc_u32 s4, s5, s7
	s_lshl_b32 s2, s28, 6
	s_lshl_b64 s[2:3], s[2:3], 1
	ds_read_b128 v[4:7], v3
	s_add_u32 s2, s1, s2
	s_addc_u32 s3, s4, s3
	v_add_u32_e32 v8, s48, v42
	v_or_b32_e32 v2, 4, v42
	v_lshl_add_u64 v[0:1], s[2:3], 0, v[26:27]
	v_mad_u64_u32 v[8:9], s[2:3], v8, s0, 0
	v_lshl_add_u64 v[8:9], v[8:9], 1, v[0:1]
	v_cmp_gt_u32_e32 vcc, 6, v2
	s_waitcnt lgkmcnt(0)
	global_store_dwordx4 v[8:9], v[4:7], off
	s_and_b64 exec, exec, vcc
	s_cbranch_execz .LBB793_18
; %bb.17:
	ds_read_b128 v[4:7], v3 offset:128
	v_add_u32_e32 v2, s48, v2
	v_mad_u64_u32 v[2:3], s[0:1], v2, s0, 0
	v_lshl_add_u64 v[0:1], v[2:3], 1, v[0:1]
	s_waitcnt lgkmcnt(0)
	global_store_dwordx4 v[0:1], v[4:7], off
.LBB793_18:
	s_endpgm
	.section	.rodata,"a",@progbits
	.p2align	6, 0x0
	.amdhsa_kernel _Z39paged_attention_ll4mi_QKV_mfma16_kernelIDF16_hLN4vllm18Fp8KVCacheDataTypeE1EhLi16ELi64ELi256ELb0ELi6EEvPKT_PKT0_S7_ifPKiS9_S9_iPKfiiiPfSC_PS2_PT2_iSB_SB_
		.amdhsa_group_segment_fixed_size 8192
		.amdhsa_private_segment_fixed_size 0
		.amdhsa_kernarg_size 400
		.amdhsa_user_sgpr_count 2
		.amdhsa_user_sgpr_dispatch_ptr 0
		.amdhsa_user_sgpr_queue_ptr 0
		.amdhsa_user_sgpr_kernarg_segment_ptr 1
		.amdhsa_user_sgpr_dispatch_id 0
		.amdhsa_user_sgpr_kernarg_preload_length 0
		.amdhsa_user_sgpr_kernarg_preload_offset 0
		.amdhsa_user_sgpr_private_segment_size 0
		.amdhsa_uses_dynamic_stack 0
		.amdhsa_enable_private_segment 0
		.amdhsa_system_sgpr_workgroup_id_x 1
		.amdhsa_system_sgpr_workgroup_id_y 1
		.amdhsa_system_sgpr_workgroup_id_z 1
		.amdhsa_system_sgpr_workgroup_info 0
		.amdhsa_system_vgpr_workitem_id 0
		.amdhsa_next_free_vgpr 58
		.amdhsa_next_free_sgpr 50
		.amdhsa_accum_offset 60
		.amdhsa_reserve_vcc 1
		.amdhsa_float_round_mode_32 0
		.amdhsa_float_round_mode_16_64 0
		.amdhsa_float_denorm_mode_32 3
		.amdhsa_float_denorm_mode_16_64 3
		.amdhsa_dx10_clamp 1
		.amdhsa_ieee_mode 1
		.amdhsa_fp16_overflow 0
		.amdhsa_tg_split 0
		.amdhsa_exception_fp_ieee_invalid_op 0
		.amdhsa_exception_fp_denorm_src 0
		.amdhsa_exception_fp_ieee_div_zero 0
		.amdhsa_exception_fp_ieee_overflow 0
		.amdhsa_exception_fp_ieee_underflow 0
		.amdhsa_exception_fp_ieee_inexact 0
		.amdhsa_exception_int_div_zero 0
	.end_amdhsa_kernel
	.section	.text._Z39paged_attention_ll4mi_QKV_mfma16_kernelIDF16_hLN4vllm18Fp8KVCacheDataTypeE1EhLi16ELi64ELi256ELb0ELi6EEvPKT_PKT0_S7_ifPKiS9_S9_iPKfiiiPfSC_PS2_PT2_iSB_SB_,"axG",@progbits,_Z39paged_attention_ll4mi_QKV_mfma16_kernelIDF16_hLN4vllm18Fp8KVCacheDataTypeE1EhLi16ELi64ELi256ELb0ELi6EEvPKT_PKT0_S7_ifPKiS9_S9_iPKfiiiPfSC_PS2_PT2_iSB_SB_,comdat
.Lfunc_end793:
	.size	_Z39paged_attention_ll4mi_QKV_mfma16_kernelIDF16_hLN4vllm18Fp8KVCacheDataTypeE1EhLi16ELi64ELi256ELb0ELi6EEvPKT_PKT0_S7_ifPKiS9_S9_iPKfiiiPfSC_PS2_PT2_iSB_SB_, .Lfunc_end793-_Z39paged_attention_ll4mi_QKV_mfma16_kernelIDF16_hLN4vllm18Fp8KVCacheDataTypeE1EhLi16ELi64ELi256ELb0ELi6EEvPKT_PKT0_S7_ifPKiS9_S9_iPKfiiiPfSC_PS2_PT2_iSB_SB_
                                        ; -- End function
	.section	.AMDGPU.csdata,"",@progbits
; Kernel info:
; codeLenInByte = 4588
; NumSgprs: 56
; NumVgprs: 58
; NumAgprs: 0
; TotalNumVgprs: 58
; ScratchSize: 0
; MemoryBound: 0
; FloatMode: 240
; IeeeMode: 1
; LDSByteSize: 8192 bytes/workgroup (compile time only)
; SGPRBlocks: 6
; VGPRBlocks: 7
; NumSGPRsForWavesPerEU: 56
; NumVGPRsForWavesPerEU: 58
; AccumOffset: 60
; Occupancy: 8
; WaveLimiterHint : 1
; COMPUTE_PGM_RSRC2:SCRATCH_EN: 0
; COMPUTE_PGM_RSRC2:USER_SGPR: 2
; COMPUTE_PGM_RSRC2:TRAP_HANDLER: 0
; COMPUTE_PGM_RSRC2:TGID_X_EN: 1
; COMPUTE_PGM_RSRC2:TGID_Y_EN: 1
; COMPUTE_PGM_RSRC2:TGID_Z_EN: 1
; COMPUTE_PGM_RSRC2:TIDIG_COMP_CNT: 0
; COMPUTE_PGM_RSRC3_GFX90A:ACCUM_OFFSET: 14
; COMPUTE_PGM_RSRC3_GFX90A:TG_SPLIT: 0
	.section	.text._Z39paged_attention_ll4mi_QKV_mfma16_kernelIDF16_hLN4vllm18Fp8KVCacheDataTypeE1EhLi16ELi64ELi256ELb0ELi7EEvPKT_PKT0_S7_ifPKiS9_S9_iPKfiiiPfSC_PS2_PT2_iSB_SB_,"axG",@progbits,_Z39paged_attention_ll4mi_QKV_mfma16_kernelIDF16_hLN4vllm18Fp8KVCacheDataTypeE1EhLi16ELi64ELi256ELb0ELi7EEvPKT_PKT0_S7_ifPKiS9_S9_iPKfiiiPfSC_PS2_PT2_iSB_SB_,comdat
	.protected	_Z39paged_attention_ll4mi_QKV_mfma16_kernelIDF16_hLN4vllm18Fp8KVCacheDataTypeE1EhLi16ELi64ELi256ELb0ELi7EEvPKT_PKT0_S7_ifPKiS9_S9_iPKfiiiPfSC_PS2_PT2_iSB_SB_ ; -- Begin function _Z39paged_attention_ll4mi_QKV_mfma16_kernelIDF16_hLN4vllm18Fp8KVCacheDataTypeE1EhLi16ELi64ELi256ELb0ELi7EEvPKT_PKT0_S7_ifPKiS9_S9_iPKfiiiPfSC_PS2_PT2_iSB_SB_
	.globl	_Z39paged_attention_ll4mi_QKV_mfma16_kernelIDF16_hLN4vllm18Fp8KVCacheDataTypeE1EhLi16ELi64ELi256ELb0ELi7EEvPKT_PKT0_S7_ifPKiS9_S9_iPKfiiiPfSC_PS2_PT2_iSB_SB_
	.p2align	8
	.type	_Z39paged_attention_ll4mi_QKV_mfma16_kernelIDF16_hLN4vllm18Fp8KVCacheDataTypeE1EhLi16ELi64ELi256ELb0ELi7EEvPKT_PKT0_S7_ifPKiS9_S9_iPKfiiiPfSC_PS2_PT2_iSB_SB_,@function
_Z39paged_attention_ll4mi_QKV_mfma16_kernelIDF16_hLN4vllm18Fp8KVCacheDataTypeE1EhLi16ELi64ELi256ELb0ELi7EEvPKT_PKT0_S7_ifPKiS9_S9_iPKfiiiPfSC_PS2_PT2_iSB_SB_: ; @_Z39paged_attention_ll4mi_QKV_mfma16_kernelIDF16_hLN4vllm18Fp8KVCacheDataTypeE1EhLi16ELi64ELi256ELb0ELi7EEvPKT_PKT0_S7_ifPKiS9_S9_iPKfiiiPfSC_PS2_PT2_iSB_SB_
; %bb.0:
	s_load_dwordx2 s[12:13], s[0:1], 0x30
	s_mov_b32 s28, s3
	s_mov_b64 s[6:7], 0
	s_waitcnt lgkmcnt(0)
	s_cmp_lg_u64 s[12:13], 0
	s_cselect_b64 s[14:15], -1, 0
	s_and_b64 vcc, exec, s[14:15]
	s_cbranch_vccz .LBB794_7
; %bb.1:
	s_add_i32 s8, s2, 1
	s_mov_b32 s9, 0
	s_lshl_b64 s[10:11], s[8:9], 2
	s_add_u32 s10, s12, s10
	s_mov_b32 s3, s9
	s_addc_u32 s11, s13, s11
	s_lshl_b64 s[8:9], s[2:3], 2
	s_add_u32 s8, s12, s8
	s_addc_u32 s9, s13, s9
	s_load_dword s5, s[10:11], 0x0
	s_load_dword s16, s[8:9], 0x0
	s_waitcnt lgkmcnt(0)
	s_sub_i32 s5, s5, s16
	s_cmp_eq_u32 s5, 1
	s_cselect_b64 s[8:9], -1, 0
	s_andn2_b64 vcc, exec, s[6:7]
	s_cbranch_vccnz .LBB794_3
.LBB794_2:
	s_mov_b32 s3, 0
	s_mov_b64 s[8:9], -1
.LBB794_3:
	s_andn2_b64 vcc, exec, s[8:9]
	s_cbranch_vccnz .LBB794_18
; %bb.4:
	s_load_dwordx2 s[6:7], s[0:1], 0x28
	s_lshl_b64 s[16:17], s[2:3], 2
	s_waitcnt lgkmcnt(0)
	s_add_u32 s6, s6, s16
	s_addc_u32 s7, s7, s17
	s_load_dword s33, s[6:7], 0x0
	s_lshl_b32 s5, s28, 8
	s_waitcnt lgkmcnt(0)
	s_cmp_ge_i32 s5, s33
	s_cbranch_scc1 .LBB794_18
; %bb.5:
	s_load_dwordx2 s[6:7], s[0:1], 0x20
	s_load_dword s8, s[0:1], 0x38
	s_add_i32 s9, s33, 15
	s_ashr_i32 s10, s9, 31
	v_and_b32_e32 v1, 0xcf, v0
	s_lshr_b32 s10, s10, 28
	v_add_u32_e32 v1, s5, v1
	s_add_i32 s9, s9, s10
	v_ashrrev_i32_e32 v2, 31, v1
	s_ashr_i32 s18, s9, 4
	v_lshrrev_b32_e32 v4, 28, v2
	s_add_i32 s18, s18, -1
	s_waitcnt lgkmcnt(0)
	s_mul_i32 s8, s2, s8
	s_mov_b32 s9, 0
	v_add_u32_e32 v2, v1, v4
	s_lshl_b64 s[8:9], s[8:9], 2
	v_ashrrev_i32_e32 v2, 4, v2
	v_mov_b32_e32 v5, s18
	v_cmp_gt_i32_e32 vcc, s33, v1
	s_add_u32 s6, s6, s8
	s_addc_u32 s7, s7, s9
	v_cndmask_b32_e32 v2, v5, v2, vcc
	v_ashrrev_i32_e32 v3, 31, v2
	v_lshl_add_u64 v[6:7], v[2:3], 2, s[6:7]
	v_or_b32_e32 v2, 16, v1
	v_add_u32_e32 v3, v2, v4
	v_ashrrev_i32_e32 v3, 4, v3
	v_cmp_gt_i32_e32 vcc, s33, v2
	s_load_dwordx4 s[8:11], s[0:1], 0x8
	s_nop 0
	v_cndmask_b32_e32 v2, v5, v3, vcc
	v_ashrrev_i32_e32 v3, 31, v2
	v_lshl_add_u64 v[10:11], v[2:3], 2, s[6:7]
	v_or_b32_e32 v2, 32, v1
	v_add_u32_e32 v3, v2, v4
	v_ashrrev_i32_e32 v3, 4, v3
	v_cmp_gt_i32_e32 vcc, s33, v2
	v_or_b32_e32 v1, 48, v1
	s_nop 0
	v_cndmask_b32_e32 v2, v5, v3, vcc
	v_ashrrev_i32_e32 v3, 31, v2
	v_lshl_add_u64 v[12:13], v[2:3], 2, s[6:7]
	v_add_u32_e32 v2, v1, v4
	v_ashrrev_i32_e32 v2, 4, v2
	v_cmp_gt_i32_e32 vcc, s33, v1
	s_nop 1
	v_cndmask_b32_e32 v2, v5, v2, vcc
	v_ashrrev_i32_e32 v3, 31, v2
	v_lshl_add_u64 v[14:15], v[2:3], 2, s[6:7]
	global_load_dword v4, v[6:7], off
	global_load_dword v3, v[10:11], off
	;; [unrolled: 1-line block ×4, first 2 shown]
	s_andn2_b64 vcc, exec, s[14:15]
	s_cbranch_vccnz .LBB794_8
; %bb.6:
	s_add_u32 s12, s12, s16
	s_addc_u32 s13, s13, s17
	s_load_dword s14, s[12:13], 0x0
	s_branch .LBB794_9
.LBB794_7:
	s_mov_b64 s[8:9], 0
	s_branch .LBB794_2
.LBB794_8:
	s_mov_b32 s14, s2
.LBB794_9:
	s_load_dwordx4 s[44:47], s[0:1], 0x48
	v_lshrrev_b32_e32 v29, 6, v0
	v_bfe_u32 v42, v0, 4, 2
	v_lshl_or_b32 v5, v29, 2, v42
	v_and_b32_e32 v28, 15, v0
	v_lshlrev_b32_e32 v1, 3, v28
	v_cmp_gt_u32_e32 vcc, 7, v5
	v_cmp_gt_u32_e64 s[30:31], 8, v28
	v_and_b32_e32 v43, 63, v0
	s_mul_i32 s48, s4, 7
	s_and_b64 s[16:17], s[30:31], vcc
	v_lshlrev_b32_e32 v26, 1, v1
	v_lshlrev_b32_e32 v1, 4, v0
	s_and_saveexec_b64 s[12:13], s[16:17]
	s_cbranch_execz .LBB794_11
; %bb.10:
	s_load_dwordx2 s[16:17], s[0:1], 0x0
	s_waitcnt lgkmcnt(0)
	s_ashr_i32 s15, s44, 31
	s_mul_hi_u32 s19, s14, s44
	s_mul_i32 s15, s14, s15
	s_add_i32 s15, s19, s15
	s_mul_i32 s14, s14, s44
	s_lshl_b64 s[14:15], s[14:15], 1
	s_add_u32 s14, s16, s14
	v_add_lshl_u32 v6, v5, s48, 6
	s_addc_u32 s15, s17, s15
	v_ashrrev_i32_e32 v7, 31, v6
	v_lshl_add_u64 v[6:7], v[6:7], 1, s[14:15]
	v_mov_b32_e32 v27, 0
	v_lshl_add_u64 v[6:7], v[6:7], 0, v[26:27]
	global_load_dwordx4 v[10:13], v[6:7], off
	v_lshlrev_b32_e32 v7, 8, v28
	v_lshlrev_b32_e32 v5, 5, v5
	v_and_b32_e32 v6, 16, v1
	v_and_b32_e32 v7, 0xe00, v7
	v_or3_b32 v5, v7, v5, v6
	s_waitcnt vmcnt(0)
	ds_write_b128 v5, v[10:13]
.LBB794_11:
	s_or_b64 exec, exec, s[12:13]
	s_waitcnt lgkmcnt(0)
	s_mul_i32 s4, s4, s46
	s_add_u32 s8, s8, s4
	s_addc_u32 s9, s9, 0
	v_and_b32_e32 v9, 48, v0
	v_and_b32_e32 v30, 0xf0, v1
	v_mov_b32_e32 v31, 0
	v_lshl_add_u64 v[6:7], s[8:9], 0, v[30:31]
	v_lshlrev_b32_e32 v30, 4, v9
	v_or_b32_e32 v9, s5, v9
	v_ashrrev_i32_e32 v10, 4, v9
	v_mov_b32_e32 v12, s18
	v_cmp_gt_i32_e32 vcc, s33, v9
	v_lshl_add_u64 v[6:7], v[6:7], 0, v[30:31]
	s_load_dword s29, s[0:1], 0x98
	s_load_dwordx4 s[40:43], s[0:1], 0x80
	v_cndmask_b32_e32 v10, v12, v10, vcc
	v_ashrrev_i32_e32 v11, 31, v10
	v_lshl_add_u64 v[10:11], v[10:11], 2, s[6:7]
	s_waitcnt lgkmcnt(0)
	s_barrier
	s_waitcnt vmcnt(3)
	v_mad_i64_i32 v[4:5], s[8:9], v4, s45, v[6:7]
	global_load_dword v38, v[10:11], off
	global_load_dwordx4 v[22:25], v[4:5], off
	s_waitcnt vmcnt(4)
	v_mad_i64_i32 v[4:5], s[8:9], v3, s45, v[6:7]
	global_load_dwordx4 v[18:21], v[4:5], off
	s_waitcnt vmcnt(4)
	v_mad_i64_i32 v[2:3], s[8:9], v2, s45, v[6:7]
	global_load_dwordx4 v[2:5], v[2:3], off
	v_mul_lo_u16_e32 v10, 37, v28
	v_mov_b32_e32 v11, 7
	v_mul_lo_u16_sdwa v10, v10, v11 dst_sel:DWORD dst_unused:UNUSED_PAD src0_sel:BYTE_1 src1_sel:DWORD
	v_mov_b32_e32 v13, 5
	v_sub_u16_e32 v10, v28, v10
	v_or_b32_e32 v11, 64, v9
	v_or_b32_e32 v15, 0x80, v9
	v_lshlrev_b32_sdwa v10, v13, v10 dst_sel:DWORD dst_unused:UNUSED_PAD src0_sel:DWORD src1_sel:BYTE_0
	v_ashrrev_i32_e32 v13, 4, v11
	v_cmp_gt_i32_e32 vcc, s33, v11
	v_or_b32_e32 v9, 0xc0, v9
	v_ashrrev_i32_e32 v16, 4, v15
	s_add_u32 s8, s10, s4
	v_cndmask_b32_e32 v32, v12, v13, vcc
	v_cmp_gt_i32_e32 vcc, s33, v15
	v_ashrrev_i32_e32 v17, 4, v9
	s_addc_u32 s9, s11, 0
	v_cndmask_b32_e32 v34, v12, v16, vcc
	v_cmp_gt_i32_e32 vcc, s33, v9
	s_waitcnt vmcnt(4)
	v_mad_i64_i32 v[6:7], s[10:11], v8, s45, v[6:7]
	v_lshl_add_u32 v27, v42, 9, v10
	v_cndmask_b32_e32 v36, v12, v17, vcc
	global_load_dwordx4 v[10:13], v[6:7], off
	v_ashrrev_i32_e32 v33, 31, v32
	v_ashrrev_i32_e32 v35, 31, v34
	;; [unrolled: 1-line block ×3, first 2 shown]
	v_lshlrev_b32_e32 v14, 4, v28
	v_lshl_add_u64 v[32:33], v[32:33], 2, s[6:7]
	v_lshl_add_u64 v[34:35], v[34:35], 2, s[6:7]
	;; [unrolled: 1-line block ×3, first 2 shown]
	v_lshl_or_b32 v30, v29, 8, v14
	ds_read_b128 v[14:17], v27
	ds_read_b128 v[6:9], v27 offset:16
	s_load_dword s4, s[40:41], 0x0
	global_load_dword v45, v[32:33], off
	global_load_dword v27, v[34:35], off
	global_load_dword v44, v[36:37], off
	v_lshl_add_u64 v[30:31], s[8:9], 0, v[30:31]
	s_load_dword s12, s[0:1], 0x1c
	s_mov_b32 s44, 0xff7fffff
	s_waitcnt vmcnt(7)
	v_mad_i64_i32 v[32:33], s[6:7], v38, s45, v[30:31]
	s_waitcnt vmcnt(6)
	v_cvt_pk_f32_fp8_e32 v[34:35], v22
	v_cvt_pk_f32_fp8_sdwa v[36:37], v22 src0_sel:WORD_1
	v_cvt_pk_f32_fp8_e32 v[38:39], v23
	v_cvt_pk_f32_fp8_sdwa v[40:41], v23 src0_sel:WORD_1
	v_cvt_pkrtz_f16_f32 v34, v34, v35
	v_cvt_pkrtz_f16_f32 v35, v36, v37
	s_waitcnt vmcnt(5)
	v_cvt_pk_f32_fp8_e32 v[22:23], v18
	v_cvt_pk_f32_fp8_e32 v[46:47], v24
	v_cvt_pk_f32_fp8_sdwa v[48:49], v24 src0_sel:WORD_1
	v_cvt_pkrtz_f16_f32 v38, v38, v39
	v_cvt_pkrtz_f16_f32 v39, v40, v41
	v_cvt_pk_f32_fp8_e32 v[50:51], v25
	v_cvt_pk_f32_fp8_sdwa v[52:53], v18 src0_sel:WORD_1
	v_cvt_pk_f32_fp8_sdwa v[54:55], v25 src0_sel:WORD_1
	v_cvt_pkrtz_f16_f32 v36, v22, v23
	s_waitcnt lgkmcnt(0)
	v_mfma_f32_16x16x16_f16 v[22:25], v[34:35], v[14:15], 0
	v_cvt_pkrtz_f16_f32 v40, v46, v47
	v_cvt_pkrtz_f16_f32 v41, v48, v49
	v_cvt_pk_f32_fp8_e32 v[56:57], v19
	v_cvt_pkrtz_f16_f32 v37, v52, v53
	v_cvt_pk_f32_fp8_sdwa v[18:19], v19 src0_sel:WORD_1
	v_mfma_f32_16x16x16_f16 v[22:25], v[38:39], v[16:17], v[22:25]
	v_cvt_pkrtz_f16_f32 v38, v50, v51
	v_cvt_pkrtz_f16_f32 v39, v54, v55
	v_cvt_pk_f32_fp8_e32 v[52:53], v20
	v_cvt_pk_f32_fp8_sdwa v[46:47], v20 src0_sel:WORD_1
	v_mfma_f32_16x16x16_f16 v[22:25], v[40:41], v[6:7], v[22:25]
	v_cvt_pkrtz_f16_f32 v50, v56, v57
	v_cvt_pkrtz_f16_f32 v51, v18, v19
	v_cvt_pk_f32_fp8_e32 v[48:49], v21
	v_mfma_f32_16x16x16_f16 v[34:37], v[36:37], v[14:15], 0
	v_mfma_f32_16x16x16_f16 v[38:41], v[38:39], v[8:9], v[22:25]
	s_nop 2
	v_cvt_pk_f32_fp8_sdwa v[22:23], v21 src0_sel:WORD_1
	v_cvt_pkrtz_f16_f32 v24, v52, v53
	v_cvt_pkrtz_f16_f32 v25, v46, v47
	v_mfma_f32_16x16x16_f16 v[18:21], v[50:51], v[16:17], v[34:37]
	s_waitcnt vmcnt(4)
	v_cvt_pk_f32_fp8_sdwa v[46:47], v4 src0_sel:WORD_1
	s_nop 0
	v_cvt_pkrtz_f16_f32 v34, v48, v49
	v_cvt_pkrtz_f16_f32 v35, v22, v23
	v_mfma_f32_16x16x16_f16 v[18:21], v[24:25], v[6:7], v[18:21]
	v_cvt_pk_f32_fp8_e32 v[22:23], v2
	v_cvt_pk_f32_fp8_sdwa v[24:25], v2 src0_sel:WORD_1
	v_mov_b32_e32 v36, s12
	v_mfma_f32_16x16x16_f16 v[18:21], v[34:35], v[8:9], v[18:21]
	v_cvt_pk_f32_fp8_e32 v[34:35], v3
	v_cvt_pkrtz_f16_f32 v22, v22, v23
	v_cvt_pkrtz_f16_f32 v23, v24, v25
	v_cvt_pk_f32_fp8_sdwa v[2:3], v3 src0_sel:WORD_1
	v_mul_f32_e32 v50, s4, v36
	v_cvt_pkrtz_f16_f32 v34, v34, v35
	v_cvt_pk_f32_fp8_e32 v[36:37], v4
	v_cvt_pkrtz_f16_f32 v35, v2, v3
	v_mfma_f32_16x16x16_f16 v[22:25], v[22:23], v[14:15], 0
	v_cvt_pk_f32_fp8_sdwa v[48:49], v5 src0_sel:WORD_1
	v_cvt_pkrtz_f16_f32 v36, v36, v37
	v_cvt_pkrtz_f16_f32 v37, v46, v47
	v_cvt_pk_f32_fp8_e32 v[46:47], v5
	v_mfma_f32_16x16x16_f16 v[2:5], v[34:35], v[16:17], v[22:25]
	s_nop 2
	v_cvt_pkrtz_f16_f32 v24, v46, v47
	v_cvt_pkrtz_f16_f32 v25, v48, v49
	v_mfma_f32_16x16x16_f16 v[34:37], v[36:37], v[6:7], v[2:5]
	v_pk_mul_f32 v[22:23], v[50:51], v[40:41] op_sel_hi:[0,1]
	s_waitcnt vmcnt(3)
	v_cvt_pk_f32_fp8_sdwa v[40:41], v12 src0_sel:WORD_1
	v_pk_mul_f32 v[2:3], v[50:51], v[38:39] op_sel_hi:[0,1]
	v_cvt_pk_f32_fp8_e32 v[4:5], v10
	v_cvt_pk_f32_fp8_sdwa v[38:39], v10 src0_sel:WORD_1
	v_mfma_f32_16x16x16_f16 v[46:49], v[24:25], v[8:9], v[34:37]
	v_cvt_pk_f32_fp8_e32 v[24:25], v11
	v_cvt_pkrtz_f16_f32 v4, v4, v5
	v_cvt_pkrtz_f16_f32 v5, v38, v39
	v_cvt_pk_f32_fp8_sdwa v[10:11], v11 src0_sel:WORD_1
	v_cvt_pkrtz_f16_f32 v24, v24, v25
	v_cvt_pk_f32_fp8_e32 v[38:39], v12
	v_mfma_f32_16x16x16_f16 v[34:37], v[4:5], v[14:15], 0
	v_cvt_pkrtz_f16_f32 v25, v10, v11
	v_cvt_pkrtz_f16_f32 v4, v38, v39
	;; [unrolled: 1-line block ×3, first 2 shown]
	v_cvt_pk_f32_fp8_e32 v[14:15], v13
	v_cvt_pk_f32_fp8_sdwa v[38:39], v13 src0_sel:WORD_1
	v_mfma_f32_16x16x16_f16 v[10:13], v[24:25], v[16:17], v[34:37]
	v_pk_mul_f32 v[40:41], v[50:51], v[18:19] op_sel_hi:[0,1]
	v_cvt_pkrtz_f16_f32 v14, v14, v15
	v_cvt_pkrtz_f16_f32 v15, v38, v39
	v_mfma_f32_16x16x16_f16 v[4:7], v[4:5], v[6:7], v[10:13]
	v_pk_mul_f32 v[36:37], v[50:51], v[20:21] op_sel_hi:[0,1]
	v_pk_mul_f32 v[38:39], v[50:51], v[46:47] op_sel_hi:[0,1]
	;; [unrolled: 1-line block ×3, first 2 shown]
	v_mfma_f32_16x16x16_f16 v[4:7], v[14:15], v[8:9], v[4:7]
	s_nop 6
	v_pk_mul_f32 v[24:25], v[50:51], v[4:5] op_sel_hi:[0,1]
	v_and_b32_e32 v4, 0xc0, v0
	v_add_u32_e32 v4, s5, v4
	v_lshl_or_b32 v4, v42, 2, v4
	v_pk_mul_f32 v[18:19], v[50:51], v[6:7] op_sel_hi:[0,1]
	v_or_b32_e32 v7, 1, v4
	v_mov_b32_e32 v5, 0xff7fffff
	v_cmp_gt_i32_e64 s[4:5], s33, v4
	v_cmp_gt_i32_e64 s[34:35], s33, v7
	v_or_b32_e32 v8, 3, v4
	v_cndmask_b32_e64 v6, v5, v2, s[4:5]
	v_cndmask_b32_e64 v7, v5, v3, s[34:35]
	v_max3_f32 v6, v6, s44, v7
	v_or_b32_e32 v7, 2, v4
	v_cmp_gt_i32_e64 s[36:37], s33, v7
	v_cmp_gt_i32_e64 s[38:39], s33, v8
	s_nop 0
	v_cndmask_b32_e64 v7, v5, v22, s[36:37]
	v_cndmask_b32_e64 v8, v5, v23, s[38:39]
	v_max3_f32 v6, v6, v7, v8
	v_or_b32_e32 v7, 16, v4
	v_or_b32_e32 v8, 17, v4
	v_cmp_gt_i32_e64 s[24:25], s33, v7
	v_cmp_gt_i32_e64 s[26:27], s33, v8
	s_nop 0
	v_cndmask_b32_e64 v7, v5, v40, s[24:25]
	v_cndmask_b32_e64 v8, v5, v41, s[26:27]
	v_max3_f32 v6, v6, v7, v8
	v_or_b32_e32 v7, 18, v4
	;; [unrolled: 8-line block ×6, first 2 shown]
	v_or_b32_e32 v4, 51, v4
	v_cmp_gt_i32_e32 vcc, s33, v7
	v_cmp_gt_i32_e64 s[6:7], s33, v4
	s_nop 0
	v_cndmask_b32_e32 v7, v5, v18, vcc
	v_cndmask_b32_e64 v4, v5, v19, s[6:7]
	v_max3_f32 v6, v6, v7, v4
	v_mbcnt_lo_u32_b32 v4, -1, 0
	v_mbcnt_hi_u32_b32 v7, -1, v4
	v_and_b32_e32 v4, 64, v7
	v_add_u32_e32 v8, 64, v4
	v_xor_b32_e32 v4, 32, v7
	v_cmp_lt_i32_e64 s[40:41], v4, v8
	s_nop 1
	v_cndmask_b32_e64 v4, v7, v4, s[40:41]
	v_lshlrev_b32_e32 v46, 2, v4
	ds_bpermute_b32 v9, v46, v6
	s_waitcnt vmcnt(2)
	v_mad_i64_i32 v[4:5], s[40:41], v45, s45, v[30:31]
	global_load_dwordx4 v[14:17], v[32:33], off
	global_load_dwordx4 v[10:13], v[4:5], off
	v_xor_b32_e32 v5, 16, v7
	v_cmp_lt_i32_e64 s[40:41], v5, v8
	s_waitcnt lgkmcnt(0)
	v_max_f32_e32 v4, v9, v9
	v_max_f32_e32 v4, v6, v4
	v_cndmask_b32_e64 v5, v7, v5, s[40:41]
	v_lshlrev_b32_e32 v45, 2, v5
	ds_bpermute_b32 v5, v45, v4
	s_waitcnt vmcnt(3)
	v_mad_i64_i32 v[20:21], s[40:41], v27, s45, v[30:31]
	s_waitcnt vmcnt(2)
	v_mad_i64_i32 v[30:31], s[40:41], v44, s45, v[30:31]
	s_waitcnt lgkmcnt(0)
	v_max_f32_e32 v5, v5, v5
	v_max_f32_e32 v27, v4, v5
	v_sub_f32_e32 v2, v2, v27
	v_mul_f32_e32 v2, 0x3fb8aa3b, v2
	v_exp_f32_e32 v32, v2
	v_sub_f32_e32 v2, v3, v27
	v_mul_f32_e32 v2, 0x3fb8aa3b, v2
	v_exp_f32_e32 v33, v2
	global_load_dwordx4 v[6:9], v[20:21], off
	global_load_dwordx4 v[2:5], v[30:31], off
	v_sub_f32_e32 v22, v22, v27
	v_mul_f32_e32 v22, 0x3fb8aa3b, v22
	v_sub_f32_e32 v23, v23, v27
	v_exp_f32_e32 v22, v22
	v_mul_f32_e32 v23, 0x3fb8aa3b, v23
	v_exp_f32_e32 v23, v23
	v_cndmask_b32_e64 v20, 0, v32, s[4:5]
	v_add_f32_e32 v30, 0, v20
	v_cndmask_b32_e64 v21, 0, v33, s[34:35]
	v_add_f32_e32 v30, v30, v21
	;; [unrolled: 2-line block ×3, first 2 shown]
	v_cndmask_b32_e64 v33, 0, v23, s[38:39]
	v_sub_f32_e32 v23, v40, v27
	v_sub_f32_e32 v30, v41, v27
	v_mul_f32_e32 v23, 0x3fb8aa3b, v23
	v_mul_f32_e32 v30, 0x3fb8aa3b, v30
	v_exp_f32_e32 v23, v23
	v_exp_f32_e32 v30, v30
	v_add_f32_e32 v31, v22, v33
	v_sub_f32_e32 v34, v34, v27
	v_cndmask_b32_e64 v22, 0, v23, s[24:25]
	v_cndmask_b32_e64 v23, 0, v30, s[26:27]
	v_sub_f32_e32 v30, v36, v27
	v_mul_f32_e32 v30, 0x3fb8aa3b, v30
	v_exp_f32_e32 v30, v30
	v_sub_f32_e32 v36, v37, v27
	v_add_f32_e32 v31, v31, v22
	v_mul_f32_e32 v36, 0x3fb8aa3b, v36
	v_exp_f32_e32 v37, v36
	v_add_f32_e32 v31, v31, v23
	v_cndmask_b32_e64 v36, 0, v30, s[20:21]
	v_add_f32_e32 v30, v31, v36
	v_sub_f32_e32 v31, v38, v27
	v_mul_f32_e32 v31, 0x3fb8aa3b, v31
	v_sub_f32_e32 v38, v39, v27
	v_exp_f32_e32 v31, v31
	v_mul_f32_e32 v38, 0x3fb8aa3b, v38
	v_exp_f32_e32 v38, v38
	v_mul_f32_e32 v34, 0x3fb8aa3b, v34
	v_sub_f32_e32 v35, v35, v27
	v_exp_f32_e32 v34, v34
	v_mul_f32_e32 v35, 0x3fb8aa3b, v35
	v_sub_f32_e32 v24, v24, v27
	v_cndmask_b32_e64 v37, 0, v37, s[22:23]
	v_exp_f32_e32 v35, v35
	v_mul_f32_e32 v24, 0x3fb8aa3b, v24
	v_sub_f32_e32 v25, v25, v27
	v_add_f32_e32 v39, v30, v37
	v_cndmask_b32_e64 v30, 0, v31, s[16:17]
	v_exp_f32_e32 v24, v24
	v_mul_f32_e32 v25, 0x3fb8aa3b, v25
	v_sub_f32_e32 v18, v18, v27
	v_add_f32_e32 v39, v39, v30
	;; [unrolled: 5-line block ×3, first 2 shown]
	v_cndmask_b32_e64 v34, 0, v34, s[12:13]
	v_exp_f32_e32 v18, v18
	v_mul_f32_e32 v19, 0x3fb8aa3b, v19
	v_add_f32_e32 v38, v38, v34
	v_cndmask_b32_e64 v35, 0, v35, s[14:15]
	v_exp_f32_e32 v19, v19
	v_add_f32_e32 v38, v38, v35
	v_cndmask_b32_e64 v24, 0, v24, s[8:9]
	v_add_f32_e32 v38, v38, v24
	v_cndmask_b32_e64 v25, 0, v25, s[10:11]
	v_add_f32_e32 v38, v38, v25
	v_cndmask_b32_e32 v18, 0, v18, vcc
	v_add_f32_e32 v38, v38, v18
	v_cndmask_b32_e64 v19, 0, v19, s[6:7]
	v_add_f32_e32 v38, v38, v19
	ds_bpermute_b32 v39, v46, v38
	v_cmp_gt_u32_e32 vcc, 16, v43
	s_waitcnt lgkmcnt(0)
	s_barrier
	v_add_f32_e32 v39, v38, v39
	ds_bpermute_b32 v40, v45, v39
	v_lshlrev_b32_e32 v38, 2, v28
	s_and_saveexec_b64 s[4:5], vcc
	s_cbranch_execz .LBB794_13
; %bb.12:
	s_waitcnt lgkmcnt(0)
	v_add_f32_e32 v39, v39, v40
	v_lshl_or_b32 v40, v29, 6, v38
	ds_write2st64_b32 v40, v27, v39 offset1:1
.LBB794_13:
	s_or_b64 exec, exec, s[4:5]
	s_load_dword s6, s[0:1], 0x94
	s_waitcnt lgkmcnt(0)
	s_barrier
	ds_read2_b32 v[40:41], v38 offset1:16
	ds_read2_b32 v[44:45], v38 offset0:32 offset1:48
	ds_read2_b32 v[46:47], v38 offset0:64 offset1:80
	s_mul_i32 s7, s29, 7
	s_waitcnt lgkmcnt(2)
	v_max3_f32 v27, v40, s44, v41
	s_waitcnt lgkmcnt(1)
	v_max3_f32 v27, v27, v44, v45
	v_sub_f32_e32 v39, v40, v27
	v_sub_f32_e32 v40, v41, v27
	v_mul_f32_e32 v40, 0x3fb8aa3b, v40
	v_mul_f32_e32 v39, 0x3fb8aa3b, v39
	v_exp_f32_e32 v43, v40
	v_sub_f32_e32 v40, v44, v27
	v_exp_f32_e32 v39, v39
	v_mul_f32_e32 v40, 0x3fb8aa3b, v40
	v_exp_f32_e32 v44, v40
	ds_read2_b32 v[40:41], v38 offset0:96 offset1:112
	v_sub_f32_e32 v38, v45, v27
	v_mul_f32_e32 v38, 0x3fb8aa3b, v38
	v_exp_f32_e32 v45, v38
	s_waitcnt lgkmcnt(1)
	v_fma_f32 v38, v39, v46, 0
	v_fmac_f32_e32 v38, v43, v47
	s_waitcnt lgkmcnt(0)
	v_fmac_f32_e32 v38, v44, v40
	v_fmac_f32_e32 v38, v45, v41
	v_add_f32_e32 v40, 0x358637bd, v38
	v_div_scale_f32 v41, s[4:5], v40, v40, 1.0
	v_rcp_f32_e32 v46, v41
	s_barrier
	v_fma_f32 v47, -v41, v46, 1.0
	v_fmac_f32_e32 v46, v47, v46
	v_div_scale_f32 v47, vcc, 1.0, v40, 1.0
	v_mul_f32_e32 v48, v47, v46
	v_fma_f32 v49, -v41, v48, v47
	v_fmac_f32_e32 v48, v49, v46
	v_fma_f32 v41, -v41, v48, v47
	v_div_fmas_f32 v41, v41, v46, v48
	v_cmp_eq_u32_e32 vcc, 1, v29
	v_div_fixup_f32 v40, v41, v40, 1.0
	s_nop 0
	v_cndmask_b32_e32 v39, v39, v43, vcc
	v_cmp_eq_u32_e32 vcc, 2, v29
	s_nop 1
	v_cndmask_b32_e32 v39, v39, v44, vcc
	v_cmp_eq_u32_e32 vcc, 3, v29
	v_lshlrev_b32_e32 v29, 11, v29
	s_nop 0
	v_cndmask_b32_e32 v39, v39, v45, vcc
	v_mul_f32_e32 v40, v39, v40
	v_pk_mul_f32 v[20:21], v[40:41], v[20:21] op_sel_hi:[0,1]
	v_pk_mul_f32 v[32:33], v[40:41], v[32:33] op_sel_hi:[0,1]
	v_cvt_f16_f32_e32 v20, v20
	v_cvt_f16_f32_e32 v21, v21
	v_pk_mul_f32 v[36:37], v[40:41], v[36:37] op_sel_hi:[0,1]
	v_pk_mul_f32 v[22:23], v[40:41], v[22:23] op_sel_hi:[0,1]
	v_cvt_f16_f32_e32 v39, v32
	v_cvt_f16_f32_e32 v33, v33
	;; [unrolled: 1-line block ×6, first 2 shown]
	v_pack_b32_f16 v32, v20, v21
	v_lshlrev_b32_e32 v20, 3, v42
	v_lshlrev_b32_e32 v21, 5, v28
	v_pack_b32_f16 v33, v39, v33
	v_or3_b32 v20, v29, v21, v20
	v_pack_b32_f16 v22, v22, v23
	v_pack_b32_f16 v23, v36, v37
	ds_write2st64_b64 v20, v[32:33], v[22:23] offset1:1
	v_pk_mul_f32 v[22:23], v[40:41], v[34:35] op_sel_hi:[0,1]
	v_pk_mul_f32 v[30:31], v[40:41], v[30:31] op_sel_hi:[0,1]
	v_cvt_f16_f32_e32 v29, v30
	v_cvt_f16_f32_e32 v30, v31
	;; [unrolled: 1-line block ×4, first 2 shown]
	v_pk_mul_f32 v[18:19], v[40:41], v[18:19] op_sel_hi:[0,1]
	v_pk_mul_f32 v[22:23], v[40:41], v[24:25] op_sel_hi:[0,1]
	v_cvt_f16_f32_e32 v22, v22
	v_cvt_f16_f32_e32 v23, v23
	;; [unrolled: 1-line block ×4, first 2 shown]
	v_pack_b32_f16 v18, v29, v30
	v_pack_b32_f16 v19, v31, v32
	;; [unrolled: 1-line block ×4, first 2 shown]
	v_cmp_gt_u32_e32 vcc, 7, v0
	ds_write2st64_b64 v20, v[18:19], v[22:23] offset0:2 offset1:3
	s_and_saveexec_b64 s[4:5], vcc
	s_cbranch_execz .LBB794_15
; %bb.14:
	s_mov_b32 s49, 0
	v_mov_b32_e32 v29, 0
	v_lshl_add_u64 v[18:19], s[48:49], 0, v[28:29]
	v_mov_b32_e32 v22, s7
	v_mad_u64_u32 v[18:19], s[12:13], s2, v22, v[18:19]
	s_mul_i32 s3, s3, s7
	v_mov_b32_e32 v28, s28
	s_load_dwordx4 s[8:11], s[0:1], 0x58
	v_add_u32_e32 v23, s3, v19
	v_mad_u64_u32 v[18:19], s[12:13], v18, s6, v[28:29]
	v_mov_b32_e32 v22, v19
	v_mad_u64_u32 v[22:23], s[12:13], v23, s6, v[22:23]
	v_mov_b32_e32 v19, v22
	v_lshlrev_b64 v[18:19], 2, v[18:19]
	s_waitcnt lgkmcnt(0)
	v_lshl_add_u64 v[22:23], s[10:11], 0, v[18:19]
	v_lshl_add_u64 v[18:19], s[8:9], 0, v[18:19]
	global_store_dword v[22:23], v27, off
	global_store_dword v[18:19], v38, off
.LBB794_15:
	s_or_b64 exec, exec, s[4:5]
	s_waitcnt vmcnt(3)
	v_cvt_pk_f32_fp8_e32 v[18:19], v14
	v_cvt_pk_f32_fp8_sdwa v[22:23], v14 src0_sel:WORD_1
	v_cvt_pk_f32_fp8_e32 v[24:25], v15
	v_lshl_or_b32 v14, v42, 9, v21
	s_waitcnt lgkmcnt(0)
	s_barrier
	v_cvt_pkrtz_f16_f32 v18, v18, v19
	v_cvt_pkrtz_f16_f32 v19, v22, v23
	v_cvt_pk_f32_fp8_sdwa v[28:29], v15 src0_sel:WORD_1
	v_cvt_pkrtz_f16_f32 v36, v24, v25
	ds_read_b128 v[22:25], v14
	v_cvt_pk_f32_fp8_e32 v[38:39], v16
	v_cvt_pkrtz_f16_f32 v37, v28, v29
	ds_read_b128 v[28:31], v14 offset:16
	v_cvt_pk_f32_fp8_sdwa v[40:41], v16 src0_sel:WORD_1
	s_waitcnt lgkmcnt(1)
	v_mfma_f32_16x16x16_f16 v[32:35], v[18:19], v[22:23], 0
	v_cvt_pkrtz_f16_f32 v18, v38, v39
	v_cvt_pk_f32_fp8_e32 v[38:39], v17
	v_cvt_pkrtz_f16_f32 v19, v40, v41
	v_mfma_f32_16x16x16_f16 v[22:25], v[36:37], v[24:25], v[32:35]
	s_waitcnt vmcnt(2)
	v_cvt_pk_f32_fp8_sdwa v[36:37], v12 src0_sel:WORD_1
	s_load_dword s4, s[42:43], 0x0
	v_cmp_gt_u32_e32 vcc, 64, v0
	v_cvt_pk_f32_fp8_sdwa v[32:33], v17 src0_sel:WORD_1
	v_cvt_pkrtz_f16_f32 v34, v38, v39
	s_waitcnt lgkmcnt(0)
	v_mfma_f32_16x16x16_f16 v[16:19], v[18:19], v[28:29], v[22:25]
	v_cvt_pk_f32_fp8_e32 v[28:29], v11
	v_cvt_pkrtz_f16_f32 v35, v32, v33
	s_mov_b32 s3, 0
	v_cvt_pk_f32_fp8_e32 v[22:23], v10
	v_cvt_pk_f32_fp8_sdwa v[24:25], v10 src0_sel:WORD_1
	v_mfma_f32_16x16x16_f16 v[16:19], v[34:35], v[30:31], v[16:19]
	v_cvt_pkrtz_f16_f32 v10, v22, v23
	v_cvt_pk_f32_fp8_sdwa v[30:31], v11 src0_sel:WORD_1
	v_cvt_pkrtz_f16_f32 v11, v24, v25
	ds_read_b128 v[22:25], v14 offset:2048
	v_cvt_pkrtz_f16_f32 v32, v28, v29
	v_cvt_pkrtz_f16_f32 v33, v30, v31
	ds_read_b128 v[28:31], v14 offset:2064
	v_cvt_pk_f32_fp8_e32 v[34:35], v12
	s_waitcnt lgkmcnt(1)
	v_mfma_f32_16x16x16_f16 v[16:19], v[10:11], v[22:23], v[16:19]
	v_cvt_pkrtz_f16_f32 v11, v36, v37
	v_cvt_pk_f32_fp8_e32 v[22:23], v13
	v_cvt_pkrtz_f16_f32 v10, v34, v35
	v_mfma_f32_16x16x16_f16 v[16:19], v[32:33], v[24:25], v[16:19]
	v_cvt_pk_f32_fp8_sdwa v[24:25], v13 src0_sel:WORD_1
	v_cvt_pkrtz_f16_f32 v22, v22, v23
	s_waitcnt vmcnt(1)
	v_cvt_pk_f32_fp8_sdwa v[32:33], v8 src0_sel:WORD_1
	s_waitcnt lgkmcnt(0)
	v_mfma_f32_16x16x16_f16 v[10:13], v[10:11], v[28:29], v[16:19]
	v_cvt_pkrtz_f16_f32 v23, v24, v25
	v_cvt_pk_f32_fp8_sdwa v[24:25], v7 src0_sel:WORD_1
	v_mov_b32_e32 v27, 0
	v_cvt_pk_f32_fp8_e32 v[16:17], v6
	v_cvt_pk_f32_fp8_sdwa v[18:19], v6 src0_sel:WORD_1
	v_mfma_f32_16x16x16_f16 v[10:13], v[22:23], v[30:31], v[10:13]
	v_cvt_pk_f32_fp8_e32 v[22:23], v7
	v_cvt_pkrtz_f16_f32 v6, v16, v17
	v_cvt_pkrtz_f16_f32 v7, v18, v19
	ds_read_b128 v[16:19], v14 offset:4096
	v_cvt_pkrtz_f16_f32 v28, v22, v23
	v_cvt_pkrtz_f16_f32 v29, v24, v25
	ds_read_b128 v[22:25], v14 offset:4112
	v_cvt_pk_f32_fp8_e32 v[30:31], v8
	s_waitcnt lgkmcnt(1)
	v_mfma_f32_16x16x16_f16 v[10:13], v[6:7], v[16:17], v[10:13]
	v_cvt_pkrtz_f16_f32 v7, v32, v33
	v_cvt_pk_f32_fp8_e32 v[16:17], v9
	v_cvt_pkrtz_f16_f32 v6, v30, v31
	v_mfma_f32_16x16x16_f16 v[10:13], v[28:29], v[18:19], v[10:13]
	v_cvt_pk_f32_fp8_sdwa v[18:19], v9 src0_sel:WORD_1
	v_cvt_pkrtz_f16_f32 v16, v16, v17
	v_cvt_pkrtz_f16_f32 v17, v18, v19
	s_waitcnt lgkmcnt(0)
	v_mfma_f32_16x16x16_f16 v[6:9], v[6:7], v[22:23], v[10:13]
	s_waitcnt vmcnt(0)
	v_cvt_pk_f32_fp8_sdwa v[18:19], v3 src0_sel:WORD_1
	s_nop 0
	v_cvt_pkrtz_f16_f32 v23, v18, v19
	v_cvt_pk_f32_fp8_e32 v[10:11], v2
	v_cvt_pk_f32_fp8_sdwa v[12:13], v2 src0_sel:WORD_1
	v_mfma_f32_16x16x16_f16 v[6:9], v[16:17], v[24:25], v[6:9]
	v_cvt_pk_f32_fp8_e32 v[16:17], v3
	v_cvt_pkrtz_f16_f32 v2, v10, v11
	v_cvt_pkrtz_f16_f32 v3, v12, v13
	ds_read_b128 v[10:13], v14 offset:6144
	v_cvt_pkrtz_f16_f32 v22, v16, v17
	v_cvt_pk_f32_fp8_e32 v[18:19], v4
	v_cvt_pk_f32_fp8_sdwa v[24:25], v4 src0_sel:WORD_1
	s_waitcnt lgkmcnt(0)
	v_mfma_f32_16x16x16_f16 v[6:9], v[2:3], v[10:11], v[6:9]
	ds_read_b128 v[14:17], v14 offset:6160
	v_cvt_pkrtz_f16_f32 v2, v18, v19
	v_cvt_pkrtz_f16_f32 v3, v24, v25
	v_cvt_pk_f32_fp8_e32 v[10:11], v5
	v_mfma_f32_16x16x16_f16 v[6:9], v[22:23], v[12:13], v[6:9]
	v_cvt_pk_f32_fp8_sdwa v[12:13], v5 src0_sel:WORD_1
	s_waitcnt lgkmcnt(0)
	v_cvt_pkrtz_f16_f32 v10, v10, v11
	v_mfma_f32_16x16x16_f16 v[2:5], v[2:3], v[14:15], v[6:9]
	v_cvt_pkrtz_f16_f32 v11, v12, v13
	s_barrier
	s_nop 0
	v_mfma_f32_16x16x16_f16 v[2:5], v[10:11], v[16:17], v[2:5]
	s_nop 6
	v_pk_mul_f32 v[4:5], v[4:5], s[4:5] op_sel_hi:[1,0]
	v_pk_mul_f32 v[2:3], v[2:3], s[4:5] op_sel_hi:[1,0]
	v_cvt_f16_f32_e32 v4, v4
	v_cvt_f16_f32_e32 v2, v2
	;; [unrolled: 1-line block ×4, first 2 shown]
	s_and_b64 s[4:5], vcc, s[30:31]
	v_pack_b32_f16 v2, v2, v3
	v_pack_b32_f16 v3, v4, v5
	ds_write_b64 v20, v[2:3]
	s_waitcnt lgkmcnt(0)
	s_barrier
	s_and_saveexec_b64 s[8:9], s[4:5]
	s_cbranch_execz .LBB794_18
; %bb.16:
	s_load_dwordx2 s[4:5], s[0:1], 0x68
	s_lshl_b32 s0, s6, 6
	s_mul_i32 s1, s7, s2
	s_mul_hi_u32 s7, s1, s0
	s_mul_i32 s6, s1, s0
	v_lshlrev_b32_e32 v0, 10, v0
	s_lshl_b64 s[6:7], s[6:7], 1
	v_and_b32_e32 v0, 0x1800, v0
	v_lshlrev_b32_e32 v2, 5, v42
	v_and_b32_e32 v1, 16, v1
	s_waitcnt lgkmcnt(0)
	s_add_u32 s1, s4, s6
	v_or3_b32 v2, v0, v2, v1
	s_addc_u32 s4, s5, s7
	s_lshl_b32 s2, s28, 6
	s_lshl_b64 s[2:3], s[2:3], 1
	ds_read_b128 v[4:7], v2
	s_add_u32 s2, s1, s2
	s_addc_u32 s3, s4, s3
	v_add_u32_e32 v3, s48, v42
	v_lshl_add_u64 v[0:1], s[2:3], 0, v[26:27]
	v_mad_u64_u32 v[8:9], s[2:3], v3, s0, 0
	v_lshl_add_u64 v[8:9], v[8:9], 1, v[0:1]
	v_cmp_ne_u32_e32 vcc, 3, v42
	s_waitcnt lgkmcnt(0)
	global_store_dwordx4 v[8:9], v[4:7], off
	s_and_b64 exec, exec, vcc
	s_cbranch_execz .LBB794_18
; %bb.17:
	ds_read_b128 v[2:5], v2 offset:128
	v_add3_u32 v6, s48, v42, 4
	v_mad_u64_u32 v[6:7], s[0:1], v6, s0, 0
	v_lshl_add_u64 v[0:1], v[6:7], 1, v[0:1]
	s_waitcnt lgkmcnt(0)
	global_store_dwordx4 v[0:1], v[2:5], off
.LBB794_18:
	s_endpgm
	.section	.rodata,"a",@progbits
	.p2align	6, 0x0
	.amdhsa_kernel _Z39paged_attention_ll4mi_QKV_mfma16_kernelIDF16_hLN4vllm18Fp8KVCacheDataTypeE1EhLi16ELi64ELi256ELb0ELi7EEvPKT_PKT0_S7_ifPKiS9_S9_iPKfiiiPfSC_PS2_PT2_iSB_SB_
		.amdhsa_group_segment_fixed_size 8192
		.amdhsa_private_segment_fixed_size 0
		.amdhsa_kernarg_size 400
		.amdhsa_user_sgpr_count 2
		.amdhsa_user_sgpr_dispatch_ptr 0
		.amdhsa_user_sgpr_queue_ptr 0
		.amdhsa_user_sgpr_kernarg_segment_ptr 1
		.amdhsa_user_sgpr_dispatch_id 0
		.amdhsa_user_sgpr_kernarg_preload_length 0
		.amdhsa_user_sgpr_kernarg_preload_offset 0
		.amdhsa_user_sgpr_private_segment_size 0
		.amdhsa_uses_dynamic_stack 0
		.amdhsa_enable_private_segment 0
		.amdhsa_system_sgpr_workgroup_id_x 1
		.amdhsa_system_sgpr_workgroup_id_y 1
		.amdhsa_system_sgpr_workgroup_id_z 1
		.amdhsa_system_sgpr_workgroup_info 0
		.amdhsa_system_vgpr_workitem_id 0
		.amdhsa_next_free_vgpr 58
		.amdhsa_next_free_sgpr 50
		.amdhsa_accum_offset 60
		.amdhsa_reserve_vcc 1
		.amdhsa_float_round_mode_32 0
		.amdhsa_float_round_mode_16_64 0
		.amdhsa_float_denorm_mode_32 3
		.amdhsa_float_denorm_mode_16_64 3
		.amdhsa_dx10_clamp 1
		.amdhsa_ieee_mode 1
		.amdhsa_fp16_overflow 0
		.amdhsa_tg_split 0
		.amdhsa_exception_fp_ieee_invalid_op 0
		.amdhsa_exception_fp_denorm_src 0
		.amdhsa_exception_fp_ieee_div_zero 0
		.amdhsa_exception_fp_ieee_overflow 0
		.amdhsa_exception_fp_ieee_underflow 0
		.amdhsa_exception_fp_ieee_inexact 0
		.amdhsa_exception_int_div_zero 0
	.end_amdhsa_kernel
	.section	.text._Z39paged_attention_ll4mi_QKV_mfma16_kernelIDF16_hLN4vllm18Fp8KVCacheDataTypeE1EhLi16ELi64ELi256ELb0ELi7EEvPKT_PKT0_S7_ifPKiS9_S9_iPKfiiiPfSC_PS2_PT2_iSB_SB_,"axG",@progbits,_Z39paged_attention_ll4mi_QKV_mfma16_kernelIDF16_hLN4vllm18Fp8KVCacheDataTypeE1EhLi16ELi64ELi256ELb0ELi7EEvPKT_PKT0_S7_ifPKiS9_S9_iPKfiiiPfSC_PS2_PT2_iSB_SB_,comdat
.Lfunc_end794:
	.size	_Z39paged_attention_ll4mi_QKV_mfma16_kernelIDF16_hLN4vllm18Fp8KVCacheDataTypeE1EhLi16ELi64ELi256ELb0ELi7EEvPKT_PKT0_S7_ifPKiS9_S9_iPKfiiiPfSC_PS2_PT2_iSB_SB_, .Lfunc_end794-_Z39paged_attention_ll4mi_QKV_mfma16_kernelIDF16_hLN4vllm18Fp8KVCacheDataTypeE1EhLi16ELi64ELi256ELb0ELi7EEvPKT_PKT0_S7_ifPKiS9_S9_iPKfiiiPfSC_PS2_PT2_iSB_SB_
                                        ; -- End function
	.section	.AMDGPU.csdata,"",@progbits
; Kernel info:
; codeLenInByte = 4588
; NumSgprs: 56
; NumVgprs: 58
; NumAgprs: 0
; TotalNumVgprs: 58
; ScratchSize: 0
; MemoryBound: 0
; FloatMode: 240
; IeeeMode: 1
; LDSByteSize: 8192 bytes/workgroup (compile time only)
; SGPRBlocks: 6
; VGPRBlocks: 7
; NumSGPRsForWavesPerEU: 56
; NumVGPRsForWavesPerEU: 58
; AccumOffset: 60
; Occupancy: 8
; WaveLimiterHint : 1
; COMPUTE_PGM_RSRC2:SCRATCH_EN: 0
; COMPUTE_PGM_RSRC2:USER_SGPR: 2
; COMPUTE_PGM_RSRC2:TRAP_HANDLER: 0
; COMPUTE_PGM_RSRC2:TGID_X_EN: 1
; COMPUTE_PGM_RSRC2:TGID_Y_EN: 1
; COMPUTE_PGM_RSRC2:TGID_Z_EN: 1
; COMPUTE_PGM_RSRC2:TIDIG_COMP_CNT: 0
; COMPUTE_PGM_RSRC3_GFX90A:ACCUM_OFFSET: 14
; COMPUTE_PGM_RSRC3_GFX90A:TG_SPLIT: 0
	.section	.text._Z39paged_attention_ll4mi_QKV_mfma16_kernelIDF16_hLN4vllm18Fp8KVCacheDataTypeE1EhLi16ELi64ELi256ELb0ELi8EEvPKT_PKT0_S7_ifPKiS9_S9_iPKfiiiPfSC_PS2_PT2_iSB_SB_,"axG",@progbits,_Z39paged_attention_ll4mi_QKV_mfma16_kernelIDF16_hLN4vllm18Fp8KVCacheDataTypeE1EhLi16ELi64ELi256ELb0ELi8EEvPKT_PKT0_S7_ifPKiS9_S9_iPKfiiiPfSC_PS2_PT2_iSB_SB_,comdat
	.protected	_Z39paged_attention_ll4mi_QKV_mfma16_kernelIDF16_hLN4vllm18Fp8KVCacheDataTypeE1EhLi16ELi64ELi256ELb0ELi8EEvPKT_PKT0_S7_ifPKiS9_S9_iPKfiiiPfSC_PS2_PT2_iSB_SB_ ; -- Begin function _Z39paged_attention_ll4mi_QKV_mfma16_kernelIDF16_hLN4vllm18Fp8KVCacheDataTypeE1EhLi16ELi64ELi256ELb0ELi8EEvPKT_PKT0_S7_ifPKiS9_S9_iPKfiiiPfSC_PS2_PT2_iSB_SB_
	.globl	_Z39paged_attention_ll4mi_QKV_mfma16_kernelIDF16_hLN4vllm18Fp8KVCacheDataTypeE1EhLi16ELi64ELi256ELb0ELi8EEvPKT_PKT0_S7_ifPKiS9_S9_iPKfiiiPfSC_PS2_PT2_iSB_SB_
	.p2align	8
	.type	_Z39paged_attention_ll4mi_QKV_mfma16_kernelIDF16_hLN4vllm18Fp8KVCacheDataTypeE1EhLi16ELi64ELi256ELb0ELi8EEvPKT_PKT0_S7_ifPKiS9_S9_iPKfiiiPfSC_PS2_PT2_iSB_SB_,@function
_Z39paged_attention_ll4mi_QKV_mfma16_kernelIDF16_hLN4vllm18Fp8KVCacheDataTypeE1EhLi16ELi64ELi256ELb0ELi8EEvPKT_PKT0_S7_ifPKiS9_S9_iPKfiiiPfSC_PS2_PT2_iSB_SB_: ; @_Z39paged_attention_ll4mi_QKV_mfma16_kernelIDF16_hLN4vllm18Fp8KVCacheDataTypeE1EhLi16ELi64ELi256ELb0ELi8EEvPKT_PKT0_S7_ifPKiS9_S9_iPKfiiiPfSC_PS2_PT2_iSB_SB_
; %bb.0:
	s_load_dwordx2 s[12:13], s[0:1], 0x30
	s_mov_b32 s28, s3
	s_mov_b64 s[6:7], 0
	s_waitcnt lgkmcnt(0)
	s_cmp_lg_u64 s[12:13], 0
	s_cselect_b64 s[14:15], -1, 0
	s_and_b64 vcc, exec, s[14:15]
	s_cbranch_vccz .LBB795_7
; %bb.1:
	s_add_i32 s8, s2, 1
	s_mov_b32 s9, 0
	s_lshl_b64 s[10:11], s[8:9], 2
	s_add_u32 s10, s12, s10
	s_mov_b32 s3, s9
	s_addc_u32 s11, s13, s11
	s_lshl_b64 s[8:9], s[2:3], 2
	s_add_u32 s8, s12, s8
	s_addc_u32 s9, s13, s9
	s_load_dword s5, s[10:11], 0x0
	s_load_dword s16, s[8:9], 0x0
	s_waitcnt lgkmcnt(0)
	s_sub_i32 s5, s5, s16
	s_cmp_eq_u32 s5, 1
	s_cselect_b64 s[8:9], -1, 0
	s_andn2_b64 vcc, exec, s[6:7]
	s_cbranch_vccnz .LBB795_3
.LBB795_2:
	s_mov_b32 s3, 0
	s_mov_b64 s[8:9], -1
.LBB795_3:
	s_andn2_b64 vcc, exec, s[8:9]
	s_cbranch_vccnz .LBB795_17
; %bb.4:
	s_load_dwordx2 s[6:7], s[0:1], 0x28
	s_lshl_b64 s[16:17], s[2:3], 2
	s_waitcnt lgkmcnt(0)
	s_add_u32 s6, s6, s16
	s_addc_u32 s7, s7, s17
	s_load_dword s48, s[6:7], 0x0
	s_lshl_b32 s5, s28, 8
	s_waitcnt lgkmcnt(0)
	s_cmp_ge_i32 s5, s48
	s_cbranch_scc1 .LBB795_17
; %bb.5:
	s_load_dwordx2 s[6:7], s[0:1], 0x20
	s_load_dword s8, s[0:1], 0x38
	s_add_i32 s9, s48, 15
	s_ashr_i32 s10, s9, 31
	v_and_b32_e32 v1, 0xcf, v0
	s_lshr_b32 s10, s10, 28
	v_add_u32_e32 v1, s5, v1
	s_add_i32 s9, s9, s10
	v_ashrrev_i32_e32 v2, 31, v1
	s_ashr_i32 s18, s9, 4
	v_lshrrev_b32_e32 v4, 28, v2
	s_add_i32 s18, s18, -1
	s_waitcnt lgkmcnt(0)
	s_mul_i32 s8, s2, s8
	s_mov_b32 s9, 0
	v_add_u32_e32 v2, v1, v4
	s_lshl_b64 s[8:9], s[8:9], 2
	v_ashrrev_i32_e32 v2, 4, v2
	v_mov_b32_e32 v5, s18
	v_cmp_gt_i32_e32 vcc, s48, v1
	s_add_u32 s6, s6, s8
	s_addc_u32 s7, s7, s9
	v_cndmask_b32_e32 v2, v5, v2, vcc
	v_ashrrev_i32_e32 v3, 31, v2
	v_lshl_add_u64 v[6:7], v[2:3], 2, s[6:7]
	v_or_b32_e32 v2, 16, v1
	v_add_u32_e32 v3, v2, v4
	v_ashrrev_i32_e32 v3, 4, v3
	v_cmp_gt_i32_e32 vcc, s48, v2
	s_load_dwordx4 s[8:11], s[0:1], 0x8
	s_nop 0
	v_cndmask_b32_e32 v2, v5, v3, vcc
	v_ashrrev_i32_e32 v3, 31, v2
	v_lshl_add_u64 v[8:9], v[2:3], 2, s[6:7]
	v_or_b32_e32 v2, 32, v1
	v_add_u32_e32 v3, v2, v4
	v_ashrrev_i32_e32 v3, 4, v3
	v_cmp_gt_i32_e32 vcc, s48, v2
	v_or_b32_e32 v1, 48, v1
	s_nop 0
	v_cndmask_b32_e32 v2, v5, v3, vcc
	v_ashrrev_i32_e32 v3, 31, v2
	v_lshl_add_u64 v[10:11], v[2:3], 2, s[6:7]
	v_add_u32_e32 v2, v1, v4
	v_ashrrev_i32_e32 v2, 4, v2
	v_cmp_gt_i32_e32 vcc, s48, v1
	s_nop 1
	v_cndmask_b32_e32 v2, v5, v2, vcc
	v_ashrrev_i32_e32 v3, 31, v2
	v_lshl_add_u64 v[12:13], v[2:3], 2, s[6:7]
	global_load_dword v4, v[6:7], off
	global_load_dword v3, v[8:9], off
	;; [unrolled: 1-line block ×4, first 2 shown]
	s_andn2_b64 vcc, exec, s[14:15]
	s_cbranch_vccnz .LBB795_8
; %bb.6:
	s_add_u32 s12, s12, s16
	s_addc_u32 s13, s13, s17
	s_load_dword s14, s[12:13], 0x0
	s_branch .LBB795_9
.LBB795_7:
	s_mov_b64 s[8:9], 0
	s_branch .LBB795_2
.LBB795_8:
	s_mov_b32 s14, s2
.LBB795_9:
	s_load_dwordx4 s[44:47], s[0:1], 0x48
	v_and_b32_e32 v42, 15, v0
	s_movk_i32 s12, 0x80
	v_lshlrev_b32_e32 v5, 3, v42
	v_cmp_gt_u32_e32 vcc, s12, v0
	v_cmp_gt_u32_e64 s[30:31], 8, v42
	v_lshrrev_b32_e32 v41, 6, v0
	v_and_b32_e32 v43, 63, v0
	v_bfe_u32 v1, v0, 4, 2
	s_lshl_b32 s29, s4, 3
	s_and_b64 s[16:17], vcc, s[30:31]
	v_lshlrev_b32_e32 v26, 1, v5
	v_lshlrev_b32_e32 v40, 4, v0
	s_and_saveexec_b64 s[12:13], s[16:17]
	s_cbranch_execz .LBB795_11
; %bb.10:
	s_load_dwordx2 s[16:17], s[0:1], 0x0
	s_waitcnt lgkmcnt(0)
	s_ashr_i32 s15, s44, 31
	s_mul_hi_u32 s19, s14, s44
	s_mul_i32 s15, s14, s15
	s_add_i32 s15, s19, s15
	s_mul_i32 s14, s14, s44
	v_lshl_or_b32 v5, v41, 2, v1
	s_lshl_b64 s[14:15], s[14:15], 1
	s_add_u32 s14, s16, s14
	v_add_lshl_u32 v6, v5, s29, 6
	s_addc_u32 s15, s17, s15
	v_ashrrev_i32_e32 v7, 31, v6
	v_lshl_add_u64 v[6:7], v[6:7], 1, s[14:15]
	v_mov_b32_e32 v27, 0
	v_lshl_add_u64 v[6:7], v[6:7], 0, v[26:27]
	global_load_dwordx4 v[6:9], v[6:7], off
	v_lshlrev_b32_e32 v11, 8, v42
	v_lshlrev_b32_e32 v5, 5, v5
	v_and_b32_e32 v10, 16, v40
	v_and_b32_e32 v11, 0xe00, v11
	v_or3_b32 v5, v11, v5, v10
	s_waitcnt vmcnt(0)
	ds_write_b128 v5, v[6:9]
.LBB795_11:
	s_or_b64 exec, exec, s[12:13]
	s_waitcnt lgkmcnt(0)
	s_mul_i32 s4, s4, s46
	s_add_u32 s8, s8, s4
	s_addc_u32 s9, s9, 0
	v_and_b32_e32 v8, 48, v0
	v_and_b32_e32 v28, 0xf0, v40
	v_mov_b32_e32 v29, 0
	v_lshl_add_u64 v[6:7], s[8:9], 0, v[28:29]
	v_lshlrev_b32_e32 v28, 4, v8
	v_lshl_add_u64 v[16:17], v[6:7], 0, v[28:29]
	s_waitcnt vmcnt(3)
	v_mad_i64_i32 v[4:5], s[8:9], v4, s45, v[16:17]
	s_load_dword s33, s[0:1], 0x98
	s_load_dwordx4 s[40:43], s[0:1], 0x80
	s_waitcnt lgkmcnt(0)
	s_barrier
	global_load_dwordx4 v[22:25], v[4:5], off
	s_waitcnt vmcnt(3)
	v_mad_i64_i32 v[4:5], s[8:9], v3, s45, v[16:17]
	global_load_dwordx4 v[18:21], v[4:5], off
	v_or_b32_e32 v6, s5, v8
	v_mov_b32_e32 v27, s18
	v_ashrrev_i32_e32 v3, 4, v6
	v_cmp_gt_i32_e32 vcc, s48, v6
	v_or_b32_e32 v15, 64, v6
	v_ashrrev_i32_e32 v30, 4, v15
	v_cndmask_b32_e32 v4, v27, v3, vcc
	s_waitcnt vmcnt(3)
	v_mad_i64_i32 v[2:3], s[8:9], v2, s45, v[16:17]
	global_load_dwordx4 v[10:13], v[2:3], off
	v_and_b32_e32 v2, 7, v0
	v_ashrrev_i32_e32 v5, 31, v4
	v_lshlrev_b32_e32 v2, 5, v2
	v_lshl_add_u64 v[4:5], v[4:5], 2, s[6:7]
	v_lshl_or_b32 v2, v1, 9, v2
	v_cmp_gt_i32_e32 vcc, s48, v15
	s_waitcnt vmcnt(3)
	v_mad_i64_i32 v[14:15], s[12:13], v14, s45, v[16:17]
	global_load_dword v56, v[4:5], off
	v_or_b32_e32 v31, 0x80, v6
	v_or_b32_e32 v33, 0xc0, v6
	ds_read_b128 v[6:9], v2
	ds_read_b128 v[2:5], v2 offset:16
	global_load_dwordx4 v[14:17], v[14:15], off
	v_ashrrev_i32_e32 v32, 4, v31
	v_cndmask_b32_e32 v30, v27, v30, vcc
	v_cmp_gt_i32_e32 vcc, s48, v31
	v_ashrrev_i32_e32 v34, 4, v33
	v_ashrrev_i32_e32 v31, 31, v30
	v_cndmask_b32_e32 v32, v27, v32, vcc
	v_cmp_gt_i32_e32 vcc, s48, v33
	v_ashrrev_i32_e32 v33, 31, v32
	v_lshl_add_u64 v[30:31], v[30:31], 2, s[6:7]
	v_cndmask_b32_e32 v34, v27, v34, vcc
	v_ashrrev_i32_e32 v35, 31, v34
	v_lshl_add_u64 v[32:33], v[32:33], 2, s[6:7]
	s_add_u32 s8, s10, s4
	s_load_dword s4, s[40:41], 0x0
	v_lshl_add_u64 v[34:35], v[34:35], 2, s[6:7]
	global_load_dword v45, v[30:31], off
	global_load_dword v27, v[32:33], off
	;; [unrolled: 1-line block ×3, first 2 shown]
	s_load_dword s14, s[0:1], 0x1c
	s_mov_b32 s44, 0xff7fffff
	v_lshlrev_b32_e32 v28, 4, v42
	s_addc_u32 s9, s11, 0
	v_lshl_or_b32 v28, v41, 8, v28
	s_waitcnt lgkmcnt(0)
	v_mov_b32_e32 v57, s14
	v_lshl_add_u64 v[28:29], s[8:9], 0, v[28:29]
	s_waitcnt vmcnt(7)
	v_cvt_pk_f32_fp8_e32 v[30:31], v22
	v_cvt_pk_f32_fp8_sdwa v[32:33], v22 src0_sel:WORD_1
	v_cvt_pk_f32_fp8_e32 v[34:35], v23
	v_cvt_pk_f32_fp8_sdwa v[36:37], v23 src0_sel:WORD_1
	s_waitcnt vmcnt(6)
	v_cvt_pk_f32_fp8_e32 v[22:23], v18
	v_cvt_pk_f32_fp8_sdwa v[50:51], v18 src0_sel:WORD_1
	v_cvt_pkrtz_f16_f32 v30, v30, v31
	v_cvt_pkrtz_f16_f32 v31, v32, v33
	v_cvt_pk_f32_fp8_e32 v[54:55], v19
	v_cvt_pkrtz_f16_f32 v32, v22, v23
	v_cvt_pkrtz_f16_f32 v33, v50, v51
	v_cvt_pk_f32_fp8_sdwa v[18:19], v19 src0_sel:WORD_1
	v_cvt_pkrtz_f16_f32 v34, v34, v35
	v_cvt_pkrtz_f16_f32 v35, v36, v37
	v_cvt_pk_f32_fp8_e32 v[38:39], v24
	v_cvt_pk_f32_fp8_sdwa v[46:47], v24 src0_sel:WORD_1
	v_cvt_pk_f32_fp8_e32 v[48:49], v25
	v_cvt_pk_f32_fp8_sdwa v[52:53], v25 src0_sel:WORD_1
	v_mfma_f32_16x16x16_f16 v[22:25], v[30:31], v[6:7], 0
	v_cvt_pkrtz_f16_f32 v50, v54, v55
	v_cvt_pkrtz_f16_f32 v51, v18, v19
	v_cvt_pk_f32_fp8_e32 v[36:37], v20
	v_mfma_f32_16x16x16_f16 v[30:33], v[32:33], v[6:7], 0
	v_cvt_pk_f32_fp8_sdwa v[18:19], v20 src0_sel:WORD_1
	v_mfma_f32_16x16x16_f16 v[22:25], v[34:35], v[8:9], v[22:25]
	v_cvt_pkrtz_f16_f32 v34, v38, v39
	v_cvt_pkrtz_f16_f32 v35, v46, v47
	v_cvt_pk_f32_fp8_e32 v[38:39], v21
	v_mfma_f32_16x16x16_f16 v[30:33], v[50:51], v[8:9], v[30:33]
	v_cvt_pkrtz_f16_f32 v46, v48, v49
	v_cvt_pkrtz_f16_f32 v47, v52, v53
	v_cvt_pk_f32_fp8_sdwa v[48:49], v21 src0_sel:WORD_1
	v_cvt_pkrtz_f16_f32 v50, v36, v37
	v_cvt_pkrtz_f16_f32 v51, v18, v19
	v_mfma_f32_16x16x16_f16 v[22:25], v[34:35], v[2:3], v[22:25]
	v_cvt_pkrtz_f16_f32 v18, v38, v39
	v_cvt_pkrtz_f16_f32 v19, v48, v49
	s_waitcnt vmcnt(5)
	v_cvt_pk_f32_fp8_sdwa v[38:39], v13 src0_sel:WORD_1
	v_mfma_f32_16x16x16_f16 v[34:37], v[46:47], v[4:5], v[22:25]
	s_waitcnt vmcnt(4)
	v_mad_i64_i32 v[20:21], s[6:7], v56, s45, v[28:29]
	v_mfma_f32_16x16x16_f16 v[22:25], v[50:51], v[2:3], v[30:33]
	v_mul_f32_e32 v50, s4, v57
	s_nop 1
	v_cvt_pk_f32_fp8_e32 v[30:31], v10
	v_cvt_pk_f32_fp8_sdwa v[32:33], v10 src0_sel:WORD_1
	v_mfma_f32_16x16x16_f16 v[46:49], v[18:19], v[4:5], v[22:25]
	v_cvt_pk_f32_fp8_e32 v[18:19], v11
	v_cvt_pk_f32_fp8_sdwa v[10:11], v11 src0_sel:WORD_1
	v_cvt_pkrtz_f16_f32 v18, v18, v19
	v_cvt_pkrtz_f16_f32 v22, v30, v31
	;; [unrolled: 1-line block ×3, first 2 shown]
	v_cvt_pk_f32_fp8_e32 v[30:31], v12
	v_cvt_pk_f32_fp8_sdwa v[32:33], v12 src0_sel:WORD_1
	v_cvt_pkrtz_f16_f32 v19, v10, v11
	v_mfma_f32_16x16x16_f16 v[22:25], v[22:23], v[6:7], 0
	v_cvt_pkrtz_f16_f32 v30, v30, v31
	v_cvt_pkrtz_f16_f32 v31, v32, v33
	v_cvt_pk_f32_fp8_e32 v[32:33], v13
	v_mfma_f32_16x16x16_f16 v[10:13], v[18:19], v[8:9], v[22:25]
	v_cvt_pkrtz_f16_f32 v19, v38, v39
	s_waitcnt vmcnt(3)
	v_cvt_pk_f32_fp8_sdwa v[38:39], v16 src0_sel:WORD_1
	v_cvt_pkrtz_f16_f32 v18, v32, v33
	v_mfma_f32_16x16x16_f16 v[10:13], v[30:31], v[2:3], v[10:13]
	v_cvt_pk_f32_fp8_e32 v[24:25], v14
	v_cvt_pk_f32_fp8_sdwa v[30:31], v14 src0_sel:WORD_1
	v_pk_mul_f32 v[22:23], v[50:51], v[36:37] op_sel_hi:[0,1]
	v_mfma_f32_16x16x16_f16 v[10:13], v[18:19], v[4:5], v[10:13]
	v_cvt_pk_f32_fp8_e32 v[18:19], v15
	v_cvt_pkrtz_f16_f32 v24, v24, v25
	v_cvt_pkrtz_f16_f32 v25, v30, v31
	v_cvt_pk_f32_fp8_sdwa v[14:15], v15 src0_sel:WORD_1
	v_cvt_pkrtz_f16_f32 v18, v18, v19
	v_cvt_pk_f32_fp8_e32 v[30:31], v16
	v_pk_mul_f32 v[32:33], v[50:51], v[34:35] op_sel_hi:[0,1]
	v_cvt_pkrtz_f16_f32 v19, v14, v15
	v_mfma_f32_16x16x16_f16 v[34:37], v[24:25], v[6:7], 0
	v_cvt_pkrtz_f16_f32 v14, v30, v31
	v_cvt_pkrtz_f16_f32 v15, v38, v39
	v_cvt_pk_f32_fp8_e32 v[24:25], v17
	v_cvt_pk_f32_fp8_sdwa v[16:17], v17 src0_sel:WORD_1
	v_mfma_f32_16x16x16_f16 v[6:9], v[18:19], v[8:9], v[34:37]
	v_pk_mul_f32 v[38:39], v[50:51], v[46:47] op_sel_hi:[0,1]
	v_cvt_pkrtz_f16_f32 v18, v24, v25
	v_cvt_pkrtz_f16_f32 v19, v16, v17
	v_mfma_f32_16x16x16_f16 v[6:9], v[14:15], v[2:3], v[6:9]
	v_pk_mul_f32 v[34:35], v[50:51], v[48:49] op_sel_hi:[0,1]
	v_pk_mul_f32 v[36:37], v[50:51], v[10:11] op_sel_hi:[0,1]
	;; [unrolled: 1-line block ×3, first 2 shown]
	v_mfma_f32_16x16x16_f16 v[2:5], v[18:19], v[4:5], v[6:9]
	s_nop 6
	v_pk_mul_f32 v[24:25], v[50:51], v[2:3] op_sel_hi:[0,1]
	v_and_b32_e32 v2, 0xc0, v0
	v_add_u32_e32 v2, s5, v2
	v_lshl_or_b32 v2, v1, 2, v2
	v_pk_mul_f32 v[18:19], v[50:51], v[4:5] op_sel_hi:[0,1]
	v_or_b32_e32 v5, 1, v2
	v_mov_b32_e32 v3, 0xff7fffff
	v_cmp_gt_i32_e64 s[4:5], s48, v2
	v_cmp_gt_i32_e64 s[34:35], s48, v5
	v_or_b32_e32 v6, 3, v2
	v_cndmask_b32_e64 v4, v3, v32, s[4:5]
	v_cndmask_b32_e64 v5, v3, v33, s[34:35]
	v_max3_f32 v4, v4, s44, v5
	v_or_b32_e32 v5, 2, v2
	v_cmp_gt_i32_e64 s[36:37], s48, v5
	v_cmp_gt_i32_e64 s[38:39], s48, v6
	s_nop 0
	v_cndmask_b32_e64 v5, v3, v22, s[36:37]
	v_cndmask_b32_e64 v6, v3, v23, s[38:39]
	v_max3_f32 v4, v4, v5, v6
	v_or_b32_e32 v5, 16, v2
	v_or_b32_e32 v6, 17, v2
	v_cmp_gt_i32_e64 s[24:25], s48, v5
	v_cmp_gt_i32_e64 s[26:27], s48, v6
	s_nop 0
	v_cndmask_b32_e64 v5, v3, v38, s[24:25]
	v_cndmask_b32_e64 v6, v3, v39, s[26:27]
	v_max3_f32 v4, v4, v5, v6
	v_or_b32_e32 v5, 18, v2
	;; [unrolled: 8-line block ×6, first 2 shown]
	v_or_b32_e32 v2, 51, v2
	v_cmp_gt_i32_e32 vcc, s48, v5
	v_cmp_gt_i32_e64 s[6:7], s48, v2
	s_nop 0
	v_cndmask_b32_e32 v5, v3, v18, vcc
	v_cndmask_b32_e64 v2, v3, v19, s[6:7]
	v_max3_f32 v4, v4, v5, v2
	v_mbcnt_lo_u32_b32 v2, -1, 0
	v_mbcnt_hi_u32_b32 v5, -1, v2
	v_and_b32_e32 v2, 64, v5
	v_add_u32_e32 v6, 64, v2
	v_xor_b32_e32 v2, 32, v5
	v_cmp_lt_i32_e64 s[40:41], v2, v6
	s_nop 1
	v_cndmask_b32_e64 v2, v5, v2, s[40:41]
	v_lshlrev_b32_e32 v46, 2, v2
	ds_bpermute_b32 v7, v46, v4
	s_waitcnt vmcnt(2)
	v_mad_i64_i32 v[2:3], s[40:41], v45, s45, v[28:29]
	global_load_dwordx4 v[14:17], v[20:21], off
	global_load_dwordx4 v[10:13], v[2:3], off
	v_xor_b32_e32 v3, 16, v5
	v_cmp_lt_i32_e64 s[40:41], v3, v6
	s_waitcnt lgkmcnt(0)
	v_max_f32_e32 v2, v7, v7
	v_max_f32_e32 v2, v4, v2
	v_cndmask_b32_e64 v3, v5, v3, s[40:41]
	v_lshlrev_b32_e32 v45, 2, v3
	ds_bpermute_b32 v3, v45, v2
	s_waitcnt vmcnt(3)
	v_mad_i64_i32 v[20:21], s[40:41], v27, s45, v[28:29]
	s_waitcnt vmcnt(2)
	v_mad_i64_i32 v[28:29], s[40:41], v44, s45, v[28:29]
	s_waitcnt lgkmcnt(0)
	v_max_f32_e32 v3, v3, v3
	v_max_f32_e32 v27, v2, v3
	v_sub_f32_e32 v2, v32, v27
	v_mul_f32_e32 v2, 0x3fb8aa3b, v2
	v_exp_f32_e32 v32, v2
	v_sub_f32_e32 v2, v33, v27
	v_mul_f32_e32 v2, 0x3fb8aa3b, v2
	v_exp_f32_e32 v33, v2
	global_load_dwordx4 v[6:9], v[20:21], off
	global_load_dwordx4 v[2:5], v[28:29], off
	v_sub_f32_e32 v22, v22, v27
	v_mul_f32_e32 v22, 0x3fb8aa3b, v22
	v_sub_f32_e32 v23, v23, v27
	v_exp_f32_e32 v22, v22
	v_mul_f32_e32 v23, 0x3fb8aa3b, v23
	v_exp_f32_e32 v23, v23
	v_cndmask_b32_e64 v20, 0, v32, s[4:5]
	v_add_f32_e32 v28, 0, v20
	v_cndmask_b32_e64 v21, 0, v33, s[34:35]
	v_add_f32_e32 v28, v28, v21
	;; [unrolled: 2-line block ×3, first 2 shown]
	v_cndmask_b32_e64 v33, 0, v23, s[38:39]
	v_sub_f32_e32 v23, v38, v27
	v_sub_f32_e32 v28, v39, v27
	v_mul_f32_e32 v23, 0x3fb8aa3b, v23
	v_mul_f32_e32 v28, 0x3fb8aa3b, v28
	v_exp_f32_e32 v23, v23
	v_exp_f32_e32 v28, v28
	v_add_f32_e32 v29, v22, v33
	v_sub_f32_e32 v30, v30, v27
	v_cndmask_b32_e64 v22, 0, v23, s[24:25]
	v_cndmask_b32_e64 v23, 0, v28, s[26:27]
	v_sub_f32_e32 v28, v34, v27
	v_mul_f32_e32 v28, 0x3fb8aa3b, v28
	v_exp_f32_e32 v28, v28
	v_sub_f32_e32 v34, v35, v27
	v_add_f32_e32 v29, v29, v22
	v_mul_f32_e32 v34, 0x3fb8aa3b, v34
	v_exp_f32_e32 v35, v34
	v_add_f32_e32 v29, v29, v23
	v_cndmask_b32_e64 v34, 0, v28, s[20:21]
	v_add_f32_e32 v28, v29, v34
	v_sub_f32_e32 v29, v36, v27
	v_mul_f32_e32 v29, 0x3fb8aa3b, v29
	v_sub_f32_e32 v36, v37, v27
	v_exp_f32_e32 v29, v29
	v_mul_f32_e32 v36, 0x3fb8aa3b, v36
	v_exp_f32_e32 v36, v36
	v_mul_f32_e32 v30, 0x3fb8aa3b, v30
	v_sub_f32_e32 v31, v31, v27
	v_exp_f32_e32 v30, v30
	v_mul_f32_e32 v31, 0x3fb8aa3b, v31
	v_sub_f32_e32 v24, v24, v27
	v_cndmask_b32_e64 v35, 0, v35, s[22:23]
	v_exp_f32_e32 v31, v31
	v_mul_f32_e32 v24, 0x3fb8aa3b, v24
	v_sub_f32_e32 v25, v25, v27
	v_add_f32_e32 v37, v28, v35
	v_cndmask_b32_e64 v28, 0, v29, s[16:17]
	v_exp_f32_e32 v24, v24
	v_mul_f32_e32 v25, 0x3fb8aa3b, v25
	v_sub_f32_e32 v18, v18, v27
	v_add_f32_e32 v37, v37, v28
	;; [unrolled: 5-line block ×3, first 2 shown]
	v_cndmask_b32_e64 v30, 0, v30, s[12:13]
	v_exp_f32_e32 v18, v18
	v_mul_f32_e32 v19, 0x3fb8aa3b, v19
	v_add_f32_e32 v36, v36, v30
	v_cndmask_b32_e64 v31, 0, v31, s[14:15]
	v_exp_f32_e32 v19, v19
	v_add_f32_e32 v36, v36, v31
	v_cndmask_b32_e64 v24, 0, v24, s[8:9]
	v_add_f32_e32 v36, v36, v24
	v_cndmask_b32_e64 v25, 0, v25, s[10:11]
	v_add_f32_e32 v36, v36, v25
	v_cndmask_b32_e32 v18, 0, v18, vcc
	v_add_f32_e32 v36, v36, v18
	v_cndmask_b32_e64 v19, 0, v19, s[6:7]
	v_add_f32_e32 v36, v36, v19
	ds_bpermute_b32 v37, v46, v36
	v_cmp_gt_u32_e32 vcc, 16, v43
	s_waitcnt lgkmcnt(0)
	s_barrier
	v_add_f32_e32 v37, v36, v37
	ds_bpermute_b32 v38, v45, v37
	v_lshlrev_b32_e32 v36, 2, v42
	s_and_saveexec_b64 s[4:5], vcc
	s_cbranch_execz .LBB795_13
; %bb.12:
	s_waitcnt lgkmcnt(0)
	v_add_f32_e32 v37, v37, v38
	v_lshl_or_b32 v38, v41, 6, v36
	ds_write2st64_b32 v38, v27, v37 offset1:1
.LBB795_13:
	s_or_b64 exec, exec, s[4:5]
	s_load_dword s6, s[0:1], 0x94
	s_waitcnt lgkmcnt(0)
	s_barrier
	ds_read2_b32 v[38:39], v36 offset1:16
	ds_read2_b32 v[44:45], v36 offset0:32 offset1:48
	ds_read2_b32 v[46:47], v36 offset0:64 offset1:80
	s_lshl_b32 s7, s33, 3
	s_waitcnt lgkmcnt(2)
	v_max3_f32 v27, v38, s44, v39
	s_waitcnt lgkmcnt(1)
	v_max3_f32 v27, v27, v44, v45
	v_sub_f32_e32 v37, v38, v27
	v_sub_f32_e32 v38, v39, v27
	v_mul_f32_e32 v38, 0x3fb8aa3b, v38
	v_mul_f32_e32 v37, 0x3fb8aa3b, v37
	v_exp_f32_e32 v43, v38
	v_sub_f32_e32 v38, v44, v27
	v_exp_f32_e32 v37, v37
	v_mul_f32_e32 v38, 0x3fb8aa3b, v38
	v_exp_f32_e32 v44, v38
	ds_read2_b32 v[38:39], v36 offset0:96 offset1:112
	v_sub_f32_e32 v36, v45, v27
	v_mul_f32_e32 v36, 0x3fb8aa3b, v36
	v_exp_f32_e32 v45, v36
	s_waitcnt lgkmcnt(1)
	v_fma_f32 v36, v37, v46, 0
	v_fmac_f32_e32 v36, v43, v47
	s_waitcnt lgkmcnt(0)
	v_fmac_f32_e32 v36, v44, v38
	v_fmac_f32_e32 v36, v45, v39
	v_add_f32_e32 v38, 0x358637bd, v36
	v_div_scale_f32 v39, s[4:5], v38, v38, 1.0
	v_rcp_f32_e32 v46, v39
	s_barrier
	v_fma_f32 v47, -v39, v46, 1.0
	v_fmac_f32_e32 v46, v47, v46
	v_div_scale_f32 v47, vcc, 1.0, v38, 1.0
	v_mul_f32_e32 v48, v47, v46
	v_fma_f32 v49, -v39, v48, v47
	v_fmac_f32_e32 v48, v49, v46
	v_fma_f32 v39, -v39, v48, v47
	v_div_fmas_f32 v39, v39, v46, v48
	v_cmp_eq_u32_e32 vcc, 1, v41
	v_div_fixup_f32 v38, v39, v38, 1.0
	s_nop 0
	v_cndmask_b32_e32 v37, v37, v43, vcc
	v_cmp_eq_u32_e32 vcc, 2, v41
	s_nop 1
	v_cndmask_b32_e32 v37, v37, v44, vcc
	v_cmp_eq_u32_e32 vcc, 3, v41
	s_nop 1
	v_cndmask_b32_e32 v37, v37, v45, vcc
	v_mul_f32_e32 v38, v37, v38
	v_pk_mul_f32 v[32:33], v[38:39], v[32:33] op_sel_hi:[0,1]
	v_pk_mul_f32 v[20:21], v[38:39], v[20:21] op_sel_hi:[0,1]
	v_cvt_f16_f32_e32 v20, v20
	v_cvt_f16_f32_e32 v21, v21
	v_cvt_f16_f32_e32 v37, v32
	v_cvt_f16_f32_e32 v33, v33
	v_pk_mul_f32 v[34:35], v[38:39], v[34:35] op_sel_hi:[0,1]
	v_pk_mul_f32 v[22:23], v[38:39], v[22:23] op_sel_hi:[0,1]
	v_cvt_f16_f32_e32 v22, v22
	v_cvt_f16_f32_e32 v23, v23
	;; [unrolled: 1-line block ×4, first 2 shown]
	v_pack_b32_f16 v32, v20, v21
	v_pack_b32_f16 v33, v37, v33
	v_lshlrev_b32_e32 v20, 3, v1
	v_lshlrev_b32_e32 v21, 5, v42
	;; [unrolled: 1-line block ×3, first 2 shown]
	v_or3_b32 v20, v37, v21, v20
	v_pack_b32_f16 v22, v22, v23
	v_pack_b32_f16 v23, v34, v35
	ds_write2st64_b64 v20, v[32:33], v[22:23] offset1:1
	v_pk_mul_f32 v[22:23], v[38:39], v[30:31] op_sel_hi:[0,1]
	v_pk_mul_f32 v[28:29], v[38:39], v[28:29] op_sel_hi:[0,1]
	v_cvt_f16_f32_e32 v30, v22
	v_cvt_f16_f32_e32 v31, v23
	v_pk_mul_f32 v[18:19], v[38:39], v[18:19] op_sel_hi:[0,1]
	v_pk_mul_f32 v[22:23], v[38:39], v[24:25] op_sel_hi:[0,1]
	v_cvt_f16_f32_e32 v28, v28
	v_cvt_f16_f32_e32 v29, v29
	;; [unrolled: 1-line block ×6, first 2 shown]
	v_pack_b32_f16 v18, v28, v29
	v_pack_b32_f16 v19, v30, v31
	;; [unrolled: 1-line block ×4, first 2 shown]
	v_cmp_gt_u32_e32 vcc, 8, v0
	ds_write2st64_b64 v20, v[18:19], v[22:23] offset0:2 offset1:3
	s_and_saveexec_b64 s[4:5], vcc
	s_cbranch_execz .LBB795_15
; %bb.14:
	v_or_b32_e32 v18, s29, v0
	v_mov_b32_e32 v19, 0
	v_mov_b32_e32 v22, s7
	v_mad_u64_u32 v[22:23], s[12:13], s2, v22, v[18:19]
	v_mov_b32_e32 v18, s28
	s_load_dwordx4 s[8:11], s[0:1], 0x58
	s_mul_i32 s3, s3, s7
	v_mad_u64_u32 v[18:19], s[12:13], v22, s6, v[18:19]
	v_add_u32_e32 v23, s3, v23
	v_mov_b32_e32 v22, v19
	v_mad_u64_u32 v[22:23], s[12:13], v23, s6, v[22:23]
	v_mov_b32_e32 v19, v22
	v_lshlrev_b64 v[18:19], 2, v[18:19]
	s_waitcnt lgkmcnt(0)
	v_lshl_add_u64 v[22:23], s[10:11], 0, v[18:19]
	v_lshl_add_u64 v[18:19], s[8:9], 0, v[18:19]
	global_store_dword v[22:23], v27, off
	global_store_dword v[18:19], v36, off
.LBB795_15:
	s_or_b64 exec, exec, s[4:5]
	s_waitcnt vmcnt(3)
	v_cvt_pk_f32_fp8_e32 v[18:19], v14
	v_cvt_pk_f32_fp8_sdwa v[22:23], v14 src0_sel:WORD_1
	v_cvt_pk_f32_fp8_e32 v[24:25], v15
	v_lshl_or_b32 v14, v1, 9, v21
	s_waitcnt lgkmcnt(0)
	s_barrier
	v_cvt_pkrtz_f16_f32 v18, v18, v19
	v_cvt_pkrtz_f16_f32 v19, v22, v23
	v_cvt_pk_f32_fp8_sdwa v[28:29], v15 src0_sel:WORD_1
	v_cvt_pkrtz_f16_f32 v36, v24, v25
	ds_read_b128 v[22:25], v14
	v_cvt_pk_f32_fp8_e32 v[38:39], v16
	v_cvt_pkrtz_f16_f32 v37, v28, v29
	ds_read_b128 v[28:31], v14 offset:16
	v_cvt_pk_f32_fp8_sdwa v[42:43], v16 src0_sel:WORD_1
	s_waitcnt lgkmcnt(1)
	v_mfma_f32_16x16x16_f16 v[32:35], v[18:19], v[22:23], 0
	v_cvt_pkrtz_f16_f32 v18, v38, v39
	v_cvt_pk_f32_fp8_e32 v[38:39], v17
	v_cvt_pkrtz_f16_f32 v19, v42, v43
	v_mfma_f32_16x16x16_f16 v[22:25], v[36:37], v[24:25], v[32:35]
	s_waitcnt vmcnt(2)
	v_cvt_pk_f32_fp8_sdwa v[36:37], v12 src0_sel:WORD_1
	s_load_dword s4, s[42:43], 0x0
	v_cmp_gt_u32_e32 vcc, 64, v0
	v_cvt_pk_f32_fp8_sdwa v[32:33], v17 src0_sel:WORD_1
	v_cvt_pkrtz_f16_f32 v34, v38, v39
	s_waitcnt lgkmcnt(0)
	v_mfma_f32_16x16x16_f16 v[16:19], v[18:19], v[28:29], v[22:25]
	v_cvt_pk_f32_fp8_e32 v[28:29], v11
	v_cvt_pkrtz_f16_f32 v35, v32, v33
	s_mov_b32 s3, 0
	v_cvt_pk_f32_fp8_e32 v[22:23], v10
	v_cvt_pk_f32_fp8_sdwa v[24:25], v10 src0_sel:WORD_1
	v_mfma_f32_16x16x16_f16 v[16:19], v[34:35], v[30:31], v[16:19]
	v_cvt_pkrtz_f16_f32 v10, v22, v23
	v_cvt_pk_f32_fp8_sdwa v[30:31], v11 src0_sel:WORD_1
	v_cvt_pkrtz_f16_f32 v11, v24, v25
	ds_read_b128 v[22:25], v14 offset:2048
	v_cvt_pkrtz_f16_f32 v32, v28, v29
	v_cvt_pkrtz_f16_f32 v33, v30, v31
	ds_read_b128 v[28:31], v14 offset:2064
	v_cvt_pk_f32_fp8_e32 v[34:35], v12
	s_waitcnt lgkmcnt(1)
	v_mfma_f32_16x16x16_f16 v[16:19], v[10:11], v[22:23], v[16:19]
	v_cvt_pkrtz_f16_f32 v11, v36, v37
	v_cvt_pk_f32_fp8_e32 v[22:23], v13
	v_cvt_pkrtz_f16_f32 v10, v34, v35
	v_mfma_f32_16x16x16_f16 v[16:19], v[32:33], v[24:25], v[16:19]
	v_cvt_pk_f32_fp8_sdwa v[24:25], v13 src0_sel:WORD_1
	v_cvt_pkrtz_f16_f32 v22, v22, v23
	s_waitcnt vmcnt(1)
	v_cvt_pk_f32_fp8_sdwa v[32:33], v8 src0_sel:WORD_1
	s_waitcnt lgkmcnt(0)
	v_mfma_f32_16x16x16_f16 v[10:13], v[10:11], v[28:29], v[16:19]
	v_cvt_pkrtz_f16_f32 v23, v24, v25
	v_cvt_pk_f32_fp8_sdwa v[24:25], v7 src0_sel:WORD_1
	v_mov_b32_e32 v27, 0
	v_cvt_pk_f32_fp8_e32 v[16:17], v6
	v_cvt_pk_f32_fp8_sdwa v[18:19], v6 src0_sel:WORD_1
	v_mfma_f32_16x16x16_f16 v[10:13], v[22:23], v[30:31], v[10:13]
	v_cvt_pk_f32_fp8_e32 v[22:23], v7
	v_cvt_pkrtz_f16_f32 v6, v16, v17
	v_cvt_pkrtz_f16_f32 v7, v18, v19
	ds_read_b128 v[16:19], v14 offset:4096
	v_cvt_pkrtz_f16_f32 v28, v22, v23
	v_cvt_pkrtz_f16_f32 v29, v24, v25
	ds_read_b128 v[22:25], v14 offset:4112
	v_cvt_pk_f32_fp8_e32 v[30:31], v8
	s_waitcnt lgkmcnt(1)
	v_mfma_f32_16x16x16_f16 v[10:13], v[6:7], v[16:17], v[10:13]
	v_cvt_pkrtz_f16_f32 v7, v32, v33
	v_cvt_pk_f32_fp8_e32 v[16:17], v9
	v_cvt_pkrtz_f16_f32 v6, v30, v31
	v_mfma_f32_16x16x16_f16 v[10:13], v[28:29], v[18:19], v[10:13]
	v_cvt_pk_f32_fp8_sdwa v[18:19], v9 src0_sel:WORD_1
	v_cvt_pkrtz_f16_f32 v16, v16, v17
	v_cvt_pkrtz_f16_f32 v17, v18, v19
	s_waitcnt lgkmcnt(0)
	v_mfma_f32_16x16x16_f16 v[6:9], v[6:7], v[22:23], v[10:13]
	s_waitcnt vmcnt(0)
	v_cvt_pk_f32_fp8_sdwa v[18:19], v3 src0_sel:WORD_1
	s_nop 0
	v_cvt_pkrtz_f16_f32 v23, v18, v19
	v_cvt_pk_f32_fp8_e32 v[10:11], v2
	v_cvt_pk_f32_fp8_sdwa v[12:13], v2 src0_sel:WORD_1
	v_mfma_f32_16x16x16_f16 v[6:9], v[16:17], v[24:25], v[6:9]
	v_cvt_pk_f32_fp8_e32 v[16:17], v3
	v_cvt_pkrtz_f16_f32 v2, v10, v11
	v_cvt_pkrtz_f16_f32 v3, v12, v13
	ds_read_b128 v[10:13], v14 offset:6144
	v_cvt_pkrtz_f16_f32 v22, v16, v17
	v_cvt_pk_f32_fp8_e32 v[18:19], v4
	v_cvt_pk_f32_fp8_sdwa v[24:25], v4 src0_sel:WORD_1
	s_waitcnt lgkmcnt(0)
	v_mfma_f32_16x16x16_f16 v[6:9], v[2:3], v[10:11], v[6:9]
	ds_read_b128 v[14:17], v14 offset:6160
	v_cvt_pkrtz_f16_f32 v2, v18, v19
	v_cvt_pkrtz_f16_f32 v3, v24, v25
	v_cvt_pk_f32_fp8_e32 v[10:11], v5
	v_mfma_f32_16x16x16_f16 v[6:9], v[22:23], v[12:13], v[6:9]
	v_cvt_pk_f32_fp8_sdwa v[12:13], v5 src0_sel:WORD_1
	s_waitcnt lgkmcnt(0)
	v_cvt_pkrtz_f16_f32 v10, v10, v11
	v_mfma_f32_16x16x16_f16 v[2:5], v[2:3], v[14:15], v[6:9]
	v_cvt_pkrtz_f16_f32 v11, v12, v13
	s_barrier
	s_nop 0
	v_mfma_f32_16x16x16_f16 v[2:5], v[10:11], v[16:17], v[2:5]
	s_nop 6
	v_pk_mul_f32 v[4:5], v[4:5], s[4:5] op_sel_hi:[1,0]
	v_pk_mul_f32 v[2:3], v[2:3], s[4:5] op_sel_hi:[1,0]
	v_cvt_f16_f32_e32 v4, v4
	v_cvt_f16_f32_e32 v2, v2
	;; [unrolled: 1-line block ×4, first 2 shown]
	s_and_b64 s[4:5], vcc, s[30:31]
	v_pack_b32_f16 v2, v2, v3
	v_pack_b32_f16 v3, v4, v5
	ds_write_b64 v20, v[2:3]
	s_waitcnt lgkmcnt(0)
	s_barrier
	s_and_saveexec_b64 s[8:9], s[4:5]
	s_cbranch_execz .LBB795_17
; %bb.16:
	s_load_dwordx2 s[0:1], s[0:1], 0x68
	s_lshl_b32 s6, s6, 6
	s_mul_i32 s2, s7, s2
	s_mul_hi_u32 s5, s2, s6
	s_mul_i32 s4, s2, s6
	s_lshl_b64 s[4:5], s[4:5], 1
	v_lshlrev_b32_e32 v0, 10, v0
	s_waitcnt lgkmcnt(0)
	s_add_u32 s4, s0, s4
	v_and_b32_e32 v0, 0x1800, v0
	v_lshlrev_b32_e32 v2, 5, v1
	v_and_b32_e32 v3, 16, v40
	s_addc_u32 s5, s1, s5
	s_lshl_b32 s2, s28, 6
	v_or3_b32 v0, v0, v2, v3
	s_lshl_b64 s[0:1], s[2:3], 1
	ds_read_b128 v[2:5], v0
	ds_read_b128 v[6:9], v0 offset:128
	s_add_u32 s0, s4, s0
	s_addc_u32 s1, s5, s1
	v_or_b32_e32 v12, s29, v1
	v_lshl_add_u64 v[10:11], s[0:1], 0, v[26:27]
	v_mad_u64_u32 v[0:1], s[0:1], v12, s6, 0
	v_lshl_add_u64 v[0:1], v[0:1], 1, v[10:11]
	s_waitcnt lgkmcnt(1)
	global_store_dwordx4 v[0:1], v[2:5], off
	v_or_b32_e32 v0, 4, v12
	v_mad_u64_u32 v[0:1], s[0:1], v0, s6, 0
	v_lshl_add_u64 v[0:1], v[0:1], 1, v[10:11]
	s_waitcnt lgkmcnt(0)
	global_store_dwordx4 v[0:1], v[6:9], off
.LBB795_17:
	s_endpgm
	.section	.rodata,"a",@progbits
	.p2align	6, 0x0
	.amdhsa_kernel _Z39paged_attention_ll4mi_QKV_mfma16_kernelIDF16_hLN4vllm18Fp8KVCacheDataTypeE1EhLi16ELi64ELi256ELb0ELi8EEvPKT_PKT0_S7_ifPKiS9_S9_iPKfiiiPfSC_PS2_PT2_iSB_SB_
		.amdhsa_group_segment_fixed_size 8192
		.amdhsa_private_segment_fixed_size 0
		.amdhsa_kernarg_size 400
		.amdhsa_user_sgpr_count 2
		.amdhsa_user_sgpr_dispatch_ptr 0
		.amdhsa_user_sgpr_queue_ptr 0
		.amdhsa_user_sgpr_kernarg_segment_ptr 1
		.amdhsa_user_sgpr_dispatch_id 0
		.amdhsa_user_sgpr_kernarg_preload_length 0
		.amdhsa_user_sgpr_kernarg_preload_offset 0
		.amdhsa_user_sgpr_private_segment_size 0
		.amdhsa_uses_dynamic_stack 0
		.amdhsa_enable_private_segment 0
		.amdhsa_system_sgpr_workgroup_id_x 1
		.amdhsa_system_sgpr_workgroup_id_y 1
		.amdhsa_system_sgpr_workgroup_id_z 1
		.amdhsa_system_sgpr_workgroup_info 0
		.amdhsa_system_vgpr_workitem_id 0
		.amdhsa_next_free_vgpr 58
		.amdhsa_next_free_sgpr 49
		.amdhsa_accum_offset 60
		.amdhsa_reserve_vcc 1
		.amdhsa_float_round_mode_32 0
		.amdhsa_float_round_mode_16_64 0
		.amdhsa_float_denorm_mode_32 3
		.amdhsa_float_denorm_mode_16_64 3
		.amdhsa_dx10_clamp 1
		.amdhsa_ieee_mode 1
		.amdhsa_fp16_overflow 0
		.amdhsa_tg_split 0
		.amdhsa_exception_fp_ieee_invalid_op 0
		.amdhsa_exception_fp_denorm_src 0
		.amdhsa_exception_fp_ieee_div_zero 0
		.amdhsa_exception_fp_ieee_overflow 0
		.amdhsa_exception_fp_ieee_underflow 0
		.amdhsa_exception_fp_ieee_inexact 0
		.amdhsa_exception_int_div_zero 0
	.end_amdhsa_kernel
	.section	.text._Z39paged_attention_ll4mi_QKV_mfma16_kernelIDF16_hLN4vllm18Fp8KVCacheDataTypeE1EhLi16ELi64ELi256ELb0ELi8EEvPKT_PKT0_S7_ifPKiS9_S9_iPKfiiiPfSC_PS2_PT2_iSB_SB_,"axG",@progbits,_Z39paged_attention_ll4mi_QKV_mfma16_kernelIDF16_hLN4vllm18Fp8KVCacheDataTypeE1EhLi16ELi64ELi256ELb0ELi8EEvPKT_PKT0_S7_ifPKiS9_S9_iPKfiiiPfSC_PS2_PT2_iSB_SB_,comdat
.Lfunc_end795:
	.size	_Z39paged_attention_ll4mi_QKV_mfma16_kernelIDF16_hLN4vllm18Fp8KVCacheDataTypeE1EhLi16ELi64ELi256ELb0ELi8EEvPKT_PKT0_S7_ifPKiS9_S9_iPKfiiiPfSC_PS2_PT2_iSB_SB_, .Lfunc_end795-_Z39paged_attention_ll4mi_QKV_mfma16_kernelIDF16_hLN4vllm18Fp8KVCacheDataTypeE1EhLi16ELi64ELi256ELb0ELi8EEvPKT_PKT0_S7_ifPKiS9_S9_iPKfiiiPfSC_PS2_PT2_iSB_SB_
                                        ; -- End function
	.section	.AMDGPU.csdata,"",@progbits
; Kernel info:
; codeLenInByte = 4536
; NumSgprs: 55
; NumVgprs: 58
; NumAgprs: 0
; TotalNumVgprs: 58
; ScratchSize: 0
; MemoryBound: 0
; FloatMode: 240
; IeeeMode: 1
; LDSByteSize: 8192 bytes/workgroup (compile time only)
; SGPRBlocks: 6
; VGPRBlocks: 7
; NumSGPRsForWavesPerEU: 55
; NumVGPRsForWavesPerEU: 58
; AccumOffset: 60
; Occupancy: 8
; WaveLimiterHint : 1
; COMPUTE_PGM_RSRC2:SCRATCH_EN: 0
; COMPUTE_PGM_RSRC2:USER_SGPR: 2
; COMPUTE_PGM_RSRC2:TRAP_HANDLER: 0
; COMPUTE_PGM_RSRC2:TGID_X_EN: 1
; COMPUTE_PGM_RSRC2:TGID_Y_EN: 1
; COMPUTE_PGM_RSRC2:TGID_Z_EN: 1
; COMPUTE_PGM_RSRC2:TIDIG_COMP_CNT: 0
; COMPUTE_PGM_RSRC3_GFX90A:ACCUM_OFFSET: 14
; COMPUTE_PGM_RSRC3_GFX90A:TG_SPLIT: 0
	.section	.text._Z39paged_attention_ll4mi_QKV_mfma16_kernelIDF16_hLN4vllm18Fp8KVCacheDataTypeE1EhLi16ELi64ELi256ELb0ELi9EEvPKT_PKT0_S7_ifPKiS9_S9_iPKfiiiPfSC_PS2_PT2_iSB_SB_,"axG",@progbits,_Z39paged_attention_ll4mi_QKV_mfma16_kernelIDF16_hLN4vllm18Fp8KVCacheDataTypeE1EhLi16ELi64ELi256ELb0ELi9EEvPKT_PKT0_S7_ifPKiS9_S9_iPKfiiiPfSC_PS2_PT2_iSB_SB_,comdat
	.protected	_Z39paged_attention_ll4mi_QKV_mfma16_kernelIDF16_hLN4vllm18Fp8KVCacheDataTypeE1EhLi16ELi64ELi256ELb0ELi9EEvPKT_PKT0_S7_ifPKiS9_S9_iPKfiiiPfSC_PS2_PT2_iSB_SB_ ; -- Begin function _Z39paged_attention_ll4mi_QKV_mfma16_kernelIDF16_hLN4vllm18Fp8KVCacheDataTypeE1EhLi16ELi64ELi256ELb0ELi9EEvPKT_PKT0_S7_ifPKiS9_S9_iPKfiiiPfSC_PS2_PT2_iSB_SB_
	.globl	_Z39paged_attention_ll4mi_QKV_mfma16_kernelIDF16_hLN4vllm18Fp8KVCacheDataTypeE1EhLi16ELi64ELi256ELb0ELi9EEvPKT_PKT0_S7_ifPKiS9_S9_iPKfiiiPfSC_PS2_PT2_iSB_SB_
	.p2align	8
	.type	_Z39paged_attention_ll4mi_QKV_mfma16_kernelIDF16_hLN4vllm18Fp8KVCacheDataTypeE1EhLi16ELi64ELi256ELb0ELi9EEvPKT_PKT0_S7_ifPKiS9_S9_iPKfiiiPfSC_PS2_PT2_iSB_SB_,@function
_Z39paged_attention_ll4mi_QKV_mfma16_kernelIDF16_hLN4vllm18Fp8KVCacheDataTypeE1EhLi16ELi64ELi256ELb0ELi9EEvPKT_PKT0_S7_ifPKiS9_S9_iPKfiiiPfSC_PS2_PT2_iSB_SB_: ; @_Z39paged_attention_ll4mi_QKV_mfma16_kernelIDF16_hLN4vllm18Fp8KVCacheDataTypeE1EhLi16ELi64ELi256ELb0ELi9EEvPKT_PKT0_S7_ifPKiS9_S9_iPKfiiiPfSC_PS2_PT2_iSB_SB_
; %bb.0:
	s_load_dwordx2 s[12:13], s[0:1], 0x30
	s_mov_b32 s28, s3
	s_mov_b64 s[6:7], 0
	s_waitcnt lgkmcnt(0)
	s_cmp_lg_u64 s[12:13], 0
	s_cselect_b64 s[14:15], -1, 0
	s_and_b64 vcc, exec, s[14:15]
	s_cbranch_vccz .LBB796_7
; %bb.1:
	s_add_i32 s8, s2, 1
	s_mov_b32 s9, 0
	s_lshl_b64 s[10:11], s[8:9], 2
	s_add_u32 s10, s12, s10
	s_mov_b32 s3, s9
	s_addc_u32 s11, s13, s11
	s_lshl_b64 s[8:9], s[2:3], 2
	s_add_u32 s8, s12, s8
	s_addc_u32 s9, s13, s9
	s_load_dword s5, s[10:11], 0x0
	s_load_dword s16, s[8:9], 0x0
	s_waitcnt lgkmcnt(0)
	s_sub_i32 s5, s5, s16
	s_cmp_eq_u32 s5, 1
	s_cselect_b64 s[8:9], -1, 0
	s_andn2_b64 vcc, exec, s[6:7]
	s_cbranch_vccnz .LBB796_3
.LBB796_2:
	s_mov_b32 s3, 0
	s_mov_b64 s[8:9], -1
.LBB796_3:
	s_andn2_b64 vcc, exec, s[8:9]
	s_cbranch_vccnz .LBB796_18
; %bb.4:
	s_load_dwordx2 s[6:7], s[0:1], 0x28
	s_lshl_b64 s[16:17], s[2:3], 2
	s_waitcnt lgkmcnt(0)
	s_add_u32 s6, s6, s16
	s_addc_u32 s7, s7, s17
	s_load_dword s33, s[6:7], 0x0
	s_lshl_b32 s5, s28, 8
	s_waitcnt lgkmcnt(0)
	s_cmp_ge_i32 s5, s33
	s_cbranch_scc1 .LBB796_18
; %bb.5:
	s_load_dwordx2 s[6:7], s[0:1], 0x20
	s_load_dword s8, s[0:1], 0x38
	s_add_i32 s9, s33, 15
	s_ashr_i32 s10, s9, 31
	v_and_b32_e32 v1, 0xcf, v0
	s_lshr_b32 s10, s10, 28
	v_add_u32_e32 v1, s5, v1
	s_add_i32 s9, s9, s10
	v_ashrrev_i32_e32 v2, 31, v1
	s_ashr_i32 s18, s9, 4
	v_lshrrev_b32_e32 v4, 28, v2
	s_add_i32 s18, s18, -1
	s_waitcnt lgkmcnt(0)
	s_mul_i32 s8, s2, s8
	s_mov_b32 s9, 0
	v_add_u32_e32 v2, v1, v4
	s_lshl_b64 s[8:9], s[8:9], 2
	v_ashrrev_i32_e32 v2, 4, v2
	v_mov_b32_e32 v5, s18
	v_cmp_gt_i32_e32 vcc, s33, v1
	s_add_u32 s6, s6, s8
	s_addc_u32 s7, s7, s9
	v_cndmask_b32_e32 v2, v5, v2, vcc
	v_ashrrev_i32_e32 v3, 31, v2
	v_lshl_add_u64 v[6:7], v[2:3], 2, s[6:7]
	v_or_b32_e32 v2, 16, v1
	v_add_u32_e32 v3, v2, v4
	v_ashrrev_i32_e32 v3, 4, v3
	v_cmp_gt_i32_e32 vcc, s33, v2
	s_load_dwordx4 s[8:11], s[0:1], 0x8
	s_nop 0
	v_cndmask_b32_e32 v2, v5, v3, vcc
	v_ashrrev_i32_e32 v3, 31, v2
	v_lshl_add_u64 v[8:9], v[2:3], 2, s[6:7]
	v_or_b32_e32 v2, 32, v1
	v_add_u32_e32 v3, v2, v4
	v_ashrrev_i32_e32 v3, 4, v3
	v_cmp_gt_i32_e32 vcc, s33, v2
	v_or_b32_e32 v1, 48, v1
	s_nop 0
	v_cndmask_b32_e32 v2, v5, v3, vcc
	v_ashrrev_i32_e32 v3, 31, v2
	v_lshl_add_u64 v[10:11], v[2:3], 2, s[6:7]
	v_add_u32_e32 v2, v1, v4
	v_ashrrev_i32_e32 v2, 4, v2
	v_cmp_gt_i32_e32 vcc, s33, v1
	s_nop 1
	v_cndmask_b32_e32 v2, v5, v2, vcc
	v_ashrrev_i32_e32 v3, 31, v2
	v_lshl_add_u64 v[12:13], v[2:3], 2, s[6:7]
	global_load_dword v4, v[6:7], off
	global_load_dword v3, v[8:9], off
	;; [unrolled: 1-line block ×4, first 2 shown]
	s_andn2_b64 vcc, exec, s[14:15]
	s_cbranch_vccnz .LBB796_8
; %bb.6:
	s_add_u32 s12, s12, s16
	s_addc_u32 s13, s13, s17
	s_load_dword s14, s[12:13], 0x0
	s_branch .LBB796_9
.LBB796_7:
	s_mov_b64 s[8:9], 0
	s_branch .LBB796_2
.LBB796_8:
	s_mov_b32 s14, s2
.LBB796_9:
	s_load_dwordx4 s[44:47], s[0:1], 0x48
	v_lshrrev_b32_e32 v29, 6, v0
	v_bfe_u32 v42, v0, 4, 2
	v_lshl_or_b32 v5, v29, 2, v42
	v_and_b32_e32 v28, 15, v0
	v_lshlrev_b32_e32 v1, 3, v28
	v_cmp_gt_u32_e32 vcc, 9, v5
	v_cmp_gt_u32_e64 s[30:31], 8, v28
	v_and_b32_e32 v43, 63, v0
	s_mul_i32 s48, s4, 9
	s_and_b64 s[16:17], s[30:31], vcc
	v_lshlrev_b32_e32 v26, 1, v1
	v_lshlrev_b32_e32 v1, 4, v0
	s_and_saveexec_b64 s[12:13], s[16:17]
	s_cbranch_execz .LBB796_11
; %bb.10:
	s_load_dwordx2 s[16:17], s[0:1], 0x0
	s_waitcnt lgkmcnt(0)
	s_ashr_i32 s15, s44, 31
	s_mul_hi_u32 s19, s14, s44
	s_mul_i32 s15, s14, s15
	s_add_i32 s15, s19, s15
	s_mul_i32 s14, s14, s44
	s_lshl_b64 s[14:15], s[14:15], 1
	s_add_u32 s14, s16, s14
	v_add_lshl_u32 v6, v5, s48, 6
	s_addc_u32 s15, s17, s15
	v_ashrrev_i32_e32 v7, 31, v6
	v_lshl_add_u64 v[6:7], v[6:7], 1, s[14:15]
	v_mov_b32_e32 v27, 0
	v_lshl_add_u64 v[6:7], v[6:7], 0, v[26:27]
	global_load_dwordx4 v[6:9], v[6:7], off
	v_lshlrev_b32_e32 v11, 8, v28
	v_lshlrev_b32_e32 v5, 5, v5
	v_and_b32_e32 v10, 16, v1
	v_and_b32_e32 v11, 0xe00, v11
	v_or3_b32 v5, v11, v5, v10
	s_waitcnt vmcnt(0)
	ds_write_b128 v5, v[6:9]
.LBB796_11:
	s_or_b64 exec, exec, s[12:13]
	s_waitcnt lgkmcnt(0)
	s_mul_i32 s4, s4, s46
	s_add_u32 s8, s8, s4
	s_addc_u32 s9, s9, 0
	v_and_b32_e32 v8, 48, v0
	v_and_b32_e32 v30, 0xf0, v1
	v_mov_b32_e32 v31, 0
	v_lshl_add_u64 v[6:7], s[8:9], 0, v[30:31]
	v_lshlrev_b32_e32 v30, 4, v8
	v_lshl_add_u64 v[16:17], v[6:7], 0, v[30:31]
	s_waitcnt vmcnt(3)
	v_mad_i64_i32 v[4:5], s[8:9], v4, s45, v[16:17]
	s_load_dword s29, s[0:1], 0x98
	s_load_dwordx4 s[40:43], s[0:1], 0x80
	s_waitcnt lgkmcnt(0)
	s_barrier
	global_load_dwordx4 v[22:25], v[4:5], off
	s_waitcnt vmcnt(3)
	v_mad_i64_i32 v[4:5], s[8:9], v3, s45, v[16:17]
	global_load_dwordx4 v[18:21], v[4:5], off
	v_or_b32_e32 v10, s5, v8
	v_mov_b32_e32 v27, s18
	v_ashrrev_i32_e32 v3, 4, v10
	v_cmp_gt_i32_e32 vcc, s33, v10
	v_or_b32_e32 v15, 64, v10
	v_ashrrev_i32_e32 v32, 4, v15
	v_cndmask_b32_e32 v4, v27, v3, vcc
	s_waitcnt vmcnt(3)
	v_mad_i64_i32 v[2:3], s[8:9], v2, s45, v[16:17]
	global_load_dwordx4 v[6:9], v[2:3], off
	v_ashrrev_i32_e32 v5, 31, v4
	v_lshl_add_u64 v[4:5], v[4:5], 2, s[6:7]
	global_load_dword v56, v[4:5], off
	v_add_u32_e32 v4, -9, v28
	v_cmp_gt_u32_e32 vcc, 9, v28
	v_or_b32_e32 v33, 0x80, v10
	v_or_b32_e32 v35, 0xc0, v10
	v_cndmask_b32_e32 v2, v4, v28, vcc
	v_lshlrev_b32_e32 v2, 5, v2
	v_lshl_add_u32 v2, v42, 9, v2
	v_cmp_gt_i32_e32 vcc, s33, v15
	s_waitcnt vmcnt(4)
	v_mad_i64_i32 v[14:15], s[12:13], v14, s45, v[16:17]
	ds_read_b128 v[10:13], v2
	ds_read_b128 v[2:5], v2 offset:16
	global_load_dwordx4 v[14:17], v[14:15], off
	v_ashrrev_i32_e32 v34, 4, v33
	v_cndmask_b32_e32 v32, v27, v32, vcc
	v_cmp_gt_i32_e32 vcc, s33, v33
	v_ashrrev_i32_e32 v36, 4, v35
	v_ashrrev_i32_e32 v33, 31, v32
	v_cndmask_b32_e32 v34, v27, v34, vcc
	v_cmp_gt_i32_e32 vcc, s33, v35
	v_ashrrev_i32_e32 v35, 31, v34
	v_lshl_add_u64 v[32:33], v[32:33], 2, s[6:7]
	v_cndmask_b32_e32 v36, v27, v36, vcc
	v_ashrrev_i32_e32 v37, 31, v36
	v_lshl_add_u64 v[36:37], v[36:37], 2, s[6:7]
	s_add_u32 s8, s10, s4
	s_load_dword s4, s[40:41], 0x0
	v_lshl_add_u64 v[38:39], v[34:35], 2, s[6:7]
	global_load_dword v35, v[32:33], off
	global_load_dword v27, v[38:39], off
	;; [unrolled: 1-line block ×3, first 2 shown]
	s_load_dword s14, s[0:1], 0x1c
	s_mov_b32 s44, 0xff7fffff
	v_lshlrev_b32_e32 v30, 4, v28
	s_addc_u32 s9, s11, 0
	v_lshl_or_b32 v30, v29, 8, v30
	s_waitcnt lgkmcnt(0)
	v_mov_b32_e32 v57, s14
	v_lshl_add_u64 v[30:31], s[8:9], 0, v[30:31]
	s_waitcnt vmcnt(7)
	v_cvt_pk_f32_fp8_e32 v[32:33], v22
	v_cvt_pk_f32_fp8_sdwa v[36:37], v22 src0_sel:WORD_1
	v_cvt_pk_f32_fp8_e32 v[38:39], v23
	v_cvt_pk_f32_fp8_sdwa v[40:41], v23 src0_sel:WORD_1
	v_cvt_pkrtz_f16_f32 v32, v32, v33
	v_cvt_pkrtz_f16_f32 v33, v36, v37
	s_waitcnt vmcnt(6)
	v_cvt_pk_f32_fp8_e32 v[22:23], v18
	v_cvt_pk_f32_fp8_sdwa v[50:51], v18 src0_sel:WORD_1
	v_cvt_pk_f32_fp8_e32 v[44:45], v24
	v_cvt_pk_f32_fp8_sdwa v[46:47], v24 src0_sel:WORD_1
	;; [unrolled: 2-line block ×3, first 2 shown]
	v_cvt_pkrtz_f16_f32 v36, v22, v23
	v_mfma_f32_16x16x16_f16 v[22:25], v[32:33], v[10:11], 0
	v_cvt_pkrtz_f16_f32 v32, v38, v39
	v_cvt_pkrtz_f16_f32 v33, v40, v41
	v_cvt_pk_f32_fp8_e32 v[54:55], v19
	v_cvt_pkrtz_f16_f32 v37, v50, v51
	v_cvt_pk_f32_fp8_sdwa v[18:19], v19 src0_sel:WORD_1
	v_mfma_f32_16x16x16_f16 v[22:25], v[32:33], v[12:13], v[22:25]
	v_cvt_pkrtz_f16_f32 v50, v54, v55
	v_cvt_pkrtz_f16_f32 v51, v18, v19
	;; [unrolled: 1-line block ×4, first 2 shown]
	v_mfma_f32_16x16x16_f16 v[36:39], v[36:37], v[10:11], 0
	v_cvt_pk_f32_fp8_e32 v[40:41], v20
	v_cvt_pk_f32_fp8_sdwa v[18:19], v20 src0_sel:WORD_1
	v_cvt_pkrtz_f16_f32 v44, v48, v49
	v_mfma_f32_16x16x16_f16 v[36:39], v[50:51], v[12:13], v[36:39]
	v_cvt_pk_f32_fp8_e32 v[50:51], v21
	v_cvt_pkrtz_f16_f32 v45, v52, v53
	v_cvt_pkrtz_f16_f32 v40, v40, v41
	v_mfma_f32_16x16x16_f16 v[22:25], v[32:33], v[2:3], v[22:25]
	v_cvt_pk_f32_fp8_sdwa v[32:33], v21 src0_sel:WORD_1
	v_cvt_pkrtz_f16_f32 v41, v18, v19
	v_cvt_pkrtz_f16_f32 v18, v50, v51
	v_mfma_f32_16x16x16_f16 v[44:47], v[44:45], v[4:5], v[22:25]
	v_cvt_pkrtz_f16_f32 v19, v32, v33
	s_waitcnt vmcnt(5)
	v_cvt_pk_f32_fp8_e32 v[32:33], v6
	v_cvt_pk_f32_fp8_sdwa v[48:49], v9 src0_sel:WORD_1
	v_mfma_f32_16x16x16_f16 v[22:25], v[40:41], v[2:3], v[36:39]
	v_mul_f32_e32 v50, s4, v57
	s_waitcnt vmcnt(4)
	v_mad_i64_i32 v[20:21], s[6:7], v56, s45, v[30:31]
	v_cvt_pk_f32_fp8_sdwa v[36:37], v6 src0_sel:WORD_1
	v_mfma_f32_16x16x16_f16 v[38:41], v[18:19], v[4:5], v[22:25]
	v_cvt_pk_f32_fp8_e32 v[18:19], v7
	v_cvt_pk_f32_fp8_sdwa v[6:7], v7 src0_sel:WORD_1
	v_cvt_pkrtz_f16_f32 v18, v18, v19
	v_cvt_pkrtz_f16_f32 v22, v32, v33
	;; [unrolled: 1-line block ×3, first 2 shown]
	v_cvt_pk_f32_fp8_e32 v[32:33], v8
	v_cvt_pk_f32_fp8_sdwa v[36:37], v8 src0_sel:WORD_1
	v_cvt_pkrtz_f16_f32 v19, v6, v7
	v_mfma_f32_16x16x16_f16 v[22:25], v[22:23], v[10:11], 0
	v_cvt_pkrtz_f16_f32 v32, v32, v33
	v_cvt_pkrtz_f16_f32 v33, v36, v37
	v_cvt_pk_f32_fp8_e32 v[36:37], v9
	v_mfma_f32_16x16x16_f16 v[6:9], v[18:19], v[12:13], v[22:25]
	v_cvt_pkrtz_f16_f32 v19, v48, v49
	v_cvt_pkrtz_f16_f32 v18, v36, v37
	s_nop 0
	v_pk_mul_f32 v[22:23], v[50:51], v[46:47] op_sel_hi:[0,1]
	v_mfma_f32_16x16x16_f16 v[46:49], v[32:33], v[2:3], v[6:9]
	s_waitcnt vmcnt(3)
	v_cvt_pk_f32_fp8_sdwa v[24:25], v14 src0_sel:WORD_1
	v_cvt_pk_f32_fp8_sdwa v[32:33], v16 src0_sel:WORD_1
	v_pk_mul_f32 v[36:37], v[50:51], v[40:41] op_sel_hi:[0,1]
	v_cvt_pk_f32_fp8_e32 v[8:9], v14
	v_pk_mul_f32 v[6:7], v[50:51], v[44:45] op_sel_hi:[0,1]
	v_mfma_f32_16x16x16_f16 v[44:47], v[18:19], v[4:5], v[46:49]
	v_cvt_pk_f32_fp8_e32 v[18:19], v15
	v_cvt_pkrtz_f16_f32 v8, v8, v9
	v_cvt_pkrtz_f16_f32 v9, v24, v25
	v_cvt_pk_f32_fp8_sdwa v[14:15], v15 src0_sel:WORD_1
	v_cvt_pkrtz_f16_f32 v18, v18, v19
	v_cvt_pk_f32_fp8_e32 v[24:25], v16
	v_mfma_f32_16x16x16_f16 v[8:11], v[8:9], v[10:11], 0
	v_cvt_pkrtz_f16_f32 v19, v14, v15
	v_cvt_pkrtz_f16_f32 v14, v24, v25
	;; [unrolled: 1-line block ×3, first 2 shown]
	v_cvt_pk_f32_fp8_e32 v[24:25], v17
	v_cvt_pk_f32_fp8_sdwa v[16:17], v17 src0_sel:WORD_1
	v_mfma_f32_16x16x16_f16 v[8:11], v[18:19], v[12:13], v[8:11]
	v_pk_mul_f32 v[40:41], v[50:51], v[38:39] op_sel_hi:[0,1]
	v_cvt_pkrtz_f16_f32 v12, v24, v25
	v_cvt_pkrtz_f16_f32 v13, v16, v17
	v_mfma_f32_16x16x16_f16 v[8:11], v[14:15], v[2:3], v[8:11]
	v_pk_mul_f32 v[38:39], v[50:51], v[44:45] op_sel_hi:[0,1]
	v_pk_mul_f32 v[32:33], v[50:51], v[46:47] op_sel_hi:[0,1]
	v_mfma_f32_16x16x16_f16 v[2:5], v[12:13], v[4:5], v[8:11]
	s_nop 6
	v_pk_mul_f32 v[24:25], v[50:51], v[2:3] op_sel_hi:[0,1]
	v_and_b32_e32 v2, 0xc0, v0
	v_add_u32_e32 v2, s5, v2
	v_lshl_or_b32 v2, v42, 2, v2
	v_pk_mul_f32 v[18:19], v[50:51], v[4:5] op_sel_hi:[0,1]
	v_or_b32_e32 v5, 1, v2
	v_mov_b32_e32 v3, 0xff7fffff
	v_cmp_gt_i32_e64 s[4:5], s33, v2
	v_cmp_gt_i32_e64 s[34:35], s33, v5
	v_or_b32_e32 v8, 3, v2
	v_cndmask_b32_e64 v4, v3, v6, s[4:5]
	v_cndmask_b32_e64 v5, v3, v7, s[34:35]
	v_max3_f32 v4, v4, s44, v5
	v_or_b32_e32 v5, 2, v2
	v_cmp_gt_i32_e64 s[36:37], s33, v5
	v_cmp_gt_i32_e64 s[38:39], s33, v8
	s_nop 0
	v_cndmask_b32_e64 v5, v3, v22, s[36:37]
	v_cndmask_b32_e64 v8, v3, v23, s[38:39]
	v_max3_f32 v4, v4, v5, v8
	v_or_b32_e32 v5, 16, v2
	v_or_b32_e32 v8, 17, v2
	v_cmp_gt_i32_e64 s[24:25], s33, v5
	v_cmp_gt_i32_e64 s[26:27], s33, v8
	s_nop 0
	v_cndmask_b32_e64 v5, v3, v40, s[24:25]
	v_cndmask_b32_e64 v8, v3, v41, s[26:27]
	v_max3_f32 v4, v4, v5, v8
	v_or_b32_e32 v5, 18, v2
	;; [unrolled: 8-line block ×6, first 2 shown]
	v_or_b32_e32 v2, 51, v2
	v_cmp_gt_i32_e32 vcc, s33, v5
	v_cmp_gt_i32_e64 s[6:7], s33, v2
	s_nop 0
	v_cndmask_b32_e32 v5, v3, v18, vcc
	v_cndmask_b32_e64 v2, v3, v19, s[6:7]
	v_max3_f32 v4, v4, v5, v2
	v_mbcnt_lo_u32_b32 v2, -1, 0
	v_mbcnt_hi_u32_b32 v5, -1, v2
	v_and_b32_e32 v2, 64, v5
	v_add_u32_e32 v8, 64, v2
	v_xor_b32_e32 v2, 32, v5
	v_cmp_lt_i32_e64 s[40:41], v2, v8
	s_nop 1
	v_cndmask_b32_e64 v2, v5, v2, s[40:41]
	v_lshlrev_b32_e32 v44, 2, v2
	ds_bpermute_b32 v9, v44, v4
	s_waitcnt vmcnt(2)
	v_mad_i64_i32 v[2:3], s[40:41], v35, s45, v[30:31]
	global_load_dwordx4 v[14:17], v[20:21], off
	global_load_dwordx4 v[10:13], v[2:3], off
	v_xor_b32_e32 v3, 16, v5
	v_cmp_lt_i32_e64 s[40:41], v3, v8
	s_waitcnt lgkmcnt(0)
	v_max_f32_e32 v2, v9, v9
	v_max_f32_e32 v2, v4, v2
	v_cndmask_b32_e64 v3, v5, v3, s[40:41]
	v_lshlrev_b32_e32 v45, 2, v3
	ds_bpermute_b32 v3, v45, v2
	s_waitcnt vmcnt(3)
	v_mad_i64_i32 v[20:21], s[40:41], v27, s45, v[30:31]
	s_waitcnt vmcnt(2)
	v_mad_i64_i32 v[30:31], s[40:41], v34, s45, v[30:31]
	s_waitcnt lgkmcnt(0)
	v_max_f32_e32 v3, v3, v3
	v_max_f32_e32 v27, v2, v3
	v_sub_f32_e32 v2, v6, v27
	v_mul_f32_e32 v2, 0x3fb8aa3b, v2
	v_exp_f32_e32 v34, v2
	v_sub_f32_e32 v2, v7, v27
	v_mul_f32_e32 v2, 0x3fb8aa3b, v2
	v_exp_f32_e32 v35, v2
	global_load_dwordx4 v[6:9], v[20:21], off
	global_load_dwordx4 v[2:5], v[30:31], off
	v_sub_f32_e32 v22, v22, v27
	v_mul_f32_e32 v22, 0x3fb8aa3b, v22
	v_sub_f32_e32 v23, v23, v27
	v_exp_f32_e32 v22, v22
	v_mul_f32_e32 v23, 0x3fb8aa3b, v23
	v_exp_f32_e32 v23, v23
	v_cndmask_b32_e64 v20, 0, v34, s[4:5]
	v_add_f32_e32 v30, 0, v20
	v_cndmask_b32_e64 v21, 0, v35, s[34:35]
	v_add_f32_e32 v30, v30, v21
	;; [unrolled: 2-line block ×3, first 2 shown]
	v_cndmask_b32_e64 v35, 0, v23, s[38:39]
	v_sub_f32_e32 v23, v40, v27
	v_sub_f32_e32 v30, v41, v27
	v_mul_f32_e32 v23, 0x3fb8aa3b, v23
	v_mul_f32_e32 v30, 0x3fb8aa3b, v30
	v_exp_f32_e32 v23, v23
	v_exp_f32_e32 v30, v30
	v_add_f32_e32 v31, v22, v35
	v_sub_f32_e32 v32, v32, v27
	v_cndmask_b32_e64 v22, 0, v23, s[24:25]
	v_cndmask_b32_e64 v23, 0, v30, s[26:27]
	v_sub_f32_e32 v30, v36, v27
	v_mul_f32_e32 v30, 0x3fb8aa3b, v30
	v_exp_f32_e32 v30, v30
	v_sub_f32_e32 v36, v37, v27
	v_add_f32_e32 v31, v31, v22
	v_mul_f32_e32 v36, 0x3fb8aa3b, v36
	v_exp_f32_e32 v37, v36
	v_add_f32_e32 v31, v31, v23
	v_cndmask_b32_e64 v36, 0, v30, s[20:21]
	v_add_f32_e32 v30, v31, v36
	v_sub_f32_e32 v31, v38, v27
	v_mul_f32_e32 v31, 0x3fb8aa3b, v31
	v_sub_f32_e32 v38, v39, v27
	v_exp_f32_e32 v31, v31
	v_mul_f32_e32 v38, 0x3fb8aa3b, v38
	v_exp_f32_e32 v38, v38
	v_mul_f32_e32 v32, 0x3fb8aa3b, v32
	v_sub_f32_e32 v33, v33, v27
	v_exp_f32_e32 v32, v32
	v_mul_f32_e32 v33, 0x3fb8aa3b, v33
	v_sub_f32_e32 v24, v24, v27
	v_cndmask_b32_e64 v37, 0, v37, s[22:23]
	v_exp_f32_e32 v33, v33
	v_mul_f32_e32 v24, 0x3fb8aa3b, v24
	v_sub_f32_e32 v25, v25, v27
	v_add_f32_e32 v39, v30, v37
	v_cndmask_b32_e64 v30, 0, v31, s[16:17]
	v_exp_f32_e32 v24, v24
	v_mul_f32_e32 v25, 0x3fb8aa3b, v25
	v_sub_f32_e32 v18, v18, v27
	v_add_f32_e32 v39, v39, v30
	;; [unrolled: 5-line block ×3, first 2 shown]
	v_cndmask_b32_e64 v32, 0, v32, s[12:13]
	v_exp_f32_e32 v18, v18
	v_mul_f32_e32 v19, 0x3fb8aa3b, v19
	v_add_f32_e32 v38, v38, v32
	v_cndmask_b32_e64 v33, 0, v33, s[14:15]
	v_exp_f32_e32 v19, v19
	v_add_f32_e32 v38, v38, v33
	v_cndmask_b32_e64 v24, 0, v24, s[8:9]
	v_add_f32_e32 v38, v38, v24
	v_cndmask_b32_e64 v25, 0, v25, s[10:11]
	v_add_f32_e32 v38, v38, v25
	v_cndmask_b32_e32 v18, 0, v18, vcc
	v_add_f32_e32 v38, v38, v18
	v_cndmask_b32_e64 v19, 0, v19, s[6:7]
	v_add_f32_e32 v38, v38, v19
	ds_bpermute_b32 v39, v44, v38
	v_cmp_gt_u32_e64 s[6:7], 16, v43
	s_waitcnt lgkmcnt(0)
	s_barrier
	v_add_f32_e32 v39, v38, v39
	ds_bpermute_b32 v40, v45, v39
	v_lshlrev_b32_e32 v38, 2, v28
	s_and_saveexec_b64 s[4:5], s[6:7]
	s_cbranch_execz .LBB796_13
; %bb.12:
	s_waitcnt lgkmcnt(0)
	v_add_f32_e32 v39, v39, v40
	v_lshl_or_b32 v40, v29, 6, v38
	ds_write2st64_b32 v40, v27, v39 offset1:1
.LBB796_13:
	s_or_b64 exec, exec, s[4:5]
	s_load_dword s8, s[0:1], 0x94
	s_waitcnt lgkmcnt(0)
	s_barrier
	ds_read2_b32 v[40:41], v38 offset1:16
	ds_read2_b32 v[44:45], v38 offset0:32 offset1:48
	ds_read2_b32 v[46:47], v38 offset0:64 offset1:80
	s_mul_i32 s9, s29, 9
	s_waitcnt lgkmcnt(2)
	v_max3_f32 v27, v40, s44, v41
	s_waitcnt lgkmcnt(1)
	v_max3_f32 v27, v27, v44, v45
	v_sub_f32_e32 v39, v40, v27
	v_sub_f32_e32 v40, v41, v27
	v_mul_f32_e32 v40, 0x3fb8aa3b, v40
	v_mul_f32_e32 v39, 0x3fb8aa3b, v39
	v_exp_f32_e32 v43, v40
	v_sub_f32_e32 v40, v44, v27
	v_exp_f32_e32 v39, v39
	v_mul_f32_e32 v40, 0x3fb8aa3b, v40
	v_exp_f32_e32 v44, v40
	ds_read2_b32 v[40:41], v38 offset0:96 offset1:112
	v_sub_f32_e32 v38, v45, v27
	v_mul_f32_e32 v38, 0x3fb8aa3b, v38
	v_exp_f32_e32 v45, v38
	s_waitcnt lgkmcnt(1)
	v_fma_f32 v38, v39, v46, 0
	v_fmac_f32_e32 v38, v43, v47
	s_waitcnt lgkmcnt(0)
	v_fmac_f32_e32 v38, v44, v40
	v_fmac_f32_e32 v38, v45, v41
	v_add_f32_e32 v40, 0x358637bd, v38
	v_div_scale_f32 v41, s[4:5], v40, v40, 1.0
	v_rcp_f32_e32 v46, v41
	s_barrier
	v_fma_f32 v47, -v41, v46, 1.0
	v_fmac_f32_e32 v46, v47, v46
	v_div_scale_f32 v47, vcc, 1.0, v40, 1.0
	v_mul_f32_e32 v48, v47, v46
	v_fma_f32 v49, -v41, v48, v47
	v_fmac_f32_e32 v48, v49, v46
	v_fma_f32 v41, -v41, v48, v47
	v_div_fmas_f32 v41, v41, v46, v48
	v_cmp_eq_u32_e32 vcc, 1, v29
	v_div_fixup_f32 v40, v41, v40, 1.0
	s_nop 0
	v_cndmask_b32_e32 v39, v39, v43, vcc
	v_cmp_eq_u32_e32 vcc, 2, v29
	s_nop 1
	v_cndmask_b32_e32 v39, v39, v44, vcc
	v_cmp_eq_u32_e32 vcc, 3, v29
	v_lshlrev_b32_e32 v29, 11, v29
	s_nop 0
	v_cndmask_b32_e32 v39, v39, v45, vcc
	v_mul_f32_e32 v40, v39, v40
	v_pk_mul_f32 v[20:21], v[40:41], v[20:21] op_sel_hi:[0,1]
	v_pk_mul_f32 v[34:35], v[40:41], v[34:35] op_sel_hi:[0,1]
	v_cvt_f16_f32_e32 v20, v20
	v_cvt_f16_f32_e32 v21, v21
	v_pk_mul_f32 v[36:37], v[40:41], v[36:37] op_sel_hi:[0,1]
	v_pk_mul_f32 v[22:23], v[40:41], v[22:23] op_sel_hi:[0,1]
	v_cvt_f16_f32_e32 v39, v34
	v_cvt_f16_f32_e32 v35, v35
	;; [unrolled: 1-line block ×6, first 2 shown]
	v_pack_b32_f16 v34, v20, v21
	v_lshlrev_b32_e32 v20, 3, v42
	v_lshlrev_b32_e32 v21, 5, v28
	v_pack_b32_f16 v35, v39, v35
	v_or3_b32 v20, v29, v21, v20
	v_pack_b32_f16 v22, v22, v23
	v_pack_b32_f16 v23, v36, v37
	ds_write2st64_b64 v20, v[34:35], v[22:23] offset1:1
	v_pk_mul_f32 v[22:23], v[40:41], v[32:33] op_sel_hi:[0,1]
	v_pk_mul_f32 v[30:31], v[40:41], v[30:31] op_sel_hi:[0,1]
	v_cvt_f16_f32_e32 v29, v30
	v_cvt_f16_f32_e32 v30, v31
	;; [unrolled: 1-line block ×4, first 2 shown]
	v_pk_mul_f32 v[18:19], v[40:41], v[18:19] op_sel_hi:[0,1]
	v_pk_mul_f32 v[22:23], v[40:41], v[24:25] op_sel_hi:[0,1]
	v_cvt_f16_f32_e32 v22, v22
	v_cvt_f16_f32_e32 v23, v23
	;; [unrolled: 1-line block ×4, first 2 shown]
	v_pack_b32_f16 v18, v29, v30
	v_pack_b32_f16 v19, v31, v32
	;; [unrolled: 1-line block ×4, first 2 shown]
	v_cmp_gt_u32_e32 vcc, 9, v0
	ds_write2st64_b64 v20, v[18:19], v[22:23] offset0:2 offset1:3
	s_and_saveexec_b64 s[4:5], vcc
	s_cbranch_execz .LBB796_15
; %bb.14:
	s_mov_b32 s49, 0
	v_mov_b32_e32 v29, 0
	v_lshl_add_u64 v[18:19], s[48:49], 0, v[28:29]
	v_mov_b32_e32 v22, s9
	v_mad_u64_u32 v[18:19], s[10:11], s2, v22, v[18:19]
	s_mul_i32 s3, s3, s9
	v_mov_b32_e32 v28, s28
	s_load_dwordx4 s[12:15], s[0:1], 0x58
	v_add_u32_e32 v23, s3, v19
	v_mad_u64_u32 v[18:19], s[10:11], v18, s8, v[28:29]
	v_mov_b32_e32 v22, v19
	v_mad_u64_u32 v[22:23], s[10:11], v23, s8, v[22:23]
	v_mov_b32_e32 v19, v22
	v_lshlrev_b64 v[18:19], 2, v[18:19]
	s_waitcnt lgkmcnt(0)
	v_lshl_add_u64 v[22:23], s[14:15], 0, v[18:19]
	v_lshl_add_u64 v[18:19], s[12:13], 0, v[18:19]
	global_store_dword v[22:23], v27, off
	global_store_dword v[18:19], v38, off
.LBB796_15:
	s_or_b64 exec, exec, s[4:5]
	s_waitcnt vmcnt(3)
	v_cvt_pk_f32_fp8_e32 v[18:19], v14
	v_cvt_pk_f32_fp8_sdwa v[22:23], v14 src0_sel:WORD_1
	v_cvt_pk_f32_fp8_e32 v[24:25], v15
	v_lshl_or_b32 v14, v42, 9, v21
	s_waitcnt lgkmcnt(0)
	s_barrier
	v_cvt_pkrtz_f16_f32 v18, v18, v19
	v_cvt_pkrtz_f16_f32 v19, v22, v23
	v_cvt_pk_f32_fp8_sdwa v[28:29], v15 src0_sel:WORD_1
	v_cvt_pkrtz_f16_f32 v36, v24, v25
	ds_read_b128 v[22:25], v14
	v_cvt_pk_f32_fp8_e32 v[38:39], v16
	v_cvt_pkrtz_f16_f32 v37, v28, v29
	ds_read_b128 v[28:31], v14 offset:16
	v_cvt_pk_f32_fp8_sdwa v[40:41], v16 src0_sel:WORD_1
	s_waitcnt lgkmcnt(1)
	v_mfma_f32_16x16x16_f16 v[32:35], v[18:19], v[22:23], 0
	v_cvt_pkrtz_f16_f32 v18, v38, v39
	v_cvt_pk_f32_fp8_e32 v[38:39], v17
	v_cvt_pkrtz_f16_f32 v19, v40, v41
	v_mfma_f32_16x16x16_f16 v[22:25], v[36:37], v[24:25], v[32:35]
	s_waitcnt vmcnt(2)
	v_cvt_pk_f32_fp8_sdwa v[36:37], v12 src0_sel:WORD_1
	s_load_dword s4, s[42:43], 0x0
	v_cmp_gt_u32_e32 vcc, 64, v0
	v_cvt_pk_f32_fp8_sdwa v[32:33], v17 src0_sel:WORD_1
	v_cvt_pkrtz_f16_f32 v34, v38, v39
	s_waitcnt lgkmcnt(0)
	v_mfma_f32_16x16x16_f16 v[16:19], v[18:19], v[28:29], v[22:25]
	v_cvt_pk_f32_fp8_e32 v[28:29], v11
	v_cvt_pkrtz_f16_f32 v35, v32, v33
	s_mov_b32 s3, 0
	v_cvt_pk_f32_fp8_e32 v[22:23], v10
	v_cvt_pk_f32_fp8_sdwa v[24:25], v10 src0_sel:WORD_1
	v_mfma_f32_16x16x16_f16 v[16:19], v[34:35], v[30:31], v[16:19]
	v_cvt_pkrtz_f16_f32 v10, v22, v23
	v_cvt_pk_f32_fp8_sdwa v[30:31], v11 src0_sel:WORD_1
	v_cvt_pkrtz_f16_f32 v11, v24, v25
	ds_read_b128 v[22:25], v14 offset:2048
	v_cvt_pkrtz_f16_f32 v32, v28, v29
	v_cvt_pkrtz_f16_f32 v33, v30, v31
	ds_read_b128 v[28:31], v14 offset:2064
	v_cvt_pk_f32_fp8_e32 v[34:35], v12
	s_waitcnt lgkmcnt(1)
	v_mfma_f32_16x16x16_f16 v[16:19], v[10:11], v[22:23], v[16:19]
	v_cvt_pkrtz_f16_f32 v11, v36, v37
	v_cvt_pk_f32_fp8_e32 v[22:23], v13
	v_cvt_pkrtz_f16_f32 v10, v34, v35
	v_mfma_f32_16x16x16_f16 v[16:19], v[32:33], v[24:25], v[16:19]
	v_cvt_pk_f32_fp8_sdwa v[24:25], v13 src0_sel:WORD_1
	v_cvt_pkrtz_f16_f32 v22, v22, v23
	s_waitcnt vmcnt(1)
	v_cvt_pk_f32_fp8_sdwa v[32:33], v8 src0_sel:WORD_1
	s_waitcnt lgkmcnt(0)
	v_mfma_f32_16x16x16_f16 v[10:13], v[10:11], v[28:29], v[16:19]
	v_cvt_pkrtz_f16_f32 v23, v24, v25
	v_cvt_pk_f32_fp8_sdwa v[24:25], v7 src0_sel:WORD_1
	v_mov_b32_e32 v27, 0
	v_cvt_pk_f32_fp8_e32 v[16:17], v6
	v_cvt_pk_f32_fp8_sdwa v[18:19], v6 src0_sel:WORD_1
	v_mfma_f32_16x16x16_f16 v[10:13], v[22:23], v[30:31], v[10:13]
	v_cvt_pk_f32_fp8_e32 v[22:23], v7
	v_cvt_pkrtz_f16_f32 v6, v16, v17
	v_cvt_pkrtz_f16_f32 v7, v18, v19
	ds_read_b128 v[16:19], v14 offset:4096
	v_cvt_pkrtz_f16_f32 v28, v22, v23
	v_cvt_pkrtz_f16_f32 v29, v24, v25
	ds_read_b128 v[22:25], v14 offset:4112
	v_cvt_pk_f32_fp8_e32 v[30:31], v8
	s_waitcnt lgkmcnt(1)
	v_mfma_f32_16x16x16_f16 v[10:13], v[6:7], v[16:17], v[10:13]
	v_cvt_pkrtz_f16_f32 v7, v32, v33
	v_cvt_pk_f32_fp8_e32 v[16:17], v9
	v_cvt_pkrtz_f16_f32 v6, v30, v31
	v_mfma_f32_16x16x16_f16 v[10:13], v[28:29], v[18:19], v[10:13]
	v_cvt_pk_f32_fp8_sdwa v[18:19], v9 src0_sel:WORD_1
	v_cvt_pkrtz_f16_f32 v16, v16, v17
	v_cvt_pkrtz_f16_f32 v17, v18, v19
	s_waitcnt lgkmcnt(0)
	v_mfma_f32_16x16x16_f16 v[6:9], v[6:7], v[22:23], v[10:13]
	s_waitcnt vmcnt(0)
	v_cvt_pk_f32_fp8_sdwa v[18:19], v3 src0_sel:WORD_1
	s_nop 0
	v_cvt_pkrtz_f16_f32 v23, v18, v19
	v_cvt_pk_f32_fp8_e32 v[10:11], v2
	v_cvt_pk_f32_fp8_sdwa v[12:13], v2 src0_sel:WORD_1
	v_mfma_f32_16x16x16_f16 v[6:9], v[16:17], v[24:25], v[6:9]
	v_cvt_pk_f32_fp8_e32 v[16:17], v3
	v_cvt_pkrtz_f16_f32 v2, v10, v11
	v_cvt_pkrtz_f16_f32 v3, v12, v13
	ds_read_b128 v[10:13], v14 offset:6144
	v_cvt_pkrtz_f16_f32 v22, v16, v17
	v_cvt_pk_f32_fp8_e32 v[18:19], v4
	v_cvt_pk_f32_fp8_sdwa v[24:25], v4 src0_sel:WORD_1
	s_waitcnt lgkmcnt(0)
	v_mfma_f32_16x16x16_f16 v[6:9], v[2:3], v[10:11], v[6:9]
	ds_read_b128 v[14:17], v14 offset:6160
	v_cvt_pkrtz_f16_f32 v2, v18, v19
	v_cvt_pkrtz_f16_f32 v3, v24, v25
	v_cvt_pk_f32_fp8_e32 v[10:11], v5
	v_mfma_f32_16x16x16_f16 v[6:9], v[22:23], v[12:13], v[6:9]
	v_cvt_pk_f32_fp8_sdwa v[12:13], v5 src0_sel:WORD_1
	s_waitcnt lgkmcnt(0)
	v_cvt_pkrtz_f16_f32 v10, v10, v11
	v_mfma_f32_16x16x16_f16 v[2:5], v[2:3], v[14:15], v[6:9]
	v_cvt_pkrtz_f16_f32 v11, v12, v13
	s_barrier
	s_nop 0
	v_mfma_f32_16x16x16_f16 v[2:5], v[10:11], v[16:17], v[2:5]
	s_nop 6
	v_pk_mul_f32 v[4:5], v[4:5], s[4:5] op_sel_hi:[1,0]
	v_pk_mul_f32 v[2:3], v[2:3], s[4:5] op_sel_hi:[1,0]
	v_cvt_f16_f32_e32 v4, v4
	v_cvt_f16_f32_e32 v2, v2
	;; [unrolled: 1-line block ×4, first 2 shown]
	s_and_b64 s[4:5], vcc, s[30:31]
	v_pack_b32_f16 v2, v2, v3
	v_pack_b32_f16 v3, v4, v5
	ds_write_b64 v20, v[2:3]
	s_waitcnt lgkmcnt(0)
	s_barrier
	s_and_saveexec_b64 s[10:11], s[4:5]
	s_cbranch_execz .LBB796_18
; %bb.16:
	s_load_dwordx2 s[4:5], s[0:1], 0x68
	s_lshl_b32 s0, s8, 6
	s_mul_i32 s1, s9, s2
	s_mul_hi_u32 s9, s1, s0
	s_mul_i32 s8, s1, s0
	v_lshlrev_b32_e32 v0, 10, v0
	s_lshl_b64 s[8:9], s[8:9], 1
	v_and_b32_e32 v0, 0x1800, v0
	v_lshlrev_b32_e32 v2, 5, v42
	v_and_b32_e32 v1, 16, v1
	s_waitcnt lgkmcnt(0)
	s_add_u32 s1, s4, s8
	v_or3_b32 v2, v0, v2, v1
	s_addc_u32 s4, s5, s9
	s_lshl_b32 s2, s28, 6
	s_lshl_b64 s[2:3], s[2:3], 1
	ds_read_b128 v[4:7], v2 offset:128
	ds_read_b128 v[8:11], v2
	s_add_u32 s2, s1, s2
	s_addc_u32 s3, s4, s3
	v_add_u32_e32 v3, s48, v42
	v_lshl_add_u64 v[0:1], s[2:3], 0, v[26:27]
	v_mad_u64_u32 v[12:13], s[2:3], v3, s0, 0
	v_lshl_add_u64 v[12:13], v[12:13], 1, v[0:1]
	v_add_u32_e32 v3, 4, v3
	s_waitcnt lgkmcnt(0)
	global_store_dwordx4 v[12:13], v[8:11], off
	s_nop 1
	v_mad_u64_u32 v[8:9], s[2:3], v3, s0, 0
	v_lshl_add_u64 v[8:9], v[8:9], 1, v[0:1]
	global_store_dwordx4 v[8:9], v[4:7], off
	s_and_b64 exec, exec, s[6:7]
	s_cbranch_execz .LBB796_18
; %bb.17:
	ds_read_b128 v[2:5], v2 offset:256
	v_add3_u32 v6, s48, v42, 8
	v_mad_u64_u32 v[6:7], s[0:1], v6, s0, 0
	v_lshl_add_u64 v[0:1], v[6:7], 1, v[0:1]
	s_waitcnt lgkmcnt(0)
	global_store_dwordx4 v[0:1], v[2:5], off
.LBB796_18:
	s_endpgm
	.section	.rodata,"a",@progbits
	.p2align	6, 0x0
	.amdhsa_kernel _Z39paged_attention_ll4mi_QKV_mfma16_kernelIDF16_hLN4vllm18Fp8KVCacheDataTypeE1EhLi16ELi64ELi256ELb0ELi9EEvPKT_PKT0_S7_ifPKiS9_S9_iPKfiiiPfSC_PS2_PT2_iSB_SB_
		.amdhsa_group_segment_fixed_size 8192
		.amdhsa_private_segment_fixed_size 0
		.amdhsa_kernarg_size 400
		.amdhsa_user_sgpr_count 2
		.amdhsa_user_sgpr_dispatch_ptr 0
		.amdhsa_user_sgpr_queue_ptr 0
		.amdhsa_user_sgpr_kernarg_segment_ptr 1
		.amdhsa_user_sgpr_dispatch_id 0
		.amdhsa_user_sgpr_kernarg_preload_length 0
		.amdhsa_user_sgpr_kernarg_preload_offset 0
		.amdhsa_user_sgpr_private_segment_size 0
		.amdhsa_uses_dynamic_stack 0
		.amdhsa_enable_private_segment 0
		.amdhsa_system_sgpr_workgroup_id_x 1
		.amdhsa_system_sgpr_workgroup_id_y 1
		.amdhsa_system_sgpr_workgroup_id_z 1
		.amdhsa_system_sgpr_workgroup_info 0
		.amdhsa_system_vgpr_workitem_id 0
		.amdhsa_next_free_vgpr 58
		.amdhsa_next_free_sgpr 50
		.amdhsa_accum_offset 60
		.amdhsa_reserve_vcc 1
		.amdhsa_float_round_mode_32 0
		.amdhsa_float_round_mode_16_64 0
		.amdhsa_float_denorm_mode_32 3
		.amdhsa_float_denorm_mode_16_64 3
		.amdhsa_dx10_clamp 1
		.amdhsa_ieee_mode 1
		.amdhsa_fp16_overflow 0
		.amdhsa_tg_split 0
		.amdhsa_exception_fp_ieee_invalid_op 0
		.amdhsa_exception_fp_denorm_src 0
		.amdhsa_exception_fp_ieee_div_zero 0
		.amdhsa_exception_fp_ieee_overflow 0
		.amdhsa_exception_fp_ieee_underflow 0
		.amdhsa_exception_fp_ieee_inexact 0
		.amdhsa_exception_int_div_zero 0
	.end_amdhsa_kernel
	.section	.text._Z39paged_attention_ll4mi_QKV_mfma16_kernelIDF16_hLN4vllm18Fp8KVCacheDataTypeE1EhLi16ELi64ELi256ELb0ELi9EEvPKT_PKT0_S7_ifPKiS9_S9_iPKfiiiPfSC_PS2_PT2_iSB_SB_,"axG",@progbits,_Z39paged_attention_ll4mi_QKV_mfma16_kernelIDF16_hLN4vllm18Fp8KVCacheDataTypeE1EhLi16ELi64ELi256ELb0ELi9EEvPKT_PKT0_S7_ifPKiS9_S9_iPKfiiiPfSC_PS2_PT2_iSB_SB_,comdat
.Lfunc_end796:
	.size	_Z39paged_attention_ll4mi_QKV_mfma16_kernelIDF16_hLN4vllm18Fp8KVCacheDataTypeE1EhLi16ELi64ELi256ELb0ELi9EEvPKT_PKT0_S7_ifPKiS9_S9_iPKfiiiPfSC_PS2_PT2_iSB_SB_, .Lfunc_end796-_Z39paged_attention_ll4mi_QKV_mfma16_kernelIDF16_hLN4vllm18Fp8KVCacheDataTypeE1EhLi16ELi64ELi256ELb0ELi9EEvPKT_PKT0_S7_ifPKiS9_S9_iPKfiiiPfSC_PS2_PT2_iSB_SB_
                                        ; -- End function
	.section	.AMDGPU.csdata,"",@progbits
; Kernel info:
; codeLenInByte = 4604
; NumSgprs: 56
; NumVgprs: 58
; NumAgprs: 0
; TotalNumVgprs: 58
; ScratchSize: 0
; MemoryBound: 0
; FloatMode: 240
; IeeeMode: 1
; LDSByteSize: 8192 bytes/workgroup (compile time only)
; SGPRBlocks: 6
; VGPRBlocks: 7
; NumSGPRsForWavesPerEU: 56
; NumVGPRsForWavesPerEU: 58
; AccumOffset: 60
; Occupancy: 8
; WaveLimiterHint : 1
; COMPUTE_PGM_RSRC2:SCRATCH_EN: 0
; COMPUTE_PGM_RSRC2:USER_SGPR: 2
; COMPUTE_PGM_RSRC2:TRAP_HANDLER: 0
; COMPUTE_PGM_RSRC2:TGID_X_EN: 1
; COMPUTE_PGM_RSRC2:TGID_Y_EN: 1
; COMPUTE_PGM_RSRC2:TGID_Z_EN: 1
; COMPUTE_PGM_RSRC2:TIDIG_COMP_CNT: 0
; COMPUTE_PGM_RSRC3_GFX90A:ACCUM_OFFSET: 14
; COMPUTE_PGM_RSRC3_GFX90A:TG_SPLIT: 0
	.section	.text._Z39paged_attention_ll4mi_QKV_mfma16_kernelIDF16_hLN4vllm18Fp8KVCacheDataTypeE1EhLi16ELi64ELi256ELb0ELi10EEvPKT_PKT0_S7_ifPKiS9_S9_iPKfiiiPfSC_PS2_PT2_iSB_SB_,"axG",@progbits,_Z39paged_attention_ll4mi_QKV_mfma16_kernelIDF16_hLN4vllm18Fp8KVCacheDataTypeE1EhLi16ELi64ELi256ELb0ELi10EEvPKT_PKT0_S7_ifPKiS9_S9_iPKfiiiPfSC_PS2_PT2_iSB_SB_,comdat
	.protected	_Z39paged_attention_ll4mi_QKV_mfma16_kernelIDF16_hLN4vllm18Fp8KVCacheDataTypeE1EhLi16ELi64ELi256ELb0ELi10EEvPKT_PKT0_S7_ifPKiS9_S9_iPKfiiiPfSC_PS2_PT2_iSB_SB_ ; -- Begin function _Z39paged_attention_ll4mi_QKV_mfma16_kernelIDF16_hLN4vllm18Fp8KVCacheDataTypeE1EhLi16ELi64ELi256ELb0ELi10EEvPKT_PKT0_S7_ifPKiS9_S9_iPKfiiiPfSC_PS2_PT2_iSB_SB_
	.globl	_Z39paged_attention_ll4mi_QKV_mfma16_kernelIDF16_hLN4vllm18Fp8KVCacheDataTypeE1EhLi16ELi64ELi256ELb0ELi10EEvPKT_PKT0_S7_ifPKiS9_S9_iPKfiiiPfSC_PS2_PT2_iSB_SB_
	.p2align	8
	.type	_Z39paged_attention_ll4mi_QKV_mfma16_kernelIDF16_hLN4vllm18Fp8KVCacheDataTypeE1EhLi16ELi64ELi256ELb0ELi10EEvPKT_PKT0_S7_ifPKiS9_S9_iPKfiiiPfSC_PS2_PT2_iSB_SB_,@function
_Z39paged_attention_ll4mi_QKV_mfma16_kernelIDF16_hLN4vllm18Fp8KVCacheDataTypeE1EhLi16ELi64ELi256ELb0ELi10EEvPKT_PKT0_S7_ifPKiS9_S9_iPKfiiiPfSC_PS2_PT2_iSB_SB_: ; @_Z39paged_attention_ll4mi_QKV_mfma16_kernelIDF16_hLN4vllm18Fp8KVCacheDataTypeE1EhLi16ELi64ELi256ELb0ELi10EEvPKT_PKT0_S7_ifPKiS9_S9_iPKfiiiPfSC_PS2_PT2_iSB_SB_
; %bb.0:
	s_load_dwordx2 s[12:13], s[0:1], 0x30
	s_mov_b32 s28, s3
	s_mov_b64 s[6:7], 0
	s_waitcnt lgkmcnt(0)
	s_cmp_lg_u64 s[12:13], 0
	s_cselect_b64 s[14:15], -1, 0
	s_and_b64 vcc, exec, s[14:15]
	s_cbranch_vccz .LBB797_7
; %bb.1:
	s_add_i32 s8, s2, 1
	s_mov_b32 s9, 0
	s_lshl_b64 s[10:11], s[8:9], 2
	s_add_u32 s10, s12, s10
	s_mov_b32 s3, s9
	s_addc_u32 s11, s13, s11
	s_lshl_b64 s[8:9], s[2:3], 2
	s_add_u32 s8, s12, s8
	s_addc_u32 s9, s13, s9
	s_load_dword s5, s[10:11], 0x0
	s_load_dword s16, s[8:9], 0x0
	s_waitcnt lgkmcnt(0)
	s_sub_i32 s5, s5, s16
	s_cmp_eq_u32 s5, 1
	s_cselect_b64 s[8:9], -1, 0
	s_andn2_b64 vcc, exec, s[6:7]
	s_cbranch_vccnz .LBB797_3
.LBB797_2:
	s_mov_b32 s3, 0
	s_mov_b64 s[8:9], -1
.LBB797_3:
	s_andn2_b64 vcc, exec, s[8:9]
	s_cbranch_vccnz .LBB797_18
; %bb.4:
	s_load_dwordx2 s[6:7], s[0:1], 0x28
	s_lshl_b64 s[16:17], s[2:3], 2
	s_waitcnt lgkmcnt(0)
	s_add_u32 s6, s6, s16
	s_addc_u32 s7, s7, s17
	s_load_dword s33, s[6:7], 0x0
	s_lshl_b32 s5, s28, 8
	s_waitcnt lgkmcnt(0)
	s_cmp_ge_i32 s5, s33
	s_cbranch_scc1 .LBB797_18
; %bb.5:
	s_load_dwordx2 s[6:7], s[0:1], 0x20
	s_load_dword s8, s[0:1], 0x38
	s_add_i32 s9, s33, 15
	s_ashr_i32 s10, s9, 31
	v_and_b32_e32 v1, 0xcf, v0
	s_lshr_b32 s10, s10, 28
	v_add_u32_e32 v1, s5, v1
	s_add_i32 s9, s9, s10
	v_ashrrev_i32_e32 v2, 31, v1
	s_ashr_i32 s18, s9, 4
	v_lshrrev_b32_e32 v4, 28, v2
	s_add_i32 s18, s18, -1
	s_waitcnt lgkmcnt(0)
	s_mul_i32 s8, s2, s8
	s_mov_b32 s9, 0
	v_add_u32_e32 v2, v1, v4
	s_lshl_b64 s[8:9], s[8:9], 2
	v_ashrrev_i32_e32 v2, 4, v2
	v_mov_b32_e32 v5, s18
	v_cmp_gt_i32_e32 vcc, s33, v1
	s_add_u32 s6, s6, s8
	s_addc_u32 s7, s7, s9
	v_cndmask_b32_e32 v2, v5, v2, vcc
	v_ashrrev_i32_e32 v3, 31, v2
	v_lshl_add_u64 v[6:7], v[2:3], 2, s[6:7]
	v_or_b32_e32 v2, 16, v1
	v_add_u32_e32 v3, v2, v4
	v_ashrrev_i32_e32 v3, 4, v3
	v_cmp_gt_i32_e32 vcc, s33, v2
	s_load_dwordx4 s[8:11], s[0:1], 0x8
	s_nop 0
	v_cndmask_b32_e32 v2, v5, v3, vcc
	v_ashrrev_i32_e32 v3, 31, v2
	v_lshl_add_u64 v[8:9], v[2:3], 2, s[6:7]
	v_or_b32_e32 v2, 32, v1
	v_add_u32_e32 v3, v2, v4
	v_ashrrev_i32_e32 v3, 4, v3
	v_cmp_gt_i32_e32 vcc, s33, v2
	v_or_b32_e32 v1, 48, v1
	s_nop 0
	v_cndmask_b32_e32 v2, v5, v3, vcc
	v_ashrrev_i32_e32 v3, 31, v2
	v_lshl_add_u64 v[10:11], v[2:3], 2, s[6:7]
	v_add_u32_e32 v2, v1, v4
	v_ashrrev_i32_e32 v2, 4, v2
	v_cmp_gt_i32_e32 vcc, s33, v1
	s_nop 1
	v_cndmask_b32_e32 v2, v5, v2, vcc
	v_ashrrev_i32_e32 v3, 31, v2
	v_lshl_add_u64 v[12:13], v[2:3], 2, s[6:7]
	global_load_dword v4, v[6:7], off
	global_load_dword v3, v[8:9], off
	global_load_dword v2, v[10:11], off
	global_load_dword v14, v[12:13], off
	s_andn2_b64 vcc, exec, s[14:15]
	s_cbranch_vccnz .LBB797_8
; %bb.6:
	s_add_u32 s12, s12, s16
	s_addc_u32 s13, s13, s17
	s_load_dword s14, s[12:13], 0x0
	s_branch .LBB797_9
.LBB797_7:
	s_mov_b64 s[8:9], 0
	s_branch .LBB797_2
.LBB797_8:
	s_mov_b32 s14, s2
.LBB797_9:
	s_load_dwordx4 s[44:47], s[0:1], 0x48
	v_lshrrev_b32_e32 v29, 6, v0
	v_bfe_u32 v42, v0, 4, 2
	v_lshl_or_b32 v5, v29, 2, v42
	v_and_b32_e32 v28, 15, v0
	v_lshlrev_b32_e32 v1, 3, v28
	v_cmp_gt_u32_e32 vcc, 10, v5
	v_cmp_gt_u32_e64 s[30:31], 8, v28
	v_and_b32_e32 v43, 63, v0
	s_mul_i32 s48, s4, 10
	s_and_b64 s[16:17], s[30:31], vcc
	v_lshlrev_b32_e32 v26, 1, v1
	v_lshlrev_b32_e32 v1, 4, v0
	s_and_saveexec_b64 s[12:13], s[16:17]
	s_cbranch_execz .LBB797_11
; %bb.10:
	s_load_dwordx2 s[16:17], s[0:1], 0x0
	s_waitcnt lgkmcnt(0)
	s_ashr_i32 s15, s44, 31
	s_mul_hi_u32 s19, s14, s44
	s_mul_i32 s15, s14, s15
	s_add_i32 s15, s19, s15
	s_mul_i32 s14, s14, s44
	s_lshl_b64 s[14:15], s[14:15], 1
	s_add_u32 s14, s16, s14
	v_add_lshl_u32 v6, v5, s48, 6
	s_addc_u32 s15, s17, s15
	v_ashrrev_i32_e32 v7, 31, v6
	v_lshl_add_u64 v[6:7], v[6:7], 1, s[14:15]
	v_mov_b32_e32 v27, 0
	v_lshl_add_u64 v[6:7], v[6:7], 0, v[26:27]
	global_load_dwordx4 v[6:9], v[6:7], off
	v_lshlrev_b32_e32 v11, 8, v28
	v_lshlrev_b32_e32 v5, 5, v5
	v_and_b32_e32 v10, 16, v1
	v_and_b32_e32 v11, 0xe00, v11
	v_or3_b32 v5, v11, v5, v10
	s_waitcnt vmcnt(0)
	ds_write_b128 v5, v[6:9]
.LBB797_11:
	s_or_b64 exec, exec, s[12:13]
	s_waitcnt lgkmcnt(0)
	s_mul_i32 s4, s4, s46
	s_add_u32 s8, s8, s4
	s_addc_u32 s9, s9, 0
	v_and_b32_e32 v8, 48, v0
	v_and_b32_e32 v30, 0xf0, v1
	v_mov_b32_e32 v31, 0
	v_lshl_add_u64 v[6:7], s[8:9], 0, v[30:31]
	v_lshlrev_b32_e32 v30, 4, v8
	v_lshl_add_u64 v[16:17], v[6:7], 0, v[30:31]
	s_waitcnt vmcnt(3)
	v_mad_i64_i32 v[4:5], s[8:9], v4, s45, v[16:17]
	s_load_dword s29, s[0:1], 0x98
	s_load_dwordx4 s[40:43], s[0:1], 0x80
	s_waitcnt lgkmcnt(0)
	s_barrier
	global_load_dwordx4 v[22:25], v[4:5], off
	s_waitcnt vmcnt(3)
	v_mad_i64_i32 v[4:5], s[8:9], v3, s45, v[16:17]
	global_load_dwordx4 v[18:21], v[4:5], off
	v_or_b32_e32 v10, s5, v8
	v_mov_b32_e32 v27, s18
	v_ashrrev_i32_e32 v3, 4, v10
	v_cmp_gt_i32_e32 vcc, s33, v10
	v_or_b32_e32 v15, 64, v10
	v_ashrrev_i32_e32 v32, 4, v15
	v_cndmask_b32_e32 v4, v27, v3, vcc
	s_waitcnt vmcnt(3)
	v_mad_i64_i32 v[2:3], s[8:9], v2, s45, v[16:17]
	global_load_dwordx4 v[6:9], v[2:3], off
	v_ashrrev_i32_e32 v5, 31, v4
	v_lshl_add_u64 v[4:5], v[4:5], 2, s[6:7]
	global_load_dword v56, v[4:5], off
	v_add_u32_e32 v4, -10, v28
	v_cmp_gt_u32_e32 vcc, 10, v28
	v_or_b32_e32 v33, 0x80, v10
	v_or_b32_e32 v35, 0xc0, v10
	v_cndmask_b32_e32 v2, v4, v28, vcc
	v_lshlrev_b32_e32 v2, 5, v2
	v_lshl_add_u32 v2, v42, 9, v2
	v_cmp_gt_i32_e32 vcc, s33, v15
	s_waitcnt vmcnt(4)
	v_mad_i64_i32 v[14:15], s[12:13], v14, s45, v[16:17]
	ds_read_b128 v[10:13], v2
	ds_read_b128 v[2:5], v2 offset:16
	global_load_dwordx4 v[14:17], v[14:15], off
	v_ashrrev_i32_e32 v34, 4, v33
	v_cndmask_b32_e32 v32, v27, v32, vcc
	v_cmp_gt_i32_e32 vcc, s33, v33
	v_ashrrev_i32_e32 v36, 4, v35
	v_ashrrev_i32_e32 v33, 31, v32
	v_cndmask_b32_e32 v34, v27, v34, vcc
	v_cmp_gt_i32_e32 vcc, s33, v35
	v_ashrrev_i32_e32 v35, 31, v34
	v_lshl_add_u64 v[32:33], v[32:33], 2, s[6:7]
	v_cndmask_b32_e32 v36, v27, v36, vcc
	v_ashrrev_i32_e32 v37, 31, v36
	v_lshl_add_u64 v[36:37], v[36:37], 2, s[6:7]
	s_add_u32 s8, s10, s4
	s_load_dword s4, s[40:41], 0x0
	v_lshl_add_u64 v[38:39], v[34:35], 2, s[6:7]
	global_load_dword v35, v[32:33], off
	global_load_dword v27, v[38:39], off
	;; [unrolled: 1-line block ×3, first 2 shown]
	s_load_dword s14, s[0:1], 0x1c
	s_mov_b32 s44, 0xff7fffff
	v_lshlrev_b32_e32 v30, 4, v28
	s_addc_u32 s9, s11, 0
	v_lshl_or_b32 v30, v29, 8, v30
	s_waitcnt lgkmcnt(0)
	v_mov_b32_e32 v57, s14
	v_lshl_add_u64 v[30:31], s[8:9], 0, v[30:31]
	s_waitcnt vmcnt(7)
	v_cvt_pk_f32_fp8_e32 v[32:33], v22
	v_cvt_pk_f32_fp8_sdwa v[36:37], v22 src0_sel:WORD_1
	v_cvt_pk_f32_fp8_e32 v[38:39], v23
	v_cvt_pk_f32_fp8_sdwa v[40:41], v23 src0_sel:WORD_1
	v_cvt_pkrtz_f16_f32 v32, v32, v33
	v_cvt_pkrtz_f16_f32 v33, v36, v37
	s_waitcnt vmcnt(6)
	v_cvt_pk_f32_fp8_e32 v[22:23], v18
	v_cvt_pk_f32_fp8_sdwa v[50:51], v18 src0_sel:WORD_1
	v_cvt_pk_f32_fp8_e32 v[44:45], v24
	v_cvt_pk_f32_fp8_sdwa v[46:47], v24 src0_sel:WORD_1
	;; [unrolled: 2-line block ×3, first 2 shown]
	v_cvt_pkrtz_f16_f32 v36, v22, v23
	v_mfma_f32_16x16x16_f16 v[22:25], v[32:33], v[10:11], 0
	v_cvt_pkrtz_f16_f32 v32, v38, v39
	v_cvt_pkrtz_f16_f32 v33, v40, v41
	v_cvt_pk_f32_fp8_e32 v[54:55], v19
	v_cvt_pkrtz_f16_f32 v37, v50, v51
	v_cvt_pk_f32_fp8_sdwa v[18:19], v19 src0_sel:WORD_1
	v_mfma_f32_16x16x16_f16 v[22:25], v[32:33], v[12:13], v[22:25]
	v_cvt_pkrtz_f16_f32 v50, v54, v55
	v_cvt_pkrtz_f16_f32 v51, v18, v19
	;; [unrolled: 1-line block ×4, first 2 shown]
	v_mfma_f32_16x16x16_f16 v[36:39], v[36:37], v[10:11], 0
	v_cvt_pk_f32_fp8_e32 v[40:41], v20
	v_cvt_pk_f32_fp8_sdwa v[18:19], v20 src0_sel:WORD_1
	v_cvt_pkrtz_f16_f32 v44, v48, v49
	v_mfma_f32_16x16x16_f16 v[36:39], v[50:51], v[12:13], v[36:39]
	v_cvt_pk_f32_fp8_e32 v[50:51], v21
	v_cvt_pkrtz_f16_f32 v45, v52, v53
	v_cvt_pkrtz_f16_f32 v40, v40, v41
	v_mfma_f32_16x16x16_f16 v[22:25], v[32:33], v[2:3], v[22:25]
	v_cvt_pk_f32_fp8_sdwa v[32:33], v21 src0_sel:WORD_1
	v_cvt_pkrtz_f16_f32 v41, v18, v19
	v_cvt_pkrtz_f16_f32 v18, v50, v51
	v_mfma_f32_16x16x16_f16 v[44:47], v[44:45], v[4:5], v[22:25]
	v_cvt_pkrtz_f16_f32 v19, v32, v33
	s_waitcnt vmcnt(5)
	v_cvt_pk_f32_fp8_e32 v[32:33], v6
	v_cvt_pk_f32_fp8_sdwa v[48:49], v9 src0_sel:WORD_1
	v_mfma_f32_16x16x16_f16 v[22:25], v[40:41], v[2:3], v[36:39]
	v_mul_f32_e32 v50, s4, v57
	s_waitcnt vmcnt(4)
	v_mad_i64_i32 v[20:21], s[6:7], v56, s45, v[30:31]
	v_cvt_pk_f32_fp8_sdwa v[36:37], v6 src0_sel:WORD_1
	v_mfma_f32_16x16x16_f16 v[38:41], v[18:19], v[4:5], v[22:25]
	v_cvt_pk_f32_fp8_e32 v[18:19], v7
	v_cvt_pk_f32_fp8_sdwa v[6:7], v7 src0_sel:WORD_1
	v_cvt_pkrtz_f16_f32 v18, v18, v19
	v_cvt_pkrtz_f16_f32 v22, v32, v33
	;; [unrolled: 1-line block ×3, first 2 shown]
	v_cvt_pk_f32_fp8_e32 v[32:33], v8
	v_cvt_pk_f32_fp8_sdwa v[36:37], v8 src0_sel:WORD_1
	v_cvt_pkrtz_f16_f32 v19, v6, v7
	v_mfma_f32_16x16x16_f16 v[22:25], v[22:23], v[10:11], 0
	v_cvt_pkrtz_f16_f32 v32, v32, v33
	v_cvt_pkrtz_f16_f32 v33, v36, v37
	v_cvt_pk_f32_fp8_e32 v[36:37], v9
	v_mfma_f32_16x16x16_f16 v[6:9], v[18:19], v[12:13], v[22:25]
	v_cvt_pkrtz_f16_f32 v19, v48, v49
	v_cvt_pkrtz_f16_f32 v18, v36, v37
	s_nop 0
	v_pk_mul_f32 v[22:23], v[50:51], v[46:47] op_sel_hi:[0,1]
	v_mfma_f32_16x16x16_f16 v[46:49], v[32:33], v[2:3], v[6:9]
	s_waitcnt vmcnt(3)
	v_cvt_pk_f32_fp8_sdwa v[24:25], v14 src0_sel:WORD_1
	v_cvt_pk_f32_fp8_sdwa v[32:33], v16 src0_sel:WORD_1
	v_pk_mul_f32 v[36:37], v[50:51], v[40:41] op_sel_hi:[0,1]
	v_cvt_pk_f32_fp8_e32 v[8:9], v14
	v_pk_mul_f32 v[6:7], v[50:51], v[44:45] op_sel_hi:[0,1]
	v_mfma_f32_16x16x16_f16 v[44:47], v[18:19], v[4:5], v[46:49]
	v_cvt_pk_f32_fp8_e32 v[18:19], v15
	v_cvt_pkrtz_f16_f32 v8, v8, v9
	v_cvt_pkrtz_f16_f32 v9, v24, v25
	v_cvt_pk_f32_fp8_sdwa v[14:15], v15 src0_sel:WORD_1
	v_cvt_pkrtz_f16_f32 v18, v18, v19
	v_cvt_pk_f32_fp8_e32 v[24:25], v16
	v_mfma_f32_16x16x16_f16 v[8:11], v[8:9], v[10:11], 0
	v_cvt_pkrtz_f16_f32 v19, v14, v15
	v_cvt_pkrtz_f16_f32 v14, v24, v25
	;; [unrolled: 1-line block ×3, first 2 shown]
	v_cvt_pk_f32_fp8_e32 v[24:25], v17
	v_cvt_pk_f32_fp8_sdwa v[16:17], v17 src0_sel:WORD_1
	v_mfma_f32_16x16x16_f16 v[8:11], v[18:19], v[12:13], v[8:11]
	v_pk_mul_f32 v[40:41], v[50:51], v[38:39] op_sel_hi:[0,1]
	v_cvt_pkrtz_f16_f32 v12, v24, v25
	v_cvt_pkrtz_f16_f32 v13, v16, v17
	v_mfma_f32_16x16x16_f16 v[8:11], v[14:15], v[2:3], v[8:11]
	v_pk_mul_f32 v[38:39], v[50:51], v[44:45] op_sel_hi:[0,1]
	v_pk_mul_f32 v[32:33], v[50:51], v[46:47] op_sel_hi:[0,1]
	v_mfma_f32_16x16x16_f16 v[2:5], v[12:13], v[4:5], v[8:11]
	s_nop 6
	v_pk_mul_f32 v[24:25], v[50:51], v[2:3] op_sel_hi:[0,1]
	v_and_b32_e32 v2, 0xc0, v0
	v_add_u32_e32 v2, s5, v2
	v_lshl_or_b32 v2, v42, 2, v2
	v_pk_mul_f32 v[18:19], v[50:51], v[4:5] op_sel_hi:[0,1]
	v_or_b32_e32 v5, 1, v2
	v_mov_b32_e32 v3, 0xff7fffff
	v_cmp_gt_i32_e64 s[4:5], s33, v2
	v_cmp_gt_i32_e64 s[34:35], s33, v5
	v_or_b32_e32 v8, 3, v2
	v_cndmask_b32_e64 v4, v3, v6, s[4:5]
	v_cndmask_b32_e64 v5, v3, v7, s[34:35]
	v_max3_f32 v4, v4, s44, v5
	v_or_b32_e32 v5, 2, v2
	v_cmp_gt_i32_e64 s[36:37], s33, v5
	v_cmp_gt_i32_e64 s[38:39], s33, v8
	s_nop 0
	v_cndmask_b32_e64 v5, v3, v22, s[36:37]
	v_cndmask_b32_e64 v8, v3, v23, s[38:39]
	v_max3_f32 v4, v4, v5, v8
	v_or_b32_e32 v5, 16, v2
	v_or_b32_e32 v8, 17, v2
	v_cmp_gt_i32_e64 s[24:25], s33, v5
	v_cmp_gt_i32_e64 s[26:27], s33, v8
	s_nop 0
	v_cndmask_b32_e64 v5, v3, v40, s[24:25]
	v_cndmask_b32_e64 v8, v3, v41, s[26:27]
	v_max3_f32 v4, v4, v5, v8
	v_or_b32_e32 v5, 18, v2
	;; [unrolled: 8-line block ×6, first 2 shown]
	v_or_b32_e32 v2, 51, v2
	v_cmp_gt_i32_e32 vcc, s33, v5
	v_cmp_gt_i32_e64 s[6:7], s33, v2
	s_nop 0
	v_cndmask_b32_e32 v5, v3, v18, vcc
	v_cndmask_b32_e64 v2, v3, v19, s[6:7]
	v_max3_f32 v4, v4, v5, v2
	v_mbcnt_lo_u32_b32 v2, -1, 0
	v_mbcnt_hi_u32_b32 v5, -1, v2
	v_and_b32_e32 v2, 64, v5
	v_add_u32_e32 v8, 64, v2
	v_xor_b32_e32 v2, 32, v5
	v_cmp_lt_i32_e64 s[40:41], v2, v8
	s_nop 1
	v_cndmask_b32_e64 v2, v5, v2, s[40:41]
	v_lshlrev_b32_e32 v44, 2, v2
	ds_bpermute_b32 v9, v44, v4
	s_waitcnt vmcnt(2)
	v_mad_i64_i32 v[2:3], s[40:41], v35, s45, v[30:31]
	global_load_dwordx4 v[14:17], v[20:21], off
	global_load_dwordx4 v[10:13], v[2:3], off
	v_xor_b32_e32 v3, 16, v5
	v_cmp_lt_i32_e64 s[40:41], v3, v8
	s_waitcnt lgkmcnt(0)
	v_max_f32_e32 v2, v9, v9
	v_max_f32_e32 v2, v4, v2
	v_cndmask_b32_e64 v3, v5, v3, s[40:41]
	v_lshlrev_b32_e32 v45, 2, v3
	ds_bpermute_b32 v3, v45, v2
	s_waitcnt vmcnt(3)
	v_mad_i64_i32 v[20:21], s[40:41], v27, s45, v[30:31]
	s_waitcnt vmcnt(2)
	v_mad_i64_i32 v[30:31], s[40:41], v34, s45, v[30:31]
	s_waitcnt lgkmcnt(0)
	v_max_f32_e32 v3, v3, v3
	v_max_f32_e32 v27, v2, v3
	v_sub_f32_e32 v2, v6, v27
	v_mul_f32_e32 v2, 0x3fb8aa3b, v2
	v_exp_f32_e32 v34, v2
	v_sub_f32_e32 v2, v7, v27
	v_mul_f32_e32 v2, 0x3fb8aa3b, v2
	v_exp_f32_e32 v35, v2
	global_load_dwordx4 v[6:9], v[20:21], off
	global_load_dwordx4 v[2:5], v[30:31], off
	v_sub_f32_e32 v22, v22, v27
	v_mul_f32_e32 v22, 0x3fb8aa3b, v22
	v_sub_f32_e32 v23, v23, v27
	v_exp_f32_e32 v22, v22
	v_mul_f32_e32 v23, 0x3fb8aa3b, v23
	v_exp_f32_e32 v23, v23
	v_cndmask_b32_e64 v20, 0, v34, s[4:5]
	v_add_f32_e32 v30, 0, v20
	v_cndmask_b32_e64 v21, 0, v35, s[34:35]
	v_add_f32_e32 v30, v30, v21
	;; [unrolled: 2-line block ×3, first 2 shown]
	v_cndmask_b32_e64 v35, 0, v23, s[38:39]
	v_sub_f32_e32 v23, v40, v27
	v_sub_f32_e32 v30, v41, v27
	v_mul_f32_e32 v23, 0x3fb8aa3b, v23
	v_mul_f32_e32 v30, 0x3fb8aa3b, v30
	v_exp_f32_e32 v23, v23
	v_exp_f32_e32 v30, v30
	v_add_f32_e32 v31, v22, v35
	v_sub_f32_e32 v32, v32, v27
	v_cndmask_b32_e64 v22, 0, v23, s[24:25]
	v_cndmask_b32_e64 v23, 0, v30, s[26:27]
	v_sub_f32_e32 v30, v36, v27
	v_mul_f32_e32 v30, 0x3fb8aa3b, v30
	v_exp_f32_e32 v30, v30
	v_sub_f32_e32 v36, v37, v27
	v_add_f32_e32 v31, v31, v22
	v_mul_f32_e32 v36, 0x3fb8aa3b, v36
	v_exp_f32_e32 v37, v36
	v_add_f32_e32 v31, v31, v23
	v_cndmask_b32_e64 v36, 0, v30, s[20:21]
	v_add_f32_e32 v30, v31, v36
	v_sub_f32_e32 v31, v38, v27
	v_mul_f32_e32 v31, 0x3fb8aa3b, v31
	v_sub_f32_e32 v38, v39, v27
	v_exp_f32_e32 v31, v31
	v_mul_f32_e32 v38, 0x3fb8aa3b, v38
	v_exp_f32_e32 v38, v38
	v_mul_f32_e32 v32, 0x3fb8aa3b, v32
	v_sub_f32_e32 v33, v33, v27
	v_exp_f32_e32 v32, v32
	v_mul_f32_e32 v33, 0x3fb8aa3b, v33
	v_sub_f32_e32 v24, v24, v27
	v_cndmask_b32_e64 v37, 0, v37, s[22:23]
	v_exp_f32_e32 v33, v33
	v_mul_f32_e32 v24, 0x3fb8aa3b, v24
	v_sub_f32_e32 v25, v25, v27
	v_add_f32_e32 v39, v30, v37
	v_cndmask_b32_e64 v30, 0, v31, s[16:17]
	v_exp_f32_e32 v24, v24
	v_mul_f32_e32 v25, 0x3fb8aa3b, v25
	v_sub_f32_e32 v18, v18, v27
	v_add_f32_e32 v39, v39, v30
	;; [unrolled: 5-line block ×3, first 2 shown]
	v_cndmask_b32_e64 v32, 0, v32, s[12:13]
	v_exp_f32_e32 v18, v18
	v_mul_f32_e32 v19, 0x3fb8aa3b, v19
	v_add_f32_e32 v38, v38, v32
	v_cndmask_b32_e64 v33, 0, v33, s[14:15]
	v_exp_f32_e32 v19, v19
	v_add_f32_e32 v38, v38, v33
	v_cndmask_b32_e64 v24, 0, v24, s[8:9]
	v_add_f32_e32 v38, v38, v24
	v_cndmask_b32_e64 v25, 0, v25, s[10:11]
	v_add_f32_e32 v38, v38, v25
	v_cndmask_b32_e32 v18, 0, v18, vcc
	v_add_f32_e32 v38, v38, v18
	v_cndmask_b32_e64 v19, 0, v19, s[6:7]
	v_add_f32_e32 v38, v38, v19
	ds_bpermute_b32 v39, v44, v38
	v_cmp_gt_u32_e32 vcc, 16, v43
	s_waitcnt lgkmcnt(0)
	s_barrier
	v_add_f32_e32 v39, v38, v39
	ds_bpermute_b32 v40, v45, v39
	v_lshlrev_b32_e32 v38, 2, v28
	s_and_saveexec_b64 s[4:5], vcc
	s_cbranch_execz .LBB797_13
; %bb.12:
	s_waitcnt lgkmcnt(0)
	v_add_f32_e32 v39, v39, v40
	v_lshl_or_b32 v40, v29, 6, v38
	ds_write2st64_b32 v40, v27, v39 offset1:1
.LBB797_13:
	s_or_b64 exec, exec, s[4:5]
	s_load_dword s6, s[0:1], 0x94
	s_waitcnt lgkmcnt(0)
	s_barrier
	ds_read2_b32 v[40:41], v38 offset1:16
	ds_read2_b32 v[44:45], v38 offset0:32 offset1:48
	ds_read2_b32 v[46:47], v38 offset0:64 offset1:80
	s_mul_i32 s7, s29, 10
	s_waitcnt lgkmcnt(2)
	v_max3_f32 v27, v40, s44, v41
	s_waitcnt lgkmcnt(1)
	v_max3_f32 v27, v27, v44, v45
	v_sub_f32_e32 v39, v40, v27
	v_sub_f32_e32 v40, v41, v27
	v_mul_f32_e32 v40, 0x3fb8aa3b, v40
	v_mul_f32_e32 v39, 0x3fb8aa3b, v39
	v_exp_f32_e32 v43, v40
	v_sub_f32_e32 v40, v44, v27
	v_exp_f32_e32 v39, v39
	v_mul_f32_e32 v40, 0x3fb8aa3b, v40
	v_exp_f32_e32 v44, v40
	ds_read2_b32 v[40:41], v38 offset0:96 offset1:112
	v_sub_f32_e32 v38, v45, v27
	v_mul_f32_e32 v38, 0x3fb8aa3b, v38
	v_exp_f32_e32 v45, v38
	s_waitcnt lgkmcnt(1)
	v_fma_f32 v38, v39, v46, 0
	v_fmac_f32_e32 v38, v43, v47
	s_waitcnt lgkmcnt(0)
	v_fmac_f32_e32 v38, v44, v40
	v_fmac_f32_e32 v38, v45, v41
	v_add_f32_e32 v40, 0x358637bd, v38
	v_div_scale_f32 v41, s[4:5], v40, v40, 1.0
	v_rcp_f32_e32 v46, v41
	s_barrier
	v_fma_f32 v47, -v41, v46, 1.0
	v_fmac_f32_e32 v46, v47, v46
	v_div_scale_f32 v47, vcc, 1.0, v40, 1.0
	v_mul_f32_e32 v48, v47, v46
	v_fma_f32 v49, -v41, v48, v47
	v_fmac_f32_e32 v48, v49, v46
	v_fma_f32 v41, -v41, v48, v47
	v_div_fmas_f32 v41, v41, v46, v48
	v_cmp_eq_u32_e32 vcc, 1, v29
	v_div_fixup_f32 v40, v41, v40, 1.0
	s_nop 0
	v_cndmask_b32_e32 v39, v39, v43, vcc
	v_cmp_eq_u32_e32 vcc, 2, v29
	s_nop 1
	v_cndmask_b32_e32 v39, v39, v44, vcc
	v_cmp_eq_u32_e32 vcc, 3, v29
	v_lshlrev_b32_e32 v29, 11, v29
	s_nop 0
	v_cndmask_b32_e32 v39, v39, v45, vcc
	v_mul_f32_e32 v40, v39, v40
	v_pk_mul_f32 v[20:21], v[40:41], v[20:21] op_sel_hi:[0,1]
	v_pk_mul_f32 v[34:35], v[40:41], v[34:35] op_sel_hi:[0,1]
	v_cvt_f16_f32_e32 v20, v20
	v_cvt_f16_f32_e32 v21, v21
	v_pk_mul_f32 v[36:37], v[40:41], v[36:37] op_sel_hi:[0,1]
	v_pk_mul_f32 v[22:23], v[40:41], v[22:23] op_sel_hi:[0,1]
	v_cvt_f16_f32_e32 v39, v34
	v_cvt_f16_f32_e32 v35, v35
	;; [unrolled: 1-line block ×6, first 2 shown]
	v_pack_b32_f16 v34, v20, v21
	v_lshlrev_b32_e32 v20, 3, v42
	v_lshlrev_b32_e32 v21, 5, v28
	v_pack_b32_f16 v35, v39, v35
	v_or3_b32 v20, v29, v21, v20
	v_pack_b32_f16 v22, v22, v23
	v_pack_b32_f16 v23, v36, v37
	ds_write2st64_b64 v20, v[34:35], v[22:23] offset1:1
	v_pk_mul_f32 v[22:23], v[40:41], v[32:33] op_sel_hi:[0,1]
	v_pk_mul_f32 v[30:31], v[40:41], v[30:31] op_sel_hi:[0,1]
	v_cvt_f16_f32_e32 v29, v30
	v_cvt_f16_f32_e32 v30, v31
	;; [unrolled: 1-line block ×4, first 2 shown]
	v_pk_mul_f32 v[18:19], v[40:41], v[18:19] op_sel_hi:[0,1]
	v_pk_mul_f32 v[22:23], v[40:41], v[24:25] op_sel_hi:[0,1]
	v_cvt_f16_f32_e32 v22, v22
	v_cvt_f16_f32_e32 v23, v23
	;; [unrolled: 1-line block ×4, first 2 shown]
	v_pack_b32_f16 v18, v29, v30
	v_pack_b32_f16 v19, v31, v32
	;; [unrolled: 1-line block ×4, first 2 shown]
	v_cmp_gt_u32_e32 vcc, 10, v0
	ds_write2st64_b64 v20, v[18:19], v[22:23] offset0:2 offset1:3
	s_and_saveexec_b64 s[4:5], vcc
	s_cbranch_execz .LBB797_15
; %bb.14:
	s_mov_b32 s49, 0
	v_mov_b32_e32 v29, 0
	v_lshl_add_u64 v[18:19], s[48:49], 0, v[28:29]
	v_mov_b32_e32 v22, s7
	v_mad_u64_u32 v[18:19], s[12:13], s2, v22, v[18:19]
	s_mul_i32 s3, s3, s7
	v_mov_b32_e32 v28, s28
	s_load_dwordx4 s[8:11], s[0:1], 0x58
	v_add_u32_e32 v23, s3, v19
	v_mad_u64_u32 v[18:19], s[12:13], v18, s6, v[28:29]
	v_mov_b32_e32 v22, v19
	v_mad_u64_u32 v[22:23], s[12:13], v23, s6, v[22:23]
	v_mov_b32_e32 v19, v22
	v_lshlrev_b64 v[18:19], 2, v[18:19]
	s_waitcnt lgkmcnt(0)
	v_lshl_add_u64 v[22:23], s[10:11], 0, v[18:19]
	v_lshl_add_u64 v[18:19], s[8:9], 0, v[18:19]
	global_store_dword v[22:23], v27, off
	global_store_dword v[18:19], v38, off
.LBB797_15:
	s_or_b64 exec, exec, s[4:5]
	s_waitcnt vmcnt(3)
	v_cvt_pk_f32_fp8_e32 v[18:19], v14
	v_cvt_pk_f32_fp8_sdwa v[22:23], v14 src0_sel:WORD_1
	v_cvt_pk_f32_fp8_e32 v[24:25], v15
	v_lshl_or_b32 v14, v42, 9, v21
	s_waitcnt lgkmcnt(0)
	s_barrier
	v_cvt_pkrtz_f16_f32 v18, v18, v19
	v_cvt_pkrtz_f16_f32 v19, v22, v23
	v_cvt_pk_f32_fp8_sdwa v[28:29], v15 src0_sel:WORD_1
	v_cvt_pkrtz_f16_f32 v36, v24, v25
	ds_read_b128 v[22:25], v14
	v_cvt_pk_f32_fp8_e32 v[38:39], v16
	v_cvt_pkrtz_f16_f32 v37, v28, v29
	ds_read_b128 v[28:31], v14 offset:16
	v_cvt_pk_f32_fp8_sdwa v[40:41], v16 src0_sel:WORD_1
	s_waitcnt lgkmcnt(1)
	v_mfma_f32_16x16x16_f16 v[32:35], v[18:19], v[22:23], 0
	v_cvt_pkrtz_f16_f32 v18, v38, v39
	v_cvt_pk_f32_fp8_e32 v[38:39], v17
	v_cvt_pkrtz_f16_f32 v19, v40, v41
	v_mfma_f32_16x16x16_f16 v[22:25], v[36:37], v[24:25], v[32:35]
	s_waitcnt vmcnt(2)
	v_cvt_pk_f32_fp8_sdwa v[36:37], v12 src0_sel:WORD_1
	s_load_dword s4, s[42:43], 0x0
	v_cmp_gt_u32_e32 vcc, 64, v0
	v_cvt_pk_f32_fp8_sdwa v[32:33], v17 src0_sel:WORD_1
	v_cvt_pkrtz_f16_f32 v34, v38, v39
	s_waitcnt lgkmcnt(0)
	v_mfma_f32_16x16x16_f16 v[16:19], v[18:19], v[28:29], v[22:25]
	v_cvt_pk_f32_fp8_e32 v[28:29], v11
	v_cvt_pkrtz_f16_f32 v35, v32, v33
	s_mov_b32 s3, 0
	v_cvt_pk_f32_fp8_e32 v[22:23], v10
	v_cvt_pk_f32_fp8_sdwa v[24:25], v10 src0_sel:WORD_1
	v_mfma_f32_16x16x16_f16 v[16:19], v[34:35], v[30:31], v[16:19]
	v_cvt_pkrtz_f16_f32 v10, v22, v23
	v_cvt_pk_f32_fp8_sdwa v[30:31], v11 src0_sel:WORD_1
	v_cvt_pkrtz_f16_f32 v11, v24, v25
	ds_read_b128 v[22:25], v14 offset:2048
	v_cvt_pkrtz_f16_f32 v32, v28, v29
	v_cvt_pkrtz_f16_f32 v33, v30, v31
	ds_read_b128 v[28:31], v14 offset:2064
	v_cvt_pk_f32_fp8_e32 v[34:35], v12
	s_waitcnt lgkmcnt(1)
	v_mfma_f32_16x16x16_f16 v[16:19], v[10:11], v[22:23], v[16:19]
	v_cvt_pkrtz_f16_f32 v11, v36, v37
	v_cvt_pk_f32_fp8_e32 v[22:23], v13
	v_cvt_pkrtz_f16_f32 v10, v34, v35
	v_mfma_f32_16x16x16_f16 v[16:19], v[32:33], v[24:25], v[16:19]
	v_cvt_pk_f32_fp8_sdwa v[24:25], v13 src0_sel:WORD_1
	v_cvt_pkrtz_f16_f32 v22, v22, v23
	s_waitcnt vmcnt(1)
	v_cvt_pk_f32_fp8_sdwa v[32:33], v8 src0_sel:WORD_1
	s_waitcnt lgkmcnt(0)
	v_mfma_f32_16x16x16_f16 v[10:13], v[10:11], v[28:29], v[16:19]
	v_cvt_pkrtz_f16_f32 v23, v24, v25
	v_cvt_pk_f32_fp8_sdwa v[24:25], v7 src0_sel:WORD_1
	v_mov_b32_e32 v27, 0
	v_cvt_pk_f32_fp8_e32 v[16:17], v6
	v_cvt_pk_f32_fp8_sdwa v[18:19], v6 src0_sel:WORD_1
	v_mfma_f32_16x16x16_f16 v[10:13], v[22:23], v[30:31], v[10:13]
	v_cvt_pk_f32_fp8_e32 v[22:23], v7
	v_cvt_pkrtz_f16_f32 v6, v16, v17
	v_cvt_pkrtz_f16_f32 v7, v18, v19
	ds_read_b128 v[16:19], v14 offset:4096
	v_cvt_pkrtz_f16_f32 v28, v22, v23
	v_cvt_pkrtz_f16_f32 v29, v24, v25
	ds_read_b128 v[22:25], v14 offset:4112
	v_cvt_pk_f32_fp8_e32 v[30:31], v8
	s_waitcnt lgkmcnt(1)
	v_mfma_f32_16x16x16_f16 v[10:13], v[6:7], v[16:17], v[10:13]
	v_cvt_pkrtz_f16_f32 v7, v32, v33
	v_cvt_pk_f32_fp8_e32 v[16:17], v9
	v_cvt_pkrtz_f16_f32 v6, v30, v31
	v_mfma_f32_16x16x16_f16 v[10:13], v[28:29], v[18:19], v[10:13]
	v_cvt_pk_f32_fp8_sdwa v[18:19], v9 src0_sel:WORD_1
	v_cvt_pkrtz_f16_f32 v16, v16, v17
	v_cvt_pkrtz_f16_f32 v17, v18, v19
	s_waitcnt lgkmcnt(0)
	v_mfma_f32_16x16x16_f16 v[6:9], v[6:7], v[22:23], v[10:13]
	s_waitcnt vmcnt(0)
	v_cvt_pk_f32_fp8_sdwa v[18:19], v3 src0_sel:WORD_1
	s_nop 0
	v_cvt_pkrtz_f16_f32 v23, v18, v19
	v_cvt_pk_f32_fp8_e32 v[10:11], v2
	v_cvt_pk_f32_fp8_sdwa v[12:13], v2 src0_sel:WORD_1
	v_mfma_f32_16x16x16_f16 v[6:9], v[16:17], v[24:25], v[6:9]
	v_cvt_pk_f32_fp8_e32 v[16:17], v3
	v_cvt_pkrtz_f16_f32 v2, v10, v11
	v_cvt_pkrtz_f16_f32 v3, v12, v13
	ds_read_b128 v[10:13], v14 offset:6144
	v_cvt_pkrtz_f16_f32 v22, v16, v17
	v_cvt_pk_f32_fp8_e32 v[18:19], v4
	v_cvt_pk_f32_fp8_sdwa v[24:25], v4 src0_sel:WORD_1
	s_waitcnt lgkmcnt(0)
	v_mfma_f32_16x16x16_f16 v[6:9], v[2:3], v[10:11], v[6:9]
	ds_read_b128 v[14:17], v14 offset:6160
	v_cvt_pkrtz_f16_f32 v2, v18, v19
	v_cvt_pkrtz_f16_f32 v3, v24, v25
	v_cvt_pk_f32_fp8_e32 v[10:11], v5
	v_mfma_f32_16x16x16_f16 v[6:9], v[22:23], v[12:13], v[6:9]
	v_cvt_pk_f32_fp8_sdwa v[12:13], v5 src0_sel:WORD_1
	s_waitcnt lgkmcnt(0)
	v_cvt_pkrtz_f16_f32 v10, v10, v11
	v_mfma_f32_16x16x16_f16 v[2:5], v[2:3], v[14:15], v[6:9]
	v_cvt_pkrtz_f16_f32 v11, v12, v13
	s_barrier
	s_nop 0
	v_mfma_f32_16x16x16_f16 v[2:5], v[10:11], v[16:17], v[2:5]
	s_nop 6
	v_pk_mul_f32 v[4:5], v[4:5], s[4:5] op_sel_hi:[1,0]
	v_pk_mul_f32 v[2:3], v[2:3], s[4:5] op_sel_hi:[1,0]
	v_cvt_f16_f32_e32 v4, v4
	v_cvt_f16_f32_e32 v2, v2
	;; [unrolled: 1-line block ×4, first 2 shown]
	s_and_b64 s[4:5], vcc, s[30:31]
	v_pack_b32_f16 v2, v2, v3
	v_pack_b32_f16 v3, v4, v5
	ds_write_b64 v20, v[2:3]
	s_waitcnt lgkmcnt(0)
	s_barrier
	s_and_saveexec_b64 s[8:9], s[4:5]
	s_cbranch_execz .LBB797_18
; %bb.16:
	s_load_dwordx2 s[4:5], s[0:1], 0x68
	s_lshl_b32 s0, s6, 6
	s_mul_i32 s1, s7, s2
	s_mul_hi_u32 s7, s1, s0
	s_mul_i32 s6, s1, s0
	v_lshlrev_b32_e32 v0, 10, v0
	s_lshl_b64 s[6:7], s[6:7], 1
	v_and_b32_e32 v0, 0x1800, v0
	v_lshlrev_b32_e32 v2, 5, v42
	v_and_b32_e32 v1, 16, v1
	s_waitcnt lgkmcnt(0)
	s_add_u32 s1, s4, s6
	v_or3_b32 v2, v0, v2, v1
	s_addc_u32 s4, s5, s7
	s_lshl_b32 s2, s28, 6
	s_lshl_b64 s[2:3], s[2:3], 1
	ds_read_b128 v[4:7], v2 offset:128
	ds_read_b128 v[8:11], v2
	s_add_u32 s2, s1, s2
	s_addc_u32 s3, s4, s3
	v_add_u32_e32 v14, s48, v42
	v_lshl_add_u64 v[0:1], s[2:3], 0, v[26:27]
	v_mad_u64_u32 v[12:13], s[2:3], v14, s0, 0
	v_lshl_add_u64 v[12:13], v[12:13], 1, v[0:1]
	s_waitcnt lgkmcnt(0)
	global_store_dwordx4 v[12:13], v[8:11], off
	v_or_b32_e32 v3, 8, v42
	v_cmp_gt_u32_e32 vcc, 10, v3
	v_add_u32_e32 v8, 4, v14
	v_mad_u64_u32 v[8:9], s[2:3], v8, s0, 0
	v_lshl_add_u64 v[8:9], v[8:9], 1, v[0:1]
	global_store_dwordx4 v[8:9], v[4:7], off
	s_and_b64 exec, exec, vcc
	s_cbranch_execz .LBB797_18
; %bb.17:
	ds_read_b128 v[4:7], v2 offset:256
	v_add_u32_e32 v2, s48, v3
	v_mad_u64_u32 v[2:3], s[0:1], v2, s0, 0
	v_lshl_add_u64 v[0:1], v[2:3], 1, v[0:1]
	s_waitcnt lgkmcnt(0)
	global_store_dwordx4 v[0:1], v[4:7], off
.LBB797_18:
	s_endpgm
	.section	.rodata,"a",@progbits
	.p2align	6, 0x0
	.amdhsa_kernel _Z39paged_attention_ll4mi_QKV_mfma16_kernelIDF16_hLN4vllm18Fp8KVCacheDataTypeE1EhLi16ELi64ELi256ELb0ELi10EEvPKT_PKT0_S7_ifPKiS9_S9_iPKfiiiPfSC_PS2_PT2_iSB_SB_
		.amdhsa_group_segment_fixed_size 8192
		.amdhsa_private_segment_fixed_size 0
		.amdhsa_kernarg_size 400
		.amdhsa_user_sgpr_count 2
		.amdhsa_user_sgpr_dispatch_ptr 0
		.amdhsa_user_sgpr_queue_ptr 0
		.amdhsa_user_sgpr_kernarg_segment_ptr 1
		.amdhsa_user_sgpr_dispatch_id 0
		.amdhsa_user_sgpr_kernarg_preload_length 0
		.amdhsa_user_sgpr_kernarg_preload_offset 0
		.amdhsa_user_sgpr_private_segment_size 0
		.amdhsa_uses_dynamic_stack 0
		.amdhsa_enable_private_segment 0
		.amdhsa_system_sgpr_workgroup_id_x 1
		.amdhsa_system_sgpr_workgroup_id_y 1
		.amdhsa_system_sgpr_workgroup_id_z 1
		.amdhsa_system_sgpr_workgroup_info 0
		.amdhsa_system_vgpr_workitem_id 0
		.amdhsa_next_free_vgpr 58
		.amdhsa_next_free_sgpr 50
		.amdhsa_accum_offset 60
		.amdhsa_reserve_vcc 1
		.amdhsa_float_round_mode_32 0
		.amdhsa_float_round_mode_16_64 0
		.amdhsa_float_denorm_mode_32 3
		.amdhsa_float_denorm_mode_16_64 3
		.amdhsa_dx10_clamp 1
		.amdhsa_ieee_mode 1
		.amdhsa_fp16_overflow 0
		.amdhsa_tg_split 0
		.amdhsa_exception_fp_ieee_invalid_op 0
		.amdhsa_exception_fp_denorm_src 0
		.amdhsa_exception_fp_ieee_div_zero 0
		.amdhsa_exception_fp_ieee_overflow 0
		.amdhsa_exception_fp_ieee_underflow 0
		.amdhsa_exception_fp_ieee_inexact 0
		.amdhsa_exception_int_div_zero 0
	.end_amdhsa_kernel
	.section	.text._Z39paged_attention_ll4mi_QKV_mfma16_kernelIDF16_hLN4vllm18Fp8KVCacheDataTypeE1EhLi16ELi64ELi256ELb0ELi10EEvPKT_PKT0_S7_ifPKiS9_S9_iPKfiiiPfSC_PS2_PT2_iSB_SB_,"axG",@progbits,_Z39paged_attention_ll4mi_QKV_mfma16_kernelIDF16_hLN4vllm18Fp8KVCacheDataTypeE1EhLi16ELi64ELi256ELb0ELi10EEvPKT_PKT0_S7_ifPKiS9_S9_iPKfiiiPfSC_PS2_PT2_iSB_SB_,comdat
.Lfunc_end797:
	.size	_Z39paged_attention_ll4mi_QKV_mfma16_kernelIDF16_hLN4vllm18Fp8KVCacheDataTypeE1EhLi16ELi64ELi256ELb0ELi10EEvPKT_PKT0_S7_ifPKiS9_S9_iPKfiiiPfSC_PS2_PT2_iSB_SB_, .Lfunc_end797-_Z39paged_attention_ll4mi_QKV_mfma16_kernelIDF16_hLN4vllm18Fp8KVCacheDataTypeE1EhLi16ELi64ELi256ELb0ELi10EEvPKT_PKT0_S7_ifPKiS9_S9_iPKfiiiPfSC_PS2_PT2_iSB_SB_
                                        ; -- End function
	.section	.AMDGPU.csdata,"",@progbits
; Kernel info:
; codeLenInByte = 4600
; NumSgprs: 56
; NumVgprs: 58
; NumAgprs: 0
; TotalNumVgprs: 58
; ScratchSize: 0
; MemoryBound: 0
; FloatMode: 240
; IeeeMode: 1
; LDSByteSize: 8192 bytes/workgroup (compile time only)
; SGPRBlocks: 6
; VGPRBlocks: 7
; NumSGPRsForWavesPerEU: 56
; NumVGPRsForWavesPerEU: 58
; AccumOffset: 60
; Occupancy: 8
; WaveLimiterHint : 1
; COMPUTE_PGM_RSRC2:SCRATCH_EN: 0
; COMPUTE_PGM_RSRC2:USER_SGPR: 2
; COMPUTE_PGM_RSRC2:TRAP_HANDLER: 0
; COMPUTE_PGM_RSRC2:TGID_X_EN: 1
; COMPUTE_PGM_RSRC2:TGID_Y_EN: 1
; COMPUTE_PGM_RSRC2:TGID_Z_EN: 1
; COMPUTE_PGM_RSRC2:TIDIG_COMP_CNT: 0
; COMPUTE_PGM_RSRC3_GFX90A:ACCUM_OFFSET: 14
; COMPUTE_PGM_RSRC3_GFX90A:TG_SPLIT: 0
	.section	.text._Z39paged_attention_ll4mi_QKV_mfma16_kernelIDF16_hLN4vllm18Fp8KVCacheDataTypeE1EhLi16ELi64ELi256ELb0ELi11EEvPKT_PKT0_S7_ifPKiS9_S9_iPKfiiiPfSC_PS2_PT2_iSB_SB_,"axG",@progbits,_Z39paged_attention_ll4mi_QKV_mfma16_kernelIDF16_hLN4vllm18Fp8KVCacheDataTypeE1EhLi16ELi64ELi256ELb0ELi11EEvPKT_PKT0_S7_ifPKiS9_S9_iPKfiiiPfSC_PS2_PT2_iSB_SB_,comdat
	.protected	_Z39paged_attention_ll4mi_QKV_mfma16_kernelIDF16_hLN4vllm18Fp8KVCacheDataTypeE1EhLi16ELi64ELi256ELb0ELi11EEvPKT_PKT0_S7_ifPKiS9_S9_iPKfiiiPfSC_PS2_PT2_iSB_SB_ ; -- Begin function _Z39paged_attention_ll4mi_QKV_mfma16_kernelIDF16_hLN4vllm18Fp8KVCacheDataTypeE1EhLi16ELi64ELi256ELb0ELi11EEvPKT_PKT0_S7_ifPKiS9_S9_iPKfiiiPfSC_PS2_PT2_iSB_SB_
	.globl	_Z39paged_attention_ll4mi_QKV_mfma16_kernelIDF16_hLN4vllm18Fp8KVCacheDataTypeE1EhLi16ELi64ELi256ELb0ELi11EEvPKT_PKT0_S7_ifPKiS9_S9_iPKfiiiPfSC_PS2_PT2_iSB_SB_
	.p2align	8
	.type	_Z39paged_attention_ll4mi_QKV_mfma16_kernelIDF16_hLN4vllm18Fp8KVCacheDataTypeE1EhLi16ELi64ELi256ELb0ELi11EEvPKT_PKT0_S7_ifPKiS9_S9_iPKfiiiPfSC_PS2_PT2_iSB_SB_,@function
_Z39paged_attention_ll4mi_QKV_mfma16_kernelIDF16_hLN4vllm18Fp8KVCacheDataTypeE1EhLi16ELi64ELi256ELb0ELi11EEvPKT_PKT0_S7_ifPKiS9_S9_iPKfiiiPfSC_PS2_PT2_iSB_SB_: ; @_Z39paged_attention_ll4mi_QKV_mfma16_kernelIDF16_hLN4vllm18Fp8KVCacheDataTypeE1EhLi16ELi64ELi256ELb0ELi11EEvPKT_PKT0_S7_ifPKiS9_S9_iPKfiiiPfSC_PS2_PT2_iSB_SB_
; %bb.0:
	s_load_dwordx2 s[12:13], s[0:1], 0x30
	s_mov_b32 s28, s3
	s_mov_b64 s[6:7], 0
	s_waitcnt lgkmcnt(0)
	s_cmp_lg_u64 s[12:13], 0
	s_cselect_b64 s[14:15], -1, 0
	s_and_b64 vcc, exec, s[14:15]
	s_cbranch_vccz .LBB798_7
; %bb.1:
	s_add_i32 s8, s2, 1
	s_mov_b32 s9, 0
	s_lshl_b64 s[10:11], s[8:9], 2
	s_add_u32 s10, s12, s10
	s_mov_b32 s3, s9
	s_addc_u32 s11, s13, s11
	s_lshl_b64 s[8:9], s[2:3], 2
	s_add_u32 s8, s12, s8
	s_addc_u32 s9, s13, s9
	s_load_dword s5, s[10:11], 0x0
	s_load_dword s16, s[8:9], 0x0
	s_waitcnt lgkmcnt(0)
	s_sub_i32 s5, s5, s16
	s_cmp_eq_u32 s5, 1
	s_cselect_b64 s[8:9], -1, 0
	s_andn2_b64 vcc, exec, s[6:7]
	s_cbranch_vccnz .LBB798_3
.LBB798_2:
	s_mov_b32 s3, 0
	s_mov_b64 s[8:9], -1
.LBB798_3:
	s_andn2_b64 vcc, exec, s[8:9]
	s_cbranch_vccnz .LBB798_18
; %bb.4:
	s_load_dwordx2 s[6:7], s[0:1], 0x28
	s_lshl_b64 s[16:17], s[2:3], 2
	s_waitcnt lgkmcnt(0)
	s_add_u32 s6, s6, s16
	s_addc_u32 s7, s7, s17
	s_load_dword s33, s[6:7], 0x0
	s_lshl_b32 s5, s28, 8
	s_waitcnt lgkmcnt(0)
	s_cmp_ge_i32 s5, s33
	s_cbranch_scc1 .LBB798_18
; %bb.5:
	s_load_dwordx2 s[6:7], s[0:1], 0x20
	s_load_dword s8, s[0:1], 0x38
	s_add_i32 s9, s33, 15
	s_ashr_i32 s10, s9, 31
	v_and_b32_e32 v1, 0xcf, v0
	s_lshr_b32 s10, s10, 28
	v_add_u32_e32 v1, s5, v1
	s_add_i32 s9, s9, s10
	v_ashrrev_i32_e32 v2, 31, v1
	s_ashr_i32 s18, s9, 4
	v_lshrrev_b32_e32 v4, 28, v2
	s_add_i32 s18, s18, -1
	s_waitcnt lgkmcnt(0)
	s_mul_i32 s8, s2, s8
	s_mov_b32 s9, 0
	v_add_u32_e32 v2, v1, v4
	s_lshl_b64 s[8:9], s[8:9], 2
	v_ashrrev_i32_e32 v2, 4, v2
	v_mov_b32_e32 v5, s18
	v_cmp_gt_i32_e32 vcc, s33, v1
	s_add_u32 s6, s6, s8
	s_addc_u32 s7, s7, s9
	v_cndmask_b32_e32 v2, v5, v2, vcc
	v_ashrrev_i32_e32 v3, 31, v2
	v_lshl_add_u64 v[6:7], v[2:3], 2, s[6:7]
	v_or_b32_e32 v2, 16, v1
	v_add_u32_e32 v3, v2, v4
	v_ashrrev_i32_e32 v3, 4, v3
	v_cmp_gt_i32_e32 vcc, s33, v2
	s_load_dwordx4 s[8:11], s[0:1], 0x8
	s_nop 0
	v_cndmask_b32_e32 v2, v5, v3, vcc
	v_ashrrev_i32_e32 v3, 31, v2
	v_lshl_add_u64 v[8:9], v[2:3], 2, s[6:7]
	v_or_b32_e32 v2, 32, v1
	v_add_u32_e32 v3, v2, v4
	v_ashrrev_i32_e32 v3, 4, v3
	v_cmp_gt_i32_e32 vcc, s33, v2
	v_or_b32_e32 v1, 48, v1
	s_nop 0
	v_cndmask_b32_e32 v2, v5, v3, vcc
	v_ashrrev_i32_e32 v3, 31, v2
	v_lshl_add_u64 v[10:11], v[2:3], 2, s[6:7]
	v_add_u32_e32 v2, v1, v4
	v_ashrrev_i32_e32 v2, 4, v2
	v_cmp_gt_i32_e32 vcc, s33, v1
	s_nop 1
	v_cndmask_b32_e32 v2, v5, v2, vcc
	v_ashrrev_i32_e32 v3, 31, v2
	v_lshl_add_u64 v[12:13], v[2:3], 2, s[6:7]
	global_load_dword v4, v[6:7], off
	global_load_dword v3, v[8:9], off
	;; [unrolled: 1-line block ×4, first 2 shown]
	s_andn2_b64 vcc, exec, s[14:15]
	s_cbranch_vccnz .LBB798_8
; %bb.6:
	s_add_u32 s12, s12, s16
	s_addc_u32 s13, s13, s17
	s_load_dword s14, s[12:13], 0x0
	s_branch .LBB798_9
.LBB798_7:
	s_mov_b64 s[8:9], 0
	s_branch .LBB798_2
.LBB798_8:
	s_mov_b32 s14, s2
.LBB798_9:
	s_load_dwordx4 s[44:47], s[0:1], 0x48
	v_lshrrev_b32_e32 v29, 6, v0
	v_bfe_u32 v42, v0, 4, 2
	v_lshl_or_b32 v5, v29, 2, v42
	v_and_b32_e32 v28, 15, v0
	v_lshlrev_b32_e32 v1, 3, v28
	v_cmp_gt_u32_e32 vcc, 11, v5
	v_cmp_gt_u32_e64 s[30:31], 8, v28
	v_and_b32_e32 v43, 63, v0
	s_mul_i32 s48, s4, 11
	s_and_b64 s[16:17], s[30:31], vcc
	v_lshlrev_b32_e32 v26, 1, v1
	v_lshlrev_b32_e32 v1, 4, v0
	s_and_saveexec_b64 s[12:13], s[16:17]
	s_cbranch_execz .LBB798_11
; %bb.10:
	s_load_dwordx2 s[16:17], s[0:1], 0x0
	s_waitcnt lgkmcnt(0)
	s_ashr_i32 s15, s44, 31
	s_mul_hi_u32 s19, s14, s44
	s_mul_i32 s15, s14, s15
	s_add_i32 s15, s19, s15
	s_mul_i32 s14, s14, s44
	s_lshl_b64 s[14:15], s[14:15], 1
	s_add_u32 s14, s16, s14
	v_add_lshl_u32 v6, v5, s48, 6
	s_addc_u32 s15, s17, s15
	v_ashrrev_i32_e32 v7, 31, v6
	v_lshl_add_u64 v[6:7], v[6:7], 1, s[14:15]
	v_mov_b32_e32 v27, 0
	v_lshl_add_u64 v[6:7], v[6:7], 0, v[26:27]
	global_load_dwordx4 v[6:9], v[6:7], off
	v_lshlrev_b32_e32 v11, 8, v28
	v_lshlrev_b32_e32 v5, 5, v5
	v_and_b32_e32 v10, 16, v1
	v_and_b32_e32 v11, 0xe00, v11
	v_or3_b32 v5, v11, v5, v10
	s_waitcnt vmcnt(0)
	ds_write_b128 v5, v[6:9]
.LBB798_11:
	s_or_b64 exec, exec, s[12:13]
	s_waitcnt lgkmcnt(0)
	s_mul_i32 s4, s4, s46
	s_add_u32 s8, s8, s4
	s_addc_u32 s9, s9, 0
	v_and_b32_e32 v8, 48, v0
	v_and_b32_e32 v30, 0xf0, v1
	v_mov_b32_e32 v31, 0
	v_lshl_add_u64 v[6:7], s[8:9], 0, v[30:31]
	v_lshlrev_b32_e32 v30, 4, v8
	v_lshl_add_u64 v[16:17], v[6:7], 0, v[30:31]
	s_waitcnt vmcnt(3)
	v_mad_i64_i32 v[4:5], s[8:9], v4, s45, v[16:17]
	s_load_dword s29, s[0:1], 0x98
	s_load_dwordx4 s[40:43], s[0:1], 0x80
	s_waitcnt lgkmcnt(0)
	s_barrier
	global_load_dwordx4 v[22:25], v[4:5], off
	s_waitcnt vmcnt(3)
	v_mad_i64_i32 v[4:5], s[8:9], v3, s45, v[16:17]
	global_load_dwordx4 v[18:21], v[4:5], off
	v_or_b32_e32 v10, s5, v8
	v_mov_b32_e32 v27, s18
	v_ashrrev_i32_e32 v3, 4, v10
	v_cmp_gt_i32_e32 vcc, s33, v10
	v_or_b32_e32 v15, 64, v10
	v_ashrrev_i32_e32 v32, 4, v15
	v_cndmask_b32_e32 v4, v27, v3, vcc
	s_waitcnt vmcnt(3)
	v_mad_i64_i32 v[2:3], s[8:9], v2, s45, v[16:17]
	global_load_dwordx4 v[6:9], v[2:3], off
	v_ashrrev_i32_e32 v5, 31, v4
	v_lshl_add_u64 v[4:5], v[4:5], 2, s[6:7]
	global_load_dword v56, v[4:5], off
	v_add_u32_e32 v4, -11, v28
	v_cmp_gt_u32_e32 vcc, 11, v28
	v_or_b32_e32 v33, 0x80, v10
	v_or_b32_e32 v35, 0xc0, v10
	v_cndmask_b32_e32 v2, v4, v28, vcc
	v_lshlrev_b32_e32 v2, 5, v2
	v_lshl_add_u32 v2, v42, 9, v2
	v_cmp_gt_i32_e32 vcc, s33, v15
	s_waitcnt vmcnt(4)
	v_mad_i64_i32 v[14:15], s[12:13], v14, s45, v[16:17]
	ds_read_b128 v[10:13], v2
	ds_read_b128 v[2:5], v2 offset:16
	global_load_dwordx4 v[14:17], v[14:15], off
	v_ashrrev_i32_e32 v34, 4, v33
	v_cndmask_b32_e32 v32, v27, v32, vcc
	v_cmp_gt_i32_e32 vcc, s33, v33
	v_ashrrev_i32_e32 v36, 4, v35
	v_ashrrev_i32_e32 v33, 31, v32
	v_cndmask_b32_e32 v34, v27, v34, vcc
	v_cmp_gt_i32_e32 vcc, s33, v35
	v_ashrrev_i32_e32 v35, 31, v34
	v_lshl_add_u64 v[32:33], v[32:33], 2, s[6:7]
	v_cndmask_b32_e32 v36, v27, v36, vcc
	v_ashrrev_i32_e32 v37, 31, v36
	v_lshl_add_u64 v[36:37], v[36:37], 2, s[6:7]
	s_add_u32 s8, s10, s4
	s_load_dword s4, s[40:41], 0x0
	v_lshl_add_u64 v[38:39], v[34:35], 2, s[6:7]
	global_load_dword v35, v[32:33], off
	global_load_dword v27, v[38:39], off
	;; [unrolled: 1-line block ×3, first 2 shown]
	s_load_dword s14, s[0:1], 0x1c
	s_mov_b32 s44, 0xff7fffff
	v_lshlrev_b32_e32 v30, 4, v28
	s_addc_u32 s9, s11, 0
	v_lshl_or_b32 v30, v29, 8, v30
	s_waitcnt lgkmcnt(0)
	v_mov_b32_e32 v57, s14
	v_lshl_add_u64 v[30:31], s[8:9], 0, v[30:31]
	s_waitcnt vmcnt(7)
	v_cvt_pk_f32_fp8_e32 v[32:33], v22
	v_cvt_pk_f32_fp8_sdwa v[36:37], v22 src0_sel:WORD_1
	v_cvt_pk_f32_fp8_e32 v[38:39], v23
	v_cvt_pk_f32_fp8_sdwa v[40:41], v23 src0_sel:WORD_1
	v_cvt_pkrtz_f16_f32 v32, v32, v33
	v_cvt_pkrtz_f16_f32 v33, v36, v37
	s_waitcnt vmcnt(6)
	v_cvt_pk_f32_fp8_e32 v[22:23], v18
	v_cvt_pk_f32_fp8_sdwa v[50:51], v18 src0_sel:WORD_1
	v_cvt_pk_f32_fp8_e32 v[44:45], v24
	v_cvt_pk_f32_fp8_sdwa v[46:47], v24 src0_sel:WORD_1
	;; [unrolled: 2-line block ×3, first 2 shown]
	v_cvt_pkrtz_f16_f32 v36, v22, v23
	v_mfma_f32_16x16x16_f16 v[22:25], v[32:33], v[10:11], 0
	v_cvt_pkrtz_f16_f32 v32, v38, v39
	v_cvt_pkrtz_f16_f32 v33, v40, v41
	v_cvt_pk_f32_fp8_e32 v[54:55], v19
	v_cvt_pkrtz_f16_f32 v37, v50, v51
	v_cvt_pk_f32_fp8_sdwa v[18:19], v19 src0_sel:WORD_1
	v_mfma_f32_16x16x16_f16 v[22:25], v[32:33], v[12:13], v[22:25]
	v_cvt_pkrtz_f16_f32 v50, v54, v55
	v_cvt_pkrtz_f16_f32 v51, v18, v19
	;; [unrolled: 1-line block ×4, first 2 shown]
	v_mfma_f32_16x16x16_f16 v[36:39], v[36:37], v[10:11], 0
	v_cvt_pk_f32_fp8_e32 v[40:41], v20
	v_cvt_pk_f32_fp8_sdwa v[18:19], v20 src0_sel:WORD_1
	v_cvt_pkrtz_f16_f32 v44, v48, v49
	v_mfma_f32_16x16x16_f16 v[36:39], v[50:51], v[12:13], v[36:39]
	v_cvt_pk_f32_fp8_e32 v[50:51], v21
	v_cvt_pkrtz_f16_f32 v45, v52, v53
	v_cvt_pkrtz_f16_f32 v40, v40, v41
	v_mfma_f32_16x16x16_f16 v[22:25], v[32:33], v[2:3], v[22:25]
	v_cvt_pk_f32_fp8_sdwa v[32:33], v21 src0_sel:WORD_1
	v_cvt_pkrtz_f16_f32 v41, v18, v19
	v_cvt_pkrtz_f16_f32 v18, v50, v51
	v_mfma_f32_16x16x16_f16 v[44:47], v[44:45], v[4:5], v[22:25]
	v_cvt_pkrtz_f16_f32 v19, v32, v33
	s_waitcnt vmcnt(5)
	v_cvt_pk_f32_fp8_e32 v[32:33], v6
	v_cvt_pk_f32_fp8_sdwa v[48:49], v9 src0_sel:WORD_1
	v_mfma_f32_16x16x16_f16 v[22:25], v[40:41], v[2:3], v[36:39]
	v_mul_f32_e32 v50, s4, v57
	s_waitcnt vmcnt(4)
	v_mad_i64_i32 v[20:21], s[6:7], v56, s45, v[30:31]
	v_cvt_pk_f32_fp8_sdwa v[36:37], v6 src0_sel:WORD_1
	v_mfma_f32_16x16x16_f16 v[38:41], v[18:19], v[4:5], v[22:25]
	v_cvt_pk_f32_fp8_e32 v[18:19], v7
	v_cvt_pk_f32_fp8_sdwa v[6:7], v7 src0_sel:WORD_1
	v_cvt_pkrtz_f16_f32 v18, v18, v19
	v_cvt_pkrtz_f16_f32 v22, v32, v33
	;; [unrolled: 1-line block ×3, first 2 shown]
	v_cvt_pk_f32_fp8_e32 v[32:33], v8
	v_cvt_pk_f32_fp8_sdwa v[36:37], v8 src0_sel:WORD_1
	v_cvt_pkrtz_f16_f32 v19, v6, v7
	v_mfma_f32_16x16x16_f16 v[22:25], v[22:23], v[10:11], 0
	v_cvt_pkrtz_f16_f32 v32, v32, v33
	v_cvt_pkrtz_f16_f32 v33, v36, v37
	v_cvt_pk_f32_fp8_e32 v[36:37], v9
	v_mfma_f32_16x16x16_f16 v[6:9], v[18:19], v[12:13], v[22:25]
	v_cvt_pkrtz_f16_f32 v19, v48, v49
	v_cvt_pkrtz_f16_f32 v18, v36, v37
	s_nop 0
	v_pk_mul_f32 v[22:23], v[50:51], v[46:47] op_sel_hi:[0,1]
	v_mfma_f32_16x16x16_f16 v[46:49], v[32:33], v[2:3], v[6:9]
	s_waitcnt vmcnt(3)
	v_cvt_pk_f32_fp8_sdwa v[24:25], v14 src0_sel:WORD_1
	v_cvt_pk_f32_fp8_sdwa v[32:33], v16 src0_sel:WORD_1
	v_pk_mul_f32 v[36:37], v[50:51], v[40:41] op_sel_hi:[0,1]
	v_cvt_pk_f32_fp8_e32 v[8:9], v14
	v_pk_mul_f32 v[6:7], v[50:51], v[44:45] op_sel_hi:[0,1]
	v_mfma_f32_16x16x16_f16 v[44:47], v[18:19], v[4:5], v[46:49]
	v_cvt_pk_f32_fp8_e32 v[18:19], v15
	v_cvt_pkrtz_f16_f32 v8, v8, v9
	v_cvt_pkrtz_f16_f32 v9, v24, v25
	v_cvt_pk_f32_fp8_sdwa v[14:15], v15 src0_sel:WORD_1
	v_cvt_pkrtz_f16_f32 v18, v18, v19
	v_cvt_pk_f32_fp8_e32 v[24:25], v16
	v_mfma_f32_16x16x16_f16 v[8:11], v[8:9], v[10:11], 0
	v_cvt_pkrtz_f16_f32 v19, v14, v15
	v_cvt_pkrtz_f16_f32 v14, v24, v25
	;; [unrolled: 1-line block ×3, first 2 shown]
	v_cvt_pk_f32_fp8_e32 v[24:25], v17
	v_cvt_pk_f32_fp8_sdwa v[16:17], v17 src0_sel:WORD_1
	v_mfma_f32_16x16x16_f16 v[8:11], v[18:19], v[12:13], v[8:11]
	v_pk_mul_f32 v[40:41], v[50:51], v[38:39] op_sel_hi:[0,1]
	v_cvt_pkrtz_f16_f32 v12, v24, v25
	v_cvt_pkrtz_f16_f32 v13, v16, v17
	v_mfma_f32_16x16x16_f16 v[8:11], v[14:15], v[2:3], v[8:11]
	v_pk_mul_f32 v[38:39], v[50:51], v[44:45] op_sel_hi:[0,1]
	v_pk_mul_f32 v[32:33], v[50:51], v[46:47] op_sel_hi:[0,1]
	v_mfma_f32_16x16x16_f16 v[2:5], v[12:13], v[4:5], v[8:11]
	s_nop 6
	v_pk_mul_f32 v[24:25], v[50:51], v[2:3] op_sel_hi:[0,1]
	v_and_b32_e32 v2, 0xc0, v0
	v_add_u32_e32 v2, s5, v2
	v_lshl_or_b32 v2, v42, 2, v2
	v_pk_mul_f32 v[18:19], v[50:51], v[4:5] op_sel_hi:[0,1]
	v_or_b32_e32 v5, 1, v2
	v_mov_b32_e32 v3, 0xff7fffff
	v_cmp_gt_i32_e64 s[4:5], s33, v2
	v_cmp_gt_i32_e64 s[34:35], s33, v5
	v_or_b32_e32 v8, 3, v2
	v_cndmask_b32_e64 v4, v3, v6, s[4:5]
	v_cndmask_b32_e64 v5, v3, v7, s[34:35]
	v_max3_f32 v4, v4, s44, v5
	v_or_b32_e32 v5, 2, v2
	v_cmp_gt_i32_e64 s[36:37], s33, v5
	v_cmp_gt_i32_e64 s[38:39], s33, v8
	s_nop 0
	v_cndmask_b32_e64 v5, v3, v22, s[36:37]
	v_cndmask_b32_e64 v8, v3, v23, s[38:39]
	v_max3_f32 v4, v4, v5, v8
	v_or_b32_e32 v5, 16, v2
	v_or_b32_e32 v8, 17, v2
	v_cmp_gt_i32_e64 s[24:25], s33, v5
	v_cmp_gt_i32_e64 s[26:27], s33, v8
	s_nop 0
	v_cndmask_b32_e64 v5, v3, v40, s[24:25]
	v_cndmask_b32_e64 v8, v3, v41, s[26:27]
	v_max3_f32 v4, v4, v5, v8
	v_or_b32_e32 v5, 18, v2
	;; [unrolled: 8-line block ×6, first 2 shown]
	v_or_b32_e32 v2, 51, v2
	v_cmp_gt_i32_e32 vcc, s33, v5
	v_cmp_gt_i32_e64 s[6:7], s33, v2
	s_nop 0
	v_cndmask_b32_e32 v5, v3, v18, vcc
	v_cndmask_b32_e64 v2, v3, v19, s[6:7]
	v_max3_f32 v4, v4, v5, v2
	v_mbcnt_lo_u32_b32 v2, -1, 0
	v_mbcnt_hi_u32_b32 v5, -1, v2
	v_and_b32_e32 v2, 64, v5
	v_add_u32_e32 v8, 64, v2
	v_xor_b32_e32 v2, 32, v5
	v_cmp_lt_i32_e64 s[40:41], v2, v8
	s_nop 1
	v_cndmask_b32_e64 v2, v5, v2, s[40:41]
	v_lshlrev_b32_e32 v44, 2, v2
	ds_bpermute_b32 v9, v44, v4
	s_waitcnt vmcnt(2)
	v_mad_i64_i32 v[2:3], s[40:41], v35, s45, v[30:31]
	global_load_dwordx4 v[14:17], v[20:21], off
	global_load_dwordx4 v[10:13], v[2:3], off
	v_xor_b32_e32 v3, 16, v5
	v_cmp_lt_i32_e64 s[40:41], v3, v8
	s_waitcnt lgkmcnt(0)
	v_max_f32_e32 v2, v9, v9
	v_max_f32_e32 v2, v4, v2
	v_cndmask_b32_e64 v3, v5, v3, s[40:41]
	v_lshlrev_b32_e32 v45, 2, v3
	ds_bpermute_b32 v3, v45, v2
	s_waitcnt vmcnt(3)
	v_mad_i64_i32 v[20:21], s[40:41], v27, s45, v[30:31]
	s_waitcnt vmcnt(2)
	v_mad_i64_i32 v[30:31], s[40:41], v34, s45, v[30:31]
	s_waitcnt lgkmcnt(0)
	v_max_f32_e32 v3, v3, v3
	v_max_f32_e32 v27, v2, v3
	v_sub_f32_e32 v2, v6, v27
	v_mul_f32_e32 v2, 0x3fb8aa3b, v2
	v_exp_f32_e32 v34, v2
	v_sub_f32_e32 v2, v7, v27
	v_mul_f32_e32 v2, 0x3fb8aa3b, v2
	v_exp_f32_e32 v35, v2
	global_load_dwordx4 v[6:9], v[20:21], off
	global_load_dwordx4 v[2:5], v[30:31], off
	v_sub_f32_e32 v22, v22, v27
	v_mul_f32_e32 v22, 0x3fb8aa3b, v22
	v_sub_f32_e32 v23, v23, v27
	v_exp_f32_e32 v22, v22
	v_mul_f32_e32 v23, 0x3fb8aa3b, v23
	v_exp_f32_e32 v23, v23
	v_cndmask_b32_e64 v20, 0, v34, s[4:5]
	v_add_f32_e32 v30, 0, v20
	v_cndmask_b32_e64 v21, 0, v35, s[34:35]
	v_add_f32_e32 v30, v30, v21
	v_cndmask_b32_e64 v34, 0, v22, s[36:37]
	v_add_f32_e32 v22, v30, v34
	v_cndmask_b32_e64 v35, 0, v23, s[38:39]
	v_sub_f32_e32 v23, v40, v27
	v_sub_f32_e32 v30, v41, v27
	v_mul_f32_e32 v23, 0x3fb8aa3b, v23
	v_mul_f32_e32 v30, 0x3fb8aa3b, v30
	v_exp_f32_e32 v23, v23
	v_exp_f32_e32 v30, v30
	v_add_f32_e32 v31, v22, v35
	v_sub_f32_e32 v32, v32, v27
	v_cndmask_b32_e64 v22, 0, v23, s[24:25]
	v_cndmask_b32_e64 v23, 0, v30, s[26:27]
	v_sub_f32_e32 v30, v36, v27
	v_mul_f32_e32 v30, 0x3fb8aa3b, v30
	v_exp_f32_e32 v30, v30
	v_sub_f32_e32 v36, v37, v27
	v_add_f32_e32 v31, v31, v22
	v_mul_f32_e32 v36, 0x3fb8aa3b, v36
	v_exp_f32_e32 v37, v36
	v_add_f32_e32 v31, v31, v23
	v_cndmask_b32_e64 v36, 0, v30, s[20:21]
	v_add_f32_e32 v30, v31, v36
	v_sub_f32_e32 v31, v38, v27
	v_mul_f32_e32 v31, 0x3fb8aa3b, v31
	v_sub_f32_e32 v38, v39, v27
	v_exp_f32_e32 v31, v31
	v_mul_f32_e32 v38, 0x3fb8aa3b, v38
	v_exp_f32_e32 v38, v38
	v_mul_f32_e32 v32, 0x3fb8aa3b, v32
	v_sub_f32_e32 v33, v33, v27
	v_exp_f32_e32 v32, v32
	v_mul_f32_e32 v33, 0x3fb8aa3b, v33
	v_sub_f32_e32 v24, v24, v27
	v_cndmask_b32_e64 v37, 0, v37, s[22:23]
	v_exp_f32_e32 v33, v33
	v_mul_f32_e32 v24, 0x3fb8aa3b, v24
	v_sub_f32_e32 v25, v25, v27
	v_add_f32_e32 v39, v30, v37
	v_cndmask_b32_e64 v30, 0, v31, s[16:17]
	v_exp_f32_e32 v24, v24
	v_mul_f32_e32 v25, 0x3fb8aa3b, v25
	v_sub_f32_e32 v18, v18, v27
	v_add_f32_e32 v39, v39, v30
	;; [unrolled: 5-line block ×3, first 2 shown]
	v_cndmask_b32_e64 v32, 0, v32, s[12:13]
	v_exp_f32_e32 v18, v18
	v_mul_f32_e32 v19, 0x3fb8aa3b, v19
	v_add_f32_e32 v38, v38, v32
	v_cndmask_b32_e64 v33, 0, v33, s[14:15]
	v_exp_f32_e32 v19, v19
	v_add_f32_e32 v38, v38, v33
	v_cndmask_b32_e64 v24, 0, v24, s[8:9]
	v_add_f32_e32 v38, v38, v24
	v_cndmask_b32_e64 v25, 0, v25, s[10:11]
	v_add_f32_e32 v38, v38, v25
	v_cndmask_b32_e32 v18, 0, v18, vcc
	v_add_f32_e32 v38, v38, v18
	v_cndmask_b32_e64 v19, 0, v19, s[6:7]
	v_add_f32_e32 v38, v38, v19
	ds_bpermute_b32 v39, v44, v38
	v_cmp_gt_u32_e32 vcc, 16, v43
	s_waitcnt lgkmcnt(0)
	s_barrier
	v_add_f32_e32 v39, v38, v39
	ds_bpermute_b32 v40, v45, v39
	v_lshlrev_b32_e32 v38, 2, v28
	s_and_saveexec_b64 s[4:5], vcc
	s_cbranch_execz .LBB798_13
; %bb.12:
	s_waitcnt lgkmcnt(0)
	v_add_f32_e32 v39, v39, v40
	v_lshl_or_b32 v40, v29, 6, v38
	ds_write2st64_b32 v40, v27, v39 offset1:1
.LBB798_13:
	s_or_b64 exec, exec, s[4:5]
	s_load_dword s6, s[0:1], 0x94
	s_waitcnt lgkmcnt(0)
	s_barrier
	ds_read2_b32 v[40:41], v38 offset1:16
	ds_read2_b32 v[44:45], v38 offset0:32 offset1:48
	ds_read2_b32 v[46:47], v38 offset0:64 offset1:80
	s_mul_i32 s7, s29, 11
	s_waitcnt lgkmcnt(2)
	v_max3_f32 v27, v40, s44, v41
	s_waitcnt lgkmcnt(1)
	v_max3_f32 v27, v27, v44, v45
	v_sub_f32_e32 v39, v40, v27
	v_sub_f32_e32 v40, v41, v27
	v_mul_f32_e32 v40, 0x3fb8aa3b, v40
	v_mul_f32_e32 v39, 0x3fb8aa3b, v39
	v_exp_f32_e32 v43, v40
	v_sub_f32_e32 v40, v44, v27
	v_exp_f32_e32 v39, v39
	v_mul_f32_e32 v40, 0x3fb8aa3b, v40
	v_exp_f32_e32 v44, v40
	ds_read2_b32 v[40:41], v38 offset0:96 offset1:112
	v_sub_f32_e32 v38, v45, v27
	v_mul_f32_e32 v38, 0x3fb8aa3b, v38
	v_exp_f32_e32 v45, v38
	s_waitcnt lgkmcnt(1)
	v_fma_f32 v38, v39, v46, 0
	v_fmac_f32_e32 v38, v43, v47
	s_waitcnt lgkmcnt(0)
	v_fmac_f32_e32 v38, v44, v40
	v_fmac_f32_e32 v38, v45, v41
	v_add_f32_e32 v40, 0x358637bd, v38
	v_div_scale_f32 v41, s[4:5], v40, v40, 1.0
	v_rcp_f32_e32 v46, v41
	s_barrier
	v_fma_f32 v47, -v41, v46, 1.0
	v_fmac_f32_e32 v46, v47, v46
	v_div_scale_f32 v47, vcc, 1.0, v40, 1.0
	v_mul_f32_e32 v48, v47, v46
	v_fma_f32 v49, -v41, v48, v47
	v_fmac_f32_e32 v48, v49, v46
	v_fma_f32 v41, -v41, v48, v47
	v_div_fmas_f32 v41, v41, v46, v48
	v_cmp_eq_u32_e32 vcc, 1, v29
	v_div_fixup_f32 v40, v41, v40, 1.0
	s_nop 0
	v_cndmask_b32_e32 v39, v39, v43, vcc
	v_cmp_eq_u32_e32 vcc, 2, v29
	s_nop 1
	v_cndmask_b32_e32 v39, v39, v44, vcc
	v_cmp_eq_u32_e32 vcc, 3, v29
	v_lshlrev_b32_e32 v29, 11, v29
	s_nop 0
	v_cndmask_b32_e32 v39, v39, v45, vcc
	v_mul_f32_e32 v40, v39, v40
	v_pk_mul_f32 v[20:21], v[40:41], v[20:21] op_sel_hi:[0,1]
	v_pk_mul_f32 v[34:35], v[40:41], v[34:35] op_sel_hi:[0,1]
	v_cvt_f16_f32_e32 v20, v20
	v_cvt_f16_f32_e32 v21, v21
	v_pk_mul_f32 v[36:37], v[40:41], v[36:37] op_sel_hi:[0,1]
	v_pk_mul_f32 v[22:23], v[40:41], v[22:23] op_sel_hi:[0,1]
	v_cvt_f16_f32_e32 v39, v34
	v_cvt_f16_f32_e32 v35, v35
	;; [unrolled: 1-line block ×6, first 2 shown]
	v_pack_b32_f16 v34, v20, v21
	v_lshlrev_b32_e32 v20, 3, v42
	v_lshlrev_b32_e32 v21, 5, v28
	v_pack_b32_f16 v35, v39, v35
	v_or3_b32 v20, v29, v21, v20
	v_pack_b32_f16 v22, v22, v23
	v_pack_b32_f16 v23, v36, v37
	ds_write2st64_b64 v20, v[34:35], v[22:23] offset1:1
	v_pk_mul_f32 v[22:23], v[40:41], v[32:33] op_sel_hi:[0,1]
	v_pk_mul_f32 v[30:31], v[40:41], v[30:31] op_sel_hi:[0,1]
	v_cvt_f16_f32_e32 v29, v30
	v_cvt_f16_f32_e32 v30, v31
	v_cvt_f16_f32_e32 v31, v22
	v_cvt_f16_f32_e32 v32, v23
	v_pk_mul_f32 v[18:19], v[40:41], v[18:19] op_sel_hi:[0,1]
	v_pk_mul_f32 v[22:23], v[40:41], v[24:25] op_sel_hi:[0,1]
	v_cvt_f16_f32_e32 v22, v22
	v_cvt_f16_f32_e32 v23, v23
	;; [unrolled: 1-line block ×4, first 2 shown]
	v_pack_b32_f16 v18, v29, v30
	v_pack_b32_f16 v19, v31, v32
	;; [unrolled: 1-line block ×4, first 2 shown]
	v_cmp_gt_u32_e32 vcc, 11, v0
	ds_write2st64_b64 v20, v[18:19], v[22:23] offset0:2 offset1:3
	s_and_saveexec_b64 s[4:5], vcc
	s_cbranch_execz .LBB798_15
; %bb.14:
	s_mov_b32 s49, 0
	v_mov_b32_e32 v29, 0
	v_lshl_add_u64 v[18:19], s[48:49], 0, v[28:29]
	v_mov_b32_e32 v22, s7
	v_mad_u64_u32 v[18:19], s[12:13], s2, v22, v[18:19]
	s_mul_i32 s3, s3, s7
	v_mov_b32_e32 v28, s28
	s_load_dwordx4 s[8:11], s[0:1], 0x58
	v_add_u32_e32 v23, s3, v19
	v_mad_u64_u32 v[18:19], s[12:13], v18, s6, v[28:29]
	v_mov_b32_e32 v22, v19
	v_mad_u64_u32 v[22:23], s[12:13], v23, s6, v[22:23]
	v_mov_b32_e32 v19, v22
	v_lshlrev_b64 v[18:19], 2, v[18:19]
	s_waitcnt lgkmcnt(0)
	v_lshl_add_u64 v[22:23], s[10:11], 0, v[18:19]
	v_lshl_add_u64 v[18:19], s[8:9], 0, v[18:19]
	global_store_dword v[22:23], v27, off
	global_store_dword v[18:19], v38, off
.LBB798_15:
	s_or_b64 exec, exec, s[4:5]
	s_waitcnt vmcnt(3)
	v_cvt_pk_f32_fp8_e32 v[18:19], v14
	v_cvt_pk_f32_fp8_sdwa v[22:23], v14 src0_sel:WORD_1
	v_cvt_pk_f32_fp8_e32 v[24:25], v15
	v_lshl_or_b32 v14, v42, 9, v21
	s_waitcnt lgkmcnt(0)
	s_barrier
	v_cvt_pkrtz_f16_f32 v18, v18, v19
	v_cvt_pkrtz_f16_f32 v19, v22, v23
	v_cvt_pk_f32_fp8_sdwa v[28:29], v15 src0_sel:WORD_1
	v_cvt_pkrtz_f16_f32 v36, v24, v25
	ds_read_b128 v[22:25], v14
	v_cvt_pk_f32_fp8_e32 v[38:39], v16
	v_cvt_pkrtz_f16_f32 v37, v28, v29
	ds_read_b128 v[28:31], v14 offset:16
	v_cvt_pk_f32_fp8_sdwa v[40:41], v16 src0_sel:WORD_1
	s_waitcnt lgkmcnt(1)
	v_mfma_f32_16x16x16_f16 v[32:35], v[18:19], v[22:23], 0
	v_cvt_pkrtz_f16_f32 v18, v38, v39
	v_cvt_pk_f32_fp8_e32 v[38:39], v17
	v_cvt_pkrtz_f16_f32 v19, v40, v41
	v_mfma_f32_16x16x16_f16 v[22:25], v[36:37], v[24:25], v[32:35]
	s_waitcnt vmcnt(2)
	v_cvt_pk_f32_fp8_sdwa v[36:37], v12 src0_sel:WORD_1
	s_load_dword s4, s[42:43], 0x0
	v_cmp_gt_u32_e32 vcc, 64, v0
	v_cvt_pk_f32_fp8_sdwa v[32:33], v17 src0_sel:WORD_1
	v_cvt_pkrtz_f16_f32 v34, v38, v39
	s_waitcnt lgkmcnt(0)
	v_mfma_f32_16x16x16_f16 v[16:19], v[18:19], v[28:29], v[22:25]
	v_cvt_pk_f32_fp8_e32 v[28:29], v11
	v_cvt_pkrtz_f16_f32 v35, v32, v33
	s_mov_b32 s3, 0
	v_cvt_pk_f32_fp8_e32 v[22:23], v10
	v_cvt_pk_f32_fp8_sdwa v[24:25], v10 src0_sel:WORD_1
	v_mfma_f32_16x16x16_f16 v[16:19], v[34:35], v[30:31], v[16:19]
	v_cvt_pkrtz_f16_f32 v10, v22, v23
	v_cvt_pk_f32_fp8_sdwa v[30:31], v11 src0_sel:WORD_1
	v_cvt_pkrtz_f16_f32 v11, v24, v25
	ds_read_b128 v[22:25], v14 offset:2048
	v_cvt_pkrtz_f16_f32 v32, v28, v29
	v_cvt_pkrtz_f16_f32 v33, v30, v31
	ds_read_b128 v[28:31], v14 offset:2064
	v_cvt_pk_f32_fp8_e32 v[34:35], v12
	s_waitcnt lgkmcnt(1)
	v_mfma_f32_16x16x16_f16 v[16:19], v[10:11], v[22:23], v[16:19]
	v_cvt_pkrtz_f16_f32 v11, v36, v37
	v_cvt_pk_f32_fp8_e32 v[22:23], v13
	v_cvt_pkrtz_f16_f32 v10, v34, v35
	v_mfma_f32_16x16x16_f16 v[16:19], v[32:33], v[24:25], v[16:19]
	v_cvt_pk_f32_fp8_sdwa v[24:25], v13 src0_sel:WORD_1
	v_cvt_pkrtz_f16_f32 v22, v22, v23
	s_waitcnt vmcnt(1)
	v_cvt_pk_f32_fp8_sdwa v[32:33], v8 src0_sel:WORD_1
	s_waitcnt lgkmcnt(0)
	v_mfma_f32_16x16x16_f16 v[10:13], v[10:11], v[28:29], v[16:19]
	v_cvt_pkrtz_f16_f32 v23, v24, v25
	v_cvt_pk_f32_fp8_sdwa v[24:25], v7 src0_sel:WORD_1
	v_mov_b32_e32 v27, 0
	v_cvt_pk_f32_fp8_e32 v[16:17], v6
	v_cvt_pk_f32_fp8_sdwa v[18:19], v6 src0_sel:WORD_1
	v_mfma_f32_16x16x16_f16 v[10:13], v[22:23], v[30:31], v[10:13]
	v_cvt_pk_f32_fp8_e32 v[22:23], v7
	v_cvt_pkrtz_f16_f32 v6, v16, v17
	v_cvt_pkrtz_f16_f32 v7, v18, v19
	ds_read_b128 v[16:19], v14 offset:4096
	v_cvt_pkrtz_f16_f32 v28, v22, v23
	v_cvt_pkrtz_f16_f32 v29, v24, v25
	ds_read_b128 v[22:25], v14 offset:4112
	v_cvt_pk_f32_fp8_e32 v[30:31], v8
	s_waitcnt lgkmcnt(1)
	v_mfma_f32_16x16x16_f16 v[10:13], v[6:7], v[16:17], v[10:13]
	v_cvt_pkrtz_f16_f32 v7, v32, v33
	v_cvt_pk_f32_fp8_e32 v[16:17], v9
	v_cvt_pkrtz_f16_f32 v6, v30, v31
	v_mfma_f32_16x16x16_f16 v[10:13], v[28:29], v[18:19], v[10:13]
	v_cvt_pk_f32_fp8_sdwa v[18:19], v9 src0_sel:WORD_1
	v_cvt_pkrtz_f16_f32 v16, v16, v17
	v_cvt_pkrtz_f16_f32 v17, v18, v19
	s_waitcnt lgkmcnt(0)
	v_mfma_f32_16x16x16_f16 v[6:9], v[6:7], v[22:23], v[10:13]
	s_waitcnt vmcnt(0)
	v_cvt_pk_f32_fp8_sdwa v[18:19], v3 src0_sel:WORD_1
	s_nop 0
	v_cvt_pkrtz_f16_f32 v23, v18, v19
	v_cvt_pk_f32_fp8_e32 v[10:11], v2
	v_cvt_pk_f32_fp8_sdwa v[12:13], v2 src0_sel:WORD_1
	v_mfma_f32_16x16x16_f16 v[6:9], v[16:17], v[24:25], v[6:9]
	v_cvt_pk_f32_fp8_e32 v[16:17], v3
	v_cvt_pkrtz_f16_f32 v2, v10, v11
	v_cvt_pkrtz_f16_f32 v3, v12, v13
	ds_read_b128 v[10:13], v14 offset:6144
	v_cvt_pkrtz_f16_f32 v22, v16, v17
	v_cvt_pk_f32_fp8_e32 v[18:19], v4
	v_cvt_pk_f32_fp8_sdwa v[24:25], v4 src0_sel:WORD_1
	s_waitcnt lgkmcnt(0)
	v_mfma_f32_16x16x16_f16 v[6:9], v[2:3], v[10:11], v[6:9]
	ds_read_b128 v[14:17], v14 offset:6160
	v_cvt_pkrtz_f16_f32 v2, v18, v19
	v_cvt_pkrtz_f16_f32 v3, v24, v25
	v_cvt_pk_f32_fp8_e32 v[10:11], v5
	v_mfma_f32_16x16x16_f16 v[6:9], v[22:23], v[12:13], v[6:9]
	v_cvt_pk_f32_fp8_sdwa v[12:13], v5 src0_sel:WORD_1
	s_waitcnt lgkmcnt(0)
	v_cvt_pkrtz_f16_f32 v10, v10, v11
	v_mfma_f32_16x16x16_f16 v[2:5], v[2:3], v[14:15], v[6:9]
	v_cvt_pkrtz_f16_f32 v11, v12, v13
	s_barrier
	s_nop 0
	v_mfma_f32_16x16x16_f16 v[2:5], v[10:11], v[16:17], v[2:5]
	s_nop 6
	v_pk_mul_f32 v[4:5], v[4:5], s[4:5] op_sel_hi:[1,0]
	v_pk_mul_f32 v[2:3], v[2:3], s[4:5] op_sel_hi:[1,0]
	v_cvt_f16_f32_e32 v4, v4
	v_cvt_f16_f32_e32 v2, v2
	;; [unrolled: 1-line block ×4, first 2 shown]
	s_and_b64 s[4:5], vcc, s[30:31]
	v_pack_b32_f16 v2, v2, v3
	v_pack_b32_f16 v3, v4, v5
	ds_write_b64 v20, v[2:3]
	s_waitcnt lgkmcnt(0)
	s_barrier
	s_and_saveexec_b64 s[8:9], s[4:5]
	s_cbranch_execz .LBB798_18
; %bb.16:
	s_load_dwordx2 s[4:5], s[0:1], 0x68
	s_lshl_b32 s0, s6, 6
	s_mul_i32 s1, s7, s2
	s_mul_hi_u32 s7, s1, s0
	s_mul_i32 s6, s1, s0
	v_lshlrev_b32_e32 v0, 10, v0
	s_lshl_b64 s[6:7], s[6:7], 1
	v_and_b32_e32 v0, 0x1800, v0
	v_lshlrev_b32_e32 v2, 5, v42
	v_and_b32_e32 v1, 16, v1
	s_waitcnt lgkmcnt(0)
	s_add_u32 s1, s4, s6
	v_or3_b32 v2, v0, v2, v1
	s_addc_u32 s4, s5, s7
	s_lshl_b32 s2, s28, 6
	s_lshl_b64 s[2:3], s[2:3], 1
	ds_read_b128 v[4:7], v2 offset:128
	ds_read_b128 v[8:11], v2
	s_add_u32 s2, s1, s2
	s_addc_u32 s3, s4, s3
	v_add_u32_e32 v3, s48, v42
	v_lshl_add_u64 v[0:1], s[2:3], 0, v[26:27]
	v_mad_u64_u32 v[12:13], s[2:3], v3, s0, 0
	v_lshl_add_u64 v[12:13], v[12:13], 1, v[0:1]
	v_add_u32_e32 v3, 4, v3
	s_waitcnt lgkmcnt(0)
	global_store_dwordx4 v[12:13], v[8:11], off
	v_cmp_ne_u32_e32 vcc, 3, v42
	s_nop 0
	v_mad_u64_u32 v[8:9], s[2:3], v3, s0, 0
	v_lshl_add_u64 v[8:9], v[8:9], 1, v[0:1]
	global_store_dwordx4 v[8:9], v[4:7], off
	s_and_b64 exec, exec, vcc
	s_cbranch_execz .LBB798_18
; %bb.17:
	ds_read_b128 v[2:5], v2 offset:256
	v_add3_u32 v6, s48, v42, 8
	v_mad_u64_u32 v[6:7], s[0:1], v6, s0, 0
	v_lshl_add_u64 v[0:1], v[6:7], 1, v[0:1]
	s_waitcnt lgkmcnt(0)
	global_store_dwordx4 v[0:1], v[2:5], off
.LBB798_18:
	s_endpgm
	.section	.rodata,"a",@progbits
	.p2align	6, 0x0
	.amdhsa_kernel _Z39paged_attention_ll4mi_QKV_mfma16_kernelIDF16_hLN4vllm18Fp8KVCacheDataTypeE1EhLi16ELi64ELi256ELb0ELi11EEvPKT_PKT0_S7_ifPKiS9_S9_iPKfiiiPfSC_PS2_PT2_iSB_SB_
		.amdhsa_group_segment_fixed_size 8192
		.amdhsa_private_segment_fixed_size 0
		.amdhsa_kernarg_size 400
		.amdhsa_user_sgpr_count 2
		.amdhsa_user_sgpr_dispatch_ptr 0
		.amdhsa_user_sgpr_queue_ptr 0
		.amdhsa_user_sgpr_kernarg_segment_ptr 1
		.amdhsa_user_sgpr_dispatch_id 0
		.amdhsa_user_sgpr_kernarg_preload_length 0
		.amdhsa_user_sgpr_kernarg_preload_offset 0
		.amdhsa_user_sgpr_private_segment_size 0
		.amdhsa_uses_dynamic_stack 0
		.amdhsa_enable_private_segment 0
		.amdhsa_system_sgpr_workgroup_id_x 1
		.amdhsa_system_sgpr_workgroup_id_y 1
		.amdhsa_system_sgpr_workgroup_id_z 1
		.amdhsa_system_sgpr_workgroup_info 0
		.amdhsa_system_vgpr_workitem_id 0
		.amdhsa_next_free_vgpr 58
		.amdhsa_next_free_sgpr 50
		.amdhsa_accum_offset 60
		.amdhsa_reserve_vcc 1
		.amdhsa_float_round_mode_32 0
		.amdhsa_float_round_mode_16_64 0
		.amdhsa_float_denorm_mode_32 3
		.amdhsa_float_denorm_mode_16_64 3
		.amdhsa_dx10_clamp 1
		.amdhsa_ieee_mode 1
		.amdhsa_fp16_overflow 0
		.amdhsa_tg_split 0
		.amdhsa_exception_fp_ieee_invalid_op 0
		.amdhsa_exception_fp_denorm_src 0
		.amdhsa_exception_fp_ieee_div_zero 0
		.amdhsa_exception_fp_ieee_overflow 0
		.amdhsa_exception_fp_ieee_underflow 0
		.amdhsa_exception_fp_ieee_inexact 0
		.amdhsa_exception_int_div_zero 0
	.end_amdhsa_kernel
	.section	.text._Z39paged_attention_ll4mi_QKV_mfma16_kernelIDF16_hLN4vllm18Fp8KVCacheDataTypeE1EhLi16ELi64ELi256ELb0ELi11EEvPKT_PKT0_S7_ifPKiS9_S9_iPKfiiiPfSC_PS2_PT2_iSB_SB_,"axG",@progbits,_Z39paged_attention_ll4mi_QKV_mfma16_kernelIDF16_hLN4vllm18Fp8KVCacheDataTypeE1EhLi16ELi64ELi256ELb0ELi11EEvPKT_PKT0_S7_ifPKiS9_S9_iPKfiiiPfSC_PS2_PT2_iSB_SB_,comdat
.Lfunc_end798:
	.size	_Z39paged_attention_ll4mi_QKV_mfma16_kernelIDF16_hLN4vllm18Fp8KVCacheDataTypeE1EhLi16ELi64ELi256ELb0ELi11EEvPKT_PKT0_S7_ifPKiS9_S9_iPKfiiiPfSC_PS2_PT2_iSB_SB_, .Lfunc_end798-_Z39paged_attention_ll4mi_QKV_mfma16_kernelIDF16_hLN4vllm18Fp8KVCacheDataTypeE1EhLi16ELi64ELi256ELb0ELi11EEvPKT_PKT0_S7_ifPKiS9_S9_iPKfiiiPfSC_PS2_PT2_iSB_SB_
                                        ; -- End function
	.section	.AMDGPU.csdata,"",@progbits
; Kernel info:
; codeLenInByte = 4604
; NumSgprs: 56
; NumVgprs: 58
; NumAgprs: 0
; TotalNumVgprs: 58
; ScratchSize: 0
; MemoryBound: 0
; FloatMode: 240
; IeeeMode: 1
; LDSByteSize: 8192 bytes/workgroup (compile time only)
; SGPRBlocks: 6
; VGPRBlocks: 7
; NumSGPRsForWavesPerEU: 56
; NumVGPRsForWavesPerEU: 58
; AccumOffset: 60
; Occupancy: 8
; WaveLimiterHint : 1
; COMPUTE_PGM_RSRC2:SCRATCH_EN: 0
; COMPUTE_PGM_RSRC2:USER_SGPR: 2
; COMPUTE_PGM_RSRC2:TRAP_HANDLER: 0
; COMPUTE_PGM_RSRC2:TGID_X_EN: 1
; COMPUTE_PGM_RSRC2:TGID_Y_EN: 1
; COMPUTE_PGM_RSRC2:TGID_Z_EN: 1
; COMPUTE_PGM_RSRC2:TIDIG_COMP_CNT: 0
; COMPUTE_PGM_RSRC3_GFX90A:ACCUM_OFFSET: 14
; COMPUTE_PGM_RSRC3_GFX90A:TG_SPLIT: 0
	.section	.text._Z39paged_attention_ll4mi_QKV_mfma16_kernelIDF16_hLN4vllm18Fp8KVCacheDataTypeE1EhLi16ELi64ELi256ELb0ELi12EEvPKT_PKT0_S7_ifPKiS9_S9_iPKfiiiPfSC_PS2_PT2_iSB_SB_,"axG",@progbits,_Z39paged_attention_ll4mi_QKV_mfma16_kernelIDF16_hLN4vllm18Fp8KVCacheDataTypeE1EhLi16ELi64ELi256ELb0ELi12EEvPKT_PKT0_S7_ifPKiS9_S9_iPKfiiiPfSC_PS2_PT2_iSB_SB_,comdat
	.protected	_Z39paged_attention_ll4mi_QKV_mfma16_kernelIDF16_hLN4vllm18Fp8KVCacheDataTypeE1EhLi16ELi64ELi256ELb0ELi12EEvPKT_PKT0_S7_ifPKiS9_S9_iPKfiiiPfSC_PS2_PT2_iSB_SB_ ; -- Begin function _Z39paged_attention_ll4mi_QKV_mfma16_kernelIDF16_hLN4vllm18Fp8KVCacheDataTypeE1EhLi16ELi64ELi256ELb0ELi12EEvPKT_PKT0_S7_ifPKiS9_S9_iPKfiiiPfSC_PS2_PT2_iSB_SB_
	.globl	_Z39paged_attention_ll4mi_QKV_mfma16_kernelIDF16_hLN4vllm18Fp8KVCacheDataTypeE1EhLi16ELi64ELi256ELb0ELi12EEvPKT_PKT0_S7_ifPKiS9_S9_iPKfiiiPfSC_PS2_PT2_iSB_SB_
	.p2align	8
	.type	_Z39paged_attention_ll4mi_QKV_mfma16_kernelIDF16_hLN4vllm18Fp8KVCacheDataTypeE1EhLi16ELi64ELi256ELb0ELi12EEvPKT_PKT0_S7_ifPKiS9_S9_iPKfiiiPfSC_PS2_PT2_iSB_SB_,@function
_Z39paged_attention_ll4mi_QKV_mfma16_kernelIDF16_hLN4vllm18Fp8KVCacheDataTypeE1EhLi16ELi64ELi256ELb0ELi12EEvPKT_PKT0_S7_ifPKiS9_S9_iPKfiiiPfSC_PS2_PT2_iSB_SB_: ; @_Z39paged_attention_ll4mi_QKV_mfma16_kernelIDF16_hLN4vllm18Fp8KVCacheDataTypeE1EhLi16ELi64ELi256ELb0ELi12EEvPKT_PKT0_S7_ifPKiS9_S9_iPKfiiiPfSC_PS2_PT2_iSB_SB_
; %bb.0:
	s_load_dwordx2 s[12:13], s[0:1], 0x30
	s_mov_b32 s28, s3
	s_mov_b64 s[6:7], 0
	s_waitcnt lgkmcnt(0)
	s_cmp_lg_u64 s[12:13], 0
	s_cselect_b64 s[14:15], -1, 0
	s_and_b64 vcc, exec, s[14:15]
	s_cbranch_vccz .LBB799_7
; %bb.1:
	s_add_i32 s8, s2, 1
	s_mov_b32 s9, 0
	s_lshl_b64 s[10:11], s[8:9], 2
	s_add_u32 s10, s12, s10
	s_mov_b32 s3, s9
	s_addc_u32 s11, s13, s11
	s_lshl_b64 s[8:9], s[2:3], 2
	s_add_u32 s8, s12, s8
	s_addc_u32 s9, s13, s9
	s_load_dword s5, s[10:11], 0x0
	s_load_dword s16, s[8:9], 0x0
	s_waitcnt lgkmcnt(0)
	s_sub_i32 s5, s5, s16
	s_cmp_eq_u32 s5, 1
	s_cselect_b64 s[8:9], -1, 0
	s_andn2_b64 vcc, exec, s[6:7]
	s_cbranch_vccnz .LBB799_3
.LBB799_2:
	s_mov_b32 s3, 0
	s_mov_b64 s[8:9], -1
.LBB799_3:
	s_andn2_b64 vcc, exec, s[8:9]
	s_cbranch_vccnz .LBB799_17
; %bb.4:
	s_load_dwordx2 s[6:7], s[0:1], 0x28
	s_lshl_b64 s[16:17], s[2:3], 2
	s_waitcnt lgkmcnt(0)
	s_add_u32 s6, s6, s16
	s_addc_u32 s7, s7, s17
	s_load_dword s33, s[6:7], 0x0
	s_lshl_b32 s5, s28, 8
	s_waitcnt lgkmcnt(0)
	s_cmp_ge_i32 s5, s33
	s_cbranch_scc1 .LBB799_17
; %bb.5:
	s_load_dwordx2 s[6:7], s[0:1], 0x20
	s_load_dword s8, s[0:1], 0x38
	s_add_i32 s9, s33, 15
	s_ashr_i32 s10, s9, 31
	v_and_b32_e32 v1, 0xcf, v0
	s_lshr_b32 s10, s10, 28
	v_add_u32_e32 v1, s5, v1
	s_add_i32 s9, s9, s10
	v_ashrrev_i32_e32 v2, 31, v1
	s_ashr_i32 s18, s9, 4
	v_lshrrev_b32_e32 v4, 28, v2
	s_add_i32 s18, s18, -1
	s_waitcnt lgkmcnt(0)
	s_mul_i32 s8, s2, s8
	s_mov_b32 s9, 0
	v_add_u32_e32 v2, v1, v4
	s_lshl_b64 s[8:9], s[8:9], 2
	v_ashrrev_i32_e32 v2, 4, v2
	v_mov_b32_e32 v5, s18
	v_cmp_gt_i32_e32 vcc, s33, v1
	s_add_u32 s6, s6, s8
	s_addc_u32 s7, s7, s9
	v_cndmask_b32_e32 v2, v5, v2, vcc
	v_ashrrev_i32_e32 v3, 31, v2
	v_lshl_add_u64 v[6:7], v[2:3], 2, s[6:7]
	v_or_b32_e32 v2, 16, v1
	v_add_u32_e32 v3, v2, v4
	v_ashrrev_i32_e32 v3, 4, v3
	v_cmp_gt_i32_e32 vcc, s33, v2
	s_load_dwordx4 s[8:11], s[0:1], 0x8
	s_nop 0
	v_cndmask_b32_e32 v2, v5, v3, vcc
	v_ashrrev_i32_e32 v3, 31, v2
	v_lshl_add_u64 v[8:9], v[2:3], 2, s[6:7]
	v_or_b32_e32 v2, 32, v1
	v_add_u32_e32 v3, v2, v4
	v_ashrrev_i32_e32 v3, 4, v3
	v_cmp_gt_i32_e32 vcc, s33, v2
	v_or_b32_e32 v1, 48, v1
	s_nop 0
	v_cndmask_b32_e32 v2, v5, v3, vcc
	v_ashrrev_i32_e32 v3, 31, v2
	v_lshl_add_u64 v[10:11], v[2:3], 2, s[6:7]
	v_add_u32_e32 v2, v1, v4
	v_ashrrev_i32_e32 v2, 4, v2
	v_cmp_gt_i32_e32 vcc, s33, v1
	s_nop 1
	v_cndmask_b32_e32 v2, v5, v2, vcc
	v_ashrrev_i32_e32 v3, 31, v2
	v_lshl_add_u64 v[12:13], v[2:3], 2, s[6:7]
	global_load_dword v4, v[6:7], off
	global_load_dword v3, v[8:9], off
	;; [unrolled: 1-line block ×4, first 2 shown]
	s_andn2_b64 vcc, exec, s[14:15]
	s_cbranch_vccnz .LBB799_8
; %bb.6:
	s_add_u32 s12, s12, s16
	s_addc_u32 s13, s13, s17
	s_load_dword s14, s[12:13], 0x0
	s_branch .LBB799_9
.LBB799_7:
	s_mov_b64 s[8:9], 0
	s_branch .LBB799_2
.LBB799_8:
	s_mov_b32 s14, s2
.LBB799_9:
	s_load_dwordx4 s[44:47], s[0:1], 0x48
	v_and_b32_e32 v28, 15, v0
	s_movk_i32 s12, 0xc0
	v_lshlrev_b32_e32 v5, 3, v28
	v_cmp_gt_u32_e32 vcc, s12, v0
	v_cmp_gt_u32_e64 s[30:31], 8, v28
	v_lshrrev_b32_e32 v29, 6, v0
	v_and_b32_e32 v43, 63, v0
	v_bfe_u32 v1, v0, 4, 2
	s_mul_i32 s48, s4, 12
	s_and_b64 s[16:17], vcc, s[30:31]
	v_lshlrev_b32_e32 v26, 1, v5
	v_lshlrev_b32_e32 v42, 4, v0
	s_and_saveexec_b64 s[12:13], s[16:17]
	s_cbranch_execz .LBB799_11
; %bb.10:
	s_load_dwordx2 s[16:17], s[0:1], 0x0
	s_waitcnt lgkmcnt(0)
	s_ashr_i32 s15, s44, 31
	s_mul_hi_u32 s19, s14, s44
	s_mul_i32 s15, s14, s15
	s_add_i32 s15, s19, s15
	s_mul_i32 s14, s14, s44
	v_lshl_or_b32 v5, v29, 2, v1
	s_lshl_b64 s[14:15], s[14:15], 1
	s_add_u32 s14, s16, s14
	v_add_lshl_u32 v6, v5, s48, 6
	s_addc_u32 s15, s17, s15
	v_ashrrev_i32_e32 v7, 31, v6
	v_lshl_add_u64 v[6:7], v[6:7], 1, s[14:15]
	v_mov_b32_e32 v27, 0
	v_lshl_add_u64 v[6:7], v[6:7], 0, v[26:27]
	global_load_dwordx4 v[6:9], v[6:7], off
	v_lshlrev_b32_e32 v11, 8, v28
	v_lshlrev_b32_e32 v5, 5, v5
	v_and_b32_e32 v10, 16, v42
	v_and_b32_e32 v11, 0xe00, v11
	v_or3_b32 v5, v11, v5, v10
	s_waitcnt vmcnt(0)
	ds_write_b128 v5, v[6:9]
.LBB799_11:
	s_or_b64 exec, exec, s[12:13]
	s_waitcnt lgkmcnt(0)
	s_mul_i32 s4, s4, s46
	s_add_u32 s8, s8, s4
	s_addc_u32 s9, s9, 0
	v_and_b32_e32 v8, 48, v0
	v_and_b32_e32 v30, 0xf0, v42
	v_mov_b32_e32 v31, 0
	v_lshl_add_u64 v[6:7], s[8:9], 0, v[30:31]
	v_lshlrev_b32_e32 v30, 4, v8
	v_lshl_add_u64 v[16:17], v[6:7], 0, v[30:31]
	s_waitcnt vmcnt(3)
	v_mad_i64_i32 v[4:5], s[8:9], v4, s45, v[16:17]
	s_load_dword s29, s[0:1], 0x98
	s_load_dwordx4 s[40:43], s[0:1], 0x80
	s_waitcnt lgkmcnt(0)
	s_barrier
	global_load_dwordx4 v[22:25], v[4:5], off
	s_waitcnt vmcnt(3)
	v_mad_i64_i32 v[4:5], s[8:9], v3, s45, v[16:17]
	global_load_dwordx4 v[18:21], v[4:5], off
	v_or_b32_e32 v10, s5, v8
	v_mov_b32_e32 v27, s18
	v_ashrrev_i32_e32 v3, 4, v10
	v_cmp_gt_i32_e32 vcc, s33, v10
	v_or_b32_e32 v15, 64, v10
	v_ashrrev_i32_e32 v32, 4, v15
	v_cndmask_b32_e32 v4, v27, v3, vcc
	s_waitcnt vmcnt(3)
	v_mad_i64_i32 v[2:3], s[8:9], v2, s45, v[16:17]
	global_load_dwordx4 v[6:9], v[2:3], off
	v_ashrrev_i32_e32 v5, 31, v4
	v_lshl_add_u64 v[4:5], v[4:5], 2, s[6:7]
	global_load_dword v56, v[4:5], off
	v_add_u32_e32 v4, -12, v28
	v_cmp_gt_u32_e32 vcc, 12, v28
	v_or_b32_e32 v33, 0x80, v10
	v_or_b32_e32 v35, 0xc0, v10
	v_cndmask_b32_e32 v2, v4, v28, vcc
	v_lshlrev_b32_e32 v2, 5, v2
	v_lshl_add_u32 v2, v1, 9, v2
	v_cmp_gt_i32_e32 vcc, s33, v15
	s_waitcnt vmcnt(4)
	v_mad_i64_i32 v[14:15], s[12:13], v14, s45, v[16:17]
	ds_read_b128 v[10:13], v2
	ds_read_b128 v[2:5], v2 offset:16
	global_load_dwordx4 v[14:17], v[14:15], off
	v_ashrrev_i32_e32 v34, 4, v33
	v_cndmask_b32_e32 v32, v27, v32, vcc
	v_cmp_gt_i32_e32 vcc, s33, v33
	v_ashrrev_i32_e32 v36, 4, v35
	v_ashrrev_i32_e32 v33, 31, v32
	v_cndmask_b32_e32 v34, v27, v34, vcc
	v_cmp_gt_i32_e32 vcc, s33, v35
	v_ashrrev_i32_e32 v35, 31, v34
	v_lshl_add_u64 v[32:33], v[32:33], 2, s[6:7]
	v_cndmask_b32_e32 v36, v27, v36, vcc
	v_ashrrev_i32_e32 v37, 31, v36
	v_lshl_add_u64 v[36:37], v[36:37], 2, s[6:7]
	s_add_u32 s8, s10, s4
	s_load_dword s4, s[40:41], 0x0
	v_lshl_add_u64 v[38:39], v[34:35], 2, s[6:7]
	global_load_dword v35, v[32:33], off
	global_load_dword v27, v[38:39], off
	;; [unrolled: 1-line block ×3, first 2 shown]
	s_load_dword s14, s[0:1], 0x1c
	s_mov_b32 s44, 0xff7fffff
	v_lshlrev_b32_e32 v30, 4, v28
	s_addc_u32 s9, s11, 0
	v_lshl_or_b32 v30, v29, 8, v30
	s_waitcnt lgkmcnt(0)
	v_mov_b32_e32 v57, s14
	v_lshl_add_u64 v[30:31], s[8:9], 0, v[30:31]
	s_waitcnt vmcnt(7)
	v_cvt_pk_f32_fp8_e32 v[32:33], v22
	v_cvt_pk_f32_fp8_sdwa v[36:37], v22 src0_sel:WORD_1
	v_cvt_pk_f32_fp8_e32 v[38:39], v23
	v_cvt_pk_f32_fp8_sdwa v[40:41], v23 src0_sel:WORD_1
	v_cvt_pkrtz_f16_f32 v32, v32, v33
	v_cvt_pkrtz_f16_f32 v33, v36, v37
	s_waitcnt vmcnt(6)
	v_cvt_pk_f32_fp8_e32 v[22:23], v18
	v_cvt_pk_f32_fp8_sdwa v[50:51], v18 src0_sel:WORD_1
	v_cvt_pk_f32_fp8_e32 v[44:45], v24
	v_cvt_pk_f32_fp8_sdwa v[46:47], v24 src0_sel:WORD_1
	;; [unrolled: 2-line block ×3, first 2 shown]
	v_cvt_pkrtz_f16_f32 v36, v22, v23
	v_mfma_f32_16x16x16_f16 v[22:25], v[32:33], v[10:11], 0
	v_cvt_pkrtz_f16_f32 v32, v38, v39
	v_cvt_pkrtz_f16_f32 v33, v40, v41
	v_cvt_pk_f32_fp8_e32 v[54:55], v19
	v_cvt_pkrtz_f16_f32 v37, v50, v51
	v_cvt_pk_f32_fp8_sdwa v[18:19], v19 src0_sel:WORD_1
	v_mfma_f32_16x16x16_f16 v[22:25], v[32:33], v[12:13], v[22:25]
	v_cvt_pkrtz_f16_f32 v50, v54, v55
	v_cvt_pkrtz_f16_f32 v51, v18, v19
	;; [unrolled: 1-line block ×4, first 2 shown]
	v_mfma_f32_16x16x16_f16 v[36:39], v[36:37], v[10:11], 0
	v_cvt_pk_f32_fp8_e32 v[40:41], v20
	v_cvt_pk_f32_fp8_sdwa v[18:19], v20 src0_sel:WORD_1
	v_cvt_pkrtz_f16_f32 v44, v48, v49
	v_mfma_f32_16x16x16_f16 v[36:39], v[50:51], v[12:13], v[36:39]
	v_cvt_pk_f32_fp8_e32 v[50:51], v21
	v_cvt_pkrtz_f16_f32 v45, v52, v53
	v_cvt_pkrtz_f16_f32 v40, v40, v41
	v_mfma_f32_16x16x16_f16 v[22:25], v[32:33], v[2:3], v[22:25]
	v_cvt_pk_f32_fp8_sdwa v[32:33], v21 src0_sel:WORD_1
	v_cvt_pkrtz_f16_f32 v41, v18, v19
	v_cvt_pkrtz_f16_f32 v18, v50, v51
	v_mfma_f32_16x16x16_f16 v[44:47], v[44:45], v[4:5], v[22:25]
	v_cvt_pkrtz_f16_f32 v19, v32, v33
	s_waitcnt vmcnt(5)
	v_cvt_pk_f32_fp8_e32 v[32:33], v6
	v_cvt_pk_f32_fp8_sdwa v[48:49], v9 src0_sel:WORD_1
	v_mfma_f32_16x16x16_f16 v[22:25], v[40:41], v[2:3], v[36:39]
	v_mul_f32_e32 v50, s4, v57
	s_waitcnt vmcnt(4)
	v_mad_i64_i32 v[20:21], s[6:7], v56, s45, v[30:31]
	v_cvt_pk_f32_fp8_sdwa v[36:37], v6 src0_sel:WORD_1
	v_mfma_f32_16x16x16_f16 v[38:41], v[18:19], v[4:5], v[22:25]
	v_cvt_pk_f32_fp8_e32 v[18:19], v7
	v_cvt_pk_f32_fp8_sdwa v[6:7], v7 src0_sel:WORD_1
	v_cvt_pkrtz_f16_f32 v18, v18, v19
	v_cvt_pkrtz_f16_f32 v22, v32, v33
	;; [unrolled: 1-line block ×3, first 2 shown]
	v_cvt_pk_f32_fp8_e32 v[32:33], v8
	v_cvt_pk_f32_fp8_sdwa v[36:37], v8 src0_sel:WORD_1
	v_cvt_pkrtz_f16_f32 v19, v6, v7
	v_mfma_f32_16x16x16_f16 v[22:25], v[22:23], v[10:11], 0
	v_cvt_pkrtz_f16_f32 v32, v32, v33
	v_cvt_pkrtz_f16_f32 v33, v36, v37
	v_cvt_pk_f32_fp8_e32 v[36:37], v9
	v_mfma_f32_16x16x16_f16 v[6:9], v[18:19], v[12:13], v[22:25]
	v_cvt_pkrtz_f16_f32 v19, v48, v49
	v_cvt_pkrtz_f16_f32 v18, v36, v37
	s_nop 0
	v_pk_mul_f32 v[22:23], v[50:51], v[46:47] op_sel_hi:[0,1]
	v_mfma_f32_16x16x16_f16 v[46:49], v[32:33], v[2:3], v[6:9]
	s_waitcnt vmcnt(3)
	v_cvt_pk_f32_fp8_sdwa v[24:25], v14 src0_sel:WORD_1
	v_cvt_pk_f32_fp8_sdwa v[32:33], v16 src0_sel:WORD_1
	v_pk_mul_f32 v[36:37], v[50:51], v[40:41] op_sel_hi:[0,1]
	v_cvt_pk_f32_fp8_e32 v[8:9], v14
	v_pk_mul_f32 v[6:7], v[50:51], v[44:45] op_sel_hi:[0,1]
	v_mfma_f32_16x16x16_f16 v[44:47], v[18:19], v[4:5], v[46:49]
	v_cvt_pk_f32_fp8_e32 v[18:19], v15
	v_cvt_pkrtz_f16_f32 v8, v8, v9
	v_cvt_pkrtz_f16_f32 v9, v24, v25
	v_cvt_pk_f32_fp8_sdwa v[14:15], v15 src0_sel:WORD_1
	v_cvt_pkrtz_f16_f32 v18, v18, v19
	v_cvt_pk_f32_fp8_e32 v[24:25], v16
	v_mfma_f32_16x16x16_f16 v[8:11], v[8:9], v[10:11], 0
	v_cvt_pkrtz_f16_f32 v19, v14, v15
	v_cvt_pkrtz_f16_f32 v14, v24, v25
	;; [unrolled: 1-line block ×3, first 2 shown]
	v_cvt_pk_f32_fp8_e32 v[24:25], v17
	v_cvt_pk_f32_fp8_sdwa v[16:17], v17 src0_sel:WORD_1
	v_mfma_f32_16x16x16_f16 v[8:11], v[18:19], v[12:13], v[8:11]
	v_pk_mul_f32 v[40:41], v[50:51], v[38:39] op_sel_hi:[0,1]
	v_cvt_pkrtz_f16_f32 v12, v24, v25
	v_cvt_pkrtz_f16_f32 v13, v16, v17
	v_mfma_f32_16x16x16_f16 v[8:11], v[14:15], v[2:3], v[8:11]
	v_pk_mul_f32 v[38:39], v[50:51], v[44:45] op_sel_hi:[0,1]
	v_pk_mul_f32 v[32:33], v[50:51], v[46:47] op_sel_hi:[0,1]
	v_mfma_f32_16x16x16_f16 v[2:5], v[12:13], v[4:5], v[8:11]
	s_nop 6
	v_pk_mul_f32 v[24:25], v[50:51], v[2:3] op_sel_hi:[0,1]
	v_and_b32_e32 v2, 0xc0, v0
	v_add_u32_e32 v2, s5, v2
	v_lshl_or_b32 v2, v1, 2, v2
	v_pk_mul_f32 v[18:19], v[50:51], v[4:5] op_sel_hi:[0,1]
	v_or_b32_e32 v5, 1, v2
	v_mov_b32_e32 v3, 0xff7fffff
	v_cmp_gt_i32_e64 s[4:5], s33, v2
	v_cmp_gt_i32_e64 s[34:35], s33, v5
	v_or_b32_e32 v8, 3, v2
	v_cndmask_b32_e64 v4, v3, v6, s[4:5]
	v_cndmask_b32_e64 v5, v3, v7, s[34:35]
	v_max3_f32 v4, v4, s44, v5
	v_or_b32_e32 v5, 2, v2
	v_cmp_gt_i32_e64 s[36:37], s33, v5
	v_cmp_gt_i32_e64 s[38:39], s33, v8
	s_nop 0
	v_cndmask_b32_e64 v5, v3, v22, s[36:37]
	v_cndmask_b32_e64 v8, v3, v23, s[38:39]
	v_max3_f32 v4, v4, v5, v8
	v_or_b32_e32 v5, 16, v2
	v_or_b32_e32 v8, 17, v2
	v_cmp_gt_i32_e64 s[24:25], s33, v5
	v_cmp_gt_i32_e64 s[26:27], s33, v8
	s_nop 0
	v_cndmask_b32_e64 v5, v3, v40, s[24:25]
	v_cndmask_b32_e64 v8, v3, v41, s[26:27]
	v_max3_f32 v4, v4, v5, v8
	v_or_b32_e32 v5, 18, v2
	;; [unrolled: 8-line block ×6, first 2 shown]
	v_or_b32_e32 v2, 51, v2
	v_cmp_gt_i32_e32 vcc, s33, v5
	v_cmp_gt_i32_e64 s[6:7], s33, v2
	s_nop 0
	v_cndmask_b32_e32 v5, v3, v18, vcc
	v_cndmask_b32_e64 v2, v3, v19, s[6:7]
	v_max3_f32 v4, v4, v5, v2
	v_mbcnt_lo_u32_b32 v2, -1, 0
	v_mbcnt_hi_u32_b32 v5, -1, v2
	v_and_b32_e32 v2, 64, v5
	v_add_u32_e32 v8, 64, v2
	v_xor_b32_e32 v2, 32, v5
	v_cmp_lt_i32_e64 s[40:41], v2, v8
	s_nop 1
	v_cndmask_b32_e64 v2, v5, v2, s[40:41]
	v_lshlrev_b32_e32 v44, 2, v2
	ds_bpermute_b32 v9, v44, v4
	s_waitcnt vmcnt(2)
	v_mad_i64_i32 v[2:3], s[40:41], v35, s45, v[30:31]
	global_load_dwordx4 v[14:17], v[20:21], off
	global_load_dwordx4 v[10:13], v[2:3], off
	v_xor_b32_e32 v3, 16, v5
	v_cmp_lt_i32_e64 s[40:41], v3, v8
	s_waitcnt lgkmcnt(0)
	v_max_f32_e32 v2, v9, v9
	v_max_f32_e32 v2, v4, v2
	v_cndmask_b32_e64 v3, v5, v3, s[40:41]
	v_lshlrev_b32_e32 v45, 2, v3
	ds_bpermute_b32 v3, v45, v2
	s_waitcnt vmcnt(3)
	v_mad_i64_i32 v[20:21], s[40:41], v27, s45, v[30:31]
	s_waitcnt vmcnt(2)
	v_mad_i64_i32 v[30:31], s[40:41], v34, s45, v[30:31]
	s_waitcnt lgkmcnt(0)
	v_max_f32_e32 v3, v3, v3
	v_max_f32_e32 v27, v2, v3
	v_sub_f32_e32 v2, v6, v27
	v_mul_f32_e32 v2, 0x3fb8aa3b, v2
	v_exp_f32_e32 v34, v2
	v_sub_f32_e32 v2, v7, v27
	v_mul_f32_e32 v2, 0x3fb8aa3b, v2
	v_exp_f32_e32 v35, v2
	global_load_dwordx4 v[6:9], v[20:21], off
	global_load_dwordx4 v[2:5], v[30:31], off
	v_sub_f32_e32 v22, v22, v27
	v_mul_f32_e32 v22, 0x3fb8aa3b, v22
	v_sub_f32_e32 v23, v23, v27
	v_exp_f32_e32 v22, v22
	v_mul_f32_e32 v23, 0x3fb8aa3b, v23
	v_exp_f32_e32 v23, v23
	v_cndmask_b32_e64 v20, 0, v34, s[4:5]
	v_add_f32_e32 v30, 0, v20
	v_cndmask_b32_e64 v21, 0, v35, s[34:35]
	v_add_f32_e32 v30, v30, v21
	;; [unrolled: 2-line block ×3, first 2 shown]
	v_cndmask_b32_e64 v35, 0, v23, s[38:39]
	v_sub_f32_e32 v23, v40, v27
	v_sub_f32_e32 v30, v41, v27
	v_mul_f32_e32 v23, 0x3fb8aa3b, v23
	v_mul_f32_e32 v30, 0x3fb8aa3b, v30
	v_exp_f32_e32 v23, v23
	v_exp_f32_e32 v30, v30
	v_add_f32_e32 v31, v22, v35
	v_sub_f32_e32 v32, v32, v27
	v_cndmask_b32_e64 v22, 0, v23, s[24:25]
	v_cndmask_b32_e64 v23, 0, v30, s[26:27]
	v_sub_f32_e32 v30, v36, v27
	v_mul_f32_e32 v30, 0x3fb8aa3b, v30
	v_exp_f32_e32 v30, v30
	v_sub_f32_e32 v36, v37, v27
	v_add_f32_e32 v31, v31, v22
	v_mul_f32_e32 v36, 0x3fb8aa3b, v36
	v_exp_f32_e32 v37, v36
	v_add_f32_e32 v31, v31, v23
	v_cndmask_b32_e64 v36, 0, v30, s[20:21]
	v_add_f32_e32 v30, v31, v36
	v_sub_f32_e32 v31, v38, v27
	v_mul_f32_e32 v31, 0x3fb8aa3b, v31
	v_sub_f32_e32 v38, v39, v27
	v_exp_f32_e32 v31, v31
	v_mul_f32_e32 v38, 0x3fb8aa3b, v38
	v_exp_f32_e32 v38, v38
	v_mul_f32_e32 v32, 0x3fb8aa3b, v32
	v_sub_f32_e32 v33, v33, v27
	v_exp_f32_e32 v32, v32
	v_mul_f32_e32 v33, 0x3fb8aa3b, v33
	v_sub_f32_e32 v24, v24, v27
	v_cndmask_b32_e64 v37, 0, v37, s[22:23]
	v_exp_f32_e32 v33, v33
	v_mul_f32_e32 v24, 0x3fb8aa3b, v24
	v_sub_f32_e32 v25, v25, v27
	v_add_f32_e32 v39, v30, v37
	v_cndmask_b32_e64 v30, 0, v31, s[16:17]
	v_exp_f32_e32 v24, v24
	v_mul_f32_e32 v25, 0x3fb8aa3b, v25
	v_sub_f32_e32 v18, v18, v27
	v_add_f32_e32 v39, v39, v30
	;; [unrolled: 5-line block ×3, first 2 shown]
	v_cndmask_b32_e64 v32, 0, v32, s[12:13]
	v_exp_f32_e32 v18, v18
	v_mul_f32_e32 v19, 0x3fb8aa3b, v19
	v_add_f32_e32 v38, v38, v32
	v_cndmask_b32_e64 v33, 0, v33, s[14:15]
	v_exp_f32_e32 v19, v19
	v_add_f32_e32 v38, v38, v33
	v_cndmask_b32_e64 v24, 0, v24, s[8:9]
	v_add_f32_e32 v38, v38, v24
	v_cndmask_b32_e64 v25, 0, v25, s[10:11]
	v_add_f32_e32 v38, v38, v25
	v_cndmask_b32_e32 v18, 0, v18, vcc
	v_add_f32_e32 v38, v38, v18
	v_cndmask_b32_e64 v19, 0, v19, s[6:7]
	v_add_f32_e32 v38, v38, v19
	ds_bpermute_b32 v39, v44, v38
	v_cmp_gt_u32_e32 vcc, 16, v43
	s_waitcnt lgkmcnt(0)
	s_barrier
	v_add_f32_e32 v39, v38, v39
	ds_bpermute_b32 v40, v45, v39
	v_lshlrev_b32_e32 v38, 2, v28
	s_and_saveexec_b64 s[4:5], vcc
	s_cbranch_execz .LBB799_13
; %bb.12:
	s_waitcnt lgkmcnt(0)
	v_add_f32_e32 v39, v39, v40
	v_lshl_or_b32 v40, v29, 6, v38
	ds_write2st64_b32 v40, v27, v39 offset1:1
.LBB799_13:
	s_or_b64 exec, exec, s[4:5]
	s_load_dword s6, s[0:1], 0x94
	s_waitcnt lgkmcnt(0)
	s_barrier
	ds_read2_b32 v[40:41], v38 offset1:16
	ds_read2_b32 v[44:45], v38 offset0:32 offset1:48
	ds_read2_b32 v[46:47], v38 offset0:64 offset1:80
	s_mul_i32 s7, s29, 12
	s_waitcnt lgkmcnt(2)
	v_max3_f32 v27, v40, s44, v41
	s_waitcnt lgkmcnt(1)
	v_max3_f32 v27, v27, v44, v45
	v_sub_f32_e32 v39, v40, v27
	v_sub_f32_e32 v40, v41, v27
	v_mul_f32_e32 v40, 0x3fb8aa3b, v40
	v_mul_f32_e32 v39, 0x3fb8aa3b, v39
	v_exp_f32_e32 v43, v40
	v_sub_f32_e32 v40, v44, v27
	v_exp_f32_e32 v39, v39
	v_mul_f32_e32 v40, 0x3fb8aa3b, v40
	v_exp_f32_e32 v44, v40
	ds_read2_b32 v[40:41], v38 offset0:96 offset1:112
	v_sub_f32_e32 v38, v45, v27
	v_mul_f32_e32 v38, 0x3fb8aa3b, v38
	v_exp_f32_e32 v45, v38
	s_waitcnt lgkmcnt(1)
	v_fma_f32 v38, v39, v46, 0
	v_fmac_f32_e32 v38, v43, v47
	s_waitcnt lgkmcnt(0)
	v_fmac_f32_e32 v38, v44, v40
	v_fmac_f32_e32 v38, v45, v41
	v_add_f32_e32 v40, 0x358637bd, v38
	v_div_scale_f32 v41, s[4:5], v40, v40, 1.0
	v_rcp_f32_e32 v46, v41
	s_barrier
	v_fma_f32 v47, -v41, v46, 1.0
	v_fmac_f32_e32 v46, v47, v46
	v_div_scale_f32 v47, vcc, 1.0, v40, 1.0
	v_mul_f32_e32 v48, v47, v46
	v_fma_f32 v49, -v41, v48, v47
	v_fmac_f32_e32 v48, v49, v46
	v_fma_f32 v41, -v41, v48, v47
	v_div_fmas_f32 v41, v41, v46, v48
	v_cmp_eq_u32_e32 vcc, 1, v29
	v_div_fixup_f32 v40, v41, v40, 1.0
	s_nop 0
	v_cndmask_b32_e32 v39, v39, v43, vcc
	v_cmp_eq_u32_e32 vcc, 2, v29
	s_nop 1
	v_cndmask_b32_e32 v39, v39, v44, vcc
	v_cmp_eq_u32_e32 vcc, 3, v29
	v_lshlrev_b32_e32 v29, 11, v29
	s_nop 0
	v_cndmask_b32_e32 v39, v39, v45, vcc
	v_mul_f32_e32 v40, v39, v40
	v_pk_mul_f32 v[20:21], v[40:41], v[20:21] op_sel_hi:[0,1]
	v_pk_mul_f32 v[34:35], v[40:41], v[34:35] op_sel_hi:[0,1]
	v_cvt_f16_f32_e32 v20, v20
	v_cvt_f16_f32_e32 v21, v21
	v_pk_mul_f32 v[36:37], v[40:41], v[36:37] op_sel_hi:[0,1]
	v_pk_mul_f32 v[22:23], v[40:41], v[22:23] op_sel_hi:[0,1]
	v_cvt_f16_f32_e32 v39, v34
	v_cvt_f16_f32_e32 v35, v35
	;; [unrolled: 1-line block ×6, first 2 shown]
	v_pack_b32_f16 v34, v20, v21
	v_lshlrev_b32_e32 v20, 3, v1
	v_lshlrev_b32_e32 v21, 5, v28
	v_pack_b32_f16 v35, v39, v35
	v_or3_b32 v20, v29, v21, v20
	v_pack_b32_f16 v22, v22, v23
	v_pack_b32_f16 v23, v36, v37
	ds_write2st64_b64 v20, v[34:35], v[22:23] offset1:1
	v_pk_mul_f32 v[22:23], v[40:41], v[32:33] op_sel_hi:[0,1]
	v_pk_mul_f32 v[30:31], v[40:41], v[30:31] op_sel_hi:[0,1]
	v_cvt_f16_f32_e32 v29, v30
	v_cvt_f16_f32_e32 v30, v31
	;; [unrolled: 1-line block ×4, first 2 shown]
	v_pk_mul_f32 v[18:19], v[40:41], v[18:19] op_sel_hi:[0,1]
	v_pk_mul_f32 v[22:23], v[40:41], v[24:25] op_sel_hi:[0,1]
	v_cvt_f16_f32_e32 v22, v22
	v_cvt_f16_f32_e32 v23, v23
	;; [unrolled: 1-line block ×4, first 2 shown]
	v_pack_b32_f16 v18, v29, v30
	v_pack_b32_f16 v19, v31, v32
	v_pack_b32_f16 v22, v22, v23
	v_pack_b32_f16 v23, v24, v25
	v_cmp_gt_u32_e32 vcc, 12, v0
	ds_write2st64_b64 v20, v[18:19], v[22:23] offset0:2 offset1:3
	s_and_saveexec_b64 s[4:5], vcc
	s_cbranch_execz .LBB799_15
; %bb.14:
	s_mov_b32 s49, 0
	v_mov_b32_e32 v29, 0
	v_lshl_add_u64 v[18:19], s[48:49], 0, v[28:29]
	v_mov_b32_e32 v22, s7
	v_mad_u64_u32 v[18:19], s[12:13], s2, v22, v[18:19]
	s_mul_i32 s3, s3, s7
	v_mov_b32_e32 v28, s28
	s_load_dwordx4 s[8:11], s[0:1], 0x58
	v_add_u32_e32 v23, s3, v19
	v_mad_u64_u32 v[18:19], s[12:13], v18, s6, v[28:29]
	v_mov_b32_e32 v22, v19
	v_mad_u64_u32 v[22:23], s[12:13], v23, s6, v[22:23]
	v_mov_b32_e32 v19, v22
	v_lshlrev_b64 v[18:19], 2, v[18:19]
	s_waitcnt lgkmcnt(0)
	v_lshl_add_u64 v[22:23], s[10:11], 0, v[18:19]
	v_lshl_add_u64 v[18:19], s[8:9], 0, v[18:19]
	global_store_dword v[22:23], v27, off
	global_store_dword v[18:19], v38, off
.LBB799_15:
	s_or_b64 exec, exec, s[4:5]
	s_waitcnt vmcnt(3)
	v_cvt_pk_f32_fp8_e32 v[18:19], v14
	v_cvt_pk_f32_fp8_sdwa v[22:23], v14 src0_sel:WORD_1
	v_cvt_pk_f32_fp8_e32 v[24:25], v15
	v_lshl_or_b32 v14, v1, 9, v21
	s_waitcnt lgkmcnt(0)
	s_barrier
	v_cvt_pkrtz_f16_f32 v18, v18, v19
	v_cvt_pkrtz_f16_f32 v19, v22, v23
	v_cvt_pk_f32_fp8_sdwa v[28:29], v15 src0_sel:WORD_1
	v_cvt_pkrtz_f16_f32 v36, v24, v25
	ds_read_b128 v[22:25], v14
	v_cvt_pk_f32_fp8_e32 v[38:39], v16
	v_cvt_pkrtz_f16_f32 v37, v28, v29
	ds_read_b128 v[28:31], v14 offset:16
	v_cvt_pk_f32_fp8_sdwa v[40:41], v16 src0_sel:WORD_1
	s_waitcnt lgkmcnt(1)
	v_mfma_f32_16x16x16_f16 v[32:35], v[18:19], v[22:23], 0
	v_cvt_pkrtz_f16_f32 v18, v38, v39
	v_cvt_pk_f32_fp8_e32 v[38:39], v17
	v_cvt_pkrtz_f16_f32 v19, v40, v41
	v_mfma_f32_16x16x16_f16 v[22:25], v[36:37], v[24:25], v[32:35]
	s_waitcnt vmcnt(2)
	v_cvt_pk_f32_fp8_sdwa v[36:37], v12 src0_sel:WORD_1
	s_load_dword s4, s[42:43], 0x0
	v_cmp_gt_u32_e32 vcc, 64, v0
	v_cvt_pk_f32_fp8_sdwa v[32:33], v17 src0_sel:WORD_1
	v_cvt_pkrtz_f16_f32 v34, v38, v39
	s_waitcnt lgkmcnt(0)
	v_mfma_f32_16x16x16_f16 v[16:19], v[18:19], v[28:29], v[22:25]
	v_cvt_pk_f32_fp8_e32 v[28:29], v11
	v_cvt_pkrtz_f16_f32 v35, v32, v33
	s_mov_b32 s3, 0
	v_cvt_pk_f32_fp8_e32 v[22:23], v10
	v_cvt_pk_f32_fp8_sdwa v[24:25], v10 src0_sel:WORD_1
	v_mfma_f32_16x16x16_f16 v[16:19], v[34:35], v[30:31], v[16:19]
	v_cvt_pkrtz_f16_f32 v10, v22, v23
	v_cvt_pk_f32_fp8_sdwa v[30:31], v11 src0_sel:WORD_1
	v_cvt_pkrtz_f16_f32 v11, v24, v25
	ds_read_b128 v[22:25], v14 offset:2048
	v_cvt_pkrtz_f16_f32 v32, v28, v29
	v_cvt_pkrtz_f16_f32 v33, v30, v31
	ds_read_b128 v[28:31], v14 offset:2064
	v_cvt_pk_f32_fp8_e32 v[34:35], v12
	s_waitcnt lgkmcnt(1)
	v_mfma_f32_16x16x16_f16 v[16:19], v[10:11], v[22:23], v[16:19]
	v_cvt_pkrtz_f16_f32 v11, v36, v37
	v_cvt_pk_f32_fp8_e32 v[22:23], v13
	v_cvt_pkrtz_f16_f32 v10, v34, v35
	v_mfma_f32_16x16x16_f16 v[16:19], v[32:33], v[24:25], v[16:19]
	v_cvt_pk_f32_fp8_sdwa v[24:25], v13 src0_sel:WORD_1
	v_cvt_pkrtz_f16_f32 v22, v22, v23
	s_waitcnt vmcnt(1)
	v_cvt_pk_f32_fp8_sdwa v[32:33], v8 src0_sel:WORD_1
	s_waitcnt lgkmcnt(0)
	v_mfma_f32_16x16x16_f16 v[10:13], v[10:11], v[28:29], v[16:19]
	v_cvt_pkrtz_f16_f32 v23, v24, v25
	v_cvt_pk_f32_fp8_sdwa v[24:25], v7 src0_sel:WORD_1
	v_mov_b32_e32 v27, 0
	v_cvt_pk_f32_fp8_e32 v[16:17], v6
	v_cvt_pk_f32_fp8_sdwa v[18:19], v6 src0_sel:WORD_1
	v_mfma_f32_16x16x16_f16 v[10:13], v[22:23], v[30:31], v[10:13]
	v_cvt_pk_f32_fp8_e32 v[22:23], v7
	v_cvt_pkrtz_f16_f32 v6, v16, v17
	v_cvt_pkrtz_f16_f32 v7, v18, v19
	ds_read_b128 v[16:19], v14 offset:4096
	v_cvt_pkrtz_f16_f32 v28, v22, v23
	v_cvt_pkrtz_f16_f32 v29, v24, v25
	ds_read_b128 v[22:25], v14 offset:4112
	v_cvt_pk_f32_fp8_e32 v[30:31], v8
	s_waitcnt lgkmcnt(1)
	v_mfma_f32_16x16x16_f16 v[10:13], v[6:7], v[16:17], v[10:13]
	v_cvt_pkrtz_f16_f32 v7, v32, v33
	v_cvt_pk_f32_fp8_e32 v[16:17], v9
	v_cvt_pkrtz_f16_f32 v6, v30, v31
	v_mfma_f32_16x16x16_f16 v[10:13], v[28:29], v[18:19], v[10:13]
	v_cvt_pk_f32_fp8_sdwa v[18:19], v9 src0_sel:WORD_1
	v_cvt_pkrtz_f16_f32 v16, v16, v17
	v_cvt_pkrtz_f16_f32 v17, v18, v19
	s_waitcnt lgkmcnt(0)
	v_mfma_f32_16x16x16_f16 v[6:9], v[6:7], v[22:23], v[10:13]
	s_waitcnt vmcnt(0)
	v_cvt_pk_f32_fp8_sdwa v[18:19], v3 src0_sel:WORD_1
	s_nop 0
	v_cvt_pkrtz_f16_f32 v23, v18, v19
	v_cvt_pk_f32_fp8_e32 v[10:11], v2
	v_cvt_pk_f32_fp8_sdwa v[12:13], v2 src0_sel:WORD_1
	v_mfma_f32_16x16x16_f16 v[6:9], v[16:17], v[24:25], v[6:9]
	v_cvt_pk_f32_fp8_e32 v[16:17], v3
	v_cvt_pkrtz_f16_f32 v2, v10, v11
	v_cvt_pkrtz_f16_f32 v3, v12, v13
	ds_read_b128 v[10:13], v14 offset:6144
	v_cvt_pkrtz_f16_f32 v22, v16, v17
	v_cvt_pk_f32_fp8_e32 v[18:19], v4
	v_cvt_pk_f32_fp8_sdwa v[24:25], v4 src0_sel:WORD_1
	s_waitcnt lgkmcnt(0)
	v_mfma_f32_16x16x16_f16 v[6:9], v[2:3], v[10:11], v[6:9]
	ds_read_b128 v[14:17], v14 offset:6160
	v_cvt_pkrtz_f16_f32 v2, v18, v19
	v_cvt_pkrtz_f16_f32 v3, v24, v25
	v_cvt_pk_f32_fp8_e32 v[10:11], v5
	v_mfma_f32_16x16x16_f16 v[6:9], v[22:23], v[12:13], v[6:9]
	v_cvt_pk_f32_fp8_sdwa v[12:13], v5 src0_sel:WORD_1
	s_waitcnt lgkmcnt(0)
	v_cvt_pkrtz_f16_f32 v10, v10, v11
	v_mfma_f32_16x16x16_f16 v[2:5], v[2:3], v[14:15], v[6:9]
	v_cvt_pkrtz_f16_f32 v11, v12, v13
	s_barrier
	s_nop 0
	v_mfma_f32_16x16x16_f16 v[2:5], v[10:11], v[16:17], v[2:5]
	s_nop 6
	v_pk_mul_f32 v[4:5], v[4:5], s[4:5] op_sel_hi:[1,0]
	v_pk_mul_f32 v[2:3], v[2:3], s[4:5] op_sel_hi:[1,0]
	v_cvt_f16_f32_e32 v4, v4
	v_cvt_f16_f32_e32 v2, v2
	;; [unrolled: 1-line block ×4, first 2 shown]
	s_and_b64 s[4:5], vcc, s[30:31]
	v_pack_b32_f16 v2, v2, v3
	v_pack_b32_f16 v3, v4, v5
	ds_write_b64 v20, v[2:3]
	s_waitcnt lgkmcnt(0)
	s_barrier
	s_and_saveexec_b64 s[8:9], s[4:5]
	s_cbranch_execz .LBB799_17
; %bb.16:
	s_load_dwordx2 s[0:1], s[0:1], 0x68
	s_lshl_b32 s6, s6, 6
	s_mul_i32 s2, s7, s2
	s_mul_hi_u32 s5, s2, s6
	s_mul_i32 s4, s2, s6
	s_lshl_b64 s[4:5], s[4:5], 1
	s_waitcnt lgkmcnt(0)
	s_add_u32 s4, s0, s4
	v_lshlrev_b32_e32 v0, 10, v0
	s_addc_u32 s5, s1, s5
	s_lshl_b32 s2, s28, 6
	v_and_b32_e32 v0, 0x1800, v0
	v_lshlrev_b32_e32 v2, 5, v1
	v_and_b32_e32 v3, 16, v42
	s_lshl_b64 s[0:1], s[2:3], 1
	v_or3_b32 v0, v0, v2, v3
	s_add_u32 s0, s4, s0
	ds_read_b128 v[2:5], v0
	ds_read_b128 v[6:9], v0 offset:128
	ds_read_b128 v[10:13], v0 offset:256
	s_addc_u32 s1, s5, s1
	v_or_b32_e32 v16, s48, v1
	v_lshl_add_u64 v[0:1], s[0:1], 0, v[26:27]
	v_mad_u64_u32 v[14:15], s[0:1], v16, s6, 0
	v_lshl_add_u64 v[14:15], v[14:15], 1, v[0:1]
	s_waitcnt lgkmcnt(2)
	global_store_dwordx4 v[14:15], v[2:5], off
	s_nop 1
	v_add_u32_e32 v2, 4, v16
	v_mad_u64_u32 v[2:3], s[0:1], v2, s6, 0
	v_lshl_add_u64 v[2:3], v[2:3], 1, v[0:1]
	s_waitcnt lgkmcnt(1)
	global_store_dwordx4 v[2:3], v[6:9], off
	v_add_u32_e32 v2, 8, v16
	v_mad_u64_u32 v[2:3], s[0:1], v2, s6, 0
	v_lshl_add_u64 v[0:1], v[2:3], 1, v[0:1]
	s_waitcnt lgkmcnt(0)
	global_store_dwordx4 v[0:1], v[10:13], off
.LBB799_17:
	s_endpgm
	.section	.rodata,"a",@progbits
	.p2align	6, 0x0
	.amdhsa_kernel _Z39paged_attention_ll4mi_QKV_mfma16_kernelIDF16_hLN4vllm18Fp8KVCacheDataTypeE1EhLi16ELi64ELi256ELb0ELi12EEvPKT_PKT0_S7_ifPKiS9_S9_iPKfiiiPfSC_PS2_PT2_iSB_SB_
		.amdhsa_group_segment_fixed_size 8192
		.amdhsa_private_segment_fixed_size 0
		.amdhsa_kernarg_size 400
		.amdhsa_user_sgpr_count 2
		.amdhsa_user_sgpr_dispatch_ptr 0
		.amdhsa_user_sgpr_queue_ptr 0
		.amdhsa_user_sgpr_kernarg_segment_ptr 1
		.amdhsa_user_sgpr_dispatch_id 0
		.amdhsa_user_sgpr_kernarg_preload_length 0
		.amdhsa_user_sgpr_kernarg_preload_offset 0
		.amdhsa_user_sgpr_private_segment_size 0
		.amdhsa_uses_dynamic_stack 0
		.amdhsa_enable_private_segment 0
		.amdhsa_system_sgpr_workgroup_id_x 1
		.amdhsa_system_sgpr_workgroup_id_y 1
		.amdhsa_system_sgpr_workgroup_id_z 1
		.amdhsa_system_sgpr_workgroup_info 0
		.amdhsa_system_vgpr_workitem_id 0
		.amdhsa_next_free_vgpr 58
		.amdhsa_next_free_sgpr 50
		.amdhsa_accum_offset 60
		.amdhsa_reserve_vcc 1
		.amdhsa_float_round_mode_32 0
		.amdhsa_float_round_mode_16_64 0
		.amdhsa_float_denorm_mode_32 3
		.amdhsa_float_denorm_mode_16_64 3
		.amdhsa_dx10_clamp 1
		.amdhsa_ieee_mode 1
		.amdhsa_fp16_overflow 0
		.amdhsa_tg_split 0
		.amdhsa_exception_fp_ieee_invalid_op 0
		.amdhsa_exception_fp_denorm_src 0
		.amdhsa_exception_fp_ieee_div_zero 0
		.amdhsa_exception_fp_ieee_overflow 0
		.amdhsa_exception_fp_ieee_underflow 0
		.amdhsa_exception_fp_ieee_inexact 0
		.amdhsa_exception_int_div_zero 0
	.end_amdhsa_kernel
	.section	.text._Z39paged_attention_ll4mi_QKV_mfma16_kernelIDF16_hLN4vllm18Fp8KVCacheDataTypeE1EhLi16ELi64ELi256ELb0ELi12EEvPKT_PKT0_S7_ifPKiS9_S9_iPKfiiiPfSC_PS2_PT2_iSB_SB_,"axG",@progbits,_Z39paged_attention_ll4mi_QKV_mfma16_kernelIDF16_hLN4vllm18Fp8KVCacheDataTypeE1EhLi16ELi64ELi256ELb0ELi12EEvPKT_PKT0_S7_ifPKiS9_S9_iPKfiiiPfSC_PS2_PT2_iSB_SB_,comdat
.Lfunc_end799:
	.size	_Z39paged_attention_ll4mi_QKV_mfma16_kernelIDF16_hLN4vllm18Fp8KVCacheDataTypeE1EhLi16ELi64ELi256ELb0ELi12EEvPKT_PKT0_S7_ifPKiS9_S9_iPKfiiiPfSC_PS2_PT2_iSB_SB_, .Lfunc_end799-_Z39paged_attention_ll4mi_QKV_mfma16_kernelIDF16_hLN4vllm18Fp8KVCacheDataTypeE1EhLi16ELi64ELi256ELb0ELi12EEvPKT_PKT0_S7_ifPKiS9_S9_iPKfiiiPfSC_PS2_PT2_iSB_SB_
                                        ; -- End function
	.section	.AMDGPU.csdata,"",@progbits
; Kernel info:
; codeLenInByte = 4596
; NumSgprs: 56
; NumVgprs: 58
; NumAgprs: 0
; TotalNumVgprs: 58
; ScratchSize: 0
; MemoryBound: 0
; FloatMode: 240
; IeeeMode: 1
; LDSByteSize: 8192 bytes/workgroup (compile time only)
; SGPRBlocks: 6
; VGPRBlocks: 7
; NumSGPRsForWavesPerEU: 56
; NumVGPRsForWavesPerEU: 58
; AccumOffset: 60
; Occupancy: 8
; WaveLimiterHint : 1
; COMPUTE_PGM_RSRC2:SCRATCH_EN: 0
; COMPUTE_PGM_RSRC2:USER_SGPR: 2
; COMPUTE_PGM_RSRC2:TRAP_HANDLER: 0
; COMPUTE_PGM_RSRC2:TGID_X_EN: 1
; COMPUTE_PGM_RSRC2:TGID_Y_EN: 1
; COMPUTE_PGM_RSRC2:TGID_Z_EN: 1
; COMPUTE_PGM_RSRC2:TIDIG_COMP_CNT: 0
; COMPUTE_PGM_RSRC3_GFX90A:ACCUM_OFFSET: 14
; COMPUTE_PGM_RSRC3_GFX90A:TG_SPLIT: 0
	.section	.text._Z39paged_attention_ll4mi_QKV_mfma16_kernelIDF16_hLN4vllm18Fp8KVCacheDataTypeE1EhLi16ELi64ELi256ELb0ELi13EEvPKT_PKT0_S7_ifPKiS9_S9_iPKfiiiPfSC_PS2_PT2_iSB_SB_,"axG",@progbits,_Z39paged_attention_ll4mi_QKV_mfma16_kernelIDF16_hLN4vllm18Fp8KVCacheDataTypeE1EhLi16ELi64ELi256ELb0ELi13EEvPKT_PKT0_S7_ifPKiS9_S9_iPKfiiiPfSC_PS2_PT2_iSB_SB_,comdat
	.protected	_Z39paged_attention_ll4mi_QKV_mfma16_kernelIDF16_hLN4vllm18Fp8KVCacheDataTypeE1EhLi16ELi64ELi256ELb0ELi13EEvPKT_PKT0_S7_ifPKiS9_S9_iPKfiiiPfSC_PS2_PT2_iSB_SB_ ; -- Begin function _Z39paged_attention_ll4mi_QKV_mfma16_kernelIDF16_hLN4vllm18Fp8KVCacheDataTypeE1EhLi16ELi64ELi256ELb0ELi13EEvPKT_PKT0_S7_ifPKiS9_S9_iPKfiiiPfSC_PS2_PT2_iSB_SB_
	.globl	_Z39paged_attention_ll4mi_QKV_mfma16_kernelIDF16_hLN4vllm18Fp8KVCacheDataTypeE1EhLi16ELi64ELi256ELb0ELi13EEvPKT_PKT0_S7_ifPKiS9_S9_iPKfiiiPfSC_PS2_PT2_iSB_SB_
	.p2align	8
	.type	_Z39paged_attention_ll4mi_QKV_mfma16_kernelIDF16_hLN4vllm18Fp8KVCacheDataTypeE1EhLi16ELi64ELi256ELb0ELi13EEvPKT_PKT0_S7_ifPKiS9_S9_iPKfiiiPfSC_PS2_PT2_iSB_SB_,@function
_Z39paged_attention_ll4mi_QKV_mfma16_kernelIDF16_hLN4vllm18Fp8KVCacheDataTypeE1EhLi16ELi64ELi256ELb0ELi13EEvPKT_PKT0_S7_ifPKiS9_S9_iPKfiiiPfSC_PS2_PT2_iSB_SB_: ; @_Z39paged_attention_ll4mi_QKV_mfma16_kernelIDF16_hLN4vllm18Fp8KVCacheDataTypeE1EhLi16ELi64ELi256ELb0ELi13EEvPKT_PKT0_S7_ifPKiS9_S9_iPKfiiiPfSC_PS2_PT2_iSB_SB_
; %bb.0:
	s_load_dwordx2 s[12:13], s[0:1], 0x30
	s_mov_b32 s28, s3
	s_mov_b64 s[6:7], 0
	s_waitcnt lgkmcnt(0)
	s_cmp_lg_u64 s[12:13], 0
	s_cselect_b64 s[14:15], -1, 0
	s_and_b64 vcc, exec, s[14:15]
	s_cbranch_vccz .LBB800_7
; %bb.1:
	s_add_i32 s8, s2, 1
	s_mov_b32 s9, 0
	s_lshl_b64 s[10:11], s[8:9], 2
	s_add_u32 s10, s12, s10
	s_mov_b32 s3, s9
	s_addc_u32 s11, s13, s11
	s_lshl_b64 s[8:9], s[2:3], 2
	s_add_u32 s8, s12, s8
	s_addc_u32 s9, s13, s9
	s_load_dword s5, s[10:11], 0x0
	s_load_dword s16, s[8:9], 0x0
	s_waitcnt lgkmcnt(0)
	s_sub_i32 s5, s5, s16
	s_cmp_eq_u32 s5, 1
	s_cselect_b64 s[8:9], -1, 0
	s_andn2_b64 vcc, exec, s[6:7]
	s_cbranch_vccnz .LBB800_3
.LBB800_2:
	s_mov_b32 s3, 0
	s_mov_b64 s[8:9], -1
.LBB800_3:
	s_andn2_b64 vcc, exec, s[8:9]
	s_cbranch_vccnz .LBB800_18
; %bb.4:
	s_load_dwordx2 s[6:7], s[0:1], 0x28
	s_lshl_b64 s[16:17], s[2:3], 2
	s_waitcnt lgkmcnt(0)
	s_add_u32 s6, s6, s16
	s_addc_u32 s7, s7, s17
	s_load_dword s33, s[6:7], 0x0
	s_lshl_b32 s5, s28, 8
	s_waitcnt lgkmcnt(0)
	s_cmp_ge_i32 s5, s33
	s_cbranch_scc1 .LBB800_18
; %bb.5:
	s_load_dwordx2 s[6:7], s[0:1], 0x20
	s_load_dword s8, s[0:1], 0x38
	s_add_i32 s9, s33, 15
	s_ashr_i32 s10, s9, 31
	v_and_b32_e32 v1, 0xcf, v0
	s_lshr_b32 s10, s10, 28
	v_add_u32_e32 v1, s5, v1
	s_add_i32 s9, s9, s10
	v_ashrrev_i32_e32 v2, 31, v1
	s_ashr_i32 s18, s9, 4
	v_lshrrev_b32_e32 v4, 28, v2
	s_add_i32 s18, s18, -1
	s_waitcnt lgkmcnt(0)
	s_mul_i32 s8, s2, s8
	s_mov_b32 s9, 0
	v_add_u32_e32 v2, v1, v4
	s_lshl_b64 s[8:9], s[8:9], 2
	v_ashrrev_i32_e32 v2, 4, v2
	v_mov_b32_e32 v5, s18
	v_cmp_gt_i32_e32 vcc, s33, v1
	s_add_u32 s6, s6, s8
	s_addc_u32 s7, s7, s9
	v_cndmask_b32_e32 v2, v5, v2, vcc
	v_ashrrev_i32_e32 v3, 31, v2
	v_lshl_add_u64 v[6:7], v[2:3], 2, s[6:7]
	v_or_b32_e32 v2, 16, v1
	v_add_u32_e32 v3, v2, v4
	v_ashrrev_i32_e32 v3, 4, v3
	v_cmp_gt_i32_e32 vcc, s33, v2
	s_load_dwordx4 s[8:11], s[0:1], 0x8
	s_nop 0
	v_cndmask_b32_e32 v2, v5, v3, vcc
	v_ashrrev_i32_e32 v3, 31, v2
	v_lshl_add_u64 v[8:9], v[2:3], 2, s[6:7]
	v_or_b32_e32 v2, 32, v1
	v_add_u32_e32 v3, v2, v4
	v_ashrrev_i32_e32 v3, 4, v3
	v_cmp_gt_i32_e32 vcc, s33, v2
	v_or_b32_e32 v1, 48, v1
	s_nop 0
	v_cndmask_b32_e32 v2, v5, v3, vcc
	v_ashrrev_i32_e32 v3, 31, v2
	v_lshl_add_u64 v[10:11], v[2:3], 2, s[6:7]
	v_add_u32_e32 v2, v1, v4
	v_ashrrev_i32_e32 v2, 4, v2
	v_cmp_gt_i32_e32 vcc, s33, v1
	s_nop 1
	v_cndmask_b32_e32 v2, v5, v2, vcc
	v_ashrrev_i32_e32 v3, 31, v2
	v_lshl_add_u64 v[12:13], v[2:3], 2, s[6:7]
	global_load_dword v4, v[6:7], off
	global_load_dword v3, v[8:9], off
	global_load_dword v2, v[10:11], off
	global_load_dword v14, v[12:13], off
	s_andn2_b64 vcc, exec, s[14:15]
	s_cbranch_vccnz .LBB800_8
; %bb.6:
	s_add_u32 s12, s12, s16
	s_addc_u32 s13, s13, s17
	s_load_dword s14, s[12:13], 0x0
	s_branch .LBB800_9
.LBB800_7:
	s_mov_b64 s[8:9], 0
	s_branch .LBB800_2
.LBB800_8:
	s_mov_b32 s14, s2
.LBB800_9:
	s_load_dwordx4 s[44:47], s[0:1], 0x48
	v_lshrrev_b32_e32 v29, 6, v0
	v_bfe_u32 v42, v0, 4, 2
	v_lshl_or_b32 v5, v29, 2, v42
	v_and_b32_e32 v28, 15, v0
	v_lshlrev_b32_e32 v1, 3, v28
	v_cmp_gt_u32_e32 vcc, 13, v5
	v_cmp_gt_u32_e64 s[30:31], 8, v28
	v_and_b32_e32 v43, 63, v0
	s_mul_i32 s48, s4, 13
	s_and_b64 s[16:17], s[30:31], vcc
	v_lshlrev_b32_e32 v26, 1, v1
	v_lshlrev_b32_e32 v1, 4, v0
	s_and_saveexec_b64 s[12:13], s[16:17]
	s_cbranch_execz .LBB800_11
; %bb.10:
	s_load_dwordx2 s[16:17], s[0:1], 0x0
	s_waitcnt lgkmcnt(0)
	s_ashr_i32 s15, s44, 31
	s_mul_hi_u32 s19, s14, s44
	s_mul_i32 s15, s14, s15
	s_add_i32 s15, s19, s15
	s_mul_i32 s14, s14, s44
	s_lshl_b64 s[14:15], s[14:15], 1
	s_add_u32 s14, s16, s14
	v_add_lshl_u32 v6, v5, s48, 6
	s_addc_u32 s15, s17, s15
	v_ashrrev_i32_e32 v7, 31, v6
	v_lshl_add_u64 v[6:7], v[6:7], 1, s[14:15]
	v_mov_b32_e32 v27, 0
	v_lshl_add_u64 v[6:7], v[6:7], 0, v[26:27]
	global_load_dwordx4 v[6:9], v[6:7], off
	v_lshlrev_b32_e32 v11, 8, v28
	v_lshlrev_b32_e32 v5, 5, v5
	v_and_b32_e32 v10, 16, v1
	v_and_b32_e32 v11, 0xe00, v11
	v_or3_b32 v5, v11, v5, v10
	s_waitcnt vmcnt(0)
	ds_write_b128 v5, v[6:9]
.LBB800_11:
	s_or_b64 exec, exec, s[12:13]
	s_waitcnt lgkmcnt(0)
	s_mul_i32 s4, s4, s46
	s_add_u32 s8, s8, s4
	s_addc_u32 s9, s9, 0
	v_and_b32_e32 v8, 48, v0
	v_and_b32_e32 v30, 0xf0, v1
	v_mov_b32_e32 v31, 0
	v_lshl_add_u64 v[6:7], s[8:9], 0, v[30:31]
	v_lshlrev_b32_e32 v30, 4, v8
	v_lshl_add_u64 v[16:17], v[6:7], 0, v[30:31]
	s_waitcnt vmcnt(3)
	v_mad_i64_i32 v[4:5], s[8:9], v4, s45, v[16:17]
	s_load_dword s29, s[0:1], 0x98
	s_load_dwordx4 s[40:43], s[0:1], 0x80
	s_waitcnt lgkmcnt(0)
	s_barrier
	global_load_dwordx4 v[22:25], v[4:5], off
	s_waitcnt vmcnt(3)
	v_mad_i64_i32 v[4:5], s[8:9], v3, s45, v[16:17]
	global_load_dwordx4 v[18:21], v[4:5], off
	v_or_b32_e32 v10, s5, v8
	v_mov_b32_e32 v27, s18
	v_ashrrev_i32_e32 v3, 4, v10
	v_cmp_gt_i32_e32 vcc, s33, v10
	v_or_b32_e32 v15, 64, v10
	v_ashrrev_i32_e32 v32, 4, v15
	v_cndmask_b32_e32 v4, v27, v3, vcc
	s_waitcnt vmcnt(3)
	v_mad_i64_i32 v[2:3], s[8:9], v2, s45, v[16:17]
	global_load_dwordx4 v[6:9], v[2:3], off
	v_ashrrev_i32_e32 v5, 31, v4
	v_lshl_add_u64 v[4:5], v[4:5], 2, s[6:7]
	global_load_dword v56, v[4:5], off
	v_add_u32_e32 v4, -13, v28
	v_cmp_gt_u32_e32 vcc, 13, v28
	v_or_b32_e32 v33, 0x80, v10
	v_or_b32_e32 v35, 0xc0, v10
	v_cndmask_b32_e32 v2, v4, v28, vcc
	v_lshlrev_b32_e32 v2, 5, v2
	v_lshl_add_u32 v2, v42, 9, v2
	v_cmp_gt_i32_e32 vcc, s33, v15
	s_waitcnt vmcnt(4)
	v_mad_i64_i32 v[14:15], s[12:13], v14, s45, v[16:17]
	ds_read_b128 v[10:13], v2
	ds_read_b128 v[2:5], v2 offset:16
	global_load_dwordx4 v[14:17], v[14:15], off
	v_ashrrev_i32_e32 v34, 4, v33
	v_cndmask_b32_e32 v32, v27, v32, vcc
	v_cmp_gt_i32_e32 vcc, s33, v33
	v_ashrrev_i32_e32 v36, 4, v35
	v_ashrrev_i32_e32 v33, 31, v32
	v_cndmask_b32_e32 v34, v27, v34, vcc
	v_cmp_gt_i32_e32 vcc, s33, v35
	v_ashrrev_i32_e32 v35, 31, v34
	v_lshl_add_u64 v[32:33], v[32:33], 2, s[6:7]
	v_cndmask_b32_e32 v36, v27, v36, vcc
	v_ashrrev_i32_e32 v37, 31, v36
	v_lshl_add_u64 v[36:37], v[36:37], 2, s[6:7]
	s_add_u32 s8, s10, s4
	s_load_dword s4, s[40:41], 0x0
	v_lshl_add_u64 v[38:39], v[34:35], 2, s[6:7]
	global_load_dword v35, v[32:33], off
	global_load_dword v27, v[38:39], off
	;; [unrolled: 1-line block ×3, first 2 shown]
	s_load_dword s14, s[0:1], 0x1c
	s_mov_b32 s44, 0xff7fffff
	v_lshlrev_b32_e32 v30, 4, v28
	s_addc_u32 s9, s11, 0
	v_lshl_or_b32 v30, v29, 8, v30
	s_waitcnt lgkmcnt(0)
	v_mov_b32_e32 v57, s14
	v_lshl_add_u64 v[30:31], s[8:9], 0, v[30:31]
	s_waitcnt vmcnt(7)
	v_cvt_pk_f32_fp8_e32 v[32:33], v22
	v_cvt_pk_f32_fp8_sdwa v[36:37], v22 src0_sel:WORD_1
	v_cvt_pk_f32_fp8_e32 v[38:39], v23
	v_cvt_pk_f32_fp8_sdwa v[40:41], v23 src0_sel:WORD_1
	v_cvt_pkrtz_f16_f32 v32, v32, v33
	v_cvt_pkrtz_f16_f32 v33, v36, v37
	s_waitcnt vmcnt(6)
	v_cvt_pk_f32_fp8_e32 v[22:23], v18
	v_cvt_pk_f32_fp8_sdwa v[50:51], v18 src0_sel:WORD_1
	v_cvt_pk_f32_fp8_e32 v[44:45], v24
	v_cvt_pk_f32_fp8_sdwa v[46:47], v24 src0_sel:WORD_1
	v_cvt_pk_f32_fp8_e32 v[48:49], v25
	v_cvt_pk_f32_fp8_sdwa v[52:53], v25 src0_sel:WORD_1
	v_cvt_pkrtz_f16_f32 v36, v22, v23
	v_mfma_f32_16x16x16_f16 v[22:25], v[32:33], v[10:11], 0
	v_cvt_pkrtz_f16_f32 v32, v38, v39
	v_cvt_pkrtz_f16_f32 v33, v40, v41
	v_cvt_pk_f32_fp8_e32 v[54:55], v19
	v_cvt_pkrtz_f16_f32 v37, v50, v51
	v_cvt_pk_f32_fp8_sdwa v[18:19], v19 src0_sel:WORD_1
	v_mfma_f32_16x16x16_f16 v[22:25], v[32:33], v[12:13], v[22:25]
	v_cvt_pkrtz_f16_f32 v50, v54, v55
	v_cvt_pkrtz_f16_f32 v51, v18, v19
	;; [unrolled: 1-line block ×4, first 2 shown]
	v_mfma_f32_16x16x16_f16 v[36:39], v[36:37], v[10:11], 0
	v_cvt_pk_f32_fp8_e32 v[40:41], v20
	v_cvt_pk_f32_fp8_sdwa v[18:19], v20 src0_sel:WORD_1
	v_cvt_pkrtz_f16_f32 v44, v48, v49
	v_mfma_f32_16x16x16_f16 v[36:39], v[50:51], v[12:13], v[36:39]
	v_cvt_pk_f32_fp8_e32 v[50:51], v21
	v_cvt_pkrtz_f16_f32 v45, v52, v53
	v_cvt_pkrtz_f16_f32 v40, v40, v41
	v_mfma_f32_16x16x16_f16 v[22:25], v[32:33], v[2:3], v[22:25]
	v_cvt_pk_f32_fp8_sdwa v[32:33], v21 src0_sel:WORD_1
	v_cvt_pkrtz_f16_f32 v41, v18, v19
	v_cvt_pkrtz_f16_f32 v18, v50, v51
	v_mfma_f32_16x16x16_f16 v[44:47], v[44:45], v[4:5], v[22:25]
	v_cvt_pkrtz_f16_f32 v19, v32, v33
	s_waitcnt vmcnt(5)
	v_cvt_pk_f32_fp8_e32 v[32:33], v6
	v_cvt_pk_f32_fp8_sdwa v[48:49], v9 src0_sel:WORD_1
	v_mfma_f32_16x16x16_f16 v[22:25], v[40:41], v[2:3], v[36:39]
	v_mul_f32_e32 v50, s4, v57
	s_waitcnt vmcnt(4)
	v_mad_i64_i32 v[20:21], s[6:7], v56, s45, v[30:31]
	v_cvt_pk_f32_fp8_sdwa v[36:37], v6 src0_sel:WORD_1
	v_mfma_f32_16x16x16_f16 v[38:41], v[18:19], v[4:5], v[22:25]
	v_cvt_pk_f32_fp8_e32 v[18:19], v7
	v_cvt_pk_f32_fp8_sdwa v[6:7], v7 src0_sel:WORD_1
	v_cvt_pkrtz_f16_f32 v18, v18, v19
	v_cvt_pkrtz_f16_f32 v22, v32, v33
	v_cvt_pkrtz_f16_f32 v23, v36, v37
	v_cvt_pk_f32_fp8_e32 v[32:33], v8
	v_cvt_pk_f32_fp8_sdwa v[36:37], v8 src0_sel:WORD_1
	v_cvt_pkrtz_f16_f32 v19, v6, v7
	v_mfma_f32_16x16x16_f16 v[22:25], v[22:23], v[10:11], 0
	v_cvt_pkrtz_f16_f32 v32, v32, v33
	v_cvt_pkrtz_f16_f32 v33, v36, v37
	v_cvt_pk_f32_fp8_e32 v[36:37], v9
	v_mfma_f32_16x16x16_f16 v[6:9], v[18:19], v[12:13], v[22:25]
	v_cvt_pkrtz_f16_f32 v19, v48, v49
	v_cvt_pkrtz_f16_f32 v18, v36, v37
	s_nop 0
	v_pk_mul_f32 v[22:23], v[50:51], v[46:47] op_sel_hi:[0,1]
	v_mfma_f32_16x16x16_f16 v[46:49], v[32:33], v[2:3], v[6:9]
	s_waitcnt vmcnt(3)
	v_cvt_pk_f32_fp8_sdwa v[24:25], v14 src0_sel:WORD_1
	v_cvt_pk_f32_fp8_sdwa v[32:33], v16 src0_sel:WORD_1
	v_pk_mul_f32 v[36:37], v[50:51], v[40:41] op_sel_hi:[0,1]
	v_cvt_pk_f32_fp8_e32 v[8:9], v14
	v_pk_mul_f32 v[6:7], v[50:51], v[44:45] op_sel_hi:[0,1]
	v_mfma_f32_16x16x16_f16 v[44:47], v[18:19], v[4:5], v[46:49]
	v_cvt_pk_f32_fp8_e32 v[18:19], v15
	v_cvt_pkrtz_f16_f32 v8, v8, v9
	v_cvt_pkrtz_f16_f32 v9, v24, v25
	v_cvt_pk_f32_fp8_sdwa v[14:15], v15 src0_sel:WORD_1
	v_cvt_pkrtz_f16_f32 v18, v18, v19
	v_cvt_pk_f32_fp8_e32 v[24:25], v16
	v_mfma_f32_16x16x16_f16 v[8:11], v[8:9], v[10:11], 0
	v_cvt_pkrtz_f16_f32 v19, v14, v15
	v_cvt_pkrtz_f16_f32 v14, v24, v25
	;; [unrolled: 1-line block ×3, first 2 shown]
	v_cvt_pk_f32_fp8_e32 v[24:25], v17
	v_cvt_pk_f32_fp8_sdwa v[16:17], v17 src0_sel:WORD_1
	v_mfma_f32_16x16x16_f16 v[8:11], v[18:19], v[12:13], v[8:11]
	v_pk_mul_f32 v[40:41], v[50:51], v[38:39] op_sel_hi:[0,1]
	v_cvt_pkrtz_f16_f32 v12, v24, v25
	v_cvt_pkrtz_f16_f32 v13, v16, v17
	v_mfma_f32_16x16x16_f16 v[8:11], v[14:15], v[2:3], v[8:11]
	v_pk_mul_f32 v[38:39], v[50:51], v[44:45] op_sel_hi:[0,1]
	v_pk_mul_f32 v[32:33], v[50:51], v[46:47] op_sel_hi:[0,1]
	v_mfma_f32_16x16x16_f16 v[2:5], v[12:13], v[4:5], v[8:11]
	s_nop 6
	v_pk_mul_f32 v[24:25], v[50:51], v[2:3] op_sel_hi:[0,1]
	v_and_b32_e32 v2, 0xc0, v0
	v_add_u32_e32 v2, s5, v2
	v_lshl_or_b32 v2, v42, 2, v2
	v_pk_mul_f32 v[18:19], v[50:51], v[4:5] op_sel_hi:[0,1]
	v_or_b32_e32 v5, 1, v2
	v_mov_b32_e32 v3, 0xff7fffff
	v_cmp_gt_i32_e64 s[4:5], s33, v2
	v_cmp_gt_i32_e64 s[34:35], s33, v5
	v_or_b32_e32 v8, 3, v2
	v_cndmask_b32_e64 v4, v3, v6, s[4:5]
	v_cndmask_b32_e64 v5, v3, v7, s[34:35]
	v_max3_f32 v4, v4, s44, v5
	v_or_b32_e32 v5, 2, v2
	v_cmp_gt_i32_e64 s[36:37], s33, v5
	v_cmp_gt_i32_e64 s[38:39], s33, v8
	s_nop 0
	v_cndmask_b32_e64 v5, v3, v22, s[36:37]
	v_cndmask_b32_e64 v8, v3, v23, s[38:39]
	v_max3_f32 v4, v4, v5, v8
	v_or_b32_e32 v5, 16, v2
	v_or_b32_e32 v8, 17, v2
	v_cmp_gt_i32_e64 s[24:25], s33, v5
	v_cmp_gt_i32_e64 s[26:27], s33, v8
	s_nop 0
	v_cndmask_b32_e64 v5, v3, v40, s[24:25]
	v_cndmask_b32_e64 v8, v3, v41, s[26:27]
	v_max3_f32 v4, v4, v5, v8
	v_or_b32_e32 v5, 18, v2
	;; [unrolled: 8-line block ×6, first 2 shown]
	v_or_b32_e32 v2, 51, v2
	v_cmp_gt_i32_e32 vcc, s33, v5
	v_cmp_gt_i32_e64 s[6:7], s33, v2
	s_nop 0
	v_cndmask_b32_e32 v5, v3, v18, vcc
	v_cndmask_b32_e64 v2, v3, v19, s[6:7]
	v_max3_f32 v4, v4, v5, v2
	v_mbcnt_lo_u32_b32 v2, -1, 0
	v_mbcnt_hi_u32_b32 v5, -1, v2
	v_and_b32_e32 v2, 64, v5
	v_add_u32_e32 v8, 64, v2
	v_xor_b32_e32 v2, 32, v5
	v_cmp_lt_i32_e64 s[40:41], v2, v8
	s_nop 1
	v_cndmask_b32_e64 v2, v5, v2, s[40:41]
	v_lshlrev_b32_e32 v44, 2, v2
	ds_bpermute_b32 v9, v44, v4
	s_waitcnt vmcnt(2)
	v_mad_i64_i32 v[2:3], s[40:41], v35, s45, v[30:31]
	global_load_dwordx4 v[14:17], v[20:21], off
	global_load_dwordx4 v[10:13], v[2:3], off
	v_xor_b32_e32 v3, 16, v5
	v_cmp_lt_i32_e64 s[40:41], v3, v8
	s_waitcnt lgkmcnt(0)
	v_max_f32_e32 v2, v9, v9
	v_max_f32_e32 v2, v4, v2
	v_cndmask_b32_e64 v3, v5, v3, s[40:41]
	v_lshlrev_b32_e32 v45, 2, v3
	ds_bpermute_b32 v3, v45, v2
	s_waitcnt vmcnt(3)
	v_mad_i64_i32 v[20:21], s[40:41], v27, s45, v[30:31]
	s_waitcnt vmcnt(2)
	v_mad_i64_i32 v[30:31], s[40:41], v34, s45, v[30:31]
	s_waitcnt lgkmcnt(0)
	v_max_f32_e32 v3, v3, v3
	v_max_f32_e32 v27, v2, v3
	v_sub_f32_e32 v2, v6, v27
	v_mul_f32_e32 v2, 0x3fb8aa3b, v2
	v_exp_f32_e32 v34, v2
	v_sub_f32_e32 v2, v7, v27
	v_mul_f32_e32 v2, 0x3fb8aa3b, v2
	v_exp_f32_e32 v35, v2
	global_load_dwordx4 v[6:9], v[20:21], off
	global_load_dwordx4 v[2:5], v[30:31], off
	v_sub_f32_e32 v22, v22, v27
	v_mul_f32_e32 v22, 0x3fb8aa3b, v22
	v_sub_f32_e32 v23, v23, v27
	v_exp_f32_e32 v22, v22
	v_mul_f32_e32 v23, 0x3fb8aa3b, v23
	v_exp_f32_e32 v23, v23
	v_cndmask_b32_e64 v20, 0, v34, s[4:5]
	v_add_f32_e32 v30, 0, v20
	v_cndmask_b32_e64 v21, 0, v35, s[34:35]
	v_add_f32_e32 v30, v30, v21
	v_cndmask_b32_e64 v34, 0, v22, s[36:37]
	v_add_f32_e32 v22, v30, v34
	v_cndmask_b32_e64 v35, 0, v23, s[38:39]
	v_sub_f32_e32 v23, v40, v27
	v_sub_f32_e32 v30, v41, v27
	v_mul_f32_e32 v23, 0x3fb8aa3b, v23
	v_mul_f32_e32 v30, 0x3fb8aa3b, v30
	v_exp_f32_e32 v23, v23
	v_exp_f32_e32 v30, v30
	v_add_f32_e32 v31, v22, v35
	v_sub_f32_e32 v32, v32, v27
	v_cndmask_b32_e64 v22, 0, v23, s[24:25]
	v_cndmask_b32_e64 v23, 0, v30, s[26:27]
	v_sub_f32_e32 v30, v36, v27
	v_mul_f32_e32 v30, 0x3fb8aa3b, v30
	v_exp_f32_e32 v30, v30
	v_sub_f32_e32 v36, v37, v27
	v_add_f32_e32 v31, v31, v22
	v_mul_f32_e32 v36, 0x3fb8aa3b, v36
	v_exp_f32_e32 v37, v36
	v_add_f32_e32 v31, v31, v23
	v_cndmask_b32_e64 v36, 0, v30, s[20:21]
	v_add_f32_e32 v30, v31, v36
	v_sub_f32_e32 v31, v38, v27
	v_mul_f32_e32 v31, 0x3fb8aa3b, v31
	v_sub_f32_e32 v38, v39, v27
	v_exp_f32_e32 v31, v31
	v_mul_f32_e32 v38, 0x3fb8aa3b, v38
	v_exp_f32_e32 v38, v38
	v_mul_f32_e32 v32, 0x3fb8aa3b, v32
	v_sub_f32_e32 v33, v33, v27
	v_exp_f32_e32 v32, v32
	v_mul_f32_e32 v33, 0x3fb8aa3b, v33
	v_sub_f32_e32 v24, v24, v27
	v_cndmask_b32_e64 v37, 0, v37, s[22:23]
	v_exp_f32_e32 v33, v33
	v_mul_f32_e32 v24, 0x3fb8aa3b, v24
	v_sub_f32_e32 v25, v25, v27
	v_add_f32_e32 v39, v30, v37
	v_cndmask_b32_e64 v30, 0, v31, s[16:17]
	v_exp_f32_e32 v24, v24
	v_mul_f32_e32 v25, 0x3fb8aa3b, v25
	v_sub_f32_e32 v18, v18, v27
	v_add_f32_e32 v39, v39, v30
	;; [unrolled: 5-line block ×3, first 2 shown]
	v_cndmask_b32_e64 v32, 0, v32, s[12:13]
	v_exp_f32_e32 v18, v18
	v_mul_f32_e32 v19, 0x3fb8aa3b, v19
	v_add_f32_e32 v38, v38, v32
	v_cndmask_b32_e64 v33, 0, v33, s[14:15]
	v_exp_f32_e32 v19, v19
	v_add_f32_e32 v38, v38, v33
	v_cndmask_b32_e64 v24, 0, v24, s[8:9]
	v_add_f32_e32 v38, v38, v24
	v_cndmask_b32_e64 v25, 0, v25, s[10:11]
	v_add_f32_e32 v38, v38, v25
	v_cndmask_b32_e32 v18, 0, v18, vcc
	v_add_f32_e32 v38, v38, v18
	v_cndmask_b32_e64 v19, 0, v19, s[6:7]
	v_add_f32_e32 v38, v38, v19
	ds_bpermute_b32 v39, v44, v38
	v_cmp_gt_u32_e64 s[6:7], 16, v43
	s_waitcnt lgkmcnt(0)
	s_barrier
	v_add_f32_e32 v39, v38, v39
	ds_bpermute_b32 v40, v45, v39
	v_lshlrev_b32_e32 v38, 2, v28
	s_and_saveexec_b64 s[4:5], s[6:7]
	s_cbranch_execz .LBB800_13
; %bb.12:
	s_waitcnt lgkmcnt(0)
	v_add_f32_e32 v39, v39, v40
	v_lshl_or_b32 v40, v29, 6, v38
	ds_write2st64_b32 v40, v27, v39 offset1:1
.LBB800_13:
	s_or_b64 exec, exec, s[4:5]
	s_load_dword s8, s[0:1], 0x94
	s_waitcnt lgkmcnt(0)
	s_barrier
	ds_read2_b32 v[40:41], v38 offset1:16
	ds_read2_b32 v[44:45], v38 offset0:32 offset1:48
	ds_read2_b32 v[46:47], v38 offset0:64 offset1:80
	s_mul_i32 s9, s29, 13
	s_waitcnt lgkmcnt(2)
	v_max3_f32 v27, v40, s44, v41
	s_waitcnt lgkmcnt(1)
	v_max3_f32 v27, v27, v44, v45
	v_sub_f32_e32 v39, v40, v27
	v_sub_f32_e32 v40, v41, v27
	v_mul_f32_e32 v40, 0x3fb8aa3b, v40
	v_mul_f32_e32 v39, 0x3fb8aa3b, v39
	v_exp_f32_e32 v43, v40
	v_sub_f32_e32 v40, v44, v27
	v_exp_f32_e32 v39, v39
	v_mul_f32_e32 v40, 0x3fb8aa3b, v40
	v_exp_f32_e32 v44, v40
	ds_read2_b32 v[40:41], v38 offset0:96 offset1:112
	v_sub_f32_e32 v38, v45, v27
	v_mul_f32_e32 v38, 0x3fb8aa3b, v38
	v_exp_f32_e32 v45, v38
	s_waitcnt lgkmcnt(1)
	v_fma_f32 v38, v39, v46, 0
	v_fmac_f32_e32 v38, v43, v47
	s_waitcnt lgkmcnt(0)
	v_fmac_f32_e32 v38, v44, v40
	v_fmac_f32_e32 v38, v45, v41
	v_add_f32_e32 v40, 0x358637bd, v38
	v_div_scale_f32 v41, s[4:5], v40, v40, 1.0
	v_rcp_f32_e32 v46, v41
	s_barrier
	v_fma_f32 v47, -v41, v46, 1.0
	v_fmac_f32_e32 v46, v47, v46
	v_div_scale_f32 v47, vcc, 1.0, v40, 1.0
	v_mul_f32_e32 v48, v47, v46
	v_fma_f32 v49, -v41, v48, v47
	v_fmac_f32_e32 v48, v49, v46
	v_fma_f32 v41, -v41, v48, v47
	v_div_fmas_f32 v41, v41, v46, v48
	v_cmp_eq_u32_e32 vcc, 1, v29
	v_div_fixup_f32 v40, v41, v40, 1.0
	s_nop 0
	v_cndmask_b32_e32 v39, v39, v43, vcc
	v_cmp_eq_u32_e32 vcc, 2, v29
	s_nop 1
	v_cndmask_b32_e32 v39, v39, v44, vcc
	v_cmp_eq_u32_e32 vcc, 3, v29
	v_lshlrev_b32_e32 v29, 11, v29
	s_nop 0
	v_cndmask_b32_e32 v39, v39, v45, vcc
	v_mul_f32_e32 v40, v39, v40
	v_pk_mul_f32 v[20:21], v[40:41], v[20:21] op_sel_hi:[0,1]
	v_pk_mul_f32 v[34:35], v[40:41], v[34:35] op_sel_hi:[0,1]
	v_cvt_f16_f32_e32 v20, v20
	v_cvt_f16_f32_e32 v21, v21
	v_pk_mul_f32 v[36:37], v[40:41], v[36:37] op_sel_hi:[0,1]
	v_pk_mul_f32 v[22:23], v[40:41], v[22:23] op_sel_hi:[0,1]
	v_cvt_f16_f32_e32 v39, v34
	v_cvt_f16_f32_e32 v35, v35
	;; [unrolled: 1-line block ×6, first 2 shown]
	v_pack_b32_f16 v34, v20, v21
	v_lshlrev_b32_e32 v20, 3, v42
	v_lshlrev_b32_e32 v21, 5, v28
	v_pack_b32_f16 v35, v39, v35
	v_or3_b32 v20, v29, v21, v20
	v_pack_b32_f16 v22, v22, v23
	v_pack_b32_f16 v23, v36, v37
	ds_write2st64_b64 v20, v[34:35], v[22:23] offset1:1
	v_pk_mul_f32 v[22:23], v[40:41], v[32:33] op_sel_hi:[0,1]
	v_pk_mul_f32 v[30:31], v[40:41], v[30:31] op_sel_hi:[0,1]
	v_cvt_f16_f32_e32 v29, v30
	v_cvt_f16_f32_e32 v30, v31
	v_cvt_f16_f32_e32 v31, v22
	v_cvt_f16_f32_e32 v32, v23
	v_pk_mul_f32 v[18:19], v[40:41], v[18:19] op_sel_hi:[0,1]
	v_pk_mul_f32 v[22:23], v[40:41], v[24:25] op_sel_hi:[0,1]
	v_cvt_f16_f32_e32 v22, v22
	v_cvt_f16_f32_e32 v23, v23
	;; [unrolled: 1-line block ×4, first 2 shown]
	v_pack_b32_f16 v18, v29, v30
	v_pack_b32_f16 v19, v31, v32
	;; [unrolled: 1-line block ×4, first 2 shown]
	v_cmp_gt_u32_e32 vcc, 13, v0
	ds_write2st64_b64 v20, v[18:19], v[22:23] offset0:2 offset1:3
	s_and_saveexec_b64 s[4:5], vcc
	s_cbranch_execz .LBB800_15
; %bb.14:
	s_mov_b32 s49, 0
	v_mov_b32_e32 v29, 0
	v_lshl_add_u64 v[18:19], s[48:49], 0, v[28:29]
	v_mov_b32_e32 v22, s9
	v_mad_u64_u32 v[18:19], s[10:11], s2, v22, v[18:19]
	s_mul_i32 s3, s3, s9
	v_mov_b32_e32 v28, s28
	s_load_dwordx4 s[12:15], s[0:1], 0x58
	v_add_u32_e32 v23, s3, v19
	v_mad_u64_u32 v[18:19], s[10:11], v18, s8, v[28:29]
	v_mov_b32_e32 v22, v19
	v_mad_u64_u32 v[22:23], s[10:11], v23, s8, v[22:23]
	v_mov_b32_e32 v19, v22
	v_lshlrev_b64 v[18:19], 2, v[18:19]
	s_waitcnt lgkmcnt(0)
	v_lshl_add_u64 v[22:23], s[14:15], 0, v[18:19]
	v_lshl_add_u64 v[18:19], s[12:13], 0, v[18:19]
	global_store_dword v[22:23], v27, off
	global_store_dword v[18:19], v38, off
.LBB800_15:
	s_or_b64 exec, exec, s[4:5]
	s_waitcnt vmcnt(3)
	v_cvt_pk_f32_fp8_e32 v[18:19], v14
	v_cvt_pk_f32_fp8_sdwa v[22:23], v14 src0_sel:WORD_1
	v_cvt_pk_f32_fp8_e32 v[24:25], v15
	v_lshl_or_b32 v14, v42, 9, v21
	s_waitcnt lgkmcnt(0)
	s_barrier
	v_cvt_pkrtz_f16_f32 v18, v18, v19
	v_cvt_pkrtz_f16_f32 v19, v22, v23
	v_cvt_pk_f32_fp8_sdwa v[28:29], v15 src0_sel:WORD_1
	v_cvt_pkrtz_f16_f32 v36, v24, v25
	ds_read_b128 v[22:25], v14
	v_cvt_pk_f32_fp8_e32 v[38:39], v16
	v_cvt_pkrtz_f16_f32 v37, v28, v29
	ds_read_b128 v[28:31], v14 offset:16
	v_cvt_pk_f32_fp8_sdwa v[40:41], v16 src0_sel:WORD_1
	s_waitcnt lgkmcnt(1)
	v_mfma_f32_16x16x16_f16 v[32:35], v[18:19], v[22:23], 0
	v_cvt_pkrtz_f16_f32 v18, v38, v39
	v_cvt_pk_f32_fp8_e32 v[38:39], v17
	v_cvt_pkrtz_f16_f32 v19, v40, v41
	v_mfma_f32_16x16x16_f16 v[22:25], v[36:37], v[24:25], v[32:35]
	s_waitcnt vmcnt(2)
	v_cvt_pk_f32_fp8_sdwa v[36:37], v12 src0_sel:WORD_1
	s_load_dword s4, s[42:43], 0x0
	v_cmp_gt_u32_e32 vcc, 64, v0
	v_cvt_pk_f32_fp8_sdwa v[32:33], v17 src0_sel:WORD_1
	v_cvt_pkrtz_f16_f32 v34, v38, v39
	s_waitcnt lgkmcnt(0)
	v_mfma_f32_16x16x16_f16 v[16:19], v[18:19], v[28:29], v[22:25]
	v_cvt_pk_f32_fp8_e32 v[28:29], v11
	v_cvt_pkrtz_f16_f32 v35, v32, v33
	s_mov_b32 s3, 0
	v_cvt_pk_f32_fp8_e32 v[22:23], v10
	v_cvt_pk_f32_fp8_sdwa v[24:25], v10 src0_sel:WORD_1
	v_mfma_f32_16x16x16_f16 v[16:19], v[34:35], v[30:31], v[16:19]
	v_cvt_pkrtz_f16_f32 v10, v22, v23
	v_cvt_pk_f32_fp8_sdwa v[30:31], v11 src0_sel:WORD_1
	v_cvt_pkrtz_f16_f32 v11, v24, v25
	ds_read_b128 v[22:25], v14 offset:2048
	v_cvt_pkrtz_f16_f32 v32, v28, v29
	v_cvt_pkrtz_f16_f32 v33, v30, v31
	ds_read_b128 v[28:31], v14 offset:2064
	v_cvt_pk_f32_fp8_e32 v[34:35], v12
	s_waitcnt lgkmcnt(1)
	v_mfma_f32_16x16x16_f16 v[16:19], v[10:11], v[22:23], v[16:19]
	v_cvt_pkrtz_f16_f32 v11, v36, v37
	v_cvt_pk_f32_fp8_e32 v[22:23], v13
	v_cvt_pkrtz_f16_f32 v10, v34, v35
	v_mfma_f32_16x16x16_f16 v[16:19], v[32:33], v[24:25], v[16:19]
	v_cvt_pk_f32_fp8_sdwa v[24:25], v13 src0_sel:WORD_1
	v_cvt_pkrtz_f16_f32 v22, v22, v23
	s_waitcnt vmcnt(1)
	v_cvt_pk_f32_fp8_sdwa v[32:33], v8 src0_sel:WORD_1
	s_waitcnt lgkmcnt(0)
	v_mfma_f32_16x16x16_f16 v[10:13], v[10:11], v[28:29], v[16:19]
	v_cvt_pkrtz_f16_f32 v23, v24, v25
	v_cvt_pk_f32_fp8_sdwa v[24:25], v7 src0_sel:WORD_1
	v_mov_b32_e32 v27, 0
	v_cvt_pk_f32_fp8_e32 v[16:17], v6
	v_cvt_pk_f32_fp8_sdwa v[18:19], v6 src0_sel:WORD_1
	v_mfma_f32_16x16x16_f16 v[10:13], v[22:23], v[30:31], v[10:13]
	v_cvt_pk_f32_fp8_e32 v[22:23], v7
	v_cvt_pkrtz_f16_f32 v6, v16, v17
	v_cvt_pkrtz_f16_f32 v7, v18, v19
	ds_read_b128 v[16:19], v14 offset:4096
	v_cvt_pkrtz_f16_f32 v28, v22, v23
	v_cvt_pkrtz_f16_f32 v29, v24, v25
	ds_read_b128 v[22:25], v14 offset:4112
	v_cvt_pk_f32_fp8_e32 v[30:31], v8
	s_waitcnt lgkmcnt(1)
	v_mfma_f32_16x16x16_f16 v[10:13], v[6:7], v[16:17], v[10:13]
	v_cvt_pkrtz_f16_f32 v7, v32, v33
	v_cvt_pk_f32_fp8_e32 v[16:17], v9
	v_cvt_pkrtz_f16_f32 v6, v30, v31
	v_mfma_f32_16x16x16_f16 v[10:13], v[28:29], v[18:19], v[10:13]
	v_cvt_pk_f32_fp8_sdwa v[18:19], v9 src0_sel:WORD_1
	v_cvt_pkrtz_f16_f32 v16, v16, v17
	v_cvt_pkrtz_f16_f32 v17, v18, v19
	s_waitcnt lgkmcnt(0)
	v_mfma_f32_16x16x16_f16 v[6:9], v[6:7], v[22:23], v[10:13]
	s_waitcnt vmcnt(0)
	v_cvt_pk_f32_fp8_sdwa v[18:19], v3 src0_sel:WORD_1
	s_nop 0
	v_cvt_pkrtz_f16_f32 v23, v18, v19
	v_cvt_pk_f32_fp8_e32 v[10:11], v2
	v_cvt_pk_f32_fp8_sdwa v[12:13], v2 src0_sel:WORD_1
	v_mfma_f32_16x16x16_f16 v[6:9], v[16:17], v[24:25], v[6:9]
	v_cvt_pk_f32_fp8_e32 v[16:17], v3
	v_cvt_pkrtz_f16_f32 v2, v10, v11
	v_cvt_pkrtz_f16_f32 v3, v12, v13
	ds_read_b128 v[10:13], v14 offset:6144
	v_cvt_pkrtz_f16_f32 v22, v16, v17
	v_cvt_pk_f32_fp8_e32 v[18:19], v4
	v_cvt_pk_f32_fp8_sdwa v[24:25], v4 src0_sel:WORD_1
	s_waitcnt lgkmcnt(0)
	v_mfma_f32_16x16x16_f16 v[6:9], v[2:3], v[10:11], v[6:9]
	ds_read_b128 v[14:17], v14 offset:6160
	v_cvt_pkrtz_f16_f32 v2, v18, v19
	v_cvt_pkrtz_f16_f32 v3, v24, v25
	v_cvt_pk_f32_fp8_e32 v[10:11], v5
	v_mfma_f32_16x16x16_f16 v[6:9], v[22:23], v[12:13], v[6:9]
	v_cvt_pk_f32_fp8_sdwa v[12:13], v5 src0_sel:WORD_1
	s_waitcnt lgkmcnt(0)
	v_cvt_pkrtz_f16_f32 v10, v10, v11
	v_mfma_f32_16x16x16_f16 v[2:5], v[2:3], v[14:15], v[6:9]
	v_cvt_pkrtz_f16_f32 v11, v12, v13
	s_barrier
	s_nop 0
	v_mfma_f32_16x16x16_f16 v[2:5], v[10:11], v[16:17], v[2:5]
	s_nop 6
	v_pk_mul_f32 v[4:5], v[4:5], s[4:5] op_sel_hi:[1,0]
	v_pk_mul_f32 v[2:3], v[2:3], s[4:5] op_sel_hi:[1,0]
	v_cvt_f16_f32_e32 v4, v4
	v_cvt_f16_f32_e32 v2, v2
	;; [unrolled: 1-line block ×4, first 2 shown]
	s_and_b64 s[4:5], vcc, s[30:31]
	v_pack_b32_f16 v2, v2, v3
	v_pack_b32_f16 v3, v4, v5
	ds_write_b64 v20, v[2:3]
	s_waitcnt lgkmcnt(0)
	s_barrier
	s_and_saveexec_b64 s[10:11], s[4:5]
	s_cbranch_execz .LBB800_18
; %bb.16:
	s_load_dwordx2 s[4:5], s[0:1], 0x68
	s_lshl_b32 s0, s8, 6
	s_mul_i32 s1, s9, s2
	s_mul_hi_u32 s9, s1, s0
	s_mul_i32 s8, s1, s0
	v_lshlrev_b32_e32 v0, 10, v0
	s_lshl_b64 s[8:9], s[8:9], 1
	v_and_b32_e32 v0, 0x1800, v0
	v_lshlrev_b32_e32 v2, 5, v42
	v_and_b32_e32 v1, 16, v1
	s_waitcnt lgkmcnt(0)
	s_add_u32 s1, s4, s8
	v_or3_b32 v2, v0, v2, v1
	s_addc_u32 s4, s5, s9
	s_lshl_b32 s2, s28, 6
	ds_read_b128 v[4:7], v2 offset:256
	s_lshl_b64 s[2:3], s[2:3], 1
	ds_read_b128 v[8:11], v2 offset:128
	ds_read_b128 v[12:15], v2
	s_add_u32 s2, s1, s2
	s_addc_u32 s3, s4, s3
	v_add_u32_e32 v3, s48, v42
	v_lshl_add_u64 v[0:1], s[2:3], 0, v[26:27]
	v_mad_u64_u32 v[16:17], s[2:3], v3, s0, 0
	v_lshl_add_u64 v[16:17], v[16:17], 1, v[0:1]
	s_waitcnt lgkmcnt(0)
	global_store_dwordx4 v[16:17], v[12:15], off
	s_nop 1
	v_add_u32_e32 v12, 4, v3
	v_mad_u64_u32 v[12:13], s[2:3], v12, s0, 0
	v_lshl_add_u64 v[12:13], v[12:13], 1, v[0:1]
	v_add_u32_e32 v3, 8, v3
	global_store_dwordx4 v[12:13], v[8:11], off
	s_nop 1
	v_mad_u64_u32 v[8:9], s[2:3], v3, s0, 0
	v_lshl_add_u64 v[8:9], v[8:9], 1, v[0:1]
	global_store_dwordx4 v[8:9], v[4:7], off
	s_and_b64 exec, exec, s[6:7]
	s_cbranch_execz .LBB800_18
; %bb.17:
	ds_read_b128 v[2:5], v2 offset:384
	v_add3_u32 v6, s48, v42, 12
	v_mad_u64_u32 v[6:7], s[0:1], v6, s0, 0
	v_lshl_add_u64 v[0:1], v[6:7], 1, v[0:1]
	s_waitcnt lgkmcnt(0)
	global_store_dwordx4 v[0:1], v[2:5], off
.LBB800_18:
	s_endpgm
	.section	.rodata,"a",@progbits
	.p2align	6, 0x0
	.amdhsa_kernel _Z39paged_attention_ll4mi_QKV_mfma16_kernelIDF16_hLN4vllm18Fp8KVCacheDataTypeE1EhLi16ELi64ELi256ELb0ELi13EEvPKT_PKT0_S7_ifPKiS9_S9_iPKfiiiPfSC_PS2_PT2_iSB_SB_
		.amdhsa_group_segment_fixed_size 8192
		.amdhsa_private_segment_fixed_size 0
		.amdhsa_kernarg_size 400
		.amdhsa_user_sgpr_count 2
		.amdhsa_user_sgpr_dispatch_ptr 0
		.amdhsa_user_sgpr_queue_ptr 0
		.amdhsa_user_sgpr_kernarg_segment_ptr 1
		.amdhsa_user_sgpr_dispatch_id 0
		.amdhsa_user_sgpr_kernarg_preload_length 0
		.amdhsa_user_sgpr_kernarg_preload_offset 0
		.amdhsa_user_sgpr_private_segment_size 0
		.amdhsa_uses_dynamic_stack 0
		.amdhsa_enable_private_segment 0
		.amdhsa_system_sgpr_workgroup_id_x 1
		.amdhsa_system_sgpr_workgroup_id_y 1
		.amdhsa_system_sgpr_workgroup_id_z 1
		.amdhsa_system_sgpr_workgroup_info 0
		.amdhsa_system_vgpr_workitem_id 0
		.amdhsa_next_free_vgpr 58
		.amdhsa_next_free_sgpr 50
		.amdhsa_accum_offset 60
		.amdhsa_reserve_vcc 1
		.amdhsa_float_round_mode_32 0
		.amdhsa_float_round_mode_16_64 0
		.amdhsa_float_denorm_mode_32 3
		.amdhsa_float_denorm_mode_16_64 3
		.amdhsa_dx10_clamp 1
		.amdhsa_ieee_mode 1
		.amdhsa_fp16_overflow 0
		.amdhsa_tg_split 0
		.amdhsa_exception_fp_ieee_invalid_op 0
		.amdhsa_exception_fp_denorm_src 0
		.amdhsa_exception_fp_ieee_div_zero 0
		.amdhsa_exception_fp_ieee_overflow 0
		.amdhsa_exception_fp_ieee_underflow 0
		.amdhsa_exception_fp_ieee_inexact 0
		.amdhsa_exception_int_div_zero 0
	.end_amdhsa_kernel
	.section	.text._Z39paged_attention_ll4mi_QKV_mfma16_kernelIDF16_hLN4vllm18Fp8KVCacheDataTypeE1EhLi16ELi64ELi256ELb0ELi13EEvPKT_PKT0_S7_ifPKiS9_S9_iPKfiiiPfSC_PS2_PT2_iSB_SB_,"axG",@progbits,_Z39paged_attention_ll4mi_QKV_mfma16_kernelIDF16_hLN4vllm18Fp8KVCacheDataTypeE1EhLi16ELi64ELi256ELb0ELi13EEvPKT_PKT0_S7_ifPKiS9_S9_iPKfiiiPfSC_PS2_PT2_iSB_SB_,comdat
.Lfunc_end800:
	.size	_Z39paged_attention_ll4mi_QKV_mfma16_kernelIDF16_hLN4vllm18Fp8KVCacheDataTypeE1EhLi16ELi64ELi256ELb0ELi13EEvPKT_PKT0_S7_ifPKiS9_S9_iPKfiiiPfSC_PS2_PT2_iSB_SB_, .Lfunc_end800-_Z39paged_attention_ll4mi_QKV_mfma16_kernelIDF16_hLN4vllm18Fp8KVCacheDataTypeE1EhLi16ELi64ELi256ELb0ELi13EEvPKT_PKT0_S7_ifPKiS9_S9_iPKfiiiPfSC_PS2_PT2_iSB_SB_
                                        ; -- End function
	.section	.AMDGPU.csdata,"",@progbits
; Kernel info:
; codeLenInByte = 4644
; NumSgprs: 56
; NumVgprs: 58
; NumAgprs: 0
; TotalNumVgprs: 58
; ScratchSize: 0
; MemoryBound: 0
; FloatMode: 240
; IeeeMode: 1
; LDSByteSize: 8192 bytes/workgroup (compile time only)
; SGPRBlocks: 6
; VGPRBlocks: 7
; NumSGPRsForWavesPerEU: 56
; NumVGPRsForWavesPerEU: 58
; AccumOffset: 60
; Occupancy: 8
; WaveLimiterHint : 1
; COMPUTE_PGM_RSRC2:SCRATCH_EN: 0
; COMPUTE_PGM_RSRC2:USER_SGPR: 2
; COMPUTE_PGM_RSRC2:TRAP_HANDLER: 0
; COMPUTE_PGM_RSRC2:TGID_X_EN: 1
; COMPUTE_PGM_RSRC2:TGID_Y_EN: 1
; COMPUTE_PGM_RSRC2:TGID_Z_EN: 1
; COMPUTE_PGM_RSRC2:TIDIG_COMP_CNT: 0
; COMPUTE_PGM_RSRC3_GFX90A:ACCUM_OFFSET: 14
; COMPUTE_PGM_RSRC3_GFX90A:TG_SPLIT: 0
	.section	.text._Z39paged_attention_ll4mi_QKV_mfma16_kernelIDF16_hLN4vllm18Fp8KVCacheDataTypeE1EhLi16ELi64ELi256ELb0ELi14EEvPKT_PKT0_S7_ifPKiS9_S9_iPKfiiiPfSC_PS2_PT2_iSB_SB_,"axG",@progbits,_Z39paged_attention_ll4mi_QKV_mfma16_kernelIDF16_hLN4vllm18Fp8KVCacheDataTypeE1EhLi16ELi64ELi256ELb0ELi14EEvPKT_PKT0_S7_ifPKiS9_S9_iPKfiiiPfSC_PS2_PT2_iSB_SB_,comdat
	.protected	_Z39paged_attention_ll4mi_QKV_mfma16_kernelIDF16_hLN4vllm18Fp8KVCacheDataTypeE1EhLi16ELi64ELi256ELb0ELi14EEvPKT_PKT0_S7_ifPKiS9_S9_iPKfiiiPfSC_PS2_PT2_iSB_SB_ ; -- Begin function _Z39paged_attention_ll4mi_QKV_mfma16_kernelIDF16_hLN4vllm18Fp8KVCacheDataTypeE1EhLi16ELi64ELi256ELb0ELi14EEvPKT_PKT0_S7_ifPKiS9_S9_iPKfiiiPfSC_PS2_PT2_iSB_SB_
	.globl	_Z39paged_attention_ll4mi_QKV_mfma16_kernelIDF16_hLN4vllm18Fp8KVCacheDataTypeE1EhLi16ELi64ELi256ELb0ELi14EEvPKT_PKT0_S7_ifPKiS9_S9_iPKfiiiPfSC_PS2_PT2_iSB_SB_
	.p2align	8
	.type	_Z39paged_attention_ll4mi_QKV_mfma16_kernelIDF16_hLN4vllm18Fp8KVCacheDataTypeE1EhLi16ELi64ELi256ELb0ELi14EEvPKT_PKT0_S7_ifPKiS9_S9_iPKfiiiPfSC_PS2_PT2_iSB_SB_,@function
_Z39paged_attention_ll4mi_QKV_mfma16_kernelIDF16_hLN4vllm18Fp8KVCacheDataTypeE1EhLi16ELi64ELi256ELb0ELi14EEvPKT_PKT0_S7_ifPKiS9_S9_iPKfiiiPfSC_PS2_PT2_iSB_SB_: ; @_Z39paged_attention_ll4mi_QKV_mfma16_kernelIDF16_hLN4vllm18Fp8KVCacheDataTypeE1EhLi16ELi64ELi256ELb0ELi14EEvPKT_PKT0_S7_ifPKiS9_S9_iPKfiiiPfSC_PS2_PT2_iSB_SB_
; %bb.0:
	s_load_dwordx2 s[12:13], s[0:1], 0x30
	s_mov_b32 s28, s3
	s_mov_b64 s[6:7], 0
	s_waitcnt lgkmcnt(0)
	s_cmp_lg_u64 s[12:13], 0
	s_cselect_b64 s[14:15], -1, 0
	s_and_b64 vcc, exec, s[14:15]
	s_cbranch_vccz .LBB801_7
; %bb.1:
	s_add_i32 s8, s2, 1
	s_mov_b32 s9, 0
	s_lshl_b64 s[10:11], s[8:9], 2
	s_add_u32 s10, s12, s10
	s_mov_b32 s3, s9
	s_addc_u32 s11, s13, s11
	s_lshl_b64 s[8:9], s[2:3], 2
	s_add_u32 s8, s12, s8
	s_addc_u32 s9, s13, s9
	s_load_dword s5, s[10:11], 0x0
	s_load_dword s16, s[8:9], 0x0
	s_waitcnt lgkmcnt(0)
	s_sub_i32 s5, s5, s16
	s_cmp_eq_u32 s5, 1
	s_cselect_b64 s[8:9], -1, 0
	s_andn2_b64 vcc, exec, s[6:7]
	s_cbranch_vccnz .LBB801_3
.LBB801_2:
	s_mov_b32 s3, 0
	s_mov_b64 s[8:9], -1
.LBB801_3:
	s_andn2_b64 vcc, exec, s[8:9]
	s_cbranch_vccnz .LBB801_18
; %bb.4:
	s_load_dwordx2 s[6:7], s[0:1], 0x28
	s_lshl_b64 s[16:17], s[2:3], 2
	s_waitcnt lgkmcnt(0)
	s_add_u32 s6, s6, s16
	s_addc_u32 s7, s7, s17
	s_load_dword s33, s[6:7], 0x0
	s_lshl_b32 s5, s28, 8
	s_waitcnt lgkmcnt(0)
	s_cmp_ge_i32 s5, s33
	s_cbranch_scc1 .LBB801_18
; %bb.5:
	s_load_dwordx2 s[6:7], s[0:1], 0x20
	s_load_dword s8, s[0:1], 0x38
	s_add_i32 s9, s33, 15
	s_ashr_i32 s10, s9, 31
	v_and_b32_e32 v1, 0xcf, v0
	s_lshr_b32 s10, s10, 28
	v_add_u32_e32 v1, s5, v1
	s_add_i32 s9, s9, s10
	v_ashrrev_i32_e32 v2, 31, v1
	s_ashr_i32 s18, s9, 4
	v_lshrrev_b32_e32 v4, 28, v2
	s_add_i32 s18, s18, -1
	s_waitcnt lgkmcnt(0)
	s_mul_i32 s8, s2, s8
	s_mov_b32 s9, 0
	v_add_u32_e32 v2, v1, v4
	s_lshl_b64 s[8:9], s[8:9], 2
	v_ashrrev_i32_e32 v2, 4, v2
	v_mov_b32_e32 v5, s18
	v_cmp_gt_i32_e32 vcc, s33, v1
	s_add_u32 s6, s6, s8
	s_addc_u32 s7, s7, s9
	v_cndmask_b32_e32 v2, v5, v2, vcc
	v_ashrrev_i32_e32 v3, 31, v2
	v_lshl_add_u64 v[6:7], v[2:3], 2, s[6:7]
	v_or_b32_e32 v2, 16, v1
	v_add_u32_e32 v3, v2, v4
	v_ashrrev_i32_e32 v3, 4, v3
	v_cmp_gt_i32_e32 vcc, s33, v2
	s_load_dwordx4 s[8:11], s[0:1], 0x8
	s_nop 0
	v_cndmask_b32_e32 v2, v5, v3, vcc
	v_ashrrev_i32_e32 v3, 31, v2
	v_lshl_add_u64 v[8:9], v[2:3], 2, s[6:7]
	v_or_b32_e32 v2, 32, v1
	v_add_u32_e32 v3, v2, v4
	v_ashrrev_i32_e32 v3, 4, v3
	v_cmp_gt_i32_e32 vcc, s33, v2
	v_or_b32_e32 v1, 48, v1
	s_nop 0
	v_cndmask_b32_e32 v2, v5, v3, vcc
	v_ashrrev_i32_e32 v3, 31, v2
	v_lshl_add_u64 v[10:11], v[2:3], 2, s[6:7]
	v_add_u32_e32 v2, v1, v4
	v_ashrrev_i32_e32 v2, 4, v2
	v_cmp_gt_i32_e32 vcc, s33, v1
	s_nop 1
	v_cndmask_b32_e32 v2, v5, v2, vcc
	v_ashrrev_i32_e32 v3, 31, v2
	v_lshl_add_u64 v[12:13], v[2:3], 2, s[6:7]
	global_load_dword v4, v[6:7], off
	global_load_dword v3, v[8:9], off
	;; [unrolled: 1-line block ×4, first 2 shown]
	s_andn2_b64 vcc, exec, s[14:15]
	s_cbranch_vccnz .LBB801_8
; %bb.6:
	s_add_u32 s12, s12, s16
	s_addc_u32 s13, s13, s17
	s_load_dword s14, s[12:13], 0x0
	s_branch .LBB801_9
.LBB801_7:
	s_mov_b64 s[8:9], 0
	s_branch .LBB801_2
.LBB801_8:
	s_mov_b32 s14, s2
.LBB801_9:
	s_load_dwordx4 s[44:47], s[0:1], 0x48
	v_lshrrev_b32_e32 v29, 6, v0
	v_bfe_u32 v42, v0, 4, 2
	v_lshl_or_b32 v5, v29, 2, v42
	v_and_b32_e32 v28, 15, v0
	v_lshlrev_b32_e32 v1, 3, v28
	v_cmp_gt_u32_e32 vcc, 14, v5
	v_cmp_gt_u32_e64 s[30:31], 8, v28
	v_and_b32_e32 v43, 63, v0
	s_mul_i32 s48, s4, 14
	s_and_b64 s[16:17], s[30:31], vcc
	v_lshlrev_b32_e32 v26, 1, v1
	v_lshlrev_b32_e32 v1, 4, v0
	s_and_saveexec_b64 s[12:13], s[16:17]
	s_cbranch_execz .LBB801_11
; %bb.10:
	s_load_dwordx2 s[16:17], s[0:1], 0x0
	s_waitcnt lgkmcnt(0)
	s_ashr_i32 s15, s44, 31
	s_mul_hi_u32 s19, s14, s44
	s_mul_i32 s15, s14, s15
	s_add_i32 s15, s19, s15
	s_mul_i32 s14, s14, s44
	s_lshl_b64 s[14:15], s[14:15], 1
	s_add_u32 s14, s16, s14
	v_add_lshl_u32 v6, v5, s48, 6
	s_addc_u32 s15, s17, s15
	v_ashrrev_i32_e32 v7, 31, v6
	v_lshl_add_u64 v[6:7], v[6:7], 1, s[14:15]
	v_mov_b32_e32 v27, 0
	v_lshl_add_u64 v[6:7], v[6:7], 0, v[26:27]
	global_load_dwordx4 v[6:9], v[6:7], off
	v_lshlrev_b32_e32 v11, 8, v28
	v_lshlrev_b32_e32 v5, 5, v5
	v_and_b32_e32 v10, 16, v1
	v_and_b32_e32 v11, 0xe00, v11
	v_or3_b32 v5, v11, v5, v10
	s_waitcnt vmcnt(0)
	ds_write_b128 v5, v[6:9]
.LBB801_11:
	s_or_b64 exec, exec, s[12:13]
	s_waitcnt lgkmcnt(0)
	s_mul_i32 s4, s4, s46
	s_add_u32 s8, s8, s4
	s_addc_u32 s9, s9, 0
	v_and_b32_e32 v8, 48, v0
	v_and_b32_e32 v30, 0xf0, v1
	v_mov_b32_e32 v31, 0
	v_lshl_add_u64 v[6:7], s[8:9], 0, v[30:31]
	v_lshlrev_b32_e32 v30, 4, v8
	v_lshl_add_u64 v[16:17], v[6:7], 0, v[30:31]
	s_waitcnt vmcnt(3)
	v_mad_i64_i32 v[4:5], s[8:9], v4, s45, v[16:17]
	s_load_dword s29, s[0:1], 0x98
	s_load_dwordx4 s[40:43], s[0:1], 0x80
	s_waitcnt lgkmcnt(0)
	s_barrier
	global_load_dwordx4 v[22:25], v[4:5], off
	s_waitcnt vmcnt(3)
	v_mad_i64_i32 v[4:5], s[8:9], v3, s45, v[16:17]
	global_load_dwordx4 v[18:21], v[4:5], off
	v_or_b32_e32 v10, s5, v8
	v_mov_b32_e32 v27, s18
	v_ashrrev_i32_e32 v3, 4, v10
	v_cmp_gt_i32_e32 vcc, s33, v10
	v_or_b32_e32 v15, 64, v10
	v_ashrrev_i32_e32 v32, 4, v15
	v_cndmask_b32_e32 v4, v27, v3, vcc
	s_waitcnt vmcnt(3)
	v_mad_i64_i32 v[2:3], s[8:9], v2, s45, v[16:17]
	global_load_dwordx4 v[6:9], v[2:3], off
	v_ashrrev_i32_e32 v5, 31, v4
	v_lshl_add_u64 v[4:5], v[4:5], 2, s[6:7]
	global_load_dword v56, v[4:5], off
	v_add_u32_e32 v4, -14, v28
	v_cmp_gt_u32_e32 vcc, 14, v28
	v_or_b32_e32 v33, 0x80, v10
	v_or_b32_e32 v35, 0xc0, v10
	v_cndmask_b32_e32 v2, v4, v28, vcc
	v_lshlrev_b32_e32 v2, 5, v2
	v_lshl_add_u32 v2, v42, 9, v2
	v_cmp_gt_i32_e32 vcc, s33, v15
	s_waitcnt vmcnt(4)
	v_mad_i64_i32 v[14:15], s[12:13], v14, s45, v[16:17]
	ds_read_b128 v[10:13], v2
	ds_read_b128 v[2:5], v2 offset:16
	global_load_dwordx4 v[14:17], v[14:15], off
	v_ashrrev_i32_e32 v34, 4, v33
	v_cndmask_b32_e32 v32, v27, v32, vcc
	v_cmp_gt_i32_e32 vcc, s33, v33
	v_ashrrev_i32_e32 v36, 4, v35
	v_ashrrev_i32_e32 v33, 31, v32
	v_cndmask_b32_e32 v34, v27, v34, vcc
	v_cmp_gt_i32_e32 vcc, s33, v35
	v_ashrrev_i32_e32 v35, 31, v34
	v_lshl_add_u64 v[32:33], v[32:33], 2, s[6:7]
	v_cndmask_b32_e32 v36, v27, v36, vcc
	v_ashrrev_i32_e32 v37, 31, v36
	v_lshl_add_u64 v[36:37], v[36:37], 2, s[6:7]
	s_add_u32 s8, s10, s4
	s_load_dword s4, s[40:41], 0x0
	v_lshl_add_u64 v[38:39], v[34:35], 2, s[6:7]
	global_load_dword v35, v[32:33], off
	global_load_dword v27, v[38:39], off
	;; [unrolled: 1-line block ×3, first 2 shown]
	s_load_dword s14, s[0:1], 0x1c
	s_mov_b32 s44, 0xff7fffff
	v_lshlrev_b32_e32 v30, 4, v28
	s_addc_u32 s9, s11, 0
	v_lshl_or_b32 v30, v29, 8, v30
	s_waitcnt lgkmcnt(0)
	v_mov_b32_e32 v57, s14
	v_lshl_add_u64 v[30:31], s[8:9], 0, v[30:31]
	s_waitcnt vmcnt(7)
	v_cvt_pk_f32_fp8_e32 v[32:33], v22
	v_cvt_pk_f32_fp8_sdwa v[36:37], v22 src0_sel:WORD_1
	v_cvt_pk_f32_fp8_e32 v[38:39], v23
	v_cvt_pk_f32_fp8_sdwa v[40:41], v23 src0_sel:WORD_1
	v_cvt_pkrtz_f16_f32 v32, v32, v33
	v_cvt_pkrtz_f16_f32 v33, v36, v37
	s_waitcnt vmcnt(6)
	v_cvt_pk_f32_fp8_e32 v[22:23], v18
	v_cvt_pk_f32_fp8_sdwa v[50:51], v18 src0_sel:WORD_1
	v_cvt_pk_f32_fp8_e32 v[44:45], v24
	v_cvt_pk_f32_fp8_sdwa v[46:47], v24 src0_sel:WORD_1
	;; [unrolled: 2-line block ×3, first 2 shown]
	v_cvt_pkrtz_f16_f32 v36, v22, v23
	v_mfma_f32_16x16x16_f16 v[22:25], v[32:33], v[10:11], 0
	v_cvt_pkrtz_f16_f32 v32, v38, v39
	v_cvt_pkrtz_f16_f32 v33, v40, v41
	v_cvt_pk_f32_fp8_e32 v[54:55], v19
	v_cvt_pkrtz_f16_f32 v37, v50, v51
	v_cvt_pk_f32_fp8_sdwa v[18:19], v19 src0_sel:WORD_1
	v_mfma_f32_16x16x16_f16 v[22:25], v[32:33], v[12:13], v[22:25]
	v_cvt_pkrtz_f16_f32 v50, v54, v55
	v_cvt_pkrtz_f16_f32 v51, v18, v19
	v_cvt_pkrtz_f16_f32 v32, v44, v45
	v_cvt_pkrtz_f16_f32 v33, v46, v47
	v_mfma_f32_16x16x16_f16 v[36:39], v[36:37], v[10:11], 0
	v_cvt_pk_f32_fp8_e32 v[40:41], v20
	v_cvt_pk_f32_fp8_sdwa v[18:19], v20 src0_sel:WORD_1
	v_cvt_pkrtz_f16_f32 v44, v48, v49
	v_mfma_f32_16x16x16_f16 v[36:39], v[50:51], v[12:13], v[36:39]
	v_cvt_pk_f32_fp8_e32 v[50:51], v21
	v_cvt_pkrtz_f16_f32 v45, v52, v53
	v_cvt_pkrtz_f16_f32 v40, v40, v41
	v_mfma_f32_16x16x16_f16 v[22:25], v[32:33], v[2:3], v[22:25]
	v_cvt_pk_f32_fp8_sdwa v[32:33], v21 src0_sel:WORD_1
	v_cvt_pkrtz_f16_f32 v41, v18, v19
	v_cvt_pkrtz_f16_f32 v18, v50, v51
	v_mfma_f32_16x16x16_f16 v[44:47], v[44:45], v[4:5], v[22:25]
	v_cvt_pkrtz_f16_f32 v19, v32, v33
	s_waitcnt vmcnt(5)
	v_cvt_pk_f32_fp8_e32 v[32:33], v6
	v_cvt_pk_f32_fp8_sdwa v[48:49], v9 src0_sel:WORD_1
	v_mfma_f32_16x16x16_f16 v[22:25], v[40:41], v[2:3], v[36:39]
	v_mul_f32_e32 v50, s4, v57
	s_waitcnt vmcnt(4)
	v_mad_i64_i32 v[20:21], s[6:7], v56, s45, v[30:31]
	v_cvt_pk_f32_fp8_sdwa v[36:37], v6 src0_sel:WORD_1
	v_mfma_f32_16x16x16_f16 v[38:41], v[18:19], v[4:5], v[22:25]
	v_cvt_pk_f32_fp8_e32 v[18:19], v7
	v_cvt_pk_f32_fp8_sdwa v[6:7], v7 src0_sel:WORD_1
	v_cvt_pkrtz_f16_f32 v18, v18, v19
	v_cvt_pkrtz_f16_f32 v22, v32, v33
	v_cvt_pkrtz_f16_f32 v23, v36, v37
	v_cvt_pk_f32_fp8_e32 v[32:33], v8
	v_cvt_pk_f32_fp8_sdwa v[36:37], v8 src0_sel:WORD_1
	v_cvt_pkrtz_f16_f32 v19, v6, v7
	v_mfma_f32_16x16x16_f16 v[22:25], v[22:23], v[10:11], 0
	v_cvt_pkrtz_f16_f32 v32, v32, v33
	v_cvt_pkrtz_f16_f32 v33, v36, v37
	v_cvt_pk_f32_fp8_e32 v[36:37], v9
	v_mfma_f32_16x16x16_f16 v[6:9], v[18:19], v[12:13], v[22:25]
	v_cvt_pkrtz_f16_f32 v19, v48, v49
	v_cvt_pkrtz_f16_f32 v18, v36, v37
	s_nop 0
	v_pk_mul_f32 v[22:23], v[50:51], v[46:47] op_sel_hi:[0,1]
	v_mfma_f32_16x16x16_f16 v[46:49], v[32:33], v[2:3], v[6:9]
	s_waitcnt vmcnt(3)
	v_cvt_pk_f32_fp8_sdwa v[24:25], v14 src0_sel:WORD_1
	v_cvt_pk_f32_fp8_sdwa v[32:33], v16 src0_sel:WORD_1
	v_pk_mul_f32 v[36:37], v[50:51], v[40:41] op_sel_hi:[0,1]
	v_cvt_pk_f32_fp8_e32 v[8:9], v14
	v_pk_mul_f32 v[6:7], v[50:51], v[44:45] op_sel_hi:[0,1]
	v_mfma_f32_16x16x16_f16 v[44:47], v[18:19], v[4:5], v[46:49]
	v_cvt_pk_f32_fp8_e32 v[18:19], v15
	v_cvt_pkrtz_f16_f32 v8, v8, v9
	v_cvt_pkrtz_f16_f32 v9, v24, v25
	v_cvt_pk_f32_fp8_sdwa v[14:15], v15 src0_sel:WORD_1
	v_cvt_pkrtz_f16_f32 v18, v18, v19
	v_cvt_pk_f32_fp8_e32 v[24:25], v16
	v_mfma_f32_16x16x16_f16 v[8:11], v[8:9], v[10:11], 0
	v_cvt_pkrtz_f16_f32 v19, v14, v15
	v_cvt_pkrtz_f16_f32 v14, v24, v25
	;; [unrolled: 1-line block ×3, first 2 shown]
	v_cvt_pk_f32_fp8_e32 v[24:25], v17
	v_cvt_pk_f32_fp8_sdwa v[16:17], v17 src0_sel:WORD_1
	v_mfma_f32_16x16x16_f16 v[8:11], v[18:19], v[12:13], v[8:11]
	v_pk_mul_f32 v[40:41], v[50:51], v[38:39] op_sel_hi:[0,1]
	v_cvt_pkrtz_f16_f32 v12, v24, v25
	v_cvt_pkrtz_f16_f32 v13, v16, v17
	v_mfma_f32_16x16x16_f16 v[8:11], v[14:15], v[2:3], v[8:11]
	v_pk_mul_f32 v[38:39], v[50:51], v[44:45] op_sel_hi:[0,1]
	v_pk_mul_f32 v[32:33], v[50:51], v[46:47] op_sel_hi:[0,1]
	v_mfma_f32_16x16x16_f16 v[2:5], v[12:13], v[4:5], v[8:11]
	s_nop 6
	v_pk_mul_f32 v[24:25], v[50:51], v[2:3] op_sel_hi:[0,1]
	v_and_b32_e32 v2, 0xc0, v0
	v_add_u32_e32 v2, s5, v2
	v_lshl_or_b32 v2, v42, 2, v2
	v_pk_mul_f32 v[18:19], v[50:51], v[4:5] op_sel_hi:[0,1]
	v_or_b32_e32 v5, 1, v2
	v_mov_b32_e32 v3, 0xff7fffff
	v_cmp_gt_i32_e64 s[4:5], s33, v2
	v_cmp_gt_i32_e64 s[34:35], s33, v5
	v_or_b32_e32 v8, 3, v2
	v_cndmask_b32_e64 v4, v3, v6, s[4:5]
	v_cndmask_b32_e64 v5, v3, v7, s[34:35]
	v_max3_f32 v4, v4, s44, v5
	v_or_b32_e32 v5, 2, v2
	v_cmp_gt_i32_e64 s[36:37], s33, v5
	v_cmp_gt_i32_e64 s[38:39], s33, v8
	s_nop 0
	v_cndmask_b32_e64 v5, v3, v22, s[36:37]
	v_cndmask_b32_e64 v8, v3, v23, s[38:39]
	v_max3_f32 v4, v4, v5, v8
	v_or_b32_e32 v5, 16, v2
	v_or_b32_e32 v8, 17, v2
	v_cmp_gt_i32_e64 s[24:25], s33, v5
	v_cmp_gt_i32_e64 s[26:27], s33, v8
	s_nop 0
	v_cndmask_b32_e64 v5, v3, v40, s[24:25]
	v_cndmask_b32_e64 v8, v3, v41, s[26:27]
	v_max3_f32 v4, v4, v5, v8
	v_or_b32_e32 v5, 18, v2
	;; [unrolled: 8-line block ×6, first 2 shown]
	v_or_b32_e32 v2, 51, v2
	v_cmp_gt_i32_e32 vcc, s33, v5
	v_cmp_gt_i32_e64 s[6:7], s33, v2
	s_nop 0
	v_cndmask_b32_e32 v5, v3, v18, vcc
	v_cndmask_b32_e64 v2, v3, v19, s[6:7]
	v_max3_f32 v4, v4, v5, v2
	v_mbcnt_lo_u32_b32 v2, -1, 0
	v_mbcnt_hi_u32_b32 v5, -1, v2
	v_and_b32_e32 v2, 64, v5
	v_add_u32_e32 v8, 64, v2
	v_xor_b32_e32 v2, 32, v5
	v_cmp_lt_i32_e64 s[40:41], v2, v8
	s_nop 1
	v_cndmask_b32_e64 v2, v5, v2, s[40:41]
	v_lshlrev_b32_e32 v44, 2, v2
	ds_bpermute_b32 v9, v44, v4
	s_waitcnt vmcnt(2)
	v_mad_i64_i32 v[2:3], s[40:41], v35, s45, v[30:31]
	global_load_dwordx4 v[14:17], v[20:21], off
	global_load_dwordx4 v[10:13], v[2:3], off
	v_xor_b32_e32 v3, 16, v5
	v_cmp_lt_i32_e64 s[40:41], v3, v8
	s_waitcnt lgkmcnt(0)
	v_max_f32_e32 v2, v9, v9
	v_max_f32_e32 v2, v4, v2
	v_cndmask_b32_e64 v3, v5, v3, s[40:41]
	v_lshlrev_b32_e32 v45, 2, v3
	ds_bpermute_b32 v3, v45, v2
	s_waitcnt vmcnt(3)
	v_mad_i64_i32 v[20:21], s[40:41], v27, s45, v[30:31]
	s_waitcnt vmcnt(2)
	v_mad_i64_i32 v[30:31], s[40:41], v34, s45, v[30:31]
	s_waitcnt lgkmcnt(0)
	v_max_f32_e32 v3, v3, v3
	v_max_f32_e32 v27, v2, v3
	v_sub_f32_e32 v2, v6, v27
	v_mul_f32_e32 v2, 0x3fb8aa3b, v2
	v_exp_f32_e32 v34, v2
	v_sub_f32_e32 v2, v7, v27
	v_mul_f32_e32 v2, 0x3fb8aa3b, v2
	v_exp_f32_e32 v35, v2
	global_load_dwordx4 v[6:9], v[20:21], off
	global_load_dwordx4 v[2:5], v[30:31], off
	v_sub_f32_e32 v22, v22, v27
	v_mul_f32_e32 v22, 0x3fb8aa3b, v22
	v_sub_f32_e32 v23, v23, v27
	v_exp_f32_e32 v22, v22
	v_mul_f32_e32 v23, 0x3fb8aa3b, v23
	v_exp_f32_e32 v23, v23
	v_cndmask_b32_e64 v20, 0, v34, s[4:5]
	v_add_f32_e32 v30, 0, v20
	v_cndmask_b32_e64 v21, 0, v35, s[34:35]
	v_add_f32_e32 v30, v30, v21
	;; [unrolled: 2-line block ×3, first 2 shown]
	v_cndmask_b32_e64 v35, 0, v23, s[38:39]
	v_sub_f32_e32 v23, v40, v27
	v_sub_f32_e32 v30, v41, v27
	v_mul_f32_e32 v23, 0x3fb8aa3b, v23
	v_mul_f32_e32 v30, 0x3fb8aa3b, v30
	v_exp_f32_e32 v23, v23
	v_exp_f32_e32 v30, v30
	v_add_f32_e32 v31, v22, v35
	v_sub_f32_e32 v32, v32, v27
	v_cndmask_b32_e64 v22, 0, v23, s[24:25]
	v_cndmask_b32_e64 v23, 0, v30, s[26:27]
	v_sub_f32_e32 v30, v36, v27
	v_mul_f32_e32 v30, 0x3fb8aa3b, v30
	v_exp_f32_e32 v30, v30
	v_sub_f32_e32 v36, v37, v27
	v_add_f32_e32 v31, v31, v22
	v_mul_f32_e32 v36, 0x3fb8aa3b, v36
	v_exp_f32_e32 v37, v36
	v_add_f32_e32 v31, v31, v23
	v_cndmask_b32_e64 v36, 0, v30, s[20:21]
	v_add_f32_e32 v30, v31, v36
	v_sub_f32_e32 v31, v38, v27
	v_mul_f32_e32 v31, 0x3fb8aa3b, v31
	v_sub_f32_e32 v38, v39, v27
	v_exp_f32_e32 v31, v31
	v_mul_f32_e32 v38, 0x3fb8aa3b, v38
	v_exp_f32_e32 v38, v38
	v_mul_f32_e32 v32, 0x3fb8aa3b, v32
	v_sub_f32_e32 v33, v33, v27
	v_exp_f32_e32 v32, v32
	v_mul_f32_e32 v33, 0x3fb8aa3b, v33
	v_sub_f32_e32 v24, v24, v27
	v_cndmask_b32_e64 v37, 0, v37, s[22:23]
	v_exp_f32_e32 v33, v33
	v_mul_f32_e32 v24, 0x3fb8aa3b, v24
	v_sub_f32_e32 v25, v25, v27
	v_add_f32_e32 v39, v30, v37
	v_cndmask_b32_e64 v30, 0, v31, s[16:17]
	v_exp_f32_e32 v24, v24
	v_mul_f32_e32 v25, 0x3fb8aa3b, v25
	v_sub_f32_e32 v18, v18, v27
	v_add_f32_e32 v39, v39, v30
	;; [unrolled: 5-line block ×3, first 2 shown]
	v_cndmask_b32_e64 v32, 0, v32, s[12:13]
	v_exp_f32_e32 v18, v18
	v_mul_f32_e32 v19, 0x3fb8aa3b, v19
	v_add_f32_e32 v38, v38, v32
	v_cndmask_b32_e64 v33, 0, v33, s[14:15]
	v_exp_f32_e32 v19, v19
	v_add_f32_e32 v38, v38, v33
	v_cndmask_b32_e64 v24, 0, v24, s[8:9]
	v_add_f32_e32 v38, v38, v24
	v_cndmask_b32_e64 v25, 0, v25, s[10:11]
	v_add_f32_e32 v38, v38, v25
	v_cndmask_b32_e32 v18, 0, v18, vcc
	v_add_f32_e32 v38, v38, v18
	v_cndmask_b32_e64 v19, 0, v19, s[6:7]
	v_add_f32_e32 v38, v38, v19
	ds_bpermute_b32 v39, v44, v38
	v_cmp_gt_u32_e32 vcc, 16, v43
	s_waitcnt lgkmcnt(0)
	s_barrier
	v_add_f32_e32 v39, v38, v39
	ds_bpermute_b32 v40, v45, v39
	v_lshlrev_b32_e32 v38, 2, v28
	s_and_saveexec_b64 s[4:5], vcc
	s_cbranch_execz .LBB801_13
; %bb.12:
	s_waitcnt lgkmcnt(0)
	v_add_f32_e32 v39, v39, v40
	v_lshl_or_b32 v40, v29, 6, v38
	ds_write2st64_b32 v40, v27, v39 offset1:1
.LBB801_13:
	s_or_b64 exec, exec, s[4:5]
	s_load_dword s6, s[0:1], 0x94
	s_waitcnt lgkmcnt(0)
	s_barrier
	ds_read2_b32 v[40:41], v38 offset1:16
	ds_read2_b32 v[44:45], v38 offset0:32 offset1:48
	ds_read2_b32 v[46:47], v38 offset0:64 offset1:80
	s_mul_i32 s7, s29, 14
	s_waitcnt lgkmcnt(2)
	v_max3_f32 v27, v40, s44, v41
	s_waitcnt lgkmcnt(1)
	v_max3_f32 v27, v27, v44, v45
	v_sub_f32_e32 v39, v40, v27
	v_sub_f32_e32 v40, v41, v27
	v_mul_f32_e32 v40, 0x3fb8aa3b, v40
	v_mul_f32_e32 v39, 0x3fb8aa3b, v39
	v_exp_f32_e32 v43, v40
	v_sub_f32_e32 v40, v44, v27
	v_exp_f32_e32 v39, v39
	v_mul_f32_e32 v40, 0x3fb8aa3b, v40
	v_exp_f32_e32 v44, v40
	ds_read2_b32 v[40:41], v38 offset0:96 offset1:112
	v_sub_f32_e32 v38, v45, v27
	v_mul_f32_e32 v38, 0x3fb8aa3b, v38
	v_exp_f32_e32 v45, v38
	s_waitcnt lgkmcnt(1)
	v_fma_f32 v38, v39, v46, 0
	v_fmac_f32_e32 v38, v43, v47
	s_waitcnt lgkmcnt(0)
	v_fmac_f32_e32 v38, v44, v40
	v_fmac_f32_e32 v38, v45, v41
	v_add_f32_e32 v40, 0x358637bd, v38
	v_div_scale_f32 v41, s[4:5], v40, v40, 1.0
	v_rcp_f32_e32 v46, v41
	s_barrier
	v_fma_f32 v47, -v41, v46, 1.0
	v_fmac_f32_e32 v46, v47, v46
	v_div_scale_f32 v47, vcc, 1.0, v40, 1.0
	v_mul_f32_e32 v48, v47, v46
	v_fma_f32 v49, -v41, v48, v47
	v_fmac_f32_e32 v48, v49, v46
	v_fma_f32 v41, -v41, v48, v47
	v_div_fmas_f32 v41, v41, v46, v48
	v_cmp_eq_u32_e32 vcc, 1, v29
	v_div_fixup_f32 v40, v41, v40, 1.0
	s_nop 0
	v_cndmask_b32_e32 v39, v39, v43, vcc
	v_cmp_eq_u32_e32 vcc, 2, v29
	s_nop 1
	v_cndmask_b32_e32 v39, v39, v44, vcc
	v_cmp_eq_u32_e32 vcc, 3, v29
	v_lshlrev_b32_e32 v29, 11, v29
	s_nop 0
	v_cndmask_b32_e32 v39, v39, v45, vcc
	v_mul_f32_e32 v40, v39, v40
	v_pk_mul_f32 v[20:21], v[40:41], v[20:21] op_sel_hi:[0,1]
	v_pk_mul_f32 v[34:35], v[40:41], v[34:35] op_sel_hi:[0,1]
	v_cvt_f16_f32_e32 v20, v20
	v_cvt_f16_f32_e32 v21, v21
	v_pk_mul_f32 v[36:37], v[40:41], v[36:37] op_sel_hi:[0,1]
	v_pk_mul_f32 v[22:23], v[40:41], v[22:23] op_sel_hi:[0,1]
	v_cvt_f16_f32_e32 v39, v34
	v_cvt_f16_f32_e32 v35, v35
	;; [unrolled: 1-line block ×6, first 2 shown]
	v_pack_b32_f16 v34, v20, v21
	v_lshlrev_b32_e32 v20, 3, v42
	v_lshlrev_b32_e32 v21, 5, v28
	v_pack_b32_f16 v35, v39, v35
	v_or3_b32 v20, v29, v21, v20
	v_pack_b32_f16 v22, v22, v23
	v_pack_b32_f16 v23, v36, v37
	ds_write2st64_b64 v20, v[34:35], v[22:23] offset1:1
	v_pk_mul_f32 v[22:23], v[40:41], v[32:33] op_sel_hi:[0,1]
	v_pk_mul_f32 v[30:31], v[40:41], v[30:31] op_sel_hi:[0,1]
	v_cvt_f16_f32_e32 v29, v30
	v_cvt_f16_f32_e32 v30, v31
	;; [unrolled: 1-line block ×4, first 2 shown]
	v_pk_mul_f32 v[18:19], v[40:41], v[18:19] op_sel_hi:[0,1]
	v_pk_mul_f32 v[22:23], v[40:41], v[24:25] op_sel_hi:[0,1]
	v_cvt_f16_f32_e32 v22, v22
	v_cvt_f16_f32_e32 v23, v23
	;; [unrolled: 1-line block ×4, first 2 shown]
	v_pack_b32_f16 v18, v29, v30
	v_pack_b32_f16 v19, v31, v32
	;; [unrolled: 1-line block ×4, first 2 shown]
	v_cmp_gt_u32_e32 vcc, 14, v0
	ds_write2st64_b64 v20, v[18:19], v[22:23] offset0:2 offset1:3
	s_and_saveexec_b64 s[4:5], vcc
	s_cbranch_execz .LBB801_15
; %bb.14:
	s_mov_b32 s49, 0
	v_mov_b32_e32 v29, 0
	v_lshl_add_u64 v[18:19], s[48:49], 0, v[28:29]
	v_mov_b32_e32 v22, s7
	v_mad_u64_u32 v[18:19], s[12:13], s2, v22, v[18:19]
	s_mul_i32 s3, s3, s7
	v_mov_b32_e32 v28, s28
	s_load_dwordx4 s[8:11], s[0:1], 0x58
	v_add_u32_e32 v23, s3, v19
	v_mad_u64_u32 v[18:19], s[12:13], v18, s6, v[28:29]
	v_mov_b32_e32 v22, v19
	v_mad_u64_u32 v[22:23], s[12:13], v23, s6, v[22:23]
	v_mov_b32_e32 v19, v22
	v_lshlrev_b64 v[18:19], 2, v[18:19]
	s_waitcnt lgkmcnt(0)
	v_lshl_add_u64 v[22:23], s[10:11], 0, v[18:19]
	v_lshl_add_u64 v[18:19], s[8:9], 0, v[18:19]
	global_store_dword v[22:23], v27, off
	global_store_dword v[18:19], v38, off
.LBB801_15:
	s_or_b64 exec, exec, s[4:5]
	s_waitcnt vmcnt(3)
	v_cvt_pk_f32_fp8_e32 v[18:19], v14
	v_cvt_pk_f32_fp8_sdwa v[22:23], v14 src0_sel:WORD_1
	v_cvt_pk_f32_fp8_e32 v[24:25], v15
	v_lshl_or_b32 v14, v42, 9, v21
	s_waitcnt lgkmcnt(0)
	s_barrier
	v_cvt_pkrtz_f16_f32 v18, v18, v19
	v_cvt_pkrtz_f16_f32 v19, v22, v23
	v_cvt_pk_f32_fp8_sdwa v[28:29], v15 src0_sel:WORD_1
	v_cvt_pkrtz_f16_f32 v36, v24, v25
	ds_read_b128 v[22:25], v14
	v_cvt_pk_f32_fp8_e32 v[38:39], v16
	v_cvt_pkrtz_f16_f32 v37, v28, v29
	ds_read_b128 v[28:31], v14 offset:16
	v_cvt_pk_f32_fp8_sdwa v[40:41], v16 src0_sel:WORD_1
	s_waitcnt lgkmcnt(1)
	v_mfma_f32_16x16x16_f16 v[32:35], v[18:19], v[22:23], 0
	v_cvt_pkrtz_f16_f32 v18, v38, v39
	v_cvt_pk_f32_fp8_e32 v[38:39], v17
	v_cvt_pkrtz_f16_f32 v19, v40, v41
	v_mfma_f32_16x16x16_f16 v[22:25], v[36:37], v[24:25], v[32:35]
	s_waitcnt vmcnt(2)
	v_cvt_pk_f32_fp8_sdwa v[36:37], v12 src0_sel:WORD_1
	s_load_dword s4, s[42:43], 0x0
	v_cmp_gt_u32_e32 vcc, 64, v0
	v_cvt_pk_f32_fp8_sdwa v[32:33], v17 src0_sel:WORD_1
	v_cvt_pkrtz_f16_f32 v34, v38, v39
	s_waitcnt lgkmcnt(0)
	v_mfma_f32_16x16x16_f16 v[16:19], v[18:19], v[28:29], v[22:25]
	v_cvt_pk_f32_fp8_e32 v[28:29], v11
	v_cvt_pkrtz_f16_f32 v35, v32, v33
	s_mov_b32 s3, 0
	v_cvt_pk_f32_fp8_e32 v[22:23], v10
	v_cvt_pk_f32_fp8_sdwa v[24:25], v10 src0_sel:WORD_1
	v_mfma_f32_16x16x16_f16 v[16:19], v[34:35], v[30:31], v[16:19]
	v_cvt_pkrtz_f16_f32 v10, v22, v23
	v_cvt_pk_f32_fp8_sdwa v[30:31], v11 src0_sel:WORD_1
	v_cvt_pkrtz_f16_f32 v11, v24, v25
	ds_read_b128 v[22:25], v14 offset:2048
	v_cvt_pkrtz_f16_f32 v32, v28, v29
	v_cvt_pkrtz_f16_f32 v33, v30, v31
	ds_read_b128 v[28:31], v14 offset:2064
	v_cvt_pk_f32_fp8_e32 v[34:35], v12
	s_waitcnt lgkmcnt(1)
	v_mfma_f32_16x16x16_f16 v[16:19], v[10:11], v[22:23], v[16:19]
	v_cvt_pkrtz_f16_f32 v11, v36, v37
	v_cvt_pk_f32_fp8_e32 v[22:23], v13
	v_cvt_pkrtz_f16_f32 v10, v34, v35
	v_mfma_f32_16x16x16_f16 v[16:19], v[32:33], v[24:25], v[16:19]
	v_cvt_pk_f32_fp8_sdwa v[24:25], v13 src0_sel:WORD_1
	v_cvt_pkrtz_f16_f32 v22, v22, v23
	s_waitcnt vmcnt(1)
	v_cvt_pk_f32_fp8_sdwa v[32:33], v8 src0_sel:WORD_1
	s_waitcnt lgkmcnt(0)
	v_mfma_f32_16x16x16_f16 v[10:13], v[10:11], v[28:29], v[16:19]
	v_cvt_pkrtz_f16_f32 v23, v24, v25
	v_cvt_pk_f32_fp8_sdwa v[24:25], v7 src0_sel:WORD_1
	v_mov_b32_e32 v27, 0
	v_cvt_pk_f32_fp8_e32 v[16:17], v6
	v_cvt_pk_f32_fp8_sdwa v[18:19], v6 src0_sel:WORD_1
	v_mfma_f32_16x16x16_f16 v[10:13], v[22:23], v[30:31], v[10:13]
	v_cvt_pk_f32_fp8_e32 v[22:23], v7
	v_cvt_pkrtz_f16_f32 v6, v16, v17
	v_cvt_pkrtz_f16_f32 v7, v18, v19
	ds_read_b128 v[16:19], v14 offset:4096
	v_cvt_pkrtz_f16_f32 v28, v22, v23
	v_cvt_pkrtz_f16_f32 v29, v24, v25
	ds_read_b128 v[22:25], v14 offset:4112
	v_cvt_pk_f32_fp8_e32 v[30:31], v8
	s_waitcnt lgkmcnt(1)
	v_mfma_f32_16x16x16_f16 v[10:13], v[6:7], v[16:17], v[10:13]
	v_cvt_pkrtz_f16_f32 v7, v32, v33
	v_cvt_pk_f32_fp8_e32 v[16:17], v9
	v_cvt_pkrtz_f16_f32 v6, v30, v31
	v_mfma_f32_16x16x16_f16 v[10:13], v[28:29], v[18:19], v[10:13]
	v_cvt_pk_f32_fp8_sdwa v[18:19], v9 src0_sel:WORD_1
	v_cvt_pkrtz_f16_f32 v16, v16, v17
	v_cvt_pkrtz_f16_f32 v17, v18, v19
	s_waitcnt lgkmcnt(0)
	v_mfma_f32_16x16x16_f16 v[6:9], v[6:7], v[22:23], v[10:13]
	s_waitcnt vmcnt(0)
	v_cvt_pk_f32_fp8_sdwa v[18:19], v3 src0_sel:WORD_1
	s_nop 0
	v_cvt_pkrtz_f16_f32 v23, v18, v19
	v_cvt_pk_f32_fp8_e32 v[10:11], v2
	v_cvt_pk_f32_fp8_sdwa v[12:13], v2 src0_sel:WORD_1
	v_mfma_f32_16x16x16_f16 v[6:9], v[16:17], v[24:25], v[6:9]
	v_cvt_pk_f32_fp8_e32 v[16:17], v3
	v_cvt_pkrtz_f16_f32 v2, v10, v11
	v_cvt_pkrtz_f16_f32 v3, v12, v13
	ds_read_b128 v[10:13], v14 offset:6144
	v_cvt_pkrtz_f16_f32 v22, v16, v17
	v_cvt_pk_f32_fp8_e32 v[18:19], v4
	v_cvt_pk_f32_fp8_sdwa v[24:25], v4 src0_sel:WORD_1
	s_waitcnt lgkmcnt(0)
	v_mfma_f32_16x16x16_f16 v[6:9], v[2:3], v[10:11], v[6:9]
	ds_read_b128 v[14:17], v14 offset:6160
	v_cvt_pkrtz_f16_f32 v2, v18, v19
	v_cvt_pkrtz_f16_f32 v3, v24, v25
	v_cvt_pk_f32_fp8_e32 v[10:11], v5
	v_mfma_f32_16x16x16_f16 v[6:9], v[22:23], v[12:13], v[6:9]
	v_cvt_pk_f32_fp8_sdwa v[12:13], v5 src0_sel:WORD_1
	s_waitcnt lgkmcnt(0)
	v_cvt_pkrtz_f16_f32 v10, v10, v11
	v_mfma_f32_16x16x16_f16 v[2:5], v[2:3], v[14:15], v[6:9]
	v_cvt_pkrtz_f16_f32 v11, v12, v13
	s_barrier
	s_nop 0
	v_mfma_f32_16x16x16_f16 v[2:5], v[10:11], v[16:17], v[2:5]
	s_nop 6
	v_pk_mul_f32 v[4:5], v[4:5], s[4:5] op_sel_hi:[1,0]
	v_pk_mul_f32 v[2:3], v[2:3], s[4:5] op_sel_hi:[1,0]
	v_cvt_f16_f32_e32 v4, v4
	v_cvt_f16_f32_e32 v2, v2
	;; [unrolled: 1-line block ×4, first 2 shown]
	s_and_b64 s[4:5], vcc, s[30:31]
	v_pack_b32_f16 v2, v2, v3
	v_pack_b32_f16 v3, v4, v5
	ds_write_b64 v20, v[2:3]
	s_waitcnt lgkmcnt(0)
	s_barrier
	s_and_saveexec_b64 s[8:9], s[4:5]
	s_cbranch_execz .LBB801_18
; %bb.16:
	s_load_dwordx2 s[4:5], s[0:1], 0x68
	s_lshl_b32 s0, s6, 6
	s_mul_i32 s1, s7, s2
	s_mul_hi_u32 s7, s1, s0
	s_mul_i32 s6, s1, s0
	v_lshlrev_b32_e32 v0, 10, v0
	s_lshl_b64 s[6:7], s[6:7], 1
	v_and_b32_e32 v0, 0x1800, v0
	v_lshlrev_b32_e32 v2, 5, v42
	v_and_b32_e32 v1, 16, v1
	s_waitcnt lgkmcnt(0)
	s_add_u32 s1, s4, s6
	v_or3_b32 v2, v0, v2, v1
	s_addc_u32 s4, s5, s7
	s_lshl_b32 s2, s28, 6
	ds_read_b128 v[4:7], v2 offset:256
	s_lshl_b64 s[2:3], s[2:3], 1
	ds_read_b128 v[8:11], v2 offset:128
	ds_read_b128 v[12:15], v2
	s_add_u32 s2, s1, s2
	s_addc_u32 s3, s4, s3
	v_add_u32_e32 v18, s48, v42
	v_lshl_add_u64 v[0:1], s[2:3], 0, v[26:27]
	v_mad_u64_u32 v[16:17], s[2:3], v18, s0, 0
	v_lshl_add_u64 v[16:17], v[16:17], 1, v[0:1]
	s_waitcnt lgkmcnt(0)
	global_store_dwordx4 v[16:17], v[12:15], off
	v_or_b32_e32 v3, 12, v42
	v_cmp_gt_u32_e32 vcc, 14, v3
	v_add_u32_e32 v12, 4, v18
	v_mad_u64_u32 v[12:13], s[2:3], v12, s0, 0
	v_lshl_add_u64 v[12:13], v[12:13], 1, v[0:1]
	global_store_dwordx4 v[12:13], v[8:11], off
	s_nop 1
	v_add_u32_e32 v8, 8, v18
	v_mad_u64_u32 v[8:9], s[2:3], v8, s0, 0
	v_lshl_add_u64 v[8:9], v[8:9], 1, v[0:1]
	global_store_dwordx4 v[8:9], v[4:7], off
	s_and_b64 exec, exec, vcc
	s_cbranch_execz .LBB801_18
; %bb.17:
	ds_read_b128 v[4:7], v2 offset:384
	v_add_u32_e32 v2, s48, v3
	v_mad_u64_u32 v[2:3], s[0:1], v2, s0, 0
	v_lshl_add_u64 v[0:1], v[2:3], 1, v[0:1]
	s_waitcnt lgkmcnt(0)
	global_store_dwordx4 v[0:1], v[4:7], off
.LBB801_18:
	s_endpgm
	.section	.rodata,"a",@progbits
	.p2align	6, 0x0
	.amdhsa_kernel _Z39paged_attention_ll4mi_QKV_mfma16_kernelIDF16_hLN4vllm18Fp8KVCacheDataTypeE1EhLi16ELi64ELi256ELb0ELi14EEvPKT_PKT0_S7_ifPKiS9_S9_iPKfiiiPfSC_PS2_PT2_iSB_SB_
		.amdhsa_group_segment_fixed_size 8192
		.amdhsa_private_segment_fixed_size 0
		.amdhsa_kernarg_size 400
		.amdhsa_user_sgpr_count 2
		.amdhsa_user_sgpr_dispatch_ptr 0
		.amdhsa_user_sgpr_queue_ptr 0
		.amdhsa_user_sgpr_kernarg_segment_ptr 1
		.amdhsa_user_sgpr_dispatch_id 0
		.amdhsa_user_sgpr_kernarg_preload_length 0
		.amdhsa_user_sgpr_kernarg_preload_offset 0
		.amdhsa_user_sgpr_private_segment_size 0
		.amdhsa_uses_dynamic_stack 0
		.amdhsa_enable_private_segment 0
		.amdhsa_system_sgpr_workgroup_id_x 1
		.amdhsa_system_sgpr_workgroup_id_y 1
		.amdhsa_system_sgpr_workgroup_id_z 1
		.amdhsa_system_sgpr_workgroup_info 0
		.amdhsa_system_vgpr_workitem_id 0
		.amdhsa_next_free_vgpr 58
		.amdhsa_next_free_sgpr 50
		.amdhsa_accum_offset 60
		.amdhsa_reserve_vcc 1
		.amdhsa_float_round_mode_32 0
		.amdhsa_float_round_mode_16_64 0
		.amdhsa_float_denorm_mode_32 3
		.amdhsa_float_denorm_mode_16_64 3
		.amdhsa_dx10_clamp 1
		.amdhsa_ieee_mode 1
		.amdhsa_fp16_overflow 0
		.amdhsa_tg_split 0
		.amdhsa_exception_fp_ieee_invalid_op 0
		.amdhsa_exception_fp_denorm_src 0
		.amdhsa_exception_fp_ieee_div_zero 0
		.amdhsa_exception_fp_ieee_overflow 0
		.amdhsa_exception_fp_ieee_underflow 0
		.amdhsa_exception_fp_ieee_inexact 0
		.amdhsa_exception_int_div_zero 0
	.end_amdhsa_kernel
	.section	.text._Z39paged_attention_ll4mi_QKV_mfma16_kernelIDF16_hLN4vllm18Fp8KVCacheDataTypeE1EhLi16ELi64ELi256ELb0ELi14EEvPKT_PKT0_S7_ifPKiS9_S9_iPKfiiiPfSC_PS2_PT2_iSB_SB_,"axG",@progbits,_Z39paged_attention_ll4mi_QKV_mfma16_kernelIDF16_hLN4vllm18Fp8KVCacheDataTypeE1EhLi16ELi64ELi256ELb0ELi14EEvPKT_PKT0_S7_ifPKiS9_S9_iPKfiiiPfSC_PS2_PT2_iSB_SB_,comdat
.Lfunc_end801:
	.size	_Z39paged_attention_ll4mi_QKV_mfma16_kernelIDF16_hLN4vllm18Fp8KVCacheDataTypeE1EhLi16ELi64ELi256ELb0ELi14EEvPKT_PKT0_S7_ifPKiS9_S9_iPKfiiiPfSC_PS2_PT2_iSB_SB_, .Lfunc_end801-_Z39paged_attention_ll4mi_QKV_mfma16_kernelIDF16_hLN4vllm18Fp8KVCacheDataTypeE1EhLi16ELi64ELi256ELb0ELi14EEvPKT_PKT0_S7_ifPKiS9_S9_iPKfiiiPfSC_PS2_PT2_iSB_SB_
                                        ; -- End function
	.section	.AMDGPU.csdata,"",@progbits
; Kernel info:
; codeLenInByte = 4640
; NumSgprs: 56
; NumVgprs: 58
; NumAgprs: 0
; TotalNumVgprs: 58
; ScratchSize: 0
; MemoryBound: 0
; FloatMode: 240
; IeeeMode: 1
; LDSByteSize: 8192 bytes/workgroup (compile time only)
; SGPRBlocks: 6
; VGPRBlocks: 7
; NumSGPRsForWavesPerEU: 56
; NumVGPRsForWavesPerEU: 58
; AccumOffset: 60
; Occupancy: 8
; WaveLimiterHint : 1
; COMPUTE_PGM_RSRC2:SCRATCH_EN: 0
; COMPUTE_PGM_RSRC2:USER_SGPR: 2
; COMPUTE_PGM_RSRC2:TRAP_HANDLER: 0
; COMPUTE_PGM_RSRC2:TGID_X_EN: 1
; COMPUTE_PGM_RSRC2:TGID_Y_EN: 1
; COMPUTE_PGM_RSRC2:TGID_Z_EN: 1
; COMPUTE_PGM_RSRC2:TIDIG_COMP_CNT: 0
; COMPUTE_PGM_RSRC3_GFX90A:ACCUM_OFFSET: 14
; COMPUTE_PGM_RSRC3_GFX90A:TG_SPLIT: 0
	.section	.text._Z39paged_attention_ll4mi_QKV_mfma16_kernelIDF16_hLN4vllm18Fp8KVCacheDataTypeE1EhLi16ELi64ELi256ELb0ELi15EEvPKT_PKT0_S7_ifPKiS9_S9_iPKfiiiPfSC_PS2_PT2_iSB_SB_,"axG",@progbits,_Z39paged_attention_ll4mi_QKV_mfma16_kernelIDF16_hLN4vllm18Fp8KVCacheDataTypeE1EhLi16ELi64ELi256ELb0ELi15EEvPKT_PKT0_S7_ifPKiS9_S9_iPKfiiiPfSC_PS2_PT2_iSB_SB_,comdat
	.protected	_Z39paged_attention_ll4mi_QKV_mfma16_kernelIDF16_hLN4vllm18Fp8KVCacheDataTypeE1EhLi16ELi64ELi256ELb0ELi15EEvPKT_PKT0_S7_ifPKiS9_S9_iPKfiiiPfSC_PS2_PT2_iSB_SB_ ; -- Begin function _Z39paged_attention_ll4mi_QKV_mfma16_kernelIDF16_hLN4vllm18Fp8KVCacheDataTypeE1EhLi16ELi64ELi256ELb0ELi15EEvPKT_PKT0_S7_ifPKiS9_S9_iPKfiiiPfSC_PS2_PT2_iSB_SB_
	.globl	_Z39paged_attention_ll4mi_QKV_mfma16_kernelIDF16_hLN4vllm18Fp8KVCacheDataTypeE1EhLi16ELi64ELi256ELb0ELi15EEvPKT_PKT0_S7_ifPKiS9_S9_iPKfiiiPfSC_PS2_PT2_iSB_SB_
	.p2align	8
	.type	_Z39paged_attention_ll4mi_QKV_mfma16_kernelIDF16_hLN4vllm18Fp8KVCacheDataTypeE1EhLi16ELi64ELi256ELb0ELi15EEvPKT_PKT0_S7_ifPKiS9_S9_iPKfiiiPfSC_PS2_PT2_iSB_SB_,@function
_Z39paged_attention_ll4mi_QKV_mfma16_kernelIDF16_hLN4vllm18Fp8KVCacheDataTypeE1EhLi16ELi64ELi256ELb0ELi15EEvPKT_PKT0_S7_ifPKiS9_S9_iPKfiiiPfSC_PS2_PT2_iSB_SB_: ; @_Z39paged_attention_ll4mi_QKV_mfma16_kernelIDF16_hLN4vllm18Fp8KVCacheDataTypeE1EhLi16ELi64ELi256ELb0ELi15EEvPKT_PKT0_S7_ifPKiS9_S9_iPKfiiiPfSC_PS2_PT2_iSB_SB_
; %bb.0:
	s_load_dwordx2 s[12:13], s[0:1], 0x30
	s_mov_b32 s28, s3
	s_mov_b64 s[6:7], 0
	s_waitcnt lgkmcnt(0)
	s_cmp_lg_u64 s[12:13], 0
	s_cselect_b64 s[14:15], -1, 0
	s_and_b64 vcc, exec, s[14:15]
	s_cbranch_vccz .LBB802_7
; %bb.1:
	s_add_i32 s8, s2, 1
	s_mov_b32 s9, 0
	s_lshl_b64 s[10:11], s[8:9], 2
	s_add_u32 s10, s12, s10
	s_mov_b32 s3, s9
	s_addc_u32 s11, s13, s11
	s_lshl_b64 s[8:9], s[2:3], 2
	s_add_u32 s8, s12, s8
	s_addc_u32 s9, s13, s9
	s_load_dword s5, s[10:11], 0x0
	s_load_dword s16, s[8:9], 0x0
	s_waitcnt lgkmcnt(0)
	s_sub_i32 s5, s5, s16
	s_cmp_eq_u32 s5, 1
	s_cselect_b64 s[8:9], -1, 0
	s_andn2_b64 vcc, exec, s[6:7]
	s_cbranch_vccnz .LBB802_3
.LBB802_2:
	s_mov_b32 s3, 0
	s_mov_b64 s[8:9], -1
.LBB802_3:
	s_andn2_b64 vcc, exec, s[8:9]
	s_cbranch_vccnz .LBB802_18
; %bb.4:
	s_load_dwordx2 s[6:7], s[0:1], 0x28
	s_lshl_b64 s[16:17], s[2:3], 2
	s_waitcnt lgkmcnt(0)
	s_add_u32 s6, s6, s16
	s_addc_u32 s7, s7, s17
	s_load_dword s33, s[6:7], 0x0
	s_lshl_b32 s5, s28, 8
	s_waitcnt lgkmcnt(0)
	s_cmp_ge_i32 s5, s33
	s_cbranch_scc1 .LBB802_18
; %bb.5:
	s_load_dwordx2 s[6:7], s[0:1], 0x20
	s_load_dword s8, s[0:1], 0x38
	s_add_i32 s9, s33, 15
	s_ashr_i32 s10, s9, 31
	v_and_b32_e32 v1, 0xcf, v0
	s_lshr_b32 s10, s10, 28
	v_add_u32_e32 v1, s5, v1
	s_add_i32 s9, s9, s10
	v_ashrrev_i32_e32 v2, 31, v1
	s_ashr_i32 s18, s9, 4
	v_lshrrev_b32_e32 v4, 28, v2
	s_add_i32 s18, s18, -1
	s_waitcnt lgkmcnt(0)
	s_mul_i32 s8, s2, s8
	s_mov_b32 s9, 0
	v_add_u32_e32 v2, v1, v4
	s_lshl_b64 s[8:9], s[8:9], 2
	v_ashrrev_i32_e32 v2, 4, v2
	v_mov_b32_e32 v5, s18
	v_cmp_gt_i32_e32 vcc, s33, v1
	s_add_u32 s6, s6, s8
	s_addc_u32 s7, s7, s9
	v_cndmask_b32_e32 v2, v5, v2, vcc
	v_ashrrev_i32_e32 v3, 31, v2
	v_lshl_add_u64 v[6:7], v[2:3], 2, s[6:7]
	v_or_b32_e32 v2, 16, v1
	v_add_u32_e32 v3, v2, v4
	v_ashrrev_i32_e32 v3, 4, v3
	v_cmp_gt_i32_e32 vcc, s33, v2
	s_load_dwordx4 s[8:11], s[0:1], 0x8
	s_nop 0
	v_cndmask_b32_e32 v2, v5, v3, vcc
	v_ashrrev_i32_e32 v3, 31, v2
	v_lshl_add_u64 v[8:9], v[2:3], 2, s[6:7]
	v_or_b32_e32 v2, 32, v1
	v_add_u32_e32 v3, v2, v4
	v_ashrrev_i32_e32 v3, 4, v3
	v_cmp_gt_i32_e32 vcc, s33, v2
	v_or_b32_e32 v1, 48, v1
	s_nop 0
	v_cndmask_b32_e32 v2, v5, v3, vcc
	v_ashrrev_i32_e32 v3, 31, v2
	v_lshl_add_u64 v[10:11], v[2:3], 2, s[6:7]
	v_add_u32_e32 v2, v1, v4
	v_ashrrev_i32_e32 v2, 4, v2
	v_cmp_gt_i32_e32 vcc, s33, v1
	s_nop 1
	v_cndmask_b32_e32 v2, v5, v2, vcc
	v_ashrrev_i32_e32 v3, 31, v2
	v_lshl_add_u64 v[12:13], v[2:3], 2, s[6:7]
	global_load_dword v4, v[6:7], off
	global_load_dword v3, v[8:9], off
	;; [unrolled: 1-line block ×4, first 2 shown]
	s_andn2_b64 vcc, exec, s[14:15]
	s_cbranch_vccnz .LBB802_8
; %bb.6:
	s_add_u32 s12, s12, s16
	s_addc_u32 s13, s13, s17
	s_load_dword s14, s[12:13], 0x0
	s_branch .LBB802_9
.LBB802_7:
	s_mov_b64 s[8:9], 0
	s_branch .LBB802_2
.LBB802_8:
	s_mov_b32 s14, s2
.LBB802_9:
	s_load_dwordx4 s[44:47], s[0:1], 0x48
	v_lshrrev_b32_e32 v29, 6, v0
	v_bfe_u32 v42, v0, 4, 2
	v_lshl_or_b32 v5, v29, 2, v42
	v_and_b32_e32 v28, 15, v0
	v_lshlrev_b32_e32 v1, 3, v28
	v_cmp_gt_u32_e32 vcc, 15, v5
	v_cmp_gt_u32_e64 s[30:31], 8, v28
	v_and_b32_e32 v43, 63, v0
	s_mul_i32 s48, s4, 15
	s_and_b64 s[16:17], s[30:31], vcc
	v_lshlrev_b32_e32 v26, 1, v1
	v_lshlrev_b32_e32 v1, 4, v0
	s_and_saveexec_b64 s[12:13], s[16:17]
	s_cbranch_execz .LBB802_11
; %bb.10:
	s_load_dwordx2 s[16:17], s[0:1], 0x0
	s_waitcnt lgkmcnt(0)
	s_ashr_i32 s15, s44, 31
	s_mul_hi_u32 s19, s14, s44
	s_mul_i32 s15, s14, s15
	s_add_i32 s15, s19, s15
	s_mul_i32 s14, s14, s44
	s_lshl_b64 s[14:15], s[14:15], 1
	s_add_u32 s14, s16, s14
	v_add_lshl_u32 v6, v5, s48, 6
	s_addc_u32 s15, s17, s15
	v_ashrrev_i32_e32 v7, 31, v6
	v_lshl_add_u64 v[6:7], v[6:7], 1, s[14:15]
	v_mov_b32_e32 v27, 0
	v_lshl_add_u64 v[6:7], v[6:7], 0, v[26:27]
	global_load_dwordx4 v[6:9], v[6:7], off
	v_lshlrev_b32_e32 v11, 8, v28
	v_lshlrev_b32_e32 v5, 5, v5
	v_and_b32_e32 v10, 16, v1
	v_and_b32_e32 v11, 0xe00, v11
	v_or3_b32 v5, v11, v5, v10
	s_waitcnt vmcnt(0)
	ds_write_b128 v5, v[6:9]
.LBB802_11:
	s_or_b64 exec, exec, s[12:13]
	s_waitcnt lgkmcnt(0)
	s_mul_i32 s4, s4, s46
	s_add_u32 s8, s8, s4
	v_mov_b32_e32 v31, 0
	s_addc_u32 s9, s9, 0
	v_and_b32_e32 v8, 48, v0
	v_and_b32_e32 v30, 0xf0, v1
	v_lshl_add_u64 v[6:7], s[8:9], 0, v[30:31]
	v_lshlrev_b32_e32 v30, 4, v8
	v_lshl_add_u64 v[16:17], v[6:7], 0, v[30:31]
	s_waitcnt vmcnt(3)
	v_mad_i64_i32 v[4:5], s[8:9], v4, s45, v[16:17]
	s_load_dword s29, s[0:1], 0x98
	s_load_dwordx4 s[40:43], s[0:1], 0x80
	s_waitcnt lgkmcnt(0)
	s_barrier
	global_load_dwordx4 v[22:25], v[4:5], off
	s_waitcnt vmcnt(3)
	v_mad_i64_i32 v[4:5], s[8:9], v3, s45, v[16:17]
	global_load_dwordx4 v[18:21], v[4:5], off
	v_or_b32_e32 v6, s5, v8
	v_mov_b32_e32 v27, s18
	v_ashrrev_i32_e32 v3, 4, v6
	v_cmp_gt_i32_e32 vcc, s33, v6
	v_or_b32_e32 v15, 64, v6
	v_ashrrev_i32_e32 v32, 4, v15
	v_cndmask_b32_e32 v4, v27, v3, vcc
	s_waitcnt vmcnt(3)
	v_mad_i64_i32 v[2:3], s[8:9], v2, s45, v[16:17]
	global_load_dwordx4 v[10:13], v[2:3], off
	v_cmp_ne_u32_e32 vcc, 15, v28
	v_ashrrev_i32_e32 v5, 31, v4
	v_lshl_add_u64 v[4:5], v[4:5], 2, s[6:7]
	v_cndmask_b32_e32 v2, 0, v28, vcc
	v_lshlrev_b32_e32 v2, 5, v2
	v_lshl_or_b32 v2, v42, 9, v2
	v_cmp_gt_i32_e32 vcc, s33, v15
	s_waitcnt vmcnt(3)
	v_mad_i64_i32 v[14:15], s[12:13], v14, s45, v[16:17]
	global_load_dword v56, v[4:5], off
	v_or_b32_e32 v33, 0x80, v6
	v_or_b32_e32 v35, 0xc0, v6
	ds_read_b128 v[6:9], v2
	ds_read_b128 v[2:5], v2 offset:16
	global_load_dwordx4 v[14:17], v[14:15], off
	v_ashrrev_i32_e32 v34, 4, v33
	v_cndmask_b32_e32 v32, v27, v32, vcc
	v_cmp_gt_i32_e32 vcc, s33, v33
	v_ashrrev_i32_e32 v36, 4, v35
	v_ashrrev_i32_e32 v33, 31, v32
	v_cndmask_b32_e32 v34, v27, v34, vcc
	v_cmp_gt_i32_e32 vcc, s33, v35
	v_ashrrev_i32_e32 v35, 31, v34
	v_lshl_add_u64 v[32:33], v[32:33], 2, s[6:7]
	v_cndmask_b32_e32 v36, v27, v36, vcc
	v_ashrrev_i32_e32 v37, 31, v36
	v_lshl_add_u64 v[34:35], v[34:35], 2, s[6:7]
	s_add_u32 s8, s10, s4
	s_load_dword s4, s[40:41], 0x0
	v_lshl_add_u64 v[36:37], v[36:37], 2, s[6:7]
	global_load_dword v45, v[32:33], off
	global_load_dword v27, v[34:35], off
	;; [unrolled: 1-line block ×3, first 2 shown]
	s_load_dword s14, s[0:1], 0x1c
	s_mov_b32 s44, 0xff7fffff
	v_lshlrev_b32_e32 v30, 4, v28
	s_addc_u32 s9, s11, 0
	v_lshl_or_b32 v30, v29, 8, v30
	s_waitcnt lgkmcnt(0)
	v_mov_b32_e32 v57, s14
	v_lshl_add_u64 v[30:31], s[8:9], 0, v[30:31]
	s_waitcnt vmcnt(7)
	v_cvt_pk_f32_fp8_e32 v[32:33], v22
	v_cvt_pk_f32_fp8_sdwa v[34:35], v22 src0_sel:WORD_1
	v_cvt_pk_f32_fp8_e32 v[36:37], v23
	v_cvt_pk_f32_fp8_sdwa v[38:39], v23 src0_sel:WORD_1
	s_waitcnt vmcnt(6)
	v_cvt_pk_f32_fp8_e32 v[22:23], v18
	v_cvt_pk_f32_fp8_sdwa v[50:51], v18 src0_sel:WORD_1
	v_cvt_pkrtz_f16_f32 v32, v32, v33
	v_cvt_pkrtz_f16_f32 v33, v34, v35
	v_cvt_pk_f32_fp8_e32 v[54:55], v19
	v_cvt_pkrtz_f16_f32 v34, v22, v23
	v_cvt_pkrtz_f16_f32 v35, v50, v51
	v_cvt_pk_f32_fp8_sdwa v[18:19], v19 src0_sel:WORD_1
	v_cvt_pkrtz_f16_f32 v36, v36, v37
	v_cvt_pkrtz_f16_f32 v37, v38, v39
	v_cvt_pk_f32_fp8_e32 v[40:41], v24
	v_cvt_pk_f32_fp8_sdwa v[46:47], v24 src0_sel:WORD_1
	v_cvt_pk_f32_fp8_e32 v[48:49], v25
	v_cvt_pk_f32_fp8_sdwa v[52:53], v25 src0_sel:WORD_1
	v_mfma_f32_16x16x16_f16 v[22:25], v[32:33], v[6:7], 0
	v_cvt_pkrtz_f16_f32 v50, v54, v55
	v_cvt_pkrtz_f16_f32 v51, v18, v19
	v_cvt_pk_f32_fp8_e32 v[38:39], v20
	v_mfma_f32_16x16x16_f16 v[32:35], v[34:35], v[6:7], 0
	v_cvt_pk_f32_fp8_sdwa v[18:19], v20 src0_sel:WORD_1
	v_mfma_f32_16x16x16_f16 v[22:25], v[36:37], v[8:9], v[22:25]
	v_cvt_pkrtz_f16_f32 v36, v40, v41
	v_cvt_pkrtz_f16_f32 v37, v46, v47
	v_cvt_pk_f32_fp8_e32 v[40:41], v21
	v_mfma_f32_16x16x16_f16 v[32:35], v[50:51], v[8:9], v[32:35]
	v_cvt_pkrtz_f16_f32 v46, v48, v49
	v_cvt_pkrtz_f16_f32 v47, v52, v53
	v_cvt_pk_f32_fp8_sdwa v[48:49], v21 src0_sel:WORD_1
	v_cvt_pkrtz_f16_f32 v50, v38, v39
	v_cvt_pkrtz_f16_f32 v51, v18, v19
	v_mfma_f32_16x16x16_f16 v[22:25], v[36:37], v[2:3], v[22:25]
	v_cvt_pkrtz_f16_f32 v18, v40, v41
	v_cvt_pkrtz_f16_f32 v19, v48, v49
	s_waitcnt vmcnt(5)
	v_cvt_pk_f32_fp8_sdwa v[40:41], v13 src0_sel:WORD_1
	v_mfma_f32_16x16x16_f16 v[36:39], v[46:47], v[4:5], v[22:25]
	s_waitcnt vmcnt(4)
	v_mad_i64_i32 v[20:21], s[6:7], v56, s45, v[30:31]
	v_mfma_f32_16x16x16_f16 v[22:25], v[50:51], v[2:3], v[32:35]
	v_mul_f32_e32 v50, s4, v57
	s_nop 1
	v_cvt_pk_f32_fp8_e32 v[32:33], v10
	v_cvt_pk_f32_fp8_sdwa v[34:35], v10 src0_sel:WORD_1
	v_mfma_f32_16x16x16_f16 v[46:49], v[18:19], v[4:5], v[22:25]
	v_cvt_pk_f32_fp8_e32 v[18:19], v11
	v_cvt_pk_f32_fp8_sdwa v[10:11], v11 src0_sel:WORD_1
	v_cvt_pkrtz_f16_f32 v18, v18, v19
	v_cvt_pkrtz_f16_f32 v22, v32, v33
	;; [unrolled: 1-line block ×3, first 2 shown]
	v_cvt_pk_f32_fp8_e32 v[32:33], v12
	v_cvt_pk_f32_fp8_sdwa v[34:35], v12 src0_sel:WORD_1
	v_cvt_pkrtz_f16_f32 v19, v10, v11
	v_mfma_f32_16x16x16_f16 v[22:25], v[22:23], v[6:7], 0
	v_cvt_pkrtz_f16_f32 v32, v32, v33
	v_cvt_pkrtz_f16_f32 v33, v34, v35
	v_cvt_pk_f32_fp8_e32 v[34:35], v13
	v_mfma_f32_16x16x16_f16 v[10:13], v[18:19], v[8:9], v[22:25]
	v_cvt_pkrtz_f16_f32 v19, v40, v41
	s_waitcnt vmcnt(3)
	v_cvt_pk_f32_fp8_sdwa v[40:41], v16 src0_sel:WORD_1
	v_cvt_pkrtz_f16_f32 v18, v34, v35
	v_mfma_f32_16x16x16_f16 v[10:13], v[32:33], v[2:3], v[10:13]
	v_cvt_pk_f32_fp8_e32 v[24:25], v14
	v_cvt_pk_f32_fp8_sdwa v[32:33], v14 src0_sel:WORD_1
	v_pk_mul_f32 v[22:23], v[50:51], v[38:39] op_sel_hi:[0,1]
	v_mfma_f32_16x16x16_f16 v[10:13], v[18:19], v[4:5], v[10:13]
	v_cvt_pk_f32_fp8_e32 v[18:19], v15
	v_cvt_pkrtz_f16_f32 v24, v24, v25
	v_cvt_pkrtz_f16_f32 v25, v32, v33
	v_cvt_pk_f32_fp8_sdwa v[14:15], v15 src0_sel:WORD_1
	v_cvt_pkrtz_f16_f32 v18, v18, v19
	v_cvt_pk_f32_fp8_e32 v[32:33], v16
	v_pk_mul_f32 v[34:35], v[50:51], v[36:37] op_sel_hi:[0,1]
	v_cvt_pkrtz_f16_f32 v19, v14, v15
	v_mfma_f32_16x16x16_f16 v[36:39], v[24:25], v[6:7], 0
	v_cvt_pkrtz_f16_f32 v14, v32, v33
	v_cvt_pkrtz_f16_f32 v15, v40, v41
	v_cvt_pk_f32_fp8_e32 v[24:25], v17
	v_cvt_pk_f32_fp8_sdwa v[16:17], v17 src0_sel:WORD_1
	v_mfma_f32_16x16x16_f16 v[6:9], v[18:19], v[8:9], v[36:39]
	v_pk_mul_f32 v[40:41], v[50:51], v[46:47] op_sel_hi:[0,1]
	v_cvt_pkrtz_f16_f32 v18, v24, v25
	v_cvt_pkrtz_f16_f32 v19, v16, v17
	v_mfma_f32_16x16x16_f16 v[6:9], v[14:15], v[2:3], v[6:9]
	v_pk_mul_f32 v[36:37], v[50:51], v[48:49] op_sel_hi:[0,1]
	v_pk_mul_f32 v[38:39], v[50:51], v[10:11] op_sel_hi:[0,1]
	;; [unrolled: 1-line block ×3, first 2 shown]
	v_mfma_f32_16x16x16_f16 v[2:5], v[18:19], v[4:5], v[6:9]
	s_nop 6
	v_pk_mul_f32 v[24:25], v[50:51], v[2:3] op_sel_hi:[0,1]
	v_and_b32_e32 v2, 0xc0, v0
	v_add_u32_e32 v2, s5, v2
	v_lshl_or_b32 v2, v42, 2, v2
	v_pk_mul_f32 v[18:19], v[50:51], v[4:5] op_sel_hi:[0,1]
	v_or_b32_e32 v5, 1, v2
	v_mov_b32_e32 v3, 0xff7fffff
	v_cmp_gt_i32_e64 s[4:5], s33, v2
	v_cmp_gt_i32_e64 s[34:35], s33, v5
	v_or_b32_e32 v6, 3, v2
	v_cndmask_b32_e64 v4, v3, v34, s[4:5]
	v_cndmask_b32_e64 v5, v3, v35, s[34:35]
	v_max3_f32 v4, v4, s44, v5
	v_or_b32_e32 v5, 2, v2
	v_cmp_gt_i32_e64 s[36:37], s33, v5
	v_cmp_gt_i32_e64 s[38:39], s33, v6
	s_nop 0
	v_cndmask_b32_e64 v5, v3, v22, s[36:37]
	v_cndmask_b32_e64 v6, v3, v23, s[38:39]
	v_max3_f32 v4, v4, v5, v6
	v_or_b32_e32 v5, 16, v2
	v_or_b32_e32 v6, 17, v2
	v_cmp_gt_i32_e64 s[24:25], s33, v5
	v_cmp_gt_i32_e64 s[26:27], s33, v6
	s_nop 0
	v_cndmask_b32_e64 v5, v3, v40, s[24:25]
	v_cndmask_b32_e64 v6, v3, v41, s[26:27]
	v_max3_f32 v4, v4, v5, v6
	v_or_b32_e32 v5, 18, v2
	;; [unrolled: 8-line block ×6, first 2 shown]
	v_or_b32_e32 v2, 51, v2
	v_cmp_gt_i32_e32 vcc, s33, v5
	v_cmp_gt_i32_e64 s[6:7], s33, v2
	s_nop 0
	v_cndmask_b32_e32 v5, v3, v18, vcc
	v_cndmask_b32_e64 v2, v3, v19, s[6:7]
	v_max3_f32 v4, v4, v5, v2
	v_mbcnt_lo_u32_b32 v2, -1, 0
	v_mbcnt_hi_u32_b32 v5, -1, v2
	v_and_b32_e32 v2, 64, v5
	v_add_u32_e32 v6, 64, v2
	v_xor_b32_e32 v2, 32, v5
	v_cmp_lt_i32_e64 s[40:41], v2, v6
	s_nop 1
	v_cndmask_b32_e64 v2, v5, v2, s[40:41]
	v_lshlrev_b32_e32 v46, 2, v2
	ds_bpermute_b32 v7, v46, v4
	s_waitcnt vmcnt(2)
	v_mad_i64_i32 v[2:3], s[40:41], v45, s45, v[30:31]
	global_load_dwordx4 v[14:17], v[20:21], off
	global_load_dwordx4 v[10:13], v[2:3], off
	v_xor_b32_e32 v3, 16, v5
	v_cmp_lt_i32_e64 s[40:41], v3, v6
	s_waitcnt lgkmcnt(0)
	v_max_f32_e32 v2, v7, v7
	v_max_f32_e32 v2, v4, v2
	v_cndmask_b32_e64 v3, v5, v3, s[40:41]
	v_lshlrev_b32_e32 v45, 2, v3
	ds_bpermute_b32 v3, v45, v2
	s_waitcnt vmcnt(3)
	v_mad_i64_i32 v[20:21], s[40:41], v27, s45, v[30:31]
	s_waitcnt vmcnt(2)
	v_mad_i64_i32 v[30:31], s[40:41], v44, s45, v[30:31]
	s_waitcnt lgkmcnt(0)
	v_max_f32_e32 v3, v3, v3
	v_max_f32_e32 v27, v2, v3
	v_sub_f32_e32 v2, v34, v27
	v_mul_f32_e32 v2, 0x3fb8aa3b, v2
	v_exp_f32_e32 v34, v2
	v_sub_f32_e32 v2, v35, v27
	v_mul_f32_e32 v2, 0x3fb8aa3b, v2
	v_exp_f32_e32 v35, v2
	global_load_dwordx4 v[6:9], v[20:21], off
	global_load_dwordx4 v[2:5], v[30:31], off
	v_sub_f32_e32 v22, v22, v27
	v_mul_f32_e32 v22, 0x3fb8aa3b, v22
	v_sub_f32_e32 v23, v23, v27
	v_exp_f32_e32 v22, v22
	v_mul_f32_e32 v23, 0x3fb8aa3b, v23
	v_exp_f32_e32 v23, v23
	v_cndmask_b32_e64 v20, 0, v34, s[4:5]
	v_add_f32_e32 v30, 0, v20
	v_cndmask_b32_e64 v21, 0, v35, s[34:35]
	v_add_f32_e32 v30, v30, v21
	;; [unrolled: 2-line block ×3, first 2 shown]
	v_cndmask_b32_e64 v35, 0, v23, s[38:39]
	v_sub_f32_e32 v23, v40, v27
	v_sub_f32_e32 v30, v41, v27
	v_mul_f32_e32 v23, 0x3fb8aa3b, v23
	v_mul_f32_e32 v30, 0x3fb8aa3b, v30
	v_exp_f32_e32 v23, v23
	v_exp_f32_e32 v30, v30
	v_add_f32_e32 v31, v22, v35
	v_sub_f32_e32 v32, v32, v27
	v_cndmask_b32_e64 v22, 0, v23, s[24:25]
	v_cndmask_b32_e64 v23, 0, v30, s[26:27]
	v_sub_f32_e32 v30, v36, v27
	v_mul_f32_e32 v30, 0x3fb8aa3b, v30
	v_exp_f32_e32 v30, v30
	v_sub_f32_e32 v36, v37, v27
	v_add_f32_e32 v31, v31, v22
	v_mul_f32_e32 v36, 0x3fb8aa3b, v36
	v_exp_f32_e32 v37, v36
	v_add_f32_e32 v31, v31, v23
	v_cndmask_b32_e64 v36, 0, v30, s[20:21]
	v_add_f32_e32 v30, v31, v36
	v_sub_f32_e32 v31, v38, v27
	v_mul_f32_e32 v31, 0x3fb8aa3b, v31
	v_sub_f32_e32 v38, v39, v27
	v_exp_f32_e32 v31, v31
	v_mul_f32_e32 v38, 0x3fb8aa3b, v38
	v_exp_f32_e32 v38, v38
	v_mul_f32_e32 v32, 0x3fb8aa3b, v32
	v_sub_f32_e32 v33, v33, v27
	v_exp_f32_e32 v32, v32
	v_mul_f32_e32 v33, 0x3fb8aa3b, v33
	v_sub_f32_e32 v24, v24, v27
	v_cndmask_b32_e64 v37, 0, v37, s[22:23]
	v_exp_f32_e32 v33, v33
	v_mul_f32_e32 v24, 0x3fb8aa3b, v24
	v_sub_f32_e32 v25, v25, v27
	v_add_f32_e32 v39, v30, v37
	v_cndmask_b32_e64 v30, 0, v31, s[16:17]
	v_exp_f32_e32 v24, v24
	v_mul_f32_e32 v25, 0x3fb8aa3b, v25
	v_sub_f32_e32 v18, v18, v27
	v_add_f32_e32 v39, v39, v30
	;; [unrolled: 5-line block ×3, first 2 shown]
	v_cndmask_b32_e64 v32, 0, v32, s[12:13]
	v_exp_f32_e32 v18, v18
	v_mul_f32_e32 v19, 0x3fb8aa3b, v19
	v_add_f32_e32 v38, v38, v32
	v_cndmask_b32_e64 v33, 0, v33, s[14:15]
	v_exp_f32_e32 v19, v19
	v_add_f32_e32 v38, v38, v33
	v_cndmask_b32_e64 v24, 0, v24, s[8:9]
	v_add_f32_e32 v38, v38, v24
	v_cndmask_b32_e64 v25, 0, v25, s[10:11]
	v_add_f32_e32 v38, v38, v25
	v_cndmask_b32_e32 v18, 0, v18, vcc
	v_add_f32_e32 v38, v38, v18
	v_cndmask_b32_e64 v19, 0, v19, s[6:7]
	v_add_f32_e32 v38, v38, v19
	ds_bpermute_b32 v39, v46, v38
	v_cmp_gt_u32_e32 vcc, 16, v43
	s_waitcnt lgkmcnt(0)
	s_barrier
	v_add_f32_e32 v39, v38, v39
	ds_bpermute_b32 v40, v45, v39
	v_lshlrev_b32_e32 v38, 2, v28
	s_and_saveexec_b64 s[4:5], vcc
	s_cbranch_execz .LBB802_13
; %bb.12:
	s_waitcnt lgkmcnt(0)
	v_add_f32_e32 v39, v39, v40
	v_lshl_or_b32 v40, v29, 6, v38
	ds_write2st64_b32 v40, v27, v39 offset1:1
.LBB802_13:
	s_or_b64 exec, exec, s[4:5]
	s_load_dword s6, s[0:1], 0x94
	s_waitcnt lgkmcnt(0)
	s_barrier
	ds_read2_b32 v[40:41], v38 offset1:16
	ds_read2_b32 v[44:45], v38 offset0:32 offset1:48
	ds_read2_b32 v[46:47], v38 offset0:64 offset1:80
	s_mul_i32 s7, s29, 15
	s_waitcnt lgkmcnt(2)
	v_max3_f32 v27, v40, s44, v41
	s_waitcnt lgkmcnt(1)
	v_max3_f32 v27, v27, v44, v45
	v_sub_f32_e32 v39, v40, v27
	v_sub_f32_e32 v40, v41, v27
	v_mul_f32_e32 v40, 0x3fb8aa3b, v40
	v_mul_f32_e32 v39, 0x3fb8aa3b, v39
	v_exp_f32_e32 v43, v40
	v_sub_f32_e32 v40, v44, v27
	v_exp_f32_e32 v39, v39
	v_mul_f32_e32 v40, 0x3fb8aa3b, v40
	v_exp_f32_e32 v44, v40
	ds_read2_b32 v[40:41], v38 offset0:96 offset1:112
	v_sub_f32_e32 v38, v45, v27
	v_mul_f32_e32 v38, 0x3fb8aa3b, v38
	v_exp_f32_e32 v45, v38
	s_waitcnt lgkmcnt(1)
	v_fma_f32 v38, v39, v46, 0
	v_fmac_f32_e32 v38, v43, v47
	s_waitcnt lgkmcnt(0)
	v_fmac_f32_e32 v38, v44, v40
	v_fmac_f32_e32 v38, v45, v41
	v_add_f32_e32 v40, 0x358637bd, v38
	v_div_scale_f32 v41, s[4:5], v40, v40, 1.0
	v_rcp_f32_e32 v46, v41
	s_barrier
	v_fma_f32 v47, -v41, v46, 1.0
	v_fmac_f32_e32 v46, v47, v46
	v_div_scale_f32 v47, vcc, 1.0, v40, 1.0
	v_mul_f32_e32 v48, v47, v46
	v_fma_f32 v49, -v41, v48, v47
	v_fmac_f32_e32 v48, v49, v46
	v_fma_f32 v41, -v41, v48, v47
	v_div_fmas_f32 v41, v41, v46, v48
	v_cmp_eq_u32_e32 vcc, 1, v29
	v_div_fixup_f32 v40, v41, v40, 1.0
	s_nop 0
	v_cndmask_b32_e32 v39, v39, v43, vcc
	v_cmp_eq_u32_e32 vcc, 2, v29
	s_nop 1
	v_cndmask_b32_e32 v39, v39, v44, vcc
	v_cmp_eq_u32_e32 vcc, 3, v29
	v_lshlrev_b32_e32 v29, 11, v29
	s_nop 0
	v_cndmask_b32_e32 v39, v39, v45, vcc
	v_mul_f32_e32 v40, v39, v40
	v_pk_mul_f32 v[20:21], v[40:41], v[20:21] op_sel_hi:[0,1]
	v_pk_mul_f32 v[34:35], v[40:41], v[34:35] op_sel_hi:[0,1]
	v_cvt_f16_f32_e32 v20, v20
	v_cvt_f16_f32_e32 v21, v21
	v_pk_mul_f32 v[36:37], v[40:41], v[36:37] op_sel_hi:[0,1]
	v_pk_mul_f32 v[22:23], v[40:41], v[22:23] op_sel_hi:[0,1]
	v_cvt_f16_f32_e32 v39, v34
	v_cvt_f16_f32_e32 v35, v35
	;; [unrolled: 1-line block ×6, first 2 shown]
	v_pack_b32_f16 v34, v20, v21
	v_lshlrev_b32_e32 v20, 3, v42
	v_lshlrev_b32_e32 v21, 5, v28
	v_pack_b32_f16 v35, v39, v35
	v_or3_b32 v20, v29, v21, v20
	v_pack_b32_f16 v22, v22, v23
	v_pack_b32_f16 v23, v36, v37
	ds_write2st64_b64 v20, v[34:35], v[22:23] offset1:1
	v_pk_mul_f32 v[22:23], v[40:41], v[32:33] op_sel_hi:[0,1]
	v_pk_mul_f32 v[30:31], v[40:41], v[30:31] op_sel_hi:[0,1]
	v_cvt_f16_f32_e32 v29, v30
	v_cvt_f16_f32_e32 v30, v31
	;; [unrolled: 1-line block ×4, first 2 shown]
	v_pk_mul_f32 v[18:19], v[40:41], v[18:19] op_sel_hi:[0,1]
	v_pk_mul_f32 v[22:23], v[40:41], v[24:25] op_sel_hi:[0,1]
	v_cvt_f16_f32_e32 v22, v22
	v_cvt_f16_f32_e32 v23, v23
	;; [unrolled: 1-line block ×4, first 2 shown]
	v_pack_b32_f16 v18, v29, v30
	v_pack_b32_f16 v19, v31, v32
	;; [unrolled: 1-line block ×4, first 2 shown]
	v_cmp_gt_u32_e32 vcc, 15, v0
	ds_write2st64_b64 v20, v[18:19], v[22:23] offset0:2 offset1:3
	s_and_saveexec_b64 s[4:5], vcc
	s_cbranch_execz .LBB802_15
; %bb.14:
	s_mov_b32 s49, 0
	v_mov_b32_e32 v29, 0
	v_lshl_add_u64 v[18:19], s[48:49], 0, v[28:29]
	v_mov_b32_e32 v22, s7
	v_mad_u64_u32 v[18:19], s[12:13], s2, v22, v[18:19]
	s_mul_i32 s3, s3, s7
	v_mov_b32_e32 v28, s28
	s_load_dwordx4 s[8:11], s[0:1], 0x58
	v_add_u32_e32 v23, s3, v19
	v_mad_u64_u32 v[18:19], s[12:13], v18, s6, v[28:29]
	v_mov_b32_e32 v22, v19
	v_mad_u64_u32 v[22:23], s[12:13], v23, s6, v[22:23]
	v_mov_b32_e32 v19, v22
	v_lshlrev_b64 v[18:19], 2, v[18:19]
	s_waitcnt lgkmcnt(0)
	v_lshl_add_u64 v[22:23], s[10:11], 0, v[18:19]
	v_lshl_add_u64 v[18:19], s[8:9], 0, v[18:19]
	global_store_dword v[22:23], v27, off
	global_store_dword v[18:19], v38, off
.LBB802_15:
	s_or_b64 exec, exec, s[4:5]
	s_waitcnt vmcnt(3)
	v_cvt_pk_f32_fp8_e32 v[18:19], v14
	v_cvt_pk_f32_fp8_sdwa v[22:23], v14 src0_sel:WORD_1
	v_cvt_pk_f32_fp8_e32 v[24:25], v15
	v_lshl_or_b32 v14, v42, 9, v21
	s_waitcnt lgkmcnt(0)
	s_barrier
	v_cvt_pkrtz_f16_f32 v18, v18, v19
	v_cvt_pkrtz_f16_f32 v19, v22, v23
	v_cvt_pk_f32_fp8_sdwa v[28:29], v15 src0_sel:WORD_1
	v_cvt_pkrtz_f16_f32 v36, v24, v25
	ds_read_b128 v[22:25], v14
	v_cvt_pk_f32_fp8_e32 v[38:39], v16
	v_cvt_pkrtz_f16_f32 v37, v28, v29
	ds_read_b128 v[28:31], v14 offset:16
	v_cvt_pk_f32_fp8_sdwa v[40:41], v16 src0_sel:WORD_1
	s_waitcnt lgkmcnt(1)
	v_mfma_f32_16x16x16_f16 v[32:35], v[18:19], v[22:23], 0
	v_cvt_pkrtz_f16_f32 v18, v38, v39
	v_cvt_pk_f32_fp8_e32 v[38:39], v17
	v_cvt_pkrtz_f16_f32 v19, v40, v41
	v_mfma_f32_16x16x16_f16 v[22:25], v[36:37], v[24:25], v[32:35]
	s_waitcnt vmcnt(2)
	v_cvt_pk_f32_fp8_sdwa v[36:37], v12 src0_sel:WORD_1
	s_load_dword s4, s[42:43], 0x0
	v_cmp_gt_u32_e32 vcc, 64, v0
	v_cvt_pk_f32_fp8_sdwa v[32:33], v17 src0_sel:WORD_1
	v_cvt_pkrtz_f16_f32 v34, v38, v39
	s_waitcnt lgkmcnt(0)
	v_mfma_f32_16x16x16_f16 v[16:19], v[18:19], v[28:29], v[22:25]
	v_cvt_pk_f32_fp8_e32 v[28:29], v11
	v_cvt_pkrtz_f16_f32 v35, v32, v33
	s_mov_b32 s3, 0
	v_cvt_pk_f32_fp8_e32 v[22:23], v10
	v_cvt_pk_f32_fp8_sdwa v[24:25], v10 src0_sel:WORD_1
	v_mfma_f32_16x16x16_f16 v[16:19], v[34:35], v[30:31], v[16:19]
	v_cvt_pkrtz_f16_f32 v10, v22, v23
	v_cvt_pk_f32_fp8_sdwa v[30:31], v11 src0_sel:WORD_1
	v_cvt_pkrtz_f16_f32 v11, v24, v25
	ds_read_b128 v[22:25], v14 offset:2048
	v_cvt_pkrtz_f16_f32 v32, v28, v29
	v_cvt_pkrtz_f16_f32 v33, v30, v31
	ds_read_b128 v[28:31], v14 offset:2064
	v_cvt_pk_f32_fp8_e32 v[34:35], v12
	s_waitcnt lgkmcnt(1)
	v_mfma_f32_16x16x16_f16 v[16:19], v[10:11], v[22:23], v[16:19]
	v_cvt_pkrtz_f16_f32 v11, v36, v37
	v_cvt_pk_f32_fp8_e32 v[22:23], v13
	v_cvt_pkrtz_f16_f32 v10, v34, v35
	v_mfma_f32_16x16x16_f16 v[16:19], v[32:33], v[24:25], v[16:19]
	v_cvt_pk_f32_fp8_sdwa v[24:25], v13 src0_sel:WORD_1
	v_cvt_pkrtz_f16_f32 v22, v22, v23
	s_waitcnt vmcnt(1)
	v_cvt_pk_f32_fp8_sdwa v[32:33], v8 src0_sel:WORD_1
	s_waitcnt lgkmcnt(0)
	v_mfma_f32_16x16x16_f16 v[10:13], v[10:11], v[28:29], v[16:19]
	v_cvt_pkrtz_f16_f32 v23, v24, v25
	v_cvt_pk_f32_fp8_sdwa v[24:25], v7 src0_sel:WORD_1
	v_mov_b32_e32 v27, 0
	v_cvt_pk_f32_fp8_e32 v[16:17], v6
	v_cvt_pk_f32_fp8_sdwa v[18:19], v6 src0_sel:WORD_1
	v_mfma_f32_16x16x16_f16 v[10:13], v[22:23], v[30:31], v[10:13]
	v_cvt_pk_f32_fp8_e32 v[22:23], v7
	v_cvt_pkrtz_f16_f32 v6, v16, v17
	v_cvt_pkrtz_f16_f32 v7, v18, v19
	ds_read_b128 v[16:19], v14 offset:4096
	v_cvt_pkrtz_f16_f32 v28, v22, v23
	v_cvt_pkrtz_f16_f32 v29, v24, v25
	ds_read_b128 v[22:25], v14 offset:4112
	v_cvt_pk_f32_fp8_e32 v[30:31], v8
	s_waitcnt lgkmcnt(1)
	v_mfma_f32_16x16x16_f16 v[10:13], v[6:7], v[16:17], v[10:13]
	v_cvt_pkrtz_f16_f32 v7, v32, v33
	v_cvt_pk_f32_fp8_e32 v[16:17], v9
	v_cvt_pkrtz_f16_f32 v6, v30, v31
	v_mfma_f32_16x16x16_f16 v[10:13], v[28:29], v[18:19], v[10:13]
	v_cvt_pk_f32_fp8_sdwa v[18:19], v9 src0_sel:WORD_1
	v_cvt_pkrtz_f16_f32 v16, v16, v17
	v_cvt_pkrtz_f16_f32 v17, v18, v19
	s_waitcnt lgkmcnt(0)
	v_mfma_f32_16x16x16_f16 v[6:9], v[6:7], v[22:23], v[10:13]
	s_waitcnt vmcnt(0)
	v_cvt_pk_f32_fp8_sdwa v[18:19], v3 src0_sel:WORD_1
	s_nop 0
	v_cvt_pkrtz_f16_f32 v23, v18, v19
	v_cvt_pk_f32_fp8_e32 v[10:11], v2
	v_cvt_pk_f32_fp8_sdwa v[12:13], v2 src0_sel:WORD_1
	v_mfma_f32_16x16x16_f16 v[6:9], v[16:17], v[24:25], v[6:9]
	v_cvt_pk_f32_fp8_e32 v[16:17], v3
	v_cvt_pkrtz_f16_f32 v2, v10, v11
	v_cvt_pkrtz_f16_f32 v3, v12, v13
	ds_read_b128 v[10:13], v14 offset:6144
	v_cvt_pkrtz_f16_f32 v22, v16, v17
	v_cvt_pk_f32_fp8_e32 v[18:19], v4
	v_cvt_pk_f32_fp8_sdwa v[24:25], v4 src0_sel:WORD_1
	s_waitcnt lgkmcnt(0)
	v_mfma_f32_16x16x16_f16 v[6:9], v[2:3], v[10:11], v[6:9]
	ds_read_b128 v[14:17], v14 offset:6160
	v_cvt_pkrtz_f16_f32 v2, v18, v19
	v_cvt_pkrtz_f16_f32 v3, v24, v25
	v_cvt_pk_f32_fp8_e32 v[10:11], v5
	v_mfma_f32_16x16x16_f16 v[6:9], v[22:23], v[12:13], v[6:9]
	v_cvt_pk_f32_fp8_sdwa v[12:13], v5 src0_sel:WORD_1
	s_waitcnt lgkmcnt(0)
	v_cvt_pkrtz_f16_f32 v10, v10, v11
	v_mfma_f32_16x16x16_f16 v[2:5], v[2:3], v[14:15], v[6:9]
	v_cvt_pkrtz_f16_f32 v11, v12, v13
	s_barrier
	s_nop 0
	v_mfma_f32_16x16x16_f16 v[2:5], v[10:11], v[16:17], v[2:5]
	s_nop 6
	v_pk_mul_f32 v[4:5], v[4:5], s[4:5] op_sel_hi:[1,0]
	v_pk_mul_f32 v[2:3], v[2:3], s[4:5] op_sel_hi:[1,0]
	v_cvt_f16_f32_e32 v4, v4
	v_cvt_f16_f32_e32 v2, v2
	;; [unrolled: 1-line block ×4, first 2 shown]
	s_and_b64 s[4:5], vcc, s[30:31]
	v_pack_b32_f16 v2, v2, v3
	v_pack_b32_f16 v3, v4, v5
	ds_write_b64 v20, v[2:3]
	s_waitcnt lgkmcnt(0)
	s_barrier
	s_and_saveexec_b64 s[8:9], s[4:5]
	s_cbranch_execz .LBB802_18
; %bb.16:
	s_load_dwordx2 s[4:5], s[0:1], 0x68
	s_lshl_b32 s0, s6, 6
	s_mul_i32 s1, s7, s2
	s_mul_hi_u32 s7, s1, s0
	s_mul_i32 s6, s1, s0
	v_lshlrev_b32_e32 v0, 10, v0
	s_lshl_b64 s[6:7], s[6:7], 1
	v_and_b32_e32 v0, 0x1800, v0
	v_lshlrev_b32_e32 v2, 5, v42
	v_and_b32_e32 v1, 16, v1
	s_waitcnt lgkmcnt(0)
	s_add_u32 s1, s4, s6
	v_or3_b32 v2, v0, v2, v1
	s_addc_u32 s4, s5, s7
	s_lshl_b32 s2, s28, 6
	ds_read_b128 v[4:7], v2 offset:256
	s_lshl_b64 s[2:3], s[2:3], 1
	ds_read_b128 v[8:11], v2 offset:128
	ds_read_b128 v[12:15], v2
	s_add_u32 s2, s1, s2
	s_addc_u32 s3, s4, s3
	v_add_u32_e32 v3, s48, v42
	v_lshl_add_u64 v[0:1], s[2:3], 0, v[26:27]
	v_mad_u64_u32 v[16:17], s[2:3], v3, s0, 0
	v_lshl_add_u64 v[16:17], v[16:17], 1, v[0:1]
	s_waitcnt lgkmcnt(0)
	global_store_dwordx4 v[16:17], v[12:15], off
	v_cmp_ne_u32_e32 vcc, 3, v42
	s_nop 0
	v_add_u32_e32 v12, 4, v3
	v_mad_u64_u32 v[12:13], s[2:3], v12, s0, 0
	v_lshl_add_u64 v[12:13], v[12:13], 1, v[0:1]
	v_add_u32_e32 v3, 8, v3
	global_store_dwordx4 v[12:13], v[8:11], off
	s_nop 1
	v_mad_u64_u32 v[8:9], s[2:3], v3, s0, 0
	v_lshl_add_u64 v[8:9], v[8:9], 1, v[0:1]
	global_store_dwordx4 v[8:9], v[4:7], off
	s_and_b64 exec, exec, vcc
	s_cbranch_execz .LBB802_18
; %bb.17:
	ds_read_b128 v[2:5], v2 offset:384
	v_add3_u32 v6, s48, v42, 12
	v_mad_u64_u32 v[6:7], s[0:1], v6, s0, 0
	v_lshl_add_u64 v[0:1], v[6:7], 1, v[0:1]
	s_waitcnt lgkmcnt(0)
	global_store_dwordx4 v[0:1], v[2:5], off
.LBB802_18:
	s_endpgm
	.section	.rodata,"a",@progbits
	.p2align	6, 0x0
	.amdhsa_kernel _Z39paged_attention_ll4mi_QKV_mfma16_kernelIDF16_hLN4vllm18Fp8KVCacheDataTypeE1EhLi16ELi64ELi256ELb0ELi15EEvPKT_PKT0_S7_ifPKiS9_S9_iPKfiiiPfSC_PS2_PT2_iSB_SB_
		.amdhsa_group_segment_fixed_size 8192
		.amdhsa_private_segment_fixed_size 0
		.amdhsa_kernarg_size 400
		.amdhsa_user_sgpr_count 2
		.amdhsa_user_sgpr_dispatch_ptr 0
		.amdhsa_user_sgpr_queue_ptr 0
		.amdhsa_user_sgpr_kernarg_segment_ptr 1
		.amdhsa_user_sgpr_dispatch_id 0
		.amdhsa_user_sgpr_kernarg_preload_length 0
		.amdhsa_user_sgpr_kernarg_preload_offset 0
		.amdhsa_user_sgpr_private_segment_size 0
		.amdhsa_uses_dynamic_stack 0
		.amdhsa_enable_private_segment 0
		.amdhsa_system_sgpr_workgroup_id_x 1
		.amdhsa_system_sgpr_workgroup_id_y 1
		.amdhsa_system_sgpr_workgroup_id_z 1
		.amdhsa_system_sgpr_workgroup_info 0
		.amdhsa_system_vgpr_workitem_id 0
		.amdhsa_next_free_vgpr 58
		.amdhsa_next_free_sgpr 50
		.amdhsa_accum_offset 60
		.amdhsa_reserve_vcc 1
		.amdhsa_float_round_mode_32 0
		.amdhsa_float_round_mode_16_64 0
		.amdhsa_float_denorm_mode_32 3
		.amdhsa_float_denorm_mode_16_64 3
		.amdhsa_dx10_clamp 1
		.amdhsa_ieee_mode 1
		.amdhsa_fp16_overflow 0
		.amdhsa_tg_split 0
		.amdhsa_exception_fp_ieee_invalid_op 0
		.amdhsa_exception_fp_denorm_src 0
		.amdhsa_exception_fp_ieee_div_zero 0
		.amdhsa_exception_fp_ieee_overflow 0
		.amdhsa_exception_fp_ieee_underflow 0
		.amdhsa_exception_fp_ieee_inexact 0
		.amdhsa_exception_int_div_zero 0
	.end_amdhsa_kernel
	.section	.text._Z39paged_attention_ll4mi_QKV_mfma16_kernelIDF16_hLN4vllm18Fp8KVCacheDataTypeE1EhLi16ELi64ELi256ELb0ELi15EEvPKT_PKT0_S7_ifPKiS9_S9_iPKfiiiPfSC_PS2_PT2_iSB_SB_,"axG",@progbits,_Z39paged_attention_ll4mi_QKV_mfma16_kernelIDF16_hLN4vllm18Fp8KVCacheDataTypeE1EhLi16ELi64ELi256ELb0ELi15EEvPKT_PKT0_S7_ifPKiS9_S9_iPKfiiiPfSC_PS2_PT2_iSB_SB_,comdat
.Lfunc_end802:
	.size	_Z39paged_attention_ll4mi_QKV_mfma16_kernelIDF16_hLN4vllm18Fp8KVCacheDataTypeE1EhLi16ELi64ELi256ELb0ELi15EEvPKT_PKT0_S7_ifPKiS9_S9_iPKfiiiPfSC_PS2_PT2_iSB_SB_, .Lfunc_end802-_Z39paged_attention_ll4mi_QKV_mfma16_kernelIDF16_hLN4vllm18Fp8KVCacheDataTypeE1EhLi16ELi64ELi256ELb0ELi15EEvPKT_PKT0_S7_ifPKiS9_S9_iPKfiiiPfSC_PS2_PT2_iSB_SB_
                                        ; -- End function
	.section	.AMDGPU.csdata,"",@progbits
; Kernel info:
; codeLenInByte = 4640
; NumSgprs: 56
; NumVgprs: 58
; NumAgprs: 0
; TotalNumVgprs: 58
; ScratchSize: 0
; MemoryBound: 0
; FloatMode: 240
; IeeeMode: 1
; LDSByteSize: 8192 bytes/workgroup (compile time only)
; SGPRBlocks: 6
; VGPRBlocks: 7
; NumSGPRsForWavesPerEU: 56
; NumVGPRsForWavesPerEU: 58
; AccumOffset: 60
; Occupancy: 8
; WaveLimiterHint : 1
; COMPUTE_PGM_RSRC2:SCRATCH_EN: 0
; COMPUTE_PGM_RSRC2:USER_SGPR: 2
; COMPUTE_PGM_RSRC2:TRAP_HANDLER: 0
; COMPUTE_PGM_RSRC2:TGID_X_EN: 1
; COMPUTE_PGM_RSRC2:TGID_Y_EN: 1
; COMPUTE_PGM_RSRC2:TGID_Z_EN: 1
; COMPUTE_PGM_RSRC2:TIDIG_COMP_CNT: 0
; COMPUTE_PGM_RSRC3_GFX90A:ACCUM_OFFSET: 14
; COMPUTE_PGM_RSRC3_GFX90A:TG_SPLIT: 0
	.section	.text._Z39paged_attention_ll4mi_QKV_mfma16_kernelIDF16_hLN4vllm18Fp8KVCacheDataTypeE1EhLi16ELi64ELi256ELb0ELi16EEvPKT_PKT0_S7_ifPKiS9_S9_iPKfiiiPfSC_PS2_PT2_iSB_SB_,"axG",@progbits,_Z39paged_attention_ll4mi_QKV_mfma16_kernelIDF16_hLN4vllm18Fp8KVCacheDataTypeE1EhLi16ELi64ELi256ELb0ELi16EEvPKT_PKT0_S7_ifPKiS9_S9_iPKfiiiPfSC_PS2_PT2_iSB_SB_,comdat
	.protected	_Z39paged_attention_ll4mi_QKV_mfma16_kernelIDF16_hLN4vllm18Fp8KVCacheDataTypeE1EhLi16ELi64ELi256ELb0ELi16EEvPKT_PKT0_S7_ifPKiS9_S9_iPKfiiiPfSC_PS2_PT2_iSB_SB_ ; -- Begin function _Z39paged_attention_ll4mi_QKV_mfma16_kernelIDF16_hLN4vllm18Fp8KVCacheDataTypeE1EhLi16ELi64ELi256ELb0ELi16EEvPKT_PKT0_S7_ifPKiS9_S9_iPKfiiiPfSC_PS2_PT2_iSB_SB_
	.globl	_Z39paged_attention_ll4mi_QKV_mfma16_kernelIDF16_hLN4vllm18Fp8KVCacheDataTypeE1EhLi16ELi64ELi256ELb0ELi16EEvPKT_PKT0_S7_ifPKiS9_S9_iPKfiiiPfSC_PS2_PT2_iSB_SB_
	.p2align	8
	.type	_Z39paged_attention_ll4mi_QKV_mfma16_kernelIDF16_hLN4vllm18Fp8KVCacheDataTypeE1EhLi16ELi64ELi256ELb0ELi16EEvPKT_PKT0_S7_ifPKiS9_S9_iPKfiiiPfSC_PS2_PT2_iSB_SB_,@function
_Z39paged_attention_ll4mi_QKV_mfma16_kernelIDF16_hLN4vllm18Fp8KVCacheDataTypeE1EhLi16ELi64ELi256ELb0ELi16EEvPKT_PKT0_S7_ifPKiS9_S9_iPKfiiiPfSC_PS2_PT2_iSB_SB_: ; @_Z39paged_attention_ll4mi_QKV_mfma16_kernelIDF16_hLN4vllm18Fp8KVCacheDataTypeE1EhLi16ELi64ELi256ELb0ELi16EEvPKT_PKT0_S7_ifPKiS9_S9_iPKfiiiPfSC_PS2_PT2_iSB_SB_
; %bb.0:
	s_load_dwordx2 s[12:13], s[0:1], 0x30
	s_mov_b32 s28, s3
	s_mov_b64 s[6:7], 0
	s_waitcnt lgkmcnt(0)
	s_cmp_lg_u64 s[12:13], 0
	s_cselect_b64 s[14:15], -1, 0
	s_and_b64 vcc, exec, s[14:15]
	s_cbranch_vccz .LBB803_7
; %bb.1:
	s_add_i32 s8, s2, 1
	s_mov_b32 s9, 0
	s_lshl_b64 s[10:11], s[8:9], 2
	s_add_u32 s10, s12, s10
	s_mov_b32 s3, s9
	s_addc_u32 s11, s13, s11
	s_lshl_b64 s[8:9], s[2:3], 2
	s_add_u32 s8, s12, s8
	s_addc_u32 s9, s13, s9
	s_load_dword s5, s[10:11], 0x0
	s_load_dword s16, s[8:9], 0x0
	s_waitcnt lgkmcnt(0)
	s_sub_i32 s5, s5, s16
	s_cmp_eq_u32 s5, 1
	s_cselect_b64 s[8:9], -1, 0
	s_andn2_b64 vcc, exec, s[6:7]
	s_cbranch_vccnz .LBB803_3
.LBB803_2:
	s_mov_b32 s3, 0
	s_mov_b64 s[8:9], -1
.LBB803_3:
	s_andn2_b64 vcc, exec, s[8:9]
	s_cbranch_vccnz .LBB803_17
; %bb.4:
	s_load_dwordx2 s[6:7], s[0:1], 0x28
	s_lshl_b64 s[16:17], s[2:3], 2
	s_waitcnt lgkmcnt(0)
	s_add_u32 s6, s6, s16
	s_addc_u32 s7, s7, s17
	s_load_dword s48, s[6:7], 0x0
	s_lshl_b32 s5, s28, 8
	s_waitcnt lgkmcnt(0)
	s_cmp_ge_i32 s5, s48
	s_cbranch_scc1 .LBB803_17
; %bb.5:
	s_load_dwordx2 s[6:7], s[0:1], 0x20
	s_load_dword s8, s[0:1], 0x38
	s_add_i32 s9, s48, 15
	s_ashr_i32 s10, s9, 31
	v_and_b32_e32 v1, 0xcf, v0
	s_lshr_b32 s10, s10, 28
	v_add_u32_e32 v1, s5, v1
	s_add_i32 s9, s9, s10
	v_ashrrev_i32_e32 v2, 31, v1
	s_ashr_i32 s18, s9, 4
	v_lshrrev_b32_e32 v4, 28, v2
	s_add_i32 s18, s18, -1
	s_waitcnt lgkmcnt(0)
	s_mul_i32 s8, s2, s8
	s_mov_b32 s9, 0
	v_add_u32_e32 v2, v1, v4
	s_lshl_b64 s[8:9], s[8:9], 2
	v_ashrrev_i32_e32 v2, 4, v2
	v_mov_b32_e32 v5, s18
	v_cmp_gt_i32_e32 vcc, s48, v1
	s_add_u32 s6, s6, s8
	s_addc_u32 s7, s7, s9
	v_cndmask_b32_e32 v2, v5, v2, vcc
	v_ashrrev_i32_e32 v3, 31, v2
	v_lshl_add_u64 v[6:7], v[2:3], 2, s[6:7]
	v_or_b32_e32 v2, 16, v1
	v_add_u32_e32 v3, v2, v4
	v_ashrrev_i32_e32 v3, 4, v3
	v_cmp_gt_i32_e32 vcc, s48, v2
	s_load_dwordx4 s[8:11], s[0:1], 0x8
	s_nop 0
	v_cndmask_b32_e32 v2, v5, v3, vcc
	v_ashrrev_i32_e32 v3, 31, v2
	v_lshl_add_u64 v[8:9], v[2:3], 2, s[6:7]
	v_or_b32_e32 v2, 32, v1
	v_add_u32_e32 v3, v2, v4
	v_ashrrev_i32_e32 v3, 4, v3
	v_cmp_gt_i32_e32 vcc, s48, v2
	v_or_b32_e32 v1, 48, v1
	s_nop 0
	v_cndmask_b32_e32 v2, v5, v3, vcc
	v_ashrrev_i32_e32 v3, 31, v2
	v_lshl_add_u64 v[10:11], v[2:3], 2, s[6:7]
	v_add_u32_e32 v2, v1, v4
	v_ashrrev_i32_e32 v2, 4, v2
	v_cmp_gt_i32_e32 vcc, s48, v1
	s_nop 1
	v_cndmask_b32_e32 v2, v5, v2, vcc
	v_ashrrev_i32_e32 v3, 31, v2
	v_lshl_add_u64 v[12:13], v[2:3], 2, s[6:7]
	global_load_dword v4, v[6:7], off
	global_load_dword v3, v[8:9], off
	;; [unrolled: 1-line block ×4, first 2 shown]
	s_andn2_b64 vcc, exec, s[14:15]
	s_cbranch_vccnz .LBB803_8
; %bb.6:
	s_add_u32 s12, s12, s16
	s_addc_u32 s13, s13, s17
	s_load_dword s14, s[12:13], 0x0
	s_branch .LBB803_9
.LBB803_7:
	s_mov_b64 s[8:9], 0
	s_branch .LBB803_2
.LBB803_8:
	s_mov_b32 s14, s2
.LBB803_9:
	s_load_dwordx4 s[44:47], s[0:1], 0x48
	v_and_b32_e32 v43, 15, v0
	s_movk_i32 s12, 0x100
	v_lshlrev_b32_e32 v5, 3, v43
	v_cmp_gt_u32_e32 vcc, s12, v0
	v_cmp_gt_u32_e64 s[30:31], 8, v43
	v_lshrrev_b32_e32 v41, 6, v0
	v_and_b32_e32 v42, 63, v0
	v_bfe_u32 v1, v0, 4, 2
	s_lshl_b32 s29, s4, 4
	s_and_b64 s[16:17], vcc, s[30:31]
	v_lshlrev_b32_e32 v26, 1, v5
	v_lshlrev_b32_e32 v40, 4, v0
	s_and_saveexec_b64 s[12:13], s[16:17]
	s_cbranch_execz .LBB803_11
; %bb.10:
	s_load_dwordx2 s[16:17], s[0:1], 0x0
	s_waitcnt lgkmcnt(0)
	s_ashr_i32 s15, s44, 31
	s_mul_hi_u32 s19, s14, s44
	s_mul_i32 s15, s14, s15
	s_add_i32 s15, s19, s15
	s_mul_i32 s14, s14, s44
	v_lshl_or_b32 v5, v41, 2, v1
	s_lshl_b64 s[14:15], s[14:15], 1
	s_add_u32 s14, s16, s14
	v_add_lshl_u32 v6, v5, s29, 6
	s_addc_u32 s15, s17, s15
	v_ashrrev_i32_e32 v7, 31, v6
	v_lshl_add_u64 v[6:7], v[6:7], 1, s[14:15]
	v_mov_b32_e32 v27, 0
	v_lshl_add_u64 v[6:7], v[6:7], 0, v[26:27]
	global_load_dwordx4 v[6:9], v[6:7], off
	v_lshlrev_b32_e32 v11, 8, v43
	v_lshlrev_b32_e32 v5, 5, v5
	v_and_b32_e32 v10, 16, v40
	v_and_b32_e32 v11, 0xe00, v11
	v_or3_b32 v5, v11, v5, v10
	s_waitcnt vmcnt(0)
	ds_write_b128 v5, v[6:9]
.LBB803_11:
	s_or_b64 exec, exec, s[12:13]
	s_waitcnt lgkmcnt(0)
	s_mul_i32 s4, s4, s46
	s_add_u32 s8, s8, s4
	s_addc_u32 s9, s9, 0
	v_and_b32_e32 v8, 48, v0
	v_and_b32_e32 v28, 0xf0, v40
	v_mov_b32_e32 v29, 0
	v_lshl_add_u64 v[6:7], s[8:9], 0, v[28:29]
	v_lshlrev_b32_e32 v28, 4, v8
	v_lshl_add_u64 v[16:17], v[6:7], 0, v[28:29]
	s_waitcnt vmcnt(3)
	v_mad_i64_i32 v[4:5], s[8:9], v4, s45, v[16:17]
	s_load_dword s33, s[0:1], 0x98
	s_load_dwordx4 s[40:43], s[0:1], 0x80
	s_waitcnt lgkmcnt(0)
	s_barrier
	global_load_dwordx4 v[22:25], v[4:5], off
	s_waitcnt vmcnt(3)
	v_mad_i64_i32 v[4:5], s[8:9], v3, s45, v[16:17]
	global_load_dwordx4 v[18:21], v[4:5], off
	v_or_b32_e32 v15, s5, v8
	v_mov_b32_e32 v28, s18
	v_ashrrev_i32_e32 v3, 4, v15
	v_cmp_gt_i32_e32 vcc, s48, v15
	v_or_b32_e32 v30, 64, v15
	v_lshlrev_b32_e32 v44, 5, v43
	v_cndmask_b32_e32 v4, v28, v3, vcc
	s_waitcnt vmcnt(3)
	v_mad_i64_i32 v[2:3], s[8:9], v2, s45, v[16:17]
	global_load_dwordx4 v[10:13], v[2:3], off
	v_ashrrev_i32_e32 v5, 31, v4
	v_or_b32_e32 v32, 0x80, v15
	v_or_b32_e32 v33, 0xc0, v15
	v_ashrrev_i32_e32 v15, 4, v30
	v_cmp_gt_i32_e32 vcc, s48, v30
	v_lshl_add_u64 v[4:5], v[4:5], 2, s[6:7]
	v_lshl_or_b32 v27, v1, 9, v44
	v_cndmask_b32_e32 v30, v28, v15, vcc
	s_waitcnt vmcnt(3)
	v_mad_i64_i32 v[14:15], s[12:13], v14, s45, v[16:17]
	global_load_dword v58, v[4:5], off
	ds_read_b128 v[6:9], v27
	ds_read_b128 v[2:5], v27 offset:16
	global_load_dwordx4 v[14:17], v[14:15], off
	v_ashrrev_i32_e32 v34, 4, v32
	v_cmp_gt_i32_e32 vcc, s48, v32
	v_lshlrev_b32_e32 v31, 4, v43
	v_ashrrev_i32_e32 v35, 4, v33
	v_cndmask_b32_e32 v32, v28, v34, vcc
	v_cmp_gt_i32_e32 vcc, s48, v33
	v_ashrrev_i32_e32 v33, 31, v32
	v_lshl_add_u64 v[32:33], v[32:33], 2, s[6:7]
	v_cndmask_b32_e32 v34, v28, v35, vcc
	v_lshl_or_b32 v28, v41, 8, v31
	v_ashrrev_i32_e32 v31, 31, v30
	v_ashrrev_i32_e32 v35, 31, v34
	v_lshl_add_u64 v[30:31], v[30:31], 2, s[6:7]
	s_add_u32 s8, s10, s4
	s_load_dword s4, s[40:41], 0x0
	v_lshl_add_u64 v[34:35], v[34:35], 2, s[6:7]
	global_load_dword v47, v[30:31], off
	global_load_dword v45, v[32:33], off
	;; [unrolled: 1-line block ×3, first 2 shown]
	s_load_dword s14, s[0:1], 0x1c
	s_mov_b32 s44, 0xff7fffff
	s_addc_u32 s9, s11, 0
	v_lshl_add_u64 v[28:29], s[8:9], 0, v[28:29]
	s_waitcnt lgkmcnt(0)
	v_mov_b32_e32 v59, s14
	s_waitcnt vmcnt(7)
	v_cvt_pk_f32_fp8_e32 v[30:31], v22
	v_cvt_pk_f32_fp8_sdwa v[32:33], v22 src0_sel:WORD_1
	v_cvt_pk_f32_fp8_e32 v[34:35], v23
	v_cvt_pk_f32_fp8_sdwa v[36:37], v23 src0_sel:WORD_1
	v_cvt_pkrtz_f16_f32 v30, v30, v31
	v_cvt_pkrtz_f16_f32 v31, v32, v33
	s_waitcnt vmcnt(6)
	v_cvt_pk_f32_fp8_e32 v[22:23], v18
	v_cvt_pk_f32_fp8_sdwa v[52:53], v18 src0_sel:WORD_1
	v_cvt_pkrtz_f16_f32 v34, v34, v35
	v_cvt_pkrtz_f16_f32 v35, v36, v37
	v_cvt_pk_f32_fp8_e32 v[38:39], v24
	v_cvt_pk_f32_fp8_sdwa v[48:49], v24 src0_sel:WORD_1
	v_cvt_pk_f32_fp8_e32 v[50:51], v25
	v_cvt_pk_f32_fp8_sdwa v[54:55], v25 src0_sel:WORD_1
	v_cvt_pkrtz_f16_f32 v32, v22, v23
	v_mfma_f32_16x16x16_f16 v[22:25], v[30:31], v[6:7], 0
	v_cvt_pk_f32_fp8_e32 v[56:57], v19
	v_cvt_pkrtz_f16_f32 v33, v52, v53
	v_cvt_pk_f32_fp8_sdwa v[18:19], v19 src0_sel:WORD_1
	v_mfma_f32_16x16x16_f16 v[22:25], v[34:35], v[8:9], v[22:25]
	v_cvt_pkrtz_f16_f32 v34, v38, v39
	v_cvt_pkrtz_f16_f32 v35, v48, v49
	v_cvt_pk_f32_fp8_e32 v[36:37], v20
	v_cvt_pkrtz_f16_f32 v52, v56, v57
	v_cvt_pkrtz_f16_f32 v53, v18, v19
	v_cvt_pk_f32_fp8_sdwa v[18:19], v20 src0_sel:WORD_1
	v_mfma_f32_16x16x16_f16 v[30:33], v[32:33], v[6:7], 0
	v_cvt_pkrtz_f16_f32 v36, v36, v37
	v_cvt_pk_f32_fp8_e32 v[38:39], v21
	v_cvt_pkrtz_f16_f32 v37, v18, v19
	v_mfma_f32_16x16x16_f16 v[22:25], v[34:35], v[2:3], v[22:25]
	v_cvt_pkrtz_f16_f32 v34, v50, v51
	v_cvt_pkrtz_f16_f32 v35, v54, v55
	v_cvt_pk_f32_fp8_sdwa v[18:19], v21 src0_sel:WORD_1
	v_mfma_f32_16x16x16_f16 v[30:33], v[52:53], v[8:9], v[30:33]
	v_cvt_pkrtz_f16_f32 v38, v38, v39
	v_mul_f32_e32 v52, s4, v59
	v_cvt_pkrtz_f16_f32 v39, v18, v19
	v_mfma_f32_16x16x16_f16 v[30:33], v[36:37], v[2:3], v[30:33]
	s_waitcnt vmcnt(5)
	v_cvt_pk_f32_fp8_e32 v[18:19], v10
	s_waitcnt vmcnt(4)
	v_mad_i64_i32 v[20:21], s[6:7], v58, s45, v[28:29]
	v_mfma_f32_16x16x16_f16 v[34:37], v[34:35], v[4:5], v[22:25]
	v_cvt_pkrtz_f16_f32 v18, v18, v19
	s_nop 1
	v_cvt_pk_f32_fp8_sdwa v[22:23], v10 src0_sel:WORD_1
	v_cvt_pk_f32_fp8_e32 v[24:25], v11
	v_cvt_pk_f32_fp8_sdwa v[10:11], v11 src0_sel:WORD_1
	v_mfma_f32_16x16x16_f16 v[48:51], v[38:39], v[4:5], v[30:33]
	v_cvt_pkrtz_f16_f32 v19, v22, v23
	v_cvt_pk_f32_fp8_sdwa v[38:39], v12 src0_sel:WORD_1
	s_nop 0
	v_cvt_pkrtz_f16_f32 v30, v24, v25
	v_cvt_pk_f32_fp8_e32 v[32:33], v12
	v_cvt_pkrtz_f16_f32 v31, v10, v11
	v_mfma_f32_16x16x16_f16 v[22:25], v[18:19], v[6:7], 0
	v_cvt_pkrtz_f16_f32 v19, v38, v39
	v_cvt_pkrtz_f16_f32 v18, v32, v33
	v_cvt_pk_f32_fp8_e32 v[32:33], v13
	v_cvt_pk_f32_fp8_sdwa v[38:39], v13 src0_sel:WORD_1
	v_mfma_f32_16x16x16_f16 v[10:13], v[30:31], v[8:9], v[22:25]
	s_waitcnt vmcnt(3)
	v_cvt_pk_f32_fp8_sdwa v[30:31], v14 src0_sel:WORD_1
	s_nop 0
	v_cvt_pkrtz_f16_f32 v24, v32, v33
	v_cvt_pkrtz_f16_f32 v25, v38, v39
	v_mfma_f32_16x16x16_f16 v[10:13], v[18:19], v[2:3], v[10:13]
	v_cvt_pk_f32_fp8_e32 v[18:19], v14
	v_cvt_pk_f32_fp8_sdwa v[38:39], v16 src0_sel:WORD_1
	v_pk_mul_f32 v[22:23], v[52:53], v[36:37] op_sel_hi:[0,1]
	v_mfma_f32_16x16x16_f16 v[10:13], v[24:25], v[4:5], v[10:13]
	v_cvt_pk_f32_fp8_e32 v[24:25], v15
	v_cvt_pkrtz_f16_f32 v18, v18, v19
	v_cvt_pkrtz_f16_f32 v19, v30, v31
	v_cvt_pk_f32_fp8_sdwa v[14:15], v15 src0_sel:WORD_1
	v_cvt_pkrtz_f16_f32 v24, v24, v25
	v_cvt_pk_f32_fp8_e32 v[30:31], v16
	v_pk_mul_f32 v[32:33], v[52:53], v[34:35] op_sel_hi:[0,1]
	v_cvt_pkrtz_f16_f32 v25, v14, v15
	v_mfma_f32_16x16x16_f16 v[34:37], v[18:19], v[6:7], 0
	v_cvt_pkrtz_f16_f32 v14, v30, v31
	v_cvt_pkrtz_f16_f32 v15, v38, v39
	v_cvt_pk_f32_fp8_e32 v[18:19], v17
	v_cvt_pk_f32_fp8_sdwa v[16:17], v17 src0_sel:WORD_1
	v_mfma_f32_16x16x16_f16 v[6:9], v[24:25], v[8:9], v[34:37]
	v_pk_mul_f32 v[38:39], v[52:53], v[48:49] op_sel_hi:[0,1]
	v_cvt_pkrtz_f16_f32 v18, v18, v19
	v_cvt_pkrtz_f16_f32 v19, v16, v17
	v_mfma_f32_16x16x16_f16 v[6:9], v[14:15], v[2:3], v[6:9]
	v_pk_mul_f32 v[34:35], v[52:53], v[50:51] op_sel_hi:[0,1]
	v_pk_mul_f32 v[36:37], v[52:53], v[10:11] op_sel_hi:[0,1]
	;; [unrolled: 1-line block ×3, first 2 shown]
	v_mfma_f32_16x16x16_f16 v[2:5], v[18:19], v[4:5], v[6:9]
	s_nop 6
	v_pk_mul_f32 v[24:25], v[52:53], v[2:3] op_sel_hi:[0,1]
	v_and_b32_e32 v2, 0xc0, v0
	v_add_u32_e32 v2, s5, v2
	v_lshl_or_b32 v2, v1, 2, v2
	v_pk_mul_f32 v[18:19], v[52:53], v[4:5] op_sel_hi:[0,1]
	v_or_b32_e32 v5, 1, v2
	v_mov_b32_e32 v3, 0xff7fffff
	v_cmp_gt_i32_e64 s[4:5], s48, v2
	v_cmp_gt_i32_e64 s[34:35], s48, v5
	v_or_b32_e32 v6, 3, v2
	v_cndmask_b32_e64 v4, v3, v32, s[4:5]
	v_cndmask_b32_e64 v5, v3, v33, s[34:35]
	v_max3_f32 v4, v4, s44, v5
	v_or_b32_e32 v5, 2, v2
	v_cmp_gt_i32_e64 s[36:37], s48, v5
	v_cmp_gt_i32_e64 s[38:39], s48, v6
	s_nop 0
	v_cndmask_b32_e64 v5, v3, v22, s[36:37]
	v_cndmask_b32_e64 v6, v3, v23, s[38:39]
	v_max3_f32 v4, v4, v5, v6
	v_or_b32_e32 v5, 16, v2
	v_or_b32_e32 v6, 17, v2
	v_cmp_gt_i32_e64 s[24:25], s48, v5
	v_cmp_gt_i32_e64 s[26:27], s48, v6
	s_nop 0
	v_cndmask_b32_e64 v5, v3, v38, s[24:25]
	v_cndmask_b32_e64 v6, v3, v39, s[26:27]
	v_max3_f32 v4, v4, v5, v6
	v_or_b32_e32 v5, 18, v2
	;; [unrolled: 8-line block ×6, first 2 shown]
	v_or_b32_e32 v2, 51, v2
	v_cmp_gt_i32_e32 vcc, s48, v5
	v_cmp_gt_i32_e64 s[6:7], s48, v2
	s_nop 0
	v_cndmask_b32_e32 v5, v3, v18, vcc
	v_cndmask_b32_e64 v2, v3, v19, s[6:7]
	v_max3_f32 v4, v4, v5, v2
	v_mbcnt_lo_u32_b32 v2, -1, 0
	v_mbcnt_hi_u32_b32 v5, -1, v2
	v_and_b32_e32 v2, 64, v5
	v_add_u32_e32 v6, 64, v2
	v_xor_b32_e32 v2, 32, v5
	v_cmp_lt_i32_e64 s[40:41], v2, v6
	s_nop 1
	v_cndmask_b32_e64 v2, v5, v2, s[40:41]
	v_lshlrev_b32_e32 v48, 2, v2
	ds_bpermute_b32 v7, v48, v4
	s_waitcnt vmcnt(2)
	v_mad_i64_i32 v[2:3], s[40:41], v47, s45, v[28:29]
	global_load_dwordx4 v[14:17], v[20:21], off
	global_load_dwordx4 v[10:13], v[2:3], off
	v_xor_b32_e32 v3, 16, v5
	v_cmp_lt_i32_e64 s[40:41], v3, v6
	s_waitcnt lgkmcnt(0)
	v_max_f32_e32 v2, v7, v7
	v_max_f32_e32 v2, v4, v2
	v_cndmask_b32_e64 v3, v5, v3, s[40:41]
	v_lshlrev_b32_e32 v47, 2, v3
	ds_bpermute_b32 v3, v47, v2
	s_waitcnt vmcnt(3)
	v_mad_i64_i32 v[20:21], s[40:41], v45, s45, v[28:29]
	s_waitcnt vmcnt(2)
	v_mad_i64_i32 v[28:29], s[40:41], v46, s45, v[28:29]
	s_waitcnt lgkmcnt(0)
	v_max_f32_e32 v3, v3, v3
	v_max_f32_e32 v45, v2, v3
	v_sub_f32_e32 v2, v32, v45
	v_mul_f32_e32 v2, 0x3fb8aa3b, v2
	v_exp_f32_e32 v32, v2
	v_sub_f32_e32 v2, v33, v45
	v_mul_f32_e32 v2, 0x3fb8aa3b, v2
	v_exp_f32_e32 v33, v2
	global_load_dwordx4 v[6:9], v[20:21], off
	global_load_dwordx4 v[2:5], v[28:29], off
	v_sub_f32_e32 v22, v22, v45
	v_mul_f32_e32 v22, 0x3fb8aa3b, v22
	v_sub_f32_e32 v23, v23, v45
	v_exp_f32_e32 v22, v22
	v_mul_f32_e32 v23, 0x3fb8aa3b, v23
	v_exp_f32_e32 v23, v23
	v_cndmask_b32_e64 v20, 0, v32, s[4:5]
	v_add_f32_e32 v28, 0, v20
	v_cndmask_b32_e64 v21, 0, v33, s[34:35]
	v_add_f32_e32 v28, v28, v21
	;; [unrolled: 2-line block ×3, first 2 shown]
	v_cndmask_b32_e64 v33, 0, v23, s[38:39]
	v_sub_f32_e32 v23, v38, v45
	v_sub_f32_e32 v28, v39, v45
	v_mul_f32_e32 v23, 0x3fb8aa3b, v23
	v_mul_f32_e32 v28, 0x3fb8aa3b, v28
	v_exp_f32_e32 v23, v23
	v_exp_f32_e32 v28, v28
	v_add_f32_e32 v29, v22, v33
	v_sub_f32_e32 v30, v30, v45
	v_cndmask_b32_e64 v22, 0, v23, s[24:25]
	v_cndmask_b32_e64 v23, 0, v28, s[26:27]
	v_sub_f32_e32 v28, v34, v45
	v_mul_f32_e32 v28, 0x3fb8aa3b, v28
	v_exp_f32_e32 v28, v28
	v_sub_f32_e32 v34, v35, v45
	v_add_f32_e32 v29, v29, v22
	v_mul_f32_e32 v34, 0x3fb8aa3b, v34
	v_exp_f32_e32 v35, v34
	v_add_f32_e32 v29, v29, v23
	v_cndmask_b32_e64 v34, 0, v28, s[20:21]
	v_add_f32_e32 v28, v29, v34
	v_sub_f32_e32 v29, v36, v45
	v_mul_f32_e32 v29, 0x3fb8aa3b, v29
	v_sub_f32_e32 v36, v37, v45
	v_exp_f32_e32 v29, v29
	v_mul_f32_e32 v36, 0x3fb8aa3b, v36
	v_exp_f32_e32 v36, v36
	v_mul_f32_e32 v30, 0x3fb8aa3b, v30
	v_sub_f32_e32 v31, v31, v45
	v_exp_f32_e32 v30, v30
	v_mul_f32_e32 v31, 0x3fb8aa3b, v31
	v_sub_f32_e32 v24, v24, v45
	v_cndmask_b32_e64 v35, 0, v35, s[22:23]
	v_exp_f32_e32 v31, v31
	v_mul_f32_e32 v24, 0x3fb8aa3b, v24
	v_sub_f32_e32 v25, v25, v45
	v_add_f32_e32 v37, v28, v35
	v_cndmask_b32_e64 v28, 0, v29, s[16:17]
	v_exp_f32_e32 v24, v24
	v_mul_f32_e32 v25, 0x3fb8aa3b, v25
	v_sub_f32_e32 v18, v18, v45
	v_add_f32_e32 v37, v37, v28
	;; [unrolled: 5-line block ×3, first 2 shown]
	v_cndmask_b32_e64 v30, 0, v30, s[12:13]
	v_exp_f32_e32 v18, v18
	v_mul_f32_e32 v19, 0x3fb8aa3b, v19
	v_add_f32_e32 v36, v36, v30
	v_cndmask_b32_e64 v31, 0, v31, s[14:15]
	v_exp_f32_e32 v19, v19
	v_add_f32_e32 v36, v36, v31
	v_cndmask_b32_e64 v24, 0, v24, s[8:9]
	v_add_f32_e32 v36, v36, v24
	v_cndmask_b32_e64 v25, 0, v25, s[10:11]
	v_add_f32_e32 v36, v36, v25
	v_cndmask_b32_e32 v18, 0, v18, vcc
	v_add_f32_e32 v36, v36, v18
	v_cndmask_b32_e64 v19, 0, v19, s[6:7]
	v_add_f32_e32 v36, v36, v19
	ds_bpermute_b32 v37, v48, v36
	v_cmp_gt_u32_e32 vcc, 16, v42
	s_waitcnt lgkmcnt(0)
	s_barrier
	v_add_f32_e32 v36, v36, v37
	ds_bpermute_b32 v38, v47, v36
	v_lshlrev_b32_e32 v37, 2, v43
	s_and_saveexec_b64 s[4:5], vcc
	s_cbranch_execz .LBB803_13
; %bb.12:
	s_waitcnt lgkmcnt(0)
	v_add_f32_e32 v36, v36, v38
	v_lshl_or_b32 v38, v41, 6, v37
	ds_write2st64_b32 v38, v45, v36 offset1:1
.LBB803_13:
	s_or_b64 exec, exec, s[4:5]
	s_load_dword s6, s[0:1], 0x94
	s_waitcnt lgkmcnt(0)
	s_barrier
	ds_read2_b32 v[38:39], v37 offset1:16
	ds_read2_b32 v[42:43], v37 offset0:32 offset1:48
	ds_read2_b32 v[46:47], v37 offset0:64 offset1:80
	s_lshl_b32 s7, s33, 4
	s_waitcnt lgkmcnt(2)
	v_max3_f32 v36, v38, s44, v39
	s_waitcnt lgkmcnt(1)
	v_max3_f32 v36, v36, v42, v43
	v_sub_f32_e32 v38, v38, v36
	v_mul_f32_e32 v38, 0x3fb8aa3b, v38
	v_exp_f32_e32 v45, v38
	v_sub_f32_e32 v38, v39, v36
	v_mul_f32_e32 v38, 0x3fb8aa3b, v38
	v_exp_f32_e32 v48, v38
	;; [unrolled: 3-line block ×3, first 2 shown]
	ds_read2_b32 v[38:39], v37 offset0:96 offset1:112
	v_sub_f32_e32 v37, v43, v36
	v_mul_f32_e32 v37, 0x3fb8aa3b, v37
	v_exp_f32_e32 v43, v37
	s_waitcnt lgkmcnt(1)
	v_fma_f32 v37, v45, v46, 0
	v_fmac_f32_e32 v37, v48, v47
	s_waitcnt lgkmcnt(0)
	v_fmac_f32_e32 v37, v42, v38
	v_fmac_f32_e32 v37, v43, v39
	v_add_f32_e32 v38, 0x358637bd, v37
	v_div_scale_f32 v39, s[4:5], v38, v38, 1.0
	v_rcp_f32_e32 v46, v39
	s_barrier
	v_fma_f32 v47, -v39, v46, 1.0
	v_fmac_f32_e32 v46, v47, v46
	v_div_scale_f32 v47, vcc, 1.0, v38, 1.0
	v_mul_f32_e32 v49, v47, v46
	v_fma_f32 v50, -v39, v49, v47
	v_fmac_f32_e32 v49, v50, v46
	v_fma_f32 v39, -v39, v49, v47
	v_div_fmas_f32 v39, v39, v46, v49
	v_cmp_eq_u32_e32 vcc, 1, v41
	v_div_fixup_f32 v38, v39, v38, 1.0
	s_nop 0
	v_cndmask_b32_e32 v39, v45, v48, vcc
	v_cmp_eq_u32_e32 vcc, 2, v41
	s_nop 1
	v_cndmask_b32_e32 v39, v39, v42, vcc
	v_cmp_eq_u32_e32 vcc, 3, v41
	s_nop 1
	v_cndmask_b32_e32 v39, v39, v43, vcc
	v_mul_f32_e32 v38, v39, v38
	v_pk_mul_f32 v[32:33], v[38:39], v[32:33] op_sel_hi:[0,1]
	v_pk_mul_f32 v[20:21], v[38:39], v[20:21] op_sel_hi:[0,1]
	v_cvt_f16_f32_e32 v39, v32
	v_cvt_f16_f32_e32 v33, v33
	;; [unrolled: 1-line block ×4, first 2 shown]
	v_cmp_gt_u32_e32 vcc, 16, v0
	v_pack_b32_f16 v33, v39, v33
	v_lshlrev_b32_e32 v39, 3, v1
	v_pack_b32_f16 v32, v20, v21
	v_pk_mul_f32 v[20:21], v[38:39], v[34:35] op_sel_hi:[0,1]
	v_pk_mul_f32 v[22:23], v[38:39], v[22:23] op_sel_hi:[0,1]
	v_cvt_f16_f32_e32 v22, v22
	v_cvt_f16_f32_e32 v23, v23
	;; [unrolled: 1-line block ×4, first 2 shown]
	v_lshlrev_b32_e32 v20, 11, v41
	v_or3_b32 v20, v20, v44, v39
	v_pack_b32_f16 v22, v22, v23
	v_pack_b32_f16 v23, v34, v21
	ds_write2st64_b64 v20, v[32:33], v[22:23] offset1:1
	v_pk_mul_f32 v[22:23], v[38:39], v[30:31] op_sel_hi:[0,1]
	v_pk_mul_f32 v[28:29], v[38:39], v[28:29] op_sel_hi:[0,1]
	v_cvt_f16_f32_e32 v21, v28
	v_cvt_f16_f32_e32 v28, v29
	;; [unrolled: 1-line block ×4, first 2 shown]
	v_pk_mul_f32 v[18:19], v[38:39], v[18:19] op_sel_hi:[0,1]
	v_pk_mul_f32 v[22:23], v[38:39], v[24:25] op_sel_hi:[0,1]
	v_cvt_f16_f32_e32 v22, v22
	v_cvt_f16_f32_e32 v23, v23
	;; [unrolled: 1-line block ×4, first 2 shown]
	v_pack_b32_f16 v18, v21, v28
	v_pack_b32_f16 v19, v29, v30
	;; [unrolled: 1-line block ×4, first 2 shown]
	ds_write2st64_b64 v20, v[18:19], v[22:23] offset0:2 offset1:3
	s_and_saveexec_b64 s[4:5], vcc
	s_cbranch_execz .LBB803_15
; %bb.14:
	v_or_b32_e32 v18, s29, v0
	v_mov_b32_e32 v19, 0
	v_mov_b32_e32 v21, s7
	v_mad_u64_u32 v[22:23], s[12:13], s2, v21, v[18:19]
	v_mov_b32_e32 v18, s28
	s_load_dwordx4 s[8:11], s[0:1], 0x58
	s_mul_i32 s3, s3, s7
	v_mad_u64_u32 v[18:19], s[12:13], v22, s6, v[18:19]
	v_add_u32_e32 v21, s3, v23
	v_mov_b32_e32 v22, v19
	v_mad_u64_u32 v[22:23], s[12:13], v21, s6, v[22:23]
	v_mov_b32_e32 v19, v22
	v_lshlrev_b64 v[18:19], 2, v[18:19]
	s_waitcnt lgkmcnt(0)
	v_lshl_add_u64 v[22:23], s[10:11], 0, v[18:19]
	v_lshl_add_u64 v[18:19], s[8:9], 0, v[18:19]
	global_store_dword v[22:23], v36, off
	global_store_dword v[18:19], v37, off
.LBB803_15:
	s_or_b64 exec, exec, s[4:5]
	s_waitcnt vmcnt(3)
	v_cvt_pk_f32_fp8_e32 v[18:19], v14
	v_cvt_pk_f32_fp8_sdwa v[22:23], v14 src0_sel:WORD_1
	v_cvt_pk_f32_fp8_e32 v[24:25], v15
	s_waitcnt lgkmcnt(0)
	s_barrier
	v_cvt_pkrtz_f16_f32 v14, v18, v19
	v_cvt_pk_f32_fp8_sdwa v[18:19], v15 src0_sel:WORD_1
	v_cvt_pkrtz_f16_f32 v15, v22, v23
	v_cvt_pkrtz_f16_f32 v36, v24, v25
	ds_read_b128 v[22:25], v27
	ds_read_b128 v[28:31], v27 offset:16
	v_cvt_pkrtz_f16_f32 v37, v18, v19
	v_cvt_pk_f32_fp8_e32 v[18:19], v16
	v_cvt_pk_f32_fp8_sdwa v[38:39], v16 src0_sel:WORD_1
	s_waitcnt lgkmcnt(1)
	v_mfma_f32_16x16x16_f16 v[32:35], v[14:15], v[22:23], 0
	s_load_dword s4, s[42:43], 0x0
	v_cvt_pkrtz_f16_f32 v14, v18, v19
	v_cvt_pkrtz_f16_f32 v15, v38, v39
	v_cvt_pk_f32_fp8_e32 v[18:19], v17
	v_mfma_f32_16x16x16_f16 v[22:25], v[36:37], v[24:25], v[32:35]
	v_cmp_gt_u32_e32 vcc, 64, v0
	s_mov_b32 s3, 0
	v_cvt_pkrtz_f16_f32 v18, v18, v19
	v_cvt_pk_f32_fp8_sdwa v[32:33], v17 src0_sel:WORD_1
	s_waitcnt lgkmcnt(0)
	v_mfma_f32_16x16x16_f16 v[14:17], v[14:15], v[28:29], v[22:25]
	s_waitcnt vmcnt(2)
	v_cvt_pk_f32_fp8_sdwa v[28:29], v11 src0_sel:WORD_1
	v_cvt_pk_f32_fp8_sdwa v[34:35], v12 src0_sel:WORD_1
	v_cvt_pkrtz_f16_f32 v19, v32, v33
	v_cvt_pk_f32_fp8_e32 v[22:23], v10
	v_cvt_pk_f32_fp8_e32 v[24:25], v11
	v_mfma_f32_16x16x16_f16 v[14:17], v[18:19], v[30:31], v[14:17]
	v_cvt_pk_f32_fp8_sdwa v[18:19], v10 src0_sel:WORD_1
	v_cvt_pkrtz_f16_f32 v10, v22, v23
	v_cvt_pk_f32_fp8_e32 v[32:33], v12
	v_cvt_pkrtz_f16_f32 v11, v18, v19
	v_cvt_pkrtz_f16_f32 v18, v24, v25
	ds_read_b128 v[22:25], v27 offset:2048
	v_cvt_pkrtz_f16_f32 v19, v28, v29
	ds_read_b128 v[28:31], v27 offset:2064
	s_waitcnt lgkmcnt(1)
	v_mfma_f32_16x16x16_f16 v[14:17], v[10:11], v[22:23], v[14:17]
	v_cvt_pkrtz_f16_f32 v10, v32, v33
	v_cvt_pkrtz_f16_f32 v11, v34, v35
	v_cvt_pk_f32_fp8_e32 v[22:23], v13
	v_mfma_f32_16x16x16_f16 v[14:17], v[18:19], v[24:25], v[14:17]
	v_cvt_pk_f32_fp8_sdwa v[18:19], v13 src0_sel:WORD_1
	v_cvt_pkrtz_f16_f32 v22, v22, v23
	s_waitcnt lgkmcnt(0)
	v_mfma_f32_16x16x16_f16 v[10:13], v[10:11], v[28:29], v[14:17]
	v_cvt_pkrtz_f16_f32 v23, v18, v19
	s_waitcnt vmcnt(1)
	v_cvt_pk_f32_fp8_e32 v[18:19], v7
	v_cvt_pk_f32_fp8_e32 v[28:29], v8
	;; [unrolled: 1-line block ×3, first 2 shown]
	v_cvt_pk_f32_fp8_sdwa v[16:17], v6 src0_sel:WORD_1
	v_mfma_f32_16x16x16_f16 v[10:13], v[22:23], v[30:31], v[10:13]
	v_cvt_pk_f32_fp8_sdwa v[22:23], v7 src0_sel:WORD_1
	v_cvt_pkrtz_f16_f32 v6, v14, v15
	v_cvt_pkrtz_f16_f32 v7, v16, v17
	ds_read_b128 v[14:17], v27 offset:4096
	v_cvt_pkrtz_f16_f32 v18, v18, v19
	v_cvt_pkrtz_f16_f32 v19, v22, v23
	ds_read_b128 v[22:25], v27 offset:4112
	v_cvt_pk_f32_fp8_sdwa v[30:31], v8 src0_sel:WORD_1
	s_waitcnt lgkmcnt(1)
	v_mfma_f32_16x16x16_f16 v[10:13], v[6:7], v[14:15], v[10:13]
	v_cvt_pkrtz_f16_f32 v6, v28, v29
	v_cvt_pk_f32_fp8_e32 v[14:15], v9
	v_cvt_pkrtz_f16_f32 v7, v30, v31
	v_mfma_f32_16x16x16_f16 v[10:13], v[18:19], v[16:17], v[10:13]
	v_cvt_pk_f32_fp8_sdwa v[16:17], v9 src0_sel:WORD_1
	v_cvt_pkrtz_f16_f32 v14, v14, v15
	v_cvt_pkrtz_f16_f32 v15, v16, v17
	s_waitcnt lgkmcnt(0)
	v_mfma_f32_16x16x16_f16 v[6:9], v[6:7], v[22:23], v[10:13]
	s_waitcnt vmcnt(0)
	v_cvt_pk_f32_fp8_sdwa v[16:17], v3 src0_sel:WORD_1
	v_cvt_pk_f32_fp8_e32 v[22:23], v4
	v_cvt_pkrtz_f16_f32 v19, v16, v17
	v_cvt_pk_f32_fp8_e32 v[10:11], v2
	v_cvt_pk_f32_fp8_sdwa v[12:13], v2 src0_sel:WORD_1
	v_mfma_f32_16x16x16_f16 v[6:9], v[14:15], v[24:25], v[6:9]
	v_cvt_pk_f32_fp8_e32 v[14:15], v3
	v_cvt_pkrtz_f16_f32 v2, v10, v11
	v_cvt_pkrtz_f16_f32 v3, v12, v13
	ds_read_b128 v[10:13], v27 offset:6144
	v_cvt_pkrtz_f16_f32 v18, v14, v15
	ds_read_b128 v[14:17], v27 offset:6160
	v_cvt_pk_f32_fp8_sdwa v[24:25], v4 src0_sel:WORD_1
	s_waitcnt lgkmcnt(1)
	v_mfma_f32_16x16x16_f16 v[6:9], v[2:3], v[10:11], v[6:9]
	v_cvt_pkrtz_f16_f32 v2, v22, v23
	v_cvt_pkrtz_f16_f32 v3, v24, v25
	v_cvt_pk_f32_fp8_e32 v[10:11], v5
	v_mfma_f32_16x16x16_f16 v[6:9], v[18:19], v[12:13], v[6:9]
	v_cvt_pk_f32_fp8_sdwa v[12:13], v5 src0_sel:WORD_1
	v_mov_b32_e32 v27, 0
	v_cvt_pkrtz_f16_f32 v10, v10, v11
	s_waitcnt lgkmcnt(0)
	v_mfma_f32_16x16x16_f16 v[2:5], v[2:3], v[14:15], v[6:9]
	v_cvt_pkrtz_f16_f32 v11, v12, v13
	s_barrier
	s_nop 0
	v_mfma_f32_16x16x16_f16 v[2:5], v[10:11], v[16:17], v[2:5]
	s_nop 6
	v_pk_mul_f32 v[4:5], v[4:5], s[4:5] op_sel_hi:[1,0]
	v_pk_mul_f32 v[2:3], v[2:3], s[4:5] op_sel_hi:[1,0]
	v_cvt_f16_f32_e32 v4, v4
	v_cvt_f16_f32_e32 v2, v2
	v_cvt_f16_f32_e32 v3, v3
	v_cvt_f16_f32_e32 v5, v5
	s_and_b64 s[4:5], vcc, s[30:31]
	v_pack_b32_f16 v2, v2, v3
	v_pack_b32_f16 v3, v4, v5
	ds_write_b64 v20, v[2:3]
	s_waitcnt lgkmcnt(0)
	s_barrier
	s_and_saveexec_b64 s[8:9], s[4:5]
	s_cbranch_execz .LBB803_17
; %bb.16:
	s_load_dwordx2 s[0:1], s[0:1], 0x68
	s_lshl_b32 s6, s6, 6
	s_mul_i32 s2, s7, s2
	s_mul_hi_u32 s5, s2, s6
	s_mul_i32 s4, s2, s6
	s_lshl_b64 s[4:5], s[4:5], 1
	s_waitcnt lgkmcnt(0)
	s_add_u32 s4, s0, s4
	s_addc_u32 s5, s1, s5
	s_lshl_b32 s2, s28, 6
	v_lshlrev_b32_e32 v0, 10, v0
	s_lshl_b64 s[0:1], s[2:3], 1
	v_and_b32_e32 v0, 0x1800, v0
	v_lshlrev_b32_e32 v2, 5, v1
	v_and_b32_e32 v3, 16, v40
	s_add_u32 s0, s4, s0
	v_or3_b32 v0, v0, v2, v3
	s_addc_u32 s1, s5, s1
	v_or_b32_e32 v20, s29, v1
	ds_read_b128 v[2:5], v0
	ds_read_b128 v[6:9], v0 offset:128
	ds_read_b128 v[10:13], v0 offset:256
	;; [unrolled: 1-line block ×3, first 2 shown]
	v_lshl_add_u64 v[18:19], s[0:1], 0, v[26:27]
	v_mad_u64_u32 v[0:1], s[0:1], v20, s6, 0
	v_lshl_add_u64 v[0:1], v[0:1], 1, v[18:19]
	s_waitcnt lgkmcnt(3)
	global_store_dwordx4 v[0:1], v[2:5], off
	v_or_b32_e32 v0, 4, v20
	v_mad_u64_u32 v[0:1], s[0:1], v0, s6, 0
	v_lshl_add_u64 v[0:1], v[0:1], 1, v[18:19]
	s_waitcnt lgkmcnt(2)
	global_store_dwordx4 v[0:1], v[6:9], off
	v_or_b32_e32 v0, 8, v20
	;; [unrolled: 5-line block ×3, first 2 shown]
	v_mad_u64_u32 v[0:1], s[0:1], v0, s6, 0
	v_lshl_add_u64 v[0:1], v[0:1], 1, v[18:19]
	s_waitcnt lgkmcnt(0)
	global_store_dwordx4 v[0:1], v[14:17], off
.LBB803_17:
	s_endpgm
	.section	.rodata,"a",@progbits
	.p2align	6, 0x0
	.amdhsa_kernel _Z39paged_attention_ll4mi_QKV_mfma16_kernelIDF16_hLN4vllm18Fp8KVCacheDataTypeE1EhLi16ELi64ELi256ELb0ELi16EEvPKT_PKT0_S7_ifPKiS9_S9_iPKfiiiPfSC_PS2_PT2_iSB_SB_
		.amdhsa_group_segment_fixed_size 8192
		.amdhsa_private_segment_fixed_size 0
		.amdhsa_kernarg_size 400
		.amdhsa_user_sgpr_count 2
		.amdhsa_user_sgpr_dispatch_ptr 0
		.amdhsa_user_sgpr_queue_ptr 0
		.amdhsa_user_sgpr_kernarg_segment_ptr 1
		.amdhsa_user_sgpr_dispatch_id 0
		.amdhsa_user_sgpr_kernarg_preload_length 0
		.amdhsa_user_sgpr_kernarg_preload_offset 0
		.amdhsa_user_sgpr_private_segment_size 0
		.amdhsa_uses_dynamic_stack 0
		.amdhsa_enable_private_segment 0
		.amdhsa_system_sgpr_workgroup_id_x 1
		.amdhsa_system_sgpr_workgroup_id_y 1
		.amdhsa_system_sgpr_workgroup_id_z 1
		.amdhsa_system_sgpr_workgroup_info 0
		.amdhsa_system_vgpr_workitem_id 0
		.amdhsa_next_free_vgpr 60
		.amdhsa_next_free_sgpr 49
		.amdhsa_accum_offset 60
		.amdhsa_reserve_vcc 1
		.amdhsa_float_round_mode_32 0
		.amdhsa_float_round_mode_16_64 0
		.amdhsa_float_denorm_mode_32 3
		.amdhsa_float_denorm_mode_16_64 3
		.amdhsa_dx10_clamp 1
		.amdhsa_ieee_mode 1
		.amdhsa_fp16_overflow 0
		.amdhsa_tg_split 0
		.amdhsa_exception_fp_ieee_invalid_op 0
		.amdhsa_exception_fp_denorm_src 0
		.amdhsa_exception_fp_ieee_div_zero 0
		.amdhsa_exception_fp_ieee_overflow 0
		.amdhsa_exception_fp_ieee_underflow 0
		.amdhsa_exception_fp_ieee_inexact 0
		.amdhsa_exception_int_div_zero 0
	.end_amdhsa_kernel
	.section	.text._Z39paged_attention_ll4mi_QKV_mfma16_kernelIDF16_hLN4vllm18Fp8KVCacheDataTypeE1EhLi16ELi64ELi256ELb0ELi16EEvPKT_PKT0_S7_ifPKiS9_S9_iPKfiiiPfSC_PS2_PT2_iSB_SB_,"axG",@progbits,_Z39paged_attention_ll4mi_QKV_mfma16_kernelIDF16_hLN4vllm18Fp8KVCacheDataTypeE1EhLi16ELi64ELi256ELb0ELi16EEvPKT_PKT0_S7_ifPKiS9_S9_iPKfiiiPfSC_PS2_PT2_iSB_SB_,comdat
.Lfunc_end803:
	.size	_Z39paged_attention_ll4mi_QKV_mfma16_kernelIDF16_hLN4vllm18Fp8KVCacheDataTypeE1EhLi16ELi64ELi256ELb0ELi16EEvPKT_PKT0_S7_ifPKiS9_S9_iPKfiiiPfSC_PS2_PT2_iSB_SB_, .Lfunc_end803-_Z39paged_attention_ll4mi_QKV_mfma16_kernelIDF16_hLN4vllm18Fp8KVCacheDataTypeE1EhLi16ELi64ELi256ELb0ELi16EEvPKT_PKT0_S7_ifPKiS9_S9_iPKfiiiPfSC_PS2_PT2_iSB_SB_
                                        ; -- End function
	.section	.AMDGPU.csdata,"",@progbits
; Kernel info:
; codeLenInByte = 4604
; NumSgprs: 55
; NumVgprs: 60
; NumAgprs: 0
; TotalNumVgprs: 60
; ScratchSize: 0
; MemoryBound: 0
; FloatMode: 240
; IeeeMode: 1
; LDSByteSize: 8192 bytes/workgroup (compile time only)
; SGPRBlocks: 6
; VGPRBlocks: 7
; NumSGPRsForWavesPerEU: 55
; NumVGPRsForWavesPerEU: 60
; AccumOffset: 60
; Occupancy: 8
; WaveLimiterHint : 1
; COMPUTE_PGM_RSRC2:SCRATCH_EN: 0
; COMPUTE_PGM_RSRC2:USER_SGPR: 2
; COMPUTE_PGM_RSRC2:TRAP_HANDLER: 0
; COMPUTE_PGM_RSRC2:TGID_X_EN: 1
; COMPUTE_PGM_RSRC2:TGID_Y_EN: 1
; COMPUTE_PGM_RSRC2:TGID_Z_EN: 1
; COMPUTE_PGM_RSRC2:TIDIG_COMP_CNT: 0
; COMPUTE_PGM_RSRC3_GFX90A:ACCUM_OFFSET: 14
; COMPUTE_PGM_RSRC3_GFX90A:TG_SPLIT: 0
	.section	.text._Z39paged_attention_ll4mi_QKV_mfma16_kernelIDF16_hLN4vllm18Fp8KVCacheDataTypeE1EhLi16ELi64ELi256ELb0ELi1EEvPKT_PKT0_S7_ifPKiS9_S9_iPKfiiiPfSC_PS2_PT2_iSB_SB_,"axG",@progbits,_Z39paged_attention_ll4mi_QKV_mfma16_kernelIDF16_hLN4vllm18Fp8KVCacheDataTypeE1EhLi16ELi64ELi256ELb0ELi1EEvPKT_PKT0_S7_ifPKiS9_S9_iPKfiiiPfSC_PS2_PT2_iSB_SB_,comdat
	.protected	_Z39paged_attention_ll4mi_QKV_mfma16_kernelIDF16_hLN4vllm18Fp8KVCacheDataTypeE1EhLi16ELi64ELi256ELb0ELi1EEvPKT_PKT0_S7_ifPKiS9_S9_iPKfiiiPfSC_PS2_PT2_iSB_SB_ ; -- Begin function _Z39paged_attention_ll4mi_QKV_mfma16_kernelIDF16_hLN4vllm18Fp8KVCacheDataTypeE1EhLi16ELi64ELi256ELb0ELi1EEvPKT_PKT0_S7_ifPKiS9_S9_iPKfiiiPfSC_PS2_PT2_iSB_SB_
	.globl	_Z39paged_attention_ll4mi_QKV_mfma16_kernelIDF16_hLN4vllm18Fp8KVCacheDataTypeE1EhLi16ELi64ELi256ELb0ELi1EEvPKT_PKT0_S7_ifPKiS9_S9_iPKfiiiPfSC_PS2_PT2_iSB_SB_
	.p2align	8
	.type	_Z39paged_attention_ll4mi_QKV_mfma16_kernelIDF16_hLN4vllm18Fp8KVCacheDataTypeE1EhLi16ELi64ELi256ELb0ELi1EEvPKT_PKT0_S7_ifPKiS9_S9_iPKfiiiPfSC_PS2_PT2_iSB_SB_,@function
_Z39paged_attention_ll4mi_QKV_mfma16_kernelIDF16_hLN4vllm18Fp8KVCacheDataTypeE1EhLi16ELi64ELi256ELb0ELi1EEvPKT_PKT0_S7_ifPKiS9_S9_iPKfiiiPfSC_PS2_PT2_iSB_SB_: ; @_Z39paged_attention_ll4mi_QKV_mfma16_kernelIDF16_hLN4vllm18Fp8KVCacheDataTypeE1EhLi16ELi64ELi256ELb0ELi1EEvPKT_PKT0_S7_ifPKiS9_S9_iPKfiiiPfSC_PS2_PT2_iSB_SB_
; %bb.0:
	s_load_dwordx2 s[12:13], s[0:1], 0x30
	s_mov_b32 s5, s3
	s_mov_b64 s[6:7], 0
	s_waitcnt lgkmcnt(0)
	s_cmp_lg_u64 s[12:13], 0
	s_cselect_b64 s[14:15], -1, 0
	s_and_b64 vcc, exec, s[14:15]
	s_cbranch_vccz .LBB804_7
; %bb.1:
	s_add_i32 s8, s2, 1
	s_mov_b32 s9, 0
	s_lshl_b64 s[10:11], s[8:9], 2
	s_add_u32 s10, s12, s10
	s_mov_b32 s3, s9
	s_addc_u32 s11, s13, s11
	s_lshl_b64 s[8:9], s[2:3], 2
	s_add_u32 s8, s12, s8
	s_addc_u32 s9, s13, s9
	s_load_dword s16, s[10:11], 0x0
	s_load_dword s17, s[8:9], 0x0
	s_waitcnt lgkmcnt(0)
	s_sub_i32 s8, s16, s17
	s_cmp_eq_u32 s8, 1
	s_cselect_b64 s[8:9], -1, 0
	s_andn2_b64 vcc, exec, s[6:7]
	s_cbranch_vccnz .LBB804_3
.LBB804_2:
	s_mov_b32 s3, 0
	s_mov_b64 s[8:9], -1
.LBB804_3:
	s_andn2_b64 vcc, exec, s[8:9]
	s_cbranch_vccnz .LBB804_17
; %bb.4:
	s_load_dwordx2 s[6:7], s[0:1], 0x28
	s_lshl_b64 s[16:17], s[2:3], 2
	s_waitcnt lgkmcnt(0)
	s_add_u32 s6, s6, s16
	s_addc_u32 s7, s7, s17
	s_load_dword s33, s[6:7], 0x0
	s_lshl_b32 s18, s5, 8
	s_waitcnt lgkmcnt(0)
	s_cmp_ge_i32 s18, s33
	s_cbranch_scc1 .LBB804_17
; %bb.5:
	s_load_dwordx2 s[6:7], s[0:1], 0x20
	s_load_dword s8, s[0:1], 0x38
	s_add_i32 s9, s33, 15
	s_ashr_i32 s10, s9, 31
	v_and_b32_e32 v1, 0xcf, v0
	s_lshr_b32 s10, s10, 28
	v_add_u32_e32 v1, s18, v1
	s_add_i32 s9, s9, s10
	v_ashrrev_i32_e32 v2, 31, v1
	s_ashr_i32 s19, s9, 4
	v_lshrrev_b32_e32 v4, 28, v2
	s_add_i32 s19, s19, -1
	s_waitcnt lgkmcnt(0)
	s_mul_i32 s8, s2, s8
	s_mov_b32 s9, 0
	v_add_u32_e32 v2, v1, v4
	s_lshl_b64 s[8:9], s[8:9], 2
	v_ashrrev_i32_e32 v2, 4, v2
	v_mov_b32_e32 v5, s19
	v_cmp_gt_i32_e32 vcc, s33, v1
	s_add_u32 s6, s6, s8
	s_addc_u32 s7, s7, s9
	v_cndmask_b32_e32 v2, v5, v2, vcc
	v_ashrrev_i32_e32 v3, 31, v2
	v_lshl_add_u64 v[6:7], v[2:3], 2, s[6:7]
	v_or_b32_e32 v2, 16, v1
	v_add_u32_e32 v3, v2, v4
	v_ashrrev_i32_e32 v3, 4, v3
	v_cmp_gt_i32_e32 vcc, s33, v2
	s_load_dwordx4 s[8:11], s[0:1], 0x8
	s_nop 0
	v_cndmask_b32_e32 v2, v5, v3, vcc
	v_ashrrev_i32_e32 v3, 31, v2
	v_lshl_add_u64 v[8:9], v[2:3], 2, s[6:7]
	v_or_b32_e32 v2, 32, v1
	v_add_u32_e32 v3, v2, v4
	v_ashrrev_i32_e32 v3, 4, v3
	v_cmp_gt_i32_e32 vcc, s33, v2
	v_or_b32_e32 v1, 48, v1
	s_nop 0
	v_cndmask_b32_e32 v2, v5, v3, vcc
	v_ashrrev_i32_e32 v3, 31, v2
	v_lshl_add_u64 v[10:11], v[2:3], 2, s[6:7]
	v_add_u32_e32 v2, v1, v4
	v_ashrrev_i32_e32 v2, 4, v2
	v_cmp_gt_i32_e32 vcc, s33, v1
	s_nop 1
	v_cndmask_b32_e32 v2, v5, v2, vcc
	v_ashrrev_i32_e32 v3, 31, v2
	v_lshl_add_u64 v[12:13], v[2:3], 2, s[6:7]
	global_load_dword v4, v[6:7], off
	global_load_dword v3, v[8:9], off
	;; [unrolled: 1-line block ×4, first 2 shown]
	s_andn2_b64 vcc, exec, s[14:15]
	s_cbranch_vccnz .LBB804_8
; %bb.6:
	s_add_u32 s12, s12, s16
	s_addc_u32 s13, s13, s17
	s_load_dword s14, s[12:13], 0x0
	s_branch .LBB804_9
.LBB804_7:
	s_mov_b64 s[8:9], 0
	s_branch .LBB804_2
.LBB804_8:
	s_mov_b32 s14, s2
.LBB804_9:
	s_load_dwordx4 s[44:47], s[0:1], 0x48
	v_lshrrev_b32_e32 v42, 6, v0
	v_bfe_u32 v40, v0, 4, 2
	v_lshl_or_b32 v1, v42, 2, v40
	v_and_b32_e32 v43, 15, v0
	v_lshlrev_b32_e32 v5, 3, v43
	v_cmp_eq_u32_e32 vcc, 0, v1
	v_cmp_gt_u32_e64 s[28:29], 8, v43
	v_and_b32_e32 v44, 63, v0
	s_and_b64 s[16:17], s[28:29], vcc
	v_lshlrev_b32_e32 v1, 1, v5
	v_lshlrev_b32_e32 v41, 4, v0
	s_and_saveexec_b64 s[12:13], s[16:17]
	s_cbranch_execz .LBB804_11
; %bb.10:
	s_load_dwordx2 s[16:17], s[0:1], 0x0
	s_waitcnt lgkmcnt(0)
	s_ashr_i32 s15, s44, 31
	s_mul_hi_u32 s20, s14, s44
	s_mul_i32 s15, s14, s15
	s_add_i32 s15, s20, s15
	s_mul_i32 s14, s14, s44
	s_lshl_b64 s[14:15], s[14:15], 1
	s_add_u32 s16, s16, s14
	s_addc_u32 s17, s17, s15
	s_lshl_b32 s14, s4, 6
	s_ashr_i32 s15, s14, 31
	s_lshl_b64 s[14:15], s[14:15], 1
	s_add_u32 s14, s16, s14
	s_addc_u32 s15, s17, s15
	global_load_dwordx4 v[6:9], v1, s[14:15]
	v_lshlrev_b32_e32 v5, 8, v43
	v_and_b32_e32 v10, 16, v41
	s_movk_i32 s14, 0xe00
	v_and_or_b32 v5, v5, s14, v10
	s_waitcnt vmcnt(0)
	ds_write_b128 v5, v[6:9]
.LBB804_11:
	s_or_b64 exec, exec, s[12:13]
	s_waitcnt lgkmcnt(0)
	s_mul_i32 s12, s4, s46
	s_add_u32 s8, s8, s12
	s_addc_u32 s9, s9, 0
	v_and_b32_e32 v8, 48, v0
	v_and_b32_e32 v26, 0xf0, v41
	v_mov_b32_e32 v27, 0
	v_lshl_add_u64 v[6:7], s[8:9], 0, v[26:27]
	v_lshlrev_b32_e32 v26, 4, v8
	v_lshl_add_u64 v[16:17], v[6:7], 0, v[26:27]
	s_waitcnt vmcnt(3)
	v_mad_i64_i32 v[4:5], s[8:9], v4, s45, v[16:17]
	s_barrier
	global_load_dwordx4 v[22:25], v[4:5], off
	s_waitcnt vmcnt(3)
	v_mad_i64_i32 v[4:5], s[8:9], v3, s45, v[16:17]
	global_load_dwordx4 v[18:21], v[4:5], off
	v_or_b32_e32 v15, s18, v8
	v_mov_b32_e32 v26, s19
	v_ashrrev_i32_e32 v3, 4, v15
	v_cmp_gt_i32_e32 vcc, s33, v15
	v_or_b32_e32 v29, 64, v15
	v_or_b32_e32 v31, 0x80, v15
	v_cndmask_b32_e32 v4, v26, v3, vcc
	v_ashrrev_i32_e32 v5, 31, v4
	v_lshl_add_u64 v[4:5], v[4:5], 2, s[6:7]
	s_waitcnt vmcnt(3)
	v_mad_i64_i32 v[2:3], s[8:9], v2, s45, v[16:17]
	global_load_dword v47, v[4:5], off
	global_load_dwordx4 v[10:13], v[2:3], off
	v_or_b32_e32 v33, 0xc0, v15
	v_ashrrev_i32_e32 v15, 4, v29
	v_cmp_gt_i32_e32 vcc, s33, v29
	v_lshlrev_b32_e32 v2, 9, v40
	s_add_u32 s8, s10, s12
	v_cndmask_b32_e32 v30, v26, v15, vcc
	s_waitcnt vmcnt(4)
	v_mad_i64_i32 v[14:15], s[12:13], v14, s45, v[16:17]
	s_load_dword s14, s[0:1], 0x1c
	s_load_dwordx4 s[40:43], s[0:1], 0x80
	ds_read_b128 v[6:9], v2
	ds_read_b128 v[2:5], v2 offset:16
	global_load_dwordx4 v[14:17], v[14:15], off
	v_ashrrev_i32_e32 v32, 4, v31
	v_cmp_gt_i32_e32 vcc, s33, v31
	v_ashrrev_i32_e32 v34, 4, v33
	v_lshlrev_b32_e32 v28, 4, v43
	v_cndmask_b32_e32 v32, v26, v32, vcc
	v_cmp_gt_i32_e32 vcc, s33, v33
	v_ashrrev_i32_e32 v31, 31, v30
	v_ashrrev_i32_e32 v33, 31, v32
	v_cndmask_b32_e32 v34, v26, v34, vcc
	s_addc_u32 s9, s11, 0
	v_lshl_or_b32 v26, v42, 8, v28
	v_ashrrev_i32_e32 v35, 31, v34
	v_lshl_add_u64 v[30:31], v[30:31], 2, s[6:7]
	v_lshl_add_u64 v[32:33], v[32:33], 2, s[6:7]
	;; [unrolled: 1-line block ×3, first 2 shown]
	s_waitcnt lgkmcnt(0)
	s_load_dword s8, s[40:41], 0x0
	v_lshl_add_u64 v[34:35], v[34:35], 2, s[6:7]
	global_load_dword v46, v[30:31], off
	global_load_dword v26, v[32:33], off
	;; [unrolled: 1-line block ×3, first 2 shown]
	v_mov_b32_e32 v58, s14
	s_mov_b32 s44, 0xff7fffff
	s_waitcnt vmcnt(7)
	v_cvt_pk_f32_fp8_e32 v[30:31], v22
	v_cvt_pk_f32_fp8_sdwa v[32:33], v22 src0_sel:WORD_1
	v_cvt_pk_f32_fp8_e32 v[34:35], v23
	v_cvt_pk_f32_fp8_sdwa v[36:37], v23 src0_sel:WORD_1
	s_waitcnt vmcnt(6)
	v_cvt_pk_f32_fp8_e32 v[22:23], v18
	v_cvt_pk_f32_fp8_sdwa v[52:53], v18 src0_sel:WORD_1
	v_cvt_pkrtz_f16_f32 v30, v30, v31
	v_cvt_pkrtz_f16_f32 v31, v32, v33
	v_cvt_pk_f32_fp8_e32 v[56:57], v19
	v_cvt_pkrtz_f16_f32 v32, v22, v23
	v_cvt_pkrtz_f16_f32 v33, v52, v53
	v_cvt_pk_f32_fp8_sdwa v[18:19], v19 src0_sel:WORD_1
	v_cvt_pkrtz_f16_f32 v34, v34, v35
	v_cvt_pkrtz_f16_f32 v35, v36, v37
	v_cvt_pk_f32_fp8_e32 v[38:39], v24
	v_cvt_pk_f32_fp8_sdwa v[48:49], v24 src0_sel:WORD_1
	v_cvt_pk_f32_fp8_e32 v[50:51], v25
	v_cvt_pk_f32_fp8_sdwa v[54:55], v25 src0_sel:WORD_1
	v_mfma_f32_16x16x16_f16 v[22:25], v[30:31], v[6:7], 0
	v_cvt_pk_f32_fp8_e32 v[36:37], v20
	v_cvt_pkrtz_f16_f32 v52, v56, v57
	v_cvt_pkrtz_f16_f32 v53, v18, v19
	v_cvt_pk_f32_fp8_sdwa v[18:19], v20 src0_sel:WORD_1
	v_mfma_f32_16x16x16_f16 v[30:33], v[32:33], v[6:7], 0
	v_cvt_pkrtz_f16_f32 v20, v50, v51
	v_mfma_f32_16x16x16_f16 v[22:25], v[34:35], v[8:9], v[22:25]
	v_cvt_pkrtz_f16_f32 v34, v38, v39
	v_cvt_pkrtz_f16_f32 v35, v48, v49
	v_cvt_pk_f32_fp8_e32 v[38:39], v21
	v_cvt_pkrtz_f16_f32 v48, v36, v37
	v_cvt_pkrtz_f16_f32 v49, v18, v19
	v_cvt_pk_f32_fp8_sdwa v[18:19], v21 src0_sel:WORD_1
	v_mfma_f32_16x16x16_f16 v[30:33], v[52:53], v[8:9], v[30:33]
	v_cvt_pkrtz_f16_f32 v21, v54, v55
	s_waitcnt vmcnt(4)
	v_cvt_pk_f32_fp8_sdwa v[52:53], v12 src0_sel:WORD_1
	v_mfma_f32_16x16x16_f16 v[34:37], v[34:35], v[2:3], v[22:25]
	s_nop 2
	v_cvt_pkrtz_f16_f32 v22, v38, v39
	v_cvt_pkrtz_f16_f32 v23, v18, v19
	v_mfma_f32_16x16x16_f16 v[30:33], v[48:49], v[2:3], v[30:33]
	v_cvt_pk_f32_fp8_e32 v[18:19], v10
	v_cvt_pk_f32_fp8_sdwa v[38:39], v10 src0_sel:WORD_1
	s_waitcnt lgkmcnt(0)
	v_mul_f32_e32 v24, s8, v58
	v_mfma_f32_16x16x16_f16 v[48:51], v[22:23], v[4:5], v[30:33]
	v_cvt_pk_f32_fp8_e32 v[22:23], v11
	v_cvt_pkrtz_f16_f32 v18, v18, v19
	v_cvt_pkrtz_f16_f32 v19, v38, v39
	v_cvt_pk_f32_fp8_sdwa v[10:11], v11 src0_sel:WORD_1
	v_cvt_pkrtz_f16_f32 v22, v22, v23
	v_cvt_pk_f32_fp8_e32 v[38:39], v12
	v_mfma_f32_16x16x16_f16 v[30:33], v[18:19], v[6:7], 0
	v_cvt_pkrtz_f16_f32 v23, v10, v11
	v_cvt_pkrtz_f16_f32 v18, v38, v39
	;; [unrolled: 1-line block ×3, first 2 shown]
	v_cvt_pk_f32_fp8_e32 v[38:39], v13
	v_cvt_pk_f32_fp8_sdwa v[52:53], v13 src0_sel:WORD_1
	v_mfma_f32_16x16x16_f16 v[34:37], v[20:21], v[4:5], v[34:37]
	v_mad_i64_i32 v[20:21], s[6:7], v47, s45, v[28:29]
	v_mfma_f32_16x16x16_f16 v[10:13], v[22:23], v[8:9], v[30:33]
	s_nop 2
	v_cvt_pkrtz_f16_f32 v30, v38, v39
	v_cvt_pkrtz_f16_f32 v31, v52, v53
	v_mfma_f32_16x16x16_f16 v[10:13], v[18:19], v[2:3], v[10:13]
	v_pk_mul_f32 v[32:33], v[24:25], v[34:35] op_sel_hi:[0,1]
	s_waitcnt vmcnt(3)
	v_cvt_pk_f32_fp8_e32 v[18:19], v14
	v_cvt_pk_f32_fp8_sdwa v[34:35], v14 src0_sel:WORD_1
	v_mfma_f32_16x16x16_f16 v[10:13], v[30:31], v[4:5], v[10:13]
	v_cvt_pk_f32_fp8_e32 v[30:31], v15
	v_cvt_pkrtz_f16_f32 v18, v18, v19
	v_cvt_pkrtz_f16_f32 v19, v34, v35
	v_cvt_pk_f32_fp8_sdwa v[14:15], v15 src0_sel:WORD_1
	v_cvt_pkrtz_f16_f32 v30, v30, v31
	v_cvt_pk_f32_fp8_e32 v[38:39], v16
	v_cvt_pk_f32_fp8_sdwa v[52:53], v16 src0_sel:WORD_1
	v_cvt_pkrtz_f16_f32 v31, v14, v15
	v_pk_mul_f32 v[22:23], v[24:25], v[36:37] op_sel_hi:[0,1]
	v_mfma_f32_16x16x16_f16 v[34:37], v[18:19], v[6:7], 0
	v_cvt_pkrtz_f16_f32 v14, v38, v39
	v_cvt_pkrtz_f16_f32 v15, v52, v53
	v_cvt_pk_f32_fp8_e32 v[18:19], v17
	v_cvt_pk_f32_fp8_sdwa v[16:17], v17 src0_sel:WORD_1
	v_mfma_f32_16x16x16_f16 v[6:9], v[30:31], v[8:9], v[34:37]
	v_pk_mul_f32 v[38:39], v[24:25], v[48:49] op_sel_hi:[0,1]
	v_cvt_pkrtz_f16_f32 v18, v18, v19
	v_cvt_pkrtz_f16_f32 v19, v16, v17
	v_mfma_f32_16x16x16_f16 v[6:9], v[14:15], v[2:3], v[6:9]
	v_pk_mul_f32 v[34:35], v[24:25], v[50:51] op_sel_hi:[0,1]
	v_pk_mul_f32 v[30:31], v[24:25], v[12:13] op_sel_hi:[0,1]
	;; [unrolled: 1-line block ×3, first 2 shown]
	v_mfma_f32_16x16x16_f16 v[2:5], v[18:19], v[4:5], v[6:9]
	s_nop 6
	v_pk_mul_f32 v[18:19], v[24:25], v[4:5] op_sel_hi:[0,1]
	v_pk_mul_f32 v[24:25], v[24:25], v[2:3] op_sel_hi:[0,1]
	v_and_b32_e32 v2, 0xc0, v0
	v_add_u32_e32 v2, s18, v2
	v_lshl_or_b32 v2, v40, 2, v2
	v_or_b32_e32 v5, 1, v2
	v_mov_b32_e32 v3, 0xff7fffff
	v_cmp_gt_i32_e64 s[30:31], s33, v2
	v_cmp_gt_i32_e64 s[34:35], s33, v5
	v_or_b32_e32 v6, 3, v2
	v_cndmask_b32_e64 v4, v3, v32, s[30:31]
	v_cndmask_b32_e64 v5, v3, v33, s[34:35]
	v_max3_f32 v4, v4, s44, v5
	v_or_b32_e32 v5, 2, v2
	v_cmp_gt_i32_e64 s[36:37], s33, v5
	v_cmp_gt_i32_e64 s[38:39], s33, v6
	s_nop 0
	v_cndmask_b32_e64 v5, v3, v22, s[36:37]
	v_cndmask_b32_e64 v6, v3, v23, s[38:39]
	v_max3_f32 v4, v4, v5, v6
	v_or_b32_e32 v5, 16, v2
	v_or_b32_e32 v6, 17, v2
	v_cmp_gt_i32_e64 s[24:25], s33, v5
	v_cmp_gt_i32_e64 s[26:27], s33, v6
	s_nop 0
	v_cndmask_b32_e64 v5, v3, v38, s[24:25]
	v_cndmask_b32_e64 v6, v3, v39, s[26:27]
	v_max3_f32 v4, v4, v5, v6
	v_or_b32_e32 v5, 18, v2
	v_or_b32_e32 v6, 19, v2
	v_cmp_gt_i32_e64 s[20:21], s33, v5
	v_cmp_gt_i32_e64 s[22:23], s33, v6
	s_nop 0
	v_cndmask_b32_e64 v5, v3, v34, s[20:21]
	v_cndmask_b32_e64 v6, v3, v35, s[22:23]
	v_max3_f32 v4, v4, v5, v6
	v_or_b32_e32 v5, 32, v2
	v_or_b32_e32 v6, 33, v2
	v_cmp_gt_i32_e64 s[16:17], s33, v5
	v_cmp_gt_i32_e64 s[18:19], s33, v6
	s_nop 0
	v_cndmask_b32_e64 v5, v3, v36, s[16:17]
	v_cndmask_b32_e64 v6, v3, v37, s[18:19]
	v_max3_f32 v4, v4, v5, v6
	v_or_b32_e32 v5, 34, v2
	v_or_b32_e32 v6, 35, v2
	v_cmp_gt_i32_e64 s[12:13], s33, v5
	v_cmp_gt_i32_e64 s[14:15], s33, v6
	s_nop 0
	v_cndmask_b32_e64 v5, v3, v30, s[12:13]
	v_cndmask_b32_e64 v6, v3, v31, s[14:15]
	v_max3_f32 v4, v4, v5, v6
	v_or_b32_e32 v5, 48, v2
	v_or_b32_e32 v6, 49, v2
	v_cmp_gt_i32_e64 s[8:9], s33, v5
	v_cmp_gt_i32_e64 s[10:11], s33, v6
	s_nop 0
	v_cndmask_b32_e64 v5, v3, v24, s[8:9]
	v_cndmask_b32_e64 v6, v3, v25, s[10:11]
	v_max3_f32 v4, v4, v5, v6
	v_or_b32_e32 v5, 50, v2
	v_or_b32_e32 v2, 51, v2
	v_cmp_gt_i32_e32 vcc, s33, v5
	v_cmp_gt_i32_e64 s[6:7], s33, v2
	s_nop 0
	v_cndmask_b32_e32 v5, v3, v18, vcc
	v_cndmask_b32_e64 v2, v3, v19, s[6:7]
	v_max3_f32 v4, v4, v5, v2
	v_mbcnt_lo_u32_b32 v2, -1, 0
	v_mbcnt_hi_u32_b32 v5, -1, v2
	v_and_b32_e32 v2, 64, v5
	v_add_u32_e32 v6, 64, v2
	v_xor_b32_e32 v2, 32, v5
	v_cmp_lt_i32_e64 s[40:41], v2, v6
	s_nop 1
	v_cndmask_b32_e64 v2, v5, v2, s[40:41]
	v_lshlrev_b32_e32 v47, 2, v2
	ds_bpermute_b32 v7, v47, v4
	s_waitcnt vmcnt(2)
	v_mad_i64_i32 v[2:3], s[40:41], v46, s45, v[28:29]
	global_load_dwordx4 v[14:17], v[20:21], off
	global_load_dwordx4 v[10:13], v[2:3], off
	v_xor_b32_e32 v3, 16, v5
	v_cmp_lt_i32_e64 s[40:41], v3, v6
	s_waitcnt lgkmcnt(0)
	v_max_f32_e32 v2, v7, v7
	v_max_f32_e32 v2, v4, v2
	v_cndmask_b32_e64 v3, v5, v3, s[40:41]
	v_lshlrev_b32_e32 v46, 2, v3
	ds_bpermute_b32 v3, v46, v2
	s_waitcnt vmcnt(3)
	v_mad_i64_i32 v[20:21], s[40:41], v26, s45, v[28:29]
	s_waitcnt vmcnt(2)
	v_mad_i64_i32 v[28:29], s[40:41], v45, s45, v[28:29]
	s_waitcnt lgkmcnt(0)
	v_max_f32_e32 v3, v3, v3
	v_max_f32_e32 v26, v2, v3
	v_sub_f32_e32 v2, v32, v26
	v_mul_f32_e32 v2, 0x3fb8aa3b, v2
	v_exp_f32_e32 v32, v2
	v_sub_f32_e32 v2, v33, v26
	v_mul_f32_e32 v2, 0x3fb8aa3b, v2
	v_exp_f32_e32 v33, v2
	global_load_dwordx4 v[6:9], v[20:21], off
	global_load_dwordx4 v[2:5], v[28:29], off
	v_sub_f32_e32 v22, v22, v26
	v_mul_f32_e32 v22, 0x3fb8aa3b, v22
	v_sub_f32_e32 v23, v23, v26
	v_exp_f32_e32 v22, v22
	v_mul_f32_e32 v23, 0x3fb8aa3b, v23
	v_exp_f32_e32 v23, v23
	v_cndmask_b32_e64 v20, 0, v32, s[30:31]
	v_add_f32_e32 v28, 0, v20
	v_cndmask_b32_e64 v21, 0, v33, s[34:35]
	v_add_f32_e32 v28, v28, v21
	;; [unrolled: 2-line block ×3, first 2 shown]
	v_cndmask_b32_e64 v33, 0, v23, s[38:39]
	v_sub_f32_e32 v23, v38, v26
	v_sub_f32_e32 v28, v39, v26
	v_mul_f32_e32 v23, 0x3fb8aa3b, v23
	v_mul_f32_e32 v28, 0x3fb8aa3b, v28
	v_exp_f32_e32 v23, v23
	v_exp_f32_e32 v28, v28
	v_add_f32_e32 v29, v22, v33
	v_sub_f32_e32 v30, v30, v26
	v_cndmask_b32_e64 v22, 0, v23, s[24:25]
	v_cndmask_b32_e64 v23, 0, v28, s[26:27]
	v_sub_f32_e32 v28, v34, v26
	v_mul_f32_e32 v28, 0x3fb8aa3b, v28
	v_exp_f32_e32 v28, v28
	v_sub_f32_e32 v34, v35, v26
	v_add_f32_e32 v29, v29, v22
	v_mul_f32_e32 v34, 0x3fb8aa3b, v34
	v_exp_f32_e32 v35, v34
	v_add_f32_e32 v29, v29, v23
	v_cndmask_b32_e64 v34, 0, v28, s[20:21]
	v_add_f32_e32 v28, v29, v34
	v_sub_f32_e32 v29, v36, v26
	v_mul_f32_e32 v29, 0x3fb8aa3b, v29
	v_sub_f32_e32 v36, v37, v26
	v_exp_f32_e32 v29, v29
	v_mul_f32_e32 v36, 0x3fb8aa3b, v36
	v_exp_f32_e32 v36, v36
	v_mul_f32_e32 v30, 0x3fb8aa3b, v30
	v_sub_f32_e32 v31, v31, v26
	v_exp_f32_e32 v30, v30
	v_mul_f32_e32 v31, 0x3fb8aa3b, v31
	v_sub_f32_e32 v24, v24, v26
	v_cndmask_b32_e64 v35, 0, v35, s[22:23]
	v_exp_f32_e32 v31, v31
	v_mul_f32_e32 v24, 0x3fb8aa3b, v24
	v_sub_f32_e32 v25, v25, v26
	v_add_f32_e32 v37, v28, v35
	v_cndmask_b32_e64 v28, 0, v29, s[16:17]
	v_exp_f32_e32 v24, v24
	v_mul_f32_e32 v25, 0x3fb8aa3b, v25
	v_sub_f32_e32 v18, v18, v26
	v_add_f32_e32 v37, v37, v28
	;; [unrolled: 5-line block ×3, first 2 shown]
	v_cndmask_b32_e64 v30, 0, v30, s[12:13]
	v_exp_f32_e32 v18, v18
	v_mul_f32_e32 v19, 0x3fb8aa3b, v19
	v_add_f32_e32 v36, v36, v30
	v_cndmask_b32_e64 v31, 0, v31, s[14:15]
	v_exp_f32_e32 v19, v19
	v_add_f32_e32 v36, v36, v31
	v_cndmask_b32_e64 v24, 0, v24, s[8:9]
	v_add_f32_e32 v36, v36, v24
	v_cndmask_b32_e64 v25, 0, v25, s[10:11]
	v_add_f32_e32 v36, v36, v25
	v_cndmask_b32_e32 v18, 0, v18, vcc
	v_add_f32_e32 v36, v36, v18
	v_cndmask_b32_e64 v19, 0, v19, s[6:7]
	v_add_f32_e32 v36, v36, v19
	ds_bpermute_b32 v37, v47, v36
	v_cmp_gt_u32_e64 s[6:7], 16, v44
	s_waitcnt lgkmcnt(0)
	s_barrier
	v_add_f32_e32 v37, v36, v37
	ds_bpermute_b32 v38, v46, v37
	v_lshlrev_b32_e32 v36, 2, v43
	s_and_saveexec_b64 s[8:9], s[6:7]
	s_cbranch_execz .LBB804_13
; %bb.12:
	s_waitcnt lgkmcnt(0)
	v_add_f32_e32 v37, v37, v38
	v_lshl_or_b32 v38, v42, 6, v36
	ds_write2st64_b32 v38, v26, v37 offset1:1
.LBB804_13:
	s_or_b64 exec, exec, s[8:9]
	s_load_dwordx2 s[8:9], s[0:1], 0x94
	s_waitcnt lgkmcnt(0)
	s_barrier
	ds_read2_b32 v[38:39], v36 offset1:16
	ds_read2_b32 v[44:45], v36 offset0:32 offset1:48
	ds_read2_b32 v[46:47], v36 offset0:64 offset1:80
	s_waitcnt lgkmcnt(2)
	v_max3_f32 v26, v38, s44, v39
	s_waitcnt lgkmcnt(1)
	v_max3_f32 v26, v26, v44, v45
	v_sub_f32_e32 v37, v38, v26
	v_sub_f32_e32 v38, v39, v26
	v_mul_f32_e32 v38, 0x3fb8aa3b, v38
	v_mul_f32_e32 v37, 0x3fb8aa3b, v37
	v_exp_f32_e32 v48, v38
	v_sub_f32_e32 v38, v44, v26
	v_exp_f32_e32 v37, v37
	v_mul_f32_e32 v38, 0x3fb8aa3b, v38
	v_exp_f32_e32 v44, v38
	ds_read2_b32 v[38:39], v36 offset0:96 offset1:112
	v_sub_f32_e32 v36, v45, v26
	v_mul_f32_e32 v36, 0x3fb8aa3b, v36
	v_exp_f32_e32 v45, v36
	s_waitcnt lgkmcnt(1)
	v_fma_f32 v36, v37, v46, 0
	v_fmac_f32_e32 v36, v48, v47
	s_waitcnt lgkmcnt(0)
	v_fmac_f32_e32 v36, v44, v38
	v_fmac_f32_e32 v36, v45, v39
	v_add_f32_e32 v38, 0x358637bd, v36
	v_div_scale_f32 v39, s[10:11], v38, v38, 1.0
	v_rcp_f32_e32 v46, v39
	s_barrier
	v_fma_f32 v47, -v39, v46, 1.0
	v_fmac_f32_e32 v46, v47, v46
	v_div_scale_f32 v47, vcc, 1.0, v38, 1.0
	v_mul_f32_e32 v49, v47, v46
	v_fma_f32 v50, -v39, v49, v47
	v_fmac_f32_e32 v49, v50, v46
	v_fma_f32 v39, -v39, v49, v47
	v_div_fmas_f32 v39, v39, v46, v49
	v_cmp_eq_u32_e32 vcc, 1, v42
	v_div_fixup_f32 v38, v39, v38, 1.0
	s_nop 0
	v_cndmask_b32_e32 v37, v37, v48, vcc
	v_cmp_eq_u32_e32 vcc, 2, v42
	s_nop 1
	v_cndmask_b32_e32 v37, v37, v44, vcc
	v_cmp_eq_u32_e32 vcc, 3, v42
	s_nop 1
	v_cndmask_b32_e32 v37, v37, v45, vcc
	v_mul_f32_e32 v38, v37, v38
	v_pk_mul_f32 v[32:33], v[38:39], v[32:33] op_sel_hi:[0,1]
	v_pk_mul_f32 v[20:21], v[38:39], v[20:21] op_sel_hi:[0,1]
	v_cvt_f16_f32_e32 v20, v20
	v_cvt_f16_f32_e32 v21, v21
	;; [unrolled: 1-line block ×4, first 2 shown]
	v_pk_mul_f32 v[34:35], v[38:39], v[34:35] op_sel_hi:[0,1]
	v_pk_mul_f32 v[22:23], v[38:39], v[22:23] op_sel_hi:[0,1]
	v_cvt_f16_f32_e32 v22, v22
	v_cvt_f16_f32_e32 v23, v23
	;; [unrolled: 1-line block ×4, first 2 shown]
	v_pack_b32_f16 v32, v20, v21
	v_pack_b32_f16 v33, v37, v33
	v_lshlrev_b32_e32 v20, 3, v40
	v_lshlrev_b32_e32 v21, 5, v43
	;; [unrolled: 1-line block ×3, first 2 shown]
	v_or3_b32 v20, v37, v21, v20
	v_pack_b32_f16 v22, v22, v23
	v_pack_b32_f16 v23, v34, v35
	ds_write2st64_b64 v20, v[32:33], v[22:23] offset1:1
	v_pk_mul_f32 v[22:23], v[38:39], v[30:31] op_sel_hi:[0,1]
	v_pk_mul_f32 v[28:29], v[38:39], v[28:29] op_sel_hi:[0,1]
	v_cvt_f16_f32_e32 v30, v22
	v_cvt_f16_f32_e32 v31, v23
	v_pk_mul_f32 v[18:19], v[38:39], v[18:19] op_sel_hi:[0,1]
	v_pk_mul_f32 v[22:23], v[38:39], v[24:25] op_sel_hi:[0,1]
	v_cvt_f16_f32_e32 v28, v28
	v_cvt_f16_f32_e32 v29, v29
	;; [unrolled: 1-line block ×6, first 2 shown]
	v_pack_b32_f16 v18, v28, v29
	v_pack_b32_f16 v19, v30, v31
	;; [unrolled: 1-line block ×4, first 2 shown]
	v_cmp_eq_u32_e32 vcc, 0, v0
	ds_write2st64_b64 v20, v[18:19], v[22:23] offset0:2 offset1:3
	s_and_saveexec_b64 s[10:11], vcc
	s_cbranch_execz .LBB804_15
; %bb.14:
	s_mul_i32 s3, s3, s9
	s_mul_hi_u32 s16, s2, s9
	s_add_i32 s16, s16, s3
	s_mul_i32 s3, s2, s9
	s_add_u32 s3, s3, s4
	s_addc_u32 s16, s16, 0
	s_load_dwordx4 s[12:15], s[0:1], 0x58
	s_mul_i32 s16, s16, s8
	s_mul_hi_u32 s17, s3, s8
	s_add_i32 s17, s17, s16
	s_mul_i32 s3, s3, s8
	s_add_u32 s16, s3, s5
	s_addc_u32 s17, s17, 0
	s_lshl_b64 s[16:17], s[16:17], 2
	s_waitcnt lgkmcnt(0)
	s_add_u32 s14, s14, s16
	s_addc_u32 s15, s15, s17
	s_add_u32 s12, s12, s16
	s_addc_u32 s13, s13, s17
	global_store_dword v27, v26, s[14:15]
	global_store_dword v27, v36, s[12:13]
.LBB804_15:
	s_or_b64 exec, exec, s[10:11]
	s_waitcnt vmcnt(3)
	v_cvt_pk_f32_fp8_e32 v[18:19], v14
	v_cvt_pk_f32_fp8_sdwa v[22:23], v14 src0_sel:WORD_1
	v_cvt_pk_f32_fp8_e32 v[24:25], v15
	v_lshl_or_b32 v14, v40, 9, v21
	s_waitcnt lgkmcnt(0)
	s_barrier
	v_cvt_pkrtz_f16_f32 v18, v18, v19
	v_cvt_pkrtz_f16_f32 v19, v22, v23
	v_cvt_pk_f32_fp8_sdwa v[26:27], v15 src0_sel:WORD_1
	v_cvt_pkrtz_f16_f32 v34, v24, v25
	ds_read_b128 v[22:25], v14
	v_cvt_pk_f32_fp8_e32 v[36:37], v16
	v_cvt_pkrtz_f16_f32 v35, v26, v27
	ds_read_b128 v[26:29], v14 offset:16
	v_cvt_pk_f32_fp8_sdwa v[38:39], v16 src0_sel:WORD_1
	s_waitcnt lgkmcnt(1)
	v_mfma_f32_16x16x16_f16 v[30:33], v[18:19], v[22:23], 0
	v_cvt_pkrtz_f16_f32 v18, v36, v37
	v_cvt_pk_f32_fp8_e32 v[36:37], v17
	v_cvt_pkrtz_f16_f32 v19, v38, v39
	v_mfma_f32_16x16x16_f16 v[22:25], v[34:35], v[24:25], v[30:33]
	s_waitcnt vmcnt(2)
	v_cvt_pk_f32_fp8_sdwa v[34:35], v12 src0_sel:WORD_1
	s_load_dword s10, s[42:43], 0x0
	v_cmp_gt_u32_e32 vcc, 64, v0
	v_cvt_pk_f32_fp8_sdwa v[30:31], v17 src0_sel:WORD_1
	v_cvt_pkrtz_f16_f32 v32, v36, v37
	s_waitcnt lgkmcnt(0)
	v_mfma_f32_16x16x16_f16 v[16:19], v[18:19], v[26:27], v[22:25]
	v_cvt_pk_f32_fp8_e32 v[26:27], v11
	v_cvt_pkrtz_f16_f32 v33, v30, v31
	s_mov_b32 s3, 0
	v_cvt_pk_f32_fp8_e32 v[22:23], v10
	v_cvt_pk_f32_fp8_sdwa v[24:25], v10 src0_sel:WORD_1
	v_mfma_f32_16x16x16_f16 v[16:19], v[32:33], v[28:29], v[16:19]
	v_cvt_pkrtz_f16_f32 v10, v22, v23
	v_cvt_pk_f32_fp8_sdwa v[28:29], v11 src0_sel:WORD_1
	v_cvt_pkrtz_f16_f32 v11, v24, v25
	ds_read_b128 v[22:25], v14 offset:2048
	v_cvt_pkrtz_f16_f32 v30, v26, v27
	v_cvt_pkrtz_f16_f32 v31, v28, v29
	ds_read_b128 v[26:29], v14 offset:2064
	v_cvt_pk_f32_fp8_e32 v[32:33], v12
	s_waitcnt lgkmcnt(1)
	v_mfma_f32_16x16x16_f16 v[16:19], v[10:11], v[22:23], v[16:19]
	v_cvt_pkrtz_f16_f32 v11, v34, v35
	v_cvt_pk_f32_fp8_e32 v[22:23], v13
	v_cvt_pkrtz_f16_f32 v10, v32, v33
	v_mfma_f32_16x16x16_f16 v[16:19], v[30:31], v[24:25], v[16:19]
	v_cvt_pk_f32_fp8_sdwa v[24:25], v13 src0_sel:WORD_1
	v_cvt_pkrtz_f16_f32 v22, v22, v23
	s_waitcnt vmcnt(1)
	v_cvt_pk_f32_fp8_sdwa v[30:31], v8 src0_sel:WORD_1
	s_waitcnt lgkmcnt(0)
	v_mfma_f32_16x16x16_f16 v[10:13], v[10:11], v[26:27], v[16:19]
	v_cvt_pkrtz_f16_f32 v23, v24, v25
	v_cvt_pk_f32_fp8_sdwa v[24:25], v7 src0_sel:WORD_1
	s_nop 0
	v_cvt_pk_f32_fp8_e32 v[16:17], v6
	v_cvt_pk_f32_fp8_sdwa v[18:19], v6 src0_sel:WORD_1
	v_mfma_f32_16x16x16_f16 v[10:13], v[22:23], v[28:29], v[10:13]
	v_cvt_pk_f32_fp8_e32 v[22:23], v7
	v_cvt_pkrtz_f16_f32 v6, v16, v17
	v_cvt_pkrtz_f16_f32 v7, v18, v19
	ds_read_b128 v[16:19], v14 offset:4096
	v_cvt_pkrtz_f16_f32 v26, v22, v23
	v_cvt_pkrtz_f16_f32 v27, v24, v25
	ds_read_b128 v[22:25], v14 offset:4112
	v_cvt_pk_f32_fp8_e32 v[28:29], v8
	s_waitcnt lgkmcnt(1)
	v_mfma_f32_16x16x16_f16 v[10:13], v[6:7], v[16:17], v[10:13]
	v_cvt_pkrtz_f16_f32 v7, v30, v31
	v_cvt_pk_f32_fp8_e32 v[16:17], v9
	v_cvt_pkrtz_f16_f32 v6, v28, v29
	v_mfma_f32_16x16x16_f16 v[10:13], v[26:27], v[18:19], v[10:13]
	v_cvt_pk_f32_fp8_sdwa v[18:19], v9 src0_sel:WORD_1
	v_cvt_pkrtz_f16_f32 v16, v16, v17
	v_cvt_pkrtz_f16_f32 v17, v18, v19
	s_waitcnt lgkmcnt(0)
	v_mfma_f32_16x16x16_f16 v[6:9], v[6:7], v[22:23], v[10:13]
	s_waitcnt vmcnt(0)
	v_cvt_pk_f32_fp8_sdwa v[18:19], v3 src0_sel:WORD_1
	s_nop 0
	v_cvt_pkrtz_f16_f32 v23, v18, v19
	v_cvt_pk_f32_fp8_e32 v[10:11], v2
	v_cvt_pk_f32_fp8_sdwa v[12:13], v2 src0_sel:WORD_1
	v_mfma_f32_16x16x16_f16 v[6:9], v[16:17], v[24:25], v[6:9]
	v_cvt_pk_f32_fp8_e32 v[16:17], v3
	v_cvt_pkrtz_f16_f32 v2, v10, v11
	v_cvt_pkrtz_f16_f32 v3, v12, v13
	ds_read_b128 v[10:13], v14 offset:6144
	v_cvt_pkrtz_f16_f32 v22, v16, v17
	v_cvt_pk_f32_fp8_e32 v[18:19], v4
	v_cvt_pk_f32_fp8_sdwa v[24:25], v4 src0_sel:WORD_1
	s_waitcnt lgkmcnt(0)
	v_mfma_f32_16x16x16_f16 v[6:9], v[2:3], v[10:11], v[6:9]
	ds_read_b128 v[14:17], v14 offset:6160
	v_cvt_pkrtz_f16_f32 v2, v18, v19
	v_cvt_pkrtz_f16_f32 v3, v24, v25
	v_cvt_pk_f32_fp8_e32 v[10:11], v5
	v_mfma_f32_16x16x16_f16 v[6:9], v[22:23], v[12:13], v[6:9]
	v_cvt_pk_f32_fp8_sdwa v[12:13], v5 src0_sel:WORD_1
	s_waitcnt lgkmcnt(0)
	v_cvt_pkrtz_f16_f32 v10, v10, v11
	v_mfma_f32_16x16x16_f16 v[2:5], v[2:3], v[14:15], v[6:9]
	v_cvt_pkrtz_f16_f32 v11, v12, v13
	s_barrier
	s_nop 0
	v_mfma_f32_16x16x16_f16 v[2:5], v[10:11], v[16:17], v[2:5]
	s_nop 6
	v_pk_mul_f32 v[4:5], v[4:5], s[10:11] op_sel_hi:[1,0]
	v_pk_mul_f32 v[2:3], v[2:3], s[10:11] op_sel_hi:[1,0]
	v_cvt_f16_f32_e32 v4, v4
	v_cvt_f16_f32_e32 v2, v2
	;; [unrolled: 1-line block ×4, first 2 shown]
	s_and_b64 s[10:11], s[28:29], vcc
	s_and_b64 s[6:7], s[10:11], s[6:7]
	v_pack_b32_f16 v2, v2, v3
	v_pack_b32_f16 v3, v4, v5
	ds_write_b64 v20, v[2:3]
	s_waitcnt lgkmcnt(0)
	s_barrier
	s_and_saveexec_b64 s[10:11], s[6:7]
	s_cbranch_execz .LBB804_17
; %bb.16:
	s_load_dwordx2 s[0:1], s[0:1], 0x68
	s_mul_i32 s2, s9, s2
	s_lshl_b32 s8, s8, 6
	s_mul_hi_u32 s7, s2, s8
	s_mul_i32 s6, s2, s8
	s_lshl_b64 s[6:7], s[6:7], 1
	v_lshlrev_b32_e32 v0, 10, v0
	s_waitcnt lgkmcnt(0)
	s_add_u32 s6, s0, s6
	v_and_b32_e32 v0, 0x1800, v0
	v_lshlrev_b32_e32 v2, 5, v40
	v_and_b32_e32 v3, 16, v41
	s_addc_u32 s7, s1, s7
	s_lshl_b32 s2, s5, 6
	v_or3_b32 v0, v0, v2, v3
	s_lshl_b64 s[0:1], s[2:3], 1
	ds_read_b128 v[2:5], v0
	s_add_u32 s2, s6, s0
	s_addc_u32 s3, s7, s1
	s_mul_hi_u32 s1, s8, s4
	s_mul_i32 s0, s8, s4
	s_lshl_b64 s[0:1], s[0:1], 1
	s_add_u32 s0, s2, s0
	s_addc_u32 s1, s3, s1
	s_waitcnt lgkmcnt(0)
	global_store_dwordx4 v1, v[2:5], s[0:1]
.LBB804_17:
	s_endpgm
	.section	.rodata,"a",@progbits
	.p2align	6, 0x0
	.amdhsa_kernel _Z39paged_attention_ll4mi_QKV_mfma16_kernelIDF16_hLN4vllm18Fp8KVCacheDataTypeE1EhLi16ELi64ELi256ELb0ELi1EEvPKT_PKT0_S7_ifPKiS9_S9_iPKfiiiPfSC_PS2_PT2_iSB_SB_
		.amdhsa_group_segment_fixed_size 8192
		.amdhsa_private_segment_fixed_size 0
		.amdhsa_kernarg_size 400
		.amdhsa_user_sgpr_count 2
		.amdhsa_user_sgpr_dispatch_ptr 0
		.amdhsa_user_sgpr_queue_ptr 0
		.amdhsa_user_sgpr_kernarg_segment_ptr 1
		.amdhsa_user_sgpr_dispatch_id 0
		.amdhsa_user_sgpr_kernarg_preload_length 0
		.amdhsa_user_sgpr_kernarg_preload_offset 0
		.amdhsa_user_sgpr_private_segment_size 0
		.amdhsa_uses_dynamic_stack 0
		.amdhsa_enable_private_segment 0
		.amdhsa_system_sgpr_workgroup_id_x 1
		.amdhsa_system_sgpr_workgroup_id_y 1
		.amdhsa_system_sgpr_workgroup_id_z 1
		.amdhsa_system_sgpr_workgroup_info 0
		.amdhsa_system_vgpr_workitem_id 0
		.amdhsa_next_free_vgpr 59
		.amdhsa_next_free_sgpr 48
		.amdhsa_accum_offset 60
		.amdhsa_reserve_vcc 1
		.amdhsa_float_round_mode_32 0
		.amdhsa_float_round_mode_16_64 0
		.amdhsa_float_denorm_mode_32 3
		.amdhsa_float_denorm_mode_16_64 3
		.amdhsa_dx10_clamp 1
		.amdhsa_ieee_mode 1
		.amdhsa_fp16_overflow 0
		.amdhsa_tg_split 0
		.amdhsa_exception_fp_ieee_invalid_op 0
		.amdhsa_exception_fp_denorm_src 0
		.amdhsa_exception_fp_ieee_div_zero 0
		.amdhsa_exception_fp_ieee_overflow 0
		.amdhsa_exception_fp_ieee_underflow 0
		.amdhsa_exception_fp_ieee_inexact 0
		.amdhsa_exception_int_div_zero 0
	.end_amdhsa_kernel
	.section	.text._Z39paged_attention_ll4mi_QKV_mfma16_kernelIDF16_hLN4vllm18Fp8KVCacheDataTypeE1EhLi16ELi64ELi256ELb0ELi1EEvPKT_PKT0_S7_ifPKiS9_S9_iPKfiiiPfSC_PS2_PT2_iSB_SB_,"axG",@progbits,_Z39paged_attention_ll4mi_QKV_mfma16_kernelIDF16_hLN4vllm18Fp8KVCacheDataTypeE1EhLi16ELi64ELi256ELb0ELi1EEvPKT_PKT0_S7_ifPKiS9_S9_iPKfiiiPfSC_PS2_PT2_iSB_SB_,comdat
.Lfunc_end804:
	.size	_Z39paged_attention_ll4mi_QKV_mfma16_kernelIDF16_hLN4vllm18Fp8KVCacheDataTypeE1EhLi16ELi64ELi256ELb0ELi1EEvPKT_PKT0_S7_ifPKiS9_S9_iPKfiiiPfSC_PS2_PT2_iSB_SB_, .Lfunc_end804-_Z39paged_attention_ll4mi_QKV_mfma16_kernelIDF16_hLN4vllm18Fp8KVCacheDataTypeE1EhLi16ELi64ELi256ELb0ELi1EEvPKT_PKT0_S7_ifPKiS9_S9_iPKfiiiPfSC_PS2_PT2_iSB_SB_
                                        ; -- End function
	.section	.AMDGPU.csdata,"",@progbits
; Kernel info:
; codeLenInByte = 4432
; NumSgprs: 54
; NumVgprs: 59
; NumAgprs: 0
; TotalNumVgprs: 59
; ScratchSize: 0
; MemoryBound: 0
; FloatMode: 240
; IeeeMode: 1
; LDSByteSize: 8192 bytes/workgroup (compile time only)
; SGPRBlocks: 6
; VGPRBlocks: 7
; NumSGPRsForWavesPerEU: 54
; NumVGPRsForWavesPerEU: 59
; AccumOffset: 60
; Occupancy: 8
; WaveLimiterHint : 1
; COMPUTE_PGM_RSRC2:SCRATCH_EN: 0
; COMPUTE_PGM_RSRC2:USER_SGPR: 2
; COMPUTE_PGM_RSRC2:TRAP_HANDLER: 0
; COMPUTE_PGM_RSRC2:TGID_X_EN: 1
; COMPUTE_PGM_RSRC2:TGID_Y_EN: 1
; COMPUTE_PGM_RSRC2:TGID_Z_EN: 1
; COMPUTE_PGM_RSRC2:TIDIG_COMP_CNT: 0
; COMPUTE_PGM_RSRC3_GFX90A:ACCUM_OFFSET: 14
; COMPUTE_PGM_RSRC3_GFX90A:TG_SPLIT: 0
	.section	.text._Z39paged_attention_ll4mi_QKV_mfma16_kernelIDF16_hLN4vllm18Fp8KVCacheDataTypeE1EhLi16ELi64ELi256ELb0ELi2EEvPKT_PKT0_S7_ifPKiS9_S9_iPKfiiiPfSC_PS2_PT2_iSB_SB_,"axG",@progbits,_Z39paged_attention_ll4mi_QKV_mfma16_kernelIDF16_hLN4vllm18Fp8KVCacheDataTypeE1EhLi16ELi64ELi256ELb0ELi2EEvPKT_PKT0_S7_ifPKiS9_S9_iPKfiiiPfSC_PS2_PT2_iSB_SB_,comdat
	.protected	_Z39paged_attention_ll4mi_QKV_mfma16_kernelIDF16_hLN4vllm18Fp8KVCacheDataTypeE1EhLi16ELi64ELi256ELb0ELi2EEvPKT_PKT0_S7_ifPKiS9_S9_iPKfiiiPfSC_PS2_PT2_iSB_SB_ ; -- Begin function _Z39paged_attention_ll4mi_QKV_mfma16_kernelIDF16_hLN4vllm18Fp8KVCacheDataTypeE1EhLi16ELi64ELi256ELb0ELi2EEvPKT_PKT0_S7_ifPKiS9_S9_iPKfiiiPfSC_PS2_PT2_iSB_SB_
	.globl	_Z39paged_attention_ll4mi_QKV_mfma16_kernelIDF16_hLN4vllm18Fp8KVCacheDataTypeE1EhLi16ELi64ELi256ELb0ELi2EEvPKT_PKT0_S7_ifPKiS9_S9_iPKfiiiPfSC_PS2_PT2_iSB_SB_
	.p2align	8
	.type	_Z39paged_attention_ll4mi_QKV_mfma16_kernelIDF16_hLN4vllm18Fp8KVCacheDataTypeE1EhLi16ELi64ELi256ELb0ELi2EEvPKT_PKT0_S7_ifPKiS9_S9_iPKfiiiPfSC_PS2_PT2_iSB_SB_,@function
_Z39paged_attention_ll4mi_QKV_mfma16_kernelIDF16_hLN4vllm18Fp8KVCacheDataTypeE1EhLi16ELi64ELi256ELb0ELi2EEvPKT_PKT0_S7_ifPKiS9_S9_iPKfiiiPfSC_PS2_PT2_iSB_SB_: ; @_Z39paged_attention_ll4mi_QKV_mfma16_kernelIDF16_hLN4vllm18Fp8KVCacheDataTypeE1EhLi16ELi64ELi256ELb0ELi2EEvPKT_PKT0_S7_ifPKiS9_S9_iPKfiiiPfSC_PS2_PT2_iSB_SB_
; %bb.0:
	s_load_dwordx2 s[12:13], s[0:1], 0x30
	s_mov_b32 s28, s3
	s_mov_b64 s[6:7], 0
	s_waitcnt lgkmcnt(0)
	s_cmp_lg_u64 s[12:13], 0
	s_cselect_b64 s[14:15], -1, 0
	s_and_b64 vcc, exec, s[14:15]
	s_cbranch_vccz .LBB805_7
; %bb.1:
	s_add_i32 s8, s2, 1
	s_mov_b32 s9, 0
	s_lshl_b64 s[10:11], s[8:9], 2
	s_add_u32 s10, s12, s10
	s_mov_b32 s3, s9
	s_addc_u32 s11, s13, s11
	s_lshl_b64 s[8:9], s[2:3], 2
	s_add_u32 s8, s12, s8
	s_addc_u32 s9, s13, s9
	s_load_dword s5, s[10:11], 0x0
	s_load_dword s16, s[8:9], 0x0
	s_waitcnt lgkmcnt(0)
	s_sub_i32 s5, s5, s16
	s_cmp_eq_u32 s5, 1
	s_cselect_b64 s[8:9], -1, 0
	s_andn2_b64 vcc, exec, s[6:7]
	s_cbranch_vccnz .LBB805_3
.LBB805_2:
	s_mov_b32 s3, 0
	s_mov_b64 s[8:9], -1
.LBB805_3:
	s_andn2_b64 vcc, exec, s[8:9]
	s_cbranch_vccnz .LBB805_17
; %bb.4:
	s_load_dwordx2 s[6:7], s[0:1], 0x28
	s_lshl_b64 s[16:17], s[2:3], 2
	s_waitcnt lgkmcnt(0)
	s_add_u32 s6, s6, s16
	s_addc_u32 s7, s7, s17
	s_load_dword s48, s[6:7], 0x0
	s_lshl_b32 s5, s28, 8
	s_waitcnt lgkmcnt(0)
	s_cmp_ge_i32 s5, s48
	s_cbranch_scc1 .LBB805_17
; %bb.5:
	s_load_dwordx2 s[6:7], s[0:1], 0x20
	s_load_dword s8, s[0:1], 0x38
	s_add_i32 s9, s48, 15
	s_ashr_i32 s10, s9, 31
	v_and_b32_e32 v1, 0xcf, v0
	s_lshr_b32 s10, s10, 28
	v_add_u32_e32 v1, s5, v1
	s_add_i32 s9, s9, s10
	v_ashrrev_i32_e32 v2, 31, v1
	s_ashr_i32 s18, s9, 4
	v_lshrrev_b32_e32 v4, 28, v2
	s_add_i32 s18, s18, -1
	s_waitcnt lgkmcnt(0)
	s_mul_i32 s8, s2, s8
	s_mov_b32 s9, 0
	v_add_u32_e32 v2, v1, v4
	s_lshl_b64 s[8:9], s[8:9], 2
	v_ashrrev_i32_e32 v2, 4, v2
	v_mov_b32_e32 v5, s18
	v_cmp_gt_i32_e32 vcc, s48, v1
	s_add_u32 s6, s6, s8
	s_addc_u32 s7, s7, s9
	v_cndmask_b32_e32 v2, v5, v2, vcc
	v_ashrrev_i32_e32 v3, 31, v2
	v_lshl_add_u64 v[6:7], v[2:3], 2, s[6:7]
	v_or_b32_e32 v2, 16, v1
	v_add_u32_e32 v3, v2, v4
	v_ashrrev_i32_e32 v3, 4, v3
	v_cmp_gt_i32_e32 vcc, s48, v2
	s_load_dwordx4 s[8:11], s[0:1], 0x8
	s_nop 0
	v_cndmask_b32_e32 v2, v5, v3, vcc
	v_ashrrev_i32_e32 v3, 31, v2
	v_lshl_add_u64 v[8:9], v[2:3], 2, s[6:7]
	v_or_b32_e32 v2, 32, v1
	v_add_u32_e32 v3, v2, v4
	v_ashrrev_i32_e32 v3, 4, v3
	v_cmp_gt_i32_e32 vcc, s48, v2
	v_or_b32_e32 v1, 48, v1
	s_nop 0
	v_cndmask_b32_e32 v2, v5, v3, vcc
	v_ashrrev_i32_e32 v3, 31, v2
	v_lshl_add_u64 v[10:11], v[2:3], 2, s[6:7]
	v_add_u32_e32 v2, v1, v4
	v_ashrrev_i32_e32 v2, 4, v2
	v_cmp_gt_i32_e32 vcc, s48, v1
	s_nop 1
	v_cndmask_b32_e32 v2, v5, v2, vcc
	v_ashrrev_i32_e32 v3, 31, v2
	v_lshl_add_u64 v[12:13], v[2:3], 2, s[6:7]
	global_load_dword v4, v[6:7], off
	global_load_dword v3, v[8:9], off
	;; [unrolled: 1-line block ×4, first 2 shown]
	s_andn2_b64 vcc, exec, s[14:15]
	s_cbranch_vccnz .LBB805_8
; %bb.6:
	s_add_u32 s12, s12, s16
	s_addc_u32 s13, s13, s17
	s_load_dword s14, s[12:13], 0x0
	s_branch .LBB805_9
.LBB805_7:
	s_mov_b64 s[8:9], 0
	s_branch .LBB805_2
.LBB805_8:
	s_mov_b32 s14, s2
.LBB805_9:
	s_load_dwordx4 s[44:47], s[0:1], 0x48
	v_lshrrev_b32_e32 v42, 6, v0
	v_bfe_u32 v1, v0, 4, 2
	v_lshl_or_b32 v5, v42, 2, v1
	v_and_b32_e32 v43, 15, v0
	v_lshlrev_b32_e32 v6, 3, v43
	v_cmp_gt_u32_e32 vcc, 2, v5
	v_cmp_gt_u32_e64 s[30:31], 8, v43
	v_and_b32_e32 v41, 63, v0
	s_lshl_b32 s29, s4, 1
	s_and_b64 s[16:17], s[30:31], vcc
	v_lshlrev_b32_e32 v26, 1, v6
	v_lshlrev_b32_e32 v40, 4, v0
	s_and_saveexec_b64 s[12:13], s[16:17]
	s_cbranch_execz .LBB805_11
; %bb.10:
	s_load_dwordx2 s[16:17], s[0:1], 0x0
	s_waitcnt lgkmcnt(0)
	s_ashr_i32 s15, s44, 31
	s_mul_hi_u32 s19, s14, s44
	s_mul_i32 s15, s14, s15
	s_add_i32 s15, s19, s15
	s_mul_i32 s14, s14, s44
	s_lshl_b64 s[14:15], s[14:15], 1
	s_add_u32 s14, s16, s14
	v_add_lshl_u32 v6, v1, s29, 6
	s_addc_u32 s15, s17, s15
	v_ashrrev_i32_e32 v7, 31, v6
	v_lshl_add_u64 v[6:7], v[6:7], 1, s[14:15]
	v_mov_b32_e32 v27, 0
	v_lshl_add_u64 v[6:7], v[6:7], 0, v[26:27]
	global_load_dwordx4 v[6:9], v[6:7], off
	v_lshlrev_b32_e32 v11, 8, v43
	v_lshlrev_b32_e32 v5, 5, v5
	v_and_b32_e32 v10, 16, v40
	v_and_b32_e32 v11, 0xe00, v11
	v_or3_b32 v5, v11, v5, v10
	s_waitcnt vmcnt(0)
	ds_write_b128 v5, v[6:9]
.LBB805_11:
	s_or_b64 exec, exec, s[12:13]
	s_waitcnt lgkmcnt(0)
	s_mul_i32 s4, s4, s46
	s_add_u32 s8, s8, s4
	s_addc_u32 s9, s9, 0
	v_and_b32_e32 v8, 48, v0
	v_and_b32_e32 v28, 0xf0, v40
	v_mov_b32_e32 v29, 0
	v_lshl_add_u64 v[6:7], s[8:9], 0, v[28:29]
	v_lshlrev_b32_e32 v28, 4, v8
	v_lshl_add_u64 v[16:17], v[6:7], 0, v[28:29]
	s_waitcnt vmcnt(3)
	v_mad_i64_i32 v[4:5], s[8:9], v4, s45, v[16:17]
	s_load_dword s33, s[0:1], 0x98
	s_load_dwordx4 s[40:43], s[0:1], 0x80
	s_waitcnt lgkmcnt(0)
	s_barrier
	global_load_dwordx4 v[22:25], v[4:5], off
	s_waitcnt vmcnt(3)
	v_mad_i64_i32 v[4:5], s[8:9], v3, s45, v[16:17]
	global_load_dwordx4 v[18:21], v[4:5], off
	v_or_b32_e32 v6, s5, v8
	v_mov_b32_e32 v27, s18
	v_ashrrev_i32_e32 v3, 4, v6
	v_cmp_gt_i32_e32 vcc, s48, v6
	v_or_b32_e32 v15, 64, v6
	v_ashrrev_i32_e32 v30, 4, v15
	v_cndmask_b32_e32 v4, v27, v3, vcc
	s_waitcnt vmcnt(3)
	v_mad_i64_i32 v[2:3], s[8:9], v2, s45, v[16:17]
	global_load_dwordx4 v[10:13], v[2:3], off
	v_and_b32_e32 v2, 1, v0
	v_ashrrev_i32_e32 v5, 31, v4
	v_lshlrev_b32_e32 v2, 5, v2
	v_lshl_add_u64 v[4:5], v[4:5], 2, s[6:7]
	v_lshl_or_b32 v2, v1, 9, v2
	v_cmp_gt_i32_e32 vcc, s48, v15
	s_waitcnt vmcnt(3)
	v_mad_i64_i32 v[14:15], s[12:13], v14, s45, v[16:17]
	global_load_dword v56, v[4:5], off
	v_or_b32_e32 v31, 0x80, v6
	v_or_b32_e32 v33, 0xc0, v6
	ds_read_b128 v[6:9], v2
	ds_read_b128 v[2:5], v2 offset:16
	global_load_dwordx4 v[14:17], v[14:15], off
	v_ashrrev_i32_e32 v32, 4, v31
	v_cndmask_b32_e32 v30, v27, v30, vcc
	v_cmp_gt_i32_e32 vcc, s48, v31
	v_ashrrev_i32_e32 v34, 4, v33
	v_ashrrev_i32_e32 v31, 31, v30
	v_cndmask_b32_e32 v32, v27, v32, vcc
	v_cmp_gt_i32_e32 vcc, s48, v33
	v_ashrrev_i32_e32 v33, 31, v32
	v_lshl_add_u64 v[30:31], v[30:31], 2, s[6:7]
	v_cndmask_b32_e32 v34, v27, v34, vcc
	v_ashrrev_i32_e32 v35, 31, v34
	v_lshl_add_u64 v[32:33], v[32:33], 2, s[6:7]
	s_add_u32 s8, s10, s4
	s_load_dword s4, s[40:41], 0x0
	v_lshl_add_u64 v[34:35], v[34:35], 2, s[6:7]
	global_load_dword v45, v[30:31], off
	global_load_dword v27, v[32:33], off
	;; [unrolled: 1-line block ×3, first 2 shown]
	s_load_dword s14, s[0:1], 0x1c
	s_mov_b32 s44, 0xff7fffff
	v_lshlrev_b32_e32 v28, 4, v43
	s_addc_u32 s9, s11, 0
	v_lshl_or_b32 v28, v42, 8, v28
	s_waitcnt lgkmcnt(0)
	v_mov_b32_e32 v57, s14
	v_lshl_add_u64 v[28:29], s[8:9], 0, v[28:29]
	s_waitcnt vmcnt(7)
	v_cvt_pk_f32_fp8_e32 v[30:31], v22
	v_cvt_pk_f32_fp8_sdwa v[32:33], v22 src0_sel:WORD_1
	v_cvt_pk_f32_fp8_e32 v[34:35], v23
	v_cvt_pk_f32_fp8_sdwa v[36:37], v23 src0_sel:WORD_1
	s_waitcnt vmcnt(6)
	v_cvt_pk_f32_fp8_e32 v[22:23], v18
	v_cvt_pk_f32_fp8_sdwa v[50:51], v18 src0_sel:WORD_1
	v_cvt_pkrtz_f16_f32 v30, v30, v31
	v_cvt_pkrtz_f16_f32 v31, v32, v33
	v_cvt_pk_f32_fp8_e32 v[54:55], v19
	v_cvt_pkrtz_f16_f32 v32, v22, v23
	v_cvt_pkrtz_f16_f32 v33, v50, v51
	v_cvt_pk_f32_fp8_sdwa v[18:19], v19 src0_sel:WORD_1
	v_cvt_pkrtz_f16_f32 v34, v34, v35
	v_cvt_pkrtz_f16_f32 v35, v36, v37
	v_cvt_pk_f32_fp8_e32 v[38:39], v24
	v_cvt_pk_f32_fp8_sdwa v[46:47], v24 src0_sel:WORD_1
	v_cvt_pk_f32_fp8_e32 v[48:49], v25
	v_cvt_pk_f32_fp8_sdwa v[52:53], v25 src0_sel:WORD_1
	v_mfma_f32_16x16x16_f16 v[22:25], v[30:31], v[6:7], 0
	v_cvt_pkrtz_f16_f32 v50, v54, v55
	v_cvt_pkrtz_f16_f32 v51, v18, v19
	v_cvt_pk_f32_fp8_e32 v[36:37], v20
	v_mfma_f32_16x16x16_f16 v[30:33], v[32:33], v[6:7], 0
	v_cvt_pk_f32_fp8_sdwa v[18:19], v20 src0_sel:WORD_1
	v_mfma_f32_16x16x16_f16 v[22:25], v[34:35], v[8:9], v[22:25]
	v_cvt_pkrtz_f16_f32 v34, v38, v39
	v_cvt_pkrtz_f16_f32 v35, v46, v47
	v_cvt_pk_f32_fp8_e32 v[38:39], v21
	v_mfma_f32_16x16x16_f16 v[30:33], v[50:51], v[8:9], v[30:33]
	v_cvt_pkrtz_f16_f32 v46, v48, v49
	v_cvt_pkrtz_f16_f32 v47, v52, v53
	v_cvt_pk_f32_fp8_sdwa v[48:49], v21 src0_sel:WORD_1
	v_cvt_pkrtz_f16_f32 v50, v36, v37
	v_cvt_pkrtz_f16_f32 v51, v18, v19
	v_mfma_f32_16x16x16_f16 v[22:25], v[34:35], v[2:3], v[22:25]
	v_cvt_pkrtz_f16_f32 v18, v38, v39
	v_cvt_pkrtz_f16_f32 v19, v48, v49
	s_waitcnt vmcnt(5)
	v_cvt_pk_f32_fp8_sdwa v[38:39], v13 src0_sel:WORD_1
	v_mfma_f32_16x16x16_f16 v[34:37], v[46:47], v[4:5], v[22:25]
	s_waitcnt vmcnt(4)
	v_mad_i64_i32 v[20:21], s[6:7], v56, s45, v[28:29]
	v_mfma_f32_16x16x16_f16 v[22:25], v[50:51], v[2:3], v[30:33]
	v_mul_f32_e32 v50, s4, v57
	s_nop 1
	v_cvt_pk_f32_fp8_e32 v[30:31], v10
	v_cvt_pk_f32_fp8_sdwa v[32:33], v10 src0_sel:WORD_1
	v_mfma_f32_16x16x16_f16 v[46:49], v[18:19], v[4:5], v[22:25]
	v_cvt_pk_f32_fp8_e32 v[18:19], v11
	v_cvt_pk_f32_fp8_sdwa v[10:11], v11 src0_sel:WORD_1
	v_cvt_pkrtz_f16_f32 v18, v18, v19
	v_cvt_pkrtz_f16_f32 v22, v30, v31
	;; [unrolled: 1-line block ×3, first 2 shown]
	v_cvt_pk_f32_fp8_e32 v[30:31], v12
	v_cvt_pk_f32_fp8_sdwa v[32:33], v12 src0_sel:WORD_1
	v_cvt_pkrtz_f16_f32 v19, v10, v11
	v_mfma_f32_16x16x16_f16 v[22:25], v[22:23], v[6:7], 0
	v_cvt_pkrtz_f16_f32 v30, v30, v31
	v_cvt_pkrtz_f16_f32 v31, v32, v33
	v_cvt_pk_f32_fp8_e32 v[32:33], v13
	v_mfma_f32_16x16x16_f16 v[10:13], v[18:19], v[8:9], v[22:25]
	v_cvt_pkrtz_f16_f32 v19, v38, v39
	s_waitcnt vmcnt(3)
	v_cvt_pk_f32_fp8_sdwa v[38:39], v16 src0_sel:WORD_1
	v_cvt_pkrtz_f16_f32 v18, v32, v33
	v_mfma_f32_16x16x16_f16 v[10:13], v[30:31], v[2:3], v[10:13]
	v_cvt_pk_f32_fp8_e32 v[24:25], v14
	v_cvt_pk_f32_fp8_sdwa v[30:31], v14 src0_sel:WORD_1
	v_pk_mul_f32 v[22:23], v[50:51], v[36:37] op_sel_hi:[0,1]
	v_mfma_f32_16x16x16_f16 v[10:13], v[18:19], v[4:5], v[10:13]
	v_cvt_pk_f32_fp8_e32 v[18:19], v15
	v_cvt_pkrtz_f16_f32 v24, v24, v25
	v_cvt_pkrtz_f16_f32 v25, v30, v31
	v_cvt_pk_f32_fp8_sdwa v[14:15], v15 src0_sel:WORD_1
	v_cvt_pkrtz_f16_f32 v18, v18, v19
	v_cvt_pk_f32_fp8_e32 v[30:31], v16
	v_pk_mul_f32 v[32:33], v[50:51], v[34:35] op_sel_hi:[0,1]
	v_cvt_pkrtz_f16_f32 v19, v14, v15
	v_mfma_f32_16x16x16_f16 v[34:37], v[24:25], v[6:7], 0
	v_cvt_pkrtz_f16_f32 v14, v30, v31
	v_cvt_pkrtz_f16_f32 v15, v38, v39
	v_cvt_pk_f32_fp8_e32 v[24:25], v17
	v_cvt_pk_f32_fp8_sdwa v[16:17], v17 src0_sel:WORD_1
	v_mfma_f32_16x16x16_f16 v[6:9], v[18:19], v[8:9], v[34:37]
	v_pk_mul_f32 v[38:39], v[50:51], v[46:47] op_sel_hi:[0,1]
	v_cvt_pkrtz_f16_f32 v18, v24, v25
	v_cvt_pkrtz_f16_f32 v19, v16, v17
	v_mfma_f32_16x16x16_f16 v[6:9], v[14:15], v[2:3], v[6:9]
	v_pk_mul_f32 v[34:35], v[50:51], v[48:49] op_sel_hi:[0,1]
	v_pk_mul_f32 v[36:37], v[50:51], v[10:11] op_sel_hi:[0,1]
	;; [unrolled: 1-line block ×3, first 2 shown]
	v_mfma_f32_16x16x16_f16 v[2:5], v[18:19], v[4:5], v[6:9]
	s_nop 6
	v_pk_mul_f32 v[24:25], v[50:51], v[2:3] op_sel_hi:[0,1]
	v_and_b32_e32 v2, 0xc0, v0
	v_add_u32_e32 v2, s5, v2
	v_lshl_or_b32 v2, v1, 2, v2
	v_pk_mul_f32 v[18:19], v[50:51], v[4:5] op_sel_hi:[0,1]
	v_or_b32_e32 v5, 1, v2
	v_mov_b32_e32 v3, 0xff7fffff
	v_cmp_gt_i32_e64 s[4:5], s48, v2
	v_cmp_gt_i32_e64 s[34:35], s48, v5
	v_or_b32_e32 v6, 3, v2
	v_cndmask_b32_e64 v4, v3, v32, s[4:5]
	v_cndmask_b32_e64 v5, v3, v33, s[34:35]
	v_max3_f32 v4, v4, s44, v5
	v_or_b32_e32 v5, 2, v2
	v_cmp_gt_i32_e64 s[36:37], s48, v5
	v_cmp_gt_i32_e64 s[38:39], s48, v6
	s_nop 0
	v_cndmask_b32_e64 v5, v3, v22, s[36:37]
	v_cndmask_b32_e64 v6, v3, v23, s[38:39]
	v_max3_f32 v4, v4, v5, v6
	v_or_b32_e32 v5, 16, v2
	v_or_b32_e32 v6, 17, v2
	v_cmp_gt_i32_e64 s[24:25], s48, v5
	v_cmp_gt_i32_e64 s[26:27], s48, v6
	s_nop 0
	v_cndmask_b32_e64 v5, v3, v38, s[24:25]
	v_cndmask_b32_e64 v6, v3, v39, s[26:27]
	v_max3_f32 v4, v4, v5, v6
	v_or_b32_e32 v5, 18, v2
	;; [unrolled: 8-line block ×6, first 2 shown]
	v_or_b32_e32 v2, 51, v2
	v_cmp_gt_i32_e32 vcc, s48, v5
	v_cmp_gt_i32_e64 s[6:7], s48, v2
	s_nop 0
	v_cndmask_b32_e32 v5, v3, v18, vcc
	v_cndmask_b32_e64 v2, v3, v19, s[6:7]
	v_max3_f32 v4, v4, v5, v2
	v_mbcnt_lo_u32_b32 v2, -1, 0
	v_mbcnt_hi_u32_b32 v5, -1, v2
	v_and_b32_e32 v2, 64, v5
	v_add_u32_e32 v6, 64, v2
	v_xor_b32_e32 v2, 32, v5
	v_cmp_lt_i32_e64 s[40:41], v2, v6
	s_nop 1
	v_cndmask_b32_e64 v2, v5, v2, s[40:41]
	v_lshlrev_b32_e32 v46, 2, v2
	ds_bpermute_b32 v7, v46, v4
	s_waitcnt vmcnt(2)
	v_mad_i64_i32 v[2:3], s[40:41], v45, s45, v[28:29]
	global_load_dwordx4 v[14:17], v[20:21], off
	global_load_dwordx4 v[10:13], v[2:3], off
	v_xor_b32_e32 v3, 16, v5
	v_cmp_lt_i32_e64 s[40:41], v3, v6
	s_waitcnt lgkmcnt(0)
	v_max_f32_e32 v2, v7, v7
	v_max_f32_e32 v2, v4, v2
	v_cndmask_b32_e64 v3, v5, v3, s[40:41]
	v_lshlrev_b32_e32 v45, 2, v3
	ds_bpermute_b32 v3, v45, v2
	s_waitcnt vmcnt(3)
	v_mad_i64_i32 v[20:21], s[40:41], v27, s45, v[28:29]
	s_waitcnt vmcnt(2)
	v_mad_i64_i32 v[28:29], s[40:41], v44, s45, v[28:29]
	s_waitcnt lgkmcnt(0)
	v_max_f32_e32 v3, v3, v3
	v_max_f32_e32 v27, v2, v3
	v_sub_f32_e32 v2, v32, v27
	v_mul_f32_e32 v2, 0x3fb8aa3b, v2
	v_exp_f32_e32 v32, v2
	v_sub_f32_e32 v2, v33, v27
	v_mul_f32_e32 v2, 0x3fb8aa3b, v2
	v_exp_f32_e32 v33, v2
	global_load_dwordx4 v[6:9], v[20:21], off
	global_load_dwordx4 v[2:5], v[28:29], off
	v_sub_f32_e32 v22, v22, v27
	v_mul_f32_e32 v22, 0x3fb8aa3b, v22
	v_sub_f32_e32 v23, v23, v27
	v_exp_f32_e32 v22, v22
	v_mul_f32_e32 v23, 0x3fb8aa3b, v23
	v_exp_f32_e32 v23, v23
	v_cndmask_b32_e64 v20, 0, v32, s[4:5]
	v_add_f32_e32 v28, 0, v20
	v_cndmask_b32_e64 v21, 0, v33, s[34:35]
	v_add_f32_e32 v28, v28, v21
	;; [unrolled: 2-line block ×3, first 2 shown]
	v_cndmask_b32_e64 v33, 0, v23, s[38:39]
	v_sub_f32_e32 v23, v38, v27
	v_sub_f32_e32 v28, v39, v27
	v_mul_f32_e32 v23, 0x3fb8aa3b, v23
	v_mul_f32_e32 v28, 0x3fb8aa3b, v28
	v_exp_f32_e32 v23, v23
	v_exp_f32_e32 v28, v28
	v_add_f32_e32 v29, v22, v33
	v_sub_f32_e32 v30, v30, v27
	v_cndmask_b32_e64 v22, 0, v23, s[24:25]
	v_cndmask_b32_e64 v23, 0, v28, s[26:27]
	v_sub_f32_e32 v28, v34, v27
	v_mul_f32_e32 v28, 0x3fb8aa3b, v28
	v_exp_f32_e32 v28, v28
	v_sub_f32_e32 v34, v35, v27
	v_add_f32_e32 v29, v29, v22
	v_mul_f32_e32 v34, 0x3fb8aa3b, v34
	v_exp_f32_e32 v35, v34
	v_add_f32_e32 v29, v29, v23
	v_cndmask_b32_e64 v34, 0, v28, s[20:21]
	v_add_f32_e32 v28, v29, v34
	v_sub_f32_e32 v29, v36, v27
	v_mul_f32_e32 v29, 0x3fb8aa3b, v29
	v_sub_f32_e32 v36, v37, v27
	v_exp_f32_e32 v29, v29
	v_mul_f32_e32 v36, 0x3fb8aa3b, v36
	v_exp_f32_e32 v36, v36
	v_mul_f32_e32 v30, 0x3fb8aa3b, v30
	v_sub_f32_e32 v31, v31, v27
	v_exp_f32_e32 v30, v30
	v_mul_f32_e32 v31, 0x3fb8aa3b, v31
	v_sub_f32_e32 v24, v24, v27
	v_cndmask_b32_e64 v35, 0, v35, s[22:23]
	v_exp_f32_e32 v31, v31
	v_mul_f32_e32 v24, 0x3fb8aa3b, v24
	v_sub_f32_e32 v25, v25, v27
	v_add_f32_e32 v37, v28, v35
	v_cndmask_b32_e64 v28, 0, v29, s[16:17]
	v_exp_f32_e32 v24, v24
	v_mul_f32_e32 v25, 0x3fb8aa3b, v25
	v_sub_f32_e32 v18, v18, v27
	v_add_f32_e32 v37, v37, v28
	;; [unrolled: 5-line block ×3, first 2 shown]
	v_cndmask_b32_e64 v30, 0, v30, s[12:13]
	v_exp_f32_e32 v18, v18
	v_mul_f32_e32 v19, 0x3fb8aa3b, v19
	v_add_f32_e32 v36, v36, v30
	v_cndmask_b32_e64 v31, 0, v31, s[14:15]
	v_exp_f32_e32 v19, v19
	v_add_f32_e32 v36, v36, v31
	v_cndmask_b32_e64 v24, 0, v24, s[8:9]
	v_add_f32_e32 v36, v36, v24
	v_cndmask_b32_e64 v25, 0, v25, s[10:11]
	v_add_f32_e32 v36, v36, v25
	v_cndmask_b32_e32 v18, 0, v18, vcc
	v_add_f32_e32 v36, v36, v18
	v_cndmask_b32_e64 v19, 0, v19, s[6:7]
	v_add_f32_e32 v36, v36, v19
	ds_bpermute_b32 v37, v46, v36
	v_cmp_gt_u32_e32 vcc, 16, v41
	s_waitcnt lgkmcnt(0)
	s_barrier
	v_add_f32_e32 v37, v36, v37
	ds_bpermute_b32 v38, v45, v37
	v_lshlrev_b32_e32 v36, 2, v43
	s_and_saveexec_b64 s[4:5], vcc
	s_cbranch_execz .LBB805_13
; %bb.12:
	s_waitcnt lgkmcnt(0)
	v_add_f32_e32 v37, v37, v38
	v_lshl_or_b32 v38, v42, 6, v36
	ds_write2st64_b32 v38, v27, v37 offset1:1
.LBB805_13:
	s_or_b64 exec, exec, s[4:5]
	s_load_dword s6, s[0:1], 0x94
	s_waitcnt lgkmcnt(0)
	s_barrier
	ds_read2_b32 v[38:39], v36 offset1:16
	ds_read2_b32 v[44:45], v36 offset0:32 offset1:48
	ds_read2_b32 v[46:47], v36 offset0:64 offset1:80
	s_lshl_b32 s7, s33, 1
	s_waitcnt lgkmcnt(2)
	v_max3_f32 v27, v38, s44, v39
	s_waitcnt lgkmcnt(1)
	v_max3_f32 v27, v27, v44, v45
	v_sub_f32_e32 v37, v38, v27
	v_sub_f32_e32 v38, v39, v27
	v_mul_f32_e32 v38, 0x3fb8aa3b, v38
	v_mul_f32_e32 v37, 0x3fb8aa3b, v37
	v_exp_f32_e32 v48, v38
	v_sub_f32_e32 v38, v44, v27
	v_exp_f32_e32 v37, v37
	v_mul_f32_e32 v38, 0x3fb8aa3b, v38
	v_exp_f32_e32 v44, v38
	ds_read2_b32 v[38:39], v36 offset0:96 offset1:112
	v_sub_f32_e32 v36, v45, v27
	v_mul_f32_e32 v36, 0x3fb8aa3b, v36
	v_exp_f32_e32 v45, v36
	s_waitcnt lgkmcnt(1)
	v_fma_f32 v36, v37, v46, 0
	v_fmac_f32_e32 v36, v48, v47
	s_waitcnt lgkmcnt(0)
	v_fmac_f32_e32 v36, v44, v38
	v_fmac_f32_e32 v36, v45, v39
	v_add_f32_e32 v38, 0x358637bd, v36
	v_div_scale_f32 v39, s[4:5], v38, v38, 1.0
	v_rcp_f32_e32 v46, v39
	s_barrier
	v_fma_f32 v47, -v39, v46, 1.0
	v_fmac_f32_e32 v46, v47, v46
	v_div_scale_f32 v47, vcc, 1.0, v38, 1.0
	v_mul_f32_e32 v49, v47, v46
	v_fma_f32 v50, -v39, v49, v47
	v_fmac_f32_e32 v49, v50, v46
	v_fma_f32 v39, -v39, v49, v47
	v_div_fmas_f32 v39, v39, v46, v49
	v_cmp_eq_u32_e32 vcc, 1, v42
	v_div_fixup_f32 v38, v39, v38, 1.0
	s_nop 0
	v_cndmask_b32_e32 v37, v37, v48, vcc
	v_cmp_eq_u32_e32 vcc, 2, v42
	s_nop 1
	v_cndmask_b32_e32 v37, v37, v44, vcc
	v_cmp_eq_u32_e32 vcc, 3, v42
	s_nop 1
	v_cndmask_b32_e32 v37, v37, v45, vcc
	v_mul_f32_e32 v38, v37, v38
	v_pk_mul_f32 v[32:33], v[38:39], v[32:33] op_sel_hi:[0,1]
	v_pk_mul_f32 v[20:21], v[38:39], v[20:21] op_sel_hi:[0,1]
	v_cvt_f16_f32_e32 v20, v20
	v_cvt_f16_f32_e32 v21, v21
	;; [unrolled: 1-line block ×4, first 2 shown]
	v_pk_mul_f32 v[34:35], v[38:39], v[34:35] op_sel_hi:[0,1]
	v_pk_mul_f32 v[22:23], v[38:39], v[22:23] op_sel_hi:[0,1]
	v_cvt_f16_f32_e32 v22, v22
	v_cvt_f16_f32_e32 v23, v23
	;; [unrolled: 1-line block ×4, first 2 shown]
	v_pack_b32_f16 v32, v20, v21
	v_pack_b32_f16 v33, v37, v33
	v_lshlrev_b32_e32 v20, 3, v1
	v_lshlrev_b32_e32 v21, 5, v43
	;; [unrolled: 1-line block ×3, first 2 shown]
	v_or3_b32 v20, v37, v21, v20
	v_pack_b32_f16 v22, v22, v23
	v_pack_b32_f16 v23, v34, v35
	ds_write2st64_b64 v20, v[32:33], v[22:23] offset1:1
	v_pk_mul_f32 v[22:23], v[38:39], v[30:31] op_sel_hi:[0,1]
	v_pk_mul_f32 v[28:29], v[38:39], v[28:29] op_sel_hi:[0,1]
	v_cvt_f16_f32_e32 v30, v22
	v_cvt_f16_f32_e32 v31, v23
	v_pk_mul_f32 v[18:19], v[38:39], v[18:19] op_sel_hi:[0,1]
	v_pk_mul_f32 v[22:23], v[38:39], v[24:25] op_sel_hi:[0,1]
	v_cvt_f16_f32_e32 v28, v28
	v_cvt_f16_f32_e32 v29, v29
	;; [unrolled: 1-line block ×6, first 2 shown]
	v_pack_b32_f16 v18, v28, v29
	v_pack_b32_f16 v19, v30, v31
	;; [unrolled: 1-line block ×4, first 2 shown]
	v_cmp_gt_u32_e32 vcc, 2, v0
	ds_write2st64_b64 v20, v[18:19], v[22:23] offset0:2 offset1:3
	s_and_saveexec_b64 s[4:5], vcc
	s_cbranch_execz .LBB805_15
; %bb.14:
	v_or_b32_e32 v18, s29, v0
	v_mov_b32_e32 v19, 0
	v_mov_b32_e32 v22, s7
	v_mad_u64_u32 v[22:23], s[12:13], s2, v22, v[18:19]
	v_mov_b32_e32 v18, s28
	s_load_dwordx4 s[8:11], s[0:1], 0x58
	s_mul_i32 s3, s3, s7
	v_mad_u64_u32 v[18:19], s[12:13], v22, s6, v[18:19]
	v_add_u32_e32 v23, s3, v23
	v_mov_b32_e32 v22, v19
	v_mad_u64_u32 v[22:23], s[12:13], v23, s6, v[22:23]
	v_mov_b32_e32 v19, v22
	v_lshlrev_b64 v[18:19], 2, v[18:19]
	s_waitcnt lgkmcnt(0)
	v_lshl_add_u64 v[22:23], s[10:11], 0, v[18:19]
	v_lshl_add_u64 v[18:19], s[8:9], 0, v[18:19]
	global_store_dword v[22:23], v27, off
	global_store_dword v[18:19], v36, off
.LBB805_15:
	s_or_b64 exec, exec, s[4:5]
	s_waitcnt vmcnt(3)
	v_cvt_pk_f32_fp8_e32 v[18:19], v14
	v_cvt_pk_f32_fp8_sdwa v[22:23], v14 src0_sel:WORD_1
	v_cvt_pk_f32_fp8_e32 v[24:25], v15
	v_lshl_or_b32 v14, v1, 9, v21
	s_waitcnt lgkmcnt(0)
	s_barrier
	v_cvt_pkrtz_f16_f32 v18, v18, v19
	v_cvt_pkrtz_f16_f32 v19, v22, v23
	v_cvt_pk_f32_fp8_sdwa v[28:29], v15 src0_sel:WORD_1
	v_cvt_pkrtz_f16_f32 v36, v24, v25
	ds_read_b128 v[22:25], v14
	v_cvt_pk_f32_fp8_e32 v[38:39], v16
	v_cvt_pkrtz_f16_f32 v37, v28, v29
	ds_read_b128 v[28:31], v14 offset:16
	v_cvt_pk_f32_fp8_sdwa v[42:43], v16 src0_sel:WORD_1
	s_waitcnt lgkmcnt(1)
	v_mfma_f32_16x16x16_f16 v[32:35], v[18:19], v[22:23], 0
	v_cvt_pkrtz_f16_f32 v18, v38, v39
	v_cvt_pk_f32_fp8_e32 v[38:39], v17
	v_cvt_pkrtz_f16_f32 v19, v42, v43
	v_mfma_f32_16x16x16_f16 v[22:25], v[36:37], v[24:25], v[32:35]
	s_waitcnt vmcnt(2)
	v_cvt_pk_f32_fp8_sdwa v[36:37], v12 src0_sel:WORD_1
	s_load_dword s4, s[42:43], 0x0
	v_cmp_gt_u32_e32 vcc, 64, v0
	v_cvt_pk_f32_fp8_sdwa v[32:33], v17 src0_sel:WORD_1
	v_cvt_pkrtz_f16_f32 v34, v38, v39
	s_waitcnt lgkmcnt(0)
	v_mfma_f32_16x16x16_f16 v[16:19], v[18:19], v[28:29], v[22:25]
	v_cvt_pk_f32_fp8_e32 v[28:29], v11
	v_cvt_pkrtz_f16_f32 v35, v32, v33
	s_mov_b32 s3, 0
	v_cvt_pk_f32_fp8_e32 v[22:23], v10
	v_cvt_pk_f32_fp8_sdwa v[24:25], v10 src0_sel:WORD_1
	v_mfma_f32_16x16x16_f16 v[16:19], v[34:35], v[30:31], v[16:19]
	v_cvt_pkrtz_f16_f32 v10, v22, v23
	v_cvt_pk_f32_fp8_sdwa v[30:31], v11 src0_sel:WORD_1
	v_cvt_pkrtz_f16_f32 v11, v24, v25
	ds_read_b128 v[22:25], v14 offset:2048
	v_cvt_pkrtz_f16_f32 v32, v28, v29
	v_cvt_pkrtz_f16_f32 v33, v30, v31
	ds_read_b128 v[28:31], v14 offset:2064
	v_cvt_pk_f32_fp8_e32 v[34:35], v12
	s_waitcnt lgkmcnt(1)
	v_mfma_f32_16x16x16_f16 v[16:19], v[10:11], v[22:23], v[16:19]
	v_cvt_pkrtz_f16_f32 v11, v36, v37
	v_cvt_pk_f32_fp8_e32 v[22:23], v13
	v_cvt_pkrtz_f16_f32 v10, v34, v35
	v_mfma_f32_16x16x16_f16 v[16:19], v[32:33], v[24:25], v[16:19]
	v_cvt_pk_f32_fp8_sdwa v[24:25], v13 src0_sel:WORD_1
	v_cvt_pkrtz_f16_f32 v22, v22, v23
	s_waitcnt vmcnt(1)
	v_cvt_pk_f32_fp8_sdwa v[32:33], v8 src0_sel:WORD_1
	s_waitcnt lgkmcnt(0)
	v_mfma_f32_16x16x16_f16 v[10:13], v[10:11], v[28:29], v[16:19]
	v_cvt_pkrtz_f16_f32 v23, v24, v25
	v_cvt_pk_f32_fp8_sdwa v[24:25], v7 src0_sel:WORD_1
	v_mov_b32_e32 v27, 0
	v_cvt_pk_f32_fp8_e32 v[16:17], v6
	v_cvt_pk_f32_fp8_sdwa v[18:19], v6 src0_sel:WORD_1
	v_mfma_f32_16x16x16_f16 v[10:13], v[22:23], v[30:31], v[10:13]
	v_cvt_pk_f32_fp8_e32 v[22:23], v7
	v_cvt_pkrtz_f16_f32 v6, v16, v17
	v_cvt_pkrtz_f16_f32 v7, v18, v19
	ds_read_b128 v[16:19], v14 offset:4096
	v_cvt_pkrtz_f16_f32 v28, v22, v23
	v_cvt_pkrtz_f16_f32 v29, v24, v25
	ds_read_b128 v[22:25], v14 offset:4112
	v_cvt_pk_f32_fp8_e32 v[30:31], v8
	s_waitcnt lgkmcnt(1)
	v_mfma_f32_16x16x16_f16 v[10:13], v[6:7], v[16:17], v[10:13]
	v_cvt_pkrtz_f16_f32 v7, v32, v33
	v_cvt_pk_f32_fp8_e32 v[16:17], v9
	v_cvt_pkrtz_f16_f32 v6, v30, v31
	v_mfma_f32_16x16x16_f16 v[10:13], v[28:29], v[18:19], v[10:13]
	v_cvt_pk_f32_fp8_sdwa v[18:19], v9 src0_sel:WORD_1
	v_cvt_pkrtz_f16_f32 v16, v16, v17
	v_cvt_pkrtz_f16_f32 v17, v18, v19
	s_waitcnt lgkmcnt(0)
	v_mfma_f32_16x16x16_f16 v[6:9], v[6:7], v[22:23], v[10:13]
	s_waitcnt vmcnt(0)
	v_cvt_pk_f32_fp8_sdwa v[18:19], v3 src0_sel:WORD_1
	s_nop 0
	v_cvt_pkrtz_f16_f32 v23, v18, v19
	v_cvt_pk_f32_fp8_e32 v[10:11], v2
	v_cvt_pk_f32_fp8_sdwa v[12:13], v2 src0_sel:WORD_1
	v_mfma_f32_16x16x16_f16 v[6:9], v[16:17], v[24:25], v[6:9]
	v_cvt_pk_f32_fp8_e32 v[16:17], v3
	v_cvt_pkrtz_f16_f32 v2, v10, v11
	v_cvt_pkrtz_f16_f32 v3, v12, v13
	ds_read_b128 v[10:13], v14 offset:6144
	v_cvt_pkrtz_f16_f32 v22, v16, v17
	v_cvt_pk_f32_fp8_e32 v[18:19], v4
	v_cvt_pk_f32_fp8_sdwa v[24:25], v4 src0_sel:WORD_1
	s_waitcnt lgkmcnt(0)
	v_mfma_f32_16x16x16_f16 v[6:9], v[2:3], v[10:11], v[6:9]
	ds_read_b128 v[14:17], v14 offset:6160
	v_cvt_pkrtz_f16_f32 v2, v18, v19
	v_cvt_pkrtz_f16_f32 v3, v24, v25
	v_cvt_pk_f32_fp8_e32 v[10:11], v5
	v_mfma_f32_16x16x16_f16 v[6:9], v[22:23], v[12:13], v[6:9]
	v_cvt_pk_f32_fp8_sdwa v[12:13], v5 src0_sel:WORD_1
	s_waitcnt lgkmcnt(0)
	v_cvt_pkrtz_f16_f32 v10, v10, v11
	v_mfma_f32_16x16x16_f16 v[2:5], v[2:3], v[14:15], v[6:9]
	v_cvt_pkrtz_f16_f32 v11, v12, v13
	s_barrier
	s_nop 0
	v_mfma_f32_16x16x16_f16 v[2:5], v[10:11], v[16:17], v[2:5]
	s_nop 6
	v_pk_mul_f32 v[4:5], v[4:5], s[4:5] op_sel_hi:[1,0]
	v_pk_mul_f32 v[2:3], v[2:3], s[4:5] op_sel_hi:[1,0]
	v_cvt_f16_f32_e32 v4, v4
	v_cvt_f16_f32_e32 v2, v2
	;; [unrolled: 1-line block ×4, first 2 shown]
	v_cmp_gt_u32_e64 s[4:5], 32, v41
	s_and_b64 s[4:5], s[4:5], vcc
	v_pack_b32_f16 v2, v2, v3
	v_pack_b32_f16 v3, v4, v5
	s_and_b64 s[4:5], s[4:5], s[30:31]
	ds_write_b64 v20, v[2:3]
	s_waitcnt lgkmcnt(0)
	s_barrier
	s_and_saveexec_b64 s[8:9], s[4:5]
	s_cbranch_execz .LBB805_17
; %bb.16:
	s_load_dwordx2 s[0:1], s[0:1], 0x68
	s_mul_i32 s2, s7, s2
	s_lshl_b32 s6, s6, 6
	s_mul_hi_u32 s5, s2, s6
	s_mul_i32 s4, s2, s6
	v_lshlrev_b32_e32 v0, 10, v0
	s_lshl_b64 s[4:5], s[4:5], 1
	v_and_b32_e32 v0, 0x1800, v0
	v_lshlrev_b32_e32 v2, 5, v1
	v_and_b32_e32 v3, 16, v40
	s_waitcnt lgkmcnt(0)
	s_add_u32 s4, s0, s4
	v_or3_b32 v0, v0, v2, v3
	s_addc_u32 s5, s1, s5
	s_lshl_b32 s2, s28, 6
	ds_read_b128 v[2:5], v0
	s_lshl_b64 s[0:1], s[2:3], 1
	s_add_u32 s0, s4, s0
	v_or_b32_e32 v0, s29, v1
	s_addc_u32 s1, s5, s1
	v_mad_u64_u32 v[0:1], s[2:3], s6, v0, 0
	v_lshl_add_u64 v[0:1], v[0:1], 1, s[0:1]
	v_lshl_add_u64 v[0:1], v[0:1], 0, v[26:27]
	s_waitcnt lgkmcnt(0)
	global_store_dwordx4 v[0:1], v[2:5], off
.LBB805_17:
	s_endpgm
	.section	.rodata,"a",@progbits
	.p2align	6, 0x0
	.amdhsa_kernel _Z39paged_attention_ll4mi_QKV_mfma16_kernelIDF16_hLN4vllm18Fp8KVCacheDataTypeE1EhLi16ELi64ELi256ELb0ELi2EEvPKT_PKT0_S7_ifPKiS9_S9_iPKfiiiPfSC_PS2_PT2_iSB_SB_
		.amdhsa_group_segment_fixed_size 8192
		.amdhsa_private_segment_fixed_size 0
		.amdhsa_kernarg_size 400
		.amdhsa_user_sgpr_count 2
		.amdhsa_user_sgpr_dispatch_ptr 0
		.amdhsa_user_sgpr_queue_ptr 0
		.amdhsa_user_sgpr_kernarg_segment_ptr 1
		.amdhsa_user_sgpr_dispatch_id 0
		.amdhsa_user_sgpr_kernarg_preload_length 0
		.amdhsa_user_sgpr_kernarg_preload_offset 0
		.amdhsa_user_sgpr_private_segment_size 0
		.amdhsa_uses_dynamic_stack 0
		.amdhsa_enable_private_segment 0
		.amdhsa_system_sgpr_workgroup_id_x 1
		.amdhsa_system_sgpr_workgroup_id_y 1
		.amdhsa_system_sgpr_workgroup_id_z 1
		.amdhsa_system_sgpr_workgroup_info 0
		.amdhsa_system_vgpr_workitem_id 0
		.amdhsa_next_free_vgpr 58
		.amdhsa_next_free_sgpr 49
		.amdhsa_accum_offset 60
		.amdhsa_reserve_vcc 1
		.amdhsa_float_round_mode_32 0
		.amdhsa_float_round_mode_16_64 0
		.amdhsa_float_denorm_mode_32 3
		.amdhsa_float_denorm_mode_16_64 3
		.amdhsa_dx10_clamp 1
		.amdhsa_ieee_mode 1
		.amdhsa_fp16_overflow 0
		.amdhsa_tg_split 0
		.amdhsa_exception_fp_ieee_invalid_op 0
		.amdhsa_exception_fp_denorm_src 0
		.amdhsa_exception_fp_ieee_div_zero 0
		.amdhsa_exception_fp_ieee_overflow 0
		.amdhsa_exception_fp_ieee_underflow 0
		.amdhsa_exception_fp_ieee_inexact 0
		.amdhsa_exception_int_div_zero 0
	.end_amdhsa_kernel
	.section	.text._Z39paged_attention_ll4mi_QKV_mfma16_kernelIDF16_hLN4vllm18Fp8KVCacheDataTypeE1EhLi16ELi64ELi256ELb0ELi2EEvPKT_PKT0_S7_ifPKiS9_S9_iPKfiiiPfSC_PS2_PT2_iSB_SB_,"axG",@progbits,_Z39paged_attention_ll4mi_QKV_mfma16_kernelIDF16_hLN4vllm18Fp8KVCacheDataTypeE1EhLi16ELi64ELi256ELb0ELi2EEvPKT_PKT0_S7_ifPKiS9_S9_iPKfiiiPfSC_PS2_PT2_iSB_SB_,comdat
.Lfunc_end805:
	.size	_Z39paged_attention_ll4mi_QKV_mfma16_kernelIDF16_hLN4vllm18Fp8KVCacheDataTypeE1EhLi16ELi64ELi256ELb0ELi2EEvPKT_PKT0_S7_ifPKiS9_S9_iPKfiiiPfSC_PS2_PT2_iSB_SB_, .Lfunc_end805-_Z39paged_attention_ll4mi_QKV_mfma16_kernelIDF16_hLN4vllm18Fp8KVCacheDataTypeE1EhLi16ELi64ELi256ELb0ELi2EEvPKT_PKT0_S7_ifPKiS9_S9_iPKfiiiPfSC_PS2_PT2_iSB_SB_
                                        ; -- End function
	.section	.AMDGPU.csdata,"",@progbits
; Kernel info:
; codeLenInByte = 4504
; NumSgprs: 55
; NumVgprs: 58
; NumAgprs: 0
; TotalNumVgprs: 58
; ScratchSize: 0
; MemoryBound: 0
; FloatMode: 240
; IeeeMode: 1
; LDSByteSize: 8192 bytes/workgroup (compile time only)
; SGPRBlocks: 6
; VGPRBlocks: 7
; NumSGPRsForWavesPerEU: 55
; NumVGPRsForWavesPerEU: 58
; AccumOffset: 60
; Occupancy: 8
; WaveLimiterHint : 1
; COMPUTE_PGM_RSRC2:SCRATCH_EN: 0
; COMPUTE_PGM_RSRC2:USER_SGPR: 2
; COMPUTE_PGM_RSRC2:TRAP_HANDLER: 0
; COMPUTE_PGM_RSRC2:TGID_X_EN: 1
; COMPUTE_PGM_RSRC2:TGID_Y_EN: 1
; COMPUTE_PGM_RSRC2:TGID_Z_EN: 1
; COMPUTE_PGM_RSRC2:TIDIG_COMP_CNT: 0
; COMPUTE_PGM_RSRC3_GFX90A:ACCUM_OFFSET: 14
; COMPUTE_PGM_RSRC3_GFX90A:TG_SPLIT: 0
	.section	.text._Z39paged_attention_ll4mi_QKV_mfma16_kernelIDF16_hLN4vllm18Fp8KVCacheDataTypeE1EhLi16ELi64ELi256ELb0ELi3EEvPKT_PKT0_S7_ifPKiS9_S9_iPKfiiiPfSC_PS2_PT2_iSB_SB_,"axG",@progbits,_Z39paged_attention_ll4mi_QKV_mfma16_kernelIDF16_hLN4vllm18Fp8KVCacheDataTypeE1EhLi16ELi64ELi256ELb0ELi3EEvPKT_PKT0_S7_ifPKiS9_S9_iPKfiiiPfSC_PS2_PT2_iSB_SB_,comdat
	.protected	_Z39paged_attention_ll4mi_QKV_mfma16_kernelIDF16_hLN4vllm18Fp8KVCacheDataTypeE1EhLi16ELi64ELi256ELb0ELi3EEvPKT_PKT0_S7_ifPKiS9_S9_iPKfiiiPfSC_PS2_PT2_iSB_SB_ ; -- Begin function _Z39paged_attention_ll4mi_QKV_mfma16_kernelIDF16_hLN4vllm18Fp8KVCacheDataTypeE1EhLi16ELi64ELi256ELb0ELi3EEvPKT_PKT0_S7_ifPKiS9_S9_iPKfiiiPfSC_PS2_PT2_iSB_SB_
	.globl	_Z39paged_attention_ll4mi_QKV_mfma16_kernelIDF16_hLN4vllm18Fp8KVCacheDataTypeE1EhLi16ELi64ELi256ELb0ELi3EEvPKT_PKT0_S7_ifPKiS9_S9_iPKfiiiPfSC_PS2_PT2_iSB_SB_
	.p2align	8
	.type	_Z39paged_attention_ll4mi_QKV_mfma16_kernelIDF16_hLN4vllm18Fp8KVCacheDataTypeE1EhLi16ELi64ELi256ELb0ELi3EEvPKT_PKT0_S7_ifPKiS9_S9_iPKfiiiPfSC_PS2_PT2_iSB_SB_,@function
_Z39paged_attention_ll4mi_QKV_mfma16_kernelIDF16_hLN4vllm18Fp8KVCacheDataTypeE1EhLi16ELi64ELi256ELb0ELi3EEvPKT_PKT0_S7_ifPKiS9_S9_iPKfiiiPfSC_PS2_PT2_iSB_SB_: ; @_Z39paged_attention_ll4mi_QKV_mfma16_kernelIDF16_hLN4vllm18Fp8KVCacheDataTypeE1EhLi16ELi64ELi256ELb0ELi3EEvPKT_PKT0_S7_ifPKiS9_S9_iPKfiiiPfSC_PS2_PT2_iSB_SB_
; %bb.0:
	s_load_dwordx2 s[12:13], s[0:1], 0x30
	s_mov_b32 s28, s3
	s_mov_b64 s[6:7], 0
	s_waitcnt lgkmcnt(0)
	s_cmp_lg_u64 s[12:13], 0
	s_cselect_b64 s[14:15], -1, 0
	s_and_b64 vcc, exec, s[14:15]
	s_cbranch_vccz .LBB806_7
; %bb.1:
	s_add_i32 s8, s2, 1
	s_mov_b32 s9, 0
	s_lshl_b64 s[10:11], s[8:9], 2
	s_add_u32 s10, s12, s10
	s_mov_b32 s3, s9
	s_addc_u32 s11, s13, s11
	s_lshl_b64 s[8:9], s[2:3], 2
	s_add_u32 s8, s12, s8
	s_addc_u32 s9, s13, s9
	s_load_dword s5, s[10:11], 0x0
	s_load_dword s16, s[8:9], 0x0
	s_waitcnt lgkmcnt(0)
	s_sub_i32 s5, s5, s16
	s_cmp_eq_u32 s5, 1
	s_cselect_b64 s[8:9], -1, 0
	s_andn2_b64 vcc, exec, s[6:7]
	s_cbranch_vccnz .LBB806_3
.LBB806_2:
	s_mov_b32 s3, 0
	s_mov_b64 s[8:9], -1
.LBB806_3:
	s_andn2_b64 vcc, exec, s[8:9]
	s_cbranch_vccnz .LBB806_17
; %bb.4:
	s_load_dwordx2 s[6:7], s[0:1], 0x28
	s_lshl_b64 s[16:17], s[2:3], 2
	s_waitcnt lgkmcnt(0)
	s_add_u32 s6, s6, s16
	s_addc_u32 s7, s7, s17
	s_load_dword s33, s[6:7], 0x0
	s_lshl_b32 s5, s28, 8
	s_waitcnt lgkmcnt(0)
	s_cmp_ge_i32 s5, s33
	s_cbranch_scc1 .LBB806_17
; %bb.5:
	s_load_dwordx2 s[6:7], s[0:1], 0x20
	s_load_dword s8, s[0:1], 0x38
	s_add_i32 s9, s33, 15
	s_ashr_i32 s10, s9, 31
	v_and_b32_e32 v1, 0xcf, v0
	s_lshr_b32 s10, s10, 28
	v_add_u32_e32 v1, s5, v1
	s_add_i32 s9, s9, s10
	v_ashrrev_i32_e32 v2, 31, v1
	s_ashr_i32 s18, s9, 4
	v_lshrrev_b32_e32 v4, 28, v2
	s_add_i32 s18, s18, -1
	s_waitcnt lgkmcnt(0)
	s_mul_i32 s8, s2, s8
	s_mov_b32 s9, 0
	v_add_u32_e32 v2, v1, v4
	s_lshl_b64 s[8:9], s[8:9], 2
	v_ashrrev_i32_e32 v2, 4, v2
	v_mov_b32_e32 v5, s18
	v_cmp_gt_i32_e32 vcc, s33, v1
	s_add_u32 s6, s6, s8
	s_addc_u32 s7, s7, s9
	v_cndmask_b32_e32 v2, v5, v2, vcc
	v_ashrrev_i32_e32 v3, 31, v2
	v_lshl_add_u64 v[6:7], v[2:3], 2, s[6:7]
	v_or_b32_e32 v2, 16, v1
	v_add_u32_e32 v3, v2, v4
	v_ashrrev_i32_e32 v3, 4, v3
	v_cmp_gt_i32_e32 vcc, s33, v2
	s_load_dwordx4 s[8:11], s[0:1], 0x8
	s_nop 0
	v_cndmask_b32_e32 v2, v5, v3, vcc
	v_ashrrev_i32_e32 v3, 31, v2
	v_lshl_add_u64 v[10:11], v[2:3], 2, s[6:7]
	v_or_b32_e32 v2, 32, v1
	v_add_u32_e32 v3, v2, v4
	v_ashrrev_i32_e32 v3, 4, v3
	v_cmp_gt_i32_e32 vcc, s33, v2
	v_or_b32_e32 v1, 48, v1
	s_nop 0
	v_cndmask_b32_e32 v2, v5, v3, vcc
	v_ashrrev_i32_e32 v3, 31, v2
	v_lshl_add_u64 v[12:13], v[2:3], 2, s[6:7]
	v_add_u32_e32 v2, v1, v4
	v_ashrrev_i32_e32 v2, 4, v2
	v_cmp_gt_i32_e32 vcc, s33, v1
	s_nop 1
	v_cndmask_b32_e32 v2, v5, v2, vcc
	v_ashrrev_i32_e32 v3, 31, v2
	v_lshl_add_u64 v[14:15], v[2:3], 2, s[6:7]
	global_load_dword v4, v[6:7], off
	global_load_dword v3, v[10:11], off
	;; [unrolled: 1-line block ×4, first 2 shown]
	s_andn2_b64 vcc, exec, s[14:15]
	s_cbranch_vccnz .LBB806_8
; %bb.6:
	s_add_u32 s12, s12, s16
	s_addc_u32 s13, s13, s17
	s_load_dword s14, s[12:13], 0x0
	s_branch .LBB806_9
.LBB806_7:
	s_mov_b64 s[8:9], 0
	s_branch .LBB806_2
.LBB806_8:
	s_mov_b32 s14, s2
.LBB806_9:
	s_load_dwordx4 s[44:47], s[0:1], 0x48
	v_lshrrev_b32_e32 v29, 6, v0
	v_bfe_u32 v42, v0, 4, 2
	v_lshl_or_b32 v5, v29, 2, v42
	v_and_b32_e32 v28, 15, v0
	s_mul_i32 s48, s4, 3
	v_lshlrev_b32_e32 v6, 3, v28
	v_cmp_gt_u32_e32 vcc, 3, v5
	v_cmp_gt_u32_e64 s[30:31], 8, v28
	v_and_b32_e32 v44, 63, v0
	v_add_u32_e32 v1, s48, v42
	s_and_b64 s[16:17], s[30:31], vcc
	v_lshlrev_b32_e32 v26, 1, v6
	v_lshlrev_b32_e32 v43, 4, v0
	s_and_saveexec_b64 s[12:13], s[16:17]
	s_cbranch_execz .LBB806_11
; %bb.10:
	s_load_dwordx2 s[16:17], s[0:1], 0x0
	s_waitcnt lgkmcnt(0)
	s_ashr_i32 s15, s44, 31
	s_mul_hi_u32 s19, s14, s44
	s_mul_i32 s15, s14, s15
	s_add_i32 s15, s19, s15
	s_mul_i32 s14, s14, s44
	s_lshl_b64 s[14:15], s[14:15], 1
	s_add_u32 s14, s16, s14
	v_lshlrev_b32_e32 v6, 6, v1
	s_addc_u32 s15, s17, s15
	v_ashrrev_i32_e32 v7, 31, v6
	v_lshl_add_u64 v[6:7], v[6:7], 1, s[14:15]
	v_mov_b32_e32 v27, 0
	v_lshl_add_u64 v[6:7], v[6:7], 0, v[26:27]
	global_load_dwordx4 v[10:13], v[6:7], off
	v_lshlrev_b32_e32 v7, 8, v28
	v_lshlrev_b32_e32 v5, 5, v5
	v_and_b32_e32 v6, 16, v43
	v_and_b32_e32 v7, 0xe00, v7
	v_or3_b32 v5, v7, v5, v6
	s_waitcnt vmcnt(0)
	ds_write_b128 v5, v[10:13]
.LBB806_11:
	s_or_b64 exec, exec, s[12:13]
	s_waitcnt lgkmcnt(0)
	s_mul_i32 s4, s4, s46
	s_add_u32 s8, s8, s4
	s_addc_u32 s9, s9, 0
	v_and_b32_e32 v9, 48, v0
	v_and_b32_e32 v30, 0xf0, v43
	v_mov_b32_e32 v31, 0
	v_lshl_add_u64 v[6:7], s[8:9], 0, v[30:31]
	v_lshlrev_b32_e32 v30, 4, v9
	v_or_b32_e32 v9, s5, v9
	v_ashrrev_i32_e32 v10, 4, v9
	v_mov_b32_e32 v12, s18
	v_cmp_gt_i32_e32 vcc, s33, v9
	v_lshl_add_u64 v[6:7], v[6:7], 0, v[30:31]
	s_load_dword s29, s[0:1], 0x98
	s_load_dwordx4 s[40:43], s[0:1], 0x80
	v_cndmask_b32_e32 v10, v12, v10, vcc
	v_ashrrev_i32_e32 v11, 31, v10
	v_lshl_add_u64 v[10:11], v[10:11], 2, s[6:7]
	s_waitcnt lgkmcnt(0)
	s_barrier
	s_waitcnt vmcnt(3)
	v_mad_i64_i32 v[4:5], s[8:9], v4, s45, v[6:7]
	global_load_dword v38, v[10:11], off
	global_load_dwordx4 v[22:25], v[4:5], off
	s_waitcnt vmcnt(4)
	v_mad_i64_i32 v[4:5], s[8:9], v3, s45, v[6:7]
	global_load_dwordx4 v[18:21], v[4:5], off
	s_waitcnt vmcnt(4)
	v_mad_i64_i32 v[2:3], s[8:9], v2, s45, v[6:7]
	global_load_dwordx4 v[2:5], v[2:3], off
	v_mul_lo_u16_e32 v10, 0x56, v28
	v_mov_b32_e32 v11, 3
	v_mul_lo_u16_sdwa v10, v10, v11 dst_sel:DWORD dst_unused:UNUSED_PAD src0_sel:BYTE_1 src1_sel:DWORD
	v_mov_b32_e32 v13, 5
	v_sub_u16_e32 v10, v28, v10
	v_or_b32_e32 v11, 64, v9
	v_or_b32_e32 v15, 0x80, v9
	v_lshlrev_b32_sdwa v10, v13, v10 dst_sel:DWORD dst_unused:UNUSED_PAD src0_sel:DWORD src1_sel:BYTE_0
	v_ashrrev_i32_e32 v13, 4, v11
	v_cmp_gt_i32_e32 vcc, s33, v11
	v_or_b32_e32 v9, 0xc0, v9
	v_ashrrev_i32_e32 v16, 4, v15
	s_add_u32 s8, s10, s4
	v_cndmask_b32_e32 v32, v12, v13, vcc
	v_cmp_gt_i32_e32 vcc, s33, v15
	v_ashrrev_i32_e32 v17, 4, v9
	s_addc_u32 s9, s11, 0
	v_cndmask_b32_e32 v34, v12, v16, vcc
	v_cmp_gt_i32_e32 vcc, s33, v9
	s_waitcnt vmcnt(4)
	v_mad_i64_i32 v[6:7], s[10:11], v8, s45, v[6:7]
	v_lshl_add_u32 v27, v42, 9, v10
	v_cndmask_b32_e32 v36, v12, v17, vcc
	global_load_dwordx4 v[10:13], v[6:7], off
	v_ashrrev_i32_e32 v33, 31, v32
	v_ashrrev_i32_e32 v35, 31, v34
	v_ashrrev_i32_e32 v37, 31, v36
	v_lshlrev_b32_e32 v14, 4, v28
	v_lshl_add_u64 v[32:33], v[32:33], 2, s[6:7]
	v_lshl_add_u64 v[34:35], v[34:35], 2, s[6:7]
	;; [unrolled: 1-line block ×3, first 2 shown]
	v_lshl_or_b32 v30, v29, 8, v14
	ds_read_b128 v[14:17], v27
	ds_read_b128 v[6:9], v27 offset:16
	s_load_dword s4, s[40:41], 0x0
	global_load_dword v46, v[32:33], off
	global_load_dword v27, v[34:35], off
	;; [unrolled: 1-line block ×3, first 2 shown]
	v_lshl_add_u64 v[30:31], s[8:9], 0, v[30:31]
	s_load_dword s12, s[0:1], 0x1c
	s_mov_b32 s44, 0xff7fffff
	s_waitcnt vmcnt(7)
	v_mad_i64_i32 v[32:33], s[6:7], v38, s45, v[30:31]
	s_waitcnt vmcnt(6)
	v_cvt_pk_f32_fp8_e32 v[34:35], v22
	v_cvt_pk_f32_fp8_sdwa v[36:37], v22 src0_sel:WORD_1
	v_cvt_pk_f32_fp8_e32 v[38:39], v23
	v_cvt_pk_f32_fp8_sdwa v[40:41], v23 src0_sel:WORD_1
	v_cvt_pkrtz_f16_f32 v34, v34, v35
	v_cvt_pkrtz_f16_f32 v35, v36, v37
	s_waitcnt vmcnt(5)
	v_cvt_pk_f32_fp8_e32 v[22:23], v18
	v_cvt_pk_f32_fp8_e32 v[48:49], v24
	v_cvt_pk_f32_fp8_sdwa v[50:51], v24 src0_sel:WORD_1
	v_cvt_pkrtz_f16_f32 v38, v38, v39
	v_cvt_pkrtz_f16_f32 v39, v40, v41
	v_cvt_pk_f32_fp8_e32 v[52:53], v25
	v_cvt_pk_f32_fp8_sdwa v[54:55], v18 src0_sel:WORD_1
	v_cvt_pk_f32_fp8_sdwa v[56:57], v25 src0_sel:WORD_1
	v_cvt_pkrtz_f16_f32 v36, v22, v23
	s_waitcnt lgkmcnt(0)
	v_mfma_f32_16x16x16_f16 v[22:25], v[34:35], v[14:15], 0
	v_cvt_pkrtz_f16_f32 v40, v48, v49
	v_cvt_pkrtz_f16_f32 v41, v50, v51
	v_cvt_pk_f32_fp8_e32 v[58:59], v19
	v_cvt_pkrtz_f16_f32 v37, v54, v55
	v_cvt_pk_f32_fp8_sdwa v[18:19], v19 src0_sel:WORD_1
	v_mfma_f32_16x16x16_f16 v[22:25], v[38:39], v[16:17], v[22:25]
	v_cvt_pkrtz_f16_f32 v38, v52, v53
	v_cvt_pkrtz_f16_f32 v39, v56, v57
	v_cvt_pk_f32_fp8_e32 v[54:55], v20
	v_cvt_pk_f32_fp8_sdwa v[48:49], v20 src0_sel:WORD_1
	v_mfma_f32_16x16x16_f16 v[22:25], v[40:41], v[6:7], v[22:25]
	v_cvt_pkrtz_f16_f32 v52, v58, v59
	v_cvt_pkrtz_f16_f32 v53, v18, v19
	v_cvt_pk_f32_fp8_e32 v[50:51], v21
	v_mfma_f32_16x16x16_f16 v[34:37], v[36:37], v[14:15], 0
	v_mfma_f32_16x16x16_f16 v[38:41], v[38:39], v[8:9], v[22:25]
	s_nop 2
	v_cvt_pk_f32_fp8_sdwa v[22:23], v21 src0_sel:WORD_1
	v_cvt_pkrtz_f16_f32 v24, v54, v55
	v_cvt_pkrtz_f16_f32 v25, v48, v49
	v_mfma_f32_16x16x16_f16 v[18:21], v[52:53], v[16:17], v[34:37]
	s_waitcnt vmcnt(4)
	v_cvt_pk_f32_fp8_sdwa v[48:49], v4 src0_sel:WORD_1
	s_nop 0
	v_cvt_pkrtz_f16_f32 v34, v50, v51
	v_cvt_pkrtz_f16_f32 v35, v22, v23
	v_mfma_f32_16x16x16_f16 v[18:21], v[24:25], v[6:7], v[18:21]
	v_cvt_pk_f32_fp8_e32 v[22:23], v2
	v_cvt_pk_f32_fp8_sdwa v[24:25], v2 src0_sel:WORD_1
	v_mov_b32_e32 v36, s12
	v_mfma_f32_16x16x16_f16 v[18:21], v[34:35], v[8:9], v[18:21]
	v_cvt_pk_f32_fp8_e32 v[34:35], v3
	v_cvt_pkrtz_f16_f32 v22, v22, v23
	v_cvt_pkrtz_f16_f32 v23, v24, v25
	v_cvt_pk_f32_fp8_sdwa v[2:3], v3 src0_sel:WORD_1
	v_mul_f32_e32 v52, s4, v36
	v_cvt_pkrtz_f16_f32 v34, v34, v35
	v_cvt_pk_f32_fp8_e32 v[36:37], v4
	v_cvt_pkrtz_f16_f32 v35, v2, v3
	v_mfma_f32_16x16x16_f16 v[22:25], v[22:23], v[14:15], 0
	v_cvt_pk_f32_fp8_sdwa v[50:51], v5 src0_sel:WORD_1
	v_cvt_pkrtz_f16_f32 v36, v36, v37
	v_cvt_pkrtz_f16_f32 v37, v48, v49
	v_cvt_pk_f32_fp8_e32 v[48:49], v5
	v_mfma_f32_16x16x16_f16 v[2:5], v[34:35], v[16:17], v[22:25]
	s_nop 2
	v_cvt_pkrtz_f16_f32 v24, v48, v49
	v_cvt_pkrtz_f16_f32 v25, v50, v51
	v_mfma_f32_16x16x16_f16 v[34:37], v[36:37], v[6:7], v[2:5]
	v_pk_mul_f32 v[22:23], v[52:53], v[40:41] op_sel_hi:[0,1]
	s_waitcnt vmcnt(3)
	v_cvt_pk_f32_fp8_sdwa v[40:41], v12 src0_sel:WORD_1
	v_pk_mul_f32 v[2:3], v[52:53], v[38:39] op_sel_hi:[0,1]
	v_cvt_pk_f32_fp8_e32 v[4:5], v10
	v_cvt_pk_f32_fp8_sdwa v[38:39], v10 src0_sel:WORD_1
	v_mfma_f32_16x16x16_f16 v[48:51], v[24:25], v[8:9], v[34:37]
	v_cvt_pk_f32_fp8_e32 v[24:25], v11
	v_cvt_pkrtz_f16_f32 v4, v4, v5
	v_cvt_pkrtz_f16_f32 v5, v38, v39
	v_cvt_pk_f32_fp8_sdwa v[10:11], v11 src0_sel:WORD_1
	v_cvt_pkrtz_f16_f32 v24, v24, v25
	v_cvt_pk_f32_fp8_e32 v[38:39], v12
	v_mfma_f32_16x16x16_f16 v[34:37], v[4:5], v[14:15], 0
	v_cvt_pkrtz_f16_f32 v25, v10, v11
	v_cvt_pkrtz_f16_f32 v4, v38, v39
	;; [unrolled: 1-line block ×3, first 2 shown]
	v_cvt_pk_f32_fp8_e32 v[14:15], v13
	v_cvt_pk_f32_fp8_sdwa v[38:39], v13 src0_sel:WORD_1
	v_mfma_f32_16x16x16_f16 v[10:13], v[24:25], v[16:17], v[34:37]
	v_pk_mul_f32 v[40:41], v[52:53], v[18:19] op_sel_hi:[0,1]
	v_cvt_pkrtz_f16_f32 v14, v14, v15
	v_cvt_pkrtz_f16_f32 v15, v38, v39
	v_mfma_f32_16x16x16_f16 v[4:7], v[4:5], v[6:7], v[10:13]
	v_pk_mul_f32 v[36:37], v[52:53], v[20:21] op_sel_hi:[0,1]
	v_pk_mul_f32 v[38:39], v[52:53], v[48:49] op_sel_hi:[0,1]
	;; [unrolled: 1-line block ×3, first 2 shown]
	v_mfma_f32_16x16x16_f16 v[4:7], v[14:15], v[8:9], v[4:7]
	s_nop 6
	v_pk_mul_f32 v[24:25], v[52:53], v[4:5] op_sel_hi:[0,1]
	v_and_b32_e32 v4, 0xc0, v0
	v_add_u32_e32 v4, s5, v4
	v_lshl_or_b32 v4, v42, 2, v4
	v_pk_mul_f32 v[18:19], v[52:53], v[6:7] op_sel_hi:[0,1]
	v_or_b32_e32 v7, 1, v4
	v_mov_b32_e32 v5, 0xff7fffff
	v_cmp_gt_i32_e64 s[4:5], s33, v4
	v_cmp_gt_i32_e64 s[34:35], s33, v7
	v_or_b32_e32 v8, 3, v4
	v_cndmask_b32_e64 v6, v5, v2, s[4:5]
	v_cndmask_b32_e64 v7, v5, v3, s[34:35]
	v_max3_f32 v6, v6, s44, v7
	v_or_b32_e32 v7, 2, v4
	v_cmp_gt_i32_e64 s[36:37], s33, v7
	v_cmp_gt_i32_e64 s[38:39], s33, v8
	s_nop 0
	v_cndmask_b32_e64 v7, v5, v22, s[36:37]
	v_cndmask_b32_e64 v8, v5, v23, s[38:39]
	v_max3_f32 v6, v6, v7, v8
	v_or_b32_e32 v7, 16, v4
	v_or_b32_e32 v8, 17, v4
	v_cmp_gt_i32_e64 s[24:25], s33, v7
	v_cmp_gt_i32_e64 s[26:27], s33, v8
	s_nop 0
	v_cndmask_b32_e64 v7, v5, v40, s[24:25]
	v_cndmask_b32_e64 v8, v5, v41, s[26:27]
	v_max3_f32 v6, v6, v7, v8
	v_or_b32_e32 v7, 18, v4
	;; [unrolled: 8-line block ×6, first 2 shown]
	v_or_b32_e32 v4, 51, v4
	v_cmp_gt_i32_e32 vcc, s33, v7
	v_cmp_gt_i32_e64 s[6:7], s33, v4
	s_nop 0
	v_cndmask_b32_e32 v7, v5, v18, vcc
	v_cndmask_b32_e64 v4, v5, v19, s[6:7]
	v_max3_f32 v6, v6, v7, v4
	v_mbcnt_lo_u32_b32 v4, -1, 0
	v_mbcnt_hi_u32_b32 v7, -1, v4
	v_and_b32_e32 v4, 64, v7
	v_add_u32_e32 v8, 64, v4
	v_xor_b32_e32 v4, 32, v7
	v_cmp_lt_i32_e64 s[40:41], v4, v8
	s_nop 1
	v_cndmask_b32_e64 v4, v7, v4, s[40:41]
	v_lshlrev_b32_e32 v47, 2, v4
	ds_bpermute_b32 v9, v47, v6
	s_waitcnt vmcnt(2)
	v_mad_i64_i32 v[4:5], s[40:41], v46, s45, v[30:31]
	global_load_dwordx4 v[14:17], v[32:33], off
	global_load_dwordx4 v[10:13], v[4:5], off
	v_xor_b32_e32 v5, 16, v7
	v_cmp_lt_i32_e64 s[40:41], v5, v8
	s_waitcnt lgkmcnt(0)
	v_max_f32_e32 v4, v9, v9
	v_max_f32_e32 v4, v6, v4
	v_cndmask_b32_e64 v5, v7, v5, s[40:41]
	v_lshlrev_b32_e32 v46, 2, v5
	ds_bpermute_b32 v5, v46, v4
	s_waitcnt vmcnt(3)
	v_mad_i64_i32 v[20:21], s[40:41], v27, s45, v[30:31]
	s_waitcnt vmcnt(2)
	v_mad_i64_i32 v[30:31], s[40:41], v45, s45, v[30:31]
	s_waitcnt lgkmcnt(0)
	v_max_f32_e32 v5, v5, v5
	v_max_f32_e32 v27, v4, v5
	v_sub_f32_e32 v2, v2, v27
	v_mul_f32_e32 v2, 0x3fb8aa3b, v2
	v_exp_f32_e32 v32, v2
	v_sub_f32_e32 v2, v3, v27
	v_mul_f32_e32 v2, 0x3fb8aa3b, v2
	v_exp_f32_e32 v33, v2
	global_load_dwordx4 v[6:9], v[20:21], off
	global_load_dwordx4 v[2:5], v[30:31], off
	v_sub_f32_e32 v22, v22, v27
	v_mul_f32_e32 v22, 0x3fb8aa3b, v22
	v_sub_f32_e32 v23, v23, v27
	v_exp_f32_e32 v22, v22
	v_mul_f32_e32 v23, 0x3fb8aa3b, v23
	v_exp_f32_e32 v23, v23
	v_cndmask_b32_e64 v20, 0, v32, s[4:5]
	v_add_f32_e32 v30, 0, v20
	v_cndmask_b32_e64 v21, 0, v33, s[34:35]
	v_add_f32_e32 v30, v30, v21
	;; [unrolled: 2-line block ×3, first 2 shown]
	v_cndmask_b32_e64 v33, 0, v23, s[38:39]
	v_sub_f32_e32 v23, v40, v27
	v_sub_f32_e32 v30, v41, v27
	v_mul_f32_e32 v23, 0x3fb8aa3b, v23
	v_mul_f32_e32 v30, 0x3fb8aa3b, v30
	v_exp_f32_e32 v23, v23
	v_exp_f32_e32 v30, v30
	v_add_f32_e32 v31, v22, v33
	v_sub_f32_e32 v34, v34, v27
	v_cndmask_b32_e64 v22, 0, v23, s[24:25]
	v_cndmask_b32_e64 v23, 0, v30, s[26:27]
	v_sub_f32_e32 v30, v36, v27
	v_mul_f32_e32 v30, 0x3fb8aa3b, v30
	v_exp_f32_e32 v30, v30
	v_sub_f32_e32 v36, v37, v27
	v_add_f32_e32 v31, v31, v22
	v_mul_f32_e32 v36, 0x3fb8aa3b, v36
	v_exp_f32_e32 v37, v36
	v_add_f32_e32 v31, v31, v23
	v_cndmask_b32_e64 v36, 0, v30, s[20:21]
	v_add_f32_e32 v30, v31, v36
	v_sub_f32_e32 v31, v38, v27
	v_mul_f32_e32 v31, 0x3fb8aa3b, v31
	v_sub_f32_e32 v38, v39, v27
	v_exp_f32_e32 v31, v31
	v_mul_f32_e32 v38, 0x3fb8aa3b, v38
	v_exp_f32_e32 v38, v38
	v_mul_f32_e32 v34, 0x3fb8aa3b, v34
	v_sub_f32_e32 v35, v35, v27
	v_exp_f32_e32 v34, v34
	v_mul_f32_e32 v35, 0x3fb8aa3b, v35
	v_sub_f32_e32 v24, v24, v27
	v_cndmask_b32_e64 v37, 0, v37, s[22:23]
	v_exp_f32_e32 v35, v35
	v_mul_f32_e32 v24, 0x3fb8aa3b, v24
	v_sub_f32_e32 v25, v25, v27
	v_add_f32_e32 v39, v30, v37
	v_cndmask_b32_e64 v30, 0, v31, s[16:17]
	v_exp_f32_e32 v24, v24
	v_mul_f32_e32 v25, 0x3fb8aa3b, v25
	v_sub_f32_e32 v18, v18, v27
	v_add_f32_e32 v39, v39, v30
	;; [unrolled: 5-line block ×3, first 2 shown]
	v_cndmask_b32_e64 v34, 0, v34, s[12:13]
	v_exp_f32_e32 v18, v18
	v_mul_f32_e32 v19, 0x3fb8aa3b, v19
	v_add_f32_e32 v38, v38, v34
	v_cndmask_b32_e64 v35, 0, v35, s[14:15]
	v_exp_f32_e32 v19, v19
	v_add_f32_e32 v38, v38, v35
	v_cndmask_b32_e64 v24, 0, v24, s[8:9]
	v_add_f32_e32 v38, v38, v24
	v_cndmask_b32_e64 v25, 0, v25, s[10:11]
	v_add_f32_e32 v38, v38, v25
	v_cndmask_b32_e32 v18, 0, v18, vcc
	v_add_f32_e32 v38, v38, v18
	v_cndmask_b32_e64 v19, 0, v19, s[6:7]
	v_add_f32_e32 v38, v38, v19
	ds_bpermute_b32 v39, v47, v38
	v_cmp_gt_u32_e32 vcc, 16, v44
	s_waitcnt lgkmcnt(0)
	s_barrier
	v_add_f32_e32 v39, v38, v39
	ds_bpermute_b32 v40, v46, v39
	v_lshlrev_b32_e32 v38, 2, v28
	s_and_saveexec_b64 s[4:5], vcc
	s_cbranch_execz .LBB806_13
; %bb.12:
	s_waitcnt lgkmcnt(0)
	v_add_f32_e32 v39, v39, v40
	v_lshl_or_b32 v40, v29, 6, v38
	ds_write2st64_b32 v40, v27, v39 offset1:1
.LBB806_13:
	s_or_b64 exec, exec, s[4:5]
	s_load_dword s6, s[0:1], 0x94
	s_waitcnt lgkmcnt(0)
	s_barrier
	ds_read2_b32 v[40:41], v38 offset1:16
	ds_read2_b32 v[44:45], v38 offset0:32 offset1:48
	ds_read2_b32 v[46:47], v38 offset0:64 offset1:80
	s_mul_i32 s7, s29, 3
	s_waitcnt lgkmcnt(2)
	v_max3_f32 v27, v40, s44, v41
	s_waitcnt lgkmcnt(1)
	v_max3_f32 v27, v27, v44, v45
	v_sub_f32_e32 v39, v40, v27
	v_sub_f32_e32 v40, v41, v27
	v_mul_f32_e32 v40, 0x3fb8aa3b, v40
	v_mul_f32_e32 v39, 0x3fb8aa3b, v39
	v_exp_f32_e32 v48, v40
	v_sub_f32_e32 v40, v44, v27
	v_exp_f32_e32 v39, v39
	v_mul_f32_e32 v40, 0x3fb8aa3b, v40
	v_exp_f32_e32 v44, v40
	ds_read2_b32 v[40:41], v38 offset0:96 offset1:112
	v_sub_f32_e32 v38, v45, v27
	v_mul_f32_e32 v38, 0x3fb8aa3b, v38
	v_exp_f32_e32 v45, v38
	s_waitcnt lgkmcnt(1)
	v_fma_f32 v38, v39, v46, 0
	v_fmac_f32_e32 v38, v48, v47
	s_waitcnt lgkmcnt(0)
	v_fmac_f32_e32 v38, v44, v40
	v_fmac_f32_e32 v38, v45, v41
	v_add_f32_e32 v40, 0x358637bd, v38
	v_div_scale_f32 v41, s[4:5], v40, v40, 1.0
	v_rcp_f32_e32 v46, v41
	s_barrier
	v_fma_f32 v47, -v41, v46, 1.0
	v_fmac_f32_e32 v46, v47, v46
	v_div_scale_f32 v47, vcc, 1.0, v40, 1.0
	v_mul_f32_e32 v49, v47, v46
	v_fma_f32 v50, -v41, v49, v47
	v_fmac_f32_e32 v49, v50, v46
	v_fma_f32 v41, -v41, v49, v47
	v_div_fmas_f32 v41, v41, v46, v49
	v_cmp_eq_u32_e32 vcc, 1, v29
	v_div_fixup_f32 v40, v41, v40, 1.0
	s_nop 0
	v_cndmask_b32_e32 v39, v39, v48, vcc
	v_cmp_eq_u32_e32 vcc, 2, v29
	s_nop 1
	v_cndmask_b32_e32 v39, v39, v44, vcc
	v_cmp_eq_u32_e32 vcc, 3, v29
	v_lshlrev_b32_e32 v29, 11, v29
	s_nop 0
	v_cndmask_b32_e32 v39, v39, v45, vcc
	v_mul_f32_e32 v40, v39, v40
	v_pk_mul_f32 v[20:21], v[40:41], v[20:21] op_sel_hi:[0,1]
	v_pk_mul_f32 v[32:33], v[40:41], v[32:33] op_sel_hi:[0,1]
	v_cvt_f16_f32_e32 v20, v20
	v_cvt_f16_f32_e32 v21, v21
	v_pk_mul_f32 v[36:37], v[40:41], v[36:37] op_sel_hi:[0,1]
	v_pk_mul_f32 v[22:23], v[40:41], v[22:23] op_sel_hi:[0,1]
	v_cvt_f16_f32_e32 v39, v32
	v_cvt_f16_f32_e32 v33, v33
	;; [unrolled: 1-line block ×6, first 2 shown]
	v_pack_b32_f16 v32, v20, v21
	v_lshlrev_b32_e32 v20, 3, v42
	v_lshlrev_b32_e32 v21, 5, v28
	v_pack_b32_f16 v33, v39, v33
	v_or3_b32 v20, v29, v21, v20
	v_pack_b32_f16 v22, v22, v23
	v_pack_b32_f16 v23, v36, v37
	ds_write2st64_b64 v20, v[32:33], v[22:23] offset1:1
	v_pk_mul_f32 v[22:23], v[40:41], v[34:35] op_sel_hi:[0,1]
	v_pk_mul_f32 v[30:31], v[40:41], v[30:31] op_sel_hi:[0,1]
	v_cvt_f16_f32_e32 v29, v30
	v_cvt_f16_f32_e32 v30, v31
	;; [unrolled: 1-line block ×4, first 2 shown]
	v_pk_mul_f32 v[18:19], v[40:41], v[18:19] op_sel_hi:[0,1]
	v_pk_mul_f32 v[22:23], v[40:41], v[24:25] op_sel_hi:[0,1]
	v_cvt_f16_f32_e32 v22, v22
	v_cvt_f16_f32_e32 v23, v23
	;; [unrolled: 1-line block ×4, first 2 shown]
	v_pack_b32_f16 v18, v29, v30
	v_pack_b32_f16 v19, v31, v32
	;; [unrolled: 1-line block ×4, first 2 shown]
	v_cmp_gt_u32_e32 vcc, 3, v0
	ds_write2st64_b64 v20, v[18:19], v[22:23] offset0:2 offset1:3
	s_and_saveexec_b64 s[4:5], vcc
	s_cbranch_execz .LBB806_15
; %bb.14:
	s_mov_b32 s49, 0
	v_mov_b32_e32 v29, 0
	v_lshl_add_u64 v[18:19], s[48:49], 0, v[28:29]
	v_mov_b32_e32 v22, s7
	v_mad_u64_u32 v[18:19], s[12:13], s2, v22, v[18:19]
	s_mul_i32 s3, s3, s7
	v_mov_b32_e32 v28, s28
	s_load_dwordx4 s[8:11], s[0:1], 0x58
	v_add_u32_e32 v23, s3, v19
	v_mad_u64_u32 v[18:19], s[12:13], v18, s6, v[28:29]
	v_mov_b32_e32 v22, v19
	v_mad_u64_u32 v[22:23], s[12:13], v23, s6, v[22:23]
	v_mov_b32_e32 v19, v22
	v_lshlrev_b64 v[18:19], 2, v[18:19]
	s_waitcnt lgkmcnt(0)
	v_lshl_add_u64 v[22:23], s[10:11], 0, v[18:19]
	v_lshl_add_u64 v[18:19], s[8:9], 0, v[18:19]
	global_store_dword v[22:23], v27, off
	global_store_dword v[18:19], v38, off
.LBB806_15:
	s_or_b64 exec, exec, s[4:5]
	s_waitcnt vmcnt(3)
	v_cvt_pk_f32_fp8_e32 v[18:19], v14
	v_cvt_pk_f32_fp8_sdwa v[22:23], v14 src0_sel:WORD_1
	v_cvt_pk_f32_fp8_e32 v[24:25], v15
	v_lshl_or_b32 v14, v42, 9, v21
	s_waitcnt lgkmcnt(0)
	s_barrier
	v_cvt_pkrtz_f16_f32 v18, v18, v19
	v_cvt_pkrtz_f16_f32 v19, v22, v23
	v_cvt_pk_f32_fp8_sdwa v[28:29], v15 src0_sel:WORD_1
	v_cvt_pkrtz_f16_f32 v36, v24, v25
	ds_read_b128 v[22:25], v14
	v_cvt_pk_f32_fp8_e32 v[38:39], v16
	v_cvt_pkrtz_f16_f32 v37, v28, v29
	ds_read_b128 v[28:31], v14 offset:16
	v_cvt_pk_f32_fp8_sdwa v[40:41], v16 src0_sel:WORD_1
	s_waitcnt lgkmcnt(1)
	v_mfma_f32_16x16x16_f16 v[32:35], v[18:19], v[22:23], 0
	v_cvt_pkrtz_f16_f32 v18, v38, v39
	v_cvt_pk_f32_fp8_e32 v[38:39], v17
	v_cvt_pkrtz_f16_f32 v19, v40, v41
	v_mfma_f32_16x16x16_f16 v[22:25], v[36:37], v[24:25], v[32:35]
	s_waitcnt vmcnt(2)
	v_cvt_pk_f32_fp8_sdwa v[36:37], v12 src0_sel:WORD_1
	s_load_dword s4, s[42:43], 0x0
	v_cmp_gt_u32_e32 vcc, 64, v0
	v_cvt_pk_f32_fp8_sdwa v[32:33], v17 src0_sel:WORD_1
	v_cvt_pkrtz_f16_f32 v34, v38, v39
	s_waitcnt lgkmcnt(0)
	v_mfma_f32_16x16x16_f16 v[16:19], v[18:19], v[28:29], v[22:25]
	v_cvt_pk_f32_fp8_e32 v[28:29], v11
	v_cvt_pkrtz_f16_f32 v35, v32, v33
	s_mov_b32 s3, 0
	v_cvt_pk_f32_fp8_e32 v[22:23], v10
	v_cvt_pk_f32_fp8_sdwa v[24:25], v10 src0_sel:WORD_1
	v_mfma_f32_16x16x16_f16 v[16:19], v[34:35], v[30:31], v[16:19]
	v_cvt_pkrtz_f16_f32 v10, v22, v23
	v_cvt_pk_f32_fp8_sdwa v[30:31], v11 src0_sel:WORD_1
	v_cvt_pkrtz_f16_f32 v11, v24, v25
	ds_read_b128 v[22:25], v14 offset:2048
	v_cvt_pkrtz_f16_f32 v32, v28, v29
	v_cvt_pkrtz_f16_f32 v33, v30, v31
	ds_read_b128 v[28:31], v14 offset:2064
	v_cvt_pk_f32_fp8_e32 v[34:35], v12
	s_waitcnt lgkmcnt(1)
	v_mfma_f32_16x16x16_f16 v[16:19], v[10:11], v[22:23], v[16:19]
	v_cvt_pkrtz_f16_f32 v11, v36, v37
	v_cvt_pk_f32_fp8_e32 v[22:23], v13
	v_cvt_pkrtz_f16_f32 v10, v34, v35
	v_mfma_f32_16x16x16_f16 v[16:19], v[32:33], v[24:25], v[16:19]
	v_cvt_pk_f32_fp8_sdwa v[24:25], v13 src0_sel:WORD_1
	v_cvt_pkrtz_f16_f32 v22, v22, v23
	s_waitcnt vmcnt(1)
	v_cvt_pk_f32_fp8_sdwa v[32:33], v8 src0_sel:WORD_1
	s_waitcnt lgkmcnt(0)
	v_mfma_f32_16x16x16_f16 v[10:13], v[10:11], v[28:29], v[16:19]
	v_cvt_pkrtz_f16_f32 v23, v24, v25
	v_cvt_pk_f32_fp8_sdwa v[24:25], v7 src0_sel:WORD_1
	v_mov_b32_e32 v27, 0
	v_cvt_pk_f32_fp8_e32 v[16:17], v6
	v_cvt_pk_f32_fp8_sdwa v[18:19], v6 src0_sel:WORD_1
	v_mfma_f32_16x16x16_f16 v[10:13], v[22:23], v[30:31], v[10:13]
	v_cvt_pk_f32_fp8_e32 v[22:23], v7
	v_cvt_pkrtz_f16_f32 v6, v16, v17
	v_cvt_pkrtz_f16_f32 v7, v18, v19
	ds_read_b128 v[16:19], v14 offset:4096
	v_cvt_pkrtz_f16_f32 v28, v22, v23
	v_cvt_pkrtz_f16_f32 v29, v24, v25
	ds_read_b128 v[22:25], v14 offset:4112
	v_cvt_pk_f32_fp8_e32 v[30:31], v8
	s_waitcnt lgkmcnt(1)
	v_mfma_f32_16x16x16_f16 v[10:13], v[6:7], v[16:17], v[10:13]
	v_cvt_pkrtz_f16_f32 v7, v32, v33
	v_cvt_pk_f32_fp8_e32 v[16:17], v9
	v_cvt_pkrtz_f16_f32 v6, v30, v31
	v_mfma_f32_16x16x16_f16 v[10:13], v[28:29], v[18:19], v[10:13]
	v_cvt_pk_f32_fp8_sdwa v[18:19], v9 src0_sel:WORD_1
	v_cvt_pkrtz_f16_f32 v16, v16, v17
	v_cvt_pkrtz_f16_f32 v17, v18, v19
	s_waitcnt lgkmcnt(0)
	v_mfma_f32_16x16x16_f16 v[6:9], v[6:7], v[22:23], v[10:13]
	s_waitcnt vmcnt(0)
	v_cvt_pk_f32_fp8_sdwa v[18:19], v3 src0_sel:WORD_1
	s_nop 0
	v_cvt_pkrtz_f16_f32 v23, v18, v19
	v_cvt_pk_f32_fp8_e32 v[10:11], v2
	v_cvt_pk_f32_fp8_sdwa v[12:13], v2 src0_sel:WORD_1
	v_mfma_f32_16x16x16_f16 v[6:9], v[16:17], v[24:25], v[6:9]
	v_cvt_pk_f32_fp8_e32 v[16:17], v3
	v_cvt_pkrtz_f16_f32 v2, v10, v11
	v_cvt_pkrtz_f16_f32 v3, v12, v13
	ds_read_b128 v[10:13], v14 offset:6144
	v_cvt_pkrtz_f16_f32 v22, v16, v17
	v_cvt_pk_f32_fp8_e32 v[18:19], v4
	v_cvt_pk_f32_fp8_sdwa v[24:25], v4 src0_sel:WORD_1
	s_waitcnt lgkmcnt(0)
	v_mfma_f32_16x16x16_f16 v[6:9], v[2:3], v[10:11], v[6:9]
	ds_read_b128 v[14:17], v14 offset:6160
	v_cvt_pkrtz_f16_f32 v2, v18, v19
	v_cvt_pkrtz_f16_f32 v3, v24, v25
	v_cvt_pk_f32_fp8_e32 v[10:11], v5
	v_mfma_f32_16x16x16_f16 v[6:9], v[22:23], v[12:13], v[6:9]
	v_cvt_pk_f32_fp8_sdwa v[12:13], v5 src0_sel:WORD_1
	s_waitcnt lgkmcnt(0)
	v_cvt_pkrtz_f16_f32 v10, v10, v11
	v_mfma_f32_16x16x16_f16 v[2:5], v[2:3], v[14:15], v[6:9]
	v_cvt_pkrtz_f16_f32 v11, v12, v13
	s_barrier
	s_nop 0
	v_mfma_f32_16x16x16_f16 v[2:5], v[10:11], v[16:17], v[2:5]
	s_nop 6
	v_pk_mul_f32 v[4:5], v[4:5], s[4:5] op_sel_hi:[1,0]
	v_pk_mul_f32 v[2:3], v[2:3], s[4:5] op_sel_hi:[1,0]
	v_cvt_f16_f32_e32 v4, v4
	v_cvt_f16_f32_e32 v2, v2
	;; [unrolled: 1-line block ×4, first 2 shown]
	v_cmp_ne_u32_e64 s[4:5], 3, v42
	s_and_b64 s[4:5], s[4:5], vcc
	v_pack_b32_f16 v2, v2, v3
	v_pack_b32_f16 v3, v4, v5
	s_and_b64 s[4:5], s[4:5], s[30:31]
	ds_write_b64 v20, v[2:3]
	s_waitcnt lgkmcnt(0)
	s_barrier
	s_and_saveexec_b64 s[8:9], s[4:5]
	s_cbranch_execz .LBB806_17
; %bb.16:
	s_load_dwordx2 s[0:1], s[0:1], 0x68
	s_mul_i32 s2, s7, s2
	s_lshl_b32 s6, s6, 6
	s_mul_hi_u32 s5, s2, s6
	s_mul_i32 s4, s2, s6
	v_lshlrev_b32_e32 v0, 10, v0
	s_lshl_b64 s[4:5], s[4:5], 1
	v_and_b32_e32 v0, 0x1800, v0
	v_lshlrev_b32_e32 v2, 5, v42
	v_and_b32_e32 v3, 16, v43
	s_waitcnt lgkmcnt(0)
	s_add_u32 s4, s0, s4
	v_or3_b32 v0, v0, v2, v3
	s_addc_u32 s5, s1, s5
	s_lshl_b32 s2, s28, 6
	ds_read_b128 v[2:5], v0
	s_lshl_b64 s[0:1], s[2:3], 1
	s_add_u32 s0, s4, s0
	s_addc_u32 s1, s5, s1
	v_mad_u64_u32 v[0:1], s[2:3], s6, v1, 0
	v_lshl_add_u64 v[0:1], v[0:1], 1, s[0:1]
	v_lshl_add_u64 v[0:1], v[0:1], 0, v[26:27]
	s_waitcnt lgkmcnt(0)
	global_store_dwordx4 v[0:1], v[2:5], off
.LBB806_17:
	s_endpgm
	.section	.rodata,"a",@progbits
	.p2align	6, 0x0
	.amdhsa_kernel _Z39paged_attention_ll4mi_QKV_mfma16_kernelIDF16_hLN4vllm18Fp8KVCacheDataTypeE1EhLi16ELi64ELi256ELb0ELi3EEvPKT_PKT0_S7_ifPKiS9_S9_iPKfiiiPfSC_PS2_PT2_iSB_SB_
		.amdhsa_group_segment_fixed_size 8192
		.amdhsa_private_segment_fixed_size 0
		.amdhsa_kernarg_size 400
		.amdhsa_user_sgpr_count 2
		.amdhsa_user_sgpr_dispatch_ptr 0
		.amdhsa_user_sgpr_queue_ptr 0
		.amdhsa_user_sgpr_kernarg_segment_ptr 1
		.amdhsa_user_sgpr_dispatch_id 0
		.amdhsa_user_sgpr_kernarg_preload_length 0
		.amdhsa_user_sgpr_kernarg_preload_offset 0
		.amdhsa_user_sgpr_private_segment_size 0
		.amdhsa_uses_dynamic_stack 0
		.amdhsa_enable_private_segment 0
		.amdhsa_system_sgpr_workgroup_id_x 1
		.amdhsa_system_sgpr_workgroup_id_y 1
		.amdhsa_system_sgpr_workgroup_id_z 1
		.amdhsa_system_sgpr_workgroup_info 0
		.amdhsa_system_vgpr_workitem_id 0
		.amdhsa_next_free_vgpr 60
		.amdhsa_next_free_sgpr 50
		.amdhsa_accum_offset 60
		.amdhsa_reserve_vcc 1
		.amdhsa_float_round_mode_32 0
		.amdhsa_float_round_mode_16_64 0
		.amdhsa_float_denorm_mode_32 3
		.amdhsa_float_denorm_mode_16_64 3
		.amdhsa_dx10_clamp 1
		.amdhsa_ieee_mode 1
		.amdhsa_fp16_overflow 0
		.amdhsa_tg_split 0
		.amdhsa_exception_fp_ieee_invalid_op 0
		.amdhsa_exception_fp_denorm_src 0
		.amdhsa_exception_fp_ieee_div_zero 0
		.amdhsa_exception_fp_ieee_overflow 0
		.amdhsa_exception_fp_ieee_underflow 0
		.amdhsa_exception_fp_ieee_inexact 0
		.amdhsa_exception_int_div_zero 0
	.end_amdhsa_kernel
	.section	.text._Z39paged_attention_ll4mi_QKV_mfma16_kernelIDF16_hLN4vllm18Fp8KVCacheDataTypeE1EhLi16ELi64ELi256ELb0ELi3EEvPKT_PKT0_S7_ifPKiS9_S9_iPKfiiiPfSC_PS2_PT2_iSB_SB_,"axG",@progbits,_Z39paged_attention_ll4mi_QKV_mfma16_kernelIDF16_hLN4vllm18Fp8KVCacheDataTypeE1EhLi16ELi64ELi256ELb0ELi3EEvPKT_PKT0_S7_ifPKiS9_S9_iPKfiiiPfSC_PS2_PT2_iSB_SB_,comdat
.Lfunc_end806:
	.size	_Z39paged_attention_ll4mi_QKV_mfma16_kernelIDF16_hLN4vllm18Fp8KVCacheDataTypeE1EhLi16ELi64ELi256ELb0ELi3EEvPKT_PKT0_S7_ifPKiS9_S9_iPKfiiiPfSC_PS2_PT2_iSB_SB_, .Lfunc_end806-_Z39paged_attention_ll4mi_QKV_mfma16_kernelIDF16_hLN4vllm18Fp8KVCacheDataTypeE1EhLi16ELi64ELi256ELb0ELi3EEvPKT_PKT0_S7_ifPKiS9_S9_iPKfiiiPfSC_PS2_PT2_iSB_SB_
                                        ; -- End function
	.section	.AMDGPU.csdata,"",@progbits
; Kernel info:
; codeLenInByte = 4544
; NumSgprs: 56
; NumVgprs: 60
; NumAgprs: 0
; TotalNumVgprs: 60
; ScratchSize: 0
; MemoryBound: 0
; FloatMode: 240
; IeeeMode: 1
; LDSByteSize: 8192 bytes/workgroup (compile time only)
; SGPRBlocks: 6
; VGPRBlocks: 7
; NumSGPRsForWavesPerEU: 56
; NumVGPRsForWavesPerEU: 60
; AccumOffset: 60
; Occupancy: 8
; WaveLimiterHint : 1
; COMPUTE_PGM_RSRC2:SCRATCH_EN: 0
; COMPUTE_PGM_RSRC2:USER_SGPR: 2
; COMPUTE_PGM_RSRC2:TRAP_HANDLER: 0
; COMPUTE_PGM_RSRC2:TGID_X_EN: 1
; COMPUTE_PGM_RSRC2:TGID_Y_EN: 1
; COMPUTE_PGM_RSRC2:TGID_Z_EN: 1
; COMPUTE_PGM_RSRC2:TIDIG_COMP_CNT: 0
; COMPUTE_PGM_RSRC3_GFX90A:ACCUM_OFFSET: 14
; COMPUTE_PGM_RSRC3_GFX90A:TG_SPLIT: 0
	.section	.text._Z39paged_attention_ll4mi_QKV_mfma16_kernelIDF16_hLN4vllm18Fp8KVCacheDataTypeE1EhLi16ELi64ELi256ELb0ELi4EEvPKT_PKT0_S7_ifPKiS9_S9_iPKfiiiPfSC_PS2_PT2_iSB_SB_,"axG",@progbits,_Z39paged_attention_ll4mi_QKV_mfma16_kernelIDF16_hLN4vllm18Fp8KVCacheDataTypeE1EhLi16ELi64ELi256ELb0ELi4EEvPKT_PKT0_S7_ifPKiS9_S9_iPKfiiiPfSC_PS2_PT2_iSB_SB_,comdat
	.protected	_Z39paged_attention_ll4mi_QKV_mfma16_kernelIDF16_hLN4vllm18Fp8KVCacheDataTypeE1EhLi16ELi64ELi256ELb0ELi4EEvPKT_PKT0_S7_ifPKiS9_S9_iPKfiiiPfSC_PS2_PT2_iSB_SB_ ; -- Begin function _Z39paged_attention_ll4mi_QKV_mfma16_kernelIDF16_hLN4vllm18Fp8KVCacheDataTypeE1EhLi16ELi64ELi256ELb0ELi4EEvPKT_PKT0_S7_ifPKiS9_S9_iPKfiiiPfSC_PS2_PT2_iSB_SB_
	.globl	_Z39paged_attention_ll4mi_QKV_mfma16_kernelIDF16_hLN4vllm18Fp8KVCacheDataTypeE1EhLi16ELi64ELi256ELb0ELi4EEvPKT_PKT0_S7_ifPKiS9_S9_iPKfiiiPfSC_PS2_PT2_iSB_SB_
	.p2align	8
	.type	_Z39paged_attention_ll4mi_QKV_mfma16_kernelIDF16_hLN4vllm18Fp8KVCacheDataTypeE1EhLi16ELi64ELi256ELb0ELi4EEvPKT_PKT0_S7_ifPKiS9_S9_iPKfiiiPfSC_PS2_PT2_iSB_SB_,@function
_Z39paged_attention_ll4mi_QKV_mfma16_kernelIDF16_hLN4vllm18Fp8KVCacheDataTypeE1EhLi16ELi64ELi256ELb0ELi4EEvPKT_PKT0_S7_ifPKiS9_S9_iPKfiiiPfSC_PS2_PT2_iSB_SB_: ; @_Z39paged_attention_ll4mi_QKV_mfma16_kernelIDF16_hLN4vllm18Fp8KVCacheDataTypeE1EhLi16ELi64ELi256ELb0ELi4EEvPKT_PKT0_S7_ifPKiS9_S9_iPKfiiiPfSC_PS2_PT2_iSB_SB_
; %bb.0:
	s_load_dwordx2 s[6:7], s[0:1], 0x30
	s_mov_b32 s26, s3
	s_mov_b64 s[8:9], 0
	s_waitcnt lgkmcnt(0)
	s_cmp_lg_u64 s[6:7], 0
	s_cselect_b64 s[14:15], -1, 0
	s_and_b64 vcc, exec, s[14:15]
	s_cbranch_vccz .LBB807_7
; %bb.1:
	s_add_i32 s10, s2, 1
	s_mov_b32 s11, 0
	s_lshl_b64 s[12:13], s[10:11], 2
	s_add_u32 s12, s6, s12
	s_mov_b32 s3, s11
	s_addc_u32 s13, s7, s13
	s_lshl_b64 s[10:11], s[2:3], 2
	s_add_u32 s10, s6, s10
	s_addc_u32 s11, s7, s11
	s_load_dword s5, s[12:13], 0x0
	s_load_dword s16, s[10:11], 0x0
	s_waitcnt lgkmcnt(0)
	s_sub_i32 s5, s5, s16
	s_cmp_eq_u32 s5, 1
	s_cselect_b64 s[10:11], -1, 0
	s_andn2_b64 vcc, exec, s[8:9]
	s_cbranch_vccnz .LBB807_3
.LBB807_2:
	s_mov_b32 s3, 0
	s_mov_b64 s[10:11], -1
.LBB807_3:
	s_andn2_b64 vcc, exec, s[10:11]
	s_cbranch_vccnz .LBB807_17
; %bb.4:
	s_load_dwordx2 s[8:9], s[0:1], 0x28
	s_lshl_b64 s[16:17], s[2:3], 2
	s_waitcnt lgkmcnt(0)
	s_add_u32 s8, s8, s16
	s_addc_u32 s9, s9, s17
	s_load_dword s5, s[8:9], 0x0
	s_lshl_b32 s18, s26, 8
	s_waitcnt lgkmcnt(0)
	s_cmp_ge_i32 s18, s5
	s_cbranch_scc1 .LBB807_17
; %bb.5:
	s_load_dwordx2 s[8:9], s[0:1], 0x20
	s_load_dword s10, s[0:1], 0x38
	s_add_i32 s11, s5, 15
	s_ashr_i32 s12, s11, 31
	v_and_b32_e32 v1, 0xcf, v0
	s_lshr_b32 s12, s12, 28
	v_add_u32_e32 v1, s18, v1
	s_add_i32 s11, s11, s12
	v_ashrrev_i32_e32 v2, 31, v1
	s_ashr_i32 s19, s11, 4
	v_lshrrev_b32_e32 v4, 28, v2
	s_add_i32 s19, s19, -1
	s_waitcnt lgkmcnt(0)
	s_mul_i32 s10, s2, s10
	s_mov_b32 s11, 0
	v_add_u32_e32 v2, v1, v4
	s_lshl_b64 s[10:11], s[10:11], 2
	v_ashrrev_i32_e32 v2, 4, v2
	v_mov_b32_e32 v5, s19
	v_cmp_gt_i32_e32 vcc, s5, v1
	s_add_u32 s12, s8, s10
	s_addc_u32 s13, s9, s11
	v_cndmask_b32_e32 v2, v5, v2, vcc
	v_ashrrev_i32_e32 v3, 31, v2
	v_lshl_add_u64 v[6:7], v[2:3], 2, s[12:13]
	v_or_b32_e32 v2, 16, v1
	v_add_u32_e32 v3, v2, v4
	v_ashrrev_i32_e32 v3, 4, v3
	v_cmp_gt_i32_e32 vcc, s5, v2
	s_load_dwordx4 s[8:11], s[0:1], 0x8
	s_nop 0
	v_cndmask_b32_e32 v2, v5, v3, vcc
	v_ashrrev_i32_e32 v3, 31, v2
	v_lshl_add_u64 v[8:9], v[2:3], 2, s[12:13]
	v_or_b32_e32 v2, 32, v1
	v_add_u32_e32 v3, v2, v4
	v_ashrrev_i32_e32 v3, 4, v3
	v_cmp_gt_i32_e32 vcc, s5, v2
	v_or_b32_e32 v1, 48, v1
	s_nop 0
	v_cndmask_b32_e32 v2, v5, v3, vcc
	v_ashrrev_i32_e32 v3, 31, v2
	v_lshl_add_u64 v[10:11], v[2:3], 2, s[12:13]
	v_add_u32_e32 v2, v1, v4
	v_ashrrev_i32_e32 v2, 4, v2
	v_cmp_gt_i32_e32 vcc, s5, v1
	s_nop 1
	v_cndmask_b32_e32 v2, v5, v2, vcc
	v_ashrrev_i32_e32 v3, 31, v2
	v_lshl_add_u64 v[12:13], v[2:3], 2, s[12:13]
	global_load_dword v4, v[6:7], off
	global_load_dword v3, v[8:9], off
	;; [unrolled: 1-line block ×4, first 2 shown]
	s_andn2_b64 vcc, exec, s[14:15]
	s_cbranch_vccnz .LBB807_8
; %bb.6:
	s_add_u32 s6, s6, s16
	s_addc_u32 s7, s7, s17
	s_load_dword s14, s[6:7], 0x0
	s_branch .LBB807_9
.LBB807_7:
	s_mov_b64 s[10:11], 0
	s_branch .LBB807_2
.LBB807_8:
	s_mov_b32 s14, s2
.LBB807_9:
	s_load_dwordx4 s[44:47], s[0:1], 0x48
	v_and_b32_e32 v44, 15, v0
	v_bfe_u32 v42, v0, 4, 2
	s_lshl_b32 s27, s4, 2
	v_lshlrev_b32_e32 v5, 3, v44
	v_cmp_gt_u32_e32 vcc, 64, v0
	v_cmp_gt_u32_e64 s[6:7], 8, v44
	v_lshrrev_b32_e32 v43, 6, v0
	v_and_b32_e32 v45, 63, v0
	v_or_b32_e32 v1, s27, v42
	s_and_b64 s[48:49], vcc, s[6:7]
	v_lshlrev_b32_e32 v26, 1, v5
	v_lshlrev_b32_e32 v40, 5, v42
	;; [unrolled: 1-line block ×3, first 2 shown]
	s_and_saveexec_b64 s[6:7], s[48:49]
	s_cbranch_execz .LBB807_11
; %bb.10:
	s_load_dwordx2 s[16:17], s[0:1], 0x0
	s_waitcnt lgkmcnt(0)
	s_ashr_i32 s15, s44, 31
	s_mul_hi_u32 s20, s14, s44
	s_mul_i32 s15, s14, s15
	s_add_i32 s15, s20, s15
	s_mul_i32 s14, s14, s44
	s_lshl_b64 s[14:15], s[14:15], 1
	s_add_u32 s14, s16, s14
	v_lshlrev_b32_e32 v6, 6, v1
	s_addc_u32 s15, s17, s15
	v_ashrrev_i32_e32 v7, 31, v6
	v_lshl_add_u64 v[6:7], v[6:7], 1, s[14:15]
	v_mov_b32_e32 v27, 0
	v_lshl_add_u64 v[6:7], v[6:7], 0, v[26:27]
	global_load_dwordx4 v[6:9], v[6:7], off
	v_lshlrev_b32_e32 v11, 8, v44
	v_lshl_or_b32 v5, v43, 7, v40
	v_and_b32_e32 v10, 16, v41
	v_and_b32_e32 v11, 0xe00, v11
	v_or3_b32 v5, v11, v5, v10
	s_waitcnt vmcnt(0)
	ds_write_b128 v5, v[6:9]
.LBB807_11:
	s_or_b64 exec, exec, s[6:7]
	s_waitcnt lgkmcnt(0)
	s_mul_i32 s4, s4, s46
	s_add_u32 s6, s8, s4
	s_addc_u32 s7, s9, 0
	v_and_b32_e32 v8, 48, v0
	v_and_b32_e32 v28, 0xf0, v41
	v_mov_b32_e32 v29, 0
	v_lshl_add_u64 v[6:7], s[6:7], 0, v[28:29]
	v_lshlrev_b32_e32 v28, 4, v8
	v_lshl_add_u64 v[16:17], v[6:7], 0, v[28:29]
	s_waitcnt vmcnt(3)
	v_mad_i64_i32 v[4:5], s[6:7], v4, s45, v[16:17]
	s_load_dword s33, s[0:1], 0x98
	s_load_dwordx4 s[40:43], s[0:1], 0x80
	s_waitcnt lgkmcnt(0)
	s_barrier
	global_load_dwordx4 v[22:25], v[4:5], off
	s_waitcnt vmcnt(3)
	v_mad_i64_i32 v[4:5], s[6:7], v3, s45, v[16:17]
	global_load_dwordx4 v[18:21], v[4:5], off
	v_or_b32_e32 v6, s18, v8
	v_mov_b32_e32 v27, s19
	v_ashrrev_i32_e32 v3, 4, v6
	v_cmp_gt_i32_e32 vcc, s5, v6
	v_or_b32_e32 v15, 64, v6
	v_ashrrev_i32_e32 v30, 4, v15
	v_cndmask_b32_e32 v4, v27, v3, vcc
	s_waitcnt vmcnt(3)
	v_mad_i64_i32 v[2:3], s[6:7], v2, s45, v[16:17]
	global_load_dwordx4 v[10:13], v[2:3], off
	v_and_b32_e32 v2, 3, v0
	v_ashrrev_i32_e32 v5, 31, v4
	v_lshlrev_b32_e32 v2, 5, v2
	v_lshl_add_u64 v[4:5], v[4:5], 2, s[12:13]
	v_lshl_or_b32 v2, v42, 9, v2
	v_cmp_gt_i32_e32 vcc, s5, v15
	s_waitcnt vmcnt(3)
	v_mad_i64_i32 v[14:15], s[8:9], v14, s45, v[16:17]
	global_load_dword v58, v[4:5], off
	v_or_b32_e32 v31, 0x80, v6
	v_or_b32_e32 v33, 0xc0, v6
	ds_read_b128 v[6:9], v2
	ds_read_b128 v[2:5], v2 offset:16
	global_load_dwordx4 v[14:17], v[14:15], off
	v_ashrrev_i32_e32 v32, 4, v31
	v_cndmask_b32_e32 v30, v27, v30, vcc
	v_cmp_gt_i32_e32 vcc, s5, v31
	v_ashrrev_i32_e32 v34, 4, v33
	v_ashrrev_i32_e32 v31, 31, v30
	v_cndmask_b32_e32 v32, v27, v32, vcc
	v_cmp_gt_i32_e32 vcc, s5, v33
	v_ashrrev_i32_e32 v33, 31, v32
	v_lshl_add_u64 v[30:31], v[30:31], 2, s[12:13]
	v_cndmask_b32_e32 v34, v27, v34, vcc
	v_ashrrev_i32_e32 v35, 31, v34
	v_lshl_add_u64 v[32:33], v[32:33], 2, s[12:13]
	s_add_u32 s6, s10, s4
	s_load_dword s4, s[40:41], 0x0
	v_lshl_add_u64 v[34:35], v[34:35], 2, s[12:13]
	global_load_dword v47, v[30:31], off
	global_load_dword v27, v[32:33], off
	;; [unrolled: 1-line block ×3, first 2 shown]
	s_load_dword s14, s[0:1], 0x1c
	s_mov_b32 s40, 0xff7fffff
	v_lshlrev_b32_e32 v28, 4, v44
	s_addc_u32 s7, s11, 0
	v_lshl_or_b32 v28, v43, 8, v28
	s_waitcnt lgkmcnt(0)
	v_mov_b32_e32 v59, s14
	v_lshl_add_u64 v[28:29], s[6:7], 0, v[28:29]
	s_waitcnt vmcnt(7)
	v_cvt_pk_f32_fp8_e32 v[30:31], v22
	v_cvt_pk_f32_fp8_sdwa v[32:33], v22 src0_sel:WORD_1
	v_cvt_pk_f32_fp8_e32 v[34:35], v23
	v_cvt_pk_f32_fp8_sdwa v[36:37], v23 src0_sel:WORD_1
	s_waitcnt vmcnt(6)
	v_cvt_pk_f32_fp8_e32 v[22:23], v18
	v_cvt_pk_f32_fp8_sdwa v[52:53], v18 src0_sel:WORD_1
	v_cvt_pkrtz_f16_f32 v30, v30, v31
	v_cvt_pkrtz_f16_f32 v31, v32, v33
	v_cvt_pk_f32_fp8_e32 v[56:57], v19
	v_cvt_pkrtz_f16_f32 v32, v22, v23
	v_cvt_pkrtz_f16_f32 v33, v52, v53
	v_cvt_pk_f32_fp8_sdwa v[18:19], v19 src0_sel:WORD_1
	v_cvt_pkrtz_f16_f32 v34, v34, v35
	v_cvt_pkrtz_f16_f32 v35, v36, v37
	v_cvt_pk_f32_fp8_e32 v[38:39], v24
	v_cvt_pk_f32_fp8_sdwa v[48:49], v24 src0_sel:WORD_1
	v_cvt_pk_f32_fp8_e32 v[50:51], v25
	v_cvt_pk_f32_fp8_sdwa v[54:55], v25 src0_sel:WORD_1
	v_mfma_f32_16x16x16_f16 v[22:25], v[30:31], v[6:7], 0
	v_cvt_pkrtz_f16_f32 v52, v56, v57
	v_cvt_pkrtz_f16_f32 v53, v18, v19
	v_cvt_pk_f32_fp8_e32 v[36:37], v20
	v_mfma_f32_16x16x16_f16 v[30:33], v[32:33], v[6:7], 0
	v_cvt_pk_f32_fp8_sdwa v[18:19], v20 src0_sel:WORD_1
	v_mfma_f32_16x16x16_f16 v[22:25], v[34:35], v[8:9], v[22:25]
	v_cvt_pkrtz_f16_f32 v34, v38, v39
	v_cvt_pkrtz_f16_f32 v35, v48, v49
	v_cvt_pk_f32_fp8_e32 v[38:39], v21
	v_mfma_f32_16x16x16_f16 v[30:33], v[52:53], v[8:9], v[30:33]
	v_cvt_pkrtz_f16_f32 v48, v50, v51
	v_cvt_pkrtz_f16_f32 v49, v54, v55
	v_cvt_pk_f32_fp8_sdwa v[50:51], v21 src0_sel:WORD_1
	v_cvt_pkrtz_f16_f32 v52, v36, v37
	v_cvt_pkrtz_f16_f32 v53, v18, v19
	v_mfma_f32_16x16x16_f16 v[22:25], v[34:35], v[2:3], v[22:25]
	v_cvt_pkrtz_f16_f32 v18, v38, v39
	v_cvt_pkrtz_f16_f32 v19, v50, v51
	s_waitcnt vmcnt(5)
	v_cvt_pk_f32_fp8_sdwa v[38:39], v13 src0_sel:WORD_1
	v_mfma_f32_16x16x16_f16 v[34:37], v[48:49], v[4:5], v[22:25]
	s_waitcnt vmcnt(4)
	v_mad_i64_i32 v[20:21], s[6:7], v58, s45, v[28:29]
	v_mfma_f32_16x16x16_f16 v[22:25], v[52:53], v[2:3], v[30:33]
	v_mul_f32_e32 v52, s4, v59
	s_nop 1
	v_cvt_pk_f32_fp8_e32 v[30:31], v10
	v_cvt_pk_f32_fp8_sdwa v[32:33], v10 src0_sel:WORD_1
	v_mfma_f32_16x16x16_f16 v[48:51], v[18:19], v[4:5], v[22:25]
	v_cvt_pk_f32_fp8_e32 v[18:19], v11
	v_cvt_pk_f32_fp8_sdwa v[10:11], v11 src0_sel:WORD_1
	v_cvt_pkrtz_f16_f32 v18, v18, v19
	v_cvt_pkrtz_f16_f32 v22, v30, v31
	;; [unrolled: 1-line block ×3, first 2 shown]
	v_cvt_pk_f32_fp8_e32 v[30:31], v12
	v_cvt_pk_f32_fp8_sdwa v[32:33], v12 src0_sel:WORD_1
	v_cvt_pkrtz_f16_f32 v19, v10, v11
	v_mfma_f32_16x16x16_f16 v[22:25], v[22:23], v[6:7], 0
	v_cvt_pkrtz_f16_f32 v30, v30, v31
	v_cvt_pkrtz_f16_f32 v31, v32, v33
	v_cvt_pk_f32_fp8_e32 v[32:33], v13
	v_mfma_f32_16x16x16_f16 v[10:13], v[18:19], v[8:9], v[22:25]
	v_cvt_pkrtz_f16_f32 v19, v38, v39
	s_waitcnt vmcnt(3)
	v_cvt_pk_f32_fp8_sdwa v[38:39], v16 src0_sel:WORD_1
	v_cvt_pkrtz_f16_f32 v18, v32, v33
	v_mfma_f32_16x16x16_f16 v[10:13], v[30:31], v[2:3], v[10:13]
	v_cvt_pk_f32_fp8_e32 v[24:25], v14
	v_cvt_pk_f32_fp8_sdwa v[30:31], v14 src0_sel:WORD_1
	v_pk_mul_f32 v[22:23], v[52:53], v[36:37] op_sel_hi:[0,1]
	v_mfma_f32_16x16x16_f16 v[10:13], v[18:19], v[4:5], v[10:13]
	v_cvt_pk_f32_fp8_e32 v[18:19], v15
	v_cvt_pkrtz_f16_f32 v24, v24, v25
	v_cvt_pkrtz_f16_f32 v25, v30, v31
	v_cvt_pk_f32_fp8_sdwa v[14:15], v15 src0_sel:WORD_1
	v_cvt_pkrtz_f16_f32 v18, v18, v19
	v_cvt_pk_f32_fp8_e32 v[30:31], v16
	v_pk_mul_f32 v[32:33], v[52:53], v[34:35] op_sel_hi:[0,1]
	v_cvt_pkrtz_f16_f32 v19, v14, v15
	v_mfma_f32_16x16x16_f16 v[34:37], v[24:25], v[6:7], 0
	v_cvt_pkrtz_f16_f32 v14, v30, v31
	v_cvt_pkrtz_f16_f32 v15, v38, v39
	v_cvt_pk_f32_fp8_e32 v[24:25], v17
	v_cvt_pk_f32_fp8_sdwa v[16:17], v17 src0_sel:WORD_1
	v_mfma_f32_16x16x16_f16 v[6:9], v[18:19], v[8:9], v[34:37]
	v_pk_mul_f32 v[38:39], v[52:53], v[48:49] op_sel_hi:[0,1]
	v_cvt_pkrtz_f16_f32 v18, v24, v25
	v_cvt_pkrtz_f16_f32 v19, v16, v17
	v_mfma_f32_16x16x16_f16 v[6:9], v[14:15], v[2:3], v[6:9]
	v_pk_mul_f32 v[34:35], v[52:53], v[50:51] op_sel_hi:[0,1]
	v_pk_mul_f32 v[36:37], v[52:53], v[10:11] op_sel_hi:[0,1]
	v_pk_mul_f32 v[30:31], v[52:53], v[12:13] op_sel_hi:[0,1]
	v_mfma_f32_16x16x16_f16 v[2:5], v[18:19], v[4:5], v[6:9]
	s_nop 6
	v_pk_mul_f32 v[24:25], v[52:53], v[2:3] op_sel_hi:[0,1]
	v_and_b32_e32 v2, 0xc0, v0
	v_add_u32_e32 v2, s18, v2
	v_lshl_or_b32 v2, v42, 2, v2
	v_pk_mul_f32 v[18:19], v[52:53], v[4:5] op_sel_hi:[0,1]
	v_or_b32_e32 v5, 1, v2
	v_mov_b32_e32 v3, 0xff7fffff
	v_cmp_gt_i32_e64 s[28:29], s5, v2
	v_cmp_gt_i32_e64 s[30:31], s5, v5
	v_or_b32_e32 v6, 3, v2
	v_cndmask_b32_e64 v4, v3, v32, s[28:29]
	v_cndmask_b32_e64 v5, v3, v33, s[30:31]
	v_max3_f32 v4, v4, s40, v5
	v_or_b32_e32 v5, 2, v2
	v_cmp_gt_i32_e64 s[34:35], s5, v5
	v_cmp_gt_i32_e64 s[36:37], s5, v6
	s_nop 0
	v_cndmask_b32_e64 v5, v3, v22, s[34:35]
	v_cndmask_b32_e64 v6, v3, v23, s[36:37]
	v_max3_f32 v4, v4, v5, v6
	v_or_b32_e32 v5, 16, v2
	v_or_b32_e32 v6, 17, v2
	v_cmp_gt_i32_e64 s[22:23], s5, v5
	v_cmp_gt_i32_e64 s[24:25], s5, v6
	s_nop 0
	v_cndmask_b32_e64 v5, v3, v38, s[22:23]
	v_cndmask_b32_e64 v6, v3, v39, s[24:25]
	v_max3_f32 v4, v4, v5, v6
	v_or_b32_e32 v5, 18, v2
	;; [unrolled: 8-line block ×6, first 2 shown]
	v_or_b32_e32 v2, 51, v2
	v_cmp_gt_i32_e32 vcc, s5, v5
	v_cmp_gt_i32_e64 s[4:5], s5, v2
	s_nop 0
	v_cndmask_b32_e32 v5, v3, v18, vcc
	v_cndmask_b32_e64 v2, v3, v19, s[4:5]
	v_max3_f32 v4, v4, v5, v2
	v_mbcnt_lo_u32_b32 v2, -1, 0
	v_mbcnt_hi_u32_b32 v5, -1, v2
	v_and_b32_e32 v2, 64, v5
	v_add_u32_e32 v6, 64, v2
	v_xor_b32_e32 v2, 32, v5
	v_cmp_lt_i32_e64 s[38:39], v2, v6
	s_nop 1
	v_cndmask_b32_e64 v2, v5, v2, s[38:39]
	v_lshlrev_b32_e32 v48, 2, v2
	ds_bpermute_b32 v7, v48, v4
	s_waitcnt vmcnt(2)
	v_mad_i64_i32 v[2:3], s[38:39], v47, s45, v[28:29]
	global_load_dwordx4 v[14:17], v[20:21], off
	global_load_dwordx4 v[10:13], v[2:3], off
	v_xor_b32_e32 v3, 16, v5
	v_cmp_lt_i32_e64 s[38:39], v3, v6
	s_waitcnt lgkmcnt(0)
	v_max_f32_e32 v2, v7, v7
	v_max_f32_e32 v2, v4, v2
	v_cndmask_b32_e64 v3, v5, v3, s[38:39]
	v_lshlrev_b32_e32 v47, 2, v3
	ds_bpermute_b32 v3, v47, v2
	s_waitcnt vmcnt(3)
	v_mad_i64_i32 v[20:21], s[38:39], v27, s45, v[28:29]
	s_waitcnt vmcnt(2)
	v_mad_i64_i32 v[28:29], s[38:39], v46, s45, v[28:29]
	s_waitcnt lgkmcnt(0)
	v_max_f32_e32 v3, v3, v3
	v_max_f32_e32 v27, v2, v3
	v_sub_f32_e32 v2, v32, v27
	v_mul_f32_e32 v2, 0x3fb8aa3b, v2
	v_exp_f32_e32 v32, v2
	v_sub_f32_e32 v2, v33, v27
	v_mul_f32_e32 v2, 0x3fb8aa3b, v2
	v_exp_f32_e32 v33, v2
	global_load_dwordx4 v[6:9], v[20:21], off
	global_load_dwordx4 v[2:5], v[28:29], off
	v_sub_f32_e32 v22, v22, v27
	v_mul_f32_e32 v22, 0x3fb8aa3b, v22
	v_sub_f32_e32 v23, v23, v27
	v_exp_f32_e32 v22, v22
	v_mul_f32_e32 v23, 0x3fb8aa3b, v23
	v_exp_f32_e32 v23, v23
	v_cndmask_b32_e64 v20, 0, v32, s[28:29]
	v_add_f32_e32 v28, 0, v20
	v_cndmask_b32_e64 v21, 0, v33, s[30:31]
	v_add_f32_e32 v28, v28, v21
	;; [unrolled: 2-line block ×3, first 2 shown]
	v_cndmask_b32_e64 v33, 0, v23, s[36:37]
	v_sub_f32_e32 v23, v38, v27
	v_sub_f32_e32 v28, v39, v27
	v_mul_f32_e32 v23, 0x3fb8aa3b, v23
	v_mul_f32_e32 v28, 0x3fb8aa3b, v28
	v_exp_f32_e32 v23, v23
	v_exp_f32_e32 v28, v28
	v_add_f32_e32 v29, v22, v33
	v_sub_f32_e32 v30, v30, v27
	v_cndmask_b32_e64 v22, 0, v23, s[22:23]
	v_cndmask_b32_e64 v23, 0, v28, s[24:25]
	v_sub_f32_e32 v28, v34, v27
	v_mul_f32_e32 v28, 0x3fb8aa3b, v28
	v_exp_f32_e32 v28, v28
	v_sub_f32_e32 v34, v35, v27
	v_add_f32_e32 v29, v29, v22
	v_mul_f32_e32 v34, 0x3fb8aa3b, v34
	v_exp_f32_e32 v35, v34
	v_add_f32_e32 v29, v29, v23
	v_cndmask_b32_e64 v34, 0, v28, s[18:19]
	v_add_f32_e32 v28, v29, v34
	v_sub_f32_e32 v29, v36, v27
	v_mul_f32_e32 v29, 0x3fb8aa3b, v29
	v_sub_f32_e32 v36, v37, v27
	v_exp_f32_e32 v29, v29
	v_mul_f32_e32 v36, 0x3fb8aa3b, v36
	v_exp_f32_e32 v36, v36
	v_mul_f32_e32 v30, 0x3fb8aa3b, v30
	v_sub_f32_e32 v31, v31, v27
	v_exp_f32_e32 v30, v30
	v_mul_f32_e32 v31, 0x3fb8aa3b, v31
	v_sub_f32_e32 v24, v24, v27
	v_cndmask_b32_e64 v35, 0, v35, s[20:21]
	v_exp_f32_e32 v31, v31
	v_mul_f32_e32 v24, 0x3fb8aa3b, v24
	v_sub_f32_e32 v25, v25, v27
	v_add_f32_e32 v37, v28, v35
	v_cndmask_b32_e64 v28, 0, v29, s[14:15]
	v_exp_f32_e32 v24, v24
	v_mul_f32_e32 v25, 0x3fb8aa3b, v25
	v_sub_f32_e32 v18, v18, v27
	v_add_f32_e32 v37, v37, v28
	;; [unrolled: 5-line block ×3, first 2 shown]
	v_cndmask_b32_e64 v30, 0, v30, s[10:11]
	v_exp_f32_e32 v18, v18
	v_mul_f32_e32 v19, 0x3fb8aa3b, v19
	v_add_f32_e32 v36, v36, v30
	v_cndmask_b32_e64 v31, 0, v31, s[12:13]
	v_exp_f32_e32 v19, v19
	v_add_f32_e32 v36, v36, v31
	v_cndmask_b32_e64 v24, 0, v24, s[6:7]
	v_add_f32_e32 v36, v36, v24
	v_cndmask_b32_e64 v25, 0, v25, s[8:9]
	v_add_f32_e32 v36, v36, v25
	v_cndmask_b32_e32 v18, 0, v18, vcc
	v_add_f32_e32 v36, v36, v18
	v_cndmask_b32_e64 v19, 0, v19, s[4:5]
	v_add_f32_e32 v36, v36, v19
	ds_bpermute_b32 v37, v48, v36
	v_cmp_gt_u32_e32 vcc, 16, v45
	s_waitcnt lgkmcnt(0)
	s_barrier
	v_add_f32_e32 v37, v36, v37
	ds_bpermute_b32 v38, v47, v37
	v_lshlrev_b32_e32 v36, 2, v44
	s_and_saveexec_b64 s[4:5], vcc
	s_cbranch_execz .LBB807_13
; %bb.12:
	s_waitcnt lgkmcnt(0)
	v_add_f32_e32 v37, v37, v38
	v_lshl_or_b32 v38, v43, 6, v36
	ds_write2st64_b32 v38, v27, v37 offset1:1
.LBB807_13:
	s_or_b64 exec, exec, s[4:5]
	s_load_dword s6, s[0:1], 0x94
	s_waitcnt lgkmcnt(0)
	s_barrier
	ds_read2_b32 v[38:39], v36 offset1:16
	ds_read2_b32 v[46:47], v36 offset0:32 offset1:48
	ds_read2_b32 v[48:49], v36 offset0:64 offset1:80
	s_lshl_b32 s7, s33, 2
	s_waitcnt lgkmcnt(2)
	v_max3_f32 v27, v38, s40, v39
	s_waitcnt lgkmcnt(1)
	v_max3_f32 v27, v27, v46, v47
	v_sub_f32_e32 v37, v38, v27
	v_sub_f32_e32 v38, v39, v27
	v_mul_f32_e32 v38, 0x3fb8aa3b, v38
	v_mul_f32_e32 v37, 0x3fb8aa3b, v37
	v_exp_f32_e32 v45, v38
	v_sub_f32_e32 v38, v46, v27
	v_exp_f32_e32 v37, v37
	v_mul_f32_e32 v38, 0x3fb8aa3b, v38
	v_exp_f32_e32 v46, v38
	ds_read2_b32 v[38:39], v36 offset0:96 offset1:112
	v_sub_f32_e32 v36, v47, v27
	v_mul_f32_e32 v36, 0x3fb8aa3b, v36
	v_exp_f32_e32 v47, v36
	s_waitcnt lgkmcnt(1)
	v_fma_f32 v36, v37, v48, 0
	v_fmac_f32_e32 v36, v45, v49
	s_waitcnt lgkmcnt(0)
	v_fmac_f32_e32 v36, v46, v38
	v_fmac_f32_e32 v36, v47, v39
	v_add_f32_e32 v38, 0x358637bd, v36
	v_div_scale_f32 v39, s[4:5], v38, v38, 1.0
	v_rcp_f32_e32 v48, v39
	s_barrier
	v_fma_f32 v49, -v39, v48, 1.0
	v_fmac_f32_e32 v48, v49, v48
	v_div_scale_f32 v49, vcc, 1.0, v38, 1.0
	v_mul_f32_e32 v50, v49, v48
	v_fma_f32 v51, -v39, v50, v49
	v_fmac_f32_e32 v50, v51, v48
	v_fma_f32 v39, -v39, v50, v49
	v_div_fmas_f32 v39, v39, v48, v50
	v_cmp_eq_u32_e32 vcc, 1, v43
	v_div_fixup_f32 v38, v39, v38, 1.0
	s_nop 0
	v_cndmask_b32_e32 v37, v37, v45, vcc
	v_cmp_eq_u32_e32 vcc, 2, v43
	s_nop 1
	v_cndmask_b32_e32 v37, v37, v46, vcc
	v_cmp_eq_u32_e32 vcc, 3, v43
	s_nop 1
	v_cndmask_b32_e32 v37, v37, v47, vcc
	v_mul_f32_e32 v38, v37, v38
	v_pk_mul_f32 v[32:33], v[38:39], v[32:33] op_sel_hi:[0,1]
	v_pk_mul_f32 v[20:21], v[38:39], v[20:21] op_sel_hi:[0,1]
	v_cvt_f16_f32_e32 v20, v20
	v_cvt_f16_f32_e32 v21, v21
	;; [unrolled: 1-line block ×4, first 2 shown]
	v_pk_mul_f32 v[34:35], v[38:39], v[34:35] op_sel_hi:[0,1]
	v_pk_mul_f32 v[22:23], v[38:39], v[22:23] op_sel_hi:[0,1]
	v_cvt_f16_f32_e32 v22, v22
	v_cvt_f16_f32_e32 v23, v23
	;; [unrolled: 1-line block ×4, first 2 shown]
	v_pack_b32_f16 v32, v20, v21
	v_pack_b32_f16 v33, v37, v33
	v_lshlrev_b32_e32 v20, 3, v42
	v_lshlrev_b32_e32 v21, 5, v44
	;; [unrolled: 1-line block ×3, first 2 shown]
	v_or3_b32 v20, v37, v21, v20
	v_pack_b32_f16 v22, v22, v23
	v_pack_b32_f16 v23, v34, v35
	ds_write2st64_b64 v20, v[32:33], v[22:23] offset1:1
	v_pk_mul_f32 v[22:23], v[38:39], v[30:31] op_sel_hi:[0,1]
	v_pk_mul_f32 v[28:29], v[38:39], v[28:29] op_sel_hi:[0,1]
	v_cvt_f16_f32_e32 v30, v22
	v_cvt_f16_f32_e32 v31, v23
	v_pk_mul_f32 v[18:19], v[38:39], v[18:19] op_sel_hi:[0,1]
	v_pk_mul_f32 v[22:23], v[38:39], v[24:25] op_sel_hi:[0,1]
	v_cvt_f16_f32_e32 v28, v28
	v_cvt_f16_f32_e32 v29, v29
	;; [unrolled: 1-line block ×6, first 2 shown]
	v_pack_b32_f16 v18, v28, v29
	v_pack_b32_f16 v19, v30, v31
	;; [unrolled: 1-line block ×4, first 2 shown]
	v_cmp_gt_u32_e32 vcc, 4, v0
	ds_write2st64_b64 v20, v[18:19], v[22:23] offset0:2 offset1:3
	s_and_saveexec_b64 s[4:5], vcc
	s_cbranch_execz .LBB807_15
; %bb.14:
	v_or_b32_e32 v18, s27, v0
	v_mov_b32_e32 v19, 0
	v_mov_b32_e32 v22, s7
	v_mad_u64_u32 v[22:23], s[12:13], s2, v22, v[18:19]
	v_mov_b32_e32 v18, s26
	s_load_dwordx4 s[8:11], s[0:1], 0x58
	s_mul_i32 s3, s3, s7
	v_mad_u64_u32 v[18:19], s[12:13], v22, s6, v[18:19]
	v_add_u32_e32 v23, s3, v23
	v_mov_b32_e32 v22, v19
	v_mad_u64_u32 v[22:23], s[12:13], v23, s6, v[22:23]
	v_mov_b32_e32 v19, v22
	v_lshlrev_b64 v[18:19], 2, v[18:19]
	s_waitcnt lgkmcnt(0)
	v_lshl_add_u64 v[22:23], s[10:11], 0, v[18:19]
	v_lshl_add_u64 v[18:19], s[8:9], 0, v[18:19]
	global_store_dword v[22:23], v27, off
	global_store_dword v[18:19], v36, off
.LBB807_15:
	s_or_b64 exec, exec, s[4:5]
	s_waitcnt vmcnt(3)
	v_cvt_pk_f32_fp8_e32 v[18:19], v14
	v_cvt_pk_f32_fp8_sdwa v[22:23], v14 src0_sel:WORD_1
	v_cvt_pk_f32_fp8_e32 v[24:25], v15
	v_lshl_or_b32 v14, v42, 9, v21
	s_waitcnt lgkmcnt(0)
	s_barrier
	v_cvt_pkrtz_f16_f32 v18, v18, v19
	v_cvt_pkrtz_f16_f32 v19, v22, v23
	v_cvt_pk_f32_fp8_sdwa v[28:29], v15 src0_sel:WORD_1
	v_cvt_pkrtz_f16_f32 v36, v24, v25
	ds_read_b128 v[22:25], v14
	v_cvt_pk_f32_fp8_e32 v[38:39], v16
	v_cvt_pkrtz_f16_f32 v37, v28, v29
	ds_read_b128 v[28:31], v14 offset:16
	v_cvt_pk_f32_fp8_sdwa v[42:43], v16 src0_sel:WORD_1
	s_waitcnt lgkmcnt(1)
	v_mfma_f32_16x16x16_f16 v[32:35], v[18:19], v[22:23], 0
	v_cvt_pkrtz_f16_f32 v18, v38, v39
	v_cvt_pk_f32_fp8_e32 v[38:39], v17
	v_cvt_pkrtz_f16_f32 v19, v42, v43
	v_mfma_f32_16x16x16_f16 v[22:25], v[36:37], v[24:25], v[32:35]
	s_waitcnt vmcnt(2)
	v_cvt_pk_f32_fp8_sdwa v[36:37], v12 src0_sel:WORD_1
	s_load_dword s4, s[42:43], 0x0
	s_mov_b32 s3, 0
	v_cvt_pk_f32_fp8_sdwa v[32:33], v17 src0_sel:WORD_1
	v_cvt_pkrtz_f16_f32 v34, v38, v39
	s_waitcnt lgkmcnt(0)
	v_mfma_f32_16x16x16_f16 v[16:19], v[18:19], v[28:29], v[22:25]
	v_cvt_pk_f32_fp8_e32 v[28:29], v11
	v_cvt_pkrtz_f16_f32 v35, v32, v33
	v_mov_b32_e32 v27, 0
	v_cvt_pk_f32_fp8_e32 v[22:23], v10
	v_cvt_pk_f32_fp8_sdwa v[24:25], v10 src0_sel:WORD_1
	v_mfma_f32_16x16x16_f16 v[16:19], v[34:35], v[30:31], v[16:19]
	v_cvt_pkrtz_f16_f32 v10, v22, v23
	v_cvt_pk_f32_fp8_sdwa v[30:31], v11 src0_sel:WORD_1
	v_cvt_pkrtz_f16_f32 v11, v24, v25
	ds_read_b128 v[22:25], v14 offset:2048
	v_cvt_pkrtz_f16_f32 v32, v28, v29
	v_cvt_pkrtz_f16_f32 v33, v30, v31
	ds_read_b128 v[28:31], v14 offset:2064
	v_cvt_pk_f32_fp8_e32 v[34:35], v12
	s_waitcnt lgkmcnt(1)
	v_mfma_f32_16x16x16_f16 v[16:19], v[10:11], v[22:23], v[16:19]
	v_cvt_pkrtz_f16_f32 v11, v36, v37
	v_cvt_pk_f32_fp8_e32 v[22:23], v13
	v_cvt_pkrtz_f16_f32 v10, v34, v35
	v_mfma_f32_16x16x16_f16 v[16:19], v[32:33], v[24:25], v[16:19]
	v_cvt_pk_f32_fp8_sdwa v[24:25], v13 src0_sel:WORD_1
	v_cvt_pkrtz_f16_f32 v22, v22, v23
	s_waitcnt vmcnt(1)
	v_cvt_pk_f32_fp8_sdwa v[32:33], v8 src0_sel:WORD_1
	s_waitcnt lgkmcnt(0)
	v_mfma_f32_16x16x16_f16 v[10:13], v[10:11], v[28:29], v[16:19]
	v_cvt_pkrtz_f16_f32 v23, v24, v25
	v_cvt_pk_f32_fp8_sdwa v[24:25], v7 src0_sel:WORD_1
	s_nop 0
	v_cvt_pk_f32_fp8_e32 v[16:17], v6
	v_cvt_pk_f32_fp8_sdwa v[18:19], v6 src0_sel:WORD_1
	v_mfma_f32_16x16x16_f16 v[10:13], v[22:23], v[30:31], v[10:13]
	v_cvt_pk_f32_fp8_e32 v[22:23], v7
	v_cvt_pkrtz_f16_f32 v6, v16, v17
	v_cvt_pkrtz_f16_f32 v7, v18, v19
	ds_read_b128 v[16:19], v14 offset:4096
	v_cvt_pkrtz_f16_f32 v28, v22, v23
	v_cvt_pkrtz_f16_f32 v29, v24, v25
	ds_read_b128 v[22:25], v14 offset:4112
	v_cvt_pk_f32_fp8_e32 v[30:31], v8
	s_waitcnt lgkmcnt(1)
	v_mfma_f32_16x16x16_f16 v[10:13], v[6:7], v[16:17], v[10:13]
	v_cvt_pkrtz_f16_f32 v7, v32, v33
	v_cvt_pk_f32_fp8_e32 v[16:17], v9
	v_cvt_pkrtz_f16_f32 v6, v30, v31
	v_mfma_f32_16x16x16_f16 v[10:13], v[28:29], v[18:19], v[10:13]
	v_cvt_pk_f32_fp8_sdwa v[18:19], v9 src0_sel:WORD_1
	v_cvt_pkrtz_f16_f32 v16, v16, v17
	v_cvt_pkrtz_f16_f32 v17, v18, v19
	s_waitcnt lgkmcnt(0)
	v_mfma_f32_16x16x16_f16 v[6:9], v[6:7], v[22:23], v[10:13]
	s_waitcnt vmcnt(0)
	v_cvt_pk_f32_fp8_sdwa v[18:19], v3 src0_sel:WORD_1
	s_nop 0
	v_cvt_pkrtz_f16_f32 v23, v18, v19
	v_cvt_pk_f32_fp8_e32 v[10:11], v2
	v_cvt_pk_f32_fp8_sdwa v[12:13], v2 src0_sel:WORD_1
	v_mfma_f32_16x16x16_f16 v[6:9], v[16:17], v[24:25], v[6:9]
	v_cvt_pk_f32_fp8_e32 v[16:17], v3
	v_cvt_pkrtz_f16_f32 v2, v10, v11
	v_cvt_pkrtz_f16_f32 v3, v12, v13
	ds_read_b128 v[10:13], v14 offset:6144
	v_cvt_pkrtz_f16_f32 v22, v16, v17
	v_cvt_pk_f32_fp8_e32 v[18:19], v4
	v_cvt_pk_f32_fp8_sdwa v[24:25], v4 src0_sel:WORD_1
	s_waitcnt lgkmcnt(0)
	v_mfma_f32_16x16x16_f16 v[6:9], v[2:3], v[10:11], v[6:9]
	ds_read_b128 v[14:17], v14 offset:6160
	v_cvt_pkrtz_f16_f32 v2, v18, v19
	v_cvt_pkrtz_f16_f32 v3, v24, v25
	v_cvt_pk_f32_fp8_e32 v[10:11], v5
	v_mfma_f32_16x16x16_f16 v[6:9], v[22:23], v[12:13], v[6:9]
	v_cvt_pk_f32_fp8_sdwa v[12:13], v5 src0_sel:WORD_1
	s_waitcnt lgkmcnt(0)
	v_cvt_pkrtz_f16_f32 v10, v10, v11
	v_mfma_f32_16x16x16_f16 v[2:5], v[2:3], v[14:15], v[6:9]
	v_cvt_pkrtz_f16_f32 v11, v12, v13
	s_barrier
	s_nop 0
	v_mfma_f32_16x16x16_f16 v[2:5], v[10:11], v[16:17], v[2:5]
	s_nop 6
	v_pk_mul_f32 v[4:5], v[4:5], s[4:5] op_sel_hi:[1,0]
	v_pk_mul_f32 v[2:3], v[2:3], s[4:5] op_sel_hi:[1,0]
	v_cvt_f16_f32_e32 v4, v4
	v_cvt_f16_f32_e32 v2, v2
	;; [unrolled: 1-line block ×4, first 2 shown]
	v_pack_b32_f16 v2, v2, v3
	v_pack_b32_f16 v3, v4, v5
	ds_write_b64 v20, v[2:3]
	s_waitcnt lgkmcnt(0)
	s_barrier
	s_and_saveexec_b64 s[4:5], s[48:49]
	s_cbranch_execz .LBB807_17
; %bb.16:
	s_load_dwordx2 s[0:1], s[0:1], 0x68
	s_lshl_b32 s6, s6, 6
	s_mul_i32 s2, s7, s2
	s_mul_hi_u32 s5, s2, s6
	s_mul_i32 s4, s2, s6
	v_lshlrev_b32_e32 v0, 10, v0
	s_lshl_b64 s[4:5], s[4:5], 1
	v_and_b32_e32 v0, 0x1800, v0
	v_and_b32_e32 v2, 16, v41
	s_waitcnt lgkmcnt(0)
	s_add_u32 s4, s0, s4
	v_or3_b32 v0, v0, v40, v2
	s_addc_u32 s5, s1, s5
	s_lshl_b32 s2, s26, 6
	ds_read_b128 v[2:5], v0
	s_lshl_b64 s[0:1], s[2:3], 1
	s_add_u32 s0, s4, s0
	s_addc_u32 s1, s5, s1
	v_mad_u64_u32 v[0:1], s[2:3], s6, v1, 0
	v_lshl_add_u64 v[0:1], v[0:1], 1, s[0:1]
	v_lshl_add_u64 v[0:1], v[0:1], 0, v[26:27]
	s_waitcnt lgkmcnt(0)
	global_store_dwordx4 v[0:1], v[2:5], off
.LBB807_17:
	s_endpgm
	.section	.rodata,"a",@progbits
	.p2align	6, 0x0
	.amdhsa_kernel _Z39paged_attention_ll4mi_QKV_mfma16_kernelIDF16_hLN4vllm18Fp8KVCacheDataTypeE1EhLi16ELi64ELi256ELb0ELi4EEvPKT_PKT0_S7_ifPKiS9_S9_iPKfiiiPfSC_PS2_PT2_iSB_SB_
		.amdhsa_group_segment_fixed_size 8192
		.amdhsa_private_segment_fixed_size 0
		.amdhsa_kernarg_size 400
		.amdhsa_user_sgpr_count 2
		.amdhsa_user_sgpr_dispatch_ptr 0
		.amdhsa_user_sgpr_queue_ptr 0
		.amdhsa_user_sgpr_kernarg_segment_ptr 1
		.amdhsa_user_sgpr_dispatch_id 0
		.amdhsa_user_sgpr_kernarg_preload_length 0
		.amdhsa_user_sgpr_kernarg_preload_offset 0
		.amdhsa_user_sgpr_private_segment_size 0
		.amdhsa_uses_dynamic_stack 0
		.amdhsa_enable_private_segment 0
		.amdhsa_system_sgpr_workgroup_id_x 1
		.amdhsa_system_sgpr_workgroup_id_y 1
		.amdhsa_system_sgpr_workgroup_id_z 1
		.amdhsa_system_sgpr_workgroup_info 0
		.amdhsa_system_vgpr_workitem_id 0
		.amdhsa_next_free_vgpr 60
		.amdhsa_next_free_sgpr 50
		.amdhsa_accum_offset 60
		.amdhsa_reserve_vcc 1
		.amdhsa_float_round_mode_32 0
		.amdhsa_float_round_mode_16_64 0
		.amdhsa_float_denorm_mode_32 3
		.amdhsa_float_denorm_mode_16_64 3
		.amdhsa_dx10_clamp 1
		.amdhsa_ieee_mode 1
		.amdhsa_fp16_overflow 0
		.amdhsa_tg_split 0
		.amdhsa_exception_fp_ieee_invalid_op 0
		.amdhsa_exception_fp_denorm_src 0
		.amdhsa_exception_fp_ieee_div_zero 0
		.amdhsa_exception_fp_ieee_overflow 0
		.amdhsa_exception_fp_ieee_underflow 0
		.amdhsa_exception_fp_ieee_inexact 0
		.amdhsa_exception_int_div_zero 0
	.end_amdhsa_kernel
	.section	.text._Z39paged_attention_ll4mi_QKV_mfma16_kernelIDF16_hLN4vllm18Fp8KVCacheDataTypeE1EhLi16ELi64ELi256ELb0ELi4EEvPKT_PKT0_S7_ifPKiS9_S9_iPKfiiiPfSC_PS2_PT2_iSB_SB_,"axG",@progbits,_Z39paged_attention_ll4mi_QKV_mfma16_kernelIDF16_hLN4vllm18Fp8KVCacheDataTypeE1EhLi16ELi64ELi256ELb0ELi4EEvPKT_PKT0_S7_ifPKiS9_S9_iPKfiiiPfSC_PS2_PT2_iSB_SB_,comdat
.Lfunc_end807:
	.size	_Z39paged_attention_ll4mi_QKV_mfma16_kernelIDF16_hLN4vllm18Fp8KVCacheDataTypeE1EhLi16ELi64ELi256ELb0ELi4EEvPKT_PKT0_S7_ifPKiS9_S9_iPKfiiiPfSC_PS2_PT2_iSB_SB_, .Lfunc_end807-_Z39paged_attention_ll4mi_QKV_mfma16_kernelIDF16_hLN4vllm18Fp8KVCacheDataTypeE1EhLi16ELi64ELi256ELb0ELi4EEvPKT_PKT0_S7_ifPKiS9_S9_iPKfiiiPfSC_PS2_PT2_iSB_SB_
                                        ; -- End function
	.section	.AMDGPU.csdata,"",@progbits
; Kernel info:
; codeLenInByte = 4480
; NumSgprs: 56
; NumVgprs: 60
; NumAgprs: 0
; TotalNumVgprs: 60
; ScratchSize: 0
; MemoryBound: 0
; FloatMode: 240
; IeeeMode: 1
; LDSByteSize: 8192 bytes/workgroup (compile time only)
; SGPRBlocks: 6
; VGPRBlocks: 7
; NumSGPRsForWavesPerEU: 56
; NumVGPRsForWavesPerEU: 60
; AccumOffset: 60
; Occupancy: 8
; WaveLimiterHint : 1
; COMPUTE_PGM_RSRC2:SCRATCH_EN: 0
; COMPUTE_PGM_RSRC2:USER_SGPR: 2
; COMPUTE_PGM_RSRC2:TRAP_HANDLER: 0
; COMPUTE_PGM_RSRC2:TGID_X_EN: 1
; COMPUTE_PGM_RSRC2:TGID_Y_EN: 1
; COMPUTE_PGM_RSRC2:TGID_Z_EN: 1
; COMPUTE_PGM_RSRC2:TIDIG_COMP_CNT: 0
; COMPUTE_PGM_RSRC3_GFX90A:ACCUM_OFFSET: 14
; COMPUTE_PGM_RSRC3_GFX90A:TG_SPLIT: 0
	.section	.text._Z38paged_attention_ll4mi_QKV_mfma4_kernelIDF16_hLN4vllm18Fp8KVCacheDataTypeE1EDF16_Li16ELi64ELi256ELb1ELi1EEvPKT_PKT0_S7_ifPKiS9_S9_iPKfiiiPfSC_PS2_PT2_iSB_SB_,"axG",@progbits,_Z38paged_attention_ll4mi_QKV_mfma4_kernelIDF16_hLN4vllm18Fp8KVCacheDataTypeE1EDF16_Li16ELi64ELi256ELb1ELi1EEvPKT_PKT0_S7_ifPKiS9_S9_iPKfiiiPfSC_PS2_PT2_iSB_SB_,comdat
	.protected	_Z38paged_attention_ll4mi_QKV_mfma4_kernelIDF16_hLN4vllm18Fp8KVCacheDataTypeE1EDF16_Li16ELi64ELi256ELb1ELi1EEvPKT_PKT0_S7_ifPKiS9_S9_iPKfiiiPfSC_PS2_PT2_iSB_SB_ ; -- Begin function _Z38paged_attention_ll4mi_QKV_mfma4_kernelIDF16_hLN4vllm18Fp8KVCacheDataTypeE1EDF16_Li16ELi64ELi256ELb1ELi1EEvPKT_PKT0_S7_ifPKiS9_S9_iPKfiiiPfSC_PS2_PT2_iSB_SB_
	.globl	_Z38paged_attention_ll4mi_QKV_mfma4_kernelIDF16_hLN4vllm18Fp8KVCacheDataTypeE1EDF16_Li16ELi64ELi256ELb1ELi1EEvPKT_PKT0_S7_ifPKiS9_S9_iPKfiiiPfSC_PS2_PT2_iSB_SB_
	.p2align	8
	.type	_Z38paged_attention_ll4mi_QKV_mfma4_kernelIDF16_hLN4vllm18Fp8KVCacheDataTypeE1EDF16_Li16ELi64ELi256ELb1ELi1EEvPKT_PKT0_S7_ifPKiS9_S9_iPKfiiiPfSC_PS2_PT2_iSB_SB_,@function
_Z38paged_attention_ll4mi_QKV_mfma4_kernelIDF16_hLN4vllm18Fp8KVCacheDataTypeE1EDF16_Li16ELi64ELi256ELb1ELi1EEvPKT_PKT0_S7_ifPKiS9_S9_iPKfiiiPfSC_PS2_PT2_iSB_SB_: ; @_Z38paged_attention_ll4mi_QKV_mfma4_kernelIDF16_hLN4vllm18Fp8KVCacheDataTypeE1EDF16_Li16ELi64ELi256ELb1ELi1EEvPKT_PKT0_S7_ifPKiS9_S9_iPKfiiiPfSC_PS2_PT2_iSB_SB_
; %bb.0:
	s_load_dwordx2 s[8:9], s[0:1], 0x30
	s_mov_b32 s20, s3
	s_mov_b64 s[6:7], 0
	s_waitcnt lgkmcnt(0)
	s_cmp_lg_u64 s[8:9], 0
	s_cselect_b64 s[10:11], -1, 0
	s_and_b64 vcc, exec, s[10:11]
	s_cbranch_vccz .LBB808_10
; %bb.1:
	s_add_i32 s12, s2, 1
	s_mov_b32 s13, 0
	s_lshl_b64 s[14:15], s[12:13], 2
	s_add_u32 s14, s8, s14
	s_mov_b32 s3, s13
	s_addc_u32 s15, s9, s15
	s_lshl_b64 s[12:13], s[2:3], 2
	s_add_u32 s12, s8, s12
	s_addc_u32 s13, s9, s13
	s_load_dword s5, s[14:15], 0x0
	s_load_dword s16, s[12:13], 0x0
	s_waitcnt lgkmcnt(0)
	s_sub_i32 s5, s5, s16
	s_cmp_eq_u32 s5, 1
	s_cselect_b64 s[12:13], -1, 0
	s_andn2_b64 vcc, exec, s[6:7]
	s_cbranch_vccnz .LBB808_3
.LBB808_2:
	s_mov_b32 s3, 0
	s_mov_b64 s[12:13], -1
.LBB808_3:
	s_andn2_b64 vcc, exec, s[12:13]
	s_cbranch_vccnz .LBB808_25
; %bb.4:
	s_load_dword s5, s[0:1], 0x9c
	s_load_dwordx2 s[6:7], s[0:1], 0x28
	s_add_u32 s24, s0, 0x90
	s_addc_u32 s25, s1, 0
	s_lshl_b64 s[28:29], s[2:3], 2
	s_waitcnt lgkmcnt(0)
	s_and_b32 s5, s5, 0xffff
	s_add_u32 s6, s6, s28
	s_addc_u32 s7, s7, s29
	s_load_dword s3, s[6:7], 0x0
	s_mul_i32 s5, s20, s5
	s_waitcnt lgkmcnt(0)
	s_cmp_ge_i32 s5, s3
	s_cbranch_scc1 .LBB808_25
; %bb.5:
	v_and_b32_e32 v2, 0xc0, v0
	v_add_u32_e32 v4, s5, v2
	v_lshrrev_b32_e32 v1, 6, v0
	v_cmp_gt_i32_e64 s[6:7], s3, v4
	v_cmp_le_i32_e32 vcc, s3, v4
                                        ; implicit-def: $sgpr30
                                        ; implicit-def: $sgpr21
	s_and_saveexec_b64 s[12:13], vcc
	s_xor_b64 s[12:13], exec, s[12:13]
	s_cbranch_execz .LBB808_7
; %bb.6:
	v_mul_u32_u24_e32 v2, 20, v1
	v_or_b32_e32 v2, 0xa00, v2
	v_mov_b32_e32 v3, 0xa50
	v_mov_b32_e32 v4, 0xff7fffff
	v_mad_u32_u24 v3, v1, 20, v3
	ds_write2_b32 v2, v4, v4 offset1:1
	v_mov_b32_e32 v2, 0
	ds_write2_b32 v3, v2, v2 offset1:1
	v_mov_b32_e32 v3, 0xa08
	s_mov_b32 s21, 0xff7fffff
	s_mov_b32 s30, 0
	v_mad_u32_u24 v3, v1, 20, v3
	v_mov_b32_e32 v5, 0xa58
	v_mad_u32_u24 v5, v1, 20, v5
	ds_write2_b32 v3, v4, v4 offset1:1
	ds_write2_b32 v5, v2, v2 offset1:1
                                        ; implicit-def: $vgpr4
.LBB808_7:
	s_or_saveexec_b64 s[26:27], s[12:13]
	s_load_dwordx2 s[22:23], s[0:1], 0x68
	s_load_dwordx4 s[16:19], s[0:1], 0x58
	s_load_dword s33, s[24:25], 0x4
	s_load_dwordx4 s[12:15], s[0:1], 0x80
	v_and_b32_e32 v32, 63, v0
	v_and_b32_e32 v33, 3, v0
	v_mov_b32_e32 v21, s30
	v_mov_b32_e32 v24, s21
	v_mov_b32_e32 v20, s30
	v_mov_b32_e32 v19, s30
	v_mov_b32_e32 v18, s30
                                        ; implicit-def: $vgpr6_vgpr7
                                        ; implicit-def: $vgpr2_vgpr3
                                        ; implicit-def: $vgpr14_vgpr15
                                        ; implicit-def: $vgpr10_vgpr11
	s_xor_b64 exec, exec, s[26:27]
	s_cbranch_execz .LBB808_19
; %bb.8:
	s_load_dwordx2 s[30:31], s[0:1], 0x20
	s_load_dword s21, s[0:1], 0x38
	s_add_i32 s34, s3, 15
	s_ashr_i32 s35, s34, 31
	s_lshr_b32 s35, s35, 28
	v_add_u32_e32 v34, s5, v0
	s_add_i32 s34, s34, s35
	v_ashrrev_i32_e32 v2, 31, v34
	s_ashr_i32 s34, s34, 4
	v_lshrrev_b32_e32 v2, 28, v2
	s_add_i32 s36, s34, -1
	s_waitcnt lgkmcnt(0)
	s_mul_i32 s34, s2, s21
	s_mov_b32 s35, 0
	v_add_u32_e32 v2, v34, v2
	s_lshl_b64 s[34:35], s[34:35], 2
	v_ashrrev_i32_e32 v2, 4, v2
	v_mov_b32_e32 v3, s36
	v_cmp_gt_i32_e32 vcc, s3, v34
	s_add_u32 s30, s30, s34
	s_addc_u32 s31, s31, s35
	v_cndmask_b32_e32 v2, v3, v2, vcc
	v_ashrrev_i32_e32 v3, 31, v2
	v_lshl_add_u64 v[6:7], v[2:3], 2, s[30:31]
	v_ashrrev_i32_e32 v2, 31, v4
	v_lshrrev_b32_e32 v2, 28, v2
	v_add_u32_e32 v2, v4, v2
	v_ashrrev_i32_e32 v4, 4, v2
	v_min_i32_e32 v2, s36, v4
	v_ashrrev_i32_e32 v3, 31, v2
	v_lshl_add_u64 v[8:9], v[2:3], 2, s[30:31]
	v_add_u32_e32 v2, 1, v4
	v_min_i32_e32 v2, s36, v2
	v_ashrrev_i32_e32 v3, 31, v2
	v_lshl_add_u64 v[10:11], v[2:3], 2, s[30:31]
	v_add_u32_e32 v2, 2, v4
	;; [unrolled: 4-line block ×3, first 2 shown]
	v_min_i32_e32 v2, s36, v2
	v_ashrrev_i32_e32 v3, 31, v2
	v_lshl_add_u64 v[14:15], v[2:3], 2, s[30:31]
	global_load_dword v4, v[6:7], off
	global_load_dword v3, v[8:9], off
	;; [unrolled: 1-line block ×5, first 2 shown]
	s_load_dwordx2 s[34:35], s[0:1], 0x8
	s_andn2_b64 vcc, exec, s[10:11]
	s_cbranch_vccnz .LBB808_11
; %bb.9:
	s_add_u32 s8, s8, s28
	s_addc_u32 s9, s9, s29
	s_load_dword s5, s[8:9], 0x0
	s_branch .LBB808_12
.LBB808_10:
	s_mov_b64 s[12:13], 0
	s_branch .LBB808_2
.LBB808_11:
	s_mov_b32 s5, s2
.LBB808_12:
	s_load_dwordx2 s[28:29], s[0:1], 0x10
	s_load_dwordx4 s[8:11], s[0:1], 0x48
	v_cmp_eq_u32_e32 vcc, 0, v33
	s_mov_b32 s31, 0
	v_mov_b32_e32 v31, 0
	v_mov_b32_e32 v10, 0
	;; [unrolled: 1-line block ×5, first 2 shown]
	s_and_saveexec_b64 s[36:37], vcc
	s_cbranch_execz .LBB808_14
; %bb.13:
	s_load_dwordx2 s[38:39], s[0:1], 0x0
	s_waitcnt lgkmcnt(0)
	s_ashr_i32 s11, s8, 31
	s_mul_hi_u32 s21, s5, s8
	s_mul_i32 s11, s5, s11
	s_add_i32 s41, s21, s11
	s_mul_i32 s40, s5, s8
	s_lshl_b64 s[40:41], s[40:41], 1
	s_add_u32 s5, s38, s40
	s_addc_u32 s8, s39, s41
	s_lshl_b32 s30, s4, 6
	s_lshl_b64 s[38:39], s[30:31], 1
	s_add_u32 s38, s5, s38
	s_addc_u32 s39, s8, s39
	v_lshlrev_b32_e32 v5, 2, v32
	global_load_dwordx4 v[10:13], v5, s[38:39]
.LBB808_14:
	s_or_b64 exec, exec, s[36:37]
	s_waitcnt lgkmcnt(0)
	s_mul_i32 s8, s4, s10
	s_add_u32 s10, s8, s34
	s_addc_u32 s11, 0, s35
	v_mov_b64_e32 v[6:7], s[10:11]
	s_waitcnt vmcnt(4)
	v_mad_i64_i32 v[4:5], s[10:11], v4, s9, v[6:7]
	v_lshlrev_b32_e32 v6, 4, v0
	v_and_b32_e32 v30, 0xf0, v6
	v_lshl_add_u64 v[4:5], v[4:5], 0, v[30:31]
	global_load_dwordx4 v[26:29], v[4:5], off
	global_load_dwordx4 v[22:25], v[4:5], off offset:256
	global_load_dwordx4 v[18:21], v[4:5], off offset:512
	;; [unrolled: 1-line block ×3, first 2 shown]
	v_mov_b32_e32 v30, 0
	s_and_saveexec_b64 s[10:11], vcc
	s_cbranch_execz .LBB808_16
; %bb.15:
	s_load_dwordx2 s[34:35], s[0:1], 0x40
	s_mov_b32 s5, s31
	s_lshl_b64 s[30:31], s[4:5], 2
	v_mov_b32_e32 v31, 1.0
	s_waitcnt lgkmcnt(0)
	s_add_u32 s30, s34, s30
	s_addc_u32 s31, s35, s31
	s_load_dword s5, s[30:31], 0x0
	s_waitcnt lgkmcnt(0)
	v_mov_b32_e32 v30, s5
.LBB808_16:
	s_or_b64 exec, exec, s[10:11]
	s_add_u32 s10, s28, s8
	s_waitcnt vmcnt(7)
	v_mul_hi_i32 v4, v3, s9
	s_addc_u32 s11, s29, 0
	v_lshlrev_b32_e32 v38, 4, v32
	v_mov_b32_e32 v39, 0
	v_ashrrev_i32_e32 v4, 31, v4
	v_lshl_add_u64 v[40:41], s[10:11], 0, v[38:39]
	v_lshrrev_b32_e32 v38, 29, v4
	v_mad_i64_i32 v[4:5], s[10:11], v3, s9, v[38:39]
	s_waitcnt vmcnt(6)
	v_mul_hi_i32 v3, v2, s9
	v_ashrrev_i32_e32 v3, 31, v3
	s_waitcnt vmcnt(5)
	v_mul_hi_i32 v37, v36, s9
	v_lshrrev_b32_e32 v38, 29, v3
	v_ashrrev_i32_e32 v37, 31, v37
	v_mad_i64_i32 v[2:3], s[10:11], v2, s9, v[38:39]
	v_lshrrev_b32_e32 v38, 29, v37
	v_mad_i64_i32 v[36:37], s[10:11], v36, s9, v[38:39]
	s_waitcnt vmcnt(4)
	v_mul_hi_i32 v38, v35, s9
	v_ashrrev_i32_e32 v38, 31, v38
	v_lshrrev_b32_e32 v38, 29, v38
	v_and_b32_e32 v4, -8, v4
	v_mad_i64_i32 v[38:39], s[8:9], v35, s9, v[38:39]
	v_lshl_add_u64 v[42:43], v[40:41], 0, v[4:5]
	v_and_b32_e32 v2, -8, v2
	v_and_b32_e32 v36, -8, v36
	;; [unrolled: 1-line block ×3, first 2 shown]
	v_lshl_add_u64 v[44:45], v[40:41], 0, v[2:3]
	global_load_dwordx4 v[6:9], v[42:43], off
	global_load_dwordx4 v[2:5], v[44:45], off
	v_lshl_add_u64 v[36:37], v[40:41], 0, v[36:37]
	v_lshl_add_u64 v[38:39], v[40:41], 0, v[38:39]
	s_waitcnt vmcnt(5)
	v_cvt_pk_f32_fp8_e32 v[40:41], v26
	v_cvt_pk_f32_fp8_sdwa v[42:43], v26 src0_sel:WORD_1
	v_cvt_pk_f32_fp8_e32 v[44:45], v27
	v_cvt_pk_f32_fp8_sdwa v[26:27], v27 src0_sel:WORD_1
	v_cvt_pkrtz_f16_f32 v40, v40, v41
	v_cvt_pkrtz_f16_f32 v41, v42, v43
	;; [unrolled: 1-line block ×4, first 2 shown]
	v_mfma_f32_4x4x4_16b_f16 a[0:3], v[10:11], v[40:41], 0 cbsz:4
	v_cvt_pk_f32_fp8_e32 v[26:27], v28
	v_cvt_pk_f32_fp8_sdwa v[40:41], v28 src0_sel:WORD_1
	v_mfma_f32_4x4x4_16b_f16 a[0:3], v[12:13], v[42:43], a[0:3] cbsz:4
	v_cvt_pk_f32_fp8_e32 v[42:43], v29
	v_cvt_pk_f32_fp8_sdwa v[28:29], v29 src0_sel:WORD_1
	v_cvt_pkrtz_f16_f32 v26, v26, v27
	v_cvt_pkrtz_f16_f32 v27, v40, v41
	v_cvt_pkrtz_f16_f32 v40, v42, v43
	v_cvt_pkrtz_f16_f32 v41, v28, v29
	v_mfma_f32_4x4x4_16b_f16 a[0:3], v[10:11], v[26:27], a[0:3] cbsz:4 abid:1
	s_waitcnt vmcnt(4)
	v_cvt_pk_f32_fp8_e32 v[26:27], v22
	v_cvt_pk_f32_fp8_sdwa v[28:29], v22 src0_sel:WORD_1
	v_mfma_f32_4x4x4_16b_f16 a[0:3], v[12:13], v[40:41], a[0:3] cbsz:4 abid:1
	v_cvt_pk_f32_fp8_e32 v[40:41], v23
	v_cvt_pk_f32_fp8_sdwa v[22:23], v23 src0_sel:WORD_1
	v_cvt_pkrtz_f16_f32 v26, v26, v27
	v_cvt_pkrtz_f16_f32 v27, v28, v29
	v_cvt_pkrtz_f16_f32 v28, v40, v41
	v_cvt_pkrtz_f16_f32 v29, v22, v23
	v_mfma_f32_4x4x4_16b_f16 a[0:3], v[10:11], v[26:27], a[0:3] cbsz:4 abid:2
	v_cvt_pk_f32_fp8_e32 v[22:23], v24
	v_cvt_pk_f32_fp8_sdwa v[26:27], v24 src0_sel:WORD_1
	v_mfma_f32_4x4x4_16b_f16 a[0:3], v[12:13], v[28:29], a[0:3] cbsz:4 abid:2
	v_cvt_pk_f32_fp8_e32 v[28:29], v25
	v_cvt_pk_f32_fp8_sdwa v[24:25], v25 src0_sel:WORD_1
	v_cvt_pkrtz_f16_f32 v22, v22, v23
	v_cvt_pkrtz_f16_f32 v23, v26, v27
	v_cvt_pkrtz_f16_f32 v26, v28, v29
	v_cvt_pkrtz_f16_f32 v27, v24, v25
	v_mfma_f32_4x4x4_16b_f16 a[0:3], v[10:11], v[22:23], a[0:3] cbsz:4 abid:3
	s_waitcnt vmcnt(3)
	v_cvt_pk_f32_fp8_e32 v[22:23], v18
	v_cvt_pk_f32_fp8_sdwa v[24:25], v18 src0_sel:WORD_1
	v_mfma_f32_4x4x4_16b_f16 a[0:3], v[12:13], v[26:27], a[0:3] cbsz:4 abid:3
	v_cvt_pk_f32_fp8_e32 v[26:27], v19
	v_cvt_pk_f32_fp8_sdwa v[18:19], v19 src0_sel:WORD_1
	v_cvt_pkrtz_f16_f32 v22, v22, v23
	v_cvt_pkrtz_f16_f32 v23, v24, v25
	v_cvt_pkrtz_f16_f32 v24, v26, v27
	v_cvt_pkrtz_f16_f32 v25, v18, v19
	v_mfma_f32_4x4x4_16b_f16 a[0:3], v[10:11], v[22:23], a[0:3] cbsz:4 abid:4
	v_cvt_pk_f32_fp8_e32 v[18:19], v20
	v_cvt_pk_f32_fp8_sdwa v[22:23], v20 src0_sel:WORD_1
	v_mfma_f32_4x4x4_16b_f16 a[0:3], v[12:13], v[24:25], a[0:3] cbsz:4 abid:4
	;; [unrolled: 21-line block ×3, first 2 shown]
	v_cvt_pk_f32_fp8_e32 v[20:21], v17
	v_cvt_pk_f32_fp8_sdwa v[16:17], v17 src0_sel:WORD_1
	s_load_dword s0, s[0:1], 0x1c
	v_cvt_pkrtz_f16_f32 v14, v14, v15
	v_cvt_pkrtz_f16_f32 v15, v18, v19
	s_load_dword s1, s[12:13], 0x0
	v_cvt_pkrtz_f16_f32 v18, v20, v21
	v_mfma_f32_4x4x4_16b_f16 a[0:3], v[10:11], v[14:15], a[0:3] cbsz:4 abid:7
	v_cvt_pkrtz_f16_f32 v19, v16, v17
	s_waitcnt lgkmcnt(0)
	v_mov_b32_e32 v10, s0
	v_cmp_eq_u32_e32 vcc, 1, v33
	v_mfma_f32_4x4x4_16b_f16 a[0:3], v[12:13], v[18:19], a[0:3] cbsz:4 abid:7
	v_mul_f32_e32 v18, s1, v10
	v_mov_b32_e32 v25, 0xff7fffff
	s_nop 2
	v_accvgpr_read_b32 v11, a1
	v_accvgpr_read_b32 v10, a0
	v_pk_mul_f32 v[20:21], v[10:11], v[18:19] op_sel_hi:[1,0]
	global_load_dwordx4 v[14:17], v[36:37], off
	global_load_dwordx4 v[10:13], v[38:39], off
	v_accvgpr_read_b32 v23, a3
	v_accvgpr_read_b32 v22, a2
	v_pk_mul_f32 v[18:19], v[22:23], v[18:19] op_sel_hi:[1,0]
	v_mfma_f32_4x4x1_16b_f32 a[0:3], v20, v31, 0
	v_cndmask_b32_e64 v20, 0, 1.0, vcc
	v_cmp_eq_u32_e32 vcc, 2, v33
	s_nop 0
	v_mfma_f32_4x4x1_16b_f32 a[0:3], v21, v20, a[0:3]
	v_cndmask_b32_e64 v20, 0, 1.0, vcc
	v_cmp_eq_u32_e32 vcc, 3, v33
	s_nop 0
	v_mfma_f32_4x4x1_16b_f32 a[0:3], v18, v20, a[0:3]
	v_cndmask_b32_e64 v18, 0, 1.0, vcc
	s_nop 1
	v_mfma_f32_4x4x1_16b_f32 a[0:3], v19, v18, a[0:3]
	v_and_b32_e32 v18, -4, v34
	v_subrev_u32_e32 v19, s3, v18
	v_add_u32_e32 v20, 1, v19
	v_cvt_f32_i32_e32 v20, v20
	v_add_u32_e32 v21, 2, v19
	v_cvt_f32_i32_e32 v21, v21
	v_accvgpr_read_b32 v22, a0
	v_fma_f32 v20, v30, v20, v22
	v_accvgpr_read_b32 v22, a1
	v_fma_f32 v21, v30, v21, v22
	v_add_u32_e32 v22, 3, v19
	v_cvt_f32_i32_e32 v22, v22
	v_add_u32_e32 v19, 4, v19
	v_max_f32_e32 v24, 0xff7fffff, v20
	v_cmp_gt_i32_e32 vcc, s3, v18
	v_cvt_f32_i32_e32 v19, v19
	v_accvgpr_read_b32 v23, a2
	v_cndmask_b32_e32 v24, v25, v24, vcc
	v_or_b32_e32 v25, 1, v18
	v_max_f32_e32 v26, v24, v21
	v_cmp_gt_i32_e64 s[0:1], s3, v25
	v_fma_f32 v22, v30, v22, v23
	v_or_b32_e32 v18, 2, v18
	v_cndmask_b32_e64 v24, v24, v26, s[0:1]
	v_accvgpr_read_b32 v23, a3
	v_max_f32_e32 v25, v24, v22
	v_cmp_gt_i32_e64 s[8:9], s3, v18
	v_fmac_f32_e32 v23, v30, v19
	v_lshlrev_b32_e32 v19, 2, v0
	v_cndmask_b32_e64 v18, v24, v25, s[8:9]
	v_or_b32_e32 v24, 3, v34
	v_max_f32_e32 v25, v18, v23
	v_cmp_gt_i32_e64 s[10:11], s3, v24
	v_and_or_b32 v19, v19, 48, v33
	s_nop 0
	v_cndmask_b32_e64 v18, v18, v25, s[10:11]
	;;#ASMSTART
	v_nop
 v_nop
 v_max_f32_dpp v18, v18, v18 row_ror:4
	;;#ASMEND
	v_lshlrev_b32_e32 v25, 2, v19
	;;#ASMSTART
	v_nop
 v_nop
 v_max_f32_dpp v18, v18, v18 row_ror:8
	;;#ASMEND
	ds_bpermute_b32 v18, v25, v18
	s_waitcnt lgkmcnt(0)
	;;#ASMSTART
	v_nop
 v_nop
 v_max_f32_dpp v18, v18, v18 row_ror:4
	;;#ASMEND
	s_nop 0
	;;#ASMSTART
	v_nop
 v_nop
 v_max_f32_dpp v24, v18, v18 row_ror:8
	;;#ASMEND
	s_nop 0
	v_sub_f32_e32 v18, v20, v24
	v_mul_f32_e32 v18, 0x3fb8aa3b, v18
	v_sub_f32_e32 v19, v21, v24
	v_exp_f32_e32 v18, v18
	v_mul_f32_e32 v19, 0x3fb8aa3b, v19
	v_sub_f32_e32 v21, v22, v24
	v_exp_f32_e32 v19, v19
	v_mul_f32_e32 v21, 0x3fb8aa3b, v21
	v_sub_f32_e32 v22, v23, v24
	v_exp_f32_e32 v21, v21
	v_mul_f32_e32 v22, 0x3fb8aa3b, v22
	v_exp_f32_e32 v22, v22
	v_cndmask_b32_e32 v18, 0, v18, vcc
	v_add_f32_e32 v20, 0, v18
	v_cndmask_b32_e64 v19, 0, v19, s[0:1]
	v_add_f32_e32 v23, v20, v19
	v_cndmask_b32_e64 v20, 0, v21, s[8:9]
	v_add_f32_e32 v23, v23, v20
	v_cndmask_b32_e64 v21, 0, v22, s[10:11]
	v_add_f32_e32 v22, v23, v21
	;;#ASMSTART
	v_nop
 v_nop
 v_add_f32_dpp v22, v22, v22 row_ror:4
	;;#ASMEND
	v_cmp_gt_u32_e32 vcc, 4, v32
	;;#ASMSTART
	v_nop
 v_nop
 v_add_f32_dpp v22, v22, v22 row_ror:8
	;;#ASMEND
	ds_bpermute_b32 v22, v25, v22
	s_waitcnt lgkmcnt(0)
	;;#ASMSTART
	v_nop
 v_nop
 v_add_f32_dpp v22, v22, v22 row_ror:4
	;;#ASMEND
	s_nop 0
	;;#ASMSTART
	v_nop
 v_nop
 v_add_f32_dpp v22, v22, v22 row_ror:8
	;;#ASMEND
	s_and_saveexec_b64 s[0:1], vcc
	s_cbranch_execz .LBB808_18
; %bb.17:
	v_mul_u32_u24_e32 v23, 20, v1
	v_lshl_add_u32 v23, v33, 2, v23
	v_add_u32_e32 v23, 0x800, v23
	ds_write2_b32 v23, v24, v22 offset0:128 offset1:148
.LBB808_18:
	s_or_b64 exec, exec, s[0:1]
.LBB808_19:
	s_or_b64 exec, exec, s[26:27]
	s_waitcnt lgkmcnt(0)
	s_barrier
	s_load_dword s0, s[24:25], 0x8
	v_lshlrev_b32_e32 v22, 2, v33
	v_add_u32_e32 v30, 0x800, v22
	ds_read2_b32 v[22:23], v30 offset0:128 offset1:133
	ds_read2_b32 v[26:27], v30 offset0:138 offset1:143
	s_mul_i32 s1, s33, s2
	s_waitcnt lgkmcnt(0)
	s_mul_i32 s0, s1, s0
	s_mov_b32 s1, 0xff7fffff
	v_max3_f32 v25, v22, s1, v23
	v_max3_f32 v25, v25, v26, v27
	v_sub_f32_e32 v22, v22, v25
	ds_read2_b32 v[28:29], v30 offset0:148 offset1:153
	v_mul_f32_e32 v22, 0x3fb8aa3b, v22
	v_sub_f32_e32 v23, v23, v25
	v_sub_f32_e32 v26, v26, v25
	v_exp_f32_e32 v34, v22
	v_mul_f32_e32 v23, 0x3fb8aa3b, v23
	v_mul_f32_e32 v26, 0x3fb8aa3b, v26
	v_exp_f32_e32 v23, v23
	ds_read2_b32 v[30:31], v30 offset0:158 offset1:163
	v_exp_f32_e32 v35, v26
	v_sub_f32_e32 v26, v27, v25
	v_mul_f32_e32 v26, 0x3fb8aa3b, v26
	v_exp_f32_e32 v27, v26
	s_waitcnt lgkmcnt(1)
	v_fma_f32 v26, v34, v28, 0
	v_fmac_f32_e32 v26, v23, v29
	s_waitcnt lgkmcnt(0)
	v_fmac_f32_e32 v26, v35, v30
	v_mov_b32_e32 v22, 0
	v_fmac_f32_e32 v26, v27, v31
	s_mov_b32 s1, 0
	v_cmp_eq_u32_e32 vcc, 0, v33
	s_and_saveexec_b64 s[2:3], vcc
	s_cbranch_execz .LBB808_21
; %bb.20:
	s_lshl_b64 s[8:9], s[0:1], 2
	s_add_u32 s5, s16, s8
	s_mov_b32 s21, s1
	s_addc_u32 s12, s17, s9
	s_lshl_b64 s[10:11], s[20:21], 2
	s_add_u32 s5, s5, s10
	s_addc_u32 s12, s12, s11
	s_add_u32 s8, s18, s8
	s_addc_u32 s9, s19, s9
	;; [unrolled: 2-line block ×3, first 2 shown]
	s_mul_i32 s8, s33, s4
	s_mov_b32 s9, s1
	s_lshl_b64 s[8:9], s[8:9], 2
	s_add_u32 s10, s5, s8
	s_addc_u32 s11, s12, s9
	s_add_u32 s8, s13, s8
	s_addc_u32 s9, s16, s9
	global_store_dword v22, v25, s[8:9]
	global_store_dword v22, v26, s[10:11]
.LBB808_21:
	s_or_b64 exec, exec, s[2:3]
	v_mov_b32_e32 v23, 0
	s_and_saveexec_b64 s[2:3], s[6:7]
	s_cbranch_execz .LBB808_23
; %bb.22:
	v_add_f32_e32 v22, 0x358637bd, v26
	v_div_scale_f32 v23, s[6:7], v22, v22, 1.0
	v_rcp_f32_e32 v26, v23
	v_div_scale_f32 v27, vcc, 1.0, v22, 1.0
	v_sub_f32_e32 v24, v24, v25
	v_fma_f32 v28, -v23, v26, 1.0
	v_fmac_f32_e32 v26, v28, v26
	v_mul_f32_e32 v28, v27, v26
	v_fma_f32 v29, -v23, v28, v27
	v_mul_f32_e32 v24, 0x3fb8aa3b, v24
	v_fmac_f32_e32 v28, v29, v26
	v_exp_f32_e32 v24, v24
	v_fma_f32 v23, -v23, v28, v27
	v_div_fmas_f32 v23, v23, v26, v28
	v_div_fixup_f32 v22, v23, v22, 1.0
	v_mul_f32_e32 v22, v24, v22
	v_pk_mul_f32 v[20:21], v[20:21], v[22:23] op_sel_hi:[1,0]
	v_pk_mul_f32 v[18:19], v[18:19], v[22:23] op_sel_hi:[1,0]
	v_cvt_f16_f32_e32 v22, v20
	v_cvt_f16_f32_e32 v18, v18
	;; [unrolled: 1-line block ×4, first 2 shown]
	s_waitcnt vmcnt(3)
	v_cvt_pk_f32_fp8_e32 v[20:21], v6
	v_cvt_pk_f32_fp8_e32 v[24:25], v7
	v_pack_b32_f16 v18, v18, v19
	v_pack_b32_f16 v19, v22, v23
	v_cvt_pk_f32_fp8_sdwa v[22:23], v6 src0_sel:WORD_1
	v_cvt_pkrtz_f16_f32 v6, v20, v21
	v_cvt_pk_f32_fp8_sdwa v[20:21], v7 src0_sel:WORD_1
	s_load_dword s6, s[14:15], 0x0
	v_cvt_pkrtz_f16_f32 v7, v22, v23
	v_cvt_pkrtz_f16_f32 v22, v24, v25
	;; [unrolled: 1-line block ×3, first 2 shown]
	v_mfma_f32_4x4x4_16b_f16 a[0:3], v[18:19], v[6:7], 0 cbsz:4
	v_cvt_pk_f32_fp8_e32 v[6:7], v8
	v_cvt_pk_f32_fp8_sdwa v[20:21], v8 src0_sel:WORD_1
	v_mfma_f32_4x4x4_16b_f16 a[0:3], v[18:19], v[22:23], a[0:3] cbsz:4 abid:1
	v_cvt_pk_f32_fp8_e32 v[22:23], v9
	v_cvt_pk_f32_fp8_sdwa v[8:9], v9 src0_sel:WORD_1
	v_cvt_pkrtz_f16_f32 v6, v6, v7
	v_cvt_pkrtz_f16_f32 v7, v20, v21
	;; [unrolled: 1-line block ×4, first 2 shown]
	v_mfma_f32_4x4x4_16b_f16 a[0:3], v[18:19], v[6:7], a[0:3] cbsz:4 abid:2
	s_waitcnt vmcnt(2)
	v_cvt_pk_f32_fp8_e32 v[6:7], v2
	v_cvt_pk_f32_fp8_sdwa v[8:9], v2 src0_sel:WORD_1
	v_mfma_f32_4x4x4_16b_f16 a[0:3], v[18:19], v[20:21], a[0:3] cbsz:4 abid:3
	v_cvt_pk_f32_fp8_e32 v[20:21], v3
	v_cvt_pkrtz_f16_f32 v2, v6, v7
	v_cvt_pk_f32_fp8_sdwa v[6:7], v3 src0_sel:WORD_1
	v_cvt_pkrtz_f16_f32 v3, v8, v9
	v_cvt_pkrtz_f16_f32 v8, v20, v21
	s_mov_b32 s1, 0x5040100
	v_mfma_f32_4x4x4_16b_f16 a[0:3], v[18:19], v[2:3], a[0:3] cbsz:4 abid:4
	v_cvt_pkrtz_f16_f32 v9, v6, v7
	v_cvt_pk_f32_fp8_e32 v[2:3], v4
	v_cvt_pk_f32_fp8_sdwa v[6:7], v4 src0_sel:WORD_1
	v_mfma_f32_4x4x4_16b_f16 a[0:3], v[18:19], v[8:9], a[0:3] cbsz:4 abid:5
	v_cvt_pk_f32_fp8_e32 v[8:9], v5
	v_cvt_pk_f32_fp8_sdwa v[4:5], v5 src0_sel:WORD_1
	v_cvt_pkrtz_f16_f32 v2, v2, v3
	v_cvt_pkrtz_f16_f32 v3, v6, v7
	;; [unrolled: 1-line block ×4, first 2 shown]
	v_mfma_f32_4x4x4_16b_f16 a[0:3], v[18:19], v[2:3], a[0:3] cbsz:4 abid:6
	s_waitcnt vmcnt(1)
	v_cvt_pk_f32_fp8_e32 v[2:3], v14
	v_cvt_pk_f32_fp8_sdwa v[4:5], v14 src0_sel:WORD_1
	v_mfma_f32_4x4x4_16b_f16 a[0:3], v[18:19], v[6:7], a[0:3] cbsz:4 abid:7
	v_cvt_pk_f32_fp8_e32 v[6:7], v15
	v_cvt_pk_f32_fp8_sdwa v[8:9], v15 src0_sel:WORD_1
	v_cvt_pkrtz_f16_f32 v2, v2, v3
	v_cvt_pkrtz_f16_f32 v3, v4, v5
	;; [unrolled: 1-line block ×4, first 2 shown]
	v_mfma_f32_4x4x4_16b_f16 a[0:3], v[18:19], v[2:3], a[0:3] cbsz:4 abid:8
	v_cvt_pk_f32_fp8_e32 v[2:3], v16
	v_cvt_pk_f32_fp8_e32 v[6:7], v17
	v_mfma_f32_4x4x4_16b_f16 a[0:3], v[18:19], v[4:5], a[0:3] cbsz:4 abid:9
	v_cvt_pk_f32_fp8_sdwa v[4:5], v16 src0_sel:WORD_1
	v_cvt_pk_f32_fp8_sdwa v[8:9], v17 src0_sel:WORD_1
	v_cvt_pkrtz_f16_f32 v2, v2, v3
	v_cvt_pkrtz_f16_f32 v3, v4, v5
	;; [unrolled: 1-line block ×3, first 2 shown]
	s_nop 0
	v_mfma_f32_4x4x4_16b_f16 a[0:3], v[18:19], v[2:3], a[0:3] cbsz:4 abid:10
	v_cvt_pkrtz_f16_f32 v5, v8, v9
	s_waitcnt vmcnt(0)
	v_cvt_pk_f32_fp8_e32 v[2:3], v10
	v_cvt_pk_f32_fp8_e32 v[6:7], v11
	v_mfma_f32_4x4x4_16b_f16 a[0:3], v[18:19], v[4:5], a[0:3] cbsz:4 abid:11
	v_cvt_pk_f32_fp8_sdwa v[4:5], v10 src0_sel:WORD_1
	v_cvt_pk_f32_fp8_sdwa v[8:9], v11 src0_sel:WORD_1
	v_cvt_pkrtz_f16_f32 v2, v2, v3
	v_cvt_pkrtz_f16_f32 v3, v4, v5
	;; [unrolled: 1-line block ×3, first 2 shown]
	s_nop 0
	v_mfma_f32_4x4x4_16b_f16 a[0:3], v[18:19], v[2:3], a[0:3] cbsz:4 abid:12
	v_cvt_pkrtz_f16_f32 v5, v8, v9
	v_cvt_pk_f32_fp8_e32 v[2:3], v12
	v_cvt_pk_f32_fp8_e32 v[6:7], v13
	v_mfma_f32_4x4x4_16b_f16 a[0:3], v[18:19], v[4:5], a[0:3] cbsz:4 abid:13
	v_cvt_pk_f32_fp8_sdwa v[4:5], v12 src0_sel:WORD_1
	v_cvt_pk_f32_fp8_sdwa v[8:9], v13 src0_sel:WORD_1
	v_cvt_pkrtz_f16_f32 v2, v2, v3
	v_cvt_pkrtz_f16_f32 v3, v4, v5
	v_cvt_pkrtz_f16_f32 v4, v6, v7
	s_nop 0
	v_mfma_f32_4x4x4_16b_f16 a[0:3], v[18:19], v[2:3], a[0:3] cbsz:4 abid:14
	v_cvt_pkrtz_f16_f32 v5, v8, v9
	s_nop 1
	v_mfma_f32_4x4x4_16b_f16 a[0:3], v[18:19], v[4:5], a[0:3] cbsz:4 abid:15
	s_nop 4
	v_accvgpr_read_b32 v5, a1
	v_accvgpr_read_b32 v3, a3
	;; [unrolled: 1-line block ×4, first 2 shown]
	s_waitcnt lgkmcnt(0)
	v_pk_mul_f32 v[2:3], v[2:3], s[6:7] op_sel_hi:[1,0]
	v_pk_mul_f32 v[4:5], v[4:5], s[6:7] op_sel_hi:[1,0]
	v_cvt_f16_f32_e32 v2, v2
	v_cvt_f16_f32_e32 v4, v4
	;; [unrolled: 1-line block ×4, first 2 shown]
	v_perm_b32 v22, v5, v4, s1
	v_perm_b32 v23, v3, v2, s1
.LBB808_23:
	s_or_b64 exec, exec, s[2:3]
	v_lshlrev_b32_e32 v1, 3, v1
	v_mad_u32_u24 v1, v32, 40, v1
	v_cmp_gt_u32_e32 vcc, 64, v0
	ds_write_b64 v1, v[22:23]
	s_waitcnt lgkmcnt(0)
	s_barrier
	s_and_saveexec_b64 s[2:3], vcc
	s_cbranch_execz .LBB808_25
; %bb.24:
	v_mul_u32_u24_e32 v1, 40, v32
	s_waitcnt vmcnt(2)
	ds_read2_b64 v[2:5], v1 offset1:1
	ds_read2_b64 v[6:9], v1 offset0:2 offset1:3
	s_lshl_b32 s0, s0, 6
	s_mov_b32 s1, 0
	s_lshl_b64 s[2:3], s[0:1], 1
	s_add_u32 s2, s22, s2
	s_addc_u32 s3, s23, s3
	s_lshl_b32 s0, s20, 6
	s_lshl_b64 s[0:1], s[0:1], 1
	s_waitcnt lgkmcnt(1)
	v_pk_add_f16 v2, v2, 0
	s_add_u32 s0, s2, s0
	s_mul_i32 s2, s4, s33
	v_pk_add_f16 v2, v2, v4
	s_addc_u32 s1, s3, s1
	v_lshl_or_b32 v0, s2, 6, v0
	v_mov_b32_e32 v1, 0
	s_waitcnt lgkmcnt(0)
	v_pk_add_f16 v2, v2, v6
	v_lshl_add_u64 v[0:1], v[0:1], 1, s[0:1]
	v_pk_add_f16 v2, v2, v8
	global_store_short v[0:1], v2, off
.LBB808_25:
	s_endpgm
	.section	.rodata,"a",@progbits
	.p2align	6, 0x0
	.amdhsa_kernel _Z38paged_attention_ll4mi_QKV_mfma4_kernelIDF16_hLN4vllm18Fp8KVCacheDataTypeE1EDF16_Li16ELi64ELi256ELb1ELi1EEvPKT_PKT0_S7_ifPKiS9_S9_iPKfiiiPfSC_PS2_PT2_iSB_SB_
		.amdhsa_group_segment_fixed_size 2720
		.amdhsa_private_segment_fixed_size 0
		.amdhsa_kernarg_size 400
		.amdhsa_user_sgpr_count 2
		.amdhsa_user_sgpr_dispatch_ptr 0
		.amdhsa_user_sgpr_queue_ptr 0
		.amdhsa_user_sgpr_kernarg_segment_ptr 1
		.amdhsa_user_sgpr_dispatch_id 0
		.amdhsa_user_sgpr_kernarg_preload_length 0
		.amdhsa_user_sgpr_kernarg_preload_offset 0
		.amdhsa_user_sgpr_private_segment_size 0
		.amdhsa_uses_dynamic_stack 0
		.amdhsa_enable_private_segment 0
		.amdhsa_system_sgpr_workgroup_id_x 1
		.amdhsa_system_sgpr_workgroup_id_y 1
		.amdhsa_system_sgpr_workgroup_id_z 1
		.amdhsa_system_sgpr_workgroup_info 0
		.amdhsa_system_vgpr_workitem_id 0
		.amdhsa_next_free_vgpr 52
		.amdhsa_next_free_sgpr 42
		.amdhsa_accum_offset 48
		.amdhsa_reserve_vcc 1
		.amdhsa_float_round_mode_32 0
		.amdhsa_float_round_mode_16_64 0
		.amdhsa_float_denorm_mode_32 3
		.amdhsa_float_denorm_mode_16_64 3
		.amdhsa_dx10_clamp 1
		.amdhsa_ieee_mode 1
		.amdhsa_fp16_overflow 0
		.amdhsa_tg_split 0
		.amdhsa_exception_fp_ieee_invalid_op 0
		.amdhsa_exception_fp_denorm_src 0
		.amdhsa_exception_fp_ieee_div_zero 0
		.amdhsa_exception_fp_ieee_overflow 0
		.amdhsa_exception_fp_ieee_underflow 0
		.amdhsa_exception_fp_ieee_inexact 0
		.amdhsa_exception_int_div_zero 0
	.end_amdhsa_kernel
	.section	.text._Z38paged_attention_ll4mi_QKV_mfma4_kernelIDF16_hLN4vllm18Fp8KVCacheDataTypeE1EDF16_Li16ELi64ELi256ELb1ELi1EEvPKT_PKT0_S7_ifPKiS9_S9_iPKfiiiPfSC_PS2_PT2_iSB_SB_,"axG",@progbits,_Z38paged_attention_ll4mi_QKV_mfma4_kernelIDF16_hLN4vllm18Fp8KVCacheDataTypeE1EDF16_Li16ELi64ELi256ELb1ELi1EEvPKT_PKT0_S7_ifPKiS9_S9_iPKfiiiPfSC_PS2_PT2_iSB_SB_,comdat
.Lfunc_end808:
	.size	_Z38paged_attention_ll4mi_QKV_mfma4_kernelIDF16_hLN4vllm18Fp8KVCacheDataTypeE1EDF16_Li16ELi64ELi256ELb1ELi1EEvPKT_PKT0_S7_ifPKiS9_S9_iPKfiiiPfSC_PS2_PT2_iSB_SB_, .Lfunc_end808-_Z38paged_attention_ll4mi_QKV_mfma4_kernelIDF16_hLN4vllm18Fp8KVCacheDataTypeE1EDF16_Li16ELi64ELi256ELb1ELi1EEvPKT_PKT0_S7_ifPKiS9_S9_iPKfiiiPfSC_PS2_PT2_iSB_SB_
                                        ; -- End function
	.section	.AMDGPU.csdata,"",@progbits
; Kernel info:
; codeLenInByte = 3916
; NumSgprs: 48
; NumVgprs: 46
; NumAgprs: 4
; TotalNumVgprs: 52
; ScratchSize: 0
; MemoryBound: 0
; FloatMode: 240
; IeeeMode: 1
; LDSByteSize: 2720 bytes/workgroup (compile time only)
; SGPRBlocks: 5
; VGPRBlocks: 6
; NumSGPRsForWavesPerEU: 48
; NumVGPRsForWavesPerEU: 52
; AccumOffset: 48
; Occupancy: 8
; WaveLimiterHint : 1
; COMPUTE_PGM_RSRC2:SCRATCH_EN: 0
; COMPUTE_PGM_RSRC2:USER_SGPR: 2
; COMPUTE_PGM_RSRC2:TRAP_HANDLER: 0
; COMPUTE_PGM_RSRC2:TGID_X_EN: 1
; COMPUTE_PGM_RSRC2:TGID_Y_EN: 1
; COMPUTE_PGM_RSRC2:TGID_Z_EN: 1
; COMPUTE_PGM_RSRC2:TIDIG_COMP_CNT: 0
; COMPUTE_PGM_RSRC3_GFX90A:ACCUM_OFFSET: 11
; COMPUTE_PGM_RSRC3_GFX90A:TG_SPLIT: 0
	.section	.text._Z38paged_attention_ll4mi_QKV_mfma4_kernelIDF16_hLN4vllm18Fp8KVCacheDataTypeE1EDF16_Li16ELi64ELi256ELb1ELi2EEvPKT_PKT0_S7_ifPKiS9_S9_iPKfiiiPfSC_PS2_PT2_iSB_SB_,"axG",@progbits,_Z38paged_attention_ll4mi_QKV_mfma4_kernelIDF16_hLN4vllm18Fp8KVCacheDataTypeE1EDF16_Li16ELi64ELi256ELb1ELi2EEvPKT_PKT0_S7_ifPKiS9_S9_iPKfiiiPfSC_PS2_PT2_iSB_SB_,comdat
	.protected	_Z38paged_attention_ll4mi_QKV_mfma4_kernelIDF16_hLN4vllm18Fp8KVCacheDataTypeE1EDF16_Li16ELi64ELi256ELb1ELi2EEvPKT_PKT0_S7_ifPKiS9_S9_iPKfiiiPfSC_PS2_PT2_iSB_SB_ ; -- Begin function _Z38paged_attention_ll4mi_QKV_mfma4_kernelIDF16_hLN4vllm18Fp8KVCacheDataTypeE1EDF16_Li16ELi64ELi256ELb1ELi2EEvPKT_PKT0_S7_ifPKiS9_S9_iPKfiiiPfSC_PS2_PT2_iSB_SB_
	.globl	_Z38paged_attention_ll4mi_QKV_mfma4_kernelIDF16_hLN4vllm18Fp8KVCacheDataTypeE1EDF16_Li16ELi64ELi256ELb1ELi2EEvPKT_PKT0_S7_ifPKiS9_S9_iPKfiiiPfSC_PS2_PT2_iSB_SB_
	.p2align	8
	.type	_Z38paged_attention_ll4mi_QKV_mfma4_kernelIDF16_hLN4vllm18Fp8KVCacheDataTypeE1EDF16_Li16ELi64ELi256ELb1ELi2EEvPKT_PKT0_S7_ifPKiS9_S9_iPKfiiiPfSC_PS2_PT2_iSB_SB_,@function
_Z38paged_attention_ll4mi_QKV_mfma4_kernelIDF16_hLN4vllm18Fp8KVCacheDataTypeE1EDF16_Li16ELi64ELi256ELb1ELi2EEvPKT_PKT0_S7_ifPKiS9_S9_iPKfiiiPfSC_PS2_PT2_iSB_SB_: ; @_Z38paged_attention_ll4mi_QKV_mfma4_kernelIDF16_hLN4vllm18Fp8KVCacheDataTypeE1EDF16_Li16ELi64ELi256ELb1ELi2EEvPKT_PKT0_S7_ifPKiS9_S9_iPKfiiiPfSC_PS2_PT2_iSB_SB_
; %bb.0:
	s_load_dwordx2 s[16:17], s[0:1], 0x30
	s_mov_b32 s20, s3
	s_mov_b64 s[6:7], 0
	s_waitcnt lgkmcnt(0)
	s_cmp_lg_u64 s[16:17], 0
	s_cselect_b64 s[18:19], -1, 0
	s_and_b64 vcc, exec, s[18:19]
	s_cbranch_vccz .LBB809_10
; %bb.1:
	s_add_i32 s8, s2, 1
	s_mov_b32 s9, 0
	s_lshl_b64 s[10:11], s[8:9], 2
	s_add_u32 s10, s16, s10
	s_mov_b32 s3, s9
	s_addc_u32 s11, s17, s11
	s_lshl_b64 s[8:9], s[2:3], 2
	s_add_u32 s8, s16, s8
	s_addc_u32 s9, s17, s9
	s_load_dword s5, s[10:11], 0x0
	s_load_dword s12, s[8:9], 0x0
	s_waitcnt lgkmcnt(0)
	s_sub_i32 s5, s5, s12
	s_cmp_eq_u32 s5, 1
	s_cselect_b64 s[8:9], -1, 0
	s_andn2_b64 vcc, exec, s[6:7]
	s_cbranch_vccnz .LBB809_3
.LBB809_2:
	s_mov_b32 s3, 0
	s_mov_b64 s[8:9], -1
.LBB809_3:
	s_andn2_b64 vcc, exec, s[8:9]
	s_cbranch_vccnz .LBB809_25
; %bb.4:
	s_load_dword s5, s[0:1], 0x9c
	s_load_dwordx2 s[6:7], s[0:1], 0x28
	s_add_u32 s24, s0, 0x90
	s_addc_u32 s25, s1, 0
	s_lshl_b64 s[28:29], s[2:3], 2
	s_waitcnt lgkmcnt(0)
	s_and_b32 s5, s5, 0xffff
	s_add_u32 s6, s6, s28
	s_addc_u32 s7, s7, s29
	s_load_dword s3, s[6:7], 0x0
	s_mul_i32 s5, s20, s5
	s_waitcnt lgkmcnt(0)
	s_cmp_ge_i32 s5, s3
	s_cbranch_scc1 .LBB809_25
; %bb.5:
	v_and_b32_e32 v2, 0xc0, v0
	v_add_u32_e32 v4, s5, v2
	v_lshrrev_b32_e32 v1, 6, v0
	v_cmp_gt_i32_e64 s[6:7], s3, v4
	v_cmp_le_i32_e32 vcc, s3, v4
                                        ; implicit-def: $sgpr30
                                        ; implicit-def: $sgpr21
	s_and_saveexec_b64 s[8:9], vcc
	s_xor_b64 s[8:9], exec, s[8:9]
	s_cbranch_execz .LBB809_7
; %bb.6:
	v_mul_u32_u24_e32 v2, 20, v1
	v_or_b32_e32 v2, 0xa00, v2
	v_mov_b32_e32 v3, 0xa50
	v_mov_b32_e32 v4, 0xff7fffff
	v_mad_u32_u24 v3, v1, 20, v3
	ds_write2_b32 v2, v4, v4 offset1:1
	v_mov_b32_e32 v2, 0
	ds_write2_b32 v3, v2, v2 offset1:1
	v_mov_b32_e32 v3, 0xa08
	s_mov_b32 s21, 0xff7fffff
	s_mov_b32 s30, 0
	v_mad_u32_u24 v3, v1, 20, v3
	v_mov_b32_e32 v5, 0xa58
	v_mad_u32_u24 v5, v1, 20, v5
	ds_write2_b32 v3, v4, v4 offset1:1
	ds_write2_b32 v5, v2, v2 offset1:1
                                        ; implicit-def: $vgpr4
.LBB809_7:
	s_or_saveexec_b64 s[26:27], s[8:9]
	s_load_dwordx2 s[22:23], s[0:1], 0x68
	s_load_dwordx4 s[12:15], s[0:1], 0x58
	s_load_dword s33, s[24:25], 0x4
	s_load_dwordx4 s[8:11], s[0:1], 0x80
	v_and_b32_e32 v38, 63, v0
	v_and_b32_e32 v39, 3, v0
	s_lshl_b32 s38, s4, 1
	v_mov_b32_e32 v21, s30
	v_mov_b32_e32 v24, s21
	;; [unrolled: 1-line block ×5, first 2 shown]
                                        ; implicit-def: $vgpr14_vgpr15
                                        ; implicit-def: $vgpr6_vgpr7
                                        ; implicit-def: $vgpr10_vgpr11
                                        ; implicit-def: $vgpr2_vgpr3
	s_xor_b64 exec, exec, s[26:27]
	s_cbranch_execz .LBB809_19
; %bb.8:
	s_load_dwordx2 s[30:31], s[0:1], 0x20
	s_load_dword s21, s[0:1], 0x38
	s_add_i32 s34, s3, 15
	s_ashr_i32 s35, s34, 31
	s_lshr_b32 s35, s35, 28
	v_add_u32_e32 v40, s5, v0
	s_add_i32 s34, s34, s35
	v_ashrrev_i32_e32 v2, 31, v40
	s_ashr_i32 s34, s34, 4
	v_lshrrev_b32_e32 v2, 28, v2
	s_add_i32 s36, s34, -1
	s_waitcnt lgkmcnt(0)
	s_mul_i32 s34, s2, s21
	s_mov_b32 s35, 0
	v_add_u32_e32 v2, v40, v2
	s_lshl_b64 s[34:35], s[34:35], 2
	v_ashrrev_i32_e32 v2, 4, v2
	v_mov_b32_e32 v3, s36
	v_cmp_gt_i32_e32 vcc, s3, v40
	s_add_u32 s30, s30, s34
	s_addc_u32 s31, s31, s35
	v_cndmask_b32_e32 v2, v3, v2, vcc
	v_ashrrev_i32_e32 v3, 31, v2
	v_lshl_add_u64 v[8:9], v[2:3], 2, s[30:31]
	v_ashrrev_i32_e32 v2, 31, v4
	v_lshrrev_b32_e32 v2, 28, v2
	v_add_u32_e32 v2, v4, v2
	v_ashrrev_i32_e32 v4, 4, v2
	v_min_i32_e32 v2, s36, v4
	v_ashrrev_i32_e32 v3, 31, v2
	v_lshl_add_u64 v[10:11], v[2:3], 2, s[30:31]
	v_add_u32_e32 v2, 1, v4
	v_min_i32_e32 v2, s36, v2
	v_ashrrev_i32_e32 v3, 31, v2
	v_lshl_add_u64 v[12:13], v[2:3], 2, s[30:31]
	v_add_u32_e32 v2, 2, v4
	;; [unrolled: 4-line block ×3, first 2 shown]
	v_min_i32_e32 v2, s36, v2
	v_ashrrev_i32_e32 v3, 31, v2
	v_lshl_add_u64 v[16:17], v[2:3], 2, s[30:31]
	global_load_dword v2, v[8:9], off
	global_load_dword v7, v[10:11], off
	global_load_dword v6, v[12:13], off
	global_load_dword v5, v[14:15], off
	global_load_dword v4, v[16:17], off
	s_load_dwordx2 s[30:31], s[0:1], 0x8
	s_andn2_b64 vcc, exec, s[18:19]
	s_cbranch_vccnz .LBB809_11
; %bb.9:
	s_add_u32 s16, s16, s28
	s_addc_u32 s17, s17, s29
	s_load_dword s5, s[16:17], 0x0
	s_branch .LBB809_12
.LBB809_10:
	s_mov_b64 s[8:9], 0
	s_branch .LBB809_2
.LBB809_11:
	s_mov_b32 s5, s2
.LBB809_12:
	s_load_dwordx2 s[28:29], s[0:1], 0x10
	s_load_dwordx4 s[16:19], s[0:1], 0x48
	v_cmp_gt_u32_e32 vcc, 2, v39
	s_mov_b32 s37, 0
	v_mov_b32_e32 v3, 0
	v_mov_b32_e32 v18, 0
	;; [unrolled: 1-line block ×5, first 2 shown]
	s_and_saveexec_b64 s[34:35], vcc
	s_cbranch_execz .LBB809_14
; %bb.13:
	s_load_dwordx2 s[40:41], s[0:1], 0x0
	s_waitcnt lgkmcnt(0)
	s_ashr_i32 s19, s16, 31
	s_mul_hi_u32 s21, s5, s16
	s_mul_i32 s19, s5, s19
	s_add_i32 s43, s21, s19
	s_mul_i32 s42, s5, s16
	s_lshl_b64 s[42:43], s[42:43], 1
	s_add_u32 s5, s40, s42
	s_addc_u32 s16, s41, s43
	s_lshl_b32 s36, s4, 7
	s_lshl_b64 s[36:37], s[36:37], 1
	s_add_u32 s36, s5, s36
	v_lshlrev_b32_e32 v8, 3, v39
	v_lshrrev_b32_e32 v9, 2, v38
	s_addc_u32 s37, s16, s37
	v_add_lshl_u32 v8, v8, v9, 4
	global_load_dwordx4 v[18:21], v8, s[36:37]
.LBB809_14:
	s_or_b64 exec, exec, s[34:35]
	s_waitcnt lgkmcnt(0)
	s_mul_i32 s16, s4, s18
	s_add_u32 s4, s16, s30
	s_addc_u32 s5, 0, s31
	v_mov_b64_e32 v[8:9], s[4:5]
	s_waitcnt vmcnt(4)
	v_mad_i64_i32 v[8:9], s[4:5], v2, s17, v[8:9]
	v_lshlrev_b32_e32 v2, 4, v0
	v_and_b32_e32 v2, 0xf0, v2
	v_lshl_add_u64 v[8:9], v[8:9], 0, v[2:3]
	global_load_dwordx4 v[34:37], v[8:9], off
	global_load_dwordx4 v[30:33], v[8:9], off offset:256
	global_load_dwordx4 v[26:29], v[8:9], off offset:512
	;; [unrolled: 1-line block ×3, first 2 shown]
	v_mov_b32_e32 v41, 0
	s_and_saveexec_b64 s[4:5], vcc
	s_cbranch_execz .LBB809_16
; %bb.15:
	s_load_dwordx2 s[18:19], s[0:1], 0x40
	v_or_b32_e32 v8, s38, v39
	v_mov_b32_e32 v9, 0
	s_waitcnt lgkmcnt(0)
	v_lshl_add_u64 v[8:9], v[8:9], 2, s[18:19]
	global_load_dword v41, v[8:9], off
.LBB809_16:
	s_or_b64 exec, exec, s[4:5]
	s_waitcnt vmcnt(7)
	v_mul_hi_i32 v8, v7, s17
	s_add_u32 s4, s28, s16
	v_ashrrev_i32_e32 v8, 31, v8
	s_addc_u32 s5, s29, 0
	v_lshlrev_b32_e32 v2, 4, v38
	v_lshrrev_b32_e32 v10, 29, v8
	v_mov_b32_e32 v11, 0
	v_lshl_add_u64 v[2:3], s[4:5], 0, v[2:3]
	v_mad_i64_i32 v[8:9], s[4:5], v7, s17, v[10:11]
	s_waitcnt vmcnt(6)
	v_mul_hi_i32 v7, v6, s17
	v_ashrrev_i32_e32 v7, 31, v7
	v_lshrrev_b32_e32 v10, 29, v7
	v_mad_i64_i32 v[6:7], s[4:5], v6, s17, v[10:11]
	s_waitcnt vmcnt(5)
	v_mul_hi_i32 v10, v5, s17
	v_and_b32_e32 v8, -8, v8
	v_ashrrev_i32_e32 v10, 31, v10
	v_lshl_add_u64 v[12:13], v[2:3], 0, v[8:9]
	v_and_b32_e32 v6, -8, v6
	v_lshrrev_b32_e32 v10, 29, v10
	v_lshl_add_u64 v[42:43], v[2:3], 0, v[6:7]
	global_load_dwordx4 v[14:17], v[12:13], off
	global_load_dwordx4 v[6:9], v[42:43], off
	v_mad_i64_i32 v[12:13], s[4:5], v5, s17, v[10:11]
	s_waitcnt vmcnt(6)
	v_mul_hi_i32 v5, v4, s17
	v_ashrrev_i32_e32 v5, 31, v5
	v_lshrrev_b32_e32 v10, 29, v5
	v_and_b32_e32 v12, -8, v12
	v_mad_i64_i32 v[4:5], s[4:5], v4, s17, v[10:11]
	s_waitcnt vmcnt(5)
	v_cvt_pk_f32_fp8_e32 v[46:47], v34
	v_lshl_add_u64 v[42:43], v[2:3], 0, v[12:13]
	v_and_b32_e32 v4, -8, v4
	v_lshl_add_u64 v[44:45], v[2:3], 0, v[4:5]
	global_load_dwordx4 v[10:13], v[42:43], off
	global_load_dwordx4 v[2:5], v[44:45], off
	v_cvt_pk_f32_fp8_sdwa v[42:43], v34 src0_sel:WORD_1
	v_cvt_pk_f32_fp8_e32 v[44:45], v35
	v_cvt_pkrtz_f16_f32 v34, v46, v47
	v_cvt_pk_f32_fp8_sdwa v[46:47], v35 src0_sel:WORD_1
	v_cvt_pkrtz_f16_f32 v35, v42, v43
	v_cvt_pkrtz_f16_f32 v42, v44, v45
	v_cvt_pk_f32_fp8_e32 v[44:45], v37
	v_mfma_f32_4x4x4_16b_f16 a[0:3], v[18:19], v[34:35], 0 cbsz:4
	v_cvt_pkrtz_f16_f32 v43, v46, v47
	v_cvt_pk_f32_fp8_e32 v[34:35], v36
	s_load_dword s0, s[0:1], 0x1c
	v_mfma_f32_4x4x4_16b_f16 a[0:3], v[20:21], v[42:43], a[0:3] cbsz:4
	v_cvt_pk_f32_fp8_sdwa v[42:43], v36 src0_sel:WORD_1
	v_cvt_pk_f32_fp8_sdwa v[36:37], v37 src0_sel:WORD_1
	v_cvt_pkrtz_f16_f32 v34, v34, v35
	s_load_dword s1, s[8:9], 0x0
	v_cvt_pkrtz_f16_f32 v35, v42, v43
	v_cvt_pkrtz_f16_f32 v43, v36, v37
	s_waitcnt vmcnt(6)
	v_cvt_pk_f32_fp8_sdwa v[36:37], v30 src0_sel:WORD_1
	v_mfma_f32_4x4x4_16b_f16 a[0:3], v[18:19], v[34:35], a[0:3] cbsz:4 abid:1
	v_cvt_pk_f32_fp8_e32 v[34:35], v30
	v_cvt_pkrtz_f16_f32 v42, v44, v45
	v_cmp_eq_u32_e32 vcc, 0, v39
	v_cvt_pkrtz_f16_f32 v30, v34, v35
	v_cvt_pk_f32_fp8_sdwa v[34:35], v31 src0_sel:WORD_1
	v_mfma_f32_4x4x4_16b_f16 a[0:3], v[20:21], v[42:43], a[0:3] cbsz:4 abid:1
	v_cvt_pk_f32_fp8_e32 v[42:43], v31
	v_cvt_pkrtz_f16_f32 v31, v36, v37
	v_cvt_pkrtz_f16_f32 v37, v34, v35
	v_cvt_pk_f32_fp8_sdwa v[34:35], v32 src0_sel:WORD_1
	v_mfma_f32_4x4x4_16b_f16 a[0:3], v[18:19], v[30:31], a[0:3] cbsz:4 abid:2
	v_cvt_pk_f32_fp8_e32 v[30:31], v32
	v_cvt_pkrtz_f16_f32 v36, v42, v43
	v_cvt_pkrtz_f16_f32 v30, v30, v31
	s_nop 0
	v_mfma_f32_4x4x4_16b_f16 a[0:3], v[20:21], v[36:37], a[0:3] cbsz:4 abid:2
	v_cvt_pk_f32_fp8_e32 v[36:37], v33
	v_cvt_pk_f32_fp8_sdwa v[32:33], v33 src0_sel:WORD_1
	v_cvt_pkrtz_f16_f32 v31, v34, v35
	v_cvt_pkrtz_f16_f32 v34, v36, v37
	s_nop 0
	v_mfma_f32_4x4x4_16b_f16 a[0:3], v[18:19], v[30:31], a[0:3] cbsz:4 abid:3
	s_waitcnt vmcnt(5)
	v_cvt_pk_f32_fp8_e32 v[30:31], v26
	v_cvt_pkrtz_f16_f32 v35, v32, v33
	v_cvt_pk_f32_fp8_sdwa v[32:33], v26 src0_sel:WORD_1
	v_cvt_pkrtz_f16_f32 v26, v30, v31
	v_cvt_pk_f32_fp8_sdwa v[30:31], v27 src0_sel:WORD_1
	v_mfma_f32_4x4x4_16b_f16 a[0:3], v[20:21], v[34:35], a[0:3] cbsz:4 abid:3
	v_cvt_pk_f32_fp8_e32 v[34:35], v27
	v_cvt_pkrtz_f16_f32 v27, v32, v33
	v_cvt_pkrtz_f16_f32 v33, v30, v31
	v_cvt_pk_f32_fp8_sdwa v[30:31], v28 src0_sel:WORD_1
	v_mfma_f32_4x4x4_16b_f16 a[0:3], v[18:19], v[26:27], a[0:3] cbsz:4 abid:4
	v_cvt_pk_f32_fp8_e32 v[26:27], v28
	v_cvt_pkrtz_f16_f32 v32, v34, v35
	v_cvt_pkrtz_f16_f32 v26, v26, v27
	s_nop 0
	v_mfma_f32_4x4x4_16b_f16 a[0:3], v[20:21], v[32:33], a[0:3] cbsz:4 abid:4
	v_cvt_pk_f32_fp8_e32 v[32:33], v29
	v_cvt_pk_f32_fp8_sdwa v[28:29], v29 src0_sel:WORD_1
	v_cvt_pkrtz_f16_f32 v27, v30, v31
	v_cvt_pkrtz_f16_f32 v30, v32, v33
	s_nop 0
	v_mfma_f32_4x4x4_16b_f16 a[0:3], v[18:19], v[26:27], a[0:3] cbsz:4 abid:5
	s_waitcnt vmcnt(4)
	v_cvt_pk_f32_fp8_e32 v[26:27], v22
	v_cvt_pkrtz_f16_f32 v31, v28, v29
	v_cvt_pk_f32_fp8_sdwa v[28:29], v22 src0_sel:WORD_1
	v_cvt_pkrtz_f16_f32 v22, v26, v27
	v_cvt_pk_f32_fp8_sdwa v[26:27], v23 src0_sel:WORD_1
	v_mfma_f32_4x4x4_16b_f16 a[0:3], v[20:21], v[30:31], a[0:3] cbsz:4 abid:5
	v_cvt_pk_f32_fp8_e32 v[30:31], v23
	v_cvt_pkrtz_f16_f32 v23, v28, v29
	v_cvt_pkrtz_f16_f32 v29, v26, v27
	v_cvt_pk_f32_fp8_sdwa v[26:27], v24 src0_sel:WORD_1
	v_mfma_f32_4x4x4_16b_f16 a[0:3], v[18:19], v[22:23], a[0:3] cbsz:4 abid:6
	v_cvt_pk_f32_fp8_e32 v[22:23], v24
	v_cvt_pkrtz_f16_f32 v28, v30, v31
	v_cvt_pkrtz_f16_f32 v22, v22, v23
	s_nop 0
	v_mfma_f32_4x4x4_16b_f16 a[0:3], v[20:21], v[28:29], a[0:3] cbsz:4 abid:6
	v_cvt_pk_f32_fp8_e32 v[28:29], v25
	v_cvt_pk_f32_fp8_sdwa v[24:25], v25 src0_sel:WORD_1
	v_cvt_pkrtz_f16_f32 v23, v26, v27
	v_cvt_pkrtz_f16_f32 v26, v28, v29
	s_nop 0
	v_mfma_f32_4x4x4_16b_f16 a[0:3], v[18:19], v[22:23], a[0:3] cbsz:4 abid:7
	v_cvt_pkrtz_f16_f32 v27, v24, v25
	s_waitcnt lgkmcnt(0)
	v_mov_b32_e32 v18, s0
	v_mov_b32_e32 v25, 0xff7fffff
	v_mfma_f32_4x4x4_16b_f16 a[0:3], v[20:21], v[26:27], a[0:3] cbsz:4 abid:7
	v_mul_f32_e32 v20, s1, v18
	s_nop 3
	v_accvgpr_read_b32 v23, a1
	v_accvgpr_read_b32 v22, a0
	v_pk_mul_f32 v[22:23], v[22:23], v[20:21] op_sel_hi:[1,0]
	v_accvgpr_read_b32 v19, a3
	v_accvgpr_read_b32 v18, a2
	v_pk_mul_f32 v[18:19], v[18:19], v[20:21] op_sel_hi:[1,0]
	v_cndmask_b32_e64 v20, 0, 1.0, vcc
	v_cmp_eq_u32_e32 vcc, 1, v39
	s_nop 0
	v_mfma_f32_4x4x1_16b_f32 a[0:3], v22, v20, 0
	v_cndmask_b32_e64 v20, 0, 1.0, vcc
	v_cmp_eq_u32_e32 vcc, 2, v39
	s_nop 0
	v_mfma_f32_4x4x1_16b_f32 a[0:3], v23, v20, a[0:3]
	;; [unrolled: 4-line block ×3, first 2 shown]
	v_cndmask_b32_e64 v18, 0, 1.0, vcc
	s_nop 1
	v_mfma_f32_4x4x1_16b_f32 a[0:3], v19, v18, a[0:3]
	v_and_b32_e32 v18, -4, v40
	v_subrev_u32_e32 v19, s3, v18
	v_add_u32_e32 v20, 1, v19
	v_cvt_f32_i32_e32 v20, v20
	v_add_u32_e32 v21, 2, v19
	v_cvt_f32_i32_e32 v21, v21
	v_accvgpr_read_b32 v22, a0
	v_fma_f32 v20, v41, v20, v22
	v_accvgpr_read_b32 v22, a1
	v_fma_f32 v21, v41, v21, v22
	v_add_u32_e32 v22, 3, v19
	v_cvt_f32_i32_e32 v22, v22
	v_add_u32_e32 v19, 4, v19
	v_max_f32_e32 v24, 0xff7fffff, v20
	v_cmp_gt_i32_e32 vcc, s3, v18
	v_cvt_f32_i32_e32 v19, v19
	v_accvgpr_read_b32 v23, a2
	v_cndmask_b32_e32 v24, v25, v24, vcc
	v_or_b32_e32 v25, 1, v18
	v_max_f32_e32 v26, v24, v21
	v_cmp_gt_i32_e64 s[0:1], s3, v25
	v_fma_f32 v22, v41, v22, v23
	v_or_b32_e32 v18, 2, v18
	v_cndmask_b32_e64 v24, v24, v26, s[0:1]
	v_accvgpr_read_b32 v23, a3
	v_max_f32_e32 v25, v24, v22
	v_cmp_gt_i32_e64 s[4:5], s3, v18
	v_fmac_f32_e32 v23, v41, v19
	v_lshlrev_b32_e32 v19, 2, v0
	v_cndmask_b32_e64 v18, v24, v25, s[4:5]
	v_or_b32_e32 v24, 3, v40
	v_max_f32_e32 v25, v18, v23
	v_cmp_gt_i32_e64 s[8:9], s3, v24
	v_and_or_b32 v19, v19, 48, v39
	s_nop 0
	v_cndmask_b32_e64 v18, v18, v25, s[8:9]
	;;#ASMSTART
	v_nop
 v_nop
 v_max_f32_dpp v18, v18, v18 row_ror:4
	;;#ASMEND
	v_lshlrev_b32_e32 v25, 2, v19
	;;#ASMSTART
	v_nop
 v_nop
 v_max_f32_dpp v18, v18, v18 row_ror:8
	;;#ASMEND
	ds_bpermute_b32 v18, v25, v18
	s_waitcnt lgkmcnt(0)
	;;#ASMSTART
	v_nop
 v_nop
 v_max_f32_dpp v18, v18, v18 row_ror:4
	;;#ASMEND
	s_nop 0
	;;#ASMSTART
	v_nop
 v_nop
 v_max_f32_dpp v24, v18, v18 row_ror:8
	;;#ASMEND
	s_nop 0
	v_sub_f32_e32 v18, v20, v24
	v_mul_f32_e32 v18, 0x3fb8aa3b, v18
	v_sub_f32_e32 v19, v21, v24
	v_exp_f32_e32 v18, v18
	v_mul_f32_e32 v19, 0x3fb8aa3b, v19
	v_sub_f32_e32 v21, v22, v24
	v_exp_f32_e32 v19, v19
	;; [unrolled: 3-line block ×3, first 2 shown]
	v_mul_f32_e32 v22, 0x3fb8aa3b, v22
	v_exp_f32_e32 v22, v22
	v_cndmask_b32_e32 v18, 0, v18, vcc
	v_add_f32_e32 v20, 0, v18
	v_cndmask_b32_e64 v19, 0, v19, s[0:1]
	v_add_f32_e32 v23, v20, v19
	v_cndmask_b32_e64 v20, 0, v21, s[4:5]
	v_add_f32_e32 v23, v23, v20
	v_cndmask_b32_e64 v21, 0, v22, s[8:9]
	v_add_f32_e32 v22, v23, v21
	;;#ASMSTART
	v_nop
 v_nop
 v_add_f32_dpp v22, v22, v22 row_ror:4
	;;#ASMEND
	v_cmp_gt_u32_e32 vcc, 4, v38
	;;#ASMSTART
	v_nop
 v_nop
 v_add_f32_dpp v22, v22, v22 row_ror:8
	;;#ASMEND
	ds_bpermute_b32 v22, v25, v22
	s_waitcnt lgkmcnt(0)
	;;#ASMSTART
	v_nop
 v_nop
 v_add_f32_dpp v22, v22, v22 row_ror:4
	;;#ASMEND
	s_nop 0
	;;#ASMSTART
	v_nop
 v_nop
 v_add_f32_dpp v22, v22, v22 row_ror:8
	;;#ASMEND
	s_and_saveexec_b64 s[0:1], vcc
	s_cbranch_execz .LBB809_18
; %bb.17:
	v_mul_u32_u24_e32 v23, 20, v1
	v_lshl_add_u32 v23, v39, 2, v23
	v_add_u32_e32 v23, 0x800, v23
	ds_write2_b32 v23, v24, v22 offset0:128 offset1:148
.LBB809_18:
	s_or_b64 exec, exec, s[0:1]
.LBB809_19:
	s_or_b64 exec, exec, s[26:27]
	s_waitcnt lgkmcnt(0)
	s_barrier
	s_load_dword s0, s[24:25], 0x8
	v_lshlrev_b32_e32 v22, 2, v39
	v_add_u32_e32 v30, 0x800, v22
	ds_read2_b32 v[22:23], v30 offset0:128 offset1:133
	ds_read2_b32 v[26:27], v30 offset0:138 offset1:143
	s_mul_i32 s1, s2, s33
	s_waitcnt lgkmcnt(0)
	s_mul_i32 s1, s1, s0
	s_lshl_b32 s0, s1, 1
	s_mov_b32 s1, 0xff7fffff
	v_max3_f32 v25, v22, s1, v23
	v_max3_f32 v25, v25, v26, v27
	v_sub_f32_e32 v22, v22, v25
	v_mul_f32_e32 v22, 0x3fb8aa3b, v22
	ds_read2_b32 v[28:29], v30 offset0:148 offset1:153
	v_exp_f32_e32 v31, v22
	v_sub_f32_e32 v22, v23, v25
	v_sub_f32_e32 v26, v26, v25
	v_mul_f32_e32 v22, 0x3fb8aa3b, v22
	v_mul_f32_e32 v26, 0x3fb8aa3b, v26
	v_exp_f32_e32 v32, v22
	ds_read2_b32 v[22:23], v30 offset0:158 offset1:163
	v_exp_f32_e32 v30, v26
	v_sub_f32_e32 v26, v27, v25
	v_mul_f32_e32 v26, 0x3fb8aa3b, v26
	v_exp_f32_e32 v27, v26
	s_waitcnt lgkmcnt(1)
	v_fma_f32 v26, v31, v28, 0
	v_fmac_f32_e32 v26, v32, v29
	s_waitcnt lgkmcnt(0)
	v_fmac_f32_e32 v26, v30, v22
	v_fmac_f32_e32 v26, v27, v23
	v_cmp_gt_u32_e32 vcc, 2, v39
	s_and_saveexec_b64 s[2:3], vcc
	s_cbranch_execz .LBB809_21
; %bb.20:
	s_mov_b32 s1, 0
	s_lshl_b64 s[4:5], s[0:1], 2
	s_add_u32 s12, s12, s4
	s_mov_b32 s21, s1
	s_addc_u32 s13, s13, s5
	s_lshl_b64 s[8:9], s[20:21], 2
	s_add_u32 s12, s12, s8
	s_addc_u32 s13, s13, s9
	s_add_u32 s1, s14, s4
	s_addc_u32 s5, s15, s5
	v_or_b32_e32 v22, s38, v39
	s_add_u32 s4, s1, s8
	v_mul_lo_u32 v22, s33, v22
	v_mov_b32_e32 v23, 0
	s_addc_u32 s5, s5, s9
	v_lshlrev_b64 v[22:23], 2, v[22:23]
	v_lshl_add_u64 v[28:29], s[12:13], 0, v[22:23]
	v_lshl_add_u64 v[22:23], s[4:5], 0, v[22:23]
	global_store_dword v[22:23], v25, off
	global_store_dword v[28:29], v26, off
.LBB809_21:
	s_or_b64 exec, exec, s[2:3]
	v_mov_b32_e32 v22, 0
	v_mov_b32_e32 v23, 0
	s_and_saveexec_b64 s[2:3], s[6:7]
	s_cbranch_execz .LBB809_23
; %bb.22:
	v_add_f32_e32 v22, 0x358637bd, v26
	v_div_scale_f32 v23, s[4:5], v22, v22, 1.0
	v_rcp_f32_e32 v26, v23
	v_div_scale_f32 v27, vcc, 1.0, v22, 1.0
	v_sub_f32_e32 v24, v24, v25
	v_fma_f32 v28, -v23, v26, 1.0
	v_fmac_f32_e32 v26, v28, v26
	v_mul_f32_e32 v28, v27, v26
	v_fma_f32 v29, -v23, v28, v27
	v_mul_f32_e32 v24, 0x3fb8aa3b, v24
	v_fmac_f32_e32 v28, v29, v26
	v_exp_f32_e32 v24, v24
	v_fma_f32 v23, -v23, v28, v27
	v_div_fmas_f32 v23, v23, v26, v28
	v_div_fixup_f32 v22, v23, v22, 1.0
	v_mul_f32_e32 v22, v24, v22
	v_pk_mul_f32 v[20:21], v[20:21], v[22:23] op_sel_hi:[1,0]
	v_pk_mul_f32 v[18:19], v[18:19], v[22:23] op_sel_hi:[1,0]
	v_cvt_f16_f32_e32 v22, v20
	v_cvt_f16_f32_e32 v18, v18
	;; [unrolled: 1-line block ×4, first 2 shown]
	s_waitcnt vmcnt(3)
	v_cvt_pk_f32_fp8_e32 v[20:21], v14
	v_cvt_pk_f32_fp8_e32 v[24:25], v15
	v_pack_b32_f16 v18, v18, v19
	v_pack_b32_f16 v19, v22, v23
	v_cvt_pk_f32_fp8_sdwa v[22:23], v14 src0_sel:WORD_1
	v_cvt_pkrtz_f16_f32 v14, v20, v21
	v_cvt_pk_f32_fp8_sdwa v[20:21], v15 src0_sel:WORD_1
	s_load_dword s4, s[10:11], 0x0
	v_cvt_pkrtz_f16_f32 v15, v22, v23
	v_cvt_pkrtz_f16_f32 v22, v24, v25
	;; [unrolled: 1-line block ×3, first 2 shown]
	v_mfma_f32_4x4x4_16b_f16 a[0:3], v[18:19], v[14:15], 0 cbsz:4
	v_cvt_pk_f32_fp8_e32 v[14:15], v16
	v_cvt_pk_f32_fp8_sdwa v[20:21], v16 src0_sel:WORD_1
	v_mfma_f32_4x4x4_16b_f16 a[0:3], v[18:19], v[22:23], a[0:3] cbsz:4 abid:1
	v_cvt_pk_f32_fp8_e32 v[22:23], v17
	v_cvt_pk_f32_fp8_sdwa v[16:17], v17 src0_sel:WORD_1
	v_cvt_pkrtz_f16_f32 v14, v14, v15
	v_cvt_pkrtz_f16_f32 v15, v20, v21
	;; [unrolled: 1-line block ×4, first 2 shown]
	v_mfma_f32_4x4x4_16b_f16 a[0:3], v[18:19], v[14:15], a[0:3] cbsz:4 abid:2
	s_waitcnt vmcnt(2)
	v_cvt_pk_f32_fp8_e32 v[14:15], v6
	v_cvt_pk_f32_fp8_sdwa v[16:17], v6 src0_sel:WORD_1
	v_mfma_f32_4x4x4_16b_f16 a[0:3], v[18:19], v[20:21], a[0:3] cbsz:4 abid:3
	v_cvt_pk_f32_fp8_e32 v[20:21], v7
	v_cvt_pkrtz_f16_f32 v6, v14, v15
	v_cvt_pk_f32_fp8_sdwa v[14:15], v7 src0_sel:WORD_1
	v_cvt_pkrtz_f16_f32 v7, v16, v17
	v_cvt_pkrtz_f16_f32 v16, v20, v21
	s_mov_b32 s1, 0x5040100
	v_mfma_f32_4x4x4_16b_f16 a[0:3], v[18:19], v[6:7], a[0:3] cbsz:4 abid:4
	v_cvt_pkrtz_f16_f32 v17, v14, v15
	v_cvt_pk_f32_fp8_e32 v[6:7], v8
	v_cvt_pk_f32_fp8_sdwa v[14:15], v8 src0_sel:WORD_1
	v_mfma_f32_4x4x4_16b_f16 a[0:3], v[18:19], v[16:17], a[0:3] cbsz:4 abid:5
	v_cvt_pk_f32_fp8_e32 v[16:17], v9
	v_cvt_pk_f32_fp8_sdwa v[8:9], v9 src0_sel:WORD_1
	v_cvt_pkrtz_f16_f32 v6, v6, v7
	v_cvt_pkrtz_f16_f32 v7, v14, v15
	;; [unrolled: 1-line block ×4, first 2 shown]
	v_mfma_f32_4x4x4_16b_f16 a[0:3], v[18:19], v[6:7], a[0:3] cbsz:4 abid:6
	s_waitcnt vmcnt(1)
	v_cvt_pk_f32_fp8_e32 v[6:7], v10
	v_cvt_pk_f32_fp8_sdwa v[8:9], v10 src0_sel:WORD_1
	v_mfma_f32_4x4x4_16b_f16 a[0:3], v[18:19], v[14:15], a[0:3] cbsz:4 abid:7
	v_cvt_pk_f32_fp8_e32 v[14:15], v11
	v_cvt_pk_f32_fp8_sdwa v[10:11], v11 src0_sel:WORD_1
	v_cvt_pkrtz_f16_f32 v6, v6, v7
	v_cvt_pkrtz_f16_f32 v7, v8, v9
	;; [unrolled: 1-line block ×4, first 2 shown]
	v_mfma_f32_4x4x4_16b_f16 a[0:3], v[18:19], v[6:7], a[0:3] cbsz:4 abid:8
	v_cvt_pk_f32_fp8_e32 v[6:7], v12
	v_cvt_pk_f32_fp8_e32 v[10:11], v13
	v_mfma_f32_4x4x4_16b_f16 a[0:3], v[18:19], v[8:9], a[0:3] cbsz:4 abid:9
	v_cvt_pk_f32_fp8_sdwa v[8:9], v12 src0_sel:WORD_1
	v_cvt_pk_f32_fp8_sdwa v[12:13], v13 src0_sel:WORD_1
	v_cvt_pkrtz_f16_f32 v6, v6, v7
	v_cvt_pkrtz_f16_f32 v7, v8, v9
	;; [unrolled: 1-line block ×3, first 2 shown]
	s_nop 0
	v_mfma_f32_4x4x4_16b_f16 a[0:3], v[18:19], v[6:7], a[0:3] cbsz:4 abid:10
	s_waitcnt vmcnt(0)
	v_cvt_pk_f32_fp8_e32 v[6:7], v2
	v_cvt_pkrtz_f16_f32 v9, v12, v13
	v_cvt_pk_f32_fp8_e32 v[10:11], v3
	s_nop 0
	v_mfma_f32_4x4x4_16b_f16 a[0:3], v[18:19], v[8:9], a[0:3] cbsz:4 abid:11
	v_cvt_pk_f32_fp8_sdwa v[8:9], v2 src0_sel:WORD_1
	v_cvt_pkrtz_f16_f32 v2, v6, v7
	v_cvt_pk_f32_fp8_sdwa v[6:7], v3 src0_sel:WORD_1
	v_cvt_pkrtz_f16_f32 v3, v8, v9
	v_cvt_pkrtz_f16_f32 v8, v10, v11
	s_nop 0
	v_mfma_f32_4x4x4_16b_f16 a[0:3], v[18:19], v[2:3], a[0:3] cbsz:4 abid:12
	v_cvt_pkrtz_f16_f32 v9, v6, v7
	v_cvt_pk_f32_fp8_e32 v[2:3], v4
	v_cvt_pk_f32_fp8_sdwa v[6:7], v4 src0_sel:WORD_1
	v_mfma_f32_4x4x4_16b_f16 a[0:3], v[18:19], v[8:9], a[0:3] cbsz:4 abid:13
	v_cvt_pk_f32_fp8_e32 v[8:9], v5
	v_cvt_pk_f32_fp8_sdwa v[4:5], v5 src0_sel:WORD_1
	v_cvt_pkrtz_f16_f32 v2, v2, v3
	v_cvt_pkrtz_f16_f32 v3, v6, v7
	;; [unrolled: 1-line block ×4, first 2 shown]
	v_mfma_f32_4x4x4_16b_f16 a[0:3], v[18:19], v[2:3], a[0:3] cbsz:4 abid:14
	s_nop 1
	v_mfma_f32_4x4x4_16b_f16 a[0:3], v[18:19], v[6:7], a[0:3] cbsz:4 abid:15
	s_nop 4
	v_accvgpr_read_b32 v5, a1
	v_accvgpr_read_b32 v3, a3
	;; [unrolled: 1-line block ×4, first 2 shown]
	s_waitcnt lgkmcnt(0)
	v_pk_mul_f32 v[2:3], v[2:3], s[4:5] op_sel_hi:[1,0]
	v_pk_mul_f32 v[4:5], v[4:5], s[4:5] op_sel_hi:[1,0]
	v_cvt_f16_f32_e32 v2, v2
	v_cvt_f16_f32_e32 v4, v4
	v_cvt_f16_f32_e32 v5, v5
	v_cvt_f16_f32_e32 v3, v3
	v_perm_b32 v22, v5, v4, s1
	v_perm_b32 v23, v3, v2, s1
.LBB809_23:
	s_or_b64 exec, exec, s[2:3]
	v_lshlrev_b32_e32 v1, 3, v1
	v_mad_u32_u24 v1, v38, 40, v1
	v_cmp_gt_u32_e32 vcc, 64, v0
	ds_write_b64 v1, v[22:23]
	s_waitcnt lgkmcnt(0)
	s_barrier
	s_and_saveexec_b64 s[2:3], vcc
	s_cbranch_execz .LBB809_25
; %bb.24:
	s_mov_b32 s1, 0
	s_lshl_b32 s0, s0, 6
	v_mul_u32_u24_e32 v1, 40, v38
	s_lshl_b64 s[2:3], s[0:1], 1
	s_waitcnt vmcnt(0)
	ds_read2_b64 v[2:5], v1 offset1:1
	ds_read2_b64 v[6:9], v1 offset0:2 offset1:3
	s_add_u32 s2, s22, s2
	s_addc_u32 s3, s23, s3
	s_lshl_b32 s0, s20, 6
	s_lshl_b64 s[0:1], s[0:1], 1
	s_add_u32 s0, s2, s0
	s_addc_u32 s1, s3, s1
	s_lshl_b32 s2, s33, 6
	s_waitcnt lgkmcnt(1)
	v_pk_add_f16 v1, v2, 0
	s_mul_i32 s3, s2, s38
	v_pk_add_f16 v1, v1, v4
	v_or_b32_e32 v2, s3, v0
	v_mov_b32_e32 v3, 0
	s_add_i32 s3, s3, s2
	s_waitcnt lgkmcnt(0)
	v_pk_add_f16 v1, v1, v6
	v_lshl_add_u64 v[4:5], v[2:3], 1, s[0:1]
	v_or_b32_e32 v2, s3, v0
	v_pk_add_f16 v6, v1, v8
	v_lshl_add_u64 v[0:1], v[2:3], 1, s[0:1]
	global_store_short v[4:5], v6, off
	global_store_short_d16_hi v[0:1], v6, off
.LBB809_25:
	s_endpgm
	.section	.rodata,"a",@progbits
	.p2align	6, 0x0
	.amdhsa_kernel _Z38paged_attention_ll4mi_QKV_mfma4_kernelIDF16_hLN4vllm18Fp8KVCacheDataTypeE1EDF16_Li16ELi64ELi256ELb1ELi2EEvPKT_PKT0_S7_ifPKiS9_S9_iPKfiiiPfSC_PS2_PT2_iSB_SB_
		.amdhsa_group_segment_fixed_size 2720
		.amdhsa_private_segment_fixed_size 0
		.amdhsa_kernarg_size 400
		.amdhsa_user_sgpr_count 2
		.amdhsa_user_sgpr_dispatch_ptr 0
		.amdhsa_user_sgpr_queue_ptr 0
		.amdhsa_user_sgpr_kernarg_segment_ptr 1
		.amdhsa_user_sgpr_dispatch_id 0
		.amdhsa_user_sgpr_kernarg_preload_length 0
		.amdhsa_user_sgpr_kernarg_preload_offset 0
		.amdhsa_user_sgpr_private_segment_size 0
		.amdhsa_uses_dynamic_stack 0
		.amdhsa_enable_private_segment 0
		.amdhsa_system_sgpr_workgroup_id_x 1
		.amdhsa_system_sgpr_workgroup_id_y 1
		.amdhsa_system_sgpr_workgroup_id_z 1
		.amdhsa_system_sgpr_workgroup_info 0
		.amdhsa_system_vgpr_workitem_id 0
		.amdhsa_next_free_vgpr 52
		.amdhsa_next_free_sgpr 44
		.amdhsa_accum_offset 48
		.amdhsa_reserve_vcc 1
		.amdhsa_float_round_mode_32 0
		.amdhsa_float_round_mode_16_64 0
		.amdhsa_float_denorm_mode_32 3
		.amdhsa_float_denorm_mode_16_64 3
		.amdhsa_dx10_clamp 1
		.amdhsa_ieee_mode 1
		.amdhsa_fp16_overflow 0
		.amdhsa_tg_split 0
		.amdhsa_exception_fp_ieee_invalid_op 0
		.amdhsa_exception_fp_denorm_src 0
		.amdhsa_exception_fp_ieee_div_zero 0
		.amdhsa_exception_fp_ieee_overflow 0
		.amdhsa_exception_fp_ieee_underflow 0
		.amdhsa_exception_fp_ieee_inexact 0
		.amdhsa_exception_int_div_zero 0
	.end_amdhsa_kernel
	.section	.text._Z38paged_attention_ll4mi_QKV_mfma4_kernelIDF16_hLN4vllm18Fp8KVCacheDataTypeE1EDF16_Li16ELi64ELi256ELb1ELi2EEvPKT_PKT0_S7_ifPKiS9_S9_iPKfiiiPfSC_PS2_PT2_iSB_SB_,"axG",@progbits,_Z38paged_attention_ll4mi_QKV_mfma4_kernelIDF16_hLN4vllm18Fp8KVCacheDataTypeE1EDF16_Li16ELi64ELi256ELb1ELi2EEvPKT_PKT0_S7_ifPKiS9_S9_iPKfiiiPfSC_PS2_PT2_iSB_SB_,comdat
.Lfunc_end809:
	.size	_Z38paged_attention_ll4mi_QKV_mfma4_kernelIDF16_hLN4vllm18Fp8KVCacheDataTypeE1EDF16_Li16ELi64ELi256ELb1ELi2EEvPKT_PKT0_S7_ifPKiS9_S9_iPKfiiiPfSC_PS2_PT2_iSB_SB_, .Lfunc_end809-_Z38paged_attention_ll4mi_QKV_mfma4_kernelIDF16_hLN4vllm18Fp8KVCacheDataTypeE1EDF16_Li16ELi64ELi256ELb1ELi2EEvPKT_PKT0_S7_ifPKiS9_S9_iPKfiiiPfSC_PS2_PT2_iSB_SB_
                                        ; -- End function
	.section	.AMDGPU.csdata,"",@progbits
; Kernel info:
; codeLenInByte = 4000
; NumSgprs: 50
; NumVgprs: 48
; NumAgprs: 4
; TotalNumVgprs: 52
; ScratchSize: 0
; MemoryBound: 0
; FloatMode: 240
; IeeeMode: 1
; LDSByteSize: 2720 bytes/workgroup (compile time only)
; SGPRBlocks: 6
; VGPRBlocks: 6
; NumSGPRsForWavesPerEU: 50
; NumVGPRsForWavesPerEU: 52
; AccumOffset: 48
; Occupancy: 8
; WaveLimiterHint : 1
; COMPUTE_PGM_RSRC2:SCRATCH_EN: 0
; COMPUTE_PGM_RSRC2:USER_SGPR: 2
; COMPUTE_PGM_RSRC2:TRAP_HANDLER: 0
; COMPUTE_PGM_RSRC2:TGID_X_EN: 1
; COMPUTE_PGM_RSRC2:TGID_Y_EN: 1
; COMPUTE_PGM_RSRC2:TGID_Z_EN: 1
; COMPUTE_PGM_RSRC2:TIDIG_COMP_CNT: 0
; COMPUTE_PGM_RSRC3_GFX90A:ACCUM_OFFSET: 11
; COMPUTE_PGM_RSRC3_GFX90A:TG_SPLIT: 0
	.section	.text._Z38paged_attention_ll4mi_QKV_mfma4_kernelIDF16_hLN4vllm18Fp8KVCacheDataTypeE1EDF16_Li16ELi64ELi256ELb1ELi3EEvPKT_PKT0_S7_ifPKiS9_S9_iPKfiiiPfSC_PS2_PT2_iSB_SB_,"axG",@progbits,_Z38paged_attention_ll4mi_QKV_mfma4_kernelIDF16_hLN4vllm18Fp8KVCacheDataTypeE1EDF16_Li16ELi64ELi256ELb1ELi3EEvPKT_PKT0_S7_ifPKiS9_S9_iPKfiiiPfSC_PS2_PT2_iSB_SB_,comdat
	.protected	_Z38paged_attention_ll4mi_QKV_mfma4_kernelIDF16_hLN4vllm18Fp8KVCacheDataTypeE1EDF16_Li16ELi64ELi256ELb1ELi3EEvPKT_PKT0_S7_ifPKiS9_S9_iPKfiiiPfSC_PS2_PT2_iSB_SB_ ; -- Begin function _Z38paged_attention_ll4mi_QKV_mfma4_kernelIDF16_hLN4vllm18Fp8KVCacheDataTypeE1EDF16_Li16ELi64ELi256ELb1ELi3EEvPKT_PKT0_S7_ifPKiS9_S9_iPKfiiiPfSC_PS2_PT2_iSB_SB_
	.globl	_Z38paged_attention_ll4mi_QKV_mfma4_kernelIDF16_hLN4vllm18Fp8KVCacheDataTypeE1EDF16_Li16ELi64ELi256ELb1ELi3EEvPKT_PKT0_S7_ifPKiS9_S9_iPKfiiiPfSC_PS2_PT2_iSB_SB_
	.p2align	8
	.type	_Z38paged_attention_ll4mi_QKV_mfma4_kernelIDF16_hLN4vllm18Fp8KVCacheDataTypeE1EDF16_Li16ELi64ELi256ELb1ELi3EEvPKT_PKT0_S7_ifPKiS9_S9_iPKfiiiPfSC_PS2_PT2_iSB_SB_,@function
_Z38paged_attention_ll4mi_QKV_mfma4_kernelIDF16_hLN4vllm18Fp8KVCacheDataTypeE1EDF16_Li16ELi64ELi256ELb1ELi3EEvPKT_PKT0_S7_ifPKiS9_S9_iPKfiiiPfSC_PS2_PT2_iSB_SB_: ; @_Z38paged_attention_ll4mi_QKV_mfma4_kernelIDF16_hLN4vllm18Fp8KVCacheDataTypeE1EDF16_Li16ELi64ELi256ELb1ELi3EEvPKT_PKT0_S7_ifPKiS9_S9_iPKfiiiPfSC_PS2_PT2_iSB_SB_
; %bb.0:
	s_load_dwordx2 s[16:17], s[0:1], 0x30
	s_mov_b32 s20, s3
	s_mov_b64 s[6:7], 0
	s_waitcnt lgkmcnt(0)
	s_cmp_lg_u64 s[16:17], 0
	s_cselect_b64 s[18:19], -1, 0
	s_and_b64 vcc, exec, s[18:19]
	s_cbranch_vccz .LBB810_10
; %bb.1:
	s_add_i32 s8, s2, 1
	s_mov_b32 s9, 0
	s_lshl_b64 s[10:11], s[8:9], 2
	s_add_u32 s10, s16, s10
	s_mov_b32 s3, s9
	s_addc_u32 s11, s17, s11
	s_lshl_b64 s[8:9], s[2:3], 2
	s_add_u32 s8, s16, s8
	s_addc_u32 s9, s17, s9
	s_load_dword s5, s[10:11], 0x0
	s_load_dword s12, s[8:9], 0x0
	s_waitcnt lgkmcnt(0)
	s_sub_i32 s5, s5, s12
	s_cmp_eq_u32 s5, 1
	s_cselect_b64 s[8:9], -1, 0
	s_andn2_b64 vcc, exec, s[6:7]
	s_cbranch_vccnz .LBB810_3
.LBB810_2:
	s_mov_b32 s3, 0
	s_mov_b64 s[8:9], -1
.LBB810_3:
	s_andn2_b64 vcc, exec, s[8:9]
	s_cbranch_vccnz .LBB810_25
; %bb.4:
	s_load_dword s5, s[0:1], 0x9c
	s_load_dwordx2 s[6:7], s[0:1], 0x28
	s_add_u32 s24, s0, 0x90
	s_addc_u32 s25, s1, 0
	s_lshl_b64 s[28:29], s[2:3], 2
	s_waitcnt lgkmcnt(0)
	s_and_b32 s5, s5, 0xffff
	s_add_u32 s6, s6, s28
	s_addc_u32 s7, s7, s29
	s_load_dword s3, s[6:7], 0x0
	s_mul_i32 s5, s20, s5
	s_waitcnt lgkmcnt(0)
	s_cmp_ge_i32 s5, s3
	s_cbranch_scc1 .LBB810_25
; %bb.5:
	v_and_b32_e32 v2, 0xc0, v0
	v_add_u32_e32 v4, s5, v2
	v_lshrrev_b32_e32 v1, 6, v0
	v_cmp_gt_i32_e64 s[6:7], s3, v4
	v_cmp_le_i32_e32 vcc, s3, v4
                                        ; implicit-def: $sgpr30
                                        ; implicit-def: $sgpr21
	s_and_saveexec_b64 s[8:9], vcc
	s_xor_b64 s[8:9], exec, s[8:9]
	s_cbranch_execz .LBB810_7
; %bb.6:
	v_mul_u32_u24_e32 v2, 20, v1
	v_or_b32_e32 v2, 0xa00, v2
	v_mov_b32_e32 v3, 0xa50
	v_mov_b32_e32 v4, 0xff7fffff
	v_mad_u32_u24 v3, v1, 20, v3
	ds_write2_b32 v2, v4, v4 offset1:1
	v_mov_b32_e32 v2, 0
	ds_write2_b32 v3, v2, v2 offset1:1
	v_mov_b32_e32 v3, 0xa08
	s_mov_b32 s21, 0xff7fffff
	s_mov_b32 s30, 0
	v_mad_u32_u24 v3, v1, 20, v3
	v_mov_b32_e32 v5, 0xa58
	v_mad_u32_u24 v5, v1, 20, v5
	ds_write2_b32 v3, v4, v4 offset1:1
	ds_write2_b32 v5, v2, v2 offset1:1
                                        ; implicit-def: $vgpr4
.LBB810_7:
	s_or_saveexec_b64 s[26:27], s[8:9]
	s_load_dwordx2 s[22:23], s[0:1], 0x68
	s_load_dwordx4 s[12:15], s[0:1], 0x58
	s_load_dword s33, s[24:25], 0x4
	s_load_dwordx4 s[8:11], s[0:1], 0x80
	v_and_b32_e32 v32, 63, v0
	v_and_b32_e32 v33, 3, v0
	s_mul_i32 s38, s4, 3
	v_mov_b32_e32 v21, s30
	v_mov_b32_e32 v24, s21
	;; [unrolled: 1-line block ×5, first 2 shown]
                                        ; implicit-def: $vgpr6_vgpr7
                                        ; implicit-def: $vgpr2_vgpr3
                                        ; implicit-def: $vgpr14_vgpr15
                                        ; implicit-def: $vgpr10_vgpr11
	s_xor_b64 exec, exec, s[26:27]
	s_cbranch_execz .LBB810_19
; %bb.8:
	s_load_dwordx2 s[30:31], s[0:1], 0x20
	s_load_dword s21, s[0:1], 0x38
	s_add_i32 s34, s3, 15
	s_ashr_i32 s35, s34, 31
	s_lshr_b32 s35, s35, 28
	v_add_u32_e32 v34, s5, v0
	s_add_i32 s34, s34, s35
	v_ashrrev_i32_e32 v2, 31, v34
	s_ashr_i32 s34, s34, 4
	v_lshrrev_b32_e32 v2, 28, v2
	s_add_i32 s36, s34, -1
	s_waitcnt lgkmcnt(0)
	s_mul_i32 s34, s2, s21
	s_mov_b32 s35, 0
	v_add_u32_e32 v2, v34, v2
	s_lshl_b64 s[34:35], s[34:35], 2
	v_ashrrev_i32_e32 v2, 4, v2
	v_mov_b32_e32 v3, s36
	v_cmp_gt_i32_e32 vcc, s3, v34
	s_add_u32 s30, s30, s34
	s_addc_u32 s31, s31, s35
	v_cndmask_b32_e32 v2, v3, v2, vcc
	v_ashrrev_i32_e32 v3, 31, v2
	v_lshl_add_u64 v[6:7], v[2:3], 2, s[30:31]
	v_ashrrev_i32_e32 v2, 31, v4
	v_lshrrev_b32_e32 v2, 28, v2
	v_add_u32_e32 v2, v4, v2
	v_ashrrev_i32_e32 v4, 4, v2
	v_min_i32_e32 v2, s36, v4
	v_ashrrev_i32_e32 v3, 31, v2
	v_lshl_add_u64 v[8:9], v[2:3], 2, s[30:31]
	v_add_u32_e32 v2, 1, v4
	v_min_i32_e32 v2, s36, v2
	v_ashrrev_i32_e32 v3, 31, v2
	v_lshl_add_u64 v[10:11], v[2:3], 2, s[30:31]
	v_add_u32_e32 v2, 2, v4
	;; [unrolled: 4-line block ×3, first 2 shown]
	v_min_i32_e32 v2, s36, v2
	v_ashrrev_i32_e32 v3, 31, v2
	v_lshl_add_u64 v[14:15], v[2:3], 2, s[30:31]
	global_load_dword v2, v[6:7], off
	global_load_dword v5, v[8:9], off
	;; [unrolled: 1-line block ×5, first 2 shown]
	s_load_dwordx2 s[30:31], s[0:1], 0x8
	s_andn2_b64 vcc, exec, s[18:19]
	s_cbranch_vccnz .LBB810_11
; %bb.9:
	s_add_u32 s16, s16, s28
	s_addc_u32 s17, s17, s29
	s_load_dword s5, s[16:17], 0x0
	s_branch .LBB810_12
.LBB810_10:
	s_mov_b64 s[8:9], 0
	s_branch .LBB810_2
.LBB810_11:
	s_mov_b32 s5, s2
.LBB810_12:
	s_load_dwordx2 s[28:29], s[0:1], 0x10
	s_load_dwordx4 s[16:19], s[0:1], 0x48
	v_cmp_ne_u32_e32 vcc, 3, v33
	s_mov_b32 s37, 0
	v_mov_b32_e32 v3, 0
	v_mov_b32_e32 v10, 0
	;; [unrolled: 1-line block ×5, first 2 shown]
	s_and_saveexec_b64 s[34:35], vcc
	s_cbranch_execz .LBB810_14
; %bb.13:
	s_load_dwordx2 s[40:41], s[0:1], 0x0
	s_waitcnt lgkmcnt(0)
	s_ashr_i32 s19, s16, 31
	s_mul_hi_u32 s21, s5, s16
	s_mul_i32 s19, s5, s19
	s_add_i32 s43, s21, s19
	s_mul_i32 s42, s5, s16
	s_lshl_b64 s[42:43], s[42:43], 1
	s_add_u32 s5, s40, s42
	s_mul_i32 s36, s4, 0xc0
	s_addc_u32 s16, s41, s43
	s_lshl_b64 s[36:37], s[36:37], 1
	s_add_u32 s36, s5, s36
	v_lshlrev_b32_e32 v6, 3, v33
	v_lshrrev_b32_e32 v7, 2, v32
	s_addc_u32 s37, s16, s37
	v_add_lshl_u32 v6, v6, v7, 4
	global_load_dwordx4 v[10:13], v6, s[36:37]
.LBB810_14:
	s_or_b64 exec, exec, s[34:35]
	s_waitcnt lgkmcnt(0)
	s_mul_i32 s16, s4, s18
	s_add_u32 s4, s16, s30
	s_addc_u32 s5, 0, s31
	v_mov_b64_e32 v[6:7], s[4:5]
	s_waitcnt vmcnt(4)
	v_mad_i64_i32 v[6:7], s[4:5], v2, s17, v[6:7]
	v_lshlrev_b32_e32 v2, 4, v0
	v_and_b32_e32 v2, 0xf0, v2
	v_lshl_add_u64 v[6:7], v[6:7], 0, v[2:3]
	global_load_dwordx4 v[26:29], v[6:7], off
	global_load_dwordx4 v[22:25], v[6:7], off offset:256
	global_load_dwordx4 v[18:21], v[6:7], off offset:512
	;; [unrolled: 1-line block ×3, first 2 shown]
	v_mov_b32_e32 v31, 1.0
	v_mov_b32_e32 v30, 0
	s_and_saveexec_b64 s[4:5], vcc
	s_cbranch_execz .LBB810_16
; %bb.15:
	s_load_dwordx2 s[18:19], s[0:1], 0x40
	v_add_u32_e32 v30, s38, v33
	v_mov_b32_e32 v31, 0
	s_waitcnt lgkmcnt(0)
	v_lshl_add_u64 v[6:7], v[30:31], 2, s[18:19]
	global_load_dword v30, v[6:7], off
.LBB810_16:
	s_or_b64 exec, exec, s[4:5]
	s_add_u32 s4, s28, s16
	s_addc_u32 s5, s29, 0
	v_lshlrev_b32_e32 v2, 4, v32
	v_lshl_add_u64 v[38:39], s[4:5], 0, v[2:3]
	s_waitcnt vmcnt(7)
	v_mul_hi_i32 v2, v5, s17
	v_ashrrev_i32_e32 v2, 31, v2
	v_lshrrev_b32_e32 v40, 29, v2
	v_mov_b32_e32 v41, 0
	v_mad_i64_i32 v[2:3], s[4:5], v5, s17, v[40:41]
	v_and_b32_e32 v2, -8, v2
	v_lshl_add_u64 v[42:43], v[38:39], 0, v[2:3]
	s_waitcnt vmcnt(6)
	v_mul_hi_i32 v2, v4, s17
	v_ashrrev_i32_e32 v2, 31, v2
	s_waitcnt vmcnt(5)
	v_mul_hi_i32 v37, v36, s17
	v_lshrrev_b32_e32 v40, 29, v2
	v_ashrrev_i32_e32 v37, 31, v37
	v_mad_i64_i32 v[2:3], s[4:5], v4, s17, v[40:41]
	v_lshrrev_b32_e32 v40, 29, v37
	v_mad_i64_i32 v[36:37], s[4:5], v36, s17, v[40:41]
	s_waitcnt vmcnt(4)
	v_mul_hi_i32 v40, v35, s17
	v_ashrrev_i32_e32 v40, 31, v40
	v_and_b32_e32 v2, -8, v2
	v_lshrrev_b32_e32 v40, 29, v40
	v_lshl_add_u64 v[44:45], v[38:39], 0, v[2:3]
	global_load_dwordx4 v[6:9], v[42:43], off
	global_load_dwordx4 v[2:5], v[44:45], off
	v_mad_i64_i32 v[40:41], s[4:5], v35, s17, v[40:41]
	s_waitcnt vmcnt(5)
	v_cvt_pk_f32_fp8_e32 v[42:43], v26
	v_and_b32_e32 v36, -8, v36
	v_and_b32_e32 v40, -8, v40
	v_lshl_add_u64 v[36:37], v[38:39], 0, v[36:37]
	v_lshl_add_u64 v[38:39], v[38:39], 0, v[40:41]
	v_cvt_pk_f32_fp8_sdwa v[40:41], v26 src0_sel:WORD_1
	v_cvt_pk_f32_fp8_e32 v[44:45], v27
	v_cvt_pkrtz_f16_f32 v26, v42, v43
	v_cvt_pk_f32_fp8_sdwa v[42:43], v27 src0_sel:WORD_1
	v_cvt_pkrtz_f16_f32 v27, v40, v41
	v_cvt_pkrtz_f16_f32 v40, v44, v45
	s_load_dword s0, s[0:1], 0x1c
	v_mfma_f32_4x4x4_16b_f16 a[0:3], v[10:11], v[26:27], 0 cbsz:4
	v_cvt_pkrtz_f16_f32 v41, v42, v43
	v_cvt_pk_f32_fp8_e32 v[26:27], v28
	v_cvt_pk_f32_fp8_e32 v[42:43], v29
	v_mfma_f32_4x4x4_16b_f16 a[0:3], v[12:13], v[40:41], a[0:3] cbsz:4
	v_cvt_pk_f32_fp8_sdwa v[40:41], v28 src0_sel:WORD_1
	v_cvt_pk_f32_fp8_sdwa v[28:29], v29 src0_sel:WORD_1
	v_cvt_pkrtz_f16_f32 v26, v26, v27
	s_load_dword s1, s[8:9], 0x0
	v_cvt_pkrtz_f16_f32 v27, v40, v41
	v_cvt_pkrtz_f16_f32 v41, v28, v29
	s_waitcnt vmcnt(4)
	v_cvt_pk_f32_fp8_sdwa v[28:29], v22 src0_sel:WORD_1
	v_mfma_f32_4x4x4_16b_f16 a[0:3], v[10:11], v[26:27], a[0:3] cbsz:4 abid:1
	v_cvt_pk_f32_fp8_e32 v[26:27], v22
	v_cvt_pkrtz_f16_f32 v40, v42, v43
	v_cmp_eq_u32_e32 vcc, 0, v33
	v_cvt_pkrtz_f16_f32 v22, v26, v27
	v_cvt_pk_f32_fp8_sdwa v[26:27], v23 src0_sel:WORD_1
	v_mfma_f32_4x4x4_16b_f16 a[0:3], v[12:13], v[40:41], a[0:3] cbsz:4 abid:1
	v_cvt_pk_f32_fp8_e32 v[40:41], v23
	v_cvt_pkrtz_f16_f32 v23, v28, v29
	v_cvt_pkrtz_f16_f32 v29, v26, v27
	v_cvt_pk_f32_fp8_sdwa v[26:27], v24 src0_sel:WORD_1
	v_mfma_f32_4x4x4_16b_f16 a[0:3], v[10:11], v[22:23], a[0:3] cbsz:4 abid:2
	v_cvt_pk_f32_fp8_e32 v[22:23], v24
	v_cvt_pkrtz_f16_f32 v28, v40, v41
	v_cvt_pkrtz_f16_f32 v22, v22, v23
	s_nop 0
	v_mfma_f32_4x4x4_16b_f16 a[0:3], v[12:13], v[28:29], a[0:3] cbsz:4 abid:2
	v_cvt_pk_f32_fp8_e32 v[28:29], v25
	v_cvt_pk_f32_fp8_sdwa v[24:25], v25 src0_sel:WORD_1
	v_cvt_pkrtz_f16_f32 v23, v26, v27
	v_cvt_pkrtz_f16_f32 v26, v28, v29
	s_nop 0
	v_mfma_f32_4x4x4_16b_f16 a[0:3], v[10:11], v[22:23], a[0:3] cbsz:4 abid:3
	s_waitcnt vmcnt(3)
	v_cvt_pk_f32_fp8_e32 v[22:23], v18
	v_cvt_pkrtz_f16_f32 v27, v24, v25
	v_cvt_pk_f32_fp8_sdwa v[24:25], v18 src0_sel:WORD_1
	v_cvt_pkrtz_f16_f32 v18, v22, v23
	v_cvt_pk_f32_fp8_sdwa v[22:23], v19 src0_sel:WORD_1
	v_mfma_f32_4x4x4_16b_f16 a[0:3], v[12:13], v[26:27], a[0:3] cbsz:4 abid:3
	v_cvt_pk_f32_fp8_e32 v[26:27], v19
	v_cvt_pkrtz_f16_f32 v19, v24, v25
	v_cvt_pkrtz_f16_f32 v25, v22, v23
	v_cvt_pk_f32_fp8_sdwa v[22:23], v20 src0_sel:WORD_1
	v_mfma_f32_4x4x4_16b_f16 a[0:3], v[10:11], v[18:19], a[0:3] cbsz:4 abid:4
	v_cvt_pk_f32_fp8_e32 v[18:19], v20
	v_cvt_pkrtz_f16_f32 v24, v26, v27
	v_cvt_pkrtz_f16_f32 v18, v18, v19
	s_nop 0
	v_mfma_f32_4x4x4_16b_f16 a[0:3], v[12:13], v[24:25], a[0:3] cbsz:4 abid:4
	v_cvt_pk_f32_fp8_e32 v[24:25], v21
	v_cvt_pk_f32_fp8_sdwa v[20:21], v21 src0_sel:WORD_1
	v_cvt_pkrtz_f16_f32 v19, v22, v23
	v_cvt_pkrtz_f16_f32 v22, v24, v25
	s_nop 0
	v_mfma_f32_4x4x4_16b_f16 a[0:3], v[10:11], v[18:19], a[0:3] cbsz:4 abid:5
	s_waitcnt vmcnt(2)
	v_cvt_pk_f32_fp8_e32 v[18:19], v14
	v_cvt_pkrtz_f16_f32 v23, v20, v21
	v_cvt_pk_f32_fp8_sdwa v[20:21], v14 src0_sel:WORD_1
	v_mov_b32_e32 v25, 0xff7fffff
	v_cvt_pkrtz_f16_f32 v14, v18, v19
	v_cvt_pk_f32_fp8_sdwa v[18:19], v15 src0_sel:WORD_1
	v_mfma_f32_4x4x4_16b_f16 a[0:3], v[12:13], v[22:23], a[0:3] cbsz:4 abid:5
	v_cvt_pk_f32_fp8_e32 v[22:23], v15
	v_cvt_pkrtz_f16_f32 v15, v20, v21
	v_cvt_pkrtz_f16_f32 v21, v18, v19
	v_cvt_pk_f32_fp8_sdwa v[18:19], v16 src0_sel:WORD_1
	v_mfma_f32_4x4x4_16b_f16 a[0:3], v[10:11], v[14:15], a[0:3] cbsz:4 abid:6
	v_cvt_pk_f32_fp8_e32 v[14:15], v16
	v_cvt_pkrtz_f16_f32 v20, v22, v23
	v_cvt_pkrtz_f16_f32 v14, v14, v15
	s_nop 0
	v_mfma_f32_4x4x4_16b_f16 a[0:3], v[12:13], v[20:21], a[0:3] cbsz:4 abid:6
	v_cvt_pk_f32_fp8_e32 v[20:21], v17
	v_cvt_pk_f32_fp8_sdwa v[16:17], v17 src0_sel:WORD_1
	v_cvt_pkrtz_f16_f32 v15, v18, v19
	v_cvt_pkrtz_f16_f32 v18, v20, v21
	s_nop 0
	v_mfma_f32_4x4x4_16b_f16 a[0:3], v[10:11], v[14:15], a[0:3] cbsz:4 abid:7
	v_cvt_pkrtz_f16_f32 v19, v16, v17
	s_waitcnt lgkmcnt(0)
	v_mov_b32_e32 v10, s0
	v_mfma_f32_4x4x4_16b_f16 a[0:3], v[12:13], v[18:19], a[0:3] cbsz:4 abid:7
	v_mul_f32_e32 v12, s1, v10
	s_nop 3
	v_accvgpr_read_b32 v15, a1
	v_accvgpr_read_b32 v14, a0
	v_pk_mul_f32 v[14:15], v[14:15], v[12:13] op_sel_hi:[1,0]
	v_accvgpr_read_b32 v11, a3
	v_accvgpr_read_b32 v10, a2
	v_pk_mul_f32 v[18:19], v[10:11], v[12:13] op_sel_hi:[1,0]
	v_cndmask_b32_e64 v10, 0, 1.0, vcc
	v_cmp_eq_u32_e32 vcc, 1, v33
	s_nop 0
	v_mfma_f32_4x4x1_16b_f32 a[0:3], v14, v10, 0
	v_cndmask_b32_e64 v10, 0, 1.0, vcc
	v_cmp_eq_u32_e32 vcc, 2, v33
	s_nop 0
	v_mfma_f32_4x4x1_16b_f32 a[0:3], v15, v10, a[0:3]
	v_cndmask_b32_e64 v10, 0, 1.0, vcc
	s_nop 1
	v_mfma_f32_4x4x1_16b_f32 a[0:3], v18, v10, a[0:3]
	global_load_dwordx4 v[14:17], v[36:37], off
	global_load_dwordx4 v[10:13], v[38:39], off
	v_and_b32_e32 v18, -4, v34
	v_mfma_f32_4x4x1_16b_f32 a[0:3], v19, v31, a[0:3]
	v_subrev_u32_e32 v19, s3, v18
	v_add_u32_e32 v20, 1, v19
	v_cvt_f32_i32_e32 v20, v20
	v_add_u32_e32 v21, 2, v19
	v_cvt_f32_i32_e32 v21, v21
	v_accvgpr_read_b32 v22, a0
	v_fma_f32 v20, v30, v20, v22
	v_accvgpr_read_b32 v22, a1
	v_fma_f32 v21, v30, v21, v22
	v_add_u32_e32 v22, 3, v19
	v_cvt_f32_i32_e32 v22, v22
	v_add_u32_e32 v19, 4, v19
	v_max_f32_e32 v24, 0xff7fffff, v20
	v_cmp_gt_i32_e32 vcc, s3, v18
	v_cvt_f32_i32_e32 v19, v19
	v_accvgpr_read_b32 v23, a2
	v_cndmask_b32_e32 v24, v25, v24, vcc
	v_or_b32_e32 v25, 1, v18
	v_max_f32_e32 v26, v24, v21
	v_cmp_gt_i32_e64 s[0:1], s3, v25
	v_fma_f32 v22, v30, v22, v23
	v_or_b32_e32 v18, 2, v18
	v_cndmask_b32_e64 v24, v24, v26, s[0:1]
	v_accvgpr_read_b32 v23, a3
	v_max_f32_e32 v25, v24, v22
	v_cmp_gt_i32_e64 s[4:5], s3, v18
	v_fmac_f32_e32 v23, v30, v19
	v_lshlrev_b32_e32 v19, 2, v0
	v_cndmask_b32_e64 v18, v24, v25, s[4:5]
	v_or_b32_e32 v24, 3, v34
	v_max_f32_e32 v25, v18, v23
	v_cmp_gt_i32_e64 s[8:9], s3, v24
	v_and_or_b32 v19, v19, 48, v33
	s_nop 0
	v_cndmask_b32_e64 v18, v18, v25, s[8:9]
	;;#ASMSTART
	v_nop
 v_nop
 v_max_f32_dpp v18, v18, v18 row_ror:4
	;;#ASMEND
	v_lshlrev_b32_e32 v25, 2, v19
	;;#ASMSTART
	v_nop
 v_nop
 v_max_f32_dpp v18, v18, v18 row_ror:8
	;;#ASMEND
	ds_bpermute_b32 v18, v25, v18
	s_waitcnt lgkmcnt(0)
	;;#ASMSTART
	v_nop
 v_nop
 v_max_f32_dpp v18, v18, v18 row_ror:4
	;;#ASMEND
	s_nop 0
	;;#ASMSTART
	v_nop
 v_nop
 v_max_f32_dpp v24, v18, v18 row_ror:8
	;;#ASMEND
	s_nop 0
	v_sub_f32_e32 v18, v20, v24
	v_mul_f32_e32 v18, 0x3fb8aa3b, v18
	v_sub_f32_e32 v19, v21, v24
	v_exp_f32_e32 v18, v18
	v_mul_f32_e32 v19, 0x3fb8aa3b, v19
	v_sub_f32_e32 v21, v22, v24
	v_exp_f32_e32 v19, v19
	;; [unrolled: 3-line block ×3, first 2 shown]
	v_mul_f32_e32 v22, 0x3fb8aa3b, v22
	v_exp_f32_e32 v22, v22
	v_cndmask_b32_e32 v18, 0, v18, vcc
	v_add_f32_e32 v20, 0, v18
	v_cndmask_b32_e64 v19, 0, v19, s[0:1]
	v_add_f32_e32 v23, v20, v19
	v_cndmask_b32_e64 v20, 0, v21, s[4:5]
	;; [unrolled: 2-line block ×3, first 2 shown]
	v_add_f32_e32 v22, v23, v21
	;;#ASMSTART
	v_nop
 v_nop
 v_add_f32_dpp v22, v22, v22 row_ror:4
	;;#ASMEND
	v_cmp_gt_u32_e32 vcc, 4, v32
	;;#ASMSTART
	v_nop
 v_nop
 v_add_f32_dpp v22, v22, v22 row_ror:8
	;;#ASMEND
	ds_bpermute_b32 v22, v25, v22
	s_waitcnt lgkmcnt(0)
	;;#ASMSTART
	v_nop
 v_nop
 v_add_f32_dpp v22, v22, v22 row_ror:4
	;;#ASMEND
	s_nop 0
	;;#ASMSTART
	v_nop
 v_nop
 v_add_f32_dpp v22, v22, v22 row_ror:8
	;;#ASMEND
	s_and_saveexec_b64 s[0:1], vcc
	s_cbranch_execz .LBB810_18
; %bb.17:
	v_mul_u32_u24_e32 v23, 20, v1
	v_lshl_add_u32 v23, v33, 2, v23
	v_add_u32_e32 v23, 0x800, v23
	ds_write2_b32 v23, v24, v22 offset0:128 offset1:148
.LBB810_18:
	s_or_b64 exec, exec, s[0:1]
.LBB810_19:
	s_or_b64 exec, exec, s[26:27]
	s_waitcnt lgkmcnt(0)
	s_barrier
	s_load_dword s0, s[24:25], 0x8
	v_lshlrev_b32_e32 v22, 2, v33
	v_add_u32_e32 v30, 0x800, v22
	ds_read2_b32 v[22:23], v30 offset0:128 offset1:133
	ds_read2_b32 v[26:27], v30 offset0:138 offset1:143
	s_mul_i32 s1, s2, s33
	s_waitcnt lgkmcnt(0)
	s_mul_i32 s0, s1, s0
	s_mov_b32 s1, 0xff7fffff
	v_max3_f32 v25, v22, s1, v23
	v_max3_f32 v25, v25, v26, v27
	v_sub_f32_e32 v22, v22, v25
	v_mul_f32_e32 v22, 0x3fb8aa3b, v22
	ds_read2_b32 v[28:29], v30 offset0:148 offset1:153
	v_exp_f32_e32 v31, v22
	v_sub_f32_e32 v22, v23, v25
	v_sub_f32_e32 v26, v26, v25
	v_mul_f32_e32 v22, 0x3fb8aa3b, v22
	v_mul_f32_e32 v26, 0x3fb8aa3b, v26
	v_exp_f32_e32 v34, v22
	ds_read2_b32 v[22:23], v30 offset0:158 offset1:163
	v_exp_f32_e32 v30, v26
	v_sub_f32_e32 v26, v27, v25
	v_mul_f32_e32 v26, 0x3fb8aa3b, v26
	v_exp_f32_e32 v27, v26
	s_waitcnt lgkmcnt(1)
	v_fma_f32 v26, v31, v28, 0
	v_fmac_f32_e32 v26, v34, v29
	s_waitcnt lgkmcnt(0)
	v_fmac_f32_e32 v26, v30, v22
	s_mul_i32 s0, s0, 3
	v_fmac_f32_e32 v26, v27, v23
	v_cmp_ne_u32_e32 vcc, 3, v33
	s_and_saveexec_b64 s[2:3], vcc
	s_cbranch_execz .LBB810_21
; %bb.20:
	s_mov_b32 s1, 0
	s_lshl_b64 s[4:5], s[0:1], 2
	s_add_u32 s12, s12, s4
	s_mov_b32 s21, s1
	s_addc_u32 s13, s13, s5
	s_lshl_b64 s[8:9], s[20:21], 2
	s_add_u32 s12, s12, s8
	s_addc_u32 s13, s13, s9
	s_add_u32 s1, s14, s4
	s_addc_u32 s5, s15, s5
	v_add_u32_e32 v22, s38, v33
	s_add_u32 s4, s1, s8
	v_mul_lo_u32 v22, s33, v22
	v_mov_b32_e32 v23, 0
	s_addc_u32 s5, s5, s9
	v_lshlrev_b64 v[22:23], 2, v[22:23]
	v_lshl_add_u64 v[28:29], s[12:13], 0, v[22:23]
	v_lshl_add_u64 v[22:23], s[4:5], 0, v[22:23]
	global_store_dword v[22:23], v25, off
	global_store_dword v[28:29], v26, off
.LBB810_21:
	s_or_b64 exec, exec, s[2:3]
	v_mov_b32_e32 v22, 0
	v_mov_b32_e32 v23, 0
	s_and_saveexec_b64 s[2:3], s[6:7]
	s_cbranch_execz .LBB810_23
; %bb.22:
	v_add_f32_e32 v22, 0x358637bd, v26
	v_div_scale_f32 v23, s[4:5], v22, v22, 1.0
	v_rcp_f32_e32 v26, v23
	v_div_scale_f32 v27, vcc, 1.0, v22, 1.0
	v_sub_f32_e32 v24, v24, v25
	v_fma_f32 v28, -v23, v26, 1.0
	v_fmac_f32_e32 v26, v28, v26
	v_mul_f32_e32 v28, v27, v26
	v_fma_f32 v29, -v23, v28, v27
	v_mul_f32_e32 v24, 0x3fb8aa3b, v24
	v_fmac_f32_e32 v28, v29, v26
	v_exp_f32_e32 v24, v24
	v_fma_f32 v23, -v23, v28, v27
	v_div_fmas_f32 v23, v23, v26, v28
	v_div_fixup_f32 v22, v23, v22, 1.0
	v_mul_f32_e32 v22, v24, v22
	v_pk_mul_f32 v[20:21], v[20:21], v[22:23] op_sel_hi:[1,0]
	v_pk_mul_f32 v[18:19], v[18:19], v[22:23] op_sel_hi:[1,0]
	v_cvt_f16_f32_e32 v22, v20
	v_cvt_f16_f32_e32 v18, v18
	;; [unrolled: 1-line block ×4, first 2 shown]
	s_waitcnt vmcnt(3)
	v_cvt_pk_f32_fp8_e32 v[20:21], v6
	v_cvt_pk_f32_fp8_e32 v[24:25], v7
	v_pack_b32_f16 v18, v18, v19
	v_pack_b32_f16 v19, v22, v23
	v_cvt_pk_f32_fp8_sdwa v[22:23], v6 src0_sel:WORD_1
	v_cvt_pkrtz_f16_f32 v6, v20, v21
	v_cvt_pk_f32_fp8_sdwa v[20:21], v7 src0_sel:WORD_1
	s_load_dword s4, s[10:11], 0x0
	v_cvt_pkrtz_f16_f32 v7, v22, v23
	v_cvt_pkrtz_f16_f32 v22, v24, v25
	;; [unrolled: 1-line block ×3, first 2 shown]
	v_mfma_f32_4x4x4_16b_f16 a[0:3], v[18:19], v[6:7], 0 cbsz:4
	v_cvt_pk_f32_fp8_e32 v[6:7], v8
	v_cvt_pk_f32_fp8_sdwa v[20:21], v8 src0_sel:WORD_1
	v_mfma_f32_4x4x4_16b_f16 a[0:3], v[18:19], v[22:23], a[0:3] cbsz:4 abid:1
	v_cvt_pk_f32_fp8_e32 v[22:23], v9
	v_cvt_pk_f32_fp8_sdwa v[8:9], v9 src0_sel:WORD_1
	v_cvt_pkrtz_f16_f32 v6, v6, v7
	v_cvt_pkrtz_f16_f32 v7, v20, v21
	;; [unrolled: 1-line block ×4, first 2 shown]
	v_mfma_f32_4x4x4_16b_f16 a[0:3], v[18:19], v[6:7], a[0:3] cbsz:4 abid:2
	s_waitcnt vmcnt(2)
	v_cvt_pk_f32_fp8_e32 v[6:7], v2
	v_cvt_pk_f32_fp8_sdwa v[8:9], v2 src0_sel:WORD_1
	v_mfma_f32_4x4x4_16b_f16 a[0:3], v[18:19], v[20:21], a[0:3] cbsz:4 abid:3
	v_cvt_pk_f32_fp8_e32 v[20:21], v3
	v_cvt_pkrtz_f16_f32 v2, v6, v7
	v_cvt_pk_f32_fp8_sdwa v[6:7], v3 src0_sel:WORD_1
	v_cvt_pkrtz_f16_f32 v3, v8, v9
	v_cvt_pkrtz_f16_f32 v8, v20, v21
	s_mov_b32 s1, 0x5040100
	v_mfma_f32_4x4x4_16b_f16 a[0:3], v[18:19], v[2:3], a[0:3] cbsz:4 abid:4
	v_cvt_pkrtz_f16_f32 v9, v6, v7
	v_cvt_pk_f32_fp8_e32 v[2:3], v4
	v_cvt_pk_f32_fp8_sdwa v[6:7], v4 src0_sel:WORD_1
	v_mfma_f32_4x4x4_16b_f16 a[0:3], v[18:19], v[8:9], a[0:3] cbsz:4 abid:5
	v_cvt_pk_f32_fp8_e32 v[8:9], v5
	v_cvt_pk_f32_fp8_sdwa v[4:5], v5 src0_sel:WORD_1
	v_cvt_pkrtz_f16_f32 v2, v2, v3
	v_cvt_pkrtz_f16_f32 v3, v6, v7
	;; [unrolled: 1-line block ×4, first 2 shown]
	v_mfma_f32_4x4x4_16b_f16 a[0:3], v[18:19], v[2:3], a[0:3] cbsz:4 abid:6
	s_waitcnt vmcnt(1)
	v_cvt_pk_f32_fp8_e32 v[2:3], v14
	v_cvt_pk_f32_fp8_sdwa v[4:5], v14 src0_sel:WORD_1
	v_mfma_f32_4x4x4_16b_f16 a[0:3], v[18:19], v[6:7], a[0:3] cbsz:4 abid:7
	v_cvt_pk_f32_fp8_e32 v[6:7], v15
	v_cvt_pk_f32_fp8_sdwa v[8:9], v15 src0_sel:WORD_1
	v_cvt_pkrtz_f16_f32 v2, v2, v3
	v_cvt_pkrtz_f16_f32 v3, v4, v5
	;; [unrolled: 1-line block ×4, first 2 shown]
	v_mfma_f32_4x4x4_16b_f16 a[0:3], v[18:19], v[2:3], a[0:3] cbsz:4 abid:8
	v_cvt_pk_f32_fp8_e32 v[2:3], v16
	v_cvt_pk_f32_fp8_e32 v[6:7], v17
	v_mfma_f32_4x4x4_16b_f16 a[0:3], v[18:19], v[4:5], a[0:3] cbsz:4 abid:9
	v_cvt_pk_f32_fp8_sdwa v[4:5], v16 src0_sel:WORD_1
	v_cvt_pk_f32_fp8_sdwa v[8:9], v17 src0_sel:WORD_1
	v_cvt_pkrtz_f16_f32 v2, v2, v3
	v_cvt_pkrtz_f16_f32 v3, v4, v5
	;; [unrolled: 1-line block ×3, first 2 shown]
	s_nop 0
	v_mfma_f32_4x4x4_16b_f16 a[0:3], v[18:19], v[2:3], a[0:3] cbsz:4 abid:10
	v_cvt_pkrtz_f16_f32 v5, v8, v9
	s_waitcnt vmcnt(0)
	v_cvt_pk_f32_fp8_e32 v[2:3], v10
	v_cvt_pk_f32_fp8_e32 v[6:7], v11
	v_mfma_f32_4x4x4_16b_f16 a[0:3], v[18:19], v[4:5], a[0:3] cbsz:4 abid:11
	v_cvt_pk_f32_fp8_sdwa v[4:5], v10 src0_sel:WORD_1
	v_cvt_pk_f32_fp8_sdwa v[8:9], v11 src0_sel:WORD_1
	v_cvt_pkrtz_f16_f32 v2, v2, v3
	v_cvt_pkrtz_f16_f32 v3, v4, v5
	;; [unrolled: 1-line block ×3, first 2 shown]
	s_nop 0
	v_mfma_f32_4x4x4_16b_f16 a[0:3], v[18:19], v[2:3], a[0:3] cbsz:4 abid:12
	v_cvt_pkrtz_f16_f32 v5, v8, v9
	v_cvt_pk_f32_fp8_e32 v[2:3], v12
	v_cvt_pk_f32_fp8_e32 v[6:7], v13
	v_mfma_f32_4x4x4_16b_f16 a[0:3], v[18:19], v[4:5], a[0:3] cbsz:4 abid:13
	v_cvt_pk_f32_fp8_sdwa v[4:5], v12 src0_sel:WORD_1
	v_cvt_pk_f32_fp8_sdwa v[8:9], v13 src0_sel:WORD_1
	v_cvt_pkrtz_f16_f32 v2, v2, v3
	v_cvt_pkrtz_f16_f32 v3, v4, v5
	;; [unrolled: 1-line block ×3, first 2 shown]
	s_nop 0
	v_mfma_f32_4x4x4_16b_f16 a[0:3], v[18:19], v[2:3], a[0:3] cbsz:4 abid:14
	v_cvt_pkrtz_f16_f32 v5, v8, v9
	s_nop 1
	v_mfma_f32_4x4x4_16b_f16 a[0:3], v[18:19], v[4:5], a[0:3] cbsz:4 abid:15
	s_nop 4
	v_accvgpr_read_b32 v5, a1
	v_accvgpr_read_b32 v3, a3
	;; [unrolled: 1-line block ×4, first 2 shown]
	s_waitcnt lgkmcnt(0)
	v_pk_mul_f32 v[2:3], v[2:3], s[4:5] op_sel_hi:[1,0]
	v_pk_mul_f32 v[4:5], v[4:5], s[4:5] op_sel_hi:[1,0]
	v_cvt_f16_f32_e32 v2, v2
	v_cvt_f16_f32_e32 v4, v4
	v_cvt_f16_f32_e32 v5, v5
	v_cvt_f16_f32_e32 v3, v3
	v_perm_b32 v22, v5, v4, s1
	v_perm_b32 v23, v3, v2, s1
.LBB810_23:
	s_or_b64 exec, exec, s[2:3]
	v_lshlrev_b32_e32 v1, 3, v1
	v_mad_u32_u24 v1, v32, 40, v1
	v_cmp_gt_u32_e32 vcc, 64, v0
	ds_write_b64 v1, v[22:23]
	s_waitcnt lgkmcnt(0)
	s_barrier
	s_and_saveexec_b64 s[2:3], vcc
	s_cbranch_execz .LBB810_25
; %bb.24:
	v_mul_u32_u24_e32 v1, 40, v32
	s_waitcnt vmcnt(2)
	ds_read2_b64 v[2:5], v1 offset1:1
	ds_read2_b64 v[6:9], v1 offset0:2 offset1:3
	s_mov_b32 s1, 0
	s_lshl_b32 s0, s0, 6
	s_lshl_b64 s[2:3], s[0:1], 1
	s_add_u32 s2, s22, s2
	s_addc_u32 s3, s23, s3
	s_lshl_b32 s0, s20, 6
	s_lshl_b64 s[0:1], s[0:1], 1
	s_waitcnt lgkmcnt(1)
	v_pk_add_f16 v1, v2, 0
	v_pk_add_f16 v2, v3, 0
	s_add_u32 s0, s2, s0
	v_pk_add_f16 v2, v2, v5
	s_addc_u32 s1, s3, s1
	s_lshl_b32 s2, s33, 6
	v_pk_add_f16 v1, v1, v4
	s_waitcnt lgkmcnt(0)
	v_pk_add_f16 v2, v2, v7
	s_mul_i32 s3, s2, s38
	v_pk_add_f16 v1, v1, v6
	v_pk_add_f16 v6, v2, v9
	v_or_b32_e32 v2, s3, v0
	v_mov_b32_e32 v3, 0
	s_add_i32 s3, s3, s2
	v_pk_add_f16 v1, v1, v8
	v_lshl_add_u64 v[4:5], v[2:3], 1, s[0:1]
	v_or_b32_e32 v2, s3, v0
	s_add_i32 s3, s3, s2
	global_store_short v[4:5], v1, off
	v_lshl_add_u64 v[4:5], v[2:3], 1, s[0:1]
	v_or_b32_e32 v2, s3, v0
	global_store_short_d16_hi v[4:5], v1, off
	v_lshl_add_u64 v[0:1], v[2:3], 1, s[0:1]
	global_store_short v[0:1], v6, off
.LBB810_25:
	s_endpgm
	.section	.rodata,"a",@progbits
	.p2align	6, 0x0
	.amdhsa_kernel _Z38paged_attention_ll4mi_QKV_mfma4_kernelIDF16_hLN4vllm18Fp8KVCacheDataTypeE1EDF16_Li16ELi64ELi256ELb1ELi3EEvPKT_PKT0_S7_ifPKiS9_S9_iPKfiiiPfSC_PS2_PT2_iSB_SB_
		.amdhsa_group_segment_fixed_size 2720
		.amdhsa_private_segment_fixed_size 0
		.amdhsa_kernarg_size 400
		.amdhsa_user_sgpr_count 2
		.amdhsa_user_sgpr_dispatch_ptr 0
		.amdhsa_user_sgpr_queue_ptr 0
		.amdhsa_user_sgpr_kernarg_segment_ptr 1
		.amdhsa_user_sgpr_dispatch_id 0
		.amdhsa_user_sgpr_kernarg_preload_length 0
		.amdhsa_user_sgpr_kernarg_preload_offset 0
		.amdhsa_user_sgpr_private_segment_size 0
		.amdhsa_uses_dynamic_stack 0
		.amdhsa_enable_private_segment 0
		.amdhsa_system_sgpr_workgroup_id_x 1
		.amdhsa_system_sgpr_workgroup_id_y 1
		.amdhsa_system_sgpr_workgroup_id_z 1
		.amdhsa_system_sgpr_workgroup_info 0
		.amdhsa_system_vgpr_workitem_id 0
		.amdhsa_next_free_vgpr 52
		.amdhsa_next_free_sgpr 44
		.amdhsa_accum_offset 48
		.amdhsa_reserve_vcc 1
		.amdhsa_float_round_mode_32 0
		.amdhsa_float_round_mode_16_64 0
		.amdhsa_float_denorm_mode_32 3
		.amdhsa_float_denorm_mode_16_64 3
		.amdhsa_dx10_clamp 1
		.amdhsa_ieee_mode 1
		.amdhsa_fp16_overflow 0
		.amdhsa_tg_split 0
		.amdhsa_exception_fp_ieee_invalid_op 0
		.amdhsa_exception_fp_denorm_src 0
		.amdhsa_exception_fp_ieee_div_zero 0
		.amdhsa_exception_fp_ieee_overflow 0
		.amdhsa_exception_fp_ieee_underflow 0
		.amdhsa_exception_fp_ieee_inexact 0
		.amdhsa_exception_int_div_zero 0
	.end_amdhsa_kernel
	.section	.text._Z38paged_attention_ll4mi_QKV_mfma4_kernelIDF16_hLN4vllm18Fp8KVCacheDataTypeE1EDF16_Li16ELi64ELi256ELb1ELi3EEvPKT_PKT0_S7_ifPKiS9_S9_iPKfiiiPfSC_PS2_PT2_iSB_SB_,"axG",@progbits,_Z38paged_attention_ll4mi_QKV_mfma4_kernelIDF16_hLN4vllm18Fp8KVCacheDataTypeE1EDF16_Li16ELi64ELi256ELb1ELi3EEvPKT_PKT0_S7_ifPKiS9_S9_iPKfiiiPfSC_PS2_PT2_iSB_SB_,comdat
.Lfunc_end810:
	.size	_Z38paged_attention_ll4mi_QKV_mfma4_kernelIDF16_hLN4vllm18Fp8KVCacheDataTypeE1EDF16_Li16ELi64ELi256ELb1ELi3EEvPKT_PKT0_S7_ifPKiS9_S9_iPKfiiiPfSC_PS2_PT2_iSB_SB_, .Lfunc_end810-_Z38paged_attention_ll4mi_QKV_mfma4_kernelIDF16_hLN4vllm18Fp8KVCacheDataTypeE1EDF16_Li16ELi64ELi256ELb1ELi3EEvPKT_PKT0_S7_ifPKiS9_S9_iPKfiiiPfSC_PS2_PT2_iSB_SB_
                                        ; -- End function
	.section	.AMDGPU.csdata,"",@progbits
; Kernel info:
; codeLenInByte = 4048
; NumSgprs: 50
; NumVgprs: 46
; NumAgprs: 4
; TotalNumVgprs: 52
; ScratchSize: 0
; MemoryBound: 0
; FloatMode: 240
; IeeeMode: 1
; LDSByteSize: 2720 bytes/workgroup (compile time only)
; SGPRBlocks: 6
; VGPRBlocks: 6
; NumSGPRsForWavesPerEU: 50
; NumVGPRsForWavesPerEU: 52
; AccumOffset: 48
; Occupancy: 8
; WaveLimiterHint : 1
; COMPUTE_PGM_RSRC2:SCRATCH_EN: 0
; COMPUTE_PGM_RSRC2:USER_SGPR: 2
; COMPUTE_PGM_RSRC2:TRAP_HANDLER: 0
; COMPUTE_PGM_RSRC2:TGID_X_EN: 1
; COMPUTE_PGM_RSRC2:TGID_Y_EN: 1
; COMPUTE_PGM_RSRC2:TGID_Z_EN: 1
; COMPUTE_PGM_RSRC2:TIDIG_COMP_CNT: 0
; COMPUTE_PGM_RSRC3_GFX90A:ACCUM_OFFSET: 11
; COMPUTE_PGM_RSRC3_GFX90A:TG_SPLIT: 0
	.section	.text._Z38paged_attention_ll4mi_QKV_mfma4_kernelIDF16_hLN4vllm18Fp8KVCacheDataTypeE1EDF16_Li16ELi64ELi256ELb1ELi4EEvPKT_PKT0_S7_ifPKiS9_S9_iPKfiiiPfSC_PS2_PT2_iSB_SB_,"axG",@progbits,_Z38paged_attention_ll4mi_QKV_mfma4_kernelIDF16_hLN4vllm18Fp8KVCacheDataTypeE1EDF16_Li16ELi64ELi256ELb1ELi4EEvPKT_PKT0_S7_ifPKiS9_S9_iPKfiiiPfSC_PS2_PT2_iSB_SB_,comdat
	.protected	_Z38paged_attention_ll4mi_QKV_mfma4_kernelIDF16_hLN4vllm18Fp8KVCacheDataTypeE1EDF16_Li16ELi64ELi256ELb1ELi4EEvPKT_PKT0_S7_ifPKiS9_S9_iPKfiiiPfSC_PS2_PT2_iSB_SB_ ; -- Begin function _Z38paged_attention_ll4mi_QKV_mfma4_kernelIDF16_hLN4vllm18Fp8KVCacheDataTypeE1EDF16_Li16ELi64ELi256ELb1ELi4EEvPKT_PKT0_S7_ifPKiS9_S9_iPKfiiiPfSC_PS2_PT2_iSB_SB_
	.globl	_Z38paged_attention_ll4mi_QKV_mfma4_kernelIDF16_hLN4vllm18Fp8KVCacheDataTypeE1EDF16_Li16ELi64ELi256ELb1ELi4EEvPKT_PKT0_S7_ifPKiS9_S9_iPKfiiiPfSC_PS2_PT2_iSB_SB_
	.p2align	8
	.type	_Z38paged_attention_ll4mi_QKV_mfma4_kernelIDF16_hLN4vllm18Fp8KVCacheDataTypeE1EDF16_Li16ELi64ELi256ELb1ELi4EEvPKT_PKT0_S7_ifPKiS9_S9_iPKfiiiPfSC_PS2_PT2_iSB_SB_,@function
_Z38paged_attention_ll4mi_QKV_mfma4_kernelIDF16_hLN4vllm18Fp8KVCacheDataTypeE1EDF16_Li16ELi64ELi256ELb1ELi4EEvPKT_PKT0_S7_ifPKiS9_S9_iPKfiiiPfSC_PS2_PT2_iSB_SB_: ; @_Z38paged_attention_ll4mi_QKV_mfma4_kernelIDF16_hLN4vllm18Fp8KVCacheDataTypeE1EDF16_Li16ELi64ELi256ELb1ELi4EEvPKT_PKT0_S7_ifPKiS9_S9_iPKfiiiPfSC_PS2_PT2_iSB_SB_
; %bb.0:
	s_load_dwordx2 s[16:17], s[0:1], 0x30
	s_mov_b32 s24, s3
	s_mov_b64 s[6:7], 0
	s_waitcnt lgkmcnt(0)
	s_cmp_lg_u64 s[16:17], 0
	s_cselect_b64 s[18:19], -1, 0
	s_and_b64 vcc, exec, s[18:19]
	s_cbranch_vccz .LBB811_18
; %bb.1:
	s_add_i32 s8, s2, 1
	s_mov_b32 s9, 0
	s_lshl_b64 s[10:11], s[8:9], 2
	s_add_u32 s10, s16, s10
	s_mov_b32 s3, s9
	s_addc_u32 s11, s17, s11
	s_lshl_b64 s[8:9], s[2:3], 2
	s_add_u32 s8, s16, s8
	s_addc_u32 s9, s17, s9
	s_load_dword s5, s[10:11], 0x0
	s_load_dword s12, s[8:9], 0x0
	s_mov_b64 s[34:35], s[2:3]
	s_waitcnt lgkmcnt(0)
	s_sub_i32 s5, s5, s12
	s_cmp_eq_u32 s5, 1
	s_cselect_b64 s[8:9], -1, 0
	s_andn2_b64 vcc, exec, s[6:7]
	s_cbranch_vccnz .LBB811_3
.LBB811_2:
	s_mov_b32 s3, 0
	s_mov_b64 s[8:9], -1
	s_mov_b64 s[34:35], s[2:3]
.LBB811_3:
	s_andn2_b64 vcc, exec, s[8:9]
	s_cbranch_vccnz .LBB811_17
; %bb.4:
	s_load_dword s3, s[0:1], 0x9c
	s_load_dwordx2 s[6:7], s[0:1], 0x28
	s_add_u32 s28, s0, 0x90
	s_addc_u32 s29, s1, 0
	s_lshl_b64 s[38:39], s[34:35], 2
	s_waitcnt lgkmcnt(0)
	s_and_b32 s5, s3, 0xffff
	s_add_u32 s6, s6, s38
	s_addc_u32 s7, s7, s39
	s_load_dword s3, s[6:7], 0x0
	s_mul_i32 s5, s24, s5
	s_waitcnt lgkmcnt(0)
	s_cmp_ge_i32 s5, s3
	s_cbranch_scc1 .LBB811_17
; %bb.5:
	v_and_b32_e32 v2, 0xc0, v0
	v_and_b32_e32 v25, 3, v0
	s_lshl_b32 s33, s4, 2
	v_add_u32_e32 v4, s5, v2
	v_lshrrev_b32_e32 v1, 6, v0
	v_cmp_gt_i32_e64 s[6:7], s3, v4
	v_cmp_le_i32_e32 vcc, s3, v4
	v_or_b32_e32 v22, s33, v25
                                        ; implicit-def: $sgpr21
                                        ; implicit-def: $sgpr20
	s_and_saveexec_b64 s[8:9], vcc
	s_xor_b64 s[8:9], exec, s[8:9]
	s_cbranch_execz .LBB811_7
; %bb.6:
	v_mul_u32_u24_e32 v2, 20, v1
	v_or_b32_e32 v2, 0xa00, v2
	v_mov_b32_e32 v3, 0xa50
	v_mov_b32_e32 v4, 0xff7fffff
	v_mad_u32_u24 v3, v1, 20, v3
	ds_write2_b32 v2, v4, v4 offset1:1
	v_mov_b32_e32 v2, 0
	ds_write2_b32 v3, v2, v2 offset1:1
	v_mov_b32_e32 v3, 0xa08
	s_mov_b32 s20, 0xff7fffff
	s_mov_b32 s21, 0
	v_mad_u32_u24 v3, v1, 20, v3
	v_mov_b32_e32 v5, 0xa58
	v_or_b32_e32 v22, s33, v25
	v_mad_u32_u24 v5, v1, 20, v5
	ds_write2_b32 v3, v4, v4 offset1:1
	ds_write2_b32 v5, v2, v2 offset1:1
                                        ; implicit-def: $vgpr4
.LBB811_7:
	s_or_saveexec_b64 s[30:31], s[8:9]
	s_load_dwordx2 s[26:27], s[0:1], 0x68
	s_load_dwordx4 s[12:15], s[0:1], 0x58
	s_load_dword s44, s[28:29], 0x4
	s_load_dwordx4 s[8:11], s[0:1], 0x80
	v_and_b32_e32 v24, 63, v0
	v_mov_b32_e32 v21, s21
	v_mov_b32_e32 v26, s20
	;; [unrolled: 1-line block ×5, first 2 shown]
                                        ; implicit-def: $vgpr14_vgpr15
                                        ; implicit-def: $vgpr10_vgpr11
                                        ; implicit-def: $vgpr6_vgpr7
                                        ; implicit-def: $vgpr2_vgpr3
	s_xor_b64 exec, exec, s[30:31]
	s_cbranch_execz .LBB811_13
; %bb.8:
	s_load_dwordx2 s[20:21], s[0:1], 0x20
	s_load_dword s22, s[0:1], 0x38
	s_add_i32 s23, s3, 15
	s_ashr_i32 s25, s23, 31
	s_lshr_b32 s25, s25, 28
	v_add_u32_e32 v26, s5, v0
	s_add_i32 s23, s23, s25
	v_ashrrev_i32_e32 v2, 31, v26
	s_ashr_i32 s23, s23, 4
	v_lshrrev_b32_e32 v2, 28, v2
	s_add_i32 s25, s23, -1
	s_waitcnt lgkmcnt(0)
	s_mul_i32 s40, s2, s22
	s_mov_b32 s41, 0
	v_add_u32_e32 v2, v26, v2
	s_lshl_b64 s[22:23], s[40:41], 2
	v_ashrrev_i32_e32 v2, 4, v2
	v_mov_b32_e32 v3, s25
	v_cmp_gt_i32_e32 vcc, s3, v26
	s_add_u32 s20, s20, s22
	s_addc_u32 s21, s21, s23
	v_cndmask_b32_e32 v2, v3, v2, vcc
	v_ashrrev_i32_e32 v3, 31, v2
	v_lshl_add_u64 v[8:9], v[2:3], 2, s[20:21]
	v_ashrrev_i32_e32 v2, 31, v4
	v_lshrrev_b32_e32 v2, 28, v2
	v_add_u32_e32 v2, v4, v2
	v_ashrrev_i32_e32 v4, 4, v2
	v_min_i32_e32 v2, s25, v4
	v_ashrrev_i32_e32 v3, 31, v2
	v_lshl_add_u64 v[10:11], v[2:3], 2, s[20:21]
	v_add_u32_e32 v2, 1, v4
	v_min_i32_e32 v2, s25, v2
	v_ashrrev_i32_e32 v3, 31, v2
	v_lshl_add_u64 v[12:13], v[2:3], 2, s[20:21]
	v_add_u32_e32 v2, 2, v4
	;; [unrolled: 4-line block ×3, first 2 shown]
	v_min_i32_e32 v2, s25, v2
	v_ashrrev_i32_e32 v3, 31, v2
	v_lshl_add_u64 v[16:17], v[2:3], 2, s[20:21]
	global_load_dword v6, v[8:9], off
	global_load_dword v5, v[10:11], off
	;; [unrolled: 1-line block ×5, first 2 shown]
	s_load_dwordx2 s[42:43], s[0:1], 0x40
	s_load_dwordx4 s[20:23], s[0:1], 0x0
	s_load_dwordx2 s[36:37], s[0:1], 0x10
	s_andn2_b64 vcc, exec, s[18:19]
	s_cbranch_vccnz .LBB811_10
; %bb.9:
	s_add_u32 s16, s16, s38
	s_addc_u32 s17, s17, s39
	s_load_dword s40, s[16:17], 0x0
	s_waitcnt lgkmcnt(0)
	s_mov_b64 s[34:35], s[40:41]
.LBB811_10:
	s_load_dwordx4 s[16:19], s[0:1], 0x48
	s_load_dword s5, s[0:1], 0x1c
	v_lshlrev_b32_e32 v10, 3, v25
	v_cmp_eq_u32_e32 vcc, 0, v25
	s_waitcnt lgkmcnt(0)
	s_ashr_i32 s1, s16, 31
	s_mul_hi_u32 s19, s34, s16
	s_mul_i32 s1, s34, s1
	s_mul_i32 s25, s35, s16
	s_add_i32 s1, s19, s1
	s_mul_i32 s0, s34, s16
	s_add_i32 s1, s1, s25
	s_lshl_b64 s[0:1], s[0:1], 1
	s_add_u32 s16, s20, s0
	s_addc_u32 s19, s21, s1
	s_lshl_b32 s40, s4, 8
	s_lshl_b64 s[0:1], s[40:41], 1
	s_add_u32 s0, s16, s0
	s_addc_u32 s1, s19, s1
	s_mul_i32 s4, s4, s18
	s_add_u32 s18, s4, s22
	s_addc_u32 s19, 0, s23
	v_mov_b64_e32 v[8:9], s[18:19]
	s_waitcnt vmcnt(4)
	v_mad_i64_i32 v[6:7], s[18:19], v6, s17, v[8:9]
	v_lshlrev_b32_e32 v8, 4, v0
	v_and_b32_e32 v8, 0xf0, v8
	v_mov_b32_e32 v9, 0
	v_lshl_add_u64 v[6:7], v[6:7], 0, v[8:9]
	v_lshrrev_b32_e32 v8, 2, v24
	v_add_lshl_u32 v8, v10, v8, 4
	global_load_dwordx4 v[28:31], v[6:7], off
	global_load_dwordx4 v[32:35], v[6:7], off offset:256
	global_load_dwordx4 v[18:21], v[6:7], off offset:512
	global_load_dwordx4 v[36:39], v8, s[0:1]
	global_load_dwordx4 v[40:43], v[6:7], off offset:768
	v_mov_b32_e32 v23, v9
	v_lshl_add_u64 v[10:11], v[22:23], 2, s[42:43]
	global_load_dword v23, v[10:11], off
	s_waitcnt vmcnt(9)
	v_mul_hi_i32 v8, v5, s17
	s_add_u32 s0, s36, s4
	s_waitcnt vmcnt(8)
	v_mul_hi_i32 v10, v4, s17
	v_ashrrev_i32_e32 v13, 31, v8
	s_addc_u32 s1, s37, 0
	v_lshlrev_b32_e32 v8, 4, v24
	s_waitcnt vmcnt(7)
	v_mul_hi_i32 v11, v3, s17
	v_ashrrev_i32_e32 v14, 31, v10
	v_lshl_add_u64 v[6:7], s[0:1], 0, v[8:9]
	v_lshrrev_b32_e32 v8, 29, v13
	s_waitcnt vmcnt(6)
	v_mul_hi_i32 v12, v2, s17
	v_ashrrev_i32_e32 v15, 31, v11
	v_mad_i64_i32 v[10:11], s[0:1], v5, s17, v[8:9]
	v_lshrrev_b32_e32 v8, 29, v14
	v_ashrrev_i32_e32 v12, 31, v12
	v_and_b32_e32 v10, -8, v10
	v_mad_i64_i32 v[4:5], s[0:1], v4, s17, v[8:9]
	v_lshrrev_b32_e32 v8, 29, v15
	v_lshl_add_u64 v[44:45], v[6:7], 0, v[10:11]
	v_mad_i64_i32 v[10:11], s[0:1], v3, s17, v[8:9]
	v_lshrrev_b32_e32 v8, 29, v12
	v_mad_i64_i32 v[2:3], s[0:1], v2, s17, v[8:9]
	v_and_b32_e32 v4, -8, v4
	v_and_b32_e32 v10, -8, v10
	;; [unrolled: 1-line block ×3, first 2 shown]
	v_lshl_add_u64 v[4:5], v[6:7], 0, v[4:5]
	v_lshl_add_u64 v[46:47], v[6:7], 0, v[10:11]
	global_load_dwordx4 v[14:17], v[44:45], off
	global_load_dwordx4 v[10:13], v[4:5], off
	v_lshl_add_u64 v[44:45], v[6:7], 0, v[2:3]
	global_load_dwordx4 v[6:9], v[46:47], off
	global_load_dwordx4 v[2:5], v[44:45], off
	s_load_dword s0, s[8:9], 0x0
	s_waitcnt vmcnt(9)
	v_cvt_pk_f32_fp8_e32 v[44:45], v28
	v_cvt_pk_f32_fp8_sdwa v[46:47], v28 src0_sel:WORD_1
	v_cvt_pk_f32_fp8_e32 v[48:49], v29
	v_cvt_pk_f32_fp8_sdwa v[28:29], v29 src0_sel:WORD_1
	;; [unrolled: 2-line block ×3, first 2 shown]
	v_cvt_pkrtz_f16_f32 v44, v44, v45
	v_cvt_pkrtz_f16_f32 v45, v46, v47
	v_cvt_pk_f32_fp8_e32 v[54:55], v31
	v_cvt_pk_f32_fp8_sdwa v[30:31], v31 src0_sel:WORD_1
	s_waitcnt vmcnt(6)
	v_mfma_f32_4x4x4_16b_f16 a[0:3], v[36:37], v[44:45], 0 cbsz:4
	v_cvt_pkrtz_f16_f32 v46, v48, v49
	v_cvt_pkrtz_f16_f32 v47, v28, v29
	v_cvt_pk_f32_fp8_e32 v[56:57], v32
	v_cvt_pk_f32_fp8_sdwa v[58:59], v32 src0_sel:WORD_1
	v_mfma_f32_4x4x4_16b_f16 a[0:3], v[38:39], v[46:47], a[0:3] cbsz:4
	v_cvt_pkrtz_f16_f32 v28, v50, v51
	v_cvt_pkrtz_f16_f32 v29, v52, v53
	v_cvt_pk_f32_fp8_e32 v[60:61], v33
	v_cvt_pk_f32_fp8_sdwa v[32:33], v33 src0_sel:WORD_1
	v_mfma_f32_4x4x4_16b_f16 a[0:3], v[36:37], v[28:29], a[0:3] cbsz:4 abid:1
	v_cvt_pkrtz_f16_f32 v48, v54, v55
	v_cvt_pkrtz_f16_f32 v49, v30, v31
	v_cvt_pk_f32_fp8_e32 v[62:63], v34
	v_cvt_pk_f32_fp8_sdwa v[64:65], v34 src0_sel:WORD_1
	v_mfma_f32_4x4x4_16b_f16 a[0:3], v[38:39], v[48:49], a[0:3] cbsz:4 abid:1
	;; [unrolled: 5-line block ×5, first 2 shown]
	v_cvt_pkrtz_f16_f32 v28, v66, v67
	v_cvt_pkrtz_f16_f32 v29, v34, v35
	v_cvt_pkrtz_f16_f32 v30, v68, v69
	v_cvt_pkrtz_f16_f32 v31, v70, v71
	v_mfma_f32_4x4x4_16b_f16 a[0:3], v[38:39], v[28:29], a[0:3] cbsz:4 abid:3
	v_cvt_pk_f32_fp8_e32 v[74:75], v20
	v_cvt_pkrtz_f16_f32 v29, v18, v19
	v_mfma_f32_4x4x4_16b_f16 a[0:3], v[36:37], v[30:31], a[0:3] cbsz:4 abid:4
	v_cvt_pk_f32_fp8_sdwa v[18:19], v20 src0_sel:WORD_1
	v_cvt_pkrtz_f16_f32 v28, v72, v73
	v_cvt_pkrtz_f16_f32 v30, v74, v75
	;; [unrolled: 1-line block ×3, first 2 shown]
	v_mfma_f32_4x4x4_16b_f16 a[0:3], v[38:39], v[28:29], a[0:3] cbsz:4 abid:4
	v_cvt_pk_f32_fp8_e32 v[28:29], v21
	v_cvt_pk_f32_fp8_sdwa v[20:21], v21 src0_sel:WORD_1
	v_mfma_f32_4x4x4_16b_f16 a[0:3], v[36:37], v[30:31], a[0:3] cbsz:4 abid:5
	s_waitcnt vmcnt(5)
	v_cvt_pk_f32_fp8_sdwa v[30:31], v41 src0_sel:WORD_1
	v_cvt_pkrtz_f16_f32 v18, v28, v29
	v_cvt_pkrtz_f16_f32 v19, v20, v21
	v_cvt_pk_f32_fp8_e32 v[20:21], v40
	v_cvt_pk_f32_fp8_e32 v[28:29], v41
	v_mfma_f32_4x4x4_16b_f16 a[0:3], v[38:39], v[18:19], a[0:3] cbsz:4 abid:5
	v_cvt_pk_f32_fp8_sdwa v[18:19], v40 src0_sel:WORD_1
	v_cvt_pkrtz_f16_f32 v20, v20, v21
	v_cvt_pkrtz_f16_f32 v21, v18, v19
	s_nop 1
	v_mfma_f32_4x4x4_16b_f16 a[0:3], v[36:37], v[20:21], a[0:3] cbsz:4 abid:6
	v_cvt_pkrtz_f16_f32 v18, v28, v29
	v_cvt_pkrtz_f16_f32 v19, v30, v31
	v_cvt_pk_f32_fp8_sdwa v[20:21], v42 src0_sel:WORD_1
	v_cvt_pk_f32_fp8_e32 v[28:29], v43
	v_mfma_f32_4x4x4_16b_f16 a[0:3], v[38:39], v[18:19], a[0:3] cbsz:4 abid:6
	v_cvt_pk_f32_fp8_e32 v[18:19], v42
	v_cvt_pk_f32_fp8_sdwa v[30:31], v43 src0_sel:WORD_1
	v_cvt_pkrtz_f16_f32 v18, v18, v19
	v_cvt_pkrtz_f16_f32 v19, v20, v21
	;; [unrolled: 1-line block ×4, first 2 shown]
	v_mfma_f32_4x4x4_16b_f16 a[0:3], v[36:37], v[18:19], a[0:3] cbsz:4 abid:7
	v_mov_b32_e32 v18, s5
	s_nop 0
	v_mfma_f32_4x4x4_16b_f16 a[0:3], v[38:39], v[20:21], a[0:3] cbsz:4 abid:7
	s_waitcnt lgkmcnt(0)
	v_mul_f32_e32 v20, s0, v18
	s_nop 2
	v_accvgpr_read_b32 v29, a1
	v_accvgpr_read_b32 v28, a0
	v_pk_mul_f32 v[28:29], v[28:29], v[20:21] op_sel_hi:[1,0]
	v_accvgpr_read_b32 v19, a3
	v_accvgpr_read_b32 v18, a2
	v_pk_mul_f32 v[18:19], v[18:19], v[20:21] op_sel_hi:[1,0]
	v_cndmask_b32_e64 v20, 0, 1.0, vcc
	v_cmp_eq_u32_e32 vcc, 1, v25
	s_nop 0
	v_mfma_f32_4x4x1_16b_f32 a[0:3], v28, v20, 0
	v_cndmask_b32_e64 v20, 0, 1.0, vcc
	v_cmp_eq_u32_e32 vcc, 2, v25
	s_nop 0
	v_mfma_f32_4x4x1_16b_f32 a[0:3], v29, v20, a[0:3]
	v_cndmask_b32_e64 v20, 0, 1.0, vcc
	v_cmp_eq_u32_e32 vcc, 3, v25
	v_mov_b32_e32 v29, 0xff7fffff
	v_mfma_f32_4x4x1_16b_f32 a[0:3], v18, v20, a[0:3]
	v_cndmask_b32_e64 v18, 0, 1.0, vcc
	s_nop 1
	v_mfma_f32_4x4x1_16b_f32 a[0:3], v19, v18, a[0:3]
	v_and_b32_e32 v18, -4, v26
	v_subrev_u32_e32 v19, s3, v18
	v_add_u32_e32 v20, 1, v19
	v_cvt_f32_i32_e32 v20, v20
	v_add_u32_e32 v21, 2, v19
	v_cvt_f32_i32_e32 v21, v21
	v_accvgpr_read_b32 v27, a0
	s_waitcnt vmcnt(4)
	v_fma_f32 v20, v23, v20, v27
	v_accvgpr_read_b32 v27, a1
	v_fma_f32 v21, v23, v21, v27
	v_add_u32_e32 v27, 3, v19
	v_cvt_f32_i32_e32 v27, v27
	v_add_u32_e32 v19, 4, v19
	v_cvt_f32_i32_e32 v19, v19
	v_accvgpr_read_b32 v28, a2
	v_fma_f32 v27, v23, v27, v28
	v_accvgpr_read_b32 v28, a3
	v_fmac_f32_e32 v28, v23, v19
	v_max_f32_e32 v23, 0xff7fffff, v20
	v_cmp_gt_i32_e32 vcc, s3, v18
	v_lshlrev_b32_e32 v19, 2, v0
	v_and_or_b32 v19, v19, 48, v25
	v_cndmask_b32_e32 v23, v29, v23, vcc
	v_or_b32_e32 v29, 1, v18
	v_max_f32_e32 v30, v23, v21
	v_cmp_gt_i32_e64 s[0:1], s3, v29
	v_or_b32_e32 v18, 2, v18
	v_cmp_gt_i32_e64 s[4:5], s3, v18
	v_cndmask_b32_e64 v23, v23, v30, s[0:1]
	v_max_f32_e32 v29, v23, v27
	v_cndmask_b32_e64 v18, v23, v29, s[4:5]
	v_or_b32_e32 v23, 3, v26
	v_max_f32_e32 v26, v18, v28
	v_cmp_gt_i32_e64 s[8:9], s3, v23
	v_lshlrev_b32_e32 v23, 2, v19
	s_nop 0
	v_cndmask_b32_e64 v18, v18, v26, s[8:9]
	;;#ASMSTART
	v_nop
 v_nop
 v_max_f32_dpp v18, v18, v18 row_ror:4
	;;#ASMEND
	s_nop 0
	;;#ASMSTART
	v_nop
 v_nop
 v_max_f32_dpp v18, v18, v18 row_ror:8
	;;#ASMEND
	ds_bpermute_b32 v18, v23, v18
	s_waitcnt lgkmcnt(0)
	;;#ASMSTART
	v_nop
 v_nop
 v_max_f32_dpp v18, v18, v18 row_ror:4
	;;#ASMEND
	s_nop 0
	;;#ASMSTART
	v_nop
 v_nop
 v_max_f32_dpp v26, v18, v18 row_ror:8
	;;#ASMEND
	s_nop 0
	v_sub_f32_e32 v18, v20, v26
	v_mul_f32_e32 v18, 0x3fb8aa3b, v18
	v_sub_f32_e32 v19, v21, v26
	v_exp_f32_e32 v18, v18
	v_mul_f32_e32 v19, 0x3fb8aa3b, v19
	v_sub_f32_e32 v21, v27, v26
	v_exp_f32_e32 v19, v19
	v_mul_f32_e32 v21, 0x3fb8aa3b, v21
	v_sub_f32_e32 v27, v28, v26
	v_exp_f32_e32 v21, v21
	v_mul_f32_e32 v27, 0x3fb8aa3b, v27
	v_exp_f32_e32 v27, v27
	v_cndmask_b32_e32 v18, 0, v18, vcc
	v_add_f32_e32 v20, 0, v18
	v_cndmask_b32_e64 v19, 0, v19, s[0:1]
	v_add_f32_e32 v28, v20, v19
	v_cndmask_b32_e64 v20, 0, v21, s[4:5]
	;; [unrolled: 2-line block ×3, first 2 shown]
	v_add_f32_e32 v27, v28, v21
	;;#ASMSTART
	v_nop
 v_nop
 v_add_f32_dpp v27, v27, v27 row_ror:4
	;;#ASMEND
	v_cmp_gt_u32_e32 vcc, 4, v24
	;;#ASMSTART
	v_nop
 v_nop
 v_add_f32_dpp v27, v27, v27 row_ror:8
	;;#ASMEND
	ds_bpermute_b32 v23, v23, v27
	s_waitcnt lgkmcnt(0)
	;;#ASMSTART
	v_nop
 v_nop
 v_add_f32_dpp v23, v23, v23 row_ror:4
	;;#ASMEND
	s_nop 0
	;;#ASMSTART
	v_nop
 v_nop
 v_add_f32_dpp v23, v23, v23 row_ror:8
	;;#ASMEND
	s_and_saveexec_b64 s[0:1], vcc
	s_cbranch_execz .LBB811_12
; %bb.11:
	v_mul_u32_u24_e32 v27, 20, v1
	v_lshl_add_u32 v27, v25, 2, v27
	v_add_u32_e32 v27, 0x800, v27
	ds_write2_b32 v27, v26, v23 offset0:128 offset1:148
.LBB811_12:
	s_or_b64 exec, exec, s[0:1]
.LBB811_13:
	s_or_b64 exec, exec, s[30:31]
	v_lshlrev_b32_e32 v23, 2, v25
	v_add_u32_e32 v23, 0x800, v23
	s_waitcnt lgkmcnt(0)
	s_barrier
	s_load_dword s0, s[28:29], 0x8
	ds_read2_b32 v[28:29], v23 offset0:128 offset1:133
	ds_read2_b32 v[30:31], v23 offset0:138 offset1:143
	s_mov_b32 s4, 0xff7fffff
	s_mul_i32 s1, s2, s44
	ds_read2_b32 v[32:33], v23 offset0:148 offset1:153
	s_waitcnt lgkmcnt(0)
	v_max3_f32 v25, v28, s4, v29
	s_mul_i32 s1, s1, s0
	v_max3_f32 v25, v25, v30, v31
	s_lshl_b32 s0, s1, 2
	s_mov_b32 s1, 0
	v_sub_f32_e32 v27, v28, v25
	v_sub_f32_e32 v28, v29, v25
	s_lshl_b64 s[2:3], s[0:1], 2
	v_mul_f32_e32 v27, 0x3fb8aa3b, v27
	v_mul_f32_e32 v28, 0x3fb8aa3b, v28
	s_mov_b32 s25, s1
	s_add_u32 s1, s12, s2
	v_exp_f32_e32 v27, v27
	v_exp_f32_e32 v34, v28
	ds_read2_b32 v[28:29], v23 offset0:158 offset1:163
	v_sub_f32_e32 v23, v30, v25
	s_addc_u32 s8, s13, s3
	v_mul_f32_e32 v23, 0x3fb8aa3b, v23
	v_sub_f32_e32 v30, v31, v25
	s_add_u32 s4, s14, s2
	v_exp_f32_e32 v23, v23
	v_mul_f32_e32 v30, 0x3fb8aa3b, v30
	s_addc_u32 s5, s15, s3
	s_lshl_b64 s[2:3], s[24:25], 2
	v_exp_f32_e32 v30, v30
	s_add_u32 s4, s4, s2
	v_fma_f32 v27, v27, v32, 0
	s_addc_u32 s5, s5, s3
	v_fmac_f32_e32 v27, v34, v33
	s_waitcnt lgkmcnt(0)
	v_fmac_f32_e32 v27, v23, v28
	s_add_u32 s2, s1, s2
	v_mul_lo_u32 v22, s44, v22
	v_mov_b32_e32 v23, 0
	v_fmac_f32_e32 v27, v30, v29
	s_addc_u32 s3, s8, s3
	v_lshlrev_b64 v[28:29], 2, v[22:23]
	v_lshl_add_u64 v[30:31], s[4:5], 0, v[28:29]
	v_lshl_add_u64 v[28:29], s[2:3], 0, v[28:29]
	v_mov_b32_e32 v22, v23
	global_store_dword v[30:31], v25, off
	global_store_dword v[28:29], v27, off
	s_and_saveexec_b64 s[2:3], s[6:7]
	s_cbranch_execz .LBB811_15
; %bb.14:
	v_add_f32_e32 v22, 0x358637bd, v27
	v_div_scale_f32 v23, s[4:5], v22, v22, 1.0
	v_rcp_f32_e32 v27, v23
	v_div_scale_f32 v28, vcc, 1.0, v22, 1.0
	v_sub_f32_e32 v25, v26, v25
	v_fma_f32 v29, -v23, v27, 1.0
	v_fmac_f32_e32 v27, v29, v27
	v_mul_f32_e32 v29, v28, v27
	v_fma_f32 v30, -v23, v29, v28
	v_mul_f32_e32 v25, 0x3fb8aa3b, v25
	v_fmac_f32_e32 v29, v30, v27
	v_exp_f32_e32 v25, v25
	v_fma_f32 v23, -v23, v29, v28
	v_div_fmas_f32 v23, v23, v27, v29
	v_div_fixup_f32 v22, v23, v22, 1.0
	v_mul_f32_e32 v22, v25, v22
	v_pk_mul_f32 v[20:21], v[20:21], v[22:23] op_sel_hi:[1,0]
	v_pk_mul_f32 v[18:19], v[18:19], v[22:23] op_sel_hi:[1,0]
	v_cvt_f16_f32_e32 v22, v20
	v_cvt_f16_f32_e32 v18, v18
	;; [unrolled: 1-line block ×4, first 2 shown]
	s_waitcnt vmcnt(5)
	v_cvt_pk_f32_fp8_e32 v[20:21], v14
	v_cvt_pk_f32_fp8_e32 v[26:27], v15
	v_pack_b32_f16 v18, v18, v19
	v_pack_b32_f16 v19, v22, v23
	v_cvt_pk_f32_fp8_sdwa v[22:23], v14 src0_sel:WORD_1
	v_cvt_pkrtz_f16_f32 v14, v20, v21
	v_cvt_pk_f32_fp8_sdwa v[20:21], v15 src0_sel:WORD_1
	s_load_dword s4, s[10:11], 0x0
	v_cvt_pkrtz_f16_f32 v15, v22, v23
	v_cvt_pkrtz_f16_f32 v22, v26, v27
	;; [unrolled: 1-line block ×3, first 2 shown]
	v_mfma_f32_4x4x4_16b_f16 a[0:3], v[18:19], v[14:15], 0 cbsz:4
	v_cvt_pk_f32_fp8_e32 v[14:15], v16
	v_cvt_pk_f32_fp8_sdwa v[20:21], v16 src0_sel:WORD_1
	v_mfma_f32_4x4x4_16b_f16 a[0:3], v[18:19], v[22:23], a[0:3] cbsz:4 abid:1
	v_cvt_pk_f32_fp8_e32 v[22:23], v17
	v_cvt_pk_f32_fp8_sdwa v[16:17], v17 src0_sel:WORD_1
	v_cvt_pkrtz_f16_f32 v14, v14, v15
	v_cvt_pkrtz_f16_f32 v15, v20, v21
	;; [unrolled: 1-line block ×4, first 2 shown]
	v_mfma_f32_4x4x4_16b_f16 a[0:3], v[18:19], v[14:15], a[0:3] cbsz:4 abid:2
	s_waitcnt vmcnt(4)
	v_cvt_pk_f32_fp8_e32 v[14:15], v10
	v_cvt_pk_f32_fp8_sdwa v[16:17], v10 src0_sel:WORD_1
	v_mfma_f32_4x4x4_16b_f16 a[0:3], v[18:19], v[20:21], a[0:3] cbsz:4 abid:3
	v_cvt_pk_f32_fp8_e32 v[20:21], v11
	v_cvt_pkrtz_f16_f32 v10, v14, v15
	v_cvt_pk_f32_fp8_sdwa v[14:15], v11 src0_sel:WORD_1
	v_cvt_pkrtz_f16_f32 v11, v16, v17
	v_cvt_pkrtz_f16_f32 v16, v20, v21
	s_mov_b32 s1, 0x5040100
	v_mfma_f32_4x4x4_16b_f16 a[0:3], v[18:19], v[10:11], a[0:3] cbsz:4 abid:4
	v_cvt_pkrtz_f16_f32 v17, v14, v15
	v_cvt_pk_f32_fp8_e32 v[10:11], v12
	v_cvt_pk_f32_fp8_sdwa v[14:15], v12 src0_sel:WORD_1
	v_mfma_f32_4x4x4_16b_f16 a[0:3], v[18:19], v[16:17], a[0:3] cbsz:4 abid:5
	v_cvt_pk_f32_fp8_e32 v[16:17], v13
	v_cvt_pk_f32_fp8_sdwa v[12:13], v13 src0_sel:WORD_1
	v_cvt_pkrtz_f16_f32 v10, v10, v11
	v_cvt_pkrtz_f16_f32 v11, v14, v15
	;; [unrolled: 1-line block ×4, first 2 shown]
	v_mfma_f32_4x4x4_16b_f16 a[0:3], v[18:19], v[10:11], a[0:3] cbsz:4 abid:6
	s_waitcnt vmcnt(3)
	v_cvt_pk_f32_fp8_e32 v[10:11], v6
	v_cvt_pk_f32_fp8_sdwa v[12:13], v6 src0_sel:WORD_1
	v_mfma_f32_4x4x4_16b_f16 a[0:3], v[18:19], v[14:15], a[0:3] cbsz:4 abid:7
	v_cvt_pk_f32_fp8_e32 v[14:15], v7
	v_cvt_pkrtz_f16_f32 v6, v10, v11
	v_cvt_pk_f32_fp8_sdwa v[10:11], v7 src0_sel:WORD_1
	v_cvt_pkrtz_f16_f32 v7, v12, v13
	v_cvt_pkrtz_f16_f32 v12, v14, v15
	;; [unrolled: 1-line block ×3, first 2 shown]
	v_mfma_f32_4x4x4_16b_f16 a[0:3], v[18:19], v[6:7], a[0:3] cbsz:4 abid:8
	v_cvt_pk_f32_fp8_e32 v[6:7], v8
	v_cvt_pk_f32_fp8_sdwa v[10:11], v8 src0_sel:WORD_1
	v_mfma_f32_4x4x4_16b_f16 a[0:3], v[18:19], v[12:13], a[0:3] cbsz:4 abid:9
	v_cvt_pk_f32_fp8_e32 v[12:13], v9
	v_cvt_pk_f32_fp8_sdwa v[8:9], v9 src0_sel:WORD_1
	v_cvt_pkrtz_f16_f32 v6, v6, v7
	v_cvt_pkrtz_f16_f32 v7, v10, v11
	;; [unrolled: 1-line block ×4, first 2 shown]
	v_mfma_f32_4x4x4_16b_f16 a[0:3], v[18:19], v[6:7], a[0:3] cbsz:4 abid:10
	s_waitcnt vmcnt(2)
	v_cvt_pk_f32_fp8_e32 v[6:7], v2
	v_cvt_pk_f32_fp8_sdwa v[8:9], v2 src0_sel:WORD_1
	v_mfma_f32_4x4x4_16b_f16 a[0:3], v[18:19], v[10:11], a[0:3] cbsz:4 abid:11
	v_cvt_pk_f32_fp8_e32 v[10:11], v3
	v_cvt_pkrtz_f16_f32 v2, v6, v7
	v_cvt_pk_f32_fp8_sdwa v[6:7], v3 src0_sel:WORD_1
	v_cvt_pkrtz_f16_f32 v3, v8, v9
	v_cvt_pkrtz_f16_f32 v8, v10, v11
	;; [unrolled: 1-line block ×3, first 2 shown]
	v_mfma_f32_4x4x4_16b_f16 a[0:3], v[18:19], v[2:3], a[0:3] cbsz:4 abid:12
	v_cvt_pk_f32_fp8_e32 v[2:3], v4
	v_cvt_pk_f32_fp8_sdwa v[6:7], v4 src0_sel:WORD_1
	v_mfma_f32_4x4x4_16b_f16 a[0:3], v[18:19], v[8:9], a[0:3] cbsz:4 abid:13
	v_cvt_pk_f32_fp8_e32 v[8:9], v5
	v_cvt_pk_f32_fp8_sdwa v[4:5], v5 src0_sel:WORD_1
	v_cvt_pkrtz_f16_f32 v2, v2, v3
	v_cvt_pkrtz_f16_f32 v3, v6, v7
	;; [unrolled: 1-line block ×4, first 2 shown]
	v_mfma_f32_4x4x4_16b_f16 a[0:3], v[18:19], v[2:3], a[0:3] cbsz:4 abid:14
	s_nop 1
	v_mfma_f32_4x4x4_16b_f16 a[0:3], v[18:19], v[6:7], a[0:3] cbsz:4 abid:15
	s_nop 4
	v_accvgpr_read_b32 v5, a1
	v_accvgpr_read_b32 v3, a3
	v_accvgpr_read_b32 v2, a2
	v_accvgpr_read_b32 v4, a0
	s_waitcnt lgkmcnt(0)
	v_pk_mul_f32 v[2:3], v[2:3], s[4:5] op_sel_hi:[1,0]
	v_pk_mul_f32 v[4:5], v[4:5], s[4:5] op_sel_hi:[1,0]
	v_cvt_f16_f32_e32 v2, v2
	v_cvt_f16_f32_e32 v4, v4
	;; [unrolled: 1-line block ×4, first 2 shown]
	v_perm_b32 v22, v5, v4, s1
	v_perm_b32 v23, v3, v2, s1
.LBB811_15:
	s_or_b64 exec, exec, s[2:3]
	v_lshlrev_b32_e32 v1, 3, v1
	v_mad_u32_u24 v1, v24, 40, v1
	v_cmp_gt_u32_e32 vcc, 64, v0
	ds_write_b64 v1, v[22:23]
	s_waitcnt lgkmcnt(0)
	s_barrier
	s_and_saveexec_b64 s[2:3], vcc
	s_cbranch_execz .LBB811_17
; %bb.16:
	v_mul_u32_u24_e32 v1, 40, v24
	s_waitcnt vmcnt(2)
	ds_read2_b64 v[2:5], v1 offset1:1
	ds_read2_b64 v[6:9], v1 offset0:2 offset1:3
	s_mov_b32 s1, 0
	s_lshl_b32 s0, s0, 6
	s_lshl_b64 s[2:3], s[0:1], 1
	s_add_u32 s2, s26, s2
	s_addc_u32 s3, s27, s3
	s_lshl_b32 s0, s24, 6
	s_lshl_b64 s[0:1], s[0:1], 1
	s_waitcnt lgkmcnt(1)
	v_pk_add_f16 v1, v2, 0
	v_pk_add_f16 v2, v3, 0
	s_add_u32 s0, s2, s0
	v_pk_add_f16 v2, v2, v5
	s_addc_u32 s1, s3, s1
	s_lshl_b32 s2, s44, 6
	v_pk_add_f16 v1, v1, v4
	s_waitcnt lgkmcnt(0)
	v_pk_add_f16 v2, v2, v7
	s_mul_i32 s3, s2, s33
	v_pk_add_f16 v1, v1, v6
	v_pk_add_f16 v6, v2, v9
	v_or_b32_e32 v2, s3, v0
	v_mov_b32_e32 v3, 0
	s_add_i32 s3, s3, s2
	v_pk_add_f16 v1, v1, v8
	v_lshl_add_u64 v[4:5], v[2:3], 1, s[0:1]
	v_or_b32_e32 v2, s3, v0
	s_add_i32 s3, s3, s2
	global_store_short v[4:5], v1, off
	v_lshl_add_u64 v[4:5], v[2:3], 1, s[0:1]
	v_or_b32_e32 v2, s3, v0
	s_add_i32 s3, s3, s2
	global_store_short_d16_hi v[4:5], v1, off
	v_lshl_add_u64 v[4:5], v[2:3], 1, s[0:1]
	v_or_b32_e32 v2, s3, v0
	v_lshl_add_u64 v[0:1], v[2:3], 1, s[0:1]
	global_store_short v[4:5], v6, off
	global_store_short_d16_hi v[0:1], v6, off
.LBB811_17:
	s_endpgm
.LBB811_18:
	s_mov_b64 s[8:9], 0
                                        ; implicit-def: $sgpr34_sgpr35
	s_branch .LBB811_2
	.section	.rodata,"a",@progbits
	.p2align	6, 0x0
	.amdhsa_kernel _Z38paged_attention_ll4mi_QKV_mfma4_kernelIDF16_hLN4vllm18Fp8KVCacheDataTypeE1EDF16_Li16ELi64ELi256ELb1ELi4EEvPKT_PKT0_S7_ifPKiS9_S9_iPKfiiiPfSC_PS2_PT2_iSB_SB_
		.amdhsa_group_segment_fixed_size 2720
		.amdhsa_private_segment_fixed_size 0
		.amdhsa_kernarg_size 400
		.amdhsa_user_sgpr_count 2
		.amdhsa_user_sgpr_dispatch_ptr 0
		.amdhsa_user_sgpr_queue_ptr 0
		.amdhsa_user_sgpr_kernarg_segment_ptr 1
		.amdhsa_user_sgpr_dispatch_id 0
		.amdhsa_user_sgpr_kernarg_preload_length 0
		.amdhsa_user_sgpr_kernarg_preload_offset 0
		.amdhsa_user_sgpr_private_segment_size 0
		.amdhsa_uses_dynamic_stack 0
		.amdhsa_enable_private_segment 0
		.amdhsa_system_sgpr_workgroup_id_x 1
		.amdhsa_system_sgpr_workgroup_id_y 1
		.amdhsa_system_sgpr_workgroup_id_z 1
		.amdhsa_system_sgpr_workgroup_info 0
		.amdhsa_system_vgpr_workitem_id 0
		.amdhsa_next_free_vgpr 80
		.amdhsa_next_free_sgpr 45
		.amdhsa_accum_offset 76
		.amdhsa_reserve_vcc 1
		.amdhsa_float_round_mode_32 0
		.amdhsa_float_round_mode_16_64 0
		.amdhsa_float_denorm_mode_32 3
		.amdhsa_float_denorm_mode_16_64 3
		.amdhsa_dx10_clamp 1
		.amdhsa_ieee_mode 1
		.amdhsa_fp16_overflow 0
		.amdhsa_tg_split 0
		.amdhsa_exception_fp_ieee_invalid_op 0
		.amdhsa_exception_fp_denorm_src 0
		.amdhsa_exception_fp_ieee_div_zero 0
		.amdhsa_exception_fp_ieee_overflow 0
		.amdhsa_exception_fp_ieee_underflow 0
		.amdhsa_exception_fp_ieee_inexact 0
		.amdhsa_exception_int_div_zero 0
	.end_amdhsa_kernel
	.section	.text._Z38paged_attention_ll4mi_QKV_mfma4_kernelIDF16_hLN4vllm18Fp8KVCacheDataTypeE1EDF16_Li16ELi64ELi256ELb1ELi4EEvPKT_PKT0_S7_ifPKiS9_S9_iPKfiiiPfSC_PS2_PT2_iSB_SB_,"axG",@progbits,_Z38paged_attention_ll4mi_QKV_mfma4_kernelIDF16_hLN4vllm18Fp8KVCacheDataTypeE1EDF16_Li16ELi64ELi256ELb1ELi4EEvPKT_PKT0_S7_ifPKiS9_S9_iPKfiiiPfSC_PS2_PT2_iSB_SB_,comdat
.Lfunc_end811:
	.size	_Z38paged_attention_ll4mi_QKV_mfma4_kernelIDF16_hLN4vllm18Fp8KVCacheDataTypeE1EDF16_Li16ELi64ELi256ELb1ELi4EEvPKT_PKT0_S7_ifPKiS9_S9_iPKfiiiPfSC_PS2_PT2_iSB_SB_, .Lfunc_end811-_Z38paged_attention_ll4mi_QKV_mfma4_kernelIDF16_hLN4vllm18Fp8KVCacheDataTypeE1EDF16_Li16ELi64ELi256ELb1ELi4EEvPKT_PKT0_S7_ifPKiS9_S9_iPKfiiiPfSC_PS2_PT2_iSB_SB_
                                        ; -- End function
	.section	.AMDGPU.csdata,"",@progbits
; Kernel info:
; codeLenInByte = 3972
; NumSgprs: 51
; NumVgprs: 76
; NumAgprs: 4
; TotalNumVgprs: 80
; ScratchSize: 0
; MemoryBound: 0
; FloatMode: 240
; IeeeMode: 1
; LDSByteSize: 2720 bytes/workgroup (compile time only)
; SGPRBlocks: 6
; VGPRBlocks: 9
; NumSGPRsForWavesPerEU: 51
; NumVGPRsForWavesPerEU: 80
; AccumOffset: 76
; Occupancy: 6
; WaveLimiterHint : 1
; COMPUTE_PGM_RSRC2:SCRATCH_EN: 0
; COMPUTE_PGM_RSRC2:USER_SGPR: 2
; COMPUTE_PGM_RSRC2:TRAP_HANDLER: 0
; COMPUTE_PGM_RSRC2:TGID_X_EN: 1
; COMPUTE_PGM_RSRC2:TGID_Y_EN: 1
; COMPUTE_PGM_RSRC2:TGID_Z_EN: 1
; COMPUTE_PGM_RSRC2:TIDIG_COMP_CNT: 0
; COMPUTE_PGM_RSRC3_GFX90A:ACCUM_OFFSET: 18
; COMPUTE_PGM_RSRC3_GFX90A:TG_SPLIT: 0
	.section	.text._Z39paged_attention_ll4mi_QKV_mfma16_kernelIDF16_hLN4vllm18Fp8KVCacheDataTypeE1EDF16_Li16ELi64ELi256ELb1ELi5EEvPKT_PKT0_S7_ifPKiS9_S9_iPKfiiiPfSC_PS2_PT2_iSB_SB_,"axG",@progbits,_Z39paged_attention_ll4mi_QKV_mfma16_kernelIDF16_hLN4vllm18Fp8KVCacheDataTypeE1EDF16_Li16ELi64ELi256ELb1ELi5EEvPKT_PKT0_S7_ifPKiS9_S9_iPKfiiiPfSC_PS2_PT2_iSB_SB_,comdat
	.protected	_Z39paged_attention_ll4mi_QKV_mfma16_kernelIDF16_hLN4vllm18Fp8KVCacheDataTypeE1EDF16_Li16ELi64ELi256ELb1ELi5EEvPKT_PKT0_S7_ifPKiS9_S9_iPKfiiiPfSC_PS2_PT2_iSB_SB_ ; -- Begin function _Z39paged_attention_ll4mi_QKV_mfma16_kernelIDF16_hLN4vllm18Fp8KVCacheDataTypeE1EDF16_Li16ELi64ELi256ELb1ELi5EEvPKT_PKT0_S7_ifPKiS9_S9_iPKfiiiPfSC_PS2_PT2_iSB_SB_
	.globl	_Z39paged_attention_ll4mi_QKV_mfma16_kernelIDF16_hLN4vllm18Fp8KVCacheDataTypeE1EDF16_Li16ELi64ELi256ELb1ELi5EEvPKT_PKT0_S7_ifPKiS9_S9_iPKfiiiPfSC_PS2_PT2_iSB_SB_
	.p2align	8
	.type	_Z39paged_attention_ll4mi_QKV_mfma16_kernelIDF16_hLN4vllm18Fp8KVCacheDataTypeE1EDF16_Li16ELi64ELi256ELb1ELi5EEvPKT_PKT0_S7_ifPKiS9_S9_iPKfiiiPfSC_PS2_PT2_iSB_SB_,@function
_Z39paged_attention_ll4mi_QKV_mfma16_kernelIDF16_hLN4vllm18Fp8KVCacheDataTypeE1EDF16_Li16ELi64ELi256ELb1ELi5EEvPKT_PKT0_S7_ifPKiS9_S9_iPKfiiiPfSC_PS2_PT2_iSB_SB_: ; @_Z39paged_attention_ll4mi_QKV_mfma16_kernelIDF16_hLN4vllm18Fp8KVCacheDataTypeE1EDF16_Li16ELi64ELi256ELb1ELi5EEvPKT_PKT0_S7_ifPKiS9_S9_iPKfiiiPfSC_PS2_PT2_iSB_SB_
; %bb.0:
	s_load_dwordx2 s[6:7], s[0:1], 0x30
	s_mov_b32 s28, s3
	s_mov_b64 s[8:9], 0
	s_waitcnt lgkmcnt(0)
	s_cmp_lg_u64 s[6:7], 0
	s_cselect_b64 s[10:11], -1, 0
	s_and_b64 vcc, exec, s[10:11]
	s_cbranch_vccz .LBB812_7
; %bb.1:
	s_add_i32 s12, s2, 1
	s_mov_b32 s13, 0
	s_lshl_b64 s[14:15], s[12:13], 2
	s_add_u32 s14, s6, s14
	s_mov_b32 s3, s13
	s_addc_u32 s15, s7, s15
	s_lshl_b64 s[12:13], s[2:3], 2
	s_add_u32 s12, s6, s12
	s_addc_u32 s13, s7, s13
	s_load_dword s5, s[14:15], 0x0
	s_load_dword s16, s[12:13], 0x0
	s_waitcnt lgkmcnt(0)
	s_sub_i32 s5, s5, s16
	s_cmp_eq_u32 s5, 1
	s_cselect_b64 s[12:13], -1, 0
	s_andn2_b64 vcc, exec, s[8:9]
	s_cbranch_vccnz .LBB812_3
.LBB812_2:
	s_mov_b32 s3, 0
	s_mov_b64 s[12:13], -1
.LBB812_3:
	s_andn2_b64 vcc, exec, s[12:13]
	s_cbranch_vccnz .LBB812_20
; %bb.4:
	s_load_dwordx2 s[8:9], s[0:1], 0x28
	s_lshl_b64 s[12:13], s[2:3], 2
	s_waitcnt lgkmcnt(0)
	s_add_u32 s8, s8, s12
	s_addc_u32 s9, s9, s13
	s_load_dword s29, s[8:9], 0x0
	s_lshl_b32 s16, s28, 8
	s_waitcnt lgkmcnt(0)
	s_cmp_ge_i32 s16, s29
	s_cbranch_scc1 .LBB812_20
; %bb.5:
	s_load_dwordx2 s[8:9], s[0:1], 0x20
	s_load_dword s5, s[0:1], 0x38
	s_add_i32 s14, s29, 15
	s_ashr_i32 s15, s14, 31
	v_and_b32_e32 v1, 0xcf, v0
	s_lshr_b32 s15, s15, 28
	v_add_u32_e32 v1, s16, v1
	s_add_i32 s14, s14, s15
	v_ashrrev_i32_e32 v2, 31, v1
	s_ashr_i32 s17, s14, 4
	v_lshrrev_b32_e32 v4, 28, v2
	s_add_i32 s17, s17, -1
	s_waitcnt lgkmcnt(0)
	s_mul_i32 s14, s2, s5
	s_mov_b32 s15, 0
	v_add_u32_e32 v2, v1, v4
	s_lshl_b64 s[14:15], s[14:15], 2
	v_ashrrev_i32_e32 v2, 4, v2
	v_mov_b32_e32 v5, s17
	v_cmp_gt_i32_e32 vcc, s29, v1
	s_add_u32 s8, s8, s14
	s_addc_u32 s9, s9, s15
	v_cndmask_b32_e32 v2, v5, v2, vcc
	v_ashrrev_i32_e32 v3, 31, v2
	v_lshl_add_u64 v[6:7], v[2:3], 2, s[8:9]
	v_or_b32_e32 v2, 16, v1
	v_add_u32_e32 v3, v2, v4
	v_ashrrev_i32_e32 v3, 4, v3
	v_cmp_gt_i32_e32 vcc, s29, v2
	s_load_dwordx2 s[14:15], s[0:1], 0x8
	s_nop 0
	v_cndmask_b32_e32 v2, v5, v3, vcc
	v_ashrrev_i32_e32 v3, 31, v2
	v_lshl_add_u64 v[8:9], v[2:3], 2, s[8:9]
	v_or_b32_e32 v2, 32, v1
	v_add_u32_e32 v3, v2, v4
	v_ashrrev_i32_e32 v3, 4, v3
	v_cmp_gt_i32_e32 vcc, s29, v2
	v_or_b32_e32 v1, 48, v1
	s_nop 0
	v_cndmask_b32_e32 v2, v5, v3, vcc
	v_ashrrev_i32_e32 v3, 31, v2
	v_lshl_add_u64 v[10:11], v[2:3], 2, s[8:9]
	v_add_u32_e32 v2, v1, v4
	v_ashrrev_i32_e32 v2, 4, v2
	v_cmp_gt_i32_e32 vcc, s29, v1
	s_nop 1
	v_cndmask_b32_e32 v2, v5, v2, vcc
	v_ashrrev_i32_e32 v3, 31, v2
	v_lshl_add_u64 v[12:13], v[2:3], 2, s[8:9]
	global_load_dword v5, v[6:7], off
	global_load_dword v4, v[8:9], off
	;; [unrolled: 1-line block ×4, first 2 shown]
	s_andn2_b64 vcc, exec, s[10:11]
	s_cbranch_vccnz .LBB812_8
; %bb.6:
	s_add_u32 s6, s6, s12
	s_addc_u32 s7, s7, s13
	s_load_dword s5, s[6:7], 0x0
	s_branch .LBB812_9
.LBB812_7:
	s_mov_b64 s[12:13], 0
	s_branch .LBB812_2
.LBB812_8:
	s_mov_b32 s5, s2
.LBB812_9:
	s_load_dwordx2 s[6:7], s[0:1], 0x10
	s_load_dwordx4 s[44:47], s[0:1], 0x48
	v_lshrrev_b32_e32 v29, 6, v0
	v_bfe_u32 v42, v0, 4, 2
	v_lshl_or_b32 v6, v29, 2, v42
	v_and_b32_e32 v28, 15, v0
	v_lshlrev_b32_e32 v1, 3, v28
	v_cmp_gt_u32_e32 vcc, 5, v6
	v_cmp_gt_u32_e64 s[30:31], 8, v28
	s_mul_i32 s48, s4, 5
	s_and_b64 s[12:13], s[30:31], vcc
	v_lshlrev_b32_e32 v26, 1, v1
	v_lshlrev_b32_e32 v1, 4, v0
	s_and_saveexec_b64 s[10:11], s[12:13]
	s_cbranch_execz .LBB812_11
; %bb.10:
	s_load_dwordx2 s[12:13], s[0:1], 0x0
	s_waitcnt lgkmcnt(0)
	s_ashr_i32 s18, s44, 31
	s_mul_hi_u32 s19, s5, s44
	s_mul_i32 s18, s5, s18
	s_add_i32 s19, s19, s18
	s_mul_i32 s18, s5, s44
	s_lshl_b64 s[18:19], s[18:19], 1
	s_add_u32 s12, s12, s18
	v_add_lshl_u32 v8, v6, s48, 6
	s_addc_u32 s13, s13, s19
	v_ashrrev_i32_e32 v9, 31, v8
	v_lshl_add_u64 v[8:9], v[8:9], 1, s[12:13]
	v_mov_b32_e32 v27, 0
	v_lshl_add_u64 v[8:9], v[8:9], 0, v[26:27]
	global_load_dwordx4 v[8:11], v[8:9], off
	v_lshlrev_b32_e32 v12, 8, v28
	v_lshlrev_b32_e32 v6, 5, v6
	v_and_b32_e32 v7, 16, v1
	v_and_b32_e32 v12, 0xe00, v12
	v_or3_b32 v6, v12, v6, v7
	s_waitcnt vmcnt(0)
	ds_write_b128 v6, v[8:11]
.LBB812_11:
	s_or_b64 exec, exec, s[10:11]
	s_waitcnt lgkmcnt(0)
	s_mul_i32 s10, s4, s46
	s_add_u32 s4, s14, s10
	s_addc_u32 s5, s15, 0
	v_and_b32_e32 v32, 48, v0
	v_and_b32_e32 v30, 0xf0, v1
	v_mov_b32_e32 v31, 0
	v_lshl_add_u64 v[6:7], s[4:5], 0, v[30:31]
	v_lshlrev_b32_e32 v30, 4, v32
	v_lshl_add_u64 v[6:7], v[6:7], 0, v[30:31]
	s_waitcnt vmcnt(3)
	v_mad_i64_i32 v[8:9], s[4:5], v5, s45, v[6:7]
	s_waitcnt vmcnt(2)
	v_mad_i64_i32 v[4:5], s[4:5], v4, s45, v[6:7]
	s_barrier
	global_load_dwordx4 v[22:25], v[8:9], off
	global_load_dwordx4 v[18:21], v[4:5], off
	s_waitcnt vmcnt(3)
	v_mad_i64_i32 v[4:5], s[4:5], v3, s45, v[6:7]
	s_waitcnt vmcnt(2)
	v_mad_i64_i32 v[2:3], s[4:5], v2, s45, v[6:7]
	global_load_dwordx4 v[14:17], v[4:5], off
	global_load_dwordx4 v[6:9], v[2:3], off
	v_mul_lo_u16_e32 v2, 52, v28
	v_mov_b32_e32 v3, 5
	v_mul_lo_u16_sdwa v2, v2, v3 dst_sel:DWORD dst_unused:UNUSED_PAD src0_sel:BYTE_1 src1_sel:DWORD
	v_sub_u16_e32 v2, v28, v2
	v_lshlrev_b32_sdwa v2, v3, v2 dst_sel:DWORD dst_unused:UNUSED_PAD src0_sel:DWORD src1_sel:BYTE_0
	v_lshl_add_u32 v2, v42, 9, v2
	ds_read_b128 v[10:13], v2
	ds_read_b128 v[2:5], v2 offset:16
	v_and_b32_e32 v27, 63, v0
	v_cmp_gt_u32_e32 vcc, 5, v28
	v_mov_b32_e32 v43, 0
	s_and_saveexec_b64 s[4:5], vcc
	s_cbranch_execz .LBB812_13
; %bb.12:
	s_load_dwordx2 s[12:13], s[0:1], 0x40
	v_add_u32_e32 v34, s48, v28
	v_ashrrev_i32_e32 v35, 31, v34
	s_waitcnt lgkmcnt(0)
	v_lshl_add_u64 v[34:35], v[34:35], 2, s[12:13]
	global_load_dword v43, v[34:35], off
.LBB812_13:
	s_or_b64 exec, exec, s[4:5]
	v_or_b32_e32 v62, s16, v32
	v_ashrrev_i32_e32 v30, 4, v62
	v_mov_b32_e32 v63, s17
	v_cmp_gt_i32_e32 vcc, s29, v62
	s_waitcnt vmcnt(2)
	v_cvt_pk_f32_fp8_e32 v[52:53], v20
	v_cvt_pk_f32_fp8_sdwa v[54:55], v20 src0_sel:WORD_1
	v_cndmask_b32_e32 v20, v63, v30, vcc
	v_cvt_pk_f32_fp8_e32 v[56:57], v21
	v_cvt_pk_f32_fp8_sdwa v[58:59], v21 src0_sel:WORD_1
	v_ashrrev_i32_e32 v21, 31, v20
	v_cvt_pk_f32_fp8_e32 v[40:41], v22
	v_cvt_pk_f32_fp8_sdwa v[44:45], v22 src0_sel:WORD_1
	v_lshl_add_u64 v[20:21], v[20:21], 2, s[8:9]
	v_cvt_pk_f32_fp8_e32 v[46:47], v18
	v_cvt_pk_f32_fp8_sdwa v[48:49], v18 src0_sel:WORD_1
	global_load_dword v64, v[20:21], off
	v_cvt_pk_f32_fp8_e32 v[34:35], v23
	v_cvt_pk_f32_fp8_sdwa v[32:33], v23 src0_sel:WORD_1
	v_cvt_pkrtz_f16_f32 v20, v40, v41
	v_cvt_pkrtz_f16_f32 v21, v44, v45
	v_cvt_pk_f32_fp8_e32 v[36:37], v24
	v_cvt_pk_f32_fp8_sdwa v[38:39], v24 src0_sel:WORD_1
	v_cvt_pk_f32_fp8_e32 v[50:51], v19
	v_cvt_pk_f32_fp8_sdwa v[18:19], v19 src0_sel:WORD_1
	v_cvt_pkrtz_f16_f32 v44, v46, v47
	v_cvt_pkrtz_f16_f32 v45, v48, v49
	v_cvt_pk_f32_fp8_e32 v[22:23], v25
	s_waitcnt vmcnt(2)
	v_cvt_pk_f32_fp8_e32 v[40:41], v14
	v_cvt_pk_f32_fp8_sdwa v[46:47], v14 src0_sel:WORD_1
	v_cvt_pkrtz_f16_f32 v48, v34, v35
	v_cvt_pkrtz_f16_f32 v49, v32, v33
	v_or_b32_e32 v14, 64, v62
	v_or_b32_e32 v32, 0xc0, v62
	v_cvt_pk_f32_fp8_sdwa v[24:25], v25 src0_sel:WORD_1
	s_load_dword s11, s[0:1], 0x1c
	s_load_dwordx4 s[40:43], s[0:1], 0x80
	v_cvt_pkrtz_f16_f32 v36, v36, v37
	v_cvt_pkrtz_f16_f32 v37, v38, v39
	v_or_b32_e32 v65, 0x80, v62
	v_ashrrev_i32_e32 v62, 4, v14
	v_cmp_gt_i32_e32 vcc, s29, v32
	v_ashrrev_i32_e32 v66, 4, v32
	v_cmp_gt_i32_e64 s[4:5], s29, v14
	v_cvt_pkrtz_f16_f32 v38, v50, v51
	v_cvt_pkrtz_f16_f32 v39, v18, v19
	s_waitcnt lgkmcnt(0)
	v_mfma_f32_16x16x16_f16 v[32:35], v[20:21], v[10:11], 0
	s_add_u32 s6, s6, s10
	v_lshlrev_b32_e32 v30, 4, v28
	v_cndmask_b32_e64 v50, v63, v62, s[4:5]
	v_cvt_pkrtz_f16_f32 v62, v22, v23
	v_mfma_f32_16x16x16_f16 v[20:23], v[44:45], v[10:11], 0
	v_lshl_or_b32 v30, v29, 8, v30
	s_addc_u32 s7, s7, 0
	v_ashrrev_i32_e32 v14, 4, v65
	v_lshl_add_u64 v[18:19], s[6:7], 0, v[30:31]
	v_cmp_gt_i32_e64 s[6:7], s29, v65
	v_mfma_f32_16x16x16_f16 v[30:33], v[48:49], v[12:13], v[32:35]
	v_cndmask_b32_e32 v48, v63, v66, vcc
	s_load_dword s4, s[40:41], 0x0
	v_cvt_pk_f32_fp8_e32 v[60:61], v15
	v_cndmask_b32_e64 v34, v63, v14, s[6:7]
	v_cvt_pkrtz_f16_f32 v63, v24, v25
	v_cvt_pkrtz_f16_f32 v24, v52, v53
	;; [unrolled: 1-line block ×3, first 2 shown]
	v_mfma_f32_16x16x16_f16 v[20:23], v[38:39], v[12:13], v[20:23]
	v_cvt_pkrtz_f16_f32 v40, v40, v41
	v_cvt_pkrtz_f16_f32 v41, v46, v47
	v_ashrrev_i32_e32 v51, 31, v50
	v_mfma_f32_16x16x16_f16 v[20:23], v[24:25], v[2:3], v[20:23]
	v_mov_b32_e32 v24, s11
	s_waitcnt lgkmcnt(0)
	v_mul_f32_e32 v54, s4, v24
	v_cvt_pk_f32_fp8_sdwa v[24:25], v15 src0_sel:WORD_1
	v_mfma_f32_16x16x16_f16 v[30:33], v[36:37], v[2:3], v[30:33]
	v_ashrrev_i32_e32 v35, 31, v34
	v_ashrrev_i32_e32 v49, 31, v48
	v_lshl_add_u64 v[36:37], v[50:51], 2, s[8:9]
	v_lshl_add_u64 v[34:35], v[34:35], 2, s[8:9]
	;; [unrolled: 1-line block ×3, first 2 shown]
	global_load_dword v14, v[36:37], off
	global_load_dword v44, v[34:35], off
	;; [unrolled: 1-line block ×3, first 2 shown]
	v_cvt_pkrtz_f16_f32 v46, v60, v61
	v_cvt_pk_f32_fp8_e32 v[48:49], v16
	v_cvt_pk_f32_fp8_sdwa v[50:51], v16 src0_sel:WORD_1
	v_cvt_pkrtz_f16_f32 v47, v24, v25
	v_mfma_f32_16x16x16_f16 v[36:39], v[62:63], v[4:5], v[30:33]
	v_cvt_pkrtz_f16_f32 v24, v48, v49
	v_cvt_pkrtz_f16_f32 v25, v50, v51
	;; [unrolled: 1-line block ×3, first 2 shown]
	v_mfma_f32_16x16x16_f16 v[30:33], v[40:41], v[10:11], 0
	v_cvt_pk_f32_fp8_e32 v[40:41], v17
	v_cvt_pk_f32_fp8_sdwa v[16:17], v17 src0_sel:WORD_1
	v_cvt_pkrtz_f16_f32 v53, v58, v59
	v_mfma_f32_16x16x16_f16 v[46:49], v[46:47], v[12:13], v[30:33]
	s_mov_b32 s33, 0xff7fffff
	s_waitcnt vmcnt(3)
	v_mad_i64_i32 v[34:35], s[4:5], v64, s45, v[18:19]
	v_cvt_pkrtz_f16_f32 v32, v40, v41
	v_cvt_pkrtz_f16_f32 v33, v16, v17
	v_mfma_f32_16x16x16_f16 v[46:49], v[24:25], v[2:3], v[46:49]
	v_cvt_pk_f32_fp8_e32 v[16:17], v6
	v_cvt_pk_f32_fp8_sdwa v[24:25], v6 src0_sel:WORD_1
	v_pk_mul_f32 v[30:31], v[54:55], v[38:39] op_sel_hi:[0,1]
	v_mfma_f32_16x16x16_f16 v[46:49], v[32:33], v[4:5], v[46:49]
	v_cvt_pk_f32_fp8_e32 v[32:33], v7
	v_cvt_pkrtz_f16_f32 v16, v16, v17
	v_cvt_pkrtz_f16_f32 v17, v24, v25
	v_cvt_pk_f32_fp8_sdwa v[6:7], v7 src0_sel:WORD_1
	v_pk_mul_f32 v[38:39], v[54:55], v[36:37] op_sel_hi:[0,1]
	v_cvt_pkrtz_f16_f32 v24, v32, v33
	v_cvt_pk_f32_fp8_e32 v[32:33], v8
	v_cvt_pk_f32_fp8_sdwa v[36:37], v8 src0_sel:WORD_1
	v_cvt_pkrtz_f16_f32 v25, v6, v7
	v_mfma_f32_16x16x16_f16 v[20:23], v[52:53], v[4:5], v[20:23]
	v_mfma_f32_16x16x16_f16 v[50:53], v[16:17], v[10:11], 0
	v_cvt_pkrtz_f16_f32 v10, v32, v33
	v_cvt_pkrtz_f16_f32 v11, v36, v37
	v_cvt_pk_f32_fp8_e32 v[16:17], v9
	v_cvt_pk_f32_fp8_sdwa v[32:33], v9 src0_sel:WORD_1
	v_mfma_f32_16x16x16_f16 v[6:9], v[24:25], v[12:13], v[50:53]
	s_nop 0
	v_pk_mul_f32 v[36:37], v[54:55], v[22:23] op_sel_hi:[0,1]
	v_cvt_pkrtz_f16_f32 v12, v16, v17
	v_cvt_pkrtz_f16_f32 v13, v32, v33
	v_mfma_f32_16x16x16_f16 v[6:9], v[10:11], v[2:3], v[6:9]
	v_pk_mul_f32 v[40:41], v[54:55], v[20:21] op_sel_hi:[0,1]
	v_pk_mul_f32 v[24:25], v[54:55], v[48:49] op_sel_hi:[0,1]
	;; [unrolled: 1-line block ×3, first 2 shown]
	v_mfma_f32_16x16x16_f16 v[2:5], v[12:13], v[4:5], v[6:9]
	s_nop 6
	v_pk_mul_f32 v[22:23], v[54:55], v[2:3] op_sel_hi:[0,1]
	v_and_b32_e32 v2, 0xc0, v0
	v_add_u32_e32 v2, s16, v2
	v_lshl_or_b32 v2, v42, 2, v2
	v_or_b32_e32 v3, 1, v2
	v_pk_mul_f32 v[20:21], v[54:55], v[4:5] op_sel_hi:[0,1]
	v_subrev_u32_e32 v4, s29, v3
	v_add_u32_e32 v6, 1, v4
	v_add_u32_e32 v7, 2, v4
	;; [unrolled: 1-line block ×3, first 2 shown]
	v_cvt_f32_i32_e32 v6, v6
	v_cvt_f32_i32_e32 v7, v7
	;; [unrolled: 1-line block ×3, first 2 shown]
	v_add_u32_e32 v9, 19, v4
	v_fmac_f32_e32 v39, v43, v6
	v_fma_f32 v30, v43, v7, v30
	v_fmac_f32_e32 v31, v43, v8
	v_add_u32_e32 v6, 16, v4
	v_add_u32_e32 v7, 17, v4
	;; [unrolled: 1-line block ×3, first 2 shown]
	v_cvt_f32_i32_e32 v6, v6
	v_cvt_f32_i32_e32 v7, v7
	;; [unrolled: 1-line block ×4, first 2 shown]
	v_fma_f32 v40, v43, v6, v40
	v_fmac_f32_e32 v41, v43, v7
	v_fma_f32 v36, v43, v8, v36
	v_add_u32_e32 v6, 32, v4
	v_add_u32_e32 v7, 33, v4
	;; [unrolled: 1-line block ×3, first 2 shown]
	v_cvt_f32_i32_e32 v6, v6
	v_cvt_f32_i32_e32 v7, v7
	;; [unrolled: 1-line block ×4, first 2 shown]
	v_fmac_f32_e32 v37, v43, v9
	v_add_u32_e32 v9, 35, v4
	v_fma_f32 v32, v43, v6, v32
	v_fmac_f32_e32 v33, v43, v7
	v_fma_f32 v24, v43, v8, v24
	v_add_u32_e32 v6, 48, v4
	v_add_u32_e32 v7, 49, v4
	;; [unrolled: 1-line block ×4, first 2 shown]
	v_cvt_f32_i32_e32 v4, v4
	v_cvt_f32_i32_e32 v6, v6
	;; [unrolled: 1-line block ×3, first 2 shown]
	v_fma_f32 v5, v43, v5, v38
	v_fmac_f32_e32 v21, v43, v4
	v_mov_b32_e32 v4, 0xff7fffff
	v_cmp_gt_i32_e64 s[4:5], s29, v2
	v_cmp_gt_i32_e64 s[34:35], s29, v3
	v_fma_f32 v22, v43, v6, v22
	v_cndmask_b32_e64 v6, v4, v5, s[4:5]
	v_cndmask_b32_e64 v3, v4, v39, s[34:35]
	v_fmac_f32_e32 v23, v43, v7
	v_max3_f32 v3, v6, s33, v3
	v_or_b32_e32 v6, 2, v2
	v_or_b32_e32 v7, 3, v2
	v_cmp_gt_i32_e64 s[36:37], s29, v6
	v_cmp_gt_i32_e64 s[38:39], s29, v7
	v_cvt_f32_i32_e32 v9, v9
	v_cndmask_b32_e64 v6, v4, v30, s[36:37]
	v_cndmask_b32_e64 v7, v4, v31, s[38:39]
	v_max3_f32 v3, v3, v6, v7
	v_or_b32_e32 v6, 16, v2
	v_or_b32_e32 v7, 17, v2
	v_cmp_gt_i32_e64 s[24:25], s29, v6
	v_cmp_gt_i32_e64 s[26:27], s29, v7
	v_fmac_f32_e32 v25, v43, v9
	v_cndmask_b32_e64 v6, v4, v40, s[24:25]
	v_cndmask_b32_e64 v7, v4, v41, s[26:27]
	v_max3_f32 v3, v3, v6, v7
	v_or_b32_e32 v6, 18, v2
	v_or_b32_e32 v7, 19, v2
	v_cmp_gt_i32_e64 s[20:21], s29, v6
	v_cmp_gt_i32_e64 s[22:23], s29, v7
	v_cvt_f32_i32_e32 v8, v8
	v_cndmask_b32_e64 v6, v4, v36, s[20:21]
	v_cndmask_b32_e64 v7, v4, v37, s[22:23]
	v_max3_f32 v3, v3, v6, v7
	v_or_b32_e32 v6, 32, v2
	v_or_b32_e32 v7, 33, v2
	v_cmp_gt_i32_e64 s[16:17], s29, v6
	v_cmp_gt_i32_e64 s[18:19], s29, v7
	v_fma_f32 v20, v43, v8, v20
	v_cndmask_b32_e64 v6, v4, v32, s[16:17]
	v_cndmask_b32_e64 v7, v4, v33, s[18:19]
	v_max3_f32 v3, v3, v6, v7
	v_or_b32_e32 v6, 34, v2
	v_or_b32_e32 v7, 35, v2
	v_cmp_gt_i32_e64 s[12:13], s29, v6
	v_cmp_gt_i32_e64 s[14:15], s29, v7
	s_nop 0
	v_cndmask_b32_e64 v6, v4, v24, s[12:13]
	v_cndmask_b32_e64 v7, v4, v25, s[14:15]
	v_max3_f32 v3, v3, v6, v7
	v_or_b32_e32 v6, 48, v2
	v_or_b32_e32 v7, 49, v2
	v_cmp_gt_i32_e64 s[8:9], s29, v6
	v_cmp_gt_i32_e64 s[10:11], s29, v7
	s_nop 0
	v_cndmask_b32_e64 v6, v4, v22, s[8:9]
	v_cndmask_b32_e64 v7, v4, v23, s[10:11]
	v_max3_f32 v3, v3, v6, v7
	v_or_b32_e32 v6, 50, v2
	v_or_b32_e32 v2, 51, v2
	v_cmp_gt_i32_e32 vcc, s29, v6
	v_cmp_gt_i32_e64 s[6:7], s29, v2
	s_nop 0
	v_cndmask_b32_e32 v6, v4, v20, vcc
	v_cndmask_b32_e64 v2, v4, v21, s[6:7]
	v_max3_f32 v4, v3, v6, v2
	v_mbcnt_lo_u32_b32 v2, -1, 0
	v_mbcnt_hi_u32_b32 v6, -1, v2
	v_and_b32_e32 v2, 64, v6
	v_add_u32_e32 v7, 64, v2
	v_xor_b32_e32 v2, 32, v6
	v_cmp_lt_i32_e64 s[40:41], v2, v7
	s_nop 1
	v_cndmask_b32_e64 v2, v6, v2, s[40:41]
	v_lshlrev_b32_e32 v43, 2, v2
	ds_bpermute_b32 v8, v43, v4
	s_waitcnt vmcnt(2)
	v_mad_i64_i32 v[2:3], s[40:41], v14, s45, v[18:19]
	global_load_dwordx4 v[14:17], v[34:35], off
	global_load_dwordx4 v[10:13], v[2:3], off
	v_xor_b32_e32 v3, 16, v6
	v_cmp_lt_i32_e64 s[40:41], v3, v7
	s_waitcnt lgkmcnt(0)
	v_max_f32_e32 v2, v8, v8
	v_max_f32_e32 v2, v4, v2
	v_cndmask_b32_e64 v3, v6, v3, s[40:41]
	v_lshlrev_b32_e32 v46, 2, v3
	ds_bpermute_b32 v3, v46, v2
	s_waitcnt vmcnt(3)
	v_mad_i64_i32 v[34:35], s[40:41], v44, s45, v[18:19]
	s_waitcnt vmcnt(2)
	v_mad_i64_i32 v[18:19], s[40:41], v45, s45, v[18:19]
	s_waitcnt lgkmcnt(0)
	v_max_f32_e32 v3, v3, v3
	v_max_f32_e32 v38, v2, v3
	v_sub_f32_e32 v2, v5, v38
	v_mul_f32_e32 v2, 0x3fb8aa3b, v2
	v_exp_f32_e32 v44, v2
	v_sub_f32_e32 v2, v39, v38
	v_mul_f32_e32 v2, 0x3fb8aa3b, v2
	v_exp_f32_e32 v39, v2
	global_load_dwordx4 v[6:9], v[34:35], off
	global_load_dwordx4 v[2:5], v[18:19], off
	v_sub_f32_e32 v30, v30, v38
	v_mul_f32_e32 v30, 0x3fb8aa3b, v30
	v_sub_f32_e32 v31, v31, v38
	v_exp_f32_e32 v30, v30
	v_mul_f32_e32 v31, 0x3fb8aa3b, v31
	v_exp_f32_e32 v31, v31
	v_cndmask_b32_e64 v18, 0, v44, s[4:5]
	v_add_f32_e32 v34, 0, v18
	v_cndmask_b32_e64 v19, 0, v39, s[34:35]
	v_add_f32_e32 v35, v34, v19
	;; [unrolled: 2-line block ×3, first 2 shown]
	v_cndmask_b32_e64 v35, 0, v31, s[38:39]
	v_sub_f32_e32 v31, v40, v38
	v_mul_f32_e32 v31, 0x3fb8aa3b, v31
	v_sub_f32_e32 v39, v41, v38
	v_exp_f32_e32 v31, v31
	v_mul_f32_e32 v39, 0x3fb8aa3b, v39
	v_sub_f32_e32 v36, v36, v38
	v_exp_f32_e32 v39, v39
	;; [unrolled: 3-line block ×4, first 2 shown]
	v_mul_f32_e32 v32, 0x3fb8aa3b, v32
	v_sub_f32_e32 v33, v33, v38
	v_add_f32_e32 v40, v30, v35
	v_cndmask_b32_e64 v30, 0, v31, s[24:25]
	v_exp_f32_e32 v32, v32
	v_mul_f32_e32 v33, 0x3fb8aa3b, v33
	v_sub_f32_e32 v24, v24, v38
	v_add_f32_e32 v40, v40, v30
	v_cndmask_b32_e64 v31, 0, v39, s[26:27]
	v_exp_f32_e32 v33, v33
	;; [unrolled: 5-line block ×7, first 2 shown]
	v_mul_f32_e32 v21, 0x3fb8aa3b, v21
	v_add_f32_e32 v39, v39, v24
	v_cndmask_b32_e64 v25, 0, v25, s[14:15]
	v_exp_f32_e32 v21, v21
	v_add_f32_e32 v39, v39, v25
	v_cndmask_b32_e64 v22, 0, v22, s[8:9]
	v_add_f32_e32 v39, v39, v22
	v_cndmask_b32_e64 v23, 0, v23, s[10:11]
	v_add_f32_e32 v39, v39, v23
	v_cndmask_b32_e32 v20, 0, v20, vcc
	v_add_f32_e32 v39, v39, v20
	v_cndmask_b32_e64 v21, 0, v21, s[6:7]
	v_add_f32_e32 v39, v39, v21
	ds_bpermute_b32 v40, v43, v39
	s_load_dword s9, s[0:1], 0x98
	v_cmp_gt_u32_e64 s[6:7], 16, v27
	s_waitcnt lgkmcnt(0)
	s_barrier
	v_add_f32_e32 v40, v39, v40
	ds_bpermute_b32 v41, v46, v40
	v_lshlrev_b32_e32 v39, 2, v28
	s_waitcnt lgkmcnt(0)
	s_and_saveexec_b64 s[4:5], s[6:7]
	s_cbranch_execz .LBB812_15
; %bb.14:
	v_add_f32_e32 v27, v40, v41
	v_lshl_or_b32 v40, v29, 6, v39
	ds_write2st64_b32 v40, v38, v27 offset1:1
.LBB812_15:
	s_or_b64 exec, exec, s[4:5]
	s_load_dword s8, s[0:1], 0x94
	s_waitcnt lgkmcnt(0)
	s_barrier
	ds_read2_b32 v[40:41], v39 offset1:16
	ds_read2_b32 v[44:45], v39 offset0:32 offset1:48
	ds_read2_b32 v[46:47], v39 offset0:64 offset1:80
	s_mul_i32 s9, s9, 5
	s_waitcnt lgkmcnt(2)
	v_max3_f32 v27, v40, s33, v41
	s_waitcnt lgkmcnt(1)
	v_max3_f32 v27, v27, v44, v45
	v_sub_f32_e32 v38, v40, v27
	v_mul_f32_e32 v38, 0x3fb8aa3b, v38
	v_exp_f32_e32 v43, v38
	v_sub_f32_e32 v38, v41, v27
	v_mul_f32_e32 v38, 0x3fb8aa3b, v38
	v_exp_f32_e32 v48, v38
	;; [unrolled: 3-line block ×3, first 2 shown]
	ds_read2_b32 v[40:41], v39 offset0:96 offset1:112
	v_sub_f32_e32 v38, v45, v27
	v_mul_f32_e32 v38, 0x3fb8aa3b, v38
	v_exp_f32_e32 v39, v38
	s_waitcnt lgkmcnt(1)
	v_fma_f32 v38, v43, v46, 0
	v_fmac_f32_e32 v38, v48, v47
	s_waitcnt lgkmcnt(0)
	v_fmac_f32_e32 v38, v44, v40
	v_fmac_f32_e32 v38, v39, v41
	v_add_f32_e32 v40, 0x358637bd, v38
	v_div_scale_f32 v41, s[4:5], v40, v40, 1.0
	v_rcp_f32_e32 v45, v41
	s_barrier
	v_fma_f32 v46, -v41, v45, 1.0
	v_fmac_f32_e32 v45, v46, v45
	v_div_scale_f32 v46, vcc, 1.0, v40, 1.0
	v_mul_f32_e32 v47, v46, v45
	v_fma_f32 v49, -v41, v47, v46
	v_fmac_f32_e32 v47, v49, v45
	v_fma_f32 v41, -v41, v47, v46
	v_div_fmas_f32 v41, v41, v45, v47
	v_cmp_eq_u32_e32 vcc, 1, v29
	v_div_fixup_f32 v40, v41, v40, 1.0
	s_nop 0
	v_cndmask_b32_e32 v41, v43, v48, vcc
	v_cmp_eq_u32_e32 vcc, 2, v29
	s_nop 1
	v_cndmask_b32_e32 v41, v41, v44, vcc
	v_cmp_eq_u32_e32 vcc, 3, v29
	v_lshlrev_b32_e32 v29, 11, v29
	s_nop 0
	v_cndmask_b32_e32 v39, v41, v39, vcc
	v_mul_f32_e32 v40, v39, v40
	v_pk_mul_f32 v[18:19], v[40:41], v[18:19] op_sel_hi:[0,1]
	v_pk_mul_f32 v[34:35], v[40:41], v[34:35] op_sel_hi:[0,1]
	v_cvt_f16_f32_e32 v18, v18
	v_cvt_f16_f32_e32 v19, v19
	v_pk_mul_f32 v[36:37], v[40:41], v[36:37] op_sel_hi:[0,1]
	v_pk_mul_f32 v[30:31], v[40:41], v[30:31] op_sel_hi:[0,1]
	v_cvt_f16_f32_e32 v39, v34
	v_cvt_f16_f32_e32 v35, v35
	;; [unrolled: 1-line block ×6, first 2 shown]
	v_pack_b32_f16 v34, v18, v19
	v_lshlrev_b32_e32 v18, 3, v42
	v_lshlrev_b32_e32 v19, 5, v28
	v_pack_b32_f16 v35, v39, v35
	v_or3_b32 v18, v29, v19, v18
	v_pack_b32_f16 v30, v30, v31
	v_pack_b32_f16 v31, v36, v37
	ds_write2st64_b64 v18, v[34:35], v[30:31] offset1:1
	v_pk_mul_f32 v[24:25], v[40:41], v[24:25] op_sel_hi:[0,1]
	v_pk_mul_f32 v[30:31], v[40:41], v[32:33] op_sel_hi:[0,1]
	v_pk_mul_f32 v[20:21], v[40:41], v[20:21] op_sel_hi:[0,1]
	v_pk_mul_f32 v[22:23], v[40:41], v[22:23] op_sel_hi:[0,1]
	v_cvt_f16_f32_e32 v29, v30
	v_cvt_f16_f32_e32 v30, v31
	;; [unrolled: 1-line block ×8, first 2 shown]
	v_pack_b32_f16 v20, v29, v30
	v_pack_b32_f16 v21, v24, v25
	;; [unrolled: 1-line block ×4, first 2 shown]
	v_cmp_gt_u32_e32 vcc, 5, v0
	ds_write2st64_b64 v18, v[20:21], v[22:23] offset0:2 offset1:3
	s_and_saveexec_b64 s[4:5], vcc
	s_cbranch_execz .LBB812_17
; %bb.16:
	s_mov_b32 s49, 0
	v_mov_b32_e32 v29, 0
	v_lshl_add_u64 v[20:21], s[48:49], 0, v[28:29]
	v_mov_b32_e32 v22, s9
	v_mad_u64_u32 v[20:21], s[10:11], s2, v22, v[20:21]
	s_mul_i32 s3, s3, s9
	v_mov_b32_e32 v28, s28
	s_load_dwordx4 s[12:15], s[0:1], 0x58
	v_add_u32_e32 v23, s3, v21
	v_mad_u64_u32 v[20:21], s[10:11], v20, s8, v[28:29]
	v_mov_b32_e32 v22, v21
	v_mad_u64_u32 v[22:23], s[10:11], v23, s8, v[22:23]
	v_mov_b32_e32 v21, v22
	v_lshlrev_b64 v[20:21], 2, v[20:21]
	s_waitcnt lgkmcnt(0)
	v_lshl_add_u64 v[22:23], s[14:15], 0, v[20:21]
	v_lshl_add_u64 v[20:21], s[12:13], 0, v[20:21]
	global_store_dword v[22:23], v27, off
	global_store_dword v[20:21], v38, off
.LBB812_17:
	s_or_b64 exec, exec, s[4:5]
	s_waitcnt vmcnt(3)
	v_cvt_pk_f32_fp8_e32 v[20:21], v14
	v_cvt_pk_f32_fp8_sdwa v[22:23], v14 src0_sel:WORD_1
	v_lshl_or_b32 v14, v42, 9, v19
	s_waitcnt lgkmcnt(0)
	s_barrier
	v_cvt_pk_f32_fp8_e32 v[24:25], v15
	v_cvt_pkrtz_f16_f32 v32, v20, v21
	v_cvt_pkrtz_f16_f32 v33, v22, v23
	v_cvt_pk_f32_fp8_sdwa v[28:29], v15 src0_sel:WORD_1
	ds_read_b128 v[20:23], v14
	v_cvt_pkrtz_f16_f32 v24, v24, v25
	v_cvt_pk_f32_fp8_e32 v[36:37], v16
	v_cvt_pkrtz_f16_f32 v25, v28, v29
	ds_read_b128 v[28:31], v14 offset:16
	v_cvt_pk_f32_fp8_sdwa v[38:39], v16 src0_sel:WORD_1
	s_waitcnt lgkmcnt(1)
	v_mfma_f32_16x16x16_f16 v[32:35], v[32:33], v[20:21], 0
	v_cvt_pkrtz_f16_f32 v36, v36, v37
	s_load_dword s4, s[42:43], 0x0
	v_cvt_pkrtz_f16_f32 v37, v38, v39
	v_cvt_pk_f32_fp8_e32 v[38:39], v17
	v_cvt_pk_f32_fp8_sdwa v[16:17], v17 src0_sel:WORD_1
	v_mfma_f32_16x16x16_f16 v[20:23], v[24:25], v[22:23], v[32:35]
	v_cmp_gt_u32_e32 vcc, 64, v0
	v_cvt_pkrtz_f16_f32 v24, v38, v39
	v_cvt_pkrtz_f16_f32 v25, v16, v17
	s_waitcnt lgkmcnt(0)
	v_mfma_f32_16x16x16_f16 v[20:23], v[36:37], v[28:29], v[20:23]
	s_waitcnt vmcnt(2)
	v_cvt_pk_f32_fp8_e32 v[16:17], v10
	v_cvt_pk_f32_fp8_e32 v[28:29], v11
	v_cvt_pk_f32_fp8_sdwa v[36:37], v12 src0_sel:WORD_1
	v_mfma_f32_16x16x16_f16 v[20:23], v[24:25], v[30:31], v[20:23]
	v_cvt_pk_f32_fp8_sdwa v[24:25], v10 src0_sel:WORD_1
	v_cvt_pkrtz_f16_f32 v10, v16, v17
	v_cvt_pk_f32_fp8_sdwa v[16:17], v11 src0_sel:WORD_1
	ds_read_b128 v[32:35], v14 offset:2064
	v_cvt_pkrtz_f16_f32 v11, v24, v25
	v_cvt_pkrtz_f16_f32 v24, v28, v29
	ds_read_b128 v[28:31], v14 offset:2048
	v_cvt_pkrtz_f16_f32 v25, v16, v17
	v_cvt_pk_f32_fp8_e32 v[16:17], v12
	s_waitcnt lgkmcnt(0)
	v_mfma_f32_16x16x16_f16 v[20:23], v[10:11], v[28:29], v[20:23]
	v_cvt_pkrtz_f16_f32 v10, v16, v17
	v_cvt_pkrtz_f16_f32 v11, v36, v37
	v_cvt_pk_f32_fp8_e32 v[16:17], v13
	v_mfma_f32_16x16x16_f16 v[20:23], v[24:25], v[30:31], v[20:23]
	v_cvt_pk_f32_fp8_sdwa v[24:25], v13 src0_sel:WORD_1
	ds_read_b128 v[28:31], v14 offset:4112
	v_cvt_pkrtz_f16_f32 v16, v16, v17
	v_mfma_f32_16x16x16_f16 v[10:13], v[10:11], v[32:33], v[20:23]
	v_cvt_pkrtz_f16_f32 v17, v24, v25
	s_waitcnt vmcnt(1)
	v_cvt_pk_f32_fp8_sdwa v[24:25], v7 src0_sel:WORD_1
	v_cvt_pk_f32_fp8_sdwa v[32:33], v8 src0_sel:WORD_1
	v_cvt_pk_f32_fp8_e32 v[20:21], v6
	v_mfma_f32_16x16x16_f16 v[10:13], v[16:17], v[34:35], v[10:13]
	v_cvt_pk_f32_fp8_sdwa v[16:17], v6 src0_sel:WORD_1
	v_cvt_pk_f32_fp8_e32 v[22:23], v7
	v_cvt_pkrtz_f16_f32 v6, v20, v21
	s_mov_b32 s3, 0
	v_cvt_pkrtz_f16_f32 v7, v16, v17
	v_cvt_pkrtz_f16_f32 v16, v22, v23
	ds_read_b128 v[20:23], v14 offset:4096
	v_cvt_pkrtz_f16_f32 v17, v24, v25
	v_cvt_pk_f32_fp8_e32 v[24:25], v8
	s_waitcnt lgkmcnt(0)
	v_mfma_f32_16x16x16_f16 v[10:13], v[6:7], v[20:21], v[10:13]
	v_cvt_pkrtz_f16_f32 v6, v24, v25
	v_cvt_pkrtz_f16_f32 v7, v32, v33
	v_cvt_pk_f32_fp8_e32 v[20:21], v9
	v_mfma_f32_16x16x16_f16 v[10:13], v[16:17], v[22:23], v[10:13]
	v_cvt_pk_f32_fp8_sdwa v[16:17], v9 src0_sel:WORD_1
	s_waitcnt vmcnt(0)
	v_cvt_pk_f32_fp8_sdwa v[24:25], v4 src0_sel:WORD_1
	v_cvt_pkrtz_f16_f32 v20, v20, v21
	v_mfma_f32_16x16x16_f16 v[6:9], v[6:7], v[28:29], v[10:13]
	v_cvt_pkrtz_f16_f32 v21, v16, v17
	v_cvt_pk_f32_fp8_e32 v[16:17], v3
	v_mov_b32_e32 v27, 0
	v_cvt_pk_f32_fp8_e32 v[10:11], v2
	v_cvt_pk_f32_fp8_sdwa v[12:13], v2 src0_sel:WORD_1
	v_mfma_f32_16x16x16_f16 v[6:9], v[20:21], v[30:31], v[6:9]
	v_cvt_pk_f32_fp8_sdwa v[20:21], v3 src0_sel:WORD_1
	v_cvt_pkrtz_f16_f32 v2, v10, v11
	v_cvt_pkrtz_f16_f32 v3, v12, v13
	ds_read_b128 v[10:13], v14 offset:6144
	v_cvt_pkrtz_f16_f32 v22, v16, v17
	v_cvt_pkrtz_f16_f32 v23, v20, v21
	v_cvt_pk_f32_fp8_e32 v[20:21], v4
	s_waitcnt lgkmcnt(0)
	v_mfma_f32_16x16x16_f16 v[6:9], v[2:3], v[10:11], v[6:9]
	ds_read_b128 v[14:17], v14 offset:6160
	v_cvt_pkrtz_f16_f32 v2, v20, v21
	v_cvt_pkrtz_f16_f32 v3, v24, v25
	v_cvt_pk_f32_fp8_e32 v[10:11], v5
	v_mfma_f32_16x16x16_f16 v[6:9], v[22:23], v[12:13], v[6:9]
	v_cvt_pk_f32_fp8_sdwa v[12:13], v5 src0_sel:WORD_1
	s_waitcnt lgkmcnt(0)
	v_cvt_pkrtz_f16_f32 v10, v10, v11
	v_mfma_f32_16x16x16_f16 v[2:5], v[2:3], v[14:15], v[6:9]
	v_cvt_pkrtz_f16_f32 v11, v12, v13
	s_barrier
	s_nop 0
	v_mfma_f32_16x16x16_f16 v[2:5], v[10:11], v[16:17], v[2:5]
	s_nop 6
	v_pk_mul_f32 v[4:5], v[4:5], s[4:5] op_sel_hi:[1,0]
	v_pk_mul_f32 v[2:3], v[2:3], s[4:5] op_sel_hi:[1,0]
	v_cvt_f16_f32_e32 v4, v4
	v_cvt_f16_f32_e32 v2, v2
	;; [unrolled: 1-line block ×4, first 2 shown]
	s_and_b64 s[4:5], vcc, s[30:31]
	v_pack_b32_f16 v2, v2, v3
	v_pack_b32_f16 v3, v4, v5
	ds_write_b64 v18, v[2:3]
	s_waitcnt lgkmcnt(0)
	s_barrier
	s_and_saveexec_b64 s[10:11], s[4:5]
	s_cbranch_execz .LBB812_20
; %bb.18:
	s_load_dwordx2 s[4:5], s[0:1], 0x68
	s_lshl_b32 s0, s8, 6
	s_mul_i32 s1, s9, s2
	s_mul_hi_u32 s9, s1, s0
	s_mul_i32 s8, s1, s0
	v_lshlrev_b32_e32 v0, 10, v0
	s_lshl_b64 s[8:9], s[8:9], 1
	v_and_b32_e32 v0, 0x1800, v0
	v_lshlrev_b32_e32 v2, 5, v42
	v_and_b32_e32 v1, 16, v1
	s_waitcnt lgkmcnt(0)
	s_add_u32 s1, s4, s8
	v_or3_b32 v2, v0, v2, v1
	s_addc_u32 s4, s5, s9
	s_lshl_b32 s2, s28, 6
	s_lshl_b64 s[2:3], s[2:3], 1
	ds_read_b128 v[4:7], v2
	s_add_u32 s2, s1, s2
	s_addc_u32 s3, s4, s3
	v_add_u32_e32 v3, s48, v42
	v_lshl_add_u64 v[0:1], s[2:3], 0, v[26:27]
	v_mad_u64_u32 v[8:9], s[2:3], v3, s0, 0
	v_lshl_add_u64 v[8:9], v[8:9], 1, v[0:1]
	s_waitcnt lgkmcnt(0)
	global_store_dwordx4 v[8:9], v[4:7], off
	s_and_b64 exec, exec, s[6:7]
	s_cbranch_execz .LBB812_20
; %bb.19:
	ds_read_b128 v[2:5], v2 offset:128
	v_add3_u32 v6, s48, v42, 4
	v_mad_u64_u32 v[6:7], s[0:1], v6, s0, 0
	v_lshl_add_u64 v[0:1], v[6:7], 1, v[0:1]
	s_waitcnt lgkmcnt(0)
	global_store_dwordx4 v[0:1], v[2:5], off
.LBB812_20:
	s_endpgm
	.section	.rodata,"a",@progbits
	.p2align	6, 0x0
	.amdhsa_kernel _Z39paged_attention_ll4mi_QKV_mfma16_kernelIDF16_hLN4vllm18Fp8KVCacheDataTypeE1EDF16_Li16ELi64ELi256ELb1ELi5EEvPKT_PKT0_S7_ifPKiS9_S9_iPKfiiiPfSC_PS2_PT2_iSB_SB_
		.amdhsa_group_segment_fixed_size 8192
		.amdhsa_private_segment_fixed_size 0
		.amdhsa_kernarg_size 400
		.amdhsa_user_sgpr_count 2
		.amdhsa_user_sgpr_dispatch_ptr 0
		.amdhsa_user_sgpr_queue_ptr 0
		.amdhsa_user_sgpr_kernarg_segment_ptr 1
		.amdhsa_user_sgpr_dispatch_id 0
		.amdhsa_user_sgpr_kernarg_preload_length 0
		.amdhsa_user_sgpr_kernarg_preload_offset 0
		.amdhsa_user_sgpr_private_segment_size 0
		.amdhsa_uses_dynamic_stack 0
		.amdhsa_enable_private_segment 0
		.amdhsa_system_sgpr_workgroup_id_x 1
		.amdhsa_system_sgpr_workgroup_id_y 1
		.amdhsa_system_sgpr_workgroup_id_z 1
		.amdhsa_system_sgpr_workgroup_info 0
		.amdhsa_system_vgpr_workitem_id 0
		.amdhsa_next_free_vgpr 67
		.amdhsa_next_free_sgpr 50
		.amdhsa_accum_offset 68
		.amdhsa_reserve_vcc 1
		.amdhsa_float_round_mode_32 0
		.amdhsa_float_round_mode_16_64 0
		.amdhsa_float_denorm_mode_32 3
		.amdhsa_float_denorm_mode_16_64 3
		.amdhsa_dx10_clamp 1
		.amdhsa_ieee_mode 1
		.amdhsa_fp16_overflow 0
		.amdhsa_tg_split 0
		.amdhsa_exception_fp_ieee_invalid_op 0
		.amdhsa_exception_fp_denorm_src 0
		.amdhsa_exception_fp_ieee_div_zero 0
		.amdhsa_exception_fp_ieee_overflow 0
		.amdhsa_exception_fp_ieee_underflow 0
		.amdhsa_exception_fp_ieee_inexact 0
		.amdhsa_exception_int_div_zero 0
	.end_amdhsa_kernel
	.section	.text._Z39paged_attention_ll4mi_QKV_mfma16_kernelIDF16_hLN4vllm18Fp8KVCacheDataTypeE1EDF16_Li16ELi64ELi256ELb1ELi5EEvPKT_PKT0_S7_ifPKiS9_S9_iPKfiiiPfSC_PS2_PT2_iSB_SB_,"axG",@progbits,_Z39paged_attention_ll4mi_QKV_mfma16_kernelIDF16_hLN4vllm18Fp8KVCacheDataTypeE1EDF16_Li16ELi64ELi256ELb1ELi5EEvPKT_PKT0_S7_ifPKiS9_S9_iPKfiiiPfSC_PS2_PT2_iSB_SB_,comdat
.Lfunc_end812:
	.size	_Z39paged_attention_ll4mi_QKV_mfma16_kernelIDF16_hLN4vllm18Fp8KVCacheDataTypeE1EDF16_Li16ELi64ELi256ELb1ELi5EEvPKT_PKT0_S7_ifPKiS9_S9_iPKfiiiPfSC_PS2_PT2_iSB_SB_, .Lfunc_end812-_Z39paged_attention_ll4mi_QKV_mfma16_kernelIDF16_hLN4vllm18Fp8KVCacheDataTypeE1EDF16_Li16ELi64ELi256ELb1ELi5EEvPKT_PKT0_S7_ifPKiS9_S9_iPKfiiiPfSC_PS2_PT2_iSB_SB_
                                        ; -- End function
	.section	.AMDGPU.csdata,"",@progbits
; Kernel info:
; codeLenInByte = 4844
; NumSgprs: 56
; NumVgprs: 67
; NumAgprs: 0
; TotalNumVgprs: 67
; ScratchSize: 0
; MemoryBound: 0
; FloatMode: 240
; IeeeMode: 1
; LDSByteSize: 8192 bytes/workgroup (compile time only)
; SGPRBlocks: 6
; VGPRBlocks: 8
; NumSGPRsForWavesPerEU: 56
; NumVGPRsForWavesPerEU: 67
; AccumOffset: 68
; Occupancy: 7
; WaveLimiterHint : 1
; COMPUTE_PGM_RSRC2:SCRATCH_EN: 0
; COMPUTE_PGM_RSRC2:USER_SGPR: 2
; COMPUTE_PGM_RSRC2:TRAP_HANDLER: 0
; COMPUTE_PGM_RSRC2:TGID_X_EN: 1
; COMPUTE_PGM_RSRC2:TGID_Y_EN: 1
; COMPUTE_PGM_RSRC2:TGID_Z_EN: 1
; COMPUTE_PGM_RSRC2:TIDIG_COMP_CNT: 0
; COMPUTE_PGM_RSRC3_GFX90A:ACCUM_OFFSET: 16
; COMPUTE_PGM_RSRC3_GFX90A:TG_SPLIT: 0
	.section	.text._Z39paged_attention_ll4mi_QKV_mfma16_kernelIDF16_hLN4vllm18Fp8KVCacheDataTypeE1EDF16_Li16ELi64ELi256ELb1ELi6EEvPKT_PKT0_S7_ifPKiS9_S9_iPKfiiiPfSC_PS2_PT2_iSB_SB_,"axG",@progbits,_Z39paged_attention_ll4mi_QKV_mfma16_kernelIDF16_hLN4vllm18Fp8KVCacheDataTypeE1EDF16_Li16ELi64ELi256ELb1ELi6EEvPKT_PKT0_S7_ifPKiS9_S9_iPKfiiiPfSC_PS2_PT2_iSB_SB_,comdat
	.protected	_Z39paged_attention_ll4mi_QKV_mfma16_kernelIDF16_hLN4vllm18Fp8KVCacheDataTypeE1EDF16_Li16ELi64ELi256ELb1ELi6EEvPKT_PKT0_S7_ifPKiS9_S9_iPKfiiiPfSC_PS2_PT2_iSB_SB_ ; -- Begin function _Z39paged_attention_ll4mi_QKV_mfma16_kernelIDF16_hLN4vllm18Fp8KVCacheDataTypeE1EDF16_Li16ELi64ELi256ELb1ELi6EEvPKT_PKT0_S7_ifPKiS9_S9_iPKfiiiPfSC_PS2_PT2_iSB_SB_
	.globl	_Z39paged_attention_ll4mi_QKV_mfma16_kernelIDF16_hLN4vllm18Fp8KVCacheDataTypeE1EDF16_Li16ELi64ELi256ELb1ELi6EEvPKT_PKT0_S7_ifPKiS9_S9_iPKfiiiPfSC_PS2_PT2_iSB_SB_
	.p2align	8
	.type	_Z39paged_attention_ll4mi_QKV_mfma16_kernelIDF16_hLN4vllm18Fp8KVCacheDataTypeE1EDF16_Li16ELi64ELi256ELb1ELi6EEvPKT_PKT0_S7_ifPKiS9_S9_iPKfiiiPfSC_PS2_PT2_iSB_SB_,@function
_Z39paged_attention_ll4mi_QKV_mfma16_kernelIDF16_hLN4vllm18Fp8KVCacheDataTypeE1EDF16_Li16ELi64ELi256ELb1ELi6EEvPKT_PKT0_S7_ifPKiS9_S9_iPKfiiiPfSC_PS2_PT2_iSB_SB_: ; @_Z39paged_attention_ll4mi_QKV_mfma16_kernelIDF16_hLN4vllm18Fp8KVCacheDataTypeE1EDF16_Li16ELi64ELi256ELb1ELi6EEvPKT_PKT0_S7_ifPKiS9_S9_iPKfiiiPfSC_PS2_PT2_iSB_SB_
; %bb.0:
	s_load_dwordx2 s[6:7], s[0:1], 0x30
	s_mov_b32 s28, s3
	s_mov_b64 s[8:9], 0
	s_waitcnt lgkmcnt(0)
	s_cmp_lg_u64 s[6:7], 0
	s_cselect_b64 s[10:11], -1, 0
	s_and_b64 vcc, exec, s[10:11]
	s_cbranch_vccz .LBB813_7
; %bb.1:
	s_add_i32 s12, s2, 1
	s_mov_b32 s13, 0
	s_lshl_b64 s[14:15], s[12:13], 2
	s_add_u32 s14, s6, s14
	s_mov_b32 s3, s13
	s_addc_u32 s15, s7, s15
	s_lshl_b64 s[12:13], s[2:3], 2
	s_add_u32 s12, s6, s12
	s_addc_u32 s13, s7, s13
	s_load_dword s5, s[14:15], 0x0
	s_load_dword s16, s[12:13], 0x0
	s_waitcnt lgkmcnt(0)
	s_sub_i32 s5, s5, s16
	s_cmp_eq_u32 s5, 1
	s_cselect_b64 s[12:13], -1, 0
	s_andn2_b64 vcc, exec, s[8:9]
	s_cbranch_vccnz .LBB813_3
.LBB813_2:
	s_mov_b32 s3, 0
	s_mov_b64 s[12:13], -1
.LBB813_3:
	s_andn2_b64 vcc, exec, s[12:13]
	s_cbranch_vccnz .LBB813_20
; %bb.4:
	s_load_dwordx2 s[8:9], s[0:1], 0x28
	s_lshl_b64 s[12:13], s[2:3], 2
	s_waitcnt lgkmcnt(0)
	s_add_u32 s8, s8, s12
	s_addc_u32 s9, s9, s13
	s_load_dword s29, s[8:9], 0x0
	s_lshl_b32 s16, s28, 8
	s_waitcnt lgkmcnt(0)
	s_cmp_ge_i32 s16, s29
	s_cbranch_scc1 .LBB813_20
; %bb.5:
	s_load_dwordx2 s[8:9], s[0:1], 0x20
	s_load_dword s5, s[0:1], 0x38
	s_add_i32 s14, s29, 15
	s_ashr_i32 s15, s14, 31
	v_and_b32_e32 v1, 0xcf, v0
	s_lshr_b32 s15, s15, 28
	v_add_u32_e32 v1, s16, v1
	s_add_i32 s14, s14, s15
	v_ashrrev_i32_e32 v2, 31, v1
	s_ashr_i32 s17, s14, 4
	v_lshrrev_b32_e32 v4, 28, v2
	s_add_i32 s17, s17, -1
	s_waitcnt lgkmcnt(0)
	s_mul_i32 s14, s2, s5
	s_mov_b32 s15, 0
	v_add_u32_e32 v2, v1, v4
	s_lshl_b64 s[14:15], s[14:15], 2
	v_ashrrev_i32_e32 v2, 4, v2
	v_mov_b32_e32 v5, s17
	v_cmp_gt_i32_e32 vcc, s29, v1
	s_add_u32 s8, s8, s14
	s_addc_u32 s9, s9, s15
	v_cndmask_b32_e32 v2, v5, v2, vcc
	v_ashrrev_i32_e32 v3, 31, v2
	v_lshl_add_u64 v[6:7], v[2:3], 2, s[8:9]
	v_or_b32_e32 v2, 16, v1
	v_add_u32_e32 v3, v2, v4
	v_ashrrev_i32_e32 v3, 4, v3
	v_cmp_gt_i32_e32 vcc, s29, v2
	s_load_dwordx2 s[14:15], s[0:1], 0x8
	s_nop 0
	v_cndmask_b32_e32 v2, v5, v3, vcc
	v_ashrrev_i32_e32 v3, 31, v2
	v_lshl_add_u64 v[8:9], v[2:3], 2, s[8:9]
	v_or_b32_e32 v2, 32, v1
	v_add_u32_e32 v3, v2, v4
	v_ashrrev_i32_e32 v3, 4, v3
	v_cmp_gt_i32_e32 vcc, s29, v2
	v_or_b32_e32 v1, 48, v1
	s_nop 0
	v_cndmask_b32_e32 v2, v5, v3, vcc
	v_ashrrev_i32_e32 v3, 31, v2
	v_lshl_add_u64 v[10:11], v[2:3], 2, s[8:9]
	v_add_u32_e32 v2, v1, v4
	v_ashrrev_i32_e32 v2, 4, v2
	v_cmp_gt_i32_e32 vcc, s29, v1
	s_nop 1
	v_cndmask_b32_e32 v2, v5, v2, vcc
	v_ashrrev_i32_e32 v3, 31, v2
	v_lshl_add_u64 v[12:13], v[2:3], 2, s[8:9]
	global_load_dword v5, v[6:7], off
	global_load_dword v4, v[8:9], off
	global_load_dword v3, v[10:11], off
	global_load_dword v2, v[12:13], off
	s_andn2_b64 vcc, exec, s[10:11]
	s_cbranch_vccnz .LBB813_8
; %bb.6:
	s_add_u32 s6, s6, s12
	s_addc_u32 s7, s7, s13
	s_load_dword s5, s[6:7], 0x0
	s_branch .LBB813_9
.LBB813_7:
	s_mov_b64 s[12:13], 0
	s_branch .LBB813_2
.LBB813_8:
	s_mov_b32 s5, s2
.LBB813_9:
	s_load_dwordx2 s[6:7], s[0:1], 0x10
	s_load_dwordx4 s[44:47], s[0:1], 0x48
	v_lshrrev_b32_e32 v29, 6, v0
	v_bfe_u32 v42, v0, 4, 2
	v_lshl_or_b32 v6, v29, 2, v42
	v_and_b32_e32 v28, 15, v0
	v_lshlrev_b32_e32 v1, 3, v28
	v_cmp_gt_u32_e32 vcc, 6, v6
	v_cmp_gt_u32_e64 s[30:31], 8, v28
	s_mul_i32 s48, s4, 6
	s_and_b64 s[12:13], s[30:31], vcc
	v_lshlrev_b32_e32 v26, 1, v1
	v_lshlrev_b32_e32 v1, 4, v0
	s_and_saveexec_b64 s[10:11], s[12:13]
	s_cbranch_execz .LBB813_11
; %bb.10:
	s_load_dwordx2 s[12:13], s[0:1], 0x0
	s_waitcnt lgkmcnt(0)
	s_ashr_i32 s18, s44, 31
	s_mul_hi_u32 s19, s5, s44
	s_mul_i32 s18, s5, s18
	s_add_i32 s19, s19, s18
	s_mul_i32 s18, s5, s44
	s_lshl_b64 s[18:19], s[18:19], 1
	s_add_u32 s12, s12, s18
	v_add_lshl_u32 v8, v6, s48, 6
	s_addc_u32 s13, s13, s19
	v_ashrrev_i32_e32 v9, 31, v8
	v_lshl_add_u64 v[8:9], v[8:9], 1, s[12:13]
	v_mov_b32_e32 v27, 0
	v_lshl_add_u64 v[8:9], v[8:9], 0, v[26:27]
	global_load_dwordx4 v[8:11], v[8:9], off
	v_lshlrev_b32_e32 v12, 8, v28
	v_lshlrev_b32_e32 v6, 5, v6
	v_and_b32_e32 v7, 16, v1
	v_and_b32_e32 v12, 0xe00, v12
	v_or3_b32 v6, v12, v6, v7
	s_waitcnt vmcnt(0)
	ds_write_b128 v6, v[8:11]
.LBB813_11:
	s_or_b64 exec, exec, s[10:11]
	s_waitcnt lgkmcnt(0)
	s_mul_i32 s10, s4, s46
	s_add_u32 s4, s14, s10
	s_addc_u32 s5, s15, 0
	v_and_b32_e32 v32, 48, v0
	v_and_b32_e32 v30, 0xf0, v1
	v_mov_b32_e32 v31, 0
	v_lshl_add_u64 v[6:7], s[4:5], 0, v[30:31]
	v_lshlrev_b32_e32 v30, 4, v32
	v_lshl_add_u64 v[6:7], v[6:7], 0, v[30:31]
	s_waitcnt vmcnt(3)
	v_mad_i64_i32 v[8:9], s[4:5], v5, s45, v[6:7]
	s_waitcnt vmcnt(2)
	v_mad_i64_i32 v[4:5], s[4:5], v4, s45, v[6:7]
	s_barrier
	global_load_dwordx4 v[22:25], v[8:9], off
	global_load_dwordx4 v[18:21], v[4:5], off
	s_waitcnt vmcnt(3)
	v_mad_i64_i32 v[4:5], s[4:5], v3, s45, v[6:7]
	s_waitcnt vmcnt(2)
	v_mad_i64_i32 v[2:3], s[4:5], v2, s45, v[6:7]
	global_load_dwordx4 v[14:17], v[4:5], off
	global_load_dwordx4 v[6:9], v[2:3], off
	v_mul_lo_u16_e32 v2, 43, v28
	v_mov_b32_e32 v3, 6
	v_mul_lo_u16_sdwa v2, v2, v3 dst_sel:DWORD dst_unused:UNUSED_PAD src0_sel:BYTE_1 src1_sel:DWORD
	v_sub_u16_e32 v2, v28, v2
	v_mov_b32_e32 v3, 5
	v_lshlrev_b32_sdwa v2, v3, v2 dst_sel:DWORD dst_unused:UNUSED_PAD src0_sel:DWORD src1_sel:BYTE_0
	v_lshl_add_u32 v2, v42, 9, v2
	ds_read_b128 v[10:13], v2
	ds_read_b128 v[2:5], v2 offset:16
	v_and_b32_e32 v27, 63, v0
	v_cmp_gt_u32_e32 vcc, 6, v28
	v_mov_b32_e32 v43, 0
	s_and_saveexec_b64 s[4:5], vcc
	s_cbranch_execz .LBB813_13
; %bb.12:
	s_load_dwordx2 s[12:13], s[0:1], 0x40
	v_add_u32_e32 v34, s48, v28
	v_ashrrev_i32_e32 v35, 31, v34
	s_waitcnt lgkmcnt(0)
	v_lshl_add_u64 v[34:35], v[34:35], 2, s[12:13]
	global_load_dword v43, v[34:35], off
.LBB813_13:
	s_or_b64 exec, exec, s[4:5]
	v_or_b32_e32 v62, s16, v32
	v_ashrrev_i32_e32 v30, 4, v62
	v_mov_b32_e32 v63, s17
	v_cmp_gt_i32_e32 vcc, s29, v62
	s_waitcnt vmcnt(2)
	v_cvt_pk_f32_fp8_e32 v[52:53], v20
	v_cvt_pk_f32_fp8_sdwa v[54:55], v20 src0_sel:WORD_1
	v_cndmask_b32_e32 v20, v63, v30, vcc
	v_cvt_pk_f32_fp8_e32 v[56:57], v21
	v_cvt_pk_f32_fp8_sdwa v[58:59], v21 src0_sel:WORD_1
	v_ashrrev_i32_e32 v21, 31, v20
	v_cvt_pk_f32_fp8_e32 v[40:41], v22
	v_cvt_pk_f32_fp8_sdwa v[44:45], v22 src0_sel:WORD_1
	v_lshl_add_u64 v[20:21], v[20:21], 2, s[8:9]
	v_cvt_pk_f32_fp8_e32 v[46:47], v18
	v_cvt_pk_f32_fp8_sdwa v[48:49], v18 src0_sel:WORD_1
	global_load_dword v64, v[20:21], off
	v_cvt_pk_f32_fp8_e32 v[34:35], v23
	v_cvt_pk_f32_fp8_sdwa v[32:33], v23 src0_sel:WORD_1
	v_cvt_pkrtz_f16_f32 v20, v40, v41
	v_cvt_pkrtz_f16_f32 v21, v44, v45
	v_cvt_pk_f32_fp8_e32 v[36:37], v24
	v_cvt_pk_f32_fp8_sdwa v[38:39], v24 src0_sel:WORD_1
	v_cvt_pk_f32_fp8_e32 v[50:51], v19
	v_cvt_pk_f32_fp8_sdwa v[18:19], v19 src0_sel:WORD_1
	v_cvt_pkrtz_f16_f32 v44, v46, v47
	v_cvt_pkrtz_f16_f32 v45, v48, v49
	v_cvt_pk_f32_fp8_e32 v[22:23], v25
	s_waitcnt vmcnt(2)
	v_cvt_pk_f32_fp8_e32 v[40:41], v14
	v_cvt_pk_f32_fp8_sdwa v[46:47], v14 src0_sel:WORD_1
	v_cvt_pkrtz_f16_f32 v48, v34, v35
	v_cvt_pkrtz_f16_f32 v49, v32, v33
	v_or_b32_e32 v14, 64, v62
	v_or_b32_e32 v32, 0xc0, v62
	v_cvt_pk_f32_fp8_sdwa v[24:25], v25 src0_sel:WORD_1
	s_load_dword s11, s[0:1], 0x1c
	s_load_dwordx4 s[40:43], s[0:1], 0x80
	v_cvt_pkrtz_f16_f32 v36, v36, v37
	v_cvt_pkrtz_f16_f32 v37, v38, v39
	v_or_b32_e32 v65, 0x80, v62
	v_ashrrev_i32_e32 v62, 4, v14
	v_cmp_gt_i32_e32 vcc, s29, v32
	v_ashrrev_i32_e32 v66, 4, v32
	v_cmp_gt_i32_e64 s[4:5], s29, v14
	v_cvt_pkrtz_f16_f32 v38, v50, v51
	v_cvt_pkrtz_f16_f32 v39, v18, v19
	s_waitcnt lgkmcnt(0)
	v_mfma_f32_16x16x16_f16 v[32:35], v[20:21], v[10:11], 0
	s_add_u32 s6, s6, s10
	v_lshlrev_b32_e32 v30, 4, v28
	v_cndmask_b32_e64 v50, v63, v62, s[4:5]
	v_cvt_pkrtz_f16_f32 v62, v22, v23
	v_mfma_f32_16x16x16_f16 v[20:23], v[44:45], v[10:11], 0
	v_lshl_or_b32 v30, v29, 8, v30
	s_addc_u32 s7, s7, 0
	v_ashrrev_i32_e32 v14, 4, v65
	v_lshl_add_u64 v[18:19], s[6:7], 0, v[30:31]
	v_cmp_gt_i32_e64 s[6:7], s29, v65
	v_mfma_f32_16x16x16_f16 v[30:33], v[48:49], v[12:13], v[32:35]
	v_cndmask_b32_e32 v48, v63, v66, vcc
	s_load_dword s4, s[40:41], 0x0
	v_cvt_pk_f32_fp8_e32 v[60:61], v15
	v_cndmask_b32_e64 v34, v63, v14, s[6:7]
	v_cvt_pkrtz_f16_f32 v63, v24, v25
	v_cvt_pkrtz_f16_f32 v24, v52, v53
	;; [unrolled: 1-line block ×3, first 2 shown]
	v_mfma_f32_16x16x16_f16 v[20:23], v[38:39], v[12:13], v[20:23]
	v_cvt_pkrtz_f16_f32 v40, v40, v41
	v_cvt_pkrtz_f16_f32 v41, v46, v47
	v_ashrrev_i32_e32 v51, 31, v50
	v_mfma_f32_16x16x16_f16 v[20:23], v[24:25], v[2:3], v[20:23]
	v_mov_b32_e32 v24, s11
	s_waitcnt lgkmcnt(0)
	v_mul_f32_e32 v54, s4, v24
	v_cvt_pk_f32_fp8_sdwa v[24:25], v15 src0_sel:WORD_1
	v_mfma_f32_16x16x16_f16 v[30:33], v[36:37], v[2:3], v[30:33]
	v_ashrrev_i32_e32 v35, 31, v34
	v_ashrrev_i32_e32 v49, 31, v48
	v_lshl_add_u64 v[36:37], v[50:51], 2, s[8:9]
	v_lshl_add_u64 v[34:35], v[34:35], 2, s[8:9]
	;; [unrolled: 1-line block ×3, first 2 shown]
	global_load_dword v14, v[36:37], off
	global_load_dword v44, v[34:35], off
	;; [unrolled: 1-line block ×3, first 2 shown]
	v_cvt_pkrtz_f16_f32 v46, v60, v61
	v_cvt_pk_f32_fp8_e32 v[48:49], v16
	v_cvt_pk_f32_fp8_sdwa v[50:51], v16 src0_sel:WORD_1
	v_cvt_pkrtz_f16_f32 v47, v24, v25
	v_mfma_f32_16x16x16_f16 v[36:39], v[62:63], v[4:5], v[30:33]
	v_cvt_pkrtz_f16_f32 v24, v48, v49
	v_cvt_pkrtz_f16_f32 v25, v50, v51
	;; [unrolled: 1-line block ×3, first 2 shown]
	v_mfma_f32_16x16x16_f16 v[30:33], v[40:41], v[10:11], 0
	v_cvt_pk_f32_fp8_e32 v[40:41], v17
	v_cvt_pk_f32_fp8_sdwa v[16:17], v17 src0_sel:WORD_1
	v_cvt_pkrtz_f16_f32 v53, v58, v59
	v_mfma_f32_16x16x16_f16 v[46:49], v[46:47], v[12:13], v[30:33]
	s_mov_b32 s33, 0xff7fffff
	s_waitcnt vmcnt(3)
	v_mad_i64_i32 v[34:35], s[4:5], v64, s45, v[18:19]
	v_cvt_pkrtz_f16_f32 v32, v40, v41
	v_cvt_pkrtz_f16_f32 v33, v16, v17
	v_mfma_f32_16x16x16_f16 v[46:49], v[24:25], v[2:3], v[46:49]
	v_cvt_pk_f32_fp8_e32 v[16:17], v6
	v_cvt_pk_f32_fp8_sdwa v[24:25], v6 src0_sel:WORD_1
	v_pk_mul_f32 v[30:31], v[54:55], v[38:39] op_sel_hi:[0,1]
	v_mfma_f32_16x16x16_f16 v[46:49], v[32:33], v[4:5], v[46:49]
	v_cvt_pk_f32_fp8_e32 v[32:33], v7
	v_cvt_pkrtz_f16_f32 v16, v16, v17
	v_cvt_pkrtz_f16_f32 v17, v24, v25
	v_cvt_pk_f32_fp8_sdwa v[6:7], v7 src0_sel:WORD_1
	v_pk_mul_f32 v[38:39], v[54:55], v[36:37] op_sel_hi:[0,1]
	v_cvt_pkrtz_f16_f32 v24, v32, v33
	v_cvt_pk_f32_fp8_e32 v[32:33], v8
	v_cvt_pk_f32_fp8_sdwa v[36:37], v8 src0_sel:WORD_1
	v_cvt_pkrtz_f16_f32 v25, v6, v7
	v_mfma_f32_16x16x16_f16 v[20:23], v[52:53], v[4:5], v[20:23]
	v_mfma_f32_16x16x16_f16 v[50:53], v[16:17], v[10:11], 0
	v_cvt_pkrtz_f16_f32 v10, v32, v33
	v_cvt_pkrtz_f16_f32 v11, v36, v37
	v_cvt_pk_f32_fp8_e32 v[16:17], v9
	v_cvt_pk_f32_fp8_sdwa v[32:33], v9 src0_sel:WORD_1
	v_mfma_f32_16x16x16_f16 v[6:9], v[24:25], v[12:13], v[50:53]
	s_nop 0
	v_pk_mul_f32 v[36:37], v[54:55], v[22:23] op_sel_hi:[0,1]
	v_cvt_pkrtz_f16_f32 v12, v16, v17
	v_cvt_pkrtz_f16_f32 v13, v32, v33
	v_mfma_f32_16x16x16_f16 v[6:9], v[10:11], v[2:3], v[6:9]
	v_pk_mul_f32 v[40:41], v[54:55], v[20:21] op_sel_hi:[0,1]
	v_pk_mul_f32 v[24:25], v[54:55], v[48:49] op_sel_hi:[0,1]
	;; [unrolled: 1-line block ×3, first 2 shown]
	v_mfma_f32_16x16x16_f16 v[2:5], v[12:13], v[4:5], v[6:9]
	s_nop 6
	v_pk_mul_f32 v[22:23], v[54:55], v[2:3] op_sel_hi:[0,1]
	v_and_b32_e32 v2, 0xc0, v0
	v_add_u32_e32 v2, s16, v2
	v_lshl_or_b32 v2, v42, 2, v2
	v_or_b32_e32 v3, 1, v2
	v_pk_mul_f32 v[20:21], v[54:55], v[4:5] op_sel_hi:[0,1]
	v_subrev_u32_e32 v4, s29, v3
	v_add_u32_e32 v6, 1, v4
	v_add_u32_e32 v7, 2, v4
	;; [unrolled: 1-line block ×3, first 2 shown]
	v_cvt_f32_i32_e32 v6, v6
	v_cvt_f32_i32_e32 v7, v7
	;; [unrolled: 1-line block ×3, first 2 shown]
	v_add_u32_e32 v9, 19, v4
	v_fmac_f32_e32 v39, v43, v6
	v_fma_f32 v30, v43, v7, v30
	v_fmac_f32_e32 v31, v43, v8
	v_add_u32_e32 v6, 16, v4
	v_add_u32_e32 v7, 17, v4
	;; [unrolled: 1-line block ×3, first 2 shown]
	v_cvt_f32_i32_e32 v6, v6
	v_cvt_f32_i32_e32 v7, v7
	;; [unrolled: 1-line block ×4, first 2 shown]
	v_fma_f32 v40, v43, v6, v40
	v_fmac_f32_e32 v41, v43, v7
	v_fma_f32 v36, v43, v8, v36
	v_add_u32_e32 v6, 32, v4
	v_add_u32_e32 v7, 33, v4
	v_add_u32_e32 v8, 34, v4
	v_cvt_f32_i32_e32 v6, v6
	v_cvt_f32_i32_e32 v7, v7
	v_cvt_f32_i32_e32 v8, v8
	v_cvt_f32_i32_e32 v5, v4
	v_fmac_f32_e32 v37, v43, v9
	v_add_u32_e32 v9, 35, v4
	v_fma_f32 v32, v43, v6, v32
	v_fmac_f32_e32 v33, v43, v7
	v_fma_f32 v24, v43, v8, v24
	v_add_u32_e32 v6, 48, v4
	v_add_u32_e32 v7, 49, v4
	;; [unrolled: 1-line block ×4, first 2 shown]
	v_cvt_f32_i32_e32 v4, v4
	v_cvt_f32_i32_e32 v6, v6
	;; [unrolled: 1-line block ×3, first 2 shown]
	v_fma_f32 v5, v43, v5, v38
	v_fmac_f32_e32 v21, v43, v4
	v_mov_b32_e32 v4, 0xff7fffff
	v_cmp_gt_i32_e64 s[4:5], s29, v2
	v_cmp_gt_i32_e64 s[34:35], s29, v3
	v_fma_f32 v22, v43, v6, v22
	v_cndmask_b32_e64 v6, v4, v5, s[4:5]
	v_cndmask_b32_e64 v3, v4, v39, s[34:35]
	v_fmac_f32_e32 v23, v43, v7
	v_max3_f32 v3, v6, s33, v3
	v_or_b32_e32 v6, 2, v2
	v_or_b32_e32 v7, 3, v2
	v_cmp_gt_i32_e64 s[36:37], s29, v6
	v_cmp_gt_i32_e64 s[38:39], s29, v7
	v_cvt_f32_i32_e32 v9, v9
	v_cndmask_b32_e64 v6, v4, v30, s[36:37]
	v_cndmask_b32_e64 v7, v4, v31, s[38:39]
	v_max3_f32 v3, v3, v6, v7
	v_or_b32_e32 v6, 16, v2
	v_or_b32_e32 v7, 17, v2
	v_cmp_gt_i32_e64 s[24:25], s29, v6
	v_cmp_gt_i32_e64 s[26:27], s29, v7
	v_fmac_f32_e32 v25, v43, v9
	v_cndmask_b32_e64 v6, v4, v40, s[24:25]
	v_cndmask_b32_e64 v7, v4, v41, s[26:27]
	v_max3_f32 v3, v3, v6, v7
	v_or_b32_e32 v6, 18, v2
	v_or_b32_e32 v7, 19, v2
	v_cmp_gt_i32_e64 s[20:21], s29, v6
	v_cmp_gt_i32_e64 s[22:23], s29, v7
	v_cvt_f32_i32_e32 v8, v8
	v_cndmask_b32_e64 v6, v4, v36, s[20:21]
	v_cndmask_b32_e64 v7, v4, v37, s[22:23]
	v_max3_f32 v3, v3, v6, v7
	v_or_b32_e32 v6, 32, v2
	v_or_b32_e32 v7, 33, v2
	v_cmp_gt_i32_e64 s[16:17], s29, v6
	v_cmp_gt_i32_e64 s[18:19], s29, v7
	v_fma_f32 v20, v43, v8, v20
	v_cndmask_b32_e64 v6, v4, v32, s[16:17]
	v_cndmask_b32_e64 v7, v4, v33, s[18:19]
	v_max3_f32 v3, v3, v6, v7
	v_or_b32_e32 v6, 34, v2
	v_or_b32_e32 v7, 35, v2
	v_cmp_gt_i32_e64 s[12:13], s29, v6
	v_cmp_gt_i32_e64 s[14:15], s29, v7
	s_nop 0
	v_cndmask_b32_e64 v6, v4, v24, s[12:13]
	v_cndmask_b32_e64 v7, v4, v25, s[14:15]
	v_max3_f32 v3, v3, v6, v7
	v_or_b32_e32 v6, 48, v2
	v_or_b32_e32 v7, 49, v2
	v_cmp_gt_i32_e64 s[8:9], s29, v6
	v_cmp_gt_i32_e64 s[10:11], s29, v7
	s_nop 0
	v_cndmask_b32_e64 v6, v4, v22, s[8:9]
	v_cndmask_b32_e64 v7, v4, v23, s[10:11]
	v_max3_f32 v3, v3, v6, v7
	v_or_b32_e32 v6, 50, v2
	v_or_b32_e32 v2, 51, v2
	v_cmp_gt_i32_e32 vcc, s29, v6
	v_cmp_gt_i32_e64 s[6:7], s29, v2
	s_nop 0
	v_cndmask_b32_e32 v6, v4, v20, vcc
	v_cndmask_b32_e64 v2, v4, v21, s[6:7]
	v_max3_f32 v4, v3, v6, v2
	v_mbcnt_lo_u32_b32 v2, -1, 0
	v_mbcnt_hi_u32_b32 v6, -1, v2
	v_and_b32_e32 v2, 64, v6
	v_add_u32_e32 v7, 64, v2
	v_xor_b32_e32 v2, 32, v6
	v_cmp_lt_i32_e64 s[40:41], v2, v7
	s_nop 1
	v_cndmask_b32_e64 v2, v6, v2, s[40:41]
	v_lshlrev_b32_e32 v43, 2, v2
	ds_bpermute_b32 v8, v43, v4
	s_waitcnt vmcnt(2)
	v_mad_i64_i32 v[2:3], s[40:41], v14, s45, v[18:19]
	global_load_dwordx4 v[14:17], v[34:35], off
	global_load_dwordx4 v[10:13], v[2:3], off
	v_xor_b32_e32 v3, 16, v6
	v_cmp_lt_i32_e64 s[40:41], v3, v7
	s_waitcnt lgkmcnt(0)
	v_max_f32_e32 v2, v8, v8
	v_max_f32_e32 v2, v4, v2
	v_cndmask_b32_e64 v3, v6, v3, s[40:41]
	v_lshlrev_b32_e32 v46, 2, v3
	ds_bpermute_b32 v3, v46, v2
	s_waitcnt vmcnt(3)
	v_mad_i64_i32 v[34:35], s[40:41], v44, s45, v[18:19]
	s_waitcnt vmcnt(2)
	v_mad_i64_i32 v[18:19], s[40:41], v45, s45, v[18:19]
	s_waitcnt lgkmcnt(0)
	v_max_f32_e32 v3, v3, v3
	v_max_f32_e32 v38, v2, v3
	v_sub_f32_e32 v2, v5, v38
	v_mul_f32_e32 v2, 0x3fb8aa3b, v2
	v_exp_f32_e32 v44, v2
	v_sub_f32_e32 v2, v39, v38
	v_mul_f32_e32 v2, 0x3fb8aa3b, v2
	v_exp_f32_e32 v39, v2
	global_load_dwordx4 v[6:9], v[34:35], off
	global_load_dwordx4 v[2:5], v[18:19], off
	v_sub_f32_e32 v30, v30, v38
	v_mul_f32_e32 v30, 0x3fb8aa3b, v30
	v_sub_f32_e32 v31, v31, v38
	v_exp_f32_e32 v30, v30
	v_mul_f32_e32 v31, 0x3fb8aa3b, v31
	v_exp_f32_e32 v31, v31
	v_cndmask_b32_e64 v18, 0, v44, s[4:5]
	v_add_f32_e32 v34, 0, v18
	v_cndmask_b32_e64 v19, 0, v39, s[34:35]
	v_add_f32_e32 v35, v34, v19
	;; [unrolled: 2-line block ×3, first 2 shown]
	v_cndmask_b32_e64 v35, 0, v31, s[38:39]
	v_sub_f32_e32 v31, v40, v38
	v_mul_f32_e32 v31, 0x3fb8aa3b, v31
	v_sub_f32_e32 v39, v41, v38
	v_exp_f32_e32 v31, v31
	v_mul_f32_e32 v39, 0x3fb8aa3b, v39
	v_sub_f32_e32 v36, v36, v38
	v_exp_f32_e32 v39, v39
	;; [unrolled: 3-line block ×4, first 2 shown]
	v_mul_f32_e32 v32, 0x3fb8aa3b, v32
	v_sub_f32_e32 v33, v33, v38
	v_add_f32_e32 v40, v30, v35
	v_cndmask_b32_e64 v30, 0, v31, s[24:25]
	v_exp_f32_e32 v32, v32
	v_mul_f32_e32 v33, 0x3fb8aa3b, v33
	v_sub_f32_e32 v24, v24, v38
	v_add_f32_e32 v40, v40, v30
	v_cndmask_b32_e64 v31, 0, v39, s[26:27]
	v_exp_f32_e32 v33, v33
	;; [unrolled: 5-line block ×7, first 2 shown]
	v_mul_f32_e32 v21, 0x3fb8aa3b, v21
	v_add_f32_e32 v39, v39, v24
	v_cndmask_b32_e64 v25, 0, v25, s[14:15]
	v_exp_f32_e32 v21, v21
	v_add_f32_e32 v39, v39, v25
	v_cndmask_b32_e64 v22, 0, v22, s[8:9]
	v_add_f32_e32 v39, v39, v22
	v_cndmask_b32_e64 v23, 0, v23, s[10:11]
	v_add_f32_e32 v39, v39, v23
	v_cndmask_b32_e32 v20, 0, v20, vcc
	v_add_f32_e32 v39, v39, v20
	v_cndmask_b32_e64 v21, 0, v21, s[6:7]
	v_add_f32_e32 v39, v39, v21
	ds_bpermute_b32 v40, v43, v39
	s_load_dword s7, s[0:1], 0x98
	v_cmp_gt_u32_e32 vcc, 16, v27
	s_waitcnt lgkmcnt(0)
	s_barrier
	v_add_f32_e32 v40, v39, v40
	ds_bpermute_b32 v41, v46, v40
	v_lshlrev_b32_e32 v39, 2, v28
	s_waitcnt lgkmcnt(0)
	s_and_saveexec_b64 s[4:5], vcc
	s_cbranch_execz .LBB813_15
; %bb.14:
	v_add_f32_e32 v27, v40, v41
	v_lshl_or_b32 v40, v29, 6, v39
	ds_write2st64_b32 v40, v38, v27 offset1:1
.LBB813_15:
	s_or_b64 exec, exec, s[4:5]
	s_load_dword s6, s[0:1], 0x94
	s_waitcnt lgkmcnt(0)
	s_barrier
	ds_read2_b32 v[40:41], v39 offset1:16
	ds_read2_b32 v[44:45], v39 offset0:32 offset1:48
	ds_read2_b32 v[46:47], v39 offset0:64 offset1:80
	s_mul_i32 s7, s7, 6
	s_waitcnt lgkmcnt(2)
	v_max3_f32 v27, v40, s33, v41
	s_waitcnt lgkmcnt(1)
	v_max3_f32 v27, v27, v44, v45
	v_sub_f32_e32 v38, v40, v27
	v_mul_f32_e32 v38, 0x3fb8aa3b, v38
	v_exp_f32_e32 v43, v38
	v_sub_f32_e32 v38, v41, v27
	v_mul_f32_e32 v38, 0x3fb8aa3b, v38
	v_exp_f32_e32 v48, v38
	;; [unrolled: 3-line block ×3, first 2 shown]
	ds_read2_b32 v[40:41], v39 offset0:96 offset1:112
	v_sub_f32_e32 v38, v45, v27
	v_mul_f32_e32 v38, 0x3fb8aa3b, v38
	v_exp_f32_e32 v39, v38
	s_waitcnt lgkmcnt(1)
	v_fma_f32 v38, v43, v46, 0
	v_fmac_f32_e32 v38, v48, v47
	s_waitcnt lgkmcnt(0)
	v_fmac_f32_e32 v38, v44, v40
	v_fmac_f32_e32 v38, v39, v41
	v_add_f32_e32 v40, 0x358637bd, v38
	v_div_scale_f32 v41, s[4:5], v40, v40, 1.0
	v_rcp_f32_e32 v45, v41
	s_barrier
	v_fma_f32 v46, -v41, v45, 1.0
	v_fmac_f32_e32 v45, v46, v45
	v_div_scale_f32 v46, vcc, 1.0, v40, 1.0
	v_mul_f32_e32 v47, v46, v45
	v_fma_f32 v49, -v41, v47, v46
	v_fmac_f32_e32 v47, v49, v45
	v_fma_f32 v41, -v41, v47, v46
	v_div_fmas_f32 v41, v41, v45, v47
	v_cmp_eq_u32_e32 vcc, 1, v29
	v_div_fixup_f32 v40, v41, v40, 1.0
	s_nop 0
	v_cndmask_b32_e32 v41, v43, v48, vcc
	v_cmp_eq_u32_e32 vcc, 2, v29
	s_nop 1
	v_cndmask_b32_e32 v41, v41, v44, vcc
	v_cmp_eq_u32_e32 vcc, 3, v29
	v_lshlrev_b32_e32 v29, 11, v29
	s_nop 0
	v_cndmask_b32_e32 v39, v41, v39, vcc
	v_mul_f32_e32 v40, v39, v40
	v_pk_mul_f32 v[18:19], v[40:41], v[18:19] op_sel_hi:[0,1]
	v_pk_mul_f32 v[34:35], v[40:41], v[34:35] op_sel_hi:[0,1]
	v_cvt_f16_f32_e32 v18, v18
	v_cvt_f16_f32_e32 v19, v19
	v_pk_mul_f32 v[36:37], v[40:41], v[36:37] op_sel_hi:[0,1]
	v_pk_mul_f32 v[30:31], v[40:41], v[30:31] op_sel_hi:[0,1]
	v_cvt_f16_f32_e32 v39, v34
	v_cvt_f16_f32_e32 v35, v35
	;; [unrolled: 1-line block ×6, first 2 shown]
	v_pack_b32_f16 v34, v18, v19
	v_lshlrev_b32_e32 v18, 3, v42
	v_lshlrev_b32_e32 v19, 5, v28
	v_pack_b32_f16 v35, v39, v35
	v_or3_b32 v18, v29, v19, v18
	v_pack_b32_f16 v30, v30, v31
	v_pack_b32_f16 v31, v36, v37
	ds_write2st64_b64 v18, v[34:35], v[30:31] offset1:1
	v_pk_mul_f32 v[24:25], v[40:41], v[24:25] op_sel_hi:[0,1]
	v_pk_mul_f32 v[30:31], v[40:41], v[32:33] op_sel_hi:[0,1]
	v_pk_mul_f32 v[20:21], v[40:41], v[20:21] op_sel_hi:[0,1]
	v_pk_mul_f32 v[22:23], v[40:41], v[22:23] op_sel_hi:[0,1]
	v_cvt_f16_f32_e32 v29, v30
	v_cvt_f16_f32_e32 v30, v31
	;; [unrolled: 1-line block ×8, first 2 shown]
	v_pack_b32_f16 v20, v29, v30
	v_pack_b32_f16 v21, v24, v25
	;; [unrolled: 1-line block ×4, first 2 shown]
	v_cmp_gt_u32_e32 vcc, 6, v0
	ds_write2st64_b64 v18, v[20:21], v[22:23] offset0:2 offset1:3
	s_and_saveexec_b64 s[4:5], vcc
	s_cbranch_execz .LBB813_17
; %bb.16:
	s_mov_b32 s49, 0
	v_mov_b32_e32 v29, 0
	v_lshl_add_u64 v[20:21], s[48:49], 0, v[28:29]
	v_mov_b32_e32 v22, s7
	v_mad_u64_u32 v[20:21], s[12:13], s2, v22, v[20:21]
	s_mul_i32 s3, s3, s7
	v_mov_b32_e32 v28, s28
	s_load_dwordx4 s[8:11], s[0:1], 0x58
	v_add_u32_e32 v23, s3, v21
	v_mad_u64_u32 v[20:21], s[12:13], v20, s6, v[28:29]
	v_mov_b32_e32 v22, v21
	v_mad_u64_u32 v[22:23], s[12:13], v23, s6, v[22:23]
	v_mov_b32_e32 v21, v22
	v_lshlrev_b64 v[20:21], 2, v[20:21]
	s_waitcnt lgkmcnt(0)
	v_lshl_add_u64 v[22:23], s[10:11], 0, v[20:21]
	v_lshl_add_u64 v[20:21], s[8:9], 0, v[20:21]
	global_store_dword v[22:23], v27, off
	global_store_dword v[20:21], v38, off
.LBB813_17:
	s_or_b64 exec, exec, s[4:5]
	s_waitcnt vmcnt(3)
	v_cvt_pk_f32_fp8_e32 v[20:21], v14
	v_cvt_pk_f32_fp8_sdwa v[22:23], v14 src0_sel:WORD_1
	v_lshl_or_b32 v14, v42, 9, v19
	s_waitcnt lgkmcnt(0)
	s_barrier
	v_cvt_pk_f32_fp8_e32 v[24:25], v15
	v_cvt_pkrtz_f16_f32 v32, v20, v21
	v_cvt_pkrtz_f16_f32 v33, v22, v23
	v_cvt_pk_f32_fp8_sdwa v[28:29], v15 src0_sel:WORD_1
	ds_read_b128 v[20:23], v14
	v_cvt_pkrtz_f16_f32 v24, v24, v25
	v_cvt_pk_f32_fp8_e32 v[36:37], v16
	v_cvt_pkrtz_f16_f32 v25, v28, v29
	ds_read_b128 v[28:31], v14 offset:16
	v_cvt_pk_f32_fp8_sdwa v[38:39], v16 src0_sel:WORD_1
	s_waitcnt lgkmcnt(1)
	v_mfma_f32_16x16x16_f16 v[32:35], v[32:33], v[20:21], 0
	v_cvt_pkrtz_f16_f32 v36, v36, v37
	s_load_dword s4, s[42:43], 0x0
	v_cvt_pkrtz_f16_f32 v37, v38, v39
	v_cvt_pk_f32_fp8_e32 v[38:39], v17
	v_cvt_pk_f32_fp8_sdwa v[16:17], v17 src0_sel:WORD_1
	v_mfma_f32_16x16x16_f16 v[20:23], v[24:25], v[22:23], v[32:35]
	v_cmp_gt_u32_e32 vcc, 64, v0
	v_cvt_pkrtz_f16_f32 v24, v38, v39
	v_cvt_pkrtz_f16_f32 v25, v16, v17
	s_waitcnt lgkmcnt(0)
	v_mfma_f32_16x16x16_f16 v[20:23], v[36:37], v[28:29], v[20:23]
	s_waitcnt vmcnt(2)
	v_cvt_pk_f32_fp8_e32 v[16:17], v10
	v_cvt_pk_f32_fp8_e32 v[28:29], v11
	v_cvt_pk_f32_fp8_sdwa v[36:37], v12 src0_sel:WORD_1
	v_mfma_f32_16x16x16_f16 v[20:23], v[24:25], v[30:31], v[20:23]
	v_cvt_pk_f32_fp8_sdwa v[24:25], v10 src0_sel:WORD_1
	v_cvt_pkrtz_f16_f32 v10, v16, v17
	v_cvt_pk_f32_fp8_sdwa v[16:17], v11 src0_sel:WORD_1
	ds_read_b128 v[32:35], v14 offset:2064
	v_cvt_pkrtz_f16_f32 v11, v24, v25
	v_cvt_pkrtz_f16_f32 v24, v28, v29
	ds_read_b128 v[28:31], v14 offset:2048
	v_cvt_pkrtz_f16_f32 v25, v16, v17
	v_cvt_pk_f32_fp8_e32 v[16:17], v12
	s_waitcnt lgkmcnt(0)
	v_mfma_f32_16x16x16_f16 v[20:23], v[10:11], v[28:29], v[20:23]
	v_cvt_pkrtz_f16_f32 v10, v16, v17
	v_cvt_pkrtz_f16_f32 v11, v36, v37
	v_cvt_pk_f32_fp8_e32 v[16:17], v13
	v_mfma_f32_16x16x16_f16 v[20:23], v[24:25], v[30:31], v[20:23]
	v_cvt_pk_f32_fp8_sdwa v[24:25], v13 src0_sel:WORD_1
	ds_read_b128 v[28:31], v14 offset:4112
	v_cvt_pkrtz_f16_f32 v16, v16, v17
	v_mfma_f32_16x16x16_f16 v[10:13], v[10:11], v[32:33], v[20:23]
	v_cvt_pkrtz_f16_f32 v17, v24, v25
	s_waitcnt vmcnt(1)
	v_cvt_pk_f32_fp8_sdwa v[24:25], v7 src0_sel:WORD_1
	v_cvt_pk_f32_fp8_sdwa v[32:33], v8 src0_sel:WORD_1
	v_cvt_pk_f32_fp8_e32 v[20:21], v6
	v_mfma_f32_16x16x16_f16 v[10:13], v[16:17], v[34:35], v[10:13]
	v_cvt_pk_f32_fp8_sdwa v[16:17], v6 src0_sel:WORD_1
	v_cvt_pk_f32_fp8_e32 v[22:23], v7
	v_cvt_pkrtz_f16_f32 v6, v20, v21
	s_mov_b32 s3, 0
	v_cvt_pkrtz_f16_f32 v7, v16, v17
	v_cvt_pkrtz_f16_f32 v16, v22, v23
	ds_read_b128 v[20:23], v14 offset:4096
	v_cvt_pkrtz_f16_f32 v17, v24, v25
	v_cvt_pk_f32_fp8_e32 v[24:25], v8
	s_waitcnt lgkmcnt(0)
	v_mfma_f32_16x16x16_f16 v[10:13], v[6:7], v[20:21], v[10:13]
	v_cvt_pkrtz_f16_f32 v6, v24, v25
	v_cvt_pkrtz_f16_f32 v7, v32, v33
	v_cvt_pk_f32_fp8_e32 v[20:21], v9
	v_mfma_f32_16x16x16_f16 v[10:13], v[16:17], v[22:23], v[10:13]
	v_cvt_pk_f32_fp8_sdwa v[16:17], v9 src0_sel:WORD_1
	s_waitcnt vmcnt(0)
	v_cvt_pk_f32_fp8_sdwa v[24:25], v4 src0_sel:WORD_1
	v_cvt_pkrtz_f16_f32 v20, v20, v21
	v_mfma_f32_16x16x16_f16 v[6:9], v[6:7], v[28:29], v[10:13]
	v_cvt_pkrtz_f16_f32 v21, v16, v17
	v_cvt_pk_f32_fp8_e32 v[16:17], v3
	v_mov_b32_e32 v27, 0
	v_cvt_pk_f32_fp8_e32 v[10:11], v2
	v_cvt_pk_f32_fp8_sdwa v[12:13], v2 src0_sel:WORD_1
	v_mfma_f32_16x16x16_f16 v[6:9], v[20:21], v[30:31], v[6:9]
	v_cvt_pk_f32_fp8_sdwa v[20:21], v3 src0_sel:WORD_1
	v_cvt_pkrtz_f16_f32 v2, v10, v11
	v_cvt_pkrtz_f16_f32 v3, v12, v13
	ds_read_b128 v[10:13], v14 offset:6144
	v_cvt_pkrtz_f16_f32 v22, v16, v17
	v_cvt_pkrtz_f16_f32 v23, v20, v21
	v_cvt_pk_f32_fp8_e32 v[20:21], v4
	s_waitcnt lgkmcnt(0)
	v_mfma_f32_16x16x16_f16 v[6:9], v[2:3], v[10:11], v[6:9]
	ds_read_b128 v[14:17], v14 offset:6160
	v_cvt_pkrtz_f16_f32 v2, v20, v21
	v_cvt_pkrtz_f16_f32 v3, v24, v25
	v_cvt_pk_f32_fp8_e32 v[10:11], v5
	v_mfma_f32_16x16x16_f16 v[6:9], v[22:23], v[12:13], v[6:9]
	v_cvt_pk_f32_fp8_sdwa v[12:13], v5 src0_sel:WORD_1
	s_waitcnt lgkmcnt(0)
	v_cvt_pkrtz_f16_f32 v10, v10, v11
	v_mfma_f32_16x16x16_f16 v[2:5], v[2:3], v[14:15], v[6:9]
	v_cvt_pkrtz_f16_f32 v11, v12, v13
	s_barrier
	s_nop 0
	v_mfma_f32_16x16x16_f16 v[2:5], v[10:11], v[16:17], v[2:5]
	s_nop 6
	v_pk_mul_f32 v[4:5], v[4:5], s[4:5] op_sel_hi:[1,0]
	v_pk_mul_f32 v[2:3], v[2:3], s[4:5] op_sel_hi:[1,0]
	v_cvt_f16_f32_e32 v4, v4
	v_cvt_f16_f32_e32 v2, v2
	;; [unrolled: 1-line block ×4, first 2 shown]
	s_and_b64 s[4:5], vcc, s[30:31]
	v_pack_b32_f16 v2, v2, v3
	v_pack_b32_f16 v3, v4, v5
	ds_write_b64 v18, v[2:3]
	s_waitcnt lgkmcnt(0)
	s_barrier
	s_and_saveexec_b64 s[8:9], s[4:5]
	s_cbranch_execz .LBB813_20
; %bb.18:
	s_load_dwordx2 s[4:5], s[0:1], 0x68
	s_lshl_b32 s0, s6, 6
	s_mul_i32 s1, s7, s2
	s_mul_hi_u32 s7, s1, s0
	s_mul_i32 s6, s1, s0
	v_lshlrev_b32_e32 v0, 10, v0
	s_lshl_b64 s[6:7], s[6:7], 1
	v_and_b32_e32 v0, 0x1800, v0
	v_lshlrev_b32_e32 v3, 5, v42
	v_and_b32_e32 v1, 16, v1
	s_waitcnt lgkmcnt(0)
	s_add_u32 s1, s4, s6
	v_or3_b32 v3, v0, v3, v1
	s_addc_u32 s4, s5, s7
	s_lshl_b32 s2, s28, 6
	s_lshl_b64 s[2:3], s[2:3], 1
	ds_read_b128 v[4:7], v3
	s_add_u32 s2, s1, s2
	s_addc_u32 s3, s4, s3
	v_add_u32_e32 v8, s48, v42
	v_or_b32_e32 v2, 4, v42
	v_lshl_add_u64 v[0:1], s[2:3], 0, v[26:27]
	v_mad_u64_u32 v[8:9], s[2:3], v8, s0, 0
	v_lshl_add_u64 v[8:9], v[8:9], 1, v[0:1]
	v_cmp_gt_u32_e32 vcc, 6, v2
	s_waitcnt lgkmcnt(0)
	global_store_dwordx4 v[8:9], v[4:7], off
	s_and_b64 exec, exec, vcc
	s_cbranch_execz .LBB813_20
; %bb.19:
	ds_read_b128 v[4:7], v3 offset:128
	v_add_u32_e32 v2, s48, v2
	v_mad_u64_u32 v[2:3], s[0:1], v2, s0, 0
	v_lshl_add_u64 v[0:1], v[2:3], 1, v[0:1]
	s_waitcnt lgkmcnt(0)
	global_store_dwordx4 v[0:1], v[4:7], off
.LBB813_20:
	s_endpgm
	.section	.rodata,"a",@progbits
	.p2align	6, 0x0
	.amdhsa_kernel _Z39paged_attention_ll4mi_QKV_mfma16_kernelIDF16_hLN4vllm18Fp8KVCacheDataTypeE1EDF16_Li16ELi64ELi256ELb1ELi6EEvPKT_PKT0_S7_ifPKiS9_S9_iPKfiiiPfSC_PS2_PT2_iSB_SB_
		.amdhsa_group_segment_fixed_size 8192
		.amdhsa_private_segment_fixed_size 0
		.amdhsa_kernarg_size 400
		.amdhsa_user_sgpr_count 2
		.amdhsa_user_sgpr_dispatch_ptr 0
		.amdhsa_user_sgpr_queue_ptr 0
		.amdhsa_user_sgpr_kernarg_segment_ptr 1
		.amdhsa_user_sgpr_dispatch_id 0
		.amdhsa_user_sgpr_kernarg_preload_length 0
		.amdhsa_user_sgpr_kernarg_preload_offset 0
		.amdhsa_user_sgpr_private_segment_size 0
		.amdhsa_uses_dynamic_stack 0
		.amdhsa_enable_private_segment 0
		.amdhsa_system_sgpr_workgroup_id_x 1
		.amdhsa_system_sgpr_workgroup_id_y 1
		.amdhsa_system_sgpr_workgroup_id_z 1
		.amdhsa_system_sgpr_workgroup_info 0
		.amdhsa_system_vgpr_workitem_id 0
		.amdhsa_next_free_vgpr 67
		.amdhsa_next_free_sgpr 50
		.amdhsa_accum_offset 68
		.amdhsa_reserve_vcc 1
		.amdhsa_float_round_mode_32 0
		.amdhsa_float_round_mode_16_64 0
		.amdhsa_float_denorm_mode_32 3
		.amdhsa_float_denorm_mode_16_64 3
		.amdhsa_dx10_clamp 1
		.amdhsa_ieee_mode 1
		.amdhsa_fp16_overflow 0
		.amdhsa_tg_split 0
		.amdhsa_exception_fp_ieee_invalid_op 0
		.amdhsa_exception_fp_denorm_src 0
		.amdhsa_exception_fp_ieee_div_zero 0
		.amdhsa_exception_fp_ieee_overflow 0
		.amdhsa_exception_fp_ieee_underflow 0
		.amdhsa_exception_fp_ieee_inexact 0
		.amdhsa_exception_int_div_zero 0
	.end_amdhsa_kernel
	.section	.text._Z39paged_attention_ll4mi_QKV_mfma16_kernelIDF16_hLN4vllm18Fp8KVCacheDataTypeE1EDF16_Li16ELi64ELi256ELb1ELi6EEvPKT_PKT0_S7_ifPKiS9_S9_iPKfiiiPfSC_PS2_PT2_iSB_SB_,"axG",@progbits,_Z39paged_attention_ll4mi_QKV_mfma16_kernelIDF16_hLN4vllm18Fp8KVCacheDataTypeE1EDF16_Li16ELi64ELi256ELb1ELi6EEvPKT_PKT0_S7_ifPKiS9_S9_iPKfiiiPfSC_PS2_PT2_iSB_SB_,comdat
.Lfunc_end813:
	.size	_Z39paged_attention_ll4mi_QKV_mfma16_kernelIDF16_hLN4vllm18Fp8KVCacheDataTypeE1EDF16_Li16ELi64ELi256ELb1ELi6EEvPKT_PKT0_S7_ifPKiS9_S9_iPKfiiiPfSC_PS2_PT2_iSB_SB_, .Lfunc_end813-_Z39paged_attention_ll4mi_QKV_mfma16_kernelIDF16_hLN4vllm18Fp8KVCacheDataTypeE1EDF16_Li16ELi64ELi256ELb1ELi6EEvPKT_PKT0_S7_ifPKiS9_S9_iPKfiiiPfSC_PS2_PT2_iSB_SB_
                                        ; -- End function
	.section	.AMDGPU.csdata,"",@progbits
; Kernel info:
; codeLenInByte = 4848
; NumSgprs: 56
; NumVgprs: 67
; NumAgprs: 0
; TotalNumVgprs: 67
; ScratchSize: 0
; MemoryBound: 0
; FloatMode: 240
; IeeeMode: 1
; LDSByteSize: 8192 bytes/workgroup (compile time only)
; SGPRBlocks: 6
; VGPRBlocks: 8
; NumSGPRsForWavesPerEU: 56
; NumVGPRsForWavesPerEU: 67
; AccumOffset: 68
; Occupancy: 7
; WaveLimiterHint : 1
; COMPUTE_PGM_RSRC2:SCRATCH_EN: 0
; COMPUTE_PGM_RSRC2:USER_SGPR: 2
; COMPUTE_PGM_RSRC2:TRAP_HANDLER: 0
; COMPUTE_PGM_RSRC2:TGID_X_EN: 1
; COMPUTE_PGM_RSRC2:TGID_Y_EN: 1
; COMPUTE_PGM_RSRC2:TGID_Z_EN: 1
; COMPUTE_PGM_RSRC2:TIDIG_COMP_CNT: 0
; COMPUTE_PGM_RSRC3_GFX90A:ACCUM_OFFSET: 16
; COMPUTE_PGM_RSRC3_GFX90A:TG_SPLIT: 0
	.section	.text._Z39paged_attention_ll4mi_QKV_mfma16_kernelIDF16_hLN4vllm18Fp8KVCacheDataTypeE1EDF16_Li16ELi64ELi256ELb1ELi7EEvPKT_PKT0_S7_ifPKiS9_S9_iPKfiiiPfSC_PS2_PT2_iSB_SB_,"axG",@progbits,_Z39paged_attention_ll4mi_QKV_mfma16_kernelIDF16_hLN4vllm18Fp8KVCacheDataTypeE1EDF16_Li16ELi64ELi256ELb1ELi7EEvPKT_PKT0_S7_ifPKiS9_S9_iPKfiiiPfSC_PS2_PT2_iSB_SB_,comdat
	.protected	_Z39paged_attention_ll4mi_QKV_mfma16_kernelIDF16_hLN4vllm18Fp8KVCacheDataTypeE1EDF16_Li16ELi64ELi256ELb1ELi7EEvPKT_PKT0_S7_ifPKiS9_S9_iPKfiiiPfSC_PS2_PT2_iSB_SB_ ; -- Begin function _Z39paged_attention_ll4mi_QKV_mfma16_kernelIDF16_hLN4vllm18Fp8KVCacheDataTypeE1EDF16_Li16ELi64ELi256ELb1ELi7EEvPKT_PKT0_S7_ifPKiS9_S9_iPKfiiiPfSC_PS2_PT2_iSB_SB_
	.globl	_Z39paged_attention_ll4mi_QKV_mfma16_kernelIDF16_hLN4vllm18Fp8KVCacheDataTypeE1EDF16_Li16ELi64ELi256ELb1ELi7EEvPKT_PKT0_S7_ifPKiS9_S9_iPKfiiiPfSC_PS2_PT2_iSB_SB_
	.p2align	8
	.type	_Z39paged_attention_ll4mi_QKV_mfma16_kernelIDF16_hLN4vllm18Fp8KVCacheDataTypeE1EDF16_Li16ELi64ELi256ELb1ELi7EEvPKT_PKT0_S7_ifPKiS9_S9_iPKfiiiPfSC_PS2_PT2_iSB_SB_,@function
_Z39paged_attention_ll4mi_QKV_mfma16_kernelIDF16_hLN4vllm18Fp8KVCacheDataTypeE1EDF16_Li16ELi64ELi256ELb1ELi7EEvPKT_PKT0_S7_ifPKiS9_S9_iPKfiiiPfSC_PS2_PT2_iSB_SB_: ; @_Z39paged_attention_ll4mi_QKV_mfma16_kernelIDF16_hLN4vllm18Fp8KVCacheDataTypeE1EDF16_Li16ELi64ELi256ELb1ELi7EEvPKT_PKT0_S7_ifPKiS9_S9_iPKfiiiPfSC_PS2_PT2_iSB_SB_
; %bb.0:
	s_load_dwordx2 s[6:7], s[0:1], 0x30
	s_mov_b32 s28, s3
	s_mov_b64 s[8:9], 0
	s_waitcnt lgkmcnt(0)
	s_cmp_lg_u64 s[6:7], 0
	s_cselect_b64 s[10:11], -1, 0
	s_and_b64 vcc, exec, s[10:11]
	s_cbranch_vccz .LBB814_7
; %bb.1:
	s_add_i32 s12, s2, 1
	s_mov_b32 s13, 0
	s_lshl_b64 s[14:15], s[12:13], 2
	s_add_u32 s14, s6, s14
	s_mov_b32 s3, s13
	s_addc_u32 s15, s7, s15
	s_lshl_b64 s[12:13], s[2:3], 2
	s_add_u32 s12, s6, s12
	s_addc_u32 s13, s7, s13
	s_load_dword s5, s[14:15], 0x0
	s_load_dword s16, s[12:13], 0x0
	s_waitcnt lgkmcnt(0)
	s_sub_i32 s5, s5, s16
	s_cmp_eq_u32 s5, 1
	s_cselect_b64 s[12:13], -1, 0
	s_andn2_b64 vcc, exec, s[8:9]
	s_cbranch_vccnz .LBB814_3
.LBB814_2:
	s_mov_b32 s3, 0
	s_mov_b64 s[12:13], -1
.LBB814_3:
	s_andn2_b64 vcc, exec, s[12:13]
	s_cbranch_vccnz .LBB814_20
; %bb.4:
	s_load_dwordx2 s[8:9], s[0:1], 0x28
	s_lshl_b64 s[12:13], s[2:3], 2
	s_waitcnt lgkmcnt(0)
	s_add_u32 s8, s8, s12
	s_addc_u32 s9, s9, s13
	s_load_dword s29, s[8:9], 0x0
	s_lshl_b32 s16, s28, 8
	s_waitcnt lgkmcnt(0)
	s_cmp_ge_i32 s16, s29
	s_cbranch_scc1 .LBB814_20
; %bb.5:
	s_load_dwordx2 s[8:9], s[0:1], 0x20
	s_load_dword s5, s[0:1], 0x38
	s_add_i32 s14, s29, 15
	s_ashr_i32 s15, s14, 31
	v_and_b32_e32 v1, 0xcf, v0
	s_lshr_b32 s15, s15, 28
	v_add_u32_e32 v1, s16, v1
	s_add_i32 s14, s14, s15
	v_ashrrev_i32_e32 v2, 31, v1
	s_ashr_i32 s17, s14, 4
	v_lshrrev_b32_e32 v4, 28, v2
	s_add_i32 s17, s17, -1
	s_waitcnt lgkmcnt(0)
	s_mul_i32 s14, s2, s5
	s_mov_b32 s15, 0
	v_add_u32_e32 v2, v1, v4
	s_lshl_b64 s[14:15], s[14:15], 2
	v_ashrrev_i32_e32 v2, 4, v2
	v_mov_b32_e32 v5, s17
	v_cmp_gt_i32_e32 vcc, s29, v1
	s_add_u32 s8, s8, s14
	s_addc_u32 s9, s9, s15
	v_cndmask_b32_e32 v2, v5, v2, vcc
	v_ashrrev_i32_e32 v3, 31, v2
	v_lshl_add_u64 v[6:7], v[2:3], 2, s[8:9]
	v_or_b32_e32 v2, 16, v1
	v_add_u32_e32 v3, v2, v4
	v_ashrrev_i32_e32 v3, 4, v3
	v_cmp_gt_i32_e32 vcc, s29, v2
	s_load_dwordx2 s[14:15], s[0:1], 0x8
	s_nop 0
	v_cndmask_b32_e32 v2, v5, v3, vcc
	v_ashrrev_i32_e32 v3, 31, v2
	v_lshl_add_u64 v[8:9], v[2:3], 2, s[8:9]
	v_or_b32_e32 v2, 32, v1
	v_add_u32_e32 v3, v2, v4
	v_ashrrev_i32_e32 v3, 4, v3
	v_cmp_gt_i32_e32 vcc, s29, v2
	v_or_b32_e32 v1, 48, v1
	s_nop 0
	v_cndmask_b32_e32 v2, v5, v3, vcc
	v_ashrrev_i32_e32 v3, 31, v2
	v_lshl_add_u64 v[10:11], v[2:3], 2, s[8:9]
	v_add_u32_e32 v2, v1, v4
	v_ashrrev_i32_e32 v2, 4, v2
	v_cmp_gt_i32_e32 vcc, s29, v1
	s_nop 1
	v_cndmask_b32_e32 v2, v5, v2, vcc
	v_ashrrev_i32_e32 v3, 31, v2
	v_lshl_add_u64 v[12:13], v[2:3], 2, s[8:9]
	global_load_dword v5, v[6:7], off
	global_load_dword v4, v[8:9], off
	;; [unrolled: 1-line block ×4, first 2 shown]
	s_andn2_b64 vcc, exec, s[10:11]
	s_cbranch_vccnz .LBB814_8
; %bb.6:
	s_add_u32 s6, s6, s12
	s_addc_u32 s7, s7, s13
	s_load_dword s5, s[6:7], 0x0
	s_branch .LBB814_9
.LBB814_7:
	s_mov_b64 s[12:13], 0
	s_branch .LBB814_2
.LBB814_8:
	s_mov_b32 s5, s2
.LBB814_9:
	s_load_dwordx2 s[6:7], s[0:1], 0x10
	s_load_dwordx4 s[44:47], s[0:1], 0x48
	v_lshrrev_b32_e32 v29, 6, v0
	v_bfe_u32 v42, v0, 4, 2
	v_lshl_or_b32 v6, v29, 2, v42
	v_and_b32_e32 v28, 15, v0
	v_lshlrev_b32_e32 v1, 3, v28
	v_cmp_gt_u32_e32 vcc, 7, v6
	v_cmp_gt_u32_e64 s[30:31], 8, v28
	s_mul_i32 s48, s4, 7
	s_and_b64 s[12:13], s[30:31], vcc
	v_lshlrev_b32_e32 v26, 1, v1
	v_lshlrev_b32_e32 v1, 4, v0
	s_and_saveexec_b64 s[10:11], s[12:13]
	s_cbranch_execz .LBB814_11
; %bb.10:
	s_load_dwordx2 s[12:13], s[0:1], 0x0
	s_waitcnt lgkmcnt(0)
	s_ashr_i32 s18, s44, 31
	s_mul_hi_u32 s19, s5, s44
	s_mul_i32 s18, s5, s18
	s_add_i32 s19, s19, s18
	s_mul_i32 s18, s5, s44
	s_lshl_b64 s[18:19], s[18:19], 1
	s_add_u32 s12, s12, s18
	v_add_lshl_u32 v8, v6, s48, 6
	s_addc_u32 s13, s13, s19
	v_ashrrev_i32_e32 v9, 31, v8
	v_lshl_add_u64 v[8:9], v[8:9], 1, s[12:13]
	v_mov_b32_e32 v27, 0
	v_lshl_add_u64 v[8:9], v[8:9], 0, v[26:27]
	global_load_dwordx4 v[8:11], v[8:9], off
	v_lshlrev_b32_e32 v12, 8, v28
	v_lshlrev_b32_e32 v6, 5, v6
	v_and_b32_e32 v7, 16, v1
	v_and_b32_e32 v12, 0xe00, v12
	v_or3_b32 v6, v12, v6, v7
	s_waitcnt vmcnt(0)
	ds_write_b128 v6, v[8:11]
.LBB814_11:
	s_or_b64 exec, exec, s[10:11]
	s_waitcnt lgkmcnt(0)
	s_mul_i32 s10, s4, s46
	s_add_u32 s4, s14, s10
	s_addc_u32 s5, s15, 0
	v_and_b32_e32 v32, 48, v0
	v_and_b32_e32 v30, 0xf0, v1
	v_mov_b32_e32 v31, 0
	v_lshl_add_u64 v[6:7], s[4:5], 0, v[30:31]
	v_lshlrev_b32_e32 v30, 4, v32
	v_lshl_add_u64 v[6:7], v[6:7], 0, v[30:31]
	s_waitcnt vmcnt(3)
	v_mad_i64_i32 v[8:9], s[4:5], v5, s45, v[6:7]
	s_waitcnt vmcnt(2)
	v_mad_i64_i32 v[4:5], s[4:5], v4, s45, v[6:7]
	s_barrier
	global_load_dwordx4 v[22:25], v[8:9], off
	global_load_dwordx4 v[18:21], v[4:5], off
	s_waitcnt vmcnt(3)
	v_mad_i64_i32 v[4:5], s[4:5], v3, s45, v[6:7]
	s_waitcnt vmcnt(2)
	v_mad_i64_i32 v[2:3], s[4:5], v2, s45, v[6:7]
	global_load_dwordx4 v[14:17], v[4:5], off
	global_load_dwordx4 v[6:9], v[2:3], off
	v_mul_lo_u16_e32 v2, 37, v28
	v_mov_b32_e32 v3, 7
	v_mul_lo_u16_sdwa v2, v2, v3 dst_sel:DWORD dst_unused:UNUSED_PAD src0_sel:BYTE_1 src1_sel:DWORD
	v_sub_u16_e32 v2, v28, v2
	v_mov_b32_e32 v3, 5
	v_lshlrev_b32_sdwa v2, v3, v2 dst_sel:DWORD dst_unused:UNUSED_PAD src0_sel:DWORD src1_sel:BYTE_0
	v_lshl_add_u32 v2, v42, 9, v2
	ds_read_b128 v[10:13], v2
	ds_read_b128 v[2:5], v2 offset:16
	v_and_b32_e32 v27, 63, v0
	v_cmp_gt_u32_e32 vcc, 7, v28
	v_mov_b32_e32 v43, 0
	s_and_saveexec_b64 s[4:5], vcc
	s_cbranch_execz .LBB814_13
; %bb.12:
	s_load_dwordx2 s[12:13], s[0:1], 0x40
	v_add_u32_e32 v34, s48, v28
	v_ashrrev_i32_e32 v35, 31, v34
	s_waitcnt lgkmcnt(0)
	v_lshl_add_u64 v[34:35], v[34:35], 2, s[12:13]
	global_load_dword v43, v[34:35], off
.LBB814_13:
	s_or_b64 exec, exec, s[4:5]
	v_or_b32_e32 v62, s16, v32
	v_ashrrev_i32_e32 v30, 4, v62
	v_mov_b32_e32 v63, s17
	v_cmp_gt_i32_e32 vcc, s29, v62
	s_waitcnt vmcnt(2)
	v_cvt_pk_f32_fp8_e32 v[52:53], v20
	v_cvt_pk_f32_fp8_sdwa v[54:55], v20 src0_sel:WORD_1
	v_cndmask_b32_e32 v20, v63, v30, vcc
	v_cvt_pk_f32_fp8_e32 v[56:57], v21
	v_cvt_pk_f32_fp8_sdwa v[58:59], v21 src0_sel:WORD_1
	v_ashrrev_i32_e32 v21, 31, v20
	v_cvt_pk_f32_fp8_e32 v[40:41], v22
	v_cvt_pk_f32_fp8_sdwa v[44:45], v22 src0_sel:WORD_1
	v_lshl_add_u64 v[20:21], v[20:21], 2, s[8:9]
	v_cvt_pk_f32_fp8_e32 v[46:47], v18
	v_cvt_pk_f32_fp8_sdwa v[48:49], v18 src0_sel:WORD_1
	global_load_dword v64, v[20:21], off
	v_cvt_pk_f32_fp8_e32 v[34:35], v23
	v_cvt_pk_f32_fp8_sdwa v[32:33], v23 src0_sel:WORD_1
	v_cvt_pkrtz_f16_f32 v20, v40, v41
	v_cvt_pkrtz_f16_f32 v21, v44, v45
	v_cvt_pk_f32_fp8_e32 v[36:37], v24
	v_cvt_pk_f32_fp8_sdwa v[38:39], v24 src0_sel:WORD_1
	v_cvt_pk_f32_fp8_e32 v[50:51], v19
	v_cvt_pk_f32_fp8_sdwa v[18:19], v19 src0_sel:WORD_1
	v_cvt_pkrtz_f16_f32 v44, v46, v47
	v_cvt_pkrtz_f16_f32 v45, v48, v49
	v_cvt_pk_f32_fp8_e32 v[22:23], v25
	s_waitcnt vmcnt(2)
	v_cvt_pk_f32_fp8_e32 v[40:41], v14
	v_cvt_pk_f32_fp8_sdwa v[46:47], v14 src0_sel:WORD_1
	v_cvt_pkrtz_f16_f32 v48, v34, v35
	v_cvt_pkrtz_f16_f32 v49, v32, v33
	v_or_b32_e32 v14, 64, v62
	v_or_b32_e32 v32, 0xc0, v62
	v_cvt_pk_f32_fp8_sdwa v[24:25], v25 src0_sel:WORD_1
	s_load_dword s11, s[0:1], 0x1c
	s_load_dwordx4 s[40:43], s[0:1], 0x80
	v_cvt_pkrtz_f16_f32 v36, v36, v37
	v_cvt_pkrtz_f16_f32 v37, v38, v39
	v_or_b32_e32 v65, 0x80, v62
	v_ashrrev_i32_e32 v62, 4, v14
	v_cmp_gt_i32_e32 vcc, s29, v32
	v_ashrrev_i32_e32 v66, 4, v32
	v_cmp_gt_i32_e64 s[4:5], s29, v14
	v_cvt_pkrtz_f16_f32 v38, v50, v51
	v_cvt_pkrtz_f16_f32 v39, v18, v19
	s_waitcnt lgkmcnt(0)
	v_mfma_f32_16x16x16_f16 v[32:35], v[20:21], v[10:11], 0
	s_add_u32 s6, s6, s10
	v_lshlrev_b32_e32 v30, 4, v28
	v_cndmask_b32_e64 v50, v63, v62, s[4:5]
	v_cvt_pkrtz_f16_f32 v62, v22, v23
	v_mfma_f32_16x16x16_f16 v[20:23], v[44:45], v[10:11], 0
	v_lshl_or_b32 v30, v29, 8, v30
	s_addc_u32 s7, s7, 0
	v_ashrrev_i32_e32 v14, 4, v65
	v_lshl_add_u64 v[18:19], s[6:7], 0, v[30:31]
	v_cmp_gt_i32_e64 s[6:7], s29, v65
	v_mfma_f32_16x16x16_f16 v[30:33], v[48:49], v[12:13], v[32:35]
	v_cndmask_b32_e32 v48, v63, v66, vcc
	s_load_dword s4, s[40:41], 0x0
	v_cvt_pk_f32_fp8_e32 v[60:61], v15
	v_cndmask_b32_e64 v34, v63, v14, s[6:7]
	v_cvt_pkrtz_f16_f32 v63, v24, v25
	v_cvt_pkrtz_f16_f32 v24, v52, v53
	;; [unrolled: 1-line block ×3, first 2 shown]
	v_mfma_f32_16x16x16_f16 v[20:23], v[38:39], v[12:13], v[20:23]
	v_cvt_pkrtz_f16_f32 v40, v40, v41
	v_cvt_pkrtz_f16_f32 v41, v46, v47
	v_ashrrev_i32_e32 v51, 31, v50
	v_mfma_f32_16x16x16_f16 v[20:23], v[24:25], v[2:3], v[20:23]
	v_mov_b32_e32 v24, s11
	s_waitcnt lgkmcnt(0)
	v_mul_f32_e32 v54, s4, v24
	v_cvt_pk_f32_fp8_sdwa v[24:25], v15 src0_sel:WORD_1
	v_mfma_f32_16x16x16_f16 v[30:33], v[36:37], v[2:3], v[30:33]
	v_ashrrev_i32_e32 v35, 31, v34
	v_ashrrev_i32_e32 v49, 31, v48
	v_lshl_add_u64 v[36:37], v[50:51], 2, s[8:9]
	v_lshl_add_u64 v[34:35], v[34:35], 2, s[8:9]
	;; [unrolled: 1-line block ×3, first 2 shown]
	global_load_dword v14, v[36:37], off
	global_load_dword v44, v[34:35], off
	;; [unrolled: 1-line block ×3, first 2 shown]
	v_cvt_pkrtz_f16_f32 v46, v60, v61
	v_cvt_pk_f32_fp8_e32 v[48:49], v16
	v_cvt_pk_f32_fp8_sdwa v[50:51], v16 src0_sel:WORD_1
	v_cvt_pkrtz_f16_f32 v47, v24, v25
	v_mfma_f32_16x16x16_f16 v[36:39], v[62:63], v[4:5], v[30:33]
	v_cvt_pkrtz_f16_f32 v24, v48, v49
	v_cvt_pkrtz_f16_f32 v25, v50, v51
	;; [unrolled: 1-line block ×3, first 2 shown]
	v_mfma_f32_16x16x16_f16 v[30:33], v[40:41], v[10:11], 0
	v_cvt_pk_f32_fp8_e32 v[40:41], v17
	v_cvt_pk_f32_fp8_sdwa v[16:17], v17 src0_sel:WORD_1
	v_cvt_pkrtz_f16_f32 v53, v58, v59
	v_mfma_f32_16x16x16_f16 v[46:49], v[46:47], v[12:13], v[30:33]
	s_mov_b32 s33, 0xff7fffff
	s_waitcnt vmcnt(3)
	v_mad_i64_i32 v[34:35], s[4:5], v64, s45, v[18:19]
	v_cvt_pkrtz_f16_f32 v32, v40, v41
	v_cvt_pkrtz_f16_f32 v33, v16, v17
	v_mfma_f32_16x16x16_f16 v[46:49], v[24:25], v[2:3], v[46:49]
	v_cvt_pk_f32_fp8_e32 v[16:17], v6
	v_cvt_pk_f32_fp8_sdwa v[24:25], v6 src0_sel:WORD_1
	v_pk_mul_f32 v[30:31], v[54:55], v[38:39] op_sel_hi:[0,1]
	v_mfma_f32_16x16x16_f16 v[46:49], v[32:33], v[4:5], v[46:49]
	v_cvt_pk_f32_fp8_e32 v[32:33], v7
	v_cvt_pkrtz_f16_f32 v16, v16, v17
	v_cvt_pkrtz_f16_f32 v17, v24, v25
	v_cvt_pk_f32_fp8_sdwa v[6:7], v7 src0_sel:WORD_1
	v_pk_mul_f32 v[38:39], v[54:55], v[36:37] op_sel_hi:[0,1]
	v_cvt_pkrtz_f16_f32 v24, v32, v33
	v_cvt_pk_f32_fp8_e32 v[32:33], v8
	v_cvt_pk_f32_fp8_sdwa v[36:37], v8 src0_sel:WORD_1
	v_cvt_pkrtz_f16_f32 v25, v6, v7
	v_mfma_f32_16x16x16_f16 v[20:23], v[52:53], v[4:5], v[20:23]
	v_mfma_f32_16x16x16_f16 v[50:53], v[16:17], v[10:11], 0
	v_cvt_pkrtz_f16_f32 v10, v32, v33
	v_cvt_pkrtz_f16_f32 v11, v36, v37
	v_cvt_pk_f32_fp8_e32 v[16:17], v9
	v_cvt_pk_f32_fp8_sdwa v[32:33], v9 src0_sel:WORD_1
	v_mfma_f32_16x16x16_f16 v[6:9], v[24:25], v[12:13], v[50:53]
	s_nop 0
	v_pk_mul_f32 v[36:37], v[54:55], v[22:23] op_sel_hi:[0,1]
	v_cvt_pkrtz_f16_f32 v12, v16, v17
	v_cvt_pkrtz_f16_f32 v13, v32, v33
	v_mfma_f32_16x16x16_f16 v[6:9], v[10:11], v[2:3], v[6:9]
	v_pk_mul_f32 v[40:41], v[54:55], v[20:21] op_sel_hi:[0,1]
	v_pk_mul_f32 v[24:25], v[54:55], v[48:49] op_sel_hi:[0,1]
	;; [unrolled: 1-line block ×3, first 2 shown]
	v_mfma_f32_16x16x16_f16 v[2:5], v[12:13], v[4:5], v[6:9]
	s_nop 6
	v_pk_mul_f32 v[22:23], v[54:55], v[2:3] op_sel_hi:[0,1]
	v_and_b32_e32 v2, 0xc0, v0
	v_add_u32_e32 v2, s16, v2
	v_lshl_or_b32 v2, v42, 2, v2
	v_or_b32_e32 v3, 1, v2
	v_pk_mul_f32 v[20:21], v[54:55], v[4:5] op_sel_hi:[0,1]
	v_subrev_u32_e32 v4, s29, v3
	v_add_u32_e32 v6, 1, v4
	v_add_u32_e32 v7, 2, v4
	;; [unrolled: 1-line block ×3, first 2 shown]
	v_cvt_f32_i32_e32 v6, v6
	v_cvt_f32_i32_e32 v7, v7
	;; [unrolled: 1-line block ×3, first 2 shown]
	v_add_u32_e32 v9, 19, v4
	v_fmac_f32_e32 v39, v43, v6
	v_fma_f32 v30, v43, v7, v30
	v_fmac_f32_e32 v31, v43, v8
	v_add_u32_e32 v6, 16, v4
	v_add_u32_e32 v7, 17, v4
	;; [unrolled: 1-line block ×3, first 2 shown]
	v_cvt_f32_i32_e32 v6, v6
	v_cvt_f32_i32_e32 v7, v7
	;; [unrolled: 1-line block ×4, first 2 shown]
	v_fma_f32 v40, v43, v6, v40
	v_fmac_f32_e32 v41, v43, v7
	v_fma_f32 v36, v43, v8, v36
	v_add_u32_e32 v6, 32, v4
	v_add_u32_e32 v7, 33, v4
	;; [unrolled: 1-line block ×3, first 2 shown]
	v_cvt_f32_i32_e32 v6, v6
	v_cvt_f32_i32_e32 v7, v7
	;; [unrolled: 1-line block ×4, first 2 shown]
	v_fmac_f32_e32 v37, v43, v9
	v_add_u32_e32 v9, 35, v4
	v_fma_f32 v32, v43, v6, v32
	v_fmac_f32_e32 v33, v43, v7
	v_fma_f32 v24, v43, v8, v24
	v_add_u32_e32 v6, 48, v4
	v_add_u32_e32 v7, 49, v4
	;; [unrolled: 1-line block ×4, first 2 shown]
	v_cvt_f32_i32_e32 v4, v4
	v_cvt_f32_i32_e32 v6, v6
	;; [unrolled: 1-line block ×3, first 2 shown]
	v_fma_f32 v5, v43, v5, v38
	v_fmac_f32_e32 v21, v43, v4
	v_mov_b32_e32 v4, 0xff7fffff
	v_cmp_gt_i32_e64 s[4:5], s29, v2
	v_cmp_gt_i32_e64 s[34:35], s29, v3
	v_fma_f32 v22, v43, v6, v22
	v_cndmask_b32_e64 v6, v4, v5, s[4:5]
	v_cndmask_b32_e64 v3, v4, v39, s[34:35]
	v_fmac_f32_e32 v23, v43, v7
	v_max3_f32 v3, v6, s33, v3
	v_or_b32_e32 v6, 2, v2
	v_or_b32_e32 v7, 3, v2
	v_cmp_gt_i32_e64 s[36:37], s29, v6
	v_cmp_gt_i32_e64 s[38:39], s29, v7
	v_cvt_f32_i32_e32 v9, v9
	v_cndmask_b32_e64 v6, v4, v30, s[36:37]
	v_cndmask_b32_e64 v7, v4, v31, s[38:39]
	v_max3_f32 v3, v3, v6, v7
	v_or_b32_e32 v6, 16, v2
	v_or_b32_e32 v7, 17, v2
	v_cmp_gt_i32_e64 s[24:25], s29, v6
	v_cmp_gt_i32_e64 s[26:27], s29, v7
	v_fmac_f32_e32 v25, v43, v9
	v_cndmask_b32_e64 v6, v4, v40, s[24:25]
	v_cndmask_b32_e64 v7, v4, v41, s[26:27]
	v_max3_f32 v3, v3, v6, v7
	v_or_b32_e32 v6, 18, v2
	v_or_b32_e32 v7, 19, v2
	v_cmp_gt_i32_e64 s[20:21], s29, v6
	v_cmp_gt_i32_e64 s[22:23], s29, v7
	v_cvt_f32_i32_e32 v8, v8
	v_cndmask_b32_e64 v6, v4, v36, s[20:21]
	v_cndmask_b32_e64 v7, v4, v37, s[22:23]
	v_max3_f32 v3, v3, v6, v7
	v_or_b32_e32 v6, 32, v2
	v_or_b32_e32 v7, 33, v2
	v_cmp_gt_i32_e64 s[16:17], s29, v6
	v_cmp_gt_i32_e64 s[18:19], s29, v7
	v_fma_f32 v20, v43, v8, v20
	v_cndmask_b32_e64 v6, v4, v32, s[16:17]
	v_cndmask_b32_e64 v7, v4, v33, s[18:19]
	v_max3_f32 v3, v3, v6, v7
	v_or_b32_e32 v6, 34, v2
	v_or_b32_e32 v7, 35, v2
	v_cmp_gt_i32_e64 s[12:13], s29, v6
	v_cmp_gt_i32_e64 s[14:15], s29, v7
	s_nop 0
	v_cndmask_b32_e64 v6, v4, v24, s[12:13]
	v_cndmask_b32_e64 v7, v4, v25, s[14:15]
	v_max3_f32 v3, v3, v6, v7
	v_or_b32_e32 v6, 48, v2
	v_or_b32_e32 v7, 49, v2
	v_cmp_gt_i32_e64 s[8:9], s29, v6
	v_cmp_gt_i32_e64 s[10:11], s29, v7
	s_nop 0
	v_cndmask_b32_e64 v6, v4, v22, s[8:9]
	v_cndmask_b32_e64 v7, v4, v23, s[10:11]
	v_max3_f32 v3, v3, v6, v7
	v_or_b32_e32 v6, 50, v2
	v_or_b32_e32 v2, 51, v2
	v_cmp_gt_i32_e32 vcc, s29, v6
	v_cmp_gt_i32_e64 s[6:7], s29, v2
	s_nop 0
	v_cndmask_b32_e32 v6, v4, v20, vcc
	v_cndmask_b32_e64 v2, v4, v21, s[6:7]
	v_max3_f32 v4, v3, v6, v2
	v_mbcnt_lo_u32_b32 v2, -1, 0
	v_mbcnt_hi_u32_b32 v6, -1, v2
	v_and_b32_e32 v2, 64, v6
	v_add_u32_e32 v7, 64, v2
	v_xor_b32_e32 v2, 32, v6
	v_cmp_lt_i32_e64 s[40:41], v2, v7
	s_nop 1
	v_cndmask_b32_e64 v2, v6, v2, s[40:41]
	v_lshlrev_b32_e32 v43, 2, v2
	ds_bpermute_b32 v8, v43, v4
	s_waitcnt vmcnt(2)
	v_mad_i64_i32 v[2:3], s[40:41], v14, s45, v[18:19]
	global_load_dwordx4 v[14:17], v[34:35], off
	global_load_dwordx4 v[10:13], v[2:3], off
	v_xor_b32_e32 v3, 16, v6
	v_cmp_lt_i32_e64 s[40:41], v3, v7
	s_waitcnt lgkmcnt(0)
	v_max_f32_e32 v2, v8, v8
	v_max_f32_e32 v2, v4, v2
	v_cndmask_b32_e64 v3, v6, v3, s[40:41]
	v_lshlrev_b32_e32 v46, 2, v3
	ds_bpermute_b32 v3, v46, v2
	s_waitcnt vmcnt(3)
	v_mad_i64_i32 v[34:35], s[40:41], v44, s45, v[18:19]
	s_waitcnt vmcnt(2)
	v_mad_i64_i32 v[18:19], s[40:41], v45, s45, v[18:19]
	s_waitcnt lgkmcnt(0)
	v_max_f32_e32 v3, v3, v3
	v_max_f32_e32 v38, v2, v3
	v_sub_f32_e32 v2, v5, v38
	v_mul_f32_e32 v2, 0x3fb8aa3b, v2
	v_exp_f32_e32 v44, v2
	v_sub_f32_e32 v2, v39, v38
	v_mul_f32_e32 v2, 0x3fb8aa3b, v2
	v_exp_f32_e32 v39, v2
	global_load_dwordx4 v[6:9], v[34:35], off
	global_load_dwordx4 v[2:5], v[18:19], off
	v_sub_f32_e32 v30, v30, v38
	v_mul_f32_e32 v30, 0x3fb8aa3b, v30
	v_sub_f32_e32 v31, v31, v38
	v_exp_f32_e32 v30, v30
	v_mul_f32_e32 v31, 0x3fb8aa3b, v31
	v_exp_f32_e32 v31, v31
	v_cndmask_b32_e64 v18, 0, v44, s[4:5]
	v_add_f32_e32 v34, 0, v18
	v_cndmask_b32_e64 v19, 0, v39, s[34:35]
	v_add_f32_e32 v35, v34, v19
	;; [unrolled: 2-line block ×3, first 2 shown]
	v_cndmask_b32_e64 v35, 0, v31, s[38:39]
	v_sub_f32_e32 v31, v40, v38
	v_mul_f32_e32 v31, 0x3fb8aa3b, v31
	v_sub_f32_e32 v39, v41, v38
	v_exp_f32_e32 v31, v31
	v_mul_f32_e32 v39, 0x3fb8aa3b, v39
	v_sub_f32_e32 v36, v36, v38
	v_exp_f32_e32 v39, v39
	;; [unrolled: 3-line block ×4, first 2 shown]
	v_mul_f32_e32 v32, 0x3fb8aa3b, v32
	v_sub_f32_e32 v33, v33, v38
	v_add_f32_e32 v40, v30, v35
	v_cndmask_b32_e64 v30, 0, v31, s[24:25]
	v_exp_f32_e32 v32, v32
	v_mul_f32_e32 v33, 0x3fb8aa3b, v33
	v_sub_f32_e32 v24, v24, v38
	v_add_f32_e32 v40, v40, v30
	v_cndmask_b32_e64 v31, 0, v39, s[26:27]
	v_exp_f32_e32 v33, v33
	;; [unrolled: 5-line block ×7, first 2 shown]
	v_mul_f32_e32 v21, 0x3fb8aa3b, v21
	v_add_f32_e32 v39, v39, v24
	v_cndmask_b32_e64 v25, 0, v25, s[14:15]
	v_exp_f32_e32 v21, v21
	v_add_f32_e32 v39, v39, v25
	v_cndmask_b32_e64 v22, 0, v22, s[8:9]
	v_add_f32_e32 v39, v39, v22
	v_cndmask_b32_e64 v23, 0, v23, s[10:11]
	v_add_f32_e32 v39, v39, v23
	v_cndmask_b32_e32 v20, 0, v20, vcc
	v_add_f32_e32 v39, v39, v20
	v_cndmask_b32_e64 v21, 0, v21, s[6:7]
	v_add_f32_e32 v39, v39, v21
	ds_bpermute_b32 v40, v43, v39
	s_load_dword s7, s[0:1], 0x98
	v_cmp_gt_u32_e32 vcc, 16, v27
	s_waitcnt lgkmcnt(0)
	s_barrier
	v_add_f32_e32 v40, v39, v40
	ds_bpermute_b32 v41, v46, v40
	v_lshlrev_b32_e32 v39, 2, v28
	s_waitcnt lgkmcnt(0)
	s_and_saveexec_b64 s[4:5], vcc
	s_cbranch_execz .LBB814_15
; %bb.14:
	v_add_f32_e32 v27, v40, v41
	v_lshl_or_b32 v40, v29, 6, v39
	ds_write2st64_b32 v40, v38, v27 offset1:1
.LBB814_15:
	s_or_b64 exec, exec, s[4:5]
	s_load_dword s6, s[0:1], 0x94
	s_waitcnt lgkmcnt(0)
	s_barrier
	ds_read2_b32 v[40:41], v39 offset1:16
	ds_read2_b32 v[44:45], v39 offset0:32 offset1:48
	ds_read2_b32 v[46:47], v39 offset0:64 offset1:80
	s_mul_i32 s7, s7, 7
	s_waitcnt lgkmcnt(2)
	v_max3_f32 v27, v40, s33, v41
	s_waitcnt lgkmcnt(1)
	v_max3_f32 v27, v27, v44, v45
	v_sub_f32_e32 v38, v40, v27
	v_mul_f32_e32 v38, 0x3fb8aa3b, v38
	v_exp_f32_e32 v43, v38
	v_sub_f32_e32 v38, v41, v27
	v_mul_f32_e32 v38, 0x3fb8aa3b, v38
	v_exp_f32_e32 v48, v38
	v_sub_f32_e32 v38, v44, v27
	v_mul_f32_e32 v38, 0x3fb8aa3b, v38
	v_exp_f32_e32 v44, v38
	ds_read2_b32 v[40:41], v39 offset0:96 offset1:112
	v_sub_f32_e32 v38, v45, v27
	v_mul_f32_e32 v38, 0x3fb8aa3b, v38
	v_exp_f32_e32 v39, v38
	s_waitcnt lgkmcnt(1)
	v_fma_f32 v38, v43, v46, 0
	v_fmac_f32_e32 v38, v48, v47
	s_waitcnt lgkmcnt(0)
	v_fmac_f32_e32 v38, v44, v40
	v_fmac_f32_e32 v38, v39, v41
	v_add_f32_e32 v40, 0x358637bd, v38
	v_div_scale_f32 v41, s[4:5], v40, v40, 1.0
	v_rcp_f32_e32 v45, v41
	s_barrier
	v_fma_f32 v46, -v41, v45, 1.0
	v_fmac_f32_e32 v45, v46, v45
	v_div_scale_f32 v46, vcc, 1.0, v40, 1.0
	v_mul_f32_e32 v47, v46, v45
	v_fma_f32 v49, -v41, v47, v46
	v_fmac_f32_e32 v47, v49, v45
	v_fma_f32 v41, -v41, v47, v46
	v_div_fmas_f32 v41, v41, v45, v47
	v_cmp_eq_u32_e32 vcc, 1, v29
	v_div_fixup_f32 v40, v41, v40, 1.0
	s_nop 0
	v_cndmask_b32_e32 v41, v43, v48, vcc
	v_cmp_eq_u32_e32 vcc, 2, v29
	s_nop 1
	v_cndmask_b32_e32 v41, v41, v44, vcc
	v_cmp_eq_u32_e32 vcc, 3, v29
	v_lshlrev_b32_e32 v29, 11, v29
	s_nop 0
	v_cndmask_b32_e32 v39, v41, v39, vcc
	v_mul_f32_e32 v40, v39, v40
	v_pk_mul_f32 v[18:19], v[40:41], v[18:19] op_sel_hi:[0,1]
	v_pk_mul_f32 v[34:35], v[40:41], v[34:35] op_sel_hi:[0,1]
	v_cvt_f16_f32_e32 v18, v18
	v_cvt_f16_f32_e32 v19, v19
	v_pk_mul_f32 v[36:37], v[40:41], v[36:37] op_sel_hi:[0,1]
	v_pk_mul_f32 v[30:31], v[40:41], v[30:31] op_sel_hi:[0,1]
	v_cvt_f16_f32_e32 v39, v34
	v_cvt_f16_f32_e32 v35, v35
	;; [unrolled: 1-line block ×6, first 2 shown]
	v_pack_b32_f16 v34, v18, v19
	v_lshlrev_b32_e32 v18, 3, v42
	v_lshlrev_b32_e32 v19, 5, v28
	v_pack_b32_f16 v35, v39, v35
	v_or3_b32 v18, v29, v19, v18
	v_pack_b32_f16 v30, v30, v31
	v_pack_b32_f16 v31, v36, v37
	ds_write2st64_b64 v18, v[34:35], v[30:31] offset1:1
	v_pk_mul_f32 v[24:25], v[40:41], v[24:25] op_sel_hi:[0,1]
	v_pk_mul_f32 v[30:31], v[40:41], v[32:33] op_sel_hi:[0,1]
	;; [unrolled: 1-line block ×4, first 2 shown]
	v_cvt_f16_f32_e32 v29, v30
	v_cvt_f16_f32_e32 v30, v31
	;; [unrolled: 1-line block ×8, first 2 shown]
	v_pack_b32_f16 v20, v29, v30
	v_pack_b32_f16 v21, v24, v25
	;; [unrolled: 1-line block ×4, first 2 shown]
	v_cmp_gt_u32_e32 vcc, 7, v0
	ds_write2st64_b64 v18, v[20:21], v[22:23] offset0:2 offset1:3
	s_and_saveexec_b64 s[4:5], vcc
	s_cbranch_execz .LBB814_17
; %bb.16:
	s_mov_b32 s49, 0
	v_mov_b32_e32 v29, 0
	v_lshl_add_u64 v[20:21], s[48:49], 0, v[28:29]
	v_mov_b32_e32 v22, s7
	v_mad_u64_u32 v[20:21], s[12:13], s2, v22, v[20:21]
	s_mul_i32 s3, s3, s7
	v_mov_b32_e32 v28, s28
	s_load_dwordx4 s[8:11], s[0:1], 0x58
	v_add_u32_e32 v23, s3, v21
	v_mad_u64_u32 v[20:21], s[12:13], v20, s6, v[28:29]
	v_mov_b32_e32 v22, v21
	v_mad_u64_u32 v[22:23], s[12:13], v23, s6, v[22:23]
	v_mov_b32_e32 v21, v22
	v_lshlrev_b64 v[20:21], 2, v[20:21]
	s_waitcnt lgkmcnt(0)
	v_lshl_add_u64 v[22:23], s[10:11], 0, v[20:21]
	v_lshl_add_u64 v[20:21], s[8:9], 0, v[20:21]
	global_store_dword v[22:23], v27, off
	global_store_dword v[20:21], v38, off
.LBB814_17:
	s_or_b64 exec, exec, s[4:5]
	s_waitcnt vmcnt(3)
	v_cvt_pk_f32_fp8_e32 v[20:21], v14
	v_cvt_pk_f32_fp8_sdwa v[22:23], v14 src0_sel:WORD_1
	v_lshl_or_b32 v14, v42, 9, v19
	s_waitcnt lgkmcnt(0)
	s_barrier
	v_cvt_pk_f32_fp8_e32 v[24:25], v15
	v_cvt_pkrtz_f16_f32 v32, v20, v21
	v_cvt_pkrtz_f16_f32 v33, v22, v23
	v_cvt_pk_f32_fp8_sdwa v[28:29], v15 src0_sel:WORD_1
	ds_read_b128 v[20:23], v14
	v_cvt_pkrtz_f16_f32 v24, v24, v25
	v_cvt_pk_f32_fp8_e32 v[36:37], v16
	v_cvt_pkrtz_f16_f32 v25, v28, v29
	ds_read_b128 v[28:31], v14 offset:16
	v_cvt_pk_f32_fp8_sdwa v[38:39], v16 src0_sel:WORD_1
	s_waitcnt lgkmcnt(1)
	v_mfma_f32_16x16x16_f16 v[32:35], v[32:33], v[20:21], 0
	v_cvt_pkrtz_f16_f32 v36, v36, v37
	s_load_dword s4, s[42:43], 0x0
	v_cvt_pkrtz_f16_f32 v37, v38, v39
	v_cvt_pk_f32_fp8_e32 v[38:39], v17
	v_cvt_pk_f32_fp8_sdwa v[16:17], v17 src0_sel:WORD_1
	v_mfma_f32_16x16x16_f16 v[20:23], v[24:25], v[22:23], v[32:35]
	v_cmp_gt_u32_e32 vcc, 64, v0
	v_cvt_pkrtz_f16_f32 v24, v38, v39
	v_cvt_pkrtz_f16_f32 v25, v16, v17
	s_waitcnt lgkmcnt(0)
	v_mfma_f32_16x16x16_f16 v[20:23], v[36:37], v[28:29], v[20:23]
	s_waitcnt vmcnt(2)
	v_cvt_pk_f32_fp8_e32 v[16:17], v10
	v_cvt_pk_f32_fp8_e32 v[28:29], v11
	v_cvt_pk_f32_fp8_sdwa v[36:37], v12 src0_sel:WORD_1
	v_mfma_f32_16x16x16_f16 v[20:23], v[24:25], v[30:31], v[20:23]
	v_cvt_pk_f32_fp8_sdwa v[24:25], v10 src0_sel:WORD_1
	v_cvt_pkrtz_f16_f32 v10, v16, v17
	v_cvt_pk_f32_fp8_sdwa v[16:17], v11 src0_sel:WORD_1
	ds_read_b128 v[32:35], v14 offset:2064
	v_cvt_pkrtz_f16_f32 v11, v24, v25
	v_cvt_pkrtz_f16_f32 v24, v28, v29
	ds_read_b128 v[28:31], v14 offset:2048
	v_cvt_pkrtz_f16_f32 v25, v16, v17
	v_cvt_pk_f32_fp8_e32 v[16:17], v12
	s_waitcnt lgkmcnt(0)
	v_mfma_f32_16x16x16_f16 v[20:23], v[10:11], v[28:29], v[20:23]
	v_cvt_pkrtz_f16_f32 v10, v16, v17
	v_cvt_pkrtz_f16_f32 v11, v36, v37
	v_cvt_pk_f32_fp8_e32 v[16:17], v13
	v_mfma_f32_16x16x16_f16 v[20:23], v[24:25], v[30:31], v[20:23]
	v_cvt_pk_f32_fp8_sdwa v[24:25], v13 src0_sel:WORD_1
	ds_read_b128 v[28:31], v14 offset:4112
	v_cvt_pkrtz_f16_f32 v16, v16, v17
	v_mfma_f32_16x16x16_f16 v[10:13], v[10:11], v[32:33], v[20:23]
	v_cvt_pkrtz_f16_f32 v17, v24, v25
	s_waitcnt vmcnt(1)
	v_cvt_pk_f32_fp8_sdwa v[24:25], v7 src0_sel:WORD_1
	v_cvt_pk_f32_fp8_sdwa v[32:33], v8 src0_sel:WORD_1
	v_cvt_pk_f32_fp8_e32 v[20:21], v6
	v_mfma_f32_16x16x16_f16 v[10:13], v[16:17], v[34:35], v[10:13]
	v_cvt_pk_f32_fp8_sdwa v[16:17], v6 src0_sel:WORD_1
	v_cvt_pk_f32_fp8_e32 v[22:23], v7
	v_cvt_pkrtz_f16_f32 v6, v20, v21
	s_mov_b32 s3, 0
	v_cvt_pkrtz_f16_f32 v7, v16, v17
	v_cvt_pkrtz_f16_f32 v16, v22, v23
	ds_read_b128 v[20:23], v14 offset:4096
	v_cvt_pkrtz_f16_f32 v17, v24, v25
	v_cvt_pk_f32_fp8_e32 v[24:25], v8
	s_waitcnt lgkmcnt(0)
	v_mfma_f32_16x16x16_f16 v[10:13], v[6:7], v[20:21], v[10:13]
	v_cvt_pkrtz_f16_f32 v6, v24, v25
	v_cvt_pkrtz_f16_f32 v7, v32, v33
	v_cvt_pk_f32_fp8_e32 v[20:21], v9
	v_mfma_f32_16x16x16_f16 v[10:13], v[16:17], v[22:23], v[10:13]
	v_cvt_pk_f32_fp8_sdwa v[16:17], v9 src0_sel:WORD_1
	s_waitcnt vmcnt(0)
	v_cvt_pk_f32_fp8_sdwa v[24:25], v4 src0_sel:WORD_1
	v_cvt_pkrtz_f16_f32 v20, v20, v21
	v_mfma_f32_16x16x16_f16 v[6:9], v[6:7], v[28:29], v[10:13]
	v_cvt_pkrtz_f16_f32 v21, v16, v17
	v_cvt_pk_f32_fp8_e32 v[16:17], v3
	v_mov_b32_e32 v27, 0
	v_cvt_pk_f32_fp8_e32 v[10:11], v2
	v_cvt_pk_f32_fp8_sdwa v[12:13], v2 src0_sel:WORD_1
	v_mfma_f32_16x16x16_f16 v[6:9], v[20:21], v[30:31], v[6:9]
	v_cvt_pk_f32_fp8_sdwa v[20:21], v3 src0_sel:WORD_1
	v_cvt_pkrtz_f16_f32 v2, v10, v11
	v_cvt_pkrtz_f16_f32 v3, v12, v13
	ds_read_b128 v[10:13], v14 offset:6144
	v_cvt_pkrtz_f16_f32 v22, v16, v17
	v_cvt_pkrtz_f16_f32 v23, v20, v21
	v_cvt_pk_f32_fp8_e32 v[20:21], v4
	s_waitcnt lgkmcnt(0)
	v_mfma_f32_16x16x16_f16 v[6:9], v[2:3], v[10:11], v[6:9]
	ds_read_b128 v[14:17], v14 offset:6160
	v_cvt_pkrtz_f16_f32 v2, v20, v21
	v_cvt_pkrtz_f16_f32 v3, v24, v25
	v_cvt_pk_f32_fp8_e32 v[10:11], v5
	v_mfma_f32_16x16x16_f16 v[6:9], v[22:23], v[12:13], v[6:9]
	v_cvt_pk_f32_fp8_sdwa v[12:13], v5 src0_sel:WORD_1
	s_waitcnt lgkmcnt(0)
	v_cvt_pkrtz_f16_f32 v10, v10, v11
	v_mfma_f32_16x16x16_f16 v[2:5], v[2:3], v[14:15], v[6:9]
	v_cvt_pkrtz_f16_f32 v11, v12, v13
	s_barrier
	s_nop 0
	v_mfma_f32_16x16x16_f16 v[2:5], v[10:11], v[16:17], v[2:5]
	s_nop 6
	v_pk_mul_f32 v[4:5], v[4:5], s[4:5] op_sel_hi:[1,0]
	v_pk_mul_f32 v[2:3], v[2:3], s[4:5] op_sel_hi:[1,0]
	v_cvt_f16_f32_e32 v4, v4
	v_cvt_f16_f32_e32 v2, v2
	;; [unrolled: 1-line block ×4, first 2 shown]
	s_and_b64 s[4:5], vcc, s[30:31]
	v_pack_b32_f16 v2, v2, v3
	v_pack_b32_f16 v3, v4, v5
	ds_write_b64 v18, v[2:3]
	s_waitcnt lgkmcnt(0)
	s_barrier
	s_and_saveexec_b64 s[8:9], s[4:5]
	s_cbranch_execz .LBB814_20
; %bb.18:
	s_load_dwordx2 s[4:5], s[0:1], 0x68
	s_lshl_b32 s0, s6, 6
	s_mul_i32 s1, s7, s2
	s_mul_hi_u32 s7, s1, s0
	s_mul_i32 s6, s1, s0
	v_lshlrev_b32_e32 v0, 10, v0
	s_lshl_b64 s[6:7], s[6:7], 1
	v_and_b32_e32 v0, 0x1800, v0
	v_lshlrev_b32_e32 v2, 5, v42
	v_and_b32_e32 v1, 16, v1
	s_waitcnt lgkmcnt(0)
	s_add_u32 s1, s4, s6
	v_or3_b32 v2, v0, v2, v1
	s_addc_u32 s4, s5, s7
	s_lshl_b32 s2, s28, 6
	s_lshl_b64 s[2:3], s[2:3], 1
	ds_read_b128 v[4:7], v2
	s_add_u32 s2, s1, s2
	s_addc_u32 s3, s4, s3
	v_add_u32_e32 v3, s48, v42
	v_lshl_add_u64 v[0:1], s[2:3], 0, v[26:27]
	v_mad_u64_u32 v[8:9], s[2:3], v3, s0, 0
	v_lshl_add_u64 v[8:9], v[8:9], 1, v[0:1]
	v_cmp_ne_u32_e32 vcc, 3, v42
	s_waitcnt lgkmcnt(0)
	global_store_dwordx4 v[8:9], v[4:7], off
	s_and_b64 exec, exec, vcc
	s_cbranch_execz .LBB814_20
; %bb.19:
	ds_read_b128 v[2:5], v2 offset:128
	v_add3_u32 v6, s48, v42, 4
	v_mad_u64_u32 v[6:7], s[0:1], v6, s0, 0
	v_lshl_add_u64 v[0:1], v[6:7], 1, v[0:1]
	s_waitcnt lgkmcnt(0)
	global_store_dwordx4 v[0:1], v[2:5], off
.LBB814_20:
	s_endpgm
	.section	.rodata,"a",@progbits
	.p2align	6, 0x0
	.amdhsa_kernel _Z39paged_attention_ll4mi_QKV_mfma16_kernelIDF16_hLN4vllm18Fp8KVCacheDataTypeE1EDF16_Li16ELi64ELi256ELb1ELi7EEvPKT_PKT0_S7_ifPKiS9_S9_iPKfiiiPfSC_PS2_PT2_iSB_SB_
		.amdhsa_group_segment_fixed_size 8192
		.amdhsa_private_segment_fixed_size 0
		.amdhsa_kernarg_size 400
		.amdhsa_user_sgpr_count 2
		.amdhsa_user_sgpr_dispatch_ptr 0
		.amdhsa_user_sgpr_queue_ptr 0
		.amdhsa_user_sgpr_kernarg_segment_ptr 1
		.amdhsa_user_sgpr_dispatch_id 0
		.amdhsa_user_sgpr_kernarg_preload_length 0
		.amdhsa_user_sgpr_kernarg_preload_offset 0
		.amdhsa_user_sgpr_private_segment_size 0
		.amdhsa_uses_dynamic_stack 0
		.amdhsa_enable_private_segment 0
		.amdhsa_system_sgpr_workgroup_id_x 1
		.amdhsa_system_sgpr_workgroup_id_y 1
		.amdhsa_system_sgpr_workgroup_id_z 1
		.amdhsa_system_sgpr_workgroup_info 0
		.amdhsa_system_vgpr_workitem_id 0
		.amdhsa_next_free_vgpr 67
		.amdhsa_next_free_sgpr 50
		.amdhsa_accum_offset 68
		.amdhsa_reserve_vcc 1
		.amdhsa_float_round_mode_32 0
		.amdhsa_float_round_mode_16_64 0
		.amdhsa_float_denorm_mode_32 3
		.amdhsa_float_denorm_mode_16_64 3
		.amdhsa_dx10_clamp 1
		.amdhsa_ieee_mode 1
		.amdhsa_fp16_overflow 0
		.amdhsa_tg_split 0
		.amdhsa_exception_fp_ieee_invalid_op 0
		.amdhsa_exception_fp_denorm_src 0
		.amdhsa_exception_fp_ieee_div_zero 0
		.amdhsa_exception_fp_ieee_overflow 0
		.amdhsa_exception_fp_ieee_underflow 0
		.amdhsa_exception_fp_ieee_inexact 0
		.amdhsa_exception_int_div_zero 0
	.end_amdhsa_kernel
	.section	.text._Z39paged_attention_ll4mi_QKV_mfma16_kernelIDF16_hLN4vllm18Fp8KVCacheDataTypeE1EDF16_Li16ELi64ELi256ELb1ELi7EEvPKT_PKT0_S7_ifPKiS9_S9_iPKfiiiPfSC_PS2_PT2_iSB_SB_,"axG",@progbits,_Z39paged_attention_ll4mi_QKV_mfma16_kernelIDF16_hLN4vllm18Fp8KVCacheDataTypeE1EDF16_Li16ELi64ELi256ELb1ELi7EEvPKT_PKT0_S7_ifPKiS9_S9_iPKfiiiPfSC_PS2_PT2_iSB_SB_,comdat
.Lfunc_end814:
	.size	_Z39paged_attention_ll4mi_QKV_mfma16_kernelIDF16_hLN4vllm18Fp8KVCacheDataTypeE1EDF16_Li16ELi64ELi256ELb1ELi7EEvPKT_PKT0_S7_ifPKiS9_S9_iPKfiiiPfSC_PS2_PT2_iSB_SB_, .Lfunc_end814-_Z39paged_attention_ll4mi_QKV_mfma16_kernelIDF16_hLN4vllm18Fp8KVCacheDataTypeE1EDF16_Li16ELi64ELi256ELb1ELi7EEvPKT_PKT0_S7_ifPKiS9_S9_iPKfiiiPfSC_PS2_PT2_iSB_SB_
                                        ; -- End function
	.section	.AMDGPU.csdata,"",@progbits
; Kernel info:
; codeLenInByte = 4848
; NumSgprs: 56
; NumVgprs: 67
; NumAgprs: 0
; TotalNumVgprs: 67
; ScratchSize: 0
; MemoryBound: 0
; FloatMode: 240
; IeeeMode: 1
; LDSByteSize: 8192 bytes/workgroup (compile time only)
; SGPRBlocks: 6
; VGPRBlocks: 8
; NumSGPRsForWavesPerEU: 56
; NumVGPRsForWavesPerEU: 67
; AccumOffset: 68
; Occupancy: 7
; WaveLimiterHint : 1
; COMPUTE_PGM_RSRC2:SCRATCH_EN: 0
; COMPUTE_PGM_RSRC2:USER_SGPR: 2
; COMPUTE_PGM_RSRC2:TRAP_HANDLER: 0
; COMPUTE_PGM_RSRC2:TGID_X_EN: 1
; COMPUTE_PGM_RSRC2:TGID_Y_EN: 1
; COMPUTE_PGM_RSRC2:TGID_Z_EN: 1
; COMPUTE_PGM_RSRC2:TIDIG_COMP_CNT: 0
; COMPUTE_PGM_RSRC3_GFX90A:ACCUM_OFFSET: 16
; COMPUTE_PGM_RSRC3_GFX90A:TG_SPLIT: 0
	.section	.text._Z39paged_attention_ll4mi_QKV_mfma16_kernelIDF16_hLN4vllm18Fp8KVCacheDataTypeE1EDF16_Li16ELi64ELi256ELb1ELi8EEvPKT_PKT0_S7_ifPKiS9_S9_iPKfiiiPfSC_PS2_PT2_iSB_SB_,"axG",@progbits,_Z39paged_attention_ll4mi_QKV_mfma16_kernelIDF16_hLN4vllm18Fp8KVCacheDataTypeE1EDF16_Li16ELi64ELi256ELb1ELi8EEvPKT_PKT0_S7_ifPKiS9_S9_iPKfiiiPfSC_PS2_PT2_iSB_SB_,comdat
	.protected	_Z39paged_attention_ll4mi_QKV_mfma16_kernelIDF16_hLN4vllm18Fp8KVCacheDataTypeE1EDF16_Li16ELi64ELi256ELb1ELi8EEvPKT_PKT0_S7_ifPKiS9_S9_iPKfiiiPfSC_PS2_PT2_iSB_SB_ ; -- Begin function _Z39paged_attention_ll4mi_QKV_mfma16_kernelIDF16_hLN4vllm18Fp8KVCacheDataTypeE1EDF16_Li16ELi64ELi256ELb1ELi8EEvPKT_PKT0_S7_ifPKiS9_S9_iPKfiiiPfSC_PS2_PT2_iSB_SB_
	.globl	_Z39paged_attention_ll4mi_QKV_mfma16_kernelIDF16_hLN4vllm18Fp8KVCacheDataTypeE1EDF16_Li16ELi64ELi256ELb1ELi8EEvPKT_PKT0_S7_ifPKiS9_S9_iPKfiiiPfSC_PS2_PT2_iSB_SB_
	.p2align	8
	.type	_Z39paged_attention_ll4mi_QKV_mfma16_kernelIDF16_hLN4vllm18Fp8KVCacheDataTypeE1EDF16_Li16ELi64ELi256ELb1ELi8EEvPKT_PKT0_S7_ifPKiS9_S9_iPKfiiiPfSC_PS2_PT2_iSB_SB_,@function
_Z39paged_attention_ll4mi_QKV_mfma16_kernelIDF16_hLN4vllm18Fp8KVCacheDataTypeE1EDF16_Li16ELi64ELi256ELb1ELi8EEvPKT_PKT0_S7_ifPKiS9_S9_iPKfiiiPfSC_PS2_PT2_iSB_SB_: ; @_Z39paged_attention_ll4mi_QKV_mfma16_kernelIDF16_hLN4vllm18Fp8KVCacheDataTypeE1EDF16_Li16ELi64ELi256ELb1ELi8EEvPKT_PKT0_S7_ifPKiS9_S9_iPKfiiiPfSC_PS2_PT2_iSB_SB_
; %bb.0:
	s_load_dwordx2 s[8:9], s[0:1], 0x30
	s_mov_b32 s16, s3
	s_mov_b64 s[6:7], 0
	s_waitcnt lgkmcnt(0)
	s_cmp_lg_u64 s[8:9], 0
	s_cselect_b64 s[10:11], -1, 0
	s_and_b64 vcc, exec, s[10:11]
	s_cbranch_vccz .LBB815_7
; %bb.1:
	s_add_i32 s12, s2, 1
	s_mov_b32 s13, 0
	s_lshl_b64 s[14:15], s[12:13], 2
	s_add_u32 s14, s8, s14
	s_mov_b32 s3, s13
	s_addc_u32 s15, s9, s15
	s_lshl_b64 s[12:13], s[2:3], 2
	s_add_u32 s12, s8, s12
	s_addc_u32 s13, s9, s13
	s_load_dword s5, s[14:15], 0x0
	s_load_dword s17, s[12:13], 0x0
	s_waitcnt lgkmcnt(0)
	s_sub_i32 s5, s5, s17
	s_cmp_eq_u32 s5, 1
	s_cselect_b64 s[12:13], -1, 0
	s_andn2_b64 vcc, exec, s[6:7]
	s_cbranch_vccnz .LBB815_3
.LBB815_2:
	s_mov_b32 s3, 0
	s_mov_b64 s[12:13], -1
.LBB815_3:
	s_andn2_b64 vcc, exec, s[12:13]
	s_cbranch_vccnz .LBB815_19
; %bb.4:
	s_load_dwordx2 s[6:7], s[0:1], 0x28
	s_lshl_b64 s[12:13], s[2:3], 2
	s_waitcnt lgkmcnt(0)
	s_add_u32 s6, s6, s12
	s_addc_u32 s7, s7, s13
	s_load_dword s33, s[6:7], 0x0
	s_lshl_b32 s20, s16, 8
	s_waitcnt lgkmcnt(0)
	s_cmp_ge_i32 s20, s33
	s_cbranch_scc1 .LBB815_19
; %bb.5:
	s_load_dwordx2 s[6:7], s[0:1], 0x20
	s_load_dword s5, s[0:1], 0x38
	s_add_i32 s14, s33, 15
	s_ashr_i32 s15, s14, 31
	v_and_b32_e32 v1, 0xcf, v0
	s_lshr_b32 s15, s15, 28
	v_add_u32_e32 v1, s20, v1
	s_add_i32 s14, s14, s15
	v_ashrrev_i32_e32 v2, 31, v1
	s_ashr_i32 s21, s14, 4
	v_lshrrev_b32_e32 v4, 28, v2
	s_add_i32 s21, s21, -1
	s_waitcnt lgkmcnt(0)
	s_mul_i32 s14, s2, s5
	s_mov_b32 s15, 0
	v_add_u32_e32 v2, v1, v4
	s_lshl_b64 s[14:15], s[14:15], 2
	v_ashrrev_i32_e32 v2, 4, v2
	v_mov_b32_e32 v5, s21
	v_cmp_gt_i32_e32 vcc, s33, v1
	s_add_u32 s6, s6, s14
	s_addc_u32 s7, s7, s15
	v_cndmask_b32_e32 v2, v5, v2, vcc
	v_ashrrev_i32_e32 v3, 31, v2
	v_lshl_add_u64 v[6:7], v[2:3], 2, s[6:7]
	v_or_b32_e32 v2, 16, v1
	v_add_u32_e32 v3, v2, v4
	v_ashrrev_i32_e32 v3, 4, v3
	v_cmp_gt_i32_e32 vcc, s33, v2
	s_load_dwordx2 s[14:15], s[0:1], 0x8
	s_nop 0
	v_cndmask_b32_e32 v2, v5, v3, vcc
	v_ashrrev_i32_e32 v3, 31, v2
	v_lshl_add_u64 v[8:9], v[2:3], 2, s[6:7]
	v_or_b32_e32 v2, 32, v1
	v_add_u32_e32 v3, v2, v4
	v_ashrrev_i32_e32 v3, 4, v3
	v_cmp_gt_i32_e32 vcc, s33, v2
	v_or_b32_e32 v1, 48, v1
	s_nop 0
	v_cndmask_b32_e32 v2, v5, v3, vcc
	v_ashrrev_i32_e32 v3, 31, v2
	v_lshl_add_u64 v[10:11], v[2:3], 2, s[6:7]
	v_add_u32_e32 v2, v1, v4
	v_ashrrev_i32_e32 v2, 4, v2
	v_cmp_gt_i32_e32 vcc, s33, v1
	s_nop 1
	v_cndmask_b32_e32 v2, v5, v2, vcc
	v_ashrrev_i32_e32 v3, 31, v2
	v_lshl_add_u64 v[12:13], v[2:3], 2, s[6:7]
	global_load_dword v5, v[6:7], off
	global_load_dword v4, v[8:9], off
	global_load_dword v3, v[10:11], off
	global_load_dword v2, v[12:13], off
	s_andn2_b64 vcc, exec, s[10:11]
	s_cbranch_vccnz .LBB815_8
; %bb.6:
	s_add_u32 s8, s8, s12
	s_addc_u32 s9, s9, s13
	s_load_dword s5, s[8:9], 0x0
	s_branch .LBB815_9
.LBB815_7:
	s_mov_b64 s[12:13], 0
	s_branch .LBB815_2
.LBB815_8:
	s_mov_b32 s5, s2
.LBB815_9:
	s_load_dwordx2 s[8:9], s[0:1], 0x10
	s_load_dwordx4 s[44:47], s[0:1], 0x48
	v_and_b32_e32 v46, 15, v0
	s_movk_i32 s10, 0x80
	v_lshlrev_b32_e32 v6, 3, v46
	v_cmp_gt_u32_e32 vcc, s10, v0
	v_cmp_gt_u32_e64 s[18:19], 8, v46
	v_lshrrev_b32_e32 v45, 6, v0
	v_bfe_u32 v1, v0, 4, 2
	s_lshl_b32 s17, s4, 3
	s_and_b64 s[12:13], vcc, s[18:19]
	v_lshlrev_b32_e32 v26, 1, v6
	v_lshlrev_b32_e32 v44, 4, v0
	s_and_saveexec_b64 s[10:11], s[12:13]
	s_cbranch_execz .LBB815_11
; %bb.10:
	s_load_dwordx2 s[12:13], s[0:1], 0x0
	s_waitcnt lgkmcnt(0)
	s_ashr_i32 s22, s44, 31
	s_mul_hi_u32 s23, s5, s44
	s_mul_i32 s22, s5, s22
	s_add_i32 s23, s23, s22
	s_mul_i32 s22, s5, s44
	v_lshl_or_b32 v10, v45, 2, v1
	s_lshl_b64 s[22:23], s[22:23], 1
	s_add_u32 s12, s12, s22
	v_add_lshl_u32 v6, v10, s17, 6
	s_addc_u32 s13, s13, s23
	v_ashrrev_i32_e32 v7, 31, v6
	v_lshl_add_u64 v[6:7], v[6:7], 1, s[12:13]
	v_mov_b32_e32 v27, 0
	v_lshl_add_u64 v[6:7], v[6:7], 0, v[26:27]
	global_load_dwordx4 v[6:9], v[6:7], off
	v_lshlrev_b32_e32 v12, 8, v46
	v_lshlrev_b32_e32 v10, 5, v10
	v_and_b32_e32 v11, 16, v44
	v_and_b32_e32 v12, 0xe00, v12
	v_or3_b32 v10, v12, v10, v11
	s_waitcnt vmcnt(0)
	ds_write_b128 v10, v[6:9]
.LBB815_11:
	s_or_b64 exec, exec, s[10:11]
	s_waitcnt lgkmcnt(0)
	s_mul_i32 s10, s4, s46
	s_add_u32 s4, s14, s10
	s_addc_u32 s5, s15, 0
	v_and_b32_e32 v30, 48, v0
	v_and_b32_e32 v28, 0xf0, v44
	v_mov_b32_e32 v29, 0
	v_lshl_add_u64 v[6:7], s[4:5], 0, v[28:29]
	v_lshlrev_b32_e32 v28, 4, v30
	v_lshl_add_u64 v[6:7], v[6:7], 0, v[28:29]
	s_waitcnt vmcnt(3)
	v_mad_i64_i32 v[8:9], s[4:5], v5, s45, v[6:7]
	s_waitcnt vmcnt(2)
	v_mad_i64_i32 v[4:5], s[4:5], v4, s45, v[6:7]
	s_barrier
	global_load_dwordx4 v[22:25], v[8:9], off
	global_load_dwordx4 v[18:21], v[4:5], off
	s_waitcnt vmcnt(3)
	v_mad_i64_i32 v[4:5], s[4:5], v3, s45, v[6:7]
	s_waitcnt vmcnt(2)
	v_mad_i64_i32 v[2:3], s[4:5], v2, s45, v[6:7]
	global_load_dwordx4 v[14:17], v[4:5], off
	global_load_dwordx4 v[6:9], v[2:3], off
	v_and_b32_e32 v2, 7, v0
	v_lshlrev_b32_e32 v2, 5, v2
	v_lshl_or_b32 v2, v1, 9, v2
	ds_read_b128 v[10:13], v2
	ds_read_b128 v[2:5], v2 offset:16
	v_and_b32_e32 v27, 63, v0
	v_mov_b32_e32 v47, 0
	s_and_saveexec_b64 s[4:5], s[18:19]
	s_cbranch_execz .LBB815_13
; %bb.12:
	s_load_dwordx2 s[12:13], s[0:1], 0x40
	v_or_b32_e32 v32, s17, v46
	v_ashrrev_i32_e32 v33, 31, v32
	s_waitcnt lgkmcnt(0)
	v_lshl_add_u64 v[32:33], v[32:33], 2, s[12:13]
	global_load_dword v47, v[32:33], off
.LBB815_13:
	s_or_b64 exec, exec, s[4:5]
	v_or_b32_e32 v49, s20, v30
	v_ashrrev_i32_e32 v28, 4, v49
	v_mov_b32_e32 v63, s21
	v_cmp_gt_i32_e32 vcc, s33, v49
	s_waitcnt vmcnt(3)
	v_cvt_pk_f32_fp8_e32 v[38:39], v22
	v_cvt_pk_f32_fp8_sdwa v[40:41], v22 src0_sel:WORD_1
	v_cndmask_b32_e32 v30, v63, v28, vcc
	v_ashrrev_i32_e32 v31, 31, v30
	v_lshl_add_u64 v[30:31], v[30:31], 2, s[6:7]
	global_load_dword v48, v[30:31], off
	v_cvt_pk_f32_fp8_e32 v[42:43], v23
	v_cvt_pk_f32_fp8_sdwa v[30:31], v23 src0_sel:WORD_1
	v_cvt_pk_f32_fp8_e32 v[34:35], v24
	v_cvt_pk_f32_fp8_sdwa v[36:37], v24 src0_sel:WORD_1
	;; [unrolled: 2-line block ×3, first 2 shown]
	s_waitcnt vmcnt(3)
	v_cvt_pk_f32_fp8_e32 v[24:25], v18
	v_cvt_pk_f32_fp8_sdwa v[50:51], v18 src0_sel:WORD_1
	v_cvt_pk_f32_fp8_e32 v[54:55], v20
	v_cvt_pk_f32_fp8_sdwa v[56:57], v20 src0_sel:WORD_1
	v_cvt_pk_f32_fp8_e32 v[58:59], v21
	v_cvt_pk_f32_fp8_sdwa v[60:61], v21 src0_sel:WORD_1
	v_cvt_pkrtz_f16_f32 v20, v38, v39
	v_cvt_pkrtz_f16_f32 v21, v40, v41
	s_add_u32 s4, s8, s10
	v_cvt_pk_f32_fp8_e32 v[52:53], v19
	v_cvt_pk_f32_fp8_sdwa v[18:19], v19 src0_sel:WORD_1
	v_lshlrev_b32_e32 v28, 4, v46
	v_lshl_or_b32 v28, v45, 8, v28
	s_addc_u32 s5, s9, 0
	v_lshl_add_u64 v[28:29], s[4:5], 0, v[28:29]
	s_load_dword s4, s[0:1], 0x1c
	s_load_dwordx4 s[40:43], s[0:1], 0x80
	v_cvt_pkrtz_f16_f32 v24, v24, v25
	v_cvt_pkrtz_f16_f32 v25, v50, v51
	;; [unrolled: 1-line block ×6, first 2 shown]
	s_waitcnt lgkmcnt(0)
	v_mfma_f32_16x16x16_f16 v[18:21], v[20:21], v[10:11], 0
	s_waitcnt vmcnt(2)
	v_cvt_pk_f32_fp8_e32 v[38:39], v14
	v_cvt_pk_f32_fp8_sdwa v[40:41], v14 src0_sel:WORD_1
	v_or_b32_e32 v14, 64, v49
	v_or_b32_e32 v64, 0x80, v49
	v_ashrrev_i32_e32 v62, 4, v14
	v_cvt_pkrtz_f16_f32 v50, v34, v35
	v_cvt_pkrtz_f16_f32 v51, v36, v37
	v_cmp_gt_i32_e32 vcc, s33, v14
	s_load_dword s44, s[0:1], 0x98
	s_load_dword s5, s[40:41], 0x0
	v_or_b32_e32 v49, 0xc0, v49
	v_ashrrev_i32_e32 v65, 4, v64
	v_cndmask_b32_e32 v62, v63, v62, vcc
	v_cmp_gt_i32_e32 vcc, s33, v64
	v_cvt_pkrtz_f16_f32 v35, v22, v23
	v_mfma_f32_16x16x16_f16 v[22:25], v[24:25], v[10:11], 0
	v_ashrrev_i32_e32 v66, 4, v49
	v_cndmask_b32_e32 v64, v63, v65, vcc
	v_cmp_gt_i32_e32 vcc, s33, v49
	v_mfma_f32_16x16x16_f16 v[18:21], v[42:43], v[12:13], v[18:21]
	v_ashrrev_i32_e32 v65, 31, v64
	v_cndmask_b32_e32 v66, v63, v66, vcc
	v_ashrrev_i32_e32 v63, 31, v62
	v_cvt_pkrtz_f16_f32 v34, v32, v33
	v_ashrrev_i32_e32 v67, 31, v66
	v_cvt_pkrtz_f16_f32 v54, v54, v55
	v_cvt_pkrtz_f16_f32 v55, v56, v57
	;; [unrolled: 1-line block ×4, first 2 shown]
	v_lshl_add_u64 v[38:39], v[62:63], 2, s[6:7]
	v_lshl_add_u64 v[40:41], v[64:65], 2, s[6:7]
	v_mov_b32_e32 v14, s4
	v_cvt_pk_f32_fp8_e32 v[30:31], v15
	v_mfma_f32_16x16x16_f16 v[22:25], v[52:53], v[12:13], v[22:25]
	v_lshl_add_u64 v[42:43], v[66:67], 2, s[6:7]
	v_cvt_pkrtz_f16_f32 v36, v58, v59
	v_cvt_pkrtz_f16_f32 v37, v60, v61
	v_mfma_f32_16x16x16_f16 v[18:21], v[50:51], v[2:3], v[18:21]
	global_load_dword v50, v[38:39], off
	global_load_dword v51, v[40:41], off
	;; [unrolled: 1-line block ×3, first 2 shown]
	s_waitcnt lgkmcnt(0)
	v_mul_f32_e32 v40, s5, v14
	v_cvt_pk_f32_fp8_sdwa v[14:15], v15 src0_sel:WORD_1
	v_mfma_f32_16x16x16_f16 v[22:25], v[54:55], v[2:3], v[22:25]
	v_cvt_pk_f32_fp8_e32 v[38:39], v16
	v_cvt_pk_f32_fp8_sdwa v[42:43], v16 src0_sel:WORD_1
	s_mov_b32 s46, 0xff7fffff
	v_mfma_f32_16x16x16_f16 v[18:21], v[34:35], v[4:5], v[18:21]
	v_cvt_pkrtz_f16_f32 v34, v30, v31
	v_cvt_pkrtz_f16_f32 v35, v14, v15
	;; [unrolled: 1-line block ×3, first 2 shown]
	v_mfma_f32_16x16x16_f16 v[30:33], v[32:33], v[10:11], 0
	v_cvt_pkrtz_f16_f32 v39, v42, v43
	v_cvt_pk_f32_fp8_e32 v[42:43], v17
	v_mfma_f32_16x16x16_f16 v[22:25], v[36:37], v[4:5], v[22:25]
	s_waitcnt vmcnt(3)
	v_mad_i64_i32 v[36:37], s[4:5], v48, s45, v[28:29]
	v_cvt_pk_f32_fp8_sdwa v[48:49], v17 src0_sel:WORD_1
	v_mfma_f32_16x16x16_f16 v[14:17], v[34:35], v[12:13], v[30:33]
	v_cvt_pk_f32_fp8_e32 v[34:35], v8
	s_nop 1
	v_pk_mul_f32 v[30:31], v[40:41], v[20:21] op_sel_hi:[0,1]
	v_cvt_pkrtz_f16_f32 v20, v42, v43
	v_cvt_pkrtz_f16_f32 v21, v48, v49
	v_mfma_f32_16x16x16_f16 v[14:17], v[38:39], v[2:3], v[14:17]
	v_pk_mul_f32 v[38:39], v[40:41], v[18:19] op_sel_hi:[0,1]
	v_cvt_pk_f32_fp8_e32 v[18:19], v6
	v_cvt_pk_f32_fp8_sdwa v[32:33], v6 src0_sel:WORD_1
	v_mfma_f32_16x16x16_f16 v[14:17], v[20:21], v[4:5], v[14:17]
	v_cvt_pk_f32_fp8_e32 v[20:21], v7
	v_cvt_pkrtz_f16_f32 v18, v18, v19
	v_cvt_pkrtz_f16_f32 v19, v32, v33
	v_cvt_pk_f32_fp8_sdwa v[6:7], v7 src0_sel:WORD_1
	v_cvt_pkrtz_f16_f32 v32, v20, v21
	v_cvt_pk_f32_fp8_sdwa v[42:43], v8 src0_sel:WORD_1
	v_mfma_f32_16x16x16_f16 v[18:21], v[18:19], v[10:11], 0
	v_cvt_pkrtz_f16_f32 v33, v6, v7
	v_cvt_pkrtz_f16_f32 v10, v34, v35
	;; [unrolled: 1-line block ×3, first 2 shown]
	v_cvt_pk_f32_fp8_e32 v[34:35], v9
	v_cvt_pk_f32_fp8_sdwa v[42:43], v9 src0_sel:WORD_1
	v_mfma_f32_16x16x16_f16 v[6:9], v[32:33], v[12:13], v[18:21]
	v_pk_mul_f32 v[32:33], v[40:41], v[24:25] op_sel_hi:[0,1]
	v_cvt_pkrtz_f16_f32 v12, v34, v35
	v_cvt_pkrtz_f16_f32 v13, v42, v43
	v_mfma_f32_16x16x16_f16 v[6:9], v[10:11], v[2:3], v[6:9]
	v_pk_mul_f32 v[34:35], v[40:41], v[22:23] op_sel_hi:[0,1]
	v_pk_mul_f32 v[22:23], v[40:41], v[16:17] op_sel_hi:[0,1]
	;; [unrolled: 1-line block ×3, first 2 shown]
	v_mfma_f32_16x16x16_f16 v[2:5], v[12:13], v[4:5], v[6:9]
	s_nop 6
	v_pk_mul_f32 v[20:21], v[40:41], v[2:3] op_sel_hi:[0,1]
	v_and_b32_e32 v2, 0xc0, v0
	v_add_u32_e32 v2, s20, v2
	v_lshl_or_b32 v2, v1, 2, v2
	v_or_b32_e32 v3, 1, v2
	v_pk_mul_f32 v[18:19], v[40:41], v[4:5] op_sel_hi:[0,1]
	v_subrev_u32_e32 v4, s33, v3
	v_add_u32_e32 v6, 1, v4
	v_add_u32_e32 v7, 2, v4
	;; [unrolled: 1-line block ×3, first 2 shown]
	v_cvt_f32_i32_e32 v6, v6
	v_cvt_f32_i32_e32 v7, v7
	;; [unrolled: 1-line block ×3, first 2 shown]
	v_add_u32_e32 v9, 19, v4
	v_fmac_f32_e32 v39, v47, v6
	v_fma_f32 v30, v47, v7, v30
	v_fmac_f32_e32 v31, v47, v8
	v_add_u32_e32 v6, 16, v4
	v_add_u32_e32 v7, 17, v4
	;; [unrolled: 1-line block ×3, first 2 shown]
	v_cvt_f32_i32_e32 v6, v6
	v_cvt_f32_i32_e32 v7, v7
	;; [unrolled: 1-line block ×4, first 2 shown]
	v_fma_f32 v34, v47, v6, v34
	v_fmac_f32_e32 v35, v47, v7
	v_fma_f32 v40, v47, v8, v32
	v_add_u32_e32 v6, 32, v4
	v_add_u32_e32 v7, 33, v4
	;; [unrolled: 1-line block ×3, first 2 shown]
	v_cvt_f32_i32_e32 v6, v6
	v_cvt_f32_i32_e32 v7, v7
	;; [unrolled: 1-line block ×4, first 2 shown]
	v_fmac_f32_e32 v33, v47, v9
	v_add_u32_e32 v9, 35, v4
	v_fma_f32 v24, v47, v6, v24
	v_fmac_f32_e32 v25, v47, v7
	v_fma_f32 v22, v47, v8, v22
	v_add_u32_e32 v6, 48, v4
	v_add_u32_e32 v7, 49, v4
	;; [unrolled: 1-line block ×4, first 2 shown]
	v_cvt_f32_i32_e32 v4, v4
	v_cvt_f32_i32_e32 v6, v6
	;; [unrolled: 1-line block ×3, first 2 shown]
	v_fma_f32 v5, v47, v5, v38
	v_fmac_f32_e32 v19, v47, v4
	v_mov_b32_e32 v4, 0xff7fffff
	v_cmp_gt_i32_e64 s[4:5], s33, v2
	v_cmp_gt_i32_e64 s[20:21], s33, v3
	v_fma_f32 v20, v47, v6, v20
	v_cndmask_b32_e64 v6, v4, v5, s[4:5]
	v_cndmask_b32_e64 v3, v4, v39, s[20:21]
	v_fmac_f32_e32 v21, v47, v7
	v_max3_f32 v3, v6, s46, v3
	v_or_b32_e32 v6, 2, v2
	v_or_b32_e32 v7, 3, v2
	v_cmp_gt_i32_e64 s[22:23], s33, v6
	v_cmp_gt_i32_e64 s[24:25], s33, v7
	v_cvt_f32_i32_e32 v9, v9
	v_cndmask_b32_e64 v6, v4, v30, s[22:23]
	v_cndmask_b32_e64 v7, v4, v31, s[24:25]
	v_max3_f32 v3, v3, v6, v7
	v_or_b32_e32 v6, 16, v2
	v_or_b32_e32 v7, 17, v2
	v_cmp_gt_i32_e64 s[26:27], s33, v6
	v_cmp_gt_i32_e64 s[28:29], s33, v7
	v_fmac_f32_e32 v23, v47, v9
	v_cndmask_b32_e64 v6, v4, v34, s[26:27]
	v_cndmask_b32_e64 v7, v4, v35, s[28:29]
	v_max3_f32 v3, v3, v6, v7
	v_or_b32_e32 v6, 18, v2
	v_or_b32_e32 v7, 19, v2
	v_cmp_gt_i32_e64 s[30:31], s33, v6
	v_cmp_gt_i32_e64 s[34:35], s33, v7
	v_cvt_f32_i32_e32 v8, v8
	v_cndmask_b32_e64 v6, v4, v40, s[30:31]
	v_cndmask_b32_e64 v7, v4, v33, s[34:35]
	v_max3_f32 v3, v3, v6, v7
	v_or_b32_e32 v6, 32, v2
	v_or_b32_e32 v7, 33, v2
	v_cmp_gt_i32_e64 s[36:37], s33, v6
	v_cmp_gt_i32_e64 s[38:39], s33, v7
	v_fma_f32 v18, v47, v8, v18
	v_cndmask_b32_e64 v6, v4, v24, s[36:37]
	v_cndmask_b32_e64 v7, v4, v25, s[38:39]
	v_max3_f32 v3, v3, v6, v7
	v_or_b32_e32 v6, 34, v2
	v_or_b32_e32 v7, 35, v2
	v_cmp_gt_i32_e64 s[12:13], s33, v6
	v_cmp_gt_i32_e64 s[14:15], s33, v7
	s_nop 0
	v_cndmask_b32_e64 v6, v4, v22, s[12:13]
	v_cndmask_b32_e64 v7, v4, v23, s[14:15]
	v_max3_f32 v3, v3, v6, v7
	v_or_b32_e32 v6, 48, v2
	v_or_b32_e32 v7, 49, v2
	v_cmp_gt_i32_e64 s[8:9], s33, v6
	v_cmp_gt_i32_e64 s[10:11], s33, v7
	s_nop 0
	v_cndmask_b32_e64 v6, v4, v20, s[8:9]
	v_cndmask_b32_e64 v7, v4, v21, s[10:11]
	v_max3_f32 v3, v3, v6, v7
	v_or_b32_e32 v6, 50, v2
	v_or_b32_e32 v2, 51, v2
	v_cmp_gt_i32_e32 vcc, s33, v6
	v_cmp_gt_i32_e64 s[6:7], s33, v2
	s_nop 0
	v_cndmask_b32_e32 v6, v4, v18, vcc
	v_cndmask_b32_e64 v2, v4, v19, s[6:7]
	v_max3_f32 v4, v3, v6, v2
	v_mbcnt_lo_u32_b32 v2, -1, 0
	v_mbcnt_hi_u32_b32 v6, -1, v2
	v_and_b32_e32 v2, 64, v6
	v_add_u32_e32 v7, 64, v2
	v_xor_b32_e32 v2, 32, v6
	v_cmp_lt_i32_e64 s[40:41], v2, v7
	s_nop 1
	v_cndmask_b32_e64 v2, v6, v2, s[40:41]
	v_lshlrev_b32_e32 v41, 2, v2
	ds_bpermute_b32 v8, v41, v4
	s_waitcnt vmcnt(2)
	v_mad_i64_i32 v[2:3], s[40:41], v50, s45, v[28:29]
	global_load_dwordx4 v[14:17], v[36:37], off
	global_load_dwordx4 v[10:13], v[2:3], off
	v_xor_b32_e32 v3, 16, v6
	v_cmp_lt_i32_e64 s[40:41], v3, v7
	s_waitcnt lgkmcnt(0)
	v_max_f32_e32 v2, v8, v8
	v_max_f32_e32 v2, v4, v2
	v_cndmask_b32_e64 v3, v6, v3, s[40:41]
	v_lshlrev_b32_e32 v42, 2, v3
	ds_bpermute_b32 v3, v42, v2
	s_waitcnt vmcnt(3)
	v_mad_i64_i32 v[36:37], s[40:41], v51, s45, v[28:29]
	s_waitcnt vmcnt(2)
	v_mad_i64_i32 v[28:29], s[40:41], v52, s45, v[28:29]
	s_waitcnt lgkmcnt(0)
	v_max_f32_e32 v3, v3, v3
	v_max_f32_e32 v32, v2, v3
	v_sub_f32_e32 v2, v5, v32
	v_mul_f32_e32 v2, 0x3fb8aa3b, v2
	v_exp_f32_e32 v38, v2
	v_sub_f32_e32 v2, v39, v32
	v_mul_f32_e32 v2, 0x3fb8aa3b, v2
	v_exp_f32_e32 v39, v2
	global_load_dwordx4 v[6:9], v[36:37], off
	global_load_dwordx4 v[2:5], v[28:29], off
	v_sub_f32_e32 v29, v30, v32
	v_sub_f32_e32 v30, v31, v32
	v_mul_f32_e32 v29, 0x3fb8aa3b, v29
	v_mul_f32_e32 v30, 0x3fb8aa3b, v30
	v_exp_f32_e32 v29, v29
	v_exp_f32_e32 v30, v30
	v_cndmask_b32_e64 v36, 0, v38, s[4:5]
	v_cndmask_b32_e64 v37, 0, v39, s[20:21]
	;; [unrolled: 1-line block ×4, first 2 shown]
	v_sub_f32_e32 v29, v34, v32
	v_sub_f32_e32 v30, v35, v32
	v_mul_f32_e32 v29, 0x3fb8aa3b, v29
	v_mul_f32_e32 v30, 0x3fb8aa3b, v30
	v_exp_f32_e32 v29, v29
	v_exp_f32_e32 v30, v30
	v_add_f32_e32 v28, 0, v36
	v_add_f32_e32 v28, v28, v37
	;; [unrolled: 1-line block ×4, first 2 shown]
	v_cndmask_b32_e64 v28, 0, v29, s[26:27]
	v_cndmask_b32_e64 v29, 0, v30, s[28:29]
	v_sub_f32_e32 v30, v40, v32
	v_mul_f32_e32 v30, 0x3fb8aa3b, v30
	v_sub_f32_e32 v33, v33, v32
	v_exp_f32_e32 v30, v30
	v_mul_f32_e32 v33, 0x3fb8aa3b, v33
	v_sub_f32_e32 v24, v24, v32
	v_exp_f32_e32 v33, v33
	;; [unrolled: 3-line block ×3, first 2 shown]
	v_mul_f32_e32 v25, 0x3fb8aa3b, v25
	v_sub_f32_e32 v22, v22, v32
	v_add_f32_e32 v31, v31, v28
	v_exp_f32_e32 v25, v25
	v_mul_f32_e32 v22, 0x3fb8aa3b, v22
	v_sub_f32_e32 v23, v23, v32
	v_add_f32_e32 v31, v31, v29
	v_cndmask_b32_e64 v30, 0, v30, s[30:31]
	v_exp_f32_e32 v22, v22
	v_mul_f32_e32 v23, 0x3fb8aa3b, v23
	v_sub_f32_e32 v20, v20, v32
	v_add_f32_e32 v34, v31, v30
	v_cndmask_b32_e64 v31, 0, v33, s[34:35]
	v_exp_f32_e32 v23, v23
	v_mul_f32_e32 v20, 0x3fb8aa3b, v20
	v_sub_f32_e32 v21, v21, v32
	v_add_f32_e32 v33, v34, v31
	v_cndmask_b32_e64 v24, 0, v24, s[36:37]
	v_exp_f32_e32 v20, v20
	v_mul_f32_e32 v21, 0x3fb8aa3b, v21
	v_sub_f32_e32 v18, v18, v32
	v_add_f32_e32 v33, v33, v24
	v_cndmask_b32_e64 v25, 0, v25, s[38:39]
	v_exp_f32_e32 v21, v21
	v_mul_f32_e32 v18, 0x3fb8aa3b, v18
	v_sub_f32_e32 v19, v19, v32
	v_add_f32_e32 v33, v33, v25
	v_cndmask_b32_e64 v22, 0, v22, s[12:13]
	v_exp_f32_e32 v18, v18
	v_mul_f32_e32 v19, 0x3fb8aa3b, v19
	v_add_f32_e32 v33, v33, v22
	v_cndmask_b32_e64 v23, 0, v23, s[14:15]
	v_exp_f32_e32 v19, v19
	v_add_f32_e32 v33, v33, v23
	v_cndmask_b32_e64 v20, 0, v20, s[8:9]
	v_add_f32_e32 v33, v33, v20
	v_cndmask_b32_e64 v21, 0, v21, s[10:11]
	v_add_f32_e32 v33, v33, v21
	v_cndmask_b32_e32 v18, 0, v18, vcc
	v_add_f32_e32 v33, v33, v18
	v_cndmask_b32_e64 v19, 0, v19, s[6:7]
	v_add_f32_e32 v33, v33, v19
	ds_bpermute_b32 v34, v41, v33
	v_cmp_gt_u32_e32 vcc, 16, v27
	s_waitcnt lgkmcnt(0)
	s_barrier
	v_add_f32_e32 v34, v33, v34
	ds_bpermute_b32 v35, v42, v34
	v_lshlrev_b32_e32 v33, 2, v46
	s_and_saveexec_b64 s[4:5], vcc
	s_cbranch_execz .LBB815_15
; %bb.14:
	s_waitcnt lgkmcnt(0)
	v_add_f32_e32 v27, v34, v35
	v_lshl_or_b32 v34, v45, 6, v33
	ds_write2st64_b32 v34, v32, v27 offset1:1
.LBB815_15:
	s_or_b64 exec, exec, s[4:5]
	s_load_dword s6, s[0:1], 0x94
	s_waitcnt lgkmcnt(0)
	s_barrier
	ds_read2_b32 v[34:35], v33 offset1:16
	ds_read2_b32 v[40:41], v33 offset0:32 offset1:48
	ds_read2_b32 v[42:43], v33 offset0:64 offset1:80
	s_lshl_b32 s7, s44, 3
	s_waitcnt lgkmcnt(2)
	v_max3_f32 v27, v34, s46, v35
	s_waitcnt lgkmcnt(1)
	v_max3_f32 v27, v27, v40, v41
	v_sub_f32_e32 v32, v34, v27
	v_mul_f32_e32 v32, 0x3fb8aa3b, v32
	v_exp_f32_e32 v47, v32
	v_sub_f32_e32 v32, v35, v27
	v_mul_f32_e32 v32, 0x3fb8aa3b, v32
	v_exp_f32_e32 v48, v32
	;; [unrolled: 3-line block ×3, first 2 shown]
	ds_read2_b32 v[34:35], v33 offset0:96 offset1:112
	v_sub_f32_e32 v32, v41, v27
	v_mul_f32_e32 v32, 0x3fb8aa3b, v32
	v_exp_f32_e32 v33, v32
	s_waitcnt lgkmcnt(1)
	v_fma_f32 v32, v47, v42, 0
	v_fmac_f32_e32 v32, v48, v43
	s_waitcnt lgkmcnt(0)
	v_fmac_f32_e32 v32, v40, v34
	v_fmac_f32_e32 v32, v33, v35
	v_add_f32_e32 v34, 0x358637bd, v32
	v_div_scale_f32 v35, s[4:5], v34, v34, 1.0
	v_rcp_f32_e32 v41, v35
	s_barrier
	v_fma_f32 v42, -v35, v41, 1.0
	v_fmac_f32_e32 v41, v42, v41
	v_div_scale_f32 v42, vcc, 1.0, v34, 1.0
	v_mul_f32_e32 v43, v42, v41
	v_fma_f32 v49, -v35, v43, v42
	v_fmac_f32_e32 v43, v49, v41
	v_fma_f32 v35, -v35, v43, v42
	v_div_fmas_f32 v35, v35, v41, v43
	v_cmp_eq_u32_e32 vcc, 1, v45
	v_div_fixup_f32 v34, v35, v34, 1.0
	s_nop 0
	v_cndmask_b32_e32 v35, v47, v48, vcc
	v_cmp_eq_u32_e32 vcc, 2, v45
	s_nop 1
	v_cndmask_b32_e32 v35, v35, v40, vcc
	v_cmp_eq_u32_e32 vcc, 3, v45
	s_nop 1
	v_cndmask_b32_e32 v33, v35, v33, vcc
	v_mul_f32_e32 v34, v33, v34
	v_pk_mul_f32 v[36:37], v[34:35], v[36:37] op_sel_hi:[0,1]
	v_pk_mul_f32 v[38:39], v[34:35], v[38:39] op_sel_hi:[0,1]
	v_cvt_f16_f32_e32 v33, v36
	v_cvt_f16_f32_e32 v35, v37
	;; [unrolled: 1-line block ×4, first 2 shown]
	v_cmp_gt_u32_e32 vcc, 8, v0
	v_pack_b32_f16 v36, v33, v35
	v_lshlrev_b32_e32 v35, 3, v1
	v_pk_mul_f32 v[30:31], v[34:35], v[30:31] op_sel_hi:[0,1]
	v_pk_mul_f32 v[28:29], v[34:35], v[28:29] op_sel_hi:[0,1]
	v_pack_b32_f16 v37, v37, v38
	v_cvt_f16_f32_e32 v38, v28
	v_cvt_f16_f32_e32 v29, v29
	;; [unrolled: 1-line block ×4, first 2 shown]
	v_lshlrev_b32_e32 v33, 5, v46
	v_lshlrev_b32_e32 v28, 11, v45
	v_or3_b32 v28, v28, v33, v35
	v_pack_b32_f16 v30, v38, v29
	v_pack_b32_f16 v31, v39, v31
	v_pk_mul_f32 v[22:23], v[34:35], v[22:23] op_sel_hi:[0,1]
	v_pk_mul_f32 v[24:25], v[34:35], v[24:25] op_sel_hi:[0,1]
	;; [unrolled: 1-line block ×4, first 2 shown]
	ds_write2st64_b64 v28, v[36:37], v[30:31] offset1:1
	v_cvt_f16_f32_e32 v24, v24
	v_cvt_f16_f32_e32 v25, v25
	;; [unrolled: 1-line block ×8, first 2 shown]
	v_pack_b32_f16 v18, v24, v25
	v_pack_b32_f16 v19, v22, v23
	;; [unrolled: 1-line block ×4, first 2 shown]
	ds_write2st64_b64 v28, v[18:19], v[20:21] offset0:2 offset1:3
	s_and_saveexec_b64 s[4:5], vcc
	s_cbranch_execz .LBB815_17
; %bb.16:
	v_or_b32_e32 v18, s17, v0
	v_mov_b32_e32 v19, 0
	v_mov_b32_e32 v20, s7
	v_mad_u64_u32 v[20:21], s[12:13], s2, v20, v[18:19]
	v_mov_b32_e32 v18, s16
	s_load_dwordx4 s[8:11], s[0:1], 0x58
	s_mul_i32 s3, s3, s7
	v_mad_u64_u32 v[18:19], s[12:13], v20, s6, v[18:19]
	v_add_u32_e32 v21, s3, v21
	v_mov_b32_e32 v20, v19
	v_mad_u64_u32 v[20:21], s[12:13], v21, s6, v[20:21]
	v_mov_b32_e32 v19, v20
	v_lshlrev_b64 v[18:19], 2, v[18:19]
	s_waitcnt lgkmcnt(0)
	v_lshl_add_u64 v[20:21], s[10:11], 0, v[18:19]
	v_lshl_add_u64 v[18:19], s[8:9], 0, v[18:19]
	global_store_dword v[20:21], v27, off
	global_store_dword v[18:19], v32, off
.LBB815_17:
	s_or_b64 exec, exec, s[4:5]
	s_waitcnt vmcnt(3)
	v_cvt_pk_f32_fp8_e32 v[18:19], v14
	v_cvt_pk_f32_fp8_sdwa v[20:21], v14 src0_sel:WORD_1
	v_lshl_or_b32 v14, v1, 9, v33
	s_waitcnt lgkmcnt(0)
	s_barrier
	v_cvt_pk_f32_fp8_e32 v[22:23], v15
	v_cvt_pkrtz_f16_f32 v30, v18, v19
	v_cvt_pkrtz_f16_f32 v31, v20, v21
	v_cvt_pk_f32_fp8_sdwa v[24:25], v15 src0_sel:WORD_1
	ds_read_b128 v[18:21], v14
	v_cvt_pkrtz_f16_f32 v34, v22, v23
	v_cvt_pk_f32_fp8_e32 v[36:37], v16
	v_cvt_pkrtz_f16_f32 v35, v24, v25
	ds_read_b128 v[22:25], v14 offset:16
	v_cvt_pk_f32_fp8_sdwa v[38:39], v16 src0_sel:WORD_1
	s_waitcnt lgkmcnt(1)
	v_mfma_f32_16x16x16_f16 v[30:33], v[30:31], v[18:19], 0
	v_cvt_pkrtz_f16_f32 v36, v36, v37
	s_load_dword s4, s[42:43], 0x0
	v_cvt_pkrtz_f16_f32 v37, v38, v39
	v_cvt_pk_f32_fp8_e32 v[38:39], v17
	v_mfma_f32_16x16x16_f16 v[18:21], v[34:35], v[20:21], v[30:33]
	s_waitcnt vmcnt(2)
	v_cvt_pk_f32_fp8_e32 v[34:35], v12
	v_cmp_gt_u32_e32 vcc, 64, v0
	s_mov_b32 s3, 0
	v_cvt_pk_f32_fp8_sdwa v[30:31], v17 src0_sel:WORD_1
	v_cvt_pkrtz_f16_f32 v32, v38, v39
	s_waitcnt lgkmcnt(0)
	v_mfma_f32_16x16x16_f16 v[16:19], v[36:37], v[22:23], v[18:21]
	v_cvt_pk_f32_fp8_sdwa v[22:23], v10 src0_sel:WORD_1
	v_cvt_pkrtz_f16_f32 v33, v30, v31
	v_cvt_pk_f32_fp8_sdwa v[30:31], v11 src0_sel:WORD_1
	v_cvt_pk_f32_fp8_e32 v[20:21], v10
	v_mfma_f32_16x16x16_f16 v[16:19], v[32:33], v[24:25], v[16:19]
	v_cvt_pk_f32_fp8_e32 v[24:25], v11
	v_cvt_pkrtz_f16_f32 v10, v20, v21
	v_cvt_pkrtz_f16_f32 v11, v22, v23
	ds_read_b128 v[20:23], v14 offset:2048
	v_cvt_pkrtz_f16_f32 v24, v24, v25
	v_cvt_pkrtz_f16_f32 v25, v30, v31
	ds_read_b128 v[30:33], v14 offset:2064
	v_cvt_pk_f32_fp8_sdwa v[36:37], v12 src0_sel:WORD_1
	s_waitcnt lgkmcnt(1)
	v_mfma_f32_16x16x16_f16 v[16:19], v[10:11], v[20:21], v[16:19]
	v_cvt_pkrtz_f16_f32 v10, v34, v35
	v_cvt_pk_f32_fp8_e32 v[20:21], v13
	v_cvt_pkrtz_f16_f32 v11, v36, v37
	v_mfma_f32_16x16x16_f16 v[16:19], v[24:25], v[22:23], v[16:19]
	v_cvt_pk_f32_fp8_sdwa v[22:23], v13 src0_sel:WORD_1
	v_cvt_pkrtz_f16_f32 v20, v20, v21
	v_mov_b32_e32 v27, 0
	s_waitcnt lgkmcnt(0)
	v_mfma_f32_16x16x16_f16 v[10:13], v[10:11], v[30:31], v[16:19]
	v_cvt_pkrtz_f16_f32 v21, v22, v23
	s_waitcnt vmcnt(1)
	v_cvt_pk_f32_fp8_sdwa v[22:23], v7 src0_sel:WORD_1
	v_cvt_pk_f32_fp8_e32 v[30:31], v8
	v_cvt_pk_f32_fp8_e32 v[16:17], v6
	v_cvt_pk_f32_fp8_sdwa v[18:19], v6 src0_sel:WORD_1
	v_mfma_f32_16x16x16_f16 v[10:13], v[20:21], v[32:33], v[10:13]
	v_cvt_pk_f32_fp8_e32 v[20:21], v7
	v_cvt_pkrtz_f16_f32 v6, v16, v17
	v_cvt_pkrtz_f16_f32 v7, v18, v19
	ds_read_b128 v[16:19], v14 offset:4096
	v_cvt_pkrtz_f16_f32 v24, v20, v21
	v_cvt_pkrtz_f16_f32 v25, v22, v23
	ds_read_b128 v[20:23], v14 offset:4112
	v_cvt_pk_f32_fp8_sdwa v[32:33], v8 src0_sel:WORD_1
	s_waitcnt lgkmcnt(1)
	v_mfma_f32_16x16x16_f16 v[10:13], v[6:7], v[16:17], v[10:13]
	v_cvt_pkrtz_f16_f32 v6, v30, v31
	v_cvt_pk_f32_fp8_e32 v[16:17], v9
	v_cvt_pkrtz_f16_f32 v7, v32, v33
	v_mfma_f32_16x16x16_f16 v[10:13], v[24:25], v[18:19], v[10:13]
	v_cvt_pk_f32_fp8_sdwa v[18:19], v9 src0_sel:WORD_1
	v_cvt_pkrtz_f16_f32 v16, v16, v17
	v_cvt_pkrtz_f16_f32 v17, v18, v19
	s_waitcnt lgkmcnt(0)
	v_mfma_f32_16x16x16_f16 v[6:9], v[6:7], v[20:21], v[10:13]
	s_waitcnt vmcnt(0)
	v_cvt_pk_f32_fp8_sdwa v[18:19], v3 src0_sel:WORD_1
	s_nop 0
	v_cvt_pkrtz_f16_f32 v21, v18, v19
	v_cvt_pk_f32_fp8_e32 v[10:11], v2
	v_cvt_pk_f32_fp8_sdwa v[12:13], v2 src0_sel:WORD_1
	v_mfma_f32_16x16x16_f16 v[6:9], v[16:17], v[22:23], v[6:9]
	v_cvt_pk_f32_fp8_e32 v[16:17], v3
	v_cvt_pkrtz_f16_f32 v2, v10, v11
	v_cvt_pkrtz_f16_f32 v3, v12, v13
	ds_read_b128 v[10:13], v14 offset:6144
	v_cvt_pkrtz_f16_f32 v20, v16, v17
	v_cvt_pk_f32_fp8_e32 v[18:19], v4
	v_cvt_pk_f32_fp8_sdwa v[22:23], v4 src0_sel:WORD_1
	s_waitcnt lgkmcnt(0)
	v_mfma_f32_16x16x16_f16 v[6:9], v[2:3], v[10:11], v[6:9]
	ds_read_b128 v[14:17], v14 offset:6160
	v_cvt_pkrtz_f16_f32 v2, v18, v19
	v_cvt_pkrtz_f16_f32 v3, v22, v23
	v_cvt_pk_f32_fp8_e32 v[10:11], v5
	v_mfma_f32_16x16x16_f16 v[6:9], v[20:21], v[12:13], v[6:9]
	v_cvt_pk_f32_fp8_sdwa v[12:13], v5 src0_sel:WORD_1
	s_waitcnt lgkmcnt(0)
	v_cvt_pkrtz_f16_f32 v10, v10, v11
	v_mfma_f32_16x16x16_f16 v[2:5], v[2:3], v[14:15], v[6:9]
	v_cvt_pkrtz_f16_f32 v11, v12, v13
	s_barrier
	s_nop 0
	v_mfma_f32_16x16x16_f16 v[2:5], v[10:11], v[16:17], v[2:5]
	s_nop 6
	v_pk_mul_f32 v[4:5], v[4:5], s[4:5] op_sel_hi:[1,0]
	v_pk_mul_f32 v[2:3], v[2:3], s[4:5] op_sel_hi:[1,0]
	v_cvt_f16_f32_e32 v4, v4
	v_cvt_f16_f32_e32 v2, v2
	;; [unrolled: 1-line block ×4, first 2 shown]
	s_and_b64 s[4:5], vcc, s[18:19]
	v_pack_b32_f16 v2, v2, v3
	v_pack_b32_f16 v3, v4, v5
	ds_write_b64 v28, v[2:3]
	s_waitcnt lgkmcnt(0)
	s_barrier
	s_and_saveexec_b64 s[8:9], s[4:5]
	s_cbranch_execz .LBB815_19
; %bb.18:
	s_load_dwordx2 s[0:1], s[0:1], 0x68
	s_lshl_b32 s6, s6, 6
	s_mul_i32 s2, s7, s2
	s_mul_hi_u32 s5, s2, s6
	s_mul_i32 s4, s2, s6
	s_lshl_b64 s[4:5], s[4:5], 1
	v_lshlrev_b32_e32 v0, 10, v0
	s_waitcnt lgkmcnt(0)
	s_add_u32 s4, s0, s4
	v_and_b32_e32 v0, 0x1800, v0
	v_lshlrev_b32_e32 v2, 5, v1
	v_and_b32_e32 v3, 16, v44
	s_addc_u32 s5, s1, s5
	s_lshl_b32 s2, s16, 6
	v_or3_b32 v0, v0, v2, v3
	s_lshl_b64 s[0:1], s[2:3], 1
	ds_read_b128 v[2:5], v0
	ds_read_b128 v[6:9], v0 offset:128
	s_add_u32 s0, s4, s0
	s_addc_u32 s1, s5, s1
	v_or_b32_e32 v12, s17, v1
	v_lshl_add_u64 v[10:11], s[0:1], 0, v[26:27]
	v_mad_u64_u32 v[0:1], s[0:1], v12, s6, 0
	v_lshl_add_u64 v[0:1], v[0:1], 1, v[10:11]
	s_waitcnt lgkmcnt(1)
	global_store_dwordx4 v[0:1], v[2:5], off
	v_or_b32_e32 v0, 4, v12
	v_mad_u64_u32 v[0:1], s[0:1], v0, s6, 0
	v_lshl_add_u64 v[0:1], v[0:1], 1, v[10:11]
	s_waitcnt lgkmcnt(0)
	global_store_dwordx4 v[0:1], v[6:9], off
.LBB815_19:
	s_endpgm
	.section	.rodata,"a",@progbits
	.p2align	6, 0x0
	.amdhsa_kernel _Z39paged_attention_ll4mi_QKV_mfma16_kernelIDF16_hLN4vllm18Fp8KVCacheDataTypeE1EDF16_Li16ELi64ELi256ELb1ELi8EEvPKT_PKT0_S7_ifPKiS9_S9_iPKfiiiPfSC_PS2_PT2_iSB_SB_
		.amdhsa_group_segment_fixed_size 8192
		.amdhsa_private_segment_fixed_size 0
		.amdhsa_kernarg_size 400
		.amdhsa_user_sgpr_count 2
		.amdhsa_user_sgpr_dispatch_ptr 0
		.amdhsa_user_sgpr_queue_ptr 0
		.amdhsa_user_sgpr_kernarg_segment_ptr 1
		.amdhsa_user_sgpr_dispatch_id 0
		.amdhsa_user_sgpr_kernarg_preload_length 0
		.amdhsa_user_sgpr_kernarg_preload_offset 0
		.amdhsa_user_sgpr_private_segment_size 0
		.amdhsa_uses_dynamic_stack 0
		.amdhsa_enable_private_segment 0
		.amdhsa_system_sgpr_workgroup_id_x 1
		.amdhsa_system_sgpr_workgroup_id_y 1
		.amdhsa_system_sgpr_workgroup_id_z 1
		.amdhsa_system_sgpr_workgroup_info 0
		.amdhsa_system_vgpr_workitem_id 0
		.amdhsa_next_free_vgpr 68
		.amdhsa_next_free_sgpr 48
		.amdhsa_accum_offset 68
		.amdhsa_reserve_vcc 1
		.amdhsa_float_round_mode_32 0
		.amdhsa_float_round_mode_16_64 0
		.amdhsa_float_denorm_mode_32 3
		.amdhsa_float_denorm_mode_16_64 3
		.amdhsa_dx10_clamp 1
		.amdhsa_ieee_mode 1
		.amdhsa_fp16_overflow 0
		.amdhsa_tg_split 0
		.amdhsa_exception_fp_ieee_invalid_op 0
		.amdhsa_exception_fp_denorm_src 0
		.amdhsa_exception_fp_ieee_div_zero 0
		.amdhsa_exception_fp_ieee_overflow 0
		.amdhsa_exception_fp_ieee_underflow 0
		.amdhsa_exception_fp_ieee_inexact 0
		.amdhsa_exception_int_div_zero 0
	.end_amdhsa_kernel
	.section	.text._Z39paged_attention_ll4mi_QKV_mfma16_kernelIDF16_hLN4vllm18Fp8KVCacheDataTypeE1EDF16_Li16ELi64ELi256ELb1ELi8EEvPKT_PKT0_S7_ifPKiS9_S9_iPKfiiiPfSC_PS2_PT2_iSB_SB_,"axG",@progbits,_Z39paged_attention_ll4mi_QKV_mfma16_kernelIDF16_hLN4vllm18Fp8KVCacheDataTypeE1EDF16_Li16ELi64ELi256ELb1ELi8EEvPKT_PKT0_S7_ifPKiS9_S9_iPKfiiiPfSC_PS2_PT2_iSB_SB_,comdat
.Lfunc_end815:
	.size	_Z39paged_attention_ll4mi_QKV_mfma16_kernelIDF16_hLN4vllm18Fp8KVCacheDataTypeE1EDF16_Li16ELi64ELi256ELb1ELi8EEvPKT_PKT0_S7_ifPKiS9_S9_iPKfiiiPfSC_PS2_PT2_iSB_SB_, .Lfunc_end815-_Z39paged_attention_ll4mi_QKV_mfma16_kernelIDF16_hLN4vllm18Fp8KVCacheDataTypeE1EDF16_Li16ELi64ELi256ELb1ELi8EEvPKT_PKT0_S7_ifPKiS9_S9_iPKfiiiPfSC_PS2_PT2_iSB_SB_
                                        ; -- End function
	.section	.AMDGPU.csdata,"",@progbits
; Kernel info:
; codeLenInByte = 4800
; NumSgprs: 54
; NumVgprs: 68
; NumAgprs: 0
; TotalNumVgprs: 68
; ScratchSize: 0
; MemoryBound: 0
; FloatMode: 240
; IeeeMode: 1
; LDSByteSize: 8192 bytes/workgroup (compile time only)
; SGPRBlocks: 6
; VGPRBlocks: 8
; NumSGPRsForWavesPerEU: 54
; NumVGPRsForWavesPerEU: 68
; AccumOffset: 68
; Occupancy: 7
; WaveLimiterHint : 1
; COMPUTE_PGM_RSRC2:SCRATCH_EN: 0
; COMPUTE_PGM_RSRC2:USER_SGPR: 2
; COMPUTE_PGM_RSRC2:TRAP_HANDLER: 0
; COMPUTE_PGM_RSRC2:TGID_X_EN: 1
; COMPUTE_PGM_RSRC2:TGID_Y_EN: 1
; COMPUTE_PGM_RSRC2:TGID_Z_EN: 1
; COMPUTE_PGM_RSRC2:TIDIG_COMP_CNT: 0
; COMPUTE_PGM_RSRC3_GFX90A:ACCUM_OFFSET: 16
; COMPUTE_PGM_RSRC3_GFX90A:TG_SPLIT: 0
	.section	.text._Z39paged_attention_ll4mi_QKV_mfma16_kernelIDF16_hLN4vllm18Fp8KVCacheDataTypeE1EDF16_Li16ELi64ELi256ELb1ELi9EEvPKT_PKT0_S7_ifPKiS9_S9_iPKfiiiPfSC_PS2_PT2_iSB_SB_,"axG",@progbits,_Z39paged_attention_ll4mi_QKV_mfma16_kernelIDF16_hLN4vllm18Fp8KVCacheDataTypeE1EDF16_Li16ELi64ELi256ELb1ELi9EEvPKT_PKT0_S7_ifPKiS9_S9_iPKfiiiPfSC_PS2_PT2_iSB_SB_,comdat
	.protected	_Z39paged_attention_ll4mi_QKV_mfma16_kernelIDF16_hLN4vllm18Fp8KVCacheDataTypeE1EDF16_Li16ELi64ELi256ELb1ELi9EEvPKT_PKT0_S7_ifPKiS9_S9_iPKfiiiPfSC_PS2_PT2_iSB_SB_ ; -- Begin function _Z39paged_attention_ll4mi_QKV_mfma16_kernelIDF16_hLN4vllm18Fp8KVCacheDataTypeE1EDF16_Li16ELi64ELi256ELb1ELi9EEvPKT_PKT0_S7_ifPKiS9_S9_iPKfiiiPfSC_PS2_PT2_iSB_SB_
	.globl	_Z39paged_attention_ll4mi_QKV_mfma16_kernelIDF16_hLN4vllm18Fp8KVCacheDataTypeE1EDF16_Li16ELi64ELi256ELb1ELi9EEvPKT_PKT0_S7_ifPKiS9_S9_iPKfiiiPfSC_PS2_PT2_iSB_SB_
	.p2align	8
	.type	_Z39paged_attention_ll4mi_QKV_mfma16_kernelIDF16_hLN4vllm18Fp8KVCacheDataTypeE1EDF16_Li16ELi64ELi256ELb1ELi9EEvPKT_PKT0_S7_ifPKiS9_S9_iPKfiiiPfSC_PS2_PT2_iSB_SB_,@function
_Z39paged_attention_ll4mi_QKV_mfma16_kernelIDF16_hLN4vllm18Fp8KVCacheDataTypeE1EDF16_Li16ELi64ELi256ELb1ELi9EEvPKT_PKT0_S7_ifPKiS9_S9_iPKfiiiPfSC_PS2_PT2_iSB_SB_: ; @_Z39paged_attention_ll4mi_QKV_mfma16_kernelIDF16_hLN4vllm18Fp8KVCacheDataTypeE1EDF16_Li16ELi64ELi256ELb1ELi9EEvPKT_PKT0_S7_ifPKiS9_S9_iPKfiiiPfSC_PS2_PT2_iSB_SB_
; %bb.0:
	s_load_dwordx2 s[6:7], s[0:1], 0x30
	s_mov_b32 s28, s3
	s_mov_b64 s[8:9], 0
	s_waitcnt lgkmcnt(0)
	s_cmp_lg_u64 s[6:7], 0
	s_cselect_b64 s[10:11], -1, 0
	s_and_b64 vcc, exec, s[10:11]
	s_cbranch_vccz .LBB816_7
; %bb.1:
	s_add_i32 s12, s2, 1
	s_mov_b32 s13, 0
	s_lshl_b64 s[14:15], s[12:13], 2
	s_add_u32 s14, s6, s14
	s_mov_b32 s3, s13
	s_addc_u32 s15, s7, s15
	s_lshl_b64 s[12:13], s[2:3], 2
	s_add_u32 s12, s6, s12
	s_addc_u32 s13, s7, s13
	s_load_dword s5, s[14:15], 0x0
	s_load_dword s16, s[12:13], 0x0
	s_waitcnt lgkmcnt(0)
	s_sub_i32 s5, s5, s16
	s_cmp_eq_u32 s5, 1
	s_cselect_b64 s[12:13], -1, 0
	s_andn2_b64 vcc, exec, s[8:9]
	s_cbranch_vccnz .LBB816_3
.LBB816_2:
	s_mov_b32 s3, 0
	s_mov_b64 s[12:13], -1
.LBB816_3:
	s_andn2_b64 vcc, exec, s[12:13]
	s_cbranch_vccnz .LBB816_20
; %bb.4:
	s_load_dwordx2 s[8:9], s[0:1], 0x28
	s_lshl_b64 s[12:13], s[2:3], 2
	s_waitcnt lgkmcnt(0)
	s_add_u32 s8, s8, s12
	s_addc_u32 s9, s9, s13
	s_load_dword s29, s[8:9], 0x0
	s_lshl_b32 s16, s28, 8
	s_waitcnt lgkmcnt(0)
	s_cmp_ge_i32 s16, s29
	s_cbranch_scc1 .LBB816_20
; %bb.5:
	s_load_dwordx2 s[8:9], s[0:1], 0x20
	s_load_dword s5, s[0:1], 0x38
	s_add_i32 s14, s29, 15
	s_ashr_i32 s15, s14, 31
	v_and_b32_e32 v1, 0xcf, v0
	s_lshr_b32 s15, s15, 28
	v_add_u32_e32 v1, s16, v1
	s_add_i32 s14, s14, s15
	v_ashrrev_i32_e32 v2, 31, v1
	s_ashr_i32 s17, s14, 4
	v_lshrrev_b32_e32 v4, 28, v2
	s_add_i32 s17, s17, -1
	s_waitcnt lgkmcnt(0)
	s_mul_i32 s14, s2, s5
	s_mov_b32 s15, 0
	v_add_u32_e32 v2, v1, v4
	s_lshl_b64 s[14:15], s[14:15], 2
	v_ashrrev_i32_e32 v2, 4, v2
	v_mov_b32_e32 v5, s17
	v_cmp_gt_i32_e32 vcc, s29, v1
	s_add_u32 s8, s8, s14
	s_addc_u32 s9, s9, s15
	v_cndmask_b32_e32 v2, v5, v2, vcc
	v_ashrrev_i32_e32 v3, 31, v2
	v_lshl_add_u64 v[6:7], v[2:3], 2, s[8:9]
	v_or_b32_e32 v2, 16, v1
	v_add_u32_e32 v3, v2, v4
	v_ashrrev_i32_e32 v3, 4, v3
	v_cmp_gt_i32_e32 vcc, s29, v2
	s_load_dwordx2 s[14:15], s[0:1], 0x8
	s_nop 0
	v_cndmask_b32_e32 v2, v5, v3, vcc
	v_ashrrev_i32_e32 v3, 31, v2
	v_lshl_add_u64 v[8:9], v[2:3], 2, s[8:9]
	v_or_b32_e32 v2, 32, v1
	v_add_u32_e32 v3, v2, v4
	v_ashrrev_i32_e32 v3, 4, v3
	v_cmp_gt_i32_e32 vcc, s29, v2
	v_or_b32_e32 v1, 48, v1
	s_nop 0
	v_cndmask_b32_e32 v2, v5, v3, vcc
	v_ashrrev_i32_e32 v3, 31, v2
	v_lshl_add_u64 v[10:11], v[2:3], 2, s[8:9]
	v_add_u32_e32 v2, v1, v4
	v_ashrrev_i32_e32 v2, 4, v2
	v_cmp_gt_i32_e32 vcc, s29, v1
	s_nop 1
	v_cndmask_b32_e32 v2, v5, v2, vcc
	v_ashrrev_i32_e32 v3, 31, v2
	v_lshl_add_u64 v[12:13], v[2:3], 2, s[8:9]
	global_load_dword v5, v[6:7], off
	global_load_dword v4, v[8:9], off
	;; [unrolled: 1-line block ×4, first 2 shown]
	s_andn2_b64 vcc, exec, s[10:11]
	s_cbranch_vccnz .LBB816_8
; %bb.6:
	s_add_u32 s6, s6, s12
	s_addc_u32 s7, s7, s13
	s_load_dword s5, s[6:7], 0x0
	s_branch .LBB816_9
.LBB816_7:
	s_mov_b64 s[12:13], 0
	s_branch .LBB816_2
.LBB816_8:
	s_mov_b32 s5, s2
.LBB816_9:
	s_load_dwordx2 s[6:7], s[0:1], 0x10
	s_load_dwordx4 s[44:47], s[0:1], 0x48
	v_lshrrev_b32_e32 v29, 6, v0
	v_bfe_u32 v42, v0, 4, 2
	v_lshl_or_b32 v6, v29, 2, v42
	v_and_b32_e32 v28, 15, v0
	v_lshlrev_b32_e32 v1, 3, v28
	v_cmp_gt_u32_e32 vcc, 9, v6
	v_cmp_gt_u32_e64 s[30:31], 8, v28
	s_mul_i32 s48, s4, 9
	s_and_b64 s[12:13], s[30:31], vcc
	v_lshlrev_b32_e32 v26, 1, v1
	v_lshlrev_b32_e32 v1, 4, v0
	s_and_saveexec_b64 s[10:11], s[12:13]
	s_cbranch_execz .LBB816_11
; %bb.10:
	s_load_dwordx2 s[12:13], s[0:1], 0x0
	s_waitcnt lgkmcnt(0)
	s_ashr_i32 s18, s44, 31
	s_mul_hi_u32 s19, s5, s44
	s_mul_i32 s18, s5, s18
	s_add_i32 s19, s19, s18
	s_mul_i32 s18, s5, s44
	s_lshl_b64 s[18:19], s[18:19], 1
	s_add_u32 s12, s12, s18
	v_add_lshl_u32 v8, v6, s48, 6
	s_addc_u32 s13, s13, s19
	v_ashrrev_i32_e32 v9, 31, v8
	v_lshl_add_u64 v[8:9], v[8:9], 1, s[12:13]
	v_mov_b32_e32 v27, 0
	v_lshl_add_u64 v[8:9], v[8:9], 0, v[26:27]
	global_load_dwordx4 v[8:11], v[8:9], off
	v_lshlrev_b32_e32 v12, 8, v28
	v_lshlrev_b32_e32 v6, 5, v6
	v_and_b32_e32 v7, 16, v1
	v_and_b32_e32 v12, 0xe00, v12
	v_or3_b32 v6, v12, v6, v7
	s_waitcnt vmcnt(0)
	ds_write_b128 v6, v[8:11]
.LBB816_11:
	s_or_b64 exec, exec, s[10:11]
	s_waitcnt lgkmcnt(0)
	s_mul_i32 s10, s4, s46
	s_add_u32 s4, s14, s10
	s_addc_u32 s5, s15, 0
	v_and_b32_e32 v32, 48, v0
	v_and_b32_e32 v30, 0xf0, v1
	v_mov_b32_e32 v31, 0
	v_lshl_add_u64 v[6:7], s[4:5], 0, v[30:31]
	v_lshlrev_b32_e32 v30, 4, v32
	v_lshl_add_u64 v[6:7], v[6:7], 0, v[30:31]
	s_waitcnt vmcnt(3)
	v_mad_i64_i32 v[8:9], s[4:5], v5, s45, v[6:7]
	s_waitcnt vmcnt(2)
	v_mad_i64_i32 v[4:5], s[4:5], v4, s45, v[6:7]
	s_barrier
	global_load_dwordx4 v[22:25], v[8:9], off
	global_load_dwordx4 v[18:21], v[4:5], off
	s_waitcnt vmcnt(3)
	v_mad_i64_i32 v[4:5], s[4:5], v3, s45, v[6:7]
	s_waitcnt vmcnt(2)
	v_mad_i64_i32 v[2:3], s[4:5], v2, s45, v[6:7]
	global_load_dwordx4 v[14:17], v[4:5], off
	global_load_dwordx4 v[6:9], v[2:3], off
	v_add_u32_e32 v2, -9, v28
	v_cmp_gt_u32_e32 vcc, 9, v28
	v_and_b32_e32 v27, 63, v0
	v_mov_b32_e32 v43, 0
	v_cndmask_b32_e32 v2, v2, v28, vcc
	v_lshlrev_b32_e32 v2, 5, v2
	v_lshl_add_u32 v2, v42, 9, v2
	ds_read_b128 v[10:13], v2
	ds_read_b128 v[2:5], v2 offset:16
	s_and_saveexec_b64 s[4:5], vcc
	s_cbranch_execz .LBB816_13
; %bb.12:
	s_load_dwordx2 s[12:13], s[0:1], 0x40
	v_add_u32_e32 v34, s48, v28
	v_ashrrev_i32_e32 v35, 31, v34
	s_waitcnt lgkmcnt(0)
	v_lshl_add_u64 v[34:35], v[34:35], 2, s[12:13]
	global_load_dword v43, v[34:35], off
.LBB816_13:
	s_or_b64 exec, exec, s[4:5]
	v_or_b32_e32 v62, s16, v32
	v_ashrrev_i32_e32 v30, 4, v62
	v_mov_b32_e32 v63, s17
	v_cmp_gt_i32_e32 vcc, s29, v62
	s_waitcnt vmcnt(2)
	v_cvt_pk_f32_fp8_e32 v[52:53], v20
	v_cvt_pk_f32_fp8_sdwa v[54:55], v20 src0_sel:WORD_1
	v_cndmask_b32_e32 v20, v63, v30, vcc
	v_cvt_pk_f32_fp8_e32 v[56:57], v21
	v_cvt_pk_f32_fp8_sdwa v[58:59], v21 src0_sel:WORD_1
	v_ashrrev_i32_e32 v21, 31, v20
	v_cvt_pk_f32_fp8_e32 v[40:41], v22
	v_cvt_pk_f32_fp8_sdwa v[44:45], v22 src0_sel:WORD_1
	v_lshl_add_u64 v[20:21], v[20:21], 2, s[8:9]
	v_cvt_pk_f32_fp8_e32 v[46:47], v18
	v_cvt_pk_f32_fp8_sdwa v[48:49], v18 src0_sel:WORD_1
	global_load_dword v64, v[20:21], off
	v_cvt_pk_f32_fp8_e32 v[34:35], v23
	v_cvt_pk_f32_fp8_sdwa v[32:33], v23 src0_sel:WORD_1
	v_cvt_pkrtz_f16_f32 v20, v40, v41
	v_cvt_pkrtz_f16_f32 v21, v44, v45
	v_cvt_pk_f32_fp8_e32 v[36:37], v24
	v_cvt_pk_f32_fp8_sdwa v[38:39], v24 src0_sel:WORD_1
	v_cvt_pk_f32_fp8_e32 v[50:51], v19
	v_cvt_pk_f32_fp8_sdwa v[18:19], v19 src0_sel:WORD_1
	v_cvt_pkrtz_f16_f32 v44, v46, v47
	v_cvt_pkrtz_f16_f32 v45, v48, v49
	v_cvt_pk_f32_fp8_e32 v[22:23], v25
	s_waitcnt vmcnt(2)
	v_cvt_pk_f32_fp8_e32 v[40:41], v14
	v_cvt_pk_f32_fp8_sdwa v[46:47], v14 src0_sel:WORD_1
	v_cvt_pkrtz_f16_f32 v48, v34, v35
	v_cvt_pkrtz_f16_f32 v49, v32, v33
	v_or_b32_e32 v14, 64, v62
	v_or_b32_e32 v32, 0xc0, v62
	v_cvt_pk_f32_fp8_sdwa v[24:25], v25 src0_sel:WORD_1
	s_load_dword s11, s[0:1], 0x1c
	s_load_dwordx4 s[40:43], s[0:1], 0x80
	v_cvt_pkrtz_f16_f32 v36, v36, v37
	v_cvt_pkrtz_f16_f32 v37, v38, v39
	v_or_b32_e32 v65, 0x80, v62
	v_ashrrev_i32_e32 v62, 4, v14
	v_cmp_gt_i32_e32 vcc, s29, v32
	v_ashrrev_i32_e32 v66, 4, v32
	v_cmp_gt_i32_e64 s[4:5], s29, v14
	v_cvt_pkrtz_f16_f32 v38, v50, v51
	v_cvt_pkrtz_f16_f32 v39, v18, v19
	s_waitcnt lgkmcnt(0)
	v_mfma_f32_16x16x16_f16 v[32:35], v[20:21], v[10:11], 0
	s_add_u32 s6, s6, s10
	v_lshlrev_b32_e32 v30, 4, v28
	v_cndmask_b32_e64 v50, v63, v62, s[4:5]
	v_cvt_pkrtz_f16_f32 v62, v22, v23
	v_mfma_f32_16x16x16_f16 v[20:23], v[44:45], v[10:11], 0
	v_lshl_or_b32 v30, v29, 8, v30
	s_addc_u32 s7, s7, 0
	v_ashrrev_i32_e32 v14, 4, v65
	v_lshl_add_u64 v[18:19], s[6:7], 0, v[30:31]
	v_cmp_gt_i32_e64 s[6:7], s29, v65
	v_mfma_f32_16x16x16_f16 v[30:33], v[48:49], v[12:13], v[32:35]
	v_cndmask_b32_e32 v48, v63, v66, vcc
	s_load_dword s4, s[40:41], 0x0
	v_cvt_pk_f32_fp8_e32 v[60:61], v15
	v_cndmask_b32_e64 v34, v63, v14, s[6:7]
	v_cvt_pkrtz_f16_f32 v63, v24, v25
	v_cvt_pkrtz_f16_f32 v24, v52, v53
	;; [unrolled: 1-line block ×3, first 2 shown]
	v_mfma_f32_16x16x16_f16 v[20:23], v[38:39], v[12:13], v[20:23]
	v_cvt_pkrtz_f16_f32 v40, v40, v41
	v_cvt_pkrtz_f16_f32 v41, v46, v47
	v_ashrrev_i32_e32 v51, 31, v50
	v_mfma_f32_16x16x16_f16 v[20:23], v[24:25], v[2:3], v[20:23]
	v_mov_b32_e32 v24, s11
	s_waitcnt lgkmcnt(0)
	v_mul_f32_e32 v54, s4, v24
	v_cvt_pk_f32_fp8_sdwa v[24:25], v15 src0_sel:WORD_1
	v_mfma_f32_16x16x16_f16 v[30:33], v[36:37], v[2:3], v[30:33]
	v_ashrrev_i32_e32 v35, 31, v34
	v_ashrrev_i32_e32 v49, 31, v48
	v_lshl_add_u64 v[36:37], v[50:51], 2, s[8:9]
	v_lshl_add_u64 v[34:35], v[34:35], 2, s[8:9]
	;; [unrolled: 1-line block ×3, first 2 shown]
	global_load_dword v14, v[36:37], off
	global_load_dword v44, v[34:35], off
	global_load_dword v45, v[46:47], off
	v_cvt_pkrtz_f16_f32 v46, v60, v61
	v_cvt_pk_f32_fp8_e32 v[48:49], v16
	v_cvt_pk_f32_fp8_sdwa v[50:51], v16 src0_sel:WORD_1
	v_cvt_pkrtz_f16_f32 v47, v24, v25
	v_mfma_f32_16x16x16_f16 v[36:39], v[62:63], v[4:5], v[30:33]
	v_cvt_pkrtz_f16_f32 v24, v48, v49
	v_cvt_pkrtz_f16_f32 v25, v50, v51
	;; [unrolled: 1-line block ×3, first 2 shown]
	v_mfma_f32_16x16x16_f16 v[30:33], v[40:41], v[10:11], 0
	v_cvt_pk_f32_fp8_e32 v[40:41], v17
	v_cvt_pk_f32_fp8_sdwa v[16:17], v17 src0_sel:WORD_1
	v_cvt_pkrtz_f16_f32 v53, v58, v59
	v_mfma_f32_16x16x16_f16 v[46:49], v[46:47], v[12:13], v[30:33]
	s_mov_b32 s33, 0xff7fffff
	s_waitcnt vmcnt(3)
	v_mad_i64_i32 v[34:35], s[4:5], v64, s45, v[18:19]
	v_cvt_pkrtz_f16_f32 v32, v40, v41
	v_cvt_pkrtz_f16_f32 v33, v16, v17
	v_mfma_f32_16x16x16_f16 v[46:49], v[24:25], v[2:3], v[46:49]
	v_cvt_pk_f32_fp8_e32 v[16:17], v6
	v_cvt_pk_f32_fp8_sdwa v[24:25], v6 src0_sel:WORD_1
	v_pk_mul_f32 v[30:31], v[54:55], v[38:39] op_sel_hi:[0,1]
	v_mfma_f32_16x16x16_f16 v[46:49], v[32:33], v[4:5], v[46:49]
	v_cvt_pk_f32_fp8_e32 v[32:33], v7
	v_cvt_pkrtz_f16_f32 v16, v16, v17
	v_cvt_pkrtz_f16_f32 v17, v24, v25
	v_cvt_pk_f32_fp8_sdwa v[6:7], v7 src0_sel:WORD_1
	v_pk_mul_f32 v[38:39], v[54:55], v[36:37] op_sel_hi:[0,1]
	v_cvt_pkrtz_f16_f32 v24, v32, v33
	v_cvt_pk_f32_fp8_e32 v[32:33], v8
	v_cvt_pk_f32_fp8_sdwa v[36:37], v8 src0_sel:WORD_1
	v_cvt_pkrtz_f16_f32 v25, v6, v7
	v_mfma_f32_16x16x16_f16 v[20:23], v[52:53], v[4:5], v[20:23]
	v_mfma_f32_16x16x16_f16 v[50:53], v[16:17], v[10:11], 0
	v_cvt_pkrtz_f16_f32 v10, v32, v33
	v_cvt_pkrtz_f16_f32 v11, v36, v37
	v_cvt_pk_f32_fp8_e32 v[16:17], v9
	v_cvt_pk_f32_fp8_sdwa v[32:33], v9 src0_sel:WORD_1
	v_mfma_f32_16x16x16_f16 v[6:9], v[24:25], v[12:13], v[50:53]
	s_nop 0
	v_pk_mul_f32 v[36:37], v[54:55], v[22:23] op_sel_hi:[0,1]
	v_cvt_pkrtz_f16_f32 v12, v16, v17
	v_cvt_pkrtz_f16_f32 v13, v32, v33
	v_mfma_f32_16x16x16_f16 v[6:9], v[10:11], v[2:3], v[6:9]
	v_pk_mul_f32 v[40:41], v[54:55], v[20:21] op_sel_hi:[0,1]
	v_pk_mul_f32 v[24:25], v[54:55], v[48:49] op_sel_hi:[0,1]
	;; [unrolled: 1-line block ×3, first 2 shown]
	v_mfma_f32_16x16x16_f16 v[2:5], v[12:13], v[4:5], v[6:9]
	s_nop 6
	v_pk_mul_f32 v[22:23], v[54:55], v[2:3] op_sel_hi:[0,1]
	v_and_b32_e32 v2, 0xc0, v0
	v_add_u32_e32 v2, s16, v2
	v_lshl_or_b32 v2, v42, 2, v2
	v_or_b32_e32 v3, 1, v2
	v_pk_mul_f32 v[20:21], v[54:55], v[4:5] op_sel_hi:[0,1]
	v_subrev_u32_e32 v4, s29, v3
	v_add_u32_e32 v6, 1, v4
	v_add_u32_e32 v7, 2, v4
	;; [unrolled: 1-line block ×3, first 2 shown]
	v_cvt_f32_i32_e32 v6, v6
	v_cvt_f32_i32_e32 v7, v7
	;; [unrolled: 1-line block ×3, first 2 shown]
	v_add_u32_e32 v9, 19, v4
	v_fmac_f32_e32 v39, v43, v6
	v_fma_f32 v30, v43, v7, v30
	v_fmac_f32_e32 v31, v43, v8
	v_add_u32_e32 v6, 16, v4
	v_add_u32_e32 v7, 17, v4
	;; [unrolled: 1-line block ×3, first 2 shown]
	v_cvt_f32_i32_e32 v6, v6
	v_cvt_f32_i32_e32 v7, v7
	;; [unrolled: 1-line block ×4, first 2 shown]
	v_fma_f32 v40, v43, v6, v40
	v_fmac_f32_e32 v41, v43, v7
	v_fma_f32 v36, v43, v8, v36
	v_add_u32_e32 v6, 32, v4
	v_add_u32_e32 v7, 33, v4
	;; [unrolled: 1-line block ×3, first 2 shown]
	v_cvt_f32_i32_e32 v6, v6
	v_cvt_f32_i32_e32 v7, v7
	;; [unrolled: 1-line block ×4, first 2 shown]
	v_fmac_f32_e32 v37, v43, v9
	v_add_u32_e32 v9, 35, v4
	v_fma_f32 v32, v43, v6, v32
	v_fmac_f32_e32 v33, v43, v7
	v_fma_f32 v24, v43, v8, v24
	v_add_u32_e32 v6, 48, v4
	v_add_u32_e32 v7, 49, v4
	;; [unrolled: 1-line block ×4, first 2 shown]
	v_cvt_f32_i32_e32 v4, v4
	v_cvt_f32_i32_e32 v6, v6
	;; [unrolled: 1-line block ×3, first 2 shown]
	v_fma_f32 v5, v43, v5, v38
	v_fmac_f32_e32 v21, v43, v4
	v_mov_b32_e32 v4, 0xff7fffff
	v_cmp_gt_i32_e64 s[4:5], s29, v2
	v_cmp_gt_i32_e64 s[34:35], s29, v3
	v_fma_f32 v22, v43, v6, v22
	v_cndmask_b32_e64 v6, v4, v5, s[4:5]
	v_cndmask_b32_e64 v3, v4, v39, s[34:35]
	v_fmac_f32_e32 v23, v43, v7
	v_max3_f32 v3, v6, s33, v3
	v_or_b32_e32 v6, 2, v2
	v_or_b32_e32 v7, 3, v2
	v_cmp_gt_i32_e64 s[36:37], s29, v6
	v_cmp_gt_i32_e64 s[38:39], s29, v7
	v_cvt_f32_i32_e32 v9, v9
	v_cndmask_b32_e64 v6, v4, v30, s[36:37]
	v_cndmask_b32_e64 v7, v4, v31, s[38:39]
	v_max3_f32 v3, v3, v6, v7
	v_or_b32_e32 v6, 16, v2
	v_or_b32_e32 v7, 17, v2
	v_cmp_gt_i32_e64 s[24:25], s29, v6
	v_cmp_gt_i32_e64 s[26:27], s29, v7
	v_fmac_f32_e32 v25, v43, v9
	v_cndmask_b32_e64 v6, v4, v40, s[24:25]
	v_cndmask_b32_e64 v7, v4, v41, s[26:27]
	v_max3_f32 v3, v3, v6, v7
	v_or_b32_e32 v6, 18, v2
	v_or_b32_e32 v7, 19, v2
	v_cmp_gt_i32_e64 s[20:21], s29, v6
	v_cmp_gt_i32_e64 s[22:23], s29, v7
	v_cvt_f32_i32_e32 v8, v8
	v_cndmask_b32_e64 v6, v4, v36, s[20:21]
	v_cndmask_b32_e64 v7, v4, v37, s[22:23]
	v_max3_f32 v3, v3, v6, v7
	v_or_b32_e32 v6, 32, v2
	v_or_b32_e32 v7, 33, v2
	v_cmp_gt_i32_e64 s[16:17], s29, v6
	v_cmp_gt_i32_e64 s[18:19], s29, v7
	v_fma_f32 v20, v43, v8, v20
	v_cndmask_b32_e64 v6, v4, v32, s[16:17]
	v_cndmask_b32_e64 v7, v4, v33, s[18:19]
	v_max3_f32 v3, v3, v6, v7
	v_or_b32_e32 v6, 34, v2
	v_or_b32_e32 v7, 35, v2
	v_cmp_gt_i32_e64 s[12:13], s29, v6
	v_cmp_gt_i32_e64 s[14:15], s29, v7
	s_nop 0
	v_cndmask_b32_e64 v6, v4, v24, s[12:13]
	v_cndmask_b32_e64 v7, v4, v25, s[14:15]
	v_max3_f32 v3, v3, v6, v7
	v_or_b32_e32 v6, 48, v2
	v_or_b32_e32 v7, 49, v2
	v_cmp_gt_i32_e64 s[8:9], s29, v6
	v_cmp_gt_i32_e64 s[10:11], s29, v7
	s_nop 0
	v_cndmask_b32_e64 v6, v4, v22, s[8:9]
	v_cndmask_b32_e64 v7, v4, v23, s[10:11]
	v_max3_f32 v3, v3, v6, v7
	v_or_b32_e32 v6, 50, v2
	v_or_b32_e32 v2, 51, v2
	v_cmp_gt_i32_e32 vcc, s29, v6
	v_cmp_gt_i32_e64 s[6:7], s29, v2
	s_nop 0
	v_cndmask_b32_e32 v6, v4, v20, vcc
	v_cndmask_b32_e64 v2, v4, v21, s[6:7]
	v_max3_f32 v4, v3, v6, v2
	v_mbcnt_lo_u32_b32 v2, -1, 0
	v_mbcnt_hi_u32_b32 v6, -1, v2
	v_and_b32_e32 v2, 64, v6
	v_add_u32_e32 v7, 64, v2
	v_xor_b32_e32 v2, 32, v6
	v_cmp_lt_i32_e64 s[40:41], v2, v7
	s_nop 1
	v_cndmask_b32_e64 v2, v6, v2, s[40:41]
	v_lshlrev_b32_e32 v43, 2, v2
	ds_bpermute_b32 v8, v43, v4
	s_waitcnt vmcnt(2)
	v_mad_i64_i32 v[2:3], s[40:41], v14, s45, v[18:19]
	global_load_dwordx4 v[14:17], v[34:35], off
	global_load_dwordx4 v[10:13], v[2:3], off
	v_xor_b32_e32 v3, 16, v6
	v_cmp_lt_i32_e64 s[40:41], v3, v7
	s_waitcnt lgkmcnt(0)
	v_max_f32_e32 v2, v8, v8
	v_max_f32_e32 v2, v4, v2
	v_cndmask_b32_e64 v3, v6, v3, s[40:41]
	v_lshlrev_b32_e32 v46, 2, v3
	ds_bpermute_b32 v3, v46, v2
	s_waitcnt vmcnt(3)
	v_mad_i64_i32 v[34:35], s[40:41], v44, s45, v[18:19]
	s_waitcnt vmcnt(2)
	v_mad_i64_i32 v[18:19], s[40:41], v45, s45, v[18:19]
	s_waitcnt lgkmcnt(0)
	v_max_f32_e32 v3, v3, v3
	v_max_f32_e32 v38, v2, v3
	v_sub_f32_e32 v2, v5, v38
	v_mul_f32_e32 v2, 0x3fb8aa3b, v2
	v_exp_f32_e32 v44, v2
	v_sub_f32_e32 v2, v39, v38
	v_mul_f32_e32 v2, 0x3fb8aa3b, v2
	v_exp_f32_e32 v39, v2
	global_load_dwordx4 v[6:9], v[34:35], off
	global_load_dwordx4 v[2:5], v[18:19], off
	v_sub_f32_e32 v30, v30, v38
	v_mul_f32_e32 v30, 0x3fb8aa3b, v30
	v_sub_f32_e32 v31, v31, v38
	v_exp_f32_e32 v30, v30
	v_mul_f32_e32 v31, 0x3fb8aa3b, v31
	v_exp_f32_e32 v31, v31
	v_cndmask_b32_e64 v18, 0, v44, s[4:5]
	v_add_f32_e32 v34, 0, v18
	v_cndmask_b32_e64 v19, 0, v39, s[34:35]
	v_add_f32_e32 v35, v34, v19
	;; [unrolled: 2-line block ×3, first 2 shown]
	v_cndmask_b32_e64 v35, 0, v31, s[38:39]
	v_sub_f32_e32 v31, v40, v38
	v_mul_f32_e32 v31, 0x3fb8aa3b, v31
	v_sub_f32_e32 v39, v41, v38
	v_exp_f32_e32 v31, v31
	v_mul_f32_e32 v39, 0x3fb8aa3b, v39
	v_sub_f32_e32 v36, v36, v38
	v_exp_f32_e32 v39, v39
	;; [unrolled: 3-line block ×4, first 2 shown]
	v_mul_f32_e32 v32, 0x3fb8aa3b, v32
	v_sub_f32_e32 v33, v33, v38
	v_add_f32_e32 v40, v30, v35
	v_cndmask_b32_e64 v30, 0, v31, s[24:25]
	v_exp_f32_e32 v32, v32
	v_mul_f32_e32 v33, 0x3fb8aa3b, v33
	v_sub_f32_e32 v24, v24, v38
	v_add_f32_e32 v40, v40, v30
	v_cndmask_b32_e64 v31, 0, v39, s[26:27]
	v_exp_f32_e32 v33, v33
	;; [unrolled: 5-line block ×7, first 2 shown]
	v_mul_f32_e32 v21, 0x3fb8aa3b, v21
	v_add_f32_e32 v39, v39, v24
	v_cndmask_b32_e64 v25, 0, v25, s[14:15]
	v_exp_f32_e32 v21, v21
	v_add_f32_e32 v39, v39, v25
	v_cndmask_b32_e64 v22, 0, v22, s[8:9]
	v_add_f32_e32 v39, v39, v22
	v_cndmask_b32_e64 v23, 0, v23, s[10:11]
	v_add_f32_e32 v39, v39, v23
	v_cndmask_b32_e32 v20, 0, v20, vcc
	v_add_f32_e32 v39, v39, v20
	v_cndmask_b32_e64 v21, 0, v21, s[6:7]
	v_add_f32_e32 v39, v39, v21
	ds_bpermute_b32 v40, v43, v39
	s_load_dword s9, s[0:1], 0x98
	v_cmp_gt_u32_e64 s[6:7], 16, v27
	s_waitcnt lgkmcnt(0)
	s_barrier
	v_add_f32_e32 v40, v39, v40
	ds_bpermute_b32 v41, v46, v40
	v_lshlrev_b32_e32 v39, 2, v28
	s_waitcnt lgkmcnt(0)
	s_and_saveexec_b64 s[4:5], s[6:7]
	s_cbranch_execz .LBB816_15
; %bb.14:
	v_add_f32_e32 v27, v40, v41
	v_lshl_or_b32 v40, v29, 6, v39
	ds_write2st64_b32 v40, v38, v27 offset1:1
.LBB816_15:
	s_or_b64 exec, exec, s[4:5]
	s_load_dword s8, s[0:1], 0x94
	s_waitcnt lgkmcnt(0)
	s_barrier
	ds_read2_b32 v[40:41], v39 offset1:16
	ds_read2_b32 v[44:45], v39 offset0:32 offset1:48
	ds_read2_b32 v[46:47], v39 offset0:64 offset1:80
	s_mul_i32 s9, s9, 9
	s_waitcnt lgkmcnt(2)
	v_max3_f32 v27, v40, s33, v41
	s_waitcnt lgkmcnt(1)
	v_max3_f32 v27, v27, v44, v45
	v_sub_f32_e32 v38, v40, v27
	v_mul_f32_e32 v38, 0x3fb8aa3b, v38
	v_exp_f32_e32 v43, v38
	v_sub_f32_e32 v38, v41, v27
	v_mul_f32_e32 v38, 0x3fb8aa3b, v38
	v_exp_f32_e32 v48, v38
	v_sub_f32_e32 v38, v44, v27
	v_mul_f32_e32 v38, 0x3fb8aa3b, v38
	v_exp_f32_e32 v44, v38
	ds_read2_b32 v[40:41], v39 offset0:96 offset1:112
	v_sub_f32_e32 v38, v45, v27
	v_mul_f32_e32 v38, 0x3fb8aa3b, v38
	v_exp_f32_e32 v39, v38
	s_waitcnt lgkmcnt(1)
	v_fma_f32 v38, v43, v46, 0
	v_fmac_f32_e32 v38, v48, v47
	s_waitcnt lgkmcnt(0)
	v_fmac_f32_e32 v38, v44, v40
	v_fmac_f32_e32 v38, v39, v41
	v_add_f32_e32 v40, 0x358637bd, v38
	v_div_scale_f32 v41, s[4:5], v40, v40, 1.0
	v_rcp_f32_e32 v45, v41
	s_barrier
	v_fma_f32 v46, -v41, v45, 1.0
	v_fmac_f32_e32 v45, v46, v45
	v_div_scale_f32 v46, vcc, 1.0, v40, 1.0
	v_mul_f32_e32 v47, v46, v45
	v_fma_f32 v49, -v41, v47, v46
	v_fmac_f32_e32 v47, v49, v45
	v_fma_f32 v41, -v41, v47, v46
	v_div_fmas_f32 v41, v41, v45, v47
	v_cmp_eq_u32_e32 vcc, 1, v29
	v_div_fixup_f32 v40, v41, v40, 1.0
	s_nop 0
	v_cndmask_b32_e32 v41, v43, v48, vcc
	v_cmp_eq_u32_e32 vcc, 2, v29
	s_nop 1
	v_cndmask_b32_e32 v41, v41, v44, vcc
	v_cmp_eq_u32_e32 vcc, 3, v29
	v_lshlrev_b32_e32 v29, 11, v29
	s_nop 0
	v_cndmask_b32_e32 v39, v41, v39, vcc
	v_mul_f32_e32 v40, v39, v40
	v_pk_mul_f32 v[18:19], v[40:41], v[18:19] op_sel_hi:[0,1]
	v_pk_mul_f32 v[34:35], v[40:41], v[34:35] op_sel_hi:[0,1]
	v_cvt_f16_f32_e32 v18, v18
	v_cvt_f16_f32_e32 v19, v19
	v_pk_mul_f32 v[36:37], v[40:41], v[36:37] op_sel_hi:[0,1]
	v_pk_mul_f32 v[30:31], v[40:41], v[30:31] op_sel_hi:[0,1]
	v_cvt_f16_f32_e32 v39, v34
	v_cvt_f16_f32_e32 v35, v35
	v_cvt_f16_f32_e32 v30, v30
	v_cvt_f16_f32_e32 v31, v31
	v_cvt_f16_f32_e32 v36, v36
	v_cvt_f16_f32_e32 v37, v37
	v_pack_b32_f16 v34, v18, v19
	v_lshlrev_b32_e32 v18, 3, v42
	v_lshlrev_b32_e32 v19, 5, v28
	v_pack_b32_f16 v35, v39, v35
	v_or3_b32 v18, v29, v19, v18
	v_pack_b32_f16 v30, v30, v31
	v_pack_b32_f16 v31, v36, v37
	ds_write2st64_b64 v18, v[34:35], v[30:31] offset1:1
	v_pk_mul_f32 v[24:25], v[40:41], v[24:25] op_sel_hi:[0,1]
	v_pk_mul_f32 v[30:31], v[40:41], v[32:33] op_sel_hi:[0,1]
	;; [unrolled: 1-line block ×4, first 2 shown]
	v_cvt_f16_f32_e32 v29, v30
	v_cvt_f16_f32_e32 v30, v31
	;; [unrolled: 1-line block ×8, first 2 shown]
	v_pack_b32_f16 v20, v29, v30
	v_pack_b32_f16 v21, v24, v25
	;; [unrolled: 1-line block ×4, first 2 shown]
	v_cmp_gt_u32_e32 vcc, 9, v0
	ds_write2st64_b64 v18, v[20:21], v[22:23] offset0:2 offset1:3
	s_and_saveexec_b64 s[4:5], vcc
	s_cbranch_execz .LBB816_17
; %bb.16:
	s_mov_b32 s49, 0
	v_mov_b32_e32 v29, 0
	v_lshl_add_u64 v[20:21], s[48:49], 0, v[28:29]
	v_mov_b32_e32 v22, s9
	v_mad_u64_u32 v[20:21], s[10:11], s2, v22, v[20:21]
	s_mul_i32 s3, s3, s9
	v_mov_b32_e32 v28, s28
	s_load_dwordx4 s[12:15], s[0:1], 0x58
	v_add_u32_e32 v23, s3, v21
	v_mad_u64_u32 v[20:21], s[10:11], v20, s8, v[28:29]
	v_mov_b32_e32 v22, v21
	v_mad_u64_u32 v[22:23], s[10:11], v23, s8, v[22:23]
	v_mov_b32_e32 v21, v22
	v_lshlrev_b64 v[20:21], 2, v[20:21]
	s_waitcnt lgkmcnt(0)
	v_lshl_add_u64 v[22:23], s[14:15], 0, v[20:21]
	v_lshl_add_u64 v[20:21], s[12:13], 0, v[20:21]
	global_store_dword v[22:23], v27, off
	global_store_dword v[20:21], v38, off
.LBB816_17:
	s_or_b64 exec, exec, s[4:5]
	s_waitcnt vmcnt(3)
	v_cvt_pk_f32_fp8_e32 v[20:21], v14
	v_cvt_pk_f32_fp8_sdwa v[22:23], v14 src0_sel:WORD_1
	v_lshl_or_b32 v14, v42, 9, v19
	s_waitcnt lgkmcnt(0)
	s_barrier
	v_cvt_pk_f32_fp8_e32 v[24:25], v15
	v_cvt_pkrtz_f16_f32 v32, v20, v21
	v_cvt_pkrtz_f16_f32 v33, v22, v23
	v_cvt_pk_f32_fp8_sdwa v[28:29], v15 src0_sel:WORD_1
	ds_read_b128 v[20:23], v14
	v_cvt_pkrtz_f16_f32 v24, v24, v25
	v_cvt_pk_f32_fp8_e32 v[36:37], v16
	v_cvt_pkrtz_f16_f32 v25, v28, v29
	ds_read_b128 v[28:31], v14 offset:16
	v_cvt_pk_f32_fp8_sdwa v[38:39], v16 src0_sel:WORD_1
	s_waitcnt lgkmcnt(1)
	v_mfma_f32_16x16x16_f16 v[32:35], v[32:33], v[20:21], 0
	v_cvt_pkrtz_f16_f32 v36, v36, v37
	s_load_dword s4, s[42:43], 0x0
	v_cvt_pkrtz_f16_f32 v37, v38, v39
	v_cvt_pk_f32_fp8_e32 v[38:39], v17
	v_cvt_pk_f32_fp8_sdwa v[16:17], v17 src0_sel:WORD_1
	v_mfma_f32_16x16x16_f16 v[20:23], v[24:25], v[22:23], v[32:35]
	v_cmp_gt_u32_e32 vcc, 64, v0
	v_cvt_pkrtz_f16_f32 v24, v38, v39
	v_cvt_pkrtz_f16_f32 v25, v16, v17
	s_waitcnt lgkmcnt(0)
	v_mfma_f32_16x16x16_f16 v[20:23], v[36:37], v[28:29], v[20:23]
	s_waitcnt vmcnt(2)
	v_cvt_pk_f32_fp8_e32 v[16:17], v10
	v_cvt_pk_f32_fp8_e32 v[28:29], v11
	v_cvt_pk_f32_fp8_sdwa v[36:37], v12 src0_sel:WORD_1
	v_mfma_f32_16x16x16_f16 v[20:23], v[24:25], v[30:31], v[20:23]
	v_cvt_pk_f32_fp8_sdwa v[24:25], v10 src0_sel:WORD_1
	v_cvt_pkrtz_f16_f32 v10, v16, v17
	v_cvt_pk_f32_fp8_sdwa v[16:17], v11 src0_sel:WORD_1
	ds_read_b128 v[32:35], v14 offset:2064
	v_cvt_pkrtz_f16_f32 v11, v24, v25
	v_cvt_pkrtz_f16_f32 v24, v28, v29
	ds_read_b128 v[28:31], v14 offset:2048
	v_cvt_pkrtz_f16_f32 v25, v16, v17
	v_cvt_pk_f32_fp8_e32 v[16:17], v12
	s_waitcnt lgkmcnt(0)
	v_mfma_f32_16x16x16_f16 v[20:23], v[10:11], v[28:29], v[20:23]
	v_cvt_pkrtz_f16_f32 v10, v16, v17
	v_cvt_pkrtz_f16_f32 v11, v36, v37
	v_cvt_pk_f32_fp8_e32 v[16:17], v13
	v_mfma_f32_16x16x16_f16 v[20:23], v[24:25], v[30:31], v[20:23]
	v_cvt_pk_f32_fp8_sdwa v[24:25], v13 src0_sel:WORD_1
	ds_read_b128 v[28:31], v14 offset:4112
	v_cvt_pkrtz_f16_f32 v16, v16, v17
	v_mfma_f32_16x16x16_f16 v[10:13], v[10:11], v[32:33], v[20:23]
	v_cvt_pkrtz_f16_f32 v17, v24, v25
	s_waitcnt vmcnt(1)
	v_cvt_pk_f32_fp8_sdwa v[24:25], v7 src0_sel:WORD_1
	v_cvt_pk_f32_fp8_sdwa v[32:33], v8 src0_sel:WORD_1
	v_cvt_pk_f32_fp8_e32 v[20:21], v6
	v_mfma_f32_16x16x16_f16 v[10:13], v[16:17], v[34:35], v[10:13]
	v_cvt_pk_f32_fp8_sdwa v[16:17], v6 src0_sel:WORD_1
	v_cvt_pk_f32_fp8_e32 v[22:23], v7
	v_cvt_pkrtz_f16_f32 v6, v20, v21
	s_mov_b32 s3, 0
	v_cvt_pkrtz_f16_f32 v7, v16, v17
	v_cvt_pkrtz_f16_f32 v16, v22, v23
	ds_read_b128 v[20:23], v14 offset:4096
	v_cvt_pkrtz_f16_f32 v17, v24, v25
	v_cvt_pk_f32_fp8_e32 v[24:25], v8
	s_waitcnt lgkmcnt(0)
	v_mfma_f32_16x16x16_f16 v[10:13], v[6:7], v[20:21], v[10:13]
	v_cvt_pkrtz_f16_f32 v6, v24, v25
	v_cvt_pkrtz_f16_f32 v7, v32, v33
	v_cvt_pk_f32_fp8_e32 v[20:21], v9
	v_mfma_f32_16x16x16_f16 v[10:13], v[16:17], v[22:23], v[10:13]
	v_cvt_pk_f32_fp8_sdwa v[16:17], v9 src0_sel:WORD_1
	s_waitcnt vmcnt(0)
	v_cvt_pk_f32_fp8_sdwa v[24:25], v4 src0_sel:WORD_1
	v_cvt_pkrtz_f16_f32 v20, v20, v21
	v_mfma_f32_16x16x16_f16 v[6:9], v[6:7], v[28:29], v[10:13]
	v_cvt_pkrtz_f16_f32 v21, v16, v17
	v_cvt_pk_f32_fp8_e32 v[16:17], v3
	v_mov_b32_e32 v27, 0
	v_cvt_pk_f32_fp8_e32 v[10:11], v2
	v_cvt_pk_f32_fp8_sdwa v[12:13], v2 src0_sel:WORD_1
	v_mfma_f32_16x16x16_f16 v[6:9], v[20:21], v[30:31], v[6:9]
	v_cvt_pk_f32_fp8_sdwa v[20:21], v3 src0_sel:WORD_1
	v_cvt_pkrtz_f16_f32 v2, v10, v11
	v_cvt_pkrtz_f16_f32 v3, v12, v13
	ds_read_b128 v[10:13], v14 offset:6144
	v_cvt_pkrtz_f16_f32 v22, v16, v17
	v_cvt_pkrtz_f16_f32 v23, v20, v21
	v_cvt_pk_f32_fp8_e32 v[20:21], v4
	s_waitcnt lgkmcnt(0)
	v_mfma_f32_16x16x16_f16 v[6:9], v[2:3], v[10:11], v[6:9]
	ds_read_b128 v[14:17], v14 offset:6160
	v_cvt_pkrtz_f16_f32 v2, v20, v21
	v_cvt_pkrtz_f16_f32 v3, v24, v25
	v_cvt_pk_f32_fp8_e32 v[10:11], v5
	v_mfma_f32_16x16x16_f16 v[6:9], v[22:23], v[12:13], v[6:9]
	v_cvt_pk_f32_fp8_sdwa v[12:13], v5 src0_sel:WORD_1
	s_waitcnt lgkmcnt(0)
	v_cvt_pkrtz_f16_f32 v10, v10, v11
	v_mfma_f32_16x16x16_f16 v[2:5], v[2:3], v[14:15], v[6:9]
	v_cvt_pkrtz_f16_f32 v11, v12, v13
	s_barrier
	s_nop 0
	v_mfma_f32_16x16x16_f16 v[2:5], v[10:11], v[16:17], v[2:5]
	s_nop 6
	v_pk_mul_f32 v[4:5], v[4:5], s[4:5] op_sel_hi:[1,0]
	v_pk_mul_f32 v[2:3], v[2:3], s[4:5] op_sel_hi:[1,0]
	v_cvt_f16_f32_e32 v4, v4
	v_cvt_f16_f32_e32 v2, v2
	;; [unrolled: 1-line block ×4, first 2 shown]
	s_and_b64 s[4:5], vcc, s[30:31]
	v_pack_b32_f16 v2, v2, v3
	v_pack_b32_f16 v3, v4, v5
	ds_write_b64 v18, v[2:3]
	s_waitcnt lgkmcnt(0)
	s_barrier
	s_and_saveexec_b64 s[10:11], s[4:5]
	s_cbranch_execz .LBB816_20
; %bb.18:
	s_load_dwordx2 s[4:5], s[0:1], 0x68
	s_lshl_b32 s0, s8, 6
	s_mul_i32 s1, s9, s2
	s_mul_hi_u32 s9, s1, s0
	s_mul_i32 s8, s1, s0
	v_lshlrev_b32_e32 v0, 10, v0
	s_lshl_b64 s[8:9], s[8:9], 1
	v_and_b32_e32 v0, 0x1800, v0
	v_lshlrev_b32_e32 v2, 5, v42
	v_and_b32_e32 v1, 16, v1
	s_waitcnt lgkmcnt(0)
	s_add_u32 s1, s4, s8
	v_or3_b32 v2, v0, v2, v1
	s_addc_u32 s4, s5, s9
	s_lshl_b32 s2, s28, 6
	s_lshl_b64 s[2:3], s[2:3], 1
	ds_read_b128 v[4:7], v2 offset:128
	ds_read_b128 v[8:11], v2
	s_add_u32 s2, s1, s2
	s_addc_u32 s3, s4, s3
	v_add_u32_e32 v3, s48, v42
	v_lshl_add_u64 v[0:1], s[2:3], 0, v[26:27]
	v_mad_u64_u32 v[12:13], s[2:3], v3, s0, 0
	v_lshl_add_u64 v[12:13], v[12:13], 1, v[0:1]
	v_add_u32_e32 v3, 4, v3
	s_waitcnt lgkmcnt(0)
	global_store_dwordx4 v[12:13], v[8:11], off
	s_nop 1
	v_mad_u64_u32 v[8:9], s[2:3], v3, s0, 0
	v_lshl_add_u64 v[8:9], v[8:9], 1, v[0:1]
	global_store_dwordx4 v[8:9], v[4:7], off
	s_and_b64 exec, exec, s[6:7]
	s_cbranch_execz .LBB816_20
; %bb.19:
	ds_read_b128 v[2:5], v2 offset:256
	v_add3_u32 v6, s48, v42, 8
	v_mad_u64_u32 v[6:7], s[0:1], v6, s0, 0
	v_lshl_add_u64 v[0:1], v[6:7], 1, v[0:1]
	s_waitcnt lgkmcnt(0)
	global_store_dwordx4 v[0:1], v[2:5], off
.LBB816_20:
	s_endpgm
	.section	.rodata,"a",@progbits
	.p2align	6, 0x0
	.amdhsa_kernel _Z39paged_attention_ll4mi_QKV_mfma16_kernelIDF16_hLN4vllm18Fp8KVCacheDataTypeE1EDF16_Li16ELi64ELi256ELb1ELi9EEvPKT_PKT0_S7_ifPKiS9_S9_iPKfiiiPfSC_PS2_PT2_iSB_SB_
		.amdhsa_group_segment_fixed_size 8192
		.amdhsa_private_segment_fixed_size 0
		.amdhsa_kernarg_size 400
		.amdhsa_user_sgpr_count 2
		.amdhsa_user_sgpr_dispatch_ptr 0
		.amdhsa_user_sgpr_queue_ptr 0
		.amdhsa_user_sgpr_kernarg_segment_ptr 1
		.amdhsa_user_sgpr_dispatch_id 0
		.amdhsa_user_sgpr_kernarg_preload_length 0
		.amdhsa_user_sgpr_kernarg_preload_offset 0
		.amdhsa_user_sgpr_private_segment_size 0
		.amdhsa_uses_dynamic_stack 0
		.amdhsa_enable_private_segment 0
		.amdhsa_system_sgpr_workgroup_id_x 1
		.amdhsa_system_sgpr_workgroup_id_y 1
		.amdhsa_system_sgpr_workgroup_id_z 1
		.amdhsa_system_sgpr_workgroup_info 0
		.amdhsa_system_vgpr_workitem_id 0
		.amdhsa_next_free_vgpr 67
		.amdhsa_next_free_sgpr 50
		.amdhsa_accum_offset 68
		.amdhsa_reserve_vcc 1
		.amdhsa_float_round_mode_32 0
		.amdhsa_float_round_mode_16_64 0
		.amdhsa_float_denorm_mode_32 3
		.amdhsa_float_denorm_mode_16_64 3
		.amdhsa_dx10_clamp 1
		.amdhsa_ieee_mode 1
		.amdhsa_fp16_overflow 0
		.amdhsa_tg_split 0
		.amdhsa_exception_fp_ieee_invalid_op 0
		.amdhsa_exception_fp_denorm_src 0
		.amdhsa_exception_fp_ieee_div_zero 0
		.amdhsa_exception_fp_ieee_overflow 0
		.amdhsa_exception_fp_ieee_underflow 0
		.amdhsa_exception_fp_ieee_inexact 0
		.amdhsa_exception_int_div_zero 0
	.end_amdhsa_kernel
	.section	.text._Z39paged_attention_ll4mi_QKV_mfma16_kernelIDF16_hLN4vllm18Fp8KVCacheDataTypeE1EDF16_Li16ELi64ELi256ELb1ELi9EEvPKT_PKT0_S7_ifPKiS9_S9_iPKfiiiPfSC_PS2_PT2_iSB_SB_,"axG",@progbits,_Z39paged_attention_ll4mi_QKV_mfma16_kernelIDF16_hLN4vllm18Fp8KVCacheDataTypeE1EDF16_Li16ELi64ELi256ELb1ELi9EEvPKT_PKT0_S7_ifPKiS9_S9_iPKfiiiPfSC_PS2_PT2_iSB_SB_,comdat
.Lfunc_end816:
	.size	_Z39paged_attention_ll4mi_QKV_mfma16_kernelIDF16_hLN4vllm18Fp8KVCacheDataTypeE1EDF16_Li16ELi64ELi256ELb1ELi9EEvPKT_PKT0_S7_ifPKiS9_S9_iPKfiiiPfSC_PS2_PT2_iSB_SB_, .Lfunc_end816-_Z39paged_attention_ll4mi_QKV_mfma16_kernelIDF16_hLN4vllm18Fp8KVCacheDataTypeE1EDF16_Li16ELi64ELi256ELb1ELi9EEvPKT_PKT0_S7_ifPKiS9_S9_iPKfiiiPfSC_PS2_PT2_iSB_SB_
                                        ; -- End function
	.section	.AMDGPU.csdata,"",@progbits
; Kernel info:
; codeLenInByte = 4868
; NumSgprs: 56
; NumVgprs: 67
; NumAgprs: 0
; TotalNumVgprs: 67
; ScratchSize: 0
; MemoryBound: 0
; FloatMode: 240
; IeeeMode: 1
; LDSByteSize: 8192 bytes/workgroup (compile time only)
; SGPRBlocks: 6
; VGPRBlocks: 8
; NumSGPRsForWavesPerEU: 56
; NumVGPRsForWavesPerEU: 67
; AccumOffset: 68
; Occupancy: 7
; WaveLimiterHint : 1
; COMPUTE_PGM_RSRC2:SCRATCH_EN: 0
; COMPUTE_PGM_RSRC2:USER_SGPR: 2
; COMPUTE_PGM_RSRC2:TRAP_HANDLER: 0
; COMPUTE_PGM_RSRC2:TGID_X_EN: 1
; COMPUTE_PGM_RSRC2:TGID_Y_EN: 1
; COMPUTE_PGM_RSRC2:TGID_Z_EN: 1
; COMPUTE_PGM_RSRC2:TIDIG_COMP_CNT: 0
; COMPUTE_PGM_RSRC3_GFX90A:ACCUM_OFFSET: 16
; COMPUTE_PGM_RSRC3_GFX90A:TG_SPLIT: 0
	.section	.text._Z39paged_attention_ll4mi_QKV_mfma16_kernelIDF16_hLN4vllm18Fp8KVCacheDataTypeE1EDF16_Li16ELi64ELi256ELb1ELi10EEvPKT_PKT0_S7_ifPKiS9_S9_iPKfiiiPfSC_PS2_PT2_iSB_SB_,"axG",@progbits,_Z39paged_attention_ll4mi_QKV_mfma16_kernelIDF16_hLN4vllm18Fp8KVCacheDataTypeE1EDF16_Li16ELi64ELi256ELb1ELi10EEvPKT_PKT0_S7_ifPKiS9_S9_iPKfiiiPfSC_PS2_PT2_iSB_SB_,comdat
	.protected	_Z39paged_attention_ll4mi_QKV_mfma16_kernelIDF16_hLN4vllm18Fp8KVCacheDataTypeE1EDF16_Li16ELi64ELi256ELb1ELi10EEvPKT_PKT0_S7_ifPKiS9_S9_iPKfiiiPfSC_PS2_PT2_iSB_SB_ ; -- Begin function _Z39paged_attention_ll4mi_QKV_mfma16_kernelIDF16_hLN4vllm18Fp8KVCacheDataTypeE1EDF16_Li16ELi64ELi256ELb1ELi10EEvPKT_PKT0_S7_ifPKiS9_S9_iPKfiiiPfSC_PS2_PT2_iSB_SB_
	.globl	_Z39paged_attention_ll4mi_QKV_mfma16_kernelIDF16_hLN4vllm18Fp8KVCacheDataTypeE1EDF16_Li16ELi64ELi256ELb1ELi10EEvPKT_PKT0_S7_ifPKiS9_S9_iPKfiiiPfSC_PS2_PT2_iSB_SB_
	.p2align	8
	.type	_Z39paged_attention_ll4mi_QKV_mfma16_kernelIDF16_hLN4vllm18Fp8KVCacheDataTypeE1EDF16_Li16ELi64ELi256ELb1ELi10EEvPKT_PKT0_S7_ifPKiS9_S9_iPKfiiiPfSC_PS2_PT2_iSB_SB_,@function
_Z39paged_attention_ll4mi_QKV_mfma16_kernelIDF16_hLN4vllm18Fp8KVCacheDataTypeE1EDF16_Li16ELi64ELi256ELb1ELi10EEvPKT_PKT0_S7_ifPKiS9_S9_iPKfiiiPfSC_PS2_PT2_iSB_SB_: ; @_Z39paged_attention_ll4mi_QKV_mfma16_kernelIDF16_hLN4vllm18Fp8KVCacheDataTypeE1EDF16_Li16ELi64ELi256ELb1ELi10EEvPKT_PKT0_S7_ifPKiS9_S9_iPKfiiiPfSC_PS2_PT2_iSB_SB_
; %bb.0:
	s_load_dwordx2 s[6:7], s[0:1], 0x30
	s_mov_b32 s28, s3
	s_mov_b64 s[8:9], 0
	s_waitcnt lgkmcnt(0)
	s_cmp_lg_u64 s[6:7], 0
	s_cselect_b64 s[10:11], -1, 0
	s_and_b64 vcc, exec, s[10:11]
	s_cbranch_vccz .LBB817_7
; %bb.1:
	s_add_i32 s12, s2, 1
	s_mov_b32 s13, 0
	s_lshl_b64 s[14:15], s[12:13], 2
	s_add_u32 s14, s6, s14
	s_mov_b32 s3, s13
	s_addc_u32 s15, s7, s15
	s_lshl_b64 s[12:13], s[2:3], 2
	s_add_u32 s12, s6, s12
	s_addc_u32 s13, s7, s13
	s_load_dword s5, s[14:15], 0x0
	s_load_dword s16, s[12:13], 0x0
	s_waitcnt lgkmcnt(0)
	s_sub_i32 s5, s5, s16
	s_cmp_eq_u32 s5, 1
	s_cselect_b64 s[12:13], -1, 0
	s_andn2_b64 vcc, exec, s[8:9]
	s_cbranch_vccnz .LBB817_3
.LBB817_2:
	s_mov_b32 s3, 0
	s_mov_b64 s[12:13], -1
.LBB817_3:
	s_andn2_b64 vcc, exec, s[12:13]
	s_cbranch_vccnz .LBB817_20
; %bb.4:
	s_load_dwordx2 s[8:9], s[0:1], 0x28
	s_lshl_b64 s[12:13], s[2:3], 2
	s_waitcnt lgkmcnt(0)
	s_add_u32 s8, s8, s12
	s_addc_u32 s9, s9, s13
	s_load_dword s29, s[8:9], 0x0
	s_lshl_b32 s16, s28, 8
	s_waitcnt lgkmcnt(0)
	s_cmp_ge_i32 s16, s29
	s_cbranch_scc1 .LBB817_20
; %bb.5:
	s_load_dwordx2 s[8:9], s[0:1], 0x20
	s_load_dword s5, s[0:1], 0x38
	s_add_i32 s14, s29, 15
	s_ashr_i32 s15, s14, 31
	v_and_b32_e32 v1, 0xcf, v0
	s_lshr_b32 s15, s15, 28
	v_add_u32_e32 v1, s16, v1
	s_add_i32 s14, s14, s15
	v_ashrrev_i32_e32 v2, 31, v1
	s_ashr_i32 s17, s14, 4
	v_lshrrev_b32_e32 v4, 28, v2
	s_add_i32 s17, s17, -1
	s_waitcnt lgkmcnt(0)
	s_mul_i32 s14, s2, s5
	s_mov_b32 s15, 0
	v_add_u32_e32 v2, v1, v4
	s_lshl_b64 s[14:15], s[14:15], 2
	v_ashrrev_i32_e32 v2, 4, v2
	v_mov_b32_e32 v5, s17
	v_cmp_gt_i32_e32 vcc, s29, v1
	s_add_u32 s8, s8, s14
	s_addc_u32 s9, s9, s15
	v_cndmask_b32_e32 v2, v5, v2, vcc
	v_ashrrev_i32_e32 v3, 31, v2
	v_lshl_add_u64 v[6:7], v[2:3], 2, s[8:9]
	v_or_b32_e32 v2, 16, v1
	v_add_u32_e32 v3, v2, v4
	v_ashrrev_i32_e32 v3, 4, v3
	v_cmp_gt_i32_e32 vcc, s29, v2
	s_load_dwordx2 s[14:15], s[0:1], 0x8
	s_nop 0
	v_cndmask_b32_e32 v2, v5, v3, vcc
	v_ashrrev_i32_e32 v3, 31, v2
	v_lshl_add_u64 v[8:9], v[2:3], 2, s[8:9]
	v_or_b32_e32 v2, 32, v1
	v_add_u32_e32 v3, v2, v4
	v_ashrrev_i32_e32 v3, 4, v3
	v_cmp_gt_i32_e32 vcc, s29, v2
	v_or_b32_e32 v1, 48, v1
	s_nop 0
	v_cndmask_b32_e32 v2, v5, v3, vcc
	v_ashrrev_i32_e32 v3, 31, v2
	v_lshl_add_u64 v[10:11], v[2:3], 2, s[8:9]
	v_add_u32_e32 v2, v1, v4
	v_ashrrev_i32_e32 v2, 4, v2
	v_cmp_gt_i32_e32 vcc, s29, v1
	s_nop 1
	v_cndmask_b32_e32 v2, v5, v2, vcc
	v_ashrrev_i32_e32 v3, 31, v2
	v_lshl_add_u64 v[12:13], v[2:3], 2, s[8:9]
	global_load_dword v5, v[6:7], off
	global_load_dword v4, v[8:9], off
	;; [unrolled: 1-line block ×4, first 2 shown]
	s_andn2_b64 vcc, exec, s[10:11]
	s_cbranch_vccnz .LBB817_8
; %bb.6:
	s_add_u32 s6, s6, s12
	s_addc_u32 s7, s7, s13
	s_load_dword s5, s[6:7], 0x0
	s_branch .LBB817_9
.LBB817_7:
	s_mov_b64 s[12:13], 0
	s_branch .LBB817_2
.LBB817_8:
	s_mov_b32 s5, s2
.LBB817_9:
	s_load_dwordx2 s[6:7], s[0:1], 0x10
	s_load_dwordx4 s[44:47], s[0:1], 0x48
	v_lshrrev_b32_e32 v29, 6, v0
	v_bfe_u32 v42, v0, 4, 2
	v_lshl_or_b32 v6, v29, 2, v42
	v_and_b32_e32 v28, 15, v0
	v_lshlrev_b32_e32 v1, 3, v28
	v_cmp_gt_u32_e32 vcc, 10, v6
	v_cmp_gt_u32_e64 s[30:31], 8, v28
	s_mul_i32 s48, s4, 10
	s_and_b64 s[12:13], s[30:31], vcc
	v_lshlrev_b32_e32 v26, 1, v1
	v_lshlrev_b32_e32 v1, 4, v0
	s_and_saveexec_b64 s[10:11], s[12:13]
	s_cbranch_execz .LBB817_11
; %bb.10:
	s_load_dwordx2 s[12:13], s[0:1], 0x0
	s_waitcnt lgkmcnt(0)
	s_ashr_i32 s18, s44, 31
	s_mul_hi_u32 s19, s5, s44
	s_mul_i32 s18, s5, s18
	s_add_i32 s19, s19, s18
	s_mul_i32 s18, s5, s44
	s_lshl_b64 s[18:19], s[18:19], 1
	s_add_u32 s12, s12, s18
	v_add_lshl_u32 v8, v6, s48, 6
	s_addc_u32 s13, s13, s19
	v_ashrrev_i32_e32 v9, 31, v8
	v_lshl_add_u64 v[8:9], v[8:9], 1, s[12:13]
	v_mov_b32_e32 v27, 0
	v_lshl_add_u64 v[8:9], v[8:9], 0, v[26:27]
	global_load_dwordx4 v[8:11], v[8:9], off
	v_lshlrev_b32_e32 v12, 8, v28
	v_lshlrev_b32_e32 v6, 5, v6
	v_and_b32_e32 v7, 16, v1
	v_and_b32_e32 v12, 0xe00, v12
	v_or3_b32 v6, v12, v6, v7
	s_waitcnt vmcnt(0)
	ds_write_b128 v6, v[8:11]
.LBB817_11:
	s_or_b64 exec, exec, s[10:11]
	s_waitcnt lgkmcnt(0)
	s_mul_i32 s10, s4, s46
	s_add_u32 s4, s14, s10
	s_addc_u32 s5, s15, 0
	v_and_b32_e32 v32, 48, v0
	v_and_b32_e32 v30, 0xf0, v1
	v_mov_b32_e32 v31, 0
	v_lshl_add_u64 v[6:7], s[4:5], 0, v[30:31]
	v_lshlrev_b32_e32 v30, 4, v32
	v_lshl_add_u64 v[6:7], v[6:7], 0, v[30:31]
	s_waitcnt vmcnt(3)
	v_mad_i64_i32 v[8:9], s[4:5], v5, s45, v[6:7]
	s_waitcnt vmcnt(2)
	v_mad_i64_i32 v[4:5], s[4:5], v4, s45, v[6:7]
	s_barrier
	global_load_dwordx4 v[22:25], v[8:9], off
	global_load_dwordx4 v[18:21], v[4:5], off
	s_waitcnt vmcnt(3)
	v_mad_i64_i32 v[4:5], s[4:5], v3, s45, v[6:7]
	s_waitcnt vmcnt(2)
	v_mad_i64_i32 v[2:3], s[4:5], v2, s45, v[6:7]
	global_load_dwordx4 v[14:17], v[4:5], off
	global_load_dwordx4 v[6:9], v[2:3], off
	v_add_u32_e32 v2, -10, v28
	v_cmp_gt_u32_e32 vcc, 10, v28
	v_and_b32_e32 v27, 63, v0
	v_mov_b32_e32 v43, 0
	v_cndmask_b32_e32 v2, v2, v28, vcc
	v_lshlrev_b32_e32 v2, 5, v2
	v_lshl_add_u32 v2, v42, 9, v2
	ds_read_b128 v[10:13], v2
	ds_read_b128 v[2:5], v2 offset:16
	s_and_saveexec_b64 s[4:5], vcc
	s_cbranch_execz .LBB817_13
; %bb.12:
	s_load_dwordx2 s[12:13], s[0:1], 0x40
	v_add_u32_e32 v34, s48, v28
	v_ashrrev_i32_e32 v35, 31, v34
	s_waitcnt lgkmcnt(0)
	v_lshl_add_u64 v[34:35], v[34:35], 2, s[12:13]
	global_load_dword v43, v[34:35], off
.LBB817_13:
	s_or_b64 exec, exec, s[4:5]
	v_or_b32_e32 v62, s16, v32
	v_ashrrev_i32_e32 v30, 4, v62
	v_mov_b32_e32 v63, s17
	v_cmp_gt_i32_e32 vcc, s29, v62
	s_waitcnt vmcnt(2)
	v_cvt_pk_f32_fp8_e32 v[52:53], v20
	v_cvt_pk_f32_fp8_sdwa v[54:55], v20 src0_sel:WORD_1
	v_cndmask_b32_e32 v20, v63, v30, vcc
	v_cvt_pk_f32_fp8_e32 v[56:57], v21
	v_cvt_pk_f32_fp8_sdwa v[58:59], v21 src0_sel:WORD_1
	v_ashrrev_i32_e32 v21, 31, v20
	v_cvt_pk_f32_fp8_e32 v[40:41], v22
	v_cvt_pk_f32_fp8_sdwa v[44:45], v22 src0_sel:WORD_1
	v_lshl_add_u64 v[20:21], v[20:21], 2, s[8:9]
	v_cvt_pk_f32_fp8_e32 v[46:47], v18
	v_cvt_pk_f32_fp8_sdwa v[48:49], v18 src0_sel:WORD_1
	global_load_dword v64, v[20:21], off
	v_cvt_pk_f32_fp8_e32 v[34:35], v23
	v_cvt_pk_f32_fp8_sdwa v[32:33], v23 src0_sel:WORD_1
	v_cvt_pkrtz_f16_f32 v20, v40, v41
	v_cvt_pkrtz_f16_f32 v21, v44, v45
	v_cvt_pk_f32_fp8_e32 v[36:37], v24
	v_cvt_pk_f32_fp8_sdwa v[38:39], v24 src0_sel:WORD_1
	v_cvt_pk_f32_fp8_e32 v[50:51], v19
	v_cvt_pk_f32_fp8_sdwa v[18:19], v19 src0_sel:WORD_1
	v_cvt_pkrtz_f16_f32 v44, v46, v47
	v_cvt_pkrtz_f16_f32 v45, v48, v49
	v_cvt_pk_f32_fp8_e32 v[22:23], v25
	s_waitcnt vmcnt(2)
	v_cvt_pk_f32_fp8_e32 v[40:41], v14
	v_cvt_pk_f32_fp8_sdwa v[46:47], v14 src0_sel:WORD_1
	v_cvt_pkrtz_f16_f32 v48, v34, v35
	v_cvt_pkrtz_f16_f32 v49, v32, v33
	v_or_b32_e32 v14, 64, v62
	v_or_b32_e32 v32, 0xc0, v62
	v_cvt_pk_f32_fp8_sdwa v[24:25], v25 src0_sel:WORD_1
	s_load_dword s11, s[0:1], 0x1c
	s_load_dwordx4 s[40:43], s[0:1], 0x80
	v_cvt_pkrtz_f16_f32 v36, v36, v37
	v_cvt_pkrtz_f16_f32 v37, v38, v39
	v_or_b32_e32 v65, 0x80, v62
	v_ashrrev_i32_e32 v62, 4, v14
	v_cmp_gt_i32_e32 vcc, s29, v32
	v_ashrrev_i32_e32 v66, 4, v32
	v_cmp_gt_i32_e64 s[4:5], s29, v14
	v_cvt_pkrtz_f16_f32 v38, v50, v51
	v_cvt_pkrtz_f16_f32 v39, v18, v19
	s_waitcnt lgkmcnt(0)
	v_mfma_f32_16x16x16_f16 v[32:35], v[20:21], v[10:11], 0
	s_add_u32 s6, s6, s10
	v_lshlrev_b32_e32 v30, 4, v28
	v_cndmask_b32_e64 v50, v63, v62, s[4:5]
	v_cvt_pkrtz_f16_f32 v62, v22, v23
	v_mfma_f32_16x16x16_f16 v[20:23], v[44:45], v[10:11], 0
	v_lshl_or_b32 v30, v29, 8, v30
	s_addc_u32 s7, s7, 0
	v_ashrrev_i32_e32 v14, 4, v65
	v_lshl_add_u64 v[18:19], s[6:7], 0, v[30:31]
	v_cmp_gt_i32_e64 s[6:7], s29, v65
	v_mfma_f32_16x16x16_f16 v[30:33], v[48:49], v[12:13], v[32:35]
	v_cndmask_b32_e32 v48, v63, v66, vcc
	s_load_dword s4, s[40:41], 0x0
	v_cvt_pk_f32_fp8_e32 v[60:61], v15
	v_cndmask_b32_e64 v34, v63, v14, s[6:7]
	v_cvt_pkrtz_f16_f32 v63, v24, v25
	v_cvt_pkrtz_f16_f32 v24, v52, v53
	;; [unrolled: 1-line block ×3, first 2 shown]
	v_mfma_f32_16x16x16_f16 v[20:23], v[38:39], v[12:13], v[20:23]
	v_cvt_pkrtz_f16_f32 v40, v40, v41
	v_cvt_pkrtz_f16_f32 v41, v46, v47
	v_ashrrev_i32_e32 v51, 31, v50
	v_mfma_f32_16x16x16_f16 v[20:23], v[24:25], v[2:3], v[20:23]
	v_mov_b32_e32 v24, s11
	s_waitcnt lgkmcnt(0)
	v_mul_f32_e32 v54, s4, v24
	v_cvt_pk_f32_fp8_sdwa v[24:25], v15 src0_sel:WORD_1
	v_mfma_f32_16x16x16_f16 v[30:33], v[36:37], v[2:3], v[30:33]
	v_ashrrev_i32_e32 v35, 31, v34
	v_ashrrev_i32_e32 v49, 31, v48
	v_lshl_add_u64 v[36:37], v[50:51], 2, s[8:9]
	v_lshl_add_u64 v[34:35], v[34:35], 2, s[8:9]
	;; [unrolled: 1-line block ×3, first 2 shown]
	global_load_dword v14, v[36:37], off
	global_load_dword v44, v[34:35], off
	;; [unrolled: 1-line block ×3, first 2 shown]
	v_cvt_pkrtz_f16_f32 v46, v60, v61
	v_cvt_pk_f32_fp8_e32 v[48:49], v16
	v_cvt_pk_f32_fp8_sdwa v[50:51], v16 src0_sel:WORD_1
	v_cvt_pkrtz_f16_f32 v47, v24, v25
	v_mfma_f32_16x16x16_f16 v[36:39], v[62:63], v[4:5], v[30:33]
	v_cvt_pkrtz_f16_f32 v24, v48, v49
	v_cvt_pkrtz_f16_f32 v25, v50, v51
	;; [unrolled: 1-line block ×3, first 2 shown]
	v_mfma_f32_16x16x16_f16 v[30:33], v[40:41], v[10:11], 0
	v_cvt_pk_f32_fp8_e32 v[40:41], v17
	v_cvt_pk_f32_fp8_sdwa v[16:17], v17 src0_sel:WORD_1
	v_cvt_pkrtz_f16_f32 v53, v58, v59
	v_mfma_f32_16x16x16_f16 v[46:49], v[46:47], v[12:13], v[30:33]
	s_mov_b32 s33, 0xff7fffff
	s_waitcnt vmcnt(3)
	v_mad_i64_i32 v[34:35], s[4:5], v64, s45, v[18:19]
	v_cvt_pkrtz_f16_f32 v32, v40, v41
	v_cvt_pkrtz_f16_f32 v33, v16, v17
	v_mfma_f32_16x16x16_f16 v[46:49], v[24:25], v[2:3], v[46:49]
	v_cvt_pk_f32_fp8_e32 v[16:17], v6
	v_cvt_pk_f32_fp8_sdwa v[24:25], v6 src0_sel:WORD_1
	v_pk_mul_f32 v[30:31], v[54:55], v[38:39] op_sel_hi:[0,1]
	v_mfma_f32_16x16x16_f16 v[46:49], v[32:33], v[4:5], v[46:49]
	v_cvt_pk_f32_fp8_e32 v[32:33], v7
	v_cvt_pkrtz_f16_f32 v16, v16, v17
	v_cvt_pkrtz_f16_f32 v17, v24, v25
	v_cvt_pk_f32_fp8_sdwa v[6:7], v7 src0_sel:WORD_1
	v_pk_mul_f32 v[38:39], v[54:55], v[36:37] op_sel_hi:[0,1]
	v_cvt_pkrtz_f16_f32 v24, v32, v33
	v_cvt_pk_f32_fp8_e32 v[32:33], v8
	v_cvt_pk_f32_fp8_sdwa v[36:37], v8 src0_sel:WORD_1
	v_cvt_pkrtz_f16_f32 v25, v6, v7
	v_mfma_f32_16x16x16_f16 v[20:23], v[52:53], v[4:5], v[20:23]
	v_mfma_f32_16x16x16_f16 v[50:53], v[16:17], v[10:11], 0
	v_cvt_pkrtz_f16_f32 v10, v32, v33
	v_cvt_pkrtz_f16_f32 v11, v36, v37
	v_cvt_pk_f32_fp8_e32 v[16:17], v9
	v_cvt_pk_f32_fp8_sdwa v[32:33], v9 src0_sel:WORD_1
	v_mfma_f32_16x16x16_f16 v[6:9], v[24:25], v[12:13], v[50:53]
	s_nop 0
	v_pk_mul_f32 v[36:37], v[54:55], v[22:23] op_sel_hi:[0,1]
	v_cvt_pkrtz_f16_f32 v12, v16, v17
	v_cvt_pkrtz_f16_f32 v13, v32, v33
	v_mfma_f32_16x16x16_f16 v[6:9], v[10:11], v[2:3], v[6:9]
	v_pk_mul_f32 v[40:41], v[54:55], v[20:21] op_sel_hi:[0,1]
	v_pk_mul_f32 v[24:25], v[54:55], v[48:49] op_sel_hi:[0,1]
	;; [unrolled: 1-line block ×3, first 2 shown]
	v_mfma_f32_16x16x16_f16 v[2:5], v[12:13], v[4:5], v[6:9]
	s_nop 6
	v_pk_mul_f32 v[22:23], v[54:55], v[2:3] op_sel_hi:[0,1]
	v_and_b32_e32 v2, 0xc0, v0
	v_add_u32_e32 v2, s16, v2
	v_lshl_or_b32 v2, v42, 2, v2
	v_or_b32_e32 v3, 1, v2
	v_pk_mul_f32 v[20:21], v[54:55], v[4:5] op_sel_hi:[0,1]
	v_subrev_u32_e32 v4, s29, v3
	v_add_u32_e32 v6, 1, v4
	v_add_u32_e32 v7, 2, v4
	;; [unrolled: 1-line block ×3, first 2 shown]
	v_cvt_f32_i32_e32 v6, v6
	v_cvt_f32_i32_e32 v7, v7
	;; [unrolled: 1-line block ×3, first 2 shown]
	v_add_u32_e32 v9, 19, v4
	v_fmac_f32_e32 v39, v43, v6
	v_fma_f32 v30, v43, v7, v30
	v_fmac_f32_e32 v31, v43, v8
	v_add_u32_e32 v6, 16, v4
	v_add_u32_e32 v7, 17, v4
	;; [unrolled: 1-line block ×3, first 2 shown]
	v_cvt_f32_i32_e32 v6, v6
	v_cvt_f32_i32_e32 v7, v7
	;; [unrolled: 1-line block ×4, first 2 shown]
	v_fma_f32 v40, v43, v6, v40
	v_fmac_f32_e32 v41, v43, v7
	v_fma_f32 v36, v43, v8, v36
	v_add_u32_e32 v6, 32, v4
	v_add_u32_e32 v7, 33, v4
	;; [unrolled: 1-line block ×3, first 2 shown]
	v_cvt_f32_i32_e32 v6, v6
	v_cvt_f32_i32_e32 v7, v7
	v_cvt_f32_i32_e32 v8, v8
	v_cvt_f32_i32_e32 v5, v4
	v_fmac_f32_e32 v37, v43, v9
	v_add_u32_e32 v9, 35, v4
	v_fma_f32 v32, v43, v6, v32
	v_fmac_f32_e32 v33, v43, v7
	v_fma_f32 v24, v43, v8, v24
	v_add_u32_e32 v6, 48, v4
	v_add_u32_e32 v7, 49, v4
	;; [unrolled: 1-line block ×4, first 2 shown]
	v_cvt_f32_i32_e32 v4, v4
	v_cvt_f32_i32_e32 v6, v6
	;; [unrolled: 1-line block ×3, first 2 shown]
	v_fma_f32 v5, v43, v5, v38
	v_fmac_f32_e32 v21, v43, v4
	v_mov_b32_e32 v4, 0xff7fffff
	v_cmp_gt_i32_e64 s[4:5], s29, v2
	v_cmp_gt_i32_e64 s[34:35], s29, v3
	v_fma_f32 v22, v43, v6, v22
	v_cndmask_b32_e64 v6, v4, v5, s[4:5]
	v_cndmask_b32_e64 v3, v4, v39, s[34:35]
	v_fmac_f32_e32 v23, v43, v7
	v_max3_f32 v3, v6, s33, v3
	v_or_b32_e32 v6, 2, v2
	v_or_b32_e32 v7, 3, v2
	v_cmp_gt_i32_e64 s[36:37], s29, v6
	v_cmp_gt_i32_e64 s[38:39], s29, v7
	v_cvt_f32_i32_e32 v9, v9
	v_cndmask_b32_e64 v6, v4, v30, s[36:37]
	v_cndmask_b32_e64 v7, v4, v31, s[38:39]
	v_max3_f32 v3, v3, v6, v7
	v_or_b32_e32 v6, 16, v2
	v_or_b32_e32 v7, 17, v2
	v_cmp_gt_i32_e64 s[24:25], s29, v6
	v_cmp_gt_i32_e64 s[26:27], s29, v7
	v_fmac_f32_e32 v25, v43, v9
	v_cndmask_b32_e64 v6, v4, v40, s[24:25]
	v_cndmask_b32_e64 v7, v4, v41, s[26:27]
	v_max3_f32 v3, v3, v6, v7
	v_or_b32_e32 v6, 18, v2
	v_or_b32_e32 v7, 19, v2
	v_cmp_gt_i32_e64 s[20:21], s29, v6
	v_cmp_gt_i32_e64 s[22:23], s29, v7
	v_cvt_f32_i32_e32 v8, v8
	v_cndmask_b32_e64 v6, v4, v36, s[20:21]
	v_cndmask_b32_e64 v7, v4, v37, s[22:23]
	v_max3_f32 v3, v3, v6, v7
	v_or_b32_e32 v6, 32, v2
	v_or_b32_e32 v7, 33, v2
	v_cmp_gt_i32_e64 s[16:17], s29, v6
	v_cmp_gt_i32_e64 s[18:19], s29, v7
	v_fma_f32 v20, v43, v8, v20
	v_cndmask_b32_e64 v6, v4, v32, s[16:17]
	v_cndmask_b32_e64 v7, v4, v33, s[18:19]
	v_max3_f32 v3, v3, v6, v7
	v_or_b32_e32 v6, 34, v2
	v_or_b32_e32 v7, 35, v2
	v_cmp_gt_i32_e64 s[12:13], s29, v6
	v_cmp_gt_i32_e64 s[14:15], s29, v7
	s_nop 0
	v_cndmask_b32_e64 v6, v4, v24, s[12:13]
	v_cndmask_b32_e64 v7, v4, v25, s[14:15]
	v_max3_f32 v3, v3, v6, v7
	v_or_b32_e32 v6, 48, v2
	v_or_b32_e32 v7, 49, v2
	v_cmp_gt_i32_e64 s[8:9], s29, v6
	v_cmp_gt_i32_e64 s[10:11], s29, v7
	s_nop 0
	v_cndmask_b32_e64 v6, v4, v22, s[8:9]
	v_cndmask_b32_e64 v7, v4, v23, s[10:11]
	v_max3_f32 v3, v3, v6, v7
	v_or_b32_e32 v6, 50, v2
	v_or_b32_e32 v2, 51, v2
	v_cmp_gt_i32_e32 vcc, s29, v6
	v_cmp_gt_i32_e64 s[6:7], s29, v2
	s_nop 0
	v_cndmask_b32_e32 v6, v4, v20, vcc
	v_cndmask_b32_e64 v2, v4, v21, s[6:7]
	v_max3_f32 v4, v3, v6, v2
	v_mbcnt_lo_u32_b32 v2, -1, 0
	v_mbcnt_hi_u32_b32 v6, -1, v2
	v_and_b32_e32 v2, 64, v6
	v_add_u32_e32 v7, 64, v2
	v_xor_b32_e32 v2, 32, v6
	v_cmp_lt_i32_e64 s[40:41], v2, v7
	s_nop 1
	v_cndmask_b32_e64 v2, v6, v2, s[40:41]
	v_lshlrev_b32_e32 v43, 2, v2
	ds_bpermute_b32 v8, v43, v4
	s_waitcnt vmcnt(2)
	v_mad_i64_i32 v[2:3], s[40:41], v14, s45, v[18:19]
	global_load_dwordx4 v[14:17], v[34:35], off
	global_load_dwordx4 v[10:13], v[2:3], off
	v_xor_b32_e32 v3, 16, v6
	v_cmp_lt_i32_e64 s[40:41], v3, v7
	s_waitcnt lgkmcnt(0)
	v_max_f32_e32 v2, v8, v8
	v_max_f32_e32 v2, v4, v2
	v_cndmask_b32_e64 v3, v6, v3, s[40:41]
	v_lshlrev_b32_e32 v46, 2, v3
	ds_bpermute_b32 v3, v46, v2
	s_waitcnt vmcnt(3)
	v_mad_i64_i32 v[34:35], s[40:41], v44, s45, v[18:19]
	s_waitcnt vmcnt(2)
	v_mad_i64_i32 v[18:19], s[40:41], v45, s45, v[18:19]
	s_waitcnt lgkmcnt(0)
	v_max_f32_e32 v3, v3, v3
	v_max_f32_e32 v38, v2, v3
	v_sub_f32_e32 v2, v5, v38
	v_mul_f32_e32 v2, 0x3fb8aa3b, v2
	v_exp_f32_e32 v44, v2
	v_sub_f32_e32 v2, v39, v38
	v_mul_f32_e32 v2, 0x3fb8aa3b, v2
	v_exp_f32_e32 v39, v2
	global_load_dwordx4 v[6:9], v[34:35], off
	global_load_dwordx4 v[2:5], v[18:19], off
	v_sub_f32_e32 v30, v30, v38
	v_mul_f32_e32 v30, 0x3fb8aa3b, v30
	v_sub_f32_e32 v31, v31, v38
	v_exp_f32_e32 v30, v30
	v_mul_f32_e32 v31, 0x3fb8aa3b, v31
	v_exp_f32_e32 v31, v31
	v_cndmask_b32_e64 v18, 0, v44, s[4:5]
	v_add_f32_e32 v34, 0, v18
	v_cndmask_b32_e64 v19, 0, v39, s[34:35]
	v_add_f32_e32 v35, v34, v19
	;; [unrolled: 2-line block ×3, first 2 shown]
	v_cndmask_b32_e64 v35, 0, v31, s[38:39]
	v_sub_f32_e32 v31, v40, v38
	v_mul_f32_e32 v31, 0x3fb8aa3b, v31
	v_sub_f32_e32 v39, v41, v38
	v_exp_f32_e32 v31, v31
	v_mul_f32_e32 v39, 0x3fb8aa3b, v39
	v_sub_f32_e32 v36, v36, v38
	v_exp_f32_e32 v39, v39
	;; [unrolled: 3-line block ×4, first 2 shown]
	v_mul_f32_e32 v32, 0x3fb8aa3b, v32
	v_sub_f32_e32 v33, v33, v38
	v_add_f32_e32 v40, v30, v35
	v_cndmask_b32_e64 v30, 0, v31, s[24:25]
	v_exp_f32_e32 v32, v32
	v_mul_f32_e32 v33, 0x3fb8aa3b, v33
	v_sub_f32_e32 v24, v24, v38
	v_add_f32_e32 v40, v40, v30
	v_cndmask_b32_e64 v31, 0, v39, s[26:27]
	v_exp_f32_e32 v33, v33
	;; [unrolled: 5-line block ×7, first 2 shown]
	v_mul_f32_e32 v21, 0x3fb8aa3b, v21
	v_add_f32_e32 v39, v39, v24
	v_cndmask_b32_e64 v25, 0, v25, s[14:15]
	v_exp_f32_e32 v21, v21
	v_add_f32_e32 v39, v39, v25
	v_cndmask_b32_e64 v22, 0, v22, s[8:9]
	v_add_f32_e32 v39, v39, v22
	v_cndmask_b32_e64 v23, 0, v23, s[10:11]
	v_add_f32_e32 v39, v39, v23
	v_cndmask_b32_e32 v20, 0, v20, vcc
	v_add_f32_e32 v39, v39, v20
	v_cndmask_b32_e64 v21, 0, v21, s[6:7]
	v_add_f32_e32 v39, v39, v21
	ds_bpermute_b32 v40, v43, v39
	s_load_dword s7, s[0:1], 0x98
	v_cmp_gt_u32_e32 vcc, 16, v27
	s_waitcnt lgkmcnt(0)
	s_barrier
	v_add_f32_e32 v40, v39, v40
	ds_bpermute_b32 v41, v46, v40
	v_lshlrev_b32_e32 v39, 2, v28
	s_waitcnt lgkmcnt(0)
	s_and_saveexec_b64 s[4:5], vcc
	s_cbranch_execz .LBB817_15
; %bb.14:
	v_add_f32_e32 v27, v40, v41
	v_lshl_or_b32 v40, v29, 6, v39
	ds_write2st64_b32 v40, v38, v27 offset1:1
.LBB817_15:
	s_or_b64 exec, exec, s[4:5]
	s_load_dword s6, s[0:1], 0x94
	s_waitcnt lgkmcnt(0)
	s_barrier
	ds_read2_b32 v[40:41], v39 offset1:16
	ds_read2_b32 v[44:45], v39 offset0:32 offset1:48
	ds_read2_b32 v[46:47], v39 offset0:64 offset1:80
	s_mul_i32 s7, s7, 10
	s_waitcnt lgkmcnt(2)
	v_max3_f32 v27, v40, s33, v41
	s_waitcnt lgkmcnt(1)
	v_max3_f32 v27, v27, v44, v45
	v_sub_f32_e32 v38, v40, v27
	v_mul_f32_e32 v38, 0x3fb8aa3b, v38
	v_exp_f32_e32 v43, v38
	v_sub_f32_e32 v38, v41, v27
	v_mul_f32_e32 v38, 0x3fb8aa3b, v38
	v_exp_f32_e32 v48, v38
	;; [unrolled: 3-line block ×3, first 2 shown]
	ds_read2_b32 v[40:41], v39 offset0:96 offset1:112
	v_sub_f32_e32 v38, v45, v27
	v_mul_f32_e32 v38, 0x3fb8aa3b, v38
	v_exp_f32_e32 v39, v38
	s_waitcnt lgkmcnt(1)
	v_fma_f32 v38, v43, v46, 0
	v_fmac_f32_e32 v38, v48, v47
	s_waitcnt lgkmcnt(0)
	v_fmac_f32_e32 v38, v44, v40
	v_fmac_f32_e32 v38, v39, v41
	v_add_f32_e32 v40, 0x358637bd, v38
	v_div_scale_f32 v41, s[4:5], v40, v40, 1.0
	v_rcp_f32_e32 v45, v41
	s_barrier
	v_fma_f32 v46, -v41, v45, 1.0
	v_fmac_f32_e32 v45, v46, v45
	v_div_scale_f32 v46, vcc, 1.0, v40, 1.0
	v_mul_f32_e32 v47, v46, v45
	v_fma_f32 v49, -v41, v47, v46
	v_fmac_f32_e32 v47, v49, v45
	v_fma_f32 v41, -v41, v47, v46
	v_div_fmas_f32 v41, v41, v45, v47
	v_cmp_eq_u32_e32 vcc, 1, v29
	v_div_fixup_f32 v40, v41, v40, 1.0
	s_nop 0
	v_cndmask_b32_e32 v41, v43, v48, vcc
	v_cmp_eq_u32_e32 vcc, 2, v29
	s_nop 1
	v_cndmask_b32_e32 v41, v41, v44, vcc
	v_cmp_eq_u32_e32 vcc, 3, v29
	v_lshlrev_b32_e32 v29, 11, v29
	s_nop 0
	v_cndmask_b32_e32 v39, v41, v39, vcc
	v_mul_f32_e32 v40, v39, v40
	v_pk_mul_f32 v[18:19], v[40:41], v[18:19] op_sel_hi:[0,1]
	v_pk_mul_f32 v[34:35], v[40:41], v[34:35] op_sel_hi:[0,1]
	v_cvt_f16_f32_e32 v18, v18
	v_cvt_f16_f32_e32 v19, v19
	v_pk_mul_f32 v[36:37], v[40:41], v[36:37] op_sel_hi:[0,1]
	v_pk_mul_f32 v[30:31], v[40:41], v[30:31] op_sel_hi:[0,1]
	v_cvt_f16_f32_e32 v39, v34
	v_cvt_f16_f32_e32 v35, v35
	;; [unrolled: 1-line block ×6, first 2 shown]
	v_pack_b32_f16 v34, v18, v19
	v_lshlrev_b32_e32 v18, 3, v42
	v_lshlrev_b32_e32 v19, 5, v28
	v_pack_b32_f16 v35, v39, v35
	v_or3_b32 v18, v29, v19, v18
	v_pack_b32_f16 v30, v30, v31
	v_pack_b32_f16 v31, v36, v37
	ds_write2st64_b64 v18, v[34:35], v[30:31] offset1:1
	v_pk_mul_f32 v[24:25], v[40:41], v[24:25] op_sel_hi:[0,1]
	v_pk_mul_f32 v[30:31], v[40:41], v[32:33] op_sel_hi:[0,1]
	;; [unrolled: 1-line block ×4, first 2 shown]
	v_cvt_f16_f32_e32 v29, v30
	v_cvt_f16_f32_e32 v30, v31
	;; [unrolled: 1-line block ×8, first 2 shown]
	v_pack_b32_f16 v20, v29, v30
	v_pack_b32_f16 v21, v24, v25
	;; [unrolled: 1-line block ×4, first 2 shown]
	v_cmp_gt_u32_e32 vcc, 10, v0
	ds_write2st64_b64 v18, v[20:21], v[22:23] offset0:2 offset1:3
	s_and_saveexec_b64 s[4:5], vcc
	s_cbranch_execz .LBB817_17
; %bb.16:
	s_mov_b32 s49, 0
	v_mov_b32_e32 v29, 0
	v_lshl_add_u64 v[20:21], s[48:49], 0, v[28:29]
	v_mov_b32_e32 v22, s7
	v_mad_u64_u32 v[20:21], s[12:13], s2, v22, v[20:21]
	s_mul_i32 s3, s3, s7
	v_mov_b32_e32 v28, s28
	s_load_dwordx4 s[8:11], s[0:1], 0x58
	v_add_u32_e32 v23, s3, v21
	v_mad_u64_u32 v[20:21], s[12:13], v20, s6, v[28:29]
	v_mov_b32_e32 v22, v21
	v_mad_u64_u32 v[22:23], s[12:13], v23, s6, v[22:23]
	v_mov_b32_e32 v21, v22
	v_lshlrev_b64 v[20:21], 2, v[20:21]
	s_waitcnt lgkmcnt(0)
	v_lshl_add_u64 v[22:23], s[10:11], 0, v[20:21]
	v_lshl_add_u64 v[20:21], s[8:9], 0, v[20:21]
	global_store_dword v[22:23], v27, off
	global_store_dword v[20:21], v38, off
.LBB817_17:
	s_or_b64 exec, exec, s[4:5]
	s_waitcnt vmcnt(3)
	v_cvt_pk_f32_fp8_e32 v[20:21], v14
	v_cvt_pk_f32_fp8_sdwa v[22:23], v14 src0_sel:WORD_1
	v_lshl_or_b32 v14, v42, 9, v19
	s_waitcnt lgkmcnt(0)
	s_barrier
	v_cvt_pk_f32_fp8_e32 v[24:25], v15
	v_cvt_pkrtz_f16_f32 v32, v20, v21
	v_cvt_pkrtz_f16_f32 v33, v22, v23
	v_cvt_pk_f32_fp8_sdwa v[28:29], v15 src0_sel:WORD_1
	ds_read_b128 v[20:23], v14
	v_cvt_pkrtz_f16_f32 v24, v24, v25
	v_cvt_pk_f32_fp8_e32 v[36:37], v16
	v_cvt_pkrtz_f16_f32 v25, v28, v29
	ds_read_b128 v[28:31], v14 offset:16
	v_cvt_pk_f32_fp8_sdwa v[38:39], v16 src0_sel:WORD_1
	s_waitcnt lgkmcnt(1)
	v_mfma_f32_16x16x16_f16 v[32:35], v[32:33], v[20:21], 0
	v_cvt_pkrtz_f16_f32 v36, v36, v37
	s_load_dword s4, s[42:43], 0x0
	v_cvt_pkrtz_f16_f32 v37, v38, v39
	v_cvt_pk_f32_fp8_e32 v[38:39], v17
	v_cvt_pk_f32_fp8_sdwa v[16:17], v17 src0_sel:WORD_1
	v_mfma_f32_16x16x16_f16 v[20:23], v[24:25], v[22:23], v[32:35]
	v_cmp_gt_u32_e32 vcc, 64, v0
	v_cvt_pkrtz_f16_f32 v24, v38, v39
	v_cvt_pkrtz_f16_f32 v25, v16, v17
	s_waitcnt lgkmcnt(0)
	v_mfma_f32_16x16x16_f16 v[20:23], v[36:37], v[28:29], v[20:23]
	s_waitcnt vmcnt(2)
	v_cvt_pk_f32_fp8_e32 v[16:17], v10
	v_cvt_pk_f32_fp8_e32 v[28:29], v11
	v_cvt_pk_f32_fp8_sdwa v[36:37], v12 src0_sel:WORD_1
	v_mfma_f32_16x16x16_f16 v[20:23], v[24:25], v[30:31], v[20:23]
	v_cvt_pk_f32_fp8_sdwa v[24:25], v10 src0_sel:WORD_1
	v_cvt_pkrtz_f16_f32 v10, v16, v17
	v_cvt_pk_f32_fp8_sdwa v[16:17], v11 src0_sel:WORD_1
	ds_read_b128 v[32:35], v14 offset:2064
	v_cvt_pkrtz_f16_f32 v11, v24, v25
	v_cvt_pkrtz_f16_f32 v24, v28, v29
	ds_read_b128 v[28:31], v14 offset:2048
	v_cvt_pkrtz_f16_f32 v25, v16, v17
	v_cvt_pk_f32_fp8_e32 v[16:17], v12
	s_waitcnt lgkmcnt(0)
	v_mfma_f32_16x16x16_f16 v[20:23], v[10:11], v[28:29], v[20:23]
	v_cvt_pkrtz_f16_f32 v10, v16, v17
	v_cvt_pkrtz_f16_f32 v11, v36, v37
	v_cvt_pk_f32_fp8_e32 v[16:17], v13
	v_mfma_f32_16x16x16_f16 v[20:23], v[24:25], v[30:31], v[20:23]
	v_cvt_pk_f32_fp8_sdwa v[24:25], v13 src0_sel:WORD_1
	ds_read_b128 v[28:31], v14 offset:4112
	v_cvt_pkrtz_f16_f32 v16, v16, v17
	v_mfma_f32_16x16x16_f16 v[10:13], v[10:11], v[32:33], v[20:23]
	v_cvt_pkrtz_f16_f32 v17, v24, v25
	s_waitcnt vmcnt(1)
	v_cvt_pk_f32_fp8_sdwa v[24:25], v7 src0_sel:WORD_1
	v_cvt_pk_f32_fp8_sdwa v[32:33], v8 src0_sel:WORD_1
	v_cvt_pk_f32_fp8_e32 v[20:21], v6
	v_mfma_f32_16x16x16_f16 v[10:13], v[16:17], v[34:35], v[10:13]
	v_cvt_pk_f32_fp8_sdwa v[16:17], v6 src0_sel:WORD_1
	v_cvt_pk_f32_fp8_e32 v[22:23], v7
	v_cvt_pkrtz_f16_f32 v6, v20, v21
	s_mov_b32 s3, 0
	v_cvt_pkrtz_f16_f32 v7, v16, v17
	v_cvt_pkrtz_f16_f32 v16, v22, v23
	ds_read_b128 v[20:23], v14 offset:4096
	v_cvt_pkrtz_f16_f32 v17, v24, v25
	v_cvt_pk_f32_fp8_e32 v[24:25], v8
	s_waitcnt lgkmcnt(0)
	v_mfma_f32_16x16x16_f16 v[10:13], v[6:7], v[20:21], v[10:13]
	v_cvt_pkrtz_f16_f32 v6, v24, v25
	v_cvt_pkrtz_f16_f32 v7, v32, v33
	v_cvt_pk_f32_fp8_e32 v[20:21], v9
	v_mfma_f32_16x16x16_f16 v[10:13], v[16:17], v[22:23], v[10:13]
	v_cvt_pk_f32_fp8_sdwa v[16:17], v9 src0_sel:WORD_1
	s_waitcnt vmcnt(0)
	v_cvt_pk_f32_fp8_sdwa v[24:25], v4 src0_sel:WORD_1
	v_cvt_pkrtz_f16_f32 v20, v20, v21
	v_mfma_f32_16x16x16_f16 v[6:9], v[6:7], v[28:29], v[10:13]
	v_cvt_pkrtz_f16_f32 v21, v16, v17
	v_cvt_pk_f32_fp8_e32 v[16:17], v3
	v_mov_b32_e32 v27, 0
	v_cvt_pk_f32_fp8_e32 v[10:11], v2
	v_cvt_pk_f32_fp8_sdwa v[12:13], v2 src0_sel:WORD_1
	v_mfma_f32_16x16x16_f16 v[6:9], v[20:21], v[30:31], v[6:9]
	v_cvt_pk_f32_fp8_sdwa v[20:21], v3 src0_sel:WORD_1
	v_cvt_pkrtz_f16_f32 v2, v10, v11
	v_cvt_pkrtz_f16_f32 v3, v12, v13
	ds_read_b128 v[10:13], v14 offset:6144
	v_cvt_pkrtz_f16_f32 v22, v16, v17
	v_cvt_pkrtz_f16_f32 v23, v20, v21
	v_cvt_pk_f32_fp8_e32 v[20:21], v4
	s_waitcnt lgkmcnt(0)
	v_mfma_f32_16x16x16_f16 v[6:9], v[2:3], v[10:11], v[6:9]
	ds_read_b128 v[14:17], v14 offset:6160
	v_cvt_pkrtz_f16_f32 v2, v20, v21
	v_cvt_pkrtz_f16_f32 v3, v24, v25
	v_cvt_pk_f32_fp8_e32 v[10:11], v5
	v_mfma_f32_16x16x16_f16 v[6:9], v[22:23], v[12:13], v[6:9]
	v_cvt_pk_f32_fp8_sdwa v[12:13], v5 src0_sel:WORD_1
	s_waitcnt lgkmcnt(0)
	v_cvt_pkrtz_f16_f32 v10, v10, v11
	v_mfma_f32_16x16x16_f16 v[2:5], v[2:3], v[14:15], v[6:9]
	v_cvt_pkrtz_f16_f32 v11, v12, v13
	s_barrier
	s_nop 0
	v_mfma_f32_16x16x16_f16 v[2:5], v[10:11], v[16:17], v[2:5]
	s_nop 6
	v_pk_mul_f32 v[4:5], v[4:5], s[4:5] op_sel_hi:[1,0]
	v_pk_mul_f32 v[2:3], v[2:3], s[4:5] op_sel_hi:[1,0]
	v_cvt_f16_f32_e32 v4, v4
	v_cvt_f16_f32_e32 v2, v2
	;; [unrolled: 1-line block ×4, first 2 shown]
	s_and_b64 s[4:5], vcc, s[30:31]
	v_pack_b32_f16 v2, v2, v3
	v_pack_b32_f16 v3, v4, v5
	ds_write_b64 v18, v[2:3]
	s_waitcnt lgkmcnt(0)
	s_barrier
	s_and_saveexec_b64 s[8:9], s[4:5]
	s_cbranch_execz .LBB817_20
; %bb.18:
	s_load_dwordx2 s[4:5], s[0:1], 0x68
	s_lshl_b32 s0, s6, 6
	s_mul_i32 s1, s7, s2
	s_mul_hi_u32 s7, s1, s0
	s_mul_i32 s6, s1, s0
	v_lshlrev_b32_e32 v0, 10, v0
	s_lshl_b64 s[6:7], s[6:7], 1
	v_and_b32_e32 v0, 0x1800, v0
	v_lshlrev_b32_e32 v2, 5, v42
	v_and_b32_e32 v1, 16, v1
	s_waitcnt lgkmcnt(0)
	s_add_u32 s1, s4, s6
	v_or3_b32 v2, v0, v2, v1
	s_addc_u32 s4, s5, s7
	s_lshl_b32 s2, s28, 6
	s_lshl_b64 s[2:3], s[2:3], 1
	ds_read_b128 v[4:7], v2 offset:128
	ds_read_b128 v[8:11], v2
	s_add_u32 s2, s1, s2
	s_addc_u32 s3, s4, s3
	v_add_u32_e32 v14, s48, v42
	v_lshl_add_u64 v[0:1], s[2:3], 0, v[26:27]
	v_mad_u64_u32 v[12:13], s[2:3], v14, s0, 0
	v_lshl_add_u64 v[12:13], v[12:13], 1, v[0:1]
	s_waitcnt lgkmcnt(0)
	global_store_dwordx4 v[12:13], v[8:11], off
	v_or_b32_e32 v3, 8, v42
	v_cmp_gt_u32_e32 vcc, 10, v3
	v_add_u32_e32 v8, 4, v14
	v_mad_u64_u32 v[8:9], s[2:3], v8, s0, 0
	v_lshl_add_u64 v[8:9], v[8:9], 1, v[0:1]
	global_store_dwordx4 v[8:9], v[4:7], off
	s_and_b64 exec, exec, vcc
	s_cbranch_execz .LBB817_20
; %bb.19:
	ds_read_b128 v[4:7], v2 offset:256
	v_add_u32_e32 v2, s48, v3
	v_mad_u64_u32 v[2:3], s[0:1], v2, s0, 0
	v_lshl_add_u64 v[0:1], v[2:3], 1, v[0:1]
	s_waitcnt lgkmcnt(0)
	global_store_dwordx4 v[0:1], v[4:7], off
.LBB817_20:
	s_endpgm
	.section	.rodata,"a",@progbits
	.p2align	6, 0x0
	.amdhsa_kernel _Z39paged_attention_ll4mi_QKV_mfma16_kernelIDF16_hLN4vllm18Fp8KVCacheDataTypeE1EDF16_Li16ELi64ELi256ELb1ELi10EEvPKT_PKT0_S7_ifPKiS9_S9_iPKfiiiPfSC_PS2_PT2_iSB_SB_
		.amdhsa_group_segment_fixed_size 8192
		.amdhsa_private_segment_fixed_size 0
		.amdhsa_kernarg_size 400
		.amdhsa_user_sgpr_count 2
		.amdhsa_user_sgpr_dispatch_ptr 0
		.amdhsa_user_sgpr_queue_ptr 0
		.amdhsa_user_sgpr_kernarg_segment_ptr 1
		.amdhsa_user_sgpr_dispatch_id 0
		.amdhsa_user_sgpr_kernarg_preload_length 0
		.amdhsa_user_sgpr_kernarg_preload_offset 0
		.amdhsa_user_sgpr_private_segment_size 0
		.amdhsa_uses_dynamic_stack 0
		.amdhsa_enable_private_segment 0
		.amdhsa_system_sgpr_workgroup_id_x 1
		.amdhsa_system_sgpr_workgroup_id_y 1
		.amdhsa_system_sgpr_workgroup_id_z 1
		.amdhsa_system_sgpr_workgroup_info 0
		.amdhsa_system_vgpr_workitem_id 0
		.amdhsa_next_free_vgpr 67
		.amdhsa_next_free_sgpr 50
		.amdhsa_accum_offset 68
		.amdhsa_reserve_vcc 1
		.amdhsa_float_round_mode_32 0
		.amdhsa_float_round_mode_16_64 0
		.amdhsa_float_denorm_mode_32 3
		.amdhsa_float_denorm_mode_16_64 3
		.amdhsa_dx10_clamp 1
		.amdhsa_ieee_mode 1
		.amdhsa_fp16_overflow 0
		.amdhsa_tg_split 0
		.amdhsa_exception_fp_ieee_invalid_op 0
		.amdhsa_exception_fp_denorm_src 0
		.amdhsa_exception_fp_ieee_div_zero 0
		.amdhsa_exception_fp_ieee_overflow 0
		.amdhsa_exception_fp_ieee_underflow 0
		.amdhsa_exception_fp_ieee_inexact 0
		.amdhsa_exception_int_div_zero 0
	.end_amdhsa_kernel
	.section	.text._Z39paged_attention_ll4mi_QKV_mfma16_kernelIDF16_hLN4vllm18Fp8KVCacheDataTypeE1EDF16_Li16ELi64ELi256ELb1ELi10EEvPKT_PKT0_S7_ifPKiS9_S9_iPKfiiiPfSC_PS2_PT2_iSB_SB_,"axG",@progbits,_Z39paged_attention_ll4mi_QKV_mfma16_kernelIDF16_hLN4vllm18Fp8KVCacheDataTypeE1EDF16_Li16ELi64ELi256ELb1ELi10EEvPKT_PKT0_S7_ifPKiS9_S9_iPKfiiiPfSC_PS2_PT2_iSB_SB_,comdat
.Lfunc_end817:
	.size	_Z39paged_attention_ll4mi_QKV_mfma16_kernelIDF16_hLN4vllm18Fp8KVCacheDataTypeE1EDF16_Li16ELi64ELi256ELb1ELi10EEvPKT_PKT0_S7_ifPKiS9_S9_iPKfiiiPfSC_PS2_PT2_iSB_SB_, .Lfunc_end817-_Z39paged_attention_ll4mi_QKV_mfma16_kernelIDF16_hLN4vllm18Fp8KVCacheDataTypeE1EDF16_Li16ELi64ELi256ELb1ELi10EEvPKT_PKT0_S7_ifPKiS9_S9_iPKfiiiPfSC_PS2_PT2_iSB_SB_
                                        ; -- End function
	.section	.AMDGPU.csdata,"",@progbits
; Kernel info:
; codeLenInByte = 4864
; NumSgprs: 56
; NumVgprs: 67
; NumAgprs: 0
; TotalNumVgprs: 67
; ScratchSize: 0
; MemoryBound: 0
; FloatMode: 240
; IeeeMode: 1
; LDSByteSize: 8192 bytes/workgroup (compile time only)
; SGPRBlocks: 6
; VGPRBlocks: 8
; NumSGPRsForWavesPerEU: 56
; NumVGPRsForWavesPerEU: 67
; AccumOffset: 68
; Occupancy: 7
; WaveLimiterHint : 1
; COMPUTE_PGM_RSRC2:SCRATCH_EN: 0
; COMPUTE_PGM_RSRC2:USER_SGPR: 2
; COMPUTE_PGM_RSRC2:TRAP_HANDLER: 0
; COMPUTE_PGM_RSRC2:TGID_X_EN: 1
; COMPUTE_PGM_RSRC2:TGID_Y_EN: 1
; COMPUTE_PGM_RSRC2:TGID_Z_EN: 1
; COMPUTE_PGM_RSRC2:TIDIG_COMP_CNT: 0
; COMPUTE_PGM_RSRC3_GFX90A:ACCUM_OFFSET: 16
; COMPUTE_PGM_RSRC3_GFX90A:TG_SPLIT: 0
	.section	.text._Z39paged_attention_ll4mi_QKV_mfma16_kernelIDF16_hLN4vllm18Fp8KVCacheDataTypeE1EDF16_Li16ELi64ELi256ELb1ELi11EEvPKT_PKT0_S7_ifPKiS9_S9_iPKfiiiPfSC_PS2_PT2_iSB_SB_,"axG",@progbits,_Z39paged_attention_ll4mi_QKV_mfma16_kernelIDF16_hLN4vllm18Fp8KVCacheDataTypeE1EDF16_Li16ELi64ELi256ELb1ELi11EEvPKT_PKT0_S7_ifPKiS9_S9_iPKfiiiPfSC_PS2_PT2_iSB_SB_,comdat
	.protected	_Z39paged_attention_ll4mi_QKV_mfma16_kernelIDF16_hLN4vllm18Fp8KVCacheDataTypeE1EDF16_Li16ELi64ELi256ELb1ELi11EEvPKT_PKT0_S7_ifPKiS9_S9_iPKfiiiPfSC_PS2_PT2_iSB_SB_ ; -- Begin function _Z39paged_attention_ll4mi_QKV_mfma16_kernelIDF16_hLN4vllm18Fp8KVCacheDataTypeE1EDF16_Li16ELi64ELi256ELb1ELi11EEvPKT_PKT0_S7_ifPKiS9_S9_iPKfiiiPfSC_PS2_PT2_iSB_SB_
	.globl	_Z39paged_attention_ll4mi_QKV_mfma16_kernelIDF16_hLN4vllm18Fp8KVCacheDataTypeE1EDF16_Li16ELi64ELi256ELb1ELi11EEvPKT_PKT0_S7_ifPKiS9_S9_iPKfiiiPfSC_PS2_PT2_iSB_SB_
	.p2align	8
	.type	_Z39paged_attention_ll4mi_QKV_mfma16_kernelIDF16_hLN4vllm18Fp8KVCacheDataTypeE1EDF16_Li16ELi64ELi256ELb1ELi11EEvPKT_PKT0_S7_ifPKiS9_S9_iPKfiiiPfSC_PS2_PT2_iSB_SB_,@function
_Z39paged_attention_ll4mi_QKV_mfma16_kernelIDF16_hLN4vllm18Fp8KVCacheDataTypeE1EDF16_Li16ELi64ELi256ELb1ELi11EEvPKT_PKT0_S7_ifPKiS9_S9_iPKfiiiPfSC_PS2_PT2_iSB_SB_: ; @_Z39paged_attention_ll4mi_QKV_mfma16_kernelIDF16_hLN4vllm18Fp8KVCacheDataTypeE1EDF16_Li16ELi64ELi256ELb1ELi11EEvPKT_PKT0_S7_ifPKiS9_S9_iPKfiiiPfSC_PS2_PT2_iSB_SB_
; %bb.0:
	s_load_dwordx2 s[6:7], s[0:1], 0x30
	s_mov_b32 s28, s3
	s_mov_b64 s[8:9], 0
	s_waitcnt lgkmcnt(0)
	s_cmp_lg_u64 s[6:7], 0
	s_cselect_b64 s[10:11], -1, 0
	s_and_b64 vcc, exec, s[10:11]
	s_cbranch_vccz .LBB818_7
; %bb.1:
	s_add_i32 s12, s2, 1
	s_mov_b32 s13, 0
	s_lshl_b64 s[14:15], s[12:13], 2
	s_add_u32 s14, s6, s14
	s_mov_b32 s3, s13
	s_addc_u32 s15, s7, s15
	s_lshl_b64 s[12:13], s[2:3], 2
	s_add_u32 s12, s6, s12
	s_addc_u32 s13, s7, s13
	s_load_dword s5, s[14:15], 0x0
	s_load_dword s16, s[12:13], 0x0
	s_waitcnt lgkmcnt(0)
	s_sub_i32 s5, s5, s16
	s_cmp_eq_u32 s5, 1
	s_cselect_b64 s[12:13], -1, 0
	s_andn2_b64 vcc, exec, s[8:9]
	s_cbranch_vccnz .LBB818_3
.LBB818_2:
	s_mov_b32 s3, 0
	s_mov_b64 s[12:13], -1
.LBB818_3:
	s_andn2_b64 vcc, exec, s[12:13]
	s_cbranch_vccnz .LBB818_20
; %bb.4:
	s_load_dwordx2 s[8:9], s[0:1], 0x28
	s_lshl_b64 s[12:13], s[2:3], 2
	s_waitcnt lgkmcnt(0)
	s_add_u32 s8, s8, s12
	s_addc_u32 s9, s9, s13
	s_load_dword s29, s[8:9], 0x0
	s_lshl_b32 s16, s28, 8
	s_waitcnt lgkmcnt(0)
	s_cmp_ge_i32 s16, s29
	s_cbranch_scc1 .LBB818_20
; %bb.5:
	s_load_dwordx2 s[8:9], s[0:1], 0x20
	s_load_dword s5, s[0:1], 0x38
	s_add_i32 s14, s29, 15
	s_ashr_i32 s15, s14, 31
	v_and_b32_e32 v1, 0xcf, v0
	s_lshr_b32 s15, s15, 28
	v_add_u32_e32 v1, s16, v1
	s_add_i32 s14, s14, s15
	v_ashrrev_i32_e32 v2, 31, v1
	s_ashr_i32 s17, s14, 4
	v_lshrrev_b32_e32 v4, 28, v2
	s_add_i32 s17, s17, -1
	s_waitcnt lgkmcnt(0)
	s_mul_i32 s14, s2, s5
	s_mov_b32 s15, 0
	v_add_u32_e32 v2, v1, v4
	s_lshl_b64 s[14:15], s[14:15], 2
	v_ashrrev_i32_e32 v2, 4, v2
	v_mov_b32_e32 v5, s17
	v_cmp_gt_i32_e32 vcc, s29, v1
	s_add_u32 s8, s8, s14
	s_addc_u32 s9, s9, s15
	v_cndmask_b32_e32 v2, v5, v2, vcc
	v_ashrrev_i32_e32 v3, 31, v2
	v_lshl_add_u64 v[6:7], v[2:3], 2, s[8:9]
	v_or_b32_e32 v2, 16, v1
	v_add_u32_e32 v3, v2, v4
	v_ashrrev_i32_e32 v3, 4, v3
	v_cmp_gt_i32_e32 vcc, s29, v2
	s_load_dwordx2 s[14:15], s[0:1], 0x8
	s_nop 0
	v_cndmask_b32_e32 v2, v5, v3, vcc
	v_ashrrev_i32_e32 v3, 31, v2
	v_lshl_add_u64 v[8:9], v[2:3], 2, s[8:9]
	v_or_b32_e32 v2, 32, v1
	v_add_u32_e32 v3, v2, v4
	v_ashrrev_i32_e32 v3, 4, v3
	v_cmp_gt_i32_e32 vcc, s29, v2
	v_or_b32_e32 v1, 48, v1
	s_nop 0
	v_cndmask_b32_e32 v2, v5, v3, vcc
	v_ashrrev_i32_e32 v3, 31, v2
	v_lshl_add_u64 v[10:11], v[2:3], 2, s[8:9]
	v_add_u32_e32 v2, v1, v4
	v_ashrrev_i32_e32 v2, 4, v2
	v_cmp_gt_i32_e32 vcc, s29, v1
	s_nop 1
	v_cndmask_b32_e32 v2, v5, v2, vcc
	v_ashrrev_i32_e32 v3, 31, v2
	v_lshl_add_u64 v[12:13], v[2:3], 2, s[8:9]
	global_load_dword v5, v[6:7], off
	global_load_dword v4, v[8:9], off
	;; [unrolled: 1-line block ×4, first 2 shown]
	s_andn2_b64 vcc, exec, s[10:11]
	s_cbranch_vccnz .LBB818_8
; %bb.6:
	s_add_u32 s6, s6, s12
	s_addc_u32 s7, s7, s13
	s_load_dword s5, s[6:7], 0x0
	s_branch .LBB818_9
.LBB818_7:
	s_mov_b64 s[12:13], 0
	s_branch .LBB818_2
.LBB818_8:
	s_mov_b32 s5, s2
.LBB818_9:
	s_load_dwordx2 s[6:7], s[0:1], 0x10
	s_load_dwordx4 s[44:47], s[0:1], 0x48
	v_lshrrev_b32_e32 v29, 6, v0
	v_bfe_u32 v42, v0, 4, 2
	v_lshl_or_b32 v6, v29, 2, v42
	v_and_b32_e32 v28, 15, v0
	v_lshlrev_b32_e32 v1, 3, v28
	v_cmp_gt_u32_e32 vcc, 11, v6
	v_cmp_gt_u32_e64 s[30:31], 8, v28
	s_mul_i32 s48, s4, 11
	s_and_b64 s[12:13], s[30:31], vcc
	v_lshlrev_b32_e32 v26, 1, v1
	v_lshlrev_b32_e32 v1, 4, v0
	s_and_saveexec_b64 s[10:11], s[12:13]
	s_cbranch_execz .LBB818_11
; %bb.10:
	s_load_dwordx2 s[12:13], s[0:1], 0x0
	s_waitcnt lgkmcnt(0)
	s_ashr_i32 s18, s44, 31
	s_mul_hi_u32 s19, s5, s44
	s_mul_i32 s18, s5, s18
	s_add_i32 s19, s19, s18
	s_mul_i32 s18, s5, s44
	s_lshl_b64 s[18:19], s[18:19], 1
	s_add_u32 s12, s12, s18
	v_add_lshl_u32 v8, v6, s48, 6
	s_addc_u32 s13, s13, s19
	v_ashrrev_i32_e32 v9, 31, v8
	v_lshl_add_u64 v[8:9], v[8:9], 1, s[12:13]
	v_mov_b32_e32 v27, 0
	v_lshl_add_u64 v[8:9], v[8:9], 0, v[26:27]
	global_load_dwordx4 v[8:11], v[8:9], off
	v_lshlrev_b32_e32 v12, 8, v28
	v_lshlrev_b32_e32 v6, 5, v6
	v_and_b32_e32 v7, 16, v1
	v_and_b32_e32 v12, 0xe00, v12
	v_or3_b32 v6, v12, v6, v7
	s_waitcnt vmcnt(0)
	ds_write_b128 v6, v[8:11]
.LBB818_11:
	s_or_b64 exec, exec, s[10:11]
	s_waitcnt lgkmcnt(0)
	s_mul_i32 s10, s4, s46
	s_add_u32 s4, s14, s10
	s_addc_u32 s5, s15, 0
	v_and_b32_e32 v32, 48, v0
	v_and_b32_e32 v30, 0xf0, v1
	v_mov_b32_e32 v31, 0
	v_lshl_add_u64 v[6:7], s[4:5], 0, v[30:31]
	v_lshlrev_b32_e32 v30, 4, v32
	v_lshl_add_u64 v[6:7], v[6:7], 0, v[30:31]
	s_waitcnt vmcnt(3)
	v_mad_i64_i32 v[8:9], s[4:5], v5, s45, v[6:7]
	s_waitcnt vmcnt(2)
	v_mad_i64_i32 v[4:5], s[4:5], v4, s45, v[6:7]
	s_barrier
	global_load_dwordx4 v[22:25], v[8:9], off
	global_load_dwordx4 v[18:21], v[4:5], off
	s_waitcnt vmcnt(3)
	v_mad_i64_i32 v[4:5], s[4:5], v3, s45, v[6:7]
	s_waitcnt vmcnt(2)
	v_mad_i64_i32 v[2:3], s[4:5], v2, s45, v[6:7]
	global_load_dwordx4 v[14:17], v[4:5], off
	global_load_dwordx4 v[6:9], v[2:3], off
	v_add_u32_e32 v2, -11, v28
	v_cmp_gt_u32_e32 vcc, 11, v28
	v_and_b32_e32 v27, 63, v0
	v_mov_b32_e32 v43, 0
	v_cndmask_b32_e32 v2, v2, v28, vcc
	v_lshlrev_b32_e32 v2, 5, v2
	v_lshl_add_u32 v2, v42, 9, v2
	ds_read_b128 v[10:13], v2
	ds_read_b128 v[2:5], v2 offset:16
	s_and_saveexec_b64 s[4:5], vcc
	s_cbranch_execz .LBB818_13
; %bb.12:
	s_load_dwordx2 s[12:13], s[0:1], 0x40
	v_add_u32_e32 v34, s48, v28
	v_ashrrev_i32_e32 v35, 31, v34
	s_waitcnt lgkmcnt(0)
	v_lshl_add_u64 v[34:35], v[34:35], 2, s[12:13]
	global_load_dword v43, v[34:35], off
.LBB818_13:
	s_or_b64 exec, exec, s[4:5]
	v_or_b32_e32 v62, s16, v32
	v_ashrrev_i32_e32 v30, 4, v62
	v_mov_b32_e32 v63, s17
	v_cmp_gt_i32_e32 vcc, s29, v62
	s_waitcnt vmcnt(2)
	v_cvt_pk_f32_fp8_e32 v[52:53], v20
	v_cvt_pk_f32_fp8_sdwa v[54:55], v20 src0_sel:WORD_1
	v_cndmask_b32_e32 v20, v63, v30, vcc
	v_cvt_pk_f32_fp8_e32 v[56:57], v21
	v_cvt_pk_f32_fp8_sdwa v[58:59], v21 src0_sel:WORD_1
	v_ashrrev_i32_e32 v21, 31, v20
	v_cvt_pk_f32_fp8_e32 v[40:41], v22
	v_cvt_pk_f32_fp8_sdwa v[44:45], v22 src0_sel:WORD_1
	v_lshl_add_u64 v[20:21], v[20:21], 2, s[8:9]
	v_cvt_pk_f32_fp8_e32 v[46:47], v18
	v_cvt_pk_f32_fp8_sdwa v[48:49], v18 src0_sel:WORD_1
	global_load_dword v64, v[20:21], off
	v_cvt_pk_f32_fp8_e32 v[34:35], v23
	v_cvt_pk_f32_fp8_sdwa v[32:33], v23 src0_sel:WORD_1
	v_cvt_pkrtz_f16_f32 v20, v40, v41
	v_cvt_pkrtz_f16_f32 v21, v44, v45
	v_cvt_pk_f32_fp8_e32 v[36:37], v24
	v_cvt_pk_f32_fp8_sdwa v[38:39], v24 src0_sel:WORD_1
	v_cvt_pk_f32_fp8_e32 v[50:51], v19
	v_cvt_pk_f32_fp8_sdwa v[18:19], v19 src0_sel:WORD_1
	v_cvt_pkrtz_f16_f32 v44, v46, v47
	v_cvt_pkrtz_f16_f32 v45, v48, v49
	v_cvt_pk_f32_fp8_e32 v[22:23], v25
	s_waitcnt vmcnt(2)
	v_cvt_pk_f32_fp8_e32 v[40:41], v14
	v_cvt_pk_f32_fp8_sdwa v[46:47], v14 src0_sel:WORD_1
	v_cvt_pkrtz_f16_f32 v48, v34, v35
	v_cvt_pkrtz_f16_f32 v49, v32, v33
	v_or_b32_e32 v14, 64, v62
	v_or_b32_e32 v32, 0xc0, v62
	v_cvt_pk_f32_fp8_sdwa v[24:25], v25 src0_sel:WORD_1
	s_load_dword s11, s[0:1], 0x1c
	s_load_dwordx4 s[40:43], s[0:1], 0x80
	v_cvt_pkrtz_f16_f32 v36, v36, v37
	v_cvt_pkrtz_f16_f32 v37, v38, v39
	v_or_b32_e32 v65, 0x80, v62
	v_ashrrev_i32_e32 v62, 4, v14
	v_cmp_gt_i32_e32 vcc, s29, v32
	v_ashrrev_i32_e32 v66, 4, v32
	v_cmp_gt_i32_e64 s[4:5], s29, v14
	v_cvt_pkrtz_f16_f32 v38, v50, v51
	v_cvt_pkrtz_f16_f32 v39, v18, v19
	s_waitcnt lgkmcnt(0)
	v_mfma_f32_16x16x16_f16 v[32:35], v[20:21], v[10:11], 0
	s_add_u32 s6, s6, s10
	v_lshlrev_b32_e32 v30, 4, v28
	v_cndmask_b32_e64 v50, v63, v62, s[4:5]
	v_cvt_pkrtz_f16_f32 v62, v22, v23
	v_mfma_f32_16x16x16_f16 v[20:23], v[44:45], v[10:11], 0
	v_lshl_or_b32 v30, v29, 8, v30
	s_addc_u32 s7, s7, 0
	v_ashrrev_i32_e32 v14, 4, v65
	v_lshl_add_u64 v[18:19], s[6:7], 0, v[30:31]
	v_cmp_gt_i32_e64 s[6:7], s29, v65
	v_mfma_f32_16x16x16_f16 v[30:33], v[48:49], v[12:13], v[32:35]
	v_cndmask_b32_e32 v48, v63, v66, vcc
	s_load_dword s4, s[40:41], 0x0
	v_cvt_pk_f32_fp8_e32 v[60:61], v15
	v_cndmask_b32_e64 v34, v63, v14, s[6:7]
	v_cvt_pkrtz_f16_f32 v63, v24, v25
	v_cvt_pkrtz_f16_f32 v24, v52, v53
	;; [unrolled: 1-line block ×3, first 2 shown]
	v_mfma_f32_16x16x16_f16 v[20:23], v[38:39], v[12:13], v[20:23]
	v_cvt_pkrtz_f16_f32 v40, v40, v41
	v_cvt_pkrtz_f16_f32 v41, v46, v47
	v_ashrrev_i32_e32 v51, 31, v50
	v_mfma_f32_16x16x16_f16 v[20:23], v[24:25], v[2:3], v[20:23]
	v_mov_b32_e32 v24, s11
	s_waitcnt lgkmcnt(0)
	v_mul_f32_e32 v54, s4, v24
	v_cvt_pk_f32_fp8_sdwa v[24:25], v15 src0_sel:WORD_1
	v_mfma_f32_16x16x16_f16 v[30:33], v[36:37], v[2:3], v[30:33]
	v_ashrrev_i32_e32 v35, 31, v34
	v_ashrrev_i32_e32 v49, 31, v48
	v_lshl_add_u64 v[36:37], v[50:51], 2, s[8:9]
	v_lshl_add_u64 v[34:35], v[34:35], 2, s[8:9]
	;; [unrolled: 1-line block ×3, first 2 shown]
	global_load_dword v14, v[36:37], off
	global_load_dword v44, v[34:35], off
	;; [unrolled: 1-line block ×3, first 2 shown]
	v_cvt_pkrtz_f16_f32 v46, v60, v61
	v_cvt_pk_f32_fp8_e32 v[48:49], v16
	v_cvt_pk_f32_fp8_sdwa v[50:51], v16 src0_sel:WORD_1
	v_cvt_pkrtz_f16_f32 v47, v24, v25
	v_mfma_f32_16x16x16_f16 v[36:39], v[62:63], v[4:5], v[30:33]
	v_cvt_pkrtz_f16_f32 v24, v48, v49
	v_cvt_pkrtz_f16_f32 v25, v50, v51
	;; [unrolled: 1-line block ×3, first 2 shown]
	v_mfma_f32_16x16x16_f16 v[30:33], v[40:41], v[10:11], 0
	v_cvt_pk_f32_fp8_e32 v[40:41], v17
	v_cvt_pk_f32_fp8_sdwa v[16:17], v17 src0_sel:WORD_1
	v_cvt_pkrtz_f16_f32 v53, v58, v59
	v_mfma_f32_16x16x16_f16 v[46:49], v[46:47], v[12:13], v[30:33]
	s_mov_b32 s33, 0xff7fffff
	s_waitcnt vmcnt(3)
	v_mad_i64_i32 v[34:35], s[4:5], v64, s45, v[18:19]
	v_cvt_pkrtz_f16_f32 v32, v40, v41
	v_cvt_pkrtz_f16_f32 v33, v16, v17
	v_mfma_f32_16x16x16_f16 v[46:49], v[24:25], v[2:3], v[46:49]
	v_cvt_pk_f32_fp8_e32 v[16:17], v6
	v_cvt_pk_f32_fp8_sdwa v[24:25], v6 src0_sel:WORD_1
	v_pk_mul_f32 v[30:31], v[54:55], v[38:39] op_sel_hi:[0,1]
	v_mfma_f32_16x16x16_f16 v[46:49], v[32:33], v[4:5], v[46:49]
	v_cvt_pk_f32_fp8_e32 v[32:33], v7
	v_cvt_pkrtz_f16_f32 v16, v16, v17
	v_cvt_pkrtz_f16_f32 v17, v24, v25
	v_cvt_pk_f32_fp8_sdwa v[6:7], v7 src0_sel:WORD_1
	v_pk_mul_f32 v[38:39], v[54:55], v[36:37] op_sel_hi:[0,1]
	v_cvt_pkrtz_f16_f32 v24, v32, v33
	v_cvt_pk_f32_fp8_e32 v[32:33], v8
	v_cvt_pk_f32_fp8_sdwa v[36:37], v8 src0_sel:WORD_1
	v_cvt_pkrtz_f16_f32 v25, v6, v7
	v_mfma_f32_16x16x16_f16 v[20:23], v[52:53], v[4:5], v[20:23]
	v_mfma_f32_16x16x16_f16 v[50:53], v[16:17], v[10:11], 0
	v_cvt_pkrtz_f16_f32 v10, v32, v33
	v_cvt_pkrtz_f16_f32 v11, v36, v37
	v_cvt_pk_f32_fp8_e32 v[16:17], v9
	v_cvt_pk_f32_fp8_sdwa v[32:33], v9 src0_sel:WORD_1
	v_mfma_f32_16x16x16_f16 v[6:9], v[24:25], v[12:13], v[50:53]
	s_nop 0
	v_pk_mul_f32 v[36:37], v[54:55], v[22:23] op_sel_hi:[0,1]
	v_cvt_pkrtz_f16_f32 v12, v16, v17
	v_cvt_pkrtz_f16_f32 v13, v32, v33
	v_mfma_f32_16x16x16_f16 v[6:9], v[10:11], v[2:3], v[6:9]
	v_pk_mul_f32 v[40:41], v[54:55], v[20:21] op_sel_hi:[0,1]
	v_pk_mul_f32 v[24:25], v[54:55], v[48:49] op_sel_hi:[0,1]
	v_pk_mul_f32 v[32:33], v[54:55], v[46:47] op_sel_hi:[0,1]
	v_mfma_f32_16x16x16_f16 v[2:5], v[12:13], v[4:5], v[6:9]
	s_nop 6
	v_pk_mul_f32 v[22:23], v[54:55], v[2:3] op_sel_hi:[0,1]
	v_and_b32_e32 v2, 0xc0, v0
	v_add_u32_e32 v2, s16, v2
	v_lshl_or_b32 v2, v42, 2, v2
	v_or_b32_e32 v3, 1, v2
	v_pk_mul_f32 v[20:21], v[54:55], v[4:5] op_sel_hi:[0,1]
	v_subrev_u32_e32 v4, s29, v3
	v_add_u32_e32 v6, 1, v4
	v_add_u32_e32 v7, 2, v4
	;; [unrolled: 1-line block ×3, first 2 shown]
	v_cvt_f32_i32_e32 v6, v6
	v_cvt_f32_i32_e32 v7, v7
	v_cvt_f32_i32_e32 v8, v8
	v_add_u32_e32 v9, 19, v4
	v_fmac_f32_e32 v39, v43, v6
	v_fma_f32 v30, v43, v7, v30
	v_fmac_f32_e32 v31, v43, v8
	v_add_u32_e32 v6, 16, v4
	v_add_u32_e32 v7, 17, v4
	;; [unrolled: 1-line block ×3, first 2 shown]
	v_cvt_f32_i32_e32 v6, v6
	v_cvt_f32_i32_e32 v7, v7
	;; [unrolled: 1-line block ×4, first 2 shown]
	v_fma_f32 v40, v43, v6, v40
	v_fmac_f32_e32 v41, v43, v7
	v_fma_f32 v36, v43, v8, v36
	v_add_u32_e32 v6, 32, v4
	v_add_u32_e32 v7, 33, v4
	;; [unrolled: 1-line block ×3, first 2 shown]
	v_cvt_f32_i32_e32 v6, v6
	v_cvt_f32_i32_e32 v7, v7
	;; [unrolled: 1-line block ×4, first 2 shown]
	v_fmac_f32_e32 v37, v43, v9
	v_add_u32_e32 v9, 35, v4
	v_fma_f32 v32, v43, v6, v32
	v_fmac_f32_e32 v33, v43, v7
	v_fma_f32 v24, v43, v8, v24
	v_add_u32_e32 v6, 48, v4
	v_add_u32_e32 v7, 49, v4
	;; [unrolled: 1-line block ×4, first 2 shown]
	v_cvt_f32_i32_e32 v4, v4
	v_cvt_f32_i32_e32 v6, v6
	;; [unrolled: 1-line block ×3, first 2 shown]
	v_fma_f32 v5, v43, v5, v38
	v_fmac_f32_e32 v21, v43, v4
	v_mov_b32_e32 v4, 0xff7fffff
	v_cmp_gt_i32_e64 s[4:5], s29, v2
	v_cmp_gt_i32_e64 s[34:35], s29, v3
	v_fma_f32 v22, v43, v6, v22
	v_cndmask_b32_e64 v6, v4, v5, s[4:5]
	v_cndmask_b32_e64 v3, v4, v39, s[34:35]
	v_fmac_f32_e32 v23, v43, v7
	v_max3_f32 v3, v6, s33, v3
	v_or_b32_e32 v6, 2, v2
	v_or_b32_e32 v7, 3, v2
	v_cmp_gt_i32_e64 s[36:37], s29, v6
	v_cmp_gt_i32_e64 s[38:39], s29, v7
	v_cvt_f32_i32_e32 v9, v9
	v_cndmask_b32_e64 v6, v4, v30, s[36:37]
	v_cndmask_b32_e64 v7, v4, v31, s[38:39]
	v_max3_f32 v3, v3, v6, v7
	v_or_b32_e32 v6, 16, v2
	v_or_b32_e32 v7, 17, v2
	v_cmp_gt_i32_e64 s[24:25], s29, v6
	v_cmp_gt_i32_e64 s[26:27], s29, v7
	v_fmac_f32_e32 v25, v43, v9
	v_cndmask_b32_e64 v6, v4, v40, s[24:25]
	v_cndmask_b32_e64 v7, v4, v41, s[26:27]
	v_max3_f32 v3, v3, v6, v7
	v_or_b32_e32 v6, 18, v2
	v_or_b32_e32 v7, 19, v2
	v_cmp_gt_i32_e64 s[20:21], s29, v6
	v_cmp_gt_i32_e64 s[22:23], s29, v7
	v_cvt_f32_i32_e32 v8, v8
	v_cndmask_b32_e64 v6, v4, v36, s[20:21]
	v_cndmask_b32_e64 v7, v4, v37, s[22:23]
	v_max3_f32 v3, v3, v6, v7
	v_or_b32_e32 v6, 32, v2
	v_or_b32_e32 v7, 33, v2
	v_cmp_gt_i32_e64 s[16:17], s29, v6
	v_cmp_gt_i32_e64 s[18:19], s29, v7
	v_fma_f32 v20, v43, v8, v20
	v_cndmask_b32_e64 v6, v4, v32, s[16:17]
	v_cndmask_b32_e64 v7, v4, v33, s[18:19]
	v_max3_f32 v3, v3, v6, v7
	v_or_b32_e32 v6, 34, v2
	v_or_b32_e32 v7, 35, v2
	v_cmp_gt_i32_e64 s[12:13], s29, v6
	v_cmp_gt_i32_e64 s[14:15], s29, v7
	s_nop 0
	v_cndmask_b32_e64 v6, v4, v24, s[12:13]
	v_cndmask_b32_e64 v7, v4, v25, s[14:15]
	v_max3_f32 v3, v3, v6, v7
	v_or_b32_e32 v6, 48, v2
	v_or_b32_e32 v7, 49, v2
	v_cmp_gt_i32_e64 s[8:9], s29, v6
	v_cmp_gt_i32_e64 s[10:11], s29, v7
	s_nop 0
	v_cndmask_b32_e64 v6, v4, v22, s[8:9]
	v_cndmask_b32_e64 v7, v4, v23, s[10:11]
	v_max3_f32 v3, v3, v6, v7
	v_or_b32_e32 v6, 50, v2
	v_or_b32_e32 v2, 51, v2
	v_cmp_gt_i32_e32 vcc, s29, v6
	v_cmp_gt_i32_e64 s[6:7], s29, v2
	s_nop 0
	v_cndmask_b32_e32 v6, v4, v20, vcc
	v_cndmask_b32_e64 v2, v4, v21, s[6:7]
	v_max3_f32 v4, v3, v6, v2
	v_mbcnt_lo_u32_b32 v2, -1, 0
	v_mbcnt_hi_u32_b32 v6, -1, v2
	v_and_b32_e32 v2, 64, v6
	v_add_u32_e32 v7, 64, v2
	v_xor_b32_e32 v2, 32, v6
	v_cmp_lt_i32_e64 s[40:41], v2, v7
	s_nop 1
	v_cndmask_b32_e64 v2, v6, v2, s[40:41]
	v_lshlrev_b32_e32 v43, 2, v2
	ds_bpermute_b32 v8, v43, v4
	s_waitcnt vmcnt(2)
	v_mad_i64_i32 v[2:3], s[40:41], v14, s45, v[18:19]
	global_load_dwordx4 v[14:17], v[34:35], off
	global_load_dwordx4 v[10:13], v[2:3], off
	v_xor_b32_e32 v3, 16, v6
	v_cmp_lt_i32_e64 s[40:41], v3, v7
	s_waitcnt lgkmcnt(0)
	v_max_f32_e32 v2, v8, v8
	v_max_f32_e32 v2, v4, v2
	v_cndmask_b32_e64 v3, v6, v3, s[40:41]
	v_lshlrev_b32_e32 v46, 2, v3
	ds_bpermute_b32 v3, v46, v2
	s_waitcnt vmcnt(3)
	v_mad_i64_i32 v[34:35], s[40:41], v44, s45, v[18:19]
	s_waitcnt vmcnt(2)
	v_mad_i64_i32 v[18:19], s[40:41], v45, s45, v[18:19]
	s_waitcnt lgkmcnt(0)
	v_max_f32_e32 v3, v3, v3
	v_max_f32_e32 v38, v2, v3
	v_sub_f32_e32 v2, v5, v38
	v_mul_f32_e32 v2, 0x3fb8aa3b, v2
	v_exp_f32_e32 v44, v2
	v_sub_f32_e32 v2, v39, v38
	v_mul_f32_e32 v2, 0x3fb8aa3b, v2
	v_exp_f32_e32 v39, v2
	global_load_dwordx4 v[6:9], v[34:35], off
	global_load_dwordx4 v[2:5], v[18:19], off
	v_sub_f32_e32 v30, v30, v38
	v_mul_f32_e32 v30, 0x3fb8aa3b, v30
	v_sub_f32_e32 v31, v31, v38
	v_exp_f32_e32 v30, v30
	v_mul_f32_e32 v31, 0x3fb8aa3b, v31
	v_exp_f32_e32 v31, v31
	v_cndmask_b32_e64 v18, 0, v44, s[4:5]
	v_add_f32_e32 v34, 0, v18
	v_cndmask_b32_e64 v19, 0, v39, s[34:35]
	v_add_f32_e32 v35, v34, v19
	;; [unrolled: 2-line block ×3, first 2 shown]
	v_cndmask_b32_e64 v35, 0, v31, s[38:39]
	v_sub_f32_e32 v31, v40, v38
	v_mul_f32_e32 v31, 0x3fb8aa3b, v31
	v_sub_f32_e32 v39, v41, v38
	v_exp_f32_e32 v31, v31
	v_mul_f32_e32 v39, 0x3fb8aa3b, v39
	v_sub_f32_e32 v36, v36, v38
	v_exp_f32_e32 v39, v39
	;; [unrolled: 3-line block ×4, first 2 shown]
	v_mul_f32_e32 v32, 0x3fb8aa3b, v32
	v_sub_f32_e32 v33, v33, v38
	v_add_f32_e32 v40, v30, v35
	v_cndmask_b32_e64 v30, 0, v31, s[24:25]
	v_exp_f32_e32 v32, v32
	v_mul_f32_e32 v33, 0x3fb8aa3b, v33
	v_sub_f32_e32 v24, v24, v38
	v_add_f32_e32 v40, v40, v30
	v_cndmask_b32_e64 v31, 0, v39, s[26:27]
	v_exp_f32_e32 v33, v33
	;; [unrolled: 5-line block ×7, first 2 shown]
	v_mul_f32_e32 v21, 0x3fb8aa3b, v21
	v_add_f32_e32 v39, v39, v24
	v_cndmask_b32_e64 v25, 0, v25, s[14:15]
	v_exp_f32_e32 v21, v21
	v_add_f32_e32 v39, v39, v25
	v_cndmask_b32_e64 v22, 0, v22, s[8:9]
	v_add_f32_e32 v39, v39, v22
	v_cndmask_b32_e64 v23, 0, v23, s[10:11]
	v_add_f32_e32 v39, v39, v23
	v_cndmask_b32_e32 v20, 0, v20, vcc
	v_add_f32_e32 v39, v39, v20
	v_cndmask_b32_e64 v21, 0, v21, s[6:7]
	v_add_f32_e32 v39, v39, v21
	ds_bpermute_b32 v40, v43, v39
	s_load_dword s7, s[0:1], 0x98
	v_cmp_gt_u32_e32 vcc, 16, v27
	s_waitcnt lgkmcnt(0)
	s_barrier
	v_add_f32_e32 v40, v39, v40
	ds_bpermute_b32 v41, v46, v40
	v_lshlrev_b32_e32 v39, 2, v28
	s_waitcnt lgkmcnt(0)
	s_and_saveexec_b64 s[4:5], vcc
	s_cbranch_execz .LBB818_15
; %bb.14:
	v_add_f32_e32 v27, v40, v41
	v_lshl_or_b32 v40, v29, 6, v39
	ds_write2st64_b32 v40, v38, v27 offset1:1
.LBB818_15:
	s_or_b64 exec, exec, s[4:5]
	s_load_dword s6, s[0:1], 0x94
	s_waitcnt lgkmcnt(0)
	s_barrier
	ds_read2_b32 v[40:41], v39 offset1:16
	ds_read2_b32 v[44:45], v39 offset0:32 offset1:48
	ds_read2_b32 v[46:47], v39 offset0:64 offset1:80
	s_mul_i32 s7, s7, 11
	s_waitcnt lgkmcnt(2)
	v_max3_f32 v27, v40, s33, v41
	s_waitcnt lgkmcnt(1)
	v_max3_f32 v27, v27, v44, v45
	v_sub_f32_e32 v38, v40, v27
	v_mul_f32_e32 v38, 0x3fb8aa3b, v38
	v_exp_f32_e32 v43, v38
	v_sub_f32_e32 v38, v41, v27
	v_mul_f32_e32 v38, 0x3fb8aa3b, v38
	v_exp_f32_e32 v48, v38
	;; [unrolled: 3-line block ×3, first 2 shown]
	ds_read2_b32 v[40:41], v39 offset0:96 offset1:112
	v_sub_f32_e32 v38, v45, v27
	v_mul_f32_e32 v38, 0x3fb8aa3b, v38
	v_exp_f32_e32 v39, v38
	s_waitcnt lgkmcnt(1)
	v_fma_f32 v38, v43, v46, 0
	v_fmac_f32_e32 v38, v48, v47
	s_waitcnt lgkmcnt(0)
	v_fmac_f32_e32 v38, v44, v40
	v_fmac_f32_e32 v38, v39, v41
	v_add_f32_e32 v40, 0x358637bd, v38
	v_div_scale_f32 v41, s[4:5], v40, v40, 1.0
	v_rcp_f32_e32 v45, v41
	s_barrier
	v_fma_f32 v46, -v41, v45, 1.0
	v_fmac_f32_e32 v45, v46, v45
	v_div_scale_f32 v46, vcc, 1.0, v40, 1.0
	v_mul_f32_e32 v47, v46, v45
	v_fma_f32 v49, -v41, v47, v46
	v_fmac_f32_e32 v47, v49, v45
	v_fma_f32 v41, -v41, v47, v46
	v_div_fmas_f32 v41, v41, v45, v47
	v_cmp_eq_u32_e32 vcc, 1, v29
	v_div_fixup_f32 v40, v41, v40, 1.0
	s_nop 0
	v_cndmask_b32_e32 v41, v43, v48, vcc
	v_cmp_eq_u32_e32 vcc, 2, v29
	s_nop 1
	v_cndmask_b32_e32 v41, v41, v44, vcc
	v_cmp_eq_u32_e32 vcc, 3, v29
	v_lshlrev_b32_e32 v29, 11, v29
	s_nop 0
	v_cndmask_b32_e32 v39, v41, v39, vcc
	v_mul_f32_e32 v40, v39, v40
	v_pk_mul_f32 v[18:19], v[40:41], v[18:19] op_sel_hi:[0,1]
	v_pk_mul_f32 v[34:35], v[40:41], v[34:35] op_sel_hi:[0,1]
	v_cvt_f16_f32_e32 v18, v18
	v_cvt_f16_f32_e32 v19, v19
	v_pk_mul_f32 v[36:37], v[40:41], v[36:37] op_sel_hi:[0,1]
	v_pk_mul_f32 v[30:31], v[40:41], v[30:31] op_sel_hi:[0,1]
	v_cvt_f16_f32_e32 v39, v34
	v_cvt_f16_f32_e32 v35, v35
	;; [unrolled: 1-line block ×6, first 2 shown]
	v_pack_b32_f16 v34, v18, v19
	v_lshlrev_b32_e32 v18, 3, v42
	v_lshlrev_b32_e32 v19, 5, v28
	v_pack_b32_f16 v35, v39, v35
	v_or3_b32 v18, v29, v19, v18
	v_pack_b32_f16 v30, v30, v31
	v_pack_b32_f16 v31, v36, v37
	ds_write2st64_b64 v18, v[34:35], v[30:31] offset1:1
	v_pk_mul_f32 v[24:25], v[40:41], v[24:25] op_sel_hi:[0,1]
	v_pk_mul_f32 v[30:31], v[40:41], v[32:33] op_sel_hi:[0,1]
	;; [unrolled: 1-line block ×4, first 2 shown]
	v_cvt_f16_f32_e32 v29, v30
	v_cvt_f16_f32_e32 v30, v31
	;; [unrolled: 1-line block ×8, first 2 shown]
	v_pack_b32_f16 v20, v29, v30
	v_pack_b32_f16 v21, v24, v25
	;; [unrolled: 1-line block ×4, first 2 shown]
	v_cmp_gt_u32_e32 vcc, 11, v0
	ds_write2st64_b64 v18, v[20:21], v[22:23] offset0:2 offset1:3
	s_and_saveexec_b64 s[4:5], vcc
	s_cbranch_execz .LBB818_17
; %bb.16:
	s_mov_b32 s49, 0
	v_mov_b32_e32 v29, 0
	v_lshl_add_u64 v[20:21], s[48:49], 0, v[28:29]
	v_mov_b32_e32 v22, s7
	v_mad_u64_u32 v[20:21], s[12:13], s2, v22, v[20:21]
	s_mul_i32 s3, s3, s7
	v_mov_b32_e32 v28, s28
	s_load_dwordx4 s[8:11], s[0:1], 0x58
	v_add_u32_e32 v23, s3, v21
	v_mad_u64_u32 v[20:21], s[12:13], v20, s6, v[28:29]
	v_mov_b32_e32 v22, v21
	v_mad_u64_u32 v[22:23], s[12:13], v23, s6, v[22:23]
	v_mov_b32_e32 v21, v22
	v_lshlrev_b64 v[20:21], 2, v[20:21]
	s_waitcnt lgkmcnt(0)
	v_lshl_add_u64 v[22:23], s[10:11], 0, v[20:21]
	v_lshl_add_u64 v[20:21], s[8:9], 0, v[20:21]
	global_store_dword v[22:23], v27, off
	global_store_dword v[20:21], v38, off
.LBB818_17:
	s_or_b64 exec, exec, s[4:5]
	s_waitcnt vmcnt(3)
	v_cvt_pk_f32_fp8_e32 v[20:21], v14
	v_cvt_pk_f32_fp8_sdwa v[22:23], v14 src0_sel:WORD_1
	v_lshl_or_b32 v14, v42, 9, v19
	s_waitcnt lgkmcnt(0)
	s_barrier
	v_cvt_pk_f32_fp8_e32 v[24:25], v15
	v_cvt_pkrtz_f16_f32 v32, v20, v21
	v_cvt_pkrtz_f16_f32 v33, v22, v23
	v_cvt_pk_f32_fp8_sdwa v[28:29], v15 src0_sel:WORD_1
	ds_read_b128 v[20:23], v14
	v_cvt_pkrtz_f16_f32 v24, v24, v25
	v_cvt_pk_f32_fp8_e32 v[36:37], v16
	v_cvt_pkrtz_f16_f32 v25, v28, v29
	ds_read_b128 v[28:31], v14 offset:16
	v_cvt_pk_f32_fp8_sdwa v[38:39], v16 src0_sel:WORD_1
	s_waitcnt lgkmcnt(1)
	v_mfma_f32_16x16x16_f16 v[32:35], v[32:33], v[20:21], 0
	v_cvt_pkrtz_f16_f32 v36, v36, v37
	s_load_dword s4, s[42:43], 0x0
	v_cvt_pkrtz_f16_f32 v37, v38, v39
	v_cvt_pk_f32_fp8_e32 v[38:39], v17
	v_cvt_pk_f32_fp8_sdwa v[16:17], v17 src0_sel:WORD_1
	v_mfma_f32_16x16x16_f16 v[20:23], v[24:25], v[22:23], v[32:35]
	v_cmp_gt_u32_e32 vcc, 64, v0
	v_cvt_pkrtz_f16_f32 v24, v38, v39
	v_cvt_pkrtz_f16_f32 v25, v16, v17
	s_waitcnt lgkmcnt(0)
	v_mfma_f32_16x16x16_f16 v[20:23], v[36:37], v[28:29], v[20:23]
	s_waitcnt vmcnt(2)
	v_cvt_pk_f32_fp8_e32 v[16:17], v10
	v_cvt_pk_f32_fp8_e32 v[28:29], v11
	v_cvt_pk_f32_fp8_sdwa v[36:37], v12 src0_sel:WORD_1
	v_mfma_f32_16x16x16_f16 v[20:23], v[24:25], v[30:31], v[20:23]
	v_cvt_pk_f32_fp8_sdwa v[24:25], v10 src0_sel:WORD_1
	v_cvt_pkrtz_f16_f32 v10, v16, v17
	v_cvt_pk_f32_fp8_sdwa v[16:17], v11 src0_sel:WORD_1
	ds_read_b128 v[32:35], v14 offset:2064
	v_cvt_pkrtz_f16_f32 v11, v24, v25
	v_cvt_pkrtz_f16_f32 v24, v28, v29
	ds_read_b128 v[28:31], v14 offset:2048
	v_cvt_pkrtz_f16_f32 v25, v16, v17
	v_cvt_pk_f32_fp8_e32 v[16:17], v12
	s_waitcnt lgkmcnt(0)
	v_mfma_f32_16x16x16_f16 v[20:23], v[10:11], v[28:29], v[20:23]
	v_cvt_pkrtz_f16_f32 v10, v16, v17
	v_cvt_pkrtz_f16_f32 v11, v36, v37
	v_cvt_pk_f32_fp8_e32 v[16:17], v13
	v_mfma_f32_16x16x16_f16 v[20:23], v[24:25], v[30:31], v[20:23]
	v_cvt_pk_f32_fp8_sdwa v[24:25], v13 src0_sel:WORD_1
	ds_read_b128 v[28:31], v14 offset:4112
	v_cvt_pkrtz_f16_f32 v16, v16, v17
	v_mfma_f32_16x16x16_f16 v[10:13], v[10:11], v[32:33], v[20:23]
	v_cvt_pkrtz_f16_f32 v17, v24, v25
	s_waitcnt vmcnt(1)
	v_cvt_pk_f32_fp8_sdwa v[24:25], v7 src0_sel:WORD_1
	v_cvt_pk_f32_fp8_sdwa v[32:33], v8 src0_sel:WORD_1
	v_cvt_pk_f32_fp8_e32 v[20:21], v6
	v_mfma_f32_16x16x16_f16 v[10:13], v[16:17], v[34:35], v[10:13]
	v_cvt_pk_f32_fp8_sdwa v[16:17], v6 src0_sel:WORD_1
	v_cvt_pk_f32_fp8_e32 v[22:23], v7
	v_cvt_pkrtz_f16_f32 v6, v20, v21
	s_mov_b32 s3, 0
	v_cvt_pkrtz_f16_f32 v7, v16, v17
	v_cvt_pkrtz_f16_f32 v16, v22, v23
	ds_read_b128 v[20:23], v14 offset:4096
	v_cvt_pkrtz_f16_f32 v17, v24, v25
	v_cvt_pk_f32_fp8_e32 v[24:25], v8
	s_waitcnt lgkmcnt(0)
	v_mfma_f32_16x16x16_f16 v[10:13], v[6:7], v[20:21], v[10:13]
	v_cvt_pkrtz_f16_f32 v6, v24, v25
	v_cvt_pkrtz_f16_f32 v7, v32, v33
	v_cvt_pk_f32_fp8_e32 v[20:21], v9
	v_mfma_f32_16x16x16_f16 v[10:13], v[16:17], v[22:23], v[10:13]
	v_cvt_pk_f32_fp8_sdwa v[16:17], v9 src0_sel:WORD_1
	s_waitcnt vmcnt(0)
	v_cvt_pk_f32_fp8_sdwa v[24:25], v4 src0_sel:WORD_1
	v_cvt_pkrtz_f16_f32 v20, v20, v21
	v_mfma_f32_16x16x16_f16 v[6:9], v[6:7], v[28:29], v[10:13]
	v_cvt_pkrtz_f16_f32 v21, v16, v17
	v_cvt_pk_f32_fp8_e32 v[16:17], v3
	v_mov_b32_e32 v27, 0
	v_cvt_pk_f32_fp8_e32 v[10:11], v2
	v_cvt_pk_f32_fp8_sdwa v[12:13], v2 src0_sel:WORD_1
	v_mfma_f32_16x16x16_f16 v[6:9], v[20:21], v[30:31], v[6:9]
	v_cvt_pk_f32_fp8_sdwa v[20:21], v3 src0_sel:WORD_1
	v_cvt_pkrtz_f16_f32 v2, v10, v11
	v_cvt_pkrtz_f16_f32 v3, v12, v13
	ds_read_b128 v[10:13], v14 offset:6144
	v_cvt_pkrtz_f16_f32 v22, v16, v17
	v_cvt_pkrtz_f16_f32 v23, v20, v21
	v_cvt_pk_f32_fp8_e32 v[20:21], v4
	s_waitcnt lgkmcnt(0)
	v_mfma_f32_16x16x16_f16 v[6:9], v[2:3], v[10:11], v[6:9]
	ds_read_b128 v[14:17], v14 offset:6160
	v_cvt_pkrtz_f16_f32 v2, v20, v21
	v_cvt_pkrtz_f16_f32 v3, v24, v25
	v_cvt_pk_f32_fp8_e32 v[10:11], v5
	v_mfma_f32_16x16x16_f16 v[6:9], v[22:23], v[12:13], v[6:9]
	v_cvt_pk_f32_fp8_sdwa v[12:13], v5 src0_sel:WORD_1
	s_waitcnt lgkmcnt(0)
	v_cvt_pkrtz_f16_f32 v10, v10, v11
	v_mfma_f32_16x16x16_f16 v[2:5], v[2:3], v[14:15], v[6:9]
	v_cvt_pkrtz_f16_f32 v11, v12, v13
	s_barrier
	s_nop 0
	v_mfma_f32_16x16x16_f16 v[2:5], v[10:11], v[16:17], v[2:5]
	s_nop 6
	v_pk_mul_f32 v[4:5], v[4:5], s[4:5] op_sel_hi:[1,0]
	v_pk_mul_f32 v[2:3], v[2:3], s[4:5] op_sel_hi:[1,0]
	v_cvt_f16_f32_e32 v4, v4
	v_cvt_f16_f32_e32 v2, v2
	;; [unrolled: 1-line block ×4, first 2 shown]
	s_and_b64 s[4:5], vcc, s[30:31]
	v_pack_b32_f16 v2, v2, v3
	v_pack_b32_f16 v3, v4, v5
	ds_write_b64 v18, v[2:3]
	s_waitcnt lgkmcnt(0)
	s_barrier
	s_and_saveexec_b64 s[8:9], s[4:5]
	s_cbranch_execz .LBB818_20
; %bb.18:
	s_load_dwordx2 s[4:5], s[0:1], 0x68
	s_lshl_b32 s0, s6, 6
	s_mul_i32 s1, s7, s2
	s_mul_hi_u32 s7, s1, s0
	s_mul_i32 s6, s1, s0
	v_lshlrev_b32_e32 v0, 10, v0
	s_lshl_b64 s[6:7], s[6:7], 1
	v_and_b32_e32 v0, 0x1800, v0
	v_lshlrev_b32_e32 v2, 5, v42
	v_and_b32_e32 v1, 16, v1
	s_waitcnt lgkmcnt(0)
	s_add_u32 s1, s4, s6
	v_or3_b32 v2, v0, v2, v1
	s_addc_u32 s4, s5, s7
	s_lshl_b32 s2, s28, 6
	s_lshl_b64 s[2:3], s[2:3], 1
	ds_read_b128 v[4:7], v2 offset:128
	ds_read_b128 v[8:11], v2
	s_add_u32 s2, s1, s2
	s_addc_u32 s3, s4, s3
	v_add_u32_e32 v3, s48, v42
	v_lshl_add_u64 v[0:1], s[2:3], 0, v[26:27]
	v_mad_u64_u32 v[12:13], s[2:3], v3, s0, 0
	v_lshl_add_u64 v[12:13], v[12:13], 1, v[0:1]
	v_add_u32_e32 v3, 4, v3
	s_waitcnt lgkmcnt(0)
	global_store_dwordx4 v[12:13], v[8:11], off
	v_cmp_ne_u32_e32 vcc, 3, v42
	s_nop 0
	v_mad_u64_u32 v[8:9], s[2:3], v3, s0, 0
	v_lshl_add_u64 v[8:9], v[8:9], 1, v[0:1]
	global_store_dwordx4 v[8:9], v[4:7], off
	s_and_b64 exec, exec, vcc
	s_cbranch_execz .LBB818_20
; %bb.19:
	ds_read_b128 v[2:5], v2 offset:256
	v_add3_u32 v6, s48, v42, 8
	v_mad_u64_u32 v[6:7], s[0:1], v6, s0, 0
	v_lshl_add_u64 v[0:1], v[6:7], 1, v[0:1]
	s_waitcnt lgkmcnt(0)
	global_store_dwordx4 v[0:1], v[2:5], off
.LBB818_20:
	s_endpgm
	.section	.rodata,"a",@progbits
	.p2align	6, 0x0
	.amdhsa_kernel _Z39paged_attention_ll4mi_QKV_mfma16_kernelIDF16_hLN4vllm18Fp8KVCacheDataTypeE1EDF16_Li16ELi64ELi256ELb1ELi11EEvPKT_PKT0_S7_ifPKiS9_S9_iPKfiiiPfSC_PS2_PT2_iSB_SB_
		.amdhsa_group_segment_fixed_size 8192
		.amdhsa_private_segment_fixed_size 0
		.amdhsa_kernarg_size 400
		.amdhsa_user_sgpr_count 2
		.amdhsa_user_sgpr_dispatch_ptr 0
		.amdhsa_user_sgpr_queue_ptr 0
		.amdhsa_user_sgpr_kernarg_segment_ptr 1
		.amdhsa_user_sgpr_dispatch_id 0
		.amdhsa_user_sgpr_kernarg_preload_length 0
		.amdhsa_user_sgpr_kernarg_preload_offset 0
		.amdhsa_user_sgpr_private_segment_size 0
		.amdhsa_uses_dynamic_stack 0
		.amdhsa_enable_private_segment 0
		.amdhsa_system_sgpr_workgroup_id_x 1
		.amdhsa_system_sgpr_workgroup_id_y 1
		.amdhsa_system_sgpr_workgroup_id_z 1
		.amdhsa_system_sgpr_workgroup_info 0
		.amdhsa_system_vgpr_workitem_id 0
		.amdhsa_next_free_vgpr 67
		.amdhsa_next_free_sgpr 50
		.amdhsa_accum_offset 68
		.amdhsa_reserve_vcc 1
		.amdhsa_float_round_mode_32 0
		.amdhsa_float_round_mode_16_64 0
		.amdhsa_float_denorm_mode_32 3
		.amdhsa_float_denorm_mode_16_64 3
		.amdhsa_dx10_clamp 1
		.amdhsa_ieee_mode 1
		.amdhsa_fp16_overflow 0
		.amdhsa_tg_split 0
		.amdhsa_exception_fp_ieee_invalid_op 0
		.amdhsa_exception_fp_denorm_src 0
		.amdhsa_exception_fp_ieee_div_zero 0
		.amdhsa_exception_fp_ieee_overflow 0
		.amdhsa_exception_fp_ieee_underflow 0
		.amdhsa_exception_fp_ieee_inexact 0
		.amdhsa_exception_int_div_zero 0
	.end_amdhsa_kernel
	.section	.text._Z39paged_attention_ll4mi_QKV_mfma16_kernelIDF16_hLN4vllm18Fp8KVCacheDataTypeE1EDF16_Li16ELi64ELi256ELb1ELi11EEvPKT_PKT0_S7_ifPKiS9_S9_iPKfiiiPfSC_PS2_PT2_iSB_SB_,"axG",@progbits,_Z39paged_attention_ll4mi_QKV_mfma16_kernelIDF16_hLN4vllm18Fp8KVCacheDataTypeE1EDF16_Li16ELi64ELi256ELb1ELi11EEvPKT_PKT0_S7_ifPKiS9_S9_iPKfiiiPfSC_PS2_PT2_iSB_SB_,comdat
.Lfunc_end818:
	.size	_Z39paged_attention_ll4mi_QKV_mfma16_kernelIDF16_hLN4vllm18Fp8KVCacheDataTypeE1EDF16_Li16ELi64ELi256ELb1ELi11EEvPKT_PKT0_S7_ifPKiS9_S9_iPKfiiiPfSC_PS2_PT2_iSB_SB_, .Lfunc_end818-_Z39paged_attention_ll4mi_QKV_mfma16_kernelIDF16_hLN4vllm18Fp8KVCacheDataTypeE1EDF16_Li16ELi64ELi256ELb1ELi11EEvPKT_PKT0_S7_ifPKiS9_S9_iPKfiiiPfSC_PS2_PT2_iSB_SB_
                                        ; -- End function
	.section	.AMDGPU.csdata,"",@progbits
; Kernel info:
; codeLenInByte = 4868
; NumSgprs: 56
; NumVgprs: 67
; NumAgprs: 0
; TotalNumVgprs: 67
; ScratchSize: 0
; MemoryBound: 0
; FloatMode: 240
; IeeeMode: 1
; LDSByteSize: 8192 bytes/workgroup (compile time only)
; SGPRBlocks: 6
; VGPRBlocks: 8
; NumSGPRsForWavesPerEU: 56
; NumVGPRsForWavesPerEU: 67
; AccumOffset: 68
; Occupancy: 7
; WaveLimiterHint : 1
; COMPUTE_PGM_RSRC2:SCRATCH_EN: 0
; COMPUTE_PGM_RSRC2:USER_SGPR: 2
; COMPUTE_PGM_RSRC2:TRAP_HANDLER: 0
; COMPUTE_PGM_RSRC2:TGID_X_EN: 1
; COMPUTE_PGM_RSRC2:TGID_Y_EN: 1
; COMPUTE_PGM_RSRC2:TGID_Z_EN: 1
; COMPUTE_PGM_RSRC2:TIDIG_COMP_CNT: 0
; COMPUTE_PGM_RSRC3_GFX90A:ACCUM_OFFSET: 16
; COMPUTE_PGM_RSRC3_GFX90A:TG_SPLIT: 0
	.section	.text._Z39paged_attention_ll4mi_QKV_mfma16_kernelIDF16_hLN4vllm18Fp8KVCacheDataTypeE1EDF16_Li16ELi64ELi256ELb1ELi12EEvPKT_PKT0_S7_ifPKiS9_S9_iPKfiiiPfSC_PS2_PT2_iSB_SB_,"axG",@progbits,_Z39paged_attention_ll4mi_QKV_mfma16_kernelIDF16_hLN4vllm18Fp8KVCacheDataTypeE1EDF16_Li16ELi64ELi256ELb1ELi12EEvPKT_PKT0_S7_ifPKiS9_S9_iPKfiiiPfSC_PS2_PT2_iSB_SB_,comdat
	.protected	_Z39paged_attention_ll4mi_QKV_mfma16_kernelIDF16_hLN4vllm18Fp8KVCacheDataTypeE1EDF16_Li16ELi64ELi256ELb1ELi12EEvPKT_PKT0_S7_ifPKiS9_S9_iPKfiiiPfSC_PS2_PT2_iSB_SB_ ; -- Begin function _Z39paged_attention_ll4mi_QKV_mfma16_kernelIDF16_hLN4vllm18Fp8KVCacheDataTypeE1EDF16_Li16ELi64ELi256ELb1ELi12EEvPKT_PKT0_S7_ifPKiS9_S9_iPKfiiiPfSC_PS2_PT2_iSB_SB_
	.globl	_Z39paged_attention_ll4mi_QKV_mfma16_kernelIDF16_hLN4vllm18Fp8KVCacheDataTypeE1EDF16_Li16ELi64ELi256ELb1ELi12EEvPKT_PKT0_S7_ifPKiS9_S9_iPKfiiiPfSC_PS2_PT2_iSB_SB_
	.p2align	8
	.type	_Z39paged_attention_ll4mi_QKV_mfma16_kernelIDF16_hLN4vllm18Fp8KVCacheDataTypeE1EDF16_Li16ELi64ELi256ELb1ELi12EEvPKT_PKT0_S7_ifPKiS9_S9_iPKfiiiPfSC_PS2_PT2_iSB_SB_,@function
_Z39paged_attention_ll4mi_QKV_mfma16_kernelIDF16_hLN4vllm18Fp8KVCacheDataTypeE1EDF16_Li16ELi64ELi256ELb1ELi12EEvPKT_PKT0_S7_ifPKiS9_S9_iPKfiiiPfSC_PS2_PT2_iSB_SB_: ; @_Z39paged_attention_ll4mi_QKV_mfma16_kernelIDF16_hLN4vllm18Fp8KVCacheDataTypeE1EDF16_Li16ELi64ELi256ELb1ELi12EEvPKT_PKT0_S7_ifPKiS9_S9_iPKfiiiPfSC_PS2_PT2_iSB_SB_
; %bb.0:
	s_load_dwordx2 s[6:7], s[0:1], 0x30
	s_mov_b32 s28, s3
	s_mov_b64 s[8:9], 0
	s_waitcnt lgkmcnt(0)
	s_cmp_lg_u64 s[6:7], 0
	s_cselect_b64 s[10:11], -1, 0
	s_and_b64 vcc, exec, s[10:11]
	s_cbranch_vccz .LBB819_7
; %bb.1:
	s_add_i32 s12, s2, 1
	s_mov_b32 s13, 0
	s_lshl_b64 s[14:15], s[12:13], 2
	s_add_u32 s14, s6, s14
	s_mov_b32 s3, s13
	s_addc_u32 s15, s7, s15
	s_lshl_b64 s[12:13], s[2:3], 2
	s_add_u32 s12, s6, s12
	s_addc_u32 s13, s7, s13
	s_load_dword s5, s[14:15], 0x0
	s_load_dword s16, s[12:13], 0x0
	s_waitcnt lgkmcnt(0)
	s_sub_i32 s5, s5, s16
	s_cmp_eq_u32 s5, 1
	s_cselect_b64 s[12:13], -1, 0
	s_andn2_b64 vcc, exec, s[8:9]
	s_cbranch_vccnz .LBB819_3
.LBB819_2:
	s_mov_b32 s3, 0
	s_mov_b64 s[12:13], -1
.LBB819_3:
	s_andn2_b64 vcc, exec, s[12:13]
	s_cbranch_vccnz .LBB819_19
; %bb.4:
	s_load_dwordx2 s[8:9], s[0:1], 0x28
	s_lshl_b64 s[12:13], s[2:3], 2
	s_waitcnt lgkmcnt(0)
	s_add_u32 s8, s8, s12
	s_addc_u32 s9, s9, s13
	s_load_dword s29, s[8:9], 0x0
	s_lshl_b32 s16, s28, 8
	s_waitcnt lgkmcnt(0)
	s_cmp_ge_i32 s16, s29
	s_cbranch_scc1 .LBB819_19
; %bb.5:
	s_load_dwordx2 s[8:9], s[0:1], 0x20
	s_load_dword s5, s[0:1], 0x38
	s_add_i32 s14, s29, 15
	s_ashr_i32 s15, s14, 31
	v_and_b32_e32 v1, 0xcf, v0
	s_lshr_b32 s15, s15, 28
	v_add_u32_e32 v1, s16, v1
	s_add_i32 s14, s14, s15
	v_ashrrev_i32_e32 v2, 31, v1
	s_ashr_i32 s17, s14, 4
	v_lshrrev_b32_e32 v4, 28, v2
	s_add_i32 s17, s17, -1
	s_waitcnt lgkmcnt(0)
	s_mul_i32 s14, s2, s5
	s_mov_b32 s15, 0
	v_add_u32_e32 v2, v1, v4
	s_lshl_b64 s[14:15], s[14:15], 2
	v_ashrrev_i32_e32 v2, 4, v2
	v_mov_b32_e32 v5, s17
	v_cmp_gt_i32_e32 vcc, s29, v1
	s_add_u32 s8, s8, s14
	s_addc_u32 s9, s9, s15
	v_cndmask_b32_e32 v2, v5, v2, vcc
	v_ashrrev_i32_e32 v3, 31, v2
	v_lshl_add_u64 v[6:7], v[2:3], 2, s[8:9]
	v_or_b32_e32 v2, 16, v1
	v_add_u32_e32 v3, v2, v4
	v_ashrrev_i32_e32 v3, 4, v3
	v_cmp_gt_i32_e32 vcc, s29, v2
	s_load_dwordx2 s[14:15], s[0:1], 0x8
	s_nop 0
	v_cndmask_b32_e32 v2, v5, v3, vcc
	v_ashrrev_i32_e32 v3, 31, v2
	v_lshl_add_u64 v[8:9], v[2:3], 2, s[8:9]
	v_or_b32_e32 v2, 32, v1
	v_add_u32_e32 v3, v2, v4
	v_ashrrev_i32_e32 v3, 4, v3
	v_cmp_gt_i32_e32 vcc, s29, v2
	v_or_b32_e32 v1, 48, v1
	s_nop 0
	v_cndmask_b32_e32 v2, v5, v3, vcc
	v_ashrrev_i32_e32 v3, 31, v2
	v_lshl_add_u64 v[10:11], v[2:3], 2, s[8:9]
	v_add_u32_e32 v2, v1, v4
	v_ashrrev_i32_e32 v2, 4, v2
	v_cmp_gt_i32_e32 vcc, s29, v1
	s_nop 1
	v_cndmask_b32_e32 v2, v5, v2, vcc
	v_ashrrev_i32_e32 v3, 31, v2
	v_lshl_add_u64 v[12:13], v[2:3], 2, s[8:9]
	global_load_dword v5, v[6:7], off
	global_load_dword v4, v[8:9], off
	;; [unrolled: 1-line block ×4, first 2 shown]
	s_andn2_b64 vcc, exec, s[10:11]
	s_cbranch_vccnz .LBB819_8
; %bb.6:
	s_add_u32 s6, s6, s12
	s_addc_u32 s7, s7, s13
	s_load_dword s5, s[6:7], 0x0
	s_branch .LBB819_9
.LBB819_7:
	s_mov_b64 s[12:13], 0
	s_branch .LBB819_2
.LBB819_8:
	s_mov_b32 s5, s2
.LBB819_9:
	s_load_dwordx2 s[6:7], s[0:1], 0x10
	s_load_dwordx4 s[44:47], s[0:1], 0x48
	v_and_b32_e32 v28, 15, v0
	s_movk_i32 s10, 0xc0
	v_lshlrev_b32_e32 v6, 3, v28
	v_cmp_gt_u32_e32 vcc, s10, v0
	v_cmp_gt_u32_e64 s[30:31], 8, v28
	v_lshrrev_b32_e32 v29, 6, v0
	v_bfe_u32 v1, v0, 4, 2
	s_mul_i32 s48, s4, 12
	s_and_b64 s[12:13], vcc, s[30:31]
	v_lshlrev_b32_e32 v26, 1, v6
	v_lshlrev_b32_e32 v42, 4, v0
	s_and_saveexec_b64 s[10:11], s[12:13]
	s_cbranch_execz .LBB819_11
; %bb.10:
	s_load_dwordx2 s[12:13], s[0:1], 0x0
	s_waitcnt lgkmcnt(0)
	s_ashr_i32 s18, s44, 31
	s_mul_hi_u32 s19, s5, s44
	s_mul_i32 s18, s5, s18
	s_add_i32 s19, s19, s18
	s_mul_i32 s18, s5, s44
	v_lshl_or_b32 v10, v29, 2, v1
	s_lshl_b64 s[18:19], s[18:19], 1
	s_add_u32 s12, s12, s18
	v_add_lshl_u32 v6, v10, s48, 6
	s_addc_u32 s13, s13, s19
	v_ashrrev_i32_e32 v7, 31, v6
	v_lshl_add_u64 v[6:7], v[6:7], 1, s[12:13]
	v_mov_b32_e32 v27, 0
	v_lshl_add_u64 v[6:7], v[6:7], 0, v[26:27]
	global_load_dwordx4 v[6:9], v[6:7], off
	v_lshlrev_b32_e32 v12, 8, v28
	v_lshlrev_b32_e32 v10, 5, v10
	v_and_b32_e32 v11, 16, v42
	v_and_b32_e32 v12, 0xe00, v12
	v_or3_b32 v10, v12, v10, v11
	s_waitcnt vmcnt(0)
	ds_write_b128 v10, v[6:9]
.LBB819_11:
	s_or_b64 exec, exec, s[10:11]
	s_waitcnt lgkmcnt(0)
	s_mul_i32 s10, s4, s46
	s_add_u32 s4, s14, s10
	s_addc_u32 s5, s15, 0
	v_and_b32_e32 v32, 48, v0
	v_and_b32_e32 v30, 0xf0, v42
	v_mov_b32_e32 v31, 0
	v_lshl_add_u64 v[6:7], s[4:5], 0, v[30:31]
	v_lshlrev_b32_e32 v30, 4, v32
	v_lshl_add_u64 v[6:7], v[6:7], 0, v[30:31]
	s_waitcnt vmcnt(3)
	v_mad_i64_i32 v[8:9], s[4:5], v5, s45, v[6:7]
	s_waitcnt vmcnt(2)
	v_mad_i64_i32 v[4:5], s[4:5], v4, s45, v[6:7]
	s_barrier
	global_load_dwordx4 v[22:25], v[8:9], off
	global_load_dwordx4 v[18:21], v[4:5], off
	s_waitcnt vmcnt(3)
	v_mad_i64_i32 v[4:5], s[4:5], v3, s45, v[6:7]
	s_waitcnt vmcnt(2)
	v_mad_i64_i32 v[2:3], s[4:5], v2, s45, v[6:7]
	global_load_dwordx4 v[14:17], v[4:5], off
	global_load_dwordx4 v[6:9], v[2:3], off
	v_add_u32_e32 v2, -12, v28
	v_cmp_gt_u32_e32 vcc, 12, v28
	v_and_b32_e32 v27, 63, v0
	v_mov_b32_e32 v43, 0
	v_cndmask_b32_e32 v2, v2, v28, vcc
	v_lshlrev_b32_e32 v2, 5, v2
	v_lshl_add_u32 v2, v1, 9, v2
	ds_read_b128 v[10:13], v2
	ds_read_b128 v[2:5], v2 offset:16
	s_and_saveexec_b64 s[4:5], vcc
	s_cbranch_execz .LBB819_13
; %bb.12:
	s_load_dwordx2 s[12:13], s[0:1], 0x40
	v_add_u32_e32 v34, s48, v28
	v_ashrrev_i32_e32 v35, 31, v34
	s_waitcnt lgkmcnt(0)
	v_lshl_add_u64 v[34:35], v[34:35], 2, s[12:13]
	global_load_dword v43, v[34:35], off
.LBB819_13:
	s_or_b64 exec, exec, s[4:5]
	v_or_b32_e32 v62, s16, v32
	v_ashrrev_i32_e32 v30, 4, v62
	v_mov_b32_e32 v63, s17
	v_cmp_gt_i32_e32 vcc, s29, v62
	s_waitcnt vmcnt(2)
	v_cvt_pk_f32_fp8_e32 v[52:53], v20
	v_cvt_pk_f32_fp8_sdwa v[54:55], v20 src0_sel:WORD_1
	v_cndmask_b32_e32 v20, v63, v30, vcc
	v_cvt_pk_f32_fp8_e32 v[56:57], v21
	v_cvt_pk_f32_fp8_sdwa v[58:59], v21 src0_sel:WORD_1
	v_ashrrev_i32_e32 v21, 31, v20
	v_cvt_pk_f32_fp8_e32 v[40:41], v22
	v_cvt_pk_f32_fp8_sdwa v[44:45], v22 src0_sel:WORD_1
	v_lshl_add_u64 v[20:21], v[20:21], 2, s[8:9]
	v_cvt_pk_f32_fp8_e32 v[46:47], v18
	v_cvt_pk_f32_fp8_sdwa v[48:49], v18 src0_sel:WORD_1
	global_load_dword v64, v[20:21], off
	v_cvt_pk_f32_fp8_e32 v[34:35], v23
	v_cvt_pk_f32_fp8_sdwa v[32:33], v23 src0_sel:WORD_1
	v_cvt_pkrtz_f16_f32 v20, v40, v41
	v_cvt_pkrtz_f16_f32 v21, v44, v45
	v_cvt_pk_f32_fp8_e32 v[36:37], v24
	v_cvt_pk_f32_fp8_sdwa v[38:39], v24 src0_sel:WORD_1
	v_cvt_pk_f32_fp8_e32 v[50:51], v19
	v_cvt_pk_f32_fp8_sdwa v[18:19], v19 src0_sel:WORD_1
	v_cvt_pkrtz_f16_f32 v44, v46, v47
	v_cvt_pkrtz_f16_f32 v45, v48, v49
	v_cvt_pk_f32_fp8_e32 v[22:23], v25
	s_waitcnt vmcnt(2)
	v_cvt_pk_f32_fp8_e32 v[40:41], v14
	v_cvt_pk_f32_fp8_sdwa v[46:47], v14 src0_sel:WORD_1
	v_cvt_pkrtz_f16_f32 v48, v34, v35
	v_cvt_pkrtz_f16_f32 v49, v32, v33
	v_or_b32_e32 v14, 64, v62
	v_or_b32_e32 v32, 0xc0, v62
	v_cvt_pk_f32_fp8_sdwa v[24:25], v25 src0_sel:WORD_1
	s_load_dword s11, s[0:1], 0x1c
	s_load_dwordx4 s[40:43], s[0:1], 0x80
	v_cvt_pkrtz_f16_f32 v36, v36, v37
	v_cvt_pkrtz_f16_f32 v37, v38, v39
	v_or_b32_e32 v65, 0x80, v62
	v_ashrrev_i32_e32 v62, 4, v14
	v_cmp_gt_i32_e32 vcc, s29, v32
	v_ashrrev_i32_e32 v66, 4, v32
	v_cmp_gt_i32_e64 s[4:5], s29, v14
	v_cvt_pkrtz_f16_f32 v38, v50, v51
	v_cvt_pkrtz_f16_f32 v39, v18, v19
	s_waitcnt lgkmcnt(0)
	v_mfma_f32_16x16x16_f16 v[32:35], v[20:21], v[10:11], 0
	s_add_u32 s6, s6, s10
	v_lshlrev_b32_e32 v30, 4, v28
	v_cndmask_b32_e64 v50, v63, v62, s[4:5]
	v_cvt_pkrtz_f16_f32 v62, v22, v23
	v_mfma_f32_16x16x16_f16 v[20:23], v[44:45], v[10:11], 0
	v_lshl_or_b32 v30, v29, 8, v30
	s_addc_u32 s7, s7, 0
	v_ashrrev_i32_e32 v14, 4, v65
	v_lshl_add_u64 v[18:19], s[6:7], 0, v[30:31]
	v_cmp_gt_i32_e64 s[6:7], s29, v65
	v_mfma_f32_16x16x16_f16 v[30:33], v[48:49], v[12:13], v[32:35]
	v_cndmask_b32_e32 v48, v63, v66, vcc
	s_load_dword s4, s[40:41], 0x0
	v_cvt_pk_f32_fp8_e32 v[60:61], v15
	v_cndmask_b32_e64 v34, v63, v14, s[6:7]
	v_cvt_pkrtz_f16_f32 v63, v24, v25
	v_cvt_pkrtz_f16_f32 v24, v52, v53
	;; [unrolled: 1-line block ×3, first 2 shown]
	v_mfma_f32_16x16x16_f16 v[20:23], v[38:39], v[12:13], v[20:23]
	v_cvt_pkrtz_f16_f32 v40, v40, v41
	v_cvt_pkrtz_f16_f32 v41, v46, v47
	v_ashrrev_i32_e32 v51, 31, v50
	v_mfma_f32_16x16x16_f16 v[20:23], v[24:25], v[2:3], v[20:23]
	v_mov_b32_e32 v24, s11
	s_waitcnt lgkmcnt(0)
	v_mul_f32_e32 v54, s4, v24
	v_cvt_pk_f32_fp8_sdwa v[24:25], v15 src0_sel:WORD_1
	v_mfma_f32_16x16x16_f16 v[30:33], v[36:37], v[2:3], v[30:33]
	v_ashrrev_i32_e32 v35, 31, v34
	v_ashrrev_i32_e32 v49, 31, v48
	v_lshl_add_u64 v[36:37], v[50:51], 2, s[8:9]
	v_lshl_add_u64 v[34:35], v[34:35], 2, s[8:9]
	;; [unrolled: 1-line block ×3, first 2 shown]
	global_load_dword v14, v[36:37], off
	global_load_dword v44, v[34:35], off
	;; [unrolled: 1-line block ×3, first 2 shown]
	v_cvt_pkrtz_f16_f32 v46, v60, v61
	v_cvt_pk_f32_fp8_e32 v[48:49], v16
	v_cvt_pk_f32_fp8_sdwa v[50:51], v16 src0_sel:WORD_1
	v_cvt_pkrtz_f16_f32 v47, v24, v25
	v_mfma_f32_16x16x16_f16 v[36:39], v[62:63], v[4:5], v[30:33]
	v_cvt_pkrtz_f16_f32 v24, v48, v49
	v_cvt_pkrtz_f16_f32 v25, v50, v51
	;; [unrolled: 1-line block ×3, first 2 shown]
	v_mfma_f32_16x16x16_f16 v[30:33], v[40:41], v[10:11], 0
	v_cvt_pk_f32_fp8_e32 v[40:41], v17
	v_cvt_pk_f32_fp8_sdwa v[16:17], v17 src0_sel:WORD_1
	v_cvt_pkrtz_f16_f32 v53, v58, v59
	v_mfma_f32_16x16x16_f16 v[46:49], v[46:47], v[12:13], v[30:33]
	s_mov_b32 s33, 0xff7fffff
	s_waitcnt vmcnt(3)
	v_mad_i64_i32 v[34:35], s[4:5], v64, s45, v[18:19]
	v_cvt_pkrtz_f16_f32 v32, v40, v41
	v_cvt_pkrtz_f16_f32 v33, v16, v17
	v_mfma_f32_16x16x16_f16 v[46:49], v[24:25], v[2:3], v[46:49]
	v_cvt_pk_f32_fp8_e32 v[16:17], v6
	v_cvt_pk_f32_fp8_sdwa v[24:25], v6 src0_sel:WORD_1
	v_pk_mul_f32 v[30:31], v[54:55], v[38:39] op_sel_hi:[0,1]
	v_mfma_f32_16x16x16_f16 v[46:49], v[32:33], v[4:5], v[46:49]
	v_cvt_pk_f32_fp8_e32 v[32:33], v7
	v_cvt_pkrtz_f16_f32 v16, v16, v17
	v_cvt_pkrtz_f16_f32 v17, v24, v25
	v_cvt_pk_f32_fp8_sdwa v[6:7], v7 src0_sel:WORD_1
	v_pk_mul_f32 v[38:39], v[54:55], v[36:37] op_sel_hi:[0,1]
	v_cvt_pkrtz_f16_f32 v24, v32, v33
	v_cvt_pk_f32_fp8_e32 v[32:33], v8
	v_cvt_pk_f32_fp8_sdwa v[36:37], v8 src0_sel:WORD_1
	v_cvt_pkrtz_f16_f32 v25, v6, v7
	v_mfma_f32_16x16x16_f16 v[20:23], v[52:53], v[4:5], v[20:23]
	v_mfma_f32_16x16x16_f16 v[50:53], v[16:17], v[10:11], 0
	v_cvt_pkrtz_f16_f32 v10, v32, v33
	v_cvt_pkrtz_f16_f32 v11, v36, v37
	v_cvt_pk_f32_fp8_e32 v[16:17], v9
	v_cvt_pk_f32_fp8_sdwa v[32:33], v9 src0_sel:WORD_1
	v_mfma_f32_16x16x16_f16 v[6:9], v[24:25], v[12:13], v[50:53]
	s_nop 0
	v_pk_mul_f32 v[36:37], v[54:55], v[22:23] op_sel_hi:[0,1]
	v_cvt_pkrtz_f16_f32 v12, v16, v17
	v_cvt_pkrtz_f16_f32 v13, v32, v33
	v_mfma_f32_16x16x16_f16 v[6:9], v[10:11], v[2:3], v[6:9]
	v_pk_mul_f32 v[40:41], v[54:55], v[20:21] op_sel_hi:[0,1]
	v_pk_mul_f32 v[24:25], v[54:55], v[48:49] op_sel_hi:[0,1]
	v_pk_mul_f32 v[32:33], v[54:55], v[46:47] op_sel_hi:[0,1]
	v_mfma_f32_16x16x16_f16 v[2:5], v[12:13], v[4:5], v[6:9]
	s_nop 6
	v_pk_mul_f32 v[22:23], v[54:55], v[2:3] op_sel_hi:[0,1]
	v_and_b32_e32 v2, 0xc0, v0
	v_add_u32_e32 v2, s16, v2
	v_lshl_or_b32 v2, v1, 2, v2
	v_or_b32_e32 v3, 1, v2
	v_pk_mul_f32 v[20:21], v[54:55], v[4:5] op_sel_hi:[0,1]
	v_subrev_u32_e32 v4, s29, v3
	v_add_u32_e32 v6, 1, v4
	v_add_u32_e32 v7, 2, v4
	;; [unrolled: 1-line block ×3, first 2 shown]
	v_cvt_f32_i32_e32 v6, v6
	v_cvt_f32_i32_e32 v7, v7
	;; [unrolled: 1-line block ×3, first 2 shown]
	v_add_u32_e32 v9, 19, v4
	v_fmac_f32_e32 v39, v43, v6
	v_fma_f32 v30, v43, v7, v30
	v_fmac_f32_e32 v31, v43, v8
	v_add_u32_e32 v6, 16, v4
	v_add_u32_e32 v7, 17, v4
	;; [unrolled: 1-line block ×3, first 2 shown]
	v_cvt_f32_i32_e32 v6, v6
	v_cvt_f32_i32_e32 v7, v7
	;; [unrolled: 1-line block ×4, first 2 shown]
	v_fma_f32 v40, v43, v6, v40
	v_fmac_f32_e32 v41, v43, v7
	v_fma_f32 v36, v43, v8, v36
	v_add_u32_e32 v6, 32, v4
	v_add_u32_e32 v7, 33, v4
	;; [unrolled: 1-line block ×3, first 2 shown]
	v_cvt_f32_i32_e32 v6, v6
	v_cvt_f32_i32_e32 v7, v7
	;; [unrolled: 1-line block ×4, first 2 shown]
	v_fmac_f32_e32 v37, v43, v9
	v_add_u32_e32 v9, 35, v4
	v_fma_f32 v32, v43, v6, v32
	v_fmac_f32_e32 v33, v43, v7
	v_fma_f32 v24, v43, v8, v24
	v_add_u32_e32 v6, 48, v4
	v_add_u32_e32 v7, 49, v4
	;; [unrolled: 1-line block ×4, first 2 shown]
	v_cvt_f32_i32_e32 v4, v4
	v_cvt_f32_i32_e32 v6, v6
	v_cvt_f32_i32_e32 v7, v7
	v_fma_f32 v5, v43, v5, v38
	v_fmac_f32_e32 v21, v43, v4
	v_mov_b32_e32 v4, 0xff7fffff
	v_cmp_gt_i32_e64 s[4:5], s29, v2
	v_cmp_gt_i32_e64 s[34:35], s29, v3
	v_fma_f32 v22, v43, v6, v22
	v_cndmask_b32_e64 v6, v4, v5, s[4:5]
	v_cndmask_b32_e64 v3, v4, v39, s[34:35]
	v_fmac_f32_e32 v23, v43, v7
	v_max3_f32 v3, v6, s33, v3
	v_or_b32_e32 v6, 2, v2
	v_or_b32_e32 v7, 3, v2
	v_cmp_gt_i32_e64 s[36:37], s29, v6
	v_cmp_gt_i32_e64 s[38:39], s29, v7
	v_cvt_f32_i32_e32 v9, v9
	v_cndmask_b32_e64 v6, v4, v30, s[36:37]
	v_cndmask_b32_e64 v7, v4, v31, s[38:39]
	v_max3_f32 v3, v3, v6, v7
	v_or_b32_e32 v6, 16, v2
	v_or_b32_e32 v7, 17, v2
	v_cmp_gt_i32_e64 s[24:25], s29, v6
	v_cmp_gt_i32_e64 s[26:27], s29, v7
	v_fmac_f32_e32 v25, v43, v9
	v_cndmask_b32_e64 v6, v4, v40, s[24:25]
	v_cndmask_b32_e64 v7, v4, v41, s[26:27]
	v_max3_f32 v3, v3, v6, v7
	v_or_b32_e32 v6, 18, v2
	v_or_b32_e32 v7, 19, v2
	v_cmp_gt_i32_e64 s[20:21], s29, v6
	v_cmp_gt_i32_e64 s[22:23], s29, v7
	v_cvt_f32_i32_e32 v8, v8
	v_cndmask_b32_e64 v6, v4, v36, s[20:21]
	v_cndmask_b32_e64 v7, v4, v37, s[22:23]
	v_max3_f32 v3, v3, v6, v7
	v_or_b32_e32 v6, 32, v2
	v_or_b32_e32 v7, 33, v2
	v_cmp_gt_i32_e64 s[16:17], s29, v6
	v_cmp_gt_i32_e64 s[18:19], s29, v7
	v_fma_f32 v20, v43, v8, v20
	v_cndmask_b32_e64 v6, v4, v32, s[16:17]
	v_cndmask_b32_e64 v7, v4, v33, s[18:19]
	v_max3_f32 v3, v3, v6, v7
	v_or_b32_e32 v6, 34, v2
	v_or_b32_e32 v7, 35, v2
	v_cmp_gt_i32_e64 s[12:13], s29, v6
	v_cmp_gt_i32_e64 s[14:15], s29, v7
	s_nop 0
	v_cndmask_b32_e64 v6, v4, v24, s[12:13]
	v_cndmask_b32_e64 v7, v4, v25, s[14:15]
	v_max3_f32 v3, v3, v6, v7
	v_or_b32_e32 v6, 48, v2
	v_or_b32_e32 v7, 49, v2
	v_cmp_gt_i32_e64 s[8:9], s29, v6
	v_cmp_gt_i32_e64 s[10:11], s29, v7
	s_nop 0
	v_cndmask_b32_e64 v6, v4, v22, s[8:9]
	v_cndmask_b32_e64 v7, v4, v23, s[10:11]
	v_max3_f32 v3, v3, v6, v7
	v_or_b32_e32 v6, 50, v2
	v_or_b32_e32 v2, 51, v2
	v_cmp_gt_i32_e32 vcc, s29, v6
	v_cmp_gt_i32_e64 s[6:7], s29, v2
	s_nop 0
	v_cndmask_b32_e32 v6, v4, v20, vcc
	v_cndmask_b32_e64 v2, v4, v21, s[6:7]
	v_max3_f32 v4, v3, v6, v2
	v_mbcnt_lo_u32_b32 v2, -1, 0
	v_mbcnt_hi_u32_b32 v6, -1, v2
	v_and_b32_e32 v2, 64, v6
	v_add_u32_e32 v7, 64, v2
	v_xor_b32_e32 v2, 32, v6
	v_cmp_lt_i32_e64 s[40:41], v2, v7
	s_nop 1
	v_cndmask_b32_e64 v2, v6, v2, s[40:41]
	v_lshlrev_b32_e32 v43, 2, v2
	ds_bpermute_b32 v8, v43, v4
	s_waitcnt vmcnt(2)
	v_mad_i64_i32 v[2:3], s[40:41], v14, s45, v[18:19]
	global_load_dwordx4 v[14:17], v[34:35], off
	global_load_dwordx4 v[10:13], v[2:3], off
	v_xor_b32_e32 v3, 16, v6
	v_cmp_lt_i32_e64 s[40:41], v3, v7
	s_waitcnt lgkmcnt(0)
	v_max_f32_e32 v2, v8, v8
	v_max_f32_e32 v2, v4, v2
	v_cndmask_b32_e64 v3, v6, v3, s[40:41]
	v_lshlrev_b32_e32 v46, 2, v3
	ds_bpermute_b32 v3, v46, v2
	s_waitcnt vmcnt(3)
	v_mad_i64_i32 v[34:35], s[40:41], v44, s45, v[18:19]
	s_waitcnt vmcnt(2)
	v_mad_i64_i32 v[18:19], s[40:41], v45, s45, v[18:19]
	s_waitcnt lgkmcnt(0)
	v_max_f32_e32 v3, v3, v3
	v_max_f32_e32 v38, v2, v3
	v_sub_f32_e32 v2, v5, v38
	v_mul_f32_e32 v2, 0x3fb8aa3b, v2
	v_exp_f32_e32 v44, v2
	v_sub_f32_e32 v2, v39, v38
	v_mul_f32_e32 v2, 0x3fb8aa3b, v2
	v_exp_f32_e32 v39, v2
	global_load_dwordx4 v[6:9], v[34:35], off
	global_load_dwordx4 v[2:5], v[18:19], off
	v_sub_f32_e32 v30, v30, v38
	v_mul_f32_e32 v30, 0x3fb8aa3b, v30
	v_sub_f32_e32 v31, v31, v38
	v_exp_f32_e32 v30, v30
	v_mul_f32_e32 v31, 0x3fb8aa3b, v31
	v_exp_f32_e32 v31, v31
	v_cndmask_b32_e64 v18, 0, v44, s[4:5]
	v_add_f32_e32 v34, 0, v18
	v_cndmask_b32_e64 v19, 0, v39, s[34:35]
	v_add_f32_e32 v35, v34, v19
	;; [unrolled: 2-line block ×3, first 2 shown]
	v_cndmask_b32_e64 v35, 0, v31, s[38:39]
	v_sub_f32_e32 v31, v40, v38
	v_mul_f32_e32 v31, 0x3fb8aa3b, v31
	v_sub_f32_e32 v39, v41, v38
	v_exp_f32_e32 v31, v31
	v_mul_f32_e32 v39, 0x3fb8aa3b, v39
	v_sub_f32_e32 v36, v36, v38
	v_exp_f32_e32 v39, v39
	;; [unrolled: 3-line block ×4, first 2 shown]
	v_mul_f32_e32 v32, 0x3fb8aa3b, v32
	v_sub_f32_e32 v33, v33, v38
	v_add_f32_e32 v40, v30, v35
	v_cndmask_b32_e64 v30, 0, v31, s[24:25]
	v_exp_f32_e32 v32, v32
	v_mul_f32_e32 v33, 0x3fb8aa3b, v33
	v_sub_f32_e32 v24, v24, v38
	v_add_f32_e32 v40, v40, v30
	v_cndmask_b32_e64 v31, 0, v39, s[26:27]
	v_exp_f32_e32 v33, v33
	;; [unrolled: 5-line block ×7, first 2 shown]
	v_mul_f32_e32 v21, 0x3fb8aa3b, v21
	v_add_f32_e32 v39, v39, v24
	v_cndmask_b32_e64 v25, 0, v25, s[14:15]
	v_exp_f32_e32 v21, v21
	v_add_f32_e32 v39, v39, v25
	v_cndmask_b32_e64 v22, 0, v22, s[8:9]
	v_add_f32_e32 v39, v39, v22
	v_cndmask_b32_e64 v23, 0, v23, s[10:11]
	v_add_f32_e32 v39, v39, v23
	v_cndmask_b32_e32 v20, 0, v20, vcc
	v_add_f32_e32 v39, v39, v20
	v_cndmask_b32_e64 v21, 0, v21, s[6:7]
	v_add_f32_e32 v39, v39, v21
	ds_bpermute_b32 v40, v43, v39
	s_load_dword s7, s[0:1], 0x98
	v_cmp_gt_u32_e32 vcc, 16, v27
	s_waitcnt lgkmcnt(0)
	s_barrier
	v_add_f32_e32 v40, v39, v40
	ds_bpermute_b32 v41, v46, v40
	v_lshlrev_b32_e32 v39, 2, v28
	s_waitcnt lgkmcnt(0)
	s_and_saveexec_b64 s[4:5], vcc
	s_cbranch_execz .LBB819_15
; %bb.14:
	v_add_f32_e32 v27, v40, v41
	v_lshl_or_b32 v40, v29, 6, v39
	ds_write2st64_b32 v40, v38, v27 offset1:1
.LBB819_15:
	s_or_b64 exec, exec, s[4:5]
	s_load_dword s6, s[0:1], 0x94
	s_waitcnt lgkmcnt(0)
	s_barrier
	ds_read2_b32 v[40:41], v39 offset1:16
	ds_read2_b32 v[44:45], v39 offset0:32 offset1:48
	ds_read2_b32 v[46:47], v39 offset0:64 offset1:80
	s_mul_i32 s7, s7, 12
	s_waitcnt lgkmcnt(2)
	v_max3_f32 v27, v40, s33, v41
	s_waitcnt lgkmcnt(1)
	v_max3_f32 v27, v27, v44, v45
	v_sub_f32_e32 v38, v40, v27
	v_mul_f32_e32 v38, 0x3fb8aa3b, v38
	v_exp_f32_e32 v43, v38
	v_sub_f32_e32 v38, v41, v27
	v_mul_f32_e32 v38, 0x3fb8aa3b, v38
	v_exp_f32_e32 v48, v38
	;; [unrolled: 3-line block ×3, first 2 shown]
	ds_read2_b32 v[40:41], v39 offset0:96 offset1:112
	v_sub_f32_e32 v38, v45, v27
	v_mul_f32_e32 v38, 0x3fb8aa3b, v38
	v_exp_f32_e32 v39, v38
	s_waitcnt lgkmcnt(1)
	v_fma_f32 v38, v43, v46, 0
	v_fmac_f32_e32 v38, v48, v47
	s_waitcnt lgkmcnt(0)
	v_fmac_f32_e32 v38, v44, v40
	v_fmac_f32_e32 v38, v39, v41
	v_add_f32_e32 v40, 0x358637bd, v38
	v_div_scale_f32 v41, s[4:5], v40, v40, 1.0
	v_rcp_f32_e32 v45, v41
	s_barrier
	v_fma_f32 v46, -v41, v45, 1.0
	v_fmac_f32_e32 v45, v46, v45
	v_div_scale_f32 v46, vcc, 1.0, v40, 1.0
	v_mul_f32_e32 v47, v46, v45
	v_fma_f32 v49, -v41, v47, v46
	v_fmac_f32_e32 v47, v49, v45
	v_fma_f32 v41, -v41, v47, v46
	v_div_fmas_f32 v41, v41, v45, v47
	v_cmp_eq_u32_e32 vcc, 1, v29
	v_div_fixup_f32 v40, v41, v40, 1.0
	s_nop 0
	v_cndmask_b32_e32 v41, v43, v48, vcc
	v_cmp_eq_u32_e32 vcc, 2, v29
	s_nop 1
	v_cndmask_b32_e32 v41, v41, v44, vcc
	v_cmp_eq_u32_e32 vcc, 3, v29
	v_lshlrev_b32_e32 v29, 11, v29
	s_nop 0
	v_cndmask_b32_e32 v39, v41, v39, vcc
	v_mul_f32_e32 v40, v39, v40
	v_pk_mul_f32 v[18:19], v[40:41], v[18:19] op_sel_hi:[0,1]
	v_pk_mul_f32 v[34:35], v[40:41], v[34:35] op_sel_hi:[0,1]
	v_cvt_f16_f32_e32 v18, v18
	v_cvt_f16_f32_e32 v19, v19
	v_pk_mul_f32 v[36:37], v[40:41], v[36:37] op_sel_hi:[0,1]
	v_pk_mul_f32 v[30:31], v[40:41], v[30:31] op_sel_hi:[0,1]
	v_cvt_f16_f32_e32 v39, v34
	v_cvt_f16_f32_e32 v35, v35
	;; [unrolled: 1-line block ×6, first 2 shown]
	v_pack_b32_f16 v34, v18, v19
	v_lshlrev_b32_e32 v18, 3, v1
	v_lshlrev_b32_e32 v19, 5, v28
	v_pack_b32_f16 v35, v39, v35
	v_or3_b32 v18, v29, v19, v18
	v_pack_b32_f16 v30, v30, v31
	v_pack_b32_f16 v31, v36, v37
	ds_write2st64_b64 v18, v[34:35], v[30:31] offset1:1
	v_pk_mul_f32 v[24:25], v[40:41], v[24:25] op_sel_hi:[0,1]
	v_pk_mul_f32 v[30:31], v[40:41], v[32:33] op_sel_hi:[0,1]
	;; [unrolled: 1-line block ×4, first 2 shown]
	v_cvt_f16_f32_e32 v29, v30
	v_cvt_f16_f32_e32 v30, v31
	;; [unrolled: 1-line block ×8, first 2 shown]
	v_pack_b32_f16 v20, v29, v30
	v_pack_b32_f16 v21, v24, v25
	;; [unrolled: 1-line block ×4, first 2 shown]
	v_cmp_gt_u32_e32 vcc, 12, v0
	ds_write2st64_b64 v18, v[20:21], v[22:23] offset0:2 offset1:3
	s_and_saveexec_b64 s[4:5], vcc
	s_cbranch_execz .LBB819_17
; %bb.16:
	s_mov_b32 s49, 0
	v_mov_b32_e32 v29, 0
	v_lshl_add_u64 v[20:21], s[48:49], 0, v[28:29]
	v_mov_b32_e32 v22, s7
	v_mad_u64_u32 v[20:21], s[12:13], s2, v22, v[20:21]
	s_mul_i32 s3, s3, s7
	v_mov_b32_e32 v28, s28
	s_load_dwordx4 s[8:11], s[0:1], 0x58
	v_add_u32_e32 v23, s3, v21
	v_mad_u64_u32 v[20:21], s[12:13], v20, s6, v[28:29]
	v_mov_b32_e32 v22, v21
	v_mad_u64_u32 v[22:23], s[12:13], v23, s6, v[22:23]
	v_mov_b32_e32 v21, v22
	v_lshlrev_b64 v[20:21], 2, v[20:21]
	s_waitcnt lgkmcnt(0)
	v_lshl_add_u64 v[22:23], s[10:11], 0, v[20:21]
	v_lshl_add_u64 v[20:21], s[8:9], 0, v[20:21]
	global_store_dword v[22:23], v27, off
	global_store_dword v[20:21], v38, off
.LBB819_17:
	s_or_b64 exec, exec, s[4:5]
	s_waitcnt vmcnt(3)
	v_cvt_pk_f32_fp8_e32 v[20:21], v14
	v_cvt_pk_f32_fp8_sdwa v[22:23], v14 src0_sel:WORD_1
	v_lshl_or_b32 v14, v1, 9, v19
	s_waitcnt lgkmcnt(0)
	s_barrier
	v_cvt_pk_f32_fp8_e32 v[24:25], v15
	v_cvt_pkrtz_f16_f32 v32, v20, v21
	v_cvt_pkrtz_f16_f32 v33, v22, v23
	v_cvt_pk_f32_fp8_sdwa v[28:29], v15 src0_sel:WORD_1
	ds_read_b128 v[20:23], v14
	v_cvt_pkrtz_f16_f32 v24, v24, v25
	v_cvt_pk_f32_fp8_e32 v[36:37], v16
	v_cvt_pkrtz_f16_f32 v25, v28, v29
	ds_read_b128 v[28:31], v14 offset:16
	v_cvt_pk_f32_fp8_sdwa v[38:39], v16 src0_sel:WORD_1
	s_waitcnt lgkmcnt(1)
	v_mfma_f32_16x16x16_f16 v[32:35], v[32:33], v[20:21], 0
	v_cvt_pkrtz_f16_f32 v36, v36, v37
	s_load_dword s4, s[42:43], 0x0
	v_cvt_pkrtz_f16_f32 v37, v38, v39
	v_cvt_pk_f32_fp8_e32 v[38:39], v17
	v_cvt_pk_f32_fp8_sdwa v[16:17], v17 src0_sel:WORD_1
	v_mfma_f32_16x16x16_f16 v[20:23], v[24:25], v[22:23], v[32:35]
	v_cmp_gt_u32_e32 vcc, 64, v0
	v_cvt_pkrtz_f16_f32 v24, v38, v39
	v_cvt_pkrtz_f16_f32 v25, v16, v17
	s_waitcnt lgkmcnt(0)
	v_mfma_f32_16x16x16_f16 v[20:23], v[36:37], v[28:29], v[20:23]
	s_waitcnt vmcnt(2)
	v_cvt_pk_f32_fp8_e32 v[16:17], v10
	v_cvt_pk_f32_fp8_e32 v[28:29], v11
	v_cvt_pk_f32_fp8_sdwa v[36:37], v12 src0_sel:WORD_1
	v_mfma_f32_16x16x16_f16 v[20:23], v[24:25], v[30:31], v[20:23]
	v_cvt_pk_f32_fp8_sdwa v[24:25], v10 src0_sel:WORD_1
	v_cvt_pkrtz_f16_f32 v10, v16, v17
	v_cvt_pk_f32_fp8_sdwa v[16:17], v11 src0_sel:WORD_1
	ds_read_b128 v[32:35], v14 offset:2064
	v_cvt_pkrtz_f16_f32 v11, v24, v25
	v_cvt_pkrtz_f16_f32 v24, v28, v29
	ds_read_b128 v[28:31], v14 offset:2048
	v_cvt_pkrtz_f16_f32 v25, v16, v17
	v_cvt_pk_f32_fp8_e32 v[16:17], v12
	s_waitcnt lgkmcnt(0)
	v_mfma_f32_16x16x16_f16 v[20:23], v[10:11], v[28:29], v[20:23]
	v_cvt_pkrtz_f16_f32 v10, v16, v17
	v_cvt_pkrtz_f16_f32 v11, v36, v37
	v_cvt_pk_f32_fp8_e32 v[16:17], v13
	v_mfma_f32_16x16x16_f16 v[20:23], v[24:25], v[30:31], v[20:23]
	v_cvt_pk_f32_fp8_sdwa v[24:25], v13 src0_sel:WORD_1
	ds_read_b128 v[28:31], v14 offset:4112
	v_cvt_pkrtz_f16_f32 v16, v16, v17
	v_mfma_f32_16x16x16_f16 v[10:13], v[10:11], v[32:33], v[20:23]
	v_cvt_pkrtz_f16_f32 v17, v24, v25
	s_waitcnt vmcnt(1)
	v_cvt_pk_f32_fp8_sdwa v[24:25], v7 src0_sel:WORD_1
	v_cvt_pk_f32_fp8_sdwa v[32:33], v8 src0_sel:WORD_1
	v_cvt_pk_f32_fp8_e32 v[20:21], v6
	v_mfma_f32_16x16x16_f16 v[10:13], v[16:17], v[34:35], v[10:13]
	v_cvt_pk_f32_fp8_sdwa v[16:17], v6 src0_sel:WORD_1
	v_cvt_pk_f32_fp8_e32 v[22:23], v7
	v_cvt_pkrtz_f16_f32 v6, v20, v21
	s_mov_b32 s3, 0
	v_cvt_pkrtz_f16_f32 v7, v16, v17
	v_cvt_pkrtz_f16_f32 v16, v22, v23
	ds_read_b128 v[20:23], v14 offset:4096
	v_cvt_pkrtz_f16_f32 v17, v24, v25
	v_cvt_pk_f32_fp8_e32 v[24:25], v8
	s_waitcnt lgkmcnt(0)
	v_mfma_f32_16x16x16_f16 v[10:13], v[6:7], v[20:21], v[10:13]
	v_cvt_pkrtz_f16_f32 v6, v24, v25
	v_cvt_pkrtz_f16_f32 v7, v32, v33
	v_cvt_pk_f32_fp8_e32 v[20:21], v9
	v_mfma_f32_16x16x16_f16 v[10:13], v[16:17], v[22:23], v[10:13]
	v_cvt_pk_f32_fp8_sdwa v[16:17], v9 src0_sel:WORD_1
	s_waitcnt vmcnt(0)
	v_cvt_pk_f32_fp8_sdwa v[24:25], v4 src0_sel:WORD_1
	v_cvt_pkrtz_f16_f32 v20, v20, v21
	v_mfma_f32_16x16x16_f16 v[6:9], v[6:7], v[28:29], v[10:13]
	v_cvt_pkrtz_f16_f32 v21, v16, v17
	v_cvt_pk_f32_fp8_e32 v[16:17], v3
	v_mov_b32_e32 v27, 0
	v_cvt_pk_f32_fp8_e32 v[10:11], v2
	v_cvt_pk_f32_fp8_sdwa v[12:13], v2 src0_sel:WORD_1
	v_mfma_f32_16x16x16_f16 v[6:9], v[20:21], v[30:31], v[6:9]
	v_cvt_pk_f32_fp8_sdwa v[20:21], v3 src0_sel:WORD_1
	v_cvt_pkrtz_f16_f32 v2, v10, v11
	v_cvt_pkrtz_f16_f32 v3, v12, v13
	ds_read_b128 v[10:13], v14 offset:6144
	v_cvt_pkrtz_f16_f32 v22, v16, v17
	v_cvt_pkrtz_f16_f32 v23, v20, v21
	v_cvt_pk_f32_fp8_e32 v[20:21], v4
	s_waitcnt lgkmcnt(0)
	v_mfma_f32_16x16x16_f16 v[6:9], v[2:3], v[10:11], v[6:9]
	ds_read_b128 v[14:17], v14 offset:6160
	v_cvt_pkrtz_f16_f32 v2, v20, v21
	v_cvt_pkrtz_f16_f32 v3, v24, v25
	v_cvt_pk_f32_fp8_e32 v[10:11], v5
	v_mfma_f32_16x16x16_f16 v[6:9], v[22:23], v[12:13], v[6:9]
	v_cvt_pk_f32_fp8_sdwa v[12:13], v5 src0_sel:WORD_1
	s_waitcnt lgkmcnt(0)
	v_cvt_pkrtz_f16_f32 v10, v10, v11
	v_mfma_f32_16x16x16_f16 v[2:5], v[2:3], v[14:15], v[6:9]
	v_cvt_pkrtz_f16_f32 v11, v12, v13
	s_barrier
	s_nop 0
	v_mfma_f32_16x16x16_f16 v[2:5], v[10:11], v[16:17], v[2:5]
	s_nop 6
	v_pk_mul_f32 v[4:5], v[4:5], s[4:5] op_sel_hi:[1,0]
	v_pk_mul_f32 v[2:3], v[2:3], s[4:5] op_sel_hi:[1,0]
	v_cvt_f16_f32_e32 v4, v4
	v_cvt_f16_f32_e32 v2, v2
	;; [unrolled: 1-line block ×4, first 2 shown]
	s_and_b64 s[4:5], vcc, s[30:31]
	v_pack_b32_f16 v2, v2, v3
	v_pack_b32_f16 v3, v4, v5
	ds_write_b64 v18, v[2:3]
	s_waitcnt lgkmcnt(0)
	s_barrier
	s_and_saveexec_b64 s[8:9], s[4:5]
	s_cbranch_execz .LBB819_19
; %bb.18:
	s_load_dwordx2 s[0:1], s[0:1], 0x68
	s_lshl_b32 s6, s6, 6
	s_mul_i32 s2, s7, s2
	s_mul_hi_u32 s5, s2, s6
	s_mul_i32 s4, s2, s6
	s_lshl_b64 s[4:5], s[4:5], 1
	s_waitcnt lgkmcnt(0)
	s_add_u32 s4, s0, s4
	v_lshlrev_b32_e32 v0, 10, v0
	s_addc_u32 s5, s1, s5
	s_lshl_b32 s2, s28, 6
	v_and_b32_e32 v0, 0x1800, v0
	v_lshlrev_b32_e32 v2, 5, v1
	v_and_b32_e32 v3, 16, v42
	s_lshl_b64 s[0:1], s[2:3], 1
	v_or3_b32 v0, v0, v2, v3
	s_add_u32 s0, s4, s0
	ds_read_b128 v[2:5], v0
	ds_read_b128 v[6:9], v0 offset:128
	ds_read_b128 v[10:13], v0 offset:256
	s_addc_u32 s1, s5, s1
	v_or_b32_e32 v16, s48, v1
	v_lshl_add_u64 v[0:1], s[0:1], 0, v[26:27]
	v_mad_u64_u32 v[14:15], s[0:1], v16, s6, 0
	v_lshl_add_u64 v[14:15], v[14:15], 1, v[0:1]
	s_waitcnt lgkmcnt(2)
	global_store_dwordx4 v[14:15], v[2:5], off
	s_nop 1
	v_add_u32_e32 v2, 4, v16
	v_mad_u64_u32 v[2:3], s[0:1], v2, s6, 0
	v_lshl_add_u64 v[2:3], v[2:3], 1, v[0:1]
	s_waitcnt lgkmcnt(1)
	global_store_dwordx4 v[2:3], v[6:9], off
	v_add_u32_e32 v2, 8, v16
	v_mad_u64_u32 v[2:3], s[0:1], v2, s6, 0
	v_lshl_add_u64 v[0:1], v[2:3], 1, v[0:1]
	s_waitcnt lgkmcnt(0)
	global_store_dwordx4 v[0:1], v[10:13], off
.LBB819_19:
	s_endpgm
	.section	.rodata,"a",@progbits
	.p2align	6, 0x0
	.amdhsa_kernel _Z39paged_attention_ll4mi_QKV_mfma16_kernelIDF16_hLN4vllm18Fp8KVCacheDataTypeE1EDF16_Li16ELi64ELi256ELb1ELi12EEvPKT_PKT0_S7_ifPKiS9_S9_iPKfiiiPfSC_PS2_PT2_iSB_SB_
		.amdhsa_group_segment_fixed_size 8192
		.amdhsa_private_segment_fixed_size 0
		.amdhsa_kernarg_size 400
		.amdhsa_user_sgpr_count 2
		.amdhsa_user_sgpr_dispatch_ptr 0
		.amdhsa_user_sgpr_queue_ptr 0
		.amdhsa_user_sgpr_kernarg_segment_ptr 1
		.amdhsa_user_sgpr_dispatch_id 0
		.amdhsa_user_sgpr_kernarg_preload_length 0
		.amdhsa_user_sgpr_kernarg_preload_offset 0
		.amdhsa_user_sgpr_private_segment_size 0
		.amdhsa_uses_dynamic_stack 0
		.amdhsa_enable_private_segment 0
		.amdhsa_system_sgpr_workgroup_id_x 1
		.amdhsa_system_sgpr_workgroup_id_y 1
		.amdhsa_system_sgpr_workgroup_id_z 1
		.amdhsa_system_sgpr_workgroup_info 0
		.amdhsa_system_vgpr_workitem_id 0
		.amdhsa_next_free_vgpr 67
		.amdhsa_next_free_sgpr 50
		.amdhsa_accum_offset 68
		.amdhsa_reserve_vcc 1
		.amdhsa_float_round_mode_32 0
		.amdhsa_float_round_mode_16_64 0
		.amdhsa_float_denorm_mode_32 3
		.amdhsa_float_denorm_mode_16_64 3
		.amdhsa_dx10_clamp 1
		.amdhsa_ieee_mode 1
		.amdhsa_fp16_overflow 0
		.amdhsa_tg_split 0
		.amdhsa_exception_fp_ieee_invalid_op 0
		.amdhsa_exception_fp_denorm_src 0
		.amdhsa_exception_fp_ieee_div_zero 0
		.amdhsa_exception_fp_ieee_overflow 0
		.amdhsa_exception_fp_ieee_underflow 0
		.amdhsa_exception_fp_ieee_inexact 0
		.amdhsa_exception_int_div_zero 0
	.end_amdhsa_kernel
	.section	.text._Z39paged_attention_ll4mi_QKV_mfma16_kernelIDF16_hLN4vllm18Fp8KVCacheDataTypeE1EDF16_Li16ELi64ELi256ELb1ELi12EEvPKT_PKT0_S7_ifPKiS9_S9_iPKfiiiPfSC_PS2_PT2_iSB_SB_,"axG",@progbits,_Z39paged_attention_ll4mi_QKV_mfma16_kernelIDF16_hLN4vllm18Fp8KVCacheDataTypeE1EDF16_Li16ELi64ELi256ELb1ELi12EEvPKT_PKT0_S7_ifPKiS9_S9_iPKfiiiPfSC_PS2_PT2_iSB_SB_,comdat
.Lfunc_end819:
	.size	_Z39paged_attention_ll4mi_QKV_mfma16_kernelIDF16_hLN4vllm18Fp8KVCacheDataTypeE1EDF16_Li16ELi64ELi256ELb1ELi12EEvPKT_PKT0_S7_ifPKiS9_S9_iPKfiiiPfSC_PS2_PT2_iSB_SB_, .Lfunc_end819-_Z39paged_attention_ll4mi_QKV_mfma16_kernelIDF16_hLN4vllm18Fp8KVCacheDataTypeE1EDF16_Li16ELi64ELi256ELb1ELi12EEvPKT_PKT0_S7_ifPKiS9_S9_iPKfiiiPfSC_PS2_PT2_iSB_SB_
                                        ; -- End function
	.section	.AMDGPU.csdata,"",@progbits
; Kernel info:
; codeLenInByte = 4860
; NumSgprs: 56
; NumVgprs: 67
; NumAgprs: 0
; TotalNumVgprs: 67
; ScratchSize: 0
; MemoryBound: 0
; FloatMode: 240
; IeeeMode: 1
; LDSByteSize: 8192 bytes/workgroup (compile time only)
; SGPRBlocks: 6
; VGPRBlocks: 8
; NumSGPRsForWavesPerEU: 56
; NumVGPRsForWavesPerEU: 67
; AccumOffset: 68
; Occupancy: 7
; WaveLimiterHint : 1
; COMPUTE_PGM_RSRC2:SCRATCH_EN: 0
; COMPUTE_PGM_RSRC2:USER_SGPR: 2
; COMPUTE_PGM_RSRC2:TRAP_HANDLER: 0
; COMPUTE_PGM_RSRC2:TGID_X_EN: 1
; COMPUTE_PGM_RSRC2:TGID_Y_EN: 1
; COMPUTE_PGM_RSRC2:TGID_Z_EN: 1
; COMPUTE_PGM_RSRC2:TIDIG_COMP_CNT: 0
; COMPUTE_PGM_RSRC3_GFX90A:ACCUM_OFFSET: 16
; COMPUTE_PGM_RSRC3_GFX90A:TG_SPLIT: 0
	.section	.text._Z39paged_attention_ll4mi_QKV_mfma16_kernelIDF16_hLN4vllm18Fp8KVCacheDataTypeE1EDF16_Li16ELi64ELi256ELb1ELi13EEvPKT_PKT0_S7_ifPKiS9_S9_iPKfiiiPfSC_PS2_PT2_iSB_SB_,"axG",@progbits,_Z39paged_attention_ll4mi_QKV_mfma16_kernelIDF16_hLN4vllm18Fp8KVCacheDataTypeE1EDF16_Li16ELi64ELi256ELb1ELi13EEvPKT_PKT0_S7_ifPKiS9_S9_iPKfiiiPfSC_PS2_PT2_iSB_SB_,comdat
	.protected	_Z39paged_attention_ll4mi_QKV_mfma16_kernelIDF16_hLN4vllm18Fp8KVCacheDataTypeE1EDF16_Li16ELi64ELi256ELb1ELi13EEvPKT_PKT0_S7_ifPKiS9_S9_iPKfiiiPfSC_PS2_PT2_iSB_SB_ ; -- Begin function _Z39paged_attention_ll4mi_QKV_mfma16_kernelIDF16_hLN4vllm18Fp8KVCacheDataTypeE1EDF16_Li16ELi64ELi256ELb1ELi13EEvPKT_PKT0_S7_ifPKiS9_S9_iPKfiiiPfSC_PS2_PT2_iSB_SB_
	.globl	_Z39paged_attention_ll4mi_QKV_mfma16_kernelIDF16_hLN4vllm18Fp8KVCacheDataTypeE1EDF16_Li16ELi64ELi256ELb1ELi13EEvPKT_PKT0_S7_ifPKiS9_S9_iPKfiiiPfSC_PS2_PT2_iSB_SB_
	.p2align	8
	.type	_Z39paged_attention_ll4mi_QKV_mfma16_kernelIDF16_hLN4vllm18Fp8KVCacheDataTypeE1EDF16_Li16ELi64ELi256ELb1ELi13EEvPKT_PKT0_S7_ifPKiS9_S9_iPKfiiiPfSC_PS2_PT2_iSB_SB_,@function
_Z39paged_attention_ll4mi_QKV_mfma16_kernelIDF16_hLN4vllm18Fp8KVCacheDataTypeE1EDF16_Li16ELi64ELi256ELb1ELi13EEvPKT_PKT0_S7_ifPKiS9_S9_iPKfiiiPfSC_PS2_PT2_iSB_SB_: ; @_Z39paged_attention_ll4mi_QKV_mfma16_kernelIDF16_hLN4vllm18Fp8KVCacheDataTypeE1EDF16_Li16ELi64ELi256ELb1ELi13EEvPKT_PKT0_S7_ifPKiS9_S9_iPKfiiiPfSC_PS2_PT2_iSB_SB_
; %bb.0:
	s_load_dwordx2 s[6:7], s[0:1], 0x30
	s_mov_b32 s28, s3
	s_mov_b64 s[8:9], 0
	s_waitcnt lgkmcnt(0)
	s_cmp_lg_u64 s[6:7], 0
	s_cselect_b64 s[10:11], -1, 0
	s_and_b64 vcc, exec, s[10:11]
	s_cbranch_vccz .LBB820_7
; %bb.1:
	s_add_i32 s12, s2, 1
	s_mov_b32 s13, 0
	s_lshl_b64 s[14:15], s[12:13], 2
	s_add_u32 s14, s6, s14
	s_mov_b32 s3, s13
	s_addc_u32 s15, s7, s15
	s_lshl_b64 s[12:13], s[2:3], 2
	s_add_u32 s12, s6, s12
	s_addc_u32 s13, s7, s13
	s_load_dword s5, s[14:15], 0x0
	s_load_dword s16, s[12:13], 0x0
	s_waitcnt lgkmcnt(0)
	s_sub_i32 s5, s5, s16
	s_cmp_eq_u32 s5, 1
	s_cselect_b64 s[12:13], -1, 0
	s_andn2_b64 vcc, exec, s[8:9]
	s_cbranch_vccnz .LBB820_3
.LBB820_2:
	s_mov_b32 s3, 0
	s_mov_b64 s[12:13], -1
.LBB820_3:
	s_andn2_b64 vcc, exec, s[12:13]
	s_cbranch_vccnz .LBB820_20
; %bb.4:
	s_load_dwordx2 s[8:9], s[0:1], 0x28
	s_lshl_b64 s[12:13], s[2:3], 2
	s_waitcnt lgkmcnt(0)
	s_add_u32 s8, s8, s12
	s_addc_u32 s9, s9, s13
	s_load_dword s29, s[8:9], 0x0
	s_lshl_b32 s16, s28, 8
	s_waitcnt lgkmcnt(0)
	s_cmp_ge_i32 s16, s29
	s_cbranch_scc1 .LBB820_20
; %bb.5:
	s_load_dwordx2 s[8:9], s[0:1], 0x20
	s_load_dword s5, s[0:1], 0x38
	s_add_i32 s14, s29, 15
	s_ashr_i32 s15, s14, 31
	v_and_b32_e32 v1, 0xcf, v0
	s_lshr_b32 s15, s15, 28
	v_add_u32_e32 v1, s16, v1
	s_add_i32 s14, s14, s15
	v_ashrrev_i32_e32 v2, 31, v1
	s_ashr_i32 s17, s14, 4
	v_lshrrev_b32_e32 v4, 28, v2
	s_add_i32 s17, s17, -1
	s_waitcnt lgkmcnt(0)
	s_mul_i32 s14, s2, s5
	s_mov_b32 s15, 0
	v_add_u32_e32 v2, v1, v4
	s_lshl_b64 s[14:15], s[14:15], 2
	v_ashrrev_i32_e32 v2, 4, v2
	v_mov_b32_e32 v5, s17
	v_cmp_gt_i32_e32 vcc, s29, v1
	s_add_u32 s8, s8, s14
	s_addc_u32 s9, s9, s15
	v_cndmask_b32_e32 v2, v5, v2, vcc
	v_ashrrev_i32_e32 v3, 31, v2
	v_lshl_add_u64 v[6:7], v[2:3], 2, s[8:9]
	v_or_b32_e32 v2, 16, v1
	v_add_u32_e32 v3, v2, v4
	v_ashrrev_i32_e32 v3, 4, v3
	v_cmp_gt_i32_e32 vcc, s29, v2
	s_load_dwordx2 s[14:15], s[0:1], 0x8
	s_nop 0
	v_cndmask_b32_e32 v2, v5, v3, vcc
	v_ashrrev_i32_e32 v3, 31, v2
	v_lshl_add_u64 v[8:9], v[2:3], 2, s[8:9]
	v_or_b32_e32 v2, 32, v1
	v_add_u32_e32 v3, v2, v4
	v_ashrrev_i32_e32 v3, 4, v3
	v_cmp_gt_i32_e32 vcc, s29, v2
	v_or_b32_e32 v1, 48, v1
	s_nop 0
	v_cndmask_b32_e32 v2, v5, v3, vcc
	v_ashrrev_i32_e32 v3, 31, v2
	v_lshl_add_u64 v[10:11], v[2:3], 2, s[8:9]
	v_add_u32_e32 v2, v1, v4
	v_ashrrev_i32_e32 v2, 4, v2
	v_cmp_gt_i32_e32 vcc, s29, v1
	s_nop 1
	v_cndmask_b32_e32 v2, v5, v2, vcc
	v_ashrrev_i32_e32 v3, 31, v2
	v_lshl_add_u64 v[12:13], v[2:3], 2, s[8:9]
	global_load_dword v5, v[6:7], off
	global_load_dword v4, v[8:9], off
	;; [unrolled: 1-line block ×4, first 2 shown]
	s_andn2_b64 vcc, exec, s[10:11]
	s_cbranch_vccnz .LBB820_8
; %bb.6:
	s_add_u32 s6, s6, s12
	s_addc_u32 s7, s7, s13
	s_load_dword s5, s[6:7], 0x0
	s_branch .LBB820_9
.LBB820_7:
	s_mov_b64 s[12:13], 0
	s_branch .LBB820_2
.LBB820_8:
	s_mov_b32 s5, s2
.LBB820_9:
	s_load_dwordx2 s[6:7], s[0:1], 0x10
	s_load_dwordx4 s[44:47], s[0:1], 0x48
	v_lshrrev_b32_e32 v29, 6, v0
	v_bfe_u32 v42, v0, 4, 2
	v_lshl_or_b32 v6, v29, 2, v42
	v_and_b32_e32 v28, 15, v0
	v_lshlrev_b32_e32 v1, 3, v28
	v_cmp_gt_u32_e32 vcc, 13, v6
	v_cmp_gt_u32_e64 s[30:31], 8, v28
	s_mul_i32 s48, s4, 13
	s_and_b64 s[12:13], s[30:31], vcc
	v_lshlrev_b32_e32 v26, 1, v1
	v_lshlrev_b32_e32 v1, 4, v0
	s_and_saveexec_b64 s[10:11], s[12:13]
	s_cbranch_execz .LBB820_11
; %bb.10:
	s_load_dwordx2 s[12:13], s[0:1], 0x0
	s_waitcnt lgkmcnt(0)
	s_ashr_i32 s18, s44, 31
	s_mul_hi_u32 s19, s5, s44
	s_mul_i32 s18, s5, s18
	s_add_i32 s19, s19, s18
	s_mul_i32 s18, s5, s44
	s_lshl_b64 s[18:19], s[18:19], 1
	s_add_u32 s12, s12, s18
	v_add_lshl_u32 v8, v6, s48, 6
	s_addc_u32 s13, s13, s19
	v_ashrrev_i32_e32 v9, 31, v8
	v_lshl_add_u64 v[8:9], v[8:9], 1, s[12:13]
	v_mov_b32_e32 v27, 0
	v_lshl_add_u64 v[8:9], v[8:9], 0, v[26:27]
	global_load_dwordx4 v[8:11], v[8:9], off
	v_lshlrev_b32_e32 v12, 8, v28
	v_lshlrev_b32_e32 v6, 5, v6
	v_and_b32_e32 v7, 16, v1
	v_and_b32_e32 v12, 0xe00, v12
	v_or3_b32 v6, v12, v6, v7
	s_waitcnt vmcnt(0)
	ds_write_b128 v6, v[8:11]
.LBB820_11:
	s_or_b64 exec, exec, s[10:11]
	s_waitcnt lgkmcnt(0)
	s_mul_i32 s10, s4, s46
	s_add_u32 s4, s14, s10
	s_addc_u32 s5, s15, 0
	v_and_b32_e32 v32, 48, v0
	v_and_b32_e32 v30, 0xf0, v1
	v_mov_b32_e32 v31, 0
	v_lshl_add_u64 v[6:7], s[4:5], 0, v[30:31]
	v_lshlrev_b32_e32 v30, 4, v32
	v_lshl_add_u64 v[6:7], v[6:7], 0, v[30:31]
	s_waitcnt vmcnt(3)
	v_mad_i64_i32 v[8:9], s[4:5], v5, s45, v[6:7]
	s_waitcnt vmcnt(2)
	v_mad_i64_i32 v[4:5], s[4:5], v4, s45, v[6:7]
	s_barrier
	global_load_dwordx4 v[22:25], v[8:9], off
	global_load_dwordx4 v[18:21], v[4:5], off
	s_waitcnt vmcnt(3)
	v_mad_i64_i32 v[4:5], s[4:5], v3, s45, v[6:7]
	s_waitcnt vmcnt(2)
	v_mad_i64_i32 v[2:3], s[4:5], v2, s45, v[6:7]
	global_load_dwordx4 v[14:17], v[4:5], off
	global_load_dwordx4 v[6:9], v[2:3], off
	v_add_u32_e32 v2, -13, v28
	v_cmp_gt_u32_e32 vcc, 13, v28
	v_and_b32_e32 v27, 63, v0
	v_mov_b32_e32 v43, 0
	v_cndmask_b32_e32 v2, v2, v28, vcc
	v_lshlrev_b32_e32 v2, 5, v2
	v_lshl_add_u32 v2, v42, 9, v2
	ds_read_b128 v[10:13], v2
	ds_read_b128 v[2:5], v2 offset:16
	s_and_saveexec_b64 s[4:5], vcc
	s_cbranch_execz .LBB820_13
; %bb.12:
	s_load_dwordx2 s[12:13], s[0:1], 0x40
	v_add_u32_e32 v34, s48, v28
	v_ashrrev_i32_e32 v35, 31, v34
	s_waitcnt lgkmcnt(0)
	v_lshl_add_u64 v[34:35], v[34:35], 2, s[12:13]
	global_load_dword v43, v[34:35], off
.LBB820_13:
	s_or_b64 exec, exec, s[4:5]
	v_or_b32_e32 v62, s16, v32
	v_ashrrev_i32_e32 v30, 4, v62
	v_mov_b32_e32 v63, s17
	v_cmp_gt_i32_e32 vcc, s29, v62
	s_waitcnt vmcnt(2)
	v_cvt_pk_f32_fp8_e32 v[52:53], v20
	v_cvt_pk_f32_fp8_sdwa v[54:55], v20 src0_sel:WORD_1
	v_cndmask_b32_e32 v20, v63, v30, vcc
	v_cvt_pk_f32_fp8_e32 v[56:57], v21
	v_cvt_pk_f32_fp8_sdwa v[58:59], v21 src0_sel:WORD_1
	v_ashrrev_i32_e32 v21, 31, v20
	v_cvt_pk_f32_fp8_e32 v[40:41], v22
	v_cvt_pk_f32_fp8_sdwa v[44:45], v22 src0_sel:WORD_1
	v_lshl_add_u64 v[20:21], v[20:21], 2, s[8:9]
	v_cvt_pk_f32_fp8_e32 v[46:47], v18
	v_cvt_pk_f32_fp8_sdwa v[48:49], v18 src0_sel:WORD_1
	global_load_dword v64, v[20:21], off
	v_cvt_pk_f32_fp8_e32 v[34:35], v23
	v_cvt_pk_f32_fp8_sdwa v[32:33], v23 src0_sel:WORD_1
	v_cvt_pkrtz_f16_f32 v20, v40, v41
	v_cvt_pkrtz_f16_f32 v21, v44, v45
	v_cvt_pk_f32_fp8_e32 v[36:37], v24
	v_cvt_pk_f32_fp8_sdwa v[38:39], v24 src0_sel:WORD_1
	v_cvt_pk_f32_fp8_e32 v[50:51], v19
	v_cvt_pk_f32_fp8_sdwa v[18:19], v19 src0_sel:WORD_1
	v_cvt_pkrtz_f16_f32 v44, v46, v47
	v_cvt_pkrtz_f16_f32 v45, v48, v49
	v_cvt_pk_f32_fp8_e32 v[22:23], v25
	s_waitcnt vmcnt(2)
	v_cvt_pk_f32_fp8_e32 v[40:41], v14
	v_cvt_pk_f32_fp8_sdwa v[46:47], v14 src0_sel:WORD_1
	v_cvt_pkrtz_f16_f32 v48, v34, v35
	v_cvt_pkrtz_f16_f32 v49, v32, v33
	v_or_b32_e32 v14, 64, v62
	v_or_b32_e32 v32, 0xc0, v62
	v_cvt_pk_f32_fp8_sdwa v[24:25], v25 src0_sel:WORD_1
	s_load_dword s11, s[0:1], 0x1c
	s_load_dwordx4 s[40:43], s[0:1], 0x80
	v_cvt_pkrtz_f16_f32 v36, v36, v37
	v_cvt_pkrtz_f16_f32 v37, v38, v39
	v_or_b32_e32 v65, 0x80, v62
	v_ashrrev_i32_e32 v62, 4, v14
	v_cmp_gt_i32_e32 vcc, s29, v32
	v_ashrrev_i32_e32 v66, 4, v32
	v_cmp_gt_i32_e64 s[4:5], s29, v14
	v_cvt_pkrtz_f16_f32 v38, v50, v51
	v_cvt_pkrtz_f16_f32 v39, v18, v19
	s_waitcnt lgkmcnt(0)
	v_mfma_f32_16x16x16_f16 v[32:35], v[20:21], v[10:11], 0
	s_add_u32 s6, s6, s10
	v_lshlrev_b32_e32 v30, 4, v28
	v_cndmask_b32_e64 v50, v63, v62, s[4:5]
	v_cvt_pkrtz_f16_f32 v62, v22, v23
	v_mfma_f32_16x16x16_f16 v[20:23], v[44:45], v[10:11], 0
	v_lshl_or_b32 v30, v29, 8, v30
	s_addc_u32 s7, s7, 0
	v_ashrrev_i32_e32 v14, 4, v65
	v_lshl_add_u64 v[18:19], s[6:7], 0, v[30:31]
	v_cmp_gt_i32_e64 s[6:7], s29, v65
	v_mfma_f32_16x16x16_f16 v[30:33], v[48:49], v[12:13], v[32:35]
	v_cndmask_b32_e32 v48, v63, v66, vcc
	s_load_dword s4, s[40:41], 0x0
	v_cvt_pk_f32_fp8_e32 v[60:61], v15
	v_cndmask_b32_e64 v34, v63, v14, s[6:7]
	v_cvt_pkrtz_f16_f32 v63, v24, v25
	v_cvt_pkrtz_f16_f32 v24, v52, v53
	;; [unrolled: 1-line block ×3, first 2 shown]
	v_mfma_f32_16x16x16_f16 v[20:23], v[38:39], v[12:13], v[20:23]
	v_cvt_pkrtz_f16_f32 v40, v40, v41
	v_cvt_pkrtz_f16_f32 v41, v46, v47
	v_ashrrev_i32_e32 v51, 31, v50
	v_mfma_f32_16x16x16_f16 v[20:23], v[24:25], v[2:3], v[20:23]
	v_mov_b32_e32 v24, s11
	s_waitcnt lgkmcnt(0)
	v_mul_f32_e32 v54, s4, v24
	v_cvt_pk_f32_fp8_sdwa v[24:25], v15 src0_sel:WORD_1
	v_mfma_f32_16x16x16_f16 v[30:33], v[36:37], v[2:3], v[30:33]
	v_ashrrev_i32_e32 v35, 31, v34
	v_ashrrev_i32_e32 v49, 31, v48
	v_lshl_add_u64 v[36:37], v[50:51], 2, s[8:9]
	v_lshl_add_u64 v[34:35], v[34:35], 2, s[8:9]
	v_lshl_add_u64 v[46:47], v[48:49], 2, s[8:9]
	global_load_dword v14, v[36:37], off
	global_load_dword v44, v[34:35], off
	;; [unrolled: 1-line block ×3, first 2 shown]
	v_cvt_pkrtz_f16_f32 v46, v60, v61
	v_cvt_pk_f32_fp8_e32 v[48:49], v16
	v_cvt_pk_f32_fp8_sdwa v[50:51], v16 src0_sel:WORD_1
	v_cvt_pkrtz_f16_f32 v47, v24, v25
	v_mfma_f32_16x16x16_f16 v[36:39], v[62:63], v[4:5], v[30:33]
	v_cvt_pkrtz_f16_f32 v24, v48, v49
	v_cvt_pkrtz_f16_f32 v25, v50, v51
	;; [unrolled: 1-line block ×3, first 2 shown]
	v_mfma_f32_16x16x16_f16 v[30:33], v[40:41], v[10:11], 0
	v_cvt_pk_f32_fp8_e32 v[40:41], v17
	v_cvt_pk_f32_fp8_sdwa v[16:17], v17 src0_sel:WORD_1
	v_cvt_pkrtz_f16_f32 v53, v58, v59
	v_mfma_f32_16x16x16_f16 v[46:49], v[46:47], v[12:13], v[30:33]
	s_mov_b32 s33, 0xff7fffff
	s_waitcnt vmcnt(3)
	v_mad_i64_i32 v[34:35], s[4:5], v64, s45, v[18:19]
	v_cvt_pkrtz_f16_f32 v32, v40, v41
	v_cvt_pkrtz_f16_f32 v33, v16, v17
	v_mfma_f32_16x16x16_f16 v[46:49], v[24:25], v[2:3], v[46:49]
	v_cvt_pk_f32_fp8_e32 v[16:17], v6
	v_cvt_pk_f32_fp8_sdwa v[24:25], v6 src0_sel:WORD_1
	v_pk_mul_f32 v[30:31], v[54:55], v[38:39] op_sel_hi:[0,1]
	v_mfma_f32_16x16x16_f16 v[46:49], v[32:33], v[4:5], v[46:49]
	v_cvt_pk_f32_fp8_e32 v[32:33], v7
	v_cvt_pkrtz_f16_f32 v16, v16, v17
	v_cvt_pkrtz_f16_f32 v17, v24, v25
	v_cvt_pk_f32_fp8_sdwa v[6:7], v7 src0_sel:WORD_1
	v_pk_mul_f32 v[38:39], v[54:55], v[36:37] op_sel_hi:[0,1]
	v_cvt_pkrtz_f16_f32 v24, v32, v33
	v_cvt_pk_f32_fp8_e32 v[32:33], v8
	v_cvt_pk_f32_fp8_sdwa v[36:37], v8 src0_sel:WORD_1
	v_cvt_pkrtz_f16_f32 v25, v6, v7
	v_mfma_f32_16x16x16_f16 v[20:23], v[52:53], v[4:5], v[20:23]
	v_mfma_f32_16x16x16_f16 v[50:53], v[16:17], v[10:11], 0
	v_cvt_pkrtz_f16_f32 v10, v32, v33
	v_cvt_pkrtz_f16_f32 v11, v36, v37
	v_cvt_pk_f32_fp8_e32 v[16:17], v9
	v_cvt_pk_f32_fp8_sdwa v[32:33], v9 src0_sel:WORD_1
	v_mfma_f32_16x16x16_f16 v[6:9], v[24:25], v[12:13], v[50:53]
	s_nop 0
	v_pk_mul_f32 v[36:37], v[54:55], v[22:23] op_sel_hi:[0,1]
	v_cvt_pkrtz_f16_f32 v12, v16, v17
	v_cvt_pkrtz_f16_f32 v13, v32, v33
	v_mfma_f32_16x16x16_f16 v[6:9], v[10:11], v[2:3], v[6:9]
	v_pk_mul_f32 v[40:41], v[54:55], v[20:21] op_sel_hi:[0,1]
	v_pk_mul_f32 v[24:25], v[54:55], v[48:49] op_sel_hi:[0,1]
	;; [unrolled: 1-line block ×3, first 2 shown]
	v_mfma_f32_16x16x16_f16 v[2:5], v[12:13], v[4:5], v[6:9]
	s_nop 6
	v_pk_mul_f32 v[22:23], v[54:55], v[2:3] op_sel_hi:[0,1]
	v_and_b32_e32 v2, 0xc0, v0
	v_add_u32_e32 v2, s16, v2
	v_lshl_or_b32 v2, v42, 2, v2
	v_or_b32_e32 v3, 1, v2
	v_pk_mul_f32 v[20:21], v[54:55], v[4:5] op_sel_hi:[0,1]
	v_subrev_u32_e32 v4, s29, v3
	v_add_u32_e32 v6, 1, v4
	v_add_u32_e32 v7, 2, v4
	;; [unrolled: 1-line block ×3, first 2 shown]
	v_cvt_f32_i32_e32 v6, v6
	v_cvt_f32_i32_e32 v7, v7
	;; [unrolled: 1-line block ×3, first 2 shown]
	v_add_u32_e32 v9, 19, v4
	v_fmac_f32_e32 v39, v43, v6
	v_fma_f32 v30, v43, v7, v30
	v_fmac_f32_e32 v31, v43, v8
	v_add_u32_e32 v6, 16, v4
	v_add_u32_e32 v7, 17, v4
	;; [unrolled: 1-line block ×3, first 2 shown]
	v_cvt_f32_i32_e32 v6, v6
	v_cvt_f32_i32_e32 v7, v7
	;; [unrolled: 1-line block ×4, first 2 shown]
	v_fma_f32 v40, v43, v6, v40
	v_fmac_f32_e32 v41, v43, v7
	v_fma_f32 v36, v43, v8, v36
	v_add_u32_e32 v6, 32, v4
	v_add_u32_e32 v7, 33, v4
	;; [unrolled: 1-line block ×3, first 2 shown]
	v_cvt_f32_i32_e32 v6, v6
	v_cvt_f32_i32_e32 v7, v7
	;; [unrolled: 1-line block ×4, first 2 shown]
	v_fmac_f32_e32 v37, v43, v9
	v_add_u32_e32 v9, 35, v4
	v_fma_f32 v32, v43, v6, v32
	v_fmac_f32_e32 v33, v43, v7
	v_fma_f32 v24, v43, v8, v24
	v_add_u32_e32 v6, 48, v4
	v_add_u32_e32 v7, 49, v4
	;; [unrolled: 1-line block ×4, first 2 shown]
	v_cvt_f32_i32_e32 v4, v4
	v_cvt_f32_i32_e32 v6, v6
	;; [unrolled: 1-line block ×3, first 2 shown]
	v_fma_f32 v5, v43, v5, v38
	v_fmac_f32_e32 v21, v43, v4
	v_mov_b32_e32 v4, 0xff7fffff
	v_cmp_gt_i32_e64 s[4:5], s29, v2
	v_cmp_gt_i32_e64 s[34:35], s29, v3
	v_fma_f32 v22, v43, v6, v22
	v_cndmask_b32_e64 v6, v4, v5, s[4:5]
	v_cndmask_b32_e64 v3, v4, v39, s[34:35]
	v_fmac_f32_e32 v23, v43, v7
	v_max3_f32 v3, v6, s33, v3
	v_or_b32_e32 v6, 2, v2
	v_or_b32_e32 v7, 3, v2
	v_cmp_gt_i32_e64 s[36:37], s29, v6
	v_cmp_gt_i32_e64 s[38:39], s29, v7
	v_cvt_f32_i32_e32 v9, v9
	v_cndmask_b32_e64 v6, v4, v30, s[36:37]
	v_cndmask_b32_e64 v7, v4, v31, s[38:39]
	v_max3_f32 v3, v3, v6, v7
	v_or_b32_e32 v6, 16, v2
	v_or_b32_e32 v7, 17, v2
	v_cmp_gt_i32_e64 s[24:25], s29, v6
	v_cmp_gt_i32_e64 s[26:27], s29, v7
	v_fmac_f32_e32 v25, v43, v9
	v_cndmask_b32_e64 v6, v4, v40, s[24:25]
	v_cndmask_b32_e64 v7, v4, v41, s[26:27]
	v_max3_f32 v3, v3, v6, v7
	v_or_b32_e32 v6, 18, v2
	v_or_b32_e32 v7, 19, v2
	v_cmp_gt_i32_e64 s[20:21], s29, v6
	v_cmp_gt_i32_e64 s[22:23], s29, v7
	v_cvt_f32_i32_e32 v8, v8
	v_cndmask_b32_e64 v6, v4, v36, s[20:21]
	v_cndmask_b32_e64 v7, v4, v37, s[22:23]
	v_max3_f32 v3, v3, v6, v7
	v_or_b32_e32 v6, 32, v2
	v_or_b32_e32 v7, 33, v2
	v_cmp_gt_i32_e64 s[16:17], s29, v6
	v_cmp_gt_i32_e64 s[18:19], s29, v7
	v_fma_f32 v20, v43, v8, v20
	v_cndmask_b32_e64 v6, v4, v32, s[16:17]
	v_cndmask_b32_e64 v7, v4, v33, s[18:19]
	v_max3_f32 v3, v3, v6, v7
	v_or_b32_e32 v6, 34, v2
	v_or_b32_e32 v7, 35, v2
	v_cmp_gt_i32_e64 s[12:13], s29, v6
	v_cmp_gt_i32_e64 s[14:15], s29, v7
	s_nop 0
	v_cndmask_b32_e64 v6, v4, v24, s[12:13]
	v_cndmask_b32_e64 v7, v4, v25, s[14:15]
	v_max3_f32 v3, v3, v6, v7
	v_or_b32_e32 v6, 48, v2
	v_or_b32_e32 v7, 49, v2
	v_cmp_gt_i32_e64 s[8:9], s29, v6
	v_cmp_gt_i32_e64 s[10:11], s29, v7
	s_nop 0
	v_cndmask_b32_e64 v6, v4, v22, s[8:9]
	v_cndmask_b32_e64 v7, v4, v23, s[10:11]
	v_max3_f32 v3, v3, v6, v7
	v_or_b32_e32 v6, 50, v2
	v_or_b32_e32 v2, 51, v2
	v_cmp_gt_i32_e32 vcc, s29, v6
	v_cmp_gt_i32_e64 s[6:7], s29, v2
	s_nop 0
	v_cndmask_b32_e32 v6, v4, v20, vcc
	v_cndmask_b32_e64 v2, v4, v21, s[6:7]
	v_max3_f32 v4, v3, v6, v2
	v_mbcnt_lo_u32_b32 v2, -1, 0
	v_mbcnt_hi_u32_b32 v6, -1, v2
	v_and_b32_e32 v2, 64, v6
	v_add_u32_e32 v7, 64, v2
	v_xor_b32_e32 v2, 32, v6
	v_cmp_lt_i32_e64 s[40:41], v2, v7
	s_nop 1
	v_cndmask_b32_e64 v2, v6, v2, s[40:41]
	v_lshlrev_b32_e32 v43, 2, v2
	ds_bpermute_b32 v8, v43, v4
	s_waitcnt vmcnt(2)
	v_mad_i64_i32 v[2:3], s[40:41], v14, s45, v[18:19]
	global_load_dwordx4 v[14:17], v[34:35], off
	global_load_dwordx4 v[10:13], v[2:3], off
	v_xor_b32_e32 v3, 16, v6
	v_cmp_lt_i32_e64 s[40:41], v3, v7
	s_waitcnt lgkmcnt(0)
	v_max_f32_e32 v2, v8, v8
	v_max_f32_e32 v2, v4, v2
	v_cndmask_b32_e64 v3, v6, v3, s[40:41]
	v_lshlrev_b32_e32 v46, 2, v3
	ds_bpermute_b32 v3, v46, v2
	s_waitcnt vmcnt(3)
	v_mad_i64_i32 v[34:35], s[40:41], v44, s45, v[18:19]
	s_waitcnt vmcnt(2)
	v_mad_i64_i32 v[18:19], s[40:41], v45, s45, v[18:19]
	s_waitcnt lgkmcnt(0)
	v_max_f32_e32 v3, v3, v3
	v_max_f32_e32 v38, v2, v3
	v_sub_f32_e32 v2, v5, v38
	v_mul_f32_e32 v2, 0x3fb8aa3b, v2
	v_exp_f32_e32 v44, v2
	v_sub_f32_e32 v2, v39, v38
	v_mul_f32_e32 v2, 0x3fb8aa3b, v2
	v_exp_f32_e32 v39, v2
	global_load_dwordx4 v[6:9], v[34:35], off
	global_load_dwordx4 v[2:5], v[18:19], off
	v_sub_f32_e32 v30, v30, v38
	v_mul_f32_e32 v30, 0x3fb8aa3b, v30
	v_sub_f32_e32 v31, v31, v38
	v_exp_f32_e32 v30, v30
	v_mul_f32_e32 v31, 0x3fb8aa3b, v31
	v_exp_f32_e32 v31, v31
	v_cndmask_b32_e64 v18, 0, v44, s[4:5]
	v_add_f32_e32 v34, 0, v18
	v_cndmask_b32_e64 v19, 0, v39, s[34:35]
	v_add_f32_e32 v35, v34, v19
	;; [unrolled: 2-line block ×3, first 2 shown]
	v_cndmask_b32_e64 v35, 0, v31, s[38:39]
	v_sub_f32_e32 v31, v40, v38
	v_mul_f32_e32 v31, 0x3fb8aa3b, v31
	v_sub_f32_e32 v39, v41, v38
	v_exp_f32_e32 v31, v31
	v_mul_f32_e32 v39, 0x3fb8aa3b, v39
	v_sub_f32_e32 v36, v36, v38
	v_exp_f32_e32 v39, v39
	;; [unrolled: 3-line block ×4, first 2 shown]
	v_mul_f32_e32 v32, 0x3fb8aa3b, v32
	v_sub_f32_e32 v33, v33, v38
	v_add_f32_e32 v40, v30, v35
	v_cndmask_b32_e64 v30, 0, v31, s[24:25]
	v_exp_f32_e32 v32, v32
	v_mul_f32_e32 v33, 0x3fb8aa3b, v33
	v_sub_f32_e32 v24, v24, v38
	v_add_f32_e32 v40, v40, v30
	v_cndmask_b32_e64 v31, 0, v39, s[26:27]
	v_exp_f32_e32 v33, v33
	v_mul_f32_e32 v24, 0x3fb8aa3b, v24
	v_sub_f32_e32 v25, v25, v38
	v_add_f32_e32 v39, v40, v31
	v_cndmask_b32_e64 v36, 0, v36, s[20:21]
	v_exp_f32_e32 v24, v24
	v_mul_f32_e32 v25, 0x3fb8aa3b, v25
	v_sub_f32_e32 v22, v22, v38
	v_add_f32_e32 v39, v39, v36
	v_cndmask_b32_e64 v37, 0, v37, s[22:23]
	v_exp_f32_e32 v25, v25
	v_mul_f32_e32 v22, 0x3fb8aa3b, v22
	v_sub_f32_e32 v23, v23, v38
	v_add_f32_e32 v39, v39, v37
	v_cndmask_b32_e64 v32, 0, v32, s[16:17]
	v_exp_f32_e32 v22, v22
	v_mul_f32_e32 v23, 0x3fb8aa3b, v23
	v_sub_f32_e32 v20, v20, v38
	v_add_f32_e32 v39, v39, v32
	v_cndmask_b32_e64 v33, 0, v33, s[18:19]
	v_exp_f32_e32 v23, v23
	v_mul_f32_e32 v20, 0x3fb8aa3b, v20
	v_sub_f32_e32 v21, v21, v38
	v_add_f32_e32 v39, v39, v33
	v_cndmask_b32_e64 v24, 0, v24, s[12:13]
	v_exp_f32_e32 v20, v20
	v_mul_f32_e32 v21, 0x3fb8aa3b, v21
	v_add_f32_e32 v39, v39, v24
	v_cndmask_b32_e64 v25, 0, v25, s[14:15]
	v_exp_f32_e32 v21, v21
	v_add_f32_e32 v39, v39, v25
	v_cndmask_b32_e64 v22, 0, v22, s[8:9]
	v_add_f32_e32 v39, v39, v22
	v_cndmask_b32_e64 v23, 0, v23, s[10:11]
	v_add_f32_e32 v39, v39, v23
	v_cndmask_b32_e32 v20, 0, v20, vcc
	v_add_f32_e32 v39, v39, v20
	v_cndmask_b32_e64 v21, 0, v21, s[6:7]
	v_add_f32_e32 v39, v39, v21
	ds_bpermute_b32 v40, v43, v39
	s_load_dword s9, s[0:1], 0x98
	v_cmp_gt_u32_e64 s[6:7], 16, v27
	s_waitcnt lgkmcnt(0)
	s_barrier
	v_add_f32_e32 v40, v39, v40
	ds_bpermute_b32 v41, v46, v40
	v_lshlrev_b32_e32 v39, 2, v28
	s_waitcnt lgkmcnt(0)
	s_and_saveexec_b64 s[4:5], s[6:7]
	s_cbranch_execz .LBB820_15
; %bb.14:
	v_add_f32_e32 v27, v40, v41
	v_lshl_or_b32 v40, v29, 6, v39
	ds_write2st64_b32 v40, v38, v27 offset1:1
.LBB820_15:
	s_or_b64 exec, exec, s[4:5]
	s_load_dword s8, s[0:1], 0x94
	s_waitcnt lgkmcnt(0)
	s_barrier
	ds_read2_b32 v[40:41], v39 offset1:16
	ds_read2_b32 v[44:45], v39 offset0:32 offset1:48
	ds_read2_b32 v[46:47], v39 offset0:64 offset1:80
	s_mul_i32 s9, s9, 13
	s_waitcnt lgkmcnt(2)
	v_max3_f32 v27, v40, s33, v41
	s_waitcnt lgkmcnt(1)
	v_max3_f32 v27, v27, v44, v45
	v_sub_f32_e32 v38, v40, v27
	v_mul_f32_e32 v38, 0x3fb8aa3b, v38
	v_exp_f32_e32 v43, v38
	v_sub_f32_e32 v38, v41, v27
	v_mul_f32_e32 v38, 0x3fb8aa3b, v38
	v_exp_f32_e32 v48, v38
	;; [unrolled: 3-line block ×3, first 2 shown]
	ds_read2_b32 v[40:41], v39 offset0:96 offset1:112
	v_sub_f32_e32 v38, v45, v27
	v_mul_f32_e32 v38, 0x3fb8aa3b, v38
	v_exp_f32_e32 v39, v38
	s_waitcnt lgkmcnt(1)
	v_fma_f32 v38, v43, v46, 0
	v_fmac_f32_e32 v38, v48, v47
	s_waitcnt lgkmcnt(0)
	v_fmac_f32_e32 v38, v44, v40
	v_fmac_f32_e32 v38, v39, v41
	v_add_f32_e32 v40, 0x358637bd, v38
	v_div_scale_f32 v41, s[4:5], v40, v40, 1.0
	v_rcp_f32_e32 v45, v41
	s_barrier
	v_fma_f32 v46, -v41, v45, 1.0
	v_fmac_f32_e32 v45, v46, v45
	v_div_scale_f32 v46, vcc, 1.0, v40, 1.0
	v_mul_f32_e32 v47, v46, v45
	v_fma_f32 v49, -v41, v47, v46
	v_fmac_f32_e32 v47, v49, v45
	v_fma_f32 v41, -v41, v47, v46
	v_div_fmas_f32 v41, v41, v45, v47
	v_cmp_eq_u32_e32 vcc, 1, v29
	v_div_fixup_f32 v40, v41, v40, 1.0
	s_nop 0
	v_cndmask_b32_e32 v41, v43, v48, vcc
	v_cmp_eq_u32_e32 vcc, 2, v29
	s_nop 1
	v_cndmask_b32_e32 v41, v41, v44, vcc
	v_cmp_eq_u32_e32 vcc, 3, v29
	v_lshlrev_b32_e32 v29, 11, v29
	s_nop 0
	v_cndmask_b32_e32 v39, v41, v39, vcc
	v_mul_f32_e32 v40, v39, v40
	v_pk_mul_f32 v[18:19], v[40:41], v[18:19] op_sel_hi:[0,1]
	v_pk_mul_f32 v[34:35], v[40:41], v[34:35] op_sel_hi:[0,1]
	v_cvt_f16_f32_e32 v18, v18
	v_cvt_f16_f32_e32 v19, v19
	v_pk_mul_f32 v[36:37], v[40:41], v[36:37] op_sel_hi:[0,1]
	v_pk_mul_f32 v[30:31], v[40:41], v[30:31] op_sel_hi:[0,1]
	v_cvt_f16_f32_e32 v39, v34
	v_cvt_f16_f32_e32 v35, v35
	;; [unrolled: 1-line block ×6, first 2 shown]
	v_pack_b32_f16 v34, v18, v19
	v_lshlrev_b32_e32 v18, 3, v42
	v_lshlrev_b32_e32 v19, 5, v28
	v_pack_b32_f16 v35, v39, v35
	v_or3_b32 v18, v29, v19, v18
	v_pack_b32_f16 v30, v30, v31
	v_pack_b32_f16 v31, v36, v37
	ds_write2st64_b64 v18, v[34:35], v[30:31] offset1:1
	v_pk_mul_f32 v[24:25], v[40:41], v[24:25] op_sel_hi:[0,1]
	v_pk_mul_f32 v[30:31], v[40:41], v[32:33] op_sel_hi:[0,1]
	;; [unrolled: 1-line block ×4, first 2 shown]
	v_cvt_f16_f32_e32 v29, v30
	v_cvt_f16_f32_e32 v30, v31
	;; [unrolled: 1-line block ×8, first 2 shown]
	v_pack_b32_f16 v20, v29, v30
	v_pack_b32_f16 v21, v24, v25
	;; [unrolled: 1-line block ×4, first 2 shown]
	v_cmp_gt_u32_e32 vcc, 13, v0
	ds_write2st64_b64 v18, v[20:21], v[22:23] offset0:2 offset1:3
	s_and_saveexec_b64 s[4:5], vcc
	s_cbranch_execz .LBB820_17
; %bb.16:
	s_mov_b32 s49, 0
	v_mov_b32_e32 v29, 0
	v_lshl_add_u64 v[20:21], s[48:49], 0, v[28:29]
	v_mov_b32_e32 v22, s9
	v_mad_u64_u32 v[20:21], s[10:11], s2, v22, v[20:21]
	s_mul_i32 s3, s3, s9
	v_mov_b32_e32 v28, s28
	s_load_dwordx4 s[12:15], s[0:1], 0x58
	v_add_u32_e32 v23, s3, v21
	v_mad_u64_u32 v[20:21], s[10:11], v20, s8, v[28:29]
	v_mov_b32_e32 v22, v21
	v_mad_u64_u32 v[22:23], s[10:11], v23, s8, v[22:23]
	v_mov_b32_e32 v21, v22
	v_lshlrev_b64 v[20:21], 2, v[20:21]
	s_waitcnt lgkmcnt(0)
	v_lshl_add_u64 v[22:23], s[14:15], 0, v[20:21]
	v_lshl_add_u64 v[20:21], s[12:13], 0, v[20:21]
	global_store_dword v[22:23], v27, off
	global_store_dword v[20:21], v38, off
.LBB820_17:
	s_or_b64 exec, exec, s[4:5]
	s_waitcnt vmcnt(3)
	v_cvt_pk_f32_fp8_e32 v[20:21], v14
	v_cvt_pk_f32_fp8_sdwa v[22:23], v14 src0_sel:WORD_1
	v_lshl_or_b32 v14, v42, 9, v19
	s_waitcnt lgkmcnt(0)
	s_barrier
	v_cvt_pk_f32_fp8_e32 v[24:25], v15
	v_cvt_pkrtz_f16_f32 v32, v20, v21
	v_cvt_pkrtz_f16_f32 v33, v22, v23
	v_cvt_pk_f32_fp8_sdwa v[28:29], v15 src0_sel:WORD_1
	ds_read_b128 v[20:23], v14
	v_cvt_pkrtz_f16_f32 v24, v24, v25
	v_cvt_pk_f32_fp8_e32 v[36:37], v16
	v_cvt_pkrtz_f16_f32 v25, v28, v29
	ds_read_b128 v[28:31], v14 offset:16
	v_cvt_pk_f32_fp8_sdwa v[38:39], v16 src0_sel:WORD_1
	s_waitcnt lgkmcnt(1)
	v_mfma_f32_16x16x16_f16 v[32:35], v[32:33], v[20:21], 0
	v_cvt_pkrtz_f16_f32 v36, v36, v37
	s_load_dword s4, s[42:43], 0x0
	v_cvt_pkrtz_f16_f32 v37, v38, v39
	v_cvt_pk_f32_fp8_e32 v[38:39], v17
	v_cvt_pk_f32_fp8_sdwa v[16:17], v17 src0_sel:WORD_1
	v_mfma_f32_16x16x16_f16 v[20:23], v[24:25], v[22:23], v[32:35]
	v_cmp_gt_u32_e32 vcc, 64, v0
	v_cvt_pkrtz_f16_f32 v24, v38, v39
	v_cvt_pkrtz_f16_f32 v25, v16, v17
	s_waitcnt lgkmcnt(0)
	v_mfma_f32_16x16x16_f16 v[20:23], v[36:37], v[28:29], v[20:23]
	s_waitcnt vmcnt(2)
	v_cvt_pk_f32_fp8_e32 v[16:17], v10
	v_cvt_pk_f32_fp8_e32 v[28:29], v11
	v_cvt_pk_f32_fp8_sdwa v[36:37], v12 src0_sel:WORD_1
	v_mfma_f32_16x16x16_f16 v[20:23], v[24:25], v[30:31], v[20:23]
	v_cvt_pk_f32_fp8_sdwa v[24:25], v10 src0_sel:WORD_1
	v_cvt_pkrtz_f16_f32 v10, v16, v17
	v_cvt_pk_f32_fp8_sdwa v[16:17], v11 src0_sel:WORD_1
	ds_read_b128 v[32:35], v14 offset:2064
	v_cvt_pkrtz_f16_f32 v11, v24, v25
	v_cvt_pkrtz_f16_f32 v24, v28, v29
	ds_read_b128 v[28:31], v14 offset:2048
	v_cvt_pkrtz_f16_f32 v25, v16, v17
	v_cvt_pk_f32_fp8_e32 v[16:17], v12
	s_waitcnt lgkmcnt(0)
	v_mfma_f32_16x16x16_f16 v[20:23], v[10:11], v[28:29], v[20:23]
	v_cvt_pkrtz_f16_f32 v10, v16, v17
	v_cvt_pkrtz_f16_f32 v11, v36, v37
	v_cvt_pk_f32_fp8_e32 v[16:17], v13
	v_mfma_f32_16x16x16_f16 v[20:23], v[24:25], v[30:31], v[20:23]
	v_cvt_pk_f32_fp8_sdwa v[24:25], v13 src0_sel:WORD_1
	ds_read_b128 v[28:31], v14 offset:4112
	v_cvt_pkrtz_f16_f32 v16, v16, v17
	v_mfma_f32_16x16x16_f16 v[10:13], v[10:11], v[32:33], v[20:23]
	v_cvt_pkrtz_f16_f32 v17, v24, v25
	s_waitcnt vmcnt(1)
	v_cvt_pk_f32_fp8_sdwa v[24:25], v7 src0_sel:WORD_1
	v_cvt_pk_f32_fp8_sdwa v[32:33], v8 src0_sel:WORD_1
	v_cvt_pk_f32_fp8_e32 v[20:21], v6
	v_mfma_f32_16x16x16_f16 v[10:13], v[16:17], v[34:35], v[10:13]
	v_cvt_pk_f32_fp8_sdwa v[16:17], v6 src0_sel:WORD_1
	v_cvt_pk_f32_fp8_e32 v[22:23], v7
	v_cvt_pkrtz_f16_f32 v6, v20, v21
	s_mov_b32 s3, 0
	v_cvt_pkrtz_f16_f32 v7, v16, v17
	v_cvt_pkrtz_f16_f32 v16, v22, v23
	ds_read_b128 v[20:23], v14 offset:4096
	v_cvt_pkrtz_f16_f32 v17, v24, v25
	v_cvt_pk_f32_fp8_e32 v[24:25], v8
	s_waitcnt lgkmcnt(0)
	v_mfma_f32_16x16x16_f16 v[10:13], v[6:7], v[20:21], v[10:13]
	v_cvt_pkrtz_f16_f32 v6, v24, v25
	v_cvt_pkrtz_f16_f32 v7, v32, v33
	v_cvt_pk_f32_fp8_e32 v[20:21], v9
	v_mfma_f32_16x16x16_f16 v[10:13], v[16:17], v[22:23], v[10:13]
	v_cvt_pk_f32_fp8_sdwa v[16:17], v9 src0_sel:WORD_1
	s_waitcnt vmcnt(0)
	v_cvt_pk_f32_fp8_sdwa v[24:25], v4 src0_sel:WORD_1
	v_cvt_pkrtz_f16_f32 v20, v20, v21
	v_mfma_f32_16x16x16_f16 v[6:9], v[6:7], v[28:29], v[10:13]
	v_cvt_pkrtz_f16_f32 v21, v16, v17
	v_cvt_pk_f32_fp8_e32 v[16:17], v3
	v_mov_b32_e32 v27, 0
	v_cvt_pk_f32_fp8_e32 v[10:11], v2
	v_cvt_pk_f32_fp8_sdwa v[12:13], v2 src0_sel:WORD_1
	v_mfma_f32_16x16x16_f16 v[6:9], v[20:21], v[30:31], v[6:9]
	v_cvt_pk_f32_fp8_sdwa v[20:21], v3 src0_sel:WORD_1
	v_cvt_pkrtz_f16_f32 v2, v10, v11
	v_cvt_pkrtz_f16_f32 v3, v12, v13
	ds_read_b128 v[10:13], v14 offset:6144
	v_cvt_pkrtz_f16_f32 v22, v16, v17
	v_cvt_pkrtz_f16_f32 v23, v20, v21
	v_cvt_pk_f32_fp8_e32 v[20:21], v4
	s_waitcnt lgkmcnt(0)
	v_mfma_f32_16x16x16_f16 v[6:9], v[2:3], v[10:11], v[6:9]
	ds_read_b128 v[14:17], v14 offset:6160
	v_cvt_pkrtz_f16_f32 v2, v20, v21
	v_cvt_pkrtz_f16_f32 v3, v24, v25
	v_cvt_pk_f32_fp8_e32 v[10:11], v5
	v_mfma_f32_16x16x16_f16 v[6:9], v[22:23], v[12:13], v[6:9]
	v_cvt_pk_f32_fp8_sdwa v[12:13], v5 src0_sel:WORD_1
	s_waitcnt lgkmcnt(0)
	v_cvt_pkrtz_f16_f32 v10, v10, v11
	v_mfma_f32_16x16x16_f16 v[2:5], v[2:3], v[14:15], v[6:9]
	v_cvt_pkrtz_f16_f32 v11, v12, v13
	s_barrier
	s_nop 0
	v_mfma_f32_16x16x16_f16 v[2:5], v[10:11], v[16:17], v[2:5]
	s_nop 6
	v_pk_mul_f32 v[4:5], v[4:5], s[4:5] op_sel_hi:[1,0]
	v_pk_mul_f32 v[2:3], v[2:3], s[4:5] op_sel_hi:[1,0]
	v_cvt_f16_f32_e32 v4, v4
	v_cvt_f16_f32_e32 v2, v2
	;; [unrolled: 1-line block ×4, first 2 shown]
	s_and_b64 s[4:5], vcc, s[30:31]
	v_pack_b32_f16 v2, v2, v3
	v_pack_b32_f16 v3, v4, v5
	ds_write_b64 v18, v[2:3]
	s_waitcnt lgkmcnt(0)
	s_barrier
	s_and_saveexec_b64 s[10:11], s[4:5]
	s_cbranch_execz .LBB820_20
; %bb.18:
	s_load_dwordx2 s[4:5], s[0:1], 0x68
	s_lshl_b32 s0, s8, 6
	s_mul_i32 s1, s9, s2
	s_mul_hi_u32 s9, s1, s0
	s_mul_i32 s8, s1, s0
	v_lshlrev_b32_e32 v0, 10, v0
	s_lshl_b64 s[8:9], s[8:9], 1
	v_and_b32_e32 v0, 0x1800, v0
	v_lshlrev_b32_e32 v2, 5, v42
	v_and_b32_e32 v1, 16, v1
	s_waitcnt lgkmcnt(0)
	s_add_u32 s1, s4, s8
	v_or3_b32 v2, v0, v2, v1
	s_addc_u32 s4, s5, s9
	s_lshl_b32 s2, s28, 6
	ds_read_b128 v[4:7], v2 offset:256
	s_lshl_b64 s[2:3], s[2:3], 1
	ds_read_b128 v[8:11], v2 offset:128
	ds_read_b128 v[12:15], v2
	s_add_u32 s2, s1, s2
	s_addc_u32 s3, s4, s3
	v_add_u32_e32 v3, s48, v42
	v_lshl_add_u64 v[0:1], s[2:3], 0, v[26:27]
	v_mad_u64_u32 v[16:17], s[2:3], v3, s0, 0
	v_lshl_add_u64 v[16:17], v[16:17], 1, v[0:1]
	s_waitcnt lgkmcnt(0)
	global_store_dwordx4 v[16:17], v[12:15], off
	s_nop 1
	v_add_u32_e32 v12, 4, v3
	v_mad_u64_u32 v[12:13], s[2:3], v12, s0, 0
	v_lshl_add_u64 v[12:13], v[12:13], 1, v[0:1]
	v_add_u32_e32 v3, 8, v3
	global_store_dwordx4 v[12:13], v[8:11], off
	s_nop 1
	v_mad_u64_u32 v[8:9], s[2:3], v3, s0, 0
	v_lshl_add_u64 v[8:9], v[8:9], 1, v[0:1]
	global_store_dwordx4 v[8:9], v[4:7], off
	s_and_b64 exec, exec, s[6:7]
	s_cbranch_execz .LBB820_20
; %bb.19:
	ds_read_b128 v[2:5], v2 offset:384
	v_add3_u32 v6, s48, v42, 12
	v_mad_u64_u32 v[6:7], s[0:1], v6, s0, 0
	v_lshl_add_u64 v[0:1], v[6:7], 1, v[0:1]
	s_waitcnt lgkmcnt(0)
	global_store_dwordx4 v[0:1], v[2:5], off
.LBB820_20:
	s_endpgm
	.section	.rodata,"a",@progbits
	.p2align	6, 0x0
	.amdhsa_kernel _Z39paged_attention_ll4mi_QKV_mfma16_kernelIDF16_hLN4vllm18Fp8KVCacheDataTypeE1EDF16_Li16ELi64ELi256ELb1ELi13EEvPKT_PKT0_S7_ifPKiS9_S9_iPKfiiiPfSC_PS2_PT2_iSB_SB_
		.amdhsa_group_segment_fixed_size 8192
		.amdhsa_private_segment_fixed_size 0
		.amdhsa_kernarg_size 400
		.amdhsa_user_sgpr_count 2
		.amdhsa_user_sgpr_dispatch_ptr 0
		.amdhsa_user_sgpr_queue_ptr 0
		.amdhsa_user_sgpr_kernarg_segment_ptr 1
		.amdhsa_user_sgpr_dispatch_id 0
		.amdhsa_user_sgpr_kernarg_preload_length 0
		.amdhsa_user_sgpr_kernarg_preload_offset 0
		.amdhsa_user_sgpr_private_segment_size 0
		.amdhsa_uses_dynamic_stack 0
		.amdhsa_enable_private_segment 0
		.amdhsa_system_sgpr_workgroup_id_x 1
		.amdhsa_system_sgpr_workgroup_id_y 1
		.amdhsa_system_sgpr_workgroup_id_z 1
		.amdhsa_system_sgpr_workgroup_info 0
		.amdhsa_system_vgpr_workitem_id 0
		.amdhsa_next_free_vgpr 67
		.amdhsa_next_free_sgpr 50
		.amdhsa_accum_offset 68
		.amdhsa_reserve_vcc 1
		.amdhsa_float_round_mode_32 0
		.amdhsa_float_round_mode_16_64 0
		.amdhsa_float_denorm_mode_32 3
		.amdhsa_float_denorm_mode_16_64 3
		.amdhsa_dx10_clamp 1
		.amdhsa_ieee_mode 1
		.amdhsa_fp16_overflow 0
		.amdhsa_tg_split 0
		.amdhsa_exception_fp_ieee_invalid_op 0
		.amdhsa_exception_fp_denorm_src 0
		.amdhsa_exception_fp_ieee_div_zero 0
		.amdhsa_exception_fp_ieee_overflow 0
		.amdhsa_exception_fp_ieee_underflow 0
		.amdhsa_exception_fp_ieee_inexact 0
		.amdhsa_exception_int_div_zero 0
	.end_amdhsa_kernel
	.section	.text._Z39paged_attention_ll4mi_QKV_mfma16_kernelIDF16_hLN4vllm18Fp8KVCacheDataTypeE1EDF16_Li16ELi64ELi256ELb1ELi13EEvPKT_PKT0_S7_ifPKiS9_S9_iPKfiiiPfSC_PS2_PT2_iSB_SB_,"axG",@progbits,_Z39paged_attention_ll4mi_QKV_mfma16_kernelIDF16_hLN4vllm18Fp8KVCacheDataTypeE1EDF16_Li16ELi64ELi256ELb1ELi13EEvPKT_PKT0_S7_ifPKiS9_S9_iPKfiiiPfSC_PS2_PT2_iSB_SB_,comdat
.Lfunc_end820:
	.size	_Z39paged_attention_ll4mi_QKV_mfma16_kernelIDF16_hLN4vllm18Fp8KVCacheDataTypeE1EDF16_Li16ELi64ELi256ELb1ELi13EEvPKT_PKT0_S7_ifPKiS9_S9_iPKfiiiPfSC_PS2_PT2_iSB_SB_, .Lfunc_end820-_Z39paged_attention_ll4mi_QKV_mfma16_kernelIDF16_hLN4vllm18Fp8KVCacheDataTypeE1EDF16_Li16ELi64ELi256ELb1ELi13EEvPKT_PKT0_S7_ifPKiS9_S9_iPKfiiiPfSC_PS2_PT2_iSB_SB_
                                        ; -- End function
	.section	.AMDGPU.csdata,"",@progbits
; Kernel info:
; codeLenInByte = 4908
; NumSgprs: 56
; NumVgprs: 67
; NumAgprs: 0
; TotalNumVgprs: 67
; ScratchSize: 0
; MemoryBound: 0
; FloatMode: 240
; IeeeMode: 1
; LDSByteSize: 8192 bytes/workgroup (compile time only)
; SGPRBlocks: 6
; VGPRBlocks: 8
; NumSGPRsForWavesPerEU: 56
; NumVGPRsForWavesPerEU: 67
; AccumOffset: 68
; Occupancy: 7
; WaveLimiterHint : 1
; COMPUTE_PGM_RSRC2:SCRATCH_EN: 0
; COMPUTE_PGM_RSRC2:USER_SGPR: 2
; COMPUTE_PGM_RSRC2:TRAP_HANDLER: 0
; COMPUTE_PGM_RSRC2:TGID_X_EN: 1
; COMPUTE_PGM_RSRC2:TGID_Y_EN: 1
; COMPUTE_PGM_RSRC2:TGID_Z_EN: 1
; COMPUTE_PGM_RSRC2:TIDIG_COMP_CNT: 0
; COMPUTE_PGM_RSRC3_GFX90A:ACCUM_OFFSET: 16
; COMPUTE_PGM_RSRC3_GFX90A:TG_SPLIT: 0
	.section	.text._Z39paged_attention_ll4mi_QKV_mfma16_kernelIDF16_hLN4vllm18Fp8KVCacheDataTypeE1EDF16_Li16ELi64ELi256ELb1ELi14EEvPKT_PKT0_S7_ifPKiS9_S9_iPKfiiiPfSC_PS2_PT2_iSB_SB_,"axG",@progbits,_Z39paged_attention_ll4mi_QKV_mfma16_kernelIDF16_hLN4vllm18Fp8KVCacheDataTypeE1EDF16_Li16ELi64ELi256ELb1ELi14EEvPKT_PKT0_S7_ifPKiS9_S9_iPKfiiiPfSC_PS2_PT2_iSB_SB_,comdat
	.protected	_Z39paged_attention_ll4mi_QKV_mfma16_kernelIDF16_hLN4vllm18Fp8KVCacheDataTypeE1EDF16_Li16ELi64ELi256ELb1ELi14EEvPKT_PKT0_S7_ifPKiS9_S9_iPKfiiiPfSC_PS2_PT2_iSB_SB_ ; -- Begin function _Z39paged_attention_ll4mi_QKV_mfma16_kernelIDF16_hLN4vllm18Fp8KVCacheDataTypeE1EDF16_Li16ELi64ELi256ELb1ELi14EEvPKT_PKT0_S7_ifPKiS9_S9_iPKfiiiPfSC_PS2_PT2_iSB_SB_
	.globl	_Z39paged_attention_ll4mi_QKV_mfma16_kernelIDF16_hLN4vllm18Fp8KVCacheDataTypeE1EDF16_Li16ELi64ELi256ELb1ELi14EEvPKT_PKT0_S7_ifPKiS9_S9_iPKfiiiPfSC_PS2_PT2_iSB_SB_
	.p2align	8
	.type	_Z39paged_attention_ll4mi_QKV_mfma16_kernelIDF16_hLN4vllm18Fp8KVCacheDataTypeE1EDF16_Li16ELi64ELi256ELb1ELi14EEvPKT_PKT0_S7_ifPKiS9_S9_iPKfiiiPfSC_PS2_PT2_iSB_SB_,@function
_Z39paged_attention_ll4mi_QKV_mfma16_kernelIDF16_hLN4vllm18Fp8KVCacheDataTypeE1EDF16_Li16ELi64ELi256ELb1ELi14EEvPKT_PKT0_S7_ifPKiS9_S9_iPKfiiiPfSC_PS2_PT2_iSB_SB_: ; @_Z39paged_attention_ll4mi_QKV_mfma16_kernelIDF16_hLN4vllm18Fp8KVCacheDataTypeE1EDF16_Li16ELi64ELi256ELb1ELi14EEvPKT_PKT0_S7_ifPKiS9_S9_iPKfiiiPfSC_PS2_PT2_iSB_SB_
; %bb.0:
	s_load_dwordx2 s[6:7], s[0:1], 0x30
	s_mov_b32 s28, s3
	s_mov_b64 s[8:9], 0
	s_waitcnt lgkmcnt(0)
	s_cmp_lg_u64 s[6:7], 0
	s_cselect_b64 s[10:11], -1, 0
	s_and_b64 vcc, exec, s[10:11]
	s_cbranch_vccz .LBB821_7
; %bb.1:
	s_add_i32 s12, s2, 1
	s_mov_b32 s13, 0
	s_lshl_b64 s[14:15], s[12:13], 2
	s_add_u32 s14, s6, s14
	s_mov_b32 s3, s13
	s_addc_u32 s15, s7, s15
	s_lshl_b64 s[12:13], s[2:3], 2
	s_add_u32 s12, s6, s12
	s_addc_u32 s13, s7, s13
	s_load_dword s5, s[14:15], 0x0
	s_load_dword s16, s[12:13], 0x0
	s_waitcnt lgkmcnt(0)
	s_sub_i32 s5, s5, s16
	s_cmp_eq_u32 s5, 1
	s_cselect_b64 s[12:13], -1, 0
	s_andn2_b64 vcc, exec, s[8:9]
	s_cbranch_vccnz .LBB821_3
.LBB821_2:
	s_mov_b32 s3, 0
	s_mov_b64 s[12:13], -1
.LBB821_3:
	s_andn2_b64 vcc, exec, s[12:13]
	s_cbranch_vccnz .LBB821_20
; %bb.4:
	s_load_dwordx2 s[8:9], s[0:1], 0x28
	s_lshl_b64 s[12:13], s[2:3], 2
	s_waitcnt lgkmcnt(0)
	s_add_u32 s8, s8, s12
	s_addc_u32 s9, s9, s13
	s_load_dword s29, s[8:9], 0x0
	s_lshl_b32 s16, s28, 8
	s_waitcnt lgkmcnt(0)
	s_cmp_ge_i32 s16, s29
	s_cbranch_scc1 .LBB821_20
; %bb.5:
	s_load_dwordx2 s[8:9], s[0:1], 0x20
	s_load_dword s5, s[0:1], 0x38
	s_add_i32 s14, s29, 15
	s_ashr_i32 s15, s14, 31
	v_and_b32_e32 v1, 0xcf, v0
	s_lshr_b32 s15, s15, 28
	v_add_u32_e32 v1, s16, v1
	s_add_i32 s14, s14, s15
	v_ashrrev_i32_e32 v2, 31, v1
	s_ashr_i32 s17, s14, 4
	v_lshrrev_b32_e32 v4, 28, v2
	s_add_i32 s17, s17, -1
	s_waitcnt lgkmcnt(0)
	s_mul_i32 s14, s2, s5
	s_mov_b32 s15, 0
	v_add_u32_e32 v2, v1, v4
	s_lshl_b64 s[14:15], s[14:15], 2
	v_ashrrev_i32_e32 v2, 4, v2
	v_mov_b32_e32 v5, s17
	v_cmp_gt_i32_e32 vcc, s29, v1
	s_add_u32 s8, s8, s14
	s_addc_u32 s9, s9, s15
	v_cndmask_b32_e32 v2, v5, v2, vcc
	v_ashrrev_i32_e32 v3, 31, v2
	v_lshl_add_u64 v[6:7], v[2:3], 2, s[8:9]
	v_or_b32_e32 v2, 16, v1
	v_add_u32_e32 v3, v2, v4
	v_ashrrev_i32_e32 v3, 4, v3
	v_cmp_gt_i32_e32 vcc, s29, v2
	s_load_dwordx2 s[14:15], s[0:1], 0x8
	s_nop 0
	v_cndmask_b32_e32 v2, v5, v3, vcc
	v_ashrrev_i32_e32 v3, 31, v2
	v_lshl_add_u64 v[8:9], v[2:3], 2, s[8:9]
	v_or_b32_e32 v2, 32, v1
	v_add_u32_e32 v3, v2, v4
	v_ashrrev_i32_e32 v3, 4, v3
	v_cmp_gt_i32_e32 vcc, s29, v2
	v_or_b32_e32 v1, 48, v1
	s_nop 0
	v_cndmask_b32_e32 v2, v5, v3, vcc
	v_ashrrev_i32_e32 v3, 31, v2
	v_lshl_add_u64 v[10:11], v[2:3], 2, s[8:9]
	v_add_u32_e32 v2, v1, v4
	v_ashrrev_i32_e32 v2, 4, v2
	v_cmp_gt_i32_e32 vcc, s29, v1
	s_nop 1
	v_cndmask_b32_e32 v2, v5, v2, vcc
	v_ashrrev_i32_e32 v3, 31, v2
	v_lshl_add_u64 v[12:13], v[2:3], 2, s[8:9]
	global_load_dword v5, v[6:7], off
	global_load_dword v4, v[8:9], off
	;; [unrolled: 1-line block ×4, first 2 shown]
	s_andn2_b64 vcc, exec, s[10:11]
	s_cbranch_vccnz .LBB821_8
; %bb.6:
	s_add_u32 s6, s6, s12
	s_addc_u32 s7, s7, s13
	s_load_dword s5, s[6:7], 0x0
	s_branch .LBB821_9
.LBB821_7:
	s_mov_b64 s[12:13], 0
	s_branch .LBB821_2
.LBB821_8:
	s_mov_b32 s5, s2
.LBB821_9:
	s_load_dwordx2 s[6:7], s[0:1], 0x10
	s_load_dwordx4 s[44:47], s[0:1], 0x48
	v_lshrrev_b32_e32 v29, 6, v0
	v_bfe_u32 v42, v0, 4, 2
	v_lshl_or_b32 v6, v29, 2, v42
	v_and_b32_e32 v28, 15, v0
	v_lshlrev_b32_e32 v1, 3, v28
	v_cmp_gt_u32_e32 vcc, 14, v6
	v_cmp_gt_u32_e64 s[30:31], 8, v28
	s_mul_i32 s48, s4, 14
	s_and_b64 s[12:13], s[30:31], vcc
	v_lshlrev_b32_e32 v26, 1, v1
	v_lshlrev_b32_e32 v1, 4, v0
	s_and_saveexec_b64 s[10:11], s[12:13]
	s_cbranch_execz .LBB821_11
; %bb.10:
	s_load_dwordx2 s[12:13], s[0:1], 0x0
	s_waitcnt lgkmcnt(0)
	s_ashr_i32 s18, s44, 31
	s_mul_hi_u32 s19, s5, s44
	s_mul_i32 s18, s5, s18
	s_add_i32 s19, s19, s18
	s_mul_i32 s18, s5, s44
	s_lshl_b64 s[18:19], s[18:19], 1
	s_add_u32 s12, s12, s18
	v_add_lshl_u32 v8, v6, s48, 6
	s_addc_u32 s13, s13, s19
	v_ashrrev_i32_e32 v9, 31, v8
	v_lshl_add_u64 v[8:9], v[8:9], 1, s[12:13]
	v_mov_b32_e32 v27, 0
	v_lshl_add_u64 v[8:9], v[8:9], 0, v[26:27]
	global_load_dwordx4 v[8:11], v[8:9], off
	v_lshlrev_b32_e32 v12, 8, v28
	v_lshlrev_b32_e32 v6, 5, v6
	v_and_b32_e32 v7, 16, v1
	v_and_b32_e32 v12, 0xe00, v12
	v_or3_b32 v6, v12, v6, v7
	s_waitcnt vmcnt(0)
	ds_write_b128 v6, v[8:11]
.LBB821_11:
	s_or_b64 exec, exec, s[10:11]
	s_waitcnt lgkmcnt(0)
	s_mul_i32 s10, s4, s46
	s_add_u32 s4, s14, s10
	s_addc_u32 s5, s15, 0
	v_and_b32_e32 v32, 48, v0
	v_and_b32_e32 v30, 0xf0, v1
	v_mov_b32_e32 v31, 0
	v_lshl_add_u64 v[6:7], s[4:5], 0, v[30:31]
	v_lshlrev_b32_e32 v30, 4, v32
	v_lshl_add_u64 v[6:7], v[6:7], 0, v[30:31]
	s_waitcnt vmcnt(3)
	v_mad_i64_i32 v[8:9], s[4:5], v5, s45, v[6:7]
	s_waitcnt vmcnt(2)
	v_mad_i64_i32 v[4:5], s[4:5], v4, s45, v[6:7]
	s_barrier
	global_load_dwordx4 v[22:25], v[8:9], off
	global_load_dwordx4 v[18:21], v[4:5], off
	s_waitcnt vmcnt(3)
	v_mad_i64_i32 v[4:5], s[4:5], v3, s45, v[6:7]
	s_waitcnt vmcnt(2)
	v_mad_i64_i32 v[2:3], s[4:5], v2, s45, v[6:7]
	global_load_dwordx4 v[14:17], v[4:5], off
	global_load_dwordx4 v[6:9], v[2:3], off
	v_add_u32_e32 v2, -14, v28
	v_cmp_gt_u32_e32 vcc, 14, v28
	v_and_b32_e32 v27, 63, v0
	v_mov_b32_e32 v43, 0
	v_cndmask_b32_e32 v2, v2, v28, vcc
	v_lshlrev_b32_e32 v2, 5, v2
	v_lshl_add_u32 v2, v42, 9, v2
	ds_read_b128 v[10:13], v2
	ds_read_b128 v[2:5], v2 offset:16
	s_and_saveexec_b64 s[4:5], vcc
	s_cbranch_execz .LBB821_13
; %bb.12:
	s_load_dwordx2 s[12:13], s[0:1], 0x40
	v_add_u32_e32 v34, s48, v28
	v_ashrrev_i32_e32 v35, 31, v34
	s_waitcnt lgkmcnt(0)
	v_lshl_add_u64 v[34:35], v[34:35], 2, s[12:13]
	global_load_dword v43, v[34:35], off
.LBB821_13:
	s_or_b64 exec, exec, s[4:5]
	v_or_b32_e32 v62, s16, v32
	v_ashrrev_i32_e32 v30, 4, v62
	v_mov_b32_e32 v63, s17
	v_cmp_gt_i32_e32 vcc, s29, v62
	s_waitcnt vmcnt(2)
	v_cvt_pk_f32_fp8_e32 v[52:53], v20
	v_cvt_pk_f32_fp8_sdwa v[54:55], v20 src0_sel:WORD_1
	v_cndmask_b32_e32 v20, v63, v30, vcc
	v_cvt_pk_f32_fp8_e32 v[56:57], v21
	v_cvt_pk_f32_fp8_sdwa v[58:59], v21 src0_sel:WORD_1
	v_ashrrev_i32_e32 v21, 31, v20
	v_cvt_pk_f32_fp8_e32 v[40:41], v22
	v_cvt_pk_f32_fp8_sdwa v[44:45], v22 src0_sel:WORD_1
	v_lshl_add_u64 v[20:21], v[20:21], 2, s[8:9]
	v_cvt_pk_f32_fp8_e32 v[46:47], v18
	v_cvt_pk_f32_fp8_sdwa v[48:49], v18 src0_sel:WORD_1
	global_load_dword v64, v[20:21], off
	v_cvt_pk_f32_fp8_e32 v[34:35], v23
	v_cvt_pk_f32_fp8_sdwa v[32:33], v23 src0_sel:WORD_1
	v_cvt_pkrtz_f16_f32 v20, v40, v41
	v_cvt_pkrtz_f16_f32 v21, v44, v45
	v_cvt_pk_f32_fp8_e32 v[36:37], v24
	v_cvt_pk_f32_fp8_sdwa v[38:39], v24 src0_sel:WORD_1
	v_cvt_pk_f32_fp8_e32 v[50:51], v19
	v_cvt_pk_f32_fp8_sdwa v[18:19], v19 src0_sel:WORD_1
	v_cvt_pkrtz_f16_f32 v44, v46, v47
	v_cvt_pkrtz_f16_f32 v45, v48, v49
	v_cvt_pk_f32_fp8_e32 v[22:23], v25
	s_waitcnt vmcnt(2)
	v_cvt_pk_f32_fp8_e32 v[40:41], v14
	v_cvt_pk_f32_fp8_sdwa v[46:47], v14 src0_sel:WORD_1
	v_cvt_pkrtz_f16_f32 v48, v34, v35
	v_cvt_pkrtz_f16_f32 v49, v32, v33
	v_or_b32_e32 v14, 64, v62
	v_or_b32_e32 v32, 0xc0, v62
	v_cvt_pk_f32_fp8_sdwa v[24:25], v25 src0_sel:WORD_1
	s_load_dword s11, s[0:1], 0x1c
	s_load_dwordx4 s[40:43], s[0:1], 0x80
	v_cvt_pkrtz_f16_f32 v36, v36, v37
	v_cvt_pkrtz_f16_f32 v37, v38, v39
	v_or_b32_e32 v65, 0x80, v62
	v_ashrrev_i32_e32 v62, 4, v14
	v_cmp_gt_i32_e32 vcc, s29, v32
	v_ashrrev_i32_e32 v66, 4, v32
	v_cmp_gt_i32_e64 s[4:5], s29, v14
	v_cvt_pkrtz_f16_f32 v38, v50, v51
	v_cvt_pkrtz_f16_f32 v39, v18, v19
	s_waitcnt lgkmcnt(0)
	v_mfma_f32_16x16x16_f16 v[32:35], v[20:21], v[10:11], 0
	s_add_u32 s6, s6, s10
	v_lshlrev_b32_e32 v30, 4, v28
	v_cndmask_b32_e64 v50, v63, v62, s[4:5]
	v_cvt_pkrtz_f16_f32 v62, v22, v23
	v_mfma_f32_16x16x16_f16 v[20:23], v[44:45], v[10:11], 0
	v_lshl_or_b32 v30, v29, 8, v30
	s_addc_u32 s7, s7, 0
	v_ashrrev_i32_e32 v14, 4, v65
	v_lshl_add_u64 v[18:19], s[6:7], 0, v[30:31]
	v_cmp_gt_i32_e64 s[6:7], s29, v65
	v_mfma_f32_16x16x16_f16 v[30:33], v[48:49], v[12:13], v[32:35]
	v_cndmask_b32_e32 v48, v63, v66, vcc
	s_load_dword s4, s[40:41], 0x0
	v_cvt_pk_f32_fp8_e32 v[60:61], v15
	v_cndmask_b32_e64 v34, v63, v14, s[6:7]
	v_cvt_pkrtz_f16_f32 v63, v24, v25
	v_cvt_pkrtz_f16_f32 v24, v52, v53
	;; [unrolled: 1-line block ×3, first 2 shown]
	v_mfma_f32_16x16x16_f16 v[20:23], v[38:39], v[12:13], v[20:23]
	v_cvt_pkrtz_f16_f32 v40, v40, v41
	v_cvt_pkrtz_f16_f32 v41, v46, v47
	v_ashrrev_i32_e32 v51, 31, v50
	v_mfma_f32_16x16x16_f16 v[20:23], v[24:25], v[2:3], v[20:23]
	v_mov_b32_e32 v24, s11
	s_waitcnt lgkmcnt(0)
	v_mul_f32_e32 v54, s4, v24
	v_cvt_pk_f32_fp8_sdwa v[24:25], v15 src0_sel:WORD_1
	v_mfma_f32_16x16x16_f16 v[30:33], v[36:37], v[2:3], v[30:33]
	v_ashrrev_i32_e32 v35, 31, v34
	v_ashrrev_i32_e32 v49, 31, v48
	v_lshl_add_u64 v[36:37], v[50:51], 2, s[8:9]
	v_lshl_add_u64 v[34:35], v[34:35], 2, s[8:9]
	v_lshl_add_u64 v[46:47], v[48:49], 2, s[8:9]
	global_load_dword v14, v[36:37], off
	global_load_dword v44, v[34:35], off
	;; [unrolled: 1-line block ×3, first 2 shown]
	v_cvt_pkrtz_f16_f32 v46, v60, v61
	v_cvt_pk_f32_fp8_e32 v[48:49], v16
	v_cvt_pk_f32_fp8_sdwa v[50:51], v16 src0_sel:WORD_1
	v_cvt_pkrtz_f16_f32 v47, v24, v25
	v_mfma_f32_16x16x16_f16 v[36:39], v[62:63], v[4:5], v[30:33]
	v_cvt_pkrtz_f16_f32 v24, v48, v49
	v_cvt_pkrtz_f16_f32 v25, v50, v51
	;; [unrolled: 1-line block ×3, first 2 shown]
	v_mfma_f32_16x16x16_f16 v[30:33], v[40:41], v[10:11], 0
	v_cvt_pk_f32_fp8_e32 v[40:41], v17
	v_cvt_pk_f32_fp8_sdwa v[16:17], v17 src0_sel:WORD_1
	v_cvt_pkrtz_f16_f32 v53, v58, v59
	v_mfma_f32_16x16x16_f16 v[46:49], v[46:47], v[12:13], v[30:33]
	s_mov_b32 s33, 0xff7fffff
	s_waitcnt vmcnt(3)
	v_mad_i64_i32 v[34:35], s[4:5], v64, s45, v[18:19]
	v_cvt_pkrtz_f16_f32 v32, v40, v41
	v_cvt_pkrtz_f16_f32 v33, v16, v17
	v_mfma_f32_16x16x16_f16 v[46:49], v[24:25], v[2:3], v[46:49]
	v_cvt_pk_f32_fp8_e32 v[16:17], v6
	v_cvt_pk_f32_fp8_sdwa v[24:25], v6 src0_sel:WORD_1
	v_pk_mul_f32 v[30:31], v[54:55], v[38:39] op_sel_hi:[0,1]
	v_mfma_f32_16x16x16_f16 v[46:49], v[32:33], v[4:5], v[46:49]
	v_cvt_pk_f32_fp8_e32 v[32:33], v7
	v_cvt_pkrtz_f16_f32 v16, v16, v17
	v_cvt_pkrtz_f16_f32 v17, v24, v25
	v_cvt_pk_f32_fp8_sdwa v[6:7], v7 src0_sel:WORD_1
	v_pk_mul_f32 v[38:39], v[54:55], v[36:37] op_sel_hi:[0,1]
	v_cvt_pkrtz_f16_f32 v24, v32, v33
	v_cvt_pk_f32_fp8_e32 v[32:33], v8
	v_cvt_pk_f32_fp8_sdwa v[36:37], v8 src0_sel:WORD_1
	v_cvt_pkrtz_f16_f32 v25, v6, v7
	v_mfma_f32_16x16x16_f16 v[20:23], v[52:53], v[4:5], v[20:23]
	v_mfma_f32_16x16x16_f16 v[50:53], v[16:17], v[10:11], 0
	v_cvt_pkrtz_f16_f32 v10, v32, v33
	v_cvt_pkrtz_f16_f32 v11, v36, v37
	v_cvt_pk_f32_fp8_e32 v[16:17], v9
	v_cvt_pk_f32_fp8_sdwa v[32:33], v9 src0_sel:WORD_1
	v_mfma_f32_16x16x16_f16 v[6:9], v[24:25], v[12:13], v[50:53]
	s_nop 0
	v_pk_mul_f32 v[36:37], v[54:55], v[22:23] op_sel_hi:[0,1]
	v_cvt_pkrtz_f16_f32 v12, v16, v17
	v_cvt_pkrtz_f16_f32 v13, v32, v33
	v_mfma_f32_16x16x16_f16 v[6:9], v[10:11], v[2:3], v[6:9]
	v_pk_mul_f32 v[40:41], v[54:55], v[20:21] op_sel_hi:[0,1]
	v_pk_mul_f32 v[24:25], v[54:55], v[48:49] op_sel_hi:[0,1]
	;; [unrolled: 1-line block ×3, first 2 shown]
	v_mfma_f32_16x16x16_f16 v[2:5], v[12:13], v[4:5], v[6:9]
	s_nop 6
	v_pk_mul_f32 v[22:23], v[54:55], v[2:3] op_sel_hi:[0,1]
	v_and_b32_e32 v2, 0xc0, v0
	v_add_u32_e32 v2, s16, v2
	v_lshl_or_b32 v2, v42, 2, v2
	v_or_b32_e32 v3, 1, v2
	v_pk_mul_f32 v[20:21], v[54:55], v[4:5] op_sel_hi:[0,1]
	v_subrev_u32_e32 v4, s29, v3
	v_add_u32_e32 v6, 1, v4
	v_add_u32_e32 v7, 2, v4
	;; [unrolled: 1-line block ×3, first 2 shown]
	v_cvt_f32_i32_e32 v6, v6
	v_cvt_f32_i32_e32 v7, v7
	;; [unrolled: 1-line block ×3, first 2 shown]
	v_add_u32_e32 v9, 19, v4
	v_fmac_f32_e32 v39, v43, v6
	v_fma_f32 v30, v43, v7, v30
	v_fmac_f32_e32 v31, v43, v8
	v_add_u32_e32 v6, 16, v4
	v_add_u32_e32 v7, 17, v4
	;; [unrolled: 1-line block ×3, first 2 shown]
	v_cvt_f32_i32_e32 v6, v6
	v_cvt_f32_i32_e32 v7, v7
	;; [unrolled: 1-line block ×4, first 2 shown]
	v_fma_f32 v40, v43, v6, v40
	v_fmac_f32_e32 v41, v43, v7
	v_fma_f32 v36, v43, v8, v36
	v_add_u32_e32 v6, 32, v4
	v_add_u32_e32 v7, 33, v4
	;; [unrolled: 1-line block ×3, first 2 shown]
	v_cvt_f32_i32_e32 v6, v6
	v_cvt_f32_i32_e32 v7, v7
	;; [unrolled: 1-line block ×4, first 2 shown]
	v_fmac_f32_e32 v37, v43, v9
	v_add_u32_e32 v9, 35, v4
	v_fma_f32 v32, v43, v6, v32
	v_fmac_f32_e32 v33, v43, v7
	v_fma_f32 v24, v43, v8, v24
	v_add_u32_e32 v6, 48, v4
	v_add_u32_e32 v7, 49, v4
	;; [unrolled: 1-line block ×4, first 2 shown]
	v_cvt_f32_i32_e32 v4, v4
	v_cvt_f32_i32_e32 v6, v6
	;; [unrolled: 1-line block ×3, first 2 shown]
	v_fma_f32 v5, v43, v5, v38
	v_fmac_f32_e32 v21, v43, v4
	v_mov_b32_e32 v4, 0xff7fffff
	v_cmp_gt_i32_e64 s[4:5], s29, v2
	v_cmp_gt_i32_e64 s[34:35], s29, v3
	v_fma_f32 v22, v43, v6, v22
	v_cndmask_b32_e64 v6, v4, v5, s[4:5]
	v_cndmask_b32_e64 v3, v4, v39, s[34:35]
	v_fmac_f32_e32 v23, v43, v7
	v_max3_f32 v3, v6, s33, v3
	v_or_b32_e32 v6, 2, v2
	v_or_b32_e32 v7, 3, v2
	v_cmp_gt_i32_e64 s[36:37], s29, v6
	v_cmp_gt_i32_e64 s[38:39], s29, v7
	v_cvt_f32_i32_e32 v9, v9
	v_cndmask_b32_e64 v6, v4, v30, s[36:37]
	v_cndmask_b32_e64 v7, v4, v31, s[38:39]
	v_max3_f32 v3, v3, v6, v7
	v_or_b32_e32 v6, 16, v2
	v_or_b32_e32 v7, 17, v2
	v_cmp_gt_i32_e64 s[24:25], s29, v6
	v_cmp_gt_i32_e64 s[26:27], s29, v7
	v_fmac_f32_e32 v25, v43, v9
	v_cndmask_b32_e64 v6, v4, v40, s[24:25]
	v_cndmask_b32_e64 v7, v4, v41, s[26:27]
	v_max3_f32 v3, v3, v6, v7
	v_or_b32_e32 v6, 18, v2
	v_or_b32_e32 v7, 19, v2
	v_cmp_gt_i32_e64 s[20:21], s29, v6
	v_cmp_gt_i32_e64 s[22:23], s29, v7
	v_cvt_f32_i32_e32 v8, v8
	v_cndmask_b32_e64 v6, v4, v36, s[20:21]
	v_cndmask_b32_e64 v7, v4, v37, s[22:23]
	v_max3_f32 v3, v3, v6, v7
	v_or_b32_e32 v6, 32, v2
	v_or_b32_e32 v7, 33, v2
	v_cmp_gt_i32_e64 s[16:17], s29, v6
	v_cmp_gt_i32_e64 s[18:19], s29, v7
	v_fma_f32 v20, v43, v8, v20
	v_cndmask_b32_e64 v6, v4, v32, s[16:17]
	v_cndmask_b32_e64 v7, v4, v33, s[18:19]
	v_max3_f32 v3, v3, v6, v7
	v_or_b32_e32 v6, 34, v2
	v_or_b32_e32 v7, 35, v2
	v_cmp_gt_i32_e64 s[12:13], s29, v6
	v_cmp_gt_i32_e64 s[14:15], s29, v7
	s_nop 0
	v_cndmask_b32_e64 v6, v4, v24, s[12:13]
	v_cndmask_b32_e64 v7, v4, v25, s[14:15]
	v_max3_f32 v3, v3, v6, v7
	v_or_b32_e32 v6, 48, v2
	v_or_b32_e32 v7, 49, v2
	v_cmp_gt_i32_e64 s[8:9], s29, v6
	v_cmp_gt_i32_e64 s[10:11], s29, v7
	s_nop 0
	v_cndmask_b32_e64 v6, v4, v22, s[8:9]
	v_cndmask_b32_e64 v7, v4, v23, s[10:11]
	v_max3_f32 v3, v3, v6, v7
	v_or_b32_e32 v6, 50, v2
	v_or_b32_e32 v2, 51, v2
	v_cmp_gt_i32_e32 vcc, s29, v6
	v_cmp_gt_i32_e64 s[6:7], s29, v2
	s_nop 0
	v_cndmask_b32_e32 v6, v4, v20, vcc
	v_cndmask_b32_e64 v2, v4, v21, s[6:7]
	v_max3_f32 v4, v3, v6, v2
	v_mbcnt_lo_u32_b32 v2, -1, 0
	v_mbcnt_hi_u32_b32 v6, -1, v2
	v_and_b32_e32 v2, 64, v6
	v_add_u32_e32 v7, 64, v2
	v_xor_b32_e32 v2, 32, v6
	v_cmp_lt_i32_e64 s[40:41], v2, v7
	s_nop 1
	v_cndmask_b32_e64 v2, v6, v2, s[40:41]
	v_lshlrev_b32_e32 v43, 2, v2
	ds_bpermute_b32 v8, v43, v4
	s_waitcnt vmcnt(2)
	v_mad_i64_i32 v[2:3], s[40:41], v14, s45, v[18:19]
	global_load_dwordx4 v[14:17], v[34:35], off
	global_load_dwordx4 v[10:13], v[2:3], off
	v_xor_b32_e32 v3, 16, v6
	v_cmp_lt_i32_e64 s[40:41], v3, v7
	s_waitcnt lgkmcnt(0)
	v_max_f32_e32 v2, v8, v8
	v_max_f32_e32 v2, v4, v2
	v_cndmask_b32_e64 v3, v6, v3, s[40:41]
	v_lshlrev_b32_e32 v46, 2, v3
	ds_bpermute_b32 v3, v46, v2
	s_waitcnt vmcnt(3)
	v_mad_i64_i32 v[34:35], s[40:41], v44, s45, v[18:19]
	s_waitcnt vmcnt(2)
	v_mad_i64_i32 v[18:19], s[40:41], v45, s45, v[18:19]
	s_waitcnt lgkmcnt(0)
	v_max_f32_e32 v3, v3, v3
	v_max_f32_e32 v38, v2, v3
	v_sub_f32_e32 v2, v5, v38
	v_mul_f32_e32 v2, 0x3fb8aa3b, v2
	v_exp_f32_e32 v44, v2
	v_sub_f32_e32 v2, v39, v38
	v_mul_f32_e32 v2, 0x3fb8aa3b, v2
	v_exp_f32_e32 v39, v2
	global_load_dwordx4 v[6:9], v[34:35], off
	global_load_dwordx4 v[2:5], v[18:19], off
	v_sub_f32_e32 v30, v30, v38
	v_mul_f32_e32 v30, 0x3fb8aa3b, v30
	v_sub_f32_e32 v31, v31, v38
	v_exp_f32_e32 v30, v30
	v_mul_f32_e32 v31, 0x3fb8aa3b, v31
	v_exp_f32_e32 v31, v31
	v_cndmask_b32_e64 v18, 0, v44, s[4:5]
	v_add_f32_e32 v34, 0, v18
	v_cndmask_b32_e64 v19, 0, v39, s[34:35]
	v_add_f32_e32 v35, v34, v19
	;; [unrolled: 2-line block ×3, first 2 shown]
	v_cndmask_b32_e64 v35, 0, v31, s[38:39]
	v_sub_f32_e32 v31, v40, v38
	v_mul_f32_e32 v31, 0x3fb8aa3b, v31
	v_sub_f32_e32 v39, v41, v38
	v_exp_f32_e32 v31, v31
	v_mul_f32_e32 v39, 0x3fb8aa3b, v39
	v_sub_f32_e32 v36, v36, v38
	v_exp_f32_e32 v39, v39
	;; [unrolled: 3-line block ×4, first 2 shown]
	v_mul_f32_e32 v32, 0x3fb8aa3b, v32
	v_sub_f32_e32 v33, v33, v38
	v_add_f32_e32 v40, v30, v35
	v_cndmask_b32_e64 v30, 0, v31, s[24:25]
	v_exp_f32_e32 v32, v32
	v_mul_f32_e32 v33, 0x3fb8aa3b, v33
	v_sub_f32_e32 v24, v24, v38
	v_add_f32_e32 v40, v40, v30
	v_cndmask_b32_e64 v31, 0, v39, s[26:27]
	v_exp_f32_e32 v33, v33
	v_mul_f32_e32 v24, 0x3fb8aa3b, v24
	v_sub_f32_e32 v25, v25, v38
	v_add_f32_e32 v39, v40, v31
	v_cndmask_b32_e64 v36, 0, v36, s[20:21]
	v_exp_f32_e32 v24, v24
	v_mul_f32_e32 v25, 0x3fb8aa3b, v25
	v_sub_f32_e32 v22, v22, v38
	v_add_f32_e32 v39, v39, v36
	v_cndmask_b32_e64 v37, 0, v37, s[22:23]
	v_exp_f32_e32 v25, v25
	v_mul_f32_e32 v22, 0x3fb8aa3b, v22
	v_sub_f32_e32 v23, v23, v38
	v_add_f32_e32 v39, v39, v37
	v_cndmask_b32_e64 v32, 0, v32, s[16:17]
	v_exp_f32_e32 v22, v22
	v_mul_f32_e32 v23, 0x3fb8aa3b, v23
	v_sub_f32_e32 v20, v20, v38
	v_add_f32_e32 v39, v39, v32
	v_cndmask_b32_e64 v33, 0, v33, s[18:19]
	v_exp_f32_e32 v23, v23
	v_mul_f32_e32 v20, 0x3fb8aa3b, v20
	v_sub_f32_e32 v21, v21, v38
	v_add_f32_e32 v39, v39, v33
	v_cndmask_b32_e64 v24, 0, v24, s[12:13]
	v_exp_f32_e32 v20, v20
	v_mul_f32_e32 v21, 0x3fb8aa3b, v21
	v_add_f32_e32 v39, v39, v24
	v_cndmask_b32_e64 v25, 0, v25, s[14:15]
	v_exp_f32_e32 v21, v21
	v_add_f32_e32 v39, v39, v25
	v_cndmask_b32_e64 v22, 0, v22, s[8:9]
	v_add_f32_e32 v39, v39, v22
	v_cndmask_b32_e64 v23, 0, v23, s[10:11]
	v_add_f32_e32 v39, v39, v23
	v_cndmask_b32_e32 v20, 0, v20, vcc
	v_add_f32_e32 v39, v39, v20
	v_cndmask_b32_e64 v21, 0, v21, s[6:7]
	v_add_f32_e32 v39, v39, v21
	ds_bpermute_b32 v40, v43, v39
	s_load_dword s7, s[0:1], 0x98
	v_cmp_gt_u32_e32 vcc, 16, v27
	s_waitcnt lgkmcnt(0)
	s_barrier
	v_add_f32_e32 v40, v39, v40
	ds_bpermute_b32 v41, v46, v40
	v_lshlrev_b32_e32 v39, 2, v28
	s_waitcnt lgkmcnt(0)
	s_and_saveexec_b64 s[4:5], vcc
	s_cbranch_execz .LBB821_15
; %bb.14:
	v_add_f32_e32 v27, v40, v41
	v_lshl_or_b32 v40, v29, 6, v39
	ds_write2st64_b32 v40, v38, v27 offset1:1
.LBB821_15:
	s_or_b64 exec, exec, s[4:5]
	s_load_dword s6, s[0:1], 0x94
	s_waitcnt lgkmcnt(0)
	s_barrier
	ds_read2_b32 v[40:41], v39 offset1:16
	ds_read2_b32 v[44:45], v39 offset0:32 offset1:48
	ds_read2_b32 v[46:47], v39 offset0:64 offset1:80
	s_mul_i32 s7, s7, 14
	s_waitcnt lgkmcnt(2)
	v_max3_f32 v27, v40, s33, v41
	s_waitcnt lgkmcnt(1)
	v_max3_f32 v27, v27, v44, v45
	v_sub_f32_e32 v38, v40, v27
	v_mul_f32_e32 v38, 0x3fb8aa3b, v38
	v_exp_f32_e32 v43, v38
	v_sub_f32_e32 v38, v41, v27
	v_mul_f32_e32 v38, 0x3fb8aa3b, v38
	v_exp_f32_e32 v48, v38
	;; [unrolled: 3-line block ×3, first 2 shown]
	ds_read2_b32 v[40:41], v39 offset0:96 offset1:112
	v_sub_f32_e32 v38, v45, v27
	v_mul_f32_e32 v38, 0x3fb8aa3b, v38
	v_exp_f32_e32 v39, v38
	s_waitcnt lgkmcnt(1)
	v_fma_f32 v38, v43, v46, 0
	v_fmac_f32_e32 v38, v48, v47
	s_waitcnt lgkmcnt(0)
	v_fmac_f32_e32 v38, v44, v40
	v_fmac_f32_e32 v38, v39, v41
	v_add_f32_e32 v40, 0x358637bd, v38
	v_div_scale_f32 v41, s[4:5], v40, v40, 1.0
	v_rcp_f32_e32 v45, v41
	s_barrier
	v_fma_f32 v46, -v41, v45, 1.0
	v_fmac_f32_e32 v45, v46, v45
	v_div_scale_f32 v46, vcc, 1.0, v40, 1.0
	v_mul_f32_e32 v47, v46, v45
	v_fma_f32 v49, -v41, v47, v46
	v_fmac_f32_e32 v47, v49, v45
	v_fma_f32 v41, -v41, v47, v46
	v_div_fmas_f32 v41, v41, v45, v47
	v_cmp_eq_u32_e32 vcc, 1, v29
	v_div_fixup_f32 v40, v41, v40, 1.0
	s_nop 0
	v_cndmask_b32_e32 v41, v43, v48, vcc
	v_cmp_eq_u32_e32 vcc, 2, v29
	s_nop 1
	v_cndmask_b32_e32 v41, v41, v44, vcc
	v_cmp_eq_u32_e32 vcc, 3, v29
	v_lshlrev_b32_e32 v29, 11, v29
	s_nop 0
	v_cndmask_b32_e32 v39, v41, v39, vcc
	v_mul_f32_e32 v40, v39, v40
	v_pk_mul_f32 v[18:19], v[40:41], v[18:19] op_sel_hi:[0,1]
	v_pk_mul_f32 v[34:35], v[40:41], v[34:35] op_sel_hi:[0,1]
	v_cvt_f16_f32_e32 v18, v18
	v_cvt_f16_f32_e32 v19, v19
	v_pk_mul_f32 v[36:37], v[40:41], v[36:37] op_sel_hi:[0,1]
	v_pk_mul_f32 v[30:31], v[40:41], v[30:31] op_sel_hi:[0,1]
	v_cvt_f16_f32_e32 v39, v34
	v_cvt_f16_f32_e32 v35, v35
	;; [unrolled: 1-line block ×6, first 2 shown]
	v_pack_b32_f16 v34, v18, v19
	v_lshlrev_b32_e32 v18, 3, v42
	v_lshlrev_b32_e32 v19, 5, v28
	v_pack_b32_f16 v35, v39, v35
	v_or3_b32 v18, v29, v19, v18
	v_pack_b32_f16 v30, v30, v31
	v_pack_b32_f16 v31, v36, v37
	ds_write2st64_b64 v18, v[34:35], v[30:31] offset1:1
	v_pk_mul_f32 v[24:25], v[40:41], v[24:25] op_sel_hi:[0,1]
	v_pk_mul_f32 v[30:31], v[40:41], v[32:33] op_sel_hi:[0,1]
	;; [unrolled: 1-line block ×4, first 2 shown]
	v_cvt_f16_f32_e32 v29, v30
	v_cvt_f16_f32_e32 v30, v31
	;; [unrolled: 1-line block ×8, first 2 shown]
	v_pack_b32_f16 v20, v29, v30
	v_pack_b32_f16 v21, v24, v25
	;; [unrolled: 1-line block ×4, first 2 shown]
	v_cmp_gt_u32_e32 vcc, 14, v0
	ds_write2st64_b64 v18, v[20:21], v[22:23] offset0:2 offset1:3
	s_and_saveexec_b64 s[4:5], vcc
	s_cbranch_execz .LBB821_17
; %bb.16:
	s_mov_b32 s49, 0
	v_mov_b32_e32 v29, 0
	v_lshl_add_u64 v[20:21], s[48:49], 0, v[28:29]
	v_mov_b32_e32 v22, s7
	v_mad_u64_u32 v[20:21], s[12:13], s2, v22, v[20:21]
	s_mul_i32 s3, s3, s7
	v_mov_b32_e32 v28, s28
	s_load_dwordx4 s[8:11], s[0:1], 0x58
	v_add_u32_e32 v23, s3, v21
	v_mad_u64_u32 v[20:21], s[12:13], v20, s6, v[28:29]
	v_mov_b32_e32 v22, v21
	v_mad_u64_u32 v[22:23], s[12:13], v23, s6, v[22:23]
	v_mov_b32_e32 v21, v22
	v_lshlrev_b64 v[20:21], 2, v[20:21]
	s_waitcnt lgkmcnt(0)
	v_lshl_add_u64 v[22:23], s[10:11], 0, v[20:21]
	v_lshl_add_u64 v[20:21], s[8:9], 0, v[20:21]
	global_store_dword v[22:23], v27, off
	global_store_dword v[20:21], v38, off
.LBB821_17:
	s_or_b64 exec, exec, s[4:5]
	s_waitcnt vmcnt(3)
	v_cvt_pk_f32_fp8_e32 v[20:21], v14
	v_cvt_pk_f32_fp8_sdwa v[22:23], v14 src0_sel:WORD_1
	v_lshl_or_b32 v14, v42, 9, v19
	s_waitcnt lgkmcnt(0)
	s_barrier
	v_cvt_pk_f32_fp8_e32 v[24:25], v15
	v_cvt_pkrtz_f16_f32 v32, v20, v21
	v_cvt_pkrtz_f16_f32 v33, v22, v23
	v_cvt_pk_f32_fp8_sdwa v[28:29], v15 src0_sel:WORD_1
	ds_read_b128 v[20:23], v14
	v_cvt_pkrtz_f16_f32 v24, v24, v25
	v_cvt_pk_f32_fp8_e32 v[36:37], v16
	v_cvt_pkrtz_f16_f32 v25, v28, v29
	ds_read_b128 v[28:31], v14 offset:16
	v_cvt_pk_f32_fp8_sdwa v[38:39], v16 src0_sel:WORD_1
	s_waitcnt lgkmcnt(1)
	v_mfma_f32_16x16x16_f16 v[32:35], v[32:33], v[20:21], 0
	v_cvt_pkrtz_f16_f32 v36, v36, v37
	s_load_dword s4, s[42:43], 0x0
	v_cvt_pkrtz_f16_f32 v37, v38, v39
	v_cvt_pk_f32_fp8_e32 v[38:39], v17
	v_cvt_pk_f32_fp8_sdwa v[16:17], v17 src0_sel:WORD_1
	v_mfma_f32_16x16x16_f16 v[20:23], v[24:25], v[22:23], v[32:35]
	v_cmp_gt_u32_e32 vcc, 64, v0
	v_cvt_pkrtz_f16_f32 v24, v38, v39
	v_cvt_pkrtz_f16_f32 v25, v16, v17
	s_waitcnt lgkmcnt(0)
	v_mfma_f32_16x16x16_f16 v[20:23], v[36:37], v[28:29], v[20:23]
	s_waitcnt vmcnt(2)
	v_cvt_pk_f32_fp8_e32 v[16:17], v10
	v_cvt_pk_f32_fp8_e32 v[28:29], v11
	v_cvt_pk_f32_fp8_sdwa v[36:37], v12 src0_sel:WORD_1
	v_mfma_f32_16x16x16_f16 v[20:23], v[24:25], v[30:31], v[20:23]
	v_cvt_pk_f32_fp8_sdwa v[24:25], v10 src0_sel:WORD_1
	v_cvt_pkrtz_f16_f32 v10, v16, v17
	v_cvt_pk_f32_fp8_sdwa v[16:17], v11 src0_sel:WORD_1
	ds_read_b128 v[32:35], v14 offset:2064
	v_cvt_pkrtz_f16_f32 v11, v24, v25
	v_cvt_pkrtz_f16_f32 v24, v28, v29
	ds_read_b128 v[28:31], v14 offset:2048
	v_cvt_pkrtz_f16_f32 v25, v16, v17
	v_cvt_pk_f32_fp8_e32 v[16:17], v12
	s_waitcnt lgkmcnt(0)
	v_mfma_f32_16x16x16_f16 v[20:23], v[10:11], v[28:29], v[20:23]
	v_cvt_pkrtz_f16_f32 v10, v16, v17
	v_cvt_pkrtz_f16_f32 v11, v36, v37
	v_cvt_pk_f32_fp8_e32 v[16:17], v13
	v_mfma_f32_16x16x16_f16 v[20:23], v[24:25], v[30:31], v[20:23]
	v_cvt_pk_f32_fp8_sdwa v[24:25], v13 src0_sel:WORD_1
	ds_read_b128 v[28:31], v14 offset:4112
	v_cvt_pkrtz_f16_f32 v16, v16, v17
	v_mfma_f32_16x16x16_f16 v[10:13], v[10:11], v[32:33], v[20:23]
	v_cvt_pkrtz_f16_f32 v17, v24, v25
	s_waitcnt vmcnt(1)
	v_cvt_pk_f32_fp8_sdwa v[24:25], v7 src0_sel:WORD_1
	v_cvt_pk_f32_fp8_sdwa v[32:33], v8 src0_sel:WORD_1
	v_cvt_pk_f32_fp8_e32 v[20:21], v6
	v_mfma_f32_16x16x16_f16 v[10:13], v[16:17], v[34:35], v[10:13]
	v_cvt_pk_f32_fp8_sdwa v[16:17], v6 src0_sel:WORD_1
	v_cvt_pk_f32_fp8_e32 v[22:23], v7
	v_cvt_pkrtz_f16_f32 v6, v20, v21
	s_mov_b32 s3, 0
	v_cvt_pkrtz_f16_f32 v7, v16, v17
	v_cvt_pkrtz_f16_f32 v16, v22, v23
	ds_read_b128 v[20:23], v14 offset:4096
	v_cvt_pkrtz_f16_f32 v17, v24, v25
	v_cvt_pk_f32_fp8_e32 v[24:25], v8
	s_waitcnt lgkmcnt(0)
	v_mfma_f32_16x16x16_f16 v[10:13], v[6:7], v[20:21], v[10:13]
	v_cvt_pkrtz_f16_f32 v6, v24, v25
	v_cvt_pkrtz_f16_f32 v7, v32, v33
	v_cvt_pk_f32_fp8_e32 v[20:21], v9
	v_mfma_f32_16x16x16_f16 v[10:13], v[16:17], v[22:23], v[10:13]
	v_cvt_pk_f32_fp8_sdwa v[16:17], v9 src0_sel:WORD_1
	s_waitcnt vmcnt(0)
	v_cvt_pk_f32_fp8_sdwa v[24:25], v4 src0_sel:WORD_1
	v_cvt_pkrtz_f16_f32 v20, v20, v21
	v_mfma_f32_16x16x16_f16 v[6:9], v[6:7], v[28:29], v[10:13]
	v_cvt_pkrtz_f16_f32 v21, v16, v17
	v_cvt_pk_f32_fp8_e32 v[16:17], v3
	v_mov_b32_e32 v27, 0
	v_cvt_pk_f32_fp8_e32 v[10:11], v2
	v_cvt_pk_f32_fp8_sdwa v[12:13], v2 src0_sel:WORD_1
	v_mfma_f32_16x16x16_f16 v[6:9], v[20:21], v[30:31], v[6:9]
	v_cvt_pk_f32_fp8_sdwa v[20:21], v3 src0_sel:WORD_1
	v_cvt_pkrtz_f16_f32 v2, v10, v11
	v_cvt_pkrtz_f16_f32 v3, v12, v13
	ds_read_b128 v[10:13], v14 offset:6144
	v_cvt_pkrtz_f16_f32 v22, v16, v17
	v_cvt_pkrtz_f16_f32 v23, v20, v21
	v_cvt_pk_f32_fp8_e32 v[20:21], v4
	s_waitcnt lgkmcnt(0)
	v_mfma_f32_16x16x16_f16 v[6:9], v[2:3], v[10:11], v[6:9]
	ds_read_b128 v[14:17], v14 offset:6160
	v_cvt_pkrtz_f16_f32 v2, v20, v21
	v_cvt_pkrtz_f16_f32 v3, v24, v25
	v_cvt_pk_f32_fp8_e32 v[10:11], v5
	v_mfma_f32_16x16x16_f16 v[6:9], v[22:23], v[12:13], v[6:9]
	v_cvt_pk_f32_fp8_sdwa v[12:13], v5 src0_sel:WORD_1
	s_waitcnt lgkmcnt(0)
	v_cvt_pkrtz_f16_f32 v10, v10, v11
	v_mfma_f32_16x16x16_f16 v[2:5], v[2:3], v[14:15], v[6:9]
	v_cvt_pkrtz_f16_f32 v11, v12, v13
	s_barrier
	s_nop 0
	v_mfma_f32_16x16x16_f16 v[2:5], v[10:11], v[16:17], v[2:5]
	s_nop 6
	v_pk_mul_f32 v[4:5], v[4:5], s[4:5] op_sel_hi:[1,0]
	v_pk_mul_f32 v[2:3], v[2:3], s[4:5] op_sel_hi:[1,0]
	v_cvt_f16_f32_e32 v4, v4
	v_cvt_f16_f32_e32 v2, v2
	;; [unrolled: 1-line block ×4, first 2 shown]
	s_and_b64 s[4:5], vcc, s[30:31]
	v_pack_b32_f16 v2, v2, v3
	v_pack_b32_f16 v3, v4, v5
	ds_write_b64 v18, v[2:3]
	s_waitcnt lgkmcnt(0)
	s_barrier
	s_and_saveexec_b64 s[8:9], s[4:5]
	s_cbranch_execz .LBB821_20
; %bb.18:
	s_load_dwordx2 s[4:5], s[0:1], 0x68
	s_lshl_b32 s0, s6, 6
	s_mul_i32 s1, s7, s2
	s_mul_hi_u32 s7, s1, s0
	s_mul_i32 s6, s1, s0
	v_lshlrev_b32_e32 v0, 10, v0
	s_lshl_b64 s[6:7], s[6:7], 1
	v_and_b32_e32 v0, 0x1800, v0
	v_lshlrev_b32_e32 v2, 5, v42
	v_and_b32_e32 v1, 16, v1
	s_waitcnt lgkmcnt(0)
	s_add_u32 s1, s4, s6
	v_or3_b32 v2, v0, v2, v1
	s_addc_u32 s4, s5, s7
	s_lshl_b32 s2, s28, 6
	ds_read_b128 v[4:7], v2 offset:256
	s_lshl_b64 s[2:3], s[2:3], 1
	ds_read_b128 v[8:11], v2 offset:128
	ds_read_b128 v[12:15], v2
	s_add_u32 s2, s1, s2
	s_addc_u32 s3, s4, s3
	v_add_u32_e32 v18, s48, v42
	v_lshl_add_u64 v[0:1], s[2:3], 0, v[26:27]
	v_mad_u64_u32 v[16:17], s[2:3], v18, s0, 0
	v_lshl_add_u64 v[16:17], v[16:17], 1, v[0:1]
	s_waitcnt lgkmcnt(0)
	global_store_dwordx4 v[16:17], v[12:15], off
	v_or_b32_e32 v3, 12, v42
	v_cmp_gt_u32_e32 vcc, 14, v3
	v_add_u32_e32 v12, 4, v18
	v_mad_u64_u32 v[12:13], s[2:3], v12, s0, 0
	v_lshl_add_u64 v[12:13], v[12:13], 1, v[0:1]
	global_store_dwordx4 v[12:13], v[8:11], off
	s_nop 1
	v_add_u32_e32 v8, 8, v18
	v_mad_u64_u32 v[8:9], s[2:3], v8, s0, 0
	v_lshl_add_u64 v[8:9], v[8:9], 1, v[0:1]
	global_store_dwordx4 v[8:9], v[4:7], off
	s_and_b64 exec, exec, vcc
	s_cbranch_execz .LBB821_20
; %bb.19:
	ds_read_b128 v[4:7], v2 offset:384
	v_add_u32_e32 v2, s48, v3
	v_mad_u64_u32 v[2:3], s[0:1], v2, s0, 0
	v_lshl_add_u64 v[0:1], v[2:3], 1, v[0:1]
	s_waitcnt lgkmcnt(0)
	global_store_dwordx4 v[0:1], v[4:7], off
.LBB821_20:
	s_endpgm
	.section	.rodata,"a",@progbits
	.p2align	6, 0x0
	.amdhsa_kernel _Z39paged_attention_ll4mi_QKV_mfma16_kernelIDF16_hLN4vllm18Fp8KVCacheDataTypeE1EDF16_Li16ELi64ELi256ELb1ELi14EEvPKT_PKT0_S7_ifPKiS9_S9_iPKfiiiPfSC_PS2_PT2_iSB_SB_
		.amdhsa_group_segment_fixed_size 8192
		.amdhsa_private_segment_fixed_size 0
		.amdhsa_kernarg_size 400
		.amdhsa_user_sgpr_count 2
		.amdhsa_user_sgpr_dispatch_ptr 0
		.amdhsa_user_sgpr_queue_ptr 0
		.amdhsa_user_sgpr_kernarg_segment_ptr 1
		.amdhsa_user_sgpr_dispatch_id 0
		.amdhsa_user_sgpr_kernarg_preload_length 0
		.amdhsa_user_sgpr_kernarg_preload_offset 0
		.amdhsa_user_sgpr_private_segment_size 0
		.amdhsa_uses_dynamic_stack 0
		.amdhsa_enable_private_segment 0
		.amdhsa_system_sgpr_workgroup_id_x 1
		.amdhsa_system_sgpr_workgroup_id_y 1
		.amdhsa_system_sgpr_workgroup_id_z 1
		.amdhsa_system_sgpr_workgroup_info 0
		.amdhsa_system_vgpr_workitem_id 0
		.amdhsa_next_free_vgpr 67
		.amdhsa_next_free_sgpr 50
		.amdhsa_accum_offset 68
		.amdhsa_reserve_vcc 1
		.amdhsa_float_round_mode_32 0
		.amdhsa_float_round_mode_16_64 0
		.amdhsa_float_denorm_mode_32 3
		.amdhsa_float_denorm_mode_16_64 3
		.amdhsa_dx10_clamp 1
		.amdhsa_ieee_mode 1
		.amdhsa_fp16_overflow 0
		.amdhsa_tg_split 0
		.amdhsa_exception_fp_ieee_invalid_op 0
		.amdhsa_exception_fp_denorm_src 0
		.amdhsa_exception_fp_ieee_div_zero 0
		.amdhsa_exception_fp_ieee_overflow 0
		.amdhsa_exception_fp_ieee_underflow 0
		.amdhsa_exception_fp_ieee_inexact 0
		.amdhsa_exception_int_div_zero 0
	.end_amdhsa_kernel
	.section	.text._Z39paged_attention_ll4mi_QKV_mfma16_kernelIDF16_hLN4vllm18Fp8KVCacheDataTypeE1EDF16_Li16ELi64ELi256ELb1ELi14EEvPKT_PKT0_S7_ifPKiS9_S9_iPKfiiiPfSC_PS2_PT2_iSB_SB_,"axG",@progbits,_Z39paged_attention_ll4mi_QKV_mfma16_kernelIDF16_hLN4vllm18Fp8KVCacheDataTypeE1EDF16_Li16ELi64ELi256ELb1ELi14EEvPKT_PKT0_S7_ifPKiS9_S9_iPKfiiiPfSC_PS2_PT2_iSB_SB_,comdat
.Lfunc_end821:
	.size	_Z39paged_attention_ll4mi_QKV_mfma16_kernelIDF16_hLN4vllm18Fp8KVCacheDataTypeE1EDF16_Li16ELi64ELi256ELb1ELi14EEvPKT_PKT0_S7_ifPKiS9_S9_iPKfiiiPfSC_PS2_PT2_iSB_SB_, .Lfunc_end821-_Z39paged_attention_ll4mi_QKV_mfma16_kernelIDF16_hLN4vllm18Fp8KVCacheDataTypeE1EDF16_Li16ELi64ELi256ELb1ELi14EEvPKT_PKT0_S7_ifPKiS9_S9_iPKfiiiPfSC_PS2_PT2_iSB_SB_
                                        ; -- End function
	.section	.AMDGPU.csdata,"",@progbits
; Kernel info:
; codeLenInByte = 4904
; NumSgprs: 56
; NumVgprs: 67
; NumAgprs: 0
; TotalNumVgprs: 67
; ScratchSize: 0
; MemoryBound: 0
; FloatMode: 240
; IeeeMode: 1
; LDSByteSize: 8192 bytes/workgroup (compile time only)
; SGPRBlocks: 6
; VGPRBlocks: 8
; NumSGPRsForWavesPerEU: 56
; NumVGPRsForWavesPerEU: 67
; AccumOffset: 68
; Occupancy: 7
; WaveLimiterHint : 1
; COMPUTE_PGM_RSRC2:SCRATCH_EN: 0
; COMPUTE_PGM_RSRC2:USER_SGPR: 2
; COMPUTE_PGM_RSRC2:TRAP_HANDLER: 0
; COMPUTE_PGM_RSRC2:TGID_X_EN: 1
; COMPUTE_PGM_RSRC2:TGID_Y_EN: 1
; COMPUTE_PGM_RSRC2:TGID_Z_EN: 1
; COMPUTE_PGM_RSRC2:TIDIG_COMP_CNT: 0
; COMPUTE_PGM_RSRC3_GFX90A:ACCUM_OFFSET: 16
; COMPUTE_PGM_RSRC3_GFX90A:TG_SPLIT: 0
	.section	.text._Z39paged_attention_ll4mi_QKV_mfma16_kernelIDF16_hLN4vllm18Fp8KVCacheDataTypeE1EDF16_Li16ELi64ELi256ELb1ELi15EEvPKT_PKT0_S7_ifPKiS9_S9_iPKfiiiPfSC_PS2_PT2_iSB_SB_,"axG",@progbits,_Z39paged_attention_ll4mi_QKV_mfma16_kernelIDF16_hLN4vllm18Fp8KVCacheDataTypeE1EDF16_Li16ELi64ELi256ELb1ELi15EEvPKT_PKT0_S7_ifPKiS9_S9_iPKfiiiPfSC_PS2_PT2_iSB_SB_,comdat
	.protected	_Z39paged_attention_ll4mi_QKV_mfma16_kernelIDF16_hLN4vllm18Fp8KVCacheDataTypeE1EDF16_Li16ELi64ELi256ELb1ELi15EEvPKT_PKT0_S7_ifPKiS9_S9_iPKfiiiPfSC_PS2_PT2_iSB_SB_ ; -- Begin function _Z39paged_attention_ll4mi_QKV_mfma16_kernelIDF16_hLN4vllm18Fp8KVCacheDataTypeE1EDF16_Li16ELi64ELi256ELb1ELi15EEvPKT_PKT0_S7_ifPKiS9_S9_iPKfiiiPfSC_PS2_PT2_iSB_SB_
	.globl	_Z39paged_attention_ll4mi_QKV_mfma16_kernelIDF16_hLN4vllm18Fp8KVCacheDataTypeE1EDF16_Li16ELi64ELi256ELb1ELi15EEvPKT_PKT0_S7_ifPKiS9_S9_iPKfiiiPfSC_PS2_PT2_iSB_SB_
	.p2align	8
	.type	_Z39paged_attention_ll4mi_QKV_mfma16_kernelIDF16_hLN4vllm18Fp8KVCacheDataTypeE1EDF16_Li16ELi64ELi256ELb1ELi15EEvPKT_PKT0_S7_ifPKiS9_S9_iPKfiiiPfSC_PS2_PT2_iSB_SB_,@function
_Z39paged_attention_ll4mi_QKV_mfma16_kernelIDF16_hLN4vllm18Fp8KVCacheDataTypeE1EDF16_Li16ELi64ELi256ELb1ELi15EEvPKT_PKT0_S7_ifPKiS9_S9_iPKfiiiPfSC_PS2_PT2_iSB_SB_: ; @_Z39paged_attention_ll4mi_QKV_mfma16_kernelIDF16_hLN4vllm18Fp8KVCacheDataTypeE1EDF16_Li16ELi64ELi256ELb1ELi15EEvPKT_PKT0_S7_ifPKiS9_S9_iPKfiiiPfSC_PS2_PT2_iSB_SB_
; %bb.0:
	s_load_dwordx2 s[6:7], s[0:1], 0x30
	s_mov_b32 s28, s3
	s_mov_b64 s[8:9], 0
	s_waitcnt lgkmcnt(0)
	s_cmp_lg_u64 s[6:7], 0
	s_cselect_b64 s[10:11], -1, 0
	s_and_b64 vcc, exec, s[10:11]
	s_cbranch_vccz .LBB822_7
; %bb.1:
	s_add_i32 s12, s2, 1
	s_mov_b32 s13, 0
	s_lshl_b64 s[14:15], s[12:13], 2
	s_add_u32 s14, s6, s14
	s_mov_b32 s3, s13
	s_addc_u32 s15, s7, s15
	s_lshl_b64 s[12:13], s[2:3], 2
	s_add_u32 s12, s6, s12
	s_addc_u32 s13, s7, s13
	s_load_dword s5, s[14:15], 0x0
	s_load_dword s16, s[12:13], 0x0
	s_waitcnt lgkmcnt(0)
	s_sub_i32 s5, s5, s16
	s_cmp_eq_u32 s5, 1
	s_cselect_b64 s[12:13], -1, 0
	s_andn2_b64 vcc, exec, s[8:9]
	s_cbranch_vccnz .LBB822_3
.LBB822_2:
	s_mov_b32 s3, 0
	s_mov_b64 s[12:13], -1
.LBB822_3:
	s_andn2_b64 vcc, exec, s[12:13]
	s_cbranch_vccnz .LBB822_20
; %bb.4:
	s_load_dwordx2 s[8:9], s[0:1], 0x28
	s_lshl_b64 s[12:13], s[2:3], 2
	s_waitcnt lgkmcnt(0)
	s_add_u32 s8, s8, s12
	s_addc_u32 s9, s9, s13
	s_load_dword s29, s[8:9], 0x0
	s_lshl_b32 s16, s28, 8
	s_waitcnt lgkmcnt(0)
	s_cmp_ge_i32 s16, s29
	s_cbranch_scc1 .LBB822_20
; %bb.5:
	s_load_dwordx2 s[8:9], s[0:1], 0x20
	s_load_dword s5, s[0:1], 0x38
	s_add_i32 s14, s29, 15
	s_ashr_i32 s15, s14, 31
	v_and_b32_e32 v1, 0xcf, v0
	s_lshr_b32 s15, s15, 28
	v_add_u32_e32 v1, s16, v1
	s_add_i32 s14, s14, s15
	v_ashrrev_i32_e32 v2, 31, v1
	s_ashr_i32 s17, s14, 4
	v_lshrrev_b32_e32 v4, 28, v2
	s_add_i32 s17, s17, -1
	s_waitcnt lgkmcnt(0)
	s_mul_i32 s14, s2, s5
	s_mov_b32 s15, 0
	v_add_u32_e32 v2, v1, v4
	s_lshl_b64 s[14:15], s[14:15], 2
	v_ashrrev_i32_e32 v2, 4, v2
	v_mov_b32_e32 v5, s17
	v_cmp_gt_i32_e32 vcc, s29, v1
	s_add_u32 s8, s8, s14
	s_addc_u32 s9, s9, s15
	v_cndmask_b32_e32 v2, v5, v2, vcc
	v_ashrrev_i32_e32 v3, 31, v2
	v_lshl_add_u64 v[6:7], v[2:3], 2, s[8:9]
	v_or_b32_e32 v2, 16, v1
	v_add_u32_e32 v3, v2, v4
	v_ashrrev_i32_e32 v3, 4, v3
	v_cmp_gt_i32_e32 vcc, s29, v2
	s_load_dwordx2 s[14:15], s[0:1], 0x8
	s_nop 0
	v_cndmask_b32_e32 v2, v5, v3, vcc
	v_ashrrev_i32_e32 v3, 31, v2
	v_lshl_add_u64 v[8:9], v[2:3], 2, s[8:9]
	v_or_b32_e32 v2, 32, v1
	v_add_u32_e32 v3, v2, v4
	v_ashrrev_i32_e32 v3, 4, v3
	v_cmp_gt_i32_e32 vcc, s29, v2
	v_or_b32_e32 v1, 48, v1
	s_nop 0
	v_cndmask_b32_e32 v2, v5, v3, vcc
	v_ashrrev_i32_e32 v3, 31, v2
	v_lshl_add_u64 v[10:11], v[2:3], 2, s[8:9]
	v_add_u32_e32 v2, v1, v4
	v_ashrrev_i32_e32 v2, 4, v2
	v_cmp_gt_i32_e32 vcc, s29, v1
	s_nop 1
	v_cndmask_b32_e32 v2, v5, v2, vcc
	v_ashrrev_i32_e32 v3, 31, v2
	v_lshl_add_u64 v[12:13], v[2:3], 2, s[8:9]
	global_load_dword v5, v[6:7], off
	global_load_dword v4, v[8:9], off
	;; [unrolled: 1-line block ×4, first 2 shown]
	s_andn2_b64 vcc, exec, s[10:11]
	s_cbranch_vccnz .LBB822_8
; %bb.6:
	s_add_u32 s6, s6, s12
	s_addc_u32 s7, s7, s13
	s_load_dword s5, s[6:7], 0x0
	s_branch .LBB822_9
.LBB822_7:
	s_mov_b64 s[12:13], 0
	s_branch .LBB822_2
.LBB822_8:
	s_mov_b32 s5, s2
.LBB822_9:
	s_load_dwordx2 s[6:7], s[0:1], 0x10
	s_load_dwordx4 s[44:47], s[0:1], 0x48
	v_lshrrev_b32_e32 v29, 6, v0
	v_bfe_u32 v42, v0, 4, 2
	v_lshl_or_b32 v6, v29, 2, v42
	v_and_b32_e32 v28, 15, v0
	v_lshlrev_b32_e32 v1, 3, v28
	v_cmp_gt_u32_e32 vcc, 15, v6
	v_cmp_gt_u32_e64 s[30:31], 8, v28
	s_mul_i32 s48, s4, 15
	s_and_b64 s[12:13], s[30:31], vcc
	v_lshlrev_b32_e32 v26, 1, v1
	v_lshlrev_b32_e32 v1, 4, v0
	s_and_saveexec_b64 s[10:11], s[12:13]
	s_cbranch_execz .LBB822_11
; %bb.10:
	s_load_dwordx2 s[12:13], s[0:1], 0x0
	s_waitcnt lgkmcnt(0)
	s_ashr_i32 s18, s44, 31
	s_mul_hi_u32 s19, s5, s44
	s_mul_i32 s18, s5, s18
	s_add_i32 s19, s19, s18
	s_mul_i32 s18, s5, s44
	s_lshl_b64 s[18:19], s[18:19], 1
	s_add_u32 s12, s12, s18
	v_add_lshl_u32 v8, v6, s48, 6
	s_addc_u32 s13, s13, s19
	v_ashrrev_i32_e32 v9, 31, v8
	v_lshl_add_u64 v[8:9], v[8:9], 1, s[12:13]
	v_mov_b32_e32 v27, 0
	v_lshl_add_u64 v[8:9], v[8:9], 0, v[26:27]
	global_load_dwordx4 v[8:11], v[8:9], off
	v_lshlrev_b32_e32 v12, 8, v28
	v_lshlrev_b32_e32 v6, 5, v6
	v_and_b32_e32 v7, 16, v1
	v_and_b32_e32 v12, 0xe00, v12
	v_or3_b32 v6, v12, v6, v7
	s_waitcnt vmcnt(0)
	ds_write_b128 v6, v[8:11]
.LBB822_11:
	s_or_b64 exec, exec, s[10:11]
	s_waitcnt lgkmcnt(0)
	s_mul_i32 s10, s4, s46
	s_add_u32 s4, s14, s10
	v_mov_b32_e32 v31, 0
	s_addc_u32 s5, s15, 0
	v_and_b32_e32 v32, 48, v0
	v_and_b32_e32 v30, 0xf0, v1
	v_lshl_add_u64 v[6:7], s[4:5], 0, v[30:31]
	v_lshlrev_b32_e32 v30, 4, v32
	v_lshl_add_u64 v[6:7], v[6:7], 0, v[30:31]
	s_waitcnt vmcnt(3)
	v_mad_i64_i32 v[8:9], s[4:5], v5, s45, v[6:7]
	s_waitcnt vmcnt(2)
	v_mad_i64_i32 v[4:5], s[4:5], v4, s45, v[6:7]
	s_barrier
	global_load_dwordx4 v[22:25], v[8:9], off
	global_load_dwordx4 v[18:21], v[4:5], off
	s_waitcnt vmcnt(3)
	v_mad_i64_i32 v[4:5], s[4:5], v3, s45, v[6:7]
	s_waitcnt vmcnt(2)
	v_mad_i64_i32 v[2:3], s[4:5], v2, s45, v[6:7]
	global_load_dwordx4 v[14:17], v[4:5], off
	global_load_dwordx4 v[6:9], v[2:3], off
	v_cmp_ne_u32_e32 vcc, 15, v28
	v_and_b32_e32 v27, 63, v0
	v_mov_b32_e32 v43, 0
	v_cndmask_b32_e32 v2, 0, v28, vcc
	v_lshlrev_b32_e32 v2, 5, v2
	v_lshl_or_b32 v2, v42, 9, v2
	ds_read_b128 v[10:13], v2
	ds_read_b128 v[2:5], v2 offset:16
	s_and_saveexec_b64 s[4:5], vcc
	s_cbranch_execz .LBB822_13
; %bb.12:
	s_load_dwordx2 s[12:13], s[0:1], 0x40
	v_add_u32_e32 v34, s48, v28
	v_ashrrev_i32_e32 v35, 31, v34
	s_waitcnt lgkmcnt(0)
	v_lshl_add_u64 v[34:35], v[34:35], 2, s[12:13]
	global_load_dword v43, v[34:35], off
.LBB822_13:
	s_or_b64 exec, exec, s[4:5]
	v_or_b32_e32 v62, s16, v32
	v_ashrrev_i32_e32 v30, 4, v62
	v_mov_b32_e32 v63, s17
	v_cmp_gt_i32_e32 vcc, s29, v62
	s_waitcnt vmcnt(2)
	v_cvt_pk_f32_fp8_e32 v[52:53], v20
	v_cvt_pk_f32_fp8_sdwa v[54:55], v20 src0_sel:WORD_1
	v_cndmask_b32_e32 v20, v63, v30, vcc
	v_cvt_pk_f32_fp8_e32 v[56:57], v21
	v_cvt_pk_f32_fp8_sdwa v[58:59], v21 src0_sel:WORD_1
	v_ashrrev_i32_e32 v21, 31, v20
	v_cvt_pk_f32_fp8_e32 v[40:41], v22
	v_cvt_pk_f32_fp8_sdwa v[44:45], v22 src0_sel:WORD_1
	v_lshl_add_u64 v[20:21], v[20:21], 2, s[8:9]
	v_cvt_pk_f32_fp8_e32 v[46:47], v18
	v_cvt_pk_f32_fp8_sdwa v[48:49], v18 src0_sel:WORD_1
	global_load_dword v64, v[20:21], off
	v_cvt_pk_f32_fp8_e32 v[34:35], v23
	v_cvt_pk_f32_fp8_sdwa v[32:33], v23 src0_sel:WORD_1
	v_cvt_pkrtz_f16_f32 v20, v40, v41
	v_cvt_pkrtz_f16_f32 v21, v44, v45
	v_cvt_pk_f32_fp8_e32 v[36:37], v24
	v_cvt_pk_f32_fp8_sdwa v[38:39], v24 src0_sel:WORD_1
	v_cvt_pk_f32_fp8_e32 v[50:51], v19
	v_cvt_pk_f32_fp8_sdwa v[18:19], v19 src0_sel:WORD_1
	v_cvt_pkrtz_f16_f32 v44, v46, v47
	v_cvt_pkrtz_f16_f32 v45, v48, v49
	v_cvt_pk_f32_fp8_e32 v[22:23], v25
	s_waitcnt vmcnt(2)
	v_cvt_pk_f32_fp8_e32 v[40:41], v14
	v_cvt_pk_f32_fp8_sdwa v[46:47], v14 src0_sel:WORD_1
	v_cvt_pkrtz_f16_f32 v48, v34, v35
	v_cvt_pkrtz_f16_f32 v49, v32, v33
	v_or_b32_e32 v14, 64, v62
	v_or_b32_e32 v32, 0xc0, v62
	v_cvt_pk_f32_fp8_sdwa v[24:25], v25 src0_sel:WORD_1
	s_load_dword s11, s[0:1], 0x1c
	s_load_dwordx4 s[40:43], s[0:1], 0x80
	v_cvt_pkrtz_f16_f32 v36, v36, v37
	v_cvt_pkrtz_f16_f32 v37, v38, v39
	v_or_b32_e32 v65, 0x80, v62
	v_ashrrev_i32_e32 v62, 4, v14
	v_cmp_gt_i32_e32 vcc, s29, v32
	v_ashrrev_i32_e32 v66, 4, v32
	v_cmp_gt_i32_e64 s[4:5], s29, v14
	v_cvt_pkrtz_f16_f32 v38, v50, v51
	v_cvt_pkrtz_f16_f32 v39, v18, v19
	s_waitcnt lgkmcnt(0)
	v_mfma_f32_16x16x16_f16 v[32:35], v[20:21], v[10:11], 0
	s_add_u32 s6, s6, s10
	v_lshlrev_b32_e32 v30, 4, v28
	v_cndmask_b32_e64 v50, v63, v62, s[4:5]
	v_cvt_pkrtz_f16_f32 v62, v22, v23
	v_mfma_f32_16x16x16_f16 v[20:23], v[44:45], v[10:11], 0
	v_lshl_or_b32 v30, v29, 8, v30
	s_addc_u32 s7, s7, 0
	v_ashrrev_i32_e32 v14, 4, v65
	v_lshl_add_u64 v[18:19], s[6:7], 0, v[30:31]
	v_cmp_gt_i32_e64 s[6:7], s29, v65
	v_mfma_f32_16x16x16_f16 v[30:33], v[48:49], v[12:13], v[32:35]
	v_cndmask_b32_e32 v48, v63, v66, vcc
	s_load_dword s4, s[40:41], 0x0
	v_cvt_pk_f32_fp8_e32 v[60:61], v15
	v_cndmask_b32_e64 v34, v63, v14, s[6:7]
	v_cvt_pkrtz_f16_f32 v63, v24, v25
	v_cvt_pkrtz_f16_f32 v24, v52, v53
	;; [unrolled: 1-line block ×3, first 2 shown]
	v_mfma_f32_16x16x16_f16 v[20:23], v[38:39], v[12:13], v[20:23]
	v_cvt_pkrtz_f16_f32 v40, v40, v41
	v_cvt_pkrtz_f16_f32 v41, v46, v47
	v_ashrrev_i32_e32 v51, 31, v50
	v_mfma_f32_16x16x16_f16 v[20:23], v[24:25], v[2:3], v[20:23]
	v_mov_b32_e32 v24, s11
	s_waitcnt lgkmcnt(0)
	v_mul_f32_e32 v54, s4, v24
	v_cvt_pk_f32_fp8_sdwa v[24:25], v15 src0_sel:WORD_1
	v_mfma_f32_16x16x16_f16 v[30:33], v[36:37], v[2:3], v[30:33]
	v_ashrrev_i32_e32 v35, 31, v34
	v_ashrrev_i32_e32 v49, 31, v48
	v_lshl_add_u64 v[36:37], v[50:51], 2, s[8:9]
	v_lshl_add_u64 v[34:35], v[34:35], 2, s[8:9]
	;; [unrolled: 1-line block ×3, first 2 shown]
	global_load_dword v14, v[36:37], off
	global_load_dword v44, v[34:35], off
	;; [unrolled: 1-line block ×3, first 2 shown]
	v_cvt_pkrtz_f16_f32 v46, v60, v61
	v_cvt_pk_f32_fp8_e32 v[48:49], v16
	v_cvt_pk_f32_fp8_sdwa v[50:51], v16 src0_sel:WORD_1
	v_cvt_pkrtz_f16_f32 v47, v24, v25
	v_mfma_f32_16x16x16_f16 v[36:39], v[62:63], v[4:5], v[30:33]
	v_cvt_pkrtz_f16_f32 v24, v48, v49
	v_cvt_pkrtz_f16_f32 v25, v50, v51
	;; [unrolled: 1-line block ×3, first 2 shown]
	v_mfma_f32_16x16x16_f16 v[30:33], v[40:41], v[10:11], 0
	v_cvt_pk_f32_fp8_e32 v[40:41], v17
	v_cvt_pk_f32_fp8_sdwa v[16:17], v17 src0_sel:WORD_1
	v_cvt_pkrtz_f16_f32 v53, v58, v59
	v_mfma_f32_16x16x16_f16 v[46:49], v[46:47], v[12:13], v[30:33]
	s_mov_b32 s33, 0xff7fffff
	s_waitcnt vmcnt(3)
	v_mad_i64_i32 v[34:35], s[4:5], v64, s45, v[18:19]
	v_cvt_pkrtz_f16_f32 v32, v40, v41
	v_cvt_pkrtz_f16_f32 v33, v16, v17
	v_mfma_f32_16x16x16_f16 v[46:49], v[24:25], v[2:3], v[46:49]
	v_cvt_pk_f32_fp8_e32 v[16:17], v6
	v_cvt_pk_f32_fp8_sdwa v[24:25], v6 src0_sel:WORD_1
	v_pk_mul_f32 v[30:31], v[54:55], v[38:39] op_sel_hi:[0,1]
	v_mfma_f32_16x16x16_f16 v[46:49], v[32:33], v[4:5], v[46:49]
	v_cvt_pk_f32_fp8_e32 v[32:33], v7
	v_cvt_pkrtz_f16_f32 v16, v16, v17
	v_cvt_pkrtz_f16_f32 v17, v24, v25
	v_cvt_pk_f32_fp8_sdwa v[6:7], v7 src0_sel:WORD_1
	v_pk_mul_f32 v[38:39], v[54:55], v[36:37] op_sel_hi:[0,1]
	v_cvt_pkrtz_f16_f32 v24, v32, v33
	v_cvt_pk_f32_fp8_e32 v[32:33], v8
	v_cvt_pk_f32_fp8_sdwa v[36:37], v8 src0_sel:WORD_1
	v_cvt_pkrtz_f16_f32 v25, v6, v7
	v_mfma_f32_16x16x16_f16 v[20:23], v[52:53], v[4:5], v[20:23]
	v_mfma_f32_16x16x16_f16 v[50:53], v[16:17], v[10:11], 0
	v_cvt_pkrtz_f16_f32 v10, v32, v33
	v_cvt_pkrtz_f16_f32 v11, v36, v37
	v_cvt_pk_f32_fp8_e32 v[16:17], v9
	v_cvt_pk_f32_fp8_sdwa v[32:33], v9 src0_sel:WORD_1
	v_mfma_f32_16x16x16_f16 v[6:9], v[24:25], v[12:13], v[50:53]
	s_nop 0
	v_pk_mul_f32 v[36:37], v[54:55], v[22:23] op_sel_hi:[0,1]
	v_cvt_pkrtz_f16_f32 v12, v16, v17
	v_cvt_pkrtz_f16_f32 v13, v32, v33
	v_mfma_f32_16x16x16_f16 v[6:9], v[10:11], v[2:3], v[6:9]
	v_pk_mul_f32 v[40:41], v[54:55], v[20:21] op_sel_hi:[0,1]
	v_pk_mul_f32 v[24:25], v[54:55], v[48:49] op_sel_hi:[0,1]
	;; [unrolled: 1-line block ×3, first 2 shown]
	v_mfma_f32_16x16x16_f16 v[2:5], v[12:13], v[4:5], v[6:9]
	s_nop 6
	v_pk_mul_f32 v[22:23], v[54:55], v[2:3] op_sel_hi:[0,1]
	v_and_b32_e32 v2, 0xc0, v0
	v_add_u32_e32 v2, s16, v2
	v_lshl_or_b32 v2, v42, 2, v2
	v_or_b32_e32 v3, 1, v2
	v_pk_mul_f32 v[20:21], v[54:55], v[4:5] op_sel_hi:[0,1]
	v_subrev_u32_e32 v4, s29, v3
	v_add_u32_e32 v6, 1, v4
	v_add_u32_e32 v7, 2, v4
	;; [unrolled: 1-line block ×3, first 2 shown]
	v_cvt_f32_i32_e32 v6, v6
	v_cvt_f32_i32_e32 v7, v7
	;; [unrolled: 1-line block ×3, first 2 shown]
	v_add_u32_e32 v9, 19, v4
	v_fmac_f32_e32 v39, v43, v6
	v_fma_f32 v30, v43, v7, v30
	v_fmac_f32_e32 v31, v43, v8
	v_add_u32_e32 v6, 16, v4
	v_add_u32_e32 v7, 17, v4
	;; [unrolled: 1-line block ×3, first 2 shown]
	v_cvt_f32_i32_e32 v6, v6
	v_cvt_f32_i32_e32 v7, v7
	v_cvt_f32_i32_e32 v8, v8
	v_cvt_f32_i32_e32 v9, v9
	v_fma_f32 v40, v43, v6, v40
	v_fmac_f32_e32 v41, v43, v7
	v_fma_f32 v36, v43, v8, v36
	v_add_u32_e32 v6, 32, v4
	v_add_u32_e32 v7, 33, v4
	;; [unrolled: 1-line block ×3, first 2 shown]
	v_cvt_f32_i32_e32 v6, v6
	v_cvt_f32_i32_e32 v7, v7
	;; [unrolled: 1-line block ×4, first 2 shown]
	v_fmac_f32_e32 v37, v43, v9
	v_add_u32_e32 v9, 35, v4
	v_fma_f32 v32, v43, v6, v32
	v_fmac_f32_e32 v33, v43, v7
	v_fma_f32 v24, v43, v8, v24
	v_add_u32_e32 v6, 48, v4
	v_add_u32_e32 v7, 49, v4
	;; [unrolled: 1-line block ×4, first 2 shown]
	v_cvt_f32_i32_e32 v4, v4
	v_cvt_f32_i32_e32 v6, v6
	;; [unrolled: 1-line block ×3, first 2 shown]
	v_fma_f32 v5, v43, v5, v38
	v_fmac_f32_e32 v21, v43, v4
	v_mov_b32_e32 v4, 0xff7fffff
	v_cmp_gt_i32_e64 s[4:5], s29, v2
	v_cmp_gt_i32_e64 s[34:35], s29, v3
	v_fma_f32 v22, v43, v6, v22
	v_cndmask_b32_e64 v6, v4, v5, s[4:5]
	v_cndmask_b32_e64 v3, v4, v39, s[34:35]
	v_fmac_f32_e32 v23, v43, v7
	v_max3_f32 v3, v6, s33, v3
	v_or_b32_e32 v6, 2, v2
	v_or_b32_e32 v7, 3, v2
	v_cmp_gt_i32_e64 s[36:37], s29, v6
	v_cmp_gt_i32_e64 s[38:39], s29, v7
	v_cvt_f32_i32_e32 v9, v9
	v_cndmask_b32_e64 v6, v4, v30, s[36:37]
	v_cndmask_b32_e64 v7, v4, v31, s[38:39]
	v_max3_f32 v3, v3, v6, v7
	v_or_b32_e32 v6, 16, v2
	v_or_b32_e32 v7, 17, v2
	v_cmp_gt_i32_e64 s[24:25], s29, v6
	v_cmp_gt_i32_e64 s[26:27], s29, v7
	v_fmac_f32_e32 v25, v43, v9
	v_cndmask_b32_e64 v6, v4, v40, s[24:25]
	v_cndmask_b32_e64 v7, v4, v41, s[26:27]
	v_max3_f32 v3, v3, v6, v7
	v_or_b32_e32 v6, 18, v2
	v_or_b32_e32 v7, 19, v2
	v_cmp_gt_i32_e64 s[20:21], s29, v6
	v_cmp_gt_i32_e64 s[22:23], s29, v7
	v_cvt_f32_i32_e32 v8, v8
	v_cndmask_b32_e64 v6, v4, v36, s[20:21]
	v_cndmask_b32_e64 v7, v4, v37, s[22:23]
	v_max3_f32 v3, v3, v6, v7
	v_or_b32_e32 v6, 32, v2
	v_or_b32_e32 v7, 33, v2
	v_cmp_gt_i32_e64 s[16:17], s29, v6
	v_cmp_gt_i32_e64 s[18:19], s29, v7
	v_fma_f32 v20, v43, v8, v20
	v_cndmask_b32_e64 v6, v4, v32, s[16:17]
	v_cndmask_b32_e64 v7, v4, v33, s[18:19]
	v_max3_f32 v3, v3, v6, v7
	v_or_b32_e32 v6, 34, v2
	v_or_b32_e32 v7, 35, v2
	v_cmp_gt_i32_e64 s[12:13], s29, v6
	v_cmp_gt_i32_e64 s[14:15], s29, v7
	s_nop 0
	v_cndmask_b32_e64 v6, v4, v24, s[12:13]
	v_cndmask_b32_e64 v7, v4, v25, s[14:15]
	v_max3_f32 v3, v3, v6, v7
	v_or_b32_e32 v6, 48, v2
	v_or_b32_e32 v7, 49, v2
	v_cmp_gt_i32_e64 s[8:9], s29, v6
	v_cmp_gt_i32_e64 s[10:11], s29, v7
	s_nop 0
	v_cndmask_b32_e64 v6, v4, v22, s[8:9]
	v_cndmask_b32_e64 v7, v4, v23, s[10:11]
	v_max3_f32 v3, v3, v6, v7
	v_or_b32_e32 v6, 50, v2
	v_or_b32_e32 v2, 51, v2
	v_cmp_gt_i32_e32 vcc, s29, v6
	v_cmp_gt_i32_e64 s[6:7], s29, v2
	s_nop 0
	v_cndmask_b32_e32 v6, v4, v20, vcc
	v_cndmask_b32_e64 v2, v4, v21, s[6:7]
	v_max3_f32 v4, v3, v6, v2
	v_mbcnt_lo_u32_b32 v2, -1, 0
	v_mbcnt_hi_u32_b32 v6, -1, v2
	v_and_b32_e32 v2, 64, v6
	v_add_u32_e32 v7, 64, v2
	v_xor_b32_e32 v2, 32, v6
	v_cmp_lt_i32_e64 s[40:41], v2, v7
	s_nop 1
	v_cndmask_b32_e64 v2, v6, v2, s[40:41]
	v_lshlrev_b32_e32 v43, 2, v2
	ds_bpermute_b32 v8, v43, v4
	s_waitcnt vmcnt(2)
	v_mad_i64_i32 v[2:3], s[40:41], v14, s45, v[18:19]
	global_load_dwordx4 v[14:17], v[34:35], off
	global_load_dwordx4 v[10:13], v[2:3], off
	v_xor_b32_e32 v3, 16, v6
	v_cmp_lt_i32_e64 s[40:41], v3, v7
	s_waitcnt lgkmcnt(0)
	v_max_f32_e32 v2, v8, v8
	v_max_f32_e32 v2, v4, v2
	v_cndmask_b32_e64 v3, v6, v3, s[40:41]
	v_lshlrev_b32_e32 v46, 2, v3
	ds_bpermute_b32 v3, v46, v2
	s_waitcnt vmcnt(3)
	v_mad_i64_i32 v[34:35], s[40:41], v44, s45, v[18:19]
	s_waitcnt vmcnt(2)
	v_mad_i64_i32 v[18:19], s[40:41], v45, s45, v[18:19]
	s_waitcnt lgkmcnt(0)
	v_max_f32_e32 v3, v3, v3
	v_max_f32_e32 v38, v2, v3
	v_sub_f32_e32 v2, v5, v38
	v_mul_f32_e32 v2, 0x3fb8aa3b, v2
	v_exp_f32_e32 v44, v2
	v_sub_f32_e32 v2, v39, v38
	v_mul_f32_e32 v2, 0x3fb8aa3b, v2
	v_exp_f32_e32 v39, v2
	global_load_dwordx4 v[6:9], v[34:35], off
	global_load_dwordx4 v[2:5], v[18:19], off
	v_sub_f32_e32 v30, v30, v38
	v_mul_f32_e32 v30, 0x3fb8aa3b, v30
	v_sub_f32_e32 v31, v31, v38
	v_exp_f32_e32 v30, v30
	v_mul_f32_e32 v31, 0x3fb8aa3b, v31
	v_exp_f32_e32 v31, v31
	v_cndmask_b32_e64 v18, 0, v44, s[4:5]
	v_add_f32_e32 v34, 0, v18
	v_cndmask_b32_e64 v19, 0, v39, s[34:35]
	v_add_f32_e32 v35, v34, v19
	;; [unrolled: 2-line block ×3, first 2 shown]
	v_cndmask_b32_e64 v35, 0, v31, s[38:39]
	v_sub_f32_e32 v31, v40, v38
	v_mul_f32_e32 v31, 0x3fb8aa3b, v31
	v_sub_f32_e32 v39, v41, v38
	v_exp_f32_e32 v31, v31
	v_mul_f32_e32 v39, 0x3fb8aa3b, v39
	v_sub_f32_e32 v36, v36, v38
	v_exp_f32_e32 v39, v39
	;; [unrolled: 3-line block ×4, first 2 shown]
	v_mul_f32_e32 v32, 0x3fb8aa3b, v32
	v_sub_f32_e32 v33, v33, v38
	v_add_f32_e32 v40, v30, v35
	v_cndmask_b32_e64 v30, 0, v31, s[24:25]
	v_exp_f32_e32 v32, v32
	v_mul_f32_e32 v33, 0x3fb8aa3b, v33
	v_sub_f32_e32 v24, v24, v38
	v_add_f32_e32 v40, v40, v30
	v_cndmask_b32_e64 v31, 0, v39, s[26:27]
	v_exp_f32_e32 v33, v33
	v_mul_f32_e32 v24, 0x3fb8aa3b, v24
	v_sub_f32_e32 v25, v25, v38
	v_add_f32_e32 v39, v40, v31
	v_cndmask_b32_e64 v36, 0, v36, s[20:21]
	v_exp_f32_e32 v24, v24
	v_mul_f32_e32 v25, 0x3fb8aa3b, v25
	v_sub_f32_e32 v22, v22, v38
	v_add_f32_e32 v39, v39, v36
	v_cndmask_b32_e64 v37, 0, v37, s[22:23]
	v_exp_f32_e32 v25, v25
	v_mul_f32_e32 v22, 0x3fb8aa3b, v22
	v_sub_f32_e32 v23, v23, v38
	v_add_f32_e32 v39, v39, v37
	v_cndmask_b32_e64 v32, 0, v32, s[16:17]
	v_exp_f32_e32 v22, v22
	v_mul_f32_e32 v23, 0x3fb8aa3b, v23
	v_sub_f32_e32 v20, v20, v38
	v_add_f32_e32 v39, v39, v32
	v_cndmask_b32_e64 v33, 0, v33, s[18:19]
	v_exp_f32_e32 v23, v23
	v_mul_f32_e32 v20, 0x3fb8aa3b, v20
	v_sub_f32_e32 v21, v21, v38
	v_add_f32_e32 v39, v39, v33
	v_cndmask_b32_e64 v24, 0, v24, s[12:13]
	v_exp_f32_e32 v20, v20
	v_mul_f32_e32 v21, 0x3fb8aa3b, v21
	v_add_f32_e32 v39, v39, v24
	v_cndmask_b32_e64 v25, 0, v25, s[14:15]
	v_exp_f32_e32 v21, v21
	v_add_f32_e32 v39, v39, v25
	v_cndmask_b32_e64 v22, 0, v22, s[8:9]
	v_add_f32_e32 v39, v39, v22
	v_cndmask_b32_e64 v23, 0, v23, s[10:11]
	v_add_f32_e32 v39, v39, v23
	v_cndmask_b32_e32 v20, 0, v20, vcc
	v_add_f32_e32 v39, v39, v20
	v_cndmask_b32_e64 v21, 0, v21, s[6:7]
	v_add_f32_e32 v39, v39, v21
	ds_bpermute_b32 v40, v43, v39
	s_load_dword s7, s[0:1], 0x98
	v_cmp_gt_u32_e32 vcc, 16, v27
	s_waitcnt lgkmcnt(0)
	s_barrier
	v_add_f32_e32 v40, v39, v40
	ds_bpermute_b32 v41, v46, v40
	v_lshlrev_b32_e32 v39, 2, v28
	s_waitcnt lgkmcnt(0)
	s_and_saveexec_b64 s[4:5], vcc
	s_cbranch_execz .LBB822_15
; %bb.14:
	v_add_f32_e32 v27, v40, v41
	v_lshl_or_b32 v40, v29, 6, v39
	ds_write2st64_b32 v40, v38, v27 offset1:1
.LBB822_15:
	s_or_b64 exec, exec, s[4:5]
	s_load_dword s6, s[0:1], 0x94
	s_waitcnt lgkmcnt(0)
	s_barrier
	ds_read2_b32 v[40:41], v39 offset1:16
	ds_read2_b32 v[44:45], v39 offset0:32 offset1:48
	ds_read2_b32 v[46:47], v39 offset0:64 offset1:80
	s_mul_i32 s7, s7, 15
	s_waitcnt lgkmcnt(2)
	v_max3_f32 v27, v40, s33, v41
	s_waitcnt lgkmcnt(1)
	v_max3_f32 v27, v27, v44, v45
	v_sub_f32_e32 v38, v40, v27
	v_mul_f32_e32 v38, 0x3fb8aa3b, v38
	v_exp_f32_e32 v43, v38
	v_sub_f32_e32 v38, v41, v27
	v_mul_f32_e32 v38, 0x3fb8aa3b, v38
	v_exp_f32_e32 v48, v38
	v_sub_f32_e32 v38, v44, v27
	v_mul_f32_e32 v38, 0x3fb8aa3b, v38
	v_exp_f32_e32 v44, v38
	ds_read2_b32 v[40:41], v39 offset0:96 offset1:112
	v_sub_f32_e32 v38, v45, v27
	v_mul_f32_e32 v38, 0x3fb8aa3b, v38
	v_exp_f32_e32 v39, v38
	s_waitcnt lgkmcnt(1)
	v_fma_f32 v38, v43, v46, 0
	v_fmac_f32_e32 v38, v48, v47
	s_waitcnt lgkmcnt(0)
	v_fmac_f32_e32 v38, v44, v40
	v_fmac_f32_e32 v38, v39, v41
	v_add_f32_e32 v40, 0x358637bd, v38
	v_div_scale_f32 v41, s[4:5], v40, v40, 1.0
	v_rcp_f32_e32 v45, v41
	s_barrier
	v_fma_f32 v46, -v41, v45, 1.0
	v_fmac_f32_e32 v45, v46, v45
	v_div_scale_f32 v46, vcc, 1.0, v40, 1.0
	v_mul_f32_e32 v47, v46, v45
	v_fma_f32 v49, -v41, v47, v46
	v_fmac_f32_e32 v47, v49, v45
	v_fma_f32 v41, -v41, v47, v46
	v_div_fmas_f32 v41, v41, v45, v47
	v_cmp_eq_u32_e32 vcc, 1, v29
	v_div_fixup_f32 v40, v41, v40, 1.0
	s_nop 0
	v_cndmask_b32_e32 v41, v43, v48, vcc
	v_cmp_eq_u32_e32 vcc, 2, v29
	s_nop 1
	v_cndmask_b32_e32 v41, v41, v44, vcc
	v_cmp_eq_u32_e32 vcc, 3, v29
	v_lshlrev_b32_e32 v29, 11, v29
	s_nop 0
	v_cndmask_b32_e32 v39, v41, v39, vcc
	v_mul_f32_e32 v40, v39, v40
	v_pk_mul_f32 v[18:19], v[40:41], v[18:19] op_sel_hi:[0,1]
	v_pk_mul_f32 v[34:35], v[40:41], v[34:35] op_sel_hi:[0,1]
	v_cvt_f16_f32_e32 v18, v18
	v_cvt_f16_f32_e32 v19, v19
	v_pk_mul_f32 v[36:37], v[40:41], v[36:37] op_sel_hi:[0,1]
	v_pk_mul_f32 v[30:31], v[40:41], v[30:31] op_sel_hi:[0,1]
	v_cvt_f16_f32_e32 v39, v34
	v_cvt_f16_f32_e32 v35, v35
	;; [unrolled: 1-line block ×6, first 2 shown]
	v_pack_b32_f16 v34, v18, v19
	v_lshlrev_b32_e32 v18, 3, v42
	v_lshlrev_b32_e32 v19, 5, v28
	v_pack_b32_f16 v35, v39, v35
	v_or3_b32 v18, v29, v19, v18
	v_pack_b32_f16 v30, v30, v31
	v_pack_b32_f16 v31, v36, v37
	ds_write2st64_b64 v18, v[34:35], v[30:31] offset1:1
	v_pk_mul_f32 v[24:25], v[40:41], v[24:25] op_sel_hi:[0,1]
	v_pk_mul_f32 v[30:31], v[40:41], v[32:33] op_sel_hi:[0,1]
	;; [unrolled: 1-line block ×4, first 2 shown]
	v_cvt_f16_f32_e32 v29, v30
	v_cvt_f16_f32_e32 v30, v31
	;; [unrolled: 1-line block ×8, first 2 shown]
	v_pack_b32_f16 v20, v29, v30
	v_pack_b32_f16 v21, v24, v25
	;; [unrolled: 1-line block ×4, first 2 shown]
	v_cmp_gt_u32_e32 vcc, 15, v0
	ds_write2st64_b64 v18, v[20:21], v[22:23] offset0:2 offset1:3
	s_and_saveexec_b64 s[4:5], vcc
	s_cbranch_execz .LBB822_17
; %bb.16:
	s_mov_b32 s49, 0
	v_mov_b32_e32 v29, 0
	v_lshl_add_u64 v[20:21], s[48:49], 0, v[28:29]
	v_mov_b32_e32 v22, s7
	v_mad_u64_u32 v[20:21], s[12:13], s2, v22, v[20:21]
	s_mul_i32 s3, s3, s7
	v_mov_b32_e32 v28, s28
	s_load_dwordx4 s[8:11], s[0:1], 0x58
	v_add_u32_e32 v23, s3, v21
	v_mad_u64_u32 v[20:21], s[12:13], v20, s6, v[28:29]
	v_mov_b32_e32 v22, v21
	v_mad_u64_u32 v[22:23], s[12:13], v23, s6, v[22:23]
	v_mov_b32_e32 v21, v22
	v_lshlrev_b64 v[20:21], 2, v[20:21]
	s_waitcnt lgkmcnt(0)
	v_lshl_add_u64 v[22:23], s[10:11], 0, v[20:21]
	v_lshl_add_u64 v[20:21], s[8:9], 0, v[20:21]
	global_store_dword v[22:23], v27, off
	global_store_dword v[20:21], v38, off
.LBB822_17:
	s_or_b64 exec, exec, s[4:5]
	s_waitcnt vmcnt(3)
	v_cvt_pk_f32_fp8_e32 v[20:21], v14
	v_cvt_pk_f32_fp8_sdwa v[22:23], v14 src0_sel:WORD_1
	v_lshl_or_b32 v14, v42, 9, v19
	s_waitcnt lgkmcnt(0)
	s_barrier
	v_cvt_pk_f32_fp8_e32 v[24:25], v15
	v_cvt_pkrtz_f16_f32 v32, v20, v21
	v_cvt_pkrtz_f16_f32 v33, v22, v23
	v_cvt_pk_f32_fp8_sdwa v[28:29], v15 src0_sel:WORD_1
	ds_read_b128 v[20:23], v14
	v_cvt_pkrtz_f16_f32 v24, v24, v25
	v_cvt_pk_f32_fp8_e32 v[36:37], v16
	v_cvt_pkrtz_f16_f32 v25, v28, v29
	ds_read_b128 v[28:31], v14 offset:16
	v_cvt_pk_f32_fp8_sdwa v[38:39], v16 src0_sel:WORD_1
	s_waitcnt lgkmcnt(1)
	v_mfma_f32_16x16x16_f16 v[32:35], v[32:33], v[20:21], 0
	v_cvt_pkrtz_f16_f32 v36, v36, v37
	s_load_dword s4, s[42:43], 0x0
	v_cvt_pkrtz_f16_f32 v37, v38, v39
	v_cvt_pk_f32_fp8_e32 v[38:39], v17
	v_cvt_pk_f32_fp8_sdwa v[16:17], v17 src0_sel:WORD_1
	v_mfma_f32_16x16x16_f16 v[20:23], v[24:25], v[22:23], v[32:35]
	v_cmp_gt_u32_e32 vcc, 64, v0
	v_cvt_pkrtz_f16_f32 v24, v38, v39
	v_cvt_pkrtz_f16_f32 v25, v16, v17
	s_waitcnt lgkmcnt(0)
	v_mfma_f32_16x16x16_f16 v[20:23], v[36:37], v[28:29], v[20:23]
	s_waitcnt vmcnt(2)
	v_cvt_pk_f32_fp8_e32 v[16:17], v10
	v_cvt_pk_f32_fp8_e32 v[28:29], v11
	v_cvt_pk_f32_fp8_sdwa v[36:37], v12 src0_sel:WORD_1
	v_mfma_f32_16x16x16_f16 v[20:23], v[24:25], v[30:31], v[20:23]
	v_cvt_pk_f32_fp8_sdwa v[24:25], v10 src0_sel:WORD_1
	v_cvt_pkrtz_f16_f32 v10, v16, v17
	v_cvt_pk_f32_fp8_sdwa v[16:17], v11 src0_sel:WORD_1
	ds_read_b128 v[32:35], v14 offset:2064
	v_cvt_pkrtz_f16_f32 v11, v24, v25
	v_cvt_pkrtz_f16_f32 v24, v28, v29
	ds_read_b128 v[28:31], v14 offset:2048
	v_cvt_pkrtz_f16_f32 v25, v16, v17
	v_cvt_pk_f32_fp8_e32 v[16:17], v12
	s_waitcnt lgkmcnt(0)
	v_mfma_f32_16x16x16_f16 v[20:23], v[10:11], v[28:29], v[20:23]
	v_cvt_pkrtz_f16_f32 v10, v16, v17
	v_cvt_pkrtz_f16_f32 v11, v36, v37
	v_cvt_pk_f32_fp8_e32 v[16:17], v13
	v_mfma_f32_16x16x16_f16 v[20:23], v[24:25], v[30:31], v[20:23]
	v_cvt_pk_f32_fp8_sdwa v[24:25], v13 src0_sel:WORD_1
	ds_read_b128 v[28:31], v14 offset:4112
	v_cvt_pkrtz_f16_f32 v16, v16, v17
	v_mfma_f32_16x16x16_f16 v[10:13], v[10:11], v[32:33], v[20:23]
	v_cvt_pkrtz_f16_f32 v17, v24, v25
	s_waitcnt vmcnt(1)
	v_cvt_pk_f32_fp8_sdwa v[24:25], v7 src0_sel:WORD_1
	v_cvt_pk_f32_fp8_sdwa v[32:33], v8 src0_sel:WORD_1
	v_cvt_pk_f32_fp8_e32 v[20:21], v6
	v_mfma_f32_16x16x16_f16 v[10:13], v[16:17], v[34:35], v[10:13]
	v_cvt_pk_f32_fp8_sdwa v[16:17], v6 src0_sel:WORD_1
	v_cvt_pk_f32_fp8_e32 v[22:23], v7
	v_cvt_pkrtz_f16_f32 v6, v20, v21
	s_mov_b32 s3, 0
	v_cvt_pkrtz_f16_f32 v7, v16, v17
	v_cvt_pkrtz_f16_f32 v16, v22, v23
	ds_read_b128 v[20:23], v14 offset:4096
	v_cvt_pkrtz_f16_f32 v17, v24, v25
	v_cvt_pk_f32_fp8_e32 v[24:25], v8
	s_waitcnt lgkmcnt(0)
	v_mfma_f32_16x16x16_f16 v[10:13], v[6:7], v[20:21], v[10:13]
	v_cvt_pkrtz_f16_f32 v6, v24, v25
	v_cvt_pkrtz_f16_f32 v7, v32, v33
	v_cvt_pk_f32_fp8_e32 v[20:21], v9
	v_mfma_f32_16x16x16_f16 v[10:13], v[16:17], v[22:23], v[10:13]
	v_cvt_pk_f32_fp8_sdwa v[16:17], v9 src0_sel:WORD_1
	s_waitcnt vmcnt(0)
	v_cvt_pk_f32_fp8_sdwa v[24:25], v4 src0_sel:WORD_1
	v_cvt_pkrtz_f16_f32 v20, v20, v21
	v_mfma_f32_16x16x16_f16 v[6:9], v[6:7], v[28:29], v[10:13]
	v_cvt_pkrtz_f16_f32 v21, v16, v17
	v_cvt_pk_f32_fp8_e32 v[16:17], v3
	v_mov_b32_e32 v27, 0
	v_cvt_pk_f32_fp8_e32 v[10:11], v2
	v_cvt_pk_f32_fp8_sdwa v[12:13], v2 src0_sel:WORD_1
	v_mfma_f32_16x16x16_f16 v[6:9], v[20:21], v[30:31], v[6:9]
	v_cvt_pk_f32_fp8_sdwa v[20:21], v3 src0_sel:WORD_1
	v_cvt_pkrtz_f16_f32 v2, v10, v11
	v_cvt_pkrtz_f16_f32 v3, v12, v13
	ds_read_b128 v[10:13], v14 offset:6144
	v_cvt_pkrtz_f16_f32 v22, v16, v17
	v_cvt_pkrtz_f16_f32 v23, v20, v21
	v_cvt_pk_f32_fp8_e32 v[20:21], v4
	s_waitcnt lgkmcnt(0)
	v_mfma_f32_16x16x16_f16 v[6:9], v[2:3], v[10:11], v[6:9]
	ds_read_b128 v[14:17], v14 offset:6160
	v_cvt_pkrtz_f16_f32 v2, v20, v21
	v_cvt_pkrtz_f16_f32 v3, v24, v25
	v_cvt_pk_f32_fp8_e32 v[10:11], v5
	v_mfma_f32_16x16x16_f16 v[6:9], v[22:23], v[12:13], v[6:9]
	v_cvt_pk_f32_fp8_sdwa v[12:13], v5 src0_sel:WORD_1
	s_waitcnt lgkmcnt(0)
	v_cvt_pkrtz_f16_f32 v10, v10, v11
	v_mfma_f32_16x16x16_f16 v[2:5], v[2:3], v[14:15], v[6:9]
	v_cvt_pkrtz_f16_f32 v11, v12, v13
	s_barrier
	s_nop 0
	v_mfma_f32_16x16x16_f16 v[2:5], v[10:11], v[16:17], v[2:5]
	s_nop 6
	v_pk_mul_f32 v[4:5], v[4:5], s[4:5] op_sel_hi:[1,0]
	v_pk_mul_f32 v[2:3], v[2:3], s[4:5] op_sel_hi:[1,0]
	v_cvt_f16_f32_e32 v4, v4
	v_cvt_f16_f32_e32 v2, v2
	;; [unrolled: 1-line block ×4, first 2 shown]
	s_and_b64 s[4:5], vcc, s[30:31]
	v_pack_b32_f16 v2, v2, v3
	v_pack_b32_f16 v3, v4, v5
	ds_write_b64 v18, v[2:3]
	s_waitcnt lgkmcnt(0)
	s_barrier
	s_and_saveexec_b64 s[8:9], s[4:5]
	s_cbranch_execz .LBB822_20
; %bb.18:
	s_load_dwordx2 s[4:5], s[0:1], 0x68
	s_lshl_b32 s0, s6, 6
	s_mul_i32 s1, s7, s2
	s_mul_hi_u32 s7, s1, s0
	s_mul_i32 s6, s1, s0
	v_lshlrev_b32_e32 v0, 10, v0
	s_lshl_b64 s[6:7], s[6:7], 1
	v_and_b32_e32 v0, 0x1800, v0
	v_lshlrev_b32_e32 v2, 5, v42
	v_and_b32_e32 v1, 16, v1
	s_waitcnt lgkmcnt(0)
	s_add_u32 s1, s4, s6
	v_or3_b32 v2, v0, v2, v1
	s_addc_u32 s4, s5, s7
	s_lshl_b32 s2, s28, 6
	ds_read_b128 v[4:7], v2 offset:256
	s_lshl_b64 s[2:3], s[2:3], 1
	ds_read_b128 v[8:11], v2 offset:128
	ds_read_b128 v[12:15], v2
	s_add_u32 s2, s1, s2
	s_addc_u32 s3, s4, s3
	v_add_u32_e32 v3, s48, v42
	v_lshl_add_u64 v[0:1], s[2:3], 0, v[26:27]
	v_mad_u64_u32 v[16:17], s[2:3], v3, s0, 0
	v_lshl_add_u64 v[16:17], v[16:17], 1, v[0:1]
	s_waitcnt lgkmcnt(0)
	global_store_dwordx4 v[16:17], v[12:15], off
	v_cmp_ne_u32_e32 vcc, 3, v42
	s_nop 0
	v_add_u32_e32 v12, 4, v3
	v_mad_u64_u32 v[12:13], s[2:3], v12, s0, 0
	v_lshl_add_u64 v[12:13], v[12:13], 1, v[0:1]
	v_add_u32_e32 v3, 8, v3
	global_store_dwordx4 v[12:13], v[8:11], off
	s_nop 1
	v_mad_u64_u32 v[8:9], s[2:3], v3, s0, 0
	v_lshl_add_u64 v[8:9], v[8:9], 1, v[0:1]
	global_store_dwordx4 v[8:9], v[4:7], off
	s_and_b64 exec, exec, vcc
	s_cbranch_execz .LBB822_20
; %bb.19:
	ds_read_b128 v[2:5], v2 offset:384
	v_add3_u32 v6, s48, v42, 12
	v_mad_u64_u32 v[6:7], s[0:1], v6, s0, 0
	v_lshl_add_u64 v[0:1], v[6:7], 1, v[0:1]
	s_waitcnt lgkmcnt(0)
	global_store_dwordx4 v[0:1], v[2:5], off
.LBB822_20:
	s_endpgm
	.section	.rodata,"a",@progbits
	.p2align	6, 0x0
	.amdhsa_kernel _Z39paged_attention_ll4mi_QKV_mfma16_kernelIDF16_hLN4vllm18Fp8KVCacheDataTypeE1EDF16_Li16ELi64ELi256ELb1ELi15EEvPKT_PKT0_S7_ifPKiS9_S9_iPKfiiiPfSC_PS2_PT2_iSB_SB_
		.amdhsa_group_segment_fixed_size 8192
		.amdhsa_private_segment_fixed_size 0
		.amdhsa_kernarg_size 400
		.amdhsa_user_sgpr_count 2
		.amdhsa_user_sgpr_dispatch_ptr 0
		.amdhsa_user_sgpr_queue_ptr 0
		.amdhsa_user_sgpr_kernarg_segment_ptr 1
		.amdhsa_user_sgpr_dispatch_id 0
		.amdhsa_user_sgpr_kernarg_preload_length 0
		.amdhsa_user_sgpr_kernarg_preload_offset 0
		.amdhsa_user_sgpr_private_segment_size 0
		.amdhsa_uses_dynamic_stack 0
		.amdhsa_enable_private_segment 0
		.amdhsa_system_sgpr_workgroup_id_x 1
		.amdhsa_system_sgpr_workgroup_id_y 1
		.amdhsa_system_sgpr_workgroup_id_z 1
		.amdhsa_system_sgpr_workgroup_info 0
		.amdhsa_system_vgpr_workitem_id 0
		.amdhsa_next_free_vgpr 67
		.amdhsa_next_free_sgpr 50
		.amdhsa_accum_offset 68
		.amdhsa_reserve_vcc 1
		.amdhsa_float_round_mode_32 0
		.amdhsa_float_round_mode_16_64 0
		.amdhsa_float_denorm_mode_32 3
		.amdhsa_float_denorm_mode_16_64 3
		.amdhsa_dx10_clamp 1
		.amdhsa_ieee_mode 1
		.amdhsa_fp16_overflow 0
		.amdhsa_tg_split 0
		.amdhsa_exception_fp_ieee_invalid_op 0
		.amdhsa_exception_fp_denorm_src 0
		.amdhsa_exception_fp_ieee_div_zero 0
		.amdhsa_exception_fp_ieee_overflow 0
		.amdhsa_exception_fp_ieee_underflow 0
		.amdhsa_exception_fp_ieee_inexact 0
		.amdhsa_exception_int_div_zero 0
	.end_amdhsa_kernel
	.section	.text._Z39paged_attention_ll4mi_QKV_mfma16_kernelIDF16_hLN4vllm18Fp8KVCacheDataTypeE1EDF16_Li16ELi64ELi256ELb1ELi15EEvPKT_PKT0_S7_ifPKiS9_S9_iPKfiiiPfSC_PS2_PT2_iSB_SB_,"axG",@progbits,_Z39paged_attention_ll4mi_QKV_mfma16_kernelIDF16_hLN4vllm18Fp8KVCacheDataTypeE1EDF16_Li16ELi64ELi256ELb1ELi15EEvPKT_PKT0_S7_ifPKiS9_S9_iPKfiiiPfSC_PS2_PT2_iSB_SB_,comdat
.Lfunc_end822:
	.size	_Z39paged_attention_ll4mi_QKV_mfma16_kernelIDF16_hLN4vllm18Fp8KVCacheDataTypeE1EDF16_Li16ELi64ELi256ELb1ELi15EEvPKT_PKT0_S7_ifPKiS9_S9_iPKfiiiPfSC_PS2_PT2_iSB_SB_, .Lfunc_end822-_Z39paged_attention_ll4mi_QKV_mfma16_kernelIDF16_hLN4vllm18Fp8KVCacheDataTypeE1EDF16_Li16ELi64ELi256ELb1ELi15EEvPKT_PKT0_S7_ifPKiS9_S9_iPKfiiiPfSC_PS2_PT2_iSB_SB_
                                        ; -- End function
	.section	.AMDGPU.csdata,"",@progbits
; Kernel info:
; codeLenInByte = 4904
; NumSgprs: 56
; NumVgprs: 67
; NumAgprs: 0
; TotalNumVgprs: 67
; ScratchSize: 0
; MemoryBound: 0
; FloatMode: 240
; IeeeMode: 1
; LDSByteSize: 8192 bytes/workgroup (compile time only)
; SGPRBlocks: 6
; VGPRBlocks: 8
; NumSGPRsForWavesPerEU: 56
; NumVGPRsForWavesPerEU: 67
; AccumOffset: 68
; Occupancy: 7
; WaveLimiterHint : 1
; COMPUTE_PGM_RSRC2:SCRATCH_EN: 0
; COMPUTE_PGM_RSRC2:USER_SGPR: 2
; COMPUTE_PGM_RSRC2:TRAP_HANDLER: 0
; COMPUTE_PGM_RSRC2:TGID_X_EN: 1
; COMPUTE_PGM_RSRC2:TGID_Y_EN: 1
; COMPUTE_PGM_RSRC2:TGID_Z_EN: 1
; COMPUTE_PGM_RSRC2:TIDIG_COMP_CNT: 0
; COMPUTE_PGM_RSRC3_GFX90A:ACCUM_OFFSET: 16
; COMPUTE_PGM_RSRC3_GFX90A:TG_SPLIT: 0
	.section	.text._Z39paged_attention_ll4mi_QKV_mfma16_kernelIDF16_hLN4vllm18Fp8KVCacheDataTypeE1EDF16_Li16ELi64ELi256ELb1ELi16EEvPKT_PKT0_S7_ifPKiS9_S9_iPKfiiiPfSC_PS2_PT2_iSB_SB_,"axG",@progbits,_Z39paged_attention_ll4mi_QKV_mfma16_kernelIDF16_hLN4vllm18Fp8KVCacheDataTypeE1EDF16_Li16ELi64ELi256ELb1ELi16EEvPKT_PKT0_S7_ifPKiS9_S9_iPKfiiiPfSC_PS2_PT2_iSB_SB_,comdat
	.protected	_Z39paged_attention_ll4mi_QKV_mfma16_kernelIDF16_hLN4vllm18Fp8KVCacheDataTypeE1EDF16_Li16ELi64ELi256ELb1ELi16EEvPKT_PKT0_S7_ifPKiS9_S9_iPKfiiiPfSC_PS2_PT2_iSB_SB_ ; -- Begin function _Z39paged_attention_ll4mi_QKV_mfma16_kernelIDF16_hLN4vllm18Fp8KVCacheDataTypeE1EDF16_Li16ELi64ELi256ELb1ELi16EEvPKT_PKT0_S7_ifPKiS9_S9_iPKfiiiPfSC_PS2_PT2_iSB_SB_
	.globl	_Z39paged_attention_ll4mi_QKV_mfma16_kernelIDF16_hLN4vllm18Fp8KVCacheDataTypeE1EDF16_Li16ELi64ELi256ELb1ELi16EEvPKT_PKT0_S7_ifPKiS9_S9_iPKfiiiPfSC_PS2_PT2_iSB_SB_
	.p2align	8
	.type	_Z39paged_attention_ll4mi_QKV_mfma16_kernelIDF16_hLN4vllm18Fp8KVCacheDataTypeE1EDF16_Li16ELi64ELi256ELb1ELi16EEvPKT_PKT0_S7_ifPKiS9_S9_iPKfiiiPfSC_PS2_PT2_iSB_SB_,@function
_Z39paged_attention_ll4mi_QKV_mfma16_kernelIDF16_hLN4vllm18Fp8KVCacheDataTypeE1EDF16_Li16ELi64ELi256ELb1ELi16EEvPKT_PKT0_S7_ifPKiS9_S9_iPKfiiiPfSC_PS2_PT2_iSB_SB_: ; @_Z39paged_attention_ll4mi_QKV_mfma16_kernelIDF16_hLN4vllm18Fp8KVCacheDataTypeE1EDF16_Li16ELi64ELi256ELb1ELi16EEvPKT_PKT0_S7_ifPKiS9_S9_iPKfiiiPfSC_PS2_PT2_iSB_SB_
; %bb.0:
	s_load_dwordx2 s[14:15], s[0:1], 0x30
	s_mov_b32 s24, s3
	s_mov_b64 s[6:7], 0
	s_waitcnt lgkmcnt(0)
	s_cmp_lg_u64 s[14:15], 0
	s_cselect_b64 s[16:17], -1, 0
	s_and_b64 vcc, exec, s[16:17]
	s_cbranch_vccz .LBB823_7
; %bb.1:
	s_add_i32 s8, s2, 1
	s_mov_b32 s9, 0
	s_lshl_b64 s[10:11], s[8:9], 2
	s_add_u32 s10, s14, s10
	s_mov_b32 s3, s9
	s_addc_u32 s11, s15, s11
	s_lshl_b64 s[8:9], s[2:3], 2
	s_add_u32 s8, s14, s8
	s_addc_u32 s9, s15, s9
	s_load_dword s5, s[10:11], 0x0
	s_load_dword s12, s[8:9], 0x0
	s_waitcnt lgkmcnt(0)
	s_sub_i32 s5, s5, s12
	s_cmp_eq_u32 s5, 1
	s_cselect_b64 s[8:9], -1, 0
	s_andn2_b64 vcc, exec, s[6:7]
	s_cbranch_vccnz .LBB823_3
.LBB823_2:
	s_mov_b32 s3, 0
	s_mov_b64 s[8:9], -1
.LBB823_3:
	s_andn2_b64 vcc, exec, s[8:9]
	s_cbranch_vccnz .LBB823_17
; %bb.4:
	s_load_dwordx2 s[6:7], s[0:1], 0x28
	s_lshl_b64 s[18:19], s[2:3], 2
	s_waitcnt lgkmcnt(0)
	s_add_u32 s6, s6, s18
	s_addc_u32 s7, s7, s19
	s_load_dword s48, s[6:7], 0x0
	s_lshl_b32 s5, s24, 8
	s_waitcnt lgkmcnt(0)
	s_cmp_ge_i32 s5, s48
	s_cbranch_scc1 .LBB823_17
; %bb.5:
	s_load_dwordx2 s[6:7], s[0:1], 0x20
	s_load_dword s8, s[0:1], 0x38
	s_add_i32 s9, s48, 15
	s_ashr_i32 s10, s9, 31
	v_and_b32_e32 v1, 0xcf, v0
	s_lshr_b32 s10, s10, 28
	v_add_u32_e32 v1, s5, v1
	s_add_i32 s9, s9, s10
	v_ashrrev_i32_e32 v2, 31, v1
	s_ashr_i32 s20, s9, 4
	v_lshrrev_b32_e32 v4, 28, v2
	s_add_i32 s20, s20, -1
	s_waitcnt lgkmcnt(0)
	s_mul_i32 s8, s2, s8
	s_mov_b32 s9, 0
	v_add_u32_e32 v2, v1, v4
	s_lshl_b64 s[8:9], s[8:9], 2
	v_ashrrev_i32_e32 v2, 4, v2
	v_mov_b32_e32 v5, s20
	v_cmp_gt_i32_e32 vcc, s48, v1
	s_add_u32 s6, s6, s8
	s_addc_u32 s7, s7, s9
	v_cndmask_b32_e32 v2, v5, v2, vcc
	v_ashrrev_i32_e32 v3, 31, v2
	v_lshl_add_u64 v[6:7], v[2:3], 2, s[6:7]
	v_or_b32_e32 v2, 16, v1
	v_add_u32_e32 v3, v2, v4
	v_ashrrev_i32_e32 v3, 4, v3
	v_cmp_gt_i32_e32 vcc, s48, v2
	s_nop 1
	v_cndmask_b32_e32 v2, v5, v3, vcc
	v_ashrrev_i32_e32 v3, 31, v2
	v_lshl_add_u64 v[8:9], v[2:3], 2, s[6:7]
	v_or_b32_e32 v2, 32, v1
	v_add_u32_e32 v3, v2, v4
	v_ashrrev_i32_e32 v3, 4, v3
	v_cmp_gt_i32_e32 vcc, s48, v2
	v_or_b32_e32 v1, 48, v1
	s_nop 0
	v_cndmask_b32_e32 v2, v5, v3, vcc
	v_ashrrev_i32_e32 v3, 31, v2
	v_lshl_add_u64 v[10:11], v[2:3], 2, s[6:7]
	v_add_u32_e32 v2, v1, v4
	v_ashrrev_i32_e32 v2, 4, v2
	v_cmp_gt_i32_e32 vcc, s48, v1
	s_nop 1
	v_cndmask_b32_e32 v2, v5, v2, vcc
	v_ashrrev_i32_e32 v3, 31, v2
	v_lshl_add_u64 v[12:13], v[2:3], 2, s[6:7]
	global_load_dword v4, v[6:7], off
	global_load_dword v3, v[8:9], off
	;; [unrolled: 1-line block ×4, first 2 shown]
	s_load_dwordx2 s[12:13], s[0:1], 0x40
	s_load_dwordx4 s[8:11], s[0:1], 0x8
	s_andn2_b64 vcc, exec, s[16:17]
	s_cbranch_vccnz .LBB823_8
; %bb.6:
	s_add_u32 s14, s14, s18
	s_addc_u32 s15, s15, s19
	s_load_dword s16, s[14:15], 0x0
	s_branch .LBB823_9
.LBB823_7:
	s_mov_b64 s[8:9], 0
	s_branch .LBB823_2
.LBB823_8:
	s_mov_b32 s16, s2
.LBB823_9:
	s_load_dwordx4 s[44:47], s[0:1], 0x48
	v_and_b32_e32 v45, 15, v0
	s_movk_i32 s14, 0x100
	v_lshlrev_b32_e32 v5, 3, v45
	v_cmp_gt_u32_e32 vcc, s14, v0
	v_cmp_gt_u32_e64 s[26:27], 8, v45
	v_lshrrev_b32_e32 v43, 6, v0
	v_and_b32_e32 v44, 63, v0
	v_bfe_u32 v1, v0, 4, 2
	s_lshl_b32 s25, s4, 4
	s_and_b64 s[18:19], vcc, s[26:27]
	v_lshlrev_b32_e32 v26, 1, v5
	v_lshlrev_b32_e32 v42, 4, v0
	s_and_saveexec_b64 s[14:15], s[18:19]
	s_cbranch_execz .LBB823_11
; %bb.10:
	s_load_dwordx2 s[18:19], s[0:1], 0x0
	s_waitcnt lgkmcnt(0)
	s_ashr_i32 s17, s44, 31
	s_mul_hi_u32 s21, s16, s44
	s_mul_i32 s17, s16, s17
	s_add_i32 s17, s21, s17
	s_mul_i32 s16, s16, s44
	v_lshl_or_b32 v5, v43, 2, v1
	s_lshl_b64 s[16:17], s[16:17], 1
	s_add_u32 s16, s18, s16
	v_add_lshl_u32 v6, v5, s25, 6
	s_addc_u32 s17, s19, s17
	v_ashrrev_i32_e32 v7, 31, v6
	v_lshl_add_u64 v[6:7], v[6:7], 1, s[16:17]
	v_mov_b32_e32 v27, 0
	v_lshl_add_u64 v[6:7], v[6:7], 0, v[26:27]
	global_load_dwordx4 v[6:9], v[6:7], off
	v_lshlrev_b32_e32 v11, 8, v45
	v_lshlrev_b32_e32 v5, 5, v5
	v_and_b32_e32 v10, 16, v42
	v_and_b32_e32 v11, 0xe00, v11
	v_or3_b32 v5, v11, v5, v10
	s_waitcnt vmcnt(0)
	ds_write_b128 v5, v[6:9]
.LBB823_11:
	s_or_b64 exec, exec, s[14:15]
	s_waitcnt lgkmcnt(0)
	s_mul_i32 s4, s4, s46
	s_add_u32 s8, s8, s4
	s_addc_u32 s9, s9, 0
	v_and_b32_e32 v8, 48, v0
	v_and_b32_e32 v30, 0xf0, v42
	v_mov_b32_e32 v31, 0
	v_lshl_add_u64 v[6:7], s[8:9], 0, v[30:31]
	v_lshlrev_b32_e32 v30, 4, v8
	v_or_b32_e32 v17, s5, v8
	v_lshl_add_u64 v[14:15], v[6:7], 0, v[30:31]
	v_ashrrev_i32_e32 v6, 4, v17
	v_mov_b32_e32 v30, s20
	v_cmp_gt_i32_e32 vcc, s48, v17
	s_load_dword s33, s[0:1], 0x98
	s_load_dwordx4 s[40:43], s[0:1], 0x80
	v_cndmask_b32_e32 v6, v30, v6, vcc
	v_ashrrev_i32_e32 v7, 31, v6
	v_lshl_add_u64 v[6:7], v[6:7], 2, s[6:7]
	s_waitcnt lgkmcnt(0)
	s_barrier
	s_waitcnt vmcnt(3)
	v_mad_i64_i32 v[4:5], s[8:9], v4, s45, v[14:15]
	global_load_dword v38, v[6:7], off
	global_load_dwordx4 v[22:25], v[4:5], off
	s_waitcnt vmcnt(4)
	v_mad_i64_i32 v[4:5], s[8:9], v3, s45, v[14:15]
	global_load_dwordx4 v[18:21], v[4:5], off
	s_waitcnt vmcnt(4)
	v_mad_i64_i32 v[2:3], s[8:9], v2, s45, v[14:15]
	global_load_dwordx4 v[10:13], v[2:3], off
	v_or_b32_e32 v28, s25, v45
	v_ashrrev_i32_e32 v29, 31, v28
	v_lshlrev_b32_e32 v46, 5, v45
	v_lshl_add_u64 v[32:33], v[28:29], 2, s[12:13]
	v_or_b32_e32 v29, 64, v17
	v_lshl_or_b32 v27, v1, 9, v46
	v_or_b32_e32 v34, 0x80, v17
	v_or_b32_e32 v36, 0xc0, v17
	v_ashrrev_i32_e32 v17, 4, v29
	v_cmp_gt_i32_e32 vcc, s48, v29
	s_waitcnt vmcnt(4)
	v_mad_i64_i32 v[14:15], s[12:13], v16, s45, v[14:15]
	ds_read_b128 v[6:9], v27
	ds_read_b128 v[2:5], v27 offset:16
	global_load_dword v49, v[32:33], off
	v_cndmask_b32_e32 v32, v30, v17, vcc
	global_load_dwordx4 v[14:17], v[14:15], off
	v_ashrrev_i32_e32 v33, 4, v34
	v_cmp_gt_i32_e32 vcc, s48, v34
	v_ashrrev_i32_e32 v37, 4, v36
	v_lshlrev_b32_e32 v35, 4, v45
	v_cndmask_b32_e32 v34, v30, v33, vcc
	v_cmp_gt_i32_e32 vcc, s48, v36
	v_ashrrev_i32_e32 v33, 31, v32
	v_lshl_add_u64 v[32:33], v[32:33], 2, s[6:7]
	v_cndmask_b32_e32 v36, v30, v37, vcc
	v_lshl_or_b32 v30, v43, 8, v35
	v_ashrrev_i32_e32 v35, 31, v34
	v_ashrrev_i32_e32 v37, 31, v36
	v_lshl_add_u64 v[34:35], v[34:35], 2, s[6:7]
	v_lshl_add_u64 v[36:37], v[36:37], 2, s[6:7]
	s_add_u32 s8, s10, s4
	s_load_dword s4, s[40:41], 0x0
	global_load_dword v48, v[32:33], off
	global_load_dword v29, v[34:35], off
	;; [unrolled: 1-line block ×3, first 2 shown]
	s_addc_u32 s9, s11, 0
	v_lshl_add_u64 v[30:31], s[8:9], 0, v[30:31]
	s_load_dword s14, s[0:1], 0x1c
	s_mov_b32 s44, 0xff7fffff
	s_waitcnt vmcnt(8)
	v_mad_i64_i32 v[32:33], s[6:7], v38, s45, v[30:31]
	s_waitcnt vmcnt(7)
	v_cvt_pk_f32_fp8_e32 v[34:35], v22
	v_cvt_pk_f32_fp8_sdwa v[36:37], v22 src0_sel:WORD_1
	v_cvt_pk_f32_fp8_e32 v[38:39], v23
	v_cvt_pk_f32_fp8_sdwa v[40:41], v23 src0_sel:WORD_1
	v_cvt_pkrtz_f16_f32 v34, v34, v35
	v_cvt_pkrtz_f16_f32 v35, v36, v37
	s_waitcnt vmcnt(6)
	v_cvt_pk_f32_fp8_e32 v[22:23], v18
	v_cvt_pk_f32_fp8_sdwa v[56:57], v18 src0_sel:WORD_1
	v_cvt_pkrtz_f16_f32 v38, v38, v39
	v_cvt_pkrtz_f16_f32 v39, v40, v41
	v_cvt_pk_f32_fp8_e32 v[50:51], v24
	v_cvt_pk_f32_fp8_sdwa v[52:53], v24 src0_sel:WORD_1
	v_cvt_pk_f32_fp8_e32 v[54:55], v25
	v_cvt_pk_f32_fp8_sdwa v[58:59], v25 src0_sel:WORD_1
	v_cvt_pkrtz_f16_f32 v36, v22, v23
	s_waitcnt lgkmcnt(0)
	v_mfma_f32_16x16x16_f16 v[22:25], v[34:35], v[6:7], 0
	v_cvt_pk_f32_fp8_e32 v[60:61], v19
	v_cvt_pkrtz_f16_f32 v37, v56, v57
	v_cvt_pk_f32_fp8_sdwa v[18:19], v19 src0_sel:WORD_1
	v_mfma_f32_16x16x16_f16 v[22:25], v[38:39], v[8:9], v[22:25]
	v_cvt_pkrtz_f16_f32 v38, v50, v51
	v_cvt_pkrtz_f16_f32 v39, v52, v53
	v_cvt_pk_f32_fp8_e32 v[40:41], v20
	v_cvt_pkrtz_f16_f32 v56, v60, v61
	v_cvt_pkrtz_f16_f32 v57, v18, v19
	v_cvt_pk_f32_fp8_sdwa v[18:19], v20 src0_sel:WORD_1
	v_mfma_f32_16x16x16_f16 v[34:37], v[36:37], v[6:7], 0
	v_cvt_pk_f32_fp8_e32 v[50:51], v21
	v_cvt_pkrtz_f16_f32 v52, v54, v55
	v_cvt_pkrtz_f16_f32 v53, v58, v59
	v_mfma_f32_16x16x16_f16 v[22:25], v[38:39], v[2:3], v[22:25]
	v_cvt_pk_f32_fp8_sdwa v[38:39], v21 src0_sel:WORD_1
	v_cvt_pkrtz_f16_f32 v40, v40, v41
	v_cvt_pkrtz_f16_f32 v41, v18, v19
	v_mfma_f32_16x16x16_f16 v[34:37], v[56:57], v[8:9], v[34:37]
	v_cvt_pkrtz_f16_f32 v50, v50, v51
	v_cvt_pkrtz_f16_f32 v51, v38, v39
	s_waitcnt vmcnt(5)
	v_cvt_pk_f32_fp8_e32 v[38:39], v10
	v_mfma_f32_16x16x16_f16 v[18:21], v[52:53], v[4:5], v[22:25]
	v_cvt_pk_f32_fp8_sdwa v[54:55], v13 src0_sel:WORD_1
	v_mov_b32_e32 v52, s14
	v_mul_f32_e32 v52, s4, v52
	v_mfma_f32_16x16x16_f16 v[22:25], v[40:41], v[2:3], v[34:37]
	v_cvt_pk_f32_fp8_sdwa v[40:41], v10 src0_sel:WORD_1
	v_mfma_f32_16x16x16_f16 v[34:37], v[50:51], v[4:5], v[22:25]
	v_cvt_pk_f32_fp8_sdwa v[50:51], v12 src0_sel:WORD_1
	s_nop 3
	v_cvt_pk_f32_fp8_e32 v[22:23], v11
	v_cvt_pkrtz_f16_f32 v24, v38, v39
	v_cvt_pkrtz_f16_f32 v25, v40, v41
	v_cvt_pk_f32_fp8_sdwa v[10:11], v11 src0_sel:WORD_1
	v_cvt_pkrtz_f16_f32 v38, v22, v23
	v_cvt_pk_f32_fp8_e32 v[40:41], v12
	v_mfma_f32_16x16x16_f16 v[22:25], v[24:25], v[6:7], 0
	v_cvt_pkrtz_f16_f32 v39, v10, v11
	v_cvt_pkrtz_f16_f32 v40, v40, v41
	;; [unrolled: 1-line block ×3, first 2 shown]
	v_cvt_pk_f32_fp8_e32 v[50:51], v13
	v_mfma_f32_16x16x16_f16 v[10:13], v[38:39], v[8:9], v[22:25]
	v_pk_mul_f32 v[38:39], v[52:53], v[18:19] op_sel_hi:[0,1]
	s_waitcnt vmcnt(3)
	v_cvt_pk_f32_fp8_e32 v[18:19], v14
	v_pk_mul_f32 v[24:25], v[52:53], v[20:21] op_sel_hi:[0,1]
	v_cvt_pkrtz_f16_f32 v20, v50, v51
	v_cvt_pkrtz_f16_f32 v21, v54, v55
	v_mfma_f32_16x16x16_f16 v[10:13], v[40:41], v[2:3], v[10:13]
	v_cvt_pk_f32_fp8_sdwa v[22:23], v14 src0_sel:WORD_1
	v_cvt_pkrtz_f16_f32 v18, v18, v19
	v_cvt_pk_f32_fp8_e32 v[40:41], v16
	v_mfma_f32_16x16x16_f16 v[10:13], v[20:21], v[4:5], v[10:13]
	v_cvt_pk_f32_fp8_e32 v[20:21], v15
	v_cvt_pkrtz_f16_f32 v19, v22, v23
	v_cvt_pk_f32_fp8_sdwa v[14:15], v15 src0_sel:WORD_1
	v_cvt_pk_f32_fp8_sdwa v[50:51], v16 src0_sel:WORD_1
	v_cvt_pkrtz_f16_f32 v22, v20, v21
	v_mfma_f32_16x16x16_f16 v[18:21], v[18:19], v[6:7], 0
	v_cvt_pkrtz_f16_f32 v23, v14, v15
	v_cvt_pkrtz_f16_f32 v14, v40, v41
	;; [unrolled: 1-line block ×3, first 2 shown]
	v_cvt_pk_f32_fp8_e32 v[40:41], v17
	v_cvt_pk_f32_fp8_sdwa v[16:17], v17 src0_sel:WORD_1
	v_mfma_f32_16x16x16_f16 v[6:9], v[22:23], v[8:9], v[18:21]
	v_pk_mul_f32 v[36:37], v[52:53], v[36:37] op_sel_hi:[0,1]
	v_pk_mul_f32 v[22:23], v[52:53], v[12:13] op_sel_hi:[0,1]
	s_nop 0
	v_cvt_pkrtz_f16_f32 v18, v40, v41
	v_cvt_pkrtz_f16_f32 v19, v16, v17
	v_mfma_f32_16x16x16_f16 v[6:9], v[14:15], v[2:3], v[6:9]
	v_pk_mul_f32 v[40:41], v[52:53], v[34:35] op_sel_hi:[0,1]
	v_pk_mul_f32 v[34:35], v[52:53], v[10:11] op_sel_hi:[0,1]
	v_mfma_f32_16x16x16_f16 v[2:5], v[18:19], v[4:5], v[6:9]
	s_nop 6
	v_pk_mul_f32 v[20:21], v[52:53], v[2:3] op_sel_hi:[0,1]
	v_and_b32_e32 v2, 0xc0, v0
	v_add_u32_e32 v2, s5, v2
	v_lshl_or_b32 v2, v1, 2, v2
	v_or_b32_e32 v3, 1, v2
	v_pk_mul_f32 v[18:19], v[52:53], v[4:5] op_sel_hi:[0,1]
	v_subrev_u32_e32 v4, s48, v3
	v_add_u32_e32 v6, 1, v4
	v_add_u32_e32 v7, 2, v4
	v_cvt_f32_i32_e32 v5, v4
	v_cvt_f32_i32_e32 v6, v6
	v_cvt_f32_i32_e32 v7, v7
	v_add_u32_e32 v8, 3, v4
	v_fma_f32 v9, v49, v5, v38
	v_fmac_f32_e32 v39, v49, v6
	v_fma_f32 v24, v49, v7, v24
	v_add_u32_e32 v5, 16, v4
	v_add_u32_e32 v6, 17, v4
	;; [unrolled: 1-line block ×3, first 2 shown]
	v_cvt_f32_i32_e32 v8, v8
	v_cvt_f32_i32_e32 v5, v5
	;; [unrolled: 1-line block ×4, first 2 shown]
	v_fmac_f32_e32 v25, v49, v8
	v_add_u32_e32 v8, 19, v4
	v_fma_f32 v40, v49, v5, v40
	v_fmac_f32_e32 v41, v49, v6
	v_fma_f32 v36, v49, v7, v36
	v_add_u32_e32 v5, 32, v4
	v_add_u32_e32 v6, 33, v4
	;; [unrolled: 1-line block ×3, first 2 shown]
	v_cvt_f32_i32_e32 v8, v8
	v_cvt_f32_i32_e32 v5, v5
	v_cvt_f32_i32_e32 v6, v6
	v_cvt_f32_i32_e32 v7, v7
	v_fmac_f32_e32 v37, v49, v8
	v_add_u32_e32 v8, 35, v4
	v_fma_f32 v34, v49, v5, v34
	v_fmac_f32_e32 v35, v49, v6
	v_fma_f32 v22, v49, v7, v22
	v_add_u32_e32 v5, 48, v4
	v_add_u32_e32 v6, 49, v4
	;; [unrolled: 1-line block ×4, first 2 shown]
	v_cvt_f32_i32_e32 v4, v4
	v_cvt_f32_i32_e32 v5, v5
	;; [unrolled: 1-line block ×3, first 2 shown]
	v_cmp_gt_i32_e64 s[4:5], s48, v2
	v_fmac_f32_e32 v19, v49, v4
	v_mov_b32_e32 v4, 0xff7fffff
	v_cmp_gt_i32_e64 s[28:29], s48, v3
	v_fma_f32 v20, v49, v5, v20
	v_cndmask_b32_e64 v5, v4, v9, s[4:5]
	v_cndmask_b32_e64 v3, v4, v39, s[28:29]
	v_fmac_f32_e32 v21, v49, v6
	v_max3_f32 v3, v5, s44, v3
	v_or_b32_e32 v5, 2, v2
	v_or_b32_e32 v6, 3, v2
	v_cmp_gt_i32_e64 s[30:31], s48, v5
	v_cmp_gt_i32_e64 s[34:35], s48, v6
	v_cvt_f32_i32_e32 v8, v8
	v_cndmask_b32_e64 v5, v4, v24, s[30:31]
	v_cndmask_b32_e64 v6, v4, v25, s[34:35]
	v_max3_f32 v3, v3, v5, v6
	v_or_b32_e32 v5, 16, v2
	v_or_b32_e32 v6, 17, v2
	v_cmp_gt_i32_e64 s[36:37], s48, v5
	v_cmp_gt_i32_e64 s[38:39], s48, v6
	v_fmac_f32_e32 v23, v49, v8
	v_cndmask_b32_e64 v5, v4, v40, s[36:37]
	v_cndmask_b32_e64 v6, v4, v41, s[38:39]
	v_max3_f32 v3, v3, v5, v6
	v_or_b32_e32 v5, 18, v2
	v_or_b32_e32 v6, 19, v2
	v_cmp_gt_i32_e64 s[20:21], s48, v5
	v_cmp_gt_i32_e64 s[22:23], s48, v6
	v_cvt_f32_i32_e32 v7, v7
	v_cndmask_b32_e64 v5, v4, v36, s[20:21]
	v_cndmask_b32_e64 v6, v4, v37, s[22:23]
	v_max3_f32 v3, v3, v5, v6
	v_or_b32_e32 v5, 32, v2
	v_or_b32_e32 v6, 33, v2
	v_cmp_gt_i32_e64 s[16:17], s48, v5
	v_cmp_gt_i32_e64 s[18:19], s48, v6
	v_fma_f32 v18, v49, v7, v18
	v_cndmask_b32_e64 v5, v4, v34, s[16:17]
	v_cndmask_b32_e64 v6, v4, v35, s[18:19]
	v_max3_f32 v3, v3, v5, v6
	v_or_b32_e32 v5, 34, v2
	v_or_b32_e32 v6, 35, v2
	v_cmp_gt_i32_e64 s[12:13], s48, v5
	v_cmp_gt_i32_e64 s[14:15], s48, v6
	s_nop 0
	v_cndmask_b32_e64 v5, v4, v22, s[12:13]
	v_cndmask_b32_e64 v6, v4, v23, s[14:15]
	v_max3_f32 v3, v3, v5, v6
	v_or_b32_e32 v5, 48, v2
	v_or_b32_e32 v6, 49, v2
	v_cmp_gt_i32_e64 s[8:9], s48, v5
	v_cmp_gt_i32_e64 s[10:11], s48, v6
	s_nop 0
	v_cndmask_b32_e64 v5, v4, v20, s[8:9]
	v_cndmask_b32_e64 v6, v4, v21, s[10:11]
	v_max3_f32 v3, v3, v5, v6
	v_or_b32_e32 v5, 50, v2
	v_or_b32_e32 v2, 51, v2
	v_cmp_gt_i32_e32 vcc, s48, v5
	v_cmp_gt_i32_e64 s[6:7], s48, v2
	s_nop 0
	v_cndmask_b32_e32 v5, v4, v18, vcc
	v_cndmask_b32_e64 v2, v4, v19, s[6:7]
	v_max3_f32 v4, v3, v5, v2
	v_mbcnt_lo_u32_b32 v2, -1, 0
	v_mbcnt_hi_u32_b32 v5, -1, v2
	v_and_b32_e32 v2, 64, v5
	v_add_u32_e32 v6, 64, v2
	v_xor_b32_e32 v2, 32, v5
	v_cmp_lt_i32_e64 s[40:41], v2, v6
	s_nop 1
	v_cndmask_b32_e64 v2, v5, v2, s[40:41]
	v_lshlrev_b32_e32 v49, 2, v2
	ds_bpermute_b32 v7, v49, v4
	s_waitcnt vmcnt(2)
	v_mad_i64_i32 v[2:3], s[40:41], v48, s45, v[30:31]
	global_load_dwordx4 v[14:17], v[32:33], off
	global_load_dwordx4 v[10:13], v[2:3], off
	s_waitcnt lgkmcnt(0)
	v_max_f32_e32 v2, v7, v7
	v_max_f32_e32 v7, v4, v2
	v_xor_b32_e32 v2, 16, v5
	v_cmp_lt_i32_e64 s[40:41], v2, v6
	s_nop 1
	v_cndmask_b32_e64 v2, v5, v2, s[40:41]
	v_lshlrev_b32_e32 v48, 2, v2
	ds_bpermute_b32 v6, v48, v7
	s_waitcnt vmcnt(3)
	v_mad_i64_i32 v[2:3], s[40:41], v29, s45, v[30:31]
	s_waitcnt vmcnt(2)
	v_mad_i64_i32 v[4:5], s[40:41], v47, s45, v[30:31]
	s_waitcnt lgkmcnt(0)
	v_max_f32_e32 v6, v6, v6
	v_max_f32_e32 v29, v7, v6
	v_sub_f32_e32 v6, v9, v29
	v_mul_f32_e32 v6, 0x3fb8aa3b, v6
	v_exp_f32_e32 v30, v6
	v_sub_f32_e32 v6, v39, v29
	v_mul_f32_e32 v6, 0x3fb8aa3b, v6
	v_exp_f32_e32 v31, v6
	global_load_dwordx4 v[6:9], v[2:3], off
	s_nop 0
	global_load_dwordx4 v[2:5], v[4:5], off
	v_sub_f32_e32 v24, v24, v29
	v_mul_f32_e32 v24, 0x3fb8aa3b, v24
	v_sub_f32_e32 v25, v25, v29
	v_exp_f32_e32 v24, v24
	v_mul_f32_e32 v25, 0x3fb8aa3b, v25
	v_exp_f32_e32 v25, v25
	v_cndmask_b32_e64 v30, 0, v30, s[4:5]
	v_add_f32_e32 v32, 0, v30
	v_cndmask_b32_e64 v31, 0, v31, s[28:29]
	v_add_f32_e32 v32, v32, v31
	;; [unrolled: 2-line block ×3, first 2 shown]
	v_cndmask_b32_e64 v39, 0, v25, s[34:35]
	v_sub_f32_e32 v25, v40, v29
	v_sub_f32_e32 v32, v41, v29
	v_mul_f32_e32 v25, 0x3fb8aa3b, v25
	v_mul_f32_e32 v32, 0x3fb8aa3b, v32
	v_exp_f32_e32 v25, v25
	v_exp_f32_e32 v32, v32
	v_add_f32_e32 v33, v24, v39
	v_sub_f32_e32 v22, v22, v29
	v_cndmask_b32_e64 v24, 0, v25, s[36:37]
	v_cndmask_b32_e64 v25, 0, v32, s[38:39]
	v_sub_f32_e32 v32, v36, v29
	v_mul_f32_e32 v32, 0x3fb8aa3b, v32
	v_exp_f32_e32 v32, v32
	v_sub_f32_e32 v36, v37, v29
	v_add_f32_e32 v33, v33, v24
	v_mul_f32_e32 v36, 0x3fb8aa3b, v36
	v_exp_f32_e32 v37, v36
	v_add_f32_e32 v33, v33, v25
	v_cndmask_b32_e64 v36, 0, v32, s[20:21]
	v_add_f32_e32 v32, v33, v36
	v_sub_f32_e32 v33, v34, v29
	v_mul_f32_e32 v33, 0x3fb8aa3b, v33
	v_sub_f32_e32 v34, v35, v29
	v_exp_f32_e32 v33, v33
	v_mul_f32_e32 v34, 0x3fb8aa3b, v34
	v_exp_f32_e32 v34, v34
	v_mul_f32_e32 v22, 0x3fb8aa3b, v22
	v_sub_f32_e32 v23, v23, v29
	v_exp_f32_e32 v22, v22
	v_mul_f32_e32 v23, 0x3fb8aa3b, v23
	v_sub_f32_e32 v20, v20, v29
	v_cndmask_b32_e64 v37, 0, v37, s[22:23]
	v_exp_f32_e32 v23, v23
	v_mul_f32_e32 v20, 0x3fb8aa3b, v20
	v_sub_f32_e32 v21, v21, v29
	v_add_f32_e32 v35, v32, v37
	v_cndmask_b32_e64 v32, 0, v33, s[16:17]
	v_exp_f32_e32 v20, v20
	v_mul_f32_e32 v21, 0x3fb8aa3b, v21
	v_sub_f32_e32 v18, v18, v29
	v_add_f32_e32 v35, v35, v32
	;; [unrolled: 5-line block ×3, first 2 shown]
	v_cndmask_b32_e64 v22, 0, v22, s[12:13]
	v_exp_f32_e32 v18, v18
	v_mul_f32_e32 v19, 0x3fb8aa3b, v19
	v_add_f32_e32 v34, v34, v22
	v_cndmask_b32_e64 v23, 0, v23, s[14:15]
	v_exp_f32_e32 v19, v19
	v_add_f32_e32 v34, v34, v23
	v_cndmask_b32_e64 v20, 0, v20, s[8:9]
	v_add_f32_e32 v34, v34, v20
	v_cndmask_b32_e64 v21, 0, v21, s[10:11]
	v_add_f32_e32 v34, v34, v21
	v_cndmask_b32_e32 v18, 0, v18, vcc
	v_add_f32_e32 v34, v34, v18
	v_cndmask_b32_e64 v19, 0, v19, s[6:7]
	v_add_f32_e32 v34, v34, v19
	ds_bpermute_b32 v35, v49, v34
	v_cmp_gt_u32_e32 vcc, 16, v44
	s_waitcnt lgkmcnt(0)
	s_barrier
	v_add_f32_e32 v34, v34, v35
	ds_bpermute_b32 v40, v48, v34
	v_lshlrev_b32_e32 v35, 2, v45
	s_and_saveexec_b64 s[4:5], vcc
	s_cbranch_execz .LBB823_13
; %bb.12:
	s_waitcnt lgkmcnt(0)
	v_add_f32_e32 v34, v34, v40
	v_lshl_or_b32 v40, v43, 6, v35
	ds_write2st64_b32 v40, v29, v34 offset1:1
.LBB823_13:
	s_or_b64 exec, exec, s[4:5]
	s_load_dword s6, s[0:1], 0x94
	s_waitcnt lgkmcnt(0)
	s_barrier
	ds_read2_b32 v[40:41], v35 offset1:16
	ds_read2_b32 v[44:45], v35 offset0:32 offset1:48
	ds_read2_b32 v[48:49], v35 offset0:64 offset1:80
	s_lshl_b32 s7, s33, 4
	s_waitcnt lgkmcnt(2)
	v_max3_f32 v29, v40, s44, v41
	s_waitcnt lgkmcnt(1)
	v_max3_f32 v34, v29, v44, v45
	v_sub_f32_e32 v29, v40, v34
	v_sub_f32_e32 v40, v41, v34
	v_mul_f32_e32 v40, 0x3fb8aa3b, v40
	v_mul_f32_e32 v29, 0x3fb8aa3b, v29
	v_exp_f32_e32 v47, v40
	v_sub_f32_e32 v40, v44, v34
	v_exp_f32_e32 v29, v29
	v_mul_f32_e32 v40, 0x3fb8aa3b, v40
	v_exp_f32_e32 v44, v40
	ds_read2_b32 v[40:41], v35 offset0:96 offset1:112
	v_sub_f32_e32 v35, v45, v34
	v_mul_f32_e32 v35, 0x3fb8aa3b, v35
	v_exp_f32_e32 v45, v35
	s_waitcnt lgkmcnt(1)
	v_fma_f32 v35, v29, v48, 0
	v_fmac_f32_e32 v35, v47, v49
	s_waitcnt lgkmcnt(0)
	v_fmac_f32_e32 v35, v44, v40
	v_fmac_f32_e32 v35, v45, v41
	v_add_f32_e32 v40, 0x358637bd, v35
	v_div_scale_f32 v41, s[4:5], v40, v40, 1.0
	v_rcp_f32_e32 v48, v41
	s_barrier
	v_fma_f32 v49, -v41, v48, 1.0
	v_fmac_f32_e32 v48, v49, v48
	v_div_scale_f32 v49, vcc, 1.0, v40, 1.0
	v_mul_f32_e32 v50, v49, v48
	v_fma_f32 v51, -v41, v50, v49
	v_fmac_f32_e32 v50, v51, v48
	v_fma_f32 v41, -v41, v50, v49
	v_div_fmas_f32 v41, v41, v48, v50
	v_cmp_eq_u32_e32 vcc, 1, v43
	v_div_fixup_f32 v40, v41, v40, 1.0
	s_nop 0
	v_cndmask_b32_e32 v29, v29, v47, vcc
	v_cmp_eq_u32_e32 vcc, 2, v43
	s_nop 1
	v_cndmask_b32_e32 v29, v29, v44, vcc
	v_cmp_eq_u32_e32 vcc, 3, v43
	s_nop 1
	v_cndmask_b32_e32 v29, v29, v45, vcc
	v_mul_f32_e32 v40, v29, v40
	v_pk_mul_f32 v[38:39], v[40:41], v[38:39] op_sel_hi:[0,1]
	v_pk_mul_f32 v[30:31], v[40:41], v[30:31] op_sel_hi:[0,1]
	v_cvt_f16_f32_e32 v29, v30
	v_cvt_f16_f32_e32 v30, v31
	v_cvt_f16_f32_e32 v31, v38
	v_cvt_f16_f32_e32 v38, v39
	v_pk_mul_f32 v[36:37], v[40:41], v[36:37] op_sel_hi:[0,1]
	v_pk_mul_f32 v[24:25], v[40:41], v[24:25] op_sel_hi:[0,1]
	v_cvt_f16_f32_e32 v25, v25
	v_pack_b32_f16 v31, v31, v38
	v_cvt_f16_f32_e32 v38, v24
	v_cvt_f16_f32_e32 v39, v36
	;; [unrolled: 1-line block ×3, first 2 shown]
	v_pack_b32_f16 v30, v29, v30
	v_lshlrev_b32_e32 v29, 3, v1
	v_lshlrev_b32_e32 v24, 11, v43
	v_or3_b32 v24, v24, v46, v29
	v_pack_b32_f16 v36, v38, v25
	v_pack_b32_f16 v37, v39, v37
	ds_write2st64_b64 v24, v[30:31], v[36:37] offset1:1
	v_pk_mul_f32 v[22:23], v[40:41], v[22:23] op_sel_hi:[0,1]
	v_pk_mul_f32 v[30:31], v[40:41], v[32:33] op_sel_hi:[0,1]
	;; [unrolled: 1-line block ×4, first 2 shown]
	v_cvt_f16_f32_e32 v25, v30
	v_cvt_f16_f32_e32 v29, v31
	;; [unrolled: 1-line block ×8, first 2 shown]
	v_pack_b32_f16 v18, v25, v29
	v_pack_b32_f16 v19, v22, v23
	v_pack_b32_f16 v20, v20, v21
	v_pack_b32_f16 v21, v30, v31
	v_cmp_gt_u32_e32 vcc, 16, v0
	ds_write2st64_b64 v24, v[18:19], v[20:21] offset0:2 offset1:3
	s_and_saveexec_b64 s[4:5], vcc
	s_cbranch_execz .LBB823_15
; %bb.14:
	v_mov_b32_e32 v29, 0
	v_mov_b32_e32 v18, s7
	s_mul_i32 s3, s3, s7
	v_mad_u64_u32 v[18:19], s[12:13], s2, v18, v[28:29]
	v_mov_b32_e32 v28, s24
	s_load_dwordx4 s[8:11], s[0:1], 0x58
	v_add_u32_e32 v21, s3, v19
	v_mad_u64_u32 v[18:19], s[12:13], v18, s6, v[28:29]
	v_mov_b32_e32 v20, v19
	v_mad_u64_u32 v[20:21], s[12:13], v21, s6, v[20:21]
	v_mov_b32_e32 v19, v20
	v_lshlrev_b64 v[18:19], 2, v[18:19]
	s_waitcnt lgkmcnt(0)
	v_lshl_add_u64 v[20:21], s[10:11], 0, v[18:19]
	v_lshl_add_u64 v[18:19], s[8:9], 0, v[18:19]
	global_store_dword v[20:21], v34, off
	global_store_dword v[18:19], v35, off
.LBB823_15:
	s_or_b64 exec, exec, s[4:5]
	s_waitcnt vmcnt(3)
	v_cvt_pk_f32_fp8_e32 v[18:19], v14
	v_cvt_pk_f32_fp8_sdwa v[20:21], v14 src0_sel:WORD_1
	s_waitcnt lgkmcnt(0)
	s_barrier
	v_cvt_pk_f32_fp8_e32 v[22:23], v15
	v_cvt_pkrtz_f16_f32 v14, v18, v19
	v_cvt_pk_f32_fp8_sdwa v[28:29], v15 src0_sel:WORD_1
	v_cvt_pkrtz_f16_f32 v15, v20, v21
	ds_read_b128 v[18:21], v27
	v_cvt_pkrtz_f16_f32 v22, v22, v23
	v_cvt_pkrtz_f16_f32 v23, v28, v29
	ds_read_b128 v[28:31], v27 offset:16
	v_cvt_pk_f32_fp8_e32 v[36:37], v16
	v_cvt_pk_f32_fp8_sdwa v[38:39], v16 src0_sel:WORD_1
	s_waitcnt lgkmcnt(1)
	v_mfma_f32_16x16x16_f16 v[32:35], v[14:15], v[18:19], 0
	s_load_dword s4, s[42:43], 0x0
	v_cvt_pkrtz_f16_f32 v14, v36, v37
	v_cvt_pkrtz_f16_f32 v15, v38, v39
	v_cvt_pk_f32_fp8_e32 v[36:37], v17
	v_mfma_f32_16x16x16_f16 v[18:21], v[22:23], v[20:21], v[32:35]
	v_cvt_pk_f32_fp8_sdwa v[22:23], v17 src0_sel:WORD_1
	v_cmp_gt_u32_e32 vcc, 64, v0
	s_mov_b32 s3, 0
	v_cvt_pkrtz_f16_f32 v32, v36, v37
	s_waitcnt lgkmcnt(0)
	v_mfma_f32_16x16x16_f16 v[14:17], v[14:15], v[28:29], v[18:21]
	v_cvt_pkrtz_f16_f32 v33, v22, v23
	s_waitcnt vmcnt(2)
	v_cvt_pk_f32_fp8_e32 v[22:23], v11
	v_cvt_pk_f32_fp8_sdwa v[28:29], v11 src0_sel:WORD_1
	v_cvt_pk_f32_fp8_e32 v[18:19], v10
	v_cvt_pk_f32_fp8_sdwa v[20:21], v10 src0_sel:WORD_1
	v_mfma_f32_16x16x16_f16 v[14:17], v[32:33], v[30:31], v[14:17]
	v_cvt_pkrtz_f16_f32 v22, v22, v23
	v_cvt_pkrtz_f16_f32 v10, v18, v19
	;; [unrolled: 1-line block ×3, first 2 shown]
	ds_read_b128 v[18:21], v27 offset:2048
	v_cvt_pkrtz_f16_f32 v23, v28, v29
	ds_read_b128 v[28:31], v27 offset:2064
	v_cvt_pk_f32_fp8_e32 v[32:33], v12
	v_cvt_pk_f32_fp8_sdwa v[34:35], v12 src0_sel:WORD_1
	s_waitcnt lgkmcnt(1)
	v_mfma_f32_16x16x16_f16 v[14:17], v[10:11], v[18:19], v[14:17]
	v_cvt_pk_f32_fp8_e32 v[18:19], v13
	v_cvt_pkrtz_f16_f32 v10, v32, v33
	v_cvt_pkrtz_f16_f32 v11, v34, v35
	v_mfma_f32_16x16x16_f16 v[14:17], v[22:23], v[20:21], v[14:17]
	v_cvt_pk_f32_fp8_sdwa v[20:21], v13 src0_sel:WORD_1
	v_cvt_pkrtz_f16_f32 v18, v18, v19
	v_cvt_pkrtz_f16_f32 v19, v20, v21
	s_waitcnt lgkmcnt(0)
	v_mfma_f32_16x16x16_f16 v[10:13], v[10:11], v[28:29], v[14:17]
	s_waitcnt vmcnt(1)
	v_cvt_pk_f32_fp8_sdwa v[20:21], v7 src0_sel:WORD_1
	v_cvt_pk_f32_fp8_e32 v[28:29], v8
	v_cvt_pkrtz_f16_f32 v23, v20, v21
	v_cvt_pk_f32_fp8_e32 v[14:15], v6
	v_cvt_pk_f32_fp8_sdwa v[16:17], v6 src0_sel:WORD_1
	v_mfma_f32_16x16x16_f16 v[10:13], v[18:19], v[30:31], v[10:13]
	v_cvt_pk_f32_fp8_e32 v[18:19], v7
	v_cvt_pkrtz_f16_f32 v6, v14, v15
	v_cvt_pkrtz_f16_f32 v7, v16, v17
	ds_read_b128 v[14:17], v27 offset:4096
	v_cvt_pkrtz_f16_f32 v22, v18, v19
	ds_read_b128 v[18:21], v27 offset:4112
	v_cvt_pk_f32_fp8_sdwa v[30:31], v8 src0_sel:WORD_1
	s_waitcnt lgkmcnt(1)
	v_mfma_f32_16x16x16_f16 v[10:13], v[6:7], v[14:15], v[10:13]
	v_cvt_pkrtz_f16_f32 v6, v28, v29
	v_cvt_pkrtz_f16_f32 v7, v30, v31
	v_cvt_pk_f32_fp8_e32 v[14:15], v9
	v_mfma_f32_16x16x16_f16 v[10:13], v[22:23], v[16:17], v[10:13]
	v_cvt_pk_f32_fp8_sdwa v[16:17], v9 src0_sel:WORD_1
	s_waitcnt vmcnt(0)
	v_cvt_pk_f32_fp8_sdwa v[22:23], v4 src0_sel:WORD_1
	v_cvt_pkrtz_f16_f32 v14, v14, v15
	s_waitcnt lgkmcnt(0)
	v_mfma_f32_16x16x16_f16 v[6:9], v[6:7], v[18:19], v[10:13]
	v_cvt_pkrtz_f16_f32 v15, v16, v17
	v_cvt_pk_f32_fp8_sdwa v[16:17], v3 src0_sel:WORD_1
	s_nop 0
	v_cvt_pk_f32_fp8_e32 v[10:11], v2
	v_cvt_pk_f32_fp8_sdwa v[12:13], v2 src0_sel:WORD_1
	v_mfma_f32_16x16x16_f16 v[6:9], v[14:15], v[20:21], v[6:9]
	v_cvt_pk_f32_fp8_e32 v[14:15], v3
	v_cvt_pkrtz_f16_f32 v2, v10, v11
	v_cvt_pkrtz_f16_f32 v3, v12, v13
	ds_read_b128 v[10:13], v27 offset:6144
	v_cvt_pkrtz_f16_f32 v18, v14, v15
	v_cvt_pkrtz_f16_f32 v19, v16, v17
	ds_read_b128 v[14:17], v27 offset:6160
	v_cvt_pk_f32_fp8_e32 v[20:21], v4
	s_waitcnt lgkmcnt(1)
	v_mfma_f32_16x16x16_f16 v[6:9], v[2:3], v[10:11], v[6:9]
	v_cvt_pkrtz_f16_f32 v3, v22, v23
	v_cvt_pk_f32_fp8_e32 v[10:11], v5
	v_cvt_pkrtz_f16_f32 v2, v20, v21
	v_mfma_f32_16x16x16_f16 v[6:9], v[18:19], v[12:13], v[6:9]
	v_cvt_pk_f32_fp8_sdwa v[12:13], v5 src0_sel:WORD_1
	v_cvt_pkrtz_f16_f32 v10, v10, v11
	v_mov_b32_e32 v27, 0
	s_waitcnt lgkmcnt(0)
	v_mfma_f32_16x16x16_f16 v[2:5], v[2:3], v[14:15], v[6:9]
	v_cvt_pkrtz_f16_f32 v11, v12, v13
	s_barrier
	s_nop 0
	v_mfma_f32_16x16x16_f16 v[2:5], v[10:11], v[16:17], v[2:5]
	s_nop 6
	v_pk_mul_f32 v[4:5], v[4:5], s[4:5] op_sel_hi:[1,0]
	v_pk_mul_f32 v[2:3], v[2:3], s[4:5] op_sel_hi:[1,0]
	v_cvt_f16_f32_e32 v4, v4
	v_cvt_f16_f32_e32 v2, v2
	;; [unrolled: 1-line block ×4, first 2 shown]
	s_and_b64 s[4:5], vcc, s[26:27]
	v_pack_b32_f16 v2, v2, v3
	v_pack_b32_f16 v3, v4, v5
	ds_write_b64 v24, v[2:3]
	s_waitcnt lgkmcnt(0)
	s_barrier
	s_and_saveexec_b64 s[8:9], s[4:5]
	s_cbranch_execz .LBB823_17
; %bb.16:
	s_load_dwordx2 s[0:1], s[0:1], 0x68
	s_lshl_b32 s6, s6, 6
	s_mul_i32 s2, s7, s2
	s_mul_hi_u32 s5, s2, s6
	s_mul_i32 s4, s2, s6
	s_lshl_b64 s[4:5], s[4:5], 1
	s_waitcnt lgkmcnt(0)
	s_add_u32 s4, s0, s4
	s_addc_u32 s5, s1, s5
	s_lshl_b32 s2, s24, 6
	v_lshlrev_b32_e32 v0, 10, v0
	s_lshl_b64 s[0:1], s[2:3], 1
	v_and_b32_e32 v0, 0x1800, v0
	v_lshlrev_b32_e32 v2, 5, v1
	v_and_b32_e32 v3, 16, v42
	s_add_u32 s0, s4, s0
	v_or3_b32 v0, v0, v2, v3
	s_addc_u32 s1, s5, s1
	v_or_b32_e32 v20, s25, v1
	ds_read_b128 v[2:5], v0
	ds_read_b128 v[6:9], v0 offset:128
	ds_read_b128 v[10:13], v0 offset:256
	;; [unrolled: 1-line block ×3, first 2 shown]
	v_lshl_add_u64 v[18:19], s[0:1], 0, v[26:27]
	v_mad_u64_u32 v[0:1], s[0:1], v20, s6, 0
	v_lshl_add_u64 v[0:1], v[0:1], 1, v[18:19]
	s_waitcnt lgkmcnt(3)
	global_store_dwordx4 v[0:1], v[2:5], off
	v_or_b32_e32 v0, 4, v20
	v_mad_u64_u32 v[0:1], s[0:1], v0, s6, 0
	v_lshl_add_u64 v[0:1], v[0:1], 1, v[18:19]
	s_waitcnt lgkmcnt(2)
	global_store_dwordx4 v[0:1], v[6:9], off
	v_or_b32_e32 v0, 8, v20
	;; [unrolled: 5-line block ×3, first 2 shown]
	v_mad_u64_u32 v[0:1], s[0:1], v0, s6, 0
	v_lshl_add_u64 v[0:1], v[0:1], 1, v[18:19]
	s_waitcnt lgkmcnt(0)
	global_store_dwordx4 v[0:1], v[14:17], off
.LBB823_17:
	s_endpgm
	.section	.rodata,"a",@progbits
	.p2align	6, 0x0
	.amdhsa_kernel _Z39paged_attention_ll4mi_QKV_mfma16_kernelIDF16_hLN4vllm18Fp8KVCacheDataTypeE1EDF16_Li16ELi64ELi256ELb1ELi16EEvPKT_PKT0_S7_ifPKiS9_S9_iPKfiiiPfSC_PS2_PT2_iSB_SB_
		.amdhsa_group_segment_fixed_size 8192
		.amdhsa_private_segment_fixed_size 0
		.amdhsa_kernarg_size 400
		.amdhsa_user_sgpr_count 2
		.amdhsa_user_sgpr_dispatch_ptr 0
		.amdhsa_user_sgpr_queue_ptr 0
		.amdhsa_user_sgpr_kernarg_segment_ptr 1
		.amdhsa_user_sgpr_dispatch_id 0
		.amdhsa_user_sgpr_kernarg_preload_length 0
		.amdhsa_user_sgpr_kernarg_preload_offset 0
		.amdhsa_user_sgpr_private_segment_size 0
		.amdhsa_uses_dynamic_stack 0
		.amdhsa_enable_private_segment 0
		.amdhsa_system_sgpr_workgroup_id_x 1
		.amdhsa_system_sgpr_workgroup_id_y 1
		.amdhsa_system_sgpr_workgroup_id_z 1
		.amdhsa_system_sgpr_workgroup_info 0
		.amdhsa_system_vgpr_workitem_id 0
		.amdhsa_next_free_vgpr 62
		.amdhsa_next_free_sgpr 49
		.amdhsa_accum_offset 64
		.amdhsa_reserve_vcc 1
		.amdhsa_float_round_mode_32 0
		.amdhsa_float_round_mode_16_64 0
		.amdhsa_float_denorm_mode_32 3
		.amdhsa_float_denorm_mode_16_64 3
		.amdhsa_dx10_clamp 1
		.amdhsa_ieee_mode 1
		.amdhsa_fp16_overflow 0
		.amdhsa_tg_split 0
		.amdhsa_exception_fp_ieee_invalid_op 0
		.amdhsa_exception_fp_denorm_src 0
		.amdhsa_exception_fp_ieee_div_zero 0
		.amdhsa_exception_fp_ieee_overflow 0
		.amdhsa_exception_fp_ieee_underflow 0
		.amdhsa_exception_fp_ieee_inexact 0
		.amdhsa_exception_int_div_zero 0
	.end_amdhsa_kernel
	.section	.text._Z39paged_attention_ll4mi_QKV_mfma16_kernelIDF16_hLN4vllm18Fp8KVCacheDataTypeE1EDF16_Li16ELi64ELi256ELb1ELi16EEvPKT_PKT0_S7_ifPKiS9_S9_iPKfiiiPfSC_PS2_PT2_iSB_SB_,"axG",@progbits,_Z39paged_attention_ll4mi_QKV_mfma16_kernelIDF16_hLN4vllm18Fp8KVCacheDataTypeE1EDF16_Li16ELi64ELi256ELb1ELi16EEvPKT_PKT0_S7_ifPKiS9_S9_iPKfiiiPfSC_PS2_PT2_iSB_SB_,comdat
.Lfunc_end823:
	.size	_Z39paged_attention_ll4mi_QKV_mfma16_kernelIDF16_hLN4vllm18Fp8KVCacheDataTypeE1EDF16_Li16ELi64ELi256ELb1ELi16EEvPKT_PKT0_S7_ifPKiS9_S9_iPKfiiiPfSC_PS2_PT2_iSB_SB_, .Lfunc_end823-_Z39paged_attention_ll4mi_QKV_mfma16_kernelIDF16_hLN4vllm18Fp8KVCacheDataTypeE1EDF16_Li16ELi64ELi256ELb1ELi16EEvPKT_PKT0_S7_ifPKiS9_S9_iPKfiiiPfSC_PS2_PT2_iSB_SB_
                                        ; -- End function
	.section	.AMDGPU.csdata,"",@progbits
; Kernel info:
; codeLenInByte = 4848
; NumSgprs: 55
; NumVgprs: 62
; NumAgprs: 0
; TotalNumVgprs: 62
; ScratchSize: 0
; MemoryBound: 0
; FloatMode: 240
; IeeeMode: 1
; LDSByteSize: 8192 bytes/workgroup (compile time only)
; SGPRBlocks: 6
; VGPRBlocks: 7
; NumSGPRsForWavesPerEU: 55
; NumVGPRsForWavesPerEU: 62
; AccumOffset: 64
; Occupancy: 8
; WaveLimiterHint : 1
; COMPUTE_PGM_RSRC2:SCRATCH_EN: 0
; COMPUTE_PGM_RSRC2:USER_SGPR: 2
; COMPUTE_PGM_RSRC2:TRAP_HANDLER: 0
; COMPUTE_PGM_RSRC2:TGID_X_EN: 1
; COMPUTE_PGM_RSRC2:TGID_Y_EN: 1
; COMPUTE_PGM_RSRC2:TGID_Z_EN: 1
; COMPUTE_PGM_RSRC2:TIDIG_COMP_CNT: 0
; COMPUTE_PGM_RSRC3_GFX90A:ACCUM_OFFSET: 15
; COMPUTE_PGM_RSRC3_GFX90A:TG_SPLIT: 0
	.section	.text._Z39paged_attention_ll4mi_QKV_mfma16_kernelIDF16_hLN4vllm18Fp8KVCacheDataTypeE1EDF16_Li16ELi64ELi256ELb1ELi1EEvPKT_PKT0_S7_ifPKiS9_S9_iPKfiiiPfSC_PS2_PT2_iSB_SB_,"axG",@progbits,_Z39paged_attention_ll4mi_QKV_mfma16_kernelIDF16_hLN4vllm18Fp8KVCacheDataTypeE1EDF16_Li16ELi64ELi256ELb1ELi1EEvPKT_PKT0_S7_ifPKiS9_S9_iPKfiiiPfSC_PS2_PT2_iSB_SB_,comdat
	.protected	_Z39paged_attention_ll4mi_QKV_mfma16_kernelIDF16_hLN4vllm18Fp8KVCacheDataTypeE1EDF16_Li16ELi64ELi256ELb1ELi1EEvPKT_PKT0_S7_ifPKiS9_S9_iPKfiiiPfSC_PS2_PT2_iSB_SB_ ; -- Begin function _Z39paged_attention_ll4mi_QKV_mfma16_kernelIDF16_hLN4vllm18Fp8KVCacheDataTypeE1EDF16_Li16ELi64ELi256ELb1ELi1EEvPKT_PKT0_S7_ifPKiS9_S9_iPKfiiiPfSC_PS2_PT2_iSB_SB_
	.globl	_Z39paged_attention_ll4mi_QKV_mfma16_kernelIDF16_hLN4vllm18Fp8KVCacheDataTypeE1EDF16_Li16ELi64ELi256ELb1ELi1EEvPKT_PKT0_S7_ifPKiS9_S9_iPKfiiiPfSC_PS2_PT2_iSB_SB_
	.p2align	8
	.type	_Z39paged_attention_ll4mi_QKV_mfma16_kernelIDF16_hLN4vllm18Fp8KVCacheDataTypeE1EDF16_Li16ELi64ELi256ELb1ELi1EEvPKT_PKT0_S7_ifPKiS9_S9_iPKfiiiPfSC_PS2_PT2_iSB_SB_,@function
_Z39paged_attention_ll4mi_QKV_mfma16_kernelIDF16_hLN4vllm18Fp8KVCacheDataTypeE1EDF16_Li16ELi64ELi256ELb1ELi1EEvPKT_PKT0_S7_ifPKiS9_S9_iPKfiiiPfSC_PS2_PT2_iSB_SB_: ; @_Z39paged_attention_ll4mi_QKV_mfma16_kernelIDF16_hLN4vllm18Fp8KVCacheDataTypeE1EDF16_Li16ELi64ELi256ELb1ELi1EEvPKT_PKT0_S7_ifPKiS9_S9_iPKfiiiPfSC_PS2_PT2_iSB_SB_
; %bb.0:
	s_load_dwordx2 s[6:7], s[0:1], 0x30
	s_mov_b32 s30, s3
	s_mov_b64 s[8:9], 0
	s_waitcnt lgkmcnt(0)
	s_cmp_lg_u64 s[6:7], 0
	s_cselect_b64 s[10:11], -1, 0
	s_and_b64 vcc, exec, s[10:11]
	s_cbranch_vccz .LBB824_7
; %bb.1:
	s_add_i32 s12, s2, 1
	s_mov_b32 s13, 0
	s_lshl_b64 s[14:15], s[12:13], 2
	s_add_u32 s14, s6, s14
	s_mov_b32 s3, s13
	s_addc_u32 s15, s7, s15
	s_lshl_b64 s[12:13], s[2:3], 2
	s_add_u32 s12, s6, s12
	s_addc_u32 s13, s7, s13
	s_load_dword s5, s[14:15], 0x0
	s_load_dword s16, s[12:13], 0x0
	s_waitcnt lgkmcnt(0)
	s_sub_i32 s5, s5, s16
	s_cmp_eq_u32 s5, 1
	s_cselect_b64 s[12:13], -1, 0
	s_andn2_b64 vcc, exec, s[8:9]
	s_cbranch_vccnz .LBB824_3
.LBB824_2:
	s_mov_b32 s3, 0
	s_mov_b64 s[12:13], -1
.LBB824_3:
	s_andn2_b64 vcc, exec, s[12:13]
	s_cbranch_vccnz .LBB824_19
; %bb.4:
	s_load_dwordx2 s[8:9], s[0:1], 0x28
	s_lshl_b64 s[12:13], s[2:3], 2
	s_waitcnt lgkmcnt(0)
	s_add_u32 s8, s8, s12
	s_addc_u32 s9, s9, s13
	s_load_dword s31, s[8:9], 0x0
	s_lshl_b32 s16, s30, 8
	s_waitcnt lgkmcnt(0)
	s_cmp_ge_i32 s16, s31
	s_cbranch_scc1 .LBB824_19
; %bb.5:
	s_load_dwordx2 s[8:9], s[0:1], 0x20
	s_load_dword s5, s[0:1], 0x38
	s_add_i32 s14, s31, 15
	s_ashr_i32 s15, s14, 31
	v_and_b32_e32 v1, 0xcf, v0
	s_lshr_b32 s15, s15, 28
	v_add_u32_e32 v1, s16, v1
	s_add_i32 s14, s14, s15
	v_ashrrev_i32_e32 v2, 31, v1
	s_ashr_i32 s17, s14, 4
	v_lshrrev_b32_e32 v4, 28, v2
	s_add_i32 s17, s17, -1
	s_waitcnt lgkmcnt(0)
	s_mul_i32 s14, s2, s5
	s_mov_b32 s15, 0
	v_add_u32_e32 v2, v1, v4
	s_lshl_b64 s[14:15], s[14:15], 2
	v_ashrrev_i32_e32 v2, 4, v2
	v_mov_b32_e32 v5, s17
	v_cmp_gt_i32_e32 vcc, s31, v1
	s_add_u32 s8, s8, s14
	s_addc_u32 s9, s9, s15
	v_cndmask_b32_e32 v2, v5, v2, vcc
	v_ashrrev_i32_e32 v3, 31, v2
	v_lshl_add_u64 v[6:7], v[2:3], 2, s[8:9]
	v_or_b32_e32 v2, 16, v1
	v_add_u32_e32 v3, v2, v4
	v_ashrrev_i32_e32 v3, 4, v3
	v_cmp_gt_i32_e32 vcc, s31, v2
	s_load_dwordx2 s[14:15], s[0:1], 0x8
	s_nop 0
	v_cndmask_b32_e32 v2, v5, v3, vcc
	v_ashrrev_i32_e32 v3, 31, v2
	v_lshl_add_u64 v[8:9], v[2:3], 2, s[8:9]
	v_or_b32_e32 v2, 32, v1
	v_add_u32_e32 v3, v2, v4
	v_ashrrev_i32_e32 v3, 4, v3
	v_cmp_gt_i32_e32 vcc, s31, v2
	v_or_b32_e32 v1, 48, v1
	s_nop 0
	v_cndmask_b32_e32 v2, v5, v3, vcc
	v_ashrrev_i32_e32 v3, 31, v2
	v_lshl_add_u64 v[10:11], v[2:3], 2, s[8:9]
	v_add_u32_e32 v2, v1, v4
	v_ashrrev_i32_e32 v2, 4, v2
	v_cmp_gt_i32_e32 vcc, s31, v1
	s_nop 1
	v_cndmask_b32_e32 v2, v5, v2, vcc
	v_ashrrev_i32_e32 v3, 31, v2
	v_lshl_add_u64 v[12:13], v[2:3], 2, s[8:9]
	global_load_dword v5, v[6:7], off
	global_load_dword v4, v[8:9], off
	;; [unrolled: 1-line block ×4, first 2 shown]
	s_andn2_b64 vcc, exec, s[10:11]
	s_cbranch_vccnz .LBB824_8
; %bb.6:
	s_add_u32 s6, s6, s12
	s_addc_u32 s7, s7, s13
	s_load_dword s5, s[6:7], 0x0
	s_branch .LBB824_9
.LBB824_7:
	s_mov_b64 s[12:13], 0
	s_branch .LBB824_2
.LBB824_8:
	s_mov_b32 s5, s2
.LBB824_9:
	s_load_dwordx2 s[10:11], s[0:1], 0x10
	s_load_dwordx4 s[48:51], s[0:1], 0x48
	v_lshrrev_b32_e32 v56, 6, v0
	v_bfe_u32 v54, v0, 4, 2
	v_lshl_or_b32 v1, v56, 2, v54
	v_and_b32_e32 v57, 15, v0
	v_lshlrev_b32_e32 v6, 3, v57
	v_cmp_eq_u32_e32 vcc, 0, v1
	v_cmp_gt_u32_e64 s[6:7], 8, v57
	s_and_b64 s[18:19], s[6:7], vcc
	v_lshlrev_b32_e32 v1, 1, v6
	v_lshlrev_b32_e32 v55, 4, v0
	s_and_saveexec_b64 s[12:13], s[18:19]
	s_cbranch_execz .LBB824_11
; %bb.10:
	s_load_dwordx2 s[18:19], s[0:1], 0x0
	s_waitcnt lgkmcnt(0)
	s_ashr_i32 s20, s48, 31
	s_mul_hi_u32 s21, s5, s48
	s_mul_i32 s20, s5, s20
	s_add_i32 s21, s21, s20
	s_mul_i32 s20, s5, s48
	s_lshl_b64 s[20:21], s[20:21], 1
	s_add_u32 s5, s18, s20
	s_addc_u32 s20, s19, s21
	s_lshl_b32 s18, s4, 6
	s_ashr_i32 s19, s18, 31
	s_lshl_b64 s[18:19], s[18:19], 1
	s_add_u32 s18, s5, s18
	s_addc_u32 s19, s20, s19
	global_load_dwordx4 v[6:9], v1, s[18:19]
	v_lshlrev_b32_e32 v10, 8, v57
	v_and_b32_e32 v11, 16, v55
	s_movk_i32 s5, 0xe00
	v_and_or_b32 v10, v10, s5, v11
	s_waitcnt vmcnt(0)
	ds_write_b128 v10, v[6:9]
.LBB824_11:
	s_or_b64 exec, exec, s[12:13]
	s_waitcnt lgkmcnt(0)
	s_mul_i32 s18, s4, s50
	s_add_u32 s12, s14, s18
	s_addc_u32 s13, s15, 0
	v_and_b32_e32 v28, 48, v0
	v_and_b32_e32 v26, 0xf0, v55
	v_mov_b32_e32 v27, 0
	v_lshl_add_u64 v[6:7], s[12:13], 0, v[26:27]
	v_lshlrev_b32_e32 v26, 4, v28
	v_lshl_add_u64 v[6:7], v[6:7], 0, v[26:27]
	s_waitcnt vmcnt(3)
	v_mad_i64_i32 v[8:9], s[12:13], v5, s49, v[6:7]
	s_waitcnt vmcnt(2)
	v_mad_i64_i32 v[4:5], s[12:13], v4, s49, v[6:7]
	s_barrier
	global_load_dwordx4 v[22:25], v[8:9], off
	global_load_dwordx4 v[18:21], v[4:5], off
	s_waitcnt vmcnt(3)
	v_mad_i64_i32 v[4:5], s[12:13], v3, s49, v[6:7]
	s_waitcnt vmcnt(2)
	v_mad_i64_i32 v[2:3], s[12:13], v2, s49, v[6:7]
	global_load_dwordx4 v[14:17], v[4:5], off
	global_load_dwordx4 v[6:9], v[2:3], off
	v_lshlrev_b32_e32 v2, 9, v54
	ds_read_b128 v[10:13], v2
	ds_read_b128 v[2:5], v2 offset:16
	v_and_b32_e32 v58, 63, v0
	v_cmp_eq_u32_e32 vcc, 0, v57
	v_mov_b32_e32 v59, 0
	s_and_saveexec_b64 s[12:13], vcc
	s_cbranch_execz .LBB824_13
; %bb.12:
	s_load_dwordx2 s[14:15], s[0:1], 0x40
	s_ashr_i32 s5, s4, 31
	s_lshl_b64 s[20:21], s[4:5], 2
	s_waitcnt lgkmcnt(0)
	s_add_u32 s14, s14, s20
	s_addc_u32 s15, s15, s21
	s_load_dword s5, s[14:15], 0x0
	s_waitcnt lgkmcnt(0)
	v_mov_b32_e32 v59, s5
.LBB824_13:
	s_or_b64 exec, exec, s[12:13]
	v_or_b32_e32 v61, s16, v28
	v_ashrrev_i32_e32 v26, 4, v61
	v_mov_b32_e32 v69, s17
	v_cmp_gt_i32_e32 vcc, s31, v61
	s_waitcnt vmcnt(3)
	v_cvt_pk_f32_fp8_sdwa v[30:31], v22 src0_sel:WORD_1
	s_waitcnt vmcnt(2)
	v_cvt_pk_f32_fp8_e32 v[50:51], v18
	v_cndmask_b32_e32 v28, v69, v26, vcc
	v_ashrrev_i32_e32 v29, 31, v28
	v_lshl_add_u64 v[28:29], v[28:29], 2, s[8:9]
	global_load_dword v60, v[28:29], off
	v_cvt_pk_f32_fp8_e32 v[28:29], v22
	v_cvt_pk_f32_fp8_sdwa v[52:53], v18 src0_sel:WORD_1
	s_add_u32 s10, s10, s18
	v_lshlrev_b32_e32 v18, 4, v57
	v_lshl_or_b32 v26, v56, 8, v18
	s_addc_u32 s11, s11, 0
	v_cvt_pk_f32_fp8_e32 v[32:33], v23
	v_cvt_pk_f32_fp8_sdwa v[22:23], v23 src0_sel:WORD_1
	v_cvt_pk_f32_fp8_e32 v[34:35], v24
	v_cvt_pk_f32_fp8_sdwa v[36:37], v24 src0_sel:WORD_1
	;; [unrolled: 2-line block ×3, first 2 shown]
	v_lshl_add_u64 v[18:19], s[10:11], 0, v[26:27]
	v_cvt_pkrtz_f16_f32 v26, v28, v29
	v_cvt_pkrtz_f16_f32 v27, v30, v31
	;; [unrolled: 1-line block ×4, first 2 shown]
	v_cvt_pk_f32_fp8_e32 v[40:41], v20
	v_cvt_pk_f32_fp8_sdwa v[42:43], v20 src0_sel:WORD_1
	v_cvt_pkrtz_f16_f32 v50, v32, v33
	v_cvt_pkrtz_f16_f32 v51, v22, v23
	;; [unrolled: 1-line block ×6, first 2 shown]
	v_cvt_pk_f32_fp8_e32 v[38:39], v25
	v_cvt_pk_f32_fp8_sdwa v[24:25], v25 src0_sel:WORD_1
	s_waitcnt lgkmcnt(1)
	v_mfma_f32_16x16x16_f16 v[26:29], v[26:27], v[10:11], 0
	s_waitcnt vmcnt(2)
	v_cvt_pk_f32_fp8_e32 v[62:63], v14
	v_cvt_pk_f32_fp8_sdwa v[64:65], v14 src0_sel:WORD_1
	v_or_b32_e32 v14, 64, v61
	v_mfma_f32_16x16x16_f16 v[30:33], v[30:31], v[10:11], 0
	s_load_dword s5, s[0:1], 0x1c
	s_load_dwordx4 s[44:47], s[0:1], 0x80
	v_or_b32_e32 v70, 0x80, v61
	v_ashrrev_i32_e32 v68, 4, v14
	v_cmp_gt_i32_e32 vcc, s31, v14
	v_cvt_pkrtz_f16_f32 v40, v40, v41
	v_cvt_pkrtz_f16_f32 v41, v42, v43
	v_cvt_pk_f32_fp8_e32 v[44:45], v21
	v_cvt_pk_f32_fp8_sdwa v[20:21], v21 src0_sel:WORD_1
	v_or_b32_e32 v61, 0xc0, v61
	v_ashrrev_i32_e32 v71, 4, v70
	v_cndmask_b32_e32 v68, v69, v68, vcc
	v_cmp_gt_i32_e32 vcc, s31, v70
	v_cvt_pkrtz_f16_f32 v38, v38, v39
	v_cvt_pkrtz_f16_f32 v39, v24, v25
	v_mfma_f32_16x16x16_f16 v[22:25], v[50:51], v[12:13], v[26:29]
	v_ashrrev_i32_e32 v72, 4, v61
	v_cndmask_b32_e32 v70, v69, v71, vcc
	v_cmp_gt_i32_e32 vcc, s31, v61
	v_mfma_f32_16x16x16_f16 v[26:29], v[36:37], v[12:13], v[30:33]
	v_ashrrev_i32_e32 v71, 31, v70
	v_cndmask_b32_e32 v72, v69, v72, vcc
	v_ashrrev_i32_e32 v69, 31, v68
	v_ashrrev_i32_e32 v73, 31, v72
	v_cvt_pkrtz_f16_f32 v30, v44, v45
	v_cvt_pkrtz_f16_f32 v31, v20, v21
	s_waitcnt lgkmcnt(0)
	v_mfma_f32_16x16x16_f16 v[20:23], v[34:35], v[2:3], v[22:25]
	v_lshl_add_u64 v[34:35], v[68:69], 2, s[8:9]
	v_lshl_add_u64 v[36:37], v[70:71], 2, s[8:9]
	v_cvt_pk_f32_fp8_e32 v[66:67], v15
	v_mfma_f32_16x16x16_f16 v[24:27], v[40:41], v[2:3], v[26:29]
	v_mov_b32_e32 v40, s5
	v_cvt_pkrtz_f16_f32 v32, v62, v63
	v_cvt_pkrtz_f16_f32 v33, v64, v65
	v_lshl_add_u64 v[28:29], v[72:73], 2, s[8:9]
	s_load_dword s8, s[44:45], 0x0
	v_mfma_f32_16x16x16_f16 v[20:23], v[38:39], v[4:5], v[20:23]
	global_load_dword v14, v[34:35], off
	global_load_dword v38, v[36:37], off
	;; [unrolled: 1-line block ×3, first 2 shown]
	v_cvt_pkrtz_f16_f32 v28, v66, v67
	v_cvt_pk_f32_fp8_e32 v[34:35], v16
	s_waitcnt lgkmcnt(0)
	v_mul_f32_e32 v48, s8, v40
	v_mfma_f32_16x16x16_f16 v[40:43], v[30:31], v[4:5], v[24:27]
	v_cvt_pk_f32_fp8_sdwa v[36:37], v16 src0_sel:WORD_1
	v_cvt_pkrtz_f16_f32 v44, v34, v35
	s_mov_b32 s5, 0xff7fffff
	v_cvt_pk_f32_fp8_sdwa v[24:25], v15 src0_sel:WORD_1
	v_cvt_pkrtz_f16_f32 v45, v36, v37
	v_cvt_pk_f32_fp8_e32 v[36:37], v17
	v_cvt_pk_f32_fp8_sdwa v[16:17], v17 src0_sel:WORD_1
	v_cvt_pkrtz_f16_f32 v29, v24, v25
	v_mfma_f32_16x16x16_f16 v[24:27], v[32:33], v[10:11], 0
	s_waitcnt vmcnt(3)
	v_mad_i64_i32 v[30:31], s[8:9], v60, s49, v[18:19]
	v_mfma_f32_16x16x16_f16 v[32:35], v[28:29], v[12:13], v[24:27]
	v_cvt_pkrtz_f16_f32 v28, v36, v37
	v_cvt_pkrtz_f16_f32 v29, v16, v17
	v_cvt_pk_f32_fp8_e32 v[16:17], v6
	s_nop 0
	v_pk_mul_f32 v[26:27], v[48:49], v[22:23] op_sel_hi:[0,1]
	v_mfma_f32_16x16x16_f16 v[22:25], v[44:45], v[2:3], v[32:35]
	v_pk_mul_f32 v[36:37], v[48:49], v[40:41] op_sel_hi:[0,1]
	v_cvt_pkrtz_f16_f32 v16, v16, v17
	s_nop 0
	v_cvt_pk_f32_fp8_sdwa v[32:33], v6 src0_sel:WORD_1
	v_pk_mul_f32 v[34:35], v[48:49], v[20:21] op_sel_hi:[0,1]
	v_mfma_f32_16x16x16_f16 v[20:23], v[28:29], v[4:5], v[22:25]
	v_cvt_pk_f32_fp8_e32 v[28:29], v8
	v_cvt_pkrtz_f16_f32 v17, v32, v33
	v_cvt_pk_f32_fp8_sdwa v[32:33], v8 src0_sel:WORD_1
	v_cvt_pk_f32_fp8_e32 v[24:25], v7
	v_cvt_pk_f32_fp8_sdwa v[6:7], v7 src0_sel:WORD_1
	v_mfma_f32_16x16x16_f16 v[44:47], v[16:17], v[10:11], 0
	v_cvt_pkrtz_f16_f32 v24, v24, v25
	v_cvt_pkrtz_f16_f32 v25, v6, v7
	v_cvt_pkrtz_f16_f32 v10, v28, v29
	v_cvt_pkrtz_f16_f32 v11, v32, v33
	v_cvt_pk_f32_fp8_e32 v[16:17], v9
	v_cvt_pk_f32_fp8_sdwa v[28:29], v9 src0_sel:WORD_1
	v_mfma_f32_16x16x16_f16 v[6:9], v[24:25], v[12:13], v[44:47]
	v_pk_mul_f32 v[24:25], v[48:49], v[22:23] op_sel_hi:[0,1]
	v_cvt_pkrtz_f16_f32 v12, v16, v17
	v_cvt_pkrtz_f16_f32 v13, v28, v29
	v_mfma_f32_16x16x16_f16 v[6:9], v[10:11], v[2:3], v[6:9]
	v_pk_mul_f32 v[28:29], v[48:49], v[20:21] op_sel_hi:[0,1]
	v_pk_mul_f32 v[32:33], v[48:49], v[42:43] op_sel_hi:[0,1]
	v_mfma_f32_16x16x16_f16 v[2:5], v[12:13], v[4:5], v[6:9]
	s_nop 6
	v_pk_mul_f32 v[22:23], v[48:49], v[2:3] op_sel_hi:[0,1]
	v_and_b32_e32 v2, 0xc0, v0
	v_add_u32_e32 v2, s16, v2
	v_lshl_or_b32 v2, v54, 2, v2
	v_or_b32_e32 v3, 1, v2
	v_pk_mul_f32 v[20:21], v[48:49], v[4:5] op_sel_hi:[0,1]
	v_subrev_u32_e32 v4, s31, v3
	v_add_u32_e32 v6, 1, v4
	v_add_u32_e32 v7, 2, v4
	;; [unrolled: 1-line block ×3, first 2 shown]
	v_cvt_f32_i32_e32 v6, v6
	v_cvt_f32_i32_e32 v7, v7
	;; [unrolled: 1-line block ×3, first 2 shown]
	v_add_u32_e32 v9, 19, v4
	v_fmac_f32_e32 v35, v59, v6
	v_fma_f32 v26, v59, v7, v26
	v_fmac_f32_e32 v27, v59, v8
	v_add_u32_e32 v6, 16, v4
	v_add_u32_e32 v7, 17, v4
	;; [unrolled: 1-line block ×3, first 2 shown]
	v_cvt_f32_i32_e32 v6, v6
	v_cvt_f32_i32_e32 v7, v7
	;; [unrolled: 1-line block ×4, first 2 shown]
	v_fma_f32 v36, v59, v6, v36
	v_fmac_f32_e32 v37, v59, v7
	v_fma_f32 v32, v59, v8, v32
	v_add_u32_e32 v6, 32, v4
	v_add_u32_e32 v7, 33, v4
	;; [unrolled: 1-line block ×3, first 2 shown]
	v_cvt_f32_i32_e32 v6, v6
	v_cvt_f32_i32_e32 v7, v7
	;; [unrolled: 1-line block ×4, first 2 shown]
	v_fmac_f32_e32 v33, v59, v9
	v_add_u32_e32 v9, 35, v4
	v_fma_f32 v28, v59, v6, v28
	v_fmac_f32_e32 v29, v59, v7
	v_fma_f32 v24, v59, v8, v24
	v_add_u32_e32 v6, 48, v4
	v_add_u32_e32 v7, 49, v4
	v_add_u32_e32 v8, 50, v4
	v_add_u32_e32 v4, 51, v4
	v_cvt_f32_i32_e32 v4, v4
	v_cvt_f32_i32_e32 v6, v6
	;; [unrolled: 1-line block ×3, first 2 shown]
	v_fma_f32 v5, v59, v5, v34
	v_fmac_f32_e32 v21, v59, v4
	v_mov_b32_e32 v4, 0xff7fffff
	v_cmp_gt_i32_e64 s[34:35], s31, v2
	v_cmp_gt_i32_e64 s[36:37], s31, v3
	v_fma_f32 v22, v59, v6, v22
	v_cndmask_b32_e64 v6, v4, v5, s[34:35]
	v_cndmask_b32_e64 v3, v4, v35, s[36:37]
	v_fmac_f32_e32 v23, v59, v7
	v_max3_f32 v3, v6, s5, v3
	v_or_b32_e32 v6, 2, v2
	v_or_b32_e32 v7, 3, v2
	v_cmp_gt_i32_e64 s[38:39], s31, v6
	v_cmp_gt_i32_e64 s[40:41], s31, v7
	v_cvt_f32_i32_e32 v9, v9
	v_cndmask_b32_e64 v6, v4, v26, s[38:39]
	v_cndmask_b32_e64 v7, v4, v27, s[40:41]
	v_max3_f32 v3, v3, v6, v7
	v_or_b32_e32 v6, 16, v2
	v_or_b32_e32 v7, 17, v2
	v_cmp_gt_i32_e64 s[26:27], s31, v6
	v_cmp_gt_i32_e64 s[28:29], s31, v7
	v_fmac_f32_e32 v25, v59, v9
	v_cndmask_b32_e64 v6, v4, v36, s[26:27]
	v_cndmask_b32_e64 v7, v4, v37, s[28:29]
	v_max3_f32 v3, v3, v6, v7
	v_or_b32_e32 v6, 18, v2
	v_or_b32_e32 v7, 19, v2
	v_cmp_gt_i32_e64 s[22:23], s31, v6
	v_cmp_gt_i32_e64 s[24:25], s31, v7
	v_cvt_f32_i32_e32 v8, v8
	v_cndmask_b32_e64 v6, v4, v32, s[22:23]
	v_cndmask_b32_e64 v7, v4, v33, s[24:25]
	v_max3_f32 v3, v3, v6, v7
	v_or_b32_e32 v6, 32, v2
	v_or_b32_e32 v7, 33, v2
	v_cmp_gt_i32_e64 s[18:19], s31, v6
	v_cmp_gt_i32_e64 s[20:21], s31, v7
	v_fma_f32 v20, v59, v8, v20
	v_cndmask_b32_e64 v6, v4, v28, s[18:19]
	v_cndmask_b32_e64 v7, v4, v29, s[20:21]
	v_max3_f32 v3, v3, v6, v7
	v_or_b32_e32 v6, 34, v2
	v_or_b32_e32 v7, 35, v2
	v_cmp_gt_i32_e64 s[14:15], s31, v6
	v_cmp_gt_i32_e64 s[16:17], s31, v7
	s_nop 0
	v_cndmask_b32_e64 v6, v4, v24, s[14:15]
	v_cndmask_b32_e64 v7, v4, v25, s[16:17]
	v_max3_f32 v3, v3, v6, v7
	v_or_b32_e32 v6, 48, v2
	v_or_b32_e32 v7, 49, v2
	v_cmp_gt_i32_e64 s[10:11], s31, v6
	v_cmp_gt_i32_e64 s[12:13], s31, v7
	s_nop 0
	v_cndmask_b32_e64 v6, v4, v22, s[10:11]
	v_cndmask_b32_e64 v7, v4, v23, s[12:13]
	v_max3_f32 v3, v3, v6, v7
	v_or_b32_e32 v6, 50, v2
	v_or_b32_e32 v2, 51, v2
	v_cmp_gt_i32_e32 vcc, s31, v6
	v_cmp_gt_i32_e64 s[8:9], s31, v2
	s_nop 0
	v_cndmask_b32_e32 v6, v4, v20, vcc
	v_cndmask_b32_e64 v2, v4, v21, s[8:9]
	v_max3_f32 v4, v3, v6, v2
	v_mbcnt_lo_u32_b32 v2, -1, 0
	v_mbcnt_hi_u32_b32 v6, -1, v2
	v_and_b32_e32 v2, 64, v6
	v_add_u32_e32 v7, 64, v2
	v_xor_b32_e32 v2, 32, v6
	v_cmp_lt_i32_e64 s[42:43], v2, v7
	s_nop 1
	v_cndmask_b32_e64 v2, v6, v2, s[42:43]
	v_lshlrev_b32_e32 v40, 2, v2
	ds_bpermute_b32 v8, v40, v4
	s_waitcnt vmcnt(2)
	v_mad_i64_i32 v[2:3], s[42:43], v14, s49, v[18:19]
	global_load_dwordx4 v[14:17], v[30:31], off
	global_load_dwordx4 v[10:13], v[2:3], off
	v_xor_b32_e32 v3, 16, v6
	v_cmp_lt_i32_e64 s[42:43], v3, v7
	s_waitcnt lgkmcnt(0)
	v_max_f32_e32 v2, v8, v8
	v_max_f32_e32 v2, v4, v2
	v_cndmask_b32_e64 v3, v6, v3, s[42:43]
	v_lshlrev_b32_e32 v41, 2, v3
	ds_bpermute_b32 v3, v41, v2
	s_waitcnt vmcnt(3)
	v_mad_i64_i32 v[30:31], s[42:43], v38, s49, v[18:19]
	s_waitcnt vmcnt(2)
	v_mad_i64_i32 v[18:19], s[42:43], v39, s49, v[18:19]
	s_waitcnt lgkmcnt(0)
	v_max_f32_e32 v3, v3, v3
	v_max_f32_e32 v34, v2, v3
	v_sub_f32_e32 v2, v5, v34
	v_mul_f32_e32 v2, 0x3fb8aa3b, v2
	v_exp_f32_e32 v38, v2
	v_sub_f32_e32 v2, v35, v34
	v_mul_f32_e32 v2, 0x3fb8aa3b, v2
	v_exp_f32_e32 v35, v2
	global_load_dwordx4 v[6:9], v[30:31], off
	global_load_dwordx4 v[2:5], v[18:19], off
	v_sub_f32_e32 v26, v26, v34
	v_mul_f32_e32 v26, 0x3fb8aa3b, v26
	v_sub_f32_e32 v27, v27, v34
	v_exp_f32_e32 v26, v26
	v_mul_f32_e32 v27, 0x3fb8aa3b, v27
	v_exp_f32_e32 v27, v27
	v_cndmask_b32_e64 v18, 0, v38, s[34:35]
	v_add_f32_e32 v30, 0, v18
	v_cndmask_b32_e64 v19, 0, v35, s[36:37]
	v_add_f32_e32 v31, v30, v19
	v_cndmask_b32_e64 v30, 0, v26, s[38:39]
	v_add_f32_e32 v26, v31, v30
	v_cndmask_b32_e64 v31, 0, v27, s[40:41]
	v_sub_f32_e32 v27, v36, v34
	v_mul_f32_e32 v27, 0x3fb8aa3b, v27
	v_sub_f32_e32 v35, v37, v34
	v_exp_f32_e32 v27, v27
	v_mul_f32_e32 v35, 0x3fb8aa3b, v35
	v_sub_f32_e32 v32, v32, v34
	v_exp_f32_e32 v35, v35
	;; [unrolled: 3-line block ×4, first 2 shown]
	v_mul_f32_e32 v28, 0x3fb8aa3b, v28
	v_sub_f32_e32 v29, v29, v34
	v_add_f32_e32 v36, v26, v31
	v_cndmask_b32_e64 v26, 0, v27, s[26:27]
	v_exp_f32_e32 v28, v28
	v_mul_f32_e32 v29, 0x3fb8aa3b, v29
	v_sub_f32_e32 v24, v24, v34
	v_add_f32_e32 v36, v36, v26
	v_cndmask_b32_e64 v27, 0, v35, s[28:29]
	v_exp_f32_e32 v29, v29
	;; [unrolled: 5-line block ×7, first 2 shown]
	v_mul_f32_e32 v21, 0x3fb8aa3b, v21
	v_add_f32_e32 v35, v35, v24
	v_cndmask_b32_e64 v25, 0, v25, s[16:17]
	v_exp_f32_e32 v21, v21
	v_add_f32_e32 v35, v35, v25
	v_cndmask_b32_e64 v22, 0, v22, s[10:11]
	v_add_f32_e32 v35, v35, v22
	v_cndmask_b32_e64 v23, 0, v23, s[12:13]
	v_add_f32_e32 v35, v35, v23
	v_cndmask_b32_e32 v20, 0, v20, vcc
	v_add_f32_e32 v35, v35, v20
	v_cndmask_b32_e64 v21, 0, v21, s[8:9]
	v_add_f32_e32 v35, v35, v21
	ds_bpermute_b32 v36, v40, v35
	v_cmp_gt_u32_e64 s[8:9], 16, v58
	s_waitcnt lgkmcnt(0)
	s_barrier
	v_add_f32_e32 v36, v35, v36
	ds_bpermute_b32 v37, v41, v36
	v_lshlrev_b32_e32 v35, 2, v57
	s_and_saveexec_b64 s[10:11], s[8:9]
	s_cbranch_execz .LBB824_15
; %bb.14:
	s_waitcnt lgkmcnt(0)
	v_add_f32_e32 v36, v36, v37
	v_lshl_or_b32 v37, v56, 6, v35
	ds_write2st64_b32 v37, v34, v36 offset1:1
.LBB824_15:
	s_or_b64 exec, exec, s[10:11]
	s_load_dwordx2 s[10:11], s[0:1], 0x94
	s_waitcnt lgkmcnt(0)
	s_barrier
	ds_read2_b32 v[36:37], v35 offset1:16
	ds_read2_b32 v[38:39], v35 offset0:32 offset1:48
	ds_read2_b32 v[40:41], v35 offset0:64 offset1:80
	s_waitcnt lgkmcnt(2)
	v_max3_f32 v34, v36, s5, v37
	s_waitcnt lgkmcnt(1)
	v_max3_f32 v34, v34, v38, v39
	v_sub_f32_e32 v36, v36, v34
	v_mul_f32_e32 v36, 0x3fb8aa3b, v36
	v_exp_f32_e32 v42, v36
	v_sub_f32_e32 v36, v37, v34
	v_mul_f32_e32 v36, 0x3fb8aa3b, v36
	v_exp_f32_e32 v43, v36
	;; [unrolled: 3-line block ×3, first 2 shown]
	ds_read2_b32 v[36:37], v35 offset0:96 offset1:112
	v_sub_f32_e32 v35, v39, v34
	v_mul_f32_e32 v35, 0x3fb8aa3b, v35
	v_exp_f32_e32 v39, v35
	s_waitcnt lgkmcnt(1)
	v_fma_f32 v35, v42, v40, 0
	v_fmac_f32_e32 v35, v43, v41
	s_waitcnt lgkmcnt(0)
	v_fmac_f32_e32 v35, v38, v36
	v_fmac_f32_e32 v35, v39, v37
	v_add_f32_e32 v37, 0x358637bd, v35
	v_div_scale_f32 v40, s[12:13], v37, v37, 1.0
	v_rcp_f32_e32 v41, v40
	s_barrier
	v_fma_f32 v44, -v40, v41, 1.0
	v_fmac_f32_e32 v41, v44, v41
	v_div_scale_f32 v44, vcc, 1.0, v37, 1.0
	v_mul_f32_e32 v45, v44, v41
	v_fma_f32 v46, -v40, v45, v44
	v_fmac_f32_e32 v45, v46, v41
	v_fma_f32 v40, -v40, v45, v44
	v_div_fmas_f32 v40, v40, v41, v45
	v_cmp_eq_u32_e32 vcc, 1, v56
	v_div_fixup_f32 v37, v40, v37, 1.0
	v_mov_b32_e32 v36, 0
	v_cndmask_b32_e32 v40, v42, v43, vcc
	v_cmp_eq_u32_e32 vcc, 2, v56
	s_nop 1
	v_cndmask_b32_e32 v38, v40, v38, vcc
	v_cmp_eq_u32_e32 vcc, 3, v56
	s_nop 1
	v_cndmask_b32_e32 v38, v38, v39, vcc
	v_mul_f32_e32 v38, v38, v37
	v_pk_mul_f32 v[30:31], v[38:39], v[30:31] op_sel_hi:[0,1]
	v_pk_mul_f32 v[18:19], v[38:39], v[18:19] op_sel_hi:[0,1]
	v_cvt_f16_f32_e32 v18, v18
	v_cvt_f16_f32_e32 v19, v19
	;; [unrolled: 1-line block ×4, first 2 shown]
	v_pk_mul_f32 v[32:33], v[38:39], v[32:33] op_sel_hi:[0,1]
	v_pk_mul_f32 v[26:27], v[38:39], v[26:27] op_sel_hi:[0,1]
	v_cvt_f16_f32_e32 v26, v26
	v_cvt_f16_f32_e32 v27, v27
	;; [unrolled: 1-line block ×4, first 2 shown]
	v_pack_b32_f16 v30, v18, v19
	v_pack_b32_f16 v31, v37, v31
	v_lshlrev_b32_e32 v18, 3, v54
	v_lshlrev_b32_e32 v19, 5, v57
	;; [unrolled: 1-line block ×3, first 2 shown]
	v_or3_b32 v18, v37, v19, v18
	v_pack_b32_f16 v26, v26, v27
	v_pack_b32_f16 v27, v32, v33
	ds_write2st64_b64 v18, v[30:31], v[26:27] offset1:1
	v_pk_mul_f32 v[24:25], v[38:39], v[24:25] op_sel_hi:[0,1]
	v_pk_mul_f32 v[26:27], v[38:39], v[28:29] op_sel_hi:[0,1]
	;; [unrolled: 1-line block ×4, first 2 shown]
	v_cvt_f16_f32_e32 v26, v26
	v_cvt_f16_f32_e32 v27, v27
	;; [unrolled: 1-line block ×8, first 2 shown]
	v_pack_b32_f16 v20, v26, v27
	v_pack_b32_f16 v21, v24, v25
	;; [unrolled: 1-line block ×4, first 2 shown]
	v_cmp_eq_u32_e32 vcc, 0, v0
	ds_write2st64_b64 v18, v[20:21], v[22:23] offset0:2 offset1:3
	s_and_saveexec_b64 s[12:13], vcc
	s_cbranch_execz .LBB824_17
; %bb.16:
	s_mul_i32 s3, s3, s11
	s_mul_hi_u32 s5, s2, s11
	s_add_i32 s5, s5, s3
	s_mul_i32 s3, s2, s11
	s_add_u32 s3, s3, s4
	s_addc_u32 s5, s5, 0
	s_load_dwordx4 s[16:19], s[0:1], 0x58
	s_mul_i32 s5, s5, s10
	s_mul_hi_u32 s14, s3, s10
	s_add_i32 s5, s14, s5
	s_mul_i32 s3, s3, s10
	s_add_u32 s14, s3, s30
	s_addc_u32 s15, s5, 0
	s_lshl_b64 s[14:15], s[14:15], 2
	s_waitcnt lgkmcnt(0)
	s_add_u32 s18, s18, s14
	s_addc_u32 s19, s19, s15
	s_add_u32 s14, s16, s14
	s_addc_u32 s15, s17, s15
	global_store_dword v36, v34, s[18:19]
	global_store_dword v36, v35, s[14:15]
.LBB824_17:
	s_or_b64 exec, exec, s[12:13]
	s_waitcnt vmcnt(3)
	v_cvt_pk_f32_fp8_e32 v[20:21], v14
	v_cvt_pk_f32_fp8_sdwa v[22:23], v14 src0_sel:WORD_1
	v_lshl_or_b32 v14, v54, 9, v19
	s_waitcnt lgkmcnt(0)
	s_barrier
	v_cvt_pk_f32_fp8_e32 v[24:25], v15
	v_cvt_pkrtz_f16_f32 v28, v20, v21
	v_cvt_pkrtz_f16_f32 v29, v22, v23
	v_cvt_pk_f32_fp8_sdwa v[26:27], v15 src0_sel:WORD_1
	ds_read_b128 v[20:23], v14
	v_cvt_pkrtz_f16_f32 v32, v24, v25
	v_cvt_pk_f32_fp8_e32 v[34:35], v16
	v_cvt_pkrtz_f16_f32 v33, v26, v27
	ds_read_b128 v[24:27], v14 offset:16
	v_cvt_pk_f32_fp8_sdwa v[36:37], v16 src0_sel:WORD_1
	s_waitcnt lgkmcnt(1)
	v_mfma_f32_16x16x16_f16 v[28:31], v[28:29], v[20:21], 0
	v_cvt_pkrtz_f16_f32 v34, v34, v35
	s_load_dword s12, s[46:47], 0x0
	v_cvt_pkrtz_f16_f32 v35, v36, v37
	v_cvt_pk_f32_fp8_e32 v[36:37], v17
	v_cvt_pk_f32_fp8_sdwa v[16:17], v17 src0_sel:WORD_1
	v_mfma_f32_16x16x16_f16 v[20:23], v[32:33], v[22:23], v[28:31]
	v_cmp_gt_u32_e32 vcc, 64, v0
	s_and_b64 s[6:7], s[6:7], vcc
	s_mov_b32 s3, 0
	v_cvt_pkrtz_f16_f32 v28, v36, v37
	v_cvt_pkrtz_f16_f32 v29, v16, v17
	s_waitcnt lgkmcnt(0)
	v_mfma_f32_16x16x16_f16 v[20:23], v[34:35], v[24:25], v[20:23]
	s_waitcnt vmcnt(2)
	v_cvt_pk_f32_fp8_e32 v[16:17], v10
	v_cvt_pk_f32_fp8_sdwa v[24:25], v10 src0_sel:WORD_1
	v_cvt_pk_f32_fp8_sdwa v[34:35], v12 src0_sel:WORD_1
	v_mfma_f32_16x16x16_f16 v[20:23], v[28:29], v[26:27], v[20:23]
	v_cvt_pk_f32_fp8_e32 v[26:27], v11
	v_cvt_pkrtz_f16_f32 v10, v16, v17
	v_cvt_pk_f32_fp8_sdwa v[16:17], v11 src0_sel:WORD_1
	v_cvt_pkrtz_f16_f32 v11, v24, v25
	v_cvt_pkrtz_f16_f32 v32, v26, v27
	ds_read_b128 v[24:27], v14 offset:2048
	ds_read_b128 v[28:31], v14 offset:2064
	v_cvt_pkrtz_f16_f32 v33, v16, v17
	v_cvt_pk_f32_fp8_e32 v[16:17], v12
	s_waitcnt lgkmcnt(1)
	v_mfma_f32_16x16x16_f16 v[20:23], v[10:11], v[24:25], v[20:23]
	v_cvt_pkrtz_f16_f32 v11, v34, v35
	v_cvt_pkrtz_f16_f32 v10, v16, v17
	v_cvt_pk_f32_fp8_e32 v[16:17], v13
	v_cvt_pk_f32_fp8_sdwa v[24:25], v13 src0_sel:WORD_1
	v_mfma_f32_16x16x16_f16 v[20:23], v[32:33], v[26:27], v[20:23]
	s_and_b64 s[6:7], s[6:7], s[8:9]
	v_cvt_pkrtz_f16_f32 v16, v16, v17
	v_cvt_pkrtz_f16_f32 v17, v24, v25
	s_waitcnt lgkmcnt(0)
	v_mfma_f32_16x16x16_f16 v[10:13], v[10:11], v[28:29], v[20:23]
	s_waitcnt vmcnt(1)
	v_cvt_pk_f32_fp8_sdwa v[24:25], v7 src0_sel:WORD_1
	v_cvt_pk_f32_fp8_e32 v[28:29], v8
	v_cvt_pk_f32_fp8_e32 v[20:21], v6
	v_mfma_f32_16x16x16_f16 v[10:13], v[16:17], v[30:31], v[10:13]
	v_cvt_pk_f32_fp8_sdwa v[16:17], v6 src0_sel:WORD_1
	v_cvt_pk_f32_fp8_e32 v[22:23], v7
	v_cvt_pkrtz_f16_f32 v6, v20, v21
	v_cvt_pk_f32_fp8_sdwa v[30:31], v8 src0_sel:WORD_1
	v_cvt_pkrtz_f16_f32 v7, v16, v17
	v_cvt_pkrtz_f16_f32 v16, v22, v23
	ds_read_b128 v[20:23], v14 offset:4096
	v_cvt_pkrtz_f16_f32 v17, v24, v25
	ds_read_b128 v[24:27], v14 offset:4112
	s_waitcnt lgkmcnt(1)
	v_mfma_f32_16x16x16_f16 v[10:13], v[6:7], v[20:21], v[10:13]
	v_cvt_pkrtz_f16_f32 v6, v28, v29
	v_cvt_pkrtz_f16_f32 v7, v30, v31
	v_cvt_pk_f32_fp8_e32 v[20:21], v9
	v_mfma_f32_16x16x16_f16 v[10:13], v[16:17], v[22:23], v[10:13]
	v_cvt_pk_f32_fp8_sdwa v[16:17], v9 src0_sel:WORD_1
	v_cvt_pkrtz_f16_f32 v20, v20, v21
	s_waitcnt lgkmcnt(0)
	v_mfma_f32_16x16x16_f16 v[6:9], v[6:7], v[24:25], v[10:13]
	v_cvt_pkrtz_f16_f32 v21, v16, v17
	s_waitcnt vmcnt(0)
	v_cvt_pk_f32_fp8_e32 v[16:17], v3
	v_cvt_pk_f32_fp8_sdwa v[24:25], v4 src0_sel:WORD_1
	v_cvt_pk_f32_fp8_e32 v[10:11], v2
	v_cvt_pk_f32_fp8_sdwa v[12:13], v2 src0_sel:WORD_1
	v_mfma_f32_16x16x16_f16 v[6:9], v[20:21], v[26:27], v[6:9]
	v_cvt_pk_f32_fp8_sdwa v[20:21], v3 src0_sel:WORD_1
	v_cvt_pkrtz_f16_f32 v2, v10, v11
	v_cvt_pkrtz_f16_f32 v3, v12, v13
	ds_read_b128 v[10:13], v14 offset:6144
	v_cvt_pkrtz_f16_f32 v22, v16, v17
	v_cvt_pkrtz_f16_f32 v23, v20, v21
	v_cvt_pk_f32_fp8_e32 v[20:21], v4
	s_waitcnt lgkmcnt(0)
	v_mfma_f32_16x16x16_f16 v[6:9], v[2:3], v[10:11], v[6:9]
	ds_read_b128 v[14:17], v14 offset:6160
	v_cvt_pkrtz_f16_f32 v2, v20, v21
	v_cvt_pkrtz_f16_f32 v3, v24, v25
	v_cvt_pk_f32_fp8_e32 v[10:11], v5
	v_mfma_f32_16x16x16_f16 v[6:9], v[22:23], v[12:13], v[6:9]
	v_cvt_pk_f32_fp8_sdwa v[12:13], v5 src0_sel:WORD_1
	s_waitcnt lgkmcnt(0)
	v_cvt_pkrtz_f16_f32 v10, v10, v11
	v_mfma_f32_16x16x16_f16 v[2:5], v[2:3], v[14:15], v[6:9]
	v_cvt_pkrtz_f16_f32 v11, v12, v13
	s_barrier
	s_nop 0
	v_mfma_f32_16x16x16_f16 v[2:5], v[10:11], v[16:17], v[2:5]
	s_nop 6
	v_pk_mul_f32 v[4:5], v[4:5], s[12:13] op_sel_hi:[1,0]
	v_pk_mul_f32 v[2:3], v[2:3], s[12:13] op_sel_hi:[1,0]
	v_cvt_f16_f32_e32 v4, v4
	v_cvt_f16_f32_e32 v2, v2
	;; [unrolled: 1-line block ×4, first 2 shown]
	v_pack_b32_f16 v2, v2, v3
	v_pack_b32_f16 v3, v4, v5
	ds_write_b64 v18, v[2:3]
	s_waitcnt lgkmcnt(0)
	s_barrier
	s_and_saveexec_b64 s[8:9], s[6:7]
	s_cbranch_execz .LBB824_19
; %bb.18:
	s_load_dwordx2 s[0:1], s[0:1], 0x68
	s_mul_i32 s2, s11, s2
	s_lshl_b32 s5, s10, 6
	s_mul_hi_u32 s7, s2, s5
	s_mul_i32 s6, s2, s5
	s_lshl_b64 s[6:7], s[6:7], 1
	v_lshlrev_b32_e32 v0, 10, v0
	s_waitcnt lgkmcnt(0)
	s_add_u32 s6, s0, s6
	v_and_b32_e32 v0, 0x1800, v0
	v_lshlrev_b32_e32 v2, 5, v54
	v_and_b32_e32 v3, 16, v55
	s_addc_u32 s7, s1, s7
	s_lshl_b32 s2, s30, 6
	v_or3_b32 v0, v0, v2, v3
	s_lshl_b64 s[0:1], s[2:3], 1
	ds_read_b128 v[2:5], v0
	s_add_u32 s2, s6, s0
	s_addc_u32 s3, s7, s1
	s_mul_hi_u32 s1, s5, s4
	s_mul_i32 s0, s5, s4
	s_lshl_b64 s[0:1], s[0:1], 1
	s_add_u32 s0, s2, s0
	s_addc_u32 s1, s3, s1
	s_waitcnt lgkmcnt(0)
	global_store_dwordx4 v1, v[2:5], s[0:1]
.LBB824_19:
	s_endpgm
	.section	.rodata,"a",@progbits
	.p2align	6, 0x0
	.amdhsa_kernel _Z39paged_attention_ll4mi_QKV_mfma16_kernelIDF16_hLN4vllm18Fp8KVCacheDataTypeE1EDF16_Li16ELi64ELi256ELb1ELi1EEvPKT_PKT0_S7_ifPKiS9_S9_iPKfiiiPfSC_PS2_PT2_iSB_SB_
		.amdhsa_group_segment_fixed_size 8192
		.amdhsa_private_segment_fixed_size 0
		.amdhsa_kernarg_size 400
		.amdhsa_user_sgpr_count 2
		.amdhsa_user_sgpr_dispatch_ptr 0
		.amdhsa_user_sgpr_queue_ptr 0
		.amdhsa_user_sgpr_kernarg_segment_ptr 1
		.amdhsa_user_sgpr_dispatch_id 0
		.amdhsa_user_sgpr_kernarg_preload_length 0
		.amdhsa_user_sgpr_kernarg_preload_offset 0
		.amdhsa_user_sgpr_private_segment_size 0
		.amdhsa_uses_dynamic_stack 0
		.amdhsa_enable_private_segment 0
		.amdhsa_system_sgpr_workgroup_id_x 1
		.amdhsa_system_sgpr_workgroup_id_y 1
		.amdhsa_system_sgpr_workgroup_id_z 1
		.amdhsa_system_sgpr_workgroup_info 0
		.amdhsa_system_vgpr_workitem_id 0
		.amdhsa_next_free_vgpr 74
		.amdhsa_next_free_sgpr 52
		.amdhsa_accum_offset 76
		.amdhsa_reserve_vcc 1
		.amdhsa_float_round_mode_32 0
		.amdhsa_float_round_mode_16_64 0
		.amdhsa_float_denorm_mode_32 3
		.amdhsa_float_denorm_mode_16_64 3
		.amdhsa_dx10_clamp 1
		.amdhsa_ieee_mode 1
		.amdhsa_fp16_overflow 0
		.amdhsa_tg_split 0
		.amdhsa_exception_fp_ieee_invalid_op 0
		.amdhsa_exception_fp_denorm_src 0
		.amdhsa_exception_fp_ieee_div_zero 0
		.amdhsa_exception_fp_ieee_overflow 0
		.amdhsa_exception_fp_ieee_underflow 0
		.amdhsa_exception_fp_ieee_inexact 0
		.amdhsa_exception_int_div_zero 0
	.end_amdhsa_kernel
	.section	.text._Z39paged_attention_ll4mi_QKV_mfma16_kernelIDF16_hLN4vllm18Fp8KVCacheDataTypeE1EDF16_Li16ELi64ELi256ELb1ELi1EEvPKT_PKT0_S7_ifPKiS9_S9_iPKfiiiPfSC_PS2_PT2_iSB_SB_,"axG",@progbits,_Z39paged_attention_ll4mi_QKV_mfma16_kernelIDF16_hLN4vllm18Fp8KVCacheDataTypeE1EDF16_Li16ELi64ELi256ELb1ELi1EEvPKT_PKT0_S7_ifPKiS9_S9_iPKfiiiPfSC_PS2_PT2_iSB_SB_,comdat
.Lfunc_end824:
	.size	_Z39paged_attention_ll4mi_QKV_mfma16_kernelIDF16_hLN4vllm18Fp8KVCacheDataTypeE1EDF16_Li16ELi64ELi256ELb1ELi1EEvPKT_PKT0_S7_ifPKiS9_S9_iPKfiiiPfSC_PS2_PT2_iSB_SB_, .Lfunc_end824-_Z39paged_attention_ll4mi_QKV_mfma16_kernelIDF16_hLN4vllm18Fp8KVCacheDataTypeE1EDF16_Li16ELi64ELi256ELb1ELi1EEvPKT_PKT0_S7_ifPKiS9_S9_iPKfiiiPfSC_PS2_PT2_iSB_SB_
                                        ; -- End function
	.section	.AMDGPU.csdata,"",@progbits
; Kernel info:
; codeLenInByte = 4708
; NumSgprs: 58
; NumVgprs: 74
; NumAgprs: 0
; TotalNumVgprs: 74
; ScratchSize: 0
; MemoryBound: 0
; FloatMode: 240
; IeeeMode: 1
; LDSByteSize: 8192 bytes/workgroup (compile time only)
; SGPRBlocks: 7
; VGPRBlocks: 9
; NumSGPRsForWavesPerEU: 58
; NumVGPRsForWavesPerEU: 74
; AccumOffset: 76
; Occupancy: 6
; WaveLimiterHint : 1
; COMPUTE_PGM_RSRC2:SCRATCH_EN: 0
; COMPUTE_PGM_RSRC2:USER_SGPR: 2
; COMPUTE_PGM_RSRC2:TRAP_HANDLER: 0
; COMPUTE_PGM_RSRC2:TGID_X_EN: 1
; COMPUTE_PGM_RSRC2:TGID_Y_EN: 1
; COMPUTE_PGM_RSRC2:TGID_Z_EN: 1
; COMPUTE_PGM_RSRC2:TIDIG_COMP_CNT: 0
; COMPUTE_PGM_RSRC3_GFX90A:ACCUM_OFFSET: 18
; COMPUTE_PGM_RSRC3_GFX90A:TG_SPLIT: 0
	.section	.text._Z39paged_attention_ll4mi_QKV_mfma16_kernelIDF16_hLN4vllm18Fp8KVCacheDataTypeE1EDF16_Li16ELi64ELi256ELb1ELi2EEvPKT_PKT0_S7_ifPKiS9_S9_iPKfiiiPfSC_PS2_PT2_iSB_SB_,"axG",@progbits,_Z39paged_attention_ll4mi_QKV_mfma16_kernelIDF16_hLN4vllm18Fp8KVCacheDataTypeE1EDF16_Li16ELi64ELi256ELb1ELi2EEvPKT_PKT0_S7_ifPKiS9_S9_iPKfiiiPfSC_PS2_PT2_iSB_SB_,comdat
	.protected	_Z39paged_attention_ll4mi_QKV_mfma16_kernelIDF16_hLN4vllm18Fp8KVCacheDataTypeE1EDF16_Li16ELi64ELi256ELb1ELi2EEvPKT_PKT0_S7_ifPKiS9_S9_iPKfiiiPfSC_PS2_PT2_iSB_SB_ ; -- Begin function _Z39paged_attention_ll4mi_QKV_mfma16_kernelIDF16_hLN4vllm18Fp8KVCacheDataTypeE1EDF16_Li16ELi64ELi256ELb1ELi2EEvPKT_PKT0_S7_ifPKiS9_S9_iPKfiiiPfSC_PS2_PT2_iSB_SB_
	.globl	_Z39paged_attention_ll4mi_QKV_mfma16_kernelIDF16_hLN4vllm18Fp8KVCacheDataTypeE1EDF16_Li16ELi64ELi256ELb1ELi2EEvPKT_PKT0_S7_ifPKiS9_S9_iPKfiiiPfSC_PS2_PT2_iSB_SB_
	.p2align	8
	.type	_Z39paged_attention_ll4mi_QKV_mfma16_kernelIDF16_hLN4vllm18Fp8KVCacheDataTypeE1EDF16_Li16ELi64ELi256ELb1ELi2EEvPKT_PKT0_S7_ifPKiS9_S9_iPKfiiiPfSC_PS2_PT2_iSB_SB_,@function
_Z39paged_attention_ll4mi_QKV_mfma16_kernelIDF16_hLN4vllm18Fp8KVCacheDataTypeE1EDF16_Li16ELi64ELi256ELb1ELi2EEvPKT_PKT0_S7_ifPKiS9_S9_iPKfiiiPfSC_PS2_PT2_iSB_SB_: ; @_Z39paged_attention_ll4mi_QKV_mfma16_kernelIDF16_hLN4vllm18Fp8KVCacheDataTypeE1EDF16_Li16ELi64ELi256ELb1ELi2EEvPKT_PKT0_S7_ifPKiS9_S9_iPKfiiiPfSC_PS2_PT2_iSB_SB_
; %bb.0:
	s_load_dwordx2 s[8:9], s[0:1], 0x30
	s_mov_b32 s16, s3
	s_mov_b64 s[6:7], 0
	s_waitcnt lgkmcnt(0)
	s_cmp_lg_u64 s[8:9], 0
	s_cselect_b64 s[10:11], -1, 0
	s_and_b64 vcc, exec, s[10:11]
	s_cbranch_vccz .LBB825_7
; %bb.1:
	s_add_i32 s12, s2, 1
	s_mov_b32 s13, 0
	s_lshl_b64 s[14:15], s[12:13], 2
	s_add_u32 s14, s8, s14
	s_mov_b32 s3, s13
	s_addc_u32 s15, s9, s15
	s_lshl_b64 s[12:13], s[2:3], 2
	s_add_u32 s12, s8, s12
	s_addc_u32 s13, s9, s13
	s_load_dword s5, s[14:15], 0x0
	s_load_dword s17, s[12:13], 0x0
	s_waitcnt lgkmcnt(0)
	s_sub_i32 s5, s5, s17
	s_cmp_eq_u32 s5, 1
	s_cselect_b64 s[12:13], -1, 0
	s_andn2_b64 vcc, exec, s[6:7]
	s_cbranch_vccnz .LBB825_3
.LBB825_2:
	s_mov_b32 s3, 0
	s_mov_b64 s[12:13], -1
.LBB825_3:
	s_andn2_b64 vcc, exec, s[12:13]
	s_cbranch_vccnz .LBB825_19
; %bb.4:
	s_load_dwordx2 s[6:7], s[0:1], 0x28
	s_lshl_b64 s[12:13], s[2:3], 2
	s_waitcnt lgkmcnt(0)
	s_add_u32 s6, s6, s12
	s_addc_u32 s7, s7, s13
	s_load_dword s33, s[6:7], 0x0
	s_lshl_b32 s20, s16, 8
	s_waitcnt lgkmcnt(0)
	s_cmp_ge_i32 s20, s33
	s_cbranch_scc1 .LBB825_19
; %bb.5:
	s_load_dwordx2 s[6:7], s[0:1], 0x20
	s_load_dword s5, s[0:1], 0x38
	s_add_i32 s14, s33, 15
	s_ashr_i32 s15, s14, 31
	v_and_b32_e32 v1, 0xcf, v0
	s_lshr_b32 s15, s15, 28
	v_add_u32_e32 v1, s20, v1
	s_add_i32 s14, s14, s15
	v_ashrrev_i32_e32 v2, 31, v1
	s_ashr_i32 s21, s14, 4
	v_lshrrev_b32_e32 v4, 28, v2
	s_add_i32 s21, s21, -1
	s_waitcnt lgkmcnt(0)
	s_mul_i32 s14, s2, s5
	s_mov_b32 s15, 0
	v_add_u32_e32 v2, v1, v4
	s_lshl_b64 s[14:15], s[14:15], 2
	v_ashrrev_i32_e32 v2, 4, v2
	v_mov_b32_e32 v5, s21
	v_cmp_gt_i32_e32 vcc, s33, v1
	s_add_u32 s6, s6, s14
	s_addc_u32 s7, s7, s15
	v_cndmask_b32_e32 v2, v5, v2, vcc
	v_ashrrev_i32_e32 v3, 31, v2
	v_lshl_add_u64 v[6:7], v[2:3], 2, s[6:7]
	v_or_b32_e32 v2, 16, v1
	v_add_u32_e32 v3, v2, v4
	v_ashrrev_i32_e32 v3, 4, v3
	v_cmp_gt_i32_e32 vcc, s33, v2
	s_load_dwordx2 s[14:15], s[0:1], 0x8
	s_nop 0
	v_cndmask_b32_e32 v2, v5, v3, vcc
	v_ashrrev_i32_e32 v3, 31, v2
	v_lshl_add_u64 v[8:9], v[2:3], 2, s[6:7]
	v_or_b32_e32 v2, 32, v1
	v_add_u32_e32 v3, v2, v4
	v_ashrrev_i32_e32 v3, 4, v3
	v_cmp_gt_i32_e32 vcc, s33, v2
	v_or_b32_e32 v1, 48, v1
	s_nop 0
	v_cndmask_b32_e32 v2, v5, v3, vcc
	v_ashrrev_i32_e32 v3, 31, v2
	v_lshl_add_u64 v[10:11], v[2:3], 2, s[6:7]
	v_add_u32_e32 v2, v1, v4
	v_ashrrev_i32_e32 v2, 4, v2
	v_cmp_gt_i32_e32 vcc, s33, v1
	s_nop 1
	v_cndmask_b32_e32 v2, v5, v2, vcc
	v_ashrrev_i32_e32 v3, 31, v2
	v_lshl_add_u64 v[12:13], v[2:3], 2, s[6:7]
	global_load_dword v5, v[6:7], off
	global_load_dword v4, v[8:9], off
	;; [unrolled: 1-line block ×4, first 2 shown]
	s_andn2_b64 vcc, exec, s[10:11]
	s_cbranch_vccnz .LBB825_8
; %bb.6:
	s_add_u32 s8, s8, s12
	s_addc_u32 s9, s9, s13
	s_load_dword s5, s[8:9], 0x0
	s_branch .LBB825_9
.LBB825_7:
	s_mov_b64 s[12:13], 0
	s_branch .LBB825_2
.LBB825_8:
	s_mov_b32 s5, s2
.LBB825_9:
	s_load_dwordx2 s[8:9], s[0:1], 0x10
	s_load_dwordx4 s[44:47], s[0:1], 0x48
	v_lshrrev_b32_e32 v46, 6, v0
	v_bfe_u32 v1, v0, 4, 2
	v_lshl_or_b32 v6, v46, 2, v1
	v_and_b32_e32 v47, 15, v0
	v_lshlrev_b32_e32 v7, 3, v47
	v_cmp_gt_u32_e32 vcc, 2, v6
	v_cmp_gt_u32_e64 s[18:19], 8, v47
	s_lshl_b32 s17, s4, 1
	s_and_b64 s[12:13], s[18:19], vcc
	v_lshlrev_b32_e32 v26, 1, v7
	v_lshlrev_b32_e32 v44, 4, v0
	s_and_saveexec_b64 s[10:11], s[12:13]
	s_cbranch_execz .LBB825_11
; %bb.10:
	s_load_dwordx2 s[12:13], s[0:1], 0x0
	s_waitcnt lgkmcnt(0)
	s_ashr_i32 s22, s44, 31
	s_mul_hi_u32 s23, s5, s44
	s_mul_i32 s22, s5, s22
	s_add_i32 s23, s23, s22
	s_mul_i32 s22, s5, s44
	s_lshl_b64 s[22:23], s[22:23], 1
	s_add_u32 s12, s12, s22
	v_add_lshl_u32 v8, v1, s17, 6
	s_addc_u32 s13, s13, s23
	v_ashrrev_i32_e32 v9, 31, v8
	v_lshl_add_u64 v[8:9], v[8:9], 1, s[12:13]
	v_mov_b32_e32 v27, 0
	v_lshl_add_u64 v[8:9], v[8:9], 0, v[26:27]
	global_load_dwordx4 v[8:11], v[8:9], off
	v_lshlrev_b32_e32 v12, 8, v47
	v_lshlrev_b32_e32 v6, 5, v6
	v_and_b32_e32 v7, 16, v44
	v_and_b32_e32 v12, 0xe00, v12
	v_or3_b32 v6, v12, v6, v7
	s_waitcnt vmcnt(0)
	ds_write_b128 v6, v[8:11]
.LBB825_11:
	s_or_b64 exec, exec, s[10:11]
	s_waitcnt lgkmcnt(0)
	s_mul_i32 s10, s4, s46
	s_add_u32 s4, s14, s10
	s_addc_u32 s5, s15, 0
	v_and_b32_e32 v30, 48, v0
	v_and_b32_e32 v28, 0xf0, v44
	v_mov_b32_e32 v29, 0
	v_lshl_add_u64 v[6:7], s[4:5], 0, v[28:29]
	v_lshlrev_b32_e32 v28, 4, v30
	v_lshl_add_u64 v[6:7], v[6:7], 0, v[28:29]
	s_waitcnt vmcnt(3)
	v_mad_i64_i32 v[8:9], s[4:5], v5, s45, v[6:7]
	s_waitcnt vmcnt(2)
	v_mad_i64_i32 v[4:5], s[4:5], v4, s45, v[6:7]
	s_barrier
	global_load_dwordx4 v[22:25], v[8:9], off
	global_load_dwordx4 v[18:21], v[4:5], off
	s_waitcnt vmcnt(3)
	v_mad_i64_i32 v[4:5], s[4:5], v3, s45, v[6:7]
	s_waitcnt vmcnt(2)
	v_mad_i64_i32 v[2:3], s[4:5], v2, s45, v[6:7]
	global_load_dwordx4 v[14:17], v[4:5], off
	global_load_dwordx4 v[6:9], v[2:3], off
	v_and_b32_e32 v2, 1, v0
	v_lshlrev_b32_e32 v2, 5, v2
	v_lshl_or_b32 v2, v1, 9, v2
	ds_read_b128 v[10:13], v2
	ds_read_b128 v[2:5], v2 offset:16
	v_and_b32_e32 v45, 63, v0
	v_cmp_gt_u32_e32 vcc, 2, v47
	v_mov_b32_e32 v27, 0
	s_and_saveexec_b64 s[4:5], vcc
	s_cbranch_execz .LBB825_13
; %bb.12:
	s_load_dwordx2 s[12:13], s[0:1], 0x40
	v_or_b32_e32 v32, s17, v47
	v_ashrrev_i32_e32 v33, 31, v32
	s_waitcnt lgkmcnt(0)
	v_lshl_add_u64 v[32:33], v[32:33], 2, s[12:13]
	global_load_dword v27, v[32:33], off
.LBB825_13:
	s_or_b64 exec, exec, s[4:5]
	v_or_b32_e32 v49, s20, v30
	v_ashrrev_i32_e32 v28, 4, v49
	v_mov_b32_e32 v63, s21
	v_cmp_gt_i32_e32 vcc, s33, v49
	s_waitcnt vmcnt(3)
	v_cvt_pk_f32_fp8_e32 v[38:39], v22
	v_cvt_pk_f32_fp8_sdwa v[40:41], v22 src0_sel:WORD_1
	v_cndmask_b32_e32 v30, v63, v28, vcc
	v_ashrrev_i32_e32 v31, 31, v30
	v_lshl_add_u64 v[30:31], v[30:31], 2, s[6:7]
	global_load_dword v48, v[30:31], off
	v_cvt_pk_f32_fp8_e32 v[42:43], v23
	v_cvt_pk_f32_fp8_sdwa v[30:31], v23 src0_sel:WORD_1
	v_cvt_pk_f32_fp8_e32 v[34:35], v24
	v_cvt_pk_f32_fp8_sdwa v[36:37], v24 src0_sel:WORD_1
	;; [unrolled: 2-line block ×3, first 2 shown]
	s_waitcnt vmcnt(3)
	v_cvt_pk_f32_fp8_e32 v[24:25], v18
	v_cvt_pk_f32_fp8_sdwa v[50:51], v18 src0_sel:WORD_1
	v_cvt_pk_f32_fp8_e32 v[54:55], v20
	v_cvt_pk_f32_fp8_sdwa v[56:57], v20 src0_sel:WORD_1
	v_cvt_pk_f32_fp8_e32 v[58:59], v21
	v_cvt_pk_f32_fp8_sdwa v[60:61], v21 src0_sel:WORD_1
	v_cvt_pkrtz_f16_f32 v20, v38, v39
	v_cvt_pkrtz_f16_f32 v21, v40, v41
	s_add_u32 s4, s8, s10
	v_cvt_pk_f32_fp8_e32 v[52:53], v19
	v_cvt_pk_f32_fp8_sdwa v[18:19], v19 src0_sel:WORD_1
	v_lshlrev_b32_e32 v28, 4, v47
	v_lshl_or_b32 v28, v46, 8, v28
	s_addc_u32 s5, s9, 0
	v_lshl_add_u64 v[28:29], s[4:5], 0, v[28:29]
	s_load_dword s4, s[0:1], 0x1c
	s_load_dwordx4 s[40:43], s[0:1], 0x80
	v_cvt_pkrtz_f16_f32 v24, v24, v25
	v_cvt_pkrtz_f16_f32 v25, v50, v51
	;; [unrolled: 1-line block ×6, first 2 shown]
	s_waitcnt lgkmcnt(0)
	v_mfma_f32_16x16x16_f16 v[18:21], v[20:21], v[10:11], 0
	s_waitcnt vmcnt(2)
	v_cvt_pk_f32_fp8_e32 v[38:39], v14
	v_cvt_pk_f32_fp8_sdwa v[40:41], v14 src0_sel:WORD_1
	v_or_b32_e32 v14, 64, v49
	v_or_b32_e32 v64, 0x80, v49
	v_ashrrev_i32_e32 v62, 4, v14
	v_cvt_pkrtz_f16_f32 v50, v34, v35
	v_cvt_pkrtz_f16_f32 v51, v36, v37
	v_cmp_gt_i32_e32 vcc, s33, v14
	s_load_dword s44, s[0:1], 0x98
	s_load_dword s5, s[40:41], 0x0
	v_or_b32_e32 v49, 0xc0, v49
	v_ashrrev_i32_e32 v65, 4, v64
	v_cndmask_b32_e32 v62, v63, v62, vcc
	v_cmp_gt_i32_e32 vcc, s33, v64
	v_cvt_pkrtz_f16_f32 v35, v22, v23
	v_mfma_f32_16x16x16_f16 v[22:25], v[24:25], v[10:11], 0
	v_ashrrev_i32_e32 v66, 4, v49
	v_cndmask_b32_e32 v64, v63, v65, vcc
	v_cmp_gt_i32_e32 vcc, s33, v49
	v_mfma_f32_16x16x16_f16 v[18:21], v[42:43], v[12:13], v[18:21]
	v_ashrrev_i32_e32 v65, 31, v64
	v_cndmask_b32_e32 v66, v63, v66, vcc
	v_ashrrev_i32_e32 v63, 31, v62
	v_cvt_pkrtz_f16_f32 v34, v32, v33
	v_ashrrev_i32_e32 v67, 31, v66
	v_cvt_pkrtz_f16_f32 v54, v54, v55
	v_cvt_pkrtz_f16_f32 v55, v56, v57
	;; [unrolled: 1-line block ×4, first 2 shown]
	v_lshl_add_u64 v[38:39], v[62:63], 2, s[6:7]
	v_lshl_add_u64 v[40:41], v[64:65], 2, s[6:7]
	v_mov_b32_e32 v14, s4
	v_cvt_pk_f32_fp8_e32 v[30:31], v15
	v_mfma_f32_16x16x16_f16 v[22:25], v[52:53], v[12:13], v[22:25]
	v_lshl_add_u64 v[42:43], v[66:67], 2, s[6:7]
	v_cvt_pkrtz_f16_f32 v36, v58, v59
	v_cvt_pkrtz_f16_f32 v37, v60, v61
	v_mfma_f32_16x16x16_f16 v[18:21], v[50:51], v[2:3], v[18:21]
	global_load_dword v50, v[38:39], off
	global_load_dword v51, v[40:41], off
	;; [unrolled: 1-line block ×3, first 2 shown]
	s_waitcnt lgkmcnt(0)
	v_mul_f32_e32 v40, s5, v14
	v_cvt_pk_f32_fp8_sdwa v[14:15], v15 src0_sel:WORD_1
	v_mfma_f32_16x16x16_f16 v[22:25], v[54:55], v[2:3], v[22:25]
	v_cvt_pk_f32_fp8_e32 v[38:39], v16
	v_cvt_pk_f32_fp8_sdwa v[42:43], v16 src0_sel:WORD_1
	s_mov_b32 s46, 0xff7fffff
	v_mfma_f32_16x16x16_f16 v[18:21], v[34:35], v[4:5], v[18:21]
	v_cvt_pkrtz_f16_f32 v34, v30, v31
	v_cvt_pkrtz_f16_f32 v35, v14, v15
	;; [unrolled: 1-line block ×3, first 2 shown]
	v_mfma_f32_16x16x16_f16 v[30:33], v[32:33], v[10:11], 0
	v_cvt_pkrtz_f16_f32 v39, v42, v43
	v_cvt_pk_f32_fp8_e32 v[42:43], v17
	v_mfma_f32_16x16x16_f16 v[22:25], v[36:37], v[4:5], v[22:25]
	s_waitcnt vmcnt(3)
	v_mad_i64_i32 v[36:37], s[4:5], v48, s45, v[28:29]
	v_cvt_pk_f32_fp8_sdwa v[48:49], v17 src0_sel:WORD_1
	v_mfma_f32_16x16x16_f16 v[14:17], v[34:35], v[12:13], v[30:33]
	v_cvt_pk_f32_fp8_e32 v[34:35], v8
	s_nop 1
	v_pk_mul_f32 v[30:31], v[40:41], v[20:21] op_sel_hi:[0,1]
	v_cvt_pkrtz_f16_f32 v20, v42, v43
	v_cvt_pkrtz_f16_f32 v21, v48, v49
	v_mfma_f32_16x16x16_f16 v[14:17], v[38:39], v[2:3], v[14:17]
	v_pk_mul_f32 v[38:39], v[40:41], v[18:19] op_sel_hi:[0,1]
	v_cvt_pk_f32_fp8_e32 v[18:19], v6
	v_cvt_pk_f32_fp8_sdwa v[32:33], v6 src0_sel:WORD_1
	v_mfma_f32_16x16x16_f16 v[14:17], v[20:21], v[4:5], v[14:17]
	v_cvt_pk_f32_fp8_e32 v[20:21], v7
	v_cvt_pkrtz_f16_f32 v18, v18, v19
	v_cvt_pkrtz_f16_f32 v19, v32, v33
	v_cvt_pk_f32_fp8_sdwa v[6:7], v7 src0_sel:WORD_1
	v_cvt_pkrtz_f16_f32 v32, v20, v21
	v_cvt_pk_f32_fp8_sdwa v[42:43], v8 src0_sel:WORD_1
	v_mfma_f32_16x16x16_f16 v[18:21], v[18:19], v[10:11], 0
	v_cvt_pkrtz_f16_f32 v33, v6, v7
	v_cvt_pkrtz_f16_f32 v10, v34, v35
	;; [unrolled: 1-line block ×3, first 2 shown]
	v_cvt_pk_f32_fp8_e32 v[34:35], v9
	v_cvt_pk_f32_fp8_sdwa v[42:43], v9 src0_sel:WORD_1
	v_mfma_f32_16x16x16_f16 v[6:9], v[32:33], v[12:13], v[18:21]
	v_pk_mul_f32 v[32:33], v[40:41], v[24:25] op_sel_hi:[0,1]
	v_cvt_pkrtz_f16_f32 v12, v34, v35
	v_cvt_pkrtz_f16_f32 v13, v42, v43
	v_mfma_f32_16x16x16_f16 v[6:9], v[10:11], v[2:3], v[6:9]
	v_pk_mul_f32 v[34:35], v[40:41], v[22:23] op_sel_hi:[0,1]
	v_pk_mul_f32 v[22:23], v[40:41], v[16:17] op_sel_hi:[0,1]
	;; [unrolled: 1-line block ×3, first 2 shown]
	v_mfma_f32_16x16x16_f16 v[2:5], v[12:13], v[4:5], v[6:9]
	s_nop 6
	v_pk_mul_f32 v[20:21], v[40:41], v[2:3] op_sel_hi:[0,1]
	v_and_b32_e32 v2, 0xc0, v0
	v_add_u32_e32 v2, s20, v2
	v_lshl_or_b32 v2, v1, 2, v2
	v_or_b32_e32 v3, 1, v2
	v_pk_mul_f32 v[18:19], v[40:41], v[4:5] op_sel_hi:[0,1]
	v_subrev_u32_e32 v4, s33, v3
	v_add_u32_e32 v6, 1, v4
	v_add_u32_e32 v7, 2, v4
	;; [unrolled: 1-line block ×3, first 2 shown]
	v_cvt_f32_i32_e32 v6, v6
	v_cvt_f32_i32_e32 v7, v7
	;; [unrolled: 1-line block ×3, first 2 shown]
	v_add_u32_e32 v9, 19, v4
	v_fmac_f32_e32 v39, v27, v6
	v_fma_f32 v30, v27, v7, v30
	v_fmac_f32_e32 v31, v27, v8
	v_add_u32_e32 v6, 16, v4
	v_add_u32_e32 v7, 17, v4
	;; [unrolled: 1-line block ×3, first 2 shown]
	v_cvt_f32_i32_e32 v6, v6
	v_cvt_f32_i32_e32 v7, v7
	v_cvt_f32_i32_e32 v8, v8
	v_cvt_f32_i32_e32 v9, v9
	v_fma_f32 v34, v27, v6, v34
	v_fmac_f32_e32 v35, v27, v7
	v_fma_f32 v32, v27, v8, v32
	v_add_u32_e32 v6, 32, v4
	v_add_u32_e32 v7, 33, v4
	;; [unrolled: 1-line block ×3, first 2 shown]
	v_cvt_f32_i32_e32 v6, v6
	v_cvt_f32_i32_e32 v7, v7
	;; [unrolled: 1-line block ×4, first 2 shown]
	v_fmac_f32_e32 v33, v27, v9
	v_add_u32_e32 v9, 35, v4
	v_fma_f32 v24, v27, v6, v24
	v_fmac_f32_e32 v25, v27, v7
	v_fma_f32 v22, v27, v8, v22
	v_add_u32_e32 v6, 48, v4
	v_add_u32_e32 v7, 49, v4
	;; [unrolled: 1-line block ×4, first 2 shown]
	v_cvt_f32_i32_e32 v4, v4
	v_cvt_f32_i32_e32 v6, v6
	;; [unrolled: 1-line block ×3, first 2 shown]
	v_fma_f32 v5, v27, v5, v38
	v_fmac_f32_e32 v19, v27, v4
	v_mov_b32_e32 v4, 0xff7fffff
	v_cmp_gt_i32_e64 s[4:5], s33, v2
	v_cmp_gt_i32_e64 s[20:21], s33, v3
	v_fma_f32 v20, v27, v6, v20
	v_cndmask_b32_e64 v6, v4, v5, s[4:5]
	v_cndmask_b32_e64 v3, v4, v39, s[20:21]
	v_fmac_f32_e32 v21, v27, v7
	v_max3_f32 v3, v6, s46, v3
	v_or_b32_e32 v6, 2, v2
	v_or_b32_e32 v7, 3, v2
	v_cmp_gt_i32_e64 s[22:23], s33, v6
	v_cmp_gt_i32_e64 s[24:25], s33, v7
	v_cvt_f32_i32_e32 v9, v9
	v_cndmask_b32_e64 v6, v4, v30, s[22:23]
	v_cndmask_b32_e64 v7, v4, v31, s[24:25]
	v_max3_f32 v3, v3, v6, v7
	v_or_b32_e32 v6, 16, v2
	v_or_b32_e32 v7, 17, v2
	v_cmp_gt_i32_e64 s[26:27], s33, v6
	v_cmp_gt_i32_e64 s[28:29], s33, v7
	v_fmac_f32_e32 v23, v27, v9
	v_cndmask_b32_e64 v6, v4, v34, s[26:27]
	v_cndmask_b32_e64 v7, v4, v35, s[28:29]
	v_max3_f32 v3, v3, v6, v7
	v_or_b32_e32 v6, 18, v2
	v_or_b32_e32 v7, 19, v2
	v_cmp_gt_i32_e64 s[30:31], s33, v6
	v_cmp_gt_i32_e64 s[34:35], s33, v7
	v_cvt_f32_i32_e32 v8, v8
	v_cndmask_b32_e64 v6, v4, v32, s[30:31]
	v_cndmask_b32_e64 v7, v4, v33, s[34:35]
	v_max3_f32 v3, v3, v6, v7
	v_or_b32_e32 v6, 32, v2
	v_or_b32_e32 v7, 33, v2
	v_cmp_gt_i32_e64 s[36:37], s33, v6
	v_cmp_gt_i32_e64 s[38:39], s33, v7
	v_fma_f32 v18, v27, v8, v18
	v_cndmask_b32_e64 v6, v4, v24, s[36:37]
	v_cndmask_b32_e64 v7, v4, v25, s[38:39]
	v_max3_f32 v3, v3, v6, v7
	v_or_b32_e32 v6, 34, v2
	v_or_b32_e32 v7, 35, v2
	v_cmp_gt_i32_e64 s[12:13], s33, v6
	v_cmp_gt_i32_e64 s[14:15], s33, v7
	s_nop 0
	v_cndmask_b32_e64 v6, v4, v22, s[12:13]
	v_cndmask_b32_e64 v7, v4, v23, s[14:15]
	v_max3_f32 v3, v3, v6, v7
	v_or_b32_e32 v6, 48, v2
	v_or_b32_e32 v7, 49, v2
	v_cmp_gt_i32_e64 s[8:9], s33, v6
	v_cmp_gt_i32_e64 s[10:11], s33, v7
	s_nop 0
	v_cndmask_b32_e64 v6, v4, v20, s[8:9]
	v_cndmask_b32_e64 v7, v4, v21, s[10:11]
	v_max3_f32 v3, v3, v6, v7
	v_or_b32_e32 v6, 50, v2
	v_or_b32_e32 v2, 51, v2
	v_cmp_gt_i32_e32 vcc, s33, v6
	v_cmp_gt_i32_e64 s[6:7], s33, v2
	s_nop 0
	v_cndmask_b32_e32 v6, v4, v18, vcc
	v_cndmask_b32_e64 v2, v4, v19, s[6:7]
	v_max3_f32 v4, v3, v6, v2
	v_mbcnt_lo_u32_b32 v2, -1, 0
	v_mbcnt_hi_u32_b32 v6, -1, v2
	v_and_b32_e32 v2, 64, v6
	v_add_u32_e32 v7, 64, v2
	v_xor_b32_e32 v2, 32, v6
	v_cmp_lt_i32_e64 s[40:41], v2, v7
	s_nop 1
	v_cndmask_b32_e64 v2, v6, v2, s[40:41]
	v_lshlrev_b32_e32 v40, 2, v2
	ds_bpermute_b32 v8, v40, v4
	s_waitcnt vmcnt(2)
	v_mad_i64_i32 v[2:3], s[40:41], v50, s45, v[28:29]
	global_load_dwordx4 v[14:17], v[36:37], off
	global_load_dwordx4 v[10:13], v[2:3], off
	v_xor_b32_e32 v3, 16, v6
	v_cmp_lt_i32_e64 s[40:41], v3, v7
	s_waitcnt lgkmcnt(0)
	v_max_f32_e32 v2, v8, v8
	v_max_f32_e32 v2, v4, v2
	v_cndmask_b32_e64 v3, v6, v3, s[40:41]
	v_lshlrev_b32_e32 v41, 2, v3
	ds_bpermute_b32 v3, v41, v2
	s_waitcnt vmcnt(3)
	v_mad_i64_i32 v[36:37], s[40:41], v51, s45, v[28:29]
	s_waitcnt vmcnt(2)
	v_mad_i64_i32 v[28:29], s[40:41], v52, s45, v[28:29]
	s_waitcnt lgkmcnt(0)
	v_max_f32_e32 v3, v3, v3
	v_max_f32_e32 v27, v2, v3
	v_sub_f32_e32 v2, v5, v27
	v_mul_f32_e32 v2, 0x3fb8aa3b, v2
	v_exp_f32_e32 v38, v2
	v_sub_f32_e32 v2, v39, v27
	v_mul_f32_e32 v2, 0x3fb8aa3b, v2
	v_exp_f32_e32 v39, v2
	global_load_dwordx4 v[6:9], v[36:37], off
	global_load_dwordx4 v[2:5], v[28:29], off
	v_sub_f32_e32 v29, v30, v27
	v_sub_f32_e32 v30, v31, v27
	v_mul_f32_e32 v29, 0x3fb8aa3b, v29
	v_mul_f32_e32 v30, 0x3fb8aa3b, v30
	v_exp_f32_e32 v29, v29
	v_exp_f32_e32 v30, v30
	v_cndmask_b32_e64 v36, 0, v38, s[4:5]
	v_cndmask_b32_e64 v37, 0, v39, s[20:21]
	v_cndmask_b32_e64 v38, 0, v29, s[22:23]
	v_cndmask_b32_e64 v39, 0, v30, s[24:25]
	v_sub_f32_e32 v29, v34, v27
	v_sub_f32_e32 v30, v35, v27
	v_mul_f32_e32 v29, 0x3fb8aa3b, v29
	v_mul_f32_e32 v30, 0x3fb8aa3b, v30
	v_exp_f32_e32 v29, v29
	v_exp_f32_e32 v30, v30
	v_add_f32_e32 v28, 0, v36
	v_add_f32_e32 v28, v28, v37
	;; [unrolled: 1-line block ×4, first 2 shown]
	v_cndmask_b32_e64 v28, 0, v29, s[26:27]
	v_cndmask_b32_e64 v29, 0, v30, s[28:29]
	v_sub_f32_e32 v30, v32, v27
	v_mul_f32_e32 v30, 0x3fb8aa3b, v30
	v_sub_f32_e32 v32, v33, v27
	v_exp_f32_e32 v30, v30
	v_mul_f32_e32 v32, 0x3fb8aa3b, v32
	v_sub_f32_e32 v24, v24, v27
	v_exp_f32_e32 v32, v32
	;; [unrolled: 3-line block ×3, first 2 shown]
	v_mul_f32_e32 v25, 0x3fb8aa3b, v25
	v_sub_f32_e32 v22, v22, v27
	v_add_f32_e32 v31, v31, v28
	v_exp_f32_e32 v25, v25
	v_mul_f32_e32 v22, 0x3fb8aa3b, v22
	v_sub_f32_e32 v23, v23, v27
	v_add_f32_e32 v31, v31, v29
	v_cndmask_b32_e64 v30, 0, v30, s[30:31]
	v_exp_f32_e32 v22, v22
	v_mul_f32_e32 v23, 0x3fb8aa3b, v23
	v_sub_f32_e32 v20, v20, v27
	v_add_f32_e32 v33, v31, v30
	v_cndmask_b32_e64 v31, 0, v32, s[34:35]
	;; [unrolled: 5-line block ×5, first 2 shown]
	v_exp_f32_e32 v18, v18
	v_mul_f32_e32 v19, 0x3fb8aa3b, v19
	v_add_f32_e32 v32, v32, v22
	v_cndmask_b32_e64 v23, 0, v23, s[14:15]
	v_exp_f32_e32 v19, v19
	v_add_f32_e32 v32, v32, v23
	v_cndmask_b32_e64 v20, 0, v20, s[8:9]
	v_add_f32_e32 v32, v32, v20
	v_cndmask_b32_e64 v21, 0, v21, s[10:11]
	v_add_f32_e32 v32, v32, v21
	v_cndmask_b32_e32 v18, 0, v18, vcc
	v_add_f32_e32 v32, v32, v18
	v_cndmask_b32_e64 v19, 0, v19, s[6:7]
	v_add_f32_e32 v32, v32, v19
	ds_bpermute_b32 v33, v40, v32
	v_cmp_gt_u32_e32 vcc, 16, v45
	s_waitcnt lgkmcnt(0)
	s_barrier
	v_add_f32_e32 v33, v32, v33
	ds_bpermute_b32 v34, v41, v33
	v_lshlrev_b32_e32 v32, 2, v47
	s_and_saveexec_b64 s[4:5], vcc
	s_cbranch_execz .LBB825_15
; %bb.14:
	s_waitcnt lgkmcnt(0)
	v_add_f32_e32 v33, v33, v34
	v_lshl_or_b32 v34, v46, 6, v32
	ds_write2st64_b32 v34, v27, v33 offset1:1
.LBB825_15:
	s_or_b64 exec, exec, s[4:5]
	s_load_dword s6, s[0:1], 0x94
	s_waitcnt lgkmcnt(0)
	s_barrier
	ds_read2_b32 v[34:35], v32 offset1:16
	ds_read2_b32 v[40:41], v32 offset0:32 offset1:48
	ds_read2_b32 v[42:43], v32 offset0:64 offset1:80
	s_lshl_b32 s7, s44, 1
	s_waitcnt lgkmcnt(2)
	v_max3_f32 v27, v34, s46, v35
	s_waitcnt lgkmcnt(1)
	v_max3_f32 v27, v27, v40, v41
	v_sub_f32_e32 v33, v34, v27
	v_sub_f32_e32 v34, v35, v27
	v_mul_f32_e32 v34, 0x3fb8aa3b, v34
	v_mul_f32_e32 v33, 0x3fb8aa3b, v33
	v_exp_f32_e32 v48, v34
	v_sub_f32_e32 v34, v40, v27
	v_exp_f32_e32 v33, v33
	v_mul_f32_e32 v34, 0x3fb8aa3b, v34
	v_exp_f32_e32 v40, v34
	ds_read2_b32 v[34:35], v32 offset0:96 offset1:112
	v_sub_f32_e32 v32, v41, v27
	v_mul_f32_e32 v32, 0x3fb8aa3b, v32
	v_exp_f32_e32 v41, v32
	s_waitcnt lgkmcnt(1)
	v_fma_f32 v32, v33, v42, 0
	v_fmac_f32_e32 v32, v48, v43
	s_waitcnt lgkmcnt(0)
	v_fmac_f32_e32 v32, v40, v34
	v_fmac_f32_e32 v32, v41, v35
	v_add_f32_e32 v34, 0x358637bd, v32
	v_div_scale_f32 v35, s[4:5], v34, v34, 1.0
	v_rcp_f32_e32 v42, v35
	s_barrier
	v_fma_f32 v43, -v35, v42, 1.0
	v_fmac_f32_e32 v42, v43, v42
	v_div_scale_f32 v43, vcc, 1.0, v34, 1.0
	v_mul_f32_e32 v49, v43, v42
	v_fma_f32 v50, -v35, v49, v43
	v_fmac_f32_e32 v49, v50, v42
	v_fma_f32 v35, -v35, v49, v43
	v_div_fmas_f32 v35, v35, v42, v49
	v_cmp_eq_u32_e32 vcc, 1, v46
	v_div_fixup_f32 v34, v35, v34, 1.0
	s_nop 0
	v_cndmask_b32_e32 v33, v33, v48, vcc
	v_cmp_eq_u32_e32 vcc, 2, v46
	s_nop 1
	v_cndmask_b32_e32 v33, v33, v40, vcc
	v_cmp_eq_u32_e32 vcc, 3, v46
	s_nop 1
	v_cndmask_b32_e32 v33, v33, v41, vcc
	v_mul_f32_e32 v34, v33, v34
	v_pk_mul_f32 v[36:37], v[34:35], v[36:37] op_sel_hi:[0,1]
	v_pk_mul_f32 v[38:39], v[34:35], v[38:39] op_sel_hi:[0,1]
	v_cvt_f16_f32_e32 v33, v36
	v_cvt_f16_f32_e32 v35, v37
	;; [unrolled: 1-line block ×4, first 2 shown]
	v_cmp_gt_u32_e32 vcc, 2, v0
	v_pack_b32_f16 v36, v33, v35
	v_lshlrev_b32_e32 v35, 3, v1
	v_pk_mul_f32 v[30:31], v[34:35], v[30:31] op_sel_hi:[0,1]
	v_pk_mul_f32 v[28:29], v[34:35], v[28:29] op_sel_hi:[0,1]
	v_pack_b32_f16 v37, v37, v38
	v_cvt_f16_f32_e32 v38, v28
	v_cvt_f16_f32_e32 v29, v29
	;; [unrolled: 1-line block ×4, first 2 shown]
	v_lshlrev_b32_e32 v33, 5, v47
	v_lshlrev_b32_e32 v28, 11, v46
	v_or3_b32 v28, v28, v33, v35
	v_pack_b32_f16 v30, v38, v29
	v_pack_b32_f16 v31, v39, v31
	v_pk_mul_f32 v[22:23], v[34:35], v[22:23] op_sel_hi:[0,1]
	v_pk_mul_f32 v[24:25], v[34:35], v[24:25] op_sel_hi:[0,1]
	;; [unrolled: 1-line block ×4, first 2 shown]
	ds_write2st64_b64 v28, v[36:37], v[30:31] offset1:1
	v_cvt_f16_f32_e32 v24, v24
	v_cvt_f16_f32_e32 v25, v25
	;; [unrolled: 1-line block ×8, first 2 shown]
	v_pack_b32_f16 v18, v24, v25
	v_pack_b32_f16 v19, v22, v23
	;; [unrolled: 1-line block ×4, first 2 shown]
	ds_write2st64_b64 v28, v[18:19], v[20:21] offset0:2 offset1:3
	s_and_saveexec_b64 s[4:5], vcc
	s_cbranch_execz .LBB825_17
; %bb.16:
	v_or_b32_e32 v18, s17, v0
	v_mov_b32_e32 v19, 0
	v_mov_b32_e32 v20, s7
	v_mad_u64_u32 v[20:21], s[12:13], s2, v20, v[18:19]
	v_mov_b32_e32 v18, s16
	s_load_dwordx4 s[8:11], s[0:1], 0x58
	s_mul_i32 s3, s3, s7
	v_mad_u64_u32 v[18:19], s[12:13], v20, s6, v[18:19]
	v_add_u32_e32 v21, s3, v21
	v_mov_b32_e32 v20, v19
	v_mad_u64_u32 v[20:21], s[12:13], v21, s6, v[20:21]
	v_mov_b32_e32 v19, v20
	v_lshlrev_b64 v[18:19], 2, v[18:19]
	s_waitcnt lgkmcnt(0)
	v_lshl_add_u64 v[20:21], s[10:11], 0, v[18:19]
	v_lshl_add_u64 v[18:19], s[8:9], 0, v[18:19]
	global_store_dword v[20:21], v27, off
	global_store_dword v[18:19], v32, off
.LBB825_17:
	s_or_b64 exec, exec, s[4:5]
	s_waitcnt vmcnt(3)
	v_cvt_pk_f32_fp8_e32 v[18:19], v14
	v_cvt_pk_f32_fp8_sdwa v[20:21], v14 src0_sel:WORD_1
	v_lshl_or_b32 v14, v1, 9, v33
	s_waitcnt lgkmcnt(0)
	s_barrier
	v_cvt_pk_f32_fp8_e32 v[22:23], v15
	v_cvt_pkrtz_f16_f32 v30, v18, v19
	v_cvt_pkrtz_f16_f32 v31, v20, v21
	v_cvt_pk_f32_fp8_sdwa v[24:25], v15 src0_sel:WORD_1
	ds_read_b128 v[18:21], v14
	v_cvt_pkrtz_f16_f32 v34, v22, v23
	v_cvt_pk_f32_fp8_e32 v[36:37], v16
	v_cvt_pkrtz_f16_f32 v35, v24, v25
	ds_read_b128 v[22:25], v14 offset:16
	v_cvt_pk_f32_fp8_sdwa v[38:39], v16 src0_sel:WORD_1
	s_waitcnt lgkmcnt(1)
	v_mfma_f32_16x16x16_f16 v[30:33], v[30:31], v[18:19], 0
	v_cvt_pkrtz_f16_f32 v36, v36, v37
	s_load_dword s4, s[42:43], 0x0
	v_cvt_pkrtz_f16_f32 v37, v38, v39
	v_cvt_pk_f32_fp8_e32 v[38:39], v17
	v_mfma_f32_16x16x16_f16 v[18:21], v[34:35], v[20:21], v[30:33]
	s_waitcnt vmcnt(2)
	v_cvt_pk_f32_fp8_e32 v[34:35], v12
	v_cmp_gt_u32_e32 vcc, 64, v0
	s_mov_b32 s3, 0
	v_cvt_pk_f32_fp8_sdwa v[30:31], v17 src0_sel:WORD_1
	v_cvt_pkrtz_f16_f32 v32, v38, v39
	s_waitcnt lgkmcnt(0)
	v_mfma_f32_16x16x16_f16 v[16:19], v[36:37], v[22:23], v[18:21]
	v_cvt_pk_f32_fp8_sdwa v[22:23], v10 src0_sel:WORD_1
	v_cvt_pkrtz_f16_f32 v33, v30, v31
	v_cvt_pk_f32_fp8_sdwa v[30:31], v11 src0_sel:WORD_1
	v_cvt_pk_f32_fp8_e32 v[20:21], v10
	v_mfma_f32_16x16x16_f16 v[16:19], v[32:33], v[24:25], v[16:19]
	v_cvt_pk_f32_fp8_e32 v[24:25], v11
	v_cvt_pkrtz_f16_f32 v10, v20, v21
	v_cvt_pkrtz_f16_f32 v11, v22, v23
	ds_read_b128 v[20:23], v14 offset:2048
	v_cvt_pkrtz_f16_f32 v24, v24, v25
	v_cvt_pkrtz_f16_f32 v25, v30, v31
	ds_read_b128 v[30:33], v14 offset:2064
	v_cvt_pk_f32_fp8_sdwa v[36:37], v12 src0_sel:WORD_1
	s_waitcnt lgkmcnt(1)
	v_mfma_f32_16x16x16_f16 v[16:19], v[10:11], v[20:21], v[16:19]
	v_cvt_pkrtz_f16_f32 v10, v34, v35
	v_cvt_pk_f32_fp8_e32 v[20:21], v13
	v_cvt_pkrtz_f16_f32 v11, v36, v37
	v_mfma_f32_16x16x16_f16 v[16:19], v[24:25], v[22:23], v[16:19]
	v_cvt_pk_f32_fp8_sdwa v[22:23], v13 src0_sel:WORD_1
	v_cvt_pkrtz_f16_f32 v20, v20, v21
	v_mov_b32_e32 v27, 0
	s_waitcnt lgkmcnt(0)
	v_mfma_f32_16x16x16_f16 v[10:13], v[10:11], v[30:31], v[16:19]
	v_cvt_pkrtz_f16_f32 v21, v22, v23
	s_waitcnt vmcnt(1)
	v_cvt_pk_f32_fp8_sdwa v[22:23], v7 src0_sel:WORD_1
	v_cvt_pk_f32_fp8_e32 v[30:31], v8
	v_cvt_pk_f32_fp8_e32 v[16:17], v6
	v_cvt_pk_f32_fp8_sdwa v[18:19], v6 src0_sel:WORD_1
	v_mfma_f32_16x16x16_f16 v[10:13], v[20:21], v[32:33], v[10:13]
	v_cvt_pk_f32_fp8_e32 v[20:21], v7
	v_cvt_pkrtz_f16_f32 v6, v16, v17
	v_cvt_pkrtz_f16_f32 v7, v18, v19
	ds_read_b128 v[16:19], v14 offset:4096
	v_cvt_pkrtz_f16_f32 v24, v20, v21
	v_cvt_pkrtz_f16_f32 v25, v22, v23
	ds_read_b128 v[20:23], v14 offset:4112
	v_cvt_pk_f32_fp8_sdwa v[32:33], v8 src0_sel:WORD_1
	s_waitcnt lgkmcnt(1)
	v_mfma_f32_16x16x16_f16 v[10:13], v[6:7], v[16:17], v[10:13]
	v_cvt_pkrtz_f16_f32 v6, v30, v31
	v_cvt_pk_f32_fp8_e32 v[16:17], v9
	v_cvt_pkrtz_f16_f32 v7, v32, v33
	v_mfma_f32_16x16x16_f16 v[10:13], v[24:25], v[18:19], v[10:13]
	v_cvt_pk_f32_fp8_sdwa v[18:19], v9 src0_sel:WORD_1
	v_cvt_pkrtz_f16_f32 v16, v16, v17
	v_cvt_pkrtz_f16_f32 v17, v18, v19
	s_waitcnt lgkmcnt(0)
	v_mfma_f32_16x16x16_f16 v[6:9], v[6:7], v[20:21], v[10:13]
	s_waitcnt vmcnt(0)
	v_cvt_pk_f32_fp8_sdwa v[18:19], v3 src0_sel:WORD_1
	s_nop 0
	v_cvt_pkrtz_f16_f32 v21, v18, v19
	v_cvt_pk_f32_fp8_e32 v[10:11], v2
	v_cvt_pk_f32_fp8_sdwa v[12:13], v2 src0_sel:WORD_1
	v_mfma_f32_16x16x16_f16 v[6:9], v[16:17], v[22:23], v[6:9]
	v_cvt_pk_f32_fp8_e32 v[16:17], v3
	v_cvt_pkrtz_f16_f32 v2, v10, v11
	v_cvt_pkrtz_f16_f32 v3, v12, v13
	ds_read_b128 v[10:13], v14 offset:6144
	v_cvt_pkrtz_f16_f32 v20, v16, v17
	v_cvt_pk_f32_fp8_e32 v[18:19], v4
	v_cvt_pk_f32_fp8_sdwa v[22:23], v4 src0_sel:WORD_1
	s_waitcnt lgkmcnt(0)
	v_mfma_f32_16x16x16_f16 v[6:9], v[2:3], v[10:11], v[6:9]
	ds_read_b128 v[14:17], v14 offset:6160
	v_cvt_pkrtz_f16_f32 v2, v18, v19
	v_cvt_pkrtz_f16_f32 v3, v22, v23
	v_cvt_pk_f32_fp8_e32 v[10:11], v5
	v_mfma_f32_16x16x16_f16 v[6:9], v[20:21], v[12:13], v[6:9]
	v_cvt_pk_f32_fp8_sdwa v[12:13], v5 src0_sel:WORD_1
	s_waitcnt lgkmcnt(0)
	v_cvt_pkrtz_f16_f32 v10, v10, v11
	v_mfma_f32_16x16x16_f16 v[2:5], v[2:3], v[14:15], v[6:9]
	v_cvt_pkrtz_f16_f32 v11, v12, v13
	s_barrier
	s_nop 0
	v_mfma_f32_16x16x16_f16 v[2:5], v[10:11], v[16:17], v[2:5]
	s_nop 6
	v_pk_mul_f32 v[4:5], v[4:5], s[4:5] op_sel_hi:[1,0]
	v_pk_mul_f32 v[2:3], v[2:3], s[4:5] op_sel_hi:[1,0]
	v_cvt_f16_f32_e32 v4, v4
	v_cvt_f16_f32_e32 v2, v2
	;; [unrolled: 1-line block ×4, first 2 shown]
	v_cmp_gt_u32_e64 s[4:5], 32, v45
	s_and_b64 s[4:5], s[4:5], vcc
	v_pack_b32_f16 v2, v2, v3
	v_pack_b32_f16 v3, v4, v5
	s_and_b64 s[4:5], s[4:5], s[18:19]
	ds_write_b64 v28, v[2:3]
	s_waitcnt lgkmcnt(0)
	s_barrier
	s_and_saveexec_b64 s[8:9], s[4:5]
	s_cbranch_execz .LBB825_19
; %bb.18:
	s_load_dwordx2 s[0:1], s[0:1], 0x68
	s_mul_i32 s2, s7, s2
	s_lshl_b32 s6, s6, 6
	s_mul_hi_u32 s5, s2, s6
	s_mul_i32 s4, s2, s6
	v_lshlrev_b32_e32 v0, 10, v0
	s_lshl_b64 s[4:5], s[4:5], 1
	v_and_b32_e32 v0, 0x1800, v0
	v_lshlrev_b32_e32 v2, 5, v1
	v_and_b32_e32 v3, 16, v44
	s_waitcnt lgkmcnt(0)
	s_add_u32 s4, s0, s4
	v_or3_b32 v0, v0, v2, v3
	s_addc_u32 s5, s1, s5
	s_lshl_b32 s2, s16, 6
	ds_read_b128 v[2:5], v0
	s_lshl_b64 s[0:1], s[2:3], 1
	s_add_u32 s0, s4, s0
	v_or_b32_e32 v0, s17, v1
	s_addc_u32 s1, s5, s1
	v_mad_u64_u32 v[0:1], s[2:3], s6, v0, 0
	v_lshl_add_u64 v[0:1], v[0:1], 1, s[0:1]
	v_lshl_add_u64 v[0:1], v[0:1], 0, v[26:27]
	s_waitcnt lgkmcnt(0)
	global_store_dwordx4 v[0:1], v[2:5], off
.LBB825_19:
	s_endpgm
	.section	.rodata,"a",@progbits
	.p2align	6, 0x0
	.amdhsa_kernel _Z39paged_attention_ll4mi_QKV_mfma16_kernelIDF16_hLN4vllm18Fp8KVCacheDataTypeE1EDF16_Li16ELi64ELi256ELb1ELi2EEvPKT_PKT0_S7_ifPKiS9_S9_iPKfiiiPfSC_PS2_PT2_iSB_SB_
		.amdhsa_group_segment_fixed_size 8192
		.amdhsa_private_segment_fixed_size 0
		.amdhsa_kernarg_size 400
		.amdhsa_user_sgpr_count 2
		.amdhsa_user_sgpr_dispatch_ptr 0
		.amdhsa_user_sgpr_queue_ptr 0
		.amdhsa_user_sgpr_kernarg_segment_ptr 1
		.amdhsa_user_sgpr_dispatch_id 0
		.amdhsa_user_sgpr_kernarg_preload_length 0
		.amdhsa_user_sgpr_kernarg_preload_offset 0
		.amdhsa_user_sgpr_private_segment_size 0
		.amdhsa_uses_dynamic_stack 0
		.amdhsa_enable_private_segment 0
		.amdhsa_system_sgpr_workgroup_id_x 1
		.amdhsa_system_sgpr_workgroup_id_y 1
		.amdhsa_system_sgpr_workgroup_id_z 1
		.amdhsa_system_sgpr_workgroup_info 0
		.amdhsa_system_vgpr_workitem_id 0
		.amdhsa_next_free_vgpr 68
		.amdhsa_next_free_sgpr 48
		.amdhsa_accum_offset 68
		.amdhsa_reserve_vcc 1
		.amdhsa_float_round_mode_32 0
		.amdhsa_float_round_mode_16_64 0
		.amdhsa_float_denorm_mode_32 3
		.amdhsa_float_denorm_mode_16_64 3
		.amdhsa_dx10_clamp 1
		.amdhsa_ieee_mode 1
		.amdhsa_fp16_overflow 0
		.amdhsa_tg_split 0
		.amdhsa_exception_fp_ieee_invalid_op 0
		.amdhsa_exception_fp_denorm_src 0
		.amdhsa_exception_fp_ieee_div_zero 0
		.amdhsa_exception_fp_ieee_overflow 0
		.amdhsa_exception_fp_ieee_underflow 0
		.amdhsa_exception_fp_ieee_inexact 0
		.amdhsa_exception_int_div_zero 0
	.end_amdhsa_kernel
	.section	.text._Z39paged_attention_ll4mi_QKV_mfma16_kernelIDF16_hLN4vllm18Fp8KVCacheDataTypeE1EDF16_Li16ELi64ELi256ELb1ELi2EEvPKT_PKT0_S7_ifPKiS9_S9_iPKfiiiPfSC_PS2_PT2_iSB_SB_,"axG",@progbits,_Z39paged_attention_ll4mi_QKV_mfma16_kernelIDF16_hLN4vllm18Fp8KVCacheDataTypeE1EDF16_Li16ELi64ELi256ELb1ELi2EEvPKT_PKT0_S7_ifPKiS9_S9_iPKfiiiPfSC_PS2_PT2_iSB_SB_,comdat
.Lfunc_end825:
	.size	_Z39paged_attention_ll4mi_QKV_mfma16_kernelIDF16_hLN4vllm18Fp8KVCacheDataTypeE1EDF16_Li16ELi64ELi256ELb1ELi2EEvPKT_PKT0_S7_ifPKiS9_S9_iPKfiiiPfSC_PS2_PT2_iSB_SB_, .Lfunc_end825-_Z39paged_attention_ll4mi_QKV_mfma16_kernelIDF16_hLN4vllm18Fp8KVCacheDataTypeE1EDF16_Li16ELi64ELi256ELb1ELi2EEvPKT_PKT0_S7_ifPKiS9_S9_iPKfiiiPfSC_PS2_PT2_iSB_SB_
                                        ; -- End function
	.section	.AMDGPU.csdata,"",@progbits
; Kernel info:
; codeLenInByte = 4772
; NumSgprs: 54
; NumVgprs: 68
; NumAgprs: 0
; TotalNumVgprs: 68
; ScratchSize: 0
; MemoryBound: 0
; FloatMode: 240
; IeeeMode: 1
; LDSByteSize: 8192 bytes/workgroup (compile time only)
; SGPRBlocks: 6
; VGPRBlocks: 8
; NumSGPRsForWavesPerEU: 54
; NumVGPRsForWavesPerEU: 68
; AccumOffset: 68
; Occupancy: 7
; WaveLimiterHint : 1
; COMPUTE_PGM_RSRC2:SCRATCH_EN: 0
; COMPUTE_PGM_RSRC2:USER_SGPR: 2
; COMPUTE_PGM_RSRC2:TRAP_HANDLER: 0
; COMPUTE_PGM_RSRC2:TGID_X_EN: 1
; COMPUTE_PGM_RSRC2:TGID_Y_EN: 1
; COMPUTE_PGM_RSRC2:TGID_Z_EN: 1
; COMPUTE_PGM_RSRC2:TIDIG_COMP_CNT: 0
; COMPUTE_PGM_RSRC3_GFX90A:ACCUM_OFFSET: 16
; COMPUTE_PGM_RSRC3_GFX90A:TG_SPLIT: 0
	.section	.text._Z39paged_attention_ll4mi_QKV_mfma16_kernelIDF16_hLN4vllm18Fp8KVCacheDataTypeE1EDF16_Li16ELi64ELi256ELb1ELi3EEvPKT_PKT0_S7_ifPKiS9_S9_iPKfiiiPfSC_PS2_PT2_iSB_SB_,"axG",@progbits,_Z39paged_attention_ll4mi_QKV_mfma16_kernelIDF16_hLN4vllm18Fp8KVCacheDataTypeE1EDF16_Li16ELi64ELi256ELb1ELi3EEvPKT_PKT0_S7_ifPKiS9_S9_iPKfiiiPfSC_PS2_PT2_iSB_SB_,comdat
	.protected	_Z39paged_attention_ll4mi_QKV_mfma16_kernelIDF16_hLN4vllm18Fp8KVCacheDataTypeE1EDF16_Li16ELi64ELi256ELb1ELi3EEvPKT_PKT0_S7_ifPKiS9_S9_iPKfiiiPfSC_PS2_PT2_iSB_SB_ ; -- Begin function _Z39paged_attention_ll4mi_QKV_mfma16_kernelIDF16_hLN4vllm18Fp8KVCacheDataTypeE1EDF16_Li16ELi64ELi256ELb1ELi3EEvPKT_PKT0_S7_ifPKiS9_S9_iPKfiiiPfSC_PS2_PT2_iSB_SB_
	.globl	_Z39paged_attention_ll4mi_QKV_mfma16_kernelIDF16_hLN4vllm18Fp8KVCacheDataTypeE1EDF16_Li16ELi64ELi256ELb1ELi3EEvPKT_PKT0_S7_ifPKiS9_S9_iPKfiiiPfSC_PS2_PT2_iSB_SB_
	.p2align	8
	.type	_Z39paged_attention_ll4mi_QKV_mfma16_kernelIDF16_hLN4vllm18Fp8KVCacheDataTypeE1EDF16_Li16ELi64ELi256ELb1ELi3EEvPKT_PKT0_S7_ifPKiS9_S9_iPKfiiiPfSC_PS2_PT2_iSB_SB_,@function
_Z39paged_attention_ll4mi_QKV_mfma16_kernelIDF16_hLN4vllm18Fp8KVCacheDataTypeE1EDF16_Li16ELi64ELi256ELb1ELi3EEvPKT_PKT0_S7_ifPKiS9_S9_iPKfiiiPfSC_PS2_PT2_iSB_SB_: ; @_Z39paged_attention_ll4mi_QKV_mfma16_kernelIDF16_hLN4vllm18Fp8KVCacheDataTypeE1EDF16_Li16ELi64ELi256ELb1ELi3EEvPKT_PKT0_S7_ifPKiS9_S9_iPKfiiiPfSC_PS2_PT2_iSB_SB_
; %bb.0:
	s_load_dwordx2 s[8:9], s[0:1], 0x30
	s_mov_b32 s16, s3
	s_mov_b64 s[6:7], 0
	s_waitcnt lgkmcnt(0)
	s_cmp_lg_u64 s[8:9], 0
	s_cselect_b64 s[10:11], -1, 0
	s_and_b64 vcc, exec, s[10:11]
	s_cbranch_vccz .LBB826_7
; %bb.1:
	s_add_i32 s12, s2, 1
	s_mov_b32 s13, 0
	s_lshl_b64 s[14:15], s[12:13], 2
	s_add_u32 s14, s8, s14
	s_mov_b32 s3, s13
	s_addc_u32 s15, s9, s15
	s_lshl_b64 s[12:13], s[2:3], 2
	s_add_u32 s12, s8, s12
	s_addc_u32 s13, s9, s13
	s_load_dword s5, s[14:15], 0x0
	s_load_dword s17, s[12:13], 0x0
	s_waitcnt lgkmcnt(0)
	s_sub_i32 s5, s5, s17
	s_cmp_eq_u32 s5, 1
	s_cselect_b64 s[12:13], -1, 0
	s_andn2_b64 vcc, exec, s[6:7]
	s_cbranch_vccnz .LBB826_3
.LBB826_2:
	s_mov_b32 s3, 0
	s_mov_b64 s[12:13], -1
.LBB826_3:
	s_andn2_b64 vcc, exec, s[12:13]
	s_cbranch_vccnz .LBB826_19
; %bb.4:
	s_load_dwordx2 s[6:7], s[0:1], 0x28
	s_lshl_b64 s[12:13], s[2:3], 2
	s_waitcnt lgkmcnt(0)
	s_add_u32 s6, s6, s12
	s_addc_u32 s7, s7, s13
	s_load_dword s17, s[6:7], 0x0
	s_lshl_b32 s20, s16, 8
	s_waitcnt lgkmcnt(0)
	s_cmp_ge_i32 s20, s17
	s_cbranch_scc1 .LBB826_19
; %bb.5:
	s_load_dwordx2 s[6:7], s[0:1], 0x20
	s_load_dword s5, s[0:1], 0x38
	s_add_i32 s14, s17, 15
	s_ashr_i32 s15, s14, 31
	v_and_b32_e32 v1, 0xcf, v0
	s_lshr_b32 s15, s15, 28
	v_add_u32_e32 v1, s20, v1
	s_add_i32 s14, s14, s15
	v_ashrrev_i32_e32 v2, 31, v1
	s_ashr_i32 s21, s14, 4
	v_lshrrev_b32_e32 v4, 28, v2
	s_add_i32 s21, s21, -1
	s_waitcnt lgkmcnt(0)
	s_mul_i32 s14, s2, s5
	s_mov_b32 s15, 0
	v_add_u32_e32 v2, v1, v4
	s_lshl_b64 s[14:15], s[14:15], 2
	v_ashrrev_i32_e32 v2, 4, v2
	v_mov_b32_e32 v5, s21
	v_cmp_gt_i32_e32 vcc, s17, v1
	s_add_u32 s6, s6, s14
	s_addc_u32 s7, s7, s15
	v_cndmask_b32_e32 v2, v5, v2, vcc
	v_ashrrev_i32_e32 v3, 31, v2
	v_lshl_add_u64 v[6:7], v[2:3], 2, s[6:7]
	v_or_b32_e32 v2, 16, v1
	v_add_u32_e32 v3, v2, v4
	v_ashrrev_i32_e32 v3, 4, v3
	v_cmp_gt_i32_e32 vcc, s17, v2
	s_load_dwordx2 s[14:15], s[0:1], 0x8
	s_nop 0
	v_cndmask_b32_e32 v2, v5, v3, vcc
	v_ashrrev_i32_e32 v3, 31, v2
	v_lshl_add_u64 v[8:9], v[2:3], 2, s[6:7]
	v_or_b32_e32 v2, 32, v1
	v_add_u32_e32 v3, v2, v4
	v_ashrrev_i32_e32 v3, 4, v3
	v_cmp_gt_i32_e32 vcc, s17, v2
	v_or_b32_e32 v1, 48, v1
	s_nop 0
	v_cndmask_b32_e32 v2, v5, v3, vcc
	v_ashrrev_i32_e32 v3, 31, v2
	v_lshl_add_u64 v[10:11], v[2:3], 2, s[6:7]
	v_add_u32_e32 v2, v1, v4
	v_ashrrev_i32_e32 v2, 4, v2
	v_cmp_gt_i32_e32 vcc, s17, v1
	s_nop 1
	v_cndmask_b32_e32 v2, v5, v2, vcc
	v_ashrrev_i32_e32 v3, 31, v2
	v_lshl_add_u64 v[12:13], v[2:3], 2, s[6:7]
	global_load_dword v5, v[6:7], off
	global_load_dword v4, v[8:9], off
	;; [unrolled: 1-line block ×4, first 2 shown]
	s_andn2_b64 vcc, exec, s[10:11]
	s_cbranch_vccnz .LBB826_8
; %bb.6:
	s_add_u32 s8, s8, s12
	s_addc_u32 s9, s9, s13
	s_load_dword s5, s[8:9], 0x0
	s_branch .LBB826_9
.LBB826_7:
	s_mov_b64 s[12:13], 0
	s_branch .LBB826_2
.LBB826_8:
	s_mov_b32 s5, s2
.LBB826_9:
	s_load_dwordx2 s[8:9], s[0:1], 0x10
	s_load_dwordx4 s[44:47], s[0:1], 0x48
	v_lshrrev_b32_e32 v29, 6, v0
	v_bfe_u32 v46, v0, 4, 2
	v_lshl_or_b32 v6, v29, 2, v46
	v_and_b32_e32 v28, 15, v0
	s_mul_i32 s48, s4, 3
	v_lshlrev_b32_e32 v7, 3, v28
	v_cmp_gt_u32_e32 vcc, 3, v6
	v_cmp_gt_u32_e64 s[18:19], 8, v28
	v_add_u32_e32 v1, s48, v46
	s_and_b64 s[12:13], s[18:19], vcc
	v_lshlrev_b32_e32 v26, 1, v7
	v_lshlrev_b32_e32 v47, 4, v0
	s_and_saveexec_b64 s[10:11], s[12:13]
	s_cbranch_execz .LBB826_11
; %bb.10:
	s_load_dwordx2 s[12:13], s[0:1], 0x0
	s_waitcnt lgkmcnt(0)
	s_ashr_i32 s22, s44, 31
	s_mul_hi_u32 s23, s5, s44
	s_mul_i32 s22, s5, s22
	s_add_i32 s23, s23, s22
	s_mul_i32 s22, s5, s44
	s_lshl_b64 s[22:23], s[22:23], 1
	s_add_u32 s12, s12, s22
	v_lshlrev_b32_e32 v8, 6, v1
	s_addc_u32 s13, s13, s23
	v_ashrrev_i32_e32 v9, 31, v8
	v_lshl_add_u64 v[8:9], v[8:9], 1, s[12:13]
	v_mov_b32_e32 v27, 0
	v_lshl_add_u64 v[8:9], v[8:9], 0, v[26:27]
	global_load_dwordx4 v[8:11], v[8:9], off
	v_lshlrev_b32_e32 v12, 8, v28
	v_lshlrev_b32_e32 v6, 5, v6
	v_and_b32_e32 v7, 16, v47
	v_and_b32_e32 v12, 0xe00, v12
	v_or3_b32 v6, v12, v6, v7
	s_waitcnt vmcnt(0)
	ds_write_b128 v6, v[8:11]
.LBB826_11:
	s_or_b64 exec, exec, s[10:11]
	s_waitcnt lgkmcnt(0)
	s_mul_i32 s10, s4, s46
	s_add_u32 s4, s14, s10
	s_addc_u32 s5, s15, 0
	v_and_b32_e32 v32, 48, v0
	v_and_b32_e32 v30, 0xf0, v47
	v_mov_b32_e32 v31, 0
	v_lshl_add_u64 v[6:7], s[4:5], 0, v[30:31]
	v_lshlrev_b32_e32 v30, 4, v32
	v_lshl_add_u64 v[6:7], v[6:7], 0, v[30:31]
	s_waitcnt vmcnt(3)
	v_mad_i64_i32 v[8:9], s[4:5], v5, s45, v[6:7]
	s_barrier
	s_waitcnt vmcnt(2)
	v_mad_i64_i32 v[4:5], s[4:5], v4, s45, v[6:7]
	global_load_dwordx4 v[22:25], v[8:9], off
	global_load_dwordx4 v[18:21], v[4:5], off
	s_waitcnt vmcnt(3)
	v_mad_i64_i32 v[8:9], s[4:5], v3, s45, v[6:7]
	s_waitcnt vmcnt(2)
	v_mad_i64_i32 v[6:7], s[4:5], v2, s45, v[6:7]
	global_load_dwordx4 v[14:17], v[8:9], off
	global_load_dwordx4 v[2:5], v[6:7], off
	v_mul_lo_u16_e32 v6, 0x56, v28
	v_mov_b32_e32 v7, 3
	v_mul_lo_u16_sdwa v6, v6, v7 dst_sel:DWORD dst_unused:UNUSED_PAD src0_sel:BYTE_1 src1_sel:DWORD
	v_sub_u16_e32 v6, v28, v6
	v_mov_b32_e32 v7, 5
	v_lshlrev_b32_sdwa v6, v7, v6 dst_sel:DWORD dst_unused:UNUSED_PAD src0_sel:DWORD src1_sel:BYTE_0
	v_lshl_add_u32 v6, v46, 9, v6
	ds_read_b128 v[10:13], v6
	ds_read_b128 v[6:9], v6 offset:16
	v_and_b32_e32 v27, 63, v0
	v_cmp_gt_u32_e32 vcc, 3, v28
	v_mov_b32_e32 v48, 0
	s_and_saveexec_b64 s[4:5], vcc
	s_cbranch_execz .LBB826_13
; %bb.12:
	s_load_dwordx2 s[12:13], s[0:1], 0x40
	v_add_u32_e32 v34, s48, v28
	v_ashrrev_i32_e32 v35, 31, v34
	s_waitcnt lgkmcnt(0)
	v_lshl_add_u64 v[34:35], v[34:35], 2, s[12:13]
	global_load_dword v48, v[34:35], off
.LBB826_13:
	s_or_b64 exec, exec, s[4:5]
	v_or_b32_e32 v34, s20, v32
	v_ashrrev_i32_e32 v30, 4, v34
	v_mov_b32_e32 v66, s21
	v_cmp_gt_i32_e32 vcc, s17, v34
	s_waitcnt vmcnt(3)
	v_cvt_pk_f32_fp8_sdwa v[36:37], v22 src0_sel:WORD_1
	v_cvt_pk_f32_fp8_e32 v[38:39], v23
	v_cndmask_b32_e32 v32, v66, v30, vcc
	v_ashrrev_i32_e32 v33, 31, v32
	v_lshl_add_u64 v[32:33], v[32:33], 2, s[6:7]
	global_load_dword v49, v[32:33], off
	v_cvt_pk_f32_fp8_e32 v[32:33], v22
	v_cvt_pk_f32_fp8_sdwa v[22:23], v23 src0_sel:WORD_1
	s_waitcnt vmcnt(3)
	v_cvt_pk_f32_fp8_e32 v[56:57], v20
	v_cvt_pk_f32_fp8_sdwa v[58:59], v20 src0_sel:WORD_1
	v_cvt_pk_f32_fp8_e32 v[60:61], v21
	v_cvt_pk_f32_fp8_sdwa v[62:63], v21 src0_sel:WORD_1
	v_cvt_pkrtz_f16_f32 v20, v32, v33
	v_cvt_pkrtz_f16_f32 v21, v36, v37
	v_cvt_pk_f32_fp8_e32 v[50:51], v18
	v_cvt_pk_f32_fp8_sdwa v[52:53], v18 src0_sel:WORD_1
	v_cvt_pk_f32_fp8_e32 v[54:55], v19
	v_cvt_pk_f32_fp8_sdwa v[18:19], v19 src0_sel:WORD_1
	;; [unrolled: 2-line block ×3, first 2 shown]
	v_cvt_pkrtz_f16_f32 v36, v38, v39
	v_cvt_pkrtz_f16_f32 v37, v22, v23
	;; [unrolled: 1-line block ×5, first 2 shown]
	s_waitcnt lgkmcnt(1)
	v_mfma_f32_16x16x16_f16 v[18:21], v[20:21], v[10:11], 0
	v_cvt_pk_f32_fp8_e32 v[44:45], v25
	v_cvt_pk_f32_fp8_sdwa v[24:25], v25 src0_sel:WORD_1
	s_add_u32 s4, s8, s10
	v_lshlrev_b32_e32 v30, 4, v28
	s_waitcnt vmcnt(2)
	v_cvt_pk_f32_fp8_e32 v[64:65], v14
	v_cvt_pk_f32_fp8_sdwa v[52:53], v14 src0_sel:WORD_1
	v_or_b32_e32 v14, 64, v34
	v_lshl_or_b32 v30, v29, 8, v30
	v_cvt_pkrtz_f16_f32 v40, v40, v41
	v_cvt_pkrtz_f16_f32 v41, v42, v43
	v_or_b32_e32 v22, 0x80, v34
	s_addc_u32 s5, s9, 0
	v_ashrrev_i32_e32 v38, 4, v14
	v_cmp_gt_i32_e32 vcc, s17, v14
	v_or_b32_e32 v23, 0xc0, v34
	v_ashrrev_i32_e32 v43, 4, v22
	v_cvt_pkrtz_f16_f32 v34, v54, v55
	v_lshl_add_u64 v[30:31], s[4:5], 0, v[30:31]
	v_cndmask_b32_e32 v42, v66, v38, vcc
	v_mfma_f32_16x16x16_f16 v[18:21], v[36:37], v[12:13], v[18:21]
	v_cmp_gt_i32_e32 vcc, s17, v22
	s_load_dword s4, s[0:1], 0x1c
	s_load_dwordx4 s[40:43], s[0:1], 0x80
	v_ashrrev_i32_e32 v39, 4, v23
	v_cndmask_b32_e32 v54, v66, v43, vcc
	v_cmp_gt_i32_e32 vcc, s17, v23
	v_cvt_pkrtz_f16_f32 v37, v24, v25
	v_mfma_f32_16x16x16_f16 v[22:25], v[50:51], v[10:11], 0
	v_cndmask_b32_e32 v66, v66, v39, vcc
	v_ashrrev_i32_e32 v43, 31, v42
	v_ashrrev_i32_e32 v55, 31, v54
	;; [unrolled: 1-line block ×3, first 2 shown]
	s_waitcnt lgkmcnt(0)
	v_mfma_f32_16x16x16_f16 v[18:21], v[40:41], v[6:7], v[18:21]
	v_lshl_add_u64 v[40:41], v[42:43], 2, s[6:7]
	v_lshl_add_u64 v[42:43], v[54:55], 2, s[6:7]
	v_cvt_pkrtz_f16_f32 v36, v44, v45
	v_mfma_f32_16x16x16_f16 v[22:25], v[34:35], v[12:13], v[22:25]
	v_cvt_pkrtz_f16_f32 v35, v52, v53
	v_lshl_add_u64 v[44:45], v[66:67], 2, s[6:7]
	s_load_dword s33, s[0:1], 0x98
	s_load_dword s5, s[40:41], 0x0
	global_load_dword v52, v[40:41], off
	s_nop 0
	global_load_dword v43, v[42:43], off
	s_nop 0
	global_load_dword v53, v[44:45], off
	v_mov_b32_e32 v14, s4
	v_cvt_pk_f32_fp8_e32 v[32:33], v15
	v_cvt_pkrtz_f16_f32 v34, v64, v65
	s_waitcnt lgkmcnt(0)
	v_mul_f32_e32 v42, s5, v14
	v_cvt_pk_f32_fp8_sdwa v[14:15], v15 src0_sel:WORD_1
	v_cvt_pkrtz_f16_f32 v50, v56, v57
	v_cvt_pkrtz_f16_f32 v51, v58, v59
	v_mfma_f32_16x16x16_f16 v[18:21], v[36:37], v[8:9], v[18:21]
	v_cvt_pkrtz_f16_f32 v36, v32, v33
	v_cvt_pk_f32_fp8_e32 v[40:41], v16
	v_cvt_pk_f32_fp8_sdwa v[44:45], v16 src0_sel:WORD_1
	v_cvt_pkrtz_f16_f32 v37, v14, v15
	v_mfma_f32_16x16x16_f16 v[32:35], v[34:35], v[10:11], 0
	v_cvt_pkrtz_f16_f32 v40, v40, v41
	v_cvt_pkrtz_f16_f32 v41, v44, v45
	v_cvt_pk_f32_fp8_e32 v[44:45], v17
	v_mfma_f32_16x16x16_f16 v[22:25], v[50:51], v[6:7], v[22:25]
	v_cvt_pk_f32_fp8_sdwa v[50:51], v17 src0_sel:WORD_1
	v_cvt_pkrtz_f16_f32 v38, v60, v61
	v_cvt_pkrtz_f16_f32 v39, v62, v63
	v_mfma_f32_16x16x16_f16 v[14:17], v[36:37], v[12:13], v[32:35]
	s_waitcnt vmcnt(4)
	v_cvt_pk_f32_fp8_e32 v[36:37], v4
	s_mov_b32 s44, 0xff7fffff
	v_mfma_f32_16x16x16_f16 v[14:17], v[40:41], v[6:7], v[14:17]
	v_cvt_pk_f32_fp8_sdwa v[34:35], v2 src0_sel:WORD_1
	s_waitcnt vmcnt(1)
	v_pk_mul_f32 v[32:33], v[42:43], v[20:21] op_sel_hi:[0,1]
	v_cvt_pkrtz_f16_f32 v20, v44, v45
	v_cvt_pkrtz_f16_f32 v21, v50, v51
	v_pk_mul_f32 v[40:41], v[42:43], v[18:19] op_sel_hi:[0,1]
	v_cvt_pk_f32_fp8_e32 v[18:19], v2
	v_mfma_f32_16x16x16_f16 v[14:17], v[20:21], v[8:9], v[14:17]
	v_cvt_pk_f32_fp8_e32 v[20:21], v3
	v_cvt_pkrtz_f16_f32 v18, v18, v19
	v_cvt_pkrtz_f16_f32 v19, v34, v35
	v_cvt_pk_f32_fp8_sdwa v[2:3], v3 src0_sel:WORD_1
	v_cvt_pkrtz_f16_f32 v34, v20, v21
	v_cvt_pk_f32_fp8_sdwa v[44:45], v4 src0_sel:WORD_1
	v_mfma_f32_16x16x16_f16 v[18:21], v[18:19], v[10:11], 0
	v_cvt_pkrtz_f16_f32 v35, v2, v3
	v_cvt_pkrtz_f16_f32 v10, v36, v37
	;; [unrolled: 1-line block ×3, first 2 shown]
	v_cvt_pk_f32_fp8_e32 v[36:37], v5
	v_cvt_pk_f32_fp8_sdwa v[44:45], v5 src0_sel:WORD_1
	v_mfma_f32_16x16x16_f16 v[2:5], v[34:35], v[12:13], v[18:21]
	v_cvt_pkrtz_f16_f32 v12, v36, v37
	v_cvt_pkrtz_f16_f32 v13, v44, v45
	v_mfma_f32_16x16x16_f16 v[2:5], v[10:11], v[6:7], v[2:5]
	s_nop 0
	v_mfma_f32_16x16x16_f16 v[2:5], v[12:13], v[8:9], v[2:5]
	v_mfma_f32_16x16x16_f16 v[22:25], v[38:39], v[8:9], v[22:25]
	v_mad_i64_i32 v[38:39], s[4:5], v49, s45, v[30:31]
	s_nop 4
	v_pk_mul_f32 v[20:21], v[42:43], v[2:3] op_sel_hi:[0,1]
	v_and_b32_e32 v2, 0xc0, v0
	v_add_u32_e32 v2, s20, v2
	v_lshl_or_b32 v2, v46, 2, v2
	v_or_b32_e32 v3, 1, v2
	v_pk_mul_f32 v[18:19], v[42:43], v[4:5] op_sel_hi:[0,1]
	v_subrev_u32_e32 v4, s17, v3
	v_add_u32_e32 v6, 1, v4
	v_add_u32_e32 v7, 2, v4
	;; [unrolled: 1-line block ×3, first 2 shown]
	v_cvt_f32_i32_e32 v6, v6
	v_cvt_f32_i32_e32 v7, v7
	;; [unrolled: 1-line block ×3, first 2 shown]
	v_pk_mul_f32 v[34:35], v[42:43], v[24:25] op_sel_hi:[0,1]
	v_fmac_f32_e32 v41, v48, v6
	v_fma_f32 v32, v48, v7, v32
	v_fmac_f32_e32 v33, v48, v8
	v_add_u32_e32 v6, 16, v4
	v_add_u32_e32 v7, 17, v4
	;; [unrolled: 1-line block ×3, first 2 shown]
	v_cvt_f32_i32_e32 v6, v6
	v_cvt_f32_i32_e32 v7, v7
	;; [unrolled: 1-line block ×3, first 2 shown]
	v_pk_mul_f32 v[36:37], v[42:43], v[22:23] op_sel_hi:[0,1]
	v_pk_mul_f32 v[22:23], v[42:43], v[16:17] op_sel_hi:[0,1]
	;; [unrolled: 1-line block ×3, first 2 shown]
	v_add_u32_e32 v9, 19, v4
	v_fma_f32 v36, v48, v6, v36
	v_fmac_f32_e32 v37, v48, v7
	v_fma_f32 v42, v48, v8, v34
	v_add_u32_e32 v6, 32, v4
	v_add_u32_e32 v7, 33, v4
	;; [unrolled: 1-line block ×3, first 2 shown]
	v_cvt_f32_i32_e32 v9, v9
	v_cvt_f32_i32_e32 v6, v6
	;; [unrolled: 1-line block ×5, first 2 shown]
	v_fmac_f32_e32 v35, v48, v9
	v_add_u32_e32 v9, 35, v4
	v_fma_f32 v24, v48, v6, v24
	v_fmac_f32_e32 v25, v48, v7
	v_fma_f32 v22, v48, v8, v22
	v_add_u32_e32 v6, 48, v4
	v_add_u32_e32 v7, 49, v4
	;; [unrolled: 1-line block ×4, first 2 shown]
	v_cvt_f32_i32_e32 v4, v4
	v_cvt_f32_i32_e32 v6, v6
	;; [unrolled: 1-line block ×3, first 2 shown]
	v_fma_f32 v5, v48, v5, v40
	v_fmac_f32_e32 v19, v48, v4
	v_mov_b32_e32 v4, 0xff7fffff
	v_cmp_gt_i32_e64 s[4:5], s17, v2
	v_cmp_gt_i32_e64 s[20:21], s17, v3
	v_fma_f32 v20, v48, v6, v20
	v_cndmask_b32_e64 v6, v4, v5, s[4:5]
	v_cndmask_b32_e64 v3, v4, v41, s[20:21]
	v_fmac_f32_e32 v21, v48, v7
	v_max3_f32 v3, v6, s44, v3
	v_or_b32_e32 v6, 2, v2
	v_or_b32_e32 v7, 3, v2
	v_cmp_gt_i32_e64 s[22:23], s17, v6
	v_cmp_gt_i32_e64 s[24:25], s17, v7
	v_cvt_f32_i32_e32 v9, v9
	v_cndmask_b32_e64 v6, v4, v32, s[22:23]
	v_cndmask_b32_e64 v7, v4, v33, s[24:25]
	v_max3_f32 v3, v3, v6, v7
	v_or_b32_e32 v6, 16, v2
	v_or_b32_e32 v7, 17, v2
	v_cmp_gt_i32_e64 s[26:27], s17, v6
	v_cmp_gt_i32_e64 s[28:29], s17, v7
	v_fmac_f32_e32 v23, v48, v9
	v_cndmask_b32_e64 v6, v4, v36, s[26:27]
	v_cndmask_b32_e64 v7, v4, v37, s[28:29]
	v_max3_f32 v3, v3, v6, v7
	v_or_b32_e32 v6, 18, v2
	v_or_b32_e32 v7, 19, v2
	v_cmp_gt_i32_e64 s[30:31], s17, v6
	v_cmp_gt_i32_e64 s[34:35], s17, v7
	v_cvt_f32_i32_e32 v8, v8
	v_cndmask_b32_e64 v6, v4, v42, s[30:31]
	v_cndmask_b32_e64 v7, v4, v35, s[34:35]
	v_max3_f32 v3, v3, v6, v7
	v_or_b32_e32 v6, 32, v2
	v_or_b32_e32 v7, 33, v2
	v_cmp_gt_i32_e64 s[36:37], s17, v6
	v_cmp_gt_i32_e64 s[38:39], s17, v7
	v_fma_f32 v18, v48, v8, v18
	v_cndmask_b32_e64 v6, v4, v24, s[36:37]
	v_cndmask_b32_e64 v7, v4, v25, s[38:39]
	v_max3_f32 v3, v3, v6, v7
	v_or_b32_e32 v6, 34, v2
	v_or_b32_e32 v7, 35, v2
	v_cmp_gt_i32_e64 s[12:13], s17, v6
	v_cmp_gt_i32_e64 s[14:15], s17, v7
	s_nop 0
	v_cndmask_b32_e64 v6, v4, v22, s[12:13]
	v_cndmask_b32_e64 v7, v4, v23, s[14:15]
	v_max3_f32 v3, v3, v6, v7
	v_or_b32_e32 v6, 48, v2
	v_or_b32_e32 v7, 49, v2
	v_cmp_gt_i32_e64 s[8:9], s17, v6
	v_cmp_gt_i32_e64 s[10:11], s17, v7
	s_nop 0
	v_cndmask_b32_e64 v6, v4, v20, s[8:9]
	v_cndmask_b32_e64 v7, v4, v21, s[10:11]
	v_max3_f32 v3, v3, v6, v7
	v_or_b32_e32 v6, 50, v2
	v_or_b32_e32 v2, 51, v2
	v_cmp_gt_i32_e32 vcc, s17, v6
	v_cmp_gt_i32_e64 s[6:7], s17, v2
	s_nop 0
	v_cndmask_b32_e32 v6, v4, v18, vcc
	v_cndmask_b32_e64 v2, v4, v19, s[6:7]
	v_max3_f32 v4, v3, v6, v2
	v_mbcnt_lo_u32_b32 v2, -1, 0
	v_mbcnt_hi_u32_b32 v6, -1, v2
	v_and_b32_e32 v2, 64, v6
	v_add_u32_e32 v7, 64, v2
	v_xor_b32_e32 v2, 32, v6
	v_cmp_lt_i32_e64 s[40:41], v2, v7
	s_nop 1
	v_cndmask_b32_e64 v2, v6, v2, s[40:41]
	v_lshlrev_b32_e32 v44, 2, v2
	ds_bpermute_b32 v8, v44, v4
	v_mad_i64_i32 v[2:3], s[40:41], v52, s45, v[30:31]
	global_load_dwordx4 v[14:17], v[38:39], off
	global_load_dwordx4 v[10:13], v[2:3], off
	v_xor_b32_e32 v3, 16, v6
	v_cmp_lt_i32_e64 s[40:41], v3, v7
	s_waitcnt lgkmcnt(0)
	v_max_f32_e32 v2, v8, v8
	v_max_f32_e32 v2, v4, v2
	v_cndmask_b32_e64 v3, v6, v3, s[40:41]
	v_lshlrev_b32_e32 v45, 2, v3
	ds_bpermute_b32 v3, v45, v2
	v_mad_i64_i32 v[38:39], s[40:41], v43, s45, v[30:31]
	s_waitcnt vmcnt(2)
	v_mad_i64_i32 v[30:31], s[40:41], v53, s45, v[30:31]
	s_waitcnt lgkmcnt(0)
	v_max_f32_e32 v3, v3, v3
	v_max_f32_e32 v34, v2, v3
	v_sub_f32_e32 v2, v5, v34
	v_mul_f32_e32 v2, 0x3fb8aa3b, v2
	v_exp_f32_e32 v40, v2
	v_sub_f32_e32 v2, v41, v34
	v_mul_f32_e32 v2, 0x3fb8aa3b, v2
	v_exp_f32_e32 v41, v2
	global_load_dwordx4 v[6:9], v[38:39], off
	global_load_dwordx4 v[2:5], v[30:31], off
	v_sub_f32_e32 v31, v32, v34
	v_sub_f32_e32 v32, v33, v34
	v_mul_f32_e32 v31, 0x3fb8aa3b, v31
	v_mul_f32_e32 v32, 0x3fb8aa3b, v32
	v_exp_f32_e32 v31, v31
	v_exp_f32_e32 v32, v32
	v_cndmask_b32_e64 v38, 0, v40, s[4:5]
	v_cndmask_b32_e64 v39, 0, v41, s[20:21]
	v_cndmask_b32_e64 v40, 0, v31, s[22:23]
	v_cndmask_b32_e64 v41, 0, v32, s[24:25]
	v_sub_f32_e32 v31, v36, v34
	v_sub_f32_e32 v32, v37, v34
	v_mul_f32_e32 v31, 0x3fb8aa3b, v31
	v_mul_f32_e32 v32, 0x3fb8aa3b, v32
	v_exp_f32_e32 v31, v31
	v_exp_f32_e32 v32, v32
	v_add_f32_e32 v30, 0, v38
	v_add_f32_e32 v30, v30, v39
	;; [unrolled: 1-line block ×4, first 2 shown]
	v_cndmask_b32_e64 v30, 0, v31, s[26:27]
	v_cndmask_b32_e64 v31, 0, v32, s[28:29]
	v_sub_f32_e32 v32, v42, v34
	v_mul_f32_e32 v32, 0x3fb8aa3b, v32
	v_sub_f32_e32 v35, v35, v34
	v_exp_f32_e32 v32, v32
	v_mul_f32_e32 v35, 0x3fb8aa3b, v35
	v_sub_f32_e32 v24, v24, v34
	v_exp_f32_e32 v35, v35
	;; [unrolled: 3-line block ×3, first 2 shown]
	v_mul_f32_e32 v25, 0x3fb8aa3b, v25
	v_sub_f32_e32 v22, v22, v34
	v_add_f32_e32 v33, v33, v30
	v_exp_f32_e32 v25, v25
	v_mul_f32_e32 v22, 0x3fb8aa3b, v22
	v_sub_f32_e32 v23, v23, v34
	v_add_f32_e32 v33, v33, v31
	v_cndmask_b32_e64 v32, 0, v32, s[30:31]
	v_exp_f32_e32 v22, v22
	v_mul_f32_e32 v23, 0x3fb8aa3b, v23
	v_sub_f32_e32 v20, v20, v34
	v_add_f32_e32 v36, v33, v32
	v_cndmask_b32_e64 v33, 0, v35, s[34:35]
	;; [unrolled: 5-line block ×5, first 2 shown]
	v_exp_f32_e32 v18, v18
	v_mul_f32_e32 v19, 0x3fb8aa3b, v19
	v_add_f32_e32 v35, v35, v22
	v_cndmask_b32_e64 v23, 0, v23, s[14:15]
	v_exp_f32_e32 v19, v19
	v_add_f32_e32 v35, v35, v23
	v_cndmask_b32_e64 v20, 0, v20, s[8:9]
	v_add_f32_e32 v35, v35, v20
	v_cndmask_b32_e64 v21, 0, v21, s[10:11]
	v_add_f32_e32 v35, v35, v21
	v_cndmask_b32_e32 v18, 0, v18, vcc
	v_add_f32_e32 v35, v35, v18
	v_cndmask_b32_e64 v19, 0, v19, s[6:7]
	v_add_f32_e32 v35, v35, v19
	ds_bpermute_b32 v36, v44, v35
	v_cmp_gt_u32_e32 vcc, 16, v27
	s_waitcnt lgkmcnt(0)
	s_barrier
	v_add_f32_e32 v36, v35, v36
	ds_bpermute_b32 v37, v45, v36
	v_lshlrev_b32_e32 v35, 2, v28
	s_and_saveexec_b64 s[4:5], vcc
	s_cbranch_execz .LBB826_15
; %bb.14:
	s_waitcnt lgkmcnt(0)
	v_add_f32_e32 v27, v36, v37
	v_lshl_or_b32 v36, v29, 6, v35
	ds_write2st64_b32 v36, v34, v27 offset1:1
.LBB826_15:
	s_or_b64 exec, exec, s[4:5]
	s_load_dword s6, s[0:1], 0x94
	s_waitcnt lgkmcnt(0)
	s_barrier
	ds_read2_b32 v[36:37], v35 offset1:16
	ds_read2_b32 v[42:43], v35 offset0:32 offset1:48
	ds_read2_b32 v[44:45], v35 offset0:64 offset1:80
	s_mul_i32 s7, s33, 3
	s_waitcnt lgkmcnt(2)
	v_max3_f32 v27, v36, s44, v37
	s_waitcnt lgkmcnt(1)
	v_max3_f32 v27, v27, v42, v43
	v_sub_f32_e32 v34, v36, v27
	v_mul_f32_e32 v34, 0x3fb8aa3b, v34
	v_exp_f32_e32 v48, v34
	v_sub_f32_e32 v34, v37, v27
	v_mul_f32_e32 v34, 0x3fb8aa3b, v34
	v_exp_f32_e32 v49, v34
	;; [unrolled: 3-line block ×3, first 2 shown]
	ds_read2_b32 v[36:37], v35 offset0:96 offset1:112
	v_sub_f32_e32 v34, v43, v27
	v_mul_f32_e32 v34, 0x3fb8aa3b, v34
	v_exp_f32_e32 v35, v34
	s_waitcnt lgkmcnt(1)
	v_fma_f32 v34, v48, v44, 0
	v_fmac_f32_e32 v34, v49, v45
	s_waitcnt lgkmcnt(0)
	v_fmac_f32_e32 v34, v42, v36
	v_fmac_f32_e32 v34, v35, v37
	v_add_f32_e32 v36, 0x358637bd, v34
	v_div_scale_f32 v37, s[4:5], v36, v36, 1.0
	v_rcp_f32_e32 v43, v37
	s_barrier
	v_fma_f32 v44, -v37, v43, 1.0
	v_fmac_f32_e32 v43, v44, v43
	v_div_scale_f32 v44, vcc, 1.0, v36, 1.0
	v_mul_f32_e32 v45, v44, v43
	v_fma_f32 v50, -v37, v45, v44
	v_fmac_f32_e32 v45, v50, v43
	v_fma_f32 v37, -v37, v45, v44
	v_div_fmas_f32 v37, v37, v43, v45
	v_cmp_eq_u32_e32 vcc, 1, v29
	v_div_fixup_f32 v36, v37, v36, 1.0
	s_nop 0
	v_cndmask_b32_e32 v37, v48, v49, vcc
	v_cmp_eq_u32_e32 vcc, 2, v29
	s_nop 1
	v_cndmask_b32_e32 v37, v37, v42, vcc
	v_cmp_eq_u32_e32 vcc, 3, v29
	v_lshlrev_b32_e32 v29, 11, v29
	s_nop 0
	v_cndmask_b32_e32 v35, v37, v35, vcc
	v_mul_f32_e32 v36, v35, v36
	v_pk_mul_f32 v[38:39], v[36:37], v[38:39] op_sel_hi:[0,1]
	v_pk_mul_f32 v[40:41], v[36:37], v[40:41] op_sel_hi:[0,1]
	v_cvt_f16_f32_e32 v35, v38
	v_cvt_f16_f32_e32 v37, v39
	;; [unrolled: 1-line block ×4, first 2 shown]
	v_cmp_gt_u32_e32 vcc, 3, v0
	v_pack_b32_f16 v38, v35, v37
	v_lshlrev_b32_e32 v37, 3, v46
	v_pk_mul_f32 v[30:31], v[36:37], v[30:31] op_sel_hi:[0,1]
	v_pack_b32_f16 v39, v39, v40
	v_cvt_f16_f32_e32 v40, v30
	v_cvt_f16_f32_e32 v31, v31
	v_lshlrev_b32_e32 v35, 5, v28
	v_pk_mul_f32 v[32:33], v[36:37], v[32:33] op_sel_hi:[0,1]
	v_pk_mul_f32 v[22:23], v[36:37], v[22:23] op_sel_hi:[0,1]
	;; [unrolled: 1-line block ×5, first 2 shown]
	v_cvt_f16_f32_e32 v41, v32
	v_cvt_f16_f32_e32 v33, v33
	v_or3_b32 v30, v29, v35, v37
	v_pack_b32_f16 v32, v40, v31
	v_cvt_f16_f32_e32 v24, v24
	v_cvt_f16_f32_e32 v25, v25
	;; [unrolled: 1-line block ×8, first 2 shown]
	v_pack_b32_f16 v33, v41, v33
	v_pack_b32_f16 v18, v24, v25
	;; [unrolled: 1-line block ×5, first 2 shown]
	ds_write2st64_b64 v30, v[38:39], v[32:33] offset1:1
	ds_write2st64_b64 v30, v[18:19], v[20:21] offset0:2 offset1:3
	s_and_saveexec_b64 s[4:5], vcc
	s_cbranch_execz .LBB826_17
; %bb.16:
	s_mov_b32 s49, 0
	v_mov_b32_e32 v29, 0
	v_lshl_add_u64 v[18:19], s[48:49], 0, v[28:29]
	v_mov_b32_e32 v20, s7
	v_mad_u64_u32 v[18:19], s[12:13], s2, v20, v[18:19]
	s_mul_i32 s3, s3, s7
	v_mov_b32_e32 v28, s16
	s_load_dwordx4 s[8:11], s[0:1], 0x58
	v_add_u32_e32 v21, s3, v19
	v_mad_u64_u32 v[18:19], s[12:13], v18, s6, v[28:29]
	v_mov_b32_e32 v20, v19
	v_mad_u64_u32 v[20:21], s[12:13], v21, s6, v[20:21]
	v_mov_b32_e32 v19, v20
	v_lshlrev_b64 v[18:19], 2, v[18:19]
	s_waitcnt lgkmcnt(0)
	v_lshl_add_u64 v[20:21], s[10:11], 0, v[18:19]
	v_lshl_add_u64 v[18:19], s[8:9], 0, v[18:19]
	global_store_dword v[20:21], v27, off
	global_store_dword v[18:19], v34, off
.LBB826_17:
	s_or_b64 exec, exec, s[4:5]
	s_waitcnt vmcnt(3)
	v_cvt_pk_f32_fp8_e32 v[18:19], v14
	v_cvt_pk_f32_fp8_sdwa v[20:21], v14 src0_sel:WORD_1
	v_lshl_or_b32 v14, v46, 9, v35
	s_waitcnt lgkmcnt(0)
	s_barrier
	v_cvt_pk_f32_fp8_e32 v[22:23], v15
	v_cvt_pkrtz_f16_f32 v28, v18, v19
	v_cvt_pkrtz_f16_f32 v29, v20, v21
	v_cvt_pk_f32_fp8_sdwa v[24:25], v15 src0_sel:WORD_1
	ds_read_b128 v[18:21], v14
	v_cvt_pkrtz_f16_f32 v36, v22, v23
	v_cvt_pk_f32_fp8_e32 v[38:39], v16
	v_cvt_pkrtz_f16_f32 v37, v24, v25
	ds_read_b128 v[22:25], v14 offset:16
	v_cvt_pk_f32_fp8_sdwa v[40:41], v16 src0_sel:WORD_1
	s_waitcnt lgkmcnt(1)
	v_mfma_f32_16x16x16_f16 v[32:35], v[28:29], v[18:19], 0
	v_cvt_pkrtz_f16_f32 v28, v38, v39
	v_cvt_pk_f32_fp8_e32 v[38:39], v17
	v_cvt_pkrtz_f16_f32 v29, v40, v41
	v_mfma_f32_16x16x16_f16 v[18:21], v[36:37], v[20:21], v[32:35]
	s_waitcnt vmcnt(2)
	v_cvt_pk_f32_fp8_sdwa v[36:37], v12 src0_sel:WORD_1
	s_load_dword s4, s[42:43], 0x0
	v_cmp_gt_u32_e32 vcc, 64, v0
	v_cvt_pk_f32_fp8_sdwa v[32:33], v17 src0_sel:WORD_1
	v_cvt_pkrtz_f16_f32 v34, v38, v39
	s_waitcnt lgkmcnt(0)
	v_mfma_f32_16x16x16_f16 v[16:19], v[28:29], v[22:23], v[18:21]
	v_cvt_pk_f32_fp8_sdwa v[22:23], v10 src0_sel:WORD_1
	v_cvt_pkrtz_f16_f32 v35, v32, v33
	v_cvt_pk_f32_fp8_sdwa v[28:29], v11 src0_sel:WORD_1
	v_cvt_pk_f32_fp8_e32 v[20:21], v10
	v_mfma_f32_16x16x16_f16 v[16:19], v[34:35], v[24:25], v[16:19]
	v_cvt_pk_f32_fp8_e32 v[24:25], v11
	v_cvt_pkrtz_f16_f32 v10, v20, v21
	v_cvt_pkrtz_f16_f32 v11, v22, v23
	ds_read_b128 v[20:23], v14 offset:2048
	ds_read_b128 v[32:35], v14 offset:2064
	v_cvt_pkrtz_f16_f32 v24, v24, v25
	v_cvt_pkrtz_f16_f32 v25, v28, v29
	v_cvt_pk_f32_fp8_e32 v[28:29], v12
	s_waitcnt lgkmcnt(1)
	v_mfma_f32_16x16x16_f16 v[16:19], v[10:11], v[20:21], v[16:19]
	v_cvt_pkrtz_f16_f32 v11, v36, v37
	v_cvt_pk_f32_fp8_e32 v[20:21], v13
	v_cvt_pkrtz_f16_f32 v10, v28, v29
	v_mfma_f32_16x16x16_f16 v[16:19], v[24:25], v[22:23], v[16:19]
	v_cvt_pk_f32_fp8_sdwa v[22:23], v13 src0_sel:WORD_1
	v_cvt_pkrtz_f16_f32 v20, v20, v21
	s_waitcnt vmcnt(1)
	v_cvt_pk_f32_fp8_e32 v[28:29], v8
	s_waitcnt lgkmcnt(0)
	v_mfma_f32_16x16x16_f16 v[10:13], v[10:11], v[32:33], v[16:19]
	v_cvt_pkrtz_f16_f32 v21, v22, v23
	v_cvt_pk_f32_fp8_sdwa v[22:23], v7 src0_sel:WORD_1
	v_cvt_pk_f32_fp8_sdwa v[32:33], v8 src0_sel:WORD_1
	v_cvt_pk_f32_fp8_e32 v[16:17], v6
	v_cvt_pk_f32_fp8_sdwa v[18:19], v6 src0_sel:WORD_1
	v_mfma_f32_16x16x16_f16 v[10:13], v[20:21], v[34:35], v[10:13]
	v_cvt_pk_f32_fp8_e32 v[20:21], v7
	v_cvt_pkrtz_f16_f32 v6, v16, v17
	v_cvt_pkrtz_f16_f32 v7, v18, v19
	ds_read_b128 v[16:19], v14 offset:4096
	v_cvt_pkrtz_f16_f32 v24, v20, v21
	v_cvt_pkrtz_f16_f32 v25, v22, v23
	ds_read_b128 v[20:23], v14 offset:4112
	s_waitcnt lgkmcnt(1)
	v_mfma_f32_16x16x16_f16 v[10:13], v[6:7], v[16:17], v[10:13]
	v_cvt_pkrtz_f16_f32 v6, v28, v29
	v_cvt_pkrtz_f16_f32 v7, v32, v33
	v_cvt_pk_f32_fp8_e32 v[16:17], v9
	v_mfma_f32_16x16x16_f16 v[10:13], v[24:25], v[18:19], v[10:13]
	v_cvt_pk_f32_fp8_sdwa v[18:19], v9 src0_sel:WORD_1
	s_mov_b32 s3, 0
	v_cvt_pkrtz_f16_f32 v16, v16, v17
	s_waitcnt lgkmcnt(0)
	v_mfma_f32_16x16x16_f16 v[6:9], v[6:7], v[20:21], v[10:13]
	v_cvt_pkrtz_f16_f32 v17, v18, v19
	s_waitcnt vmcnt(0)
	v_cvt_pk_f32_fp8_sdwa v[18:19], v3 src0_sel:WORD_1
	v_mov_b32_e32 v27, 0
	v_cvt_pk_f32_fp8_e32 v[10:11], v2
	v_cvt_pk_f32_fp8_sdwa v[12:13], v2 src0_sel:WORD_1
	v_mfma_f32_16x16x16_f16 v[6:9], v[16:17], v[22:23], v[6:9]
	v_cvt_pk_f32_fp8_e32 v[16:17], v3
	v_cvt_pkrtz_f16_f32 v2, v10, v11
	v_cvt_pkrtz_f16_f32 v3, v12, v13
	ds_read_b128 v[10:13], v14 offset:6144
	v_cvt_pkrtz_f16_f32 v20, v16, v17
	v_cvt_pkrtz_f16_f32 v21, v18, v19
	v_cvt_pk_f32_fp8_e32 v[18:19], v4
	v_cvt_pk_f32_fp8_sdwa v[22:23], v4 src0_sel:WORD_1
	s_waitcnt lgkmcnt(0)
	v_mfma_f32_16x16x16_f16 v[6:9], v[2:3], v[10:11], v[6:9]
	ds_read_b128 v[14:17], v14 offset:6160
	v_cvt_pkrtz_f16_f32 v2, v18, v19
	v_cvt_pkrtz_f16_f32 v3, v22, v23
	v_cvt_pk_f32_fp8_e32 v[10:11], v5
	v_mfma_f32_16x16x16_f16 v[6:9], v[20:21], v[12:13], v[6:9]
	v_cvt_pk_f32_fp8_sdwa v[12:13], v5 src0_sel:WORD_1
	s_waitcnt lgkmcnt(0)
	v_cvt_pkrtz_f16_f32 v10, v10, v11
	v_mfma_f32_16x16x16_f16 v[2:5], v[2:3], v[14:15], v[6:9]
	v_cvt_pkrtz_f16_f32 v11, v12, v13
	s_barrier
	s_nop 0
	v_mfma_f32_16x16x16_f16 v[2:5], v[10:11], v[16:17], v[2:5]
	s_nop 6
	v_pk_mul_f32 v[4:5], v[4:5], s[4:5] op_sel_hi:[1,0]
	v_pk_mul_f32 v[2:3], v[2:3], s[4:5] op_sel_hi:[1,0]
	v_cvt_f16_f32_e32 v4, v4
	v_cvt_f16_f32_e32 v2, v2
	;; [unrolled: 1-line block ×4, first 2 shown]
	v_cmp_ne_u32_e64 s[4:5], 3, v46
	s_and_b64 s[4:5], s[4:5], vcc
	v_pack_b32_f16 v2, v2, v3
	v_pack_b32_f16 v3, v4, v5
	s_and_b64 s[4:5], s[4:5], s[18:19]
	ds_write_b64 v30, v[2:3]
	s_waitcnt lgkmcnt(0)
	s_barrier
	s_and_saveexec_b64 s[8:9], s[4:5]
	s_cbranch_execz .LBB826_19
; %bb.18:
	s_load_dwordx2 s[0:1], s[0:1], 0x68
	s_mul_i32 s2, s7, s2
	s_lshl_b32 s6, s6, 6
	s_mul_hi_u32 s5, s2, s6
	s_mul_i32 s4, s2, s6
	v_lshlrev_b32_e32 v0, 10, v0
	s_lshl_b64 s[4:5], s[4:5], 1
	v_and_b32_e32 v0, 0x1800, v0
	v_lshlrev_b32_e32 v2, 5, v46
	v_and_b32_e32 v3, 16, v47
	s_waitcnt lgkmcnt(0)
	s_add_u32 s4, s0, s4
	v_or3_b32 v0, v0, v2, v3
	s_addc_u32 s5, s1, s5
	s_lshl_b32 s2, s16, 6
	ds_read_b128 v[2:5], v0
	s_lshl_b64 s[0:1], s[2:3], 1
	s_add_u32 s0, s4, s0
	s_addc_u32 s1, s5, s1
	v_mad_u64_u32 v[0:1], s[2:3], s6, v1, 0
	v_lshl_add_u64 v[0:1], v[0:1], 1, s[0:1]
	v_lshl_add_u64 v[0:1], v[0:1], 0, v[26:27]
	s_waitcnt lgkmcnt(0)
	global_store_dwordx4 v[0:1], v[2:5], off
.LBB826_19:
	s_endpgm
	.section	.rodata,"a",@progbits
	.p2align	6, 0x0
	.amdhsa_kernel _Z39paged_attention_ll4mi_QKV_mfma16_kernelIDF16_hLN4vllm18Fp8KVCacheDataTypeE1EDF16_Li16ELi64ELi256ELb1ELi3EEvPKT_PKT0_S7_ifPKiS9_S9_iPKfiiiPfSC_PS2_PT2_iSB_SB_
		.amdhsa_group_segment_fixed_size 8192
		.amdhsa_private_segment_fixed_size 0
		.amdhsa_kernarg_size 400
		.amdhsa_user_sgpr_count 2
		.amdhsa_user_sgpr_dispatch_ptr 0
		.amdhsa_user_sgpr_queue_ptr 0
		.amdhsa_user_sgpr_kernarg_segment_ptr 1
		.amdhsa_user_sgpr_dispatch_id 0
		.amdhsa_user_sgpr_kernarg_preload_length 0
		.amdhsa_user_sgpr_kernarg_preload_offset 0
		.amdhsa_user_sgpr_private_segment_size 0
		.amdhsa_uses_dynamic_stack 0
		.amdhsa_enable_private_segment 0
		.amdhsa_system_sgpr_workgroup_id_x 1
		.amdhsa_system_sgpr_workgroup_id_y 1
		.amdhsa_system_sgpr_workgroup_id_z 1
		.amdhsa_system_sgpr_workgroup_info 0
		.amdhsa_system_vgpr_workitem_id 0
		.amdhsa_next_free_vgpr 68
		.amdhsa_next_free_sgpr 50
		.amdhsa_accum_offset 68
		.amdhsa_reserve_vcc 1
		.amdhsa_float_round_mode_32 0
		.amdhsa_float_round_mode_16_64 0
		.amdhsa_float_denorm_mode_32 3
		.amdhsa_float_denorm_mode_16_64 3
		.amdhsa_dx10_clamp 1
		.amdhsa_ieee_mode 1
		.amdhsa_fp16_overflow 0
		.amdhsa_tg_split 0
		.amdhsa_exception_fp_ieee_invalid_op 0
		.amdhsa_exception_fp_denorm_src 0
		.amdhsa_exception_fp_ieee_div_zero 0
		.amdhsa_exception_fp_ieee_overflow 0
		.amdhsa_exception_fp_ieee_underflow 0
		.amdhsa_exception_fp_ieee_inexact 0
		.amdhsa_exception_int_div_zero 0
	.end_amdhsa_kernel
	.section	.text._Z39paged_attention_ll4mi_QKV_mfma16_kernelIDF16_hLN4vllm18Fp8KVCacheDataTypeE1EDF16_Li16ELi64ELi256ELb1ELi3EEvPKT_PKT0_S7_ifPKiS9_S9_iPKfiiiPfSC_PS2_PT2_iSB_SB_,"axG",@progbits,_Z39paged_attention_ll4mi_QKV_mfma16_kernelIDF16_hLN4vllm18Fp8KVCacheDataTypeE1EDF16_Li16ELi64ELi256ELb1ELi3EEvPKT_PKT0_S7_ifPKiS9_S9_iPKfiiiPfSC_PS2_PT2_iSB_SB_,comdat
.Lfunc_end826:
	.size	_Z39paged_attention_ll4mi_QKV_mfma16_kernelIDF16_hLN4vllm18Fp8KVCacheDataTypeE1EDF16_Li16ELi64ELi256ELb1ELi3EEvPKT_PKT0_S7_ifPKiS9_S9_iPKfiiiPfSC_PS2_PT2_iSB_SB_, .Lfunc_end826-_Z39paged_attention_ll4mi_QKV_mfma16_kernelIDF16_hLN4vllm18Fp8KVCacheDataTypeE1EDF16_Li16ELi64ELi256ELb1ELi3EEvPKT_PKT0_S7_ifPKiS9_S9_iPKfiiiPfSC_PS2_PT2_iSB_SB_
                                        ; -- End function
	.section	.AMDGPU.csdata,"",@progbits
; Kernel info:
; codeLenInByte = 4808
; NumSgprs: 56
; NumVgprs: 68
; NumAgprs: 0
; TotalNumVgprs: 68
; ScratchSize: 0
; MemoryBound: 0
; FloatMode: 240
; IeeeMode: 1
; LDSByteSize: 8192 bytes/workgroup (compile time only)
; SGPRBlocks: 6
; VGPRBlocks: 8
; NumSGPRsForWavesPerEU: 56
; NumVGPRsForWavesPerEU: 68
; AccumOffset: 68
; Occupancy: 7
; WaveLimiterHint : 1
; COMPUTE_PGM_RSRC2:SCRATCH_EN: 0
; COMPUTE_PGM_RSRC2:USER_SGPR: 2
; COMPUTE_PGM_RSRC2:TRAP_HANDLER: 0
; COMPUTE_PGM_RSRC2:TGID_X_EN: 1
; COMPUTE_PGM_RSRC2:TGID_Y_EN: 1
; COMPUTE_PGM_RSRC2:TGID_Z_EN: 1
; COMPUTE_PGM_RSRC2:TIDIG_COMP_CNT: 0
; COMPUTE_PGM_RSRC3_GFX90A:ACCUM_OFFSET: 16
; COMPUTE_PGM_RSRC3_GFX90A:TG_SPLIT: 0
	.section	.text._Z39paged_attention_ll4mi_QKV_mfma16_kernelIDF16_hLN4vllm18Fp8KVCacheDataTypeE1EDF16_Li16ELi64ELi256ELb1ELi4EEvPKT_PKT0_S7_ifPKiS9_S9_iPKfiiiPfSC_PS2_PT2_iSB_SB_,"axG",@progbits,_Z39paged_attention_ll4mi_QKV_mfma16_kernelIDF16_hLN4vllm18Fp8KVCacheDataTypeE1EDF16_Li16ELi64ELi256ELb1ELi4EEvPKT_PKT0_S7_ifPKiS9_S9_iPKfiiiPfSC_PS2_PT2_iSB_SB_,comdat
	.protected	_Z39paged_attention_ll4mi_QKV_mfma16_kernelIDF16_hLN4vllm18Fp8KVCacheDataTypeE1EDF16_Li16ELi64ELi256ELb1ELi4EEvPKT_PKT0_S7_ifPKiS9_S9_iPKfiiiPfSC_PS2_PT2_iSB_SB_ ; -- Begin function _Z39paged_attention_ll4mi_QKV_mfma16_kernelIDF16_hLN4vllm18Fp8KVCacheDataTypeE1EDF16_Li16ELi64ELi256ELb1ELi4EEvPKT_PKT0_S7_ifPKiS9_S9_iPKfiiiPfSC_PS2_PT2_iSB_SB_
	.globl	_Z39paged_attention_ll4mi_QKV_mfma16_kernelIDF16_hLN4vllm18Fp8KVCacheDataTypeE1EDF16_Li16ELi64ELi256ELb1ELi4EEvPKT_PKT0_S7_ifPKiS9_S9_iPKfiiiPfSC_PS2_PT2_iSB_SB_
	.p2align	8
	.type	_Z39paged_attention_ll4mi_QKV_mfma16_kernelIDF16_hLN4vllm18Fp8KVCacheDataTypeE1EDF16_Li16ELi64ELi256ELb1ELi4EEvPKT_PKT0_S7_ifPKiS9_S9_iPKfiiiPfSC_PS2_PT2_iSB_SB_,@function
_Z39paged_attention_ll4mi_QKV_mfma16_kernelIDF16_hLN4vllm18Fp8KVCacheDataTypeE1EDF16_Li16ELi64ELi256ELb1ELi4EEvPKT_PKT0_S7_ifPKiS9_S9_iPKfiiiPfSC_PS2_PT2_iSB_SB_: ; @_Z39paged_attention_ll4mi_QKV_mfma16_kernelIDF16_hLN4vllm18Fp8KVCacheDataTypeE1EDF16_Li16ELi64ELi256ELb1ELi4EEvPKT_PKT0_S7_ifPKiS9_S9_iPKfiiiPfSC_PS2_PT2_iSB_SB_
; %bb.0:
	s_load_dwordx2 s[6:7], s[0:1], 0x30
	s_mov_b32 s14, s3
	s_mov_b64 s[8:9], 0
	s_waitcnt lgkmcnt(0)
	s_cmp_lg_u64 s[6:7], 0
	s_cselect_b64 s[10:11], -1, 0
	s_and_b64 vcc, exec, s[10:11]
	s_cbranch_vccz .LBB827_7
; %bb.1:
	s_add_i32 s12, s2, 1
	s_mov_b32 s13, 0
	s_lshl_b64 s[16:17], s[12:13], 2
	s_add_u32 s16, s6, s16
	s_mov_b32 s3, s13
	s_addc_u32 s17, s7, s17
	s_lshl_b64 s[12:13], s[2:3], 2
	s_add_u32 s12, s6, s12
	s_addc_u32 s13, s7, s13
	s_load_dword s5, s[16:17], 0x0
	s_load_dword s15, s[12:13], 0x0
	s_waitcnt lgkmcnt(0)
	s_sub_i32 s5, s5, s15
	s_cmp_eq_u32 s5, 1
	s_cselect_b64 s[12:13], -1, 0
	s_andn2_b64 vcc, exec, s[8:9]
	s_cbranch_vccnz .LBB827_3
.LBB827_2:
	s_mov_b32 s3, 0
	s_mov_b64 s[12:13], -1
.LBB827_3:
	s_andn2_b64 vcc, exec, s[12:13]
	s_cbranch_vccnz .LBB827_19
; %bb.4:
	s_load_dwordx2 s[8:9], s[0:1], 0x28
	s_lshl_b64 s[12:13], s[2:3], 2
	s_waitcnt lgkmcnt(0)
	s_add_u32 s8, s8, s12
	s_addc_u32 s9, s9, s13
	s_load_dword s33, s[8:9], 0x0
	s_lshl_b32 s18, s14, 8
	s_waitcnt lgkmcnt(0)
	s_cmp_ge_i32 s18, s33
	s_cbranch_scc1 .LBB827_19
; %bb.5:
	s_load_dwordx2 s[8:9], s[0:1], 0x20
	s_load_dword s5, s[0:1], 0x38
	s_add_i32 s15, s33, 15
	s_ashr_i32 s16, s15, 31
	v_and_b32_e32 v1, 0xcf, v0
	s_lshr_b32 s16, s16, 28
	v_add_u32_e32 v1, s18, v1
	s_add_i32 s15, s15, s16
	v_ashrrev_i32_e32 v2, 31, v1
	s_ashr_i32 s19, s15, 4
	v_lshrrev_b32_e32 v4, 28, v2
	s_add_i32 s19, s19, -1
	s_waitcnt lgkmcnt(0)
	s_mul_i32 s16, s2, s5
	s_mov_b32 s17, 0
	v_add_u32_e32 v2, v1, v4
	s_lshl_b64 s[16:17], s[16:17], 2
	v_ashrrev_i32_e32 v2, 4, v2
	v_mov_b32_e32 v5, s19
	v_cmp_gt_i32_e32 vcc, s33, v1
	s_add_u32 s8, s8, s16
	s_addc_u32 s9, s9, s17
	v_cndmask_b32_e32 v2, v5, v2, vcc
	v_ashrrev_i32_e32 v3, 31, v2
	v_lshl_add_u64 v[6:7], v[2:3], 2, s[8:9]
	v_or_b32_e32 v2, 16, v1
	v_add_u32_e32 v3, v2, v4
	v_ashrrev_i32_e32 v3, 4, v3
	v_cmp_gt_i32_e32 vcc, s33, v2
	s_load_dwordx2 s[16:17], s[0:1], 0x8
	s_nop 0
	v_cndmask_b32_e32 v2, v5, v3, vcc
	v_ashrrev_i32_e32 v3, 31, v2
	v_lshl_add_u64 v[8:9], v[2:3], 2, s[8:9]
	v_or_b32_e32 v2, 32, v1
	v_add_u32_e32 v3, v2, v4
	v_ashrrev_i32_e32 v3, 4, v3
	v_cmp_gt_i32_e32 vcc, s33, v2
	v_or_b32_e32 v1, 48, v1
	s_nop 0
	v_cndmask_b32_e32 v2, v5, v3, vcc
	v_ashrrev_i32_e32 v3, 31, v2
	v_lshl_add_u64 v[10:11], v[2:3], 2, s[8:9]
	v_add_u32_e32 v2, v1, v4
	v_ashrrev_i32_e32 v2, 4, v2
	v_cmp_gt_i32_e32 vcc, s33, v1
	s_nop 1
	v_cndmask_b32_e32 v2, v5, v2, vcc
	v_ashrrev_i32_e32 v3, 31, v2
	v_lshl_add_u64 v[12:13], v[2:3], 2, s[8:9]
	global_load_dword v5, v[6:7], off
	global_load_dword v4, v[8:9], off
	;; [unrolled: 1-line block ×4, first 2 shown]
	s_andn2_b64 vcc, exec, s[10:11]
	s_cbranch_vccnz .LBB827_8
; %bb.6:
	s_add_u32 s6, s6, s12
	s_addc_u32 s7, s7, s13
	s_load_dword s5, s[6:7], 0x0
	s_branch .LBB827_9
.LBB827_7:
	s_mov_b64 s[12:13], 0
	s_branch .LBB827_2
.LBB827_8:
	s_mov_b32 s5, s2
.LBB827_9:
	s_load_dwordx2 s[10:11], s[0:1], 0x10
	s_load_dwordx4 s[44:47], s[0:1], 0x48
	v_and_b32_e32 v48, 15, v0
	v_bfe_u32 v46, v0, 4, 2
	s_lshl_b32 s15, s4, 2
	v_lshlrev_b32_e32 v6, 3, v48
	v_cmp_gt_u32_e32 vcc, 64, v0
	v_cmp_gt_u32_e64 s[6:7], 8, v48
	v_lshrrev_b32_e32 v47, 6, v0
	v_or_b32_e32 v1, s15, v46
	s_and_b64 s[48:49], vcc, s[6:7]
	v_lshlrev_b32_e32 v26, 1, v6
	v_lshlrev_b32_e32 v44, 5, v46
	v_lshlrev_b32_e32 v45, 4, v0
	s_and_saveexec_b64 s[6:7], s[48:49]
	s_cbranch_execz .LBB827_11
; %bb.10:
	s_load_dwordx2 s[12:13], s[0:1], 0x0
	s_waitcnt lgkmcnt(0)
	s_ashr_i32 s20, s44, 31
	s_mul_hi_u32 s21, s5, s44
	s_mul_i32 s20, s5, s20
	s_add_i32 s21, s21, s20
	s_mul_i32 s20, s5, s44
	s_lshl_b64 s[20:21], s[20:21], 1
	s_add_u32 s12, s12, s20
	v_lshlrev_b32_e32 v6, 6, v1
	s_addc_u32 s13, s13, s21
	v_ashrrev_i32_e32 v7, 31, v6
	v_lshl_add_u64 v[6:7], v[6:7], 1, s[12:13]
	v_mov_b32_e32 v27, 0
	v_lshl_add_u64 v[6:7], v[6:7], 0, v[26:27]
	global_load_dwordx4 v[6:9], v[6:7], off
	v_lshlrev_b32_e32 v12, 8, v48
	v_lshl_or_b32 v10, v47, 7, v44
	v_and_b32_e32 v11, 16, v45
	v_and_b32_e32 v12, 0xe00, v12
	v_or3_b32 v10, v12, v10, v11
	s_waitcnt vmcnt(0)
	ds_write_b128 v10, v[6:9]
.LBB827_11:
	s_or_b64 exec, exec, s[6:7]
	s_waitcnt lgkmcnt(0)
	s_mul_i32 s6, s4, s46
	s_add_u32 s4, s16, s6
	s_addc_u32 s5, s17, 0
	v_and_b32_e32 v30, 48, v0
	v_and_b32_e32 v28, 0xf0, v45
	v_mov_b32_e32 v29, 0
	v_lshl_add_u64 v[6:7], s[4:5], 0, v[28:29]
	v_lshlrev_b32_e32 v28, 4, v30
	v_lshl_add_u64 v[6:7], v[6:7], 0, v[28:29]
	s_waitcnt vmcnt(3)
	v_mad_i64_i32 v[8:9], s[4:5], v5, s45, v[6:7]
	s_waitcnt vmcnt(2)
	v_mad_i64_i32 v[4:5], s[4:5], v4, s45, v[6:7]
	s_barrier
	global_load_dwordx4 v[22:25], v[8:9], off
	global_load_dwordx4 v[18:21], v[4:5], off
	s_waitcnt vmcnt(3)
	v_mad_i64_i32 v[4:5], s[4:5], v3, s45, v[6:7]
	s_waitcnt vmcnt(2)
	v_mad_i64_i32 v[2:3], s[4:5], v2, s45, v[6:7]
	global_load_dwordx4 v[14:17], v[4:5], off
	global_load_dwordx4 v[6:9], v[2:3], off
	v_and_b32_e32 v2, 3, v0
	v_lshlrev_b32_e32 v2, 5, v2
	v_lshl_or_b32 v2, v46, 9, v2
	ds_read_b128 v[10:13], v2
	ds_read_b128 v[2:5], v2 offset:16
	v_and_b32_e32 v27, 63, v0
	v_cmp_gt_u32_e32 vcc, 4, v48
	v_mov_b32_e32 v49, 0
	s_and_saveexec_b64 s[4:5], vcc
	s_cbranch_execz .LBB827_13
; %bb.12:
	s_load_dwordx2 s[12:13], s[0:1], 0x40
	v_or_b32_e32 v32, s15, v48
	v_ashrrev_i32_e32 v33, 31, v32
	s_waitcnt lgkmcnt(0)
	v_lshl_add_u64 v[32:33], v[32:33], 2, s[12:13]
	global_load_dword v49, v[32:33], off
.LBB827_13:
	s_or_b64 exec, exec, s[4:5]
	v_or_b32_e32 v28, s18, v30
	s_waitcnt vmcnt(3)
	v_cvt_pk_f32_fp8_e32 v[32:33], v22
	v_cvt_pk_f32_fp8_sdwa v[34:35], v22 src0_sel:WORD_1
	v_ashrrev_i32_e32 v30, 4, v28
	v_mov_b32_e32 v51, s19
	v_cmp_gt_i32_e32 vcc, s33, v28
	s_waitcnt vmcnt(1)
	v_cvt_pk_f32_fp8_e32 v[68:69], v14
	v_cvt_pk_f32_fp8_sdwa v[70:71], v14 src0_sel:WORD_1
	v_or_b32_e32 v14, 64, v28
	v_cndmask_b32_e32 v30, v51, v30, vcc
	v_lshlrev_b32_e32 v72, 4, v48
	v_cvt_pk_f32_fp8_e32 v[52:53], v18
	v_cvt_pk_f32_fp8_sdwa v[54:55], v18 src0_sel:WORD_1
	v_cvt_pk_f32_fp8_e32 v[60:61], v20
	v_cvt_pk_f32_fp8_sdwa v[62:63], v20 src0_sel:WORD_1
	v_or_b32_e32 v18, 0x80, v28
	v_ashrrev_i32_e32 v20, 4, v14
	v_cmp_gt_i32_e32 vcc, s33, v14
	v_cvt_pk_f32_fp8_e32 v[36:37], v23
	v_cvt_pk_f32_fp8_e32 v[56:57], v19
	v_cvt_pk_f32_fp8_sdwa v[58:59], v19 src0_sel:WORD_1
	v_cvt_pk_f32_fp8_e32 v[64:65], v21
	v_cvt_pk_f32_fp8_sdwa v[66:67], v21 src0_sel:WORD_1
	v_or_b32_e32 v19, 0xc0, v28
	v_lshl_or_b32 v28, v47, 8, v72
	v_ashrrev_i32_e32 v21, 4, v18
	v_cndmask_b32_e32 v72, v51, v20, vcc
	v_cmp_gt_i32_e32 vcc, s33, v18
	v_cvt_pk_f32_fp8_sdwa v[22:23], v23 src0_sel:WORD_1
	v_ashrrev_i32_e32 v73, 4, v19
	v_cndmask_b32_e32 v74, v51, v21, vcc
	v_cmp_gt_i32_e32 vcc, s33, v19
	v_cvt_pkrtz_f16_f32 v18, v32, v33
	v_cvt_pkrtz_f16_f32 v19, v34, v35
	v_ashrrev_i32_e32 v31, 31, v30
	v_lshl_add_u64 v[30:31], v[30:31], 2, s[8:9]
	v_cvt_pkrtz_f16_f32 v34, v36, v37
	v_cvt_pkrtz_f16_f32 v36, v52, v53
	;; [unrolled: 1-line block ×3, first 2 shown]
	global_load_dword v50, v[30:31], off
	v_cvt_pk_f32_fp8_e32 v[38:39], v24
	v_cvt_pk_f32_fp8_sdwa v[40:41], v24 src0_sel:WORD_1
	v_cvt_pkrtz_f16_f32 v35, v22, v23
	s_waitcnt lgkmcnt(1)
	v_mfma_f32_16x16x16_f16 v[18:21], v[18:19], v[10:11], 0
	s_add_u32 s4, s10, s6
	s_addc_u32 s5, s11, 0
	v_cvt_pkrtz_f16_f32 v22, v56, v57
	v_cvt_pkrtz_f16_f32 v23, v58, v59
	v_cvt_pk_f32_fp8_e32 v[42:43], v25
	v_cvt_pk_f32_fp8_sdwa v[24:25], v25 src0_sel:WORD_1
	v_lshl_add_u64 v[28:29], s[4:5], 0, v[28:29]
	v_cvt_pkrtz_f16_f32 v52, v38, v39
	v_cvt_pkrtz_f16_f32 v53, v40, v41
	v_mfma_f32_16x16x16_f16 v[38:41], v[36:37], v[10:11], 0
	s_load_dword s4, s[0:1], 0x1c
	s_load_dwordx4 s[40:43], s[0:1], 0x80
	v_cndmask_b32_e32 v76, v51, v73, vcc
	v_ashrrev_i32_e32 v73, 31, v72
	v_mfma_f32_16x16x16_f16 v[18:21], v[34:35], v[12:13], v[18:21]
	v_ashrrev_i32_e32 v75, 31, v74
	v_ashrrev_i32_e32 v77, 31, v76
	v_cvt_pkrtz_f16_f32 v33, v24, v25
	v_mfma_f32_16x16x16_f16 v[22:25], v[22:23], v[12:13], v[38:41]
	v_cvt_pkrtz_f16_f32 v32, v42, v43
	v_lshl_add_u64 v[42:43], v[76:77], 2, s[8:9]
	s_load_dword s44, s[0:1], 0x98
	s_waitcnt lgkmcnt(0)
	s_load_dword s5, s[40:41], 0x0
	v_lshl_add_u64 v[38:39], v[72:73], 2, s[8:9]
	v_lshl_add_u64 v[40:41], v[74:75], 2, s[8:9]
	v_mfma_f32_16x16x16_f16 v[18:21], v[52:53], v[2:3], v[18:21]
	global_load_dword v52, v[38:39], off
	s_nop 0
	global_load_dword v41, v[40:41], off
	s_nop 0
	global_load_dword v53, v[42:43], off
	v_cvt_pkrtz_f16_f32 v54, v60, v61
	v_cvt_pkrtz_f16_f32 v55, v62, v63
	;; [unrolled: 1-line block ×4, first 2 shown]
	v_mov_b32_e32 v14, s4
	v_cvt_pk_f32_fp8_e32 v[30:31], v15
	v_cvt_pkrtz_f16_f32 v34, v68, v69
	v_cvt_pkrtz_f16_f32 v35, v70, v71
	v_mfma_f32_16x16x16_f16 v[22:25], v[54:55], v[2:3], v[22:25]
	s_waitcnt lgkmcnt(0)
	v_mul_f32_e32 v40, s5, v14
	v_cvt_pk_f32_fp8_sdwa v[14:15], v15 src0_sel:WORD_1
	v_cvt_pkrtz_f16_f32 v38, v30, v31
	v_mfma_f32_16x16x16_f16 v[22:25], v[36:37], v[4:5], v[22:25]
	v_cvt_pk_f32_fp8_e32 v[42:43], v16
	v_cvt_pkrtz_f16_f32 v39, v14, v15
	s_mov_b32 s40, 0xff7fffff
	v_mfma_f32_16x16x16_f16 v[18:21], v[32:33], v[4:5], v[18:21]
	s_waitcnt vmcnt(3)
	v_mad_i64_i32 v[36:37], s[4:5], v50, s45, v[28:29]
	v_cvt_pk_f32_fp8_sdwa v[50:51], v16 src0_sel:WORD_1
	v_mfma_f32_16x16x16_f16 v[30:33], v[34:35], v[10:11], 0
	v_cvt_pkrtz_f16_f32 v34, v42, v43
	v_cvt_pk_f32_fp8_e32 v[42:43], v17
	v_cvt_pkrtz_f16_f32 v35, v50, v51
	v_cvt_pk_f32_fp8_sdwa v[50:51], v17 src0_sel:WORD_1
	v_mfma_f32_16x16x16_f16 v[14:17], v[38:39], v[12:13], v[30:33]
	s_waitcnt vmcnt(1)
	v_pk_mul_f32 v[38:39], v[40:41], v[18:19] op_sel_hi:[0,1]
	s_nop 0
	v_pk_mul_f32 v[30:31], v[40:41], v[20:21] op_sel_hi:[0,1]
	v_cvt_pkrtz_f16_f32 v20, v42, v43
	v_cvt_pkrtz_f16_f32 v21, v50, v51
	v_mfma_f32_16x16x16_f16 v[14:17], v[34:35], v[2:3], v[14:17]
	v_cvt_pk_f32_fp8_e32 v[18:19], v6
	v_cvt_pk_f32_fp8_sdwa v[32:33], v6 src0_sel:WORD_1
	v_cvt_pk_f32_fp8_e32 v[34:35], v8
	v_mfma_f32_16x16x16_f16 v[14:17], v[20:21], v[4:5], v[14:17]
	v_cvt_pk_f32_fp8_e32 v[20:21], v7
	v_cvt_pkrtz_f16_f32 v18, v18, v19
	v_cvt_pkrtz_f16_f32 v19, v32, v33
	v_cvt_pk_f32_fp8_sdwa v[6:7], v7 src0_sel:WORD_1
	v_cvt_pkrtz_f16_f32 v32, v20, v21
	v_cvt_pk_f32_fp8_sdwa v[42:43], v8 src0_sel:WORD_1
	v_mfma_f32_16x16x16_f16 v[18:21], v[18:19], v[10:11], 0
	v_cvt_pkrtz_f16_f32 v33, v6, v7
	v_cvt_pkrtz_f16_f32 v10, v34, v35
	;; [unrolled: 1-line block ×3, first 2 shown]
	v_cvt_pk_f32_fp8_e32 v[34:35], v9
	v_cvt_pk_f32_fp8_sdwa v[42:43], v9 src0_sel:WORD_1
	v_mfma_f32_16x16x16_f16 v[6:9], v[32:33], v[12:13], v[18:21]
	v_pk_mul_f32 v[32:33], v[40:41], v[24:25] op_sel_hi:[0,1]
	v_cvt_pkrtz_f16_f32 v12, v34, v35
	v_cvt_pkrtz_f16_f32 v13, v42, v43
	v_mfma_f32_16x16x16_f16 v[6:9], v[10:11], v[2:3], v[6:9]
	v_pk_mul_f32 v[34:35], v[40:41], v[22:23] op_sel_hi:[0,1]
	v_pk_mul_f32 v[22:23], v[40:41], v[16:17] op_sel_hi:[0,1]
	;; [unrolled: 1-line block ×3, first 2 shown]
	v_mfma_f32_16x16x16_f16 v[2:5], v[12:13], v[4:5], v[6:9]
	s_nop 6
	v_pk_mul_f32 v[20:21], v[40:41], v[2:3] op_sel_hi:[0,1]
	v_and_b32_e32 v2, 0xc0, v0
	v_add_u32_e32 v2, s18, v2
	v_lshl_or_b32 v2, v46, 2, v2
	v_or_b32_e32 v3, 1, v2
	v_pk_mul_f32 v[18:19], v[40:41], v[4:5] op_sel_hi:[0,1]
	v_subrev_u32_e32 v4, s33, v3
	v_add_u32_e32 v6, 1, v4
	v_add_u32_e32 v7, 2, v4
	;; [unrolled: 1-line block ×3, first 2 shown]
	v_cvt_f32_i32_e32 v6, v6
	v_cvt_f32_i32_e32 v7, v7
	v_cvt_f32_i32_e32 v8, v8
	v_add_u32_e32 v9, 19, v4
	v_fmac_f32_e32 v39, v49, v6
	v_fma_f32 v30, v49, v7, v30
	v_fmac_f32_e32 v31, v49, v8
	v_add_u32_e32 v6, 16, v4
	v_add_u32_e32 v7, 17, v4
	;; [unrolled: 1-line block ×3, first 2 shown]
	v_cvt_f32_i32_e32 v6, v6
	v_cvt_f32_i32_e32 v7, v7
	;; [unrolled: 1-line block ×4, first 2 shown]
	v_fma_f32 v34, v49, v6, v34
	v_fmac_f32_e32 v35, v49, v7
	v_fma_f32 v40, v49, v8, v32
	v_add_u32_e32 v6, 32, v4
	v_add_u32_e32 v7, 33, v4
	;; [unrolled: 1-line block ×3, first 2 shown]
	v_cvt_f32_i32_e32 v6, v6
	v_cvt_f32_i32_e32 v7, v7
	;; [unrolled: 1-line block ×4, first 2 shown]
	v_fmac_f32_e32 v33, v49, v9
	v_add_u32_e32 v9, 35, v4
	v_fma_f32 v24, v49, v6, v24
	v_fmac_f32_e32 v25, v49, v7
	v_fma_f32 v22, v49, v8, v22
	v_add_u32_e32 v6, 48, v4
	v_add_u32_e32 v7, 49, v4
	;; [unrolled: 1-line block ×4, first 2 shown]
	v_cvt_f32_i32_e32 v4, v4
	v_cvt_f32_i32_e32 v6, v6
	;; [unrolled: 1-line block ×3, first 2 shown]
	v_fma_f32 v5, v49, v5, v38
	v_fmac_f32_e32 v19, v49, v4
	v_mov_b32_e32 v4, 0xff7fffff
	v_cmp_gt_i32_e64 s[16:17], s33, v2
	v_cmp_gt_i32_e64 s[18:19], s33, v3
	v_fma_f32 v20, v49, v6, v20
	v_cndmask_b32_e64 v6, v4, v5, s[16:17]
	v_cndmask_b32_e64 v3, v4, v39, s[18:19]
	v_fmac_f32_e32 v21, v49, v7
	v_max3_f32 v3, v6, s40, v3
	v_or_b32_e32 v6, 2, v2
	v_or_b32_e32 v7, 3, v2
	v_cmp_gt_i32_e64 s[20:21], s33, v6
	v_cmp_gt_i32_e64 s[22:23], s33, v7
	v_cvt_f32_i32_e32 v9, v9
	v_cndmask_b32_e64 v6, v4, v30, s[20:21]
	v_cndmask_b32_e64 v7, v4, v31, s[22:23]
	v_max3_f32 v3, v3, v6, v7
	v_or_b32_e32 v6, 16, v2
	v_or_b32_e32 v7, 17, v2
	v_cmp_gt_i32_e64 s[24:25], s33, v6
	v_cmp_gt_i32_e64 s[26:27], s33, v7
	v_fmac_f32_e32 v23, v49, v9
	v_cndmask_b32_e64 v6, v4, v34, s[24:25]
	v_cndmask_b32_e64 v7, v4, v35, s[26:27]
	v_max3_f32 v3, v3, v6, v7
	v_or_b32_e32 v6, 18, v2
	v_or_b32_e32 v7, 19, v2
	v_cmp_gt_i32_e64 s[28:29], s33, v6
	v_cmp_gt_i32_e64 s[30:31], s33, v7
	v_cvt_f32_i32_e32 v8, v8
	v_cndmask_b32_e64 v6, v4, v40, s[28:29]
	v_cndmask_b32_e64 v7, v4, v33, s[30:31]
	v_max3_f32 v3, v3, v6, v7
	v_or_b32_e32 v6, 32, v2
	v_or_b32_e32 v7, 33, v2
	v_cmp_gt_i32_e64 s[34:35], s33, v6
	v_cmp_gt_i32_e64 s[36:37], s33, v7
	v_fma_f32 v18, v49, v8, v18
	v_cndmask_b32_e64 v6, v4, v24, s[34:35]
	v_cndmask_b32_e64 v7, v4, v25, s[36:37]
	v_max3_f32 v3, v3, v6, v7
	v_or_b32_e32 v6, 34, v2
	v_or_b32_e32 v7, 35, v2
	v_cmp_gt_i32_e64 s[10:11], s33, v6
	v_cmp_gt_i32_e64 s[12:13], s33, v7
	s_nop 0
	v_cndmask_b32_e64 v6, v4, v22, s[10:11]
	v_cndmask_b32_e64 v7, v4, v23, s[12:13]
	v_max3_f32 v3, v3, v6, v7
	v_or_b32_e32 v6, 48, v2
	v_or_b32_e32 v7, 49, v2
	v_cmp_gt_i32_e64 s[6:7], s33, v6
	v_cmp_gt_i32_e64 s[8:9], s33, v7
	s_nop 0
	v_cndmask_b32_e64 v6, v4, v20, s[6:7]
	v_cndmask_b32_e64 v7, v4, v21, s[8:9]
	v_max3_f32 v3, v3, v6, v7
	v_or_b32_e32 v6, 50, v2
	v_or_b32_e32 v2, 51, v2
	v_cmp_gt_i32_e32 vcc, s33, v6
	v_cmp_gt_i32_e64 s[4:5], s33, v2
	s_nop 0
	v_cndmask_b32_e32 v6, v4, v18, vcc
	v_cndmask_b32_e64 v2, v4, v19, s[4:5]
	v_max3_f32 v4, v3, v6, v2
	v_mbcnt_lo_u32_b32 v2, -1, 0
	v_mbcnt_hi_u32_b32 v6, -1, v2
	v_and_b32_e32 v2, 64, v6
	v_add_u32_e32 v7, 64, v2
	v_xor_b32_e32 v2, 32, v6
	v_cmp_lt_i32_e64 s[38:39], v2, v7
	s_nop 1
	v_cndmask_b32_e64 v2, v6, v2, s[38:39]
	v_lshlrev_b32_e32 v42, 2, v2
	ds_bpermute_b32 v8, v42, v4
	v_mad_i64_i32 v[2:3], s[38:39], v52, s45, v[28:29]
	global_load_dwordx4 v[14:17], v[36:37], off
	global_load_dwordx4 v[10:13], v[2:3], off
	v_xor_b32_e32 v3, 16, v6
	v_cmp_lt_i32_e64 s[38:39], v3, v7
	s_waitcnt lgkmcnt(0)
	v_max_f32_e32 v2, v8, v8
	v_max_f32_e32 v2, v4, v2
	v_cndmask_b32_e64 v3, v6, v3, s[38:39]
	v_lshlrev_b32_e32 v43, 2, v3
	ds_bpermute_b32 v3, v43, v2
	v_mad_i64_i32 v[36:37], s[38:39], v41, s45, v[28:29]
	s_waitcnt vmcnt(2)
	v_mad_i64_i32 v[28:29], s[38:39], v53, s45, v[28:29]
	s_waitcnt lgkmcnt(0)
	v_max_f32_e32 v3, v3, v3
	v_max_f32_e32 v32, v2, v3
	v_sub_f32_e32 v2, v5, v32
	v_mul_f32_e32 v2, 0x3fb8aa3b, v2
	v_exp_f32_e32 v38, v2
	v_sub_f32_e32 v2, v39, v32
	v_mul_f32_e32 v2, 0x3fb8aa3b, v2
	v_exp_f32_e32 v39, v2
	global_load_dwordx4 v[6:9], v[36:37], off
	global_load_dwordx4 v[2:5], v[28:29], off
	v_sub_f32_e32 v29, v30, v32
	v_sub_f32_e32 v30, v31, v32
	v_mul_f32_e32 v29, 0x3fb8aa3b, v29
	v_mul_f32_e32 v30, 0x3fb8aa3b, v30
	v_exp_f32_e32 v29, v29
	v_exp_f32_e32 v30, v30
	v_cndmask_b32_e64 v36, 0, v38, s[16:17]
	v_cndmask_b32_e64 v37, 0, v39, s[18:19]
	;; [unrolled: 1-line block ×4, first 2 shown]
	v_sub_f32_e32 v29, v34, v32
	v_sub_f32_e32 v30, v35, v32
	v_mul_f32_e32 v29, 0x3fb8aa3b, v29
	v_mul_f32_e32 v30, 0x3fb8aa3b, v30
	v_exp_f32_e32 v29, v29
	v_exp_f32_e32 v30, v30
	v_add_f32_e32 v28, 0, v36
	v_add_f32_e32 v28, v28, v37
	;; [unrolled: 1-line block ×4, first 2 shown]
	v_cndmask_b32_e64 v28, 0, v29, s[24:25]
	v_cndmask_b32_e64 v29, 0, v30, s[26:27]
	v_sub_f32_e32 v30, v40, v32
	v_mul_f32_e32 v30, 0x3fb8aa3b, v30
	v_sub_f32_e32 v33, v33, v32
	v_exp_f32_e32 v30, v30
	v_mul_f32_e32 v33, 0x3fb8aa3b, v33
	v_sub_f32_e32 v24, v24, v32
	v_exp_f32_e32 v33, v33
	;; [unrolled: 3-line block ×3, first 2 shown]
	v_mul_f32_e32 v25, 0x3fb8aa3b, v25
	v_sub_f32_e32 v22, v22, v32
	v_add_f32_e32 v31, v31, v28
	v_exp_f32_e32 v25, v25
	v_mul_f32_e32 v22, 0x3fb8aa3b, v22
	v_sub_f32_e32 v23, v23, v32
	v_add_f32_e32 v31, v31, v29
	v_cndmask_b32_e64 v30, 0, v30, s[28:29]
	v_exp_f32_e32 v22, v22
	v_mul_f32_e32 v23, 0x3fb8aa3b, v23
	v_sub_f32_e32 v20, v20, v32
	v_add_f32_e32 v34, v31, v30
	v_cndmask_b32_e64 v31, 0, v33, s[30:31]
	v_exp_f32_e32 v23, v23
	v_mul_f32_e32 v20, 0x3fb8aa3b, v20
	v_sub_f32_e32 v21, v21, v32
	v_add_f32_e32 v33, v34, v31
	v_cndmask_b32_e64 v24, 0, v24, s[34:35]
	v_exp_f32_e32 v20, v20
	v_mul_f32_e32 v21, 0x3fb8aa3b, v21
	v_sub_f32_e32 v18, v18, v32
	v_add_f32_e32 v33, v33, v24
	v_cndmask_b32_e64 v25, 0, v25, s[36:37]
	v_exp_f32_e32 v21, v21
	v_mul_f32_e32 v18, 0x3fb8aa3b, v18
	v_sub_f32_e32 v19, v19, v32
	v_add_f32_e32 v33, v33, v25
	v_cndmask_b32_e64 v22, 0, v22, s[10:11]
	v_exp_f32_e32 v18, v18
	v_mul_f32_e32 v19, 0x3fb8aa3b, v19
	v_add_f32_e32 v33, v33, v22
	v_cndmask_b32_e64 v23, 0, v23, s[12:13]
	v_exp_f32_e32 v19, v19
	v_add_f32_e32 v33, v33, v23
	v_cndmask_b32_e64 v20, 0, v20, s[6:7]
	v_add_f32_e32 v33, v33, v20
	v_cndmask_b32_e64 v21, 0, v21, s[8:9]
	v_add_f32_e32 v33, v33, v21
	v_cndmask_b32_e32 v18, 0, v18, vcc
	v_add_f32_e32 v33, v33, v18
	v_cndmask_b32_e64 v19, 0, v19, s[4:5]
	v_add_f32_e32 v33, v33, v19
	ds_bpermute_b32 v34, v42, v33
	v_cmp_gt_u32_e32 vcc, 16, v27
	s_waitcnt lgkmcnt(0)
	s_barrier
	v_add_f32_e32 v34, v33, v34
	ds_bpermute_b32 v35, v43, v34
	v_lshlrev_b32_e32 v33, 2, v48
	s_and_saveexec_b64 s[4:5], vcc
	s_cbranch_execz .LBB827_15
; %bb.14:
	s_waitcnt lgkmcnt(0)
	v_add_f32_e32 v27, v34, v35
	v_lshl_or_b32 v34, v47, 6, v33
	ds_write2st64_b32 v34, v32, v27 offset1:1
.LBB827_15:
	s_or_b64 exec, exec, s[4:5]
	s_load_dword s6, s[0:1], 0x94
	s_waitcnt lgkmcnt(0)
	s_barrier
	ds_read2_b32 v[34:35], v33 offset1:16
	ds_read2_b32 v[40:41], v33 offset0:32 offset1:48
	ds_read2_b32 v[42:43], v33 offset0:64 offset1:80
	s_lshl_b32 s7, s44, 2
	s_waitcnt lgkmcnt(2)
	v_max3_f32 v27, v34, s40, v35
	s_waitcnt lgkmcnt(1)
	v_max3_f32 v27, v27, v40, v41
	v_sub_f32_e32 v32, v34, v27
	v_mul_f32_e32 v32, 0x3fb8aa3b, v32
	v_exp_f32_e32 v49, v32
	v_sub_f32_e32 v32, v35, v27
	v_mul_f32_e32 v32, 0x3fb8aa3b, v32
	v_exp_f32_e32 v50, v32
	;; [unrolled: 3-line block ×3, first 2 shown]
	ds_read2_b32 v[34:35], v33 offset0:96 offset1:112
	v_sub_f32_e32 v32, v41, v27
	v_mul_f32_e32 v32, 0x3fb8aa3b, v32
	v_exp_f32_e32 v33, v32
	s_waitcnt lgkmcnt(1)
	v_fma_f32 v32, v49, v42, 0
	v_fmac_f32_e32 v32, v50, v43
	s_waitcnt lgkmcnt(0)
	v_fmac_f32_e32 v32, v40, v34
	v_fmac_f32_e32 v32, v33, v35
	v_add_f32_e32 v34, 0x358637bd, v32
	v_div_scale_f32 v35, s[4:5], v34, v34, 1.0
	v_rcp_f32_e32 v41, v35
	s_barrier
	v_fma_f32 v42, -v35, v41, 1.0
	v_fmac_f32_e32 v41, v42, v41
	v_div_scale_f32 v42, vcc, 1.0, v34, 1.0
	v_mul_f32_e32 v43, v42, v41
	v_fma_f32 v51, -v35, v43, v42
	v_fmac_f32_e32 v43, v51, v41
	v_fma_f32 v35, -v35, v43, v42
	v_div_fmas_f32 v35, v35, v41, v43
	v_cmp_eq_u32_e32 vcc, 1, v47
	v_div_fixup_f32 v34, v35, v34, 1.0
	s_nop 0
	v_cndmask_b32_e32 v35, v49, v50, vcc
	v_cmp_eq_u32_e32 vcc, 2, v47
	s_nop 1
	v_cndmask_b32_e32 v35, v35, v40, vcc
	v_cmp_eq_u32_e32 vcc, 3, v47
	s_nop 1
	v_cndmask_b32_e32 v33, v35, v33, vcc
	v_mul_f32_e32 v34, v33, v34
	v_pk_mul_f32 v[36:37], v[34:35], v[36:37] op_sel_hi:[0,1]
	v_pk_mul_f32 v[38:39], v[34:35], v[38:39] op_sel_hi:[0,1]
	v_cvt_f16_f32_e32 v33, v36
	v_cvt_f16_f32_e32 v35, v37
	;; [unrolled: 1-line block ×4, first 2 shown]
	v_cmp_gt_u32_e32 vcc, 4, v0
	v_pack_b32_f16 v36, v33, v35
	v_lshlrev_b32_e32 v35, 3, v46
	v_pk_mul_f32 v[30:31], v[34:35], v[30:31] op_sel_hi:[0,1]
	v_pk_mul_f32 v[28:29], v[34:35], v[28:29] op_sel_hi:[0,1]
	v_pack_b32_f16 v37, v37, v38
	v_cvt_f16_f32_e32 v38, v28
	v_cvt_f16_f32_e32 v29, v29
	;; [unrolled: 1-line block ×4, first 2 shown]
	v_lshlrev_b32_e32 v33, 5, v48
	v_lshlrev_b32_e32 v28, 11, v47
	v_or3_b32 v28, v28, v33, v35
	v_pack_b32_f16 v30, v38, v29
	v_pack_b32_f16 v31, v39, v31
	v_pk_mul_f32 v[22:23], v[34:35], v[22:23] op_sel_hi:[0,1]
	v_pk_mul_f32 v[24:25], v[34:35], v[24:25] op_sel_hi:[0,1]
	;; [unrolled: 1-line block ×4, first 2 shown]
	ds_write2st64_b64 v28, v[36:37], v[30:31] offset1:1
	v_cvt_f16_f32_e32 v24, v24
	v_cvt_f16_f32_e32 v25, v25
	;; [unrolled: 1-line block ×8, first 2 shown]
	v_pack_b32_f16 v18, v24, v25
	v_pack_b32_f16 v19, v22, v23
	;; [unrolled: 1-line block ×4, first 2 shown]
	ds_write2st64_b64 v28, v[18:19], v[20:21] offset0:2 offset1:3
	s_and_saveexec_b64 s[4:5], vcc
	s_cbranch_execz .LBB827_17
; %bb.16:
	v_or_b32_e32 v18, s15, v0
	v_mov_b32_e32 v19, 0
	v_mov_b32_e32 v20, s7
	v_mad_u64_u32 v[20:21], s[12:13], s2, v20, v[18:19]
	v_mov_b32_e32 v18, s14
	s_load_dwordx4 s[8:11], s[0:1], 0x58
	s_mul_i32 s3, s3, s7
	v_mad_u64_u32 v[18:19], s[12:13], v20, s6, v[18:19]
	v_add_u32_e32 v21, s3, v21
	v_mov_b32_e32 v20, v19
	v_mad_u64_u32 v[20:21], s[12:13], v21, s6, v[20:21]
	v_mov_b32_e32 v19, v20
	v_lshlrev_b64 v[18:19], 2, v[18:19]
	s_waitcnt lgkmcnt(0)
	v_lshl_add_u64 v[20:21], s[10:11], 0, v[18:19]
	v_lshl_add_u64 v[18:19], s[8:9], 0, v[18:19]
	global_store_dword v[20:21], v27, off
	global_store_dword v[18:19], v32, off
.LBB827_17:
	s_or_b64 exec, exec, s[4:5]
	s_waitcnt vmcnt(3)
	v_cvt_pk_f32_fp8_e32 v[18:19], v14
	v_cvt_pk_f32_fp8_sdwa v[20:21], v14 src0_sel:WORD_1
	v_lshl_or_b32 v14, v46, 9, v33
	s_waitcnt lgkmcnt(0)
	s_barrier
	v_cvt_pk_f32_fp8_e32 v[22:23], v15
	v_cvt_pkrtz_f16_f32 v30, v18, v19
	v_cvt_pkrtz_f16_f32 v31, v20, v21
	v_cvt_pk_f32_fp8_sdwa v[24:25], v15 src0_sel:WORD_1
	ds_read_b128 v[18:21], v14
	v_cvt_pkrtz_f16_f32 v34, v22, v23
	v_cvt_pk_f32_fp8_e32 v[36:37], v16
	v_cvt_pkrtz_f16_f32 v35, v24, v25
	ds_read_b128 v[22:25], v14 offset:16
	v_cvt_pk_f32_fp8_sdwa v[38:39], v16 src0_sel:WORD_1
	s_waitcnt lgkmcnt(1)
	v_mfma_f32_16x16x16_f16 v[30:33], v[30:31], v[18:19], 0
	v_cvt_pkrtz_f16_f32 v36, v36, v37
	s_load_dword s4, s[42:43], 0x0
	v_cvt_pkrtz_f16_f32 v37, v38, v39
	v_cvt_pk_f32_fp8_e32 v[38:39], v17
	v_mfma_f32_16x16x16_f16 v[18:21], v[34:35], v[20:21], v[30:33]
	s_waitcnt vmcnt(2)
	v_cvt_pk_f32_fp8_e32 v[34:35], v12
	s_mov_b32 s3, 0
	v_mov_b32_e32 v27, 0
	v_cvt_pk_f32_fp8_sdwa v[30:31], v17 src0_sel:WORD_1
	v_cvt_pkrtz_f16_f32 v32, v38, v39
	s_waitcnt lgkmcnt(0)
	v_mfma_f32_16x16x16_f16 v[16:19], v[36:37], v[22:23], v[18:21]
	v_cvt_pk_f32_fp8_sdwa v[22:23], v10 src0_sel:WORD_1
	v_cvt_pkrtz_f16_f32 v33, v30, v31
	v_cvt_pk_f32_fp8_sdwa v[30:31], v11 src0_sel:WORD_1
	v_cvt_pk_f32_fp8_e32 v[20:21], v10
	v_mfma_f32_16x16x16_f16 v[16:19], v[32:33], v[24:25], v[16:19]
	v_cvt_pk_f32_fp8_e32 v[24:25], v11
	v_cvt_pkrtz_f16_f32 v10, v20, v21
	v_cvt_pkrtz_f16_f32 v11, v22, v23
	ds_read_b128 v[20:23], v14 offset:2048
	v_cvt_pkrtz_f16_f32 v24, v24, v25
	v_cvt_pkrtz_f16_f32 v25, v30, v31
	ds_read_b128 v[30:33], v14 offset:2064
	v_cvt_pk_f32_fp8_sdwa v[36:37], v12 src0_sel:WORD_1
	s_waitcnt lgkmcnt(1)
	v_mfma_f32_16x16x16_f16 v[16:19], v[10:11], v[20:21], v[16:19]
	v_cvt_pkrtz_f16_f32 v10, v34, v35
	v_cvt_pk_f32_fp8_e32 v[20:21], v13
	v_cvt_pkrtz_f16_f32 v11, v36, v37
	v_mfma_f32_16x16x16_f16 v[16:19], v[24:25], v[22:23], v[16:19]
	v_cvt_pk_f32_fp8_sdwa v[22:23], v13 src0_sel:WORD_1
	v_cvt_pkrtz_f16_f32 v20, v20, v21
	v_cvt_pkrtz_f16_f32 v21, v22, v23
	s_waitcnt lgkmcnt(0)
	v_mfma_f32_16x16x16_f16 v[10:13], v[10:11], v[30:31], v[16:19]
	s_waitcnt vmcnt(1)
	v_cvt_pk_f32_fp8_sdwa v[22:23], v7 src0_sel:WORD_1
	v_cvt_pk_f32_fp8_e32 v[30:31], v8
	v_cvt_pkrtz_f16_f32 v25, v22, v23
	v_cvt_pk_f32_fp8_e32 v[16:17], v6
	v_cvt_pk_f32_fp8_sdwa v[18:19], v6 src0_sel:WORD_1
	v_mfma_f32_16x16x16_f16 v[10:13], v[20:21], v[32:33], v[10:13]
	v_cvt_pk_f32_fp8_e32 v[20:21], v7
	v_cvt_pkrtz_f16_f32 v6, v16, v17
	v_cvt_pkrtz_f16_f32 v7, v18, v19
	ds_read_b128 v[16:19], v14 offset:4096
	v_cvt_pkrtz_f16_f32 v24, v20, v21
	ds_read_b128 v[20:23], v14 offset:4112
	v_cvt_pk_f32_fp8_sdwa v[32:33], v8 src0_sel:WORD_1
	s_waitcnt lgkmcnt(1)
	v_mfma_f32_16x16x16_f16 v[10:13], v[6:7], v[16:17], v[10:13]
	v_cvt_pkrtz_f16_f32 v6, v30, v31
	v_cvt_pkrtz_f16_f32 v7, v32, v33
	v_cvt_pk_f32_fp8_e32 v[16:17], v9
	v_mfma_f32_16x16x16_f16 v[10:13], v[24:25], v[18:19], v[10:13]
	v_cvt_pk_f32_fp8_sdwa v[18:19], v9 src0_sel:WORD_1
	v_cvt_pkrtz_f16_f32 v16, v16, v17
	s_waitcnt lgkmcnt(0)
	v_mfma_f32_16x16x16_f16 v[6:9], v[6:7], v[20:21], v[10:13]
	v_cvt_pkrtz_f16_f32 v17, v18, v19
	s_waitcnt vmcnt(0)
	v_cvt_pk_f32_fp8_sdwa v[18:19], v3 src0_sel:WORD_1
	v_cvt_pk_f32_fp8_e32 v[10:11], v2
	v_cvt_pk_f32_fp8_sdwa v[12:13], v2 src0_sel:WORD_1
	v_mfma_f32_16x16x16_f16 v[6:9], v[16:17], v[22:23], v[6:9]
	v_cvt_pk_f32_fp8_e32 v[16:17], v3
	v_cvt_pkrtz_f16_f32 v2, v10, v11
	v_cvt_pkrtz_f16_f32 v3, v12, v13
	ds_read_b128 v[10:13], v14 offset:6144
	v_cvt_pkrtz_f16_f32 v20, v16, v17
	v_cvt_pkrtz_f16_f32 v21, v18, v19
	v_cvt_pk_f32_fp8_e32 v[18:19], v4
	v_cvt_pk_f32_fp8_sdwa v[22:23], v4 src0_sel:WORD_1
	s_waitcnt lgkmcnt(0)
	v_mfma_f32_16x16x16_f16 v[6:9], v[2:3], v[10:11], v[6:9]
	ds_read_b128 v[14:17], v14 offset:6160
	v_cvt_pkrtz_f16_f32 v2, v18, v19
	v_cvt_pkrtz_f16_f32 v3, v22, v23
	v_cvt_pk_f32_fp8_e32 v[10:11], v5
	v_mfma_f32_16x16x16_f16 v[6:9], v[20:21], v[12:13], v[6:9]
	v_cvt_pk_f32_fp8_sdwa v[12:13], v5 src0_sel:WORD_1
	s_waitcnt lgkmcnt(0)
	v_cvt_pkrtz_f16_f32 v10, v10, v11
	v_mfma_f32_16x16x16_f16 v[2:5], v[2:3], v[14:15], v[6:9]
	v_cvt_pkrtz_f16_f32 v11, v12, v13
	s_barrier
	s_nop 0
	v_mfma_f32_16x16x16_f16 v[2:5], v[10:11], v[16:17], v[2:5]
	s_nop 6
	v_pk_mul_f32 v[4:5], v[4:5], s[4:5] op_sel_hi:[1,0]
	v_pk_mul_f32 v[2:3], v[2:3], s[4:5] op_sel_hi:[1,0]
	v_cvt_f16_f32_e32 v4, v4
	v_cvt_f16_f32_e32 v2, v2
	;; [unrolled: 1-line block ×4, first 2 shown]
	v_pack_b32_f16 v2, v2, v3
	v_pack_b32_f16 v3, v4, v5
	ds_write_b64 v28, v[2:3]
	s_waitcnt lgkmcnt(0)
	s_barrier
	s_and_saveexec_b64 s[4:5], s[48:49]
	s_cbranch_execz .LBB827_19
; %bb.18:
	s_load_dwordx2 s[0:1], s[0:1], 0x68
	s_lshl_b32 s6, s6, 6
	s_mul_i32 s2, s7, s2
	s_mul_hi_u32 s5, s2, s6
	s_mul_i32 s4, s2, s6
	v_lshlrev_b32_e32 v0, 10, v0
	s_lshl_b64 s[4:5], s[4:5], 1
	v_and_b32_e32 v0, 0x1800, v0
	v_and_b32_e32 v2, 16, v45
	s_waitcnt lgkmcnt(0)
	s_add_u32 s4, s0, s4
	v_or3_b32 v0, v0, v44, v2
	s_addc_u32 s5, s1, s5
	s_lshl_b32 s2, s14, 6
	ds_read_b128 v[2:5], v0
	s_lshl_b64 s[0:1], s[2:3], 1
	s_add_u32 s0, s4, s0
	s_addc_u32 s1, s5, s1
	v_mad_u64_u32 v[0:1], s[2:3], s6, v1, 0
	v_lshl_add_u64 v[0:1], v[0:1], 1, s[0:1]
	v_lshl_add_u64 v[0:1], v[0:1], 0, v[26:27]
	s_waitcnt lgkmcnt(0)
	global_store_dwordx4 v[0:1], v[2:5], off
.LBB827_19:
	s_endpgm
	.section	.rodata,"a",@progbits
	.p2align	6, 0x0
	.amdhsa_kernel _Z39paged_attention_ll4mi_QKV_mfma16_kernelIDF16_hLN4vllm18Fp8KVCacheDataTypeE1EDF16_Li16ELi64ELi256ELb1ELi4EEvPKT_PKT0_S7_ifPKiS9_S9_iPKfiiiPfSC_PS2_PT2_iSB_SB_
		.amdhsa_group_segment_fixed_size 8192
		.amdhsa_private_segment_fixed_size 0
		.amdhsa_kernarg_size 400
		.amdhsa_user_sgpr_count 2
		.amdhsa_user_sgpr_dispatch_ptr 0
		.amdhsa_user_sgpr_queue_ptr 0
		.amdhsa_user_sgpr_kernarg_segment_ptr 1
		.amdhsa_user_sgpr_dispatch_id 0
		.amdhsa_user_sgpr_kernarg_preload_length 0
		.amdhsa_user_sgpr_kernarg_preload_offset 0
		.amdhsa_user_sgpr_private_segment_size 0
		.amdhsa_uses_dynamic_stack 0
		.amdhsa_enable_private_segment 0
		.amdhsa_system_sgpr_workgroup_id_x 1
		.amdhsa_system_sgpr_workgroup_id_y 1
		.amdhsa_system_sgpr_workgroup_id_z 1
		.amdhsa_system_sgpr_workgroup_info 0
		.amdhsa_system_vgpr_workitem_id 0
		.amdhsa_next_free_vgpr 78
		.amdhsa_next_free_sgpr 50
		.amdhsa_accum_offset 80
		.amdhsa_reserve_vcc 1
		.amdhsa_float_round_mode_32 0
		.amdhsa_float_round_mode_16_64 0
		.amdhsa_float_denorm_mode_32 3
		.amdhsa_float_denorm_mode_16_64 3
		.amdhsa_dx10_clamp 1
		.amdhsa_ieee_mode 1
		.amdhsa_fp16_overflow 0
		.amdhsa_tg_split 0
		.amdhsa_exception_fp_ieee_invalid_op 0
		.amdhsa_exception_fp_denorm_src 0
		.amdhsa_exception_fp_ieee_div_zero 0
		.amdhsa_exception_fp_ieee_overflow 0
		.amdhsa_exception_fp_ieee_underflow 0
		.amdhsa_exception_fp_ieee_inexact 0
		.amdhsa_exception_int_div_zero 0
	.end_amdhsa_kernel
	.section	.text._Z39paged_attention_ll4mi_QKV_mfma16_kernelIDF16_hLN4vllm18Fp8KVCacheDataTypeE1EDF16_Li16ELi64ELi256ELb1ELi4EEvPKT_PKT0_S7_ifPKiS9_S9_iPKfiiiPfSC_PS2_PT2_iSB_SB_,"axG",@progbits,_Z39paged_attention_ll4mi_QKV_mfma16_kernelIDF16_hLN4vllm18Fp8KVCacheDataTypeE1EDF16_Li16ELi64ELi256ELb1ELi4EEvPKT_PKT0_S7_ifPKiS9_S9_iPKfiiiPfSC_PS2_PT2_iSB_SB_,comdat
.Lfunc_end827:
	.size	_Z39paged_attention_ll4mi_QKV_mfma16_kernelIDF16_hLN4vllm18Fp8KVCacheDataTypeE1EDF16_Li16ELi64ELi256ELb1ELi4EEvPKT_PKT0_S7_ifPKiS9_S9_iPKfiiiPfSC_PS2_PT2_iSB_SB_, .Lfunc_end827-_Z39paged_attention_ll4mi_QKV_mfma16_kernelIDF16_hLN4vllm18Fp8KVCacheDataTypeE1EDF16_Li16ELi64ELi256ELb1ELi4EEvPKT_PKT0_S7_ifPKiS9_S9_iPKfiiiPfSC_PS2_PT2_iSB_SB_
                                        ; -- End function
	.section	.AMDGPU.csdata,"",@progbits
; Kernel info:
; codeLenInByte = 4744
; NumSgprs: 56
; NumVgprs: 78
; NumAgprs: 0
; TotalNumVgprs: 78
; ScratchSize: 0
; MemoryBound: 0
; FloatMode: 240
; IeeeMode: 1
; LDSByteSize: 8192 bytes/workgroup (compile time only)
; SGPRBlocks: 6
; VGPRBlocks: 9
; NumSGPRsForWavesPerEU: 56
; NumVGPRsForWavesPerEU: 78
; AccumOffset: 80
; Occupancy: 6
; WaveLimiterHint : 1
; COMPUTE_PGM_RSRC2:SCRATCH_EN: 0
; COMPUTE_PGM_RSRC2:USER_SGPR: 2
; COMPUTE_PGM_RSRC2:TRAP_HANDLER: 0
; COMPUTE_PGM_RSRC2:TGID_X_EN: 1
; COMPUTE_PGM_RSRC2:TGID_Y_EN: 1
; COMPUTE_PGM_RSRC2:TGID_Z_EN: 1
; COMPUTE_PGM_RSRC2:TIDIG_COMP_CNT: 0
; COMPUTE_PGM_RSRC3_GFX90A:ACCUM_OFFSET: 19
; COMPUTE_PGM_RSRC3_GFX90A:TG_SPLIT: 0
	.section	.text._Z38paged_attention_ll4mi_QKV_mfma4_kernelIDF16_hLN4vllm18Fp8KVCacheDataTypeE1EDF16_Li16ELi64ELi256ELb0ELi1EEvPKT_PKT0_S7_ifPKiS9_S9_iPKfiiiPfSC_PS2_PT2_iSB_SB_,"axG",@progbits,_Z38paged_attention_ll4mi_QKV_mfma4_kernelIDF16_hLN4vllm18Fp8KVCacheDataTypeE1EDF16_Li16ELi64ELi256ELb0ELi1EEvPKT_PKT0_S7_ifPKiS9_S9_iPKfiiiPfSC_PS2_PT2_iSB_SB_,comdat
	.protected	_Z38paged_attention_ll4mi_QKV_mfma4_kernelIDF16_hLN4vllm18Fp8KVCacheDataTypeE1EDF16_Li16ELi64ELi256ELb0ELi1EEvPKT_PKT0_S7_ifPKiS9_S9_iPKfiiiPfSC_PS2_PT2_iSB_SB_ ; -- Begin function _Z38paged_attention_ll4mi_QKV_mfma4_kernelIDF16_hLN4vllm18Fp8KVCacheDataTypeE1EDF16_Li16ELi64ELi256ELb0ELi1EEvPKT_PKT0_S7_ifPKiS9_S9_iPKfiiiPfSC_PS2_PT2_iSB_SB_
	.globl	_Z38paged_attention_ll4mi_QKV_mfma4_kernelIDF16_hLN4vllm18Fp8KVCacheDataTypeE1EDF16_Li16ELi64ELi256ELb0ELi1EEvPKT_PKT0_S7_ifPKiS9_S9_iPKfiiiPfSC_PS2_PT2_iSB_SB_
	.p2align	8
	.type	_Z38paged_attention_ll4mi_QKV_mfma4_kernelIDF16_hLN4vllm18Fp8KVCacheDataTypeE1EDF16_Li16ELi64ELi256ELb0ELi1EEvPKT_PKT0_S7_ifPKiS9_S9_iPKfiiiPfSC_PS2_PT2_iSB_SB_,@function
_Z38paged_attention_ll4mi_QKV_mfma4_kernelIDF16_hLN4vllm18Fp8KVCacheDataTypeE1EDF16_Li16ELi64ELi256ELb0ELi1EEvPKT_PKT0_S7_ifPKiS9_S9_iPKfiiiPfSC_PS2_PT2_iSB_SB_: ; @_Z38paged_attention_ll4mi_QKV_mfma4_kernelIDF16_hLN4vllm18Fp8KVCacheDataTypeE1EDF16_Li16ELi64ELi256ELb0ELi1EEvPKT_PKT0_S7_ifPKiS9_S9_iPKfiiiPfSC_PS2_PT2_iSB_SB_
; %bb.0:
	s_load_dwordx2 s[20:21], s[0:1], 0x30
	s_mov_b32 s24, s3
	s_mov_b64 s[6:7], 0
	s_waitcnt lgkmcnt(0)
	s_cmp_lg_u64 s[20:21], 0
	s_cselect_b64 s[22:23], -1, 0
	s_and_b64 vcc, exec, s[22:23]
	s_cbranch_vccz .LBB828_10
; %bb.1:
	s_add_i32 s8, s2, 1
	s_mov_b32 s9, 0
	s_lshl_b64 s[10:11], s[8:9], 2
	s_add_u32 s10, s20, s10
	s_mov_b32 s3, s9
	s_addc_u32 s11, s21, s11
	s_lshl_b64 s[8:9], s[2:3], 2
	s_add_u32 s8, s20, s8
	s_addc_u32 s9, s21, s9
	s_load_dword s5, s[10:11], 0x0
	s_load_dword s12, s[8:9], 0x0
	s_waitcnt lgkmcnt(0)
	s_sub_i32 s5, s5, s12
	s_cmp_eq_u32 s5, 1
	s_cselect_b64 s[8:9], -1, 0
	s_andn2_b64 vcc, exec, s[6:7]
	s_cbranch_vccnz .LBB828_3
.LBB828_2:
	s_mov_b32 s3, 0
	s_mov_b64 s[8:9], -1
.LBB828_3:
	s_andn2_b64 vcc, exec, s[8:9]
	s_cbranch_vccnz .LBB828_23
; %bb.4:
	s_load_dword s5, s[0:1], 0x9c
	s_load_dwordx2 s[6:7], s[0:1], 0x28
	s_add_u32 s28, s0, 0x90
	s_addc_u32 s29, s1, 0
	s_lshl_b64 s[34:35], s[2:3], 2
	s_waitcnt lgkmcnt(0)
	s_and_b32 s5, s5, 0xffff
	s_add_u32 s6, s6, s34
	s_addc_u32 s7, s7, s35
	s_load_dword s3, s[6:7], 0x0
	s_mul_i32 s10, s24, s5
	s_waitcnt lgkmcnt(0)
	s_cmp_ge_i32 s10, s3
	s_cbranch_scc1 .LBB828_23
; %bb.5:
	v_and_b32_e32 v2, 0xc0, v0
	v_add_u32_e32 v4, s10, v2
	v_lshrrev_b32_e32 v1, 6, v0
	v_cmp_gt_i32_e64 s[6:7], s3, v4
	v_cmp_le_i32_e32 vcc, s3, v4
                                        ; implicit-def: $sgpr25
                                        ; implicit-def: $sgpr11
	s_and_saveexec_b64 s[8:9], vcc
	s_xor_b64 s[8:9], exec, s[8:9]
	s_cbranch_execz .LBB828_7
; %bb.6:
	v_mul_u32_u24_e32 v2, 20, v1
	v_or_b32_e32 v2, 0xa00, v2
	v_mov_b32_e32 v3, 0xa50
	v_mov_b32_e32 v4, 0xff7fffff
	v_mad_u32_u24 v3, v1, 20, v3
	ds_write2_b32 v2, v4, v4 offset1:1
	v_mov_b32_e32 v2, 0
	ds_write2_b32 v3, v2, v2 offset1:1
	v_mov_b32_e32 v3, 0xa08
	s_mov_b32 s11, 0xff7fffff
	s_mov_b32 s25, 0
	v_mad_u32_u24 v3, v1, 20, v3
	v_mov_b32_e32 v5, 0xa58
	v_mad_u32_u24 v5, v1, 20, v5
	ds_write2_b32 v3, v4, v4 offset1:1
	ds_write2_b32 v5, v2, v2 offset1:1
                                        ; implicit-def: $vgpr4
.LBB828_7:
	s_or_saveexec_b64 s[30:31], s[8:9]
	s_load_dwordx2 s[26:27], s[0:1], 0x68
	s_load_dwordx4 s[16:19], s[0:1], 0x58
	s_load_dword s5, s[28:29], 0x4
	s_load_dwordx4 s[12:15], s[0:1], 0x80
	v_and_b32_e32 v24, 63, v0
	v_and_b32_e32 v23, 3, v0
	v_mov_b32_e32 v21, s25
	v_mov_b32_e32 v25, s11
	v_mov_b32_e32 v20, s25
	v_mov_b32_e32 v19, s25
	v_mov_b32_e32 v18, s25
                                        ; implicit-def: $vgpr6_vgpr7
                                        ; implicit-def: $vgpr2_vgpr3
                                        ; implicit-def: $vgpr14_vgpr15
                                        ; implicit-def: $vgpr10_vgpr11
	s_xor_b64 exec, exec, s[30:31]
	s_cbranch_execz .LBB828_17
; %bb.8:
	s_load_dwordx2 s[8:9], s[0:1], 0x20
	s_load_dword s11, s[0:1], 0x38
	s_add_i32 s25, s3, 15
	s_ashr_i32 s33, s25, 31
	s_lshr_b32 s33, s33, 28
	v_add_u32_e32 v18, s10, v0
	s_add_i32 s25, s25, s33
	v_ashrrev_i32_e32 v2, 31, v18
	s_ashr_i32 s25, s25, 4
	v_lshrrev_b32_e32 v2, 28, v2
	s_add_i32 s25, s25, -1
	s_waitcnt lgkmcnt(0)
	s_mul_i32 s36, s2, s11
	s_mov_b32 s37, 0
	v_add_u32_e32 v2, v18, v2
	s_lshl_b64 s[36:37], s[36:37], 2
	v_ashrrev_i32_e32 v2, 4, v2
	v_mov_b32_e32 v3, s25
	v_cmp_gt_i32_e32 vcc, s3, v18
	s_add_u32 s8, s8, s36
	s_addc_u32 s9, s9, s37
	v_cndmask_b32_e32 v2, v3, v2, vcc
	v_ashrrev_i32_e32 v3, 31, v2
	v_lshl_add_u64 v[8:9], v[2:3], 2, s[8:9]
	v_ashrrev_i32_e32 v2, 31, v4
	v_lshrrev_b32_e32 v2, 28, v2
	v_add_u32_e32 v2, v4, v2
	v_ashrrev_i32_e32 v4, 4, v2
	v_min_i32_e32 v2, s25, v4
	v_ashrrev_i32_e32 v3, 31, v2
	v_lshl_add_u64 v[10:11], v[2:3], 2, s[8:9]
	v_add_u32_e32 v2, 1, v4
	v_min_i32_e32 v2, s25, v2
	v_ashrrev_i32_e32 v3, 31, v2
	v_lshl_add_u64 v[12:13], v[2:3], 2, s[8:9]
	v_add_u32_e32 v2, 2, v4
	;; [unrolled: 4-line block ×3, first 2 shown]
	v_min_i32_e32 v2, s25, v2
	v_ashrrev_i32_e32 v3, 31, v2
	v_lshl_add_u64 v[16:17], v[2:3], 2, s[8:9]
	global_load_dword v2, v[8:9], off
	global_load_dword v7, v[10:11], off
	;; [unrolled: 1-line block ×5, first 2 shown]
	s_load_dwordx4 s[8:11], s[0:1], 0x8
	s_andn2_b64 vcc, exec, s[22:23]
	s_cbranch_vccnz .LBB828_11
; %bb.9:
	s_add_u32 s20, s20, s34
	s_addc_u32 s21, s21, s35
	s_load_dword s25, s[20:21], 0x0
	s_branch .LBB828_12
.LBB828_10:
	s_mov_b64 s[8:9], 0
	s_branch .LBB828_2
.LBB828_11:
	s_mov_b32 s25, s2
.LBB828_12:
	s_load_dwordx4 s[20:23], s[0:1], 0x48
	v_cmp_eq_u32_e32 vcc, 0, v23
	s_mov_b32 s37, 0
	v_mov_b32_e32 v19, 0
	v_mov_b32_e32 v3, 0
	;; [unrolled: 1-line block ×6, first 2 shown]
	s_and_saveexec_b64 s[34:35], vcc
	s_cbranch_execz .LBB828_14
; %bb.13:
	s_load_dwordx2 s[38:39], s[0:1], 0x0
	s_waitcnt lgkmcnt(0)
	s_ashr_i32 s23, s20, 31
	s_mul_hi_u32 s33, s25, s20
	s_mul_i32 s23, s25, s23
	s_add_i32 s41, s33, s23
	s_mul_i32 s40, s25, s20
	s_lshl_b64 s[40:41], s[40:41], 1
	s_add_u32 s20, s38, s40
	s_addc_u32 s23, s39, s41
	s_lshl_b32 s36, s4, 6
	s_lshl_b64 s[36:37], s[36:37], 1
	s_add_u32 s36, s20, s36
	s_addc_u32 s37, s23, s37
	v_lshlrev_b32_e32 v8, 2, v24
	global_load_dwordx4 v[10:13], v8, s[36:37]
	v_mov_b32_e32 v19, 1.0
.LBB828_14:
	s_or_b64 exec, exec, s[34:35]
	s_waitcnt lgkmcnt(0)
	s_mul_i32 s20, s4, s22
	s_add_u32 s8, s20, s8
	s_addc_u32 s9, 0, s9
	v_mov_b64_e32 v[8:9], s[8:9]
	s_waitcnt vmcnt(4)
	v_mad_i64_i32 v[8:9], s[8:9], v2, s21, v[8:9]
	v_lshlrev_b32_e32 v2, 4, v0
	v_and_b32_e32 v2, 0xf0, v2
	v_lshl_add_u64 v[8:9], v[8:9], 0, v[2:3]
	global_load_dwordx4 v[26:29], v[8:9], off
	global_load_dwordx4 v[30:33], v[8:9], off offset:256
	global_load_dwordx4 v[34:37], v[8:9], off offset:512
	;; [unrolled: 1-line block ×3, first 2 shown]
	s_waitcnt vmcnt(7)
	v_mul_hi_i32 v2, v7, s21
	s_load_dword s8, s[0:1], 0x1c
	s_add_u32 s0, s10, s20
	s_waitcnt vmcnt(6)
	v_mul_hi_i32 v8, v6, s21
	s_waitcnt vmcnt(4)
	v_mul_hi_i32 v20, v4, s21
	v_ashrrev_i32_e32 v22, 31, v2
	s_addc_u32 s1, s11, 0
	v_lshlrev_b32_e32 v2, 4, v24
	v_mul_hi_i32 v9, v5, s21
	v_ashrrev_i32_e32 v25, 31, v8
	v_ashrrev_i32_e32 v40, 31, v20
	v_lshl_add_u64 v[20:21], s[0:1], 0, v[2:3]
	v_lshrrev_b32_e32 v2, 29, v22
	v_ashrrev_i32_e32 v38, 31, v9
	v_mad_i64_i32 v[8:9], s[0:1], v7, s21, v[2:3]
	v_lshrrev_b32_e32 v2, 29, v25
	v_and_b32_e32 v8, -8, v8
	v_mad_i64_i32 v[6:7], s[0:1], v6, s21, v[2:3]
	v_lshrrev_b32_e32 v2, 29, v38
	v_lshl_add_u64 v[38:39], v[20:21], 0, v[8:9]
	v_and_b32_e32 v6, -8, v6
	v_mad_i64_i32 v[8:9], s[0:1], v5, s21, v[2:3]
	v_lshrrev_b32_e32 v2, 29, v40
	v_lshl_add_u64 v[40:41], v[20:21], 0, v[6:7]
	v_and_b32_e32 v8, -8, v8
	v_mad_i64_i32 v[42:43], s[0:1], v4, s21, v[2:3]
	v_lshl_add_u64 v[44:45], v[20:21], 0, v[8:9]
	global_load_dwordx4 v[6:9], v[38:39], off
	global_load_dwordx4 v[2:5], v[40:41], off
	v_and_b32_e32 v42, -8, v42
	v_lshl_add_u64 v[20:21], v[20:21], 0, v[42:43]
	s_load_dword s0, s[12:13], 0x0
	v_cmp_eq_u32_e32 vcc, 1, v23
	v_mov_b32_e32 v25, 0xff7fffff
	s_waitcnt vmcnt(5)
	v_cvt_pk_f32_fp8_e32 v[38:39], v26
	v_cvt_pk_f32_fp8_sdwa v[40:41], v26 src0_sel:WORD_1
	v_cvt_pk_f32_fp8_e32 v[42:43], v27
	v_cvt_pk_f32_fp8_sdwa v[26:27], v27 src0_sel:WORD_1
	;; [unrolled: 2-line block ×3, first 2 shown]
	v_cvt_pkrtz_f16_f32 v38, v38, v39
	v_cvt_pkrtz_f16_f32 v39, v40, v41
	v_cvt_pk_f32_fp8_e32 v[50:51], v29
	v_cvt_pk_f32_fp8_sdwa v[28:29], v29 src0_sel:WORD_1
	v_mfma_f32_4x4x4_16b_f16 a[0:3], v[10:11], v[38:39], 0 cbsz:4
	v_cvt_pkrtz_f16_f32 v42, v42, v43
	v_cvt_pkrtz_f16_f32 v43, v26, v27
	s_waitcnt vmcnt(4)
	v_cvt_pk_f32_fp8_e32 v[52:53], v30
	v_cvt_pk_f32_fp8_sdwa v[54:55], v30 src0_sel:WORD_1
	v_mfma_f32_4x4x4_16b_f16 a[0:3], v[12:13], v[42:43], a[0:3] cbsz:4
	v_cvt_pkrtz_f16_f32 v46, v46, v47
	v_cvt_pkrtz_f16_f32 v47, v48, v49
	v_cvt_pk_f32_fp8_e32 v[56:57], v31
	v_cvt_pk_f32_fp8_sdwa v[30:31], v31 src0_sel:WORD_1
	v_mfma_f32_4x4x4_16b_f16 a[0:3], v[10:11], v[46:47], a[0:3] cbsz:4 abid:1
	v_cvt_pkrtz_f16_f32 v48, v50, v51
	v_cvt_pkrtz_f16_f32 v49, v28, v29
	v_cvt_pk_f32_fp8_e32 v[58:59], v32
	v_cvt_pk_f32_fp8_sdwa v[60:61], v32 src0_sel:WORD_1
	v_mfma_f32_4x4x4_16b_f16 a[0:3], v[12:13], v[48:49], a[0:3] cbsz:4 abid:1
	;; [unrolled: 5-line block ×3, first 2 shown]
	v_cvt_pkrtz_f16_f32 v50, v56, v57
	v_cvt_pkrtz_f16_f32 v51, v30, v31
	s_waitcnt vmcnt(3)
	v_cvt_pk_f32_fp8_e32 v[64:65], v34
	v_cvt_pk_f32_fp8_sdwa v[66:67], v34 src0_sel:WORD_1
	v_mfma_f32_4x4x4_16b_f16 a[0:3], v[12:13], v[50:51], a[0:3] cbsz:4 abid:2
	v_cvt_pkrtz_f16_f32 v30, v58, v59
	v_cvt_pkrtz_f16_f32 v31, v60, v61
	v_cvt_pk_f32_fp8_e32 v[68:69], v35
	v_cvt_pk_f32_fp8_sdwa v[34:35], v35 src0_sel:WORD_1
	v_mfma_f32_4x4x4_16b_f16 a[0:3], v[10:11], v[30:31], a[0:3] cbsz:4 abid:3
	v_cvt_pkrtz_f16_f32 v52, v62, v63
	v_cvt_pkrtz_f16_f32 v53, v32, v33
	;; [unrolled: 5-line block ×4, first 2 shown]
	s_waitcnt vmcnt(2)
	v_cvt_pk_f32_fp8_e32 v[76:77], v14
	v_cvt_pk_f32_fp8_sdwa v[40:41], v14 src0_sel:WORD_1
	v_mfma_f32_4x4x4_16b_f16 a[0:3], v[12:13], v[38:39], a[0:3] cbsz:4 abid:4
	v_cvt_pkrtz_f16_f32 v28, v70, v71
	v_cvt_pkrtz_f16_f32 v29, v72, v73
	v_cvt_pk_f32_fp8_e32 v[26:27], v15
	v_cvt_pk_f32_fp8_sdwa v[14:15], v15 src0_sel:WORD_1
	v_mfma_f32_4x4x4_16b_f16 a[0:3], v[10:11], v[28:29], a[0:3] cbsz:4 abid:5
	v_cvt_pkrtz_f16_f32 v30, v74, v75
	v_cvt_pkrtz_f16_f32 v31, v36, v37
	;; [unrolled: 1-line block ×4, first 2 shown]
	v_mfma_f32_4x4x4_16b_f16 a[0:3], v[12:13], v[30:31], a[0:3] cbsz:4 abid:5
	v_cvt_pkrtz_f16_f32 v26, v26, v27
	v_cvt_pkrtz_f16_f32 v27, v14, v15
	v_mfma_f32_4x4x4_16b_f16 a[0:3], v[10:11], v[32:33], a[0:3] cbsz:4 abid:6
	v_cvt_pk_f32_fp8_e32 v[14:15], v16
	v_cvt_pk_f32_fp8_sdwa v[28:29], v16 src0_sel:WORD_1
	v_mfma_f32_4x4x4_16b_f16 a[0:3], v[12:13], v[26:27], a[0:3] cbsz:4 abid:6
	v_cvt_pk_f32_fp8_e32 v[26:27], v17
	v_cvt_pk_f32_fp8_sdwa v[16:17], v17 src0_sel:WORD_1
	v_cvt_pkrtz_f16_f32 v14, v14, v15
	v_cvt_pkrtz_f16_f32 v15, v28, v29
	;; [unrolled: 1-line block ×4, first 2 shown]
	v_mfma_f32_4x4x4_16b_f16 a[0:3], v[10:11], v[14:15], a[0:3] cbsz:4 abid:7
	s_waitcnt lgkmcnt(0)
	v_mov_b32_e32 v10, s8
	v_mul_f32_e32 v22, s0, v10
	v_mfma_f32_4x4x4_16b_f16 a[0:3], v[12:13], v[26:27], a[0:3] cbsz:4 abid:7
	s_nop 4
	v_accvgpr_read_b32 v11, a1
	v_accvgpr_read_b32 v10, a0
	v_pk_mul_f32 v[26:27], v[10:11], v[22:23] op_sel_hi:[1,0]
	global_load_dwordx4 v[14:17], v[44:45], off
	global_load_dwordx4 v[10:13], v[20:21], off
	v_accvgpr_read_b32 v21, a3
	v_accvgpr_read_b32 v20, a2
	v_pk_mul_f32 v[20:21], v[20:21], v[22:23] op_sel_hi:[1,0]
	v_mfma_f32_4x4x1_16b_f32 a[0:3], v26, v19, 0
	v_cndmask_b32_e64 v19, 0, 1.0, vcc
	v_cmp_eq_u32_e32 vcc, 2, v23
	s_nop 0
	v_mfma_f32_4x4x1_16b_f32 a[0:3], v27, v19, a[0:3]
	v_cndmask_b32_e64 v19, 0, 1.0, vcc
	v_cmp_eq_u32_e32 vcc, 3, v23
	s_nop 0
	v_mfma_f32_4x4x1_16b_f32 a[0:3], v20, v19, a[0:3]
	v_cndmask_b32_e64 v19, 0, 1.0, vcc
	v_lshlrev_b32_e32 v20, 2, v0
	v_and_or_b32 v20, v20, 48, v23
	v_mfma_f32_4x4x1_16b_f32 a[0:3], v21, v19, a[0:3]
	v_and_b32_e32 v19, -4, v18
	v_cmp_gt_i32_e32 vcc, s3, v19
	v_or_b32_e32 v18, 3, v18
	v_cmp_gt_i32_e64 s[10:11], s3, v18
	v_accvgpr_read_b32 v21, a0
	v_max_f32_e32 v22, v21, v21
	v_max_f32_e32 v22, 0xff7fffff, v22
	v_accvgpr_read_b32 v26, a1
	v_cndmask_b32_e32 v22, v25, v22, vcc
	v_or_b32_e32 v25, 1, v19
	v_max_f32_e32 v27, v26, v26
	v_max_f32_e32 v27, v22, v27
	v_cmp_gt_i32_e64 s[0:1], s3, v25
	v_or_b32_e32 v19, 2, v19
	v_cmp_gt_i32_e64 s[8:9], s3, v19
	v_cndmask_b32_e64 v22, v22, v27, s[0:1]
	v_accvgpr_read_b32 v27, a2
	v_max_f32_e32 v25, v27, v27
	v_max_f32_e32 v25, v22, v25
	v_cndmask_b32_e64 v19, v22, v25, s[8:9]
	v_accvgpr_read_b32 v22, a3
	v_max_f32_e32 v25, v22, v22
	v_max_f32_e32 v25, v19, v25
	v_cndmask_b32_e64 v18, v19, v25, s[10:11]
	;;#ASMSTART
	v_nop
 v_nop
 v_max_f32_dpp v18, v18, v18 row_ror:4
	;;#ASMEND
	v_lshlrev_b32_e32 v28, 2, v20
	;;#ASMSTART
	v_nop
 v_nop
 v_max_f32_dpp v18, v18, v18 row_ror:8
	;;#ASMEND
	ds_bpermute_b32 v18, v28, v18
	s_waitcnt lgkmcnt(0)
	;;#ASMSTART
	v_nop
 v_nop
 v_max_f32_dpp v18, v18, v18 row_ror:4
	;;#ASMEND
	s_nop 0
	;;#ASMSTART
	v_nop
 v_nop
 v_max_f32_dpp v25, v18, v18 row_ror:8
	;;#ASMEND
	s_nop 0
	v_sub_f32_e32 v18, v21, v25
	v_mul_f32_e32 v18, 0x3fb8aa3b, v18
	v_sub_f32_e32 v19, v26, v25
	v_exp_f32_e32 v18, v18
	v_mul_f32_e32 v19, 0x3fb8aa3b, v19
	v_sub_f32_e32 v21, v27, v25
	v_exp_f32_e32 v19, v19
	;; [unrolled: 3-line block ×3, first 2 shown]
	v_mul_f32_e32 v22, 0x3fb8aa3b, v22
	v_exp_f32_e32 v22, v22
	v_cndmask_b32_e32 v18, 0, v18, vcc
	v_add_f32_e32 v20, 0, v18
	v_cndmask_b32_e64 v19, 0, v19, s[0:1]
	v_add_f32_e32 v26, v20, v19
	v_cndmask_b32_e64 v20, 0, v21, s[8:9]
	;; [unrolled: 2-line block ×3, first 2 shown]
	v_add_f32_e32 v22, v26, v21
	;;#ASMSTART
	v_nop
 v_nop
 v_add_f32_dpp v22, v22, v22 row_ror:4
	;;#ASMEND
	v_cmp_gt_u32_e32 vcc, 4, v24
	;;#ASMSTART
	v_nop
 v_nop
 v_add_f32_dpp v22, v22, v22 row_ror:8
	;;#ASMEND
	ds_bpermute_b32 v22, v28, v22
	s_waitcnt lgkmcnt(0)
	;;#ASMSTART
	v_nop
 v_nop
 v_add_f32_dpp v22, v22, v22 row_ror:4
	;;#ASMEND
	s_nop 0
	;;#ASMSTART
	v_nop
 v_nop
 v_add_f32_dpp v22, v22, v22 row_ror:8
	;;#ASMEND
	s_and_saveexec_b64 s[0:1], vcc
	s_cbranch_execz .LBB828_16
; %bb.15:
	v_mul_u32_u24_e32 v26, 20, v1
	v_lshl_add_u32 v26, v23, 2, v26
	v_add_u32_e32 v26, 0x800, v26
	ds_write2_b32 v26, v25, v22 offset0:128 offset1:148
.LBB828_16:
	s_or_b64 exec, exec, s[0:1]
.LBB828_17:
	s_or_b64 exec, exec, s[30:31]
	s_waitcnt lgkmcnt(0)
	s_barrier
	s_load_dword s0, s[28:29], 0x8
	v_lshlrev_b32_e32 v22, 2, v23
	v_add_u32_e32 v27, 0x800, v22
	ds_read2_b32 v[28:29], v27 offset0:128 offset1:133
	ds_read2_b32 v[30:31], v27 offset0:138 offset1:143
	s_mul_i32 s1, s5, s2
	s_waitcnt lgkmcnt(0)
	s_mul_i32 s0, s1, s0
	s_mov_b32 s1, 0xff7fffff
	v_max3_f32 v22, v28, s1, v29
	v_max3_f32 v26, v22, v30, v31
	v_sub_f32_e32 v22, v28, v26
	v_sub_f32_e32 v28, v29, v26
	v_mul_f32_e32 v28, 0x3fb8aa3b, v28
	ds_read2_b32 v[32:33], v27 offset0:148 offset1:153
	v_mul_f32_e32 v22, 0x3fb8aa3b, v22
	v_exp_f32_e32 v35, v28
	ds_read2_b32 v[28:29], v27 offset0:158 offset1:163
	v_sub_f32_e32 v27, v30, v26
	v_exp_f32_e32 v34, v22
	v_mul_f32_e32 v27, 0x3fb8aa3b, v27
	v_exp_f32_e32 v30, v27
	v_sub_f32_e32 v27, v31, v26
	v_mul_f32_e32 v27, 0x3fb8aa3b, v27
	v_exp_f32_e32 v31, v27
	s_waitcnt lgkmcnt(1)
	v_fma_f32 v27, v34, v32, 0
	v_fmac_f32_e32 v27, v35, v33
	s_waitcnt lgkmcnt(0)
	v_fmac_f32_e32 v27, v30, v28
	v_mov_b32_e32 v22, 0
	v_fmac_f32_e32 v27, v31, v29
	s_mov_b32 s1, 0
	v_cmp_eq_u32_e32 vcc, 0, v23
	s_and_saveexec_b64 s[2:3], vcc
	s_cbranch_execz .LBB828_19
; %bb.18:
	s_lshl_b64 s[8:9], s[0:1], 2
	s_add_u32 s12, s16, s8
	s_mov_b32 s25, s1
	s_addc_u32 s13, s17, s9
	s_lshl_b64 s[10:11], s[24:25], 2
	s_add_u32 s12, s12, s10
	s_addc_u32 s13, s13, s11
	s_add_u32 s8, s18, s8
	s_addc_u32 s9, s19, s9
	;; [unrolled: 2-line block ×3, first 2 shown]
	s_mul_i32 s8, s5, s4
	s_mov_b32 s9, s1
	s_lshl_b64 s[8:9], s[8:9], 2
	s_add_u32 s10, s12, s8
	s_addc_u32 s11, s13, s9
	s_add_u32 s8, s16, s8
	s_addc_u32 s9, s17, s9
	global_store_dword v22, v26, s[8:9]
	global_store_dword v22, v27, s[10:11]
.LBB828_19:
	s_or_b64 exec, exec, s[2:3]
	v_mov_b32_e32 v23, 0
	s_and_saveexec_b64 s[2:3], s[6:7]
	s_cbranch_execz .LBB828_21
; %bb.20:
	v_add_f32_e32 v22, 0x358637bd, v27
	v_div_scale_f32 v23, s[6:7], v22, v22, 1.0
	v_rcp_f32_e32 v27, v23
	v_div_scale_f32 v28, vcc, 1.0, v22, 1.0
	v_sub_f32_e32 v25, v25, v26
	v_fma_f32 v29, -v23, v27, 1.0
	v_fmac_f32_e32 v27, v29, v27
	v_mul_f32_e32 v29, v28, v27
	v_fma_f32 v30, -v23, v29, v28
	v_mul_f32_e32 v25, 0x3fb8aa3b, v25
	v_fmac_f32_e32 v29, v30, v27
	v_exp_f32_e32 v25, v25
	v_fma_f32 v23, -v23, v29, v28
	v_div_fmas_f32 v23, v23, v27, v29
	v_div_fixup_f32 v22, v23, v22, 1.0
	v_mul_f32_e32 v22, v25, v22
	v_pk_mul_f32 v[20:21], v[20:21], v[22:23] op_sel_hi:[1,0]
	v_pk_mul_f32 v[18:19], v[18:19], v[22:23] op_sel_hi:[1,0]
	v_cvt_f16_f32_e32 v22, v20
	v_cvt_f16_f32_e32 v18, v18
	v_cvt_f16_f32_e32 v19, v19
	v_cvt_f16_f32_e32 v23, v21
	s_waitcnt vmcnt(3)
	v_cvt_pk_f32_fp8_e32 v[20:21], v6
	v_cvt_pk_f32_fp8_e32 v[26:27], v7
	v_pack_b32_f16 v18, v18, v19
	v_pack_b32_f16 v19, v22, v23
	v_cvt_pk_f32_fp8_sdwa v[22:23], v6 src0_sel:WORD_1
	v_cvt_pkrtz_f16_f32 v6, v20, v21
	v_cvt_pk_f32_fp8_sdwa v[20:21], v7 src0_sel:WORD_1
	s_load_dword s6, s[14:15], 0x0
	v_cvt_pkrtz_f16_f32 v7, v22, v23
	v_cvt_pkrtz_f16_f32 v22, v26, v27
	;; [unrolled: 1-line block ×3, first 2 shown]
	v_mfma_f32_4x4x4_16b_f16 a[0:3], v[18:19], v[6:7], 0 cbsz:4
	v_cvt_pk_f32_fp8_e32 v[6:7], v8
	v_cvt_pk_f32_fp8_sdwa v[20:21], v8 src0_sel:WORD_1
	v_mfma_f32_4x4x4_16b_f16 a[0:3], v[18:19], v[22:23], a[0:3] cbsz:4 abid:1
	v_cvt_pk_f32_fp8_e32 v[22:23], v9
	v_cvt_pk_f32_fp8_sdwa v[8:9], v9 src0_sel:WORD_1
	v_cvt_pkrtz_f16_f32 v6, v6, v7
	v_cvt_pkrtz_f16_f32 v7, v20, v21
	v_cvt_pkrtz_f16_f32 v20, v22, v23
	v_cvt_pkrtz_f16_f32 v21, v8, v9
	v_mfma_f32_4x4x4_16b_f16 a[0:3], v[18:19], v[6:7], a[0:3] cbsz:4 abid:2
	s_waitcnt vmcnt(2)
	v_cvt_pk_f32_fp8_e32 v[6:7], v2
	v_cvt_pk_f32_fp8_sdwa v[8:9], v2 src0_sel:WORD_1
	v_mfma_f32_4x4x4_16b_f16 a[0:3], v[18:19], v[20:21], a[0:3] cbsz:4 abid:3
	v_cvt_pk_f32_fp8_e32 v[20:21], v3
	v_cvt_pkrtz_f16_f32 v2, v6, v7
	v_cvt_pk_f32_fp8_sdwa v[6:7], v3 src0_sel:WORD_1
	v_cvt_pkrtz_f16_f32 v3, v8, v9
	v_cvt_pkrtz_f16_f32 v8, v20, v21
	s_mov_b32 s1, 0x5040100
	v_mfma_f32_4x4x4_16b_f16 a[0:3], v[18:19], v[2:3], a[0:3] cbsz:4 abid:4
	v_cvt_pkrtz_f16_f32 v9, v6, v7
	v_cvt_pk_f32_fp8_e32 v[2:3], v4
	v_cvt_pk_f32_fp8_sdwa v[6:7], v4 src0_sel:WORD_1
	v_mfma_f32_4x4x4_16b_f16 a[0:3], v[18:19], v[8:9], a[0:3] cbsz:4 abid:5
	v_cvt_pk_f32_fp8_e32 v[8:9], v5
	v_cvt_pk_f32_fp8_sdwa v[4:5], v5 src0_sel:WORD_1
	v_cvt_pkrtz_f16_f32 v2, v2, v3
	v_cvt_pkrtz_f16_f32 v3, v6, v7
	;; [unrolled: 1-line block ×4, first 2 shown]
	v_mfma_f32_4x4x4_16b_f16 a[0:3], v[18:19], v[2:3], a[0:3] cbsz:4 abid:6
	s_waitcnt vmcnt(1)
	v_cvt_pk_f32_fp8_e32 v[2:3], v14
	v_cvt_pk_f32_fp8_sdwa v[4:5], v14 src0_sel:WORD_1
	v_mfma_f32_4x4x4_16b_f16 a[0:3], v[18:19], v[6:7], a[0:3] cbsz:4 abid:7
	v_cvt_pk_f32_fp8_e32 v[6:7], v15
	v_cvt_pk_f32_fp8_sdwa v[8:9], v15 src0_sel:WORD_1
	v_cvt_pkrtz_f16_f32 v2, v2, v3
	v_cvt_pkrtz_f16_f32 v3, v4, v5
	;; [unrolled: 1-line block ×4, first 2 shown]
	v_mfma_f32_4x4x4_16b_f16 a[0:3], v[18:19], v[2:3], a[0:3] cbsz:4 abid:8
	v_cvt_pk_f32_fp8_e32 v[2:3], v16
	v_cvt_pk_f32_fp8_e32 v[6:7], v17
	v_mfma_f32_4x4x4_16b_f16 a[0:3], v[18:19], v[4:5], a[0:3] cbsz:4 abid:9
	v_cvt_pk_f32_fp8_sdwa v[4:5], v16 src0_sel:WORD_1
	v_cvt_pk_f32_fp8_sdwa v[8:9], v17 src0_sel:WORD_1
	v_cvt_pkrtz_f16_f32 v2, v2, v3
	v_cvt_pkrtz_f16_f32 v3, v4, v5
	v_cvt_pkrtz_f16_f32 v4, v6, v7
	s_nop 0
	v_mfma_f32_4x4x4_16b_f16 a[0:3], v[18:19], v[2:3], a[0:3] cbsz:4 abid:10
	v_cvt_pkrtz_f16_f32 v5, v8, v9
	s_waitcnt vmcnt(0)
	v_cvt_pk_f32_fp8_e32 v[2:3], v10
	v_cvt_pk_f32_fp8_e32 v[6:7], v11
	v_mfma_f32_4x4x4_16b_f16 a[0:3], v[18:19], v[4:5], a[0:3] cbsz:4 abid:11
	v_cvt_pk_f32_fp8_sdwa v[4:5], v10 src0_sel:WORD_1
	v_cvt_pk_f32_fp8_sdwa v[8:9], v11 src0_sel:WORD_1
	v_cvt_pkrtz_f16_f32 v2, v2, v3
	v_cvt_pkrtz_f16_f32 v3, v4, v5
	;; [unrolled: 1-line block ×3, first 2 shown]
	s_nop 0
	v_mfma_f32_4x4x4_16b_f16 a[0:3], v[18:19], v[2:3], a[0:3] cbsz:4 abid:12
	v_cvt_pkrtz_f16_f32 v5, v8, v9
	v_cvt_pk_f32_fp8_e32 v[2:3], v12
	v_cvt_pk_f32_fp8_e32 v[6:7], v13
	v_mfma_f32_4x4x4_16b_f16 a[0:3], v[18:19], v[4:5], a[0:3] cbsz:4 abid:13
	v_cvt_pk_f32_fp8_sdwa v[4:5], v12 src0_sel:WORD_1
	v_cvt_pk_f32_fp8_sdwa v[8:9], v13 src0_sel:WORD_1
	v_cvt_pkrtz_f16_f32 v2, v2, v3
	v_cvt_pkrtz_f16_f32 v3, v4, v5
	;; [unrolled: 1-line block ×3, first 2 shown]
	s_nop 0
	v_mfma_f32_4x4x4_16b_f16 a[0:3], v[18:19], v[2:3], a[0:3] cbsz:4 abid:14
	v_cvt_pkrtz_f16_f32 v5, v8, v9
	s_nop 1
	v_mfma_f32_4x4x4_16b_f16 a[0:3], v[18:19], v[4:5], a[0:3] cbsz:4 abid:15
	s_nop 4
	v_accvgpr_read_b32 v5, a1
	v_accvgpr_read_b32 v3, a3
	;; [unrolled: 1-line block ×4, first 2 shown]
	s_waitcnt lgkmcnt(0)
	v_pk_mul_f32 v[2:3], v[2:3], s[6:7] op_sel_hi:[1,0]
	v_pk_mul_f32 v[4:5], v[4:5], s[6:7] op_sel_hi:[1,0]
	v_cvt_f16_f32_e32 v2, v2
	v_cvt_f16_f32_e32 v4, v4
	v_cvt_f16_f32_e32 v5, v5
	v_cvt_f16_f32_e32 v3, v3
	v_perm_b32 v22, v5, v4, s1
	v_perm_b32 v23, v3, v2, s1
.LBB828_21:
	s_or_b64 exec, exec, s[2:3]
	v_lshlrev_b32_e32 v1, 3, v1
	v_mad_u32_u24 v1, v24, 40, v1
	v_cmp_gt_u32_e32 vcc, 64, v0
	ds_write_b64 v1, v[22:23]
	s_waitcnt lgkmcnt(0)
	s_barrier
	s_and_saveexec_b64 s[2:3], vcc
	s_cbranch_execz .LBB828_23
; %bb.22:
	v_mul_u32_u24_e32 v1, 40, v24
	s_waitcnt vmcnt(2)
	ds_read2_b64 v[2:5], v1 offset1:1
	ds_read2_b64 v[6:9], v1 offset0:2 offset1:3
	s_lshl_b32 s0, s0, 6
	s_mov_b32 s1, 0
	s_lshl_b64 s[2:3], s[0:1], 1
	s_add_u32 s2, s26, s2
	s_addc_u32 s3, s27, s3
	s_lshl_b32 s0, s24, 6
	s_lshl_b64 s[0:1], s[0:1], 1
	s_waitcnt lgkmcnt(1)
	v_pk_add_f16 v2, v2, 0
	s_add_u32 s0, s2, s0
	s_mul_i32 s4, s4, s5
	v_pk_add_f16 v2, v2, v4
	s_addc_u32 s1, s3, s1
	v_lshl_or_b32 v0, s4, 6, v0
	v_mov_b32_e32 v1, 0
	s_waitcnt lgkmcnt(0)
	v_pk_add_f16 v2, v2, v6
	v_lshl_add_u64 v[0:1], v[0:1], 1, s[0:1]
	v_pk_add_f16 v2, v2, v8
	global_store_short v[0:1], v2, off
.LBB828_23:
	s_endpgm
	.section	.rodata,"a",@progbits
	.p2align	6, 0x0
	.amdhsa_kernel _Z38paged_attention_ll4mi_QKV_mfma4_kernelIDF16_hLN4vllm18Fp8KVCacheDataTypeE1EDF16_Li16ELi64ELi256ELb0ELi1EEvPKT_PKT0_S7_ifPKiS9_S9_iPKfiiiPfSC_PS2_PT2_iSB_SB_
		.amdhsa_group_segment_fixed_size 2720
		.amdhsa_private_segment_fixed_size 0
		.amdhsa_kernarg_size 400
		.amdhsa_user_sgpr_count 2
		.amdhsa_user_sgpr_dispatch_ptr 0
		.amdhsa_user_sgpr_queue_ptr 0
		.amdhsa_user_sgpr_kernarg_segment_ptr 1
		.amdhsa_user_sgpr_dispatch_id 0
		.amdhsa_user_sgpr_kernarg_preload_length 0
		.amdhsa_user_sgpr_kernarg_preload_offset 0
		.amdhsa_user_sgpr_private_segment_size 0
		.amdhsa_uses_dynamic_stack 0
		.amdhsa_enable_private_segment 0
		.amdhsa_system_sgpr_workgroup_id_x 1
		.amdhsa_system_sgpr_workgroup_id_y 1
		.amdhsa_system_sgpr_workgroup_id_z 1
		.amdhsa_system_sgpr_workgroup_info 0
		.amdhsa_system_vgpr_workitem_id 0
		.amdhsa_next_free_vgpr 84
		.amdhsa_next_free_sgpr 42
		.amdhsa_accum_offset 80
		.amdhsa_reserve_vcc 1
		.amdhsa_float_round_mode_32 0
		.amdhsa_float_round_mode_16_64 0
		.amdhsa_float_denorm_mode_32 3
		.amdhsa_float_denorm_mode_16_64 3
		.amdhsa_dx10_clamp 1
		.amdhsa_ieee_mode 1
		.amdhsa_fp16_overflow 0
		.amdhsa_tg_split 0
		.amdhsa_exception_fp_ieee_invalid_op 0
		.amdhsa_exception_fp_denorm_src 0
		.amdhsa_exception_fp_ieee_div_zero 0
		.amdhsa_exception_fp_ieee_overflow 0
		.amdhsa_exception_fp_ieee_underflow 0
		.amdhsa_exception_fp_ieee_inexact 0
		.amdhsa_exception_int_div_zero 0
	.end_amdhsa_kernel
	.section	.text._Z38paged_attention_ll4mi_QKV_mfma4_kernelIDF16_hLN4vllm18Fp8KVCacheDataTypeE1EDF16_Li16ELi64ELi256ELb0ELi1EEvPKT_PKT0_S7_ifPKiS9_S9_iPKfiiiPfSC_PS2_PT2_iSB_SB_,"axG",@progbits,_Z38paged_attention_ll4mi_QKV_mfma4_kernelIDF16_hLN4vllm18Fp8KVCacheDataTypeE1EDF16_Li16ELi64ELi256ELb0ELi1EEvPKT_PKT0_S7_ifPKiS9_S9_iPKfiiiPfSC_PS2_PT2_iSB_SB_,comdat
.Lfunc_end828:
	.size	_Z38paged_attention_ll4mi_QKV_mfma4_kernelIDF16_hLN4vllm18Fp8KVCacheDataTypeE1EDF16_Li16ELi64ELi256ELb0ELi1EEvPKT_PKT0_S7_ifPKiS9_S9_iPKfiiiPfSC_PS2_PT2_iSB_SB_, .Lfunc_end828-_Z38paged_attention_ll4mi_QKV_mfma4_kernelIDF16_hLN4vllm18Fp8KVCacheDataTypeE1EDF16_Li16ELi64ELi256ELb0ELi1EEvPKT_PKT0_S7_ifPKiS9_S9_iPKfiiiPfSC_PS2_PT2_iSB_SB_
                                        ; -- End function
	.section	.AMDGPU.csdata,"",@progbits
; Kernel info:
; codeLenInByte = 3788
; NumSgprs: 48
; NumVgprs: 78
; NumAgprs: 4
; TotalNumVgprs: 84
; ScratchSize: 0
; MemoryBound: 0
; FloatMode: 240
; IeeeMode: 1
; LDSByteSize: 2720 bytes/workgroup (compile time only)
; SGPRBlocks: 5
; VGPRBlocks: 10
; NumSGPRsForWavesPerEU: 48
; NumVGPRsForWavesPerEU: 84
; AccumOffset: 80
; Occupancy: 5
; WaveLimiterHint : 1
; COMPUTE_PGM_RSRC2:SCRATCH_EN: 0
; COMPUTE_PGM_RSRC2:USER_SGPR: 2
; COMPUTE_PGM_RSRC2:TRAP_HANDLER: 0
; COMPUTE_PGM_RSRC2:TGID_X_EN: 1
; COMPUTE_PGM_RSRC2:TGID_Y_EN: 1
; COMPUTE_PGM_RSRC2:TGID_Z_EN: 1
; COMPUTE_PGM_RSRC2:TIDIG_COMP_CNT: 0
; COMPUTE_PGM_RSRC3_GFX90A:ACCUM_OFFSET: 19
; COMPUTE_PGM_RSRC3_GFX90A:TG_SPLIT: 0
	.section	.text._Z38paged_attention_ll4mi_QKV_mfma4_kernelIDF16_hLN4vllm18Fp8KVCacheDataTypeE1EDF16_Li16ELi64ELi256ELb0ELi2EEvPKT_PKT0_S7_ifPKiS9_S9_iPKfiiiPfSC_PS2_PT2_iSB_SB_,"axG",@progbits,_Z38paged_attention_ll4mi_QKV_mfma4_kernelIDF16_hLN4vllm18Fp8KVCacheDataTypeE1EDF16_Li16ELi64ELi256ELb0ELi2EEvPKT_PKT0_S7_ifPKiS9_S9_iPKfiiiPfSC_PS2_PT2_iSB_SB_,comdat
	.protected	_Z38paged_attention_ll4mi_QKV_mfma4_kernelIDF16_hLN4vllm18Fp8KVCacheDataTypeE1EDF16_Li16ELi64ELi256ELb0ELi2EEvPKT_PKT0_S7_ifPKiS9_S9_iPKfiiiPfSC_PS2_PT2_iSB_SB_ ; -- Begin function _Z38paged_attention_ll4mi_QKV_mfma4_kernelIDF16_hLN4vllm18Fp8KVCacheDataTypeE1EDF16_Li16ELi64ELi256ELb0ELi2EEvPKT_PKT0_S7_ifPKiS9_S9_iPKfiiiPfSC_PS2_PT2_iSB_SB_
	.globl	_Z38paged_attention_ll4mi_QKV_mfma4_kernelIDF16_hLN4vllm18Fp8KVCacheDataTypeE1EDF16_Li16ELi64ELi256ELb0ELi2EEvPKT_PKT0_S7_ifPKiS9_S9_iPKfiiiPfSC_PS2_PT2_iSB_SB_
	.p2align	8
	.type	_Z38paged_attention_ll4mi_QKV_mfma4_kernelIDF16_hLN4vllm18Fp8KVCacheDataTypeE1EDF16_Li16ELi64ELi256ELb0ELi2EEvPKT_PKT0_S7_ifPKiS9_S9_iPKfiiiPfSC_PS2_PT2_iSB_SB_,@function
_Z38paged_attention_ll4mi_QKV_mfma4_kernelIDF16_hLN4vllm18Fp8KVCacheDataTypeE1EDF16_Li16ELi64ELi256ELb0ELi2EEvPKT_PKT0_S7_ifPKiS9_S9_iPKfiiiPfSC_PS2_PT2_iSB_SB_: ; @_Z38paged_attention_ll4mi_QKV_mfma4_kernelIDF16_hLN4vllm18Fp8KVCacheDataTypeE1EDF16_Li16ELi64ELi256ELb0ELi2EEvPKT_PKT0_S7_ifPKiS9_S9_iPKfiiiPfSC_PS2_PT2_iSB_SB_
; %bb.0:
	s_load_dwordx2 s[20:21], s[0:1], 0x30
	s_mov_b32 s24, s3
	s_mov_b64 s[6:7], 0
	s_waitcnt lgkmcnt(0)
	s_cmp_lg_u64 s[20:21], 0
	s_cselect_b64 s[22:23], -1, 0
	s_and_b64 vcc, exec, s[22:23]
	s_cbranch_vccz .LBB829_10
; %bb.1:
	s_add_i32 s8, s2, 1
	s_mov_b32 s9, 0
	s_lshl_b64 s[10:11], s[8:9], 2
	s_add_u32 s10, s20, s10
	s_mov_b32 s3, s9
	s_addc_u32 s11, s21, s11
	s_lshl_b64 s[8:9], s[2:3], 2
	s_add_u32 s8, s20, s8
	s_addc_u32 s9, s21, s9
	s_load_dword s5, s[10:11], 0x0
	s_load_dword s12, s[8:9], 0x0
	s_waitcnt lgkmcnt(0)
	s_sub_i32 s5, s5, s12
	s_cmp_eq_u32 s5, 1
	s_cselect_b64 s[8:9], -1, 0
	s_andn2_b64 vcc, exec, s[6:7]
	s_cbranch_vccnz .LBB829_3
.LBB829_2:
	s_mov_b32 s3, 0
	s_mov_b64 s[8:9], -1
.LBB829_3:
	s_andn2_b64 vcc, exec, s[8:9]
	s_cbranch_vccnz .LBB829_23
; %bb.4:
	s_load_dword s5, s[0:1], 0x9c
	s_load_dwordx2 s[6:7], s[0:1], 0x28
	s_add_u32 s28, s0, 0x90
	s_addc_u32 s29, s1, 0
	s_lshl_b64 s[34:35], s[2:3], 2
	s_waitcnt lgkmcnt(0)
	s_and_b32 s5, s5, 0xffff
	s_add_u32 s6, s6, s34
	s_addc_u32 s7, s7, s35
	s_load_dword s3, s[6:7], 0x0
	s_mul_i32 s10, s24, s5
	s_waitcnt lgkmcnt(0)
	s_cmp_ge_i32 s10, s3
	s_cbranch_scc1 .LBB829_23
; %bb.5:
	v_and_b32_e32 v2, 0xc0, v0
	v_add_u32_e32 v4, s10, v2
	v_lshrrev_b32_e32 v1, 6, v0
	v_cmp_gt_i32_e64 s[6:7], s3, v4
	v_cmp_le_i32_e32 vcc, s3, v4
                                        ; implicit-def: $sgpr25
                                        ; implicit-def: $sgpr11
	s_and_saveexec_b64 s[8:9], vcc
	s_xor_b64 s[8:9], exec, s[8:9]
	s_cbranch_execz .LBB829_7
; %bb.6:
	v_mul_u32_u24_e32 v2, 20, v1
	v_or_b32_e32 v2, 0xa00, v2
	v_mov_b32_e32 v3, 0xa50
	v_mov_b32_e32 v4, 0xff7fffff
	v_mad_u32_u24 v3, v1, 20, v3
	ds_write2_b32 v2, v4, v4 offset1:1
	v_mov_b32_e32 v2, 0
	ds_write2_b32 v3, v2, v2 offset1:1
	v_mov_b32_e32 v3, 0xa08
	s_mov_b32 s11, 0xff7fffff
	s_mov_b32 s25, 0
	v_mad_u32_u24 v3, v1, 20, v3
	v_mov_b32_e32 v5, 0xa58
	v_mad_u32_u24 v5, v1, 20, v5
	ds_write2_b32 v3, v4, v4 offset1:1
	ds_write2_b32 v5, v2, v2 offset1:1
                                        ; implicit-def: $vgpr4
.LBB829_7:
	s_or_saveexec_b64 s[30:31], s[8:9]
	s_load_dwordx2 s[26:27], s[0:1], 0x68
	s_load_dwordx4 s[16:19], s[0:1], 0x58
	s_load_dword s5, s[28:29], 0x4
	s_load_dwordx4 s[12:15], s[0:1], 0x80
	v_and_b32_e32 v26, 63, v0
	v_and_b32_e32 v27, 3, v0
	v_mov_b32_e32 v21, s25
	v_mov_b32_e32 v24, s11
	;; [unrolled: 1-line block ×5, first 2 shown]
                                        ; implicit-def: $vgpr14_vgpr15
                                        ; implicit-def: $vgpr10_vgpr11
                                        ; implicit-def: $vgpr6_vgpr7
                                        ; implicit-def: $vgpr2_vgpr3
	s_xor_b64 exec, exec, s[30:31]
	s_cbranch_execz .LBB829_17
; %bb.8:
	s_load_dwordx2 s[8:9], s[0:1], 0x20
	s_load_dword s11, s[0:1], 0x38
	s_add_i32 s25, s3, 15
	s_ashr_i32 s33, s25, 31
	s_lshr_b32 s33, s33, 28
	v_add_u32_e32 v28, s10, v0
	s_add_i32 s25, s25, s33
	v_ashrrev_i32_e32 v2, 31, v28
	s_ashr_i32 s25, s25, 4
	v_lshrrev_b32_e32 v2, 28, v2
	s_add_i32 s25, s25, -1
	s_waitcnt lgkmcnt(0)
	s_mul_i32 s36, s2, s11
	s_mov_b32 s37, 0
	v_add_u32_e32 v2, v28, v2
	s_lshl_b64 s[36:37], s[36:37], 2
	v_ashrrev_i32_e32 v2, 4, v2
	v_mov_b32_e32 v3, s25
	v_cmp_gt_i32_e32 vcc, s3, v28
	s_add_u32 s8, s8, s36
	s_addc_u32 s9, s9, s37
	v_cndmask_b32_e32 v2, v3, v2, vcc
	v_ashrrev_i32_e32 v3, 31, v2
	v_lshl_add_u64 v[8:9], v[2:3], 2, s[8:9]
	v_ashrrev_i32_e32 v2, 31, v4
	v_lshrrev_b32_e32 v2, 28, v2
	v_add_u32_e32 v2, v4, v2
	v_ashrrev_i32_e32 v4, 4, v2
	v_min_i32_e32 v2, s25, v4
	v_ashrrev_i32_e32 v3, 31, v2
	v_lshl_add_u64 v[10:11], v[2:3], 2, s[8:9]
	v_add_u32_e32 v2, 1, v4
	v_min_i32_e32 v2, s25, v2
	v_ashrrev_i32_e32 v3, 31, v2
	v_lshl_add_u64 v[12:13], v[2:3], 2, s[8:9]
	v_add_u32_e32 v2, 2, v4
	;; [unrolled: 4-line block ×3, first 2 shown]
	v_min_i32_e32 v2, s25, v2
	v_ashrrev_i32_e32 v3, 31, v2
	v_lshl_add_u64 v[16:17], v[2:3], 2, s[8:9]
	global_load_dword v2, v[8:9], off
	global_load_dword v7, v[10:11], off
	;; [unrolled: 1-line block ×5, first 2 shown]
	s_load_dwordx4 s[8:11], s[0:1], 0x8
	s_andn2_b64 vcc, exec, s[22:23]
	s_cbranch_vccnz .LBB829_11
; %bb.9:
	s_add_u32 s20, s20, s34
	s_addc_u32 s21, s21, s35
	s_load_dword s25, s[20:21], 0x0
	s_branch .LBB829_12
.LBB829_10:
	s_mov_b64 s[8:9], 0
	s_branch .LBB829_2
.LBB829_11:
	s_mov_b32 s25, s2
.LBB829_12:
	s_load_dwordx4 s[20:23], s[0:1], 0x48
	v_cmp_gt_u32_e32 vcc, 2, v27
	s_mov_b32 s37, 0
	v_mov_b32_e32 v3, 0
	v_mov_b32_e32 v18, 0
	;; [unrolled: 1-line block ×5, first 2 shown]
	s_and_saveexec_b64 s[34:35], vcc
	s_cbranch_execz .LBB829_14
; %bb.13:
	s_load_dwordx2 s[38:39], s[0:1], 0x0
	s_waitcnt lgkmcnt(0)
	s_ashr_i32 s23, s20, 31
	s_mul_hi_u32 s33, s25, s20
	s_mul_i32 s23, s25, s23
	s_add_i32 s41, s33, s23
	s_mul_i32 s40, s25, s20
	s_lshl_b64 s[40:41], s[40:41], 1
	s_add_u32 s20, s38, s40
	s_addc_u32 s23, s39, s41
	s_lshl_b32 s36, s4, 7
	s_lshl_b64 s[36:37], s[36:37], 1
	s_add_u32 s36, s20, s36
	v_lshlrev_b32_e32 v8, 3, v27
	v_lshrrev_b32_e32 v9, 2, v26
	s_addc_u32 s37, s23, s37
	v_add_lshl_u32 v8, v8, v9, 4
	global_load_dwordx4 v[18:21], v8, s[36:37]
.LBB829_14:
	s_or_b64 exec, exec, s[34:35]
	s_waitcnt lgkmcnt(0)
	s_mul_i32 s20, s4, s22
	s_add_u32 s8, s20, s8
	s_addc_u32 s9, 0, s9
	v_mov_b64_e32 v[8:9], s[8:9]
	s_waitcnt vmcnt(4)
	v_mad_i64_i32 v[8:9], s[8:9], v2, s21, v[8:9]
	v_lshlrev_b32_e32 v2, 4, v0
	v_and_b32_e32 v2, 0xf0, v2
	v_lshl_add_u64 v[8:9], v[8:9], 0, v[2:3]
	global_load_dwordx4 v[30:33], v[8:9], off
	global_load_dwordx4 v[34:37], v[8:9], off offset:256
	global_load_dwordx4 v[38:41], v[8:9], off offset:512
	;; [unrolled: 1-line block ×3, first 2 shown]
	s_waitcnt vmcnt(7)
	v_mul_hi_i32 v2, v7, s21
	s_load_dword s8, s[0:1], 0x1c
	s_add_u32 s0, s10, s20
	s_waitcnt vmcnt(6)
	v_mul_hi_i32 v8, v6, s21
	s_waitcnt vmcnt(5)
	v_mul_hi_i32 v9, v5, s21
	v_ashrrev_i32_e32 v11, 31, v2
	s_addc_u32 s1, s11, 0
	v_lshlrev_b32_e32 v2, 4, v26
	s_waitcnt vmcnt(4)
	v_mul_hi_i32 v10, v4, s21
	v_ashrrev_i32_e32 v12, 31, v8
	v_ashrrev_i32_e32 v13, 31, v9
	v_lshl_add_u64 v[8:9], s[0:1], 0, v[2:3]
	v_lshrrev_b32_e32 v2, 29, v11
	v_ashrrev_i32_e32 v14, 31, v10
	v_mad_i64_i32 v[10:11], s[0:1], v7, s21, v[2:3]
	v_lshrrev_b32_e32 v2, 29, v12
	v_and_b32_e32 v10, -8, v10
	v_mad_i64_i32 v[6:7], s[0:1], v6, s21, v[2:3]
	v_lshrrev_b32_e32 v2, 29, v13
	v_lshl_add_u64 v[42:43], v[8:9], 0, v[10:11]
	v_mad_i64_i32 v[10:11], s[0:1], v5, s21, v[2:3]
	v_lshrrev_b32_e32 v2, 29, v14
	v_mad_i64_i32 v[2:3], s[0:1], v4, s21, v[2:3]
	v_and_b32_e32 v6, -8, v6
	v_and_b32_e32 v10, -8, v10
	;; [unrolled: 1-line block ×3, first 2 shown]
	v_lshl_add_u64 v[6:7], v[8:9], 0, v[6:7]
	v_lshl_add_u64 v[44:45], v[8:9], 0, v[10:11]
	global_load_dwordx4 v[14:17], v[42:43], off
	global_load_dwordx4 v[10:13], v[6:7], off
	v_lshl_add_u64 v[42:43], v[8:9], 0, v[2:3]
	global_load_dwordx4 v[6:9], v[44:45], off
	global_load_dwordx4 v[2:5], v[42:43], off
	s_load_dword s0, s[12:13], 0x0
	v_cmp_eq_u32_e32 vcc, 0, v27
	s_waitcnt vmcnt(7)
	v_cvt_pk_f32_fp8_e32 v[46:47], v30
	v_cvt_pk_f32_fp8_sdwa v[48:49], v30 src0_sel:WORD_1
	v_cvt_pk_f32_fp8_e32 v[50:51], v31
	v_cvt_pk_f32_fp8_sdwa v[30:31], v31 src0_sel:WORD_1
	;; [unrolled: 2-line block ×3, first 2 shown]
	v_cvt_pkrtz_f16_f32 v42, v46, v47
	v_cvt_pkrtz_f16_f32 v43, v48, v49
	v_cvt_pk_f32_fp8_e32 v[56:57], v33
	v_cvt_pk_f32_fp8_sdwa v[32:33], v33 src0_sel:WORD_1
	v_mfma_f32_4x4x4_16b_f16 a[0:3], v[18:19], v[42:43], 0 cbsz:4
	v_cvt_pkrtz_f16_f32 v46, v50, v51
	v_cvt_pkrtz_f16_f32 v47, v30, v31
	s_waitcnt vmcnt(6)
	v_cvt_pk_f32_fp8_e32 v[58:59], v34
	v_cvt_pk_f32_fp8_sdwa v[60:61], v34 src0_sel:WORD_1
	v_mfma_f32_4x4x4_16b_f16 a[0:3], v[20:21], v[46:47], a[0:3] cbsz:4
	v_cvt_pkrtz_f16_f32 v48, v52, v53
	v_cvt_pkrtz_f16_f32 v49, v54, v55
	v_cvt_pk_f32_fp8_e32 v[62:63], v35
	v_cvt_pk_f32_fp8_sdwa v[34:35], v35 src0_sel:WORD_1
	v_mfma_f32_4x4x4_16b_f16 a[0:3], v[18:19], v[48:49], a[0:3] cbsz:4 abid:1
	v_cvt_pkrtz_f16_f32 v52, v56, v57
	v_cvt_pkrtz_f16_f32 v53, v32, v33
	v_cvt_pk_f32_fp8_e32 v[64:65], v36
	v_cvt_pk_f32_fp8_sdwa v[66:67], v36 src0_sel:WORD_1
	v_mfma_f32_4x4x4_16b_f16 a[0:3], v[20:21], v[52:53], a[0:3] cbsz:4 abid:1
	;; [unrolled: 5-line block ×3, first 2 shown]
	v_cvt_pkrtz_f16_f32 v54, v62, v63
	v_cvt_pkrtz_f16_f32 v55, v34, v35
	s_waitcnt vmcnt(5)
	v_cvt_pk_f32_fp8_e32 v[70:71], v38
	v_cvt_pk_f32_fp8_sdwa v[72:73], v38 src0_sel:WORD_1
	v_mfma_f32_4x4x4_16b_f16 a[0:3], v[20:21], v[54:55], a[0:3] cbsz:4 abid:2
	v_cvt_pkrtz_f16_f32 v34, v64, v65
	v_cvt_pkrtz_f16_f32 v35, v66, v67
	v_cvt_pk_f32_fp8_e32 v[74:75], v39
	v_cvt_pk_f32_fp8_sdwa v[38:39], v39 src0_sel:WORD_1
	v_mfma_f32_4x4x4_16b_f16 a[0:3], v[18:19], v[34:35], a[0:3] cbsz:4 abid:3
	v_cvt_pkrtz_f16_f32 v42, v68, v69
	v_cvt_pkrtz_f16_f32 v43, v36, v37
	;; [unrolled: 5-line block ×4, first 2 shown]
	s_waitcnt vmcnt(4)
	v_cvt_pk_f32_fp8_e32 v[44:45], v22
	v_cvt_pk_f32_fp8_sdwa v[30:31], v22 src0_sel:WORD_1
	v_mfma_f32_4x4x4_16b_f16 a[0:3], v[20:21], v[32:33], a[0:3] cbsz:4 abid:4
	v_cvt_pkrtz_f16_f32 v34, v76, v77
	v_cvt_pkrtz_f16_f32 v35, v78, v79
	v_cvt_pk_f32_fp8_e32 v[50:51], v23
	v_cvt_pkrtz_f16_f32 v36, v80, v81
	v_mfma_f32_4x4x4_16b_f16 a[0:3], v[18:19], v[34:35], a[0:3] cbsz:4 abid:5
	v_cvt_pkrtz_f16_f32 v37, v40, v41
	v_cvt_pk_f32_fp8_sdwa v[32:33], v23 src0_sel:WORD_1
	v_cvt_pkrtz_f16_f32 v22, v44, v45
	v_mfma_f32_4x4x4_16b_f16 a[0:3], v[20:21], v[36:37], a[0:3] cbsz:4 abid:5
	v_cvt_pkrtz_f16_f32 v23, v30, v31
	v_cvt_pkrtz_f16_f32 v30, v50, v51
	;; [unrolled: 1-line block ×3, first 2 shown]
	v_mfma_f32_4x4x4_16b_f16 a[0:3], v[18:19], v[22:23], a[0:3] cbsz:4 abid:6
	v_cvt_pk_f32_fp8_e32 v[22:23], v24
	v_cvt_pk_f32_fp8_e32 v[32:33], v25
	v_mfma_f32_4x4x4_16b_f16 a[0:3], v[20:21], v[30:31], a[0:3] cbsz:4 abid:6
	v_cvt_pk_f32_fp8_sdwa v[30:31], v24 src0_sel:WORD_1
	v_cvt_pk_f32_fp8_sdwa v[24:25], v25 src0_sel:WORD_1
	v_cvt_pkrtz_f16_f32 v22, v22, v23
	v_cvt_pkrtz_f16_f32 v23, v30, v31
	;; [unrolled: 1-line block ×3, first 2 shown]
	s_nop 0
	v_mfma_f32_4x4x4_16b_f16 a[0:3], v[18:19], v[22:23], a[0:3] cbsz:4 abid:7
	v_cvt_pkrtz_f16_f32 v31, v24, v25
	s_waitcnt lgkmcnt(0)
	v_mov_b32_e32 v18, s8
	v_mfma_f32_4x4x4_16b_f16 a[0:3], v[20:21], v[30:31], a[0:3] cbsz:4 abid:7
	v_mul_f32_e32 v20, s0, v18
	s_nop 3
	v_accvgpr_read_b32 v23, a1
	v_accvgpr_read_b32 v22, a0
	v_pk_mul_f32 v[22:23], v[22:23], v[20:21] op_sel_hi:[1,0]
	v_accvgpr_read_b32 v19, a3
	v_accvgpr_read_b32 v18, a2
	v_pk_mul_f32 v[18:19], v[18:19], v[20:21] op_sel_hi:[1,0]
	v_cndmask_b32_e64 v20, 0, 1.0, vcc
	v_cmp_eq_u32_e32 vcc, 1, v27
	s_nop 0
	v_mfma_f32_4x4x1_16b_f32 a[0:3], v22, v20, 0
	v_cndmask_b32_e64 v20, 0, 1.0, vcc
	v_cmp_eq_u32_e32 vcc, 2, v27
	v_mov_b32_e32 v22, 0xff7fffff
	v_mfma_f32_4x4x1_16b_f32 a[0:3], v23, v20, a[0:3]
	v_cndmask_b32_e64 v20, 0, 1.0, vcc
	v_cmp_eq_u32_e32 vcc, 3, v27
	s_nop 0
	v_mfma_f32_4x4x1_16b_f32 a[0:3], v18, v20, a[0:3]
	v_cndmask_b32_e64 v18, 0, 1.0, vcc
	s_nop 1
	v_mfma_f32_4x4x1_16b_f32 a[0:3], v19, v18, a[0:3]
	v_and_b32_e32 v18, -4, v28
	v_cmp_gt_i32_e32 vcc, s3, v18
	v_lshlrev_b32_e32 v19, 2, v0
	v_and_or_b32 v19, v19, 48, v27
	v_accvgpr_read_b32 v20, a0
	v_max_f32_e32 v21, v20, v20
	v_max_f32_e32 v21, 0xff7fffff, v21
	v_accvgpr_read_b32 v23, a1
	v_cndmask_b32_e32 v21, v22, v21, vcc
	v_or_b32_e32 v22, 1, v18
	v_max_f32_e32 v24, v23, v23
	v_max_f32_e32 v24, v21, v24
	v_cmp_gt_i32_e64 s[0:1], s3, v22
	v_accvgpr_read_b32 v22, a2
	v_or_b32_e32 v18, 2, v18
	v_cndmask_b32_e64 v21, v21, v24, s[0:1]
	v_max_f32_e32 v24, v22, v22
	v_max_f32_e32 v24, v21, v24
	v_cmp_gt_i32_e64 s[8:9], s3, v18
	v_accvgpr_read_b32 v25, a3
	s_nop 0
	v_cndmask_b32_e64 v18, v21, v24, s[8:9]
	v_or_b32_e32 v21, 3, v28
	v_max_f32_e32 v24, v25, v25
	v_max_f32_e32 v24, v18, v24
	v_cmp_gt_i32_e64 s[10:11], s3, v21
	v_lshlrev_b32_e32 v28, 2, v19
	s_nop 0
	v_cndmask_b32_e64 v18, v18, v24, s[10:11]
	;;#ASMSTART
	v_nop
 v_nop
 v_max_f32_dpp v18, v18, v18 row_ror:4
	;;#ASMEND
	s_nop 0
	;;#ASMSTART
	v_nop
 v_nop
 v_max_f32_dpp v18, v18, v18 row_ror:8
	;;#ASMEND
	ds_bpermute_b32 v18, v28, v18
	s_waitcnt lgkmcnt(0)
	;;#ASMSTART
	v_nop
 v_nop
 v_max_f32_dpp v18, v18, v18 row_ror:4
	;;#ASMEND
	s_nop 0
	;;#ASMSTART
	v_nop
 v_nop
 v_max_f32_dpp v24, v18, v18 row_ror:8
	;;#ASMEND
	s_nop 0
	v_sub_f32_e32 v18, v20, v24
	v_mul_f32_e32 v18, 0x3fb8aa3b, v18
	v_sub_f32_e32 v19, v23, v24
	v_exp_f32_e32 v18, v18
	v_mul_f32_e32 v19, 0x3fb8aa3b, v19
	v_sub_f32_e32 v21, v22, v24
	v_exp_f32_e32 v19, v19
	;; [unrolled: 3-line block ×3, first 2 shown]
	v_mul_f32_e32 v22, 0x3fb8aa3b, v22
	v_exp_f32_e32 v22, v22
	v_cndmask_b32_e32 v18, 0, v18, vcc
	v_add_f32_e32 v20, 0, v18
	v_cndmask_b32_e64 v19, 0, v19, s[0:1]
	v_add_f32_e32 v23, v20, v19
	v_cndmask_b32_e64 v20, 0, v21, s[8:9]
	;; [unrolled: 2-line block ×3, first 2 shown]
	v_add_f32_e32 v22, v23, v21
	;;#ASMSTART
	v_nop
 v_nop
 v_add_f32_dpp v22, v22, v22 row_ror:4
	;;#ASMEND
	v_cmp_gt_u32_e32 vcc, 4, v26
	;;#ASMSTART
	v_nop
 v_nop
 v_add_f32_dpp v22, v22, v22 row_ror:8
	;;#ASMEND
	ds_bpermute_b32 v22, v28, v22
	s_waitcnt lgkmcnt(0)
	;;#ASMSTART
	v_nop
 v_nop
 v_add_f32_dpp v22, v22, v22 row_ror:4
	;;#ASMEND
	s_nop 0
	;;#ASMSTART
	v_nop
 v_nop
 v_add_f32_dpp v22, v22, v22 row_ror:8
	;;#ASMEND
	s_and_saveexec_b64 s[0:1], vcc
	s_cbranch_execz .LBB829_16
; %bb.15:
	v_mul_u32_u24_e32 v23, 20, v1
	v_lshl_add_u32 v23, v27, 2, v23
	v_add_u32_e32 v23, 0x800, v23
	ds_write2_b32 v23, v24, v22 offset0:128 offset1:148
.LBB829_16:
	s_or_b64 exec, exec, s[0:1]
.LBB829_17:
	s_or_b64 exec, exec, s[30:31]
	s_waitcnt lgkmcnt(0)
	s_barrier
	s_load_dword s0, s[28:29], 0x8
	v_lshlrev_b32_e32 v22, 2, v27
	v_add_u32_e32 v32, 0x800, v22
	ds_read2_b32 v[22:23], v32 offset0:128 offset1:133
	ds_read2_b32 v[28:29], v32 offset0:138 offset1:143
	s_mul_i32 s1, s2, s5
	s_waitcnt lgkmcnt(0)
	s_mul_i32 s1, s1, s0
	s_lshl_b32 s0, s1, 1
	s_mov_b32 s1, 0xff7fffff
	v_max3_f32 v25, v22, s1, v23
	v_max3_f32 v25, v25, v28, v29
	v_sub_f32_e32 v22, v22, v25
	v_mul_f32_e32 v22, 0x3fb8aa3b, v22
	ds_read2_b32 v[30:31], v32 offset0:148 offset1:153
	v_exp_f32_e32 v33, v22
	v_sub_f32_e32 v22, v23, v25
	v_sub_f32_e32 v28, v28, v25
	v_mul_f32_e32 v22, 0x3fb8aa3b, v22
	v_mul_f32_e32 v28, 0x3fb8aa3b, v28
	v_exp_f32_e32 v34, v22
	ds_read2_b32 v[22:23], v32 offset0:158 offset1:163
	v_exp_f32_e32 v32, v28
	v_sub_f32_e32 v28, v29, v25
	v_mul_f32_e32 v28, 0x3fb8aa3b, v28
	v_exp_f32_e32 v29, v28
	s_waitcnt lgkmcnt(1)
	v_fma_f32 v28, v33, v30, 0
	v_fmac_f32_e32 v28, v34, v31
	s_waitcnt lgkmcnt(0)
	v_fmac_f32_e32 v28, v32, v22
	s_lshl_b32 s4, s4, 1
	v_fmac_f32_e32 v28, v29, v23
	v_cmp_gt_u32_e32 vcc, 2, v27
	s_and_saveexec_b64 s[2:3], vcc
	s_cbranch_execz .LBB829_19
; %bb.18:
	s_mov_b32 s1, 0
	s_lshl_b64 s[8:9], s[0:1], 2
	s_add_u32 s12, s16, s8
	s_mov_b32 s25, s1
	s_addc_u32 s13, s17, s9
	s_lshl_b64 s[10:11], s[24:25], 2
	s_add_u32 s12, s12, s10
	s_addc_u32 s13, s13, s11
	s_add_u32 s1, s18, s8
	s_addc_u32 s9, s19, s9
	v_or_b32_e32 v22, s4, v27
	s_add_u32 s8, s1, s10
	v_mul_lo_u32 v22, s5, v22
	v_mov_b32_e32 v23, 0
	s_addc_u32 s9, s9, s11
	v_lshlrev_b64 v[22:23], 2, v[22:23]
	v_lshl_add_u64 v[30:31], s[12:13], 0, v[22:23]
	v_lshl_add_u64 v[22:23], s[8:9], 0, v[22:23]
	global_store_dword v[22:23], v25, off
	global_store_dword v[30:31], v28, off
.LBB829_19:
	s_or_b64 exec, exec, s[2:3]
	v_mov_b32_e32 v22, 0
	v_mov_b32_e32 v23, 0
	s_and_saveexec_b64 s[2:3], s[6:7]
	s_cbranch_execz .LBB829_21
; %bb.20:
	v_add_f32_e32 v22, 0x358637bd, v28
	v_div_scale_f32 v23, s[6:7], v22, v22, 1.0
	v_rcp_f32_e32 v27, v23
	v_div_scale_f32 v28, vcc, 1.0, v22, 1.0
	v_sub_f32_e32 v24, v24, v25
	v_fma_f32 v29, -v23, v27, 1.0
	v_fmac_f32_e32 v27, v29, v27
	v_mul_f32_e32 v29, v28, v27
	v_fma_f32 v30, -v23, v29, v28
	v_mul_f32_e32 v24, 0x3fb8aa3b, v24
	v_fmac_f32_e32 v29, v30, v27
	v_exp_f32_e32 v24, v24
	v_fma_f32 v23, -v23, v29, v28
	v_div_fmas_f32 v23, v23, v27, v29
	v_div_fixup_f32 v22, v23, v22, 1.0
	v_mul_f32_e32 v22, v24, v22
	v_pk_mul_f32 v[20:21], v[20:21], v[22:23] op_sel_hi:[1,0]
	v_pk_mul_f32 v[18:19], v[18:19], v[22:23] op_sel_hi:[1,0]
	v_cvt_f16_f32_e32 v22, v20
	v_cvt_f16_f32_e32 v18, v18
	;; [unrolled: 1-line block ×4, first 2 shown]
	s_waitcnt vmcnt(3)
	v_cvt_pk_f32_fp8_e32 v[20:21], v14
	v_cvt_pk_f32_fp8_e32 v[24:25], v15
	v_pack_b32_f16 v18, v18, v19
	v_pack_b32_f16 v19, v22, v23
	v_cvt_pk_f32_fp8_sdwa v[22:23], v14 src0_sel:WORD_1
	v_cvt_pkrtz_f16_f32 v14, v20, v21
	v_cvt_pk_f32_fp8_sdwa v[20:21], v15 src0_sel:WORD_1
	s_load_dword s6, s[14:15], 0x0
	v_cvt_pkrtz_f16_f32 v15, v22, v23
	v_cvt_pkrtz_f16_f32 v22, v24, v25
	;; [unrolled: 1-line block ×3, first 2 shown]
	v_mfma_f32_4x4x4_16b_f16 a[0:3], v[18:19], v[14:15], 0 cbsz:4
	v_cvt_pk_f32_fp8_e32 v[14:15], v16
	v_cvt_pk_f32_fp8_sdwa v[20:21], v16 src0_sel:WORD_1
	v_mfma_f32_4x4x4_16b_f16 a[0:3], v[18:19], v[22:23], a[0:3] cbsz:4 abid:1
	v_cvt_pk_f32_fp8_e32 v[22:23], v17
	v_cvt_pk_f32_fp8_sdwa v[16:17], v17 src0_sel:WORD_1
	v_cvt_pkrtz_f16_f32 v14, v14, v15
	v_cvt_pkrtz_f16_f32 v15, v20, v21
	;; [unrolled: 1-line block ×4, first 2 shown]
	v_mfma_f32_4x4x4_16b_f16 a[0:3], v[18:19], v[14:15], a[0:3] cbsz:4 abid:2
	s_waitcnt vmcnt(2)
	v_cvt_pk_f32_fp8_e32 v[14:15], v10
	v_cvt_pk_f32_fp8_sdwa v[16:17], v10 src0_sel:WORD_1
	v_mfma_f32_4x4x4_16b_f16 a[0:3], v[18:19], v[20:21], a[0:3] cbsz:4 abid:3
	v_cvt_pk_f32_fp8_e32 v[20:21], v11
	v_cvt_pkrtz_f16_f32 v10, v14, v15
	v_cvt_pk_f32_fp8_sdwa v[14:15], v11 src0_sel:WORD_1
	v_cvt_pkrtz_f16_f32 v11, v16, v17
	v_cvt_pkrtz_f16_f32 v16, v20, v21
	s_mov_b32 s1, 0x5040100
	v_mfma_f32_4x4x4_16b_f16 a[0:3], v[18:19], v[10:11], a[0:3] cbsz:4 abid:4
	v_cvt_pkrtz_f16_f32 v17, v14, v15
	v_cvt_pk_f32_fp8_e32 v[10:11], v12
	v_cvt_pk_f32_fp8_sdwa v[14:15], v12 src0_sel:WORD_1
	v_mfma_f32_4x4x4_16b_f16 a[0:3], v[18:19], v[16:17], a[0:3] cbsz:4 abid:5
	v_cvt_pk_f32_fp8_e32 v[16:17], v13
	v_cvt_pk_f32_fp8_sdwa v[12:13], v13 src0_sel:WORD_1
	v_cvt_pkrtz_f16_f32 v10, v10, v11
	v_cvt_pkrtz_f16_f32 v11, v14, v15
	;; [unrolled: 1-line block ×4, first 2 shown]
	v_mfma_f32_4x4x4_16b_f16 a[0:3], v[18:19], v[10:11], a[0:3] cbsz:4 abid:6
	s_waitcnt vmcnt(1)
	v_cvt_pk_f32_fp8_e32 v[10:11], v6
	v_cvt_pk_f32_fp8_sdwa v[12:13], v6 src0_sel:WORD_1
	v_mfma_f32_4x4x4_16b_f16 a[0:3], v[18:19], v[14:15], a[0:3] cbsz:4 abid:7
	v_cvt_pk_f32_fp8_e32 v[14:15], v7
	v_cvt_pkrtz_f16_f32 v6, v10, v11
	v_cvt_pk_f32_fp8_sdwa v[10:11], v7 src0_sel:WORD_1
	v_cvt_pkrtz_f16_f32 v7, v12, v13
	v_cvt_pkrtz_f16_f32 v12, v14, v15
	;; [unrolled: 1-line block ×3, first 2 shown]
	v_mfma_f32_4x4x4_16b_f16 a[0:3], v[18:19], v[6:7], a[0:3] cbsz:4 abid:8
	v_cvt_pk_f32_fp8_e32 v[6:7], v8
	v_cvt_pk_f32_fp8_sdwa v[10:11], v8 src0_sel:WORD_1
	v_mfma_f32_4x4x4_16b_f16 a[0:3], v[18:19], v[12:13], a[0:3] cbsz:4 abid:9
	v_cvt_pk_f32_fp8_e32 v[12:13], v9
	v_cvt_pk_f32_fp8_sdwa v[8:9], v9 src0_sel:WORD_1
	v_cvt_pkrtz_f16_f32 v6, v6, v7
	v_cvt_pkrtz_f16_f32 v7, v10, v11
	;; [unrolled: 1-line block ×4, first 2 shown]
	v_mfma_f32_4x4x4_16b_f16 a[0:3], v[18:19], v[6:7], a[0:3] cbsz:4 abid:10
	s_waitcnt vmcnt(0)
	v_cvt_pk_f32_fp8_e32 v[6:7], v2
	v_cvt_pk_f32_fp8_sdwa v[8:9], v2 src0_sel:WORD_1
	v_mfma_f32_4x4x4_16b_f16 a[0:3], v[18:19], v[10:11], a[0:3] cbsz:4 abid:11
	v_cvt_pk_f32_fp8_e32 v[10:11], v3
	v_cvt_pkrtz_f16_f32 v2, v6, v7
	v_cvt_pk_f32_fp8_sdwa v[6:7], v3 src0_sel:WORD_1
	v_cvt_pkrtz_f16_f32 v3, v8, v9
	v_cvt_pkrtz_f16_f32 v8, v10, v11
	;; [unrolled: 1-line block ×3, first 2 shown]
	v_mfma_f32_4x4x4_16b_f16 a[0:3], v[18:19], v[2:3], a[0:3] cbsz:4 abid:12
	v_cvt_pk_f32_fp8_e32 v[2:3], v4
	v_cvt_pk_f32_fp8_sdwa v[6:7], v4 src0_sel:WORD_1
	v_mfma_f32_4x4x4_16b_f16 a[0:3], v[18:19], v[8:9], a[0:3] cbsz:4 abid:13
	v_cvt_pk_f32_fp8_e32 v[8:9], v5
	v_cvt_pk_f32_fp8_sdwa v[4:5], v5 src0_sel:WORD_1
	v_cvt_pkrtz_f16_f32 v2, v2, v3
	v_cvt_pkrtz_f16_f32 v3, v6, v7
	;; [unrolled: 1-line block ×4, first 2 shown]
	v_mfma_f32_4x4x4_16b_f16 a[0:3], v[18:19], v[2:3], a[0:3] cbsz:4 abid:14
	s_nop 1
	v_mfma_f32_4x4x4_16b_f16 a[0:3], v[18:19], v[6:7], a[0:3] cbsz:4 abid:15
	s_nop 4
	v_accvgpr_read_b32 v5, a1
	v_accvgpr_read_b32 v3, a3
	;; [unrolled: 1-line block ×4, first 2 shown]
	s_waitcnt lgkmcnt(0)
	v_pk_mul_f32 v[2:3], v[2:3], s[6:7] op_sel_hi:[1,0]
	v_pk_mul_f32 v[4:5], v[4:5], s[6:7] op_sel_hi:[1,0]
	v_cvt_f16_f32_e32 v2, v2
	v_cvt_f16_f32_e32 v4, v4
	;; [unrolled: 1-line block ×4, first 2 shown]
	v_perm_b32 v22, v5, v4, s1
	v_perm_b32 v23, v3, v2, s1
.LBB829_21:
	s_or_b64 exec, exec, s[2:3]
	v_lshlrev_b32_e32 v1, 3, v1
	v_mad_u32_u24 v1, v26, 40, v1
	v_cmp_gt_u32_e32 vcc, 64, v0
	ds_write_b64 v1, v[22:23]
	s_waitcnt lgkmcnt(0)
	s_barrier
	s_and_saveexec_b64 s[2:3], vcc
	s_cbranch_execz .LBB829_23
; %bb.22:
	s_mov_b32 s1, 0
	s_lshl_b32 s0, s0, 6
	v_mul_u32_u24_e32 v1, 40, v26
	s_lshl_b64 s[2:3], s[0:1], 1
	s_waitcnt vmcnt(0)
	ds_read2_b64 v[2:5], v1 offset1:1
	ds_read2_b64 v[6:9], v1 offset0:2 offset1:3
	s_add_u32 s2, s26, s2
	s_addc_u32 s3, s27, s3
	s_lshl_b32 s0, s24, 6
	s_lshl_b64 s[0:1], s[0:1], 1
	s_add_u32 s0, s2, s0
	s_addc_u32 s1, s3, s1
	s_lshl_b32 s2, s5, 6
	s_waitcnt lgkmcnt(1)
	v_pk_add_f16 v1, v2, 0
	s_mul_i32 s3, s2, s4
	v_pk_add_f16 v1, v1, v4
	v_or_b32_e32 v2, s3, v0
	v_mov_b32_e32 v3, 0
	s_add_i32 s3, s3, s2
	s_waitcnt lgkmcnt(0)
	v_pk_add_f16 v1, v1, v6
	v_lshl_add_u64 v[4:5], v[2:3], 1, s[0:1]
	v_or_b32_e32 v2, s3, v0
	v_pk_add_f16 v6, v1, v8
	v_lshl_add_u64 v[0:1], v[2:3], 1, s[0:1]
	global_store_short v[4:5], v6, off
	global_store_short_d16_hi v[0:1], v6, off
.LBB829_23:
	s_endpgm
	.section	.rodata,"a",@progbits
	.p2align	6, 0x0
	.amdhsa_kernel _Z38paged_attention_ll4mi_QKV_mfma4_kernelIDF16_hLN4vllm18Fp8KVCacheDataTypeE1EDF16_Li16ELi64ELi256ELb0ELi2EEvPKT_PKT0_S7_ifPKiS9_S9_iPKfiiiPfSC_PS2_PT2_iSB_SB_
		.amdhsa_group_segment_fixed_size 2720
		.amdhsa_private_segment_fixed_size 0
		.amdhsa_kernarg_size 400
		.amdhsa_user_sgpr_count 2
		.amdhsa_user_sgpr_dispatch_ptr 0
		.amdhsa_user_sgpr_queue_ptr 0
		.amdhsa_user_sgpr_kernarg_segment_ptr 1
		.amdhsa_user_sgpr_dispatch_id 0
		.amdhsa_user_sgpr_kernarg_preload_length 0
		.amdhsa_user_sgpr_kernarg_preload_offset 0
		.amdhsa_user_sgpr_private_segment_size 0
		.amdhsa_uses_dynamic_stack 0
		.amdhsa_enable_private_segment 0
		.amdhsa_system_sgpr_workgroup_id_x 1
		.amdhsa_system_sgpr_workgroup_id_y 1
		.amdhsa_system_sgpr_workgroup_id_z 1
		.amdhsa_system_sgpr_workgroup_info 0
		.amdhsa_system_vgpr_workitem_id 0
		.amdhsa_next_free_vgpr 88
		.amdhsa_next_free_sgpr 42
		.amdhsa_accum_offset 84
		.amdhsa_reserve_vcc 1
		.amdhsa_float_round_mode_32 0
		.amdhsa_float_round_mode_16_64 0
		.amdhsa_float_denorm_mode_32 3
		.amdhsa_float_denorm_mode_16_64 3
		.amdhsa_dx10_clamp 1
		.amdhsa_ieee_mode 1
		.amdhsa_fp16_overflow 0
		.amdhsa_tg_split 0
		.amdhsa_exception_fp_ieee_invalid_op 0
		.amdhsa_exception_fp_denorm_src 0
		.amdhsa_exception_fp_ieee_div_zero 0
		.amdhsa_exception_fp_ieee_overflow 0
		.amdhsa_exception_fp_ieee_underflow 0
		.amdhsa_exception_fp_ieee_inexact 0
		.amdhsa_exception_int_div_zero 0
	.end_amdhsa_kernel
	.section	.text._Z38paged_attention_ll4mi_QKV_mfma4_kernelIDF16_hLN4vllm18Fp8KVCacheDataTypeE1EDF16_Li16ELi64ELi256ELb0ELi2EEvPKT_PKT0_S7_ifPKiS9_S9_iPKfiiiPfSC_PS2_PT2_iSB_SB_,"axG",@progbits,_Z38paged_attention_ll4mi_QKV_mfma4_kernelIDF16_hLN4vllm18Fp8KVCacheDataTypeE1EDF16_Li16ELi64ELi256ELb0ELi2EEvPKT_PKT0_S7_ifPKiS9_S9_iPKfiiiPfSC_PS2_PT2_iSB_SB_,comdat
.Lfunc_end829:
	.size	_Z38paged_attention_ll4mi_QKV_mfma4_kernelIDF16_hLN4vllm18Fp8KVCacheDataTypeE1EDF16_Li16ELi64ELi256ELb0ELi2EEvPKT_PKT0_S7_ifPKiS9_S9_iPKfiiiPfSC_PS2_PT2_iSB_SB_, .Lfunc_end829-_Z38paged_attention_ll4mi_QKV_mfma4_kernelIDF16_hLN4vllm18Fp8KVCacheDataTypeE1EDF16_Li16ELi64ELi256ELb0ELi2EEvPKT_PKT0_S7_ifPKiS9_S9_iPKfiiiPfSC_PS2_PT2_iSB_SB_
                                        ; -- End function
	.section	.AMDGPU.csdata,"",@progbits
; Kernel info:
; codeLenInByte = 3860
; NumSgprs: 48
; NumVgprs: 82
; NumAgprs: 4
; TotalNumVgprs: 88
; ScratchSize: 0
; MemoryBound: 0
; FloatMode: 240
; IeeeMode: 1
; LDSByteSize: 2720 bytes/workgroup (compile time only)
; SGPRBlocks: 5
; VGPRBlocks: 10
; NumSGPRsForWavesPerEU: 48
; NumVGPRsForWavesPerEU: 88
; AccumOffset: 84
; Occupancy: 5
; WaveLimiterHint : 1
; COMPUTE_PGM_RSRC2:SCRATCH_EN: 0
; COMPUTE_PGM_RSRC2:USER_SGPR: 2
; COMPUTE_PGM_RSRC2:TRAP_HANDLER: 0
; COMPUTE_PGM_RSRC2:TGID_X_EN: 1
; COMPUTE_PGM_RSRC2:TGID_Y_EN: 1
; COMPUTE_PGM_RSRC2:TGID_Z_EN: 1
; COMPUTE_PGM_RSRC2:TIDIG_COMP_CNT: 0
; COMPUTE_PGM_RSRC3_GFX90A:ACCUM_OFFSET: 20
; COMPUTE_PGM_RSRC3_GFX90A:TG_SPLIT: 0
	.section	.text._Z38paged_attention_ll4mi_QKV_mfma4_kernelIDF16_hLN4vllm18Fp8KVCacheDataTypeE1EDF16_Li16ELi64ELi256ELb0ELi3EEvPKT_PKT0_S7_ifPKiS9_S9_iPKfiiiPfSC_PS2_PT2_iSB_SB_,"axG",@progbits,_Z38paged_attention_ll4mi_QKV_mfma4_kernelIDF16_hLN4vllm18Fp8KVCacheDataTypeE1EDF16_Li16ELi64ELi256ELb0ELi3EEvPKT_PKT0_S7_ifPKiS9_S9_iPKfiiiPfSC_PS2_PT2_iSB_SB_,comdat
	.protected	_Z38paged_attention_ll4mi_QKV_mfma4_kernelIDF16_hLN4vllm18Fp8KVCacheDataTypeE1EDF16_Li16ELi64ELi256ELb0ELi3EEvPKT_PKT0_S7_ifPKiS9_S9_iPKfiiiPfSC_PS2_PT2_iSB_SB_ ; -- Begin function _Z38paged_attention_ll4mi_QKV_mfma4_kernelIDF16_hLN4vllm18Fp8KVCacheDataTypeE1EDF16_Li16ELi64ELi256ELb0ELi3EEvPKT_PKT0_S7_ifPKiS9_S9_iPKfiiiPfSC_PS2_PT2_iSB_SB_
	.globl	_Z38paged_attention_ll4mi_QKV_mfma4_kernelIDF16_hLN4vllm18Fp8KVCacheDataTypeE1EDF16_Li16ELi64ELi256ELb0ELi3EEvPKT_PKT0_S7_ifPKiS9_S9_iPKfiiiPfSC_PS2_PT2_iSB_SB_
	.p2align	8
	.type	_Z38paged_attention_ll4mi_QKV_mfma4_kernelIDF16_hLN4vllm18Fp8KVCacheDataTypeE1EDF16_Li16ELi64ELi256ELb0ELi3EEvPKT_PKT0_S7_ifPKiS9_S9_iPKfiiiPfSC_PS2_PT2_iSB_SB_,@function
_Z38paged_attention_ll4mi_QKV_mfma4_kernelIDF16_hLN4vllm18Fp8KVCacheDataTypeE1EDF16_Li16ELi64ELi256ELb0ELi3EEvPKT_PKT0_S7_ifPKiS9_S9_iPKfiiiPfSC_PS2_PT2_iSB_SB_: ; @_Z38paged_attention_ll4mi_QKV_mfma4_kernelIDF16_hLN4vllm18Fp8KVCacheDataTypeE1EDF16_Li16ELi64ELi256ELb0ELi3EEvPKT_PKT0_S7_ifPKiS9_S9_iPKfiiiPfSC_PS2_PT2_iSB_SB_
; %bb.0:
	s_load_dwordx2 s[20:21], s[0:1], 0x30
	s_mov_b32 s24, s3
	s_mov_b64 s[6:7], 0
	s_waitcnt lgkmcnt(0)
	s_cmp_lg_u64 s[20:21], 0
	s_cselect_b64 s[22:23], -1, 0
	s_and_b64 vcc, exec, s[22:23]
	s_cbranch_vccz .LBB830_10
; %bb.1:
	s_add_i32 s8, s2, 1
	s_mov_b32 s9, 0
	s_lshl_b64 s[10:11], s[8:9], 2
	s_add_u32 s10, s20, s10
	s_mov_b32 s3, s9
	s_addc_u32 s11, s21, s11
	s_lshl_b64 s[8:9], s[2:3], 2
	s_add_u32 s8, s20, s8
	s_addc_u32 s9, s21, s9
	s_load_dword s5, s[10:11], 0x0
	s_load_dword s12, s[8:9], 0x0
	s_waitcnt lgkmcnt(0)
	s_sub_i32 s5, s5, s12
	s_cmp_eq_u32 s5, 1
	s_cselect_b64 s[8:9], -1, 0
	s_andn2_b64 vcc, exec, s[6:7]
	s_cbranch_vccnz .LBB830_3
.LBB830_2:
	s_mov_b32 s3, 0
	s_mov_b64 s[8:9], -1
.LBB830_3:
	s_andn2_b64 vcc, exec, s[8:9]
	s_cbranch_vccnz .LBB830_23
; %bb.4:
	s_load_dword s5, s[0:1], 0x9c
	s_load_dwordx2 s[6:7], s[0:1], 0x28
	s_add_u32 s28, s0, 0x90
	s_addc_u32 s29, s1, 0
	s_lshl_b64 s[34:35], s[2:3], 2
	s_waitcnt lgkmcnt(0)
	s_and_b32 s5, s5, 0xffff
	s_add_u32 s6, s6, s34
	s_addc_u32 s7, s7, s35
	s_load_dword s3, s[6:7], 0x0
	s_mul_i32 s10, s24, s5
	s_waitcnt lgkmcnt(0)
	s_cmp_ge_i32 s10, s3
	s_cbranch_scc1 .LBB830_23
; %bb.5:
	v_and_b32_e32 v2, 0xc0, v0
	v_add_u32_e32 v4, s10, v2
	v_lshrrev_b32_e32 v1, 6, v0
	v_cmp_gt_i32_e64 s[6:7], s3, v4
	v_cmp_le_i32_e32 vcc, s3, v4
                                        ; implicit-def: $sgpr25
                                        ; implicit-def: $sgpr11
	s_and_saveexec_b64 s[8:9], vcc
	s_xor_b64 s[8:9], exec, s[8:9]
	s_cbranch_execz .LBB830_7
; %bb.6:
	v_mul_u32_u24_e32 v2, 20, v1
	v_or_b32_e32 v2, 0xa00, v2
	v_mov_b32_e32 v3, 0xa50
	v_mov_b32_e32 v4, 0xff7fffff
	v_mad_u32_u24 v3, v1, 20, v3
	ds_write2_b32 v2, v4, v4 offset1:1
	v_mov_b32_e32 v2, 0
	ds_write2_b32 v3, v2, v2 offset1:1
	v_mov_b32_e32 v3, 0xa08
	s_mov_b32 s11, 0xff7fffff
	s_mov_b32 s25, 0
	v_mad_u32_u24 v3, v1, 20, v3
	v_mov_b32_e32 v5, 0xa58
	v_mad_u32_u24 v5, v1, 20, v5
	ds_write2_b32 v3, v4, v4 offset1:1
	ds_write2_b32 v5, v2, v2 offset1:1
                                        ; implicit-def: $vgpr4
.LBB830_7:
	s_or_saveexec_b64 s[30:31], s[8:9]
	s_load_dwordx2 s[26:27], s[0:1], 0x68
	s_load_dwordx4 s[16:19], s[0:1], 0x58
	s_load_dword s5, s[28:29], 0x4
	s_load_dwordx4 s[12:15], s[0:1], 0x80
	v_and_b32_e32 v24, 63, v0
	v_and_b32_e32 v22, 3, v0
	v_mov_b32_e32 v21, s25
	v_mov_b32_e32 v25, s11
	;; [unrolled: 1-line block ×5, first 2 shown]
                                        ; implicit-def: $vgpr6_vgpr7
                                        ; implicit-def: $vgpr2_vgpr3
                                        ; implicit-def: $vgpr14_vgpr15
                                        ; implicit-def: $vgpr10_vgpr11
	s_xor_b64 exec, exec, s[30:31]
	s_cbranch_execz .LBB830_17
; %bb.8:
	s_load_dwordx2 s[8:9], s[0:1], 0x20
	s_load_dword s11, s[0:1], 0x38
	s_add_i32 s25, s3, 15
	s_ashr_i32 s33, s25, 31
	s_lshr_b32 s33, s33, 28
	v_add_u32_e32 v18, s10, v0
	s_add_i32 s25, s25, s33
	v_ashrrev_i32_e32 v2, 31, v18
	s_ashr_i32 s25, s25, 4
	v_lshrrev_b32_e32 v2, 28, v2
	s_add_i32 s25, s25, -1
	s_waitcnt lgkmcnt(0)
	s_mul_i32 s36, s2, s11
	s_mov_b32 s37, 0
	v_add_u32_e32 v2, v18, v2
	s_lshl_b64 s[36:37], s[36:37], 2
	v_ashrrev_i32_e32 v2, 4, v2
	v_mov_b32_e32 v3, s25
	v_cmp_gt_i32_e32 vcc, s3, v18
	s_add_u32 s8, s8, s36
	s_addc_u32 s9, s9, s37
	v_cndmask_b32_e32 v2, v3, v2, vcc
	v_ashrrev_i32_e32 v3, 31, v2
	v_lshl_add_u64 v[8:9], v[2:3], 2, s[8:9]
	v_ashrrev_i32_e32 v2, 31, v4
	v_lshrrev_b32_e32 v2, 28, v2
	v_add_u32_e32 v2, v4, v2
	v_ashrrev_i32_e32 v4, 4, v2
	v_min_i32_e32 v2, s25, v4
	v_ashrrev_i32_e32 v3, 31, v2
	v_lshl_add_u64 v[10:11], v[2:3], 2, s[8:9]
	v_add_u32_e32 v2, 1, v4
	v_min_i32_e32 v2, s25, v2
	v_ashrrev_i32_e32 v3, 31, v2
	v_lshl_add_u64 v[12:13], v[2:3], 2, s[8:9]
	v_add_u32_e32 v2, 2, v4
	;; [unrolled: 4-line block ×3, first 2 shown]
	v_min_i32_e32 v2, s25, v2
	v_ashrrev_i32_e32 v3, 31, v2
	v_lshl_add_u64 v[16:17], v[2:3], 2, s[8:9]
	global_load_dword v2, v[8:9], off
	global_load_dword v7, v[10:11], off
	;; [unrolled: 1-line block ×5, first 2 shown]
	s_load_dwordx4 s[8:11], s[0:1], 0x8
	s_andn2_b64 vcc, exec, s[22:23]
	s_cbranch_vccnz .LBB830_11
; %bb.9:
	s_add_u32 s20, s20, s34
	s_addc_u32 s21, s21, s35
	s_load_dword s25, s[20:21], 0x0
	s_branch .LBB830_12
.LBB830_10:
	s_mov_b64 s[8:9], 0
	s_branch .LBB830_2
.LBB830_11:
	s_mov_b32 s25, s2
.LBB830_12:
	s_load_dwordx4 s[20:23], s[0:1], 0x48
	v_cmp_ne_u32_e32 vcc, 3, v22
	s_mov_b32 s37, 0
	v_mov_b32_e32 v19, 1.0
	v_mov_b32_e32 v3, 0
	v_mov_b32_e32 v10, 0
	;; [unrolled: 1-line block ×5, first 2 shown]
	s_and_saveexec_b64 s[34:35], vcc
	s_cbranch_execz .LBB830_14
; %bb.13:
	s_load_dwordx2 s[38:39], s[0:1], 0x0
	s_waitcnt lgkmcnt(0)
	s_ashr_i32 s23, s20, 31
	s_mul_hi_u32 s33, s25, s20
	s_mul_i32 s23, s25, s23
	s_add_i32 s41, s33, s23
	s_mul_i32 s40, s25, s20
	s_lshl_b64 s[40:41], s[40:41], 1
	s_add_u32 s20, s38, s40
	s_mul_i32 s36, s4, 0xc0
	s_addc_u32 s23, s39, s41
	s_lshl_b64 s[36:37], s[36:37], 1
	s_add_u32 s36, s20, s36
	v_lshlrev_b32_e32 v8, 3, v22
	v_lshrrev_b32_e32 v9, 2, v24
	s_addc_u32 s37, s23, s37
	v_add_lshl_u32 v8, v8, v9, 4
	global_load_dwordx4 v[10:13], v8, s[36:37]
	v_mov_b32_e32 v19, 0
.LBB830_14:
	s_or_b64 exec, exec, s[34:35]
	s_waitcnt lgkmcnt(0)
	s_mul_i32 s20, s4, s22
	s_add_u32 s8, s20, s8
	s_addc_u32 s9, 0, s9
	v_mov_b64_e32 v[8:9], s[8:9]
	s_waitcnt vmcnt(4)
	v_mad_i64_i32 v[8:9], s[8:9], v2, s21, v[8:9]
	v_lshlrev_b32_e32 v2, 4, v0
	v_and_b32_e32 v2, 0xf0, v2
	v_lshl_add_u64 v[8:9], v[8:9], 0, v[2:3]
	global_load_dwordx4 v[26:29], v[8:9], off
	global_load_dwordx4 v[30:33], v[8:9], off offset:256
	global_load_dwordx4 v[34:37], v[8:9], off offset:512
	;; [unrolled: 1-line block ×3, first 2 shown]
	s_waitcnt vmcnt(7)
	v_mul_hi_i32 v2, v7, s21
	s_load_dword s8, s[0:1], 0x1c
	s_add_u32 s0, s10, s20
	s_waitcnt vmcnt(6)
	v_mul_hi_i32 v8, v6, s21
	s_waitcnt vmcnt(4)
	v_mul_hi_i32 v20, v4, s21
	v_ashrrev_i32_e32 v23, 31, v2
	s_addc_u32 s1, s11, 0
	v_lshlrev_b32_e32 v2, 4, v24
	v_mul_hi_i32 v9, v5, s21
	v_ashrrev_i32_e32 v25, 31, v8
	v_ashrrev_i32_e32 v40, 31, v20
	v_lshl_add_u64 v[20:21], s[0:1], 0, v[2:3]
	v_lshrrev_b32_e32 v2, 29, v23
	v_ashrrev_i32_e32 v38, 31, v9
	v_mad_i64_i32 v[8:9], s[0:1], v7, s21, v[2:3]
	v_lshrrev_b32_e32 v2, 29, v25
	v_and_b32_e32 v8, -8, v8
	v_mad_i64_i32 v[6:7], s[0:1], v6, s21, v[2:3]
	v_lshrrev_b32_e32 v2, 29, v38
	v_lshl_add_u64 v[38:39], v[20:21], 0, v[8:9]
	v_and_b32_e32 v6, -8, v6
	v_mad_i64_i32 v[8:9], s[0:1], v5, s21, v[2:3]
	v_lshrrev_b32_e32 v2, 29, v40
	v_lshl_add_u64 v[40:41], v[20:21], 0, v[6:7]
	v_and_b32_e32 v8, -8, v8
	v_mad_i64_i32 v[42:43], s[0:1], v4, s21, v[2:3]
	v_lshl_add_u64 v[44:45], v[20:21], 0, v[8:9]
	global_load_dwordx4 v[6:9], v[38:39], off
	global_load_dwordx4 v[2:5], v[40:41], off
	v_and_b32_e32 v42, -8, v42
	v_lshl_add_u64 v[20:21], v[20:21], 0, v[42:43]
	s_load_dword s0, s[12:13], 0x0
	v_cmp_eq_u32_e32 vcc, 0, v22
	v_mov_b32_e32 v25, 0xff7fffff
	s_waitcnt vmcnt(5)
	v_cvt_pk_f32_fp8_e32 v[38:39], v26
	v_cvt_pk_f32_fp8_sdwa v[40:41], v26 src0_sel:WORD_1
	v_cvt_pk_f32_fp8_e32 v[42:43], v27
	v_cvt_pk_f32_fp8_sdwa v[26:27], v27 src0_sel:WORD_1
	;; [unrolled: 2-line block ×3, first 2 shown]
	v_cvt_pkrtz_f16_f32 v38, v38, v39
	v_cvt_pkrtz_f16_f32 v39, v40, v41
	v_cvt_pk_f32_fp8_e32 v[50:51], v29
	v_cvt_pk_f32_fp8_sdwa v[28:29], v29 src0_sel:WORD_1
	v_mfma_f32_4x4x4_16b_f16 a[0:3], v[10:11], v[38:39], 0 cbsz:4
	v_cvt_pkrtz_f16_f32 v42, v42, v43
	v_cvt_pkrtz_f16_f32 v43, v26, v27
	s_waitcnt vmcnt(4)
	v_cvt_pk_f32_fp8_e32 v[52:53], v30
	v_cvt_pk_f32_fp8_sdwa v[54:55], v30 src0_sel:WORD_1
	v_mfma_f32_4x4x4_16b_f16 a[0:3], v[12:13], v[42:43], a[0:3] cbsz:4
	v_cvt_pkrtz_f16_f32 v46, v46, v47
	v_cvt_pkrtz_f16_f32 v47, v48, v49
	v_cvt_pk_f32_fp8_e32 v[56:57], v31
	v_cvt_pk_f32_fp8_sdwa v[30:31], v31 src0_sel:WORD_1
	v_mfma_f32_4x4x4_16b_f16 a[0:3], v[10:11], v[46:47], a[0:3] cbsz:4 abid:1
	v_cvt_pkrtz_f16_f32 v48, v50, v51
	v_cvt_pkrtz_f16_f32 v49, v28, v29
	v_cvt_pk_f32_fp8_e32 v[58:59], v32
	v_cvt_pk_f32_fp8_sdwa v[60:61], v32 src0_sel:WORD_1
	v_mfma_f32_4x4x4_16b_f16 a[0:3], v[12:13], v[48:49], a[0:3] cbsz:4 abid:1
	;; [unrolled: 5-line block ×3, first 2 shown]
	v_cvt_pkrtz_f16_f32 v50, v56, v57
	v_cvt_pkrtz_f16_f32 v51, v30, v31
	s_waitcnt vmcnt(3)
	v_cvt_pk_f32_fp8_e32 v[64:65], v34
	v_cvt_pk_f32_fp8_sdwa v[66:67], v34 src0_sel:WORD_1
	v_mfma_f32_4x4x4_16b_f16 a[0:3], v[12:13], v[50:51], a[0:3] cbsz:4 abid:2
	v_cvt_pkrtz_f16_f32 v30, v58, v59
	v_cvt_pkrtz_f16_f32 v31, v60, v61
	v_cvt_pk_f32_fp8_e32 v[68:69], v35
	v_cvt_pk_f32_fp8_sdwa v[34:35], v35 src0_sel:WORD_1
	v_mfma_f32_4x4x4_16b_f16 a[0:3], v[10:11], v[30:31], a[0:3] cbsz:4 abid:3
	v_cvt_pkrtz_f16_f32 v52, v62, v63
	v_cvt_pkrtz_f16_f32 v53, v32, v33
	v_cvt_pk_f32_fp8_e32 v[70:71], v36
	v_cvt_pk_f32_fp8_sdwa v[72:73], v36 src0_sel:WORD_1
	v_mfma_f32_4x4x4_16b_f16 a[0:3], v[12:13], v[52:53], a[0:3] cbsz:4 abid:3
	v_cvt_pkrtz_f16_f32 v32, v64, v65
	v_cvt_pkrtz_f16_f32 v33, v66, v67
	v_cvt_pk_f32_fp8_e32 v[74:75], v37
	v_cvt_pk_f32_fp8_sdwa v[36:37], v37 src0_sel:WORD_1
	v_mfma_f32_4x4x4_16b_f16 a[0:3], v[10:11], v[32:33], a[0:3] cbsz:4 abid:4
	v_cvt_pkrtz_f16_f32 v38, v68, v69
	v_cvt_pkrtz_f16_f32 v39, v34, v35
	s_waitcnt vmcnt(2)
	v_cvt_pk_f32_fp8_e32 v[76:77], v14
	v_cvt_pk_f32_fp8_sdwa v[40:41], v14 src0_sel:WORD_1
	v_mfma_f32_4x4x4_16b_f16 a[0:3], v[12:13], v[38:39], a[0:3] cbsz:4 abid:4
	v_cvt_pkrtz_f16_f32 v28, v70, v71
	v_cvt_pkrtz_f16_f32 v29, v72, v73
	v_cvt_pk_f32_fp8_e32 v[26:27], v15
	v_cvt_pk_f32_fp8_sdwa v[14:15], v15 src0_sel:WORD_1
	v_mfma_f32_4x4x4_16b_f16 a[0:3], v[10:11], v[28:29], a[0:3] cbsz:4 abid:5
	v_cvt_pkrtz_f16_f32 v30, v74, v75
	v_cvt_pkrtz_f16_f32 v31, v36, v37
	;; [unrolled: 1-line block ×4, first 2 shown]
	v_mfma_f32_4x4x4_16b_f16 a[0:3], v[12:13], v[30:31], a[0:3] cbsz:4 abid:5
	v_cvt_pkrtz_f16_f32 v26, v26, v27
	v_cvt_pkrtz_f16_f32 v27, v14, v15
	v_mfma_f32_4x4x4_16b_f16 a[0:3], v[10:11], v[32:33], a[0:3] cbsz:4 abid:6
	v_cvt_pk_f32_fp8_e32 v[14:15], v16
	v_cvt_pk_f32_fp8_e32 v[28:29], v17
	v_mfma_f32_4x4x4_16b_f16 a[0:3], v[12:13], v[26:27], a[0:3] cbsz:4 abid:6
	v_cvt_pk_f32_fp8_sdwa v[26:27], v16 src0_sel:WORD_1
	v_cvt_pk_f32_fp8_sdwa v[16:17], v17 src0_sel:WORD_1
	v_cvt_pkrtz_f16_f32 v14, v14, v15
	v_cvt_pkrtz_f16_f32 v15, v26, v27
	;; [unrolled: 1-line block ×3, first 2 shown]
	s_nop 0
	v_mfma_f32_4x4x4_16b_f16 a[0:3], v[10:11], v[14:15], a[0:3] cbsz:4 abid:7
	v_cvt_pkrtz_f16_f32 v27, v16, v17
	s_waitcnt lgkmcnt(0)
	v_mov_b32_e32 v10, s8
	v_mfma_f32_4x4x4_16b_f16 a[0:3], v[12:13], v[26:27], a[0:3] cbsz:4 abid:7
	v_mul_f32_e32 v12, s0, v10
	s_nop 3
	v_accvgpr_read_b32 v15, a1
	v_accvgpr_read_b32 v14, a0
	v_pk_mul_f32 v[14:15], v[14:15], v[12:13] op_sel_hi:[1,0]
	v_accvgpr_read_b32 v11, a3
	v_accvgpr_read_b32 v10, a2
	v_pk_mul_f32 v[26:27], v[10:11], v[12:13] op_sel_hi:[1,0]
	v_cndmask_b32_e64 v10, 0, 1.0, vcc
	v_cmp_eq_u32_e32 vcc, 1, v22
	s_nop 0
	v_mfma_f32_4x4x1_16b_f32 a[0:3], v14, v10, 0
	v_cndmask_b32_e64 v10, 0, 1.0, vcc
	v_cmp_eq_u32_e32 vcc, 2, v22
	s_nop 0
	v_mfma_f32_4x4x1_16b_f32 a[0:3], v15, v10, a[0:3]
	v_cndmask_b32_e64 v10, 0, 1.0, vcc
	s_nop 1
	v_mfma_f32_4x4x1_16b_f32 a[0:3], v26, v10, a[0:3]
	global_load_dwordx4 v[14:17], v[44:45], off
	global_load_dwordx4 v[10:13], v[20:21], off
	v_mfma_f32_4x4x1_16b_f32 a[0:3], v27, v19, a[0:3]
	v_and_b32_e32 v19, -4, v18
	v_cmp_gt_i32_e32 vcc, s3, v19
	v_or_b32_e32 v18, 3, v18
	v_cmp_gt_i32_e64 s[10:11], s3, v18
	v_accvgpr_read_b32 v21, a0
	v_max_f32_e32 v23, v21, v21
	v_max_f32_e32 v23, 0xff7fffff, v23
	v_accvgpr_read_b32 v26, a1
	v_cndmask_b32_e32 v23, v25, v23, vcc
	v_or_b32_e32 v25, 1, v19
	v_max_f32_e32 v27, v26, v26
	v_max_f32_e32 v27, v23, v27
	v_cmp_gt_i32_e64 s[0:1], s3, v25
	v_or_b32_e32 v19, 2, v19
	v_cmp_gt_i32_e64 s[8:9], s3, v19
	v_cndmask_b32_e64 v23, v23, v27, s[0:1]
	v_accvgpr_read_b32 v27, a2
	v_max_f32_e32 v25, v27, v27
	v_max_f32_e32 v25, v23, v25
	v_cndmask_b32_e64 v19, v23, v25, s[8:9]
	v_accvgpr_read_b32 v23, a3
	v_max_f32_e32 v25, v23, v23
	v_max_f32_e32 v25, v19, v25
	v_lshlrev_b32_e32 v20, 2, v0
	v_cndmask_b32_e64 v18, v19, v25, s[10:11]
	v_and_or_b32 v20, v20, 48, v22
	;;#ASMSTART
	v_nop
 v_nop
 v_max_f32_dpp v18, v18, v18 row_ror:4
	;;#ASMEND
	v_lshlrev_b32_e32 v28, 2, v20
	;;#ASMSTART
	v_nop
 v_nop
 v_max_f32_dpp v18, v18, v18 row_ror:8
	;;#ASMEND
	ds_bpermute_b32 v18, v28, v18
	s_waitcnt lgkmcnt(0)
	;;#ASMSTART
	v_nop
 v_nop
 v_max_f32_dpp v18, v18, v18 row_ror:4
	;;#ASMEND
	s_nop 0
	;;#ASMSTART
	v_nop
 v_nop
 v_max_f32_dpp v25, v18, v18 row_ror:8
	;;#ASMEND
	s_nop 0
	v_sub_f32_e32 v18, v21, v25
	v_mul_f32_e32 v18, 0x3fb8aa3b, v18
	v_sub_f32_e32 v19, v26, v25
	v_exp_f32_e32 v18, v18
	v_mul_f32_e32 v19, 0x3fb8aa3b, v19
	v_sub_f32_e32 v21, v27, v25
	v_exp_f32_e32 v19, v19
	v_mul_f32_e32 v21, 0x3fb8aa3b, v21
	v_sub_f32_e32 v23, v23, v25
	v_exp_f32_e32 v21, v21
	v_mul_f32_e32 v23, 0x3fb8aa3b, v23
	v_exp_f32_e32 v23, v23
	v_cndmask_b32_e32 v18, 0, v18, vcc
	v_add_f32_e32 v20, 0, v18
	v_cndmask_b32_e64 v19, 0, v19, s[0:1]
	v_add_f32_e32 v26, v20, v19
	v_cndmask_b32_e64 v20, 0, v21, s[8:9]
	;; [unrolled: 2-line block ×3, first 2 shown]
	v_add_f32_e32 v23, v26, v21
	;;#ASMSTART
	v_nop
 v_nop
 v_add_f32_dpp v23, v23, v23 row_ror:4
	;;#ASMEND
	v_cmp_gt_u32_e32 vcc, 4, v24
	;;#ASMSTART
	v_nop
 v_nop
 v_add_f32_dpp v23, v23, v23 row_ror:8
	;;#ASMEND
	ds_bpermute_b32 v23, v28, v23
	s_waitcnt lgkmcnt(0)
	;;#ASMSTART
	v_nop
 v_nop
 v_add_f32_dpp v23, v23, v23 row_ror:4
	;;#ASMEND
	s_nop 0
	;;#ASMSTART
	v_nop
 v_nop
 v_add_f32_dpp v23, v23, v23 row_ror:8
	;;#ASMEND
	s_and_saveexec_b64 s[0:1], vcc
	s_cbranch_execz .LBB830_16
; %bb.15:
	v_mul_u32_u24_e32 v26, 20, v1
	v_lshl_add_u32 v26, v22, 2, v26
	v_add_u32_e32 v26, 0x800, v26
	ds_write2_b32 v26, v25, v23 offset0:128 offset1:148
.LBB830_16:
	s_or_b64 exec, exec, s[0:1]
.LBB830_17:
	s_or_b64 exec, exec, s[30:31]
	s_waitcnt lgkmcnt(0)
	s_barrier
	s_load_dword s0, s[28:29], 0x8
	v_lshlrev_b32_e32 v23, 2, v22
	v_add_u32_e32 v23, 0x800, v23
	ds_read2_b32 v[28:29], v23 offset0:128 offset1:133
	ds_read2_b32 v[30:31], v23 offset0:138 offset1:143
	s_mul_i32 s1, s2, s5
	s_waitcnt lgkmcnt(0)
	s_mul_i32 s0, s1, s0
	s_mov_b32 s1, 0xff7fffff
	v_max3_f32 v26, v28, s1, v29
	v_max3_f32 v26, v26, v30, v31
	v_sub_f32_e32 v27, v28, v26
	v_sub_f32_e32 v28, v29, v26
	ds_read2_b32 v[32:33], v23 offset0:148 offset1:153
	v_mul_f32_e32 v27, 0x3fb8aa3b, v27
	v_mul_f32_e32 v28, 0x3fb8aa3b, v28
	v_exp_f32_e32 v27, v27
	v_exp_f32_e32 v34, v28
	ds_read2_b32 v[28:29], v23 offset0:158 offset1:163
	v_sub_f32_e32 v23, v30, v26
	v_mul_f32_e32 v23, 0x3fb8aa3b, v23
	v_sub_f32_e32 v30, v31, v26
	v_exp_f32_e32 v23, v23
	v_mul_f32_e32 v30, 0x3fb8aa3b, v30
	v_exp_f32_e32 v30, v30
	s_waitcnt lgkmcnt(1)
	v_fma_f32 v27, v27, v32, 0
	v_fmac_f32_e32 v27, v34, v33
	s_waitcnt lgkmcnt(0)
	v_fmac_f32_e32 v27, v23, v28
	s_mul_i32 s4, s4, 3
	s_mul_i32 s0, s0, 3
	v_fmac_f32_e32 v27, v30, v29
	v_cmp_ne_u32_e32 vcc, 3, v22
	s_and_saveexec_b64 s[2:3], vcc
	s_cbranch_execz .LBB830_19
; %bb.18:
	s_mov_b32 s1, 0
	s_lshl_b64 s[8:9], s[0:1], 2
	s_add_u32 s12, s16, s8
	s_mov_b32 s25, s1
	s_addc_u32 s13, s17, s9
	s_lshl_b64 s[10:11], s[24:25], 2
	s_add_u32 s12, s12, s10
	s_addc_u32 s13, s13, s11
	s_add_u32 s1, s18, s8
	s_addc_u32 s9, s19, s9
	v_add_u32_e32 v22, s4, v22
	s_add_u32 s8, s1, s10
	v_mul_lo_u32 v22, s5, v22
	v_mov_b32_e32 v23, 0
	s_addc_u32 s9, s9, s11
	v_lshlrev_b64 v[22:23], 2, v[22:23]
	v_lshl_add_u64 v[28:29], s[12:13], 0, v[22:23]
	v_lshl_add_u64 v[22:23], s[8:9], 0, v[22:23]
	global_store_dword v[22:23], v26, off
	global_store_dword v[28:29], v27, off
.LBB830_19:
	s_or_b64 exec, exec, s[2:3]
	v_mov_b32_e32 v22, 0
	v_mov_b32_e32 v23, 0
	s_and_saveexec_b64 s[2:3], s[6:7]
	s_cbranch_execz .LBB830_21
; %bb.20:
	v_add_f32_e32 v22, 0x358637bd, v27
	v_div_scale_f32 v23, s[6:7], v22, v22, 1.0
	v_rcp_f32_e32 v27, v23
	v_div_scale_f32 v28, vcc, 1.0, v22, 1.0
	v_sub_f32_e32 v25, v25, v26
	v_fma_f32 v29, -v23, v27, 1.0
	v_fmac_f32_e32 v27, v29, v27
	v_mul_f32_e32 v29, v28, v27
	v_fma_f32 v30, -v23, v29, v28
	v_mul_f32_e32 v25, 0x3fb8aa3b, v25
	v_fmac_f32_e32 v29, v30, v27
	v_exp_f32_e32 v25, v25
	v_fma_f32 v23, -v23, v29, v28
	v_div_fmas_f32 v23, v23, v27, v29
	v_div_fixup_f32 v22, v23, v22, 1.0
	v_mul_f32_e32 v22, v25, v22
	v_pk_mul_f32 v[20:21], v[20:21], v[22:23] op_sel_hi:[1,0]
	v_pk_mul_f32 v[18:19], v[18:19], v[22:23] op_sel_hi:[1,0]
	v_cvt_f16_f32_e32 v22, v20
	v_cvt_f16_f32_e32 v18, v18
	;; [unrolled: 1-line block ×4, first 2 shown]
	s_waitcnt vmcnt(3)
	v_cvt_pk_f32_fp8_e32 v[20:21], v6
	v_cvt_pk_f32_fp8_e32 v[26:27], v7
	v_pack_b32_f16 v18, v18, v19
	v_pack_b32_f16 v19, v22, v23
	v_cvt_pk_f32_fp8_sdwa v[22:23], v6 src0_sel:WORD_1
	v_cvt_pkrtz_f16_f32 v6, v20, v21
	v_cvt_pk_f32_fp8_sdwa v[20:21], v7 src0_sel:WORD_1
	s_load_dword s6, s[14:15], 0x0
	v_cvt_pkrtz_f16_f32 v7, v22, v23
	v_cvt_pkrtz_f16_f32 v22, v26, v27
	;; [unrolled: 1-line block ×3, first 2 shown]
	v_mfma_f32_4x4x4_16b_f16 a[0:3], v[18:19], v[6:7], 0 cbsz:4
	v_cvt_pk_f32_fp8_e32 v[6:7], v8
	v_cvt_pk_f32_fp8_sdwa v[20:21], v8 src0_sel:WORD_1
	v_mfma_f32_4x4x4_16b_f16 a[0:3], v[18:19], v[22:23], a[0:3] cbsz:4 abid:1
	v_cvt_pk_f32_fp8_e32 v[22:23], v9
	v_cvt_pk_f32_fp8_sdwa v[8:9], v9 src0_sel:WORD_1
	v_cvt_pkrtz_f16_f32 v6, v6, v7
	v_cvt_pkrtz_f16_f32 v7, v20, v21
	;; [unrolled: 1-line block ×4, first 2 shown]
	v_mfma_f32_4x4x4_16b_f16 a[0:3], v[18:19], v[6:7], a[0:3] cbsz:4 abid:2
	s_waitcnt vmcnt(2)
	v_cvt_pk_f32_fp8_e32 v[6:7], v2
	v_cvt_pk_f32_fp8_sdwa v[8:9], v2 src0_sel:WORD_1
	v_mfma_f32_4x4x4_16b_f16 a[0:3], v[18:19], v[20:21], a[0:3] cbsz:4 abid:3
	v_cvt_pk_f32_fp8_e32 v[20:21], v3
	v_cvt_pkrtz_f16_f32 v2, v6, v7
	v_cvt_pk_f32_fp8_sdwa v[6:7], v3 src0_sel:WORD_1
	v_cvt_pkrtz_f16_f32 v3, v8, v9
	v_cvt_pkrtz_f16_f32 v8, v20, v21
	s_mov_b32 s1, 0x5040100
	v_mfma_f32_4x4x4_16b_f16 a[0:3], v[18:19], v[2:3], a[0:3] cbsz:4 abid:4
	v_cvt_pkrtz_f16_f32 v9, v6, v7
	v_cvt_pk_f32_fp8_e32 v[2:3], v4
	v_cvt_pk_f32_fp8_sdwa v[6:7], v4 src0_sel:WORD_1
	v_mfma_f32_4x4x4_16b_f16 a[0:3], v[18:19], v[8:9], a[0:3] cbsz:4 abid:5
	v_cvt_pk_f32_fp8_e32 v[8:9], v5
	v_cvt_pk_f32_fp8_sdwa v[4:5], v5 src0_sel:WORD_1
	v_cvt_pkrtz_f16_f32 v2, v2, v3
	v_cvt_pkrtz_f16_f32 v3, v6, v7
	;; [unrolled: 1-line block ×4, first 2 shown]
	v_mfma_f32_4x4x4_16b_f16 a[0:3], v[18:19], v[2:3], a[0:3] cbsz:4 abid:6
	s_waitcnt vmcnt(1)
	v_cvt_pk_f32_fp8_e32 v[2:3], v14
	v_cvt_pk_f32_fp8_sdwa v[4:5], v14 src0_sel:WORD_1
	v_mfma_f32_4x4x4_16b_f16 a[0:3], v[18:19], v[6:7], a[0:3] cbsz:4 abid:7
	v_cvt_pk_f32_fp8_e32 v[6:7], v15
	v_cvt_pk_f32_fp8_sdwa v[8:9], v15 src0_sel:WORD_1
	v_cvt_pkrtz_f16_f32 v2, v2, v3
	v_cvt_pkrtz_f16_f32 v3, v4, v5
	v_cvt_pkrtz_f16_f32 v4, v6, v7
	v_cvt_pkrtz_f16_f32 v5, v8, v9
	v_mfma_f32_4x4x4_16b_f16 a[0:3], v[18:19], v[2:3], a[0:3] cbsz:4 abid:8
	v_cvt_pk_f32_fp8_e32 v[2:3], v16
	v_cvt_pk_f32_fp8_e32 v[6:7], v17
	v_mfma_f32_4x4x4_16b_f16 a[0:3], v[18:19], v[4:5], a[0:3] cbsz:4 abid:9
	v_cvt_pk_f32_fp8_sdwa v[4:5], v16 src0_sel:WORD_1
	v_cvt_pk_f32_fp8_sdwa v[8:9], v17 src0_sel:WORD_1
	v_cvt_pkrtz_f16_f32 v2, v2, v3
	v_cvt_pkrtz_f16_f32 v3, v4, v5
	;; [unrolled: 1-line block ×3, first 2 shown]
	s_nop 0
	v_mfma_f32_4x4x4_16b_f16 a[0:3], v[18:19], v[2:3], a[0:3] cbsz:4 abid:10
	v_cvt_pkrtz_f16_f32 v5, v8, v9
	s_waitcnt vmcnt(0)
	v_cvt_pk_f32_fp8_e32 v[2:3], v10
	v_cvt_pk_f32_fp8_e32 v[6:7], v11
	v_mfma_f32_4x4x4_16b_f16 a[0:3], v[18:19], v[4:5], a[0:3] cbsz:4 abid:11
	v_cvt_pk_f32_fp8_sdwa v[4:5], v10 src0_sel:WORD_1
	v_cvt_pk_f32_fp8_sdwa v[8:9], v11 src0_sel:WORD_1
	v_cvt_pkrtz_f16_f32 v2, v2, v3
	v_cvt_pkrtz_f16_f32 v3, v4, v5
	;; [unrolled: 1-line block ×3, first 2 shown]
	s_nop 0
	v_mfma_f32_4x4x4_16b_f16 a[0:3], v[18:19], v[2:3], a[0:3] cbsz:4 abid:12
	v_cvt_pkrtz_f16_f32 v5, v8, v9
	v_cvt_pk_f32_fp8_e32 v[2:3], v12
	v_cvt_pk_f32_fp8_e32 v[6:7], v13
	v_mfma_f32_4x4x4_16b_f16 a[0:3], v[18:19], v[4:5], a[0:3] cbsz:4 abid:13
	v_cvt_pk_f32_fp8_sdwa v[4:5], v12 src0_sel:WORD_1
	v_cvt_pk_f32_fp8_sdwa v[8:9], v13 src0_sel:WORD_1
	v_cvt_pkrtz_f16_f32 v2, v2, v3
	v_cvt_pkrtz_f16_f32 v3, v4, v5
	;; [unrolled: 1-line block ×3, first 2 shown]
	s_nop 0
	v_mfma_f32_4x4x4_16b_f16 a[0:3], v[18:19], v[2:3], a[0:3] cbsz:4 abid:14
	v_cvt_pkrtz_f16_f32 v5, v8, v9
	s_nop 1
	v_mfma_f32_4x4x4_16b_f16 a[0:3], v[18:19], v[4:5], a[0:3] cbsz:4 abid:15
	s_nop 4
	v_accvgpr_read_b32 v5, a1
	v_accvgpr_read_b32 v3, a3
	;; [unrolled: 1-line block ×4, first 2 shown]
	s_waitcnt lgkmcnt(0)
	v_pk_mul_f32 v[2:3], v[2:3], s[6:7] op_sel_hi:[1,0]
	v_pk_mul_f32 v[4:5], v[4:5], s[6:7] op_sel_hi:[1,0]
	v_cvt_f16_f32_e32 v2, v2
	v_cvt_f16_f32_e32 v4, v4
	;; [unrolled: 1-line block ×4, first 2 shown]
	v_perm_b32 v22, v5, v4, s1
	v_perm_b32 v23, v3, v2, s1
.LBB830_21:
	s_or_b64 exec, exec, s[2:3]
	v_lshlrev_b32_e32 v1, 3, v1
	v_mad_u32_u24 v1, v24, 40, v1
	v_cmp_gt_u32_e32 vcc, 64, v0
	ds_write_b64 v1, v[22:23]
	s_waitcnt lgkmcnt(0)
	s_barrier
	s_and_saveexec_b64 s[2:3], vcc
	s_cbranch_execz .LBB830_23
; %bb.22:
	v_mul_u32_u24_e32 v1, 40, v24
	s_waitcnt vmcnt(2)
	ds_read2_b64 v[2:5], v1 offset1:1
	ds_read2_b64 v[6:9], v1 offset0:2 offset1:3
	s_mov_b32 s1, 0
	s_lshl_b32 s0, s0, 6
	s_lshl_b64 s[2:3], s[0:1], 1
	s_add_u32 s2, s26, s2
	s_addc_u32 s3, s27, s3
	s_lshl_b32 s0, s24, 6
	s_lshl_b64 s[0:1], s[0:1], 1
	s_waitcnt lgkmcnt(1)
	v_pk_add_f16 v1, v2, 0
	v_pk_add_f16 v2, v3, 0
	s_add_u32 s0, s2, s0
	v_pk_add_f16 v2, v2, v5
	s_addc_u32 s1, s3, s1
	s_lshl_b32 s2, s5, 6
	v_pk_add_f16 v1, v1, v4
	s_waitcnt lgkmcnt(0)
	v_pk_add_f16 v2, v2, v7
	s_mul_i32 s3, s2, s4
	v_pk_add_f16 v1, v1, v6
	v_pk_add_f16 v6, v2, v9
	v_or_b32_e32 v2, s3, v0
	v_mov_b32_e32 v3, 0
	s_add_i32 s3, s3, s2
	v_pk_add_f16 v1, v1, v8
	v_lshl_add_u64 v[4:5], v[2:3], 1, s[0:1]
	v_or_b32_e32 v2, s3, v0
	s_add_i32 s3, s3, s2
	global_store_short v[4:5], v1, off
	v_lshl_add_u64 v[4:5], v[2:3], 1, s[0:1]
	v_or_b32_e32 v2, s3, v0
	global_store_short_d16_hi v[4:5], v1, off
	v_lshl_add_u64 v[0:1], v[2:3], 1, s[0:1]
	global_store_short v[0:1], v6, off
.LBB830_23:
	s_endpgm
	.section	.rodata,"a",@progbits
	.p2align	6, 0x0
	.amdhsa_kernel _Z38paged_attention_ll4mi_QKV_mfma4_kernelIDF16_hLN4vllm18Fp8KVCacheDataTypeE1EDF16_Li16ELi64ELi256ELb0ELi3EEvPKT_PKT0_S7_ifPKiS9_S9_iPKfiiiPfSC_PS2_PT2_iSB_SB_
		.amdhsa_group_segment_fixed_size 2720
		.amdhsa_private_segment_fixed_size 0
		.amdhsa_kernarg_size 400
		.amdhsa_user_sgpr_count 2
		.amdhsa_user_sgpr_dispatch_ptr 0
		.amdhsa_user_sgpr_queue_ptr 0
		.amdhsa_user_sgpr_kernarg_segment_ptr 1
		.amdhsa_user_sgpr_dispatch_id 0
		.amdhsa_user_sgpr_kernarg_preload_length 0
		.amdhsa_user_sgpr_kernarg_preload_offset 0
		.amdhsa_user_sgpr_private_segment_size 0
		.amdhsa_uses_dynamic_stack 0
		.amdhsa_enable_private_segment 0
		.amdhsa_system_sgpr_workgroup_id_x 1
		.amdhsa_system_sgpr_workgroup_id_y 1
		.amdhsa_system_sgpr_workgroup_id_z 1
		.amdhsa_system_sgpr_workgroup_info 0
		.amdhsa_system_vgpr_workitem_id 0
		.amdhsa_next_free_vgpr 84
		.amdhsa_next_free_sgpr 42
		.amdhsa_accum_offset 80
		.amdhsa_reserve_vcc 1
		.amdhsa_float_round_mode_32 0
		.amdhsa_float_round_mode_16_64 0
		.amdhsa_float_denorm_mode_32 3
		.amdhsa_float_denorm_mode_16_64 3
		.amdhsa_dx10_clamp 1
		.amdhsa_ieee_mode 1
		.amdhsa_fp16_overflow 0
		.amdhsa_tg_split 0
		.amdhsa_exception_fp_ieee_invalid_op 0
		.amdhsa_exception_fp_denorm_src 0
		.amdhsa_exception_fp_ieee_div_zero 0
		.amdhsa_exception_fp_ieee_overflow 0
		.amdhsa_exception_fp_ieee_underflow 0
		.amdhsa_exception_fp_ieee_inexact 0
		.amdhsa_exception_int_div_zero 0
	.end_amdhsa_kernel
	.section	.text._Z38paged_attention_ll4mi_QKV_mfma4_kernelIDF16_hLN4vllm18Fp8KVCacheDataTypeE1EDF16_Li16ELi64ELi256ELb0ELi3EEvPKT_PKT0_S7_ifPKiS9_S9_iPKfiiiPfSC_PS2_PT2_iSB_SB_,"axG",@progbits,_Z38paged_attention_ll4mi_QKV_mfma4_kernelIDF16_hLN4vllm18Fp8KVCacheDataTypeE1EDF16_Li16ELi64ELi256ELb0ELi3EEvPKT_PKT0_S7_ifPKiS9_S9_iPKfiiiPfSC_PS2_PT2_iSB_SB_,comdat
.Lfunc_end830:
	.size	_Z38paged_attention_ll4mi_QKV_mfma4_kernelIDF16_hLN4vllm18Fp8KVCacheDataTypeE1EDF16_Li16ELi64ELi256ELb0ELi3EEvPKT_PKT0_S7_ifPKiS9_S9_iPKfiiiPfSC_PS2_PT2_iSB_SB_, .Lfunc_end830-_Z38paged_attention_ll4mi_QKV_mfma4_kernelIDF16_hLN4vllm18Fp8KVCacheDataTypeE1EDF16_Li16ELi64ELi256ELb0ELi3EEvPKT_PKT0_S7_ifPKiS9_S9_iPKfiiiPfSC_PS2_PT2_iSB_SB_
                                        ; -- End function
	.section	.AMDGPU.csdata,"",@progbits
; Kernel info:
; codeLenInByte = 3912
; NumSgprs: 48
; NumVgprs: 78
; NumAgprs: 4
; TotalNumVgprs: 84
; ScratchSize: 0
; MemoryBound: 0
; FloatMode: 240
; IeeeMode: 1
; LDSByteSize: 2720 bytes/workgroup (compile time only)
; SGPRBlocks: 5
; VGPRBlocks: 10
; NumSGPRsForWavesPerEU: 48
; NumVGPRsForWavesPerEU: 84
; AccumOffset: 80
; Occupancy: 5
; WaveLimiterHint : 1
; COMPUTE_PGM_RSRC2:SCRATCH_EN: 0
; COMPUTE_PGM_RSRC2:USER_SGPR: 2
; COMPUTE_PGM_RSRC2:TRAP_HANDLER: 0
; COMPUTE_PGM_RSRC2:TGID_X_EN: 1
; COMPUTE_PGM_RSRC2:TGID_Y_EN: 1
; COMPUTE_PGM_RSRC2:TGID_Z_EN: 1
; COMPUTE_PGM_RSRC2:TIDIG_COMP_CNT: 0
; COMPUTE_PGM_RSRC3_GFX90A:ACCUM_OFFSET: 19
; COMPUTE_PGM_RSRC3_GFX90A:TG_SPLIT: 0
	.section	.text._Z38paged_attention_ll4mi_QKV_mfma4_kernelIDF16_hLN4vllm18Fp8KVCacheDataTypeE1EDF16_Li16ELi64ELi256ELb0ELi4EEvPKT_PKT0_S7_ifPKiS9_S9_iPKfiiiPfSC_PS2_PT2_iSB_SB_,"axG",@progbits,_Z38paged_attention_ll4mi_QKV_mfma4_kernelIDF16_hLN4vllm18Fp8KVCacheDataTypeE1EDF16_Li16ELi64ELi256ELb0ELi4EEvPKT_PKT0_S7_ifPKiS9_S9_iPKfiiiPfSC_PS2_PT2_iSB_SB_,comdat
	.protected	_Z38paged_attention_ll4mi_QKV_mfma4_kernelIDF16_hLN4vllm18Fp8KVCacheDataTypeE1EDF16_Li16ELi64ELi256ELb0ELi4EEvPKT_PKT0_S7_ifPKiS9_S9_iPKfiiiPfSC_PS2_PT2_iSB_SB_ ; -- Begin function _Z38paged_attention_ll4mi_QKV_mfma4_kernelIDF16_hLN4vllm18Fp8KVCacheDataTypeE1EDF16_Li16ELi64ELi256ELb0ELi4EEvPKT_PKT0_S7_ifPKiS9_S9_iPKfiiiPfSC_PS2_PT2_iSB_SB_
	.globl	_Z38paged_attention_ll4mi_QKV_mfma4_kernelIDF16_hLN4vllm18Fp8KVCacheDataTypeE1EDF16_Li16ELi64ELi256ELb0ELi4EEvPKT_PKT0_S7_ifPKiS9_S9_iPKfiiiPfSC_PS2_PT2_iSB_SB_
	.p2align	8
	.type	_Z38paged_attention_ll4mi_QKV_mfma4_kernelIDF16_hLN4vllm18Fp8KVCacheDataTypeE1EDF16_Li16ELi64ELi256ELb0ELi4EEvPKT_PKT0_S7_ifPKiS9_S9_iPKfiiiPfSC_PS2_PT2_iSB_SB_,@function
_Z38paged_attention_ll4mi_QKV_mfma4_kernelIDF16_hLN4vllm18Fp8KVCacheDataTypeE1EDF16_Li16ELi64ELi256ELb0ELi4EEvPKT_PKT0_S7_ifPKiS9_S9_iPKfiiiPfSC_PS2_PT2_iSB_SB_: ; @_Z38paged_attention_ll4mi_QKV_mfma4_kernelIDF16_hLN4vllm18Fp8KVCacheDataTypeE1EDF16_Li16ELi64ELi256ELb0ELi4EEvPKT_PKT0_S7_ifPKiS9_S9_iPKfiiiPfSC_PS2_PT2_iSB_SB_
; %bb.0:
	s_load_dwordx2 s[8:9], s[0:1], 0x30
	s_mov_b32 s24, s3
	s_mov_b64 s[6:7], 0
	s_waitcnt lgkmcnt(0)
	s_cmp_lg_u64 s[8:9], 0
	s_cselect_b64 s[10:11], -1, 0
	s_and_b64 vcc, exec, s[10:11]
	s_cbranch_vccz .LBB831_18
; %bb.1:
	s_add_i32 s12, s2, 1
	s_mov_b32 s13, 0
	s_lshl_b64 s[14:15], s[12:13], 2
	s_add_u32 s14, s8, s14
	s_mov_b32 s3, s13
	s_addc_u32 s15, s9, s15
	s_lshl_b64 s[12:13], s[2:3], 2
	s_add_u32 s12, s8, s12
	s_addc_u32 s13, s9, s13
	s_load_dword s5, s[14:15], 0x0
	s_load_dword s16, s[12:13], 0x0
	s_mov_b64 s[34:35], s[2:3]
	s_waitcnt lgkmcnt(0)
	s_sub_i32 s5, s5, s16
	s_cmp_eq_u32 s5, 1
	s_cselect_b64 s[12:13], -1, 0
	s_andn2_b64 vcc, exec, s[6:7]
	s_cbranch_vccnz .LBB831_3
.LBB831_2:
	s_mov_b32 s3, 0
	s_mov_b64 s[12:13], -1
	s_mov_b64 s[34:35], s[2:3]
.LBB831_3:
	s_andn2_b64 vcc, exec, s[12:13]
	s_cbranch_vccnz .LBB831_17
; %bb.4:
	s_load_dword s3, s[0:1], 0x9c
	s_load_dwordx2 s[6:7], s[0:1], 0x28
	s_add_u32 s28, s0, 0x90
	s_addc_u32 s29, s1, 0
	s_lshl_b64 s[40:41], s[34:35], 2
	s_waitcnt lgkmcnt(0)
	s_and_b32 s5, s3, 0xffff
	s_add_u32 s6, s6, s40
	s_addc_u32 s7, s7, s41
	s_load_dword s3, s[6:7], 0x0
	s_mul_i32 s20, s24, s5
	s_waitcnt lgkmcnt(0)
	s_cmp_ge_i32 s20, s3
	s_cbranch_scc1 .LBB831_17
; %bb.5:
	v_and_b32_e32 v2, 0xc0, v0
	v_add_u32_e32 v4, s20, v2
	v_lshrrev_b32_e32 v1, 6, v0
	v_cmp_gt_i32_e64 s[6:7], s3, v4
	v_cmp_le_i32_e32 vcc, s3, v4
                                        ; implicit-def: $sgpr22
                                        ; implicit-def: $sgpr21
	s_and_saveexec_b64 s[12:13], vcc
	s_xor_b64 s[12:13], exec, s[12:13]
	s_cbranch_execz .LBB831_7
; %bb.6:
	v_mul_u32_u24_e32 v2, 20, v1
	v_or_b32_e32 v2, 0xa00, v2
	v_mov_b32_e32 v3, 0xa50
	v_mov_b32_e32 v4, 0xff7fffff
	v_mad_u32_u24 v3, v1, 20, v3
	ds_write2_b32 v2, v4, v4 offset1:1
	v_mov_b32_e32 v2, 0
	ds_write2_b32 v3, v2, v2 offset1:1
	v_mov_b32_e32 v3, 0xa08
	s_mov_b32 s21, 0xff7fffff
	s_mov_b32 s22, 0
	v_mad_u32_u24 v3, v1, 20, v3
	v_mov_b32_e32 v5, 0xa58
	v_mad_u32_u24 v5, v1, 20, v5
	ds_write2_b32 v3, v4, v4 offset1:1
	ds_write2_b32 v5, v2, v2 offset1:1
                                        ; implicit-def: $vgpr4
.LBB831_7:
	s_or_saveexec_b64 s[30:31], s[12:13]
	s_load_dwordx2 s[26:27], s[0:1], 0x68
	s_load_dwordx4 s[16:19], s[0:1], 0x58
	s_load_dword s5, s[28:29], 0x4
	s_load_dwordx4 s[12:15], s[0:1], 0x80
	v_and_b32_e32 v24, 63, v0
	v_and_b32_e32 v22, 3, v0
	v_mov_b32_e32 v21, s22
	v_mov_b32_e32 v25, s21
	;; [unrolled: 1-line block ×5, first 2 shown]
                                        ; implicit-def: $vgpr14_vgpr15
                                        ; implicit-def: $vgpr10_vgpr11
                                        ; implicit-def: $vgpr6_vgpr7
                                        ; implicit-def: $vgpr2_vgpr3
	s_xor_b64 exec, exec, s[30:31]
	s_cbranch_execz .LBB831_13
; %bb.8:
	s_load_dwordx2 s[22:23], s[0:1], 0x20
	s_load_dword s21, s[0:1], 0x38
	s_add_i32 s25, s3, 15
	s_ashr_i32 s33, s25, 31
	s_lshr_b32 s33, s33, 28
	v_add_u32_e32 v18, s20, v0
	s_add_i32 s25, s25, s33
	v_ashrrev_i32_e32 v2, 31, v18
	s_ashr_i32 s25, s25, 4
	v_lshrrev_b32_e32 v2, 28, v2
	s_add_i32 s25, s25, -1
	s_waitcnt lgkmcnt(0)
	s_mul_i32 s36, s2, s21
	s_mov_b32 s37, 0
	v_add_u32_e32 v2, v18, v2
	s_lshl_b64 s[38:39], s[36:37], 2
	v_ashrrev_i32_e32 v2, 4, v2
	v_mov_b32_e32 v3, s25
	v_cmp_gt_i32_e32 vcc, s3, v18
	s_add_u32 s22, s22, s38
	s_addc_u32 s23, s23, s39
	v_cndmask_b32_e32 v2, v3, v2, vcc
	v_ashrrev_i32_e32 v3, 31, v2
	v_lshl_add_u64 v[8:9], v[2:3], 2, s[22:23]
	v_ashrrev_i32_e32 v2, 31, v4
	v_lshrrev_b32_e32 v2, 28, v2
	v_add_u32_e32 v2, v4, v2
	v_ashrrev_i32_e32 v4, 4, v2
	v_min_i32_e32 v2, s25, v4
	v_ashrrev_i32_e32 v3, 31, v2
	v_lshl_add_u64 v[10:11], v[2:3], 2, s[22:23]
	v_add_u32_e32 v2, 1, v4
	v_min_i32_e32 v2, s25, v2
	v_ashrrev_i32_e32 v3, 31, v2
	v_lshl_add_u64 v[12:13], v[2:3], 2, s[22:23]
	v_add_u32_e32 v2, 2, v4
	;; [unrolled: 4-line block ×3, first 2 shown]
	v_min_i32_e32 v2, s25, v2
	v_ashrrev_i32_e32 v3, 31, v2
	v_lshl_add_u64 v[16:17], v[2:3], 2, s[22:23]
	global_load_dword v6, v[8:9], off
	global_load_dword v5, v[10:11], off
	;; [unrolled: 1-line block ×5, first 2 shown]
	s_load_dwordx4 s[20:23], s[0:1], 0x0
	s_load_dwordx2 s[38:39], s[0:1], 0x10
	s_andn2_b64 vcc, exec, s[10:11]
	s_cbranch_vccnz .LBB831_10
; %bb.9:
	s_add_u32 s8, s8, s40
	s_addc_u32 s9, s9, s41
	s_load_dword s36, s[8:9], 0x0
	s_waitcnt lgkmcnt(0)
	s_mov_b64 s[34:35], s[36:37]
.LBB831_10:
	s_load_dwordx4 s[8:11], s[0:1], 0x48
	s_load_dword s25, s[0:1], 0x1c
	v_lshlrev_b32_e32 v10, 3, v22
	v_cmp_eq_u32_e32 vcc, 0, v22
	v_mov_b32_e32 v25, 0xff7fffff
	s_waitcnt lgkmcnt(0)
	s_ashr_i32 s1, s8, 31
	s_mul_hi_u32 s11, s34, s8
	s_mul_i32 s1, s34, s1
	s_mul_i32 s33, s35, s8
	s_add_i32 s1, s11, s1
	s_mul_i32 s0, s34, s8
	s_add_i32 s1, s1, s33
	s_lshl_b64 s[0:1], s[0:1], 1
	s_add_u32 s8, s20, s0
	s_addc_u32 s11, s21, s1
	s_lshl_b32 s36, s4, 8
	s_lshl_b64 s[0:1], s[36:37], 1
	s_add_u32 s0, s8, s0
	s_addc_u32 s1, s11, s1
	s_mul_i32 s8, s4, s10
	s_add_u32 s10, s8, s22
	s_addc_u32 s11, 0, s23
	v_mov_b64_e32 v[8:9], s[10:11]
	s_waitcnt vmcnt(4)
	v_mad_i64_i32 v[6:7], s[10:11], v6, s9, v[8:9]
	v_lshlrev_b32_e32 v8, 4, v0
	v_and_b32_e32 v8, 0xf0, v8
	v_mov_b32_e32 v9, 0
	v_lshl_add_u64 v[6:7], v[6:7], 0, v[8:9]
	v_lshrrev_b32_e32 v8, 2, v24
	v_add_lshl_u32 v8, v10, v8, 4
	global_load_dwordx4 v[26:29], v[6:7], off
	global_load_dwordx4 v[30:33], v[6:7], off offset:256
	global_load_dwordx4 v[34:37], v[6:7], off offset:512
	global_load_dwordx4 v[38:41], v8, s[0:1]
	global_load_dwordx4 v[42:45], v[6:7], off offset:768
	s_waitcnt vmcnt(8)
	v_mul_hi_i32 v8, v5, s9
	s_add_u32 s0, s38, s8
	s_waitcnt vmcnt(7)
	v_mul_hi_i32 v10, v4, s9
	v_ashrrev_i32_e32 v13, 31, v8
	s_addc_u32 s1, s39, 0
	v_lshlrev_b32_e32 v8, 4, v24
	s_waitcnt vmcnt(6)
	v_mul_hi_i32 v11, v3, s9
	v_ashrrev_i32_e32 v10, 31, v10
	v_lshl_add_u64 v[20:21], s[0:1], 0, v[8:9]
	v_lshrrev_b32_e32 v8, 29, v13
	s_waitcnt vmcnt(5)
	v_mul_hi_i32 v12, v2, s9
	v_ashrrev_i32_e32 v11, 31, v11
	v_mad_i64_i32 v[6:7], s[0:1], v5, s9, v[8:9]
	v_lshrrev_b32_e32 v8, 29, v10
	v_ashrrev_i32_e32 v12, 31, v12
	v_mad_i64_i32 v[4:5], s[0:1], v4, s9, v[8:9]
	v_lshrrev_b32_e32 v8, 29, v11
	v_mad_i64_i32 v[10:11], s[0:1], v3, s9, v[8:9]
	v_lshrrev_b32_e32 v8, 29, v12
	v_mad_i64_i32 v[2:3], s[0:1], v2, s9, v[8:9]
	v_and_b32_e32 v6, -8, v6
	v_and_b32_e32 v4, -8, v4
	;; [unrolled: 1-line block ×4, first 2 shown]
	v_lshl_add_u64 v[6:7], v[20:21], 0, v[6:7]
	v_lshl_add_u64 v[4:5], v[20:21], 0, v[4:5]
	;; [unrolled: 1-line block ×4, first 2 shown]
	global_load_dwordx4 v[14:17], v[6:7], off
	global_load_dwordx4 v[10:13], v[4:5], off
	s_nop 0
	global_load_dwordx4 v[6:9], v[46:47], off
	global_load_dwordx4 v[2:5], v[20:21], off
	s_load_dword s0, s[12:13], 0x0
	v_mov_b32_e32 v19, s25
	s_waitcnt vmcnt(8)
	v_cvt_pk_f32_fp8_e32 v[20:21], v26
	v_cvt_pk_f32_fp8_sdwa v[46:47], v26 src0_sel:WORD_1
	v_cvt_pk_f32_fp8_e32 v[48:49], v27
	v_cvt_pk_f32_fp8_sdwa v[26:27], v27 src0_sel:WORD_1
	;; [unrolled: 2-line block ×3, first 2 shown]
	v_cvt_pkrtz_f16_f32 v20, v20, v21
	v_cvt_pkrtz_f16_f32 v21, v46, v47
	v_cvt_pk_f32_fp8_e32 v[54:55], v29
	v_cvt_pk_f32_fp8_sdwa v[28:29], v29 src0_sel:WORD_1
	s_waitcnt vmcnt(5)
	v_mfma_f32_4x4x4_16b_f16 a[0:3], v[38:39], v[20:21], 0 cbsz:4
	v_cvt_pkrtz_f16_f32 v46, v48, v49
	v_cvt_pkrtz_f16_f32 v47, v26, v27
	v_cvt_pk_f32_fp8_e32 v[56:57], v30
	v_cvt_pk_f32_fp8_sdwa v[58:59], v30 src0_sel:WORD_1
	v_mfma_f32_4x4x4_16b_f16 a[0:3], v[40:41], v[46:47], a[0:3] cbsz:4
	v_cvt_pkrtz_f16_f32 v26, v50, v51
	v_cvt_pkrtz_f16_f32 v27, v52, v53
	v_cvt_pk_f32_fp8_e32 v[60:61], v31
	v_cvt_pk_f32_fp8_sdwa v[30:31], v31 src0_sel:WORD_1
	v_mfma_f32_4x4x4_16b_f16 a[0:3], v[38:39], v[26:27], a[0:3] cbsz:4 abid:1
	v_cvt_pkrtz_f16_f32 v48, v54, v55
	v_cvt_pkrtz_f16_f32 v49, v28, v29
	v_cvt_pk_f32_fp8_e32 v[62:63], v32
	v_cvt_pk_f32_fp8_sdwa v[64:65], v32 src0_sel:WORD_1
	v_mfma_f32_4x4x4_16b_f16 a[0:3], v[40:41], v[48:49], a[0:3] cbsz:4 abid:1
	;; [unrolled: 5-line block ×7, first 2 shown]
	v_cvt_pkrtz_f16_f32 v20, v72, v73
	v_cvt_pkrtz_f16_f32 v21, v34, v35
	;; [unrolled: 1-line block ×4, first 2 shown]
	v_mfma_f32_4x4x4_16b_f16 a[0:3], v[40:41], v[20:21], a[0:3] cbsz:4 abid:4
	v_cvt_pkrtz_f16_f32 v20, v74, v75
	v_cvt_pkrtz_f16_f32 v21, v76, v77
	s_waitcnt vmcnt(4)
	v_cvt_pk_f32_fp8_e32 v[28:29], v43
	v_cvt_pk_f32_fp8_sdwa v[30:31], v43 src0_sel:WORD_1
	v_mfma_f32_4x4x4_16b_f16 a[0:3], v[38:39], v[20:21], a[0:3] cbsz:4 abid:5
	v_cvt_pk_f32_fp8_e32 v[20:21], v42
	v_cvt_pkrtz_f16_f32 v20, v20, v21
	v_mfma_f32_4x4x4_16b_f16 a[0:3], v[40:41], v[26:27], a[0:3] cbsz:4 abid:5
	v_cvt_pk_f32_fp8_sdwa v[26:27], v42 src0_sel:WORD_1
	s_nop 0
	v_cvt_pkrtz_f16_f32 v21, v26, v27
	s_nop 1
	v_mfma_f32_4x4x4_16b_f16 a[0:3], v[38:39], v[20:21], a[0:3] cbsz:4 abid:6
	v_cvt_pkrtz_f16_f32 v26, v28, v29
	v_cvt_pkrtz_f16_f32 v27, v30, v31
	v_cvt_pk_f32_fp8_e32 v[20:21], v44
	v_cvt_pk_f32_fp8_e32 v[28:29], v45
	v_mfma_f32_4x4x4_16b_f16 a[0:3], v[40:41], v[26:27], a[0:3] cbsz:4 abid:6
	v_cvt_pk_f32_fp8_sdwa v[26:27], v44 src0_sel:WORD_1
	v_cvt_pk_f32_fp8_sdwa v[30:31], v45 src0_sel:WORD_1
	v_cvt_pkrtz_f16_f32 v20, v20, v21
	v_cvt_pkrtz_f16_f32 v21, v26, v27
	;; [unrolled: 1-line block ×3, first 2 shown]
	s_nop 0
	v_mfma_f32_4x4x4_16b_f16 a[0:3], v[38:39], v[20:21], a[0:3] cbsz:4 abid:7
	v_cvt_pkrtz_f16_f32 v27, v30, v31
	s_nop 1
	v_mfma_f32_4x4x4_16b_f16 a[0:3], v[40:41], v[26:27], a[0:3] cbsz:4 abid:7
	s_waitcnt lgkmcnt(0)
	v_mul_f32_e32 v26, s0, v19
	v_cndmask_b32_e64 v19, 0, 1.0, vcc
	v_cmp_eq_u32_e32 vcc, 1, v22
	s_nop 0
	v_accvgpr_read_b32 v29, a1
	v_accvgpr_read_b32 v28, a0
	v_pk_mul_f32 v[28:29], v[28:29], v[26:27] op_sel_hi:[1,0]
	v_accvgpr_read_b32 v21, a3
	v_accvgpr_read_b32 v20, a2
	v_pk_mul_f32 v[20:21], v[20:21], v[26:27] op_sel_hi:[1,0]
	v_mfma_f32_4x4x1_16b_f32 a[0:3], v28, v19, 0
	v_cndmask_b32_e64 v19, 0, 1.0, vcc
	v_cmp_eq_u32_e32 vcc, 2, v22
	s_nop 0
	v_mfma_f32_4x4x1_16b_f32 a[0:3], v29, v19, a[0:3]
	v_cndmask_b32_e64 v19, 0, 1.0, vcc
	v_cmp_eq_u32_e32 vcc, 3, v22
	s_nop 0
	v_mfma_f32_4x4x1_16b_f32 a[0:3], v20, v19, a[0:3]
	v_cndmask_b32_e64 v19, 0, 1.0, vcc
	v_lshlrev_b32_e32 v20, 2, v0
	v_and_or_b32 v20, v20, 48, v22
	v_mfma_f32_4x4x1_16b_f32 a[0:3], v21, v19, a[0:3]
	v_and_b32_e32 v19, -4, v18
	v_cmp_gt_i32_e32 vcc, s3, v19
	v_or_b32_e32 v18, 3, v18
	v_cmp_gt_i32_e64 s[10:11], s3, v18
	v_accvgpr_read_b32 v21, a0
	v_max_f32_e32 v23, v21, v21
	v_max_f32_e32 v23, 0xff7fffff, v23
	v_accvgpr_read_b32 v26, a1
	v_cndmask_b32_e32 v23, v25, v23, vcc
	v_or_b32_e32 v25, 1, v19
	v_max_f32_e32 v27, v26, v26
	v_max_f32_e32 v27, v23, v27
	v_cmp_gt_i32_e64 s[0:1], s3, v25
	v_or_b32_e32 v19, 2, v19
	v_cmp_gt_i32_e64 s[8:9], s3, v19
	v_cndmask_b32_e64 v23, v23, v27, s[0:1]
	v_accvgpr_read_b32 v27, a2
	v_max_f32_e32 v25, v27, v27
	v_max_f32_e32 v25, v23, v25
	v_cndmask_b32_e64 v19, v23, v25, s[8:9]
	v_accvgpr_read_b32 v23, a3
	v_max_f32_e32 v25, v23, v23
	v_max_f32_e32 v25, v19, v25
	v_cndmask_b32_e64 v18, v19, v25, s[10:11]
	;;#ASMSTART
	v_nop
 v_nop
 v_max_f32_dpp v18, v18, v18 row_ror:4
	;;#ASMEND
	v_lshlrev_b32_e32 v28, 2, v20
	;;#ASMSTART
	v_nop
 v_nop
 v_max_f32_dpp v18, v18, v18 row_ror:8
	;;#ASMEND
	ds_bpermute_b32 v18, v28, v18
	s_waitcnt lgkmcnt(0)
	;;#ASMSTART
	v_nop
 v_nop
 v_max_f32_dpp v18, v18, v18 row_ror:4
	;;#ASMEND
	s_nop 0
	;;#ASMSTART
	v_nop
 v_nop
 v_max_f32_dpp v25, v18, v18 row_ror:8
	;;#ASMEND
	s_nop 0
	v_sub_f32_e32 v18, v21, v25
	v_mul_f32_e32 v18, 0x3fb8aa3b, v18
	v_sub_f32_e32 v19, v26, v25
	v_exp_f32_e32 v18, v18
	v_mul_f32_e32 v19, 0x3fb8aa3b, v19
	v_sub_f32_e32 v21, v27, v25
	v_exp_f32_e32 v19, v19
	;; [unrolled: 3-line block ×3, first 2 shown]
	v_mul_f32_e32 v23, 0x3fb8aa3b, v23
	v_exp_f32_e32 v23, v23
	v_cndmask_b32_e32 v18, 0, v18, vcc
	v_add_f32_e32 v20, 0, v18
	v_cndmask_b32_e64 v19, 0, v19, s[0:1]
	v_add_f32_e32 v26, v20, v19
	v_cndmask_b32_e64 v20, 0, v21, s[8:9]
	;; [unrolled: 2-line block ×3, first 2 shown]
	v_add_f32_e32 v23, v26, v21
	;;#ASMSTART
	v_nop
 v_nop
 v_add_f32_dpp v23, v23, v23 row_ror:4
	;;#ASMEND
	v_cmp_gt_u32_e32 vcc, 4, v24
	;;#ASMSTART
	v_nop
 v_nop
 v_add_f32_dpp v23, v23, v23 row_ror:8
	;;#ASMEND
	ds_bpermute_b32 v23, v28, v23
	s_waitcnt lgkmcnt(0)
	;;#ASMSTART
	v_nop
 v_nop
 v_add_f32_dpp v23, v23, v23 row_ror:4
	;;#ASMEND
	s_nop 0
	;;#ASMSTART
	v_nop
 v_nop
 v_add_f32_dpp v23, v23, v23 row_ror:8
	;;#ASMEND
	s_and_saveexec_b64 s[0:1], vcc
	s_cbranch_execz .LBB831_12
; %bb.11:
	v_mul_u32_u24_e32 v26, 20, v1
	v_lshl_add_u32 v26, v22, 2, v26
	v_add_u32_e32 v26, 0x800, v26
	ds_write2_b32 v26, v25, v23 offset0:128 offset1:148
.LBB831_12:
	s_or_b64 exec, exec, s[0:1]
.LBB831_13:
	s_or_b64 exec, exec, s[30:31]
	v_lshlrev_b32_e32 v23, 2, v22
	v_add_u32_e32 v23, 0x800, v23
	s_waitcnt lgkmcnt(0)
	s_barrier
	s_load_dword s0, s[28:29], 0x8
	ds_read2_b32 v[28:29], v23 offset0:128 offset1:133
	ds_read2_b32 v[30:31], v23 offset0:138 offset1:143
	s_mov_b32 s8, 0xff7fffff
	s_mul_i32 s1, s2, s5
	s_lshl_b32 s4, s4, 2
	s_waitcnt lgkmcnt(0)
	v_max3_f32 v26, v28, s8, v29
	s_mul_i32 s1, s1, s0
	v_max3_f32 v26, v26, v30, v31
	s_lshl_b32 s0, s1, 2
	s_mov_b32 s1, 0
	v_sub_f32_e32 v27, v28, v26
	v_sub_f32_e32 v28, v29, v26
	s_lshl_b64 s[2:3], s[0:1], 2
	ds_read2_b32 v[32:33], v23 offset0:148 offset1:153
	v_mul_f32_e32 v27, 0x3fb8aa3b, v27
	v_mul_f32_e32 v28, 0x3fb8aa3b, v28
	s_mov_b32 s25, s1
	s_add_u32 s1, s16, s2
	v_exp_f32_e32 v27, v27
	v_exp_f32_e32 v34, v28
	ds_read2_b32 v[28:29], v23 offset0:158 offset1:163
	v_sub_f32_e32 v23, v30, v26
	s_addc_u32 s10, s17, s3
	v_mul_f32_e32 v23, 0x3fb8aa3b, v23
	v_sub_f32_e32 v30, v31, v26
	s_add_u32 s8, s18, s2
	v_exp_f32_e32 v23, v23
	v_mul_f32_e32 v30, 0x3fb8aa3b, v30
	s_addc_u32 s9, s19, s3
	s_lshl_b64 s[2:3], s[24:25], 2
	v_exp_f32_e32 v30, v30
	s_add_u32 s8, s8, s2
	s_waitcnt lgkmcnt(1)
	v_fma_f32 v27, v27, v32, 0
	s_addc_u32 s9, s9, s3
	v_fmac_f32_e32 v27, v34, v33
	v_or_b32_e32 v22, s4, v22
	s_waitcnt lgkmcnt(0)
	v_fmac_f32_e32 v27, v23, v28
	s_add_u32 s2, s1, s2
	v_mul_lo_u32 v22, s5, v22
	v_mov_b32_e32 v23, 0
	v_fmac_f32_e32 v27, v30, v29
	s_addc_u32 s3, s10, s3
	v_lshlrev_b64 v[28:29], 2, v[22:23]
	v_lshl_add_u64 v[30:31], s[8:9], 0, v[28:29]
	v_lshl_add_u64 v[28:29], s[2:3], 0, v[28:29]
	v_mov_b32_e32 v22, v23
	global_store_dword v[30:31], v26, off
	global_store_dword v[28:29], v27, off
	s_and_saveexec_b64 s[2:3], s[6:7]
	s_cbranch_execz .LBB831_15
; %bb.14:
	v_add_f32_e32 v22, 0x358637bd, v27
	v_div_scale_f32 v23, s[6:7], v22, v22, 1.0
	v_rcp_f32_e32 v27, v23
	v_div_scale_f32 v28, vcc, 1.0, v22, 1.0
	v_sub_f32_e32 v25, v25, v26
	v_fma_f32 v29, -v23, v27, 1.0
	v_fmac_f32_e32 v27, v29, v27
	v_mul_f32_e32 v29, v28, v27
	v_fma_f32 v30, -v23, v29, v28
	v_mul_f32_e32 v25, 0x3fb8aa3b, v25
	v_fmac_f32_e32 v29, v30, v27
	v_exp_f32_e32 v25, v25
	v_fma_f32 v23, -v23, v29, v28
	v_div_fmas_f32 v23, v23, v27, v29
	v_div_fixup_f32 v22, v23, v22, 1.0
	v_mul_f32_e32 v22, v25, v22
	v_pk_mul_f32 v[20:21], v[20:21], v[22:23] op_sel_hi:[1,0]
	v_pk_mul_f32 v[18:19], v[18:19], v[22:23] op_sel_hi:[1,0]
	v_cvt_f16_f32_e32 v22, v20
	v_cvt_f16_f32_e32 v18, v18
	;; [unrolled: 1-line block ×4, first 2 shown]
	s_waitcnt vmcnt(5)
	v_cvt_pk_f32_fp8_e32 v[20:21], v14
	v_cvt_pk_f32_fp8_e32 v[26:27], v15
	v_pack_b32_f16 v18, v18, v19
	v_pack_b32_f16 v19, v22, v23
	v_cvt_pk_f32_fp8_sdwa v[22:23], v14 src0_sel:WORD_1
	v_cvt_pkrtz_f16_f32 v14, v20, v21
	v_cvt_pk_f32_fp8_sdwa v[20:21], v15 src0_sel:WORD_1
	s_load_dword s6, s[14:15], 0x0
	v_cvt_pkrtz_f16_f32 v15, v22, v23
	v_cvt_pkrtz_f16_f32 v22, v26, v27
	;; [unrolled: 1-line block ×3, first 2 shown]
	v_mfma_f32_4x4x4_16b_f16 a[0:3], v[18:19], v[14:15], 0 cbsz:4
	v_cvt_pk_f32_fp8_e32 v[14:15], v16
	v_cvt_pk_f32_fp8_sdwa v[20:21], v16 src0_sel:WORD_1
	v_mfma_f32_4x4x4_16b_f16 a[0:3], v[18:19], v[22:23], a[0:3] cbsz:4 abid:1
	v_cvt_pk_f32_fp8_e32 v[22:23], v17
	v_cvt_pk_f32_fp8_sdwa v[16:17], v17 src0_sel:WORD_1
	v_cvt_pkrtz_f16_f32 v14, v14, v15
	v_cvt_pkrtz_f16_f32 v15, v20, v21
	;; [unrolled: 1-line block ×4, first 2 shown]
	v_mfma_f32_4x4x4_16b_f16 a[0:3], v[18:19], v[14:15], a[0:3] cbsz:4 abid:2
	s_waitcnt vmcnt(4)
	v_cvt_pk_f32_fp8_e32 v[14:15], v10
	v_cvt_pk_f32_fp8_sdwa v[16:17], v10 src0_sel:WORD_1
	v_mfma_f32_4x4x4_16b_f16 a[0:3], v[18:19], v[20:21], a[0:3] cbsz:4 abid:3
	v_cvt_pk_f32_fp8_e32 v[20:21], v11
	v_cvt_pkrtz_f16_f32 v10, v14, v15
	v_cvt_pk_f32_fp8_sdwa v[14:15], v11 src0_sel:WORD_1
	v_cvt_pkrtz_f16_f32 v11, v16, v17
	v_cvt_pkrtz_f16_f32 v16, v20, v21
	s_mov_b32 s1, 0x5040100
	v_mfma_f32_4x4x4_16b_f16 a[0:3], v[18:19], v[10:11], a[0:3] cbsz:4 abid:4
	v_cvt_pkrtz_f16_f32 v17, v14, v15
	v_cvt_pk_f32_fp8_e32 v[10:11], v12
	v_cvt_pk_f32_fp8_sdwa v[14:15], v12 src0_sel:WORD_1
	v_mfma_f32_4x4x4_16b_f16 a[0:3], v[18:19], v[16:17], a[0:3] cbsz:4 abid:5
	v_cvt_pk_f32_fp8_e32 v[16:17], v13
	v_cvt_pk_f32_fp8_sdwa v[12:13], v13 src0_sel:WORD_1
	v_cvt_pkrtz_f16_f32 v10, v10, v11
	v_cvt_pkrtz_f16_f32 v11, v14, v15
	;; [unrolled: 1-line block ×4, first 2 shown]
	v_mfma_f32_4x4x4_16b_f16 a[0:3], v[18:19], v[10:11], a[0:3] cbsz:4 abid:6
	s_waitcnt vmcnt(3)
	v_cvt_pk_f32_fp8_e32 v[10:11], v6
	v_cvt_pk_f32_fp8_sdwa v[12:13], v6 src0_sel:WORD_1
	v_mfma_f32_4x4x4_16b_f16 a[0:3], v[18:19], v[14:15], a[0:3] cbsz:4 abid:7
	v_cvt_pk_f32_fp8_e32 v[14:15], v7
	v_cvt_pkrtz_f16_f32 v6, v10, v11
	v_cvt_pk_f32_fp8_sdwa v[10:11], v7 src0_sel:WORD_1
	v_cvt_pkrtz_f16_f32 v7, v12, v13
	v_cvt_pkrtz_f16_f32 v12, v14, v15
	;; [unrolled: 1-line block ×3, first 2 shown]
	v_mfma_f32_4x4x4_16b_f16 a[0:3], v[18:19], v[6:7], a[0:3] cbsz:4 abid:8
	v_cvt_pk_f32_fp8_e32 v[6:7], v8
	v_cvt_pk_f32_fp8_sdwa v[10:11], v8 src0_sel:WORD_1
	v_mfma_f32_4x4x4_16b_f16 a[0:3], v[18:19], v[12:13], a[0:3] cbsz:4 abid:9
	v_cvt_pk_f32_fp8_e32 v[12:13], v9
	v_cvt_pk_f32_fp8_sdwa v[8:9], v9 src0_sel:WORD_1
	v_cvt_pkrtz_f16_f32 v6, v6, v7
	v_cvt_pkrtz_f16_f32 v7, v10, v11
	;; [unrolled: 1-line block ×4, first 2 shown]
	v_mfma_f32_4x4x4_16b_f16 a[0:3], v[18:19], v[6:7], a[0:3] cbsz:4 abid:10
	s_waitcnt vmcnt(2)
	v_cvt_pk_f32_fp8_e32 v[6:7], v2
	v_cvt_pk_f32_fp8_sdwa v[8:9], v2 src0_sel:WORD_1
	v_mfma_f32_4x4x4_16b_f16 a[0:3], v[18:19], v[10:11], a[0:3] cbsz:4 abid:11
	v_cvt_pk_f32_fp8_e32 v[10:11], v3
	v_cvt_pkrtz_f16_f32 v2, v6, v7
	v_cvt_pk_f32_fp8_sdwa v[6:7], v3 src0_sel:WORD_1
	v_cvt_pkrtz_f16_f32 v3, v8, v9
	v_cvt_pkrtz_f16_f32 v8, v10, v11
	;; [unrolled: 1-line block ×3, first 2 shown]
	v_mfma_f32_4x4x4_16b_f16 a[0:3], v[18:19], v[2:3], a[0:3] cbsz:4 abid:12
	v_cvt_pk_f32_fp8_e32 v[2:3], v4
	v_cvt_pk_f32_fp8_sdwa v[6:7], v4 src0_sel:WORD_1
	v_mfma_f32_4x4x4_16b_f16 a[0:3], v[18:19], v[8:9], a[0:3] cbsz:4 abid:13
	v_cvt_pk_f32_fp8_e32 v[8:9], v5
	v_cvt_pk_f32_fp8_sdwa v[4:5], v5 src0_sel:WORD_1
	v_cvt_pkrtz_f16_f32 v2, v2, v3
	v_cvt_pkrtz_f16_f32 v3, v6, v7
	;; [unrolled: 1-line block ×4, first 2 shown]
	v_mfma_f32_4x4x4_16b_f16 a[0:3], v[18:19], v[2:3], a[0:3] cbsz:4 abid:14
	s_nop 1
	v_mfma_f32_4x4x4_16b_f16 a[0:3], v[18:19], v[6:7], a[0:3] cbsz:4 abid:15
	s_nop 4
	v_accvgpr_read_b32 v5, a1
	v_accvgpr_read_b32 v3, a3
	;; [unrolled: 1-line block ×4, first 2 shown]
	s_waitcnt lgkmcnt(0)
	v_pk_mul_f32 v[2:3], v[2:3], s[6:7] op_sel_hi:[1,0]
	v_pk_mul_f32 v[4:5], v[4:5], s[6:7] op_sel_hi:[1,0]
	v_cvt_f16_f32_e32 v2, v2
	v_cvt_f16_f32_e32 v4, v4
	;; [unrolled: 1-line block ×4, first 2 shown]
	v_perm_b32 v22, v5, v4, s1
	v_perm_b32 v23, v3, v2, s1
.LBB831_15:
	s_or_b64 exec, exec, s[2:3]
	v_lshlrev_b32_e32 v1, 3, v1
	v_mad_u32_u24 v1, v24, 40, v1
	v_cmp_gt_u32_e32 vcc, 64, v0
	ds_write_b64 v1, v[22:23]
	s_waitcnt lgkmcnt(0)
	s_barrier
	s_and_saveexec_b64 s[2:3], vcc
	s_cbranch_execz .LBB831_17
; %bb.16:
	v_mul_u32_u24_e32 v1, 40, v24
	s_waitcnt vmcnt(2)
	ds_read2_b64 v[2:5], v1 offset1:1
	ds_read2_b64 v[6:9], v1 offset0:2 offset1:3
	s_mov_b32 s1, 0
	s_lshl_b32 s0, s0, 6
	s_lshl_b64 s[2:3], s[0:1], 1
	s_add_u32 s2, s26, s2
	s_addc_u32 s3, s27, s3
	s_lshl_b32 s0, s24, 6
	s_lshl_b64 s[0:1], s[0:1], 1
	s_waitcnt lgkmcnt(1)
	v_pk_add_f16 v1, v2, 0
	v_pk_add_f16 v2, v3, 0
	s_add_u32 s0, s2, s0
	v_pk_add_f16 v2, v2, v5
	s_addc_u32 s1, s3, s1
	s_lshl_b32 s2, s5, 6
	v_pk_add_f16 v1, v1, v4
	s_waitcnt lgkmcnt(0)
	v_pk_add_f16 v2, v2, v7
	s_mul_i32 s3, s2, s4
	v_pk_add_f16 v1, v1, v6
	v_pk_add_f16 v6, v2, v9
	v_or_b32_e32 v2, s3, v0
	v_mov_b32_e32 v3, 0
	s_add_i32 s3, s3, s2
	v_pk_add_f16 v1, v1, v8
	v_lshl_add_u64 v[4:5], v[2:3], 1, s[0:1]
	v_or_b32_e32 v2, s3, v0
	s_add_i32 s3, s3, s2
	global_store_short v[4:5], v1, off
	v_lshl_add_u64 v[4:5], v[2:3], 1, s[0:1]
	v_or_b32_e32 v2, s3, v0
	s_add_i32 s3, s3, s2
	global_store_short_d16_hi v[4:5], v1, off
	v_lshl_add_u64 v[4:5], v[2:3], 1, s[0:1]
	v_or_b32_e32 v2, s3, v0
	v_lshl_add_u64 v[0:1], v[2:3], 1, s[0:1]
	global_store_short v[4:5], v6, off
	global_store_short_d16_hi v[0:1], v6, off
.LBB831_17:
	s_endpgm
.LBB831_18:
	s_mov_b64 s[12:13], 0
                                        ; implicit-def: $sgpr34_sgpr35
	s_branch .LBB831_2
	.section	.rodata,"a",@progbits
	.p2align	6, 0x0
	.amdhsa_kernel _Z38paged_attention_ll4mi_QKV_mfma4_kernelIDF16_hLN4vllm18Fp8KVCacheDataTypeE1EDF16_Li16ELi64ELi256ELb0ELi4EEvPKT_PKT0_S7_ifPKiS9_S9_iPKfiiiPfSC_PS2_PT2_iSB_SB_
		.amdhsa_group_segment_fixed_size 2720
		.amdhsa_private_segment_fixed_size 0
		.amdhsa_kernarg_size 400
		.amdhsa_user_sgpr_count 2
		.amdhsa_user_sgpr_dispatch_ptr 0
		.amdhsa_user_sgpr_queue_ptr 0
		.amdhsa_user_sgpr_kernarg_segment_ptr 1
		.amdhsa_user_sgpr_dispatch_id 0
		.amdhsa_user_sgpr_kernarg_preload_length 0
		.amdhsa_user_sgpr_kernarg_preload_offset 0
		.amdhsa_user_sgpr_private_segment_size 0
		.amdhsa_uses_dynamic_stack 0
		.amdhsa_enable_private_segment 0
		.amdhsa_system_sgpr_workgroup_id_x 1
		.amdhsa_system_sgpr_workgroup_id_y 1
		.amdhsa_system_sgpr_workgroup_id_z 1
		.amdhsa_system_sgpr_workgroup_info 0
		.amdhsa_system_vgpr_workitem_id 0
		.amdhsa_next_free_vgpr 84
		.amdhsa_next_free_sgpr 42
		.amdhsa_accum_offset 80
		.amdhsa_reserve_vcc 1
		.amdhsa_float_round_mode_32 0
		.amdhsa_float_round_mode_16_64 0
		.amdhsa_float_denorm_mode_32 3
		.amdhsa_float_denorm_mode_16_64 3
		.amdhsa_dx10_clamp 1
		.amdhsa_ieee_mode 1
		.amdhsa_fp16_overflow 0
		.amdhsa_tg_split 0
		.amdhsa_exception_fp_ieee_invalid_op 0
		.amdhsa_exception_fp_denorm_src 0
		.amdhsa_exception_fp_ieee_div_zero 0
		.amdhsa_exception_fp_ieee_overflow 0
		.amdhsa_exception_fp_ieee_underflow 0
		.amdhsa_exception_fp_ieee_inexact 0
		.amdhsa_exception_int_div_zero 0
	.end_amdhsa_kernel
	.section	.text._Z38paged_attention_ll4mi_QKV_mfma4_kernelIDF16_hLN4vllm18Fp8KVCacheDataTypeE1EDF16_Li16ELi64ELi256ELb0ELi4EEvPKT_PKT0_S7_ifPKiS9_S9_iPKfiiiPfSC_PS2_PT2_iSB_SB_,"axG",@progbits,_Z38paged_attention_ll4mi_QKV_mfma4_kernelIDF16_hLN4vllm18Fp8KVCacheDataTypeE1EDF16_Li16ELi64ELi256ELb0ELi4EEvPKT_PKT0_S7_ifPKiS9_S9_iPKfiiiPfSC_PS2_PT2_iSB_SB_,comdat
.Lfunc_end831:
	.size	_Z38paged_attention_ll4mi_QKV_mfma4_kernelIDF16_hLN4vllm18Fp8KVCacheDataTypeE1EDF16_Li16ELi64ELi256ELb0ELi4EEvPKT_PKT0_S7_ifPKiS9_S9_iPKfiiiPfSC_PS2_PT2_iSB_SB_, .Lfunc_end831-_Z38paged_attention_ll4mi_QKV_mfma4_kernelIDF16_hLN4vllm18Fp8KVCacheDataTypeE1EDF16_Li16ELi64ELi256ELb0ELi4EEvPKT_PKT0_S7_ifPKiS9_S9_iPKfiiiPfSC_PS2_PT2_iSB_SB_
                                        ; -- End function
	.section	.AMDGPU.csdata,"",@progbits
; Kernel info:
; codeLenInByte = 3892
; NumSgprs: 48
; NumVgprs: 80
; NumAgprs: 4
; TotalNumVgprs: 84
; ScratchSize: 0
; MemoryBound: 0
; FloatMode: 240
; IeeeMode: 1
; LDSByteSize: 2720 bytes/workgroup (compile time only)
; SGPRBlocks: 5
; VGPRBlocks: 10
; NumSGPRsForWavesPerEU: 48
; NumVGPRsForWavesPerEU: 84
; AccumOffset: 80
; Occupancy: 5
; WaveLimiterHint : 1
; COMPUTE_PGM_RSRC2:SCRATCH_EN: 0
; COMPUTE_PGM_RSRC2:USER_SGPR: 2
; COMPUTE_PGM_RSRC2:TRAP_HANDLER: 0
; COMPUTE_PGM_RSRC2:TGID_X_EN: 1
; COMPUTE_PGM_RSRC2:TGID_Y_EN: 1
; COMPUTE_PGM_RSRC2:TGID_Z_EN: 1
; COMPUTE_PGM_RSRC2:TIDIG_COMP_CNT: 0
; COMPUTE_PGM_RSRC3_GFX90A:ACCUM_OFFSET: 19
; COMPUTE_PGM_RSRC3_GFX90A:TG_SPLIT: 0
	.section	.text._Z39paged_attention_ll4mi_QKV_mfma16_kernelIDF16_hLN4vllm18Fp8KVCacheDataTypeE1EDF16_Li16ELi64ELi256ELb0ELi5EEvPKT_PKT0_S7_ifPKiS9_S9_iPKfiiiPfSC_PS2_PT2_iSB_SB_,"axG",@progbits,_Z39paged_attention_ll4mi_QKV_mfma16_kernelIDF16_hLN4vllm18Fp8KVCacheDataTypeE1EDF16_Li16ELi64ELi256ELb0ELi5EEvPKT_PKT0_S7_ifPKiS9_S9_iPKfiiiPfSC_PS2_PT2_iSB_SB_,comdat
	.protected	_Z39paged_attention_ll4mi_QKV_mfma16_kernelIDF16_hLN4vllm18Fp8KVCacheDataTypeE1EDF16_Li16ELi64ELi256ELb0ELi5EEvPKT_PKT0_S7_ifPKiS9_S9_iPKfiiiPfSC_PS2_PT2_iSB_SB_ ; -- Begin function _Z39paged_attention_ll4mi_QKV_mfma16_kernelIDF16_hLN4vllm18Fp8KVCacheDataTypeE1EDF16_Li16ELi64ELi256ELb0ELi5EEvPKT_PKT0_S7_ifPKiS9_S9_iPKfiiiPfSC_PS2_PT2_iSB_SB_
	.globl	_Z39paged_attention_ll4mi_QKV_mfma16_kernelIDF16_hLN4vllm18Fp8KVCacheDataTypeE1EDF16_Li16ELi64ELi256ELb0ELi5EEvPKT_PKT0_S7_ifPKiS9_S9_iPKfiiiPfSC_PS2_PT2_iSB_SB_
	.p2align	8
	.type	_Z39paged_attention_ll4mi_QKV_mfma16_kernelIDF16_hLN4vllm18Fp8KVCacheDataTypeE1EDF16_Li16ELi64ELi256ELb0ELi5EEvPKT_PKT0_S7_ifPKiS9_S9_iPKfiiiPfSC_PS2_PT2_iSB_SB_,@function
_Z39paged_attention_ll4mi_QKV_mfma16_kernelIDF16_hLN4vllm18Fp8KVCacheDataTypeE1EDF16_Li16ELi64ELi256ELb0ELi5EEvPKT_PKT0_S7_ifPKiS9_S9_iPKfiiiPfSC_PS2_PT2_iSB_SB_: ; @_Z39paged_attention_ll4mi_QKV_mfma16_kernelIDF16_hLN4vllm18Fp8KVCacheDataTypeE1EDF16_Li16ELi64ELi256ELb0ELi5EEvPKT_PKT0_S7_ifPKiS9_S9_iPKfiiiPfSC_PS2_PT2_iSB_SB_
; %bb.0:
	s_load_dwordx2 s[12:13], s[0:1], 0x30
	s_mov_b32 s28, s3
	s_mov_b64 s[6:7], 0
	s_waitcnt lgkmcnt(0)
	s_cmp_lg_u64 s[12:13], 0
	s_cselect_b64 s[14:15], -1, 0
	s_and_b64 vcc, exec, s[14:15]
	s_cbranch_vccz .LBB832_7
; %bb.1:
	s_add_i32 s8, s2, 1
	s_mov_b32 s9, 0
	s_lshl_b64 s[10:11], s[8:9], 2
	s_add_u32 s10, s12, s10
	s_mov_b32 s3, s9
	s_addc_u32 s11, s13, s11
	s_lshl_b64 s[8:9], s[2:3], 2
	s_add_u32 s8, s12, s8
	s_addc_u32 s9, s13, s9
	s_load_dword s5, s[10:11], 0x0
	s_load_dword s16, s[8:9], 0x0
	s_waitcnt lgkmcnt(0)
	s_sub_i32 s5, s5, s16
	s_cmp_eq_u32 s5, 1
	s_cselect_b64 s[8:9], -1, 0
	s_andn2_b64 vcc, exec, s[6:7]
	s_cbranch_vccnz .LBB832_3
.LBB832_2:
	s_mov_b32 s3, 0
	s_mov_b64 s[8:9], -1
.LBB832_3:
	s_andn2_b64 vcc, exec, s[8:9]
	s_cbranch_vccnz .LBB832_18
; %bb.4:
	s_load_dwordx2 s[6:7], s[0:1], 0x28
	s_lshl_b64 s[16:17], s[2:3], 2
	s_waitcnt lgkmcnt(0)
	s_add_u32 s6, s6, s16
	s_addc_u32 s7, s7, s17
	s_load_dword s33, s[6:7], 0x0
	s_lshl_b32 s5, s28, 8
	s_waitcnt lgkmcnt(0)
	s_cmp_ge_i32 s5, s33
	s_cbranch_scc1 .LBB832_18
; %bb.5:
	s_load_dwordx2 s[6:7], s[0:1], 0x20
	s_load_dword s8, s[0:1], 0x38
	s_add_i32 s9, s33, 15
	s_ashr_i32 s10, s9, 31
	v_and_b32_e32 v1, 0xcf, v0
	s_lshr_b32 s10, s10, 28
	v_add_u32_e32 v1, s5, v1
	s_add_i32 s9, s9, s10
	v_ashrrev_i32_e32 v2, 31, v1
	s_ashr_i32 s18, s9, 4
	v_lshrrev_b32_e32 v4, 28, v2
	s_add_i32 s18, s18, -1
	s_waitcnt lgkmcnt(0)
	s_mul_i32 s8, s2, s8
	s_mov_b32 s9, 0
	v_add_u32_e32 v2, v1, v4
	s_lshl_b64 s[8:9], s[8:9], 2
	v_ashrrev_i32_e32 v2, 4, v2
	v_mov_b32_e32 v5, s18
	v_cmp_gt_i32_e32 vcc, s33, v1
	s_add_u32 s6, s6, s8
	s_addc_u32 s7, s7, s9
	v_cndmask_b32_e32 v2, v5, v2, vcc
	v_ashrrev_i32_e32 v3, 31, v2
	v_lshl_add_u64 v[8:9], v[2:3], 2, s[6:7]
	v_or_b32_e32 v2, 16, v1
	v_add_u32_e32 v3, v2, v4
	v_ashrrev_i32_e32 v3, 4, v3
	v_cmp_gt_i32_e32 vcc, s33, v2
	s_load_dwordx4 s[8:11], s[0:1], 0x8
	s_nop 0
	v_cndmask_b32_e32 v2, v5, v3, vcc
	v_ashrrev_i32_e32 v3, 31, v2
	v_lshl_add_u64 v[10:11], v[2:3], 2, s[6:7]
	v_or_b32_e32 v2, 32, v1
	v_add_u32_e32 v3, v2, v4
	v_ashrrev_i32_e32 v3, 4, v3
	v_cmp_gt_i32_e32 vcc, s33, v2
	v_or_b32_e32 v1, 48, v1
	s_nop 0
	v_cndmask_b32_e32 v2, v5, v3, vcc
	v_ashrrev_i32_e32 v3, 31, v2
	v_lshl_add_u64 v[12:13], v[2:3], 2, s[6:7]
	v_add_u32_e32 v2, v1, v4
	v_ashrrev_i32_e32 v2, 4, v2
	v_cmp_gt_i32_e32 vcc, s33, v1
	s_nop 1
	v_cndmask_b32_e32 v2, v5, v2, vcc
	v_ashrrev_i32_e32 v3, 31, v2
	v_lshl_add_u64 v[14:15], v[2:3], 2, s[6:7]
	global_load_dword v4, v[8:9], off
	global_load_dword v3, v[10:11], off
	;; [unrolled: 1-line block ×4, first 2 shown]
	s_andn2_b64 vcc, exec, s[14:15]
	s_cbranch_vccnz .LBB832_8
; %bb.6:
	s_add_u32 s12, s12, s16
	s_addc_u32 s13, s13, s17
	s_load_dword s14, s[12:13], 0x0
	s_branch .LBB832_9
.LBB832_7:
	s_mov_b64 s[8:9], 0
	s_branch .LBB832_2
.LBB832_8:
	s_mov_b32 s14, s2
.LBB832_9:
	s_load_dwordx4 s[44:47], s[0:1], 0x48
	v_lshrrev_b32_e32 v29, 6, v0
	v_bfe_u32 v42, v0, 4, 2
	v_lshl_or_b32 v5, v29, 2, v42
	v_and_b32_e32 v28, 15, v0
	v_lshlrev_b32_e32 v1, 3, v28
	v_cmp_gt_u32_e32 vcc, 5, v5
	v_cmp_gt_u32_e64 s[30:31], 8, v28
	v_and_b32_e32 v43, 63, v0
	s_mul_i32 s48, s4, 5
	s_and_b64 s[16:17], s[30:31], vcc
	v_lshlrev_b32_e32 v26, 1, v1
	v_lshlrev_b32_e32 v1, 4, v0
	s_and_saveexec_b64 s[12:13], s[16:17]
	s_cbranch_execz .LBB832_11
; %bb.10:
	s_load_dwordx2 s[16:17], s[0:1], 0x0
	s_waitcnt lgkmcnt(0)
	s_ashr_i32 s15, s44, 31
	s_mul_hi_u32 s19, s14, s44
	s_mul_i32 s15, s14, s15
	s_add_i32 s15, s19, s15
	s_mul_i32 s14, s14, s44
	s_lshl_b64 s[14:15], s[14:15], 1
	s_add_u32 s14, s16, s14
	v_add_lshl_u32 v8, v5, s48, 6
	s_addc_u32 s15, s17, s15
	v_ashrrev_i32_e32 v9, 31, v8
	v_lshl_add_u64 v[8:9], v[8:9], 1, s[14:15]
	v_mov_b32_e32 v27, 0
	v_lshl_add_u64 v[8:9], v[8:9], 0, v[26:27]
	global_load_dwordx4 v[8:11], v[8:9], off
	v_lshlrev_b32_e32 v12, 8, v28
	v_lshlrev_b32_e32 v5, 5, v5
	v_and_b32_e32 v7, 16, v1
	v_and_b32_e32 v12, 0xe00, v12
	v_or3_b32 v5, v12, v5, v7
	s_waitcnt vmcnt(0)
	ds_write_b128 v5, v[8:11]
.LBB832_11:
	s_or_b64 exec, exec, s[12:13]
	s_waitcnt lgkmcnt(0)
	s_mul_i32 s4, s4, s46
	s_add_u32 s8, s8, s4
	s_addc_u32 s9, s9, 0
	v_and_b32_e32 v7, 48, v0
	v_and_b32_e32 v30, 0xf0, v1
	v_mov_b32_e32 v31, 0
	v_lshl_add_u64 v[8:9], s[8:9], 0, v[30:31]
	v_lshlrev_b32_e32 v30, 4, v7
	v_or_b32_e32 v7, s5, v7
	v_ashrrev_i32_e32 v10, 4, v7
	v_mov_b32_e32 v12, s18
	v_cmp_gt_i32_e32 vcc, s33, v7
	v_lshl_add_u64 v[8:9], v[8:9], 0, v[30:31]
	s_load_dword s29, s[0:1], 0x98
	s_load_dwordx4 s[40:43], s[0:1], 0x80
	v_cndmask_b32_e32 v10, v12, v10, vcc
	v_ashrrev_i32_e32 v11, 31, v10
	v_lshl_add_u64 v[10:11], v[10:11], 2, s[6:7]
	s_waitcnt lgkmcnt(0)
	s_barrier
	s_waitcnt vmcnt(3)
	v_mad_i64_i32 v[4:5], s[8:9], v4, s45, v[8:9]
	global_load_dword v38, v[10:11], off
	global_load_dwordx4 v[22:25], v[4:5], off
	s_waitcnt vmcnt(4)
	v_mad_i64_i32 v[4:5], s[8:9], v3, s45, v[8:9]
	global_load_dwordx4 v[18:21], v[4:5], off
	s_waitcnt vmcnt(4)
	v_mad_i64_i32 v[2:3], s[8:9], v2, s45, v[8:9]
	global_load_dwordx4 v[2:5], v[2:3], off
	v_mul_lo_u16_e32 v10, 52, v28
	v_mov_b32_e32 v11, 5
	v_mul_lo_u16_sdwa v10, v10, v11 dst_sel:DWORD dst_unused:UNUSED_PAD src0_sel:BYTE_1 src1_sel:DWORD
	v_sub_u16_e32 v10, v28, v10
	v_or_b32_e32 v13, 64, v7
	v_or_b32_e32 v15, 0x80, v7
	v_lshlrev_b32_sdwa v10, v11, v10 dst_sel:DWORD dst_unused:UNUSED_PAD src0_sel:DWORD src1_sel:BYTE_0
	v_ashrrev_i32_e32 v11, 4, v13
	v_cmp_gt_i32_e32 vcc, s33, v13
	v_or_b32_e32 v7, 0xc0, v7
	v_ashrrev_i32_e32 v16, 4, v15
	s_add_u32 s8, s10, s4
	v_cndmask_b32_e32 v32, v12, v11, vcc
	v_cmp_gt_i32_e32 vcc, s33, v15
	v_ashrrev_i32_e32 v17, 4, v7
	s_addc_u32 s9, s11, 0
	v_cndmask_b32_e32 v34, v12, v16, vcc
	v_cmp_gt_i32_e32 vcc, s33, v7
	s_waitcnt vmcnt(4)
	v_mad_i64_i32 v[6:7], s[10:11], v6, s45, v[8:9]
	v_lshl_add_u32 v27, v42, 9, v10
	v_cndmask_b32_e32 v36, v12, v17, vcc
	global_load_dwordx4 v[10:13], v[6:7], off
	v_ashrrev_i32_e32 v33, 31, v32
	v_ashrrev_i32_e32 v35, 31, v34
	v_ashrrev_i32_e32 v37, 31, v36
	v_lshlrev_b32_e32 v14, 4, v28
	v_lshl_add_u64 v[32:33], v[32:33], 2, s[6:7]
	v_lshl_add_u64 v[34:35], v[34:35], 2, s[6:7]
	;; [unrolled: 1-line block ×3, first 2 shown]
	v_lshl_or_b32 v30, v29, 8, v14
	ds_read_b128 v[14:17], v27
	ds_read_b128 v[6:9], v27 offset:16
	s_load_dword s4, s[40:41], 0x0
	global_load_dword v45, v[32:33], off
	global_load_dword v27, v[34:35], off
	;; [unrolled: 1-line block ×3, first 2 shown]
	v_lshl_add_u64 v[30:31], s[8:9], 0, v[30:31]
	s_load_dword s12, s[0:1], 0x1c
	s_mov_b32 s44, 0xff7fffff
	s_waitcnt vmcnt(7)
	v_mad_i64_i32 v[32:33], s[6:7], v38, s45, v[30:31]
	s_waitcnt vmcnt(6)
	v_cvt_pk_f32_fp8_e32 v[34:35], v22
	v_cvt_pk_f32_fp8_sdwa v[36:37], v22 src0_sel:WORD_1
	v_cvt_pk_f32_fp8_e32 v[38:39], v23
	v_cvt_pk_f32_fp8_sdwa v[40:41], v23 src0_sel:WORD_1
	v_cvt_pkrtz_f16_f32 v34, v34, v35
	v_cvt_pkrtz_f16_f32 v35, v36, v37
	s_waitcnt vmcnt(5)
	v_cvt_pk_f32_fp8_e32 v[22:23], v18
	v_cvt_pk_f32_fp8_sdwa v[52:53], v18 src0_sel:WORD_1
	v_cvt_pkrtz_f16_f32 v38, v38, v39
	v_cvt_pkrtz_f16_f32 v39, v40, v41
	v_cvt_pk_f32_fp8_e32 v[46:47], v24
	v_cvt_pk_f32_fp8_sdwa v[48:49], v24 src0_sel:WORD_1
	v_cvt_pk_f32_fp8_e32 v[50:51], v25
	v_cvt_pk_f32_fp8_sdwa v[54:55], v25 src0_sel:WORD_1
	v_cvt_pkrtz_f16_f32 v36, v22, v23
	s_waitcnt lgkmcnt(0)
	v_mfma_f32_16x16x16_f16 v[22:25], v[34:35], v[14:15], 0
	v_cvt_pk_f32_fp8_e32 v[56:57], v19
	v_cvt_pkrtz_f16_f32 v37, v52, v53
	v_cvt_pk_f32_fp8_sdwa v[18:19], v19 src0_sel:WORD_1
	v_mfma_f32_16x16x16_f16 v[22:25], v[38:39], v[16:17], v[22:25]
	v_cvt_pkrtz_f16_f32 v38, v46, v47
	v_cvt_pkrtz_f16_f32 v39, v48, v49
	v_cvt_pk_f32_fp8_e32 v[40:41], v20
	v_cvt_pkrtz_f16_f32 v52, v56, v57
	v_cvt_pkrtz_f16_f32 v53, v18, v19
	v_cvt_pk_f32_fp8_sdwa v[18:19], v20 src0_sel:WORD_1
	v_mfma_f32_16x16x16_f16 v[34:37], v[36:37], v[14:15], 0
	v_cvt_pk_f32_fp8_e32 v[46:47], v21
	v_cvt_pkrtz_f16_f32 v48, v50, v51
	v_cvt_pkrtz_f16_f32 v49, v54, v55
	v_mfma_f32_16x16x16_f16 v[22:25], v[38:39], v[6:7], v[22:25]
	v_cvt_pk_f32_fp8_sdwa v[38:39], v21 src0_sel:WORD_1
	v_cvt_pkrtz_f16_f32 v40, v40, v41
	v_cvt_pkrtz_f16_f32 v41, v18, v19
	v_mfma_f32_16x16x16_f16 v[34:37], v[52:53], v[16:17], v[34:37]
	v_cvt_pkrtz_f16_f32 v46, v46, v47
	v_cvt_pkrtz_f16_f32 v47, v38, v39
	s_waitcnt vmcnt(4)
	v_cvt_pk_f32_fp8_e32 v[38:39], v2
	v_mfma_f32_16x16x16_f16 v[18:21], v[48:49], v[8:9], v[22:25]
	v_cvt_pk_f32_fp8_sdwa v[50:51], v5 src0_sel:WORD_1
	v_mov_b32_e32 v48, s12
	v_mul_f32_e32 v48, s4, v48
	v_mfma_f32_16x16x16_f16 v[22:25], v[40:41], v[6:7], v[34:37]
	v_cvt_pk_f32_fp8_sdwa v[40:41], v2 src0_sel:WORD_1
	v_mfma_f32_16x16x16_f16 v[34:37], v[46:47], v[8:9], v[22:25]
	v_cvt_pk_f32_fp8_sdwa v[46:47], v4 src0_sel:WORD_1
	s_nop 3
	v_cvt_pk_f32_fp8_e32 v[22:23], v3
	v_cvt_pkrtz_f16_f32 v24, v38, v39
	v_cvt_pkrtz_f16_f32 v25, v40, v41
	v_cvt_pk_f32_fp8_sdwa v[2:3], v3 src0_sel:WORD_1
	v_cvt_pkrtz_f16_f32 v38, v22, v23
	v_cvt_pk_f32_fp8_e32 v[40:41], v4
	v_mfma_f32_16x16x16_f16 v[22:25], v[24:25], v[14:15], 0
	v_cvt_pkrtz_f16_f32 v39, v2, v3
	v_cvt_pkrtz_f16_f32 v40, v40, v41
	v_cvt_pkrtz_f16_f32 v41, v46, v47
	v_cvt_pk_f32_fp8_e32 v[46:47], v5
	v_mfma_f32_16x16x16_f16 v[2:5], v[38:39], v[16:17], v[22:25]
	v_pk_mul_f32 v[36:37], v[48:49], v[36:37] op_sel_hi:[0,1]
	s_nop 1
	v_pk_mul_f32 v[22:23], v[48:49], v[20:21] op_sel_hi:[0,1]
	v_cvt_pkrtz_f16_f32 v20, v46, v47
	v_cvt_pkrtz_f16_f32 v21, v50, v51
	v_mfma_f32_16x16x16_f16 v[38:41], v[40:41], v[6:7], v[2:5]
	s_waitcnt vmcnt(3)
	v_cvt_pk_f32_fp8_sdwa v[24:25], v10 src0_sel:WORD_1
	v_cvt_pk_f32_fp8_e32 v[46:47], v12
	v_cvt_pk_f32_fp8_sdwa v[50:51], v12 src0_sel:WORD_1
	v_cvt_pk_f32_fp8_e32 v[4:5], v10
	v_pk_mul_f32 v[2:3], v[48:49], v[18:19] op_sel_hi:[0,1]
	v_mfma_f32_16x16x16_f16 v[18:21], v[20:21], v[8:9], v[38:41]
	v_cvt_pkrtz_f16_f32 v4, v4, v5
	v_cvt_pkrtz_f16_f32 v5, v24, v25
	s_nop 0
	v_cvt_pk_f32_fp8_e32 v[38:39], v11
	v_cvt_pk_f32_fp8_sdwa v[10:11], v11 src0_sel:WORD_1
	v_cvt_pkrtz_f16_f32 v24, v38, v39
	v_cvt_pkrtz_f16_f32 v25, v10, v11
	v_mfma_f32_16x16x16_f16 v[38:41], v[4:5], v[14:15], 0
	v_cvt_pkrtz_f16_f32 v4, v46, v47
	v_cvt_pkrtz_f16_f32 v5, v50, v51
	v_cvt_pk_f32_fp8_e32 v[14:15], v13
	v_cvt_pk_f32_fp8_sdwa v[46:47], v13 src0_sel:WORD_1
	v_mfma_f32_16x16x16_f16 v[10:13], v[24:25], v[16:17], v[38:41]
	v_cvt_pkrtz_f16_f32 v14, v14, v15
	v_cvt_pkrtz_f16_f32 v15, v46, v47
	v_mfma_f32_16x16x16_f16 v[4:7], v[4:5], v[6:7], v[10:13]
	v_pk_mul_f32 v[38:39], v[48:49], v[18:19] op_sel_hi:[0,1]
	v_pk_mul_f32 v[40:41], v[48:49], v[34:35] op_sel_hi:[0,1]
	;; [unrolled: 1-line block ×3, first 2 shown]
	v_mfma_f32_16x16x16_f16 v[4:7], v[14:15], v[8:9], v[4:7]
	s_nop 6
	v_pk_mul_f32 v[24:25], v[48:49], v[4:5] op_sel_hi:[0,1]
	v_and_b32_e32 v4, 0xc0, v0
	v_add_u32_e32 v4, s5, v4
	v_lshl_or_b32 v4, v42, 2, v4
	v_pk_mul_f32 v[18:19], v[48:49], v[6:7] op_sel_hi:[0,1]
	v_or_b32_e32 v7, 1, v4
	v_mov_b32_e32 v5, 0xff7fffff
	v_cmp_gt_i32_e64 s[4:5], s33, v4
	v_cmp_gt_i32_e64 s[34:35], s33, v7
	v_or_b32_e32 v8, 3, v4
	v_cndmask_b32_e64 v6, v5, v2, s[4:5]
	v_cndmask_b32_e64 v7, v5, v3, s[34:35]
	v_max3_f32 v6, v6, s44, v7
	v_or_b32_e32 v7, 2, v4
	v_cmp_gt_i32_e64 s[36:37], s33, v7
	v_cmp_gt_i32_e64 s[38:39], s33, v8
	s_nop 0
	v_cndmask_b32_e64 v7, v5, v22, s[36:37]
	v_cndmask_b32_e64 v8, v5, v23, s[38:39]
	v_max3_f32 v6, v6, v7, v8
	v_or_b32_e32 v7, 16, v4
	v_or_b32_e32 v8, 17, v4
	v_cmp_gt_i32_e64 s[24:25], s33, v7
	v_cmp_gt_i32_e64 s[26:27], s33, v8
	s_nop 0
	v_cndmask_b32_e64 v7, v5, v40, s[24:25]
	v_cndmask_b32_e64 v8, v5, v41, s[26:27]
	v_max3_f32 v6, v6, v7, v8
	v_or_b32_e32 v7, 18, v4
	;; [unrolled: 8-line block ×6, first 2 shown]
	v_or_b32_e32 v4, 51, v4
	v_cmp_gt_i32_e32 vcc, s33, v7
	v_cmp_gt_i32_e64 s[6:7], s33, v4
	s_nop 0
	v_cndmask_b32_e32 v7, v5, v18, vcc
	v_cndmask_b32_e64 v4, v5, v19, s[6:7]
	v_max3_f32 v6, v6, v7, v4
	v_mbcnt_lo_u32_b32 v4, -1, 0
	v_mbcnt_hi_u32_b32 v7, -1, v4
	v_and_b32_e32 v4, 64, v7
	v_add_u32_e32 v8, 64, v4
	v_xor_b32_e32 v4, 32, v7
	v_cmp_lt_i32_e64 s[40:41], v4, v8
	s_nop 1
	v_cndmask_b32_e64 v4, v7, v4, s[40:41]
	v_lshlrev_b32_e32 v46, 2, v4
	ds_bpermute_b32 v9, v46, v6
	s_waitcnt vmcnt(2)
	v_mad_i64_i32 v[4:5], s[40:41], v45, s45, v[30:31]
	global_load_dwordx4 v[14:17], v[32:33], off
	global_load_dwordx4 v[10:13], v[4:5], off
	v_xor_b32_e32 v5, 16, v7
	v_cmp_lt_i32_e64 s[40:41], v5, v8
	s_waitcnt lgkmcnt(0)
	v_max_f32_e32 v4, v9, v9
	v_max_f32_e32 v4, v6, v4
	v_cndmask_b32_e64 v5, v7, v5, s[40:41]
	v_lshlrev_b32_e32 v45, 2, v5
	ds_bpermute_b32 v5, v45, v4
	s_waitcnt vmcnt(3)
	v_mad_i64_i32 v[20:21], s[40:41], v27, s45, v[30:31]
	s_waitcnt vmcnt(2)
	v_mad_i64_i32 v[30:31], s[40:41], v44, s45, v[30:31]
	s_waitcnt lgkmcnt(0)
	v_max_f32_e32 v5, v5, v5
	v_max_f32_e32 v27, v4, v5
	v_sub_f32_e32 v2, v2, v27
	v_mul_f32_e32 v2, 0x3fb8aa3b, v2
	v_exp_f32_e32 v32, v2
	v_sub_f32_e32 v2, v3, v27
	v_mul_f32_e32 v2, 0x3fb8aa3b, v2
	v_exp_f32_e32 v33, v2
	global_load_dwordx4 v[6:9], v[20:21], off
	global_load_dwordx4 v[2:5], v[30:31], off
	v_sub_f32_e32 v22, v22, v27
	v_mul_f32_e32 v22, 0x3fb8aa3b, v22
	v_sub_f32_e32 v23, v23, v27
	v_exp_f32_e32 v22, v22
	v_mul_f32_e32 v23, 0x3fb8aa3b, v23
	v_exp_f32_e32 v23, v23
	v_cndmask_b32_e64 v20, 0, v32, s[4:5]
	v_add_f32_e32 v30, 0, v20
	v_cndmask_b32_e64 v21, 0, v33, s[34:35]
	v_add_f32_e32 v30, v30, v21
	v_cndmask_b32_e64 v32, 0, v22, s[36:37]
	v_add_f32_e32 v22, v30, v32
	v_cndmask_b32_e64 v33, 0, v23, s[38:39]
	v_sub_f32_e32 v23, v40, v27
	v_sub_f32_e32 v30, v41, v27
	v_mul_f32_e32 v23, 0x3fb8aa3b, v23
	v_mul_f32_e32 v30, 0x3fb8aa3b, v30
	v_exp_f32_e32 v23, v23
	v_exp_f32_e32 v30, v30
	v_add_f32_e32 v31, v22, v33
	v_sub_f32_e32 v34, v34, v27
	v_cndmask_b32_e64 v22, 0, v23, s[24:25]
	v_cndmask_b32_e64 v23, 0, v30, s[26:27]
	v_sub_f32_e32 v30, v36, v27
	v_mul_f32_e32 v30, 0x3fb8aa3b, v30
	v_exp_f32_e32 v30, v30
	v_sub_f32_e32 v36, v37, v27
	v_add_f32_e32 v31, v31, v22
	v_mul_f32_e32 v36, 0x3fb8aa3b, v36
	v_exp_f32_e32 v37, v36
	v_add_f32_e32 v31, v31, v23
	v_cndmask_b32_e64 v36, 0, v30, s[20:21]
	v_add_f32_e32 v30, v31, v36
	v_sub_f32_e32 v31, v38, v27
	v_mul_f32_e32 v31, 0x3fb8aa3b, v31
	v_sub_f32_e32 v38, v39, v27
	v_exp_f32_e32 v31, v31
	v_mul_f32_e32 v38, 0x3fb8aa3b, v38
	v_exp_f32_e32 v38, v38
	v_mul_f32_e32 v34, 0x3fb8aa3b, v34
	v_sub_f32_e32 v35, v35, v27
	v_exp_f32_e32 v34, v34
	v_mul_f32_e32 v35, 0x3fb8aa3b, v35
	v_sub_f32_e32 v24, v24, v27
	v_cndmask_b32_e64 v37, 0, v37, s[22:23]
	v_exp_f32_e32 v35, v35
	v_mul_f32_e32 v24, 0x3fb8aa3b, v24
	v_sub_f32_e32 v25, v25, v27
	v_add_f32_e32 v39, v30, v37
	v_cndmask_b32_e64 v30, 0, v31, s[16:17]
	v_exp_f32_e32 v24, v24
	v_mul_f32_e32 v25, 0x3fb8aa3b, v25
	v_sub_f32_e32 v18, v18, v27
	v_add_f32_e32 v39, v39, v30
	;; [unrolled: 5-line block ×3, first 2 shown]
	v_cndmask_b32_e64 v34, 0, v34, s[12:13]
	v_exp_f32_e32 v18, v18
	v_mul_f32_e32 v19, 0x3fb8aa3b, v19
	v_add_f32_e32 v38, v38, v34
	v_cndmask_b32_e64 v35, 0, v35, s[14:15]
	v_exp_f32_e32 v19, v19
	v_add_f32_e32 v38, v38, v35
	v_cndmask_b32_e64 v24, 0, v24, s[8:9]
	v_add_f32_e32 v38, v38, v24
	v_cndmask_b32_e64 v25, 0, v25, s[10:11]
	v_add_f32_e32 v38, v38, v25
	v_cndmask_b32_e32 v18, 0, v18, vcc
	v_add_f32_e32 v38, v38, v18
	v_cndmask_b32_e64 v19, 0, v19, s[6:7]
	v_add_f32_e32 v38, v38, v19
	ds_bpermute_b32 v39, v46, v38
	v_cmp_gt_u32_e64 s[6:7], 16, v43
	s_waitcnt lgkmcnt(0)
	s_barrier
	v_add_f32_e32 v39, v38, v39
	ds_bpermute_b32 v40, v45, v39
	v_lshlrev_b32_e32 v38, 2, v28
	s_and_saveexec_b64 s[4:5], s[6:7]
	s_cbranch_execz .LBB832_13
; %bb.12:
	s_waitcnt lgkmcnt(0)
	v_add_f32_e32 v39, v39, v40
	v_lshl_or_b32 v40, v29, 6, v38
	ds_write2st64_b32 v40, v27, v39 offset1:1
.LBB832_13:
	s_or_b64 exec, exec, s[4:5]
	s_load_dword s8, s[0:1], 0x94
	s_waitcnt lgkmcnt(0)
	s_barrier
	ds_read2_b32 v[40:41], v38 offset1:16
	ds_read2_b32 v[44:45], v38 offset0:32 offset1:48
	ds_read2_b32 v[46:47], v38 offset0:64 offset1:80
	s_mul_i32 s9, s29, 5
	s_waitcnt lgkmcnt(2)
	v_max3_f32 v27, v40, s44, v41
	s_waitcnt lgkmcnt(1)
	v_max3_f32 v27, v27, v44, v45
	v_sub_f32_e32 v39, v40, v27
	v_sub_f32_e32 v40, v41, v27
	v_mul_f32_e32 v40, 0x3fb8aa3b, v40
	v_mul_f32_e32 v39, 0x3fb8aa3b, v39
	v_exp_f32_e32 v43, v40
	v_sub_f32_e32 v40, v44, v27
	v_exp_f32_e32 v39, v39
	v_mul_f32_e32 v40, 0x3fb8aa3b, v40
	v_exp_f32_e32 v44, v40
	ds_read2_b32 v[40:41], v38 offset0:96 offset1:112
	v_sub_f32_e32 v38, v45, v27
	v_mul_f32_e32 v38, 0x3fb8aa3b, v38
	v_exp_f32_e32 v45, v38
	s_waitcnt lgkmcnt(1)
	v_fma_f32 v38, v39, v46, 0
	v_fmac_f32_e32 v38, v43, v47
	s_waitcnt lgkmcnt(0)
	v_fmac_f32_e32 v38, v44, v40
	v_fmac_f32_e32 v38, v45, v41
	v_add_f32_e32 v40, 0x358637bd, v38
	v_div_scale_f32 v41, s[4:5], v40, v40, 1.0
	v_rcp_f32_e32 v46, v41
	s_barrier
	v_fma_f32 v47, -v41, v46, 1.0
	v_fmac_f32_e32 v46, v47, v46
	v_div_scale_f32 v47, vcc, 1.0, v40, 1.0
	v_mul_f32_e32 v48, v47, v46
	v_fma_f32 v49, -v41, v48, v47
	v_fmac_f32_e32 v48, v49, v46
	v_fma_f32 v41, -v41, v48, v47
	v_div_fmas_f32 v41, v41, v46, v48
	v_cmp_eq_u32_e32 vcc, 1, v29
	v_div_fixup_f32 v40, v41, v40, 1.0
	s_nop 0
	v_cndmask_b32_e32 v39, v39, v43, vcc
	v_cmp_eq_u32_e32 vcc, 2, v29
	s_nop 1
	v_cndmask_b32_e32 v39, v39, v44, vcc
	v_cmp_eq_u32_e32 vcc, 3, v29
	v_lshlrev_b32_e32 v29, 11, v29
	s_nop 0
	v_cndmask_b32_e32 v39, v39, v45, vcc
	v_mul_f32_e32 v40, v39, v40
	v_pk_mul_f32 v[20:21], v[40:41], v[20:21] op_sel_hi:[0,1]
	v_pk_mul_f32 v[32:33], v[40:41], v[32:33] op_sel_hi:[0,1]
	v_cvt_f16_f32_e32 v20, v20
	v_cvt_f16_f32_e32 v21, v21
	v_pk_mul_f32 v[36:37], v[40:41], v[36:37] op_sel_hi:[0,1]
	v_pk_mul_f32 v[22:23], v[40:41], v[22:23] op_sel_hi:[0,1]
	v_cvt_f16_f32_e32 v39, v32
	v_cvt_f16_f32_e32 v33, v33
	;; [unrolled: 1-line block ×6, first 2 shown]
	v_pack_b32_f16 v32, v20, v21
	v_lshlrev_b32_e32 v20, 3, v42
	v_lshlrev_b32_e32 v21, 5, v28
	v_pack_b32_f16 v33, v39, v33
	v_or3_b32 v20, v29, v21, v20
	v_pack_b32_f16 v22, v22, v23
	v_pack_b32_f16 v23, v36, v37
	ds_write2st64_b64 v20, v[32:33], v[22:23] offset1:1
	v_pk_mul_f32 v[22:23], v[40:41], v[34:35] op_sel_hi:[0,1]
	v_pk_mul_f32 v[30:31], v[40:41], v[30:31] op_sel_hi:[0,1]
	v_cvt_f16_f32_e32 v29, v30
	v_cvt_f16_f32_e32 v30, v31
	;; [unrolled: 1-line block ×4, first 2 shown]
	v_pk_mul_f32 v[18:19], v[40:41], v[18:19] op_sel_hi:[0,1]
	v_pk_mul_f32 v[22:23], v[40:41], v[24:25] op_sel_hi:[0,1]
	v_cvt_f16_f32_e32 v22, v22
	v_cvt_f16_f32_e32 v23, v23
	;; [unrolled: 1-line block ×4, first 2 shown]
	v_pack_b32_f16 v18, v29, v30
	v_pack_b32_f16 v19, v31, v32
	;; [unrolled: 1-line block ×4, first 2 shown]
	v_cmp_gt_u32_e32 vcc, 5, v0
	ds_write2st64_b64 v20, v[18:19], v[22:23] offset0:2 offset1:3
	s_and_saveexec_b64 s[4:5], vcc
	s_cbranch_execz .LBB832_15
; %bb.14:
	s_mov_b32 s49, 0
	v_mov_b32_e32 v29, 0
	v_lshl_add_u64 v[18:19], s[48:49], 0, v[28:29]
	v_mov_b32_e32 v22, s9
	v_mad_u64_u32 v[18:19], s[10:11], s2, v22, v[18:19]
	s_mul_i32 s3, s3, s9
	v_mov_b32_e32 v28, s28
	s_load_dwordx4 s[12:15], s[0:1], 0x58
	v_add_u32_e32 v23, s3, v19
	v_mad_u64_u32 v[18:19], s[10:11], v18, s8, v[28:29]
	v_mov_b32_e32 v22, v19
	v_mad_u64_u32 v[22:23], s[10:11], v23, s8, v[22:23]
	v_mov_b32_e32 v19, v22
	v_lshlrev_b64 v[18:19], 2, v[18:19]
	s_waitcnt lgkmcnt(0)
	v_lshl_add_u64 v[22:23], s[14:15], 0, v[18:19]
	v_lshl_add_u64 v[18:19], s[12:13], 0, v[18:19]
	global_store_dword v[22:23], v27, off
	global_store_dword v[18:19], v38, off
.LBB832_15:
	s_or_b64 exec, exec, s[4:5]
	s_waitcnt vmcnt(3)
	v_cvt_pk_f32_fp8_e32 v[18:19], v14
	v_cvt_pk_f32_fp8_sdwa v[22:23], v14 src0_sel:WORD_1
	v_cvt_pk_f32_fp8_e32 v[24:25], v15
	v_lshl_or_b32 v14, v42, 9, v21
	s_waitcnt lgkmcnt(0)
	s_barrier
	v_cvt_pkrtz_f16_f32 v18, v18, v19
	v_cvt_pkrtz_f16_f32 v19, v22, v23
	v_cvt_pk_f32_fp8_sdwa v[28:29], v15 src0_sel:WORD_1
	v_cvt_pkrtz_f16_f32 v36, v24, v25
	ds_read_b128 v[22:25], v14
	v_cvt_pk_f32_fp8_e32 v[38:39], v16
	v_cvt_pkrtz_f16_f32 v37, v28, v29
	ds_read_b128 v[28:31], v14 offset:16
	v_cvt_pk_f32_fp8_sdwa v[40:41], v16 src0_sel:WORD_1
	s_waitcnt lgkmcnt(1)
	v_mfma_f32_16x16x16_f16 v[32:35], v[18:19], v[22:23], 0
	v_cvt_pkrtz_f16_f32 v18, v38, v39
	v_cvt_pk_f32_fp8_e32 v[38:39], v17
	v_cvt_pkrtz_f16_f32 v19, v40, v41
	v_mfma_f32_16x16x16_f16 v[22:25], v[36:37], v[24:25], v[32:35]
	s_waitcnt vmcnt(2)
	v_cvt_pk_f32_fp8_sdwa v[36:37], v12 src0_sel:WORD_1
	s_load_dword s4, s[42:43], 0x0
	v_cmp_gt_u32_e32 vcc, 64, v0
	v_cvt_pk_f32_fp8_sdwa v[32:33], v17 src0_sel:WORD_1
	v_cvt_pkrtz_f16_f32 v34, v38, v39
	s_waitcnt lgkmcnt(0)
	v_mfma_f32_16x16x16_f16 v[16:19], v[18:19], v[28:29], v[22:25]
	v_cvt_pk_f32_fp8_e32 v[28:29], v11
	v_cvt_pkrtz_f16_f32 v35, v32, v33
	s_mov_b32 s3, 0
	v_cvt_pk_f32_fp8_e32 v[22:23], v10
	v_cvt_pk_f32_fp8_sdwa v[24:25], v10 src0_sel:WORD_1
	v_mfma_f32_16x16x16_f16 v[16:19], v[34:35], v[30:31], v[16:19]
	v_cvt_pkrtz_f16_f32 v10, v22, v23
	v_cvt_pk_f32_fp8_sdwa v[30:31], v11 src0_sel:WORD_1
	v_cvt_pkrtz_f16_f32 v11, v24, v25
	ds_read_b128 v[22:25], v14 offset:2048
	v_cvt_pkrtz_f16_f32 v32, v28, v29
	v_cvt_pkrtz_f16_f32 v33, v30, v31
	ds_read_b128 v[28:31], v14 offset:2064
	v_cvt_pk_f32_fp8_e32 v[34:35], v12
	s_waitcnt lgkmcnt(1)
	v_mfma_f32_16x16x16_f16 v[16:19], v[10:11], v[22:23], v[16:19]
	v_cvt_pkrtz_f16_f32 v11, v36, v37
	v_cvt_pk_f32_fp8_e32 v[22:23], v13
	v_cvt_pkrtz_f16_f32 v10, v34, v35
	v_mfma_f32_16x16x16_f16 v[16:19], v[32:33], v[24:25], v[16:19]
	v_cvt_pk_f32_fp8_sdwa v[24:25], v13 src0_sel:WORD_1
	v_cvt_pkrtz_f16_f32 v22, v22, v23
	s_waitcnt vmcnt(1)
	v_cvt_pk_f32_fp8_sdwa v[32:33], v8 src0_sel:WORD_1
	s_waitcnt lgkmcnt(0)
	v_mfma_f32_16x16x16_f16 v[10:13], v[10:11], v[28:29], v[16:19]
	v_cvt_pkrtz_f16_f32 v23, v24, v25
	v_cvt_pk_f32_fp8_sdwa v[24:25], v7 src0_sel:WORD_1
	v_mov_b32_e32 v27, 0
	v_cvt_pk_f32_fp8_e32 v[16:17], v6
	v_cvt_pk_f32_fp8_sdwa v[18:19], v6 src0_sel:WORD_1
	v_mfma_f32_16x16x16_f16 v[10:13], v[22:23], v[30:31], v[10:13]
	v_cvt_pk_f32_fp8_e32 v[22:23], v7
	v_cvt_pkrtz_f16_f32 v6, v16, v17
	v_cvt_pkrtz_f16_f32 v7, v18, v19
	ds_read_b128 v[16:19], v14 offset:4096
	v_cvt_pkrtz_f16_f32 v28, v22, v23
	v_cvt_pkrtz_f16_f32 v29, v24, v25
	ds_read_b128 v[22:25], v14 offset:4112
	v_cvt_pk_f32_fp8_e32 v[30:31], v8
	s_waitcnt lgkmcnt(1)
	v_mfma_f32_16x16x16_f16 v[10:13], v[6:7], v[16:17], v[10:13]
	v_cvt_pkrtz_f16_f32 v7, v32, v33
	v_cvt_pk_f32_fp8_e32 v[16:17], v9
	v_cvt_pkrtz_f16_f32 v6, v30, v31
	v_mfma_f32_16x16x16_f16 v[10:13], v[28:29], v[18:19], v[10:13]
	v_cvt_pk_f32_fp8_sdwa v[18:19], v9 src0_sel:WORD_1
	v_cvt_pkrtz_f16_f32 v16, v16, v17
	v_cvt_pkrtz_f16_f32 v17, v18, v19
	s_waitcnt lgkmcnt(0)
	v_mfma_f32_16x16x16_f16 v[6:9], v[6:7], v[22:23], v[10:13]
	s_waitcnt vmcnt(0)
	v_cvt_pk_f32_fp8_sdwa v[18:19], v3 src0_sel:WORD_1
	s_nop 0
	v_cvt_pkrtz_f16_f32 v23, v18, v19
	v_cvt_pk_f32_fp8_e32 v[10:11], v2
	v_cvt_pk_f32_fp8_sdwa v[12:13], v2 src0_sel:WORD_1
	v_mfma_f32_16x16x16_f16 v[6:9], v[16:17], v[24:25], v[6:9]
	v_cvt_pk_f32_fp8_e32 v[16:17], v3
	v_cvt_pkrtz_f16_f32 v2, v10, v11
	v_cvt_pkrtz_f16_f32 v3, v12, v13
	ds_read_b128 v[10:13], v14 offset:6144
	v_cvt_pkrtz_f16_f32 v22, v16, v17
	v_cvt_pk_f32_fp8_e32 v[18:19], v4
	v_cvt_pk_f32_fp8_sdwa v[24:25], v4 src0_sel:WORD_1
	s_waitcnt lgkmcnt(0)
	v_mfma_f32_16x16x16_f16 v[6:9], v[2:3], v[10:11], v[6:9]
	ds_read_b128 v[14:17], v14 offset:6160
	v_cvt_pkrtz_f16_f32 v2, v18, v19
	v_cvt_pkrtz_f16_f32 v3, v24, v25
	v_cvt_pk_f32_fp8_e32 v[10:11], v5
	v_mfma_f32_16x16x16_f16 v[6:9], v[22:23], v[12:13], v[6:9]
	v_cvt_pk_f32_fp8_sdwa v[12:13], v5 src0_sel:WORD_1
	s_waitcnt lgkmcnt(0)
	v_cvt_pkrtz_f16_f32 v10, v10, v11
	v_mfma_f32_16x16x16_f16 v[2:5], v[2:3], v[14:15], v[6:9]
	v_cvt_pkrtz_f16_f32 v11, v12, v13
	s_barrier
	s_nop 0
	v_mfma_f32_16x16x16_f16 v[2:5], v[10:11], v[16:17], v[2:5]
	s_nop 6
	v_pk_mul_f32 v[4:5], v[4:5], s[4:5] op_sel_hi:[1,0]
	v_pk_mul_f32 v[2:3], v[2:3], s[4:5] op_sel_hi:[1,0]
	v_cvt_f16_f32_e32 v4, v4
	v_cvt_f16_f32_e32 v2, v2
	;; [unrolled: 1-line block ×4, first 2 shown]
	s_and_b64 s[4:5], vcc, s[30:31]
	v_pack_b32_f16 v2, v2, v3
	v_pack_b32_f16 v3, v4, v5
	ds_write_b64 v20, v[2:3]
	s_waitcnt lgkmcnt(0)
	s_barrier
	s_and_saveexec_b64 s[10:11], s[4:5]
	s_cbranch_execz .LBB832_18
; %bb.16:
	s_load_dwordx2 s[4:5], s[0:1], 0x68
	s_lshl_b32 s0, s8, 6
	s_mul_i32 s1, s9, s2
	s_mul_hi_u32 s9, s1, s0
	s_mul_i32 s8, s1, s0
	v_lshlrev_b32_e32 v0, 10, v0
	s_lshl_b64 s[8:9], s[8:9], 1
	v_and_b32_e32 v0, 0x1800, v0
	v_lshlrev_b32_e32 v2, 5, v42
	v_and_b32_e32 v1, 16, v1
	s_waitcnt lgkmcnt(0)
	s_add_u32 s1, s4, s8
	v_or3_b32 v2, v0, v2, v1
	s_addc_u32 s4, s5, s9
	s_lshl_b32 s2, s28, 6
	s_lshl_b64 s[2:3], s[2:3], 1
	ds_read_b128 v[4:7], v2
	s_add_u32 s2, s1, s2
	s_addc_u32 s3, s4, s3
	v_add_u32_e32 v3, s48, v42
	v_lshl_add_u64 v[0:1], s[2:3], 0, v[26:27]
	v_mad_u64_u32 v[8:9], s[2:3], v3, s0, 0
	v_lshl_add_u64 v[8:9], v[8:9], 1, v[0:1]
	s_waitcnt lgkmcnt(0)
	global_store_dwordx4 v[8:9], v[4:7], off
	s_and_b64 exec, exec, s[6:7]
	s_cbranch_execz .LBB832_18
; %bb.17:
	ds_read_b128 v[2:5], v2 offset:128
	v_add3_u32 v6, s48, v42, 4
	v_mad_u64_u32 v[6:7], s[0:1], v6, s0, 0
	v_lshl_add_u64 v[0:1], v[6:7], 1, v[0:1]
	s_waitcnt lgkmcnt(0)
	global_store_dwordx4 v[0:1], v[2:5], off
.LBB832_18:
	s_endpgm
	.section	.rodata,"a",@progbits
	.p2align	6, 0x0
	.amdhsa_kernel _Z39paged_attention_ll4mi_QKV_mfma16_kernelIDF16_hLN4vllm18Fp8KVCacheDataTypeE1EDF16_Li16ELi64ELi256ELb0ELi5EEvPKT_PKT0_S7_ifPKiS9_S9_iPKfiiiPfSC_PS2_PT2_iSB_SB_
		.amdhsa_group_segment_fixed_size 8192
		.amdhsa_private_segment_fixed_size 0
		.amdhsa_kernarg_size 400
		.amdhsa_user_sgpr_count 2
		.amdhsa_user_sgpr_dispatch_ptr 0
		.amdhsa_user_sgpr_queue_ptr 0
		.amdhsa_user_sgpr_kernarg_segment_ptr 1
		.amdhsa_user_sgpr_dispatch_id 0
		.amdhsa_user_sgpr_kernarg_preload_length 0
		.amdhsa_user_sgpr_kernarg_preload_offset 0
		.amdhsa_user_sgpr_private_segment_size 0
		.amdhsa_uses_dynamic_stack 0
		.amdhsa_enable_private_segment 0
		.amdhsa_system_sgpr_workgroup_id_x 1
		.amdhsa_system_sgpr_workgroup_id_y 1
		.amdhsa_system_sgpr_workgroup_id_z 1
		.amdhsa_system_sgpr_workgroup_info 0
		.amdhsa_system_vgpr_workitem_id 0
		.amdhsa_next_free_vgpr 58
		.amdhsa_next_free_sgpr 50
		.amdhsa_accum_offset 60
		.amdhsa_reserve_vcc 1
		.amdhsa_float_round_mode_32 0
		.amdhsa_float_round_mode_16_64 0
		.amdhsa_float_denorm_mode_32 3
		.amdhsa_float_denorm_mode_16_64 3
		.amdhsa_dx10_clamp 1
		.amdhsa_ieee_mode 1
		.amdhsa_fp16_overflow 0
		.amdhsa_tg_split 0
		.amdhsa_exception_fp_ieee_invalid_op 0
		.amdhsa_exception_fp_denorm_src 0
		.amdhsa_exception_fp_ieee_div_zero 0
		.amdhsa_exception_fp_ieee_overflow 0
		.amdhsa_exception_fp_ieee_underflow 0
		.amdhsa_exception_fp_ieee_inexact 0
		.amdhsa_exception_int_div_zero 0
	.end_amdhsa_kernel
	.section	.text._Z39paged_attention_ll4mi_QKV_mfma16_kernelIDF16_hLN4vllm18Fp8KVCacheDataTypeE1EDF16_Li16ELi64ELi256ELb0ELi5EEvPKT_PKT0_S7_ifPKiS9_S9_iPKfiiiPfSC_PS2_PT2_iSB_SB_,"axG",@progbits,_Z39paged_attention_ll4mi_QKV_mfma16_kernelIDF16_hLN4vllm18Fp8KVCacheDataTypeE1EDF16_Li16ELi64ELi256ELb0ELi5EEvPKT_PKT0_S7_ifPKiS9_S9_iPKfiiiPfSC_PS2_PT2_iSB_SB_,comdat
.Lfunc_end832:
	.size	_Z39paged_attention_ll4mi_QKV_mfma16_kernelIDF16_hLN4vllm18Fp8KVCacheDataTypeE1EDF16_Li16ELi64ELi256ELb0ELi5EEvPKT_PKT0_S7_ifPKiS9_S9_iPKfiiiPfSC_PS2_PT2_iSB_SB_, .Lfunc_end832-_Z39paged_attention_ll4mi_QKV_mfma16_kernelIDF16_hLN4vllm18Fp8KVCacheDataTypeE1EDF16_Li16ELi64ELi256ELb0ELi5EEvPKT_PKT0_S7_ifPKiS9_S9_iPKfiiiPfSC_PS2_PT2_iSB_SB_
                                        ; -- End function
	.section	.AMDGPU.csdata,"",@progbits
; Kernel info:
; codeLenInByte = 4584
; NumSgprs: 56
; NumVgprs: 58
; NumAgprs: 0
; TotalNumVgprs: 58
; ScratchSize: 0
; MemoryBound: 0
; FloatMode: 240
; IeeeMode: 1
; LDSByteSize: 8192 bytes/workgroup (compile time only)
; SGPRBlocks: 6
; VGPRBlocks: 7
; NumSGPRsForWavesPerEU: 56
; NumVGPRsForWavesPerEU: 58
; AccumOffset: 60
; Occupancy: 8
; WaveLimiterHint : 1
; COMPUTE_PGM_RSRC2:SCRATCH_EN: 0
; COMPUTE_PGM_RSRC2:USER_SGPR: 2
; COMPUTE_PGM_RSRC2:TRAP_HANDLER: 0
; COMPUTE_PGM_RSRC2:TGID_X_EN: 1
; COMPUTE_PGM_RSRC2:TGID_Y_EN: 1
; COMPUTE_PGM_RSRC2:TGID_Z_EN: 1
; COMPUTE_PGM_RSRC2:TIDIG_COMP_CNT: 0
; COMPUTE_PGM_RSRC3_GFX90A:ACCUM_OFFSET: 14
; COMPUTE_PGM_RSRC3_GFX90A:TG_SPLIT: 0
	.section	.text._Z39paged_attention_ll4mi_QKV_mfma16_kernelIDF16_hLN4vllm18Fp8KVCacheDataTypeE1EDF16_Li16ELi64ELi256ELb0ELi6EEvPKT_PKT0_S7_ifPKiS9_S9_iPKfiiiPfSC_PS2_PT2_iSB_SB_,"axG",@progbits,_Z39paged_attention_ll4mi_QKV_mfma16_kernelIDF16_hLN4vllm18Fp8KVCacheDataTypeE1EDF16_Li16ELi64ELi256ELb0ELi6EEvPKT_PKT0_S7_ifPKiS9_S9_iPKfiiiPfSC_PS2_PT2_iSB_SB_,comdat
	.protected	_Z39paged_attention_ll4mi_QKV_mfma16_kernelIDF16_hLN4vllm18Fp8KVCacheDataTypeE1EDF16_Li16ELi64ELi256ELb0ELi6EEvPKT_PKT0_S7_ifPKiS9_S9_iPKfiiiPfSC_PS2_PT2_iSB_SB_ ; -- Begin function _Z39paged_attention_ll4mi_QKV_mfma16_kernelIDF16_hLN4vllm18Fp8KVCacheDataTypeE1EDF16_Li16ELi64ELi256ELb0ELi6EEvPKT_PKT0_S7_ifPKiS9_S9_iPKfiiiPfSC_PS2_PT2_iSB_SB_
	.globl	_Z39paged_attention_ll4mi_QKV_mfma16_kernelIDF16_hLN4vllm18Fp8KVCacheDataTypeE1EDF16_Li16ELi64ELi256ELb0ELi6EEvPKT_PKT0_S7_ifPKiS9_S9_iPKfiiiPfSC_PS2_PT2_iSB_SB_
	.p2align	8
	.type	_Z39paged_attention_ll4mi_QKV_mfma16_kernelIDF16_hLN4vllm18Fp8KVCacheDataTypeE1EDF16_Li16ELi64ELi256ELb0ELi6EEvPKT_PKT0_S7_ifPKiS9_S9_iPKfiiiPfSC_PS2_PT2_iSB_SB_,@function
_Z39paged_attention_ll4mi_QKV_mfma16_kernelIDF16_hLN4vllm18Fp8KVCacheDataTypeE1EDF16_Li16ELi64ELi256ELb0ELi6EEvPKT_PKT0_S7_ifPKiS9_S9_iPKfiiiPfSC_PS2_PT2_iSB_SB_: ; @_Z39paged_attention_ll4mi_QKV_mfma16_kernelIDF16_hLN4vllm18Fp8KVCacheDataTypeE1EDF16_Li16ELi64ELi256ELb0ELi6EEvPKT_PKT0_S7_ifPKiS9_S9_iPKfiiiPfSC_PS2_PT2_iSB_SB_
; %bb.0:
	s_load_dwordx2 s[12:13], s[0:1], 0x30
	s_mov_b32 s28, s3
	s_mov_b64 s[6:7], 0
	s_waitcnt lgkmcnt(0)
	s_cmp_lg_u64 s[12:13], 0
	s_cselect_b64 s[14:15], -1, 0
	s_and_b64 vcc, exec, s[14:15]
	s_cbranch_vccz .LBB833_7
; %bb.1:
	s_add_i32 s8, s2, 1
	s_mov_b32 s9, 0
	s_lshl_b64 s[10:11], s[8:9], 2
	s_add_u32 s10, s12, s10
	s_mov_b32 s3, s9
	s_addc_u32 s11, s13, s11
	s_lshl_b64 s[8:9], s[2:3], 2
	s_add_u32 s8, s12, s8
	s_addc_u32 s9, s13, s9
	s_load_dword s5, s[10:11], 0x0
	s_load_dword s16, s[8:9], 0x0
	s_waitcnt lgkmcnt(0)
	s_sub_i32 s5, s5, s16
	s_cmp_eq_u32 s5, 1
	s_cselect_b64 s[8:9], -1, 0
	s_andn2_b64 vcc, exec, s[6:7]
	s_cbranch_vccnz .LBB833_3
.LBB833_2:
	s_mov_b32 s3, 0
	s_mov_b64 s[8:9], -1
.LBB833_3:
	s_andn2_b64 vcc, exec, s[8:9]
	s_cbranch_vccnz .LBB833_18
; %bb.4:
	s_load_dwordx2 s[6:7], s[0:1], 0x28
	s_lshl_b64 s[16:17], s[2:3], 2
	s_waitcnt lgkmcnt(0)
	s_add_u32 s6, s6, s16
	s_addc_u32 s7, s7, s17
	s_load_dword s33, s[6:7], 0x0
	s_lshl_b32 s5, s28, 8
	s_waitcnt lgkmcnt(0)
	s_cmp_ge_i32 s5, s33
	s_cbranch_scc1 .LBB833_18
; %bb.5:
	s_load_dwordx2 s[6:7], s[0:1], 0x20
	s_load_dword s8, s[0:1], 0x38
	s_add_i32 s9, s33, 15
	s_ashr_i32 s10, s9, 31
	v_and_b32_e32 v1, 0xcf, v0
	s_lshr_b32 s10, s10, 28
	v_add_u32_e32 v1, s5, v1
	s_add_i32 s9, s9, s10
	v_ashrrev_i32_e32 v2, 31, v1
	s_ashr_i32 s18, s9, 4
	v_lshrrev_b32_e32 v4, 28, v2
	s_add_i32 s18, s18, -1
	s_waitcnt lgkmcnt(0)
	s_mul_i32 s8, s2, s8
	s_mov_b32 s9, 0
	v_add_u32_e32 v2, v1, v4
	s_lshl_b64 s[8:9], s[8:9], 2
	v_ashrrev_i32_e32 v2, 4, v2
	v_mov_b32_e32 v5, s18
	v_cmp_gt_i32_e32 vcc, s33, v1
	s_add_u32 s6, s6, s8
	s_addc_u32 s7, s7, s9
	v_cndmask_b32_e32 v2, v5, v2, vcc
	v_ashrrev_i32_e32 v3, 31, v2
	v_lshl_add_u64 v[6:7], v[2:3], 2, s[6:7]
	v_or_b32_e32 v2, 16, v1
	v_add_u32_e32 v3, v2, v4
	v_ashrrev_i32_e32 v3, 4, v3
	v_cmp_gt_i32_e32 vcc, s33, v2
	s_load_dwordx4 s[8:11], s[0:1], 0x8
	s_nop 0
	v_cndmask_b32_e32 v2, v5, v3, vcc
	v_ashrrev_i32_e32 v3, 31, v2
	v_lshl_add_u64 v[10:11], v[2:3], 2, s[6:7]
	v_or_b32_e32 v2, 32, v1
	v_add_u32_e32 v3, v2, v4
	v_ashrrev_i32_e32 v3, 4, v3
	v_cmp_gt_i32_e32 vcc, s33, v2
	v_or_b32_e32 v1, 48, v1
	s_nop 0
	v_cndmask_b32_e32 v2, v5, v3, vcc
	v_ashrrev_i32_e32 v3, 31, v2
	v_lshl_add_u64 v[12:13], v[2:3], 2, s[6:7]
	v_add_u32_e32 v2, v1, v4
	v_ashrrev_i32_e32 v2, 4, v2
	v_cmp_gt_i32_e32 vcc, s33, v1
	s_nop 1
	v_cndmask_b32_e32 v2, v5, v2, vcc
	v_ashrrev_i32_e32 v3, 31, v2
	v_lshl_add_u64 v[14:15], v[2:3], 2, s[6:7]
	global_load_dword v4, v[6:7], off
	global_load_dword v3, v[10:11], off
	global_load_dword v2, v[12:13], off
	global_load_dword v8, v[14:15], off
	s_andn2_b64 vcc, exec, s[14:15]
	s_cbranch_vccnz .LBB833_8
; %bb.6:
	s_add_u32 s12, s12, s16
	s_addc_u32 s13, s13, s17
	s_load_dword s14, s[12:13], 0x0
	s_branch .LBB833_9
.LBB833_7:
	s_mov_b64 s[8:9], 0
	s_branch .LBB833_2
.LBB833_8:
	s_mov_b32 s14, s2
.LBB833_9:
	s_load_dwordx4 s[44:47], s[0:1], 0x48
	v_lshrrev_b32_e32 v29, 6, v0
	v_bfe_u32 v42, v0, 4, 2
	v_lshl_or_b32 v5, v29, 2, v42
	v_and_b32_e32 v28, 15, v0
	v_lshlrev_b32_e32 v1, 3, v28
	v_cmp_gt_u32_e32 vcc, 6, v5
	v_cmp_gt_u32_e64 s[30:31], 8, v28
	v_and_b32_e32 v43, 63, v0
	s_mul_i32 s48, s4, 6
	s_and_b64 s[16:17], s[30:31], vcc
	v_lshlrev_b32_e32 v26, 1, v1
	v_lshlrev_b32_e32 v1, 4, v0
	s_and_saveexec_b64 s[12:13], s[16:17]
	s_cbranch_execz .LBB833_11
; %bb.10:
	s_load_dwordx2 s[16:17], s[0:1], 0x0
	s_waitcnt lgkmcnt(0)
	s_ashr_i32 s15, s44, 31
	s_mul_hi_u32 s19, s14, s44
	s_mul_i32 s15, s14, s15
	s_add_i32 s15, s19, s15
	s_mul_i32 s14, s14, s44
	s_lshl_b64 s[14:15], s[14:15], 1
	s_add_u32 s14, s16, s14
	v_add_lshl_u32 v6, v5, s48, 6
	s_addc_u32 s15, s17, s15
	v_ashrrev_i32_e32 v7, 31, v6
	v_lshl_add_u64 v[6:7], v[6:7], 1, s[14:15]
	v_mov_b32_e32 v27, 0
	v_lshl_add_u64 v[6:7], v[6:7], 0, v[26:27]
	global_load_dwordx4 v[10:13], v[6:7], off
	v_lshlrev_b32_e32 v7, 8, v28
	v_lshlrev_b32_e32 v5, 5, v5
	v_and_b32_e32 v6, 16, v1
	v_and_b32_e32 v7, 0xe00, v7
	v_or3_b32 v5, v7, v5, v6
	s_waitcnt vmcnt(0)
	ds_write_b128 v5, v[10:13]
.LBB833_11:
	s_or_b64 exec, exec, s[12:13]
	s_waitcnt lgkmcnt(0)
	s_mul_i32 s4, s4, s46
	s_add_u32 s8, s8, s4
	s_addc_u32 s9, s9, 0
	v_and_b32_e32 v9, 48, v0
	v_and_b32_e32 v30, 0xf0, v1
	v_mov_b32_e32 v31, 0
	v_lshl_add_u64 v[6:7], s[8:9], 0, v[30:31]
	v_lshlrev_b32_e32 v30, 4, v9
	v_or_b32_e32 v9, s5, v9
	v_ashrrev_i32_e32 v10, 4, v9
	v_mov_b32_e32 v12, s18
	v_cmp_gt_i32_e32 vcc, s33, v9
	v_lshl_add_u64 v[6:7], v[6:7], 0, v[30:31]
	s_load_dword s29, s[0:1], 0x98
	s_load_dwordx4 s[40:43], s[0:1], 0x80
	v_cndmask_b32_e32 v10, v12, v10, vcc
	v_ashrrev_i32_e32 v11, 31, v10
	v_lshl_add_u64 v[10:11], v[10:11], 2, s[6:7]
	s_waitcnt lgkmcnt(0)
	s_barrier
	s_waitcnt vmcnt(3)
	v_mad_i64_i32 v[4:5], s[8:9], v4, s45, v[6:7]
	global_load_dword v38, v[10:11], off
	global_load_dwordx4 v[22:25], v[4:5], off
	s_waitcnt vmcnt(4)
	v_mad_i64_i32 v[4:5], s[8:9], v3, s45, v[6:7]
	global_load_dwordx4 v[18:21], v[4:5], off
	s_waitcnt vmcnt(4)
	v_mad_i64_i32 v[2:3], s[8:9], v2, s45, v[6:7]
	global_load_dwordx4 v[2:5], v[2:3], off
	v_mul_lo_u16_e32 v10, 43, v28
	v_mov_b32_e32 v11, 6
	v_mul_lo_u16_sdwa v10, v10, v11 dst_sel:DWORD dst_unused:UNUSED_PAD src0_sel:BYTE_1 src1_sel:DWORD
	v_mov_b32_e32 v13, 5
	v_sub_u16_e32 v10, v28, v10
	v_or_b32_e32 v11, 64, v9
	v_or_b32_e32 v15, 0x80, v9
	v_lshlrev_b32_sdwa v10, v13, v10 dst_sel:DWORD dst_unused:UNUSED_PAD src0_sel:DWORD src1_sel:BYTE_0
	v_ashrrev_i32_e32 v13, 4, v11
	v_cmp_gt_i32_e32 vcc, s33, v11
	v_or_b32_e32 v9, 0xc0, v9
	v_ashrrev_i32_e32 v16, 4, v15
	s_add_u32 s8, s10, s4
	v_cndmask_b32_e32 v32, v12, v13, vcc
	v_cmp_gt_i32_e32 vcc, s33, v15
	v_ashrrev_i32_e32 v17, 4, v9
	s_addc_u32 s9, s11, 0
	v_cndmask_b32_e32 v34, v12, v16, vcc
	v_cmp_gt_i32_e32 vcc, s33, v9
	s_waitcnt vmcnt(4)
	v_mad_i64_i32 v[6:7], s[10:11], v8, s45, v[6:7]
	v_lshl_add_u32 v27, v42, 9, v10
	v_cndmask_b32_e32 v36, v12, v17, vcc
	global_load_dwordx4 v[10:13], v[6:7], off
	v_ashrrev_i32_e32 v33, 31, v32
	v_ashrrev_i32_e32 v35, 31, v34
	;; [unrolled: 1-line block ×3, first 2 shown]
	v_lshlrev_b32_e32 v14, 4, v28
	v_lshl_add_u64 v[32:33], v[32:33], 2, s[6:7]
	v_lshl_add_u64 v[34:35], v[34:35], 2, s[6:7]
	;; [unrolled: 1-line block ×3, first 2 shown]
	v_lshl_or_b32 v30, v29, 8, v14
	ds_read_b128 v[14:17], v27
	ds_read_b128 v[6:9], v27 offset:16
	s_load_dword s4, s[40:41], 0x0
	global_load_dword v45, v[32:33], off
	global_load_dword v27, v[34:35], off
	;; [unrolled: 1-line block ×3, first 2 shown]
	v_lshl_add_u64 v[30:31], s[8:9], 0, v[30:31]
	s_load_dword s12, s[0:1], 0x1c
	s_mov_b32 s44, 0xff7fffff
	s_waitcnt vmcnt(7)
	v_mad_i64_i32 v[32:33], s[6:7], v38, s45, v[30:31]
	s_waitcnt vmcnt(6)
	v_cvt_pk_f32_fp8_e32 v[34:35], v22
	v_cvt_pk_f32_fp8_sdwa v[36:37], v22 src0_sel:WORD_1
	v_cvt_pk_f32_fp8_e32 v[38:39], v23
	v_cvt_pk_f32_fp8_sdwa v[40:41], v23 src0_sel:WORD_1
	v_cvt_pkrtz_f16_f32 v34, v34, v35
	v_cvt_pkrtz_f16_f32 v35, v36, v37
	s_waitcnt vmcnt(5)
	v_cvt_pk_f32_fp8_e32 v[22:23], v18
	v_cvt_pk_f32_fp8_e32 v[46:47], v24
	v_cvt_pk_f32_fp8_sdwa v[48:49], v24 src0_sel:WORD_1
	v_cvt_pkrtz_f16_f32 v38, v38, v39
	v_cvt_pkrtz_f16_f32 v39, v40, v41
	v_cvt_pk_f32_fp8_e32 v[50:51], v25
	v_cvt_pk_f32_fp8_sdwa v[52:53], v18 src0_sel:WORD_1
	v_cvt_pk_f32_fp8_sdwa v[54:55], v25 src0_sel:WORD_1
	v_cvt_pkrtz_f16_f32 v36, v22, v23
	s_waitcnt lgkmcnt(0)
	v_mfma_f32_16x16x16_f16 v[22:25], v[34:35], v[14:15], 0
	v_cvt_pkrtz_f16_f32 v40, v46, v47
	v_cvt_pkrtz_f16_f32 v41, v48, v49
	v_cvt_pk_f32_fp8_e32 v[56:57], v19
	v_cvt_pkrtz_f16_f32 v37, v52, v53
	v_cvt_pk_f32_fp8_sdwa v[18:19], v19 src0_sel:WORD_1
	v_mfma_f32_16x16x16_f16 v[22:25], v[38:39], v[16:17], v[22:25]
	v_cvt_pkrtz_f16_f32 v38, v50, v51
	v_cvt_pkrtz_f16_f32 v39, v54, v55
	v_cvt_pk_f32_fp8_e32 v[52:53], v20
	v_cvt_pk_f32_fp8_sdwa v[46:47], v20 src0_sel:WORD_1
	v_mfma_f32_16x16x16_f16 v[22:25], v[40:41], v[6:7], v[22:25]
	v_cvt_pkrtz_f16_f32 v50, v56, v57
	v_cvt_pkrtz_f16_f32 v51, v18, v19
	v_cvt_pk_f32_fp8_e32 v[48:49], v21
	v_mfma_f32_16x16x16_f16 v[34:37], v[36:37], v[14:15], 0
	v_mfma_f32_16x16x16_f16 v[38:41], v[38:39], v[8:9], v[22:25]
	s_nop 2
	v_cvt_pk_f32_fp8_sdwa v[22:23], v21 src0_sel:WORD_1
	v_cvt_pkrtz_f16_f32 v24, v52, v53
	v_cvt_pkrtz_f16_f32 v25, v46, v47
	v_mfma_f32_16x16x16_f16 v[18:21], v[50:51], v[16:17], v[34:37]
	s_waitcnt vmcnt(4)
	v_cvt_pk_f32_fp8_sdwa v[46:47], v4 src0_sel:WORD_1
	s_nop 0
	v_cvt_pkrtz_f16_f32 v34, v48, v49
	v_cvt_pkrtz_f16_f32 v35, v22, v23
	v_mfma_f32_16x16x16_f16 v[18:21], v[24:25], v[6:7], v[18:21]
	v_cvt_pk_f32_fp8_e32 v[22:23], v2
	v_cvt_pk_f32_fp8_sdwa v[24:25], v2 src0_sel:WORD_1
	v_mov_b32_e32 v36, s12
	v_mfma_f32_16x16x16_f16 v[18:21], v[34:35], v[8:9], v[18:21]
	v_cvt_pk_f32_fp8_e32 v[34:35], v3
	v_cvt_pkrtz_f16_f32 v22, v22, v23
	v_cvt_pkrtz_f16_f32 v23, v24, v25
	v_cvt_pk_f32_fp8_sdwa v[2:3], v3 src0_sel:WORD_1
	v_mul_f32_e32 v50, s4, v36
	v_cvt_pkrtz_f16_f32 v34, v34, v35
	v_cvt_pk_f32_fp8_e32 v[36:37], v4
	v_cvt_pkrtz_f16_f32 v35, v2, v3
	v_mfma_f32_16x16x16_f16 v[22:25], v[22:23], v[14:15], 0
	v_cvt_pk_f32_fp8_sdwa v[48:49], v5 src0_sel:WORD_1
	v_cvt_pkrtz_f16_f32 v36, v36, v37
	v_cvt_pkrtz_f16_f32 v37, v46, v47
	v_cvt_pk_f32_fp8_e32 v[46:47], v5
	v_mfma_f32_16x16x16_f16 v[2:5], v[34:35], v[16:17], v[22:25]
	s_nop 2
	v_cvt_pkrtz_f16_f32 v24, v46, v47
	v_cvt_pkrtz_f16_f32 v25, v48, v49
	v_mfma_f32_16x16x16_f16 v[34:37], v[36:37], v[6:7], v[2:5]
	v_pk_mul_f32 v[22:23], v[50:51], v[40:41] op_sel_hi:[0,1]
	s_waitcnt vmcnt(3)
	v_cvt_pk_f32_fp8_sdwa v[40:41], v12 src0_sel:WORD_1
	v_pk_mul_f32 v[2:3], v[50:51], v[38:39] op_sel_hi:[0,1]
	v_cvt_pk_f32_fp8_e32 v[4:5], v10
	v_cvt_pk_f32_fp8_sdwa v[38:39], v10 src0_sel:WORD_1
	v_mfma_f32_16x16x16_f16 v[46:49], v[24:25], v[8:9], v[34:37]
	v_cvt_pk_f32_fp8_e32 v[24:25], v11
	v_cvt_pkrtz_f16_f32 v4, v4, v5
	v_cvt_pkrtz_f16_f32 v5, v38, v39
	v_cvt_pk_f32_fp8_sdwa v[10:11], v11 src0_sel:WORD_1
	v_cvt_pkrtz_f16_f32 v24, v24, v25
	v_cvt_pk_f32_fp8_e32 v[38:39], v12
	v_mfma_f32_16x16x16_f16 v[34:37], v[4:5], v[14:15], 0
	v_cvt_pkrtz_f16_f32 v25, v10, v11
	v_cvt_pkrtz_f16_f32 v4, v38, v39
	;; [unrolled: 1-line block ×3, first 2 shown]
	v_cvt_pk_f32_fp8_e32 v[14:15], v13
	v_cvt_pk_f32_fp8_sdwa v[38:39], v13 src0_sel:WORD_1
	v_mfma_f32_16x16x16_f16 v[10:13], v[24:25], v[16:17], v[34:37]
	v_pk_mul_f32 v[40:41], v[50:51], v[18:19] op_sel_hi:[0,1]
	v_cvt_pkrtz_f16_f32 v14, v14, v15
	v_cvt_pkrtz_f16_f32 v15, v38, v39
	v_mfma_f32_16x16x16_f16 v[4:7], v[4:5], v[6:7], v[10:13]
	v_pk_mul_f32 v[36:37], v[50:51], v[20:21] op_sel_hi:[0,1]
	v_pk_mul_f32 v[38:39], v[50:51], v[46:47] op_sel_hi:[0,1]
	;; [unrolled: 1-line block ×3, first 2 shown]
	v_mfma_f32_16x16x16_f16 v[4:7], v[14:15], v[8:9], v[4:7]
	s_nop 6
	v_pk_mul_f32 v[24:25], v[50:51], v[4:5] op_sel_hi:[0,1]
	v_and_b32_e32 v4, 0xc0, v0
	v_add_u32_e32 v4, s5, v4
	v_lshl_or_b32 v4, v42, 2, v4
	v_pk_mul_f32 v[18:19], v[50:51], v[6:7] op_sel_hi:[0,1]
	v_or_b32_e32 v7, 1, v4
	v_mov_b32_e32 v5, 0xff7fffff
	v_cmp_gt_i32_e64 s[4:5], s33, v4
	v_cmp_gt_i32_e64 s[34:35], s33, v7
	v_or_b32_e32 v8, 3, v4
	v_cndmask_b32_e64 v6, v5, v2, s[4:5]
	v_cndmask_b32_e64 v7, v5, v3, s[34:35]
	v_max3_f32 v6, v6, s44, v7
	v_or_b32_e32 v7, 2, v4
	v_cmp_gt_i32_e64 s[36:37], s33, v7
	v_cmp_gt_i32_e64 s[38:39], s33, v8
	s_nop 0
	v_cndmask_b32_e64 v7, v5, v22, s[36:37]
	v_cndmask_b32_e64 v8, v5, v23, s[38:39]
	v_max3_f32 v6, v6, v7, v8
	v_or_b32_e32 v7, 16, v4
	v_or_b32_e32 v8, 17, v4
	v_cmp_gt_i32_e64 s[24:25], s33, v7
	v_cmp_gt_i32_e64 s[26:27], s33, v8
	s_nop 0
	v_cndmask_b32_e64 v7, v5, v40, s[24:25]
	v_cndmask_b32_e64 v8, v5, v41, s[26:27]
	v_max3_f32 v6, v6, v7, v8
	v_or_b32_e32 v7, 18, v4
	;; [unrolled: 8-line block ×6, first 2 shown]
	v_or_b32_e32 v4, 51, v4
	v_cmp_gt_i32_e32 vcc, s33, v7
	v_cmp_gt_i32_e64 s[6:7], s33, v4
	s_nop 0
	v_cndmask_b32_e32 v7, v5, v18, vcc
	v_cndmask_b32_e64 v4, v5, v19, s[6:7]
	v_max3_f32 v6, v6, v7, v4
	v_mbcnt_lo_u32_b32 v4, -1, 0
	v_mbcnt_hi_u32_b32 v7, -1, v4
	v_and_b32_e32 v4, 64, v7
	v_add_u32_e32 v8, 64, v4
	v_xor_b32_e32 v4, 32, v7
	v_cmp_lt_i32_e64 s[40:41], v4, v8
	s_nop 1
	v_cndmask_b32_e64 v4, v7, v4, s[40:41]
	v_lshlrev_b32_e32 v46, 2, v4
	ds_bpermute_b32 v9, v46, v6
	s_waitcnt vmcnt(2)
	v_mad_i64_i32 v[4:5], s[40:41], v45, s45, v[30:31]
	global_load_dwordx4 v[14:17], v[32:33], off
	global_load_dwordx4 v[10:13], v[4:5], off
	v_xor_b32_e32 v5, 16, v7
	v_cmp_lt_i32_e64 s[40:41], v5, v8
	s_waitcnt lgkmcnt(0)
	v_max_f32_e32 v4, v9, v9
	v_max_f32_e32 v4, v6, v4
	v_cndmask_b32_e64 v5, v7, v5, s[40:41]
	v_lshlrev_b32_e32 v45, 2, v5
	ds_bpermute_b32 v5, v45, v4
	s_waitcnt vmcnt(3)
	v_mad_i64_i32 v[20:21], s[40:41], v27, s45, v[30:31]
	s_waitcnt vmcnt(2)
	v_mad_i64_i32 v[30:31], s[40:41], v44, s45, v[30:31]
	s_waitcnt lgkmcnt(0)
	v_max_f32_e32 v5, v5, v5
	v_max_f32_e32 v27, v4, v5
	v_sub_f32_e32 v2, v2, v27
	v_mul_f32_e32 v2, 0x3fb8aa3b, v2
	v_exp_f32_e32 v32, v2
	v_sub_f32_e32 v2, v3, v27
	v_mul_f32_e32 v2, 0x3fb8aa3b, v2
	v_exp_f32_e32 v33, v2
	global_load_dwordx4 v[6:9], v[20:21], off
	global_load_dwordx4 v[2:5], v[30:31], off
	v_sub_f32_e32 v22, v22, v27
	v_mul_f32_e32 v22, 0x3fb8aa3b, v22
	v_sub_f32_e32 v23, v23, v27
	v_exp_f32_e32 v22, v22
	v_mul_f32_e32 v23, 0x3fb8aa3b, v23
	v_exp_f32_e32 v23, v23
	v_cndmask_b32_e64 v20, 0, v32, s[4:5]
	v_add_f32_e32 v30, 0, v20
	v_cndmask_b32_e64 v21, 0, v33, s[34:35]
	v_add_f32_e32 v30, v30, v21
	;; [unrolled: 2-line block ×3, first 2 shown]
	v_cndmask_b32_e64 v33, 0, v23, s[38:39]
	v_sub_f32_e32 v23, v40, v27
	v_sub_f32_e32 v30, v41, v27
	v_mul_f32_e32 v23, 0x3fb8aa3b, v23
	v_mul_f32_e32 v30, 0x3fb8aa3b, v30
	v_exp_f32_e32 v23, v23
	v_exp_f32_e32 v30, v30
	v_add_f32_e32 v31, v22, v33
	v_sub_f32_e32 v34, v34, v27
	v_cndmask_b32_e64 v22, 0, v23, s[24:25]
	v_cndmask_b32_e64 v23, 0, v30, s[26:27]
	v_sub_f32_e32 v30, v36, v27
	v_mul_f32_e32 v30, 0x3fb8aa3b, v30
	v_exp_f32_e32 v30, v30
	v_sub_f32_e32 v36, v37, v27
	v_add_f32_e32 v31, v31, v22
	v_mul_f32_e32 v36, 0x3fb8aa3b, v36
	v_exp_f32_e32 v37, v36
	v_add_f32_e32 v31, v31, v23
	v_cndmask_b32_e64 v36, 0, v30, s[20:21]
	v_add_f32_e32 v30, v31, v36
	v_sub_f32_e32 v31, v38, v27
	v_mul_f32_e32 v31, 0x3fb8aa3b, v31
	v_sub_f32_e32 v38, v39, v27
	v_exp_f32_e32 v31, v31
	v_mul_f32_e32 v38, 0x3fb8aa3b, v38
	v_exp_f32_e32 v38, v38
	v_mul_f32_e32 v34, 0x3fb8aa3b, v34
	v_sub_f32_e32 v35, v35, v27
	v_exp_f32_e32 v34, v34
	v_mul_f32_e32 v35, 0x3fb8aa3b, v35
	v_sub_f32_e32 v24, v24, v27
	v_cndmask_b32_e64 v37, 0, v37, s[22:23]
	v_exp_f32_e32 v35, v35
	v_mul_f32_e32 v24, 0x3fb8aa3b, v24
	v_sub_f32_e32 v25, v25, v27
	v_add_f32_e32 v39, v30, v37
	v_cndmask_b32_e64 v30, 0, v31, s[16:17]
	v_exp_f32_e32 v24, v24
	v_mul_f32_e32 v25, 0x3fb8aa3b, v25
	v_sub_f32_e32 v18, v18, v27
	v_add_f32_e32 v39, v39, v30
	;; [unrolled: 5-line block ×3, first 2 shown]
	v_cndmask_b32_e64 v34, 0, v34, s[12:13]
	v_exp_f32_e32 v18, v18
	v_mul_f32_e32 v19, 0x3fb8aa3b, v19
	v_add_f32_e32 v38, v38, v34
	v_cndmask_b32_e64 v35, 0, v35, s[14:15]
	v_exp_f32_e32 v19, v19
	v_add_f32_e32 v38, v38, v35
	v_cndmask_b32_e64 v24, 0, v24, s[8:9]
	v_add_f32_e32 v38, v38, v24
	v_cndmask_b32_e64 v25, 0, v25, s[10:11]
	v_add_f32_e32 v38, v38, v25
	v_cndmask_b32_e32 v18, 0, v18, vcc
	v_add_f32_e32 v38, v38, v18
	v_cndmask_b32_e64 v19, 0, v19, s[6:7]
	v_add_f32_e32 v38, v38, v19
	ds_bpermute_b32 v39, v46, v38
	v_cmp_gt_u32_e32 vcc, 16, v43
	s_waitcnt lgkmcnt(0)
	s_barrier
	v_add_f32_e32 v39, v38, v39
	ds_bpermute_b32 v40, v45, v39
	v_lshlrev_b32_e32 v38, 2, v28
	s_and_saveexec_b64 s[4:5], vcc
	s_cbranch_execz .LBB833_13
; %bb.12:
	s_waitcnt lgkmcnt(0)
	v_add_f32_e32 v39, v39, v40
	v_lshl_or_b32 v40, v29, 6, v38
	ds_write2st64_b32 v40, v27, v39 offset1:1
.LBB833_13:
	s_or_b64 exec, exec, s[4:5]
	s_load_dword s6, s[0:1], 0x94
	s_waitcnt lgkmcnt(0)
	s_barrier
	ds_read2_b32 v[40:41], v38 offset1:16
	ds_read2_b32 v[44:45], v38 offset0:32 offset1:48
	ds_read2_b32 v[46:47], v38 offset0:64 offset1:80
	s_mul_i32 s7, s29, 6
	s_waitcnt lgkmcnt(2)
	v_max3_f32 v27, v40, s44, v41
	s_waitcnt lgkmcnt(1)
	v_max3_f32 v27, v27, v44, v45
	v_sub_f32_e32 v39, v40, v27
	v_sub_f32_e32 v40, v41, v27
	v_mul_f32_e32 v40, 0x3fb8aa3b, v40
	v_mul_f32_e32 v39, 0x3fb8aa3b, v39
	v_exp_f32_e32 v43, v40
	v_sub_f32_e32 v40, v44, v27
	v_exp_f32_e32 v39, v39
	v_mul_f32_e32 v40, 0x3fb8aa3b, v40
	v_exp_f32_e32 v44, v40
	ds_read2_b32 v[40:41], v38 offset0:96 offset1:112
	v_sub_f32_e32 v38, v45, v27
	v_mul_f32_e32 v38, 0x3fb8aa3b, v38
	v_exp_f32_e32 v45, v38
	s_waitcnt lgkmcnt(1)
	v_fma_f32 v38, v39, v46, 0
	v_fmac_f32_e32 v38, v43, v47
	s_waitcnt lgkmcnt(0)
	v_fmac_f32_e32 v38, v44, v40
	v_fmac_f32_e32 v38, v45, v41
	v_add_f32_e32 v40, 0x358637bd, v38
	v_div_scale_f32 v41, s[4:5], v40, v40, 1.0
	v_rcp_f32_e32 v46, v41
	s_barrier
	v_fma_f32 v47, -v41, v46, 1.0
	v_fmac_f32_e32 v46, v47, v46
	v_div_scale_f32 v47, vcc, 1.0, v40, 1.0
	v_mul_f32_e32 v48, v47, v46
	v_fma_f32 v49, -v41, v48, v47
	v_fmac_f32_e32 v48, v49, v46
	v_fma_f32 v41, -v41, v48, v47
	v_div_fmas_f32 v41, v41, v46, v48
	v_cmp_eq_u32_e32 vcc, 1, v29
	v_div_fixup_f32 v40, v41, v40, 1.0
	s_nop 0
	v_cndmask_b32_e32 v39, v39, v43, vcc
	v_cmp_eq_u32_e32 vcc, 2, v29
	s_nop 1
	v_cndmask_b32_e32 v39, v39, v44, vcc
	v_cmp_eq_u32_e32 vcc, 3, v29
	v_lshlrev_b32_e32 v29, 11, v29
	s_nop 0
	v_cndmask_b32_e32 v39, v39, v45, vcc
	v_mul_f32_e32 v40, v39, v40
	v_pk_mul_f32 v[20:21], v[40:41], v[20:21] op_sel_hi:[0,1]
	v_pk_mul_f32 v[32:33], v[40:41], v[32:33] op_sel_hi:[0,1]
	v_cvt_f16_f32_e32 v20, v20
	v_cvt_f16_f32_e32 v21, v21
	v_pk_mul_f32 v[36:37], v[40:41], v[36:37] op_sel_hi:[0,1]
	v_pk_mul_f32 v[22:23], v[40:41], v[22:23] op_sel_hi:[0,1]
	v_cvt_f16_f32_e32 v39, v32
	v_cvt_f16_f32_e32 v33, v33
	;; [unrolled: 1-line block ×6, first 2 shown]
	v_pack_b32_f16 v32, v20, v21
	v_lshlrev_b32_e32 v20, 3, v42
	v_lshlrev_b32_e32 v21, 5, v28
	v_pack_b32_f16 v33, v39, v33
	v_or3_b32 v20, v29, v21, v20
	v_pack_b32_f16 v22, v22, v23
	v_pack_b32_f16 v23, v36, v37
	ds_write2st64_b64 v20, v[32:33], v[22:23] offset1:1
	v_pk_mul_f32 v[22:23], v[40:41], v[34:35] op_sel_hi:[0,1]
	v_pk_mul_f32 v[30:31], v[40:41], v[30:31] op_sel_hi:[0,1]
	v_cvt_f16_f32_e32 v29, v30
	v_cvt_f16_f32_e32 v30, v31
	v_cvt_f16_f32_e32 v31, v22
	v_cvt_f16_f32_e32 v32, v23
	v_pk_mul_f32 v[18:19], v[40:41], v[18:19] op_sel_hi:[0,1]
	v_pk_mul_f32 v[22:23], v[40:41], v[24:25] op_sel_hi:[0,1]
	v_cvt_f16_f32_e32 v22, v22
	v_cvt_f16_f32_e32 v23, v23
	;; [unrolled: 1-line block ×4, first 2 shown]
	v_pack_b32_f16 v18, v29, v30
	v_pack_b32_f16 v19, v31, v32
	;; [unrolled: 1-line block ×4, first 2 shown]
	v_cmp_gt_u32_e32 vcc, 6, v0
	ds_write2st64_b64 v20, v[18:19], v[22:23] offset0:2 offset1:3
	s_and_saveexec_b64 s[4:5], vcc
	s_cbranch_execz .LBB833_15
; %bb.14:
	s_mov_b32 s49, 0
	v_mov_b32_e32 v29, 0
	v_lshl_add_u64 v[18:19], s[48:49], 0, v[28:29]
	v_mov_b32_e32 v22, s7
	v_mad_u64_u32 v[18:19], s[12:13], s2, v22, v[18:19]
	s_mul_i32 s3, s3, s7
	v_mov_b32_e32 v28, s28
	s_load_dwordx4 s[8:11], s[0:1], 0x58
	v_add_u32_e32 v23, s3, v19
	v_mad_u64_u32 v[18:19], s[12:13], v18, s6, v[28:29]
	v_mov_b32_e32 v22, v19
	v_mad_u64_u32 v[22:23], s[12:13], v23, s6, v[22:23]
	v_mov_b32_e32 v19, v22
	v_lshlrev_b64 v[18:19], 2, v[18:19]
	s_waitcnt lgkmcnt(0)
	v_lshl_add_u64 v[22:23], s[10:11], 0, v[18:19]
	v_lshl_add_u64 v[18:19], s[8:9], 0, v[18:19]
	global_store_dword v[22:23], v27, off
	global_store_dword v[18:19], v38, off
.LBB833_15:
	s_or_b64 exec, exec, s[4:5]
	s_waitcnt vmcnt(3)
	v_cvt_pk_f32_fp8_e32 v[18:19], v14
	v_cvt_pk_f32_fp8_sdwa v[22:23], v14 src0_sel:WORD_1
	v_cvt_pk_f32_fp8_e32 v[24:25], v15
	v_lshl_or_b32 v14, v42, 9, v21
	s_waitcnt lgkmcnt(0)
	s_barrier
	v_cvt_pkrtz_f16_f32 v18, v18, v19
	v_cvt_pkrtz_f16_f32 v19, v22, v23
	v_cvt_pk_f32_fp8_sdwa v[28:29], v15 src0_sel:WORD_1
	v_cvt_pkrtz_f16_f32 v36, v24, v25
	ds_read_b128 v[22:25], v14
	v_cvt_pk_f32_fp8_e32 v[38:39], v16
	v_cvt_pkrtz_f16_f32 v37, v28, v29
	ds_read_b128 v[28:31], v14 offset:16
	v_cvt_pk_f32_fp8_sdwa v[40:41], v16 src0_sel:WORD_1
	s_waitcnt lgkmcnt(1)
	v_mfma_f32_16x16x16_f16 v[32:35], v[18:19], v[22:23], 0
	v_cvt_pkrtz_f16_f32 v18, v38, v39
	v_cvt_pk_f32_fp8_e32 v[38:39], v17
	v_cvt_pkrtz_f16_f32 v19, v40, v41
	v_mfma_f32_16x16x16_f16 v[22:25], v[36:37], v[24:25], v[32:35]
	s_waitcnt vmcnt(2)
	v_cvt_pk_f32_fp8_sdwa v[36:37], v12 src0_sel:WORD_1
	s_load_dword s4, s[42:43], 0x0
	v_cmp_gt_u32_e32 vcc, 64, v0
	v_cvt_pk_f32_fp8_sdwa v[32:33], v17 src0_sel:WORD_1
	v_cvt_pkrtz_f16_f32 v34, v38, v39
	s_waitcnt lgkmcnt(0)
	v_mfma_f32_16x16x16_f16 v[16:19], v[18:19], v[28:29], v[22:25]
	v_cvt_pk_f32_fp8_e32 v[28:29], v11
	v_cvt_pkrtz_f16_f32 v35, v32, v33
	s_mov_b32 s3, 0
	v_cvt_pk_f32_fp8_e32 v[22:23], v10
	v_cvt_pk_f32_fp8_sdwa v[24:25], v10 src0_sel:WORD_1
	v_mfma_f32_16x16x16_f16 v[16:19], v[34:35], v[30:31], v[16:19]
	v_cvt_pkrtz_f16_f32 v10, v22, v23
	v_cvt_pk_f32_fp8_sdwa v[30:31], v11 src0_sel:WORD_1
	v_cvt_pkrtz_f16_f32 v11, v24, v25
	ds_read_b128 v[22:25], v14 offset:2048
	v_cvt_pkrtz_f16_f32 v32, v28, v29
	v_cvt_pkrtz_f16_f32 v33, v30, v31
	ds_read_b128 v[28:31], v14 offset:2064
	v_cvt_pk_f32_fp8_e32 v[34:35], v12
	s_waitcnt lgkmcnt(1)
	v_mfma_f32_16x16x16_f16 v[16:19], v[10:11], v[22:23], v[16:19]
	v_cvt_pkrtz_f16_f32 v11, v36, v37
	v_cvt_pk_f32_fp8_e32 v[22:23], v13
	v_cvt_pkrtz_f16_f32 v10, v34, v35
	v_mfma_f32_16x16x16_f16 v[16:19], v[32:33], v[24:25], v[16:19]
	v_cvt_pk_f32_fp8_sdwa v[24:25], v13 src0_sel:WORD_1
	v_cvt_pkrtz_f16_f32 v22, v22, v23
	s_waitcnt vmcnt(1)
	v_cvt_pk_f32_fp8_sdwa v[32:33], v8 src0_sel:WORD_1
	s_waitcnt lgkmcnt(0)
	v_mfma_f32_16x16x16_f16 v[10:13], v[10:11], v[28:29], v[16:19]
	v_cvt_pkrtz_f16_f32 v23, v24, v25
	v_cvt_pk_f32_fp8_sdwa v[24:25], v7 src0_sel:WORD_1
	v_mov_b32_e32 v27, 0
	v_cvt_pk_f32_fp8_e32 v[16:17], v6
	v_cvt_pk_f32_fp8_sdwa v[18:19], v6 src0_sel:WORD_1
	v_mfma_f32_16x16x16_f16 v[10:13], v[22:23], v[30:31], v[10:13]
	v_cvt_pk_f32_fp8_e32 v[22:23], v7
	v_cvt_pkrtz_f16_f32 v6, v16, v17
	v_cvt_pkrtz_f16_f32 v7, v18, v19
	ds_read_b128 v[16:19], v14 offset:4096
	v_cvt_pkrtz_f16_f32 v28, v22, v23
	v_cvt_pkrtz_f16_f32 v29, v24, v25
	ds_read_b128 v[22:25], v14 offset:4112
	v_cvt_pk_f32_fp8_e32 v[30:31], v8
	s_waitcnt lgkmcnt(1)
	v_mfma_f32_16x16x16_f16 v[10:13], v[6:7], v[16:17], v[10:13]
	v_cvt_pkrtz_f16_f32 v7, v32, v33
	v_cvt_pk_f32_fp8_e32 v[16:17], v9
	v_cvt_pkrtz_f16_f32 v6, v30, v31
	v_mfma_f32_16x16x16_f16 v[10:13], v[28:29], v[18:19], v[10:13]
	v_cvt_pk_f32_fp8_sdwa v[18:19], v9 src0_sel:WORD_1
	v_cvt_pkrtz_f16_f32 v16, v16, v17
	v_cvt_pkrtz_f16_f32 v17, v18, v19
	s_waitcnt lgkmcnt(0)
	v_mfma_f32_16x16x16_f16 v[6:9], v[6:7], v[22:23], v[10:13]
	s_waitcnt vmcnt(0)
	v_cvt_pk_f32_fp8_sdwa v[18:19], v3 src0_sel:WORD_1
	s_nop 0
	v_cvt_pkrtz_f16_f32 v23, v18, v19
	v_cvt_pk_f32_fp8_e32 v[10:11], v2
	v_cvt_pk_f32_fp8_sdwa v[12:13], v2 src0_sel:WORD_1
	v_mfma_f32_16x16x16_f16 v[6:9], v[16:17], v[24:25], v[6:9]
	v_cvt_pk_f32_fp8_e32 v[16:17], v3
	v_cvt_pkrtz_f16_f32 v2, v10, v11
	v_cvt_pkrtz_f16_f32 v3, v12, v13
	ds_read_b128 v[10:13], v14 offset:6144
	v_cvt_pkrtz_f16_f32 v22, v16, v17
	v_cvt_pk_f32_fp8_e32 v[18:19], v4
	v_cvt_pk_f32_fp8_sdwa v[24:25], v4 src0_sel:WORD_1
	s_waitcnt lgkmcnt(0)
	v_mfma_f32_16x16x16_f16 v[6:9], v[2:3], v[10:11], v[6:9]
	ds_read_b128 v[14:17], v14 offset:6160
	v_cvt_pkrtz_f16_f32 v2, v18, v19
	v_cvt_pkrtz_f16_f32 v3, v24, v25
	v_cvt_pk_f32_fp8_e32 v[10:11], v5
	v_mfma_f32_16x16x16_f16 v[6:9], v[22:23], v[12:13], v[6:9]
	v_cvt_pk_f32_fp8_sdwa v[12:13], v5 src0_sel:WORD_1
	s_waitcnt lgkmcnt(0)
	v_cvt_pkrtz_f16_f32 v10, v10, v11
	v_mfma_f32_16x16x16_f16 v[2:5], v[2:3], v[14:15], v[6:9]
	v_cvt_pkrtz_f16_f32 v11, v12, v13
	s_barrier
	s_nop 0
	v_mfma_f32_16x16x16_f16 v[2:5], v[10:11], v[16:17], v[2:5]
	s_nop 6
	v_pk_mul_f32 v[4:5], v[4:5], s[4:5] op_sel_hi:[1,0]
	v_pk_mul_f32 v[2:3], v[2:3], s[4:5] op_sel_hi:[1,0]
	v_cvt_f16_f32_e32 v4, v4
	v_cvt_f16_f32_e32 v2, v2
	;; [unrolled: 1-line block ×4, first 2 shown]
	s_and_b64 s[4:5], vcc, s[30:31]
	v_pack_b32_f16 v2, v2, v3
	v_pack_b32_f16 v3, v4, v5
	ds_write_b64 v20, v[2:3]
	s_waitcnt lgkmcnt(0)
	s_barrier
	s_and_saveexec_b64 s[8:9], s[4:5]
	s_cbranch_execz .LBB833_18
; %bb.16:
	s_load_dwordx2 s[4:5], s[0:1], 0x68
	s_lshl_b32 s0, s6, 6
	s_mul_i32 s1, s7, s2
	s_mul_hi_u32 s7, s1, s0
	s_mul_i32 s6, s1, s0
	v_lshlrev_b32_e32 v0, 10, v0
	s_lshl_b64 s[6:7], s[6:7], 1
	v_and_b32_e32 v0, 0x1800, v0
	v_lshlrev_b32_e32 v3, 5, v42
	v_and_b32_e32 v1, 16, v1
	s_waitcnt lgkmcnt(0)
	s_add_u32 s1, s4, s6
	v_or3_b32 v3, v0, v3, v1
	s_addc_u32 s4, s5, s7
	s_lshl_b32 s2, s28, 6
	s_lshl_b64 s[2:3], s[2:3], 1
	ds_read_b128 v[4:7], v3
	s_add_u32 s2, s1, s2
	s_addc_u32 s3, s4, s3
	v_add_u32_e32 v8, s48, v42
	v_or_b32_e32 v2, 4, v42
	v_lshl_add_u64 v[0:1], s[2:3], 0, v[26:27]
	v_mad_u64_u32 v[8:9], s[2:3], v8, s0, 0
	v_lshl_add_u64 v[8:9], v[8:9], 1, v[0:1]
	v_cmp_gt_u32_e32 vcc, 6, v2
	s_waitcnt lgkmcnt(0)
	global_store_dwordx4 v[8:9], v[4:7], off
	s_and_b64 exec, exec, vcc
	s_cbranch_execz .LBB833_18
; %bb.17:
	ds_read_b128 v[4:7], v3 offset:128
	v_add_u32_e32 v2, s48, v2
	v_mad_u64_u32 v[2:3], s[0:1], v2, s0, 0
	v_lshl_add_u64 v[0:1], v[2:3], 1, v[0:1]
	s_waitcnt lgkmcnt(0)
	global_store_dwordx4 v[0:1], v[4:7], off
.LBB833_18:
	s_endpgm
	.section	.rodata,"a",@progbits
	.p2align	6, 0x0
	.amdhsa_kernel _Z39paged_attention_ll4mi_QKV_mfma16_kernelIDF16_hLN4vllm18Fp8KVCacheDataTypeE1EDF16_Li16ELi64ELi256ELb0ELi6EEvPKT_PKT0_S7_ifPKiS9_S9_iPKfiiiPfSC_PS2_PT2_iSB_SB_
		.amdhsa_group_segment_fixed_size 8192
		.amdhsa_private_segment_fixed_size 0
		.amdhsa_kernarg_size 400
		.amdhsa_user_sgpr_count 2
		.amdhsa_user_sgpr_dispatch_ptr 0
		.amdhsa_user_sgpr_queue_ptr 0
		.amdhsa_user_sgpr_kernarg_segment_ptr 1
		.amdhsa_user_sgpr_dispatch_id 0
		.amdhsa_user_sgpr_kernarg_preload_length 0
		.amdhsa_user_sgpr_kernarg_preload_offset 0
		.amdhsa_user_sgpr_private_segment_size 0
		.amdhsa_uses_dynamic_stack 0
		.amdhsa_enable_private_segment 0
		.amdhsa_system_sgpr_workgroup_id_x 1
		.amdhsa_system_sgpr_workgroup_id_y 1
		.amdhsa_system_sgpr_workgroup_id_z 1
		.amdhsa_system_sgpr_workgroup_info 0
		.amdhsa_system_vgpr_workitem_id 0
		.amdhsa_next_free_vgpr 58
		.amdhsa_next_free_sgpr 50
		.amdhsa_accum_offset 60
		.amdhsa_reserve_vcc 1
		.amdhsa_float_round_mode_32 0
		.amdhsa_float_round_mode_16_64 0
		.amdhsa_float_denorm_mode_32 3
		.amdhsa_float_denorm_mode_16_64 3
		.amdhsa_dx10_clamp 1
		.amdhsa_ieee_mode 1
		.amdhsa_fp16_overflow 0
		.amdhsa_tg_split 0
		.amdhsa_exception_fp_ieee_invalid_op 0
		.amdhsa_exception_fp_denorm_src 0
		.amdhsa_exception_fp_ieee_div_zero 0
		.amdhsa_exception_fp_ieee_overflow 0
		.amdhsa_exception_fp_ieee_underflow 0
		.amdhsa_exception_fp_ieee_inexact 0
		.amdhsa_exception_int_div_zero 0
	.end_amdhsa_kernel
	.section	.text._Z39paged_attention_ll4mi_QKV_mfma16_kernelIDF16_hLN4vllm18Fp8KVCacheDataTypeE1EDF16_Li16ELi64ELi256ELb0ELi6EEvPKT_PKT0_S7_ifPKiS9_S9_iPKfiiiPfSC_PS2_PT2_iSB_SB_,"axG",@progbits,_Z39paged_attention_ll4mi_QKV_mfma16_kernelIDF16_hLN4vllm18Fp8KVCacheDataTypeE1EDF16_Li16ELi64ELi256ELb0ELi6EEvPKT_PKT0_S7_ifPKiS9_S9_iPKfiiiPfSC_PS2_PT2_iSB_SB_,comdat
.Lfunc_end833:
	.size	_Z39paged_attention_ll4mi_QKV_mfma16_kernelIDF16_hLN4vllm18Fp8KVCacheDataTypeE1EDF16_Li16ELi64ELi256ELb0ELi6EEvPKT_PKT0_S7_ifPKiS9_S9_iPKfiiiPfSC_PS2_PT2_iSB_SB_, .Lfunc_end833-_Z39paged_attention_ll4mi_QKV_mfma16_kernelIDF16_hLN4vllm18Fp8KVCacheDataTypeE1EDF16_Li16ELi64ELi256ELb0ELi6EEvPKT_PKT0_S7_ifPKiS9_S9_iPKfiiiPfSC_PS2_PT2_iSB_SB_
                                        ; -- End function
	.section	.AMDGPU.csdata,"",@progbits
; Kernel info:
; codeLenInByte = 4588
; NumSgprs: 56
; NumVgprs: 58
; NumAgprs: 0
; TotalNumVgprs: 58
; ScratchSize: 0
; MemoryBound: 0
; FloatMode: 240
; IeeeMode: 1
; LDSByteSize: 8192 bytes/workgroup (compile time only)
; SGPRBlocks: 6
; VGPRBlocks: 7
; NumSGPRsForWavesPerEU: 56
; NumVGPRsForWavesPerEU: 58
; AccumOffset: 60
; Occupancy: 8
; WaveLimiterHint : 1
; COMPUTE_PGM_RSRC2:SCRATCH_EN: 0
; COMPUTE_PGM_RSRC2:USER_SGPR: 2
; COMPUTE_PGM_RSRC2:TRAP_HANDLER: 0
; COMPUTE_PGM_RSRC2:TGID_X_EN: 1
; COMPUTE_PGM_RSRC2:TGID_Y_EN: 1
; COMPUTE_PGM_RSRC2:TGID_Z_EN: 1
; COMPUTE_PGM_RSRC2:TIDIG_COMP_CNT: 0
; COMPUTE_PGM_RSRC3_GFX90A:ACCUM_OFFSET: 14
; COMPUTE_PGM_RSRC3_GFX90A:TG_SPLIT: 0
	.section	.text._Z39paged_attention_ll4mi_QKV_mfma16_kernelIDF16_hLN4vllm18Fp8KVCacheDataTypeE1EDF16_Li16ELi64ELi256ELb0ELi7EEvPKT_PKT0_S7_ifPKiS9_S9_iPKfiiiPfSC_PS2_PT2_iSB_SB_,"axG",@progbits,_Z39paged_attention_ll4mi_QKV_mfma16_kernelIDF16_hLN4vllm18Fp8KVCacheDataTypeE1EDF16_Li16ELi64ELi256ELb0ELi7EEvPKT_PKT0_S7_ifPKiS9_S9_iPKfiiiPfSC_PS2_PT2_iSB_SB_,comdat
	.protected	_Z39paged_attention_ll4mi_QKV_mfma16_kernelIDF16_hLN4vllm18Fp8KVCacheDataTypeE1EDF16_Li16ELi64ELi256ELb0ELi7EEvPKT_PKT0_S7_ifPKiS9_S9_iPKfiiiPfSC_PS2_PT2_iSB_SB_ ; -- Begin function _Z39paged_attention_ll4mi_QKV_mfma16_kernelIDF16_hLN4vllm18Fp8KVCacheDataTypeE1EDF16_Li16ELi64ELi256ELb0ELi7EEvPKT_PKT0_S7_ifPKiS9_S9_iPKfiiiPfSC_PS2_PT2_iSB_SB_
	.globl	_Z39paged_attention_ll4mi_QKV_mfma16_kernelIDF16_hLN4vllm18Fp8KVCacheDataTypeE1EDF16_Li16ELi64ELi256ELb0ELi7EEvPKT_PKT0_S7_ifPKiS9_S9_iPKfiiiPfSC_PS2_PT2_iSB_SB_
	.p2align	8
	.type	_Z39paged_attention_ll4mi_QKV_mfma16_kernelIDF16_hLN4vllm18Fp8KVCacheDataTypeE1EDF16_Li16ELi64ELi256ELb0ELi7EEvPKT_PKT0_S7_ifPKiS9_S9_iPKfiiiPfSC_PS2_PT2_iSB_SB_,@function
_Z39paged_attention_ll4mi_QKV_mfma16_kernelIDF16_hLN4vllm18Fp8KVCacheDataTypeE1EDF16_Li16ELi64ELi256ELb0ELi7EEvPKT_PKT0_S7_ifPKiS9_S9_iPKfiiiPfSC_PS2_PT2_iSB_SB_: ; @_Z39paged_attention_ll4mi_QKV_mfma16_kernelIDF16_hLN4vllm18Fp8KVCacheDataTypeE1EDF16_Li16ELi64ELi256ELb0ELi7EEvPKT_PKT0_S7_ifPKiS9_S9_iPKfiiiPfSC_PS2_PT2_iSB_SB_
; %bb.0:
	s_load_dwordx2 s[12:13], s[0:1], 0x30
	s_mov_b32 s28, s3
	s_mov_b64 s[6:7], 0
	s_waitcnt lgkmcnt(0)
	s_cmp_lg_u64 s[12:13], 0
	s_cselect_b64 s[14:15], -1, 0
	s_and_b64 vcc, exec, s[14:15]
	s_cbranch_vccz .LBB834_7
; %bb.1:
	s_add_i32 s8, s2, 1
	s_mov_b32 s9, 0
	s_lshl_b64 s[10:11], s[8:9], 2
	s_add_u32 s10, s12, s10
	s_mov_b32 s3, s9
	s_addc_u32 s11, s13, s11
	s_lshl_b64 s[8:9], s[2:3], 2
	s_add_u32 s8, s12, s8
	s_addc_u32 s9, s13, s9
	s_load_dword s5, s[10:11], 0x0
	s_load_dword s16, s[8:9], 0x0
	s_waitcnt lgkmcnt(0)
	s_sub_i32 s5, s5, s16
	s_cmp_eq_u32 s5, 1
	s_cselect_b64 s[8:9], -1, 0
	s_andn2_b64 vcc, exec, s[6:7]
	s_cbranch_vccnz .LBB834_3
.LBB834_2:
	s_mov_b32 s3, 0
	s_mov_b64 s[8:9], -1
.LBB834_3:
	s_andn2_b64 vcc, exec, s[8:9]
	s_cbranch_vccnz .LBB834_18
; %bb.4:
	s_load_dwordx2 s[6:7], s[0:1], 0x28
	s_lshl_b64 s[16:17], s[2:3], 2
	s_waitcnt lgkmcnt(0)
	s_add_u32 s6, s6, s16
	s_addc_u32 s7, s7, s17
	s_load_dword s33, s[6:7], 0x0
	s_lshl_b32 s5, s28, 8
	s_waitcnt lgkmcnt(0)
	s_cmp_ge_i32 s5, s33
	s_cbranch_scc1 .LBB834_18
; %bb.5:
	s_load_dwordx2 s[6:7], s[0:1], 0x20
	s_load_dword s8, s[0:1], 0x38
	s_add_i32 s9, s33, 15
	s_ashr_i32 s10, s9, 31
	v_and_b32_e32 v1, 0xcf, v0
	s_lshr_b32 s10, s10, 28
	v_add_u32_e32 v1, s5, v1
	s_add_i32 s9, s9, s10
	v_ashrrev_i32_e32 v2, 31, v1
	s_ashr_i32 s18, s9, 4
	v_lshrrev_b32_e32 v4, 28, v2
	s_add_i32 s18, s18, -1
	s_waitcnt lgkmcnt(0)
	s_mul_i32 s8, s2, s8
	s_mov_b32 s9, 0
	v_add_u32_e32 v2, v1, v4
	s_lshl_b64 s[8:9], s[8:9], 2
	v_ashrrev_i32_e32 v2, 4, v2
	v_mov_b32_e32 v5, s18
	v_cmp_gt_i32_e32 vcc, s33, v1
	s_add_u32 s6, s6, s8
	s_addc_u32 s7, s7, s9
	v_cndmask_b32_e32 v2, v5, v2, vcc
	v_ashrrev_i32_e32 v3, 31, v2
	v_lshl_add_u64 v[6:7], v[2:3], 2, s[6:7]
	v_or_b32_e32 v2, 16, v1
	v_add_u32_e32 v3, v2, v4
	v_ashrrev_i32_e32 v3, 4, v3
	v_cmp_gt_i32_e32 vcc, s33, v2
	s_load_dwordx4 s[8:11], s[0:1], 0x8
	s_nop 0
	v_cndmask_b32_e32 v2, v5, v3, vcc
	v_ashrrev_i32_e32 v3, 31, v2
	v_lshl_add_u64 v[10:11], v[2:3], 2, s[6:7]
	v_or_b32_e32 v2, 32, v1
	v_add_u32_e32 v3, v2, v4
	v_ashrrev_i32_e32 v3, 4, v3
	v_cmp_gt_i32_e32 vcc, s33, v2
	v_or_b32_e32 v1, 48, v1
	s_nop 0
	v_cndmask_b32_e32 v2, v5, v3, vcc
	v_ashrrev_i32_e32 v3, 31, v2
	v_lshl_add_u64 v[12:13], v[2:3], 2, s[6:7]
	v_add_u32_e32 v2, v1, v4
	v_ashrrev_i32_e32 v2, 4, v2
	v_cmp_gt_i32_e32 vcc, s33, v1
	s_nop 1
	v_cndmask_b32_e32 v2, v5, v2, vcc
	v_ashrrev_i32_e32 v3, 31, v2
	v_lshl_add_u64 v[14:15], v[2:3], 2, s[6:7]
	global_load_dword v4, v[6:7], off
	global_load_dword v3, v[10:11], off
	;; [unrolled: 1-line block ×4, first 2 shown]
	s_andn2_b64 vcc, exec, s[14:15]
	s_cbranch_vccnz .LBB834_8
; %bb.6:
	s_add_u32 s12, s12, s16
	s_addc_u32 s13, s13, s17
	s_load_dword s14, s[12:13], 0x0
	s_branch .LBB834_9
.LBB834_7:
	s_mov_b64 s[8:9], 0
	s_branch .LBB834_2
.LBB834_8:
	s_mov_b32 s14, s2
.LBB834_9:
	s_load_dwordx4 s[44:47], s[0:1], 0x48
	v_lshrrev_b32_e32 v29, 6, v0
	v_bfe_u32 v42, v0, 4, 2
	v_lshl_or_b32 v5, v29, 2, v42
	v_and_b32_e32 v28, 15, v0
	v_lshlrev_b32_e32 v1, 3, v28
	v_cmp_gt_u32_e32 vcc, 7, v5
	v_cmp_gt_u32_e64 s[30:31], 8, v28
	v_and_b32_e32 v43, 63, v0
	s_mul_i32 s48, s4, 7
	s_and_b64 s[16:17], s[30:31], vcc
	v_lshlrev_b32_e32 v26, 1, v1
	v_lshlrev_b32_e32 v1, 4, v0
	s_and_saveexec_b64 s[12:13], s[16:17]
	s_cbranch_execz .LBB834_11
; %bb.10:
	s_load_dwordx2 s[16:17], s[0:1], 0x0
	s_waitcnt lgkmcnt(0)
	s_ashr_i32 s15, s44, 31
	s_mul_hi_u32 s19, s14, s44
	s_mul_i32 s15, s14, s15
	s_add_i32 s15, s19, s15
	s_mul_i32 s14, s14, s44
	s_lshl_b64 s[14:15], s[14:15], 1
	s_add_u32 s14, s16, s14
	v_add_lshl_u32 v6, v5, s48, 6
	s_addc_u32 s15, s17, s15
	v_ashrrev_i32_e32 v7, 31, v6
	v_lshl_add_u64 v[6:7], v[6:7], 1, s[14:15]
	v_mov_b32_e32 v27, 0
	v_lshl_add_u64 v[6:7], v[6:7], 0, v[26:27]
	global_load_dwordx4 v[10:13], v[6:7], off
	v_lshlrev_b32_e32 v7, 8, v28
	v_lshlrev_b32_e32 v5, 5, v5
	v_and_b32_e32 v6, 16, v1
	v_and_b32_e32 v7, 0xe00, v7
	v_or3_b32 v5, v7, v5, v6
	s_waitcnt vmcnt(0)
	ds_write_b128 v5, v[10:13]
.LBB834_11:
	s_or_b64 exec, exec, s[12:13]
	s_waitcnt lgkmcnt(0)
	s_mul_i32 s4, s4, s46
	s_add_u32 s8, s8, s4
	s_addc_u32 s9, s9, 0
	v_and_b32_e32 v9, 48, v0
	v_and_b32_e32 v30, 0xf0, v1
	v_mov_b32_e32 v31, 0
	v_lshl_add_u64 v[6:7], s[8:9], 0, v[30:31]
	v_lshlrev_b32_e32 v30, 4, v9
	v_or_b32_e32 v9, s5, v9
	v_ashrrev_i32_e32 v10, 4, v9
	v_mov_b32_e32 v12, s18
	v_cmp_gt_i32_e32 vcc, s33, v9
	v_lshl_add_u64 v[6:7], v[6:7], 0, v[30:31]
	s_load_dword s29, s[0:1], 0x98
	s_load_dwordx4 s[40:43], s[0:1], 0x80
	v_cndmask_b32_e32 v10, v12, v10, vcc
	v_ashrrev_i32_e32 v11, 31, v10
	v_lshl_add_u64 v[10:11], v[10:11], 2, s[6:7]
	s_waitcnt lgkmcnt(0)
	s_barrier
	s_waitcnt vmcnt(3)
	v_mad_i64_i32 v[4:5], s[8:9], v4, s45, v[6:7]
	global_load_dword v38, v[10:11], off
	global_load_dwordx4 v[22:25], v[4:5], off
	s_waitcnt vmcnt(4)
	v_mad_i64_i32 v[4:5], s[8:9], v3, s45, v[6:7]
	global_load_dwordx4 v[18:21], v[4:5], off
	s_waitcnt vmcnt(4)
	v_mad_i64_i32 v[2:3], s[8:9], v2, s45, v[6:7]
	global_load_dwordx4 v[2:5], v[2:3], off
	v_mul_lo_u16_e32 v10, 37, v28
	v_mov_b32_e32 v11, 7
	v_mul_lo_u16_sdwa v10, v10, v11 dst_sel:DWORD dst_unused:UNUSED_PAD src0_sel:BYTE_1 src1_sel:DWORD
	v_mov_b32_e32 v13, 5
	v_sub_u16_e32 v10, v28, v10
	v_or_b32_e32 v11, 64, v9
	v_or_b32_e32 v15, 0x80, v9
	v_lshlrev_b32_sdwa v10, v13, v10 dst_sel:DWORD dst_unused:UNUSED_PAD src0_sel:DWORD src1_sel:BYTE_0
	v_ashrrev_i32_e32 v13, 4, v11
	v_cmp_gt_i32_e32 vcc, s33, v11
	v_or_b32_e32 v9, 0xc0, v9
	v_ashrrev_i32_e32 v16, 4, v15
	s_add_u32 s8, s10, s4
	v_cndmask_b32_e32 v32, v12, v13, vcc
	v_cmp_gt_i32_e32 vcc, s33, v15
	v_ashrrev_i32_e32 v17, 4, v9
	s_addc_u32 s9, s11, 0
	v_cndmask_b32_e32 v34, v12, v16, vcc
	v_cmp_gt_i32_e32 vcc, s33, v9
	s_waitcnt vmcnt(4)
	v_mad_i64_i32 v[6:7], s[10:11], v8, s45, v[6:7]
	v_lshl_add_u32 v27, v42, 9, v10
	v_cndmask_b32_e32 v36, v12, v17, vcc
	global_load_dwordx4 v[10:13], v[6:7], off
	v_ashrrev_i32_e32 v33, 31, v32
	v_ashrrev_i32_e32 v35, 31, v34
	;; [unrolled: 1-line block ×3, first 2 shown]
	v_lshlrev_b32_e32 v14, 4, v28
	v_lshl_add_u64 v[32:33], v[32:33], 2, s[6:7]
	v_lshl_add_u64 v[34:35], v[34:35], 2, s[6:7]
	;; [unrolled: 1-line block ×3, first 2 shown]
	v_lshl_or_b32 v30, v29, 8, v14
	ds_read_b128 v[14:17], v27
	ds_read_b128 v[6:9], v27 offset:16
	s_load_dword s4, s[40:41], 0x0
	global_load_dword v45, v[32:33], off
	global_load_dword v27, v[34:35], off
	;; [unrolled: 1-line block ×3, first 2 shown]
	v_lshl_add_u64 v[30:31], s[8:9], 0, v[30:31]
	s_load_dword s12, s[0:1], 0x1c
	s_mov_b32 s44, 0xff7fffff
	s_waitcnt vmcnt(7)
	v_mad_i64_i32 v[32:33], s[6:7], v38, s45, v[30:31]
	s_waitcnt vmcnt(6)
	v_cvt_pk_f32_fp8_e32 v[34:35], v22
	v_cvt_pk_f32_fp8_sdwa v[36:37], v22 src0_sel:WORD_1
	v_cvt_pk_f32_fp8_e32 v[38:39], v23
	v_cvt_pk_f32_fp8_sdwa v[40:41], v23 src0_sel:WORD_1
	v_cvt_pkrtz_f16_f32 v34, v34, v35
	v_cvt_pkrtz_f16_f32 v35, v36, v37
	s_waitcnt vmcnt(5)
	v_cvt_pk_f32_fp8_e32 v[22:23], v18
	v_cvt_pk_f32_fp8_e32 v[46:47], v24
	v_cvt_pk_f32_fp8_sdwa v[48:49], v24 src0_sel:WORD_1
	v_cvt_pkrtz_f16_f32 v38, v38, v39
	v_cvt_pkrtz_f16_f32 v39, v40, v41
	v_cvt_pk_f32_fp8_e32 v[50:51], v25
	v_cvt_pk_f32_fp8_sdwa v[52:53], v18 src0_sel:WORD_1
	v_cvt_pk_f32_fp8_sdwa v[54:55], v25 src0_sel:WORD_1
	v_cvt_pkrtz_f16_f32 v36, v22, v23
	s_waitcnt lgkmcnt(0)
	v_mfma_f32_16x16x16_f16 v[22:25], v[34:35], v[14:15], 0
	v_cvt_pkrtz_f16_f32 v40, v46, v47
	v_cvt_pkrtz_f16_f32 v41, v48, v49
	v_cvt_pk_f32_fp8_e32 v[56:57], v19
	v_cvt_pkrtz_f16_f32 v37, v52, v53
	v_cvt_pk_f32_fp8_sdwa v[18:19], v19 src0_sel:WORD_1
	v_mfma_f32_16x16x16_f16 v[22:25], v[38:39], v[16:17], v[22:25]
	v_cvt_pkrtz_f16_f32 v38, v50, v51
	v_cvt_pkrtz_f16_f32 v39, v54, v55
	v_cvt_pk_f32_fp8_e32 v[52:53], v20
	v_cvt_pk_f32_fp8_sdwa v[46:47], v20 src0_sel:WORD_1
	v_mfma_f32_16x16x16_f16 v[22:25], v[40:41], v[6:7], v[22:25]
	v_cvt_pkrtz_f16_f32 v50, v56, v57
	v_cvt_pkrtz_f16_f32 v51, v18, v19
	v_cvt_pk_f32_fp8_e32 v[48:49], v21
	v_mfma_f32_16x16x16_f16 v[34:37], v[36:37], v[14:15], 0
	v_mfma_f32_16x16x16_f16 v[38:41], v[38:39], v[8:9], v[22:25]
	s_nop 2
	v_cvt_pk_f32_fp8_sdwa v[22:23], v21 src0_sel:WORD_1
	v_cvt_pkrtz_f16_f32 v24, v52, v53
	v_cvt_pkrtz_f16_f32 v25, v46, v47
	v_mfma_f32_16x16x16_f16 v[18:21], v[50:51], v[16:17], v[34:37]
	s_waitcnt vmcnt(4)
	v_cvt_pk_f32_fp8_sdwa v[46:47], v4 src0_sel:WORD_1
	s_nop 0
	v_cvt_pkrtz_f16_f32 v34, v48, v49
	v_cvt_pkrtz_f16_f32 v35, v22, v23
	v_mfma_f32_16x16x16_f16 v[18:21], v[24:25], v[6:7], v[18:21]
	v_cvt_pk_f32_fp8_e32 v[22:23], v2
	v_cvt_pk_f32_fp8_sdwa v[24:25], v2 src0_sel:WORD_1
	v_mov_b32_e32 v36, s12
	v_mfma_f32_16x16x16_f16 v[18:21], v[34:35], v[8:9], v[18:21]
	v_cvt_pk_f32_fp8_e32 v[34:35], v3
	v_cvt_pkrtz_f16_f32 v22, v22, v23
	v_cvt_pkrtz_f16_f32 v23, v24, v25
	v_cvt_pk_f32_fp8_sdwa v[2:3], v3 src0_sel:WORD_1
	v_mul_f32_e32 v50, s4, v36
	v_cvt_pkrtz_f16_f32 v34, v34, v35
	v_cvt_pk_f32_fp8_e32 v[36:37], v4
	v_cvt_pkrtz_f16_f32 v35, v2, v3
	v_mfma_f32_16x16x16_f16 v[22:25], v[22:23], v[14:15], 0
	v_cvt_pk_f32_fp8_sdwa v[48:49], v5 src0_sel:WORD_1
	v_cvt_pkrtz_f16_f32 v36, v36, v37
	v_cvt_pkrtz_f16_f32 v37, v46, v47
	v_cvt_pk_f32_fp8_e32 v[46:47], v5
	v_mfma_f32_16x16x16_f16 v[2:5], v[34:35], v[16:17], v[22:25]
	s_nop 2
	v_cvt_pkrtz_f16_f32 v24, v46, v47
	v_cvt_pkrtz_f16_f32 v25, v48, v49
	v_mfma_f32_16x16x16_f16 v[34:37], v[36:37], v[6:7], v[2:5]
	v_pk_mul_f32 v[22:23], v[50:51], v[40:41] op_sel_hi:[0,1]
	s_waitcnt vmcnt(3)
	v_cvt_pk_f32_fp8_sdwa v[40:41], v12 src0_sel:WORD_1
	v_pk_mul_f32 v[2:3], v[50:51], v[38:39] op_sel_hi:[0,1]
	v_cvt_pk_f32_fp8_e32 v[4:5], v10
	v_cvt_pk_f32_fp8_sdwa v[38:39], v10 src0_sel:WORD_1
	v_mfma_f32_16x16x16_f16 v[46:49], v[24:25], v[8:9], v[34:37]
	v_cvt_pk_f32_fp8_e32 v[24:25], v11
	v_cvt_pkrtz_f16_f32 v4, v4, v5
	v_cvt_pkrtz_f16_f32 v5, v38, v39
	v_cvt_pk_f32_fp8_sdwa v[10:11], v11 src0_sel:WORD_1
	v_cvt_pkrtz_f16_f32 v24, v24, v25
	v_cvt_pk_f32_fp8_e32 v[38:39], v12
	v_mfma_f32_16x16x16_f16 v[34:37], v[4:5], v[14:15], 0
	v_cvt_pkrtz_f16_f32 v25, v10, v11
	v_cvt_pkrtz_f16_f32 v4, v38, v39
	;; [unrolled: 1-line block ×3, first 2 shown]
	v_cvt_pk_f32_fp8_e32 v[14:15], v13
	v_cvt_pk_f32_fp8_sdwa v[38:39], v13 src0_sel:WORD_1
	v_mfma_f32_16x16x16_f16 v[10:13], v[24:25], v[16:17], v[34:37]
	v_pk_mul_f32 v[40:41], v[50:51], v[18:19] op_sel_hi:[0,1]
	v_cvt_pkrtz_f16_f32 v14, v14, v15
	v_cvt_pkrtz_f16_f32 v15, v38, v39
	v_mfma_f32_16x16x16_f16 v[4:7], v[4:5], v[6:7], v[10:13]
	v_pk_mul_f32 v[36:37], v[50:51], v[20:21] op_sel_hi:[0,1]
	v_pk_mul_f32 v[38:39], v[50:51], v[46:47] op_sel_hi:[0,1]
	;; [unrolled: 1-line block ×3, first 2 shown]
	v_mfma_f32_16x16x16_f16 v[4:7], v[14:15], v[8:9], v[4:7]
	s_nop 6
	v_pk_mul_f32 v[24:25], v[50:51], v[4:5] op_sel_hi:[0,1]
	v_and_b32_e32 v4, 0xc0, v0
	v_add_u32_e32 v4, s5, v4
	v_lshl_or_b32 v4, v42, 2, v4
	v_pk_mul_f32 v[18:19], v[50:51], v[6:7] op_sel_hi:[0,1]
	v_or_b32_e32 v7, 1, v4
	v_mov_b32_e32 v5, 0xff7fffff
	v_cmp_gt_i32_e64 s[4:5], s33, v4
	v_cmp_gt_i32_e64 s[34:35], s33, v7
	v_or_b32_e32 v8, 3, v4
	v_cndmask_b32_e64 v6, v5, v2, s[4:5]
	v_cndmask_b32_e64 v7, v5, v3, s[34:35]
	v_max3_f32 v6, v6, s44, v7
	v_or_b32_e32 v7, 2, v4
	v_cmp_gt_i32_e64 s[36:37], s33, v7
	v_cmp_gt_i32_e64 s[38:39], s33, v8
	s_nop 0
	v_cndmask_b32_e64 v7, v5, v22, s[36:37]
	v_cndmask_b32_e64 v8, v5, v23, s[38:39]
	v_max3_f32 v6, v6, v7, v8
	v_or_b32_e32 v7, 16, v4
	v_or_b32_e32 v8, 17, v4
	v_cmp_gt_i32_e64 s[24:25], s33, v7
	v_cmp_gt_i32_e64 s[26:27], s33, v8
	s_nop 0
	v_cndmask_b32_e64 v7, v5, v40, s[24:25]
	v_cndmask_b32_e64 v8, v5, v41, s[26:27]
	v_max3_f32 v6, v6, v7, v8
	v_or_b32_e32 v7, 18, v4
	;; [unrolled: 8-line block ×6, first 2 shown]
	v_or_b32_e32 v4, 51, v4
	v_cmp_gt_i32_e32 vcc, s33, v7
	v_cmp_gt_i32_e64 s[6:7], s33, v4
	s_nop 0
	v_cndmask_b32_e32 v7, v5, v18, vcc
	v_cndmask_b32_e64 v4, v5, v19, s[6:7]
	v_max3_f32 v6, v6, v7, v4
	v_mbcnt_lo_u32_b32 v4, -1, 0
	v_mbcnt_hi_u32_b32 v7, -1, v4
	v_and_b32_e32 v4, 64, v7
	v_add_u32_e32 v8, 64, v4
	v_xor_b32_e32 v4, 32, v7
	v_cmp_lt_i32_e64 s[40:41], v4, v8
	s_nop 1
	v_cndmask_b32_e64 v4, v7, v4, s[40:41]
	v_lshlrev_b32_e32 v46, 2, v4
	ds_bpermute_b32 v9, v46, v6
	s_waitcnt vmcnt(2)
	v_mad_i64_i32 v[4:5], s[40:41], v45, s45, v[30:31]
	global_load_dwordx4 v[14:17], v[32:33], off
	global_load_dwordx4 v[10:13], v[4:5], off
	v_xor_b32_e32 v5, 16, v7
	v_cmp_lt_i32_e64 s[40:41], v5, v8
	s_waitcnt lgkmcnt(0)
	v_max_f32_e32 v4, v9, v9
	v_max_f32_e32 v4, v6, v4
	v_cndmask_b32_e64 v5, v7, v5, s[40:41]
	v_lshlrev_b32_e32 v45, 2, v5
	ds_bpermute_b32 v5, v45, v4
	s_waitcnt vmcnt(3)
	v_mad_i64_i32 v[20:21], s[40:41], v27, s45, v[30:31]
	s_waitcnt vmcnt(2)
	v_mad_i64_i32 v[30:31], s[40:41], v44, s45, v[30:31]
	s_waitcnt lgkmcnt(0)
	v_max_f32_e32 v5, v5, v5
	v_max_f32_e32 v27, v4, v5
	v_sub_f32_e32 v2, v2, v27
	v_mul_f32_e32 v2, 0x3fb8aa3b, v2
	v_exp_f32_e32 v32, v2
	v_sub_f32_e32 v2, v3, v27
	v_mul_f32_e32 v2, 0x3fb8aa3b, v2
	v_exp_f32_e32 v33, v2
	global_load_dwordx4 v[6:9], v[20:21], off
	global_load_dwordx4 v[2:5], v[30:31], off
	v_sub_f32_e32 v22, v22, v27
	v_mul_f32_e32 v22, 0x3fb8aa3b, v22
	v_sub_f32_e32 v23, v23, v27
	v_exp_f32_e32 v22, v22
	v_mul_f32_e32 v23, 0x3fb8aa3b, v23
	v_exp_f32_e32 v23, v23
	v_cndmask_b32_e64 v20, 0, v32, s[4:5]
	v_add_f32_e32 v30, 0, v20
	v_cndmask_b32_e64 v21, 0, v33, s[34:35]
	v_add_f32_e32 v30, v30, v21
	v_cndmask_b32_e64 v32, 0, v22, s[36:37]
	v_add_f32_e32 v22, v30, v32
	v_cndmask_b32_e64 v33, 0, v23, s[38:39]
	v_sub_f32_e32 v23, v40, v27
	v_sub_f32_e32 v30, v41, v27
	v_mul_f32_e32 v23, 0x3fb8aa3b, v23
	v_mul_f32_e32 v30, 0x3fb8aa3b, v30
	v_exp_f32_e32 v23, v23
	v_exp_f32_e32 v30, v30
	v_add_f32_e32 v31, v22, v33
	v_sub_f32_e32 v34, v34, v27
	v_cndmask_b32_e64 v22, 0, v23, s[24:25]
	v_cndmask_b32_e64 v23, 0, v30, s[26:27]
	v_sub_f32_e32 v30, v36, v27
	v_mul_f32_e32 v30, 0x3fb8aa3b, v30
	v_exp_f32_e32 v30, v30
	v_sub_f32_e32 v36, v37, v27
	v_add_f32_e32 v31, v31, v22
	v_mul_f32_e32 v36, 0x3fb8aa3b, v36
	v_exp_f32_e32 v37, v36
	v_add_f32_e32 v31, v31, v23
	v_cndmask_b32_e64 v36, 0, v30, s[20:21]
	v_add_f32_e32 v30, v31, v36
	v_sub_f32_e32 v31, v38, v27
	v_mul_f32_e32 v31, 0x3fb8aa3b, v31
	v_sub_f32_e32 v38, v39, v27
	v_exp_f32_e32 v31, v31
	v_mul_f32_e32 v38, 0x3fb8aa3b, v38
	v_exp_f32_e32 v38, v38
	v_mul_f32_e32 v34, 0x3fb8aa3b, v34
	v_sub_f32_e32 v35, v35, v27
	v_exp_f32_e32 v34, v34
	v_mul_f32_e32 v35, 0x3fb8aa3b, v35
	v_sub_f32_e32 v24, v24, v27
	v_cndmask_b32_e64 v37, 0, v37, s[22:23]
	v_exp_f32_e32 v35, v35
	v_mul_f32_e32 v24, 0x3fb8aa3b, v24
	v_sub_f32_e32 v25, v25, v27
	v_add_f32_e32 v39, v30, v37
	v_cndmask_b32_e64 v30, 0, v31, s[16:17]
	v_exp_f32_e32 v24, v24
	v_mul_f32_e32 v25, 0x3fb8aa3b, v25
	v_sub_f32_e32 v18, v18, v27
	v_add_f32_e32 v39, v39, v30
	;; [unrolled: 5-line block ×3, first 2 shown]
	v_cndmask_b32_e64 v34, 0, v34, s[12:13]
	v_exp_f32_e32 v18, v18
	v_mul_f32_e32 v19, 0x3fb8aa3b, v19
	v_add_f32_e32 v38, v38, v34
	v_cndmask_b32_e64 v35, 0, v35, s[14:15]
	v_exp_f32_e32 v19, v19
	v_add_f32_e32 v38, v38, v35
	v_cndmask_b32_e64 v24, 0, v24, s[8:9]
	v_add_f32_e32 v38, v38, v24
	v_cndmask_b32_e64 v25, 0, v25, s[10:11]
	v_add_f32_e32 v38, v38, v25
	v_cndmask_b32_e32 v18, 0, v18, vcc
	v_add_f32_e32 v38, v38, v18
	v_cndmask_b32_e64 v19, 0, v19, s[6:7]
	v_add_f32_e32 v38, v38, v19
	ds_bpermute_b32 v39, v46, v38
	v_cmp_gt_u32_e32 vcc, 16, v43
	s_waitcnt lgkmcnt(0)
	s_barrier
	v_add_f32_e32 v39, v38, v39
	ds_bpermute_b32 v40, v45, v39
	v_lshlrev_b32_e32 v38, 2, v28
	s_and_saveexec_b64 s[4:5], vcc
	s_cbranch_execz .LBB834_13
; %bb.12:
	s_waitcnt lgkmcnt(0)
	v_add_f32_e32 v39, v39, v40
	v_lshl_or_b32 v40, v29, 6, v38
	ds_write2st64_b32 v40, v27, v39 offset1:1
.LBB834_13:
	s_or_b64 exec, exec, s[4:5]
	s_load_dword s6, s[0:1], 0x94
	s_waitcnt lgkmcnt(0)
	s_barrier
	ds_read2_b32 v[40:41], v38 offset1:16
	ds_read2_b32 v[44:45], v38 offset0:32 offset1:48
	ds_read2_b32 v[46:47], v38 offset0:64 offset1:80
	s_mul_i32 s7, s29, 7
	s_waitcnt lgkmcnt(2)
	v_max3_f32 v27, v40, s44, v41
	s_waitcnt lgkmcnt(1)
	v_max3_f32 v27, v27, v44, v45
	v_sub_f32_e32 v39, v40, v27
	v_sub_f32_e32 v40, v41, v27
	v_mul_f32_e32 v40, 0x3fb8aa3b, v40
	v_mul_f32_e32 v39, 0x3fb8aa3b, v39
	v_exp_f32_e32 v43, v40
	v_sub_f32_e32 v40, v44, v27
	v_exp_f32_e32 v39, v39
	v_mul_f32_e32 v40, 0x3fb8aa3b, v40
	v_exp_f32_e32 v44, v40
	ds_read2_b32 v[40:41], v38 offset0:96 offset1:112
	v_sub_f32_e32 v38, v45, v27
	v_mul_f32_e32 v38, 0x3fb8aa3b, v38
	v_exp_f32_e32 v45, v38
	s_waitcnt lgkmcnt(1)
	v_fma_f32 v38, v39, v46, 0
	v_fmac_f32_e32 v38, v43, v47
	s_waitcnt lgkmcnt(0)
	v_fmac_f32_e32 v38, v44, v40
	v_fmac_f32_e32 v38, v45, v41
	v_add_f32_e32 v40, 0x358637bd, v38
	v_div_scale_f32 v41, s[4:5], v40, v40, 1.0
	v_rcp_f32_e32 v46, v41
	s_barrier
	v_fma_f32 v47, -v41, v46, 1.0
	v_fmac_f32_e32 v46, v47, v46
	v_div_scale_f32 v47, vcc, 1.0, v40, 1.0
	v_mul_f32_e32 v48, v47, v46
	v_fma_f32 v49, -v41, v48, v47
	v_fmac_f32_e32 v48, v49, v46
	v_fma_f32 v41, -v41, v48, v47
	v_div_fmas_f32 v41, v41, v46, v48
	v_cmp_eq_u32_e32 vcc, 1, v29
	v_div_fixup_f32 v40, v41, v40, 1.0
	s_nop 0
	v_cndmask_b32_e32 v39, v39, v43, vcc
	v_cmp_eq_u32_e32 vcc, 2, v29
	s_nop 1
	v_cndmask_b32_e32 v39, v39, v44, vcc
	v_cmp_eq_u32_e32 vcc, 3, v29
	v_lshlrev_b32_e32 v29, 11, v29
	s_nop 0
	v_cndmask_b32_e32 v39, v39, v45, vcc
	v_mul_f32_e32 v40, v39, v40
	v_pk_mul_f32 v[20:21], v[40:41], v[20:21] op_sel_hi:[0,1]
	v_pk_mul_f32 v[32:33], v[40:41], v[32:33] op_sel_hi:[0,1]
	v_cvt_f16_f32_e32 v20, v20
	v_cvt_f16_f32_e32 v21, v21
	v_pk_mul_f32 v[36:37], v[40:41], v[36:37] op_sel_hi:[0,1]
	v_pk_mul_f32 v[22:23], v[40:41], v[22:23] op_sel_hi:[0,1]
	v_cvt_f16_f32_e32 v39, v32
	v_cvt_f16_f32_e32 v33, v33
	;; [unrolled: 1-line block ×6, first 2 shown]
	v_pack_b32_f16 v32, v20, v21
	v_lshlrev_b32_e32 v20, 3, v42
	v_lshlrev_b32_e32 v21, 5, v28
	v_pack_b32_f16 v33, v39, v33
	v_or3_b32 v20, v29, v21, v20
	v_pack_b32_f16 v22, v22, v23
	v_pack_b32_f16 v23, v36, v37
	ds_write2st64_b64 v20, v[32:33], v[22:23] offset1:1
	v_pk_mul_f32 v[22:23], v[40:41], v[34:35] op_sel_hi:[0,1]
	v_pk_mul_f32 v[30:31], v[40:41], v[30:31] op_sel_hi:[0,1]
	v_cvt_f16_f32_e32 v29, v30
	v_cvt_f16_f32_e32 v30, v31
	v_cvt_f16_f32_e32 v31, v22
	v_cvt_f16_f32_e32 v32, v23
	v_pk_mul_f32 v[18:19], v[40:41], v[18:19] op_sel_hi:[0,1]
	v_pk_mul_f32 v[22:23], v[40:41], v[24:25] op_sel_hi:[0,1]
	v_cvt_f16_f32_e32 v22, v22
	v_cvt_f16_f32_e32 v23, v23
	;; [unrolled: 1-line block ×4, first 2 shown]
	v_pack_b32_f16 v18, v29, v30
	v_pack_b32_f16 v19, v31, v32
	v_pack_b32_f16 v22, v22, v23
	v_pack_b32_f16 v23, v24, v25
	v_cmp_gt_u32_e32 vcc, 7, v0
	ds_write2st64_b64 v20, v[18:19], v[22:23] offset0:2 offset1:3
	s_and_saveexec_b64 s[4:5], vcc
	s_cbranch_execz .LBB834_15
; %bb.14:
	s_mov_b32 s49, 0
	v_mov_b32_e32 v29, 0
	v_lshl_add_u64 v[18:19], s[48:49], 0, v[28:29]
	v_mov_b32_e32 v22, s7
	v_mad_u64_u32 v[18:19], s[12:13], s2, v22, v[18:19]
	s_mul_i32 s3, s3, s7
	v_mov_b32_e32 v28, s28
	s_load_dwordx4 s[8:11], s[0:1], 0x58
	v_add_u32_e32 v23, s3, v19
	v_mad_u64_u32 v[18:19], s[12:13], v18, s6, v[28:29]
	v_mov_b32_e32 v22, v19
	v_mad_u64_u32 v[22:23], s[12:13], v23, s6, v[22:23]
	v_mov_b32_e32 v19, v22
	v_lshlrev_b64 v[18:19], 2, v[18:19]
	s_waitcnt lgkmcnt(0)
	v_lshl_add_u64 v[22:23], s[10:11], 0, v[18:19]
	v_lshl_add_u64 v[18:19], s[8:9], 0, v[18:19]
	global_store_dword v[22:23], v27, off
	global_store_dword v[18:19], v38, off
.LBB834_15:
	s_or_b64 exec, exec, s[4:5]
	s_waitcnt vmcnt(3)
	v_cvt_pk_f32_fp8_e32 v[18:19], v14
	v_cvt_pk_f32_fp8_sdwa v[22:23], v14 src0_sel:WORD_1
	v_cvt_pk_f32_fp8_e32 v[24:25], v15
	v_lshl_or_b32 v14, v42, 9, v21
	s_waitcnt lgkmcnt(0)
	s_barrier
	v_cvt_pkrtz_f16_f32 v18, v18, v19
	v_cvt_pkrtz_f16_f32 v19, v22, v23
	v_cvt_pk_f32_fp8_sdwa v[28:29], v15 src0_sel:WORD_1
	v_cvt_pkrtz_f16_f32 v36, v24, v25
	ds_read_b128 v[22:25], v14
	v_cvt_pk_f32_fp8_e32 v[38:39], v16
	v_cvt_pkrtz_f16_f32 v37, v28, v29
	ds_read_b128 v[28:31], v14 offset:16
	v_cvt_pk_f32_fp8_sdwa v[40:41], v16 src0_sel:WORD_1
	s_waitcnt lgkmcnt(1)
	v_mfma_f32_16x16x16_f16 v[32:35], v[18:19], v[22:23], 0
	v_cvt_pkrtz_f16_f32 v18, v38, v39
	v_cvt_pk_f32_fp8_e32 v[38:39], v17
	v_cvt_pkrtz_f16_f32 v19, v40, v41
	v_mfma_f32_16x16x16_f16 v[22:25], v[36:37], v[24:25], v[32:35]
	s_waitcnt vmcnt(2)
	v_cvt_pk_f32_fp8_sdwa v[36:37], v12 src0_sel:WORD_1
	s_load_dword s4, s[42:43], 0x0
	v_cmp_gt_u32_e32 vcc, 64, v0
	v_cvt_pk_f32_fp8_sdwa v[32:33], v17 src0_sel:WORD_1
	v_cvt_pkrtz_f16_f32 v34, v38, v39
	s_waitcnt lgkmcnt(0)
	v_mfma_f32_16x16x16_f16 v[16:19], v[18:19], v[28:29], v[22:25]
	v_cvt_pk_f32_fp8_e32 v[28:29], v11
	v_cvt_pkrtz_f16_f32 v35, v32, v33
	s_mov_b32 s3, 0
	v_cvt_pk_f32_fp8_e32 v[22:23], v10
	v_cvt_pk_f32_fp8_sdwa v[24:25], v10 src0_sel:WORD_1
	v_mfma_f32_16x16x16_f16 v[16:19], v[34:35], v[30:31], v[16:19]
	v_cvt_pkrtz_f16_f32 v10, v22, v23
	v_cvt_pk_f32_fp8_sdwa v[30:31], v11 src0_sel:WORD_1
	v_cvt_pkrtz_f16_f32 v11, v24, v25
	ds_read_b128 v[22:25], v14 offset:2048
	v_cvt_pkrtz_f16_f32 v32, v28, v29
	v_cvt_pkrtz_f16_f32 v33, v30, v31
	ds_read_b128 v[28:31], v14 offset:2064
	v_cvt_pk_f32_fp8_e32 v[34:35], v12
	s_waitcnt lgkmcnt(1)
	v_mfma_f32_16x16x16_f16 v[16:19], v[10:11], v[22:23], v[16:19]
	v_cvt_pkrtz_f16_f32 v11, v36, v37
	v_cvt_pk_f32_fp8_e32 v[22:23], v13
	v_cvt_pkrtz_f16_f32 v10, v34, v35
	v_mfma_f32_16x16x16_f16 v[16:19], v[32:33], v[24:25], v[16:19]
	v_cvt_pk_f32_fp8_sdwa v[24:25], v13 src0_sel:WORD_1
	v_cvt_pkrtz_f16_f32 v22, v22, v23
	s_waitcnt vmcnt(1)
	v_cvt_pk_f32_fp8_sdwa v[32:33], v8 src0_sel:WORD_1
	s_waitcnt lgkmcnt(0)
	v_mfma_f32_16x16x16_f16 v[10:13], v[10:11], v[28:29], v[16:19]
	v_cvt_pkrtz_f16_f32 v23, v24, v25
	v_cvt_pk_f32_fp8_sdwa v[24:25], v7 src0_sel:WORD_1
	v_mov_b32_e32 v27, 0
	v_cvt_pk_f32_fp8_e32 v[16:17], v6
	v_cvt_pk_f32_fp8_sdwa v[18:19], v6 src0_sel:WORD_1
	v_mfma_f32_16x16x16_f16 v[10:13], v[22:23], v[30:31], v[10:13]
	v_cvt_pk_f32_fp8_e32 v[22:23], v7
	v_cvt_pkrtz_f16_f32 v6, v16, v17
	v_cvt_pkrtz_f16_f32 v7, v18, v19
	ds_read_b128 v[16:19], v14 offset:4096
	v_cvt_pkrtz_f16_f32 v28, v22, v23
	v_cvt_pkrtz_f16_f32 v29, v24, v25
	ds_read_b128 v[22:25], v14 offset:4112
	v_cvt_pk_f32_fp8_e32 v[30:31], v8
	s_waitcnt lgkmcnt(1)
	v_mfma_f32_16x16x16_f16 v[10:13], v[6:7], v[16:17], v[10:13]
	v_cvt_pkrtz_f16_f32 v7, v32, v33
	v_cvt_pk_f32_fp8_e32 v[16:17], v9
	v_cvt_pkrtz_f16_f32 v6, v30, v31
	v_mfma_f32_16x16x16_f16 v[10:13], v[28:29], v[18:19], v[10:13]
	v_cvt_pk_f32_fp8_sdwa v[18:19], v9 src0_sel:WORD_1
	v_cvt_pkrtz_f16_f32 v16, v16, v17
	v_cvt_pkrtz_f16_f32 v17, v18, v19
	s_waitcnt lgkmcnt(0)
	v_mfma_f32_16x16x16_f16 v[6:9], v[6:7], v[22:23], v[10:13]
	s_waitcnt vmcnt(0)
	v_cvt_pk_f32_fp8_sdwa v[18:19], v3 src0_sel:WORD_1
	s_nop 0
	v_cvt_pkrtz_f16_f32 v23, v18, v19
	v_cvt_pk_f32_fp8_e32 v[10:11], v2
	v_cvt_pk_f32_fp8_sdwa v[12:13], v2 src0_sel:WORD_1
	v_mfma_f32_16x16x16_f16 v[6:9], v[16:17], v[24:25], v[6:9]
	v_cvt_pk_f32_fp8_e32 v[16:17], v3
	v_cvt_pkrtz_f16_f32 v2, v10, v11
	v_cvt_pkrtz_f16_f32 v3, v12, v13
	ds_read_b128 v[10:13], v14 offset:6144
	v_cvt_pkrtz_f16_f32 v22, v16, v17
	v_cvt_pk_f32_fp8_e32 v[18:19], v4
	v_cvt_pk_f32_fp8_sdwa v[24:25], v4 src0_sel:WORD_1
	s_waitcnt lgkmcnt(0)
	v_mfma_f32_16x16x16_f16 v[6:9], v[2:3], v[10:11], v[6:9]
	ds_read_b128 v[14:17], v14 offset:6160
	v_cvt_pkrtz_f16_f32 v2, v18, v19
	v_cvt_pkrtz_f16_f32 v3, v24, v25
	v_cvt_pk_f32_fp8_e32 v[10:11], v5
	v_mfma_f32_16x16x16_f16 v[6:9], v[22:23], v[12:13], v[6:9]
	v_cvt_pk_f32_fp8_sdwa v[12:13], v5 src0_sel:WORD_1
	s_waitcnt lgkmcnt(0)
	v_cvt_pkrtz_f16_f32 v10, v10, v11
	v_mfma_f32_16x16x16_f16 v[2:5], v[2:3], v[14:15], v[6:9]
	v_cvt_pkrtz_f16_f32 v11, v12, v13
	s_barrier
	s_nop 0
	v_mfma_f32_16x16x16_f16 v[2:5], v[10:11], v[16:17], v[2:5]
	s_nop 6
	v_pk_mul_f32 v[4:5], v[4:5], s[4:5] op_sel_hi:[1,0]
	v_pk_mul_f32 v[2:3], v[2:3], s[4:5] op_sel_hi:[1,0]
	v_cvt_f16_f32_e32 v4, v4
	v_cvt_f16_f32_e32 v2, v2
	;; [unrolled: 1-line block ×4, first 2 shown]
	s_and_b64 s[4:5], vcc, s[30:31]
	v_pack_b32_f16 v2, v2, v3
	v_pack_b32_f16 v3, v4, v5
	ds_write_b64 v20, v[2:3]
	s_waitcnt lgkmcnt(0)
	s_barrier
	s_and_saveexec_b64 s[8:9], s[4:5]
	s_cbranch_execz .LBB834_18
; %bb.16:
	s_load_dwordx2 s[4:5], s[0:1], 0x68
	s_lshl_b32 s0, s6, 6
	s_mul_i32 s1, s7, s2
	s_mul_hi_u32 s7, s1, s0
	s_mul_i32 s6, s1, s0
	v_lshlrev_b32_e32 v0, 10, v0
	s_lshl_b64 s[6:7], s[6:7], 1
	v_and_b32_e32 v0, 0x1800, v0
	v_lshlrev_b32_e32 v2, 5, v42
	v_and_b32_e32 v1, 16, v1
	s_waitcnt lgkmcnt(0)
	s_add_u32 s1, s4, s6
	v_or3_b32 v2, v0, v2, v1
	s_addc_u32 s4, s5, s7
	s_lshl_b32 s2, s28, 6
	s_lshl_b64 s[2:3], s[2:3], 1
	ds_read_b128 v[4:7], v2
	s_add_u32 s2, s1, s2
	s_addc_u32 s3, s4, s3
	v_add_u32_e32 v3, s48, v42
	v_lshl_add_u64 v[0:1], s[2:3], 0, v[26:27]
	v_mad_u64_u32 v[8:9], s[2:3], v3, s0, 0
	v_lshl_add_u64 v[8:9], v[8:9], 1, v[0:1]
	v_cmp_ne_u32_e32 vcc, 3, v42
	s_waitcnt lgkmcnt(0)
	global_store_dwordx4 v[8:9], v[4:7], off
	s_and_b64 exec, exec, vcc
	s_cbranch_execz .LBB834_18
; %bb.17:
	ds_read_b128 v[2:5], v2 offset:128
	v_add3_u32 v6, s48, v42, 4
	v_mad_u64_u32 v[6:7], s[0:1], v6, s0, 0
	v_lshl_add_u64 v[0:1], v[6:7], 1, v[0:1]
	s_waitcnt lgkmcnt(0)
	global_store_dwordx4 v[0:1], v[2:5], off
.LBB834_18:
	s_endpgm
	.section	.rodata,"a",@progbits
	.p2align	6, 0x0
	.amdhsa_kernel _Z39paged_attention_ll4mi_QKV_mfma16_kernelIDF16_hLN4vllm18Fp8KVCacheDataTypeE1EDF16_Li16ELi64ELi256ELb0ELi7EEvPKT_PKT0_S7_ifPKiS9_S9_iPKfiiiPfSC_PS2_PT2_iSB_SB_
		.amdhsa_group_segment_fixed_size 8192
		.amdhsa_private_segment_fixed_size 0
		.amdhsa_kernarg_size 400
		.amdhsa_user_sgpr_count 2
		.amdhsa_user_sgpr_dispatch_ptr 0
		.amdhsa_user_sgpr_queue_ptr 0
		.amdhsa_user_sgpr_kernarg_segment_ptr 1
		.amdhsa_user_sgpr_dispatch_id 0
		.amdhsa_user_sgpr_kernarg_preload_length 0
		.amdhsa_user_sgpr_kernarg_preload_offset 0
		.amdhsa_user_sgpr_private_segment_size 0
		.amdhsa_uses_dynamic_stack 0
		.amdhsa_enable_private_segment 0
		.amdhsa_system_sgpr_workgroup_id_x 1
		.amdhsa_system_sgpr_workgroup_id_y 1
		.amdhsa_system_sgpr_workgroup_id_z 1
		.amdhsa_system_sgpr_workgroup_info 0
		.amdhsa_system_vgpr_workitem_id 0
		.amdhsa_next_free_vgpr 58
		.amdhsa_next_free_sgpr 50
		.amdhsa_accum_offset 60
		.amdhsa_reserve_vcc 1
		.amdhsa_float_round_mode_32 0
		.amdhsa_float_round_mode_16_64 0
		.amdhsa_float_denorm_mode_32 3
		.amdhsa_float_denorm_mode_16_64 3
		.amdhsa_dx10_clamp 1
		.amdhsa_ieee_mode 1
		.amdhsa_fp16_overflow 0
		.amdhsa_tg_split 0
		.amdhsa_exception_fp_ieee_invalid_op 0
		.amdhsa_exception_fp_denorm_src 0
		.amdhsa_exception_fp_ieee_div_zero 0
		.amdhsa_exception_fp_ieee_overflow 0
		.amdhsa_exception_fp_ieee_underflow 0
		.amdhsa_exception_fp_ieee_inexact 0
		.amdhsa_exception_int_div_zero 0
	.end_amdhsa_kernel
	.section	.text._Z39paged_attention_ll4mi_QKV_mfma16_kernelIDF16_hLN4vllm18Fp8KVCacheDataTypeE1EDF16_Li16ELi64ELi256ELb0ELi7EEvPKT_PKT0_S7_ifPKiS9_S9_iPKfiiiPfSC_PS2_PT2_iSB_SB_,"axG",@progbits,_Z39paged_attention_ll4mi_QKV_mfma16_kernelIDF16_hLN4vllm18Fp8KVCacheDataTypeE1EDF16_Li16ELi64ELi256ELb0ELi7EEvPKT_PKT0_S7_ifPKiS9_S9_iPKfiiiPfSC_PS2_PT2_iSB_SB_,comdat
.Lfunc_end834:
	.size	_Z39paged_attention_ll4mi_QKV_mfma16_kernelIDF16_hLN4vllm18Fp8KVCacheDataTypeE1EDF16_Li16ELi64ELi256ELb0ELi7EEvPKT_PKT0_S7_ifPKiS9_S9_iPKfiiiPfSC_PS2_PT2_iSB_SB_, .Lfunc_end834-_Z39paged_attention_ll4mi_QKV_mfma16_kernelIDF16_hLN4vllm18Fp8KVCacheDataTypeE1EDF16_Li16ELi64ELi256ELb0ELi7EEvPKT_PKT0_S7_ifPKiS9_S9_iPKfiiiPfSC_PS2_PT2_iSB_SB_
                                        ; -- End function
	.section	.AMDGPU.csdata,"",@progbits
; Kernel info:
; codeLenInByte = 4588
; NumSgprs: 56
; NumVgprs: 58
; NumAgprs: 0
; TotalNumVgprs: 58
; ScratchSize: 0
; MemoryBound: 0
; FloatMode: 240
; IeeeMode: 1
; LDSByteSize: 8192 bytes/workgroup (compile time only)
; SGPRBlocks: 6
; VGPRBlocks: 7
; NumSGPRsForWavesPerEU: 56
; NumVGPRsForWavesPerEU: 58
; AccumOffset: 60
; Occupancy: 8
; WaveLimiterHint : 1
; COMPUTE_PGM_RSRC2:SCRATCH_EN: 0
; COMPUTE_PGM_RSRC2:USER_SGPR: 2
; COMPUTE_PGM_RSRC2:TRAP_HANDLER: 0
; COMPUTE_PGM_RSRC2:TGID_X_EN: 1
; COMPUTE_PGM_RSRC2:TGID_Y_EN: 1
; COMPUTE_PGM_RSRC2:TGID_Z_EN: 1
; COMPUTE_PGM_RSRC2:TIDIG_COMP_CNT: 0
; COMPUTE_PGM_RSRC3_GFX90A:ACCUM_OFFSET: 14
; COMPUTE_PGM_RSRC3_GFX90A:TG_SPLIT: 0
	.section	.text._Z39paged_attention_ll4mi_QKV_mfma16_kernelIDF16_hLN4vllm18Fp8KVCacheDataTypeE1EDF16_Li16ELi64ELi256ELb0ELi8EEvPKT_PKT0_S7_ifPKiS9_S9_iPKfiiiPfSC_PS2_PT2_iSB_SB_,"axG",@progbits,_Z39paged_attention_ll4mi_QKV_mfma16_kernelIDF16_hLN4vllm18Fp8KVCacheDataTypeE1EDF16_Li16ELi64ELi256ELb0ELi8EEvPKT_PKT0_S7_ifPKiS9_S9_iPKfiiiPfSC_PS2_PT2_iSB_SB_,comdat
	.protected	_Z39paged_attention_ll4mi_QKV_mfma16_kernelIDF16_hLN4vllm18Fp8KVCacheDataTypeE1EDF16_Li16ELi64ELi256ELb0ELi8EEvPKT_PKT0_S7_ifPKiS9_S9_iPKfiiiPfSC_PS2_PT2_iSB_SB_ ; -- Begin function _Z39paged_attention_ll4mi_QKV_mfma16_kernelIDF16_hLN4vllm18Fp8KVCacheDataTypeE1EDF16_Li16ELi64ELi256ELb0ELi8EEvPKT_PKT0_S7_ifPKiS9_S9_iPKfiiiPfSC_PS2_PT2_iSB_SB_
	.globl	_Z39paged_attention_ll4mi_QKV_mfma16_kernelIDF16_hLN4vllm18Fp8KVCacheDataTypeE1EDF16_Li16ELi64ELi256ELb0ELi8EEvPKT_PKT0_S7_ifPKiS9_S9_iPKfiiiPfSC_PS2_PT2_iSB_SB_
	.p2align	8
	.type	_Z39paged_attention_ll4mi_QKV_mfma16_kernelIDF16_hLN4vllm18Fp8KVCacheDataTypeE1EDF16_Li16ELi64ELi256ELb0ELi8EEvPKT_PKT0_S7_ifPKiS9_S9_iPKfiiiPfSC_PS2_PT2_iSB_SB_,@function
_Z39paged_attention_ll4mi_QKV_mfma16_kernelIDF16_hLN4vllm18Fp8KVCacheDataTypeE1EDF16_Li16ELi64ELi256ELb0ELi8EEvPKT_PKT0_S7_ifPKiS9_S9_iPKfiiiPfSC_PS2_PT2_iSB_SB_: ; @_Z39paged_attention_ll4mi_QKV_mfma16_kernelIDF16_hLN4vllm18Fp8KVCacheDataTypeE1EDF16_Li16ELi64ELi256ELb0ELi8EEvPKT_PKT0_S7_ifPKiS9_S9_iPKfiiiPfSC_PS2_PT2_iSB_SB_
; %bb.0:
	s_load_dwordx2 s[12:13], s[0:1], 0x30
	s_mov_b32 s28, s3
	s_mov_b64 s[6:7], 0
	s_waitcnt lgkmcnt(0)
	s_cmp_lg_u64 s[12:13], 0
	s_cselect_b64 s[14:15], -1, 0
	s_and_b64 vcc, exec, s[14:15]
	s_cbranch_vccz .LBB835_7
; %bb.1:
	s_add_i32 s8, s2, 1
	s_mov_b32 s9, 0
	s_lshl_b64 s[10:11], s[8:9], 2
	s_add_u32 s10, s12, s10
	s_mov_b32 s3, s9
	s_addc_u32 s11, s13, s11
	s_lshl_b64 s[8:9], s[2:3], 2
	s_add_u32 s8, s12, s8
	s_addc_u32 s9, s13, s9
	s_load_dword s5, s[10:11], 0x0
	s_load_dword s16, s[8:9], 0x0
	s_waitcnt lgkmcnt(0)
	s_sub_i32 s5, s5, s16
	s_cmp_eq_u32 s5, 1
	s_cselect_b64 s[8:9], -1, 0
	s_andn2_b64 vcc, exec, s[6:7]
	s_cbranch_vccnz .LBB835_3
.LBB835_2:
	s_mov_b32 s3, 0
	s_mov_b64 s[8:9], -1
.LBB835_3:
	s_andn2_b64 vcc, exec, s[8:9]
	s_cbranch_vccnz .LBB835_17
; %bb.4:
	s_load_dwordx2 s[6:7], s[0:1], 0x28
	s_lshl_b64 s[16:17], s[2:3], 2
	s_waitcnt lgkmcnt(0)
	s_add_u32 s6, s6, s16
	s_addc_u32 s7, s7, s17
	s_load_dword s48, s[6:7], 0x0
	s_lshl_b32 s5, s28, 8
	s_waitcnt lgkmcnt(0)
	s_cmp_ge_i32 s5, s48
	s_cbranch_scc1 .LBB835_17
; %bb.5:
	s_load_dwordx2 s[6:7], s[0:1], 0x20
	s_load_dword s8, s[0:1], 0x38
	s_add_i32 s9, s48, 15
	s_ashr_i32 s10, s9, 31
	v_and_b32_e32 v1, 0xcf, v0
	s_lshr_b32 s10, s10, 28
	v_add_u32_e32 v1, s5, v1
	s_add_i32 s9, s9, s10
	v_ashrrev_i32_e32 v2, 31, v1
	s_ashr_i32 s18, s9, 4
	v_lshrrev_b32_e32 v4, 28, v2
	s_add_i32 s18, s18, -1
	s_waitcnt lgkmcnt(0)
	s_mul_i32 s8, s2, s8
	s_mov_b32 s9, 0
	v_add_u32_e32 v2, v1, v4
	s_lshl_b64 s[8:9], s[8:9], 2
	v_ashrrev_i32_e32 v2, 4, v2
	v_mov_b32_e32 v5, s18
	v_cmp_gt_i32_e32 vcc, s48, v1
	s_add_u32 s6, s6, s8
	s_addc_u32 s7, s7, s9
	v_cndmask_b32_e32 v2, v5, v2, vcc
	v_ashrrev_i32_e32 v3, 31, v2
	v_lshl_add_u64 v[6:7], v[2:3], 2, s[6:7]
	v_or_b32_e32 v2, 16, v1
	v_add_u32_e32 v3, v2, v4
	v_ashrrev_i32_e32 v3, 4, v3
	v_cmp_gt_i32_e32 vcc, s48, v2
	s_load_dwordx4 s[8:11], s[0:1], 0x8
	s_nop 0
	v_cndmask_b32_e32 v2, v5, v3, vcc
	v_ashrrev_i32_e32 v3, 31, v2
	v_lshl_add_u64 v[8:9], v[2:3], 2, s[6:7]
	v_or_b32_e32 v2, 32, v1
	v_add_u32_e32 v3, v2, v4
	v_ashrrev_i32_e32 v3, 4, v3
	v_cmp_gt_i32_e32 vcc, s48, v2
	v_or_b32_e32 v1, 48, v1
	s_nop 0
	v_cndmask_b32_e32 v2, v5, v3, vcc
	v_ashrrev_i32_e32 v3, 31, v2
	v_lshl_add_u64 v[10:11], v[2:3], 2, s[6:7]
	v_add_u32_e32 v2, v1, v4
	v_ashrrev_i32_e32 v2, 4, v2
	v_cmp_gt_i32_e32 vcc, s48, v1
	s_nop 1
	v_cndmask_b32_e32 v2, v5, v2, vcc
	v_ashrrev_i32_e32 v3, 31, v2
	v_lshl_add_u64 v[12:13], v[2:3], 2, s[6:7]
	global_load_dword v4, v[6:7], off
	global_load_dword v3, v[8:9], off
	;; [unrolled: 1-line block ×4, first 2 shown]
	s_andn2_b64 vcc, exec, s[14:15]
	s_cbranch_vccnz .LBB835_8
; %bb.6:
	s_add_u32 s12, s12, s16
	s_addc_u32 s13, s13, s17
	s_load_dword s14, s[12:13], 0x0
	s_branch .LBB835_9
.LBB835_7:
	s_mov_b64 s[8:9], 0
	s_branch .LBB835_2
.LBB835_8:
	s_mov_b32 s14, s2
.LBB835_9:
	s_load_dwordx4 s[44:47], s[0:1], 0x48
	v_and_b32_e32 v42, 15, v0
	s_movk_i32 s12, 0x80
	v_lshlrev_b32_e32 v5, 3, v42
	v_cmp_gt_u32_e32 vcc, s12, v0
	v_cmp_gt_u32_e64 s[30:31], 8, v42
	v_lshrrev_b32_e32 v41, 6, v0
	v_and_b32_e32 v43, 63, v0
	v_bfe_u32 v1, v0, 4, 2
	s_lshl_b32 s29, s4, 3
	s_and_b64 s[16:17], vcc, s[30:31]
	v_lshlrev_b32_e32 v26, 1, v5
	v_lshlrev_b32_e32 v40, 4, v0
	s_and_saveexec_b64 s[12:13], s[16:17]
	s_cbranch_execz .LBB835_11
; %bb.10:
	s_load_dwordx2 s[16:17], s[0:1], 0x0
	s_waitcnt lgkmcnt(0)
	s_ashr_i32 s15, s44, 31
	s_mul_hi_u32 s19, s14, s44
	s_mul_i32 s15, s14, s15
	s_add_i32 s15, s19, s15
	s_mul_i32 s14, s14, s44
	v_lshl_or_b32 v5, v41, 2, v1
	s_lshl_b64 s[14:15], s[14:15], 1
	s_add_u32 s14, s16, s14
	v_add_lshl_u32 v6, v5, s29, 6
	s_addc_u32 s15, s17, s15
	v_ashrrev_i32_e32 v7, 31, v6
	v_lshl_add_u64 v[6:7], v[6:7], 1, s[14:15]
	v_mov_b32_e32 v27, 0
	v_lshl_add_u64 v[6:7], v[6:7], 0, v[26:27]
	global_load_dwordx4 v[6:9], v[6:7], off
	v_lshlrev_b32_e32 v11, 8, v42
	v_lshlrev_b32_e32 v5, 5, v5
	v_and_b32_e32 v10, 16, v40
	v_and_b32_e32 v11, 0xe00, v11
	v_or3_b32 v5, v11, v5, v10
	s_waitcnt vmcnt(0)
	ds_write_b128 v5, v[6:9]
.LBB835_11:
	s_or_b64 exec, exec, s[12:13]
	s_waitcnt lgkmcnt(0)
	s_mul_i32 s4, s4, s46
	s_add_u32 s8, s8, s4
	s_addc_u32 s9, s9, 0
	v_and_b32_e32 v8, 48, v0
	v_and_b32_e32 v28, 0xf0, v40
	v_mov_b32_e32 v29, 0
	v_lshl_add_u64 v[6:7], s[8:9], 0, v[28:29]
	v_lshlrev_b32_e32 v28, 4, v8
	v_lshl_add_u64 v[16:17], v[6:7], 0, v[28:29]
	s_waitcnt vmcnt(3)
	v_mad_i64_i32 v[4:5], s[8:9], v4, s45, v[16:17]
	s_load_dword s33, s[0:1], 0x98
	s_load_dwordx4 s[40:43], s[0:1], 0x80
	s_waitcnt lgkmcnt(0)
	s_barrier
	global_load_dwordx4 v[22:25], v[4:5], off
	s_waitcnt vmcnt(3)
	v_mad_i64_i32 v[4:5], s[8:9], v3, s45, v[16:17]
	global_load_dwordx4 v[18:21], v[4:5], off
	v_or_b32_e32 v6, s5, v8
	v_mov_b32_e32 v27, s18
	v_ashrrev_i32_e32 v3, 4, v6
	v_cmp_gt_i32_e32 vcc, s48, v6
	v_or_b32_e32 v15, 64, v6
	v_ashrrev_i32_e32 v30, 4, v15
	v_cndmask_b32_e32 v4, v27, v3, vcc
	s_waitcnt vmcnt(3)
	v_mad_i64_i32 v[2:3], s[8:9], v2, s45, v[16:17]
	global_load_dwordx4 v[10:13], v[2:3], off
	v_and_b32_e32 v2, 7, v0
	v_ashrrev_i32_e32 v5, 31, v4
	v_lshlrev_b32_e32 v2, 5, v2
	v_lshl_add_u64 v[4:5], v[4:5], 2, s[6:7]
	v_lshl_or_b32 v2, v1, 9, v2
	v_cmp_gt_i32_e32 vcc, s48, v15
	s_waitcnt vmcnt(3)
	v_mad_i64_i32 v[14:15], s[12:13], v14, s45, v[16:17]
	global_load_dword v56, v[4:5], off
	v_or_b32_e32 v31, 0x80, v6
	v_or_b32_e32 v33, 0xc0, v6
	ds_read_b128 v[6:9], v2
	ds_read_b128 v[2:5], v2 offset:16
	global_load_dwordx4 v[14:17], v[14:15], off
	v_ashrrev_i32_e32 v32, 4, v31
	v_cndmask_b32_e32 v30, v27, v30, vcc
	v_cmp_gt_i32_e32 vcc, s48, v31
	v_ashrrev_i32_e32 v34, 4, v33
	v_ashrrev_i32_e32 v31, 31, v30
	v_cndmask_b32_e32 v32, v27, v32, vcc
	v_cmp_gt_i32_e32 vcc, s48, v33
	v_ashrrev_i32_e32 v33, 31, v32
	v_lshl_add_u64 v[30:31], v[30:31], 2, s[6:7]
	v_cndmask_b32_e32 v34, v27, v34, vcc
	v_ashrrev_i32_e32 v35, 31, v34
	v_lshl_add_u64 v[32:33], v[32:33], 2, s[6:7]
	s_add_u32 s8, s10, s4
	s_load_dword s4, s[40:41], 0x0
	v_lshl_add_u64 v[34:35], v[34:35], 2, s[6:7]
	global_load_dword v45, v[30:31], off
	global_load_dword v27, v[32:33], off
	;; [unrolled: 1-line block ×3, first 2 shown]
	s_load_dword s14, s[0:1], 0x1c
	s_mov_b32 s44, 0xff7fffff
	v_lshlrev_b32_e32 v28, 4, v42
	s_addc_u32 s9, s11, 0
	v_lshl_or_b32 v28, v41, 8, v28
	s_waitcnt lgkmcnt(0)
	v_mov_b32_e32 v57, s14
	v_lshl_add_u64 v[28:29], s[8:9], 0, v[28:29]
	s_waitcnt vmcnt(7)
	v_cvt_pk_f32_fp8_e32 v[30:31], v22
	v_cvt_pk_f32_fp8_sdwa v[32:33], v22 src0_sel:WORD_1
	v_cvt_pk_f32_fp8_e32 v[34:35], v23
	v_cvt_pk_f32_fp8_sdwa v[36:37], v23 src0_sel:WORD_1
	s_waitcnt vmcnt(6)
	v_cvt_pk_f32_fp8_e32 v[22:23], v18
	v_cvt_pk_f32_fp8_sdwa v[50:51], v18 src0_sel:WORD_1
	v_cvt_pkrtz_f16_f32 v30, v30, v31
	v_cvt_pkrtz_f16_f32 v31, v32, v33
	v_cvt_pk_f32_fp8_e32 v[54:55], v19
	v_cvt_pkrtz_f16_f32 v32, v22, v23
	v_cvt_pkrtz_f16_f32 v33, v50, v51
	v_cvt_pk_f32_fp8_sdwa v[18:19], v19 src0_sel:WORD_1
	v_cvt_pkrtz_f16_f32 v34, v34, v35
	v_cvt_pkrtz_f16_f32 v35, v36, v37
	v_cvt_pk_f32_fp8_e32 v[38:39], v24
	v_cvt_pk_f32_fp8_sdwa v[46:47], v24 src0_sel:WORD_1
	v_cvt_pk_f32_fp8_e32 v[48:49], v25
	v_cvt_pk_f32_fp8_sdwa v[52:53], v25 src0_sel:WORD_1
	v_mfma_f32_16x16x16_f16 v[22:25], v[30:31], v[6:7], 0
	v_cvt_pkrtz_f16_f32 v50, v54, v55
	v_cvt_pkrtz_f16_f32 v51, v18, v19
	v_cvt_pk_f32_fp8_e32 v[36:37], v20
	v_mfma_f32_16x16x16_f16 v[30:33], v[32:33], v[6:7], 0
	v_cvt_pk_f32_fp8_sdwa v[18:19], v20 src0_sel:WORD_1
	v_mfma_f32_16x16x16_f16 v[22:25], v[34:35], v[8:9], v[22:25]
	v_cvt_pkrtz_f16_f32 v34, v38, v39
	v_cvt_pkrtz_f16_f32 v35, v46, v47
	v_cvt_pk_f32_fp8_e32 v[38:39], v21
	v_mfma_f32_16x16x16_f16 v[30:33], v[50:51], v[8:9], v[30:33]
	v_cvt_pkrtz_f16_f32 v46, v48, v49
	v_cvt_pkrtz_f16_f32 v47, v52, v53
	v_cvt_pk_f32_fp8_sdwa v[48:49], v21 src0_sel:WORD_1
	v_cvt_pkrtz_f16_f32 v50, v36, v37
	v_cvt_pkrtz_f16_f32 v51, v18, v19
	v_mfma_f32_16x16x16_f16 v[22:25], v[34:35], v[2:3], v[22:25]
	v_cvt_pkrtz_f16_f32 v18, v38, v39
	v_cvt_pkrtz_f16_f32 v19, v48, v49
	s_waitcnt vmcnt(5)
	v_cvt_pk_f32_fp8_sdwa v[38:39], v13 src0_sel:WORD_1
	v_mfma_f32_16x16x16_f16 v[34:37], v[46:47], v[4:5], v[22:25]
	s_waitcnt vmcnt(4)
	v_mad_i64_i32 v[20:21], s[6:7], v56, s45, v[28:29]
	v_mfma_f32_16x16x16_f16 v[22:25], v[50:51], v[2:3], v[30:33]
	v_mul_f32_e32 v50, s4, v57
	s_nop 1
	v_cvt_pk_f32_fp8_e32 v[30:31], v10
	v_cvt_pk_f32_fp8_sdwa v[32:33], v10 src0_sel:WORD_1
	v_mfma_f32_16x16x16_f16 v[46:49], v[18:19], v[4:5], v[22:25]
	v_cvt_pk_f32_fp8_e32 v[18:19], v11
	v_cvt_pk_f32_fp8_sdwa v[10:11], v11 src0_sel:WORD_1
	v_cvt_pkrtz_f16_f32 v18, v18, v19
	v_cvt_pkrtz_f16_f32 v22, v30, v31
	;; [unrolled: 1-line block ×3, first 2 shown]
	v_cvt_pk_f32_fp8_e32 v[30:31], v12
	v_cvt_pk_f32_fp8_sdwa v[32:33], v12 src0_sel:WORD_1
	v_cvt_pkrtz_f16_f32 v19, v10, v11
	v_mfma_f32_16x16x16_f16 v[22:25], v[22:23], v[6:7], 0
	v_cvt_pkrtz_f16_f32 v30, v30, v31
	v_cvt_pkrtz_f16_f32 v31, v32, v33
	v_cvt_pk_f32_fp8_e32 v[32:33], v13
	v_mfma_f32_16x16x16_f16 v[10:13], v[18:19], v[8:9], v[22:25]
	v_cvt_pkrtz_f16_f32 v19, v38, v39
	s_waitcnt vmcnt(3)
	v_cvt_pk_f32_fp8_sdwa v[38:39], v16 src0_sel:WORD_1
	v_cvt_pkrtz_f16_f32 v18, v32, v33
	v_mfma_f32_16x16x16_f16 v[10:13], v[30:31], v[2:3], v[10:13]
	v_cvt_pk_f32_fp8_e32 v[24:25], v14
	v_cvt_pk_f32_fp8_sdwa v[30:31], v14 src0_sel:WORD_1
	v_pk_mul_f32 v[22:23], v[50:51], v[36:37] op_sel_hi:[0,1]
	v_mfma_f32_16x16x16_f16 v[10:13], v[18:19], v[4:5], v[10:13]
	v_cvt_pk_f32_fp8_e32 v[18:19], v15
	v_cvt_pkrtz_f16_f32 v24, v24, v25
	v_cvt_pkrtz_f16_f32 v25, v30, v31
	v_cvt_pk_f32_fp8_sdwa v[14:15], v15 src0_sel:WORD_1
	v_cvt_pkrtz_f16_f32 v18, v18, v19
	v_cvt_pk_f32_fp8_e32 v[30:31], v16
	v_pk_mul_f32 v[32:33], v[50:51], v[34:35] op_sel_hi:[0,1]
	v_cvt_pkrtz_f16_f32 v19, v14, v15
	v_mfma_f32_16x16x16_f16 v[34:37], v[24:25], v[6:7], 0
	v_cvt_pkrtz_f16_f32 v14, v30, v31
	v_cvt_pkrtz_f16_f32 v15, v38, v39
	v_cvt_pk_f32_fp8_e32 v[24:25], v17
	v_cvt_pk_f32_fp8_sdwa v[16:17], v17 src0_sel:WORD_1
	v_mfma_f32_16x16x16_f16 v[6:9], v[18:19], v[8:9], v[34:37]
	v_pk_mul_f32 v[38:39], v[50:51], v[46:47] op_sel_hi:[0,1]
	v_cvt_pkrtz_f16_f32 v18, v24, v25
	v_cvt_pkrtz_f16_f32 v19, v16, v17
	v_mfma_f32_16x16x16_f16 v[6:9], v[14:15], v[2:3], v[6:9]
	v_pk_mul_f32 v[34:35], v[50:51], v[48:49] op_sel_hi:[0,1]
	v_pk_mul_f32 v[36:37], v[50:51], v[10:11] op_sel_hi:[0,1]
	;; [unrolled: 1-line block ×3, first 2 shown]
	v_mfma_f32_16x16x16_f16 v[2:5], v[18:19], v[4:5], v[6:9]
	s_nop 6
	v_pk_mul_f32 v[24:25], v[50:51], v[2:3] op_sel_hi:[0,1]
	v_and_b32_e32 v2, 0xc0, v0
	v_add_u32_e32 v2, s5, v2
	v_lshl_or_b32 v2, v1, 2, v2
	v_pk_mul_f32 v[18:19], v[50:51], v[4:5] op_sel_hi:[0,1]
	v_or_b32_e32 v5, 1, v2
	v_mov_b32_e32 v3, 0xff7fffff
	v_cmp_gt_i32_e64 s[4:5], s48, v2
	v_cmp_gt_i32_e64 s[34:35], s48, v5
	v_or_b32_e32 v6, 3, v2
	v_cndmask_b32_e64 v4, v3, v32, s[4:5]
	v_cndmask_b32_e64 v5, v3, v33, s[34:35]
	v_max3_f32 v4, v4, s44, v5
	v_or_b32_e32 v5, 2, v2
	v_cmp_gt_i32_e64 s[36:37], s48, v5
	v_cmp_gt_i32_e64 s[38:39], s48, v6
	s_nop 0
	v_cndmask_b32_e64 v5, v3, v22, s[36:37]
	v_cndmask_b32_e64 v6, v3, v23, s[38:39]
	v_max3_f32 v4, v4, v5, v6
	v_or_b32_e32 v5, 16, v2
	v_or_b32_e32 v6, 17, v2
	v_cmp_gt_i32_e64 s[24:25], s48, v5
	v_cmp_gt_i32_e64 s[26:27], s48, v6
	s_nop 0
	v_cndmask_b32_e64 v5, v3, v38, s[24:25]
	v_cndmask_b32_e64 v6, v3, v39, s[26:27]
	v_max3_f32 v4, v4, v5, v6
	v_or_b32_e32 v5, 18, v2
	;; [unrolled: 8-line block ×6, first 2 shown]
	v_or_b32_e32 v2, 51, v2
	v_cmp_gt_i32_e32 vcc, s48, v5
	v_cmp_gt_i32_e64 s[6:7], s48, v2
	s_nop 0
	v_cndmask_b32_e32 v5, v3, v18, vcc
	v_cndmask_b32_e64 v2, v3, v19, s[6:7]
	v_max3_f32 v4, v4, v5, v2
	v_mbcnt_lo_u32_b32 v2, -1, 0
	v_mbcnt_hi_u32_b32 v5, -1, v2
	v_and_b32_e32 v2, 64, v5
	v_add_u32_e32 v6, 64, v2
	v_xor_b32_e32 v2, 32, v5
	v_cmp_lt_i32_e64 s[40:41], v2, v6
	s_nop 1
	v_cndmask_b32_e64 v2, v5, v2, s[40:41]
	v_lshlrev_b32_e32 v46, 2, v2
	ds_bpermute_b32 v7, v46, v4
	s_waitcnt vmcnt(2)
	v_mad_i64_i32 v[2:3], s[40:41], v45, s45, v[28:29]
	global_load_dwordx4 v[14:17], v[20:21], off
	global_load_dwordx4 v[10:13], v[2:3], off
	v_xor_b32_e32 v3, 16, v5
	v_cmp_lt_i32_e64 s[40:41], v3, v6
	s_waitcnt lgkmcnt(0)
	v_max_f32_e32 v2, v7, v7
	v_max_f32_e32 v2, v4, v2
	v_cndmask_b32_e64 v3, v5, v3, s[40:41]
	v_lshlrev_b32_e32 v45, 2, v3
	ds_bpermute_b32 v3, v45, v2
	s_waitcnt vmcnt(3)
	v_mad_i64_i32 v[20:21], s[40:41], v27, s45, v[28:29]
	s_waitcnt vmcnt(2)
	v_mad_i64_i32 v[28:29], s[40:41], v44, s45, v[28:29]
	s_waitcnt lgkmcnt(0)
	v_max_f32_e32 v3, v3, v3
	v_max_f32_e32 v27, v2, v3
	v_sub_f32_e32 v2, v32, v27
	v_mul_f32_e32 v2, 0x3fb8aa3b, v2
	v_exp_f32_e32 v32, v2
	v_sub_f32_e32 v2, v33, v27
	v_mul_f32_e32 v2, 0x3fb8aa3b, v2
	v_exp_f32_e32 v33, v2
	global_load_dwordx4 v[6:9], v[20:21], off
	global_load_dwordx4 v[2:5], v[28:29], off
	v_sub_f32_e32 v22, v22, v27
	v_mul_f32_e32 v22, 0x3fb8aa3b, v22
	v_sub_f32_e32 v23, v23, v27
	v_exp_f32_e32 v22, v22
	v_mul_f32_e32 v23, 0x3fb8aa3b, v23
	v_exp_f32_e32 v23, v23
	v_cndmask_b32_e64 v20, 0, v32, s[4:5]
	v_add_f32_e32 v28, 0, v20
	v_cndmask_b32_e64 v21, 0, v33, s[34:35]
	v_add_f32_e32 v28, v28, v21
	;; [unrolled: 2-line block ×3, first 2 shown]
	v_cndmask_b32_e64 v33, 0, v23, s[38:39]
	v_sub_f32_e32 v23, v38, v27
	v_sub_f32_e32 v28, v39, v27
	v_mul_f32_e32 v23, 0x3fb8aa3b, v23
	v_mul_f32_e32 v28, 0x3fb8aa3b, v28
	v_exp_f32_e32 v23, v23
	v_exp_f32_e32 v28, v28
	v_add_f32_e32 v29, v22, v33
	v_sub_f32_e32 v30, v30, v27
	v_cndmask_b32_e64 v22, 0, v23, s[24:25]
	v_cndmask_b32_e64 v23, 0, v28, s[26:27]
	v_sub_f32_e32 v28, v34, v27
	v_mul_f32_e32 v28, 0x3fb8aa3b, v28
	v_exp_f32_e32 v28, v28
	v_sub_f32_e32 v34, v35, v27
	v_add_f32_e32 v29, v29, v22
	v_mul_f32_e32 v34, 0x3fb8aa3b, v34
	v_exp_f32_e32 v35, v34
	v_add_f32_e32 v29, v29, v23
	v_cndmask_b32_e64 v34, 0, v28, s[20:21]
	v_add_f32_e32 v28, v29, v34
	v_sub_f32_e32 v29, v36, v27
	v_mul_f32_e32 v29, 0x3fb8aa3b, v29
	v_sub_f32_e32 v36, v37, v27
	v_exp_f32_e32 v29, v29
	v_mul_f32_e32 v36, 0x3fb8aa3b, v36
	v_exp_f32_e32 v36, v36
	v_mul_f32_e32 v30, 0x3fb8aa3b, v30
	v_sub_f32_e32 v31, v31, v27
	v_exp_f32_e32 v30, v30
	v_mul_f32_e32 v31, 0x3fb8aa3b, v31
	v_sub_f32_e32 v24, v24, v27
	v_cndmask_b32_e64 v35, 0, v35, s[22:23]
	v_exp_f32_e32 v31, v31
	v_mul_f32_e32 v24, 0x3fb8aa3b, v24
	v_sub_f32_e32 v25, v25, v27
	v_add_f32_e32 v37, v28, v35
	v_cndmask_b32_e64 v28, 0, v29, s[16:17]
	v_exp_f32_e32 v24, v24
	v_mul_f32_e32 v25, 0x3fb8aa3b, v25
	v_sub_f32_e32 v18, v18, v27
	v_add_f32_e32 v37, v37, v28
	;; [unrolled: 5-line block ×3, first 2 shown]
	v_cndmask_b32_e64 v30, 0, v30, s[12:13]
	v_exp_f32_e32 v18, v18
	v_mul_f32_e32 v19, 0x3fb8aa3b, v19
	v_add_f32_e32 v36, v36, v30
	v_cndmask_b32_e64 v31, 0, v31, s[14:15]
	v_exp_f32_e32 v19, v19
	v_add_f32_e32 v36, v36, v31
	v_cndmask_b32_e64 v24, 0, v24, s[8:9]
	v_add_f32_e32 v36, v36, v24
	v_cndmask_b32_e64 v25, 0, v25, s[10:11]
	v_add_f32_e32 v36, v36, v25
	v_cndmask_b32_e32 v18, 0, v18, vcc
	v_add_f32_e32 v36, v36, v18
	v_cndmask_b32_e64 v19, 0, v19, s[6:7]
	v_add_f32_e32 v36, v36, v19
	ds_bpermute_b32 v37, v46, v36
	v_cmp_gt_u32_e32 vcc, 16, v43
	s_waitcnt lgkmcnt(0)
	s_barrier
	v_add_f32_e32 v37, v36, v37
	ds_bpermute_b32 v38, v45, v37
	v_lshlrev_b32_e32 v36, 2, v42
	s_and_saveexec_b64 s[4:5], vcc
	s_cbranch_execz .LBB835_13
; %bb.12:
	s_waitcnt lgkmcnt(0)
	v_add_f32_e32 v37, v37, v38
	v_lshl_or_b32 v38, v41, 6, v36
	ds_write2st64_b32 v38, v27, v37 offset1:1
.LBB835_13:
	s_or_b64 exec, exec, s[4:5]
	s_load_dword s6, s[0:1], 0x94
	s_waitcnt lgkmcnt(0)
	s_barrier
	ds_read2_b32 v[38:39], v36 offset1:16
	ds_read2_b32 v[44:45], v36 offset0:32 offset1:48
	ds_read2_b32 v[46:47], v36 offset0:64 offset1:80
	s_lshl_b32 s7, s33, 3
	s_waitcnt lgkmcnt(2)
	v_max3_f32 v27, v38, s44, v39
	s_waitcnt lgkmcnt(1)
	v_max3_f32 v27, v27, v44, v45
	v_sub_f32_e32 v37, v38, v27
	v_sub_f32_e32 v38, v39, v27
	v_mul_f32_e32 v38, 0x3fb8aa3b, v38
	v_mul_f32_e32 v37, 0x3fb8aa3b, v37
	v_exp_f32_e32 v43, v38
	v_sub_f32_e32 v38, v44, v27
	v_exp_f32_e32 v37, v37
	v_mul_f32_e32 v38, 0x3fb8aa3b, v38
	v_exp_f32_e32 v44, v38
	ds_read2_b32 v[38:39], v36 offset0:96 offset1:112
	v_sub_f32_e32 v36, v45, v27
	v_mul_f32_e32 v36, 0x3fb8aa3b, v36
	v_exp_f32_e32 v45, v36
	s_waitcnt lgkmcnt(1)
	v_fma_f32 v36, v37, v46, 0
	v_fmac_f32_e32 v36, v43, v47
	s_waitcnt lgkmcnt(0)
	v_fmac_f32_e32 v36, v44, v38
	v_fmac_f32_e32 v36, v45, v39
	v_add_f32_e32 v38, 0x358637bd, v36
	v_div_scale_f32 v39, s[4:5], v38, v38, 1.0
	v_rcp_f32_e32 v46, v39
	s_barrier
	v_fma_f32 v47, -v39, v46, 1.0
	v_fmac_f32_e32 v46, v47, v46
	v_div_scale_f32 v47, vcc, 1.0, v38, 1.0
	v_mul_f32_e32 v48, v47, v46
	v_fma_f32 v49, -v39, v48, v47
	v_fmac_f32_e32 v48, v49, v46
	v_fma_f32 v39, -v39, v48, v47
	v_div_fmas_f32 v39, v39, v46, v48
	v_cmp_eq_u32_e32 vcc, 1, v41
	v_div_fixup_f32 v38, v39, v38, 1.0
	s_nop 0
	v_cndmask_b32_e32 v37, v37, v43, vcc
	v_cmp_eq_u32_e32 vcc, 2, v41
	s_nop 1
	v_cndmask_b32_e32 v37, v37, v44, vcc
	v_cmp_eq_u32_e32 vcc, 3, v41
	s_nop 1
	v_cndmask_b32_e32 v37, v37, v45, vcc
	v_mul_f32_e32 v38, v37, v38
	v_pk_mul_f32 v[32:33], v[38:39], v[32:33] op_sel_hi:[0,1]
	v_pk_mul_f32 v[20:21], v[38:39], v[20:21] op_sel_hi:[0,1]
	v_cvt_f16_f32_e32 v20, v20
	v_cvt_f16_f32_e32 v21, v21
	;; [unrolled: 1-line block ×4, first 2 shown]
	v_pk_mul_f32 v[34:35], v[38:39], v[34:35] op_sel_hi:[0,1]
	v_pk_mul_f32 v[22:23], v[38:39], v[22:23] op_sel_hi:[0,1]
	v_cvt_f16_f32_e32 v22, v22
	v_cvt_f16_f32_e32 v23, v23
	;; [unrolled: 1-line block ×4, first 2 shown]
	v_pack_b32_f16 v32, v20, v21
	v_pack_b32_f16 v33, v37, v33
	v_lshlrev_b32_e32 v20, 3, v1
	v_lshlrev_b32_e32 v21, 5, v42
	;; [unrolled: 1-line block ×3, first 2 shown]
	v_or3_b32 v20, v37, v21, v20
	v_pack_b32_f16 v22, v22, v23
	v_pack_b32_f16 v23, v34, v35
	ds_write2st64_b64 v20, v[32:33], v[22:23] offset1:1
	v_pk_mul_f32 v[22:23], v[38:39], v[30:31] op_sel_hi:[0,1]
	v_pk_mul_f32 v[28:29], v[38:39], v[28:29] op_sel_hi:[0,1]
	v_cvt_f16_f32_e32 v30, v22
	v_cvt_f16_f32_e32 v31, v23
	v_pk_mul_f32 v[18:19], v[38:39], v[18:19] op_sel_hi:[0,1]
	v_pk_mul_f32 v[22:23], v[38:39], v[24:25] op_sel_hi:[0,1]
	v_cvt_f16_f32_e32 v28, v28
	v_cvt_f16_f32_e32 v29, v29
	;; [unrolled: 1-line block ×6, first 2 shown]
	v_pack_b32_f16 v18, v28, v29
	v_pack_b32_f16 v19, v30, v31
	;; [unrolled: 1-line block ×4, first 2 shown]
	v_cmp_gt_u32_e32 vcc, 8, v0
	ds_write2st64_b64 v20, v[18:19], v[22:23] offset0:2 offset1:3
	s_and_saveexec_b64 s[4:5], vcc
	s_cbranch_execz .LBB835_15
; %bb.14:
	v_or_b32_e32 v18, s29, v0
	v_mov_b32_e32 v19, 0
	v_mov_b32_e32 v22, s7
	v_mad_u64_u32 v[22:23], s[12:13], s2, v22, v[18:19]
	v_mov_b32_e32 v18, s28
	s_load_dwordx4 s[8:11], s[0:1], 0x58
	s_mul_i32 s3, s3, s7
	v_mad_u64_u32 v[18:19], s[12:13], v22, s6, v[18:19]
	v_add_u32_e32 v23, s3, v23
	v_mov_b32_e32 v22, v19
	v_mad_u64_u32 v[22:23], s[12:13], v23, s6, v[22:23]
	v_mov_b32_e32 v19, v22
	v_lshlrev_b64 v[18:19], 2, v[18:19]
	s_waitcnt lgkmcnt(0)
	v_lshl_add_u64 v[22:23], s[10:11], 0, v[18:19]
	v_lshl_add_u64 v[18:19], s[8:9], 0, v[18:19]
	global_store_dword v[22:23], v27, off
	global_store_dword v[18:19], v36, off
.LBB835_15:
	s_or_b64 exec, exec, s[4:5]
	s_waitcnt vmcnt(3)
	v_cvt_pk_f32_fp8_e32 v[18:19], v14
	v_cvt_pk_f32_fp8_sdwa v[22:23], v14 src0_sel:WORD_1
	v_cvt_pk_f32_fp8_e32 v[24:25], v15
	v_lshl_or_b32 v14, v1, 9, v21
	s_waitcnt lgkmcnt(0)
	s_barrier
	v_cvt_pkrtz_f16_f32 v18, v18, v19
	v_cvt_pkrtz_f16_f32 v19, v22, v23
	v_cvt_pk_f32_fp8_sdwa v[28:29], v15 src0_sel:WORD_1
	v_cvt_pkrtz_f16_f32 v36, v24, v25
	ds_read_b128 v[22:25], v14
	v_cvt_pk_f32_fp8_e32 v[38:39], v16
	v_cvt_pkrtz_f16_f32 v37, v28, v29
	ds_read_b128 v[28:31], v14 offset:16
	v_cvt_pk_f32_fp8_sdwa v[42:43], v16 src0_sel:WORD_1
	s_waitcnt lgkmcnt(1)
	v_mfma_f32_16x16x16_f16 v[32:35], v[18:19], v[22:23], 0
	v_cvt_pkrtz_f16_f32 v18, v38, v39
	v_cvt_pk_f32_fp8_e32 v[38:39], v17
	v_cvt_pkrtz_f16_f32 v19, v42, v43
	v_mfma_f32_16x16x16_f16 v[22:25], v[36:37], v[24:25], v[32:35]
	s_waitcnt vmcnt(2)
	v_cvt_pk_f32_fp8_sdwa v[36:37], v12 src0_sel:WORD_1
	s_load_dword s4, s[42:43], 0x0
	v_cmp_gt_u32_e32 vcc, 64, v0
	v_cvt_pk_f32_fp8_sdwa v[32:33], v17 src0_sel:WORD_1
	v_cvt_pkrtz_f16_f32 v34, v38, v39
	s_waitcnt lgkmcnt(0)
	v_mfma_f32_16x16x16_f16 v[16:19], v[18:19], v[28:29], v[22:25]
	v_cvt_pk_f32_fp8_e32 v[28:29], v11
	v_cvt_pkrtz_f16_f32 v35, v32, v33
	s_mov_b32 s3, 0
	v_cvt_pk_f32_fp8_e32 v[22:23], v10
	v_cvt_pk_f32_fp8_sdwa v[24:25], v10 src0_sel:WORD_1
	v_mfma_f32_16x16x16_f16 v[16:19], v[34:35], v[30:31], v[16:19]
	v_cvt_pkrtz_f16_f32 v10, v22, v23
	v_cvt_pk_f32_fp8_sdwa v[30:31], v11 src0_sel:WORD_1
	v_cvt_pkrtz_f16_f32 v11, v24, v25
	ds_read_b128 v[22:25], v14 offset:2048
	v_cvt_pkrtz_f16_f32 v32, v28, v29
	v_cvt_pkrtz_f16_f32 v33, v30, v31
	ds_read_b128 v[28:31], v14 offset:2064
	v_cvt_pk_f32_fp8_e32 v[34:35], v12
	s_waitcnt lgkmcnt(1)
	v_mfma_f32_16x16x16_f16 v[16:19], v[10:11], v[22:23], v[16:19]
	v_cvt_pkrtz_f16_f32 v11, v36, v37
	v_cvt_pk_f32_fp8_e32 v[22:23], v13
	v_cvt_pkrtz_f16_f32 v10, v34, v35
	v_mfma_f32_16x16x16_f16 v[16:19], v[32:33], v[24:25], v[16:19]
	v_cvt_pk_f32_fp8_sdwa v[24:25], v13 src0_sel:WORD_1
	v_cvt_pkrtz_f16_f32 v22, v22, v23
	s_waitcnt vmcnt(1)
	v_cvt_pk_f32_fp8_sdwa v[32:33], v8 src0_sel:WORD_1
	s_waitcnt lgkmcnt(0)
	v_mfma_f32_16x16x16_f16 v[10:13], v[10:11], v[28:29], v[16:19]
	v_cvt_pkrtz_f16_f32 v23, v24, v25
	v_cvt_pk_f32_fp8_sdwa v[24:25], v7 src0_sel:WORD_1
	v_mov_b32_e32 v27, 0
	v_cvt_pk_f32_fp8_e32 v[16:17], v6
	v_cvt_pk_f32_fp8_sdwa v[18:19], v6 src0_sel:WORD_1
	v_mfma_f32_16x16x16_f16 v[10:13], v[22:23], v[30:31], v[10:13]
	v_cvt_pk_f32_fp8_e32 v[22:23], v7
	v_cvt_pkrtz_f16_f32 v6, v16, v17
	v_cvt_pkrtz_f16_f32 v7, v18, v19
	ds_read_b128 v[16:19], v14 offset:4096
	v_cvt_pkrtz_f16_f32 v28, v22, v23
	v_cvt_pkrtz_f16_f32 v29, v24, v25
	ds_read_b128 v[22:25], v14 offset:4112
	v_cvt_pk_f32_fp8_e32 v[30:31], v8
	s_waitcnt lgkmcnt(1)
	v_mfma_f32_16x16x16_f16 v[10:13], v[6:7], v[16:17], v[10:13]
	v_cvt_pkrtz_f16_f32 v7, v32, v33
	v_cvt_pk_f32_fp8_e32 v[16:17], v9
	v_cvt_pkrtz_f16_f32 v6, v30, v31
	v_mfma_f32_16x16x16_f16 v[10:13], v[28:29], v[18:19], v[10:13]
	v_cvt_pk_f32_fp8_sdwa v[18:19], v9 src0_sel:WORD_1
	v_cvt_pkrtz_f16_f32 v16, v16, v17
	v_cvt_pkrtz_f16_f32 v17, v18, v19
	s_waitcnt lgkmcnt(0)
	v_mfma_f32_16x16x16_f16 v[6:9], v[6:7], v[22:23], v[10:13]
	s_waitcnt vmcnt(0)
	v_cvt_pk_f32_fp8_sdwa v[18:19], v3 src0_sel:WORD_1
	s_nop 0
	v_cvt_pkrtz_f16_f32 v23, v18, v19
	v_cvt_pk_f32_fp8_e32 v[10:11], v2
	v_cvt_pk_f32_fp8_sdwa v[12:13], v2 src0_sel:WORD_1
	v_mfma_f32_16x16x16_f16 v[6:9], v[16:17], v[24:25], v[6:9]
	v_cvt_pk_f32_fp8_e32 v[16:17], v3
	v_cvt_pkrtz_f16_f32 v2, v10, v11
	v_cvt_pkrtz_f16_f32 v3, v12, v13
	ds_read_b128 v[10:13], v14 offset:6144
	v_cvt_pkrtz_f16_f32 v22, v16, v17
	v_cvt_pk_f32_fp8_e32 v[18:19], v4
	v_cvt_pk_f32_fp8_sdwa v[24:25], v4 src0_sel:WORD_1
	s_waitcnt lgkmcnt(0)
	v_mfma_f32_16x16x16_f16 v[6:9], v[2:3], v[10:11], v[6:9]
	ds_read_b128 v[14:17], v14 offset:6160
	v_cvt_pkrtz_f16_f32 v2, v18, v19
	v_cvt_pkrtz_f16_f32 v3, v24, v25
	v_cvt_pk_f32_fp8_e32 v[10:11], v5
	v_mfma_f32_16x16x16_f16 v[6:9], v[22:23], v[12:13], v[6:9]
	v_cvt_pk_f32_fp8_sdwa v[12:13], v5 src0_sel:WORD_1
	s_waitcnt lgkmcnt(0)
	v_cvt_pkrtz_f16_f32 v10, v10, v11
	v_mfma_f32_16x16x16_f16 v[2:5], v[2:3], v[14:15], v[6:9]
	v_cvt_pkrtz_f16_f32 v11, v12, v13
	s_barrier
	s_nop 0
	v_mfma_f32_16x16x16_f16 v[2:5], v[10:11], v[16:17], v[2:5]
	s_nop 6
	v_pk_mul_f32 v[4:5], v[4:5], s[4:5] op_sel_hi:[1,0]
	v_pk_mul_f32 v[2:3], v[2:3], s[4:5] op_sel_hi:[1,0]
	v_cvt_f16_f32_e32 v4, v4
	v_cvt_f16_f32_e32 v2, v2
	;; [unrolled: 1-line block ×4, first 2 shown]
	s_and_b64 s[4:5], vcc, s[30:31]
	v_pack_b32_f16 v2, v2, v3
	v_pack_b32_f16 v3, v4, v5
	ds_write_b64 v20, v[2:3]
	s_waitcnt lgkmcnt(0)
	s_barrier
	s_and_saveexec_b64 s[8:9], s[4:5]
	s_cbranch_execz .LBB835_17
; %bb.16:
	s_load_dwordx2 s[0:1], s[0:1], 0x68
	s_lshl_b32 s6, s6, 6
	s_mul_i32 s2, s7, s2
	s_mul_hi_u32 s5, s2, s6
	s_mul_i32 s4, s2, s6
	s_lshl_b64 s[4:5], s[4:5], 1
	v_lshlrev_b32_e32 v0, 10, v0
	s_waitcnt lgkmcnt(0)
	s_add_u32 s4, s0, s4
	v_and_b32_e32 v0, 0x1800, v0
	v_lshlrev_b32_e32 v2, 5, v1
	v_and_b32_e32 v3, 16, v40
	s_addc_u32 s5, s1, s5
	s_lshl_b32 s2, s28, 6
	v_or3_b32 v0, v0, v2, v3
	s_lshl_b64 s[0:1], s[2:3], 1
	ds_read_b128 v[2:5], v0
	ds_read_b128 v[6:9], v0 offset:128
	s_add_u32 s0, s4, s0
	s_addc_u32 s1, s5, s1
	v_or_b32_e32 v12, s29, v1
	v_lshl_add_u64 v[10:11], s[0:1], 0, v[26:27]
	v_mad_u64_u32 v[0:1], s[0:1], v12, s6, 0
	v_lshl_add_u64 v[0:1], v[0:1], 1, v[10:11]
	s_waitcnt lgkmcnt(1)
	global_store_dwordx4 v[0:1], v[2:5], off
	v_or_b32_e32 v0, 4, v12
	v_mad_u64_u32 v[0:1], s[0:1], v0, s6, 0
	v_lshl_add_u64 v[0:1], v[0:1], 1, v[10:11]
	s_waitcnt lgkmcnt(0)
	global_store_dwordx4 v[0:1], v[6:9], off
.LBB835_17:
	s_endpgm
	.section	.rodata,"a",@progbits
	.p2align	6, 0x0
	.amdhsa_kernel _Z39paged_attention_ll4mi_QKV_mfma16_kernelIDF16_hLN4vllm18Fp8KVCacheDataTypeE1EDF16_Li16ELi64ELi256ELb0ELi8EEvPKT_PKT0_S7_ifPKiS9_S9_iPKfiiiPfSC_PS2_PT2_iSB_SB_
		.amdhsa_group_segment_fixed_size 8192
		.amdhsa_private_segment_fixed_size 0
		.amdhsa_kernarg_size 400
		.amdhsa_user_sgpr_count 2
		.amdhsa_user_sgpr_dispatch_ptr 0
		.amdhsa_user_sgpr_queue_ptr 0
		.amdhsa_user_sgpr_kernarg_segment_ptr 1
		.amdhsa_user_sgpr_dispatch_id 0
		.amdhsa_user_sgpr_kernarg_preload_length 0
		.amdhsa_user_sgpr_kernarg_preload_offset 0
		.amdhsa_user_sgpr_private_segment_size 0
		.amdhsa_uses_dynamic_stack 0
		.amdhsa_enable_private_segment 0
		.amdhsa_system_sgpr_workgroup_id_x 1
		.amdhsa_system_sgpr_workgroup_id_y 1
		.amdhsa_system_sgpr_workgroup_id_z 1
		.amdhsa_system_sgpr_workgroup_info 0
		.amdhsa_system_vgpr_workitem_id 0
		.amdhsa_next_free_vgpr 58
		.amdhsa_next_free_sgpr 49
		.amdhsa_accum_offset 60
		.amdhsa_reserve_vcc 1
		.amdhsa_float_round_mode_32 0
		.amdhsa_float_round_mode_16_64 0
		.amdhsa_float_denorm_mode_32 3
		.amdhsa_float_denorm_mode_16_64 3
		.amdhsa_dx10_clamp 1
		.amdhsa_ieee_mode 1
		.amdhsa_fp16_overflow 0
		.amdhsa_tg_split 0
		.amdhsa_exception_fp_ieee_invalid_op 0
		.amdhsa_exception_fp_denorm_src 0
		.amdhsa_exception_fp_ieee_div_zero 0
		.amdhsa_exception_fp_ieee_overflow 0
		.amdhsa_exception_fp_ieee_underflow 0
		.amdhsa_exception_fp_ieee_inexact 0
		.amdhsa_exception_int_div_zero 0
	.end_amdhsa_kernel
	.section	.text._Z39paged_attention_ll4mi_QKV_mfma16_kernelIDF16_hLN4vllm18Fp8KVCacheDataTypeE1EDF16_Li16ELi64ELi256ELb0ELi8EEvPKT_PKT0_S7_ifPKiS9_S9_iPKfiiiPfSC_PS2_PT2_iSB_SB_,"axG",@progbits,_Z39paged_attention_ll4mi_QKV_mfma16_kernelIDF16_hLN4vllm18Fp8KVCacheDataTypeE1EDF16_Li16ELi64ELi256ELb0ELi8EEvPKT_PKT0_S7_ifPKiS9_S9_iPKfiiiPfSC_PS2_PT2_iSB_SB_,comdat
.Lfunc_end835:
	.size	_Z39paged_attention_ll4mi_QKV_mfma16_kernelIDF16_hLN4vllm18Fp8KVCacheDataTypeE1EDF16_Li16ELi64ELi256ELb0ELi8EEvPKT_PKT0_S7_ifPKiS9_S9_iPKfiiiPfSC_PS2_PT2_iSB_SB_, .Lfunc_end835-_Z39paged_attention_ll4mi_QKV_mfma16_kernelIDF16_hLN4vllm18Fp8KVCacheDataTypeE1EDF16_Li16ELi64ELi256ELb0ELi8EEvPKT_PKT0_S7_ifPKiS9_S9_iPKfiiiPfSC_PS2_PT2_iSB_SB_
                                        ; -- End function
	.section	.AMDGPU.csdata,"",@progbits
; Kernel info:
; codeLenInByte = 4536
; NumSgprs: 55
; NumVgprs: 58
; NumAgprs: 0
; TotalNumVgprs: 58
; ScratchSize: 0
; MemoryBound: 0
; FloatMode: 240
; IeeeMode: 1
; LDSByteSize: 8192 bytes/workgroup (compile time only)
; SGPRBlocks: 6
; VGPRBlocks: 7
; NumSGPRsForWavesPerEU: 55
; NumVGPRsForWavesPerEU: 58
; AccumOffset: 60
; Occupancy: 8
; WaveLimiterHint : 1
; COMPUTE_PGM_RSRC2:SCRATCH_EN: 0
; COMPUTE_PGM_RSRC2:USER_SGPR: 2
; COMPUTE_PGM_RSRC2:TRAP_HANDLER: 0
; COMPUTE_PGM_RSRC2:TGID_X_EN: 1
; COMPUTE_PGM_RSRC2:TGID_Y_EN: 1
; COMPUTE_PGM_RSRC2:TGID_Z_EN: 1
; COMPUTE_PGM_RSRC2:TIDIG_COMP_CNT: 0
; COMPUTE_PGM_RSRC3_GFX90A:ACCUM_OFFSET: 14
; COMPUTE_PGM_RSRC3_GFX90A:TG_SPLIT: 0
	.section	.text._Z39paged_attention_ll4mi_QKV_mfma16_kernelIDF16_hLN4vllm18Fp8KVCacheDataTypeE1EDF16_Li16ELi64ELi256ELb0ELi9EEvPKT_PKT0_S7_ifPKiS9_S9_iPKfiiiPfSC_PS2_PT2_iSB_SB_,"axG",@progbits,_Z39paged_attention_ll4mi_QKV_mfma16_kernelIDF16_hLN4vllm18Fp8KVCacheDataTypeE1EDF16_Li16ELi64ELi256ELb0ELi9EEvPKT_PKT0_S7_ifPKiS9_S9_iPKfiiiPfSC_PS2_PT2_iSB_SB_,comdat
	.protected	_Z39paged_attention_ll4mi_QKV_mfma16_kernelIDF16_hLN4vllm18Fp8KVCacheDataTypeE1EDF16_Li16ELi64ELi256ELb0ELi9EEvPKT_PKT0_S7_ifPKiS9_S9_iPKfiiiPfSC_PS2_PT2_iSB_SB_ ; -- Begin function _Z39paged_attention_ll4mi_QKV_mfma16_kernelIDF16_hLN4vllm18Fp8KVCacheDataTypeE1EDF16_Li16ELi64ELi256ELb0ELi9EEvPKT_PKT0_S7_ifPKiS9_S9_iPKfiiiPfSC_PS2_PT2_iSB_SB_
	.globl	_Z39paged_attention_ll4mi_QKV_mfma16_kernelIDF16_hLN4vllm18Fp8KVCacheDataTypeE1EDF16_Li16ELi64ELi256ELb0ELi9EEvPKT_PKT0_S7_ifPKiS9_S9_iPKfiiiPfSC_PS2_PT2_iSB_SB_
	.p2align	8
	.type	_Z39paged_attention_ll4mi_QKV_mfma16_kernelIDF16_hLN4vllm18Fp8KVCacheDataTypeE1EDF16_Li16ELi64ELi256ELb0ELi9EEvPKT_PKT0_S7_ifPKiS9_S9_iPKfiiiPfSC_PS2_PT2_iSB_SB_,@function
_Z39paged_attention_ll4mi_QKV_mfma16_kernelIDF16_hLN4vllm18Fp8KVCacheDataTypeE1EDF16_Li16ELi64ELi256ELb0ELi9EEvPKT_PKT0_S7_ifPKiS9_S9_iPKfiiiPfSC_PS2_PT2_iSB_SB_: ; @_Z39paged_attention_ll4mi_QKV_mfma16_kernelIDF16_hLN4vllm18Fp8KVCacheDataTypeE1EDF16_Li16ELi64ELi256ELb0ELi9EEvPKT_PKT0_S7_ifPKiS9_S9_iPKfiiiPfSC_PS2_PT2_iSB_SB_
; %bb.0:
	s_load_dwordx2 s[12:13], s[0:1], 0x30
	s_mov_b32 s28, s3
	s_mov_b64 s[6:7], 0
	s_waitcnt lgkmcnt(0)
	s_cmp_lg_u64 s[12:13], 0
	s_cselect_b64 s[14:15], -1, 0
	s_and_b64 vcc, exec, s[14:15]
	s_cbranch_vccz .LBB836_7
; %bb.1:
	s_add_i32 s8, s2, 1
	s_mov_b32 s9, 0
	s_lshl_b64 s[10:11], s[8:9], 2
	s_add_u32 s10, s12, s10
	s_mov_b32 s3, s9
	s_addc_u32 s11, s13, s11
	s_lshl_b64 s[8:9], s[2:3], 2
	s_add_u32 s8, s12, s8
	s_addc_u32 s9, s13, s9
	s_load_dword s5, s[10:11], 0x0
	s_load_dword s16, s[8:9], 0x0
	s_waitcnt lgkmcnt(0)
	s_sub_i32 s5, s5, s16
	s_cmp_eq_u32 s5, 1
	s_cselect_b64 s[8:9], -1, 0
	s_andn2_b64 vcc, exec, s[6:7]
	s_cbranch_vccnz .LBB836_3
.LBB836_2:
	s_mov_b32 s3, 0
	s_mov_b64 s[8:9], -1
.LBB836_3:
	s_andn2_b64 vcc, exec, s[8:9]
	s_cbranch_vccnz .LBB836_18
; %bb.4:
	s_load_dwordx2 s[6:7], s[0:1], 0x28
	s_lshl_b64 s[16:17], s[2:3], 2
	s_waitcnt lgkmcnt(0)
	s_add_u32 s6, s6, s16
	s_addc_u32 s7, s7, s17
	s_load_dword s33, s[6:7], 0x0
	s_lshl_b32 s5, s28, 8
	s_waitcnt lgkmcnt(0)
	s_cmp_ge_i32 s5, s33
	s_cbranch_scc1 .LBB836_18
; %bb.5:
	s_load_dwordx2 s[6:7], s[0:1], 0x20
	s_load_dword s8, s[0:1], 0x38
	s_add_i32 s9, s33, 15
	s_ashr_i32 s10, s9, 31
	v_and_b32_e32 v1, 0xcf, v0
	s_lshr_b32 s10, s10, 28
	v_add_u32_e32 v1, s5, v1
	s_add_i32 s9, s9, s10
	v_ashrrev_i32_e32 v2, 31, v1
	s_ashr_i32 s18, s9, 4
	v_lshrrev_b32_e32 v4, 28, v2
	s_add_i32 s18, s18, -1
	s_waitcnt lgkmcnt(0)
	s_mul_i32 s8, s2, s8
	s_mov_b32 s9, 0
	v_add_u32_e32 v2, v1, v4
	s_lshl_b64 s[8:9], s[8:9], 2
	v_ashrrev_i32_e32 v2, 4, v2
	v_mov_b32_e32 v5, s18
	v_cmp_gt_i32_e32 vcc, s33, v1
	s_add_u32 s6, s6, s8
	s_addc_u32 s7, s7, s9
	v_cndmask_b32_e32 v2, v5, v2, vcc
	v_ashrrev_i32_e32 v3, 31, v2
	v_lshl_add_u64 v[6:7], v[2:3], 2, s[6:7]
	v_or_b32_e32 v2, 16, v1
	v_add_u32_e32 v3, v2, v4
	v_ashrrev_i32_e32 v3, 4, v3
	v_cmp_gt_i32_e32 vcc, s33, v2
	s_load_dwordx4 s[8:11], s[0:1], 0x8
	s_nop 0
	v_cndmask_b32_e32 v2, v5, v3, vcc
	v_ashrrev_i32_e32 v3, 31, v2
	v_lshl_add_u64 v[8:9], v[2:3], 2, s[6:7]
	v_or_b32_e32 v2, 32, v1
	v_add_u32_e32 v3, v2, v4
	v_ashrrev_i32_e32 v3, 4, v3
	v_cmp_gt_i32_e32 vcc, s33, v2
	v_or_b32_e32 v1, 48, v1
	s_nop 0
	v_cndmask_b32_e32 v2, v5, v3, vcc
	v_ashrrev_i32_e32 v3, 31, v2
	v_lshl_add_u64 v[10:11], v[2:3], 2, s[6:7]
	v_add_u32_e32 v2, v1, v4
	v_ashrrev_i32_e32 v2, 4, v2
	v_cmp_gt_i32_e32 vcc, s33, v1
	s_nop 1
	v_cndmask_b32_e32 v2, v5, v2, vcc
	v_ashrrev_i32_e32 v3, 31, v2
	v_lshl_add_u64 v[12:13], v[2:3], 2, s[6:7]
	global_load_dword v4, v[6:7], off
	global_load_dword v3, v[8:9], off
	global_load_dword v2, v[10:11], off
	global_load_dword v14, v[12:13], off
	s_andn2_b64 vcc, exec, s[14:15]
	s_cbranch_vccnz .LBB836_8
; %bb.6:
	s_add_u32 s12, s12, s16
	s_addc_u32 s13, s13, s17
	s_load_dword s14, s[12:13], 0x0
	s_branch .LBB836_9
.LBB836_7:
	s_mov_b64 s[8:9], 0
	s_branch .LBB836_2
.LBB836_8:
	s_mov_b32 s14, s2
.LBB836_9:
	s_load_dwordx4 s[44:47], s[0:1], 0x48
	v_lshrrev_b32_e32 v29, 6, v0
	v_bfe_u32 v42, v0, 4, 2
	v_lshl_or_b32 v5, v29, 2, v42
	v_and_b32_e32 v28, 15, v0
	v_lshlrev_b32_e32 v1, 3, v28
	v_cmp_gt_u32_e32 vcc, 9, v5
	v_cmp_gt_u32_e64 s[30:31], 8, v28
	v_and_b32_e32 v43, 63, v0
	s_mul_i32 s48, s4, 9
	s_and_b64 s[16:17], s[30:31], vcc
	v_lshlrev_b32_e32 v26, 1, v1
	v_lshlrev_b32_e32 v1, 4, v0
	s_and_saveexec_b64 s[12:13], s[16:17]
	s_cbranch_execz .LBB836_11
; %bb.10:
	s_load_dwordx2 s[16:17], s[0:1], 0x0
	s_waitcnt lgkmcnt(0)
	s_ashr_i32 s15, s44, 31
	s_mul_hi_u32 s19, s14, s44
	s_mul_i32 s15, s14, s15
	s_add_i32 s15, s19, s15
	s_mul_i32 s14, s14, s44
	s_lshl_b64 s[14:15], s[14:15], 1
	s_add_u32 s14, s16, s14
	v_add_lshl_u32 v6, v5, s48, 6
	s_addc_u32 s15, s17, s15
	v_ashrrev_i32_e32 v7, 31, v6
	v_lshl_add_u64 v[6:7], v[6:7], 1, s[14:15]
	v_mov_b32_e32 v27, 0
	v_lshl_add_u64 v[6:7], v[6:7], 0, v[26:27]
	global_load_dwordx4 v[6:9], v[6:7], off
	v_lshlrev_b32_e32 v11, 8, v28
	v_lshlrev_b32_e32 v5, 5, v5
	v_and_b32_e32 v10, 16, v1
	v_and_b32_e32 v11, 0xe00, v11
	v_or3_b32 v5, v11, v5, v10
	s_waitcnt vmcnt(0)
	ds_write_b128 v5, v[6:9]
.LBB836_11:
	s_or_b64 exec, exec, s[12:13]
	s_waitcnt lgkmcnt(0)
	s_mul_i32 s4, s4, s46
	s_add_u32 s8, s8, s4
	s_addc_u32 s9, s9, 0
	v_and_b32_e32 v8, 48, v0
	v_and_b32_e32 v30, 0xf0, v1
	v_mov_b32_e32 v31, 0
	v_lshl_add_u64 v[6:7], s[8:9], 0, v[30:31]
	v_lshlrev_b32_e32 v30, 4, v8
	v_lshl_add_u64 v[16:17], v[6:7], 0, v[30:31]
	s_waitcnt vmcnt(3)
	v_mad_i64_i32 v[4:5], s[8:9], v4, s45, v[16:17]
	s_load_dword s29, s[0:1], 0x98
	s_load_dwordx4 s[40:43], s[0:1], 0x80
	s_waitcnt lgkmcnt(0)
	s_barrier
	global_load_dwordx4 v[22:25], v[4:5], off
	s_waitcnt vmcnt(3)
	v_mad_i64_i32 v[4:5], s[8:9], v3, s45, v[16:17]
	global_load_dwordx4 v[18:21], v[4:5], off
	v_or_b32_e32 v10, s5, v8
	v_mov_b32_e32 v27, s18
	v_ashrrev_i32_e32 v3, 4, v10
	v_cmp_gt_i32_e32 vcc, s33, v10
	v_or_b32_e32 v15, 64, v10
	v_ashrrev_i32_e32 v32, 4, v15
	v_cndmask_b32_e32 v4, v27, v3, vcc
	s_waitcnt vmcnt(3)
	v_mad_i64_i32 v[2:3], s[8:9], v2, s45, v[16:17]
	global_load_dwordx4 v[6:9], v[2:3], off
	v_ashrrev_i32_e32 v5, 31, v4
	v_lshl_add_u64 v[4:5], v[4:5], 2, s[6:7]
	global_load_dword v56, v[4:5], off
	v_add_u32_e32 v4, -9, v28
	v_cmp_gt_u32_e32 vcc, 9, v28
	v_or_b32_e32 v33, 0x80, v10
	v_or_b32_e32 v35, 0xc0, v10
	v_cndmask_b32_e32 v2, v4, v28, vcc
	v_lshlrev_b32_e32 v2, 5, v2
	v_lshl_add_u32 v2, v42, 9, v2
	v_cmp_gt_i32_e32 vcc, s33, v15
	s_waitcnt vmcnt(4)
	v_mad_i64_i32 v[14:15], s[12:13], v14, s45, v[16:17]
	ds_read_b128 v[10:13], v2
	ds_read_b128 v[2:5], v2 offset:16
	global_load_dwordx4 v[14:17], v[14:15], off
	v_ashrrev_i32_e32 v34, 4, v33
	v_cndmask_b32_e32 v32, v27, v32, vcc
	v_cmp_gt_i32_e32 vcc, s33, v33
	v_ashrrev_i32_e32 v36, 4, v35
	v_ashrrev_i32_e32 v33, 31, v32
	v_cndmask_b32_e32 v34, v27, v34, vcc
	v_cmp_gt_i32_e32 vcc, s33, v35
	v_ashrrev_i32_e32 v35, 31, v34
	v_lshl_add_u64 v[32:33], v[32:33], 2, s[6:7]
	v_cndmask_b32_e32 v36, v27, v36, vcc
	v_ashrrev_i32_e32 v37, 31, v36
	v_lshl_add_u64 v[36:37], v[36:37], 2, s[6:7]
	s_add_u32 s8, s10, s4
	s_load_dword s4, s[40:41], 0x0
	v_lshl_add_u64 v[38:39], v[34:35], 2, s[6:7]
	global_load_dword v35, v[32:33], off
	global_load_dword v27, v[38:39], off
	;; [unrolled: 1-line block ×3, first 2 shown]
	s_load_dword s14, s[0:1], 0x1c
	s_mov_b32 s44, 0xff7fffff
	v_lshlrev_b32_e32 v30, 4, v28
	s_addc_u32 s9, s11, 0
	v_lshl_or_b32 v30, v29, 8, v30
	s_waitcnt lgkmcnt(0)
	v_mov_b32_e32 v57, s14
	v_lshl_add_u64 v[30:31], s[8:9], 0, v[30:31]
	s_waitcnt vmcnt(7)
	v_cvt_pk_f32_fp8_e32 v[32:33], v22
	v_cvt_pk_f32_fp8_sdwa v[36:37], v22 src0_sel:WORD_1
	v_cvt_pk_f32_fp8_e32 v[38:39], v23
	v_cvt_pk_f32_fp8_sdwa v[40:41], v23 src0_sel:WORD_1
	v_cvt_pkrtz_f16_f32 v32, v32, v33
	v_cvt_pkrtz_f16_f32 v33, v36, v37
	s_waitcnt vmcnt(6)
	v_cvt_pk_f32_fp8_e32 v[22:23], v18
	v_cvt_pk_f32_fp8_sdwa v[50:51], v18 src0_sel:WORD_1
	v_cvt_pk_f32_fp8_e32 v[44:45], v24
	v_cvt_pk_f32_fp8_sdwa v[46:47], v24 src0_sel:WORD_1
	;; [unrolled: 2-line block ×3, first 2 shown]
	v_cvt_pkrtz_f16_f32 v36, v22, v23
	v_mfma_f32_16x16x16_f16 v[22:25], v[32:33], v[10:11], 0
	v_cvt_pkrtz_f16_f32 v32, v38, v39
	v_cvt_pkrtz_f16_f32 v33, v40, v41
	v_cvt_pk_f32_fp8_e32 v[54:55], v19
	v_cvt_pkrtz_f16_f32 v37, v50, v51
	v_cvt_pk_f32_fp8_sdwa v[18:19], v19 src0_sel:WORD_1
	v_mfma_f32_16x16x16_f16 v[22:25], v[32:33], v[12:13], v[22:25]
	v_cvt_pkrtz_f16_f32 v50, v54, v55
	v_cvt_pkrtz_f16_f32 v51, v18, v19
	;; [unrolled: 1-line block ×4, first 2 shown]
	v_mfma_f32_16x16x16_f16 v[36:39], v[36:37], v[10:11], 0
	v_cvt_pk_f32_fp8_e32 v[40:41], v20
	v_cvt_pk_f32_fp8_sdwa v[18:19], v20 src0_sel:WORD_1
	v_cvt_pkrtz_f16_f32 v44, v48, v49
	v_mfma_f32_16x16x16_f16 v[36:39], v[50:51], v[12:13], v[36:39]
	v_cvt_pk_f32_fp8_e32 v[50:51], v21
	v_cvt_pkrtz_f16_f32 v45, v52, v53
	v_cvt_pkrtz_f16_f32 v40, v40, v41
	v_mfma_f32_16x16x16_f16 v[22:25], v[32:33], v[2:3], v[22:25]
	v_cvt_pk_f32_fp8_sdwa v[32:33], v21 src0_sel:WORD_1
	v_cvt_pkrtz_f16_f32 v41, v18, v19
	v_cvt_pkrtz_f16_f32 v18, v50, v51
	v_mfma_f32_16x16x16_f16 v[44:47], v[44:45], v[4:5], v[22:25]
	v_cvt_pkrtz_f16_f32 v19, v32, v33
	s_waitcnt vmcnt(5)
	v_cvt_pk_f32_fp8_e32 v[32:33], v6
	v_cvt_pk_f32_fp8_sdwa v[48:49], v9 src0_sel:WORD_1
	v_mfma_f32_16x16x16_f16 v[22:25], v[40:41], v[2:3], v[36:39]
	v_mul_f32_e32 v50, s4, v57
	s_waitcnt vmcnt(4)
	v_mad_i64_i32 v[20:21], s[6:7], v56, s45, v[30:31]
	v_cvt_pk_f32_fp8_sdwa v[36:37], v6 src0_sel:WORD_1
	v_mfma_f32_16x16x16_f16 v[38:41], v[18:19], v[4:5], v[22:25]
	v_cvt_pk_f32_fp8_e32 v[18:19], v7
	v_cvt_pk_f32_fp8_sdwa v[6:7], v7 src0_sel:WORD_1
	v_cvt_pkrtz_f16_f32 v18, v18, v19
	v_cvt_pkrtz_f16_f32 v22, v32, v33
	;; [unrolled: 1-line block ×3, first 2 shown]
	v_cvt_pk_f32_fp8_e32 v[32:33], v8
	v_cvt_pk_f32_fp8_sdwa v[36:37], v8 src0_sel:WORD_1
	v_cvt_pkrtz_f16_f32 v19, v6, v7
	v_mfma_f32_16x16x16_f16 v[22:25], v[22:23], v[10:11], 0
	v_cvt_pkrtz_f16_f32 v32, v32, v33
	v_cvt_pkrtz_f16_f32 v33, v36, v37
	v_cvt_pk_f32_fp8_e32 v[36:37], v9
	v_mfma_f32_16x16x16_f16 v[6:9], v[18:19], v[12:13], v[22:25]
	v_cvt_pkrtz_f16_f32 v19, v48, v49
	v_cvt_pkrtz_f16_f32 v18, v36, v37
	s_nop 0
	v_pk_mul_f32 v[22:23], v[50:51], v[46:47] op_sel_hi:[0,1]
	v_mfma_f32_16x16x16_f16 v[46:49], v[32:33], v[2:3], v[6:9]
	s_waitcnt vmcnt(3)
	v_cvt_pk_f32_fp8_sdwa v[24:25], v14 src0_sel:WORD_1
	v_cvt_pk_f32_fp8_sdwa v[32:33], v16 src0_sel:WORD_1
	v_pk_mul_f32 v[36:37], v[50:51], v[40:41] op_sel_hi:[0,1]
	v_cvt_pk_f32_fp8_e32 v[8:9], v14
	v_pk_mul_f32 v[6:7], v[50:51], v[44:45] op_sel_hi:[0,1]
	v_mfma_f32_16x16x16_f16 v[44:47], v[18:19], v[4:5], v[46:49]
	v_cvt_pk_f32_fp8_e32 v[18:19], v15
	v_cvt_pkrtz_f16_f32 v8, v8, v9
	v_cvt_pkrtz_f16_f32 v9, v24, v25
	v_cvt_pk_f32_fp8_sdwa v[14:15], v15 src0_sel:WORD_1
	v_cvt_pkrtz_f16_f32 v18, v18, v19
	v_cvt_pk_f32_fp8_e32 v[24:25], v16
	v_mfma_f32_16x16x16_f16 v[8:11], v[8:9], v[10:11], 0
	v_cvt_pkrtz_f16_f32 v19, v14, v15
	v_cvt_pkrtz_f16_f32 v14, v24, v25
	;; [unrolled: 1-line block ×3, first 2 shown]
	v_cvt_pk_f32_fp8_e32 v[24:25], v17
	v_cvt_pk_f32_fp8_sdwa v[16:17], v17 src0_sel:WORD_1
	v_mfma_f32_16x16x16_f16 v[8:11], v[18:19], v[12:13], v[8:11]
	v_pk_mul_f32 v[40:41], v[50:51], v[38:39] op_sel_hi:[0,1]
	v_cvt_pkrtz_f16_f32 v12, v24, v25
	v_cvt_pkrtz_f16_f32 v13, v16, v17
	v_mfma_f32_16x16x16_f16 v[8:11], v[14:15], v[2:3], v[8:11]
	v_pk_mul_f32 v[38:39], v[50:51], v[44:45] op_sel_hi:[0,1]
	v_pk_mul_f32 v[32:33], v[50:51], v[46:47] op_sel_hi:[0,1]
	v_mfma_f32_16x16x16_f16 v[2:5], v[12:13], v[4:5], v[8:11]
	s_nop 6
	v_pk_mul_f32 v[24:25], v[50:51], v[2:3] op_sel_hi:[0,1]
	v_and_b32_e32 v2, 0xc0, v0
	v_add_u32_e32 v2, s5, v2
	v_lshl_or_b32 v2, v42, 2, v2
	v_pk_mul_f32 v[18:19], v[50:51], v[4:5] op_sel_hi:[0,1]
	v_or_b32_e32 v5, 1, v2
	v_mov_b32_e32 v3, 0xff7fffff
	v_cmp_gt_i32_e64 s[4:5], s33, v2
	v_cmp_gt_i32_e64 s[34:35], s33, v5
	v_or_b32_e32 v8, 3, v2
	v_cndmask_b32_e64 v4, v3, v6, s[4:5]
	v_cndmask_b32_e64 v5, v3, v7, s[34:35]
	v_max3_f32 v4, v4, s44, v5
	v_or_b32_e32 v5, 2, v2
	v_cmp_gt_i32_e64 s[36:37], s33, v5
	v_cmp_gt_i32_e64 s[38:39], s33, v8
	s_nop 0
	v_cndmask_b32_e64 v5, v3, v22, s[36:37]
	v_cndmask_b32_e64 v8, v3, v23, s[38:39]
	v_max3_f32 v4, v4, v5, v8
	v_or_b32_e32 v5, 16, v2
	v_or_b32_e32 v8, 17, v2
	v_cmp_gt_i32_e64 s[24:25], s33, v5
	v_cmp_gt_i32_e64 s[26:27], s33, v8
	s_nop 0
	v_cndmask_b32_e64 v5, v3, v40, s[24:25]
	v_cndmask_b32_e64 v8, v3, v41, s[26:27]
	v_max3_f32 v4, v4, v5, v8
	v_or_b32_e32 v5, 18, v2
	;; [unrolled: 8-line block ×6, first 2 shown]
	v_or_b32_e32 v2, 51, v2
	v_cmp_gt_i32_e32 vcc, s33, v5
	v_cmp_gt_i32_e64 s[6:7], s33, v2
	s_nop 0
	v_cndmask_b32_e32 v5, v3, v18, vcc
	v_cndmask_b32_e64 v2, v3, v19, s[6:7]
	v_max3_f32 v4, v4, v5, v2
	v_mbcnt_lo_u32_b32 v2, -1, 0
	v_mbcnt_hi_u32_b32 v5, -1, v2
	v_and_b32_e32 v2, 64, v5
	v_add_u32_e32 v8, 64, v2
	v_xor_b32_e32 v2, 32, v5
	v_cmp_lt_i32_e64 s[40:41], v2, v8
	s_nop 1
	v_cndmask_b32_e64 v2, v5, v2, s[40:41]
	v_lshlrev_b32_e32 v44, 2, v2
	ds_bpermute_b32 v9, v44, v4
	s_waitcnt vmcnt(2)
	v_mad_i64_i32 v[2:3], s[40:41], v35, s45, v[30:31]
	global_load_dwordx4 v[14:17], v[20:21], off
	global_load_dwordx4 v[10:13], v[2:3], off
	v_xor_b32_e32 v3, 16, v5
	v_cmp_lt_i32_e64 s[40:41], v3, v8
	s_waitcnt lgkmcnt(0)
	v_max_f32_e32 v2, v9, v9
	v_max_f32_e32 v2, v4, v2
	v_cndmask_b32_e64 v3, v5, v3, s[40:41]
	v_lshlrev_b32_e32 v45, 2, v3
	ds_bpermute_b32 v3, v45, v2
	s_waitcnt vmcnt(3)
	v_mad_i64_i32 v[20:21], s[40:41], v27, s45, v[30:31]
	s_waitcnt vmcnt(2)
	v_mad_i64_i32 v[30:31], s[40:41], v34, s45, v[30:31]
	s_waitcnt lgkmcnt(0)
	v_max_f32_e32 v3, v3, v3
	v_max_f32_e32 v27, v2, v3
	v_sub_f32_e32 v2, v6, v27
	v_mul_f32_e32 v2, 0x3fb8aa3b, v2
	v_exp_f32_e32 v34, v2
	v_sub_f32_e32 v2, v7, v27
	v_mul_f32_e32 v2, 0x3fb8aa3b, v2
	v_exp_f32_e32 v35, v2
	global_load_dwordx4 v[6:9], v[20:21], off
	global_load_dwordx4 v[2:5], v[30:31], off
	v_sub_f32_e32 v22, v22, v27
	v_mul_f32_e32 v22, 0x3fb8aa3b, v22
	v_sub_f32_e32 v23, v23, v27
	v_exp_f32_e32 v22, v22
	v_mul_f32_e32 v23, 0x3fb8aa3b, v23
	v_exp_f32_e32 v23, v23
	v_cndmask_b32_e64 v20, 0, v34, s[4:5]
	v_add_f32_e32 v30, 0, v20
	v_cndmask_b32_e64 v21, 0, v35, s[34:35]
	v_add_f32_e32 v30, v30, v21
	;; [unrolled: 2-line block ×3, first 2 shown]
	v_cndmask_b32_e64 v35, 0, v23, s[38:39]
	v_sub_f32_e32 v23, v40, v27
	v_sub_f32_e32 v30, v41, v27
	v_mul_f32_e32 v23, 0x3fb8aa3b, v23
	v_mul_f32_e32 v30, 0x3fb8aa3b, v30
	v_exp_f32_e32 v23, v23
	v_exp_f32_e32 v30, v30
	v_add_f32_e32 v31, v22, v35
	v_sub_f32_e32 v32, v32, v27
	v_cndmask_b32_e64 v22, 0, v23, s[24:25]
	v_cndmask_b32_e64 v23, 0, v30, s[26:27]
	v_sub_f32_e32 v30, v36, v27
	v_mul_f32_e32 v30, 0x3fb8aa3b, v30
	v_exp_f32_e32 v30, v30
	v_sub_f32_e32 v36, v37, v27
	v_add_f32_e32 v31, v31, v22
	v_mul_f32_e32 v36, 0x3fb8aa3b, v36
	v_exp_f32_e32 v37, v36
	v_add_f32_e32 v31, v31, v23
	v_cndmask_b32_e64 v36, 0, v30, s[20:21]
	v_add_f32_e32 v30, v31, v36
	v_sub_f32_e32 v31, v38, v27
	v_mul_f32_e32 v31, 0x3fb8aa3b, v31
	v_sub_f32_e32 v38, v39, v27
	v_exp_f32_e32 v31, v31
	v_mul_f32_e32 v38, 0x3fb8aa3b, v38
	v_exp_f32_e32 v38, v38
	v_mul_f32_e32 v32, 0x3fb8aa3b, v32
	v_sub_f32_e32 v33, v33, v27
	v_exp_f32_e32 v32, v32
	v_mul_f32_e32 v33, 0x3fb8aa3b, v33
	v_sub_f32_e32 v24, v24, v27
	v_cndmask_b32_e64 v37, 0, v37, s[22:23]
	v_exp_f32_e32 v33, v33
	v_mul_f32_e32 v24, 0x3fb8aa3b, v24
	v_sub_f32_e32 v25, v25, v27
	v_add_f32_e32 v39, v30, v37
	v_cndmask_b32_e64 v30, 0, v31, s[16:17]
	v_exp_f32_e32 v24, v24
	v_mul_f32_e32 v25, 0x3fb8aa3b, v25
	v_sub_f32_e32 v18, v18, v27
	v_add_f32_e32 v39, v39, v30
	;; [unrolled: 5-line block ×3, first 2 shown]
	v_cndmask_b32_e64 v32, 0, v32, s[12:13]
	v_exp_f32_e32 v18, v18
	v_mul_f32_e32 v19, 0x3fb8aa3b, v19
	v_add_f32_e32 v38, v38, v32
	v_cndmask_b32_e64 v33, 0, v33, s[14:15]
	v_exp_f32_e32 v19, v19
	v_add_f32_e32 v38, v38, v33
	v_cndmask_b32_e64 v24, 0, v24, s[8:9]
	v_add_f32_e32 v38, v38, v24
	v_cndmask_b32_e64 v25, 0, v25, s[10:11]
	v_add_f32_e32 v38, v38, v25
	v_cndmask_b32_e32 v18, 0, v18, vcc
	v_add_f32_e32 v38, v38, v18
	v_cndmask_b32_e64 v19, 0, v19, s[6:7]
	v_add_f32_e32 v38, v38, v19
	ds_bpermute_b32 v39, v44, v38
	v_cmp_gt_u32_e64 s[6:7], 16, v43
	s_waitcnt lgkmcnt(0)
	s_barrier
	v_add_f32_e32 v39, v38, v39
	ds_bpermute_b32 v40, v45, v39
	v_lshlrev_b32_e32 v38, 2, v28
	s_and_saveexec_b64 s[4:5], s[6:7]
	s_cbranch_execz .LBB836_13
; %bb.12:
	s_waitcnt lgkmcnt(0)
	v_add_f32_e32 v39, v39, v40
	v_lshl_or_b32 v40, v29, 6, v38
	ds_write2st64_b32 v40, v27, v39 offset1:1
.LBB836_13:
	s_or_b64 exec, exec, s[4:5]
	s_load_dword s8, s[0:1], 0x94
	s_waitcnt lgkmcnt(0)
	s_barrier
	ds_read2_b32 v[40:41], v38 offset1:16
	ds_read2_b32 v[44:45], v38 offset0:32 offset1:48
	ds_read2_b32 v[46:47], v38 offset0:64 offset1:80
	s_mul_i32 s9, s29, 9
	s_waitcnt lgkmcnt(2)
	v_max3_f32 v27, v40, s44, v41
	s_waitcnt lgkmcnt(1)
	v_max3_f32 v27, v27, v44, v45
	v_sub_f32_e32 v39, v40, v27
	v_sub_f32_e32 v40, v41, v27
	v_mul_f32_e32 v40, 0x3fb8aa3b, v40
	v_mul_f32_e32 v39, 0x3fb8aa3b, v39
	v_exp_f32_e32 v43, v40
	v_sub_f32_e32 v40, v44, v27
	v_exp_f32_e32 v39, v39
	v_mul_f32_e32 v40, 0x3fb8aa3b, v40
	v_exp_f32_e32 v44, v40
	ds_read2_b32 v[40:41], v38 offset0:96 offset1:112
	v_sub_f32_e32 v38, v45, v27
	v_mul_f32_e32 v38, 0x3fb8aa3b, v38
	v_exp_f32_e32 v45, v38
	s_waitcnt lgkmcnt(1)
	v_fma_f32 v38, v39, v46, 0
	v_fmac_f32_e32 v38, v43, v47
	s_waitcnt lgkmcnt(0)
	v_fmac_f32_e32 v38, v44, v40
	v_fmac_f32_e32 v38, v45, v41
	v_add_f32_e32 v40, 0x358637bd, v38
	v_div_scale_f32 v41, s[4:5], v40, v40, 1.0
	v_rcp_f32_e32 v46, v41
	s_barrier
	v_fma_f32 v47, -v41, v46, 1.0
	v_fmac_f32_e32 v46, v47, v46
	v_div_scale_f32 v47, vcc, 1.0, v40, 1.0
	v_mul_f32_e32 v48, v47, v46
	v_fma_f32 v49, -v41, v48, v47
	v_fmac_f32_e32 v48, v49, v46
	v_fma_f32 v41, -v41, v48, v47
	v_div_fmas_f32 v41, v41, v46, v48
	v_cmp_eq_u32_e32 vcc, 1, v29
	v_div_fixup_f32 v40, v41, v40, 1.0
	s_nop 0
	v_cndmask_b32_e32 v39, v39, v43, vcc
	v_cmp_eq_u32_e32 vcc, 2, v29
	s_nop 1
	v_cndmask_b32_e32 v39, v39, v44, vcc
	v_cmp_eq_u32_e32 vcc, 3, v29
	v_lshlrev_b32_e32 v29, 11, v29
	s_nop 0
	v_cndmask_b32_e32 v39, v39, v45, vcc
	v_mul_f32_e32 v40, v39, v40
	v_pk_mul_f32 v[20:21], v[40:41], v[20:21] op_sel_hi:[0,1]
	v_pk_mul_f32 v[34:35], v[40:41], v[34:35] op_sel_hi:[0,1]
	v_cvt_f16_f32_e32 v20, v20
	v_cvt_f16_f32_e32 v21, v21
	v_pk_mul_f32 v[36:37], v[40:41], v[36:37] op_sel_hi:[0,1]
	v_pk_mul_f32 v[22:23], v[40:41], v[22:23] op_sel_hi:[0,1]
	v_cvt_f16_f32_e32 v39, v34
	v_cvt_f16_f32_e32 v35, v35
	;; [unrolled: 1-line block ×6, first 2 shown]
	v_pack_b32_f16 v34, v20, v21
	v_lshlrev_b32_e32 v20, 3, v42
	v_lshlrev_b32_e32 v21, 5, v28
	v_pack_b32_f16 v35, v39, v35
	v_or3_b32 v20, v29, v21, v20
	v_pack_b32_f16 v22, v22, v23
	v_pack_b32_f16 v23, v36, v37
	ds_write2st64_b64 v20, v[34:35], v[22:23] offset1:1
	v_pk_mul_f32 v[22:23], v[40:41], v[32:33] op_sel_hi:[0,1]
	v_pk_mul_f32 v[30:31], v[40:41], v[30:31] op_sel_hi:[0,1]
	v_cvt_f16_f32_e32 v29, v30
	v_cvt_f16_f32_e32 v30, v31
	;; [unrolled: 1-line block ×4, first 2 shown]
	v_pk_mul_f32 v[18:19], v[40:41], v[18:19] op_sel_hi:[0,1]
	v_pk_mul_f32 v[22:23], v[40:41], v[24:25] op_sel_hi:[0,1]
	v_cvt_f16_f32_e32 v22, v22
	v_cvt_f16_f32_e32 v23, v23
	;; [unrolled: 1-line block ×4, first 2 shown]
	v_pack_b32_f16 v18, v29, v30
	v_pack_b32_f16 v19, v31, v32
	;; [unrolled: 1-line block ×4, first 2 shown]
	v_cmp_gt_u32_e32 vcc, 9, v0
	ds_write2st64_b64 v20, v[18:19], v[22:23] offset0:2 offset1:3
	s_and_saveexec_b64 s[4:5], vcc
	s_cbranch_execz .LBB836_15
; %bb.14:
	s_mov_b32 s49, 0
	v_mov_b32_e32 v29, 0
	v_lshl_add_u64 v[18:19], s[48:49], 0, v[28:29]
	v_mov_b32_e32 v22, s9
	v_mad_u64_u32 v[18:19], s[10:11], s2, v22, v[18:19]
	s_mul_i32 s3, s3, s9
	v_mov_b32_e32 v28, s28
	s_load_dwordx4 s[12:15], s[0:1], 0x58
	v_add_u32_e32 v23, s3, v19
	v_mad_u64_u32 v[18:19], s[10:11], v18, s8, v[28:29]
	v_mov_b32_e32 v22, v19
	v_mad_u64_u32 v[22:23], s[10:11], v23, s8, v[22:23]
	v_mov_b32_e32 v19, v22
	v_lshlrev_b64 v[18:19], 2, v[18:19]
	s_waitcnt lgkmcnt(0)
	v_lshl_add_u64 v[22:23], s[14:15], 0, v[18:19]
	v_lshl_add_u64 v[18:19], s[12:13], 0, v[18:19]
	global_store_dword v[22:23], v27, off
	global_store_dword v[18:19], v38, off
.LBB836_15:
	s_or_b64 exec, exec, s[4:5]
	s_waitcnt vmcnt(3)
	v_cvt_pk_f32_fp8_e32 v[18:19], v14
	v_cvt_pk_f32_fp8_sdwa v[22:23], v14 src0_sel:WORD_1
	v_cvt_pk_f32_fp8_e32 v[24:25], v15
	v_lshl_or_b32 v14, v42, 9, v21
	s_waitcnt lgkmcnt(0)
	s_barrier
	v_cvt_pkrtz_f16_f32 v18, v18, v19
	v_cvt_pkrtz_f16_f32 v19, v22, v23
	v_cvt_pk_f32_fp8_sdwa v[28:29], v15 src0_sel:WORD_1
	v_cvt_pkrtz_f16_f32 v36, v24, v25
	ds_read_b128 v[22:25], v14
	v_cvt_pk_f32_fp8_e32 v[38:39], v16
	v_cvt_pkrtz_f16_f32 v37, v28, v29
	ds_read_b128 v[28:31], v14 offset:16
	v_cvt_pk_f32_fp8_sdwa v[40:41], v16 src0_sel:WORD_1
	s_waitcnt lgkmcnt(1)
	v_mfma_f32_16x16x16_f16 v[32:35], v[18:19], v[22:23], 0
	v_cvt_pkrtz_f16_f32 v18, v38, v39
	v_cvt_pk_f32_fp8_e32 v[38:39], v17
	v_cvt_pkrtz_f16_f32 v19, v40, v41
	v_mfma_f32_16x16x16_f16 v[22:25], v[36:37], v[24:25], v[32:35]
	s_waitcnt vmcnt(2)
	v_cvt_pk_f32_fp8_sdwa v[36:37], v12 src0_sel:WORD_1
	s_load_dword s4, s[42:43], 0x0
	v_cmp_gt_u32_e32 vcc, 64, v0
	v_cvt_pk_f32_fp8_sdwa v[32:33], v17 src0_sel:WORD_1
	v_cvt_pkrtz_f16_f32 v34, v38, v39
	s_waitcnt lgkmcnt(0)
	v_mfma_f32_16x16x16_f16 v[16:19], v[18:19], v[28:29], v[22:25]
	v_cvt_pk_f32_fp8_e32 v[28:29], v11
	v_cvt_pkrtz_f16_f32 v35, v32, v33
	s_mov_b32 s3, 0
	v_cvt_pk_f32_fp8_e32 v[22:23], v10
	v_cvt_pk_f32_fp8_sdwa v[24:25], v10 src0_sel:WORD_1
	v_mfma_f32_16x16x16_f16 v[16:19], v[34:35], v[30:31], v[16:19]
	v_cvt_pkrtz_f16_f32 v10, v22, v23
	v_cvt_pk_f32_fp8_sdwa v[30:31], v11 src0_sel:WORD_1
	v_cvt_pkrtz_f16_f32 v11, v24, v25
	ds_read_b128 v[22:25], v14 offset:2048
	v_cvt_pkrtz_f16_f32 v32, v28, v29
	v_cvt_pkrtz_f16_f32 v33, v30, v31
	ds_read_b128 v[28:31], v14 offset:2064
	v_cvt_pk_f32_fp8_e32 v[34:35], v12
	s_waitcnt lgkmcnt(1)
	v_mfma_f32_16x16x16_f16 v[16:19], v[10:11], v[22:23], v[16:19]
	v_cvt_pkrtz_f16_f32 v11, v36, v37
	v_cvt_pk_f32_fp8_e32 v[22:23], v13
	v_cvt_pkrtz_f16_f32 v10, v34, v35
	v_mfma_f32_16x16x16_f16 v[16:19], v[32:33], v[24:25], v[16:19]
	v_cvt_pk_f32_fp8_sdwa v[24:25], v13 src0_sel:WORD_1
	v_cvt_pkrtz_f16_f32 v22, v22, v23
	s_waitcnt vmcnt(1)
	v_cvt_pk_f32_fp8_sdwa v[32:33], v8 src0_sel:WORD_1
	s_waitcnt lgkmcnt(0)
	v_mfma_f32_16x16x16_f16 v[10:13], v[10:11], v[28:29], v[16:19]
	v_cvt_pkrtz_f16_f32 v23, v24, v25
	v_cvt_pk_f32_fp8_sdwa v[24:25], v7 src0_sel:WORD_1
	v_mov_b32_e32 v27, 0
	v_cvt_pk_f32_fp8_e32 v[16:17], v6
	v_cvt_pk_f32_fp8_sdwa v[18:19], v6 src0_sel:WORD_1
	v_mfma_f32_16x16x16_f16 v[10:13], v[22:23], v[30:31], v[10:13]
	v_cvt_pk_f32_fp8_e32 v[22:23], v7
	v_cvt_pkrtz_f16_f32 v6, v16, v17
	v_cvt_pkrtz_f16_f32 v7, v18, v19
	ds_read_b128 v[16:19], v14 offset:4096
	v_cvt_pkrtz_f16_f32 v28, v22, v23
	v_cvt_pkrtz_f16_f32 v29, v24, v25
	ds_read_b128 v[22:25], v14 offset:4112
	v_cvt_pk_f32_fp8_e32 v[30:31], v8
	s_waitcnt lgkmcnt(1)
	v_mfma_f32_16x16x16_f16 v[10:13], v[6:7], v[16:17], v[10:13]
	v_cvt_pkrtz_f16_f32 v7, v32, v33
	v_cvt_pk_f32_fp8_e32 v[16:17], v9
	v_cvt_pkrtz_f16_f32 v6, v30, v31
	v_mfma_f32_16x16x16_f16 v[10:13], v[28:29], v[18:19], v[10:13]
	v_cvt_pk_f32_fp8_sdwa v[18:19], v9 src0_sel:WORD_1
	v_cvt_pkrtz_f16_f32 v16, v16, v17
	v_cvt_pkrtz_f16_f32 v17, v18, v19
	s_waitcnt lgkmcnt(0)
	v_mfma_f32_16x16x16_f16 v[6:9], v[6:7], v[22:23], v[10:13]
	s_waitcnt vmcnt(0)
	v_cvt_pk_f32_fp8_sdwa v[18:19], v3 src0_sel:WORD_1
	s_nop 0
	v_cvt_pkrtz_f16_f32 v23, v18, v19
	v_cvt_pk_f32_fp8_e32 v[10:11], v2
	v_cvt_pk_f32_fp8_sdwa v[12:13], v2 src0_sel:WORD_1
	v_mfma_f32_16x16x16_f16 v[6:9], v[16:17], v[24:25], v[6:9]
	v_cvt_pk_f32_fp8_e32 v[16:17], v3
	v_cvt_pkrtz_f16_f32 v2, v10, v11
	v_cvt_pkrtz_f16_f32 v3, v12, v13
	ds_read_b128 v[10:13], v14 offset:6144
	v_cvt_pkrtz_f16_f32 v22, v16, v17
	v_cvt_pk_f32_fp8_e32 v[18:19], v4
	v_cvt_pk_f32_fp8_sdwa v[24:25], v4 src0_sel:WORD_1
	s_waitcnt lgkmcnt(0)
	v_mfma_f32_16x16x16_f16 v[6:9], v[2:3], v[10:11], v[6:9]
	ds_read_b128 v[14:17], v14 offset:6160
	v_cvt_pkrtz_f16_f32 v2, v18, v19
	v_cvt_pkrtz_f16_f32 v3, v24, v25
	v_cvt_pk_f32_fp8_e32 v[10:11], v5
	v_mfma_f32_16x16x16_f16 v[6:9], v[22:23], v[12:13], v[6:9]
	v_cvt_pk_f32_fp8_sdwa v[12:13], v5 src0_sel:WORD_1
	s_waitcnt lgkmcnt(0)
	v_cvt_pkrtz_f16_f32 v10, v10, v11
	v_mfma_f32_16x16x16_f16 v[2:5], v[2:3], v[14:15], v[6:9]
	v_cvt_pkrtz_f16_f32 v11, v12, v13
	s_barrier
	s_nop 0
	v_mfma_f32_16x16x16_f16 v[2:5], v[10:11], v[16:17], v[2:5]
	s_nop 6
	v_pk_mul_f32 v[4:5], v[4:5], s[4:5] op_sel_hi:[1,0]
	v_pk_mul_f32 v[2:3], v[2:3], s[4:5] op_sel_hi:[1,0]
	v_cvt_f16_f32_e32 v4, v4
	v_cvt_f16_f32_e32 v2, v2
	;; [unrolled: 1-line block ×4, first 2 shown]
	s_and_b64 s[4:5], vcc, s[30:31]
	v_pack_b32_f16 v2, v2, v3
	v_pack_b32_f16 v3, v4, v5
	ds_write_b64 v20, v[2:3]
	s_waitcnt lgkmcnt(0)
	s_barrier
	s_and_saveexec_b64 s[10:11], s[4:5]
	s_cbranch_execz .LBB836_18
; %bb.16:
	s_load_dwordx2 s[4:5], s[0:1], 0x68
	s_lshl_b32 s0, s8, 6
	s_mul_i32 s1, s9, s2
	s_mul_hi_u32 s9, s1, s0
	s_mul_i32 s8, s1, s0
	v_lshlrev_b32_e32 v0, 10, v0
	s_lshl_b64 s[8:9], s[8:9], 1
	v_and_b32_e32 v0, 0x1800, v0
	v_lshlrev_b32_e32 v2, 5, v42
	v_and_b32_e32 v1, 16, v1
	s_waitcnt lgkmcnt(0)
	s_add_u32 s1, s4, s8
	v_or3_b32 v2, v0, v2, v1
	s_addc_u32 s4, s5, s9
	s_lshl_b32 s2, s28, 6
	s_lshl_b64 s[2:3], s[2:3], 1
	ds_read_b128 v[4:7], v2 offset:128
	ds_read_b128 v[8:11], v2
	s_add_u32 s2, s1, s2
	s_addc_u32 s3, s4, s3
	v_add_u32_e32 v3, s48, v42
	v_lshl_add_u64 v[0:1], s[2:3], 0, v[26:27]
	v_mad_u64_u32 v[12:13], s[2:3], v3, s0, 0
	v_lshl_add_u64 v[12:13], v[12:13], 1, v[0:1]
	v_add_u32_e32 v3, 4, v3
	s_waitcnt lgkmcnt(0)
	global_store_dwordx4 v[12:13], v[8:11], off
	s_nop 1
	v_mad_u64_u32 v[8:9], s[2:3], v3, s0, 0
	v_lshl_add_u64 v[8:9], v[8:9], 1, v[0:1]
	global_store_dwordx4 v[8:9], v[4:7], off
	s_and_b64 exec, exec, s[6:7]
	s_cbranch_execz .LBB836_18
; %bb.17:
	ds_read_b128 v[2:5], v2 offset:256
	v_add3_u32 v6, s48, v42, 8
	v_mad_u64_u32 v[6:7], s[0:1], v6, s0, 0
	v_lshl_add_u64 v[0:1], v[6:7], 1, v[0:1]
	s_waitcnt lgkmcnt(0)
	global_store_dwordx4 v[0:1], v[2:5], off
.LBB836_18:
	s_endpgm
	.section	.rodata,"a",@progbits
	.p2align	6, 0x0
	.amdhsa_kernel _Z39paged_attention_ll4mi_QKV_mfma16_kernelIDF16_hLN4vllm18Fp8KVCacheDataTypeE1EDF16_Li16ELi64ELi256ELb0ELi9EEvPKT_PKT0_S7_ifPKiS9_S9_iPKfiiiPfSC_PS2_PT2_iSB_SB_
		.amdhsa_group_segment_fixed_size 8192
		.amdhsa_private_segment_fixed_size 0
		.amdhsa_kernarg_size 400
		.amdhsa_user_sgpr_count 2
		.amdhsa_user_sgpr_dispatch_ptr 0
		.amdhsa_user_sgpr_queue_ptr 0
		.amdhsa_user_sgpr_kernarg_segment_ptr 1
		.amdhsa_user_sgpr_dispatch_id 0
		.amdhsa_user_sgpr_kernarg_preload_length 0
		.amdhsa_user_sgpr_kernarg_preload_offset 0
		.amdhsa_user_sgpr_private_segment_size 0
		.amdhsa_uses_dynamic_stack 0
		.amdhsa_enable_private_segment 0
		.amdhsa_system_sgpr_workgroup_id_x 1
		.amdhsa_system_sgpr_workgroup_id_y 1
		.amdhsa_system_sgpr_workgroup_id_z 1
		.amdhsa_system_sgpr_workgroup_info 0
		.amdhsa_system_vgpr_workitem_id 0
		.amdhsa_next_free_vgpr 58
		.amdhsa_next_free_sgpr 50
		.amdhsa_accum_offset 60
		.amdhsa_reserve_vcc 1
		.amdhsa_float_round_mode_32 0
		.amdhsa_float_round_mode_16_64 0
		.amdhsa_float_denorm_mode_32 3
		.amdhsa_float_denorm_mode_16_64 3
		.amdhsa_dx10_clamp 1
		.amdhsa_ieee_mode 1
		.amdhsa_fp16_overflow 0
		.amdhsa_tg_split 0
		.amdhsa_exception_fp_ieee_invalid_op 0
		.amdhsa_exception_fp_denorm_src 0
		.amdhsa_exception_fp_ieee_div_zero 0
		.amdhsa_exception_fp_ieee_overflow 0
		.amdhsa_exception_fp_ieee_underflow 0
		.amdhsa_exception_fp_ieee_inexact 0
		.amdhsa_exception_int_div_zero 0
	.end_amdhsa_kernel
	.section	.text._Z39paged_attention_ll4mi_QKV_mfma16_kernelIDF16_hLN4vllm18Fp8KVCacheDataTypeE1EDF16_Li16ELi64ELi256ELb0ELi9EEvPKT_PKT0_S7_ifPKiS9_S9_iPKfiiiPfSC_PS2_PT2_iSB_SB_,"axG",@progbits,_Z39paged_attention_ll4mi_QKV_mfma16_kernelIDF16_hLN4vllm18Fp8KVCacheDataTypeE1EDF16_Li16ELi64ELi256ELb0ELi9EEvPKT_PKT0_S7_ifPKiS9_S9_iPKfiiiPfSC_PS2_PT2_iSB_SB_,comdat
.Lfunc_end836:
	.size	_Z39paged_attention_ll4mi_QKV_mfma16_kernelIDF16_hLN4vllm18Fp8KVCacheDataTypeE1EDF16_Li16ELi64ELi256ELb0ELi9EEvPKT_PKT0_S7_ifPKiS9_S9_iPKfiiiPfSC_PS2_PT2_iSB_SB_, .Lfunc_end836-_Z39paged_attention_ll4mi_QKV_mfma16_kernelIDF16_hLN4vllm18Fp8KVCacheDataTypeE1EDF16_Li16ELi64ELi256ELb0ELi9EEvPKT_PKT0_S7_ifPKiS9_S9_iPKfiiiPfSC_PS2_PT2_iSB_SB_
                                        ; -- End function
	.section	.AMDGPU.csdata,"",@progbits
; Kernel info:
; codeLenInByte = 4604
; NumSgprs: 56
; NumVgprs: 58
; NumAgprs: 0
; TotalNumVgprs: 58
; ScratchSize: 0
; MemoryBound: 0
; FloatMode: 240
; IeeeMode: 1
; LDSByteSize: 8192 bytes/workgroup (compile time only)
; SGPRBlocks: 6
; VGPRBlocks: 7
; NumSGPRsForWavesPerEU: 56
; NumVGPRsForWavesPerEU: 58
; AccumOffset: 60
; Occupancy: 8
; WaveLimiterHint : 1
; COMPUTE_PGM_RSRC2:SCRATCH_EN: 0
; COMPUTE_PGM_RSRC2:USER_SGPR: 2
; COMPUTE_PGM_RSRC2:TRAP_HANDLER: 0
; COMPUTE_PGM_RSRC2:TGID_X_EN: 1
; COMPUTE_PGM_RSRC2:TGID_Y_EN: 1
; COMPUTE_PGM_RSRC2:TGID_Z_EN: 1
; COMPUTE_PGM_RSRC2:TIDIG_COMP_CNT: 0
; COMPUTE_PGM_RSRC3_GFX90A:ACCUM_OFFSET: 14
; COMPUTE_PGM_RSRC3_GFX90A:TG_SPLIT: 0
	.section	.text._Z39paged_attention_ll4mi_QKV_mfma16_kernelIDF16_hLN4vllm18Fp8KVCacheDataTypeE1EDF16_Li16ELi64ELi256ELb0ELi10EEvPKT_PKT0_S7_ifPKiS9_S9_iPKfiiiPfSC_PS2_PT2_iSB_SB_,"axG",@progbits,_Z39paged_attention_ll4mi_QKV_mfma16_kernelIDF16_hLN4vllm18Fp8KVCacheDataTypeE1EDF16_Li16ELi64ELi256ELb0ELi10EEvPKT_PKT0_S7_ifPKiS9_S9_iPKfiiiPfSC_PS2_PT2_iSB_SB_,comdat
	.protected	_Z39paged_attention_ll4mi_QKV_mfma16_kernelIDF16_hLN4vllm18Fp8KVCacheDataTypeE1EDF16_Li16ELi64ELi256ELb0ELi10EEvPKT_PKT0_S7_ifPKiS9_S9_iPKfiiiPfSC_PS2_PT2_iSB_SB_ ; -- Begin function _Z39paged_attention_ll4mi_QKV_mfma16_kernelIDF16_hLN4vllm18Fp8KVCacheDataTypeE1EDF16_Li16ELi64ELi256ELb0ELi10EEvPKT_PKT0_S7_ifPKiS9_S9_iPKfiiiPfSC_PS2_PT2_iSB_SB_
	.globl	_Z39paged_attention_ll4mi_QKV_mfma16_kernelIDF16_hLN4vllm18Fp8KVCacheDataTypeE1EDF16_Li16ELi64ELi256ELb0ELi10EEvPKT_PKT0_S7_ifPKiS9_S9_iPKfiiiPfSC_PS2_PT2_iSB_SB_
	.p2align	8
	.type	_Z39paged_attention_ll4mi_QKV_mfma16_kernelIDF16_hLN4vllm18Fp8KVCacheDataTypeE1EDF16_Li16ELi64ELi256ELb0ELi10EEvPKT_PKT0_S7_ifPKiS9_S9_iPKfiiiPfSC_PS2_PT2_iSB_SB_,@function
_Z39paged_attention_ll4mi_QKV_mfma16_kernelIDF16_hLN4vllm18Fp8KVCacheDataTypeE1EDF16_Li16ELi64ELi256ELb0ELi10EEvPKT_PKT0_S7_ifPKiS9_S9_iPKfiiiPfSC_PS2_PT2_iSB_SB_: ; @_Z39paged_attention_ll4mi_QKV_mfma16_kernelIDF16_hLN4vllm18Fp8KVCacheDataTypeE1EDF16_Li16ELi64ELi256ELb0ELi10EEvPKT_PKT0_S7_ifPKiS9_S9_iPKfiiiPfSC_PS2_PT2_iSB_SB_
; %bb.0:
	s_load_dwordx2 s[12:13], s[0:1], 0x30
	s_mov_b32 s28, s3
	s_mov_b64 s[6:7], 0
	s_waitcnt lgkmcnt(0)
	s_cmp_lg_u64 s[12:13], 0
	s_cselect_b64 s[14:15], -1, 0
	s_and_b64 vcc, exec, s[14:15]
	s_cbranch_vccz .LBB837_7
; %bb.1:
	s_add_i32 s8, s2, 1
	s_mov_b32 s9, 0
	s_lshl_b64 s[10:11], s[8:9], 2
	s_add_u32 s10, s12, s10
	s_mov_b32 s3, s9
	s_addc_u32 s11, s13, s11
	s_lshl_b64 s[8:9], s[2:3], 2
	s_add_u32 s8, s12, s8
	s_addc_u32 s9, s13, s9
	s_load_dword s5, s[10:11], 0x0
	s_load_dword s16, s[8:9], 0x0
	s_waitcnt lgkmcnt(0)
	s_sub_i32 s5, s5, s16
	s_cmp_eq_u32 s5, 1
	s_cselect_b64 s[8:9], -1, 0
	s_andn2_b64 vcc, exec, s[6:7]
	s_cbranch_vccnz .LBB837_3
.LBB837_2:
	s_mov_b32 s3, 0
	s_mov_b64 s[8:9], -1
.LBB837_3:
	s_andn2_b64 vcc, exec, s[8:9]
	s_cbranch_vccnz .LBB837_18
; %bb.4:
	s_load_dwordx2 s[6:7], s[0:1], 0x28
	s_lshl_b64 s[16:17], s[2:3], 2
	s_waitcnt lgkmcnt(0)
	s_add_u32 s6, s6, s16
	s_addc_u32 s7, s7, s17
	s_load_dword s33, s[6:7], 0x0
	s_lshl_b32 s5, s28, 8
	s_waitcnt lgkmcnt(0)
	s_cmp_ge_i32 s5, s33
	s_cbranch_scc1 .LBB837_18
; %bb.5:
	s_load_dwordx2 s[6:7], s[0:1], 0x20
	s_load_dword s8, s[0:1], 0x38
	s_add_i32 s9, s33, 15
	s_ashr_i32 s10, s9, 31
	v_and_b32_e32 v1, 0xcf, v0
	s_lshr_b32 s10, s10, 28
	v_add_u32_e32 v1, s5, v1
	s_add_i32 s9, s9, s10
	v_ashrrev_i32_e32 v2, 31, v1
	s_ashr_i32 s18, s9, 4
	v_lshrrev_b32_e32 v4, 28, v2
	s_add_i32 s18, s18, -1
	s_waitcnt lgkmcnt(0)
	s_mul_i32 s8, s2, s8
	s_mov_b32 s9, 0
	v_add_u32_e32 v2, v1, v4
	s_lshl_b64 s[8:9], s[8:9], 2
	v_ashrrev_i32_e32 v2, 4, v2
	v_mov_b32_e32 v5, s18
	v_cmp_gt_i32_e32 vcc, s33, v1
	s_add_u32 s6, s6, s8
	s_addc_u32 s7, s7, s9
	v_cndmask_b32_e32 v2, v5, v2, vcc
	v_ashrrev_i32_e32 v3, 31, v2
	v_lshl_add_u64 v[6:7], v[2:3], 2, s[6:7]
	v_or_b32_e32 v2, 16, v1
	v_add_u32_e32 v3, v2, v4
	v_ashrrev_i32_e32 v3, 4, v3
	v_cmp_gt_i32_e32 vcc, s33, v2
	s_load_dwordx4 s[8:11], s[0:1], 0x8
	s_nop 0
	v_cndmask_b32_e32 v2, v5, v3, vcc
	v_ashrrev_i32_e32 v3, 31, v2
	v_lshl_add_u64 v[8:9], v[2:3], 2, s[6:7]
	v_or_b32_e32 v2, 32, v1
	v_add_u32_e32 v3, v2, v4
	v_ashrrev_i32_e32 v3, 4, v3
	v_cmp_gt_i32_e32 vcc, s33, v2
	v_or_b32_e32 v1, 48, v1
	s_nop 0
	v_cndmask_b32_e32 v2, v5, v3, vcc
	v_ashrrev_i32_e32 v3, 31, v2
	v_lshl_add_u64 v[10:11], v[2:3], 2, s[6:7]
	v_add_u32_e32 v2, v1, v4
	v_ashrrev_i32_e32 v2, 4, v2
	v_cmp_gt_i32_e32 vcc, s33, v1
	s_nop 1
	v_cndmask_b32_e32 v2, v5, v2, vcc
	v_ashrrev_i32_e32 v3, 31, v2
	v_lshl_add_u64 v[12:13], v[2:3], 2, s[6:7]
	global_load_dword v4, v[6:7], off
	global_load_dword v3, v[8:9], off
	;; [unrolled: 1-line block ×4, first 2 shown]
	s_andn2_b64 vcc, exec, s[14:15]
	s_cbranch_vccnz .LBB837_8
; %bb.6:
	s_add_u32 s12, s12, s16
	s_addc_u32 s13, s13, s17
	s_load_dword s14, s[12:13], 0x0
	s_branch .LBB837_9
.LBB837_7:
	s_mov_b64 s[8:9], 0
	s_branch .LBB837_2
.LBB837_8:
	s_mov_b32 s14, s2
.LBB837_9:
	s_load_dwordx4 s[44:47], s[0:1], 0x48
	v_lshrrev_b32_e32 v29, 6, v0
	v_bfe_u32 v42, v0, 4, 2
	v_lshl_or_b32 v5, v29, 2, v42
	v_and_b32_e32 v28, 15, v0
	v_lshlrev_b32_e32 v1, 3, v28
	v_cmp_gt_u32_e32 vcc, 10, v5
	v_cmp_gt_u32_e64 s[30:31], 8, v28
	v_and_b32_e32 v43, 63, v0
	s_mul_i32 s48, s4, 10
	s_and_b64 s[16:17], s[30:31], vcc
	v_lshlrev_b32_e32 v26, 1, v1
	v_lshlrev_b32_e32 v1, 4, v0
	s_and_saveexec_b64 s[12:13], s[16:17]
	s_cbranch_execz .LBB837_11
; %bb.10:
	s_load_dwordx2 s[16:17], s[0:1], 0x0
	s_waitcnt lgkmcnt(0)
	s_ashr_i32 s15, s44, 31
	s_mul_hi_u32 s19, s14, s44
	s_mul_i32 s15, s14, s15
	s_add_i32 s15, s19, s15
	s_mul_i32 s14, s14, s44
	s_lshl_b64 s[14:15], s[14:15], 1
	s_add_u32 s14, s16, s14
	v_add_lshl_u32 v6, v5, s48, 6
	s_addc_u32 s15, s17, s15
	v_ashrrev_i32_e32 v7, 31, v6
	v_lshl_add_u64 v[6:7], v[6:7], 1, s[14:15]
	v_mov_b32_e32 v27, 0
	v_lshl_add_u64 v[6:7], v[6:7], 0, v[26:27]
	global_load_dwordx4 v[6:9], v[6:7], off
	v_lshlrev_b32_e32 v11, 8, v28
	v_lshlrev_b32_e32 v5, 5, v5
	v_and_b32_e32 v10, 16, v1
	v_and_b32_e32 v11, 0xe00, v11
	v_or3_b32 v5, v11, v5, v10
	s_waitcnt vmcnt(0)
	ds_write_b128 v5, v[6:9]
.LBB837_11:
	s_or_b64 exec, exec, s[12:13]
	s_waitcnt lgkmcnt(0)
	s_mul_i32 s4, s4, s46
	s_add_u32 s8, s8, s4
	s_addc_u32 s9, s9, 0
	v_and_b32_e32 v8, 48, v0
	v_and_b32_e32 v30, 0xf0, v1
	v_mov_b32_e32 v31, 0
	v_lshl_add_u64 v[6:7], s[8:9], 0, v[30:31]
	v_lshlrev_b32_e32 v30, 4, v8
	v_lshl_add_u64 v[16:17], v[6:7], 0, v[30:31]
	s_waitcnt vmcnt(3)
	v_mad_i64_i32 v[4:5], s[8:9], v4, s45, v[16:17]
	s_load_dword s29, s[0:1], 0x98
	s_load_dwordx4 s[40:43], s[0:1], 0x80
	s_waitcnt lgkmcnt(0)
	s_barrier
	global_load_dwordx4 v[22:25], v[4:5], off
	s_waitcnt vmcnt(3)
	v_mad_i64_i32 v[4:5], s[8:9], v3, s45, v[16:17]
	global_load_dwordx4 v[18:21], v[4:5], off
	v_or_b32_e32 v10, s5, v8
	v_mov_b32_e32 v27, s18
	v_ashrrev_i32_e32 v3, 4, v10
	v_cmp_gt_i32_e32 vcc, s33, v10
	v_or_b32_e32 v15, 64, v10
	v_ashrrev_i32_e32 v32, 4, v15
	v_cndmask_b32_e32 v4, v27, v3, vcc
	s_waitcnt vmcnt(3)
	v_mad_i64_i32 v[2:3], s[8:9], v2, s45, v[16:17]
	global_load_dwordx4 v[6:9], v[2:3], off
	v_ashrrev_i32_e32 v5, 31, v4
	v_lshl_add_u64 v[4:5], v[4:5], 2, s[6:7]
	global_load_dword v56, v[4:5], off
	v_add_u32_e32 v4, -10, v28
	v_cmp_gt_u32_e32 vcc, 10, v28
	v_or_b32_e32 v33, 0x80, v10
	v_or_b32_e32 v35, 0xc0, v10
	v_cndmask_b32_e32 v2, v4, v28, vcc
	v_lshlrev_b32_e32 v2, 5, v2
	v_lshl_add_u32 v2, v42, 9, v2
	v_cmp_gt_i32_e32 vcc, s33, v15
	s_waitcnt vmcnt(4)
	v_mad_i64_i32 v[14:15], s[12:13], v14, s45, v[16:17]
	ds_read_b128 v[10:13], v2
	ds_read_b128 v[2:5], v2 offset:16
	global_load_dwordx4 v[14:17], v[14:15], off
	v_ashrrev_i32_e32 v34, 4, v33
	v_cndmask_b32_e32 v32, v27, v32, vcc
	v_cmp_gt_i32_e32 vcc, s33, v33
	v_ashrrev_i32_e32 v36, 4, v35
	v_ashrrev_i32_e32 v33, 31, v32
	v_cndmask_b32_e32 v34, v27, v34, vcc
	v_cmp_gt_i32_e32 vcc, s33, v35
	v_ashrrev_i32_e32 v35, 31, v34
	v_lshl_add_u64 v[32:33], v[32:33], 2, s[6:7]
	v_cndmask_b32_e32 v36, v27, v36, vcc
	v_ashrrev_i32_e32 v37, 31, v36
	v_lshl_add_u64 v[36:37], v[36:37], 2, s[6:7]
	s_add_u32 s8, s10, s4
	s_load_dword s4, s[40:41], 0x0
	v_lshl_add_u64 v[38:39], v[34:35], 2, s[6:7]
	global_load_dword v35, v[32:33], off
	global_load_dword v27, v[38:39], off
	;; [unrolled: 1-line block ×3, first 2 shown]
	s_load_dword s14, s[0:1], 0x1c
	s_mov_b32 s44, 0xff7fffff
	v_lshlrev_b32_e32 v30, 4, v28
	s_addc_u32 s9, s11, 0
	v_lshl_or_b32 v30, v29, 8, v30
	s_waitcnt lgkmcnt(0)
	v_mov_b32_e32 v57, s14
	v_lshl_add_u64 v[30:31], s[8:9], 0, v[30:31]
	s_waitcnt vmcnt(7)
	v_cvt_pk_f32_fp8_e32 v[32:33], v22
	v_cvt_pk_f32_fp8_sdwa v[36:37], v22 src0_sel:WORD_1
	v_cvt_pk_f32_fp8_e32 v[38:39], v23
	v_cvt_pk_f32_fp8_sdwa v[40:41], v23 src0_sel:WORD_1
	v_cvt_pkrtz_f16_f32 v32, v32, v33
	v_cvt_pkrtz_f16_f32 v33, v36, v37
	s_waitcnt vmcnt(6)
	v_cvt_pk_f32_fp8_e32 v[22:23], v18
	v_cvt_pk_f32_fp8_sdwa v[50:51], v18 src0_sel:WORD_1
	v_cvt_pk_f32_fp8_e32 v[44:45], v24
	v_cvt_pk_f32_fp8_sdwa v[46:47], v24 src0_sel:WORD_1
	;; [unrolled: 2-line block ×3, first 2 shown]
	v_cvt_pkrtz_f16_f32 v36, v22, v23
	v_mfma_f32_16x16x16_f16 v[22:25], v[32:33], v[10:11], 0
	v_cvt_pkrtz_f16_f32 v32, v38, v39
	v_cvt_pkrtz_f16_f32 v33, v40, v41
	v_cvt_pk_f32_fp8_e32 v[54:55], v19
	v_cvt_pkrtz_f16_f32 v37, v50, v51
	v_cvt_pk_f32_fp8_sdwa v[18:19], v19 src0_sel:WORD_1
	v_mfma_f32_16x16x16_f16 v[22:25], v[32:33], v[12:13], v[22:25]
	v_cvt_pkrtz_f16_f32 v50, v54, v55
	v_cvt_pkrtz_f16_f32 v51, v18, v19
	;; [unrolled: 1-line block ×4, first 2 shown]
	v_mfma_f32_16x16x16_f16 v[36:39], v[36:37], v[10:11], 0
	v_cvt_pk_f32_fp8_e32 v[40:41], v20
	v_cvt_pk_f32_fp8_sdwa v[18:19], v20 src0_sel:WORD_1
	v_cvt_pkrtz_f16_f32 v44, v48, v49
	v_mfma_f32_16x16x16_f16 v[36:39], v[50:51], v[12:13], v[36:39]
	v_cvt_pk_f32_fp8_e32 v[50:51], v21
	v_cvt_pkrtz_f16_f32 v45, v52, v53
	v_cvt_pkrtz_f16_f32 v40, v40, v41
	v_mfma_f32_16x16x16_f16 v[22:25], v[32:33], v[2:3], v[22:25]
	v_cvt_pk_f32_fp8_sdwa v[32:33], v21 src0_sel:WORD_1
	v_cvt_pkrtz_f16_f32 v41, v18, v19
	v_cvt_pkrtz_f16_f32 v18, v50, v51
	v_mfma_f32_16x16x16_f16 v[44:47], v[44:45], v[4:5], v[22:25]
	v_cvt_pkrtz_f16_f32 v19, v32, v33
	s_waitcnt vmcnt(5)
	v_cvt_pk_f32_fp8_e32 v[32:33], v6
	v_cvt_pk_f32_fp8_sdwa v[48:49], v9 src0_sel:WORD_1
	v_mfma_f32_16x16x16_f16 v[22:25], v[40:41], v[2:3], v[36:39]
	v_mul_f32_e32 v50, s4, v57
	s_waitcnt vmcnt(4)
	v_mad_i64_i32 v[20:21], s[6:7], v56, s45, v[30:31]
	v_cvt_pk_f32_fp8_sdwa v[36:37], v6 src0_sel:WORD_1
	v_mfma_f32_16x16x16_f16 v[38:41], v[18:19], v[4:5], v[22:25]
	v_cvt_pk_f32_fp8_e32 v[18:19], v7
	v_cvt_pk_f32_fp8_sdwa v[6:7], v7 src0_sel:WORD_1
	v_cvt_pkrtz_f16_f32 v18, v18, v19
	v_cvt_pkrtz_f16_f32 v22, v32, v33
	;; [unrolled: 1-line block ×3, first 2 shown]
	v_cvt_pk_f32_fp8_e32 v[32:33], v8
	v_cvt_pk_f32_fp8_sdwa v[36:37], v8 src0_sel:WORD_1
	v_cvt_pkrtz_f16_f32 v19, v6, v7
	v_mfma_f32_16x16x16_f16 v[22:25], v[22:23], v[10:11], 0
	v_cvt_pkrtz_f16_f32 v32, v32, v33
	v_cvt_pkrtz_f16_f32 v33, v36, v37
	v_cvt_pk_f32_fp8_e32 v[36:37], v9
	v_mfma_f32_16x16x16_f16 v[6:9], v[18:19], v[12:13], v[22:25]
	v_cvt_pkrtz_f16_f32 v19, v48, v49
	v_cvt_pkrtz_f16_f32 v18, v36, v37
	s_nop 0
	v_pk_mul_f32 v[22:23], v[50:51], v[46:47] op_sel_hi:[0,1]
	v_mfma_f32_16x16x16_f16 v[46:49], v[32:33], v[2:3], v[6:9]
	s_waitcnt vmcnt(3)
	v_cvt_pk_f32_fp8_sdwa v[24:25], v14 src0_sel:WORD_1
	v_cvt_pk_f32_fp8_sdwa v[32:33], v16 src0_sel:WORD_1
	v_pk_mul_f32 v[36:37], v[50:51], v[40:41] op_sel_hi:[0,1]
	v_cvt_pk_f32_fp8_e32 v[8:9], v14
	v_pk_mul_f32 v[6:7], v[50:51], v[44:45] op_sel_hi:[0,1]
	v_mfma_f32_16x16x16_f16 v[44:47], v[18:19], v[4:5], v[46:49]
	v_cvt_pk_f32_fp8_e32 v[18:19], v15
	v_cvt_pkrtz_f16_f32 v8, v8, v9
	v_cvt_pkrtz_f16_f32 v9, v24, v25
	v_cvt_pk_f32_fp8_sdwa v[14:15], v15 src0_sel:WORD_1
	v_cvt_pkrtz_f16_f32 v18, v18, v19
	v_cvt_pk_f32_fp8_e32 v[24:25], v16
	v_mfma_f32_16x16x16_f16 v[8:11], v[8:9], v[10:11], 0
	v_cvt_pkrtz_f16_f32 v19, v14, v15
	v_cvt_pkrtz_f16_f32 v14, v24, v25
	;; [unrolled: 1-line block ×3, first 2 shown]
	v_cvt_pk_f32_fp8_e32 v[24:25], v17
	v_cvt_pk_f32_fp8_sdwa v[16:17], v17 src0_sel:WORD_1
	v_mfma_f32_16x16x16_f16 v[8:11], v[18:19], v[12:13], v[8:11]
	v_pk_mul_f32 v[40:41], v[50:51], v[38:39] op_sel_hi:[0,1]
	v_cvt_pkrtz_f16_f32 v12, v24, v25
	v_cvt_pkrtz_f16_f32 v13, v16, v17
	v_mfma_f32_16x16x16_f16 v[8:11], v[14:15], v[2:3], v[8:11]
	v_pk_mul_f32 v[38:39], v[50:51], v[44:45] op_sel_hi:[0,1]
	v_pk_mul_f32 v[32:33], v[50:51], v[46:47] op_sel_hi:[0,1]
	v_mfma_f32_16x16x16_f16 v[2:5], v[12:13], v[4:5], v[8:11]
	s_nop 6
	v_pk_mul_f32 v[24:25], v[50:51], v[2:3] op_sel_hi:[0,1]
	v_and_b32_e32 v2, 0xc0, v0
	v_add_u32_e32 v2, s5, v2
	v_lshl_or_b32 v2, v42, 2, v2
	v_pk_mul_f32 v[18:19], v[50:51], v[4:5] op_sel_hi:[0,1]
	v_or_b32_e32 v5, 1, v2
	v_mov_b32_e32 v3, 0xff7fffff
	v_cmp_gt_i32_e64 s[4:5], s33, v2
	v_cmp_gt_i32_e64 s[34:35], s33, v5
	v_or_b32_e32 v8, 3, v2
	v_cndmask_b32_e64 v4, v3, v6, s[4:5]
	v_cndmask_b32_e64 v5, v3, v7, s[34:35]
	v_max3_f32 v4, v4, s44, v5
	v_or_b32_e32 v5, 2, v2
	v_cmp_gt_i32_e64 s[36:37], s33, v5
	v_cmp_gt_i32_e64 s[38:39], s33, v8
	s_nop 0
	v_cndmask_b32_e64 v5, v3, v22, s[36:37]
	v_cndmask_b32_e64 v8, v3, v23, s[38:39]
	v_max3_f32 v4, v4, v5, v8
	v_or_b32_e32 v5, 16, v2
	v_or_b32_e32 v8, 17, v2
	v_cmp_gt_i32_e64 s[24:25], s33, v5
	v_cmp_gt_i32_e64 s[26:27], s33, v8
	s_nop 0
	v_cndmask_b32_e64 v5, v3, v40, s[24:25]
	v_cndmask_b32_e64 v8, v3, v41, s[26:27]
	v_max3_f32 v4, v4, v5, v8
	v_or_b32_e32 v5, 18, v2
	;; [unrolled: 8-line block ×6, first 2 shown]
	v_or_b32_e32 v2, 51, v2
	v_cmp_gt_i32_e32 vcc, s33, v5
	v_cmp_gt_i32_e64 s[6:7], s33, v2
	s_nop 0
	v_cndmask_b32_e32 v5, v3, v18, vcc
	v_cndmask_b32_e64 v2, v3, v19, s[6:7]
	v_max3_f32 v4, v4, v5, v2
	v_mbcnt_lo_u32_b32 v2, -1, 0
	v_mbcnt_hi_u32_b32 v5, -1, v2
	v_and_b32_e32 v2, 64, v5
	v_add_u32_e32 v8, 64, v2
	v_xor_b32_e32 v2, 32, v5
	v_cmp_lt_i32_e64 s[40:41], v2, v8
	s_nop 1
	v_cndmask_b32_e64 v2, v5, v2, s[40:41]
	v_lshlrev_b32_e32 v44, 2, v2
	ds_bpermute_b32 v9, v44, v4
	s_waitcnt vmcnt(2)
	v_mad_i64_i32 v[2:3], s[40:41], v35, s45, v[30:31]
	global_load_dwordx4 v[14:17], v[20:21], off
	global_load_dwordx4 v[10:13], v[2:3], off
	v_xor_b32_e32 v3, 16, v5
	v_cmp_lt_i32_e64 s[40:41], v3, v8
	s_waitcnt lgkmcnt(0)
	v_max_f32_e32 v2, v9, v9
	v_max_f32_e32 v2, v4, v2
	v_cndmask_b32_e64 v3, v5, v3, s[40:41]
	v_lshlrev_b32_e32 v45, 2, v3
	ds_bpermute_b32 v3, v45, v2
	s_waitcnt vmcnt(3)
	v_mad_i64_i32 v[20:21], s[40:41], v27, s45, v[30:31]
	s_waitcnt vmcnt(2)
	v_mad_i64_i32 v[30:31], s[40:41], v34, s45, v[30:31]
	s_waitcnt lgkmcnt(0)
	v_max_f32_e32 v3, v3, v3
	v_max_f32_e32 v27, v2, v3
	v_sub_f32_e32 v2, v6, v27
	v_mul_f32_e32 v2, 0x3fb8aa3b, v2
	v_exp_f32_e32 v34, v2
	v_sub_f32_e32 v2, v7, v27
	v_mul_f32_e32 v2, 0x3fb8aa3b, v2
	v_exp_f32_e32 v35, v2
	global_load_dwordx4 v[6:9], v[20:21], off
	global_load_dwordx4 v[2:5], v[30:31], off
	v_sub_f32_e32 v22, v22, v27
	v_mul_f32_e32 v22, 0x3fb8aa3b, v22
	v_sub_f32_e32 v23, v23, v27
	v_exp_f32_e32 v22, v22
	v_mul_f32_e32 v23, 0x3fb8aa3b, v23
	v_exp_f32_e32 v23, v23
	v_cndmask_b32_e64 v20, 0, v34, s[4:5]
	v_add_f32_e32 v30, 0, v20
	v_cndmask_b32_e64 v21, 0, v35, s[34:35]
	v_add_f32_e32 v30, v30, v21
	;; [unrolled: 2-line block ×3, first 2 shown]
	v_cndmask_b32_e64 v35, 0, v23, s[38:39]
	v_sub_f32_e32 v23, v40, v27
	v_sub_f32_e32 v30, v41, v27
	v_mul_f32_e32 v23, 0x3fb8aa3b, v23
	v_mul_f32_e32 v30, 0x3fb8aa3b, v30
	v_exp_f32_e32 v23, v23
	v_exp_f32_e32 v30, v30
	v_add_f32_e32 v31, v22, v35
	v_sub_f32_e32 v32, v32, v27
	v_cndmask_b32_e64 v22, 0, v23, s[24:25]
	v_cndmask_b32_e64 v23, 0, v30, s[26:27]
	v_sub_f32_e32 v30, v36, v27
	v_mul_f32_e32 v30, 0x3fb8aa3b, v30
	v_exp_f32_e32 v30, v30
	v_sub_f32_e32 v36, v37, v27
	v_add_f32_e32 v31, v31, v22
	v_mul_f32_e32 v36, 0x3fb8aa3b, v36
	v_exp_f32_e32 v37, v36
	v_add_f32_e32 v31, v31, v23
	v_cndmask_b32_e64 v36, 0, v30, s[20:21]
	v_add_f32_e32 v30, v31, v36
	v_sub_f32_e32 v31, v38, v27
	v_mul_f32_e32 v31, 0x3fb8aa3b, v31
	v_sub_f32_e32 v38, v39, v27
	v_exp_f32_e32 v31, v31
	v_mul_f32_e32 v38, 0x3fb8aa3b, v38
	v_exp_f32_e32 v38, v38
	v_mul_f32_e32 v32, 0x3fb8aa3b, v32
	v_sub_f32_e32 v33, v33, v27
	v_exp_f32_e32 v32, v32
	v_mul_f32_e32 v33, 0x3fb8aa3b, v33
	v_sub_f32_e32 v24, v24, v27
	v_cndmask_b32_e64 v37, 0, v37, s[22:23]
	v_exp_f32_e32 v33, v33
	v_mul_f32_e32 v24, 0x3fb8aa3b, v24
	v_sub_f32_e32 v25, v25, v27
	v_add_f32_e32 v39, v30, v37
	v_cndmask_b32_e64 v30, 0, v31, s[16:17]
	v_exp_f32_e32 v24, v24
	v_mul_f32_e32 v25, 0x3fb8aa3b, v25
	v_sub_f32_e32 v18, v18, v27
	v_add_f32_e32 v39, v39, v30
	;; [unrolled: 5-line block ×3, first 2 shown]
	v_cndmask_b32_e64 v32, 0, v32, s[12:13]
	v_exp_f32_e32 v18, v18
	v_mul_f32_e32 v19, 0x3fb8aa3b, v19
	v_add_f32_e32 v38, v38, v32
	v_cndmask_b32_e64 v33, 0, v33, s[14:15]
	v_exp_f32_e32 v19, v19
	v_add_f32_e32 v38, v38, v33
	v_cndmask_b32_e64 v24, 0, v24, s[8:9]
	v_add_f32_e32 v38, v38, v24
	v_cndmask_b32_e64 v25, 0, v25, s[10:11]
	v_add_f32_e32 v38, v38, v25
	v_cndmask_b32_e32 v18, 0, v18, vcc
	v_add_f32_e32 v38, v38, v18
	v_cndmask_b32_e64 v19, 0, v19, s[6:7]
	v_add_f32_e32 v38, v38, v19
	ds_bpermute_b32 v39, v44, v38
	v_cmp_gt_u32_e32 vcc, 16, v43
	s_waitcnt lgkmcnt(0)
	s_barrier
	v_add_f32_e32 v39, v38, v39
	ds_bpermute_b32 v40, v45, v39
	v_lshlrev_b32_e32 v38, 2, v28
	s_and_saveexec_b64 s[4:5], vcc
	s_cbranch_execz .LBB837_13
; %bb.12:
	s_waitcnt lgkmcnt(0)
	v_add_f32_e32 v39, v39, v40
	v_lshl_or_b32 v40, v29, 6, v38
	ds_write2st64_b32 v40, v27, v39 offset1:1
.LBB837_13:
	s_or_b64 exec, exec, s[4:5]
	s_load_dword s6, s[0:1], 0x94
	s_waitcnt lgkmcnt(0)
	s_barrier
	ds_read2_b32 v[40:41], v38 offset1:16
	ds_read2_b32 v[44:45], v38 offset0:32 offset1:48
	ds_read2_b32 v[46:47], v38 offset0:64 offset1:80
	s_mul_i32 s7, s29, 10
	s_waitcnt lgkmcnt(2)
	v_max3_f32 v27, v40, s44, v41
	s_waitcnt lgkmcnt(1)
	v_max3_f32 v27, v27, v44, v45
	v_sub_f32_e32 v39, v40, v27
	v_sub_f32_e32 v40, v41, v27
	v_mul_f32_e32 v40, 0x3fb8aa3b, v40
	v_mul_f32_e32 v39, 0x3fb8aa3b, v39
	v_exp_f32_e32 v43, v40
	v_sub_f32_e32 v40, v44, v27
	v_exp_f32_e32 v39, v39
	v_mul_f32_e32 v40, 0x3fb8aa3b, v40
	v_exp_f32_e32 v44, v40
	ds_read2_b32 v[40:41], v38 offset0:96 offset1:112
	v_sub_f32_e32 v38, v45, v27
	v_mul_f32_e32 v38, 0x3fb8aa3b, v38
	v_exp_f32_e32 v45, v38
	s_waitcnt lgkmcnt(1)
	v_fma_f32 v38, v39, v46, 0
	v_fmac_f32_e32 v38, v43, v47
	s_waitcnt lgkmcnt(0)
	v_fmac_f32_e32 v38, v44, v40
	v_fmac_f32_e32 v38, v45, v41
	v_add_f32_e32 v40, 0x358637bd, v38
	v_div_scale_f32 v41, s[4:5], v40, v40, 1.0
	v_rcp_f32_e32 v46, v41
	s_barrier
	v_fma_f32 v47, -v41, v46, 1.0
	v_fmac_f32_e32 v46, v47, v46
	v_div_scale_f32 v47, vcc, 1.0, v40, 1.0
	v_mul_f32_e32 v48, v47, v46
	v_fma_f32 v49, -v41, v48, v47
	v_fmac_f32_e32 v48, v49, v46
	v_fma_f32 v41, -v41, v48, v47
	v_div_fmas_f32 v41, v41, v46, v48
	v_cmp_eq_u32_e32 vcc, 1, v29
	v_div_fixup_f32 v40, v41, v40, 1.0
	s_nop 0
	v_cndmask_b32_e32 v39, v39, v43, vcc
	v_cmp_eq_u32_e32 vcc, 2, v29
	s_nop 1
	v_cndmask_b32_e32 v39, v39, v44, vcc
	v_cmp_eq_u32_e32 vcc, 3, v29
	v_lshlrev_b32_e32 v29, 11, v29
	s_nop 0
	v_cndmask_b32_e32 v39, v39, v45, vcc
	v_mul_f32_e32 v40, v39, v40
	v_pk_mul_f32 v[20:21], v[40:41], v[20:21] op_sel_hi:[0,1]
	v_pk_mul_f32 v[34:35], v[40:41], v[34:35] op_sel_hi:[0,1]
	v_cvt_f16_f32_e32 v20, v20
	v_cvt_f16_f32_e32 v21, v21
	v_pk_mul_f32 v[36:37], v[40:41], v[36:37] op_sel_hi:[0,1]
	v_pk_mul_f32 v[22:23], v[40:41], v[22:23] op_sel_hi:[0,1]
	v_cvt_f16_f32_e32 v39, v34
	v_cvt_f16_f32_e32 v35, v35
	;; [unrolled: 1-line block ×6, first 2 shown]
	v_pack_b32_f16 v34, v20, v21
	v_lshlrev_b32_e32 v20, 3, v42
	v_lshlrev_b32_e32 v21, 5, v28
	v_pack_b32_f16 v35, v39, v35
	v_or3_b32 v20, v29, v21, v20
	v_pack_b32_f16 v22, v22, v23
	v_pack_b32_f16 v23, v36, v37
	ds_write2st64_b64 v20, v[34:35], v[22:23] offset1:1
	v_pk_mul_f32 v[22:23], v[40:41], v[32:33] op_sel_hi:[0,1]
	v_pk_mul_f32 v[30:31], v[40:41], v[30:31] op_sel_hi:[0,1]
	v_cvt_f16_f32_e32 v29, v30
	v_cvt_f16_f32_e32 v30, v31
	;; [unrolled: 1-line block ×4, first 2 shown]
	v_pk_mul_f32 v[18:19], v[40:41], v[18:19] op_sel_hi:[0,1]
	v_pk_mul_f32 v[22:23], v[40:41], v[24:25] op_sel_hi:[0,1]
	v_cvt_f16_f32_e32 v22, v22
	v_cvt_f16_f32_e32 v23, v23
	;; [unrolled: 1-line block ×4, first 2 shown]
	v_pack_b32_f16 v18, v29, v30
	v_pack_b32_f16 v19, v31, v32
	;; [unrolled: 1-line block ×4, first 2 shown]
	v_cmp_gt_u32_e32 vcc, 10, v0
	ds_write2st64_b64 v20, v[18:19], v[22:23] offset0:2 offset1:3
	s_and_saveexec_b64 s[4:5], vcc
	s_cbranch_execz .LBB837_15
; %bb.14:
	s_mov_b32 s49, 0
	v_mov_b32_e32 v29, 0
	v_lshl_add_u64 v[18:19], s[48:49], 0, v[28:29]
	v_mov_b32_e32 v22, s7
	v_mad_u64_u32 v[18:19], s[12:13], s2, v22, v[18:19]
	s_mul_i32 s3, s3, s7
	v_mov_b32_e32 v28, s28
	s_load_dwordx4 s[8:11], s[0:1], 0x58
	v_add_u32_e32 v23, s3, v19
	v_mad_u64_u32 v[18:19], s[12:13], v18, s6, v[28:29]
	v_mov_b32_e32 v22, v19
	v_mad_u64_u32 v[22:23], s[12:13], v23, s6, v[22:23]
	v_mov_b32_e32 v19, v22
	v_lshlrev_b64 v[18:19], 2, v[18:19]
	s_waitcnt lgkmcnt(0)
	v_lshl_add_u64 v[22:23], s[10:11], 0, v[18:19]
	v_lshl_add_u64 v[18:19], s[8:9], 0, v[18:19]
	global_store_dword v[22:23], v27, off
	global_store_dword v[18:19], v38, off
.LBB837_15:
	s_or_b64 exec, exec, s[4:5]
	s_waitcnt vmcnt(3)
	v_cvt_pk_f32_fp8_e32 v[18:19], v14
	v_cvt_pk_f32_fp8_sdwa v[22:23], v14 src0_sel:WORD_1
	v_cvt_pk_f32_fp8_e32 v[24:25], v15
	v_lshl_or_b32 v14, v42, 9, v21
	s_waitcnt lgkmcnt(0)
	s_barrier
	v_cvt_pkrtz_f16_f32 v18, v18, v19
	v_cvt_pkrtz_f16_f32 v19, v22, v23
	v_cvt_pk_f32_fp8_sdwa v[28:29], v15 src0_sel:WORD_1
	v_cvt_pkrtz_f16_f32 v36, v24, v25
	ds_read_b128 v[22:25], v14
	v_cvt_pk_f32_fp8_e32 v[38:39], v16
	v_cvt_pkrtz_f16_f32 v37, v28, v29
	ds_read_b128 v[28:31], v14 offset:16
	v_cvt_pk_f32_fp8_sdwa v[40:41], v16 src0_sel:WORD_1
	s_waitcnt lgkmcnt(1)
	v_mfma_f32_16x16x16_f16 v[32:35], v[18:19], v[22:23], 0
	v_cvt_pkrtz_f16_f32 v18, v38, v39
	v_cvt_pk_f32_fp8_e32 v[38:39], v17
	v_cvt_pkrtz_f16_f32 v19, v40, v41
	v_mfma_f32_16x16x16_f16 v[22:25], v[36:37], v[24:25], v[32:35]
	s_waitcnt vmcnt(2)
	v_cvt_pk_f32_fp8_sdwa v[36:37], v12 src0_sel:WORD_1
	s_load_dword s4, s[42:43], 0x0
	v_cmp_gt_u32_e32 vcc, 64, v0
	v_cvt_pk_f32_fp8_sdwa v[32:33], v17 src0_sel:WORD_1
	v_cvt_pkrtz_f16_f32 v34, v38, v39
	s_waitcnt lgkmcnt(0)
	v_mfma_f32_16x16x16_f16 v[16:19], v[18:19], v[28:29], v[22:25]
	v_cvt_pk_f32_fp8_e32 v[28:29], v11
	v_cvt_pkrtz_f16_f32 v35, v32, v33
	s_mov_b32 s3, 0
	v_cvt_pk_f32_fp8_e32 v[22:23], v10
	v_cvt_pk_f32_fp8_sdwa v[24:25], v10 src0_sel:WORD_1
	v_mfma_f32_16x16x16_f16 v[16:19], v[34:35], v[30:31], v[16:19]
	v_cvt_pkrtz_f16_f32 v10, v22, v23
	v_cvt_pk_f32_fp8_sdwa v[30:31], v11 src0_sel:WORD_1
	v_cvt_pkrtz_f16_f32 v11, v24, v25
	ds_read_b128 v[22:25], v14 offset:2048
	v_cvt_pkrtz_f16_f32 v32, v28, v29
	v_cvt_pkrtz_f16_f32 v33, v30, v31
	ds_read_b128 v[28:31], v14 offset:2064
	v_cvt_pk_f32_fp8_e32 v[34:35], v12
	s_waitcnt lgkmcnt(1)
	v_mfma_f32_16x16x16_f16 v[16:19], v[10:11], v[22:23], v[16:19]
	v_cvt_pkrtz_f16_f32 v11, v36, v37
	v_cvt_pk_f32_fp8_e32 v[22:23], v13
	v_cvt_pkrtz_f16_f32 v10, v34, v35
	v_mfma_f32_16x16x16_f16 v[16:19], v[32:33], v[24:25], v[16:19]
	v_cvt_pk_f32_fp8_sdwa v[24:25], v13 src0_sel:WORD_1
	v_cvt_pkrtz_f16_f32 v22, v22, v23
	s_waitcnt vmcnt(1)
	v_cvt_pk_f32_fp8_sdwa v[32:33], v8 src0_sel:WORD_1
	s_waitcnt lgkmcnt(0)
	v_mfma_f32_16x16x16_f16 v[10:13], v[10:11], v[28:29], v[16:19]
	v_cvt_pkrtz_f16_f32 v23, v24, v25
	v_cvt_pk_f32_fp8_sdwa v[24:25], v7 src0_sel:WORD_1
	v_mov_b32_e32 v27, 0
	v_cvt_pk_f32_fp8_e32 v[16:17], v6
	v_cvt_pk_f32_fp8_sdwa v[18:19], v6 src0_sel:WORD_1
	v_mfma_f32_16x16x16_f16 v[10:13], v[22:23], v[30:31], v[10:13]
	v_cvt_pk_f32_fp8_e32 v[22:23], v7
	v_cvt_pkrtz_f16_f32 v6, v16, v17
	v_cvt_pkrtz_f16_f32 v7, v18, v19
	ds_read_b128 v[16:19], v14 offset:4096
	v_cvt_pkrtz_f16_f32 v28, v22, v23
	v_cvt_pkrtz_f16_f32 v29, v24, v25
	ds_read_b128 v[22:25], v14 offset:4112
	v_cvt_pk_f32_fp8_e32 v[30:31], v8
	s_waitcnt lgkmcnt(1)
	v_mfma_f32_16x16x16_f16 v[10:13], v[6:7], v[16:17], v[10:13]
	v_cvt_pkrtz_f16_f32 v7, v32, v33
	v_cvt_pk_f32_fp8_e32 v[16:17], v9
	v_cvt_pkrtz_f16_f32 v6, v30, v31
	v_mfma_f32_16x16x16_f16 v[10:13], v[28:29], v[18:19], v[10:13]
	v_cvt_pk_f32_fp8_sdwa v[18:19], v9 src0_sel:WORD_1
	v_cvt_pkrtz_f16_f32 v16, v16, v17
	v_cvt_pkrtz_f16_f32 v17, v18, v19
	s_waitcnt lgkmcnt(0)
	v_mfma_f32_16x16x16_f16 v[6:9], v[6:7], v[22:23], v[10:13]
	s_waitcnt vmcnt(0)
	v_cvt_pk_f32_fp8_sdwa v[18:19], v3 src0_sel:WORD_1
	s_nop 0
	v_cvt_pkrtz_f16_f32 v23, v18, v19
	v_cvt_pk_f32_fp8_e32 v[10:11], v2
	v_cvt_pk_f32_fp8_sdwa v[12:13], v2 src0_sel:WORD_1
	v_mfma_f32_16x16x16_f16 v[6:9], v[16:17], v[24:25], v[6:9]
	v_cvt_pk_f32_fp8_e32 v[16:17], v3
	v_cvt_pkrtz_f16_f32 v2, v10, v11
	v_cvt_pkrtz_f16_f32 v3, v12, v13
	ds_read_b128 v[10:13], v14 offset:6144
	v_cvt_pkrtz_f16_f32 v22, v16, v17
	v_cvt_pk_f32_fp8_e32 v[18:19], v4
	v_cvt_pk_f32_fp8_sdwa v[24:25], v4 src0_sel:WORD_1
	s_waitcnt lgkmcnt(0)
	v_mfma_f32_16x16x16_f16 v[6:9], v[2:3], v[10:11], v[6:9]
	ds_read_b128 v[14:17], v14 offset:6160
	v_cvt_pkrtz_f16_f32 v2, v18, v19
	v_cvt_pkrtz_f16_f32 v3, v24, v25
	v_cvt_pk_f32_fp8_e32 v[10:11], v5
	v_mfma_f32_16x16x16_f16 v[6:9], v[22:23], v[12:13], v[6:9]
	v_cvt_pk_f32_fp8_sdwa v[12:13], v5 src0_sel:WORD_1
	s_waitcnt lgkmcnt(0)
	v_cvt_pkrtz_f16_f32 v10, v10, v11
	v_mfma_f32_16x16x16_f16 v[2:5], v[2:3], v[14:15], v[6:9]
	v_cvt_pkrtz_f16_f32 v11, v12, v13
	s_barrier
	s_nop 0
	v_mfma_f32_16x16x16_f16 v[2:5], v[10:11], v[16:17], v[2:5]
	s_nop 6
	v_pk_mul_f32 v[4:5], v[4:5], s[4:5] op_sel_hi:[1,0]
	v_pk_mul_f32 v[2:3], v[2:3], s[4:5] op_sel_hi:[1,0]
	v_cvt_f16_f32_e32 v4, v4
	v_cvt_f16_f32_e32 v2, v2
	;; [unrolled: 1-line block ×4, first 2 shown]
	s_and_b64 s[4:5], vcc, s[30:31]
	v_pack_b32_f16 v2, v2, v3
	v_pack_b32_f16 v3, v4, v5
	ds_write_b64 v20, v[2:3]
	s_waitcnt lgkmcnt(0)
	s_barrier
	s_and_saveexec_b64 s[8:9], s[4:5]
	s_cbranch_execz .LBB837_18
; %bb.16:
	s_load_dwordx2 s[4:5], s[0:1], 0x68
	s_lshl_b32 s0, s6, 6
	s_mul_i32 s1, s7, s2
	s_mul_hi_u32 s7, s1, s0
	s_mul_i32 s6, s1, s0
	v_lshlrev_b32_e32 v0, 10, v0
	s_lshl_b64 s[6:7], s[6:7], 1
	v_and_b32_e32 v0, 0x1800, v0
	v_lshlrev_b32_e32 v2, 5, v42
	v_and_b32_e32 v1, 16, v1
	s_waitcnt lgkmcnt(0)
	s_add_u32 s1, s4, s6
	v_or3_b32 v2, v0, v2, v1
	s_addc_u32 s4, s5, s7
	s_lshl_b32 s2, s28, 6
	s_lshl_b64 s[2:3], s[2:3], 1
	ds_read_b128 v[4:7], v2 offset:128
	ds_read_b128 v[8:11], v2
	s_add_u32 s2, s1, s2
	s_addc_u32 s3, s4, s3
	v_add_u32_e32 v14, s48, v42
	v_lshl_add_u64 v[0:1], s[2:3], 0, v[26:27]
	v_mad_u64_u32 v[12:13], s[2:3], v14, s0, 0
	v_lshl_add_u64 v[12:13], v[12:13], 1, v[0:1]
	s_waitcnt lgkmcnt(0)
	global_store_dwordx4 v[12:13], v[8:11], off
	v_or_b32_e32 v3, 8, v42
	v_cmp_gt_u32_e32 vcc, 10, v3
	v_add_u32_e32 v8, 4, v14
	v_mad_u64_u32 v[8:9], s[2:3], v8, s0, 0
	v_lshl_add_u64 v[8:9], v[8:9], 1, v[0:1]
	global_store_dwordx4 v[8:9], v[4:7], off
	s_and_b64 exec, exec, vcc
	s_cbranch_execz .LBB837_18
; %bb.17:
	ds_read_b128 v[4:7], v2 offset:256
	v_add_u32_e32 v2, s48, v3
	v_mad_u64_u32 v[2:3], s[0:1], v2, s0, 0
	v_lshl_add_u64 v[0:1], v[2:3], 1, v[0:1]
	s_waitcnt lgkmcnt(0)
	global_store_dwordx4 v[0:1], v[4:7], off
.LBB837_18:
	s_endpgm
	.section	.rodata,"a",@progbits
	.p2align	6, 0x0
	.amdhsa_kernel _Z39paged_attention_ll4mi_QKV_mfma16_kernelIDF16_hLN4vllm18Fp8KVCacheDataTypeE1EDF16_Li16ELi64ELi256ELb0ELi10EEvPKT_PKT0_S7_ifPKiS9_S9_iPKfiiiPfSC_PS2_PT2_iSB_SB_
		.amdhsa_group_segment_fixed_size 8192
		.amdhsa_private_segment_fixed_size 0
		.amdhsa_kernarg_size 400
		.amdhsa_user_sgpr_count 2
		.amdhsa_user_sgpr_dispatch_ptr 0
		.amdhsa_user_sgpr_queue_ptr 0
		.amdhsa_user_sgpr_kernarg_segment_ptr 1
		.amdhsa_user_sgpr_dispatch_id 0
		.amdhsa_user_sgpr_kernarg_preload_length 0
		.amdhsa_user_sgpr_kernarg_preload_offset 0
		.amdhsa_user_sgpr_private_segment_size 0
		.amdhsa_uses_dynamic_stack 0
		.amdhsa_enable_private_segment 0
		.amdhsa_system_sgpr_workgroup_id_x 1
		.amdhsa_system_sgpr_workgroup_id_y 1
		.amdhsa_system_sgpr_workgroup_id_z 1
		.amdhsa_system_sgpr_workgroup_info 0
		.amdhsa_system_vgpr_workitem_id 0
		.amdhsa_next_free_vgpr 58
		.amdhsa_next_free_sgpr 50
		.amdhsa_accum_offset 60
		.amdhsa_reserve_vcc 1
		.amdhsa_float_round_mode_32 0
		.amdhsa_float_round_mode_16_64 0
		.amdhsa_float_denorm_mode_32 3
		.amdhsa_float_denorm_mode_16_64 3
		.amdhsa_dx10_clamp 1
		.amdhsa_ieee_mode 1
		.amdhsa_fp16_overflow 0
		.amdhsa_tg_split 0
		.amdhsa_exception_fp_ieee_invalid_op 0
		.amdhsa_exception_fp_denorm_src 0
		.amdhsa_exception_fp_ieee_div_zero 0
		.amdhsa_exception_fp_ieee_overflow 0
		.amdhsa_exception_fp_ieee_underflow 0
		.amdhsa_exception_fp_ieee_inexact 0
		.amdhsa_exception_int_div_zero 0
	.end_amdhsa_kernel
	.section	.text._Z39paged_attention_ll4mi_QKV_mfma16_kernelIDF16_hLN4vllm18Fp8KVCacheDataTypeE1EDF16_Li16ELi64ELi256ELb0ELi10EEvPKT_PKT0_S7_ifPKiS9_S9_iPKfiiiPfSC_PS2_PT2_iSB_SB_,"axG",@progbits,_Z39paged_attention_ll4mi_QKV_mfma16_kernelIDF16_hLN4vllm18Fp8KVCacheDataTypeE1EDF16_Li16ELi64ELi256ELb0ELi10EEvPKT_PKT0_S7_ifPKiS9_S9_iPKfiiiPfSC_PS2_PT2_iSB_SB_,comdat
.Lfunc_end837:
	.size	_Z39paged_attention_ll4mi_QKV_mfma16_kernelIDF16_hLN4vllm18Fp8KVCacheDataTypeE1EDF16_Li16ELi64ELi256ELb0ELi10EEvPKT_PKT0_S7_ifPKiS9_S9_iPKfiiiPfSC_PS2_PT2_iSB_SB_, .Lfunc_end837-_Z39paged_attention_ll4mi_QKV_mfma16_kernelIDF16_hLN4vllm18Fp8KVCacheDataTypeE1EDF16_Li16ELi64ELi256ELb0ELi10EEvPKT_PKT0_S7_ifPKiS9_S9_iPKfiiiPfSC_PS2_PT2_iSB_SB_
                                        ; -- End function
	.section	.AMDGPU.csdata,"",@progbits
; Kernel info:
; codeLenInByte = 4600
; NumSgprs: 56
; NumVgprs: 58
; NumAgprs: 0
; TotalNumVgprs: 58
; ScratchSize: 0
; MemoryBound: 0
; FloatMode: 240
; IeeeMode: 1
; LDSByteSize: 8192 bytes/workgroup (compile time only)
; SGPRBlocks: 6
; VGPRBlocks: 7
; NumSGPRsForWavesPerEU: 56
; NumVGPRsForWavesPerEU: 58
; AccumOffset: 60
; Occupancy: 8
; WaveLimiterHint : 1
; COMPUTE_PGM_RSRC2:SCRATCH_EN: 0
; COMPUTE_PGM_RSRC2:USER_SGPR: 2
; COMPUTE_PGM_RSRC2:TRAP_HANDLER: 0
; COMPUTE_PGM_RSRC2:TGID_X_EN: 1
; COMPUTE_PGM_RSRC2:TGID_Y_EN: 1
; COMPUTE_PGM_RSRC2:TGID_Z_EN: 1
; COMPUTE_PGM_RSRC2:TIDIG_COMP_CNT: 0
; COMPUTE_PGM_RSRC3_GFX90A:ACCUM_OFFSET: 14
; COMPUTE_PGM_RSRC3_GFX90A:TG_SPLIT: 0
	.section	.text._Z39paged_attention_ll4mi_QKV_mfma16_kernelIDF16_hLN4vllm18Fp8KVCacheDataTypeE1EDF16_Li16ELi64ELi256ELb0ELi11EEvPKT_PKT0_S7_ifPKiS9_S9_iPKfiiiPfSC_PS2_PT2_iSB_SB_,"axG",@progbits,_Z39paged_attention_ll4mi_QKV_mfma16_kernelIDF16_hLN4vllm18Fp8KVCacheDataTypeE1EDF16_Li16ELi64ELi256ELb0ELi11EEvPKT_PKT0_S7_ifPKiS9_S9_iPKfiiiPfSC_PS2_PT2_iSB_SB_,comdat
	.protected	_Z39paged_attention_ll4mi_QKV_mfma16_kernelIDF16_hLN4vllm18Fp8KVCacheDataTypeE1EDF16_Li16ELi64ELi256ELb0ELi11EEvPKT_PKT0_S7_ifPKiS9_S9_iPKfiiiPfSC_PS2_PT2_iSB_SB_ ; -- Begin function _Z39paged_attention_ll4mi_QKV_mfma16_kernelIDF16_hLN4vllm18Fp8KVCacheDataTypeE1EDF16_Li16ELi64ELi256ELb0ELi11EEvPKT_PKT0_S7_ifPKiS9_S9_iPKfiiiPfSC_PS2_PT2_iSB_SB_
	.globl	_Z39paged_attention_ll4mi_QKV_mfma16_kernelIDF16_hLN4vllm18Fp8KVCacheDataTypeE1EDF16_Li16ELi64ELi256ELb0ELi11EEvPKT_PKT0_S7_ifPKiS9_S9_iPKfiiiPfSC_PS2_PT2_iSB_SB_
	.p2align	8
	.type	_Z39paged_attention_ll4mi_QKV_mfma16_kernelIDF16_hLN4vllm18Fp8KVCacheDataTypeE1EDF16_Li16ELi64ELi256ELb0ELi11EEvPKT_PKT0_S7_ifPKiS9_S9_iPKfiiiPfSC_PS2_PT2_iSB_SB_,@function
_Z39paged_attention_ll4mi_QKV_mfma16_kernelIDF16_hLN4vllm18Fp8KVCacheDataTypeE1EDF16_Li16ELi64ELi256ELb0ELi11EEvPKT_PKT0_S7_ifPKiS9_S9_iPKfiiiPfSC_PS2_PT2_iSB_SB_: ; @_Z39paged_attention_ll4mi_QKV_mfma16_kernelIDF16_hLN4vllm18Fp8KVCacheDataTypeE1EDF16_Li16ELi64ELi256ELb0ELi11EEvPKT_PKT0_S7_ifPKiS9_S9_iPKfiiiPfSC_PS2_PT2_iSB_SB_
; %bb.0:
	s_load_dwordx2 s[12:13], s[0:1], 0x30
	s_mov_b32 s28, s3
	s_mov_b64 s[6:7], 0
	s_waitcnt lgkmcnt(0)
	s_cmp_lg_u64 s[12:13], 0
	s_cselect_b64 s[14:15], -1, 0
	s_and_b64 vcc, exec, s[14:15]
	s_cbranch_vccz .LBB838_7
; %bb.1:
	s_add_i32 s8, s2, 1
	s_mov_b32 s9, 0
	s_lshl_b64 s[10:11], s[8:9], 2
	s_add_u32 s10, s12, s10
	s_mov_b32 s3, s9
	s_addc_u32 s11, s13, s11
	s_lshl_b64 s[8:9], s[2:3], 2
	s_add_u32 s8, s12, s8
	s_addc_u32 s9, s13, s9
	s_load_dword s5, s[10:11], 0x0
	s_load_dword s16, s[8:9], 0x0
	s_waitcnt lgkmcnt(0)
	s_sub_i32 s5, s5, s16
	s_cmp_eq_u32 s5, 1
	s_cselect_b64 s[8:9], -1, 0
	s_andn2_b64 vcc, exec, s[6:7]
	s_cbranch_vccnz .LBB838_3
.LBB838_2:
	s_mov_b32 s3, 0
	s_mov_b64 s[8:9], -1
.LBB838_3:
	s_andn2_b64 vcc, exec, s[8:9]
	s_cbranch_vccnz .LBB838_18
; %bb.4:
	s_load_dwordx2 s[6:7], s[0:1], 0x28
	s_lshl_b64 s[16:17], s[2:3], 2
	s_waitcnt lgkmcnt(0)
	s_add_u32 s6, s6, s16
	s_addc_u32 s7, s7, s17
	s_load_dword s33, s[6:7], 0x0
	s_lshl_b32 s5, s28, 8
	s_waitcnt lgkmcnt(0)
	s_cmp_ge_i32 s5, s33
	s_cbranch_scc1 .LBB838_18
; %bb.5:
	s_load_dwordx2 s[6:7], s[0:1], 0x20
	s_load_dword s8, s[0:1], 0x38
	s_add_i32 s9, s33, 15
	s_ashr_i32 s10, s9, 31
	v_and_b32_e32 v1, 0xcf, v0
	s_lshr_b32 s10, s10, 28
	v_add_u32_e32 v1, s5, v1
	s_add_i32 s9, s9, s10
	v_ashrrev_i32_e32 v2, 31, v1
	s_ashr_i32 s18, s9, 4
	v_lshrrev_b32_e32 v4, 28, v2
	s_add_i32 s18, s18, -1
	s_waitcnt lgkmcnt(0)
	s_mul_i32 s8, s2, s8
	s_mov_b32 s9, 0
	v_add_u32_e32 v2, v1, v4
	s_lshl_b64 s[8:9], s[8:9], 2
	v_ashrrev_i32_e32 v2, 4, v2
	v_mov_b32_e32 v5, s18
	v_cmp_gt_i32_e32 vcc, s33, v1
	s_add_u32 s6, s6, s8
	s_addc_u32 s7, s7, s9
	v_cndmask_b32_e32 v2, v5, v2, vcc
	v_ashrrev_i32_e32 v3, 31, v2
	v_lshl_add_u64 v[6:7], v[2:3], 2, s[6:7]
	v_or_b32_e32 v2, 16, v1
	v_add_u32_e32 v3, v2, v4
	v_ashrrev_i32_e32 v3, 4, v3
	v_cmp_gt_i32_e32 vcc, s33, v2
	s_load_dwordx4 s[8:11], s[0:1], 0x8
	s_nop 0
	v_cndmask_b32_e32 v2, v5, v3, vcc
	v_ashrrev_i32_e32 v3, 31, v2
	v_lshl_add_u64 v[8:9], v[2:3], 2, s[6:7]
	v_or_b32_e32 v2, 32, v1
	v_add_u32_e32 v3, v2, v4
	v_ashrrev_i32_e32 v3, 4, v3
	v_cmp_gt_i32_e32 vcc, s33, v2
	v_or_b32_e32 v1, 48, v1
	s_nop 0
	v_cndmask_b32_e32 v2, v5, v3, vcc
	v_ashrrev_i32_e32 v3, 31, v2
	v_lshl_add_u64 v[10:11], v[2:3], 2, s[6:7]
	v_add_u32_e32 v2, v1, v4
	v_ashrrev_i32_e32 v2, 4, v2
	v_cmp_gt_i32_e32 vcc, s33, v1
	s_nop 1
	v_cndmask_b32_e32 v2, v5, v2, vcc
	v_ashrrev_i32_e32 v3, 31, v2
	v_lshl_add_u64 v[12:13], v[2:3], 2, s[6:7]
	global_load_dword v4, v[6:7], off
	global_load_dword v3, v[8:9], off
	;; [unrolled: 1-line block ×4, first 2 shown]
	s_andn2_b64 vcc, exec, s[14:15]
	s_cbranch_vccnz .LBB838_8
; %bb.6:
	s_add_u32 s12, s12, s16
	s_addc_u32 s13, s13, s17
	s_load_dword s14, s[12:13], 0x0
	s_branch .LBB838_9
.LBB838_7:
	s_mov_b64 s[8:9], 0
	s_branch .LBB838_2
.LBB838_8:
	s_mov_b32 s14, s2
.LBB838_9:
	s_load_dwordx4 s[44:47], s[0:1], 0x48
	v_lshrrev_b32_e32 v29, 6, v0
	v_bfe_u32 v42, v0, 4, 2
	v_lshl_or_b32 v5, v29, 2, v42
	v_and_b32_e32 v28, 15, v0
	v_lshlrev_b32_e32 v1, 3, v28
	v_cmp_gt_u32_e32 vcc, 11, v5
	v_cmp_gt_u32_e64 s[30:31], 8, v28
	v_and_b32_e32 v43, 63, v0
	s_mul_i32 s48, s4, 11
	s_and_b64 s[16:17], s[30:31], vcc
	v_lshlrev_b32_e32 v26, 1, v1
	v_lshlrev_b32_e32 v1, 4, v0
	s_and_saveexec_b64 s[12:13], s[16:17]
	s_cbranch_execz .LBB838_11
; %bb.10:
	s_load_dwordx2 s[16:17], s[0:1], 0x0
	s_waitcnt lgkmcnt(0)
	s_ashr_i32 s15, s44, 31
	s_mul_hi_u32 s19, s14, s44
	s_mul_i32 s15, s14, s15
	s_add_i32 s15, s19, s15
	s_mul_i32 s14, s14, s44
	s_lshl_b64 s[14:15], s[14:15], 1
	s_add_u32 s14, s16, s14
	v_add_lshl_u32 v6, v5, s48, 6
	s_addc_u32 s15, s17, s15
	v_ashrrev_i32_e32 v7, 31, v6
	v_lshl_add_u64 v[6:7], v[6:7], 1, s[14:15]
	v_mov_b32_e32 v27, 0
	v_lshl_add_u64 v[6:7], v[6:7], 0, v[26:27]
	global_load_dwordx4 v[6:9], v[6:7], off
	v_lshlrev_b32_e32 v11, 8, v28
	v_lshlrev_b32_e32 v5, 5, v5
	v_and_b32_e32 v10, 16, v1
	v_and_b32_e32 v11, 0xe00, v11
	v_or3_b32 v5, v11, v5, v10
	s_waitcnt vmcnt(0)
	ds_write_b128 v5, v[6:9]
.LBB838_11:
	s_or_b64 exec, exec, s[12:13]
	s_waitcnt lgkmcnt(0)
	s_mul_i32 s4, s4, s46
	s_add_u32 s8, s8, s4
	s_addc_u32 s9, s9, 0
	v_and_b32_e32 v8, 48, v0
	v_and_b32_e32 v30, 0xf0, v1
	v_mov_b32_e32 v31, 0
	v_lshl_add_u64 v[6:7], s[8:9], 0, v[30:31]
	v_lshlrev_b32_e32 v30, 4, v8
	v_lshl_add_u64 v[16:17], v[6:7], 0, v[30:31]
	s_waitcnt vmcnt(3)
	v_mad_i64_i32 v[4:5], s[8:9], v4, s45, v[16:17]
	s_load_dword s29, s[0:1], 0x98
	s_load_dwordx4 s[40:43], s[0:1], 0x80
	s_waitcnt lgkmcnt(0)
	s_barrier
	global_load_dwordx4 v[22:25], v[4:5], off
	s_waitcnt vmcnt(3)
	v_mad_i64_i32 v[4:5], s[8:9], v3, s45, v[16:17]
	global_load_dwordx4 v[18:21], v[4:5], off
	v_or_b32_e32 v10, s5, v8
	v_mov_b32_e32 v27, s18
	v_ashrrev_i32_e32 v3, 4, v10
	v_cmp_gt_i32_e32 vcc, s33, v10
	v_or_b32_e32 v15, 64, v10
	v_ashrrev_i32_e32 v32, 4, v15
	v_cndmask_b32_e32 v4, v27, v3, vcc
	s_waitcnt vmcnt(3)
	v_mad_i64_i32 v[2:3], s[8:9], v2, s45, v[16:17]
	global_load_dwordx4 v[6:9], v[2:3], off
	v_ashrrev_i32_e32 v5, 31, v4
	v_lshl_add_u64 v[4:5], v[4:5], 2, s[6:7]
	global_load_dword v56, v[4:5], off
	v_add_u32_e32 v4, -11, v28
	v_cmp_gt_u32_e32 vcc, 11, v28
	v_or_b32_e32 v33, 0x80, v10
	v_or_b32_e32 v35, 0xc0, v10
	v_cndmask_b32_e32 v2, v4, v28, vcc
	v_lshlrev_b32_e32 v2, 5, v2
	v_lshl_add_u32 v2, v42, 9, v2
	v_cmp_gt_i32_e32 vcc, s33, v15
	s_waitcnt vmcnt(4)
	v_mad_i64_i32 v[14:15], s[12:13], v14, s45, v[16:17]
	ds_read_b128 v[10:13], v2
	ds_read_b128 v[2:5], v2 offset:16
	global_load_dwordx4 v[14:17], v[14:15], off
	v_ashrrev_i32_e32 v34, 4, v33
	v_cndmask_b32_e32 v32, v27, v32, vcc
	v_cmp_gt_i32_e32 vcc, s33, v33
	v_ashrrev_i32_e32 v36, 4, v35
	v_ashrrev_i32_e32 v33, 31, v32
	v_cndmask_b32_e32 v34, v27, v34, vcc
	v_cmp_gt_i32_e32 vcc, s33, v35
	v_ashrrev_i32_e32 v35, 31, v34
	v_lshl_add_u64 v[32:33], v[32:33], 2, s[6:7]
	v_cndmask_b32_e32 v36, v27, v36, vcc
	v_ashrrev_i32_e32 v37, 31, v36
	v_lshl_add_u64 v[36:37], v[36:37], 2, s[6:7]
	s_add_u32 s8, s10, s4
	s_load_dword s4, s[40:41], 0x0
	v_lshl_add_u64 v[38:39], v[34:35], 2, s[6:7]
	global_load_dword v35, v[32:33], off
	global_load_dword v27, v[38:39], off
	global_load_dword v34, v[36:37], off
	s_load_dword s14, s[0:1], 0x1c
	s_mov_b32 s44, 0xff7fffff
	v_lshlrev_b32_e32 v30, 4, v28
	s_addc_u32 s9, s11, 0
	v_lshl_or_b32 v30, v29, 8, v30
	s_waitcnt lgkmcnt(0)
	v_mov_b32_e32 v57, s14
	v_lshl_add_u64 v[30:31], s[8:9], 0, v[30:31]
	s_waitcnt vmcnt(7)
	v_cvt_pk_f32_fp8_e32 v[32:33], v22
	v_cvt_pk_f32_fp8_sdwa v[36:37], v22 src0_sel:WORD_1
	v_cvt_pk_f32_fp8_e32 v[38:39], v23
	v_cvt_pk_f32_fp8_sdwa v[40:41], v23 src0_sel:WORD_1
	v_cvt_pkrtz_f16_f32 v32, v32, v33
	v_cvt_pkrtz_f16_f32 v33, v36, v37
	s_waitcnt vmcnt(6)
	v_cvt_pk_f32_fp8_e32 v[22:23], v18
	v_cvt_pk_f32_fp8_sdwa v[50:51], v18 src0_sel:WORD_1
	v_cvt_pk_f32_fp8_e32 v[44:45], v24
	v_cvt_pk_f32_fp8_sdwa v[46:47], v24 src0_sel:WORD_1
	;; [unrolled: 2-line block ×3, first 2 shown]
	v_cvt_pkrtz_f16_f32 v36, v22, v23
	v_mfma_f32_16x16x16_f16 v[22:25], v[32:33], v[10:11], 0
	v_cvt_pkrtz_f16_f32 v32, v38, v39
	v_cvt_pkrtz_f16_f32 v33, v40, v41
	v_cvt_pk_f32_fp8_e32 v[54:55], v19
	v_cvt_pkrtz_f16_f32 v37, v50, v51
	v_cvt_pk_f32_fp8_sdwa v[18:19], v19 src0_sel:WORD_1
	v_mfma_f32_16x16x16_f16 v[22:25], v[32:33], v[12:13], v[22:25]
	v_cvt_pkrtz_f16_f32 v50, v54, v55
	v_cvt_pkrtz_f16_f32 v51, v18, v19
	;; [unrolled: 1-line block ×4, first 2 shown]
	v_mfma_f32_16x16x16_f16 v[36:39], v[36:37], v[10:11], 0
	v_cvt_pk_f32_fp8_e32 v[40:41], v20
	v_cvt_pk_f32_fp8_sdwa v[18:19], v20 src0_sel:WORD_1
	v_cvt_pkrtz_f16_f32 v44, v48, v49
	v_mfma_f32_16x16x16_f16 v[36:39], v[50:51], v[12:13], v[36:39]
	v_cvt_pk_f32_fp8_e32 v[50:51], v21
	v_cvt_pkrtz_f16_f32 v45, v52, v53
	v_cvt_pkrtz_f16_f32 v40, v40, v41
	v_mfma_f32_16x16x16_f16 v[22:25], v[32:33], v[2:3], v[22:25]
	v_cvt_pk_f32_fp8_sdwa v[32:33], v21 src0_sel:WORD_1
	v_cvt_pkrtz_f16_f32 v41, v18, v19
	v_cvt_pkrtz_f16_f32 v18, v50, v51
	v_mfma_f32_16x16x16_f16 v[44:47], v[44:45], v[4:5], v[22:25]
	v_cvt_pkrtz_f16_f32 v19, v32, v33
	s_waitcnt vmcnt(5)
	v_cvt_pk_f32_fp8_e32 v[32:33], v6
	v_cvt_pk_f32_fp8_sdwa v[48:49], v9 src0_sel:WORD_1
	v_mfma_f32_16x16x16_f16 v[22:25], v[40:41], v[2:3], v[36:39]
	v_mul_f32_e32 v50, s4, v57
	s_waitcnt vmcnt(4)
	v_mad_i64_i32 v[20:21], s[6:7], v56, s45, v[30:31]
	v_cvt_pk_f32_fp8_sdwa v[36:37], v6 src0_sel:WORD_1
	v_mfma_f32_16x16x16_f16 v[38:41], v[18:19], v[4:5], v[22:25]
	v_cvt_pk_f32_fp8_e32 v[18:19], v7
	v_cvt_pk_f32_fp8_sdwa v[6:7], v7 src0_sel:WORD_1
	v_cvt_pkrtz_f16_f32 v18, v18, v19
	v_cvt_pkrtz_f16_f32 v22, v32, v33
	;; [unrolled: 1-line block ×3, first 2 shown]
	v_cvt_pk_f32_fp8_e32 v[32:33], v8
	v_cvt_pk_f32_fp8_sdwa v[36:37], v8 src0_sel:WORD_1
	v_cvt_pkrtz_f16_f32 v19, v6, v7
	v_mfma_f32_16x16x16_f16 v[22:25], v[22:23], v[10:11], 0
	v_cvt_pkrtz_f16_f32 v32, v32, v33
	v_cvt_pkrtz_f16_f32 v33, v36, v37
	v_cvt_pk_f32_fp8_e32 v[36:37], v9
	v_mfma_f32_16x16x16_f16 v[6:9], v[18:19], v[12:13], v[22:25]
	v_cvt_pkrtz_f16_f32 v19, v48, v49
	v_cvt_pkrtz_f16_f32 v18, v36, v37
	s_nop 0
	v_pk_mul_f32 v[22:23], v[50:51], v[46:47] op_sel_hi:[0,1]
	v_mfma_f32_16x16x16_f16 v[46:49], v[32:33], v[2:3], v[6:9]
	s_waitcnt vmcnt(3)
	v_cvt_pk_f32_fp8_sdwa v[24:25], v14 src0_sel:WORD_1
	v_cvt_pk_f32_fp8_sdwa v[32:33], v16 src0_sel:WORD_1
	v_pk_mul_f32 v[36:37], v[50:51], v[40:41] op_sel_hi:[0,1]
	v_cvt_pk_f32_fp8_e32 v[8:9], v14
	v_pk_mul_f32 v[6:7], v[50:51], v[44:45] op_sel_hi:[0,1]
	v_mfma_f32_16x16x16_f16 v[44:47], v[18:19], v[4:5], v[46:49]
	v_cvt_pk_f32_fp8_e32 v[18:19], v15
	v_cvt_pkrtz_f16_f32 v8, v8, v9
	v_cvt_pkrtz_f16_f32 v9, v24, v25
	v_cvt_pk_f32_fp8_sdwa v[14:15], v15 src0_sel:WORD_1
	v_cvt_pkrtz_f16_f32 v18, v18, v19
	v_cvt_pk_f32_fp8_e32 v[24:25], v16
	v_mfma_f32_16x16x16_f16 v[8:11], v[8:9], v[10:11], 0
	v_cvt_pkrtz_f16_f32 v19, v14, v15
	v_cvt_pkrtz_f16_f32 v14, v24, v25
	;; [unrolled: 1-line block ×3, first 2 shown]
	v_cvt_pk_f32_fp8_e32 v[24:25], v17
	v_cvt_pk_f32_fp8_sdwa v[16:17], v17 src0_sel:WORD_1
	v_mfma_f32_16x16x16_f16 v[8:11], v[18:19], v[12:13], v[8:11]
	v_pk_mul_f32 v[40:41], v[50:51], v[38:39] op_sel_hi:[0,1]
	v_cvt_pkrtz_f16_f32 v12, v24, v25
	v_cvt_pkrtz_f16_f32 v13, v16, v17
	v_mfma_f32_16x16x16_f16 v[8:11], v[14:15], v[2:3], v[8:11]
	v_pk_mul_f32 v[38:39], v[50:51], v[44:45] op_sel_hi:[0,1]
	v_pk_mul_f32 v[32:33], v[50:51], v[46:47] op_sel_hi:[0,1]
	v_mfma_f32_16x16x16_f16 v[2:5], v[12:13], v[4:5], v[8:11]
	s_nop 6
	v_pk_mul_f32 v[24:25], v[50:51], v[2:3] op_sel_hi:[0,1]
	v_and_b32_e32 v2, 0xc0, v0
	v_add_u32_e32 v2, s5, v2
	v_lshl_or_b32 v2, v42, 2, v2
	v_pk_mul_f32 v[18:19], v[50:51], v[4:5] op_sel_hi:[0,1]
	v_or_b32_e32 v5, 1, v2
	v_mov_b32_e32 v3, 0xff7fffff
	v_cmp_gt_i32_e64 s[4:5], s33, v2
	v_cmp_gt_i32_e64 s[34:35], s33, v5
	v_or_b32_e32 v8, 3, v2
	v_cndmask_b32_e64 v4, v3, v6, s[4:5]
	v_cndmask_b32_e64 v5, v3, v7, s[34:35]
	v_max3_f32 v4, v4, s44, v5
	v_or_b32_e32 v5, 2, v2
	v_cmp_gt_i32_e64 s[36:37], s33, v5
	v_cmp_gt_i32_e64 s[38:39], s33, v8
	s_nop 0
	v_cndmask_b32_e64 v5, v3, v22, s[36:37]
	v_cndmask_b32_e64 v8, v3, v23, s[38:39]
	v_max3_f32 v4, v4, v5, v8
	v_or_b32_e32 v5, 16, v2
	v_or_b32_e32 v8, 17, v2
	v_cmp_gt_i32_e64 s[24:25], s33, v5
	v_cmp_gt_i32_e64 s[26:27], s33, v8
	s_nop 0
	v_cndmask_b32_e64 v5, v3, v40, s[24:25]
	v_cndmask_b32_e64 v8, v3, v41, s[26:27]
	v_max3_f32 v4, v4, v5, v8
	v_or_b32_e32 v5, 18, v2
	;; [unrolled: 8-line block ×6, first 2 shown]
	v_or_b32_e32 v2, 51, v2
	v_cmp_gt_i32_e32 vcc, s33, v5
	v_cmp_gt_i32_e64 s[6:7], s33, v2
	s_nop 0
	v_cndmask_b32_e32 v5, v3, v18, vcc
	v_cndmask_b32_e64 v2, v3, v19, s[6:7]
	v_max3_f32 v4, v4, v5, v2
	v_mbcnt_lo_u32_b32 v2, -1, 0
	v_mbcnt_hi_u32_b32 v5, -1, v2
	v_and_b32_e32 v2, 64, v5
	v_add_u32_e32 v8, 64, v2
	v_xor_b32_e32 v2, 32, v5
	v_cmp_lt_i32_e64 s[40:41], v2, v8
	s_nop 1
	v_cndmask_b32_e64 v2, v5, v2, s[40:41]
	v_lshlrev_b32_e32 v44, 2, v2
	ds_bpermute_b32 v9, v44, v4
	s_waitcnt vmcnt(2)
	v_mad_i64_i32 v[2:3], s[40:41], v35, s45, v[30:31]
	global_load_dwordx4 v[14:17], v[20:21], off
	global_load_dwordx4 v[10:13], v[2:3], off
	v_xor_b32_e32 v3, 16, v5
	v_cmp_lt_i32_e64 s[40:41], v3, v8
	s_waitcnt lgkmcnt(0)
	v_max_f32_e32 v2, v9, v9
	v_max_f32_e32 v2, v4, v2
	v_cndmask_b32_e64 v3, v5, v3, s[40:41]
	v_lshlrev_b32_e32 v45, 2, v3
	ds_bpermute_b32 v3, v45, v2
	s_waitcnt vmcnt(3)
	v_mad_i64_i32 v[20:21], s[40:41], v27, s45, v[30:31]
	s_waitcnt vmcnt(2)
	v_mad_i64_i32 v[30:31], s[40:41], v34, s45, v[30:31]
	s_waitcnt lgkmcnt(0)
	v_max_f32_e32 v3, v3, v3
	v_max_f32_e32 v27, v2, v3
	v_sub_f32_e32 v2, v6, v27
	v_mul_f32_e32 v2, 0x3fb8aa3b, v2
	v_exp_f32_e32 v34, v2
	v_sub_f32_e32 v2, v7, v27
	v_mul_f32_e32 v2, 0x3fb8aa3b, v2
	v_exp_f32_e32 v35, v2
	global_load_dwordx4 v[6:9], v[20:21], off
	global_load_dwordx4 v[2:5], v[30:31], off
	v_sub_f32_e32 v22, v22, v27
	v_mul_f32_e32 v22, 0x3fb8aa3b, v22
	v_sub_f32_e32 v23, v23, v27
	v_exp_f32_e32 v22, v22
	v_mul_f32_e32 v23, 0x3fb8aa3b, v23
	v_exp_f32_e32 v23, v23
	v_cndmask_b32_e64 v20, 0, v34, s[4:5]
	v_add_f32_e32 v30, 0, v20
	v_cndmask_b32_e64 v21, 0, v35, s[34:35]
	v_add_f32_e32 v30, v30, v21
	;; [unrolled: 2-line block ×3, first 2 shown]
	v_cndmask_b32_e64 v35, 0, v23, s[38:39]
	v_sub_f32_e32 v23, v40, v27
	v_sub_f32_e32 v30, v41, v27
	v_mul_f32_e32 v23, 0x3fb8aa3b, v23
	v_mul_f32_e32 v30, 0x3fb8aa3b, v30
	v_exp_f32_e32 v23, v23
	v_exp_f32_e32 v30, v30
	v_add_f32_e32 v31, v22, v35
	v_sub_f32_e32 v32, v32, v27
	v_cndmask_b32_e64 v22, 0, v23, s[24:25]
	v_cndmask_b32_e64 v23, 0, v30, s[26:27]
	v_sub_f32_e32 v30, v36, v27
	v_mul_f32_e32 v30, 0x3fb8aa3b, v30
	v_exp_f32_e32 v30, v30
	v_sub_f32_e32 v36, v37, v27
	v_add_f32_e32 v31, v31, v22
	v_mul_f32_e32 v36, 0x3fb8aa3b, v36
	v_exp_f32_e32 v37, v36
	v_add_f32_e32 v31, v31, v23
	v_cndmask_b32_e64 v36, 0, v30, s[20:21]
	v_add_f32_e32 v30, v31, v36
	v_sub_f32_e32 v31, v38, v27
	v_mul_f32_e32 v31, 0x3fb8aa3b, v31
	v_sub_f32_e32 v38, v39, v27
	v_exp_f32_e32 v31, v31
	v_mul_f32_e32 v38, 0x3fb8aa3b, v38
	v_exp_f32_e32 v38, v38
	v_mul_f32_e32 v32, 0x3fb8aa3b, v32
	v_sub_f32_e32 v33, v33, v27
	v_exp_f32_e32 v32, v32
	v_mul_f32_e32 v33, 0x3fb8aa3b, v33
	v_sub_f32_e32 v24, v24, v27
	v_cndmask_b32_e64 v37, 0, v37, s[22:23]
	v_exp_f32_e32 v33, v33
	v_mul_f32_e32 v24, 0x3fb8aa3b, v24
	v_sub_f32_e32 v25, v25, v27
	v_add_f32_e32 v39, v30, v37
	v_cndmask_b32_e64 v30, 0, v31, s[16:17]
	v_exp_f32_e32 v24, v24
	v_mul_f32_e32 v25, 0x3fb8aa3b, v25
	v_sub_f32_e32 v18, v18, v27
	v_add_f32_e32 v39, v39, v30
	;; [unrolled: 5-line block ×3, first 2 shown]
	v_cndmask_b32_e64 v32, 0, v32, s[12:13]
	v_exp_f32_e32 v18, v18
	v_mul_f32_e32 v19, 0x3fb8aa3b, v19
	v_add_f32_e32 v38, v38, v32
	v_cndmask_b32_e64 v33, 0, v33, s[14:15]
	v_exp_f32_e32 v19, v19
	v_add_f32_e32 v38, v38, v33
	v_cndmask_b32_e64 v24, 0, v24, s[8:9]
	v_add_f32_e32 v38, v38, v24
	v_cndmask_b32_e64 v25, 0, v25, s[10:11]
	v_add_f32_e32 v38, v38, v25
	v_cndmask_b32_e32 v18, 0, v18, vcc
	v_add_f32_e32 v38, v38, v18
	v_cndmask_b32_e64 v19, 0, v19, s[6:7]
	v_add_f32_e32 v38, v38, v19
	ds_bpermute_b32 v39, v44, v38
	v_cmp_gt_u32_e32 vcc, 16, v43
	s_waitcnt lgkmcnt(0)
	s_barrier
	v_add_f32_e32 v39, v38, v39
	ds_bpermute_b32 v40, v45, v39
	v_lshlrev_b32_e32 v38, 2, v28
	s_and_saveexec_b64 s[4:5], vcc
	s_cbranch_execz .LBB838_13
; %bb.12:
	s_waitcnt lgkmcnt(0)
	v_add_f32_e32 v39, v39, v40
	v_lshl_or_b32 v40, v29, 6, v38
	ds_write2st64_b32 v40, v27, v39 offset1:1
.LBB838_13:
	s_or_b64 exec, exec, s[4:5]
	s_load_dword s6, s[0:1], 0x94
	s_waitcnt lgkmcnt(0)
	s_barrier
	ds_read2_b32 v[40:41], v38 offset1:16
	ds_read2_b32 v[44:45], v38 offset0:32 offset1:48
	ds_read2_b32 v[46:47], v38 offset0:64 offset1:80
	s_mul_i32 s7, s29, 11
	s_waitcnt lgkmcnt(2)
	v_max3_f32 v27, v40, s44, v41
	s_waitcnt lgkmcnt(1)
	v_max3_f32 v27, v27, v44, v45
	v_sub_f32_e32 v39, v40, v27
	v_sub_f32_e32 v40, v41, v27
	v_mul_f32_e32 v40, 0x3fb8aa3b, v40
	v_mul_f32_e32 v39, 0x3fb8aa3b, v39
	v_exp_f32_e32 v43, v40
	v_sub_f32_e32 v40, v44, v27
	v_exp_f32_e32 v39, v39
	v_mul_f32_e32 v40, 0x3fb8aa3b, v40
	v_exp_f32_e32 v44, v40
	ds_read2_b32 v[40:41], v38 offset0:96 offset1:112
	v_sub_f32_e32 v38, v45, v27
	v_mul_f32_e32 v38, 0x3fb8aa3b, v38
	v_exp_f32_e32 v45, v38
	s_waitcnt lgkmcnt(1)
	v_fma_f32 v38, v39, v46, 0
	v_fmac_f32_e32 v38, v43, v47
	s_waitcnt lgkmcnt(0)
	v_fmac_f32_e32 v38, v44, v40
	v_fmac_f32_e32 v38, v45, v41
	v_add_f32_e32 v40, 0x358637bd, v38
	v_div_scale_f32 v41, s[4:5], v40, v40, 1.0
	v_rcp_f32_e32 v46, v41
	s_barrier
	v_fma_f32 v47, -v41, v46, 1.0
	v_fmac_f32_e32 v46, v47, v46
	v_div_scale_f32 v47, vcc, 1.0, v40, 1.0
	v_mul_f32_e32 v48, v47, v46
	v_fma_f32 v49, -v41, v48, v47
	v_fmac_f32_e32 v48, v49, v46
	v_fma_f32 v41, -v41, v48, v47
	v_div_fmas_f32 v41, v41, v46, v48
	v_cmp_eq_u32_e32 vcc, 1, v29
	v_div_fixup_f32 v40, v41, v40, 1.0
	s_nop 0
	v_cndmask_b32_e32 v39, v39, v43, vcc
	v_cmp_eq_u32_e32 vcc, 2, v29
	s_nop 1
	v_cndmask_b32_e32 v39, v39, v44, vcc
	v_cmp_eq_u32_e32 vcc, 3, v29
	v_lshlrev_b32_e32 v29, 11, v29
	s_nop 0
	v_cndmask_b32_e32 v39, v39, v45, vcc
	v_mul_f32_e32 v40, v39, v40
	v_pk_mul_f32 v[20:21], v[40:41], v[20:21] op_sel_hi:[0,1]
	v_pk_mul_f32 v[34:35], v[40:41], v[34:35] op_sel_hi:[0,1]
	v_cvt_f16_f32_e32 v20, v20
	v_cvt_f16_f32_e32 v21, v21
	v_pk_mul_f32 v[36:37], v[40:41], v[36:37] op_sel_hi:[0,1]
	v_pk_mul_f32 v[22:23], v[40:41], v[22:23] op_sel_hi:[0,1]
	v_cvt_f16_f32_e32 v39, v34
	v_cvt_f16_f32_e32 v35, v35
	;; [unrolled: 1-line block ×6, first 2 shown]
	v_pack_b32_f16 v34, v20, v21
	v_lshlrev_b32_e32 v20, 3, v42
	v_lshlrev_b32_e32 v21, 5, v28
	v_pack_b32_f16 v35, v39, v35
	v_or3_b32 v20, v29, v21, v20
	v_pack_b32_f16 v22, v22, v23
	v_pack_b32_f16 v23, v36, v37
	ds_write2st64_b64 v20, v[34:35], v[22:23] offset1:1
	v_pk_mul_f32 v[22:23], v[40:41], v[32:33] op_sel_hi:[0,1]
	v_pk_mul_f32 v[30:31], v[40:41], v[30:31] op_sel_hi:[0,1]
	v_cvt_f16_f32_e32 v29, v30
	v_cvt_f16_f32_e32 v30, v31
	;; [unrolled: 1-line block ×4, first 2 shown]
	v_pk_mul_f32 v[18:19], v[40:41], v[18:19] op_sel_hi:[0,1]
	v_pk_mul_f32 v[22:23], v[40:41], v[24:25] op_sel_hi:[0,1]
	v_cvt_f16_f32_e32 v22, v22
	v_cvt_f16_f32_e32 v23, v23
	;; [unrolled: 1-line block ×4, first 2 shown]
	v_pack_b32_f16 v18, v29, v30
	v_pack_b32_f16 v19, v31, v32
	;; [unrolled: 1-line block ×4, first 2 shown]
	v_cmp_gt_u32_e32 vcc, 11, v0
	ds_write2st64_b64 v20, v[18:19], v[22:23] offset0:2 offset1:3
	s_and_saveexec_b64 s[4:5], vcc
	s_cbranch_execz .LBB838_15
; %bb.14:
	s_mov_b32 s49, 0
	v_mov_b32_e32 v29, 0
	v_lshl_add_u64 v[18:19], s[48:49], 0, v[28:29]
	v_mov_b32_e32 v22, s7
	v_mad_u64_u32 v[18:19], s[12:13], s2, v22, v[18:19]
	s_mul_i32 s3, s3, s7
	v_mov_b32_e32 v28, s28
	s_load_dwordx4 s[8:11], s[0:1], 0x58
	v_add_u32_e32 v23, s3, v19
	v_mad_u64_u32 v[18:19], s[12:13], v18, s6, v[28:29]
	v_mov_b32_e32 v22, v19
	v_mad_u64_u32 v[22:23], s[12:13], v23, s6, v[22:23]
	v_mov_b32_e32 v19, v22
	v_lshlrev_b64 v[18:19], 2, v[18:19]
	s_waitcnt lgkmcnt(0)
	v_lshl_add_u64 v[22:23], s[10:11], 0, v[18:19]
	v_lshl_add_u64 v[18:19], s[8:9], 0, v[18:19]
	global_store_dword v[22:23], v27, off
	global_store_dword v[18:19], v38, off
.LBB838_15:
	s_or_b64 exec, exec, s[4:5]
	s_waitcnt vmcnt(3)
	v_cvt_pk_f32_fp8_e32 v[18:19], v14
	v_cvt_pk_f32_fp8_sdwa v[22:23], v14 src0_sel:WORD_1
	v_cvt_pk_f32_fp8_e32 v[24:25], v15
	v_lshl_or_b32 v14, v42, 9, v21
	s_waitcnt lgkmcnt(0)
	s_barrier
	v_cvt_pkrtz_f16_f32 v18, v18, v19
	v_cvt_pkrtz_f16_f32 v19, v22, v23
	v_cvt_pk_f32_fp8_sdwa v[28:29], v15 src0_sel:WORD_1
	v_cvt_pkrtz_f16_f32 v36, v24, v25
	ds_read_b128 v[22:25], v14
	v_cvt_pk_f32_fp8_e32 v[38:39], v16
	v_cvt_pkrtz_f16_f32 v37, v28, v29
	ds_read_b128 v[28:31], v14 offset:16
	v_cvt_pk_f32_fp8_sdwa v[40:41], v16 src0_sel:WORD_1
	s_waitcnt lgkmcnt(1)
	v_mfma_f32_16x16x16_f16 v[32:35], v[18:19], v[22:23], 0
	v_cvt_pkrtz_f16_f32 v18, v38, v39
	v_cvt_pk_f32_fp8_e32 v[38:39], v17
	v_cvt_pkrtz_f16_f32 v19, v40, v41
	v_mfma_f32_16x16x16_f16 v[22:25], v[36:37], v[24:25], v[32:35]
	s_waitcnt vmcnt(2)
	v_cvt_pk_f32_fp8_sdwa v[36:37], v12 src0_sel:WORD_1
	s_load_dword s4, s[42:43], 0x0
	v_cmp_gt_u32_e32 vcc, 64, v0
	v_cvt_pk_f32_fp8_sdwa v[32:33], v17 src0_sel:WORD_1
	v_cvt_pkrtz_f16_f32 v34, v38, v39
	s_waitcnt lgkmcnt(0)
	v_mfma_f32_16x16x16_f16 v[16:19], v[18:19], v[28:29], v[22:25]
	v_cvt_pk_f32_fp8_e32 v[28:29], v11
	v_cvt_pkrtz_f16_f32 v35, v32, v33
	s_mov_b32 s3, 0
	v_cvt_pk_f32_fp8_e32 v[22:23], v10
	v_cvt_pk_f32_fp8_sdwa v[24:25], v10 src0_sel:WORD_1
	v_mfma_f32_16x16x16_f16 v[16:19], v[34:35], v[30:31], v[16:19]
	v_cvt_pkrtz_f16_f32 v10, v22, v23
	v_cvt_pk_f32_fp8_sdwa v[30:31], v11 src0_sel:WORD_1
	v_cvt_pkrtz_f16_f32 v11, v24, v25
	ds_read_b128 v[22:25], v14 offset:2048
	v_cvt_pkrtz_f16_f32 v32, v28, v29
	v_cvt_pkrtz_f16_f32 v33, v30, v31
	ds_read_b128 v[28:31], v14 offset:2064
	v_cvt_pk_f32_fp8_e32 v[34:35], v12
	s_waitcnt lgkmcnt(1)
	v_mfma_f32_16x16x16_f16 v[16:19], v[10:11], v[22:23], v[16:19]
	v_cvt_pkrtz_f16_f32 v11, v36, v37
	v_cvt_pk_f32_fp8_e32 v[22:23], v13
	v_cvt_pkrtz_f16_f32 v10, v34, v35
	v_mfma_f32_16x16x16_f16 v[16:19], v[32:33], v[24:25], v[16:19]
	v_cvt_pk_f32_fp8_sdwa v[24:25], v13 src0_sel:WORD_1
	v_cvt_pkrtz_f16_f32 v22, v22, v23
	s_waitcnt vmcnt(1)
	v_cvt_pk_f32_fp8_sdwa v[32:33], v8 src0_sel:WORD_1
	s_waitcnt lgkmcnt(0)
	v_mfma_f32_16x16x16_f16 v[10:13], v[10:11], v[28:29], v[16:19]
	v_cvt_pkrtz_f16_f32 v23, v24, v25
	v_cvt_pk_f32_fp8_sdwa v[24:25], v7 src0_sel:WORD_1
	v_mov_b32_e32 v27, 0
	v_cvt_pk_f32_fp8_e32 v[16:17], v6
	v_cvt_pk_f32_fp8_sdwa v[18:19], v6 src0_sel:WORD_1
	v_mfma_f32_16x16x16_f16 v[10:13], v[22:23], v[30:31], v[10:13]
	v_cvt_pk_f32_fp8_e32 v[22:23], v7
	v_cvt_pkrtz_f16_f32 v6, v16, v17
	v_cvt_pkrtz_f16_f32 v7, v18, v19
	ds_read_b128 v[16:19], v14 offset:4096
	v_cvt_pkrtz_f16_f32 v28, v22, v23
	v_cvt_pkrtz_f16_f32 v29, v24, v25
	ds_read_b128 v[22:25], v14 offset:4112
	v_cvt_pk_f32_fp8_e32 v[30:31], v8
	s_waitcnt lgkmcnt(1)
	v_mfma_f32_16x16x16_f16 v[10:13], v[6:7], v[16:17], v[10:13]
	v_cvt_pkrtz_f16_f32 v7, v32, v33
	v_cvt_pk_f32_fp8_e32 v[16:17], v9
	v_cvt_pkrtz_f16_f32 v6, v30, v31
	v_mfma_f32_16x16x16_f16 v[10:13], v[28:29], v[18:19], v[10:13]
	v_cvt_pk_f32_fp8_sdwa v[18:19], v9 src0_sel:WORD_1
	v_cvt_pkrtz_f16_f32 v16, v16, v17
	v_cvt_pkrtz_f16_f32 v17, v18, v19
	s_waitcnt lgkmcnt(0)
	v_mfma_f32_16x16x16_f16 v[6:9], v[6:7], v[22:23], v[10:13]
	s_waitcnt vmcnt(0)
	v_cvt_pk_f32_fp8_sdwa v[18:19], v3 src0_sel:WORD_1
	s_nop 0
	v_cvt_pkrtz_f16_f32 v23, v18, v19
	v_cvt_pk_f32_fp8_e32 v[10:11], v2
	v_cvt_pk_f32_fp8_sdwa v[12:13], v2 src0_sel:WORD_1
	v_mfma_f32_16x16x16_f16 v[6:9], v[16:17], v[24:25], v[6:9]
	v_cvt_pk_f32_fp8_e32 v[16:17], v3
	v_cvt_pkrtz_f16_f32 v2, v10, v11
	v_cvt_pkrtz_f16_f32 v3, v12, v13
	ds_read_b128 v[10:13], v14 offset:6144
	v_cvt_pkrtz_f16_f32 v22, v16, v17
	v_cvt_pk_f32_fp8_e32 v[18:19], v4
	v_cvt_pk_f32_fp8_sdwa v[24:25], v4 src0_sel:WORD_1
	s_waitcnt lgkmcnt(0)
	v_mfma_f32_16x16x16_f16 v[6:9], v[2:3], v[10:11], v[6:9]
	ds_read_b128 v[14:17], v14 offset:6160
	v_cvt_pkrtz_f16_f32 v2, v18, v19
	v_cvt_pkrtz_f16_f32 v3, v24, v25
	v_cvt_pk_f32_fp8_e32 v[10:11], v5
	v_mfma_f32_16x16x16_f16 v[6:9], v[22:23], v[12:13], v[6:9]
	v_cvt_pk_f32_fp8_sdwa v[12:13], v5 src0_sel:WORD_1
	s_waitcnt lgkmcnt(0)
	v_cvt_pkrtz_f16_f32 v10, v10, v11
	v_mfma_f32_16x16x16_f16 v[2:5], v[2:3], v[14:15], v[6:9]
	v_cvt_pkrtz_f16_f32 v11, v12, v13
	s_barrier
	s_nop 0
	v_mfma_f32_16x16x16_f16 v[2:5], v[10:11], v[16:17], v[2:5]
	s_nop 6
	v_pk_mul_f32 v[4:5], v[4:5], s[4:5] op_sel_hi:[1,0]
	v_pk_mul_f32 v[2:3], v[2:3], s[4:5] op_sel_hi:[1,0]
	v_cvt_f16_f32_e32 v4, v4
	v_cvt_f16_f32_e32 v2, v2
	;; [unrolled: 1-line block ×4, first 2 shown]
	s_and_b64 s[4:5], vcc, s[30:31]
	v_pack_b32_f16 v2, v2, v3
	v_pack_b32_f16 v3, v4, v5
	ds_write_b64 v20, v[2:3]
	s_waitcnt lgkmcnt(0)
	s_barrier
	s_and_saveexec_b64 s[8:9], s[4:5]
	s_cbranch_execz .LBB838_18
; %bb.16:
	s_load_dwordx2 s[4:5], s[0:1], 0x68
	s_lshl_b32 s0, s6, 6
	s_mul_i32 s1, s7, s2
	s_mul_hi_u32 s7, s1, s0
	s_mul_i32 s6, s1, s0
	v_lshlrev_b32_e32 v0, 10, v0
	s_lshl_b64 s[6:7], s[6:7], 1
	v_and_b32_e32 v0, 0x1800, v0
	v_lshlrev_b32_e32 v2, 5, v42
	v_and_b32_e32 v1, 16, v1
	s_waitcnt lgkmcnt(0)
	s_add_u32 s1, s4, s6
	v_or3_b32 v2, v0, v2, v1
	s_addc_u32 s4, s5, s7
	s_lshl_b32 s2, s28, 6
	s_lshl_b64 s[2:3], s[2:3], 1
	ds_read_b128 v[4:7], v2 offset:128
	ds_read_b128 v[8:11], v2
	s_add_u32 s2, s1, s2
	s_addc_u32 s3, s4, s3
	v_add_u32_e32 v3, s48, v42
	v_lshl_add_u64 v[0:1], s[2:3], 0, v[26:27]
	v_mad_u64_u32 v[12:13], s[2:3], v3, s0, 0
	v_lshl_add_u64 v[12:13], v[12:13], 1, v[0:1]
	v_add_u32_e32 v3, 4, v3
	s_waitcnt lgkmcnt(0)
	global_store_dwordx4 v[12:13], v[8:11], off
	v_cmp_ne_u32_e32 vcc, 3, v42
	s_nop 0
	v_mad_u64_u32 v[8:9], s[2:3], v3, s0, 0
	v_lshl_add_u64 v[8:9], v[8:9], 1, v[0:1]
	global_store_dwordx4 v[8:9], v[4:7], off
	s_and_b64 exec, exec, vcc
	s_cbranch_execz .LBB838_18
; %bb.17:
	ds_read_b128 v[2:5], v2 offset:256
	v_add3_u32 v6, s48, v42, 8
	v_mad_u64_u32 v[6:7], s[0:1], v6, s0, 0
	v_lshl_add_u64 v[0:1], v[6:7], 1, v[0:1]
	s_waitcnt lgkmcnt(0)
	global_store_dwordx4 v[0:1], v[2:5], off
.LBB838_18:
	s_endpgm
	.section	.rodata,"a",@progbits
	.p2align	6, 0x0
	.amdhsa_kernel _Z39paged_attention_ll4mi_QKV_mfma16_kernelIDF16_hLN4vllm18Fp8KVCacheDataTypeE1EDF16_Li16ELi64ELi256ELb0ELi11EEvPKT_PKT0_S7_ifPKiS9_S9_iPKfiiiPfSC_PS2_PT2_iSB_SB_
		.amdhsa_group_segment_fixed_size 8192
		.amdhsa_private_segment_fixed_size 0
		.amdhsa_kernarg_size 400
		.amdhsa_user_sgpr_count 2
		.amdhsa_user_sgpr_dispatch_ptr 0
		.amdhsa_user_sgpr_queue_ptr 0
		.amdhsa_user_sgpr_kernarg_segment_ptr 1
		.amdhsa_user_sgpr_dispatch_id 0
		.amdhsa_user_sgpr_kernarg_preload_length 0
		.amdhsa_user_sgpr_kernarg_preload_offset 0
		.amdhsa_user_sgpr_private_segment_size 0
		.amdhsa_uses_dynamic_stack 0
		.amdhsa_enable_private_segment 0
		.amdhsa_system_sgpr_workgroup_id_x 1
		.amdhsa_system_sgpr_workgroup_id_y 1
		.amdhsa_system_sgpr_workgroup_id_z 1
		.amdhsa_system_sgpr_workgroup_info 0
		.amdhsa_system_vgpr_workitem_id 0
		.amdhsa_next_free_vgpr 58
		.amdhsa_next_free_sgpr 50
		.amdhsa_accum_offset 60
		.amdhsa_reserve_vcc 1
		.amdhsa_float_round_mode_32 0
		.amdhsa_float_round_mode_16_64 0
		.amdhsa_float_denorm_mode_32 3
		.amdhsa_float_denorm_mode_16_64 3
		.amdhsa_dx10_clamp 1
		.amdhsa_ieee_mode 1
		.amdhsa_fp16_overflow 0
		.amdhsa_tg_split 0
		.amdhsa_exception_fp_ieee_invalid_op 0
		.amdhsa_exception_fp_denorm_src 0
		.amdhsa_exception_fp_ieee_div_zero 0
		.amdhsa_exception_fp_ieee_overflow 0
		.amdhsa_exception_fp_ieee_underflow 0
		.amdhsa_exception_fp_ieee_inexact 0
		.amdhsa_exception_int_div_zero 0
	.end_amdhsa_kernel
	.section	.text._Z39paged_attention_ll4mi_QKV_mfma16_kernelIDF16_hLN4vllm18Fp8KVCacheDataTypeE1EDF16_Li16ELi64ELi256ELb0ELi11EEvPKT_PKT0_S7_ifPKiS9_S9_iPKfiiiPfSC_PS2_PT2_iSB_SB_,"axG",@progbits,_Z39paged_attention_ll4mi_QKV_mfma16_kernelIDF16_hLN4vllm18Fp8KVCacheDataTypeE1EDF16_Li16ELi64ELi256ELb0ELi11EEvPKT_PKT0_S7_ifPKiS9_S9_iPKfiiiPfSC_PS2_PT2_iSB_SB_,comdat
.Lfunc_end838:
	.size	_Z39paged_attention_ll4mi_QKV_mfma16_kernelIDF16_hLN4vllm18Fp8KVCacheDataTypeE1EDF16_Li16ELi64ELi256ELb0ELi11EEvPKT_PKT0_S7_ifPKiS9_S9_iPKfiiiPfSC_PS2_PT2_iSB_SB_, .Lfunc_end838-_Z39paged_attention_ll4mi_QKV_mfma16_kernelIDF16_hLN4vllm18Fp8KVCacheDataTypeE1EDF16_Li16ELi64ELi256ELb0ELi11EEvPKT_PKT0_S7_ifPKiS9_S9_iPKfiiiPfSC_PS2_PT2_iSB_SB_
                                        ; -- End function
	.section	.AMDGPU.csdata,"",@progbits
; Kernel info:
; codeLenInByte = 4604
; NumSgprs: 56
; NumVgprs: 58
; NumAgprs: 0
; TotalNumVgprs: 58
; ScratchSize: 0
; MemoryBound: 0
; FloatMode: 240
; IeeeMode: 1
; LDSByteSize: 8192 bytes/workgroup (compile time only)
; SGPRBlocks: 6
; VGPRBlocks: 7
; NumSGPRsForWavesPerEU: 56
; NumVGPRsForWavesPerEU: 58
; AccumOffset: 60
; Occupancy: 8
; WaveLimiterHint : 1
; COMPUTE_PGM_RSRC2:SCRATCH_EN: 0
; COMPUTE_PGM_RSRC2:USER_SGPR: 2
; COMPUTE_PGM_RSRC2:TRAP_HANDLER: 0
; COMPUTE_PGM_RSRC2:TGID_X_EN: 1
; COMPUTE_PGM_RSRC2:TGID_Y_EN: 1
; COMPUTE_PGM_RSRC2:TGID_Z_EN: 1
; COMPUTE_PGM_RSRC2:TIDIG_COMP_CNT: 0
; COMPUTE_PGM_RSRC3_GFX90A:ACCUM_OFFSET: 14
; COMPUTE_PGM_RSRC3_GFX90A:TG_SPLIT: 0
	.section	.text._Z39paged_attention_ll4mi_QKV_mfma16_kernelIDF16_hLN4vllm18Fp8KVCacheDataTypeE1EDF16_Li16ELi64ELi256ELb0ELi12EEvPKT_PKT0_S7_ifPKiS9_S9_iPKfiiiPfSC_PS2_PT2_iSB_SB_,"axG",@progbits,_Z39paged_attention_ll4mi_QKV_mfma16_kernelIDF16_hLN4vllm18Fp8KVCacheDataTypeE1EDF16_Li16ELi64ELi256ELb0ELi12EEvPKT_PKT0_S7_ifPKiS9_S9_iPKfiiiPfSC_PS2_PT2_iSB_SB_,comdat
	.protected	_Z39paged_attention_ll4mi_QKV_mfma16_kernelIDF16_hLN4vllm18Fp8KVCacheDataTypeE1EDF16_Li16ELi64ELi256ELb0ELi12EEvPKT_PKT0_S7_ifPKiS9_S9_iPKfiiiPfSC_PS2_PT2_iSB_SB_ ; -- Begin function _Z39paged_attention_ll4mi_QKV_mfma16_kernelIDF16_hLN4vllm18Fp8KVCacheDataTypeE1EDF16_Li16ELi64ELi256ELb0ELi12EEvPKT_PKT0_S7_ifPKiS9_S9_iPKfiiiPfSC_PS2_PT2_iSB_SB_
	.globl	_Z39paged_attention_ll4mi_QKV_mfma16_kernelIDF16_hLN4vllm18Fp8KVCacheDataTypeE1EDF16_Li16ELi64ELi256ELb0ELi12EEvPKT_PKT0_S7_ifPKiS9_S9_iPKfiiiPfSC_PS2_PT2_iSB_SB_
	.p2align	8
	.type	_Z39paged_attention_ll4mi_QKV_mfma16_kernelIDF16_hLN4vllm18Fp8KVCacheDataTypeE1EDF16_Li16ELi64ELi256ELb0ELi12EEvPKT_PKT0_S7_ifPKiS9_S9_iPKfiiiPfSC_PS2_PT2_iSB_SB_,@function
_Z39paged_attention_ll4mi_QKV_mfma16_kernelIDF16_hLN4vllm18Fp8KVCacheDataTypeE1EDF16_Li16ELi64ELi256ELb0ELi12EEvPKT_PKT0_S7_ifPKiS9_S9_iPKfiiiPfSC_PS2_PT2_iSB_SB_: ; @_Z39paged_attention_ll4mi_QKV_mfma16_kernelIDF16_hLN4vllm18Fp8KVCacheDataTypeE1EDF16_Li16ELi64ELi256ELb0ELi12EEvPKT_PKT0_S7_ifPKiS9_S9_iPKfiiiPfSC_PS2_PT2_iSB_SB_
; %bb.0:
	s_load_dwordx2 s[12:13], s[0:1], 0x30
	s_mov_b32 s28, s3
	s_mov_b64 s[6:7], 0
	s_waitcnt lgkmcnt(0)
	s_cmp_lg_u64 s[12:13], 0
	s_cselect_b64 s[14:15], -1, 0
	s_and_b64 vcc, exec, s[14:15]
	s_cbranch_vccz .LBB839_7
; %bb.1:
	s_add_i32 s8, s2, 1
	s_mov_b32 s9, 0
	s_lshl_b64 s[10:11], s[8:9], 2
	s_add_u32 s10, s12, s10
	s_mov_b32 s3, s9
	s_addc_u32 s11, s13, s11
	s_lshl_b64 s[8:9], s[2:3], 2
	s_add_u32 s8, s12, s8
	s_addc_u32 s9, s13, s9
	s_load_dword s5, s[10:11], 0x0
	s_load_dword s16, s[8:9], 0x0
	s_waitcnt lgkmcnt(0)
	s_sub_i32 s5, s5, s16
	s_cmp_eq_u32 s5, 1
	s_cselect_b64 s[8:9], -1, 0
	s_andn2_b64 vcc, exec, s[6:7]
	s_cbranch_vccnz .LBB839_3
.LBB839_2:
	s_mov_b32 s3, 0
	s_mov_b64 s[8:9], -1
.LBB839_3:
	s_andn2_b64 vcc, exec, s[8:9]
	s_cbranch_vccnz .LBB839_17
; %bb.4:
	s_load_dwordx2 s[6:7], s[0:1], 0x28
	s_lshl_b64 s[16:17], s[2:3], 2
	s_waitcnt lgkmcnt(0)
	s_add_u32 s6, s6, s16
	s_addc_u32 s7, s7, s17
	s_load_dword s33, s[6:7], 0x0
	s_lshl_b32 s5, s28, 8
	s_waitcnt lgkmcnt(0)
	s_cmp_ge_i32 s5, s33
	s_cbranch_scc1 .LBB839_17
; %bb.5:
	s_load_dwordx2 s[6:7], s[0:1], 0x20
	s_load_dword s8, s[0:1], 0x38
	s_add_i32 s9, s33, 15
	s_ashr_i32 s10, s9, 31
	v_and_b32_e32 v1, 0xcf, v0
	s_lshr_b32 s10, s10, 28
	v_add_u32_e32 v1, s5, v1
	s_add_i32 s9, s9, s10
	v_ashrrev_i32_e32 v2, 31, v1
	s_ashr_i32 s18, s9, 4
	v_lshrrev_b32_e32 v4, 28, v2
	s_add_i32 s18, s18, -1
	s_waitcnt lgkmcnt(0)
	s_mul_i32 s8, s2, s8
	s_mov_b32 s9, 0
	v_add_u32_e32 v2, v1, v4
	s_lshl_b64 s[8:9], s[8:9], 2
	v_ashrrev_i32_e32 v2, 4, v2
	v_mov_b32_e32 v5, s18
	v_cmp_gt_i32_e32 vcc, s33, v1
	s_add_u32 s6, s6, s8
	s_addc_u32 s7, s7, s9
	v_cndmask_b32_e32 v2, v5, v2, vcc
	v_ashrrev_i32_e32 v3, 31, v2
	v_lshl_add_u64 v[6:7], v[2:3], 2, s[6:7]
	v_or_b32_e32 v2, 16, v1
	v_add_u32_e32 v3, v2, v4
	v_ashrrev_i32_e32 v3, 4, v3
	v_cmp_gt_i32_e32 vcc, s33, v2
	s_load_dwordx4 s[8:11], s[0:1], 0x8
	s_nop 0
	v_cndmask_b32_e32 v2, v5, v3, vcc
	v_ashrrev_i32_e32 v3, 31, v2
	v_lshl_add_u64 v[8:9], v[2:3], 2, s[6:7]
	v_or_b32_e32 v2, 32, v1
	v_add_u32_e32 v3, v2, v4
	v_ashrrev_i32_e32 v3, 4, v3
	v_cmp_gt_i32_e32 vcc, s33, v2
	v_or_b32_e32 v1, 48, v1
	s_nop 0
	v_cndmask_b32_e32 v2, v5, v3, vcc
	v_ashrrev_i32_e32 v3, 31, v2
	v_lshl_add_u64 v[10:11], v[2:3], 2, s[6:7]
	v_add_u32_e32 v2, v1, v4
	v_ashrrev_i32_e32 v2, 4, v2
	v_cmp_gt_i32_e32 vcc, s33, v1
	s_nop 1
	v_cndmask_b32_e32 v2, v5, v2, vcc
	v_ashrrev_i32_e32 v3, 31, v2
	v_lshl_add_u64 v[12:13], v[2:3], 2, s[6:7]
	global_load_dword v4, v[6:7], off
	global_load_dword v3, v[8:9], off
	;; [unrolled: 1-line block ×4, first 2 shown]
	s_andn2_b64 vcc, exec, s[14:15]
	s_cbranch_vccnz .LBB839_8
; %bb.6:
	s_add_u32 s12, s12, s16
	s_addc_u32 s13, s13, s17
	s_load_dword s14, s[12:13], 0x0
	s_branch .LBB839_9
.LBB839_7:
	s_mov_b64 s[8:9], 0
	s_branch .LBB839_2
.LBB839_8:
	s_mov_b32 s14, s2
.LBB839_9:
	s_load_dwordx4 s[44:47], s[0:1], 0x48
	v_and_b32_e32 v28, 15, v0
	s_movk_i32 s12, 0xc0
	v_lshlrev_b32_e32 v5, 3, v28
	v_cmp_gt_u32_e32 vcc, s12, v0
	v_cmp_gt_u32_e64 s[30:31], 8, v28
	v_lshrrev_b32_e32 v29, 6, v0
	v_and_b32_e32 v43, 63, v0
	v_bfe_u32 v1, v0, 4, 2
	s_mul_i32 s48, s4, 12
	s_and_b64 s[16:17], vcc, s[30:31]
	v_lshlrev_b32_e32 v26, 1, v5
	v_lshlrev_b32_e32 v42, 4, v0
	s_and_saveexec_b64 s[12:13], s[16:17]
	s_cbranch_execz .LBB839_11
; %bb.10:
	s_load_dwordx2 s[16:17], s[0:1], 0x0
	s_waitcnt lgkmcnt(0)
	s_ashr_i32 s15, s44, 31
	s_mul_hi_u32 s19, s14, s44
	s_mul_i32 s15, s14, s15
	s_add_i32 s15, s19, s15
	s_mul_i32 s14, s14, s44
	v_lshl_or_b32 v5, v29, 2, v1
	s_lshl_b64 s[14:15], s[14:15], 1
	s_add_u32 s14, s16, s14
	v_add_lshl_u32 v6, v5, s48, 6
	s_addc_u32 s15, s17, s15
	v_ashrrev_i32_e32 v7, 31, v6
	v_lshl_add_u64 v[6:7], v[6:7], 1, s[14:15]
	v_mov_b32_e32 v27, 0
	v_lshl_add_u64 v[6:7], v[6:7], 0, v[26:27]
	global_load_dwordx4 v[6:9], v[6:7], off
	v_lshlrev_b32_e32 v11, 8, v28
	v_lshlrev_b32_e32 v5, 5, v5
	v_and_b32_e32 v10, 16, v42
	v_and_b32_e32 v11, 0xe00, v11
	v_or3_b32 v5, v11, v5, v10
	s_waitcnt vmcnt(0)
	ds_write_b128 v5, v[6:9]
.LBB839_11:
	s_or_b64 exec, exec, s[12:13]
	s_waitcnt lgkmcnt(0)
	s_mul_i32 s4, s4, s46
	s_add_u32 s8, s8, s4
	s_addc_u32 s9, s9, 0
	v_and_b32_e32 v8, 48, v0
	v_and_b32_e32 v30, 0xf0, v42
	v_mov_b32_e32 v31, 0
	v_lshl_add_u64 v[6:7], s[8:9], 0, v[30:31]
	v_lshlrev_b32_e32 v30, 4, v8
	v_lshl_add_u64 v[16:17], v[6:7], 0, v[30:31]
	s_waitcnt vmcnt(3)
	v_mad_i64_i32 v[4:5], s[8:9], v4, s45, v[16:17]
	s_load_dword s29, s[0:1], 0x98
	s_load_dwordx4 s[40:43], s[0:1], 0x80
	s_waitcnt lgkmcnt(0)
	s_barrier
	global_load_dwordx4 v[22:25], v[4:5], off
	s_waitcnt vmcnt(3)
	v_mad_i64_i32 v[4:5], s[8:9], v3, s45, v[16:17]
	global_load_dwordx4 v[18:21], v[4:5], off
	v_or_b32_e32 v10, s5, v8
	v_mov_b32_e32 v27, s18
	v_ashrrev_i32_e32 v3, 4, v10
	v_cmp_gt_i32_e32 vcc, s33, v10
	v_or_b32_e32 v15, 64, v10
	v_ashrrev_i32_e32 v32, 4, v15
	v_cndmask_b32_e32 v4, v27, v3, vcc
	s_waitcnt vmcnt(3)
	v_mad_i64_i32 v[2:3], s[8:9], v2, s45, v[16:17]
	global_load_dwordx4 v[6:9], v[2:3], off
	v_ashrrev_i32_e32 v5, 31, v4
	v_lshl_add_u64 v[4:5], v[4:5], 2, s[6:7]
	global_load_dword v56, v[4:5], off
	v_add_u32_e32 v4, -12, v28
	v_cmp_gt_u32_e32 vcc, 12, v28
	v_or_b32_e32 v33, 0x80, v10
	v_or_b32_e32 v35, 0xc0, v10
	v_cndmask_b32_e32 v2, v4, v28, vcc
	v_lshlrev_b32_e32 v2, 5, v2
	v_lshl_add_u32 v2, v1, 9, v2
	v_cmp_gt_i32_e32 vcc, s33, v15
	s_waitcnt vmcnt(4)
	v_mad_i64_i32 v[14:15], s[12:13], v14, s45, v[16:17]
	ds_read_b128 v[10:13], v2
	ds_read_b128 v[2:5], v2 offset:16
	global_load_dwordx4 v[14:17], v[14:15], off
	v_ashrrev_i32_e32 v34, 4, v33
	v_cndmask_b32_e32 v32, v27, v32, vcc
	v_cmp_gt_i32_e32 vcc, s33, v33
	v_ashrrev_i32_e32 v36, 4, v35
	v_ashrrev_i32_e32 v33, 31, v32
	v_cndmask_b32_e32 v34, v27, v34, vcc
	v_cmp_gt_i32_e32 vcc, s33, v35
	v_ashrrev_i32_e32 v35, 31, v34
	v_lshl_add_u64 v[32:33], v[32:33], 2, s[6:7]
	v_cndmask_b32_e32 v36, v27, v36, vcc
	v_ashrrev_i32_e32 v37, 31, v36
	v_lshl_add_u64 v[36:37], v[36:37], 2, s[6:7]
	s_add_u32 s8, s10, s4
	s_load_dword s4, s[40:41], 0x0
	v_lshl_add_u64 v[38:39], v[34:35], 2, s[6:7]
	global_load_dword v35, v[32:33], off
	global_load_dword v27, v[38:39], off
	;; [unrolled: 1-line block ×3, first 2 shown]
	s_load_dword s14, s[0:1], 0x1c
	s_mov_b32 s44, 0xff7fffff
	v_lshlrev_b32_e32 v30, 4, v28
	s_addc_u32 s9, s11, 0
	v_lshl_or_b32 v30, v29, 8, v30
	s_waitcnt lgkmcnt(0)
	v_mov_b32_e32 v57, s14
	v_lshl_add_u64 v[30:31], s[8:9], 0, v[30:31]
	s_waitcnt vmcnt(7)
	v_cvt_pk_f32_fp8_e32 v[32:33], v22
	v_cvt_pk_f32_fp8_sdwa v[36:37], v22 src0_sel:WORD_1
	v_cvt_pk_f32_fp8_e32 v[38:39], v23
	v_cvt_pk_f32_fp8_sdwa v[40:41], v23 src0_sel:WORD_1
	v_cvt_pkrtz_f16_f32 v32, v32, v33
	v_cvt_pkrtz_f16_f32 v33, v36, v37
	s_waitcnt vmcnt(6)
	v_cvt_pk_f32_fp8_e32 v[22:23], v18
	v_cvt_pk_f32_fp8_sdwa v[50:51], v18 src0_sel:WORD_1
	v_cvt_pk_f32_fp8_e32 v[44:45], v24
	v_cvt_pk_f32_fp8_sdwa v[46:47], v24 src0_sel:WORD_1
	;; [unrolled: 2-line block ×3, first 2 shown]
	v_cvt_pkrtz_f16_f32 v36, v22, v23
	v_mfma_f32_16x16x16_f16 v[22:25], v[32:33], v[10:11], 0
	v_cvt_pkrtz_f16_f32 v32, v38, v39
	v_cvt_pkrtz_f16_f32 v33, v40, v41
	v_cvt_pk_f32_fp8_e32 v[54:55], v19
	v_cvt_pkrtz_f16_f32 v37, v50, v51
	v_cvt_pk_f32_fp8_sdwa v[18:19], v19 src0_sel:WORD_1
	v_mfma_f32_16x16x16_f16 v[22:25], v[32:33], v[12:13], v[22:25]
	v_cvt_pkrtz_f16_f32 v50, v54, v55
	v_cvt_pkrtz_f16_f32 v51, v18, v19
	;; [unrolled: 1-line block ×4, first 2 shown]
	v_mfma_f32_16x16x16_f16 v[36:39], v[36:37], v[10:11], 0
	v_cvt_pk_f32_fp8_e32 v[40:41], v20
	v_cvt_pk_f32_fp8_sdwa v[18:19], v20 src0_sel:WORD_1
	v_cvt_pkrtz_f16_f32 v44, v48, v49
	v_mfma_f32_16x16x16_f16 v[36:39], v[50:51], v[12:13], v[36:39]
	v_cvt_pk_f32_fp8_e32 v[50:51], v21
	v_cvt_pkrtz_f16_f32 v45, v52, v53
	v_cvt_pkrtz_f16_f32 v40, v40, v41
	v_mfma_f32_16x16x16_f16 v[22:25], v[32:33], v[2:3], v[22:25]
	v_cvt_pk_f32_fp8_sdwa v[32:33], v21 src0_sel:WORD_1
	v_cvt_pkrtz_f16_f32 v41, v18, v19
	v_cvt_pkrtz_f16_f32 v18, v50, v51
	v_mfma_f32_16x16x16_f16 v[44:47], v[44:45], v[4:5], v[22:25]
	v_cvt_pkrtz_f16_f32 v19, v32, v33
	s_waitcnt vmcnt(5)
	v_cvt_pk_f32_fp8_e32 v[32:33], v6
	v_cvt_pk_f32_fp8_sdwa v[48:49], v9 src0_sel:WORD_1
	v_mfma_f32_16x16x16_f16 v[22:25], v[40:41], v[2:3], v[36:39]
	v_mul_f32_e32 v50, s4, v57
	s_waitcnt vmcnt(4)
	v_mad_i64_i32 v[20:21], s[6:7], v56, s45, v[30:31]
	v_cvt_pk_f32_fp8_sdwa v[36:37], v6 src0_sel:WORD_1
	v_mfma_f32_16x16x16_f16 v[38:41], v[18:19], v[4:5], v[22:25]
	v_cvt_pk_f32_fp8_e32 v[18:19], v7
	v_cvt_pk_f32_fp8_sdwa v[6:7], v7 src0_sel:WORD_1
	v_cvt_pkrtz_f16_f32 v18, v18, v19
	v_cvt_pkrtz_f16_f32 v22, v32, v33
	v_cvt_pkrtz_f16_f32 v23, v36, v37
	v_cvt_pk_f32_fp8_e32 v[32:33], v8
	v_cvt_pk_f32_fp8_sdwa v[36:37], v8 src0_sel:WORD_1
	v_cvt_pkrtz_f16_f32 v19, v6, v7
	v_mfma_f32_16x16x16_f16 v[22:25], v[22:23], v[10:11], 0
	v_cvt_pkrtz_f16_f32 v32, v32, v33
	v_cvt_pkrtz_f16_f32 v33, v36, v37
	v_cvt_pk_f32_fp8_e32 v[36:37], v9
	v_mfma_f32_16x16x16_f16 v[6:9], v[18:19], v[12:13], v[22:25]
	v_cvt_pkrtz_f16_f32 v19, v48, v49
	v_cvt_pkrtz_f16_f32 v18, v36, v37
	s_nop 0
	v_pk_mul_f32 v[22:23], v[50:51], v[46:47] op_sel_hi:[0,1]
	v_mfma_f32_16x16x16_f16 v[46:49], v[32:33], v[2:3], v[6:9]
	s_waitcnt vmcnt(3)
	v_cvt_pk_f32_fp8_sdwa v[24:25], v14 src0_sel:WORD_1
	v_cvt_pk_f32_fp8_sdwa v[32:33], v16 src0_sel:WORD_1
	v_pk_mul_f32 v[36:37], v[50:51], v[40:41] op_sel_hi:[0,1]
	v_cvt_pk_f32_fp8_e32 v[8:9], v14
	v_pk_mul_f32 v[6:7], v[50:51], v[44:45] op_sel_hi:[0,1]
	v_mfma_f32_16x16x16_f16 v[44:47], v[18:19], v[4:5], v[46:49]
	v_cvt_pk_f32_fp8_e32 v[18:19], v15
	v_cvt_pkrtz_f16_f32 v8, v8, v9
	v_cvt_pkrtz_f16_f32 v9, v24, v25
	v_cvt_pk_f32_fp8_sdwa v[14:15], v15 src0_sel:WORD_1
	v_cvt_pkrtz_f16_f32 v18, v18, v19
	v_cvt_pk_f32_fp8_e32 v[24:25], v16
	v_mfma_f32_16x16x16_f16 v[8:11], v[8:9], v[10:11], 0
	v_cvt_pkrtz_f16_f32 v19, v14, v15
	v_cvt_pkrtz_f16_f32 v14, v24, v25
	v_cvt_pkrtz_f16_f32 v15, v32, v33
	v_cvt_pk_f32_fp8_e32 v[24:25], v17
	v_cvt_pk_f32_fp8_sdwa v[16:17], v17 src0_sel:WORD_1
	v_mfma_f32_16x16x16_f16 v[8:11], v[18:19], v[12:13], v[8:11]
	v_pk_mul_f32 v[40:41], v[50:51], v[38:39] op_sel_hi:[0,1]
	v_cvt_pkrtz_f16_f32 v12, v24, v25
	v_cvt_pkrtz_f16_f32 v13, v16, v17
	v_mfma_f32_16x16x16_f16 v[8:11], v[14:15], v[2:3], v[8:11]
	v_pk_mul_f32 v[38:39], v[50:51], v[44:45] op_sel_hi:[0,1]
	v_pk_mul_f32 v[32:33], v[50:51], v[46:47] op_sel_hi:[0,1]
	v_mfma_f32_16x16x16_f16 v[2:5], v[12:13], v[4:5], v[8:11]
	s_nop 6
	v_pk_mul_f32 v[24:25], v[50:51], v[2:3] op_sel_hi:[0,1]
	v_and_b32_e32 v2, 0xc0, v0
	v_add_u32_e32 v2, s5, v2
	v_lshl_or_b32 v2, v1, 2, v2
	v_pk_mul_f32 v[18:19], v[50:51], v[4:5] op_sel_hi:[0,1]
	v_or_b32_e32 v5, 1, v2
	v_mov_b32_e32 v3, 0xff7fffff
	v_cmp_gt_i32_e64 s[4:5], s33, v2
	v_cmp_gt_i32_e64 s[34:35], s33, v5
	v_or_b32_e32 v8, 3, v2
	v_cndmask_b32_e64 v4, v3, v6, s[4:5]
	v_cndmask_b32_e64 v5, v3, v7, s[34:35]
	v_max3_f32 v4, v4, s44, v5
	v_or_b32_e32 v5, 2, v2
	v_cmp_gt_i32_e64 s[36:37], s33, v5
	v_cmp_gt_i32_e64 s[38:39], s33, v8
	s_nop 0
	v_cndmask_b32_e64 v5, v3, v22, s[36:37]
	v_cndmask_b32_e64 v8, v3, v23, s[38:39]
	v_max3_f32 v4, v4, v5, v8
	v_or_b32_e32 v5, 16, v2
	v_or_b32_e32 v8, 17, v2
	v_cmp_gt_i32_e64 s[24:25], s33, v5
	v_cmp_gt_i32_e64 s[26:27], s33, v8
	s_nop 0
	v_cndmask_b32_e64 v5, v3, v40, s[24:25]
	v_cndmask_b32_e64 v8, v3, v41, s[26:27]
	v_max3_f32 v4, v4, v5, v8
	v_or_b32_e32 v5, 18, v2
	;; [unrolled: 8-line block ×6, first 2 shown]
	v_or_b32_e32 v2, 51, v2
	v_cmp_gt_i32_e32 vcc, s33, v5
	v_cmp_gt_i32_e64 s[6:7], s33, v2
	s_nop 0
	v_cndmask_b32_e32 v5, v3, v18, vcc
	v_cndmask_b32_e64 v2, v3, v19, s[6:7]
	v_max3_f32 v4, v4, v5, v2
	v_mbcnt_lo_u32_b32 v2, -1, 0
	v_mbcnt_hi_u32_b32 v5, -1, v2
	v_and_b32_e32 v2, 64, v5
	v_add_u32_e32 v8, 64, v2
	v_xor_b32_e32 v2, 32, v5
	v_cmp_lt_i32_e64 s[40:41], v2, v8
	s_nop 1
	v_cndmask_b32_e64 v2, v5, v2, s[40:41]
	v_lshlrev_b32_e32 v44, 2, v2
	ds_bpermute_b32 v9, v44, v4
	s_waitcnt vmcnt(2)
	v_mad_i64_i32 v[2:3], s[40:41], v35, s45, v[30:31]
	global_load_dwordx4 v[14:17], v[20:21], off
	global_load_dwordx4 v[10:13], v[2:3], off
	v_xor_b32_e32 v3, 16, v5
	v_cmp_lt_i32_e64 s[40:41], v3, v8
	s_waitcnt lgkmcnt(0)
	v_max_f32_e32 v2, v9, v9
	v_max_f32_e32 v2, v4, v2
	v_cndmask_b32_e64 v3, v5, v3, s[40:41]
	v_lshlrev_b32_e32 v45, 2, v3
	ds_bpermute_b32 v3, v45, v2
	s_waitcnt vmcnt(3)
	v_mad_i64_i32 v[20:21], s[40:41], v27, s45, v[30:31]
	s_waitcnt vmcnt(2)
	v_mad_i64_i32 v[30:31], s[40:41], v34, s45, v[30:31]
	s_waitcnt lgkmcnt(0)
	v_max_f32_e32 v3, v3, v3
	v_max_f32_e32 v27, v2, v3
	v_sub_f32_e32 v2, v6, v27
	v_mul_f32_e32 v2, 0x3fb8aa3b, v2
	v_exp_f32_e32 v34, v2
	v_sub_f32_e32 v2, v7, v27
	v_mul_f32_e32 v2, 0x3fb8aa3b, v2
	v_exp_f32_e32 v35, v2
	global_load_dwordx4 v[6:9], v[20:21], off
	global_load_dwordx4 v[2:5], v[30:31], off
	v_sub_f32_e32 v22, v22, v27
	v_mul_f32_e32 v22, 0x3fb8aa3b, v22
	v_sub_f32_e32 v23, v23, v27
	v_exp_f32_e32 v22, v22
	v_mul_f32_e32 v23, 0x3fb8aa3b, v23
	v_exp_f32_e32 v23, v23
	v_cndmask_b32_e64 v20, 0, v34, s[4:5]
	v_add_f32_e32 v30, 0, v20
	v_cndmask_b32_e64 v21, 0, v35, s[34:35]
	v_add_f32_e32 v30, v30, v21
	;; [unrolled: 2-line block ×3, first 2 shown]
	v_cndmask_b32_e64 v35, 0, v23, s[38:39]
	v_sub_f32_e32 v23, v40, v27
	v_sub_f32_e32 v30, v41, v27
	v_mul_f32_e32 v23, 0x3fb8aa3b, v23
	v_mul_f32_e32 v30, 0x3fb8aa3b, v30
	v_exp_f32_e32 v23, v23
	v_exp_f32_e32 v30, v30
	v_add_f32_e32 v31, v22, v35
	v_sub_f32_e32 v32, v32, v27
	v_cndmask_b32_e64 v22, 0, v23, s[24:25]
	v_cndmask_b32_e64 v23, 0, v30, s[26:27]
	v_sub_f32_e32 v30, v36, v27
	v_mul_f32_e32 v30, 0x3fb8aa3b, v30
	v_exp_f32_e32 v30, v30
	v_sub_f32_e32 v36, v37, v27
	v_add_f32_e32 v31, v31, v22
	v_mul_f32_e32 v36, 0x3fb8aa3b, v36
	v_exp_f32_e32 v37, v36
	v_add_f32_e32 v31, v31, v23
	v_cndmask_b32_e64 v36, 0, v30, s[20:21]
	v_add_f32_e32 v30, v31, v36
	v_sub_f32_e32 v31, v38, v27
	v_mul_f32_e32 v31, 0x3fb8aa3b, v31
	v_sub_f32_e32 v38, v39, v27
	v_exp_f32_e32 v31, v31
	v_mul_f32_e32 v38, 0x3fb8aa3b, v38
	v_exp_f32_e32 v38, v38
	v_mul_f32_e32 v32, 0x3fb8aa3b, v32
	v_sub_f32_e32 v33, v33, v27
	v_exp_f32_e32 v32, v32
	v_mul_f32_e32 v33, 0x3fb8aa3b, v33
	v_sub_f32_e32 v24, v24, v27
	v_cndmask_b32_e64 v37, 0, v37, s[22:23]
	v_exp_f32_e32 v33, v33
	v_mul_f32_e32 v24, 0x3fb8aa3b, v24
	v_sub_f32_e32 v25, v25, v27
	v_add_f32_e32 v39, v30, v37
	v_cndmask_b32_e64 v30, 0, v31, s[16:17]
	v_exp_f32_e32 v24, v24
	v_mul_f32_e32 v25, 0x3fb8aa3b, v25
	v_sub_f32_e32 v18, v18, v27
	v_add_f32_e32 v39, v39, v30
	;; [unrolled: 5-line block ×3, first 2 shown]
	v_cndmask_b32_e64 v32, 0, v32, s[12:13]
	v_exp_f32_e32 v18, v18
	v_mul_f32_e32 v19, 0x3fb8aa3b, v19
	v_add_f32_e32 v38, v38, v32
	v_cndmask_b32_e64 v33, 0, v33, s[14:15]
	v_exp_f32_e32 v19, v19
	v_add_f32_e32 v38, v38, v33
	v_cndmask_b32_e64 v24, 0, v24, s[8:9]
	v_add_f32_e32 v38, v38, v24
	v_cndmask_b32_e64 v25, 0, v25, s[10:11]
	v_add_f32_e32 v38, v38, v25
	v_cndmask_b32_e32 v18, 0, v18, vcc
	v_add_f32_e32 v38, v38, v18
	v_cndmask_b32_e64 v19, 0, v19, s[6:7]
	v_add_f32_e32 v38, v38, v19
	ds_bpermute_b32 v39, v44, v38
	v_cmp_gt_u32_e32 vcc, 16, v43
	s_waitcnt lgkmcnt(0)
	s_barrier
	v_add_f32_e32 v39, v38, v39
	ds_bpermute_b32 v40, v45, v39
	v_lshlrev_b32_e32 v38, 2, v28
	s_and_saveexec_b64 s[4:5], vcc
	s_cbranch_execz .LBB839_13
; %bb.12:
	s_waitcnt lgkmcnt(0)
	v_add_f32_e32 v39, v39, v40
	v_lshl_or_b32 v40, v29, 6, v38
	ds_write2st64_b32 v40, v27, v39 offset1:1
.LBB839_13:
	s_or_b64 exec, exec, s[4:5]
	s_load_dword s6, s[0:1], 0x94
	s_waitcnt lgkmcnt(0)
	s_barrier
	ds_read2_b32 v[40:41], v38 offset1:16
	ds_read2_b32 v[44:45], v38 offset0:32 offset1:48
	ds_read2_b32 v[46:47], v38 offset0:64 offset1:80
	s_mul_i32 s7, s29, 12
	s_waitcnt lgkmcnt(2)
	v_max3_f32 v27, v40, s44, v41
	s_waitcnt lgkmcnt(1)
	v_max3_f32 v27, v27, v44, v45
	v_sub_f32_e32 v39, v40, v27
	v_sub_f32_e32 v40, v41, v27
	v_mul_f32_e32 v40, 0x3fb8aa3b, v40
	v_mul_f32_e32 v39, 0x3fb8aa3b, v39
	v_exp_f32_e32 v43, v40
	v_sub_f32_e32 v40, v44, v27
	v_exp_f32_e32 v39, v39
	v_mul_f32_e32 v40, 0x3fb8aa3b, v40
	v_exp_f32_e32 v44, v40
	ds_read2_b32 v[40:41], v38 offset0:96 offset1:112
	v_sub_f32_e32 v38, v45, v27
	v_mul_f32_e32 v38, 0x3fb8aa3b, v38
	v_exp_f32_e32 v45, v38
	s_waitcnt lgkmcnt(1)
	v_fma_f32 v38, v39, v46, 0
	v_fmac_f32_e32 v38, v43, v47
	s_waitcnt lgkmcnt(0)
	v_fmac_f32_e32 v38, v44, v40
	v_fmac_f32_e32 v38, v45, v41
	v_add_f32_e32 v40, 0x358637bd, v38
	v_div_scale_f32 v41, s[4:5], v40, v40, 1.0
	v_rcp_f32_e32 v46, v41
	s_barrier
	v_fma_f32 v47, -v41, v46, 1.0
	v_fmac_f32_e32 v46, v47, v46
	v_div_scale_f32 v47, vcc, 1.0, v40, 1.0
	v_mul_f32_e32 v48, v47, v46
	v_fma_f32 v49, -v41, v48, v47
	v_fmac_f32_e32 v48, v49, v46
	v_fma_f32 v41, -v41, v48, v47
	v_div_fmas_f32 v41, v41, v46, v48
	v_cmp_eq_u32_e32 vcc, 1, v29
	v_div_fixup_f32 v40, v41, v40, 1.0
	s_nop 0
	v_cndmask_b32_e32 v39, v39, v43, vcc
	v_cmp_eq_u32_e32 vcc, 2, v29
	s_nop 1
	v_cndmask_b32_e32 v39, v39, v44, vcc
	v_cmp_eq_u32_e32 vcc, 3, v29
	v_lshlrev_b32_e32 v29, 11, v29
	s_nop 0
	v_cndmask_b32_e32 v39, v39, v45, vcc
	v_mul_f32_e32 v40, v39, v40
	v_pk_mul_f32 v[20:21], v[40:41], v[20:21] op_sel_hi:[0,1]
	v_pk_mul_f32 v[34:35], v[40:41], v[34:35] op_sel_hi:[0,1]
	v_cvt_f16_f32_e32 v20, v20
	v_cvt_f16_f32_e32 v21, v21
	v_pk_mul_f32 v[36:37], v[40:41], v[36:37] op_sel_hi:[0,1]
	v_pk_mul_f32 v[22:23], v[40:41], v[22:23] op_sel_hi:[0,1]
	v_cvt_f16_f32_e32 v39, v34
	v_cvt_f16_f32_e32 v35, v35
	v_cvt_f16_f32_e32 v22, v22
	v_cvt_f16_f32_e32 v23, v23
	v_cvt_f16_f32_e32 v36, v36
	v_cvt_f16_f32_e32 v37, v37
	v_pack_b32_f16 v34, v20, v21
	v_lshlrev_b32_e32 v20, 3, v1
	v_lshlrev_b32_e32 v21, 5, v28
	v_pack_b32_f16 v35, v39, v35
	v_or3_b32 v20, v29, v21, v20
	v_pack_b32_f16 v22, v22, v23
	v_pack_b32_f16 v23, v36, v37
	ds_write2st64_b64 v20, v[34:35], v[22:23] offset1:1
	v_pk_mul_f32 v[22:23], v[40:41], v[32:33] op_sel_hi:[0,1]
	v_pk_mul_f32 v[30:31], v[40:41], v[30:31] op_sel_hi:[0,1]
	v_cvt_f16_f32_e32 v29, v30
	v_cvt_f16_f32_e32 v30, v31
	;; [unrolled: 1-line block ×4, first 2 shown]
	v_pk_mul_f32 v[18:19], v[40:41], v[18:19] op_sel_hi:[0,1]
	v_pk_mul_f32 v[22:23], v[40:41], v[24:25] op_sel_hi:[0,1]
	v_cvt_f16_f32_e32 v22, v22
	v_cvt_f16_f32_e32 v23, v23
	v_cvt_f16_f32_e32 v24, v18
	v_cvt_f16_f32_e32 v25, v19
	v_pack_b32_f16 v18, v29, v30
	v_pack_b32_f16 v19, v31, v32
	;; [unrolled: 1-line block ×4, first 2 shown]
	v_cmp_gt_u32_e32 vcc, 12, v0
	ds_write2st64_b64 v20, v[18:19], v[22:23] offset0:2 offset1:3
	s_and_saveexec_b64 s[4:5], vcc
	s_cbranch_execz .LBB839_15
; %bb.14:
	s_mov_b32 s49, 0
	v_mov_b32_e32 v29, 0
	v_lshl_add_u64 v[18:19], s[48:49], 0, v[28:29]
	v_mov_b32_e32 v22, s7
	v_mad_u64_u32 v[18:19], s[12:13], s2, v22, v[18:19]
	s_mul_i32 s3, s3, s7
	v_mov_b32_e32 v28, s28
	s_load_dwordx4 s[8:11], s[0:1], 0x58
	v_add_u32_e32 v23, s3, v19
	v_mad_u64_u32 v[18:19], s[12:13], v18, s6, v[28:29]
	v_mov_b32_e32 v22, v19
	v_mad_u64_u32 v[22:23], s[12:13], v23, s6, v[22:23]
	v_mov_b32_e32 v19, v22
	v_lshlrev_b64 v[18:19], 2, v[18:19]
	s_waitcnt lgkmcnt(0)
	v_lshl_add_u64 v[22:23], s[10:11], 0, v[18:19]
	v_lshl_add_u64 v[18:19], s[8:9], 0, v[18:19]
	global_store_dword v[22:23], v27, off
	global_store_dword v[18:19], v38, off
.LBB839_15:
	s_or_b64 exec, exec, s[4:5]
	s_waitcnt vmcnt(3)
	v_cvt_pk_f32_fp8_e32 v[18:19], v14
	v_cvt_pk_f32_fp8_sdwa v[22:23], v14 src0_sel:WORD_1
	v_cvt_pk_f32_fp8_e32 v[24:25], v15
	v_lshl_or_b32 v14, v1, 9, v21
	s_waitcnt lgkmcnt(0)
	s_barrier
	v_cvt_pkrtz_f16_f32 v18, v18, v19
	v_cvt_pkrtz_f16_f32 v19, v22, v23
	v_cvt_pk_f32_fp8_sdwa v[28:29], v15 src0_sel:WORD_1
	v_cvt_pkrtz_f16_f32 v36, v24, v25
	ds_read_b128 v[22:25], v14
	v_cvt_pk_f32_fp8_e32 v[38:39], v16
	v_cvt_pkrtz_f16_f32 v37, v28, v29
	ds_read_b128 v[28:31], v14 offset:16
	v_cvt_pk_f32_fp8_sdwa v[40:41], v16 src0_sel:WORD_1
	s_waitcnt lgkmcnt(1)
	v_mfma_f32_16x16x16_f16 v[32:35], v[18:19], v[22:23], 0
	v_cvt_pkrtz_f16_f32 v18, v38, v39
	v_cvt_pk_f32_fp8_e32 v[38:39], v17
	v_cvt_pkrtz_f16_f32 v19, v40, v41
	v_mfma_f32_16x16x16_f16 v[22:25], v[36:37], v[24:25], v[32:35]
	s_waitcnt vmcnt(2)
	v_cvt_pk_f32_fp8_sdwa v[36:37], v12 src0_sel:WORD_1
	s_load_dword s4, s[42:43], 0x0
	v_cmp_gt_u32_e32 vcc, 64, v0
	v_cvt_pk_f32_fp8_sdwa v[32:33], v17 src0_sel:WORD_1
	v_cvt_pkrtz_f16_f32 v34, v38, v39
	s_waitcnt lgkmcnt(0)
	v_mfma_f32_16x16x16_f16 v[16:19], v[18:19], v[28:29], v[22:25]
	v_cvt_pk_f32_fp8_e32 v[28:29], v11
	v_cvt_pkrtz_f16_f32 v35, v32, v33
	s_mov_b32 s3, 0
	v_cvt_pk_f32_fp8_e32 v[22:23], v10
	v_cvt_pk_f32_fp8_sdwa v[24:25], v10 src0_sel:WORD_1
	v_mfma_f32_16x16x16_f16 v[16:19], v[34:35], v[30:31], v[16:19]
	v_cvt_pkrtz_f16_f32 v10, v22, v23
	v_cvt_pk_f32_fp8_sdwa v[30:31], v11 src0_sel:WORD_1
	v_cvt_pkrtz_f16_f32 v11, v24, v25
	ds_read_b128 v[22:25], v14 offset:2048
	v_cvt_pkrtz_f16_f32 v32, v28, v29
	v_cvt_pkrtz_f16_f32 v33, v30, v31
	ds_read_b128 v[28:31], v14 offset:2064
	v_cvt_pk_f32_fp8_e32 v[34:35], v12
	s_waitcnt lgkmcnt(1)
	v_mfma_f32_16x16x16_f16 v[16:19], v[10:11], v[22:23], v[16:19]
	v_cvt_pkrtz_f16_f32 v11, v36, v37
	v_cvt_pk_f32_fp8_e32 v[22:23], v13
	v_cvt_pkrtz_f16_f32 v10, v34, v35
	v_mfma_f32_16x16x16_f16 v[16:19], v[32:33], v[24:25], v[16:19]
	v_cvt_pk_f32_fp8_sdwa v[24:25], v13 src0_sel:WORD_1
	v_cvt_pkrtz_f16_f32 v22, v22, v23
	s_waitcnt vmcnt(1)
	v_cvt_pk_f32_fp8_sdwa v[32:33], v8 src0_sel:WORD_1
	s_waitcnt lgkmcnt(0)
	v_mfma_f32_16x16x16_f16 v[10:13], v[10:11], v[28:29], v[16:19]
	v_cvt_pkrtz_f16_f32 v23, v24, v25
	v_cvt_pk_f32_fp8_sdwa v[24:25], v7 src0_sel:WORD_1
	v_mov_b32_e32 v27, 0
	v_cvt_pk_f32_fp8_e32 v[16:17], v6
	v_cvt_pk_f32_fp8_sdwa v[18:19], v6 src0_sel:WORD_1
	v_mfma_f32_16x16x16_f16 v[10:13], v[22:23], v[30:31], v[10:13]
	v_cvt_pk_f32_fp8_e32 v[22:23], v7
	v_cvt_pkrtz_f16_f32 v6, v16, v17
	v_cvt_pkrtz_f16_f32 v7, v18, v19
	ds_read_b128 v[16:19], v14 offset:4096
	v_cvt_pkrtz_f16_f32 v28, v22, v23
	v_cvt_pkrtz_f16_f32 v29, v24, v25
	ds_read_b128 v[22:25], v14 offset:4112
	v_cvt_pk_f32_fp8_e32 v[30:31], v8
	s_waitcnt lgkmcnt(1)
	v_mfma_f32_16x16x16_f16 v[10:13], v[6:7], v[16:17], v[10:13]
	v_cvt_pkrtz_f16_f32 v7, v32, v33
	v_cvt_pk_f32_fp8_e32 v[16:17], v9
	v_cvt_pkrtz_f16_f32 v6, v30, v31
	v_mfma_f32_16x16x16_f16 v[10:13], v[28:29], v[18:19], v[10:13]
	v_cvt_pk_f32_fp8_sdwa v[18:19], v9 src0_sel:WORD_1
	v_cvt_pkrtz_f16_f32 v16, v16, v17
	v_cvt_pkrtz_f16_f32 v17, v18, v19
	s_waitcnt lgkmcnt(0)
	v_mfma_f32_16x16x16_f16 v[6:9], v[6:7], v[22:23], v[10:13]
	s_waitcnt vmcnt(0)
	v_cvt_pk_f32_fp8_sdwa v[18:19], v3 src0_sel:WORD_1
	s_nop 0
	v_cvt_pkrtz_f16_f32 v23, v18, v19
	v_cvt_pk_f32_fp8_e32 v[10:11], v2
	v_cvt_pk_f32_fp8_sdwa v[12:13], v2 src0_sel:WORD_1
	v_mfma_f32_16x16x16_f16 v[6:9], v[16:17], v[24:25], v[6:9]
	v_cvt_pk_f32_fp8_e32 v[16:17], v3
	v_cvt_pkrtz_f16_f32 v2, v10, v11
	v_cvt_pkrtz_f16_f32 v3, v12, v13
	ds_read_b128 v[10:13], v14 offset:6144
	v_cvt_pkrtz_f16_f32 v22, v16, v17
	v_cvt_pk_f32_fp8_e32 v[18:19], v4
	v_cvt_pk_f32_fp8_sdwa v[24:25], v4 src0_sel:WORD_1
	s_waitcnt lgkmcnt(0)
	v_mfma_f32_16x16x16_f16 v[6:9], v[2:3], v[10:11], v[6:9]
	ds_read_b128 v[14:17], v14 offset:6160
	v_cvt_pkrtz_f16_f32 v2, v18, v19
	v_cvt_pkrtz_f16_f32 v3, v24, v25
	v_cvt_pk_f32_fp8_e32 v[10:11], v5
	v_mfma_f32_16x16x16_f16 v[6:9], v[22:23], v[12:13], v[6:9]
	v_cvt_pk_f32_fp8_sdwa v[12:13], v5 src0_sel:WORD_1
	s_waitcnt lgkmcnt(0)
	v_cvt_pkrtz_f16_f32 v10, v10, v11
	v_mfma_f32_16x16x16_f16 v[2:5], v[2:3], v[14:15], v[6:9]
	v_cvt_pkrtz_f16_f32 v11, v12, v13
	s_barrier
	s_nop 0
	v_mfma_f32_16x16x16_f16 v[2:5], v[10:11], v[16:17], v[2:5]
	s_nop 6
	v_pk_mul_f32 v[4:5], v[4:5], s[4:5] op_sel_hi:[1,0]
	v_pk_mul_f32 v[2:3], v[2:3], s[4:5] op_sel_hi:[1,0]
	v_cvt_f16_f32_e32 v4, v4
	v_cvt_f16_f32_e32 v2, v2
	;; [unrolled: 1-line block ×4, first 2 shown]
	s_and_b64 s[4:5], vcc, s[30:31]
	v_pack_b32_f16 v2, v2, v3
	v_pack_b32_f16 v3, v4, v5
	ds_write_b64 v20, v[2:3]
	s_waitcnt lgkmcnt(0)
	s_barrier
	s_and_saveexec_b64 s[8:9], s[4:5]
	s_cbranch_execz .LBB839_17
; %bb.16:
	s_load_dwordx2 s[0:1], s[0:1], 0x68
	s_lshl_b32 s6, s6, 6
	s_mul_i32 s2, s7, s2
	s_mul_hi_u32 s5, s2, s6
	s_mul_i32 s4, s2, s6
	s_lshl_b64 s[4:5], s[4:5], 1
	s_waitcnt lgkmcnt(0)
	s_add_u32 s4, s0, s4
	v_lshlrev_b32_e32 v0, 10, v0
	s_addc_u32 s5, s1, s5
	s_lshl_b32 s2, s28, 6
	v_and_b32_e32 v0, 0x1800, v0
	v_lshlrev_b32_e32 v2, 5, v1
	v_and_b32_e32 v3, 16, v42
	s_lshl_b64 s[0:1], s[2:3], 1
	v_or3_b32 v0, v0, v2, v3
	s_add_u32 s0, s4, s0
	ds_read_b128 v[2:5], v0
	ds_read_b128 v[6:9], v0 offset:128
	ds_read_b128 v[10:13], v0 offset:256
	s_addc_u32 s1, s5, s1
	v_or_b32_e32 v16, s48, v1
	v_lshl_add_u64 v[0:1], s[0:1], 0, v[26:27]
	v_mad_u64_u32 v[14:15], s[0:1], v16, s6, 0
	v_lshl_add_u64 v[14:15], v[14:15], 1, v[0:1]
	s_waitcnt lgkmcnt(2)
	global_store_dwordx4 v[14:15], v[2:5], off
	s_nop 1
	v_add_u32_e32 v2, 4, v16
	v_mad_u64_u32 v[2:3], s[0:1], v2, s6, 0
	v_lshl_add_u64 v[2:3], v[2:3], 1, v[0:1]
	s_waitcnt lgkmcnt(1)
	global_store_dwordx4 v[2:3], v[6:9], off
	v_add_u32_e32 v2, 8, v16
	v_mad_u64_u32 v[2:3], s[0:1], v2, s6, 0
	v_lshl_add_u64 v[0:1], v[2:3], 1, v[0:1]
	s_waitcnt lgkmcnt(0)
	global_store_dwordx4 v[0:1], v[10:13], off
.LBB839_17:
	s_endpgm
	.section	.rodata,"a",@progbits
	.p2align	6, 0x0
	.amdhsa_kernel _Z39paged_attention_ll4mi_QKV_mfma16_kernelIDF16_hLN4vllm18Fp8KVCacheDataTypeE1EDF16_Li16ELi64ELi256ELb0ELi12EEvPKT_PKT0_S7_ifPKiS9_S9_iPKfiiiPfSC_PS2_PT2_iSB_SB_
		.amdhsa_group_segment_fixed_size 8192
		.amdhsa_private_segment_fixed_size 0
		.amdhsa_kernarg_size 400
		.amdhsa_user_sgpr_count 2
		.amdhsa_user_sgpr_dispatch_ptr 0
		.amdhsa_user_sgpr_queue_ptr 0
		.amdhsa_user_sgpr_kernarg_segment_ptr 1
		.amdhsa_user_sgpr_dispatch_id 0
		.amdhsa_user_sgpr_kernarg_preload_length 0
		.amdhsa_user_sgpr_kernarg_preload_offset 0
		.amdhsa_user_sgpr_private_segment_size 0
		.amdhsa_uses_dynamic_stack 0
		.amdhsa_enable_private_segment 0
		.amdhsa_system_sgpr_workgroup_id_x 1
		.amdhsa_system_sgpr_workgroup_id_y 1
		.amdhsa_system_sgpr_workgroup_id_z 1
		.amdhsa_system_sgpr_workgroup_info 0
		.amdhsa_system_vgpr_workitem_id 0
		.amdhsa_next_free_vgpr 58
		.amdhsa_next_free_sgpr 50
		.amdhsa_accum_offset 60
		.amdhsa_reserve_vcc 1
		.amdhsa_float_round_mode_32 0
		.amdhsa_float_round_mode_16_64 0
		.amdhsa_float_denorm_mode_32 3
		.amdhsa_float_denorm_mode_16_64 3
		.amdhsa_dx10_clamp 1
		.amdhsa_ieee_mode 1
		.amdhsa_fp16_overflow 0
		.amdhsa_tg_split 0
		.amdhsa_exception_fp_ieee_invalid_op 0
		.amdhsa_exception_fp_denorm_src 0
		.amdhsa_exception_fp_ieee_div_zero 0
		.amdhsa_exception_fp_ieee_overflow 0
		.amdhsa_exception_fp_ieee_underflow 0
		.amdhsa_exception_fp_ieee_inexact 0
		.amdhsa_exception_int_div_zero 0
	.end_amdhsa_kernel
	.section	.text._Z39paged_attention_ll4mi_QKV_mfma16_kernelIDF16_hLN4vllm18Fp8KVCacheDataTypeE1EDF16_Li16ELi64ELi256ELb0ELi12EEvPKT_PKT0_S7_ifPKiS9_S9_iPKfiiiPfSC_PS2_PT2_iSB_SB_,"axG",@progbits,_Z39paged_attention_ll4mi_QKV_mfma16_kernelIDF16_hLN4vllm18Fp8KVCacheDataTypeE1EDF16_Li16ELi64ELi256ELb0ELi12EEvPKT_PKT0_S7_ifPKiS9_S9_iPKfiiiPfSC_PS2_PT2_iSB_SB_,comdat
.Lfunc_end839:
	.size	_Z39paged_attention_ll4mi_QKV_mfma16_kernelIDF16_hLN4vllm18Fp8KVCacheDataTypeE1EDF16_Li16ELi64ELi256ELb0ELi12EEvPKT_PKT0_S7_ifPKiS9_S9_iPKfiiiPfSC_PS2_PT2_iSB_SB_, .Lfunc_end839-_Z39paged_attention_ll4mi_QKV_mfma16_kernelIDF16_hLN4vllm18Fp8KVCacheDataTypeE1EDF16_Li16ELi64ELi256ELb0ELi12EEvPKT_PKT0_S7_ifPKiS9_S9_iPKfiiiPfSC_PS2_PT2_iSB_SB_
                                        ; -- End function
	.section	.AMDGPU.csdata,"",@progbits
; Kernel info:
; codeLenInByte = 4596
; NumSgprs: 56
; NumVgprs: 58
; NumAgprs: 0
; TotalNumVgprs: 58
; ScratchSize: 0
; MemoryBound: 0
; FloatMode: 240
; IeeeMode: 1
; LDSByteSize: 8192 bytes/workgroup (compile time only)
; SGPRBlocks: 6
; VGPRBlocks: 7
; NumSGPRsForWavesPerEU: 56
; NumVGPRsForWavesPerEU: 58
; AccumOffset: 60
; Occupancy: 8
; WaveLimiterHint : 1
; COMPUTE_PGM_RSRC2:SCRATCH_EN: 0
; COMPUTE_PGM_RSRC2:USER_SGPR: 2
; COMPUTE_PGM_RSRC2:TRAP_HANDLER: 0
; COMPUTE_PGM_RSRC2:TGID_X_EN: 1
; COMPUTE_PGM_RSRC2:TGID_Y_EN: 1
; COMPUTE_PGM_RSRC2:TGID_Z_EN: 1
; COMPUTE_PGM_RSRC2:TIDIG_COMP_CNT: 0
; COMPUTE_PGM_RSRC3_GFX90A:ACCUM_OFFSET: 14
; COMPUTE_PGM_RSRC3_GFX90A:TG_SPLIT: 0
	.section	.text._Z39paged_attention_ll4mi_QKV_mfma16_kernelIDF16_hLN4vllm18Fp8KVCacheDataTypeE1EDF16_Li16ELi64ELi256ELb0ELi13EEvPKT_PKT0_S7_ifPKiS9_S9_iPKfiiiPfSC_PS2_PT2_iSB_SB_,"axG",@progbits,_Z39paged_attention_ll4mi_QKV_mfma16_kernelIDF16_hLN4vllm18Fp8KVCacheDataTypeE1EDF16_Li16ELi64ELi256ELb0ELi13EEvPKT_PKT0_S7_ifPKiS9_S9_iPKfiiiPfSC_PS2_PT2_iSB_SB_,comdat
	.protected	_Z39paged_attention_ll4mi_QKV_mfma16_kernelIDF16_hLN4vllm18Fp8KVCacheDataTypeE1EDF16_Li16ELi64ELi256ELb0ELi13EEvPKT_PKT0_S7_ifPKiS9_S9_iPKfiiiPfSC_PS2_PT2_iSB_SB_ ; -- Begin function _Z39paged_attention_ll4mi_QKV_mfma16_kernelIDF16_hLN4vllm18Fp8KVCacheDataTypeE1EDF16_Li16ELi64ELi256ELb0ELi13EEvPKT_PKT0_S7_ifPKiS9_S9_iPKfiiiPfSC_PS2_PT2_iSB_SB_
	.globl	_Z39paged_attention_ll4mi_QKV_mfma16_kernelIDF16_hLN4vllm18Fp8KVCacheDataTypeE1EDF16_Li16ELi64ELi256ELb0ELi13EEvPKT_PKT0_S7_ifPKiS9_S9_iPKfiiiPfSC_PS2_PT2_iSB_SB_
	.p2align	8
	.type	_Z39paged_attention_ll4mi_QKV_mfma16_kernelIDF16_hLN4vllm18Fp8KVCacheDataTypeE1EDF16_Li16ELi64ELi256ELb0ELi13EEvPKT_PKT0_S7_ifPKiS9_S9_iPKfiiiPfSC_PS2_PT2_iSB_SB_,@function
_Z39paged_attention_ll4mi_QKV_mfma16_kernelIDF16_hLN4vllm18Fp8KVCacheDataTypeE1EDF16_Li16ELi64ELi256ELb0ELi13EEvPKT_PKT0_S7_ifPKiS9_S9_iPKfiiiPfSC_PS2_PT2_iSB_SB_: ; @_Z39paged_attention_ll4mi_QKV_mfma16_kernelIDF16_hLN4vllm18Fp8KVCacheDataTypeE1EDF16_Li16ELi64ELi256ELb0ELi13EEvPKT_PKT0_S7_ifPKiS9_S9_iPKfiiiPfSC_PS2_PT2_iSB_SB_
; %bb.0:
	s_load_dwordx2 s[12:13], s[0:1], 0x30
	s_mov_b32 s28, s3
	s_mov_b64 s[6:7], 0
	s_waitcnt lgkmcnt(0)
	s_cmp_lg_u64 s[12:13], 0
	s_cselect_b64 s[14:15], -1, 0
	s_and_b64 vcc, exec, s[14:15]
	s_cbranch_vccz .LBB840_7
; %bb.1:
	s_add_i32 s8, s2, 1
	s_mov_b32 s9, 0
	s_lshl_b64 s[10:11], s[8:9], 2
	s_add_u32 s10, s12, s10
	s_mov_b32 s3, s9
	s_addc_u32 s11, s13, s11
	s_lshl_b64 s[8:9], s[2:3], 2
	s_add_u32 s8, s12, s8
	s_addc_u32 s9, s13, s9
	s_load_dword s5, s[10:11], 0x0
	s_load_dword s16, s[8:9], 0x0
	s_waitcnt lgkmcnt(0)
	s_sub_i32 s5, s5, s16
	s_cmp_eq_u32 s5, 1
	s_cselect_b64 s[8:9], -1, 0
	s_andn2_b64 vcc, exec, s[6:7]
	s_cbranch_vccnz .LBB840_3
.LBB840_2:
	s_mov_b32 s3, 0
	s_mov_b64 s[8:9], -1
.LBB840_3:
	s_andn2_b64 vcc, exec, s[8:9]
	s_cbranch_vccnz .LBB840_18
; %bb.4:
	s_load_dwordx2 s[6:7], s[0:1], 0x28
	s_lshl_b64 s[16:17], s[2:3], 2
	s_waitcnt lgkmcnt(0)
	s_add_u32 s6, s6, s16
	s_addc_u32 s7, s7, s17
	s_load_dword s33, s[6:7], 0x0
	s_lshl_b32 s5, s28, 8
	s_waitcnt lgkmcnt(0)
	s_cmp_ge_i32 s5, s33
	s_cbranch_scc1 .LBB840_18
; %bb.5:
	s_load_dwordx2 s[6:7], s[0:1], 0x20
	s_load_dword s8, s[0:1], 0x38
	s_add_i32 s9, s33, 15
	s_ashr_i32 s10, s9, 31
	v_and_b32_e32 v1, 0xcf, v0
	s_lshr_b32 s10, s10, 28
	v_add_u32_e32 v1, s5, v1
	s_add_i32 s9, s9, s10
	v_ashrrev_i32_e32 v2, 31, v1
	s_ashr_i32 s18, s9, 4
	v_lshrrev_b32_e32 v4, 28, v2
	s_add_i32 s18, s18, -1
	s_waitcnt lgkmcnt(0)
	s_mul_i32 s8, s2, s8
	s_mov_b32 s9, 0
	v_add_u32_e32 v2, v1, v4
	s_lshl_b64 s[8:9], s[8:9], 2
	v_ashrrev_i32_e32 v2, 4, v2
	v_mov_b32_e32 v5, s18
	v_cmp_gt_i32_e32 vcc, s33, v1
	s_add_u32 s6, s6, s8
	s_addc_u32 s7, s7, s9
	v_cndmask_b32_e32 v2, v5, v2, vcc
	v_ashrrev_i32_e32 v3, 31, v2
	v_lshl_add_u64 v[6:7], v[2:3], 2, s[6:7]
	v_or_b32_e32 v2, 16, v1
	v_add_u32_e32 v3, v2, v4
	v_ashrrev_i32_e32 v3, 4, v3
	v_cmp_gt_i32_e32 vcc, s33, v2
	s_load_dwordx4 s[8:11], s[0:1], 0x8
	s_nop 0
	v_cndmask_b32_e32 v2, v5, v3, vcc
	v_ashrrev_i32_e32 v3, 31, v2
	v_lshl_add_u64 v[8:9], v[2:3], 2, s[6:7]
	v_or_b32_e32 v2, 32, v1
	v_add_u32_e32 v3, v2, v4
	v_ashrrev_i32_e32 v3, 4, v3
	v_cmp_gt_i32_e32 vcc, s33, v2
	v_or_b32_e32 v1, 48, v1
	s_nop 0
	v_cndmask_b32_e32 v2, v5, v3, vcc
	v_ashrrev_i32_e32 v3, 31, v2
	v_lshl_add_u64 v[10:11], v[2:3], 2, s[6:7]
	v_add_u32_e32 v2, v1, v4
	v_ashrrev_i32_e32 v2, 4, v2
	v_cmp_gt_i32_e32 vcc, s33, v1
	s_nop 1
	v_cndmask_b32_e32 v2, v5, v2, vcc
	v_ashrrev_i32_e32 v3, 31, v2
	v_lshl_add_u64 v[12:13], v[2:3], 2, s[6:7]
	global_load_dword v4, v[6:7], off
	global_load_dword v3, v[8:9], off
	;; [unrolled: 1-line block ×4, first 2 shown]
	s_andn2_b64 vcc, exec, s[14:15]
	s_cbranch_vccnz .LBB840_8
; %bb.6:
	s_add_u32 s12, s12, s16
	s_addc_u32 s13, s13, s17
	s_load_dword s14, s[12:13], 0x0
	s_branch .LBB840_9
.LBB840_7:
	s_mov_b64 s[8:9], 0
	s_branch .LBB840_2
.LBB840_8:
	s_mov_b32 s14, s2
.LBB840_9:
	s_load_dwordx4 s[44:47], s[0:1], 0x48
	v_lshrrev_b32_e32 v29, 6, v0
	v_bfe_u32 v42, v0, 4, 2
	v_lshl_or_b32 v5, v29, 2, v42
	v_and_b32_e32 v28, 15, v0
	v_lshlrev_b32_e32 v1, 3, v28
	v_cmp_gt_u32_e32 vcc, 13, v5
	v_cmp_gt_u32_e64 s[30:31], 8, v28
	v_and_b32_e32 v43, 63, v0
	s_mul_i32 s48, s4, 13
	s_and_b64 s[16:17], s[30:31], vcc
	v_lshlrev_b32_e32 v26, 1, v1
	v_lshlrev_b32_e32 v1, 4, v0
	s_and_saveexec_b64 s[12:13], s[16:17]
	s_cbranch_execz .LBB840_11
; %bb.10:
	s_load_dwordx2 s[16:17], s[0:1], 0x0
	s_waitcnt lgkmcnt(0)
	s_ashr_i32 s15, s44, 31
	s_mul_hi_u32 s19, s14, s44
	s_mul_i32 s15, s14, s15
	s_add_i32 s15, s19, s15
	s_mul_i32 s14, s14, s44
	s_lshl_b64 s[14:15], s[14:15], 1
	s_add_u32 s14, s16, s14
	v_add_lshl_u32 v6, v5, s48, 6
	s_addc_u32 s15, s17, s15
	v_ashrrev_i32_e32 v7, 31, v6
	v_lshl_add_u64 v[6:7], v[6:7], 1, s[14:15]
	v_mov_b32_e32 v27, 0
	v_lshl_add_u64 v[6:7], v[6:7], 0, v[26:27]
	global_load_dwordx4 v[6:9], v[6:7], off
	v_lshlrev_b32_e32 v11, 8, v28
	v_lshlrev_b32_e32 v5, 5, v5
	v_and_b32_e32 v10, 16, v1
	v_and_b32_e32 v11, 0xe00, v11
	v_or3_b32 v5, v11, v5, v10
	s_waitcnt vmcnt(0)
	ds_write_b128 v5, v[6:9]
.LBB840_11:
	s_or_b64 exec, exec, s[12:13]
	s_waitcnt lgkmcnt(0)
	s_mul_i32 s4, s4, s46
	s_add_u32 s8, s8, s4
	s_addc_u32 s9, s9, 0
	v_and_b32_e32 v8, 48, v0
	v_and_b32_e32 v30, 0xf0, v1
	v_mov_b32_e32 v31, 0
	v_lshl_add_u64 v[6:7], s[8:9], 0, v[30:31]
	v_lshlrev_b32_e32 v30, 4, v8
	v_lshl_add_u64 v[16:17], v[6:7], 0, v[30:31]
	s_waitcnt vmcnt(3)
	v_mad_i64_i32 v[4:5], s[8:9], v4, s45, v[16:17]
	s_load_dword s29, s[0:1], 0x98
	s_load_dwordx4 s[40:43], s[0:1], 0x80
	s_waitcnt lgkmcnt(0)
	s_barrier
	global_load_dwordx4 v[22:25], v[4:5], off
	s_waitcnt vmcnt(3)
	v_mad_i64_i32 v[4:5], s[8:9], v3, s45, v[16:17]
	global_load_dwordx4 v[18:21], v[4:5], off
	v_or_b32_e32 v10, s5, v8
	v_mov_b32_e32 v27, s18
	v_ashrrev_i32_e32 v3, 4, v10
	v_cmp_gt_i32_e32 vcc, s33, v10
	v_or_b32_e32 v15, 64, v10
	v_ashrrev_i32_e32 v32, 4, v15
	v_cndmask_b32_e32 v4, v27, v3, vcc
	s_waitcnt vmcnt(3)
	v_mad_i64_i32 v[2:3], s[8:9], v2, s45, v[16:17]
	global_load_dwordx4 v[6:9], v[2:3], off
	v_ashrrev_i32_e32 v5, 31, v4
	v_lshl_add_u64 v[4:5], v[4:5], 2, s[6:7]
	global_load_dword v56, v[4:5], off
	v_add_u32_e32 v4, -13, v28
	v_cmp_gt_u32_e32 vcc, 13, v28
	v_or_b32_e32 v33, 0x80, v10
	v_or_b32_e32 v35, 0xc0, v10
	v_cndmask_b32_e32 v2, v4, v28, vcc
	v_lshlrev_b32_e32 v2, 5, v2
	v_lshl_add_u32 v2, v42, 9, v2
	v_cmp_gt_i32_e32 vcc, s33, v15
	s_waitcnt vmcnt(4)
	v_mad_i64_i32 v[14:15], s[12:13], v14, s45, v[16:17]
	ds_read_b128 v[10:13], v2
	ds_read_b128 v[2:5], v2 offset:16
	global_load_dwordx4 v[14:17], v[14:15], off
	v_ashrrev_i32_e32 v34, 4, v33
	v_cndmask_b32_e32 v32, v27, v32, vcc
	v_cmp_gt_i32_e32 vcc, s33, v33
	v_ashrrev_i32_e32 v36, 4, v35
	v_ashrrev_i32_e32 v33, 31, v32
	v_cndmask_b32_e32 v34, v27, v34, vcc
	v_cmp_gt_i32_e32 vcc, s33, v35
	v_ashrrev_i32_e32 v35, 31, v34
	v_lshl_add_u64 v[32:33], v[32:33], 2, s[6:7]
	v_cndmask_b32_e32 v36, v27, v36, vcc
	v_ashrrev_i32_e32 v37, 31, v36
	v_lshl_add_u64 v[36:37], v[36:37], 2, s[6:7]
	s_add_u32 s8, s10, s4
	s_load_dword s4, s[40:41], 0x0
	v_lshl_add_u64 v[38:39], v[34:35], 2, s[6:7]
	global_load_dword v35, v[32:33], off
	global_load_dword v27, v[38:39], off
	;; [unrolled: 1-line block ×3, first 2 shown]
	s_load_dword s14, s[0:1], 0x1c
	s_mov_b32 s44, 0xff7fffff
	v_lshlrev_b32_e32 v30, 4, v28
	s_addc_u32 s9, s11, 0
	v_lshl_or_b32 v30, v29, 8, v30
	s_waitcnt lgkmcnt(0)
	v_mov_b32_e32 v57, s14
	v_lshl_add_u64 v[30:31], s[8:9], 0, v[30:31]
	s_waitcnt vmcnt(7)
	v_cvt_pk_f32_fp8_e32 v[32:33], v22
	v_cvt_pk_f32_fp8_sdwa v[36:37], v22 src0_sel:WORD_1
	v_cvt_pk_f32_fp8_e32 v[38:39], v23
	v_cvt_pk_f32_fp8_sdwa v[40:41], v23 src0_sel:WORD_1
	v_cvt_pkrtz_f16_f32 v32, v32, v33
	v_cvt_pkrtz_f16_f32 v33, v36, v37
	s_waitcnt vmcnt(6)
	v_cvt_pk_f32_fp8_e32 v[22:23], v18
	v_cvt_pk_f32_fp8_sdwa v[50:51], v18 src0_sel:WORD_1
	v_cvt_pk_f32_fp8_e32 v[44:45], v24
	v_cvt_pk_f32_fp8_sdwa v[46:47], v24 src0_sel:WORD_1
	;; [unrolled: 2-line block ×3, first 2 shown]
	v_cvt_pkrtz_f16_f32 v36, v22, v23
	v_mfma_f32_16x16x16_f16 v[22:25], v[32:33], v[10:11], 0
	v_cvt_pkrtz_f16_f32 v32, v38, v39
	v_cvt_pkrtz_f16_f32 v33, v40, v41
	v_cvt_pk_f32_fp8_e32 v[54:55], v19
	v_cvt_pkrtz_f16_f32 v37, v50, v51
	v_cvt_pk_f32_fp8_sdwa v[18:19], v19 src0_sel:WORD_1
	v_mfma_f32_16x16x16_f16 v[22:25], v[32:33], v[12:13], v[22:25]
	v_cvt_pkrtz_f16_f32 v50, v54, v55
	v_cvt_pkrtz_f16_f32 v51, v18, v19
	;; [unrolled: 1-line block ×4, first 2 shown]
	v_mfma_f32_16x16x16_f16 v[36:39], v[36:37], v[10:11], 0
	v_cvt_pk_f32_fp8_e32 v[40:41], v20
	v_cvt_pk_f32_fp8_sdwa v[18:19], v20 src0_sel:WORD_1
	v_cvt_pkrtz_f16_f32 v44, v48, v49
	v_mfma_f32_16x16x16_f16 v[36:39], v[50:51], v[12:13], v[36:39]
	v_cvt_pk_f32_fp8_e32 v[50:51], v21
	v_cvt_pkrtz_f16_f32 v45, v52, v53
	v_cvt_pkrtz_f16_f32 v40, v40, v41
	v_mfma_f32_16x16x16_f16 v[22:25], v[32:33], v[2:3], v[22:25]
	v_cvt_pk_f32_fp8_sdwa v[32:33], v21 src0_sel:WORD_1
	v_cvt_pkrtz_f16_f32 v41, v18, v19
	v_cvt_pkrtz_f16_f32 v18, v50, v51
	v_mfma_f32_16x16x16_f16 v[44:47], v[44:45], v[4:5], v[22:25]
	v_cvt_pkrtz_f16_f32 v19, v32, v33
	s_waitcnt vmcnt(5)
	v_cvt_pk_f32_fp8_e32 v[32:33], v6
	v_cvt_pk_f32_fp8_sdwa v[48:49], v9 src0_sel:WORD_1
	v_mfma_f32_16x16x16_f16 v[22:25], v[40:41], v[2:3], v[36:39]
	v_mul_f32_e32 v50, s4, v57
	s_waitcnt vmcnt(4)
	v_mad_i64_i32 v[20:21], s[6:7], v56, s45, v[30:31]
	v_cvt_pk_f32_fp8_sdwa v[36:37], v6 src0_sel:WORD_1
	v_mfma_f32_16x16x16_f16 v[38:41], v[18:19], v[4:5], v[22:25]
	v_cvt_pk_f32_fp8_e32 v[18:19], v7
	v_cvt_pk_f32_fp8_sdwa v[6:7], v7 src0_sel:WORD_1
	v_cvt_pkrtz_f16_f32 v18, v18, v19
	v_cvt_pkrtz_f16_f32 v22, v32, v33
	v_cvt_pkrtz_f16_f32 v23, v36, v37
	v_cvt_pk_f32_fp8_e32 v[32:33], v8
	v_cvt_pk_f32_fp8_sdwa v[36:37], v8 src0_sel:WORD_1
	v_cvt_pkrtz_f16_f32 v19, v6, v7
	v_mfma_f32_16x16x16_f16 v[22:25], v[22:23], v[10:11], 0
	v_cvt_pkrtz_f16_f32 v32, v32, v33
	v_cvt_pkrtz_f16_f32 v33, v36, v37
	v_cvt_pk_f32_fp8_e32 v[36:37], v9
	v_mfma_f32_16x16x16_f16 v[6:9], v[18:19], v[12:13], v[22:25]
	v_cvt_pkrtz_f16_f32 v19, v48, v49
	v_cvt_pkrtz_f16_f32 v18, v36, v37
	s_nop 0
	v_pk_mul_f32 v[22:23], v[50:51], v[46:47] op_sel_hi:[0,1]
	v_mfma_f32_16x16x16_f16 v[46:49], v[32:33], v[2:3], v[6:9]
	s_waitcnt vmcnt(3)
	v_cvt_pk_f32_fp8_sdwa v[24:25], v14 src0_sel:WORD_1
	v_cvt_pk_f32_fp8_sdwa v[32:33], v16 src0_sel:WORD_1
	v_pk_mul_f32 v[36:37], v[50:51], v[40:41] op_sel_hi:[0,1]
	v_cvt_pk_f32_fp8_e32 v[8:9], v14
	v_pk_mul_f32 v[6:7], v[50:51], v[44:45] op_sel_hi:[0,1]
	v_mfma_f32_16x16x16_f16 v[44:47], v[18:19], v[4:5], v[46:49]
	v_cvt_pk_f32_fp8_e32 v[18:19], v15
	v_cvt_pkrtz_f16_f32 v8, v8, v9
	v_cvt_pkrtz_f16_f32 v9, v24, v25
	v_cvt_pk_f32_fp8_sdwa v[14:15], v15 src0_sel:WORD_1
	v_cvt_pkrtz_f16_f32 v18, v18, v19
	v_cvt_pk_f32_fp8_e32 v[24:25], v16
	v_mfma_f32_16x16x16_f16 v[8:11], v[8:9], v[10:11], 0
	v_cvt_pkrtz_f16_f32 v19, v14, v15
	v_cvt_pkrtz_f16_f32 v14, v24, v25
	;; [unrolled: 1-line block ×3, first 2 shown]
	v_cvt_pk_f32_fp8_e32 v[24:25], v17
	v_cvt_pk_f32_fp8_sdwa v[16:17], v17 src0_sel:WORD_1
	v_mfma_f32_16x16x16_f16 v[8:11], v[18:19], v[12:13], v[8:11]
	v_pk_mul_f32 v[40:41], v[50:51], v[38:39] op_sel_hi:[0,1]
	v_cvt_pkrtz_f16_f32 v12, v24, v25
	v_cvt_pkrtz_f16_f32 v13, v16, v17
	v_mfma_f32_16x16x16_f16 v[8:11], v[14:15], v[2:3], v[8:11]
	v_pk_mul_f32 v[38:39], v[50:51], v[44:45] op_sel_hi:[0,1]
	v_pk_mul_f32 v[32:33], v[50:51], v[46:47] op_sel_hi:[0,1]
	v_mfma_f32_16x16x16_f16 v[2:5], v[12:13], v[4:5], v[8:11]
	s_nop 6
	v_pk_mul_f32 v[24:25], v[50:51], v[2:3] op_sel_hi:[0,1]
	v_and_b32_e32 v2, 0xc0, v0
	v_add_u32_e32 v2, s5, v2
	v_lshl_or_b32 v2, v42, 2, v2
	v_pk_mul_f32 v[18:19], v[50:51], v[4:5] op_sel_hi:[0,1]
	v_or_b32_e32 v5, 1, v2
	v_mov_b32_e32 v3, 0xff7fffff
	v_cmp_gt_i32_e64 s[4:5], s33, v2
	v_cmp_gt_i32_e64 s[34:35], s33, v5
	v_or_b32_e32 v8, 3, v2
	v_cndmask_b32_e64 v4, v3, v6, s[4:5]
	v_cndmask_b32_e64 v5, v3, v7, s[34:35]
	v_max3_f32 v4, v4, s44, v5
	v_or_b32_e32 v5, 2, v2
	v_cmp_gt_i32_e64 s[36:37], s33, v5
	v_cmp_gt_i32_e64 s[38:39], s33, v8
	s_nop 0
	v_cndmask_b32_e64 v5, v3, v22, s[36:37]
	v_cndmask_b32_e64 v8, v3, v23, s[38:39]
	v_max3_f32 v4, v4, v5, v8
	v_or_b32_e32 v5, 16, v2
	v_or_b32_e32 v8, 17, v2
	v_cmp_gt_i32_e64 s[24:25], s33, v5
	v_cmp_gt_i32_e64 s[26:27], s33, v8
	s_nop 0
	v_cndmask_b32_e64 v5, v3, v40, s[24:25]
	v_cndmask_b32_e64 v8, v3, v41, s[26:27]
	v_max3_f32 v4, v4, v5, v8
	v_or_b32_e32 v5, 18, v2
	;; [unrolled: 8-line block ×6, first 2 shown]
	v_or_b32_e32 v2, 51, v2
	v_cmp_gt_i32_e32 vcc, s33, v5
	v_cmp_gt_i32_e64 s[6:7], s33, v2
	s_nop 0
	v_cndmask_b32_e32 v5, v3, v18, vcc
	v_cndmask_b32_e64 v2, v3, v19, s[6:7]
	v_max3_f32 v4, v4, v5, v2
	v_mbcnt_lo_u32_b32 v2, -1, 0
	v_mbcnt_hi_u32_b32 v5, -1, v2
	v_and_b32_e32 v2, 64, v5
	v_add_u32_e32 v8, 64, v2
	v_xor_b32_e32 v2, 32, v5
	v_cmp_lt_i32_e64 s[40:41], v2, v8
	s_nop 1
	v_cndmask_b32_e64 v2, v5, v2, s[40:41]
	v_lshlrev_b32_e32 v44, 2, v2
	ds_bpermute_b32 v9, v44, v4
	s_waitcnt vmcnt(2)
	v_mad_i64_i32 v[2:3], s[40:41], v35, s45, v[30:31]
	global_load_dwordx4 v[14:17], v[20:21], off
	global_load_dwordx4 v[10:13], v[2:3], off
	v_xor_b32_e32 v3, 16, v5
	v_cmp_lt_i32_e64 s[40:41], v3, v8
	s_waitcnt lgkmcnt(0)
	v_max_f32_e32 v2, v9, v9
	v_max_f32_e32 v2, v4, v2
	v_cndmask_b32_e64 v3, v5, v3, s[40:41]
	v_lshlrev_b32_e32 v45, 2, v3
	ds_bpermute_b32 v3, v45, v2
	s_waitcnt vmcnt(3)
	v_mad_i64_i32 v[20:21], s[40:41], v27, s45, v[30:31]
	s_waitcnt vmcnt(2)
	v_mad_i64_i32 v[30:31], s[40:41], v34, s45, v[30:31]
	s_waitcnt lgkmcnt(0)
	v_max_f32_e32 v3, v3, v3
	v_max_f32_e32 v27, v2, v3
	v_sub_f32_e32 v2, v6, v27
	v_mul_f32_e32 v2, 0x3fb8aa3b, v2
	v_exp_f32_e32 v34, v2
	v_sub_f32_e32 v2, v7, v27
	v_mul_f32_e32 v2, 0x3fb8aa3b, v2
	v_exp_f32_e32 v35, v2
	global_load_dwordx4 v[6:9], v[20:21], off
	global_load_dwordx4 v[2:5], v[30:31], off
	v_sub_f32_e32 v22, v22, v27
	v_mul_f32_e32 v22, 0x3fb8aa3b, v22
	v_sub_f32_e32 v23, v23, v27
	v_exp_f32_e32 v22, v22
	v_mul_f32_e32 v23, 0x3fb8aa3b, v23
	v_exp_f32_e32 v23, v23
	v_cndmask_b32_e64 v20, 0, v34, s[4:5]
	v_add_f32_e32 v30, 0, v20
	v_cndmask_b32_e64 v21, 0, v35, s[34:35]
	v_add_f32_e32 v30, v30, v21
	;; [unrolled: 2-line block ×3, first 2 shown]
	v_cndmask_b32_e64 v35, 0, v23, s[38:39]
	v_sub_f32_e32 v23, v40, v27
	v_sub_f32_e32 v30, v41, v27
	v_mul_f32_e32 v23, 0x3fb8aa3b, v23
	v_mul_f32_e32 v30, 0x3fb8aa3b, v30
	v_exp_f32_e32 v23, v23
	v_exp_f32_e32 v30, v30
	v_add_f32_e32 v31, v22, v35
	v_sub_f32_e32 v32, v32, v27
	v_cndmask_b32_e64 v22, 0, v23, s[24:25]
	v_cndmask_b32_e64 v23, 0, v30, s[26:27]
	v_sub_f32_e32 v30, v36, v27
	v_mul_f32_e32 v30, 0x3fb8aa3b, v30
	v_exp_f32_e32 v30, v30
	v_sub_f32_e32 v36, v37, v27
	v_add_f32_e32 v31, v31, v22
	v_mul_f32_e32 v36, 0x3fb8aa3b, v36
	v_exp_f32_e32 v37, v36
	v_add_f32_e32 v31, v31, v23
	v_cndmask_b32_e64 v36, 0, v30, s[20:21]
	v_add_f32_e32 v30, v31, v36
	v_sub_f32_e32 v31, v38, v27
	v_mul_f32_e32 v31, 0x3fb8aa3b, v31
	v_sub_f32_e32 v38, v39, v27
	v_exp_f32_e32 v31, v31
	v_mul_f32_e32 v38, 0x3fb8aa3b, v38
	v_exp_f32_e32 v38, v38
	v_mul_f32_e32 v32, 0x3fb8aa3b, v32
	v_sub_f32_e32 v33, v33, v27
	v_exp_f32_e32 v32, v32
	v_mul_f32_e32 v33, 0x3fb8aa3b, v33
	v_sub_f32_e32 v24, v24, v27
	v_cndmask_b32_e64 v37, 0, v37, s[22:23]
	v_exp_f32_e32 v33, v33
	v_mul_f32_e32 v24, 0x3fb8aa3b, v24
	v_sub_f32_e32 v25, v25, v27
	v_add_f32_e32 v39, v30, v37
	v_cndmask_b32_e64 v30, 0, v31, s[16:17]
	v_exp_f32_e32 v24, v24
	v_mul_f32_e32 v25, 0x3fb8aa3b, v25
	v_sub_f32_e32 v18, v18, v27
	v_add_f32_e32 v39, v39, v30
	;; [unrolled: 5-line block ×3, first 2 shown]
	v_cndmask_b32_e64 v32, 0, v32, s[12:13]
	v_exp_f32_e32 v18, v18
	v_mul_f32_e32 v19, 0x3fb8aa3b, v19
	v_add_f32_e32 v38, v38, v32
	v_cndmask_b32_e64 v33, 0, v33, s[14:15]
	v_exp_f32_e32 v19, v19
	v_add_f32_e32 v38, v38, v33
	v_cndmask_b32_e64 v24, 0, v24, s[8:9]
	v_add_f32_e32 v38, v38, v24
	v_cndmask_b32_e64 v25, 0, v25, s[10:11]
	v_add_f32_e32 v38, v38, v25
	v_cndmask_b32_e32 v18, 0, v18, vcc
	v_add_f32_e32 v38, v38, v18
	v_cndmask_b32_e64 v19, 0, v19, s[6:7]
	v_add_f32_e32 v38, v38, v19
	ds_bpermute_b32 v39, v44, v38
	v_cmp_gt_u32_e64 s[6:7], 16, v43
	s_waitcnt lgkmcnt(0)
	s_barrier
	v_add_f32_e32 v39, v38, v39
	ds_bpermute_b32 v40, v45, v39
	v_lshlrev_b32_e32 v38, 2, v28
	s_and_saveexec_b64 s[4:5], s[6:7]
	s_cbranch_execz .LBB840_13
; %bb.12:
	s_waitcnt lgkmcnt(0)
	v_add_f32_e32 v39, v39, v40
	v_lshl_or_b32 v40, v29, 6, v38
	ds_write2st64_b32 v40, v27, v39 offset1:1
.LBB840_13:
	s_or_b64 exec, exec, s[4:5]
	s_load_dword s8, s[0:1], 0x94
	s_waitcnt lgkmcnt(0)
	s_barrier
	ds_read2_b32 v[40:41], v38 offset1:16
	ds_read2_b32 v[44:45], v38 offset0:32 offset1:48
	ds_read2_b32 v[46:47], v38 offset0:64 offset1:80
	s_mul_i32 s9, s29, 13
	s_waitcnt lgkmcnt(2)
	v_max3_f32 v27, v40, s44, v41
	s_waitcnt lgkmcnt(1)
	v_max3_f32 v27, v27, v44, v45
	v_sub_f32_e32 v39, v40, v27
	v_sub_f32_e32 v40, v41, v27
	v_mul_f32_e32 v40, 0x3fb8aa3b, v40
	v_mul_f32_e32 v39, 0x3fb8aa3b, v39
	v_exp_f32_e32 v43, v40
	v_sub_f32_e32 v40, v44, v27
	v_exp_f32_e32 v39, v39
	v_mul_f32_e32 v40, 0x3fb8aa3b, v40
	v_exp_f32_e32 v44, v40
	ds_read2_b32 v[40:41], v38 offset0:96 offset1:112
	v_sub_f32_e32 v38, v45, v27
	v_mul_f32_e32 v38, 0x3fb8aa3b, v38
	v_exp_f32_e32 v45, v38
	s_waitcnt lgkmcnt(1)
	v_fma_f32 v38, v39, v46, 0
	v_fmac_f32_e32 v38, v43, v47
	s_waitcnt lgkmcnt(0)
	v_fmac_f32_e32 v38, v44, v40
	v_fmac_f32_e32 v38, v45, v41
	v_add_f32_e32 v40, 0x358637bd, v38
	v_div_scale_f32 v41, s[4:5], v40, v40, 1.0
	v_rcp_f32_e32 v46, v41
	s_barrier
	v_fma_f32 v47, -v41, v46, 1.0
	v_fmac_f32_e32 v46, v47, v46
	v_div_scale_f32 v47, vcc, 1.0, v40, 1.0
	v_mul_f32_e32 v48, v47, v46
	v_fma_f32 v49, -v41, v48, v47
	v_fmac_f32_e32 v48, v49, v46
	v_fma_f32 v41, -v41, v48, v47
	v_div_fmas_f32 v41, v41, v46, v48
	v_cmp_eq_u32_e32 vcc, 1, v29
	v_div_fixup_f32 v40, v41, v40, 1.0
	s_nop 0
	v_cndmask_b32_e32 v39, v39, v43, vcc
	v_cmp_eq_u32_e32 vcc, 2, v29
	s_nop 1
	v_cndmask_b32_e32 v39, v39, v44, vcc
	v_cmp_eq_u32_e32 vcc, 3, v29
	v_lshlrev_b32_e32 v29, 11, v29
	s_nop 0
	v_cndmask_b32_e32 v39, v39, v45, vcc
	v_mul_f32_e32 v40, v39, v40
	v_pk_mul_f32 v[20:21], v[40:41], v[20:21] op_sel_hi:[0,1]
	v_pk_mul_f32 v[34:35], v[40:41], v[34:35] op_sel_hi:[0,1]
	v_cvt_f16_f32_e32 v20, v20
	v_cvt_f16_f32_e32 v21, v21
	v_pk_mul_f32 v[36:37], v[40:41], v[36:37] op_sel_hi:[0,1]
	v_pk_mul_f32 v[22:23], v[40:41], v[22:23] op_sel_hi:[0,1]
	v_cvt_f16_f32_e32 v39, v34
	v_cvt_f16_f32_e32 v35, v35
	;; [unrolled: 1-line block ×6, first 2 shown]
	v_pack_b32_f16 v34, v20, v21
	v_lshlrev_b32_e32 v20, 3, v42
	v_lshlrev_b32_e32 v21, 5, v28
	v_pack_b32_f16 v35, v39, v35
	v_or3_b32 v20, v29, v21, v20
	v_pack_b32_f16 v22, v22, v23
	v_pack_b32_f16 v23, v36, v37
	ds_write2st64_b64 v20, v[34:35], v[22:23] offset1:1
	v_pk_mul_f32 v[22:23], v[40:41], v[32:33] op_sel_hi:[0,1]
	v_pk_mul_f32 v[30:31], v[40:41], v[30:31] op_sel_hi:[0,1]
	v_cvt_f16_f32_e32 v29, v30
	v_cvt_f16_f32_e32 v30, v31
	;; [unrolled: 1-line block ×4, first 2 shown]
	v_pk_mul_f32 v[18:19], v[40:41], v[18:19] op_sel_hi:[0,1]
	v_pk_mul_f32 v[22:23], v[40:41], v[24:25] op_sel_hi:[0,1]
	v_cvt_f16_f32_e32 v22, v22
	v_cvt_f16_f32_e32 v23, v23
	;; [unrolled: 1-line block ×4, first 2 shown]
	v_pack_b32_f16 v18, v29, v30
	v_pack_b32_f16 v19, v31, v32
	;; [unrolled: 1-line block ×4, first 2 shown]
	v_cmp_gt_u32_e32 vcc, 13, v0
	ds_write2st64_b64 v20, v[18:19], v[22:23] offset0:2 offset1:3
	s_and_saveexec_b64 s[4:5], vcc
	s_cbranch_execz .LBB840_15
; %bb.14:
	s_mov_b32 s49, 0
	v_mov_b32_e32 v29, 0
	v_lshl_add_u64 v[18:19], s[48:49], 0, v[28:29]
	v_mov_b32_e32 v22, s9
	v_mad_u64_u32 v[18:19], s[10:11], s2, v22, v[18:19]
	s_mul_i32 s3, s3, s9
	v_mov_b32_e32 v28, s28
	s_load_dwordx4 s[12:15], s[0:1], 0x58
	v_add_u32_e32 v23, s3, v19
	v_mad_u64_u32 v[18:19], s[10:11], v18, s8, v[28:29]
	v_mov_b32_e32 v22, v19
	v_mad_u64_u32 v[22:23], s[10:11], v23, s8, v[22:23]
	v_mov_b32_e32 v19, v22
	v_lshlrev_b64 v[18:19], 2, v[18:19]
	s_waitcnt lgkmcnt(0)
	v_lshl_add_u64 v[22:23], s[14:15], 0, v[18:19]
	v_lshl_add_u64 v[18:19], s[12:13], 0, v[18:19]
	global_store_dword v[22:23], v27, off
	global_store_dword v[18:19], v38, off
.LBB840_15:
	s_or_b64 exec, exec, s[4:5]
	s_waitcnt vmcnt(3)
	v_cvt_pk_f32_fp8_e32 v[18:19], v14
	v_cvt_pk_f32_fp8_sdwa v[22:23], v14 src0_sel:WORD_1
	v_cvt_pk_f32_fp8_e32 v[24:25], v15
	v_lshl_or_b32 v14, v42, 9, v21
	s_waitcnt lgkmcnt(0)
	s_barrier
	v_cvt_pkrtz_f16_f32 v18, v18, v19
	v_cvt_pkrtz_f16_f32 v19, v22, v23
	v_cvt_pk_f32_fp8_sdwa v[28:29], v15 src0_sel:WORD_1
	v_cvt_pkrtz_f16_f32 v36, v24, v25
	ds_read_b128 v[22:25], v14
	v_cvt_pk_f32_fp8_e32 v[38:39], v16
	v_cvt_pkrtz_f16_f32 v37, v28, v29
	ds_read_b128 v[28:31], v14 offset:16
	v_cvt_pk_f32_fp8_sdwa v[40:41], v16 src0_sel:WORD_1
	s_waitcnt lgkmcnt(1)
	v_mfma_f32_16x16x16_f16 v[32:35], v[18:19], v[22:23], 0
	v_cvt_pkrtz_f16_f32 v18, v38, v39
	v_cvt_pk_f32_fp8_e32 v[38:39], v17
	v_cvt_pkrtz_f16_f32 v19, v40, v41
	v_mfma_f32_16x16x16_f16 v[22:25], v[36:37], v[24:25], v[32:35]
	s_waitcnt vmcnt(2)
	v_cvt_pk_f32_fp8_sdwa v[36:37], v12 src0_sel:WORD_1
	s_load_dword s4, s[42:43], 0x0
	v_cmp_gt_u32_e32 vcc, 64, v0
	v_cvt_pk_f32_fp8_sdwa v[32:33], v17 src0_sel:WORD_1
	v_cvt_pkrtz_f16_f32 v34, v38, v39
	s_waitcnt lgkmcnt(0)
	v_mfma_f32_16x16x16_f16 v[16:19], v[18:19], v[28:29], v[22:25]
	v_cvt_pk_f32_fp8_e32 v[28:29], v11
	v_cvt_pkrtz_f16_f32 v35, v32, v33
	s_mov_b32 s3, 0
	v_cvt_pk_f32_fp8_e32 v[22:23], v10
	v_cvt_pk_f32_fp8_sdwa v[24:25], v10 src0_sel:WORD_1
	v_mfma_f32_16x16x16_f16 v[16:19], v[34:35], v[30:31], v[16:19]
	v_cvt_pkrtz_f16_f32 v10, v22, v23
	v_cvt_pk_f32_fp8_sdwa v[30:31], v11 src0_sel:WORD_1
	v_cvt_pkrtz_f16_f32 v11, v24, v25
	ds_read_b128 v[22:25], v14 offset:2048
	v_cvt_pkrtz_f16_f32 v32, v28, v29
	v_cvt_pkrtz_f16_f32 v33, v30, v31
	ds_read_b128 v[28:31], v14 offset:2064
	v_cvt_pk_f32_fp8_e32 v[34:35], v12
	s_waitcnt lgkmcnt(1)
	v_mfma_f32_16x16x16_f16 v[16:19], v[10:11], v[22:23], v[16:19]
	v_cvt_pkrtz_f16_f32 v11, v36, v37
	v_cvt_pk_f32_fp8_e32 v[22:23], v13
	v_cvt_pkrtz_f16_f32 v10, v34, v35
	v_mfma_f32_16x16x16_f16 v[16:19], v[32:33], v[24:25], v[16:19]
	v_cvt_pk_f32_fp8_sdwa v[24:25], v13 src0_sel:WORD_1
	v_cvt_pkrtz_f16_f32 v22, v22, v23
	s_waitcnt vmcnt(1)
	v_cvt_pk_f32_fp8_sdwa v[32:33], v8 src0_sel:WORD_1
	s_waitcnt lgkmcnt(0)
	v_mfma_f32_16x16x16_f16 v[10:13], v[10:11], v[28:29], v[16:19]
	v_cvt_pkrtz_f16_f32 v23, v24, v25
	v_cvt_pk_f32_fp8_sdwa v[24:25], v7 src0_sel:WORD_1
	v_mov_b32_e32 v27, 0
	v_cvt_pk_f32_fp8_e32 v[16:17], v6
	v_cvt_pk_f32_fp8_sdwa v[18:19], v6 src0_sel:WORD_1
	v_mfma_f32_16x16x16_f16 v[10:13], v[22:23], v[30:31], v[10:13]
	v_cvt_pk_f32_fp8_e32 v[22:23], v7
	v_cvt_pkrtz_f16_f32 v6, v16, v17
	v_cvt_pkrtz_f16_f32 v7, v18, v19
	ds_read_b128 v[16:19], v14 offset:4096
	v_cvt_pkrtz_f16_f32 v28, v22, v23
	v_cvt_pkrtz_f16_f32 v29, v24, v25
	ds_read_b128 v[22:25], v14 offset:4112
	v_cvt_pk_f32_fp8_e32 v[30:31], v8
	s_waitcnt lgkmcnt(1)
	v_mfma_f32_16x16x16_f16 v[10:13], v[6:7], v[16:17], v[10:13]
	v_cvt_pkrtz_f16_f32 v7, v32, v33
	v_cvt_pk_f32_fp8_e32 v[16:17], v9
	v_cvt_pkrtz_f16_f32 v6, v30, v31
	v_mfma_f32_16x16x16_f16 v[10:13], v[28:29], v[18:19], v[10:13]
	v_cvt_pk_f32_fp8_sdwa v[18:19], v9 src0_sel:WORD_1
	v_cvt_pkrtz_f16_f32 v16, v16, v17
	v_cvt_pkrtz_f16_f32 v17, v18, v19
	s_waitcnt lgkmcnt(0)
	v_mfma_f32_16x16x16_f16 v[6:9], v[6:7], v[22:23], v[10:13]
	s_waitcnt vmcnt(0)
	v_cvt_pk_f32_fp8_sdwa v[18:19], v3 src0_sel:WORD_1
	s_nop 0
	v_cvt_pkrtz_f16_f32 v23, v18, v19
	v_cvt_pk_f32_fp8_e32 v[10:11], v2
	v_cvt_pk_f32_fp8_sdwa v[12:13], v2 src0_sel:WORD_1
	v_mfma_f32_16x16x16_f16 v[6:9], v[16:17], v[24:25], v[6:9]
	v_cvt_pk_f32_fp8_e32 v[16:17], v3
	v_cvt_pkrtz_f16_f32 v2, v10, v11
	v_cvt_pkrtz_f16_f32 v3, v12, v13
	ds_read_b128 v[10:13], v14 offset:6144
	v_cvt_pkrtz_f16_f32 v22, v16, v17
	v_cvt_pk_f32_fp8_e32 v[18:19], v4
	v_cvt_pk_f32_fp8_sdwa v[24:25], v4 src0_sel:WORD_1
	s_waitcnt lgkmcnt(0)
	v_mfma_f32_16x16x16_f16 v[6:9], v[2:3], v[10:11], v[6:9]
	ds_read_b128 v[14:17], v14 offset:6160
	v_cvt_pkrtz_f16_f32 v2, v18, v19
	v_cvt_pkrtz_f16_f32 v3, v24, v25
	v_cvt_pk_f32_fp8_e32 v[10:11], v5
	v_mfma_f32_16x16x16_f16 v[6:9], v[22:23], v[12:13], v[6:9]
	v_cvt_pk_f32_fp8_sdwa v[12:13], v5 src0_sel:WORD_1
	s_waitcnt lgkmcnt(0)
	v_cvt_pkrtz_f16_f32 v10, v10, v11
	v_mfma_f32_16x16x16_f16 v[2:5], v[2:3], v[14:15], v[6:9]
	v_cvt_pkrtz_f16_f32 v11, v12, v13
	s_barrier
	s_nop 0
	v_mfma_f32_16x16x16_f16 v[2:5], v[10:11], v[16:17], v[2:5]
	s_nop 6
	v_pk_mul_f32 v[4:5], v[4:5], s[4:5] op_sel_hi:[1,0]
	v_pk_mul_f32 v[2:3], v[2:3], s[4:5] op_sel_hi:[1,0]
	v_cvt_f16_f32_e32 v4, v4
	v_cvt_f16_f32_e32 v2, v2
	;; [unrolled: 1-line block ×4, first 2 shown]
	s_and_b64 s[4:5], vcc, s[30:31]
	v_pack_b32_f16 v2, v2, v3
	v_pack_b32_f16 v3, v4, v5
	ds_write_b64 v20, v[2:3]
	s_waitcnt lgkmcnt(0)
	s_barrier
	s_and_saveexec_b64 s[10:11], s[4:5]
	s_cbranch_execz .LBB840_18
; %bb.16:
	s_load_dwordx2 s[4:5], s[0:1], 0x68
	s_lshl_b32 s0, s8, 6
	s_mul_i32 s1, s9, s2
	s_mul_hi_u32 s9, s1, s0
	s_mul_i32 s8, s1, s0
	v_lshlrev_b32_e32 v0, 10, v0
	s_lshl_b64 s[8:9], s[8:9], 1
	v_and_b32_e32 v0, 0x1800, v0
	v_lshlrev_b32_e32 v2, 5, v42
	v_and_b32_e32 v1, 16, v1
	s_waitcnt lgkmcnt(0)
	s_add_u32 s1, s4, s8
	v_or3_b32 v2, v0, v2, v1
	s_addc_u32 s4, s5, s9
	s_lshl_b32 s2, s28, 6
	ds_read_b128 v[4:7], v2 offset:256
	s_lshl_b64 s[2:3], s[2:3], 1
	ds_read_b128 v[8:11], v2 offset:128
	ds_read_b128 v[12:15], v2
	s_add_u32 s2, s1, s2
	s_addc_u32 s3, s4, s3
	v_add_u32_e32 v3, s48, v42
	v_lshl_add_u64 v[0:1], s[2:3], 0, v[26:27]
	v_mad_u64_u32 v[16:17], s[2:3], v3, s0, 0
	v_lshl_add_u64 v[16:17], v[16:17], 1, v[0:1]
	s_waitcnt lgkmcnt(0)
	global_store_dwordx4 v[16:17], v[12:15], off
	s_nop 1
	v_add_u32_e32 v12, 4, v3
	v_mad_u64_u32 v[12:13], s[2:3], v12, s0, 0
	v_lshl_add_u64 v[12:13], v[12:13], 1, v[0:1]
	v_add_u32_e32 v3, 8, v3
	global_store_dwordx4 v[12:13], v[8:11], off
	s_nop 1
	v_mad_u64_u32 v[8:9], s[2:3], v3, s0, 0
	v_lshl_add_u64 v[8:9], v[8:9], 1, v[0:1]
	global_store_dwordx4 v[8:9], v[4:7], off
	s_and_b64 exec, exec, s[6:7]
	s_cbranch_execz .LBB840_18
; %bb.17:
	ds_read_b128 v[2:5], v2 offset:384
	v_add3_u32 v6, s48, v42, 12
	v_mad_u64_u32 v[6:7], s[0:1], v6, s0, 0
	v_lshl_add_u64 v[0:1], v[6:7], 1, v[0:1]
	s_waitcnt lgkmcnt(0)
	global_store_dwordx4 v[0:1], v[2:5], off
.LBB840_18:
	s_endpgm
	.section	.rodata,"a",@progbits
	.p2align	6, 0x0
	.amdhsa_kernel _Z39paged_attention_ll4mi_QKV_mfma16_kernelIDF16_hLN4vllm18Fp8KVCacheDataTypeE1EDF16_Li16ELi64ELi256ELb0ELi13EEvPKT_PKT0_S7_ifPKiS9_S9_iPKfiiiPfSC_PS2_PT2_iSB_SB_
		.amdhsa_group_segment_fixed_size 8192
		.amdhsa_private_segment_fixed_size 0
		.amdhsa_kernarg_size 400
		.amdhsa_user_sgpr_count 2
		.amdhsa_user_sgpr_dispatch_ptr 0
		.amdhsa_user_sgpr_queue_ptr 0
		.amdhsa_user_sgpr_kernarg_segment_ptr 1
		.amdhsa_user_sgpr_dispatch_id 0
		.amdhsa_user_sgpr_kernarg_preload_length 0
		.amdhsa_user_sgpr_kernarg_preload_offset 0
		.amdhsa_user_sgpr_private_segment_size 0
		.amdhsa_uses_dynamic_stack 0
		.amdhsa_enable_private_segment 0
		.amdhsa_system_sgpr_workgroup_id_x 1
		.amdhsa_system_sgpr_workgroup_id_y 1
		.amdhsa_system_sgpr_workgroup_id_z 1
		.amdhsa_system_sgpr_workgroup_info 0
		.amdhsa_system_vgpr_workitem_id 0
		.amdhsa_next_free_vgpr 58
		.amdhsa_next_free_sgpr 50
		.amdhsa_accum_offset 60
		.amdhsa_reserve_vcc 1
		.amdhsa_float_round_mode_32 0
		.amdhsa_float_round_mode_16_64 0
		.amdhsa_float_denorm_mode_32 3
		.amdhsa_float_denorm_mode_16_64 3
		.amdhsa_dx10_clamp 1
		.amdhsa_ieee_mode 1
		.amdhsa_fp16_overflow 0
		.amdhsa_tg_split 0
		.amdhsa_exception_fp_ieee_invalid_op 0
		.amdhsa_exception_fp_denorm_src 0
		.amdhsa_exception_fp_ieee_div_zero 0
		.amdhsa_exception_fp_ieee_overflow 0
		.amdhsa_exception_fp_ieee_underflow 0
		.amdhsa_exception_fp_ieee_inexact 0
		.amdhsa_exception_int_div_zero 0
	.end_amdhsa_kernel
	.section	.text._Z39paged_attention_ll4mi_QKV_mfma16_kernelIDF16_hLN4vllm18Fp8KVCacheDataTypeE1EDF16_Li16ELi64ELi256ELb0ELi13EEvPKT_PKT0_S7_ifPKiS9_S9_iPKfiiiPfSC_PS2_PT2_iSB_SB_,"axG",@progbits,_Z39paged_attention_ll4mi_QKV_mfma16_kernelIDF16_hLN4vllm18Fp8KVCacheDataTypeE1EDF16_Li16ELi64ELi256ELb0ELi13EEvPKT_PKT0_S7_ifPKiS9_S9_iPKfiiiPfSC_PS2_PT2_iSB_SB_,comdat
.Lfunc_end840:
	.size	_Z39paged_attention_ll4mi_QKV_mfma16_kernelIDF16_hLN4vllm18Fp8KVCacheDataTypeE1EDF16_Li16ELi64ELi256ELb0ELi13EEvPKT_PKT0_S7_ifPKiS9_S9_iPKfiiiPfSC_PS2_PT2_iSB_SB_, .Lfunc_end840-_Z39paged_attention_ll4mi_QKV_mfma16_kernelIDF16_hLN4vllm18Fp8KVCacheDataTypeE1EDF16_Li16ELi64ELi256ELb0ELi13EEvPKT_PKT0_S7_ifPKiS9_S9_iPKfiiiPfSC_PS2_PT2_iSB_SB_
                                        ; -- End function
	.section	.AMDGPU.csdata,"",@progbits
; Kernel info:
; codeLenInByte = 4644
; NumSgprs: 56
; NumVgprs: 58
; NumAgprs: 0
; TotalNumVgprs: 58
; ScratchSize: 0
; MemoryBound: 0
; FloatMode: 240
; IeeeMode: 1
; LDSByteSize: 8192 bytes/workgroup (compile time only)
; SGPRBlocks: 6
; VGPRBlocks: 7
; NumSGPRsForWavesPerEU: 56
; NumVGPRsForWavesPerEU: 58
; AccumOffset: 60
; Occupancy: 8
; WaveLimiterHint : 1
; COMPUTE_PGM_RSRC2:SCRATCH_EN: 0
; COMPUTE_PGM_RSRC2:USER_SGPR: 2
; COMPUTE_PGM_RSRC2:TRAP_HANDLER: 0
; COMPUTE_PGM_RSRC2:TGID_X_EN: 1
; COMPUTE_PGM_RSRC2:TGID_Y_EN: 1
; COMPUTE_PGM_RSRC2:TGID_Z_EN: 1
; COMPUTE_PGM_RSRC2:TIDIG_COMP_CNT: 0
; COMPUTE_PGM_RSRC3_GFX90A:ACCUM_OFFSET: 14
; COMPUTE_PGM_RSRC3_GFX90A:TG_SPLIT: 0
	.section	.text._Z39paged_attention_ll4mi_QKV_mfma16_kernelIDF16_hLN4vllm18Fp8KVCacheDataTypeE1EDF16_Li16ELi64ELi256ELb0ELi14EEvPKT_PKT0_S7_ifPKiS9_S9_iPKfiiiPfSC_PS2_PT2_iSB_SB_,"axG",@progbits,_Z39paged_attention_ll4mi_QKV_mfma16_kernelIDF16_hLN4vllm18Fp8KVCacheDataTypeE1EDF16_Li16ELi64ELi256ELb0ELi14EEvPKT_PKT0_S7_ifPKiS9_S9_iPKfiiiPfSC_PS2_PT2_iSB_SB_,comdat
	.protected	_Z39paged_attention_ll4mi_QKV_mfma16_kernelIDF16_hLN4vllm18Fp8KVCacheDataTypeE1EDF16_Li16ELi64ELi256ELb0ELi14EEvPKT_PKT0_S7_ifPKiS9_S9_iPKfiiiPfSC_PS2_PT2_iSB_SB_ ; -- Begin function _Z39paged_attention_ll4mi_QKV_mfma16_kernelIDF16_hLN4vllm18Fp8KVCacheDataTypeE1EDF16_Li16ELi64ELi256ELb0ELi14EEvPKT_PKT0_S7_ifPKiS9_S9_iPKfiiiPfSC_PS2_PT2_iSB_SB_
	.globl	_Z39paged_attention_ll4mi_QKV_mfma16_kernelIDF16_hLN4vllm18Fp8KVCacheDataTypeE1EDF16_Li16ELi64ELi256ELb0ELi14EEvPKT_PKT0_S7_ifPKiS9_S9_iPKfiiiPfSC_PS2_PT2_iSB_SB_
	.p2align	8
	.type	_Z39paged_attention_ll4mi_QKV_mfma16_kernelIDF16_hLN4vllm18Fp8KVCacheDataTypeE1EDF16_Li16ELi64ELi256ELb0ELi14EEvPKT_PKT0_S7_ifPKiS9_S9_iPKfiiiPfSC_PS2_PT2_iSB_SB_,@function
_Z39paged_attention_ll4mi_QKV_mfma16_kernelIDF16_hLN4vllm18Fp8KVCacheDataTypeE1EDF16_Li16ELi64ELi256ELb0ELi14EEvPKT_PKT0_S7_ifPKiS9_S9_iPKfiiiPfSC_PS2_PT2_iSB_SB_: ; @_Z39paged_attention_ll4mi_QKV_mfma16_kernelIDF16_hLN4vllm18Fp8KVCacheDataTypeE1EDF16_Li16ELi64ELi256ELb0ELi14EEvPKT_PKT0_S7_ifPKiS9_S9_iPKfiiiPfSC_PS2_PT2_iSB_SB_
; %bb.0:
	s_load_dwordx2 s[12:13], s[0:1], 0x30
	s_mov_b32 s28, s3
	s_mov_b64 s[6:7], 0
	s_waitcnt lgkmcnt(0)
	s_cmp_lg_u64 s[12:13], 0
	s_cselect_b64 s[14:15], -1, 0
	s_and_b64 vcc, exec, s[14:15]
	s_cbranch_vccz .LBB841_7
; %bb.1:
	s_add_i32 s8, s2, 1
	s_mov_b32 s9, 0
	s_lshl_b64 s[10:11], s[8:9], 2
	s_add_u32 s10, s12, s10
	s_mov_b32 s3, s9
	s_addc_u32 s11, s13, s11
	s_lshl_b64 s[8:9], s[2:3], 2
	s_add_u32 s8, s12, s8
	s_addc_u32 s9, s13, s9
	s_load_dword s5, s[10:11], 0x0
	s_load_dword s16, s[8:9], 0x0
	s_waitcnt lgkmcnt(0)
	s_sub_i32 s5, s5, s16
	s_cmp_eq_u32 s5, 1
	s_cselect_b64 s[8:9], -1, 0
	s_andn2_b64 vcc, exec, s[6:7]
	s_cbranch_vccnz .LBB841_3
.LBB841_2:
	s_mov_b32 s3, 0
	s_mov_b64 s[8:9], -1
.LBB841_3:
	s_andn2_b64 vcc, exec, s[8:9]
	s_cbranch_vccnz .LBB841_18
; %bb.4:
	s_load_dwordx2 s[6:7], s[0:1], 0x28
	s_lshl_b64 s[16:17], s[2:3], 2
	s_waitcnt lgkmcnt(0)
	s_add_u32 s6, s6, s16
	s_addc_u32 s7, s7, s17
	s_load_dword s33, s[6:7], 0x0
	s_lshl_b32 s5, s28, 8
	s_waitcnt lgkmcnt(0)
	s_cmp_ge_i32 s5, s33
	s_cbranch_scc1 .LBB841_18
; %bb.5:
	s_load_dwordx2 s[6:7], s[0:1], 0x20
	s_load_dword s8, s[0:1], 0x38
	s_add_i32 s9, s33, 15
	s_ashr_i32 s10, s9, 31
	v_and_b32_e32 v1, 0xcf, v0
	s_lshr_b32 s10, s10, 28
	v_add_u32_e32 v1, s5, v1
	s_add_i32 s9, s9, s10
	v_ashrrev_i32_e32 v2, 31, v1
	s_ashr_i32 s18, s9, 4
	v_lshrrev_b32_e32 v4, 28, v2
	s_add_i32 s18, s18, -1
	s_waitcnt lgkmcnt(0)
	s_mul_i32 s8, s2, s8
	s_mov_b32 s9, 0
	v_add_u32_e32 v2, v1, v4
	s_lshl_b64 s[8:9], s[8:9], 2
	v_ashrrev_i32_e32 v2, 4, v2
	v_mov_b32_e32 v5, s18
	v_cmp_gt_i32_e32 vcc, s33, v1
	s_add_u32 s6, s6, s8
	s_addc_u32 s7, s7, s9
	v_cndmask_b32_e32 v2, v5, v2, vcc
	v_ashrrev_i32_e32 v3, 31, v2
	v_lshl_add_u64 v[6:7], v[2:3], 2, s[6:7]
	v_or_b32_e32 v2, 16, v1
	v_add_u32_e32 v3, v2, v4
	v_ashrrev_i32_e32 v3, 4, v3
	v_cmp_gt_i32_e32 vcc, s33, v2
	s_load_dwordx4 s[8:11], s[0:1], 0x8
	s_nop 0
	v_cndmask_b32_e32 v2, v5, v3, vcc
	v_ashrrev_i32_e32 v3, 31, v2
	v_lshl_add_u64 v[8:9], v[2:3], 2, s[6:7]
	v_or_b32_e32 v2, 32, v1
	v_add_u32_e32 v3, v2, v4
	v_ashrrev_i32_e32 v3, 4, v3
	v_cmp_gt_i32_e32 vcc, s33, v2
	v_or_b32_e32 v1, 48, v1
	s_nop 0
	v_cndmask_b32_e32 v2, v5, v3, vcc
	v_ashrrev_i32_e32 v3, 31, v2
	v_lshl_add_u64 v[10:11], v[2:3], 2, s[6:7]
	v_add_u32_e32 v2, v1, v4
	v_ashrrev_i32_e32 v2, 4, v2
	v_cmp_gt_i32_e32 vcc, s33, v1
	s_nop 1
	v_cndmask_b32_e32 v2, v5, v2, vcc
	v_ashrrev_i32_e32 v3, 31, v2
	v_lshl_add_u64 v[12:13], v[2:3], 2, s[6:7]
	global_load_dword v4, v[6:7], off
	global_load_dword v3, v[8:9], off
	;; [unrolled: 1-line block ×4, first 2 shown]
	s_andn2_b64 vcc, exec, s[14:15]
	s_cbranch_vccnz .LBB841_8
; %bb.6:
	s_add_u32 s12, s12, s16
	s_addc_u32 s13, s13, s17
	s_load_dword s14, s[12:13], 0x0
	s_branch .LBB841_9
.LBB841_7:
	s_mov_b64 s[8:9], 0
	s_branch .LBB841_2
.LBB841_8:
	s_mov_b32 s14, s2
.LBB841_9:
	s_load_dwordx4 s[44:47], s[0:1], 0x48
	v_lshrrev_b32_e32 v29, 6, v0
	v_bfe_u32 v42, v0, 4, 2
	v_lshl_or_b32 v5, v29, 2, v42
	v_and_b32_e32 v28, 15, v0
	v_lshlrev_b32_e32 v1, 3, v28
	v_cmp_gt_u32_e32 vcc, 14, v5
	v_cmp_gt_u32_e64 s[30:31], 8, v28
	v_and_b32_e32 v43, 63, v0
	s_mul_i32 s48, s4, 14
	s_and_b64 s[16:17], s[30:31], vcc
	v_lshlrev_b32_e32 v26, 1, v1
	v_lshlrev_b32_e32 v1, 4, v0
	s_and_saveexec_b64 s[12:13], s[16:17]
	s_cbranch_execz .LBB841_11
; %bb.10:
	s_load_dwordx2 s[16:17], s[0:1], 0x0
	s_waitcnt lgkmcnt(0)
	s_ashr_i32 s15, s44, 31
	s_mul_hi_u32 s19, s14, s44
	s_mul_i32 s15, s14, s15
	s_add_i32 s15, s19, s15
	s_mul_i32 s14, s14, s44
	s_lshl_b64 s[14:15], s[14:15], 1
	s_add_u32 s14, s16, s14
	v_add_lshl_u32 v6, v5, s48, 6
	s_addc_u32 s15, s17, s15
	v_ashrrev_i32_e32 v7, 31, v6
	v_lshl_add_u64 v[6:7], v[6:7], 1, s[14:15]
	v_mov_b32_e32 v27, 0
	v_lshl_add_u64 v[6:7], v[6:7], 0, v[26:27]
	global_load_dwordx4 v[6:9], v[6:7], off
	v_lshlrev_b32_e32 v11, 8, v28
	v_lshlrev_b32_e32 v5, 5, v5
	v_and_b32_e32 v10, 16, v1
	v_and_b32_e32 v11, 0xe00, v11
	v_or3_b32 v5, v11, v5, v10
	s_waitcnt vmcnt(0)
	ds_write_b128 v5, v[6:9]
.LBB841_11:
	s_or_b64 exec, exec, s[12:13]
	s_waitcnt lgkmcnt(0)
	s_mul_i32 s4, s4, s46
	s_add_u32 s8, s8, s4
	s_addc_u32 s9, s9, 0
	v_and_b32_e32 v8, 48, v0
	v_and_b32_e32 v30, 0xf0, v1
	v_mov_b32_e32 v31, 0
	v_lshl_add_u64 v[6:7], s[8:9], 0, v[30:31]
	v_lshlrev_b32_e32 v30, 4, v8
	v_lshl_add_u64 v[16:17], v[6:7], 0, v[30:31]
	s_waitcnt vmcnt(3)
	v_mad_i64_i32 v[4:5], s[8:9], v4, s45, v[16:17]
	s_load_dword s29, s[0:1], 0x98
	s_load_dwordx4 s[40:43], s[0:1], 0x80
	s_waitcnt lgkmcnt(0)
	s_barrier
	global_load_dwordx4 v[22:25], v[4:5], off
	s_waitcnt vmcnt(3)
	v_mad_i64_i32 v[4:5], s[8:9], v3, s45, v[16:17]
	global_load_dwordx4 v[18:21], v[4:5], off
	v_or_b32_e32 v10, s5, v8
	v_mov_b32_e32 v27, s18
	v_ashrrev_i32_e32 v3, 4, v10
	v_cmp_gt_i32_e32 vcc, s33, v10
	v_or_b32_e32 v15, 64, v10
	v_ashrrev_i32_e32 v32, 4, v15
	v_cndmask_b32_e32 v4, v27, v3, vcc
	s_waitcnt vmcnt(3)
	v_mad_i64_i32 v[2:3], s[8:9], v2, s45, v[16:17]
	global_load_dwordx4 v[6:9], v[2:3], off
	v_ashrrev_i32_e32 v5, 31, v4
	v_lshl_add_u64 v[4:5], v[4:5], 2, s[6:7]
	global_load_dword v56, v[4:5], off
	v_add_u32_e32 v4, -14, v28
	v_cmp_gt_u32_e32 vcc, 14, v28
	v_or_b32_e32 v33, 0x80, v10
	v_or_b32_e32 v35, 0xc0, v10
	v_cndmask_b32_e32 v2, v4, v28, vcc
	v_lshlrev_b32_e32 v2, 5, v2
	v_lshl_add_u32 v2, v42, 9, v2
	v_cmp_gt_i32_e32 vcc, s33, v15
	s_waitcnt vmcnt(4)
	v_mad_i64_i32 v[14:15], s[12:13], v14, s45, v[16:17]
	ds_read_b128 v[10:13], v2
	ds_read_b128 v[2:5], v2 offset:16
	global_load_dwordx4 v[14:17], v[14:15], off
	v_ashrrev_i32_e32 v34, 4, v33
	v_cndmask_b32_e32 v32, v27, v32, vcc
	v_cmp_gt_i32_e32 vcc, s33, v33
	v_ashrrev_i32_e32 v36, 4, v35
	v_ashrrev_i32_e32 v33, 31, v32
	v_cndmask_b32_e32 v34, v27, v34, vcc
	v_cmp_gt_i32_e32 vcc, s33, v35
	v_ashrrev_i32_e32 v35, 31, v34
	v_lshl_add_u64 v[32:33], v[32:33], 2, s[6:7]
	v_cndmask_b32_e32 v36, v27, v36, vcc
	v_ashrrev_i32_e32 v37, 31, v36
	v_lshl_add_u64 v[36:37], v[36:37], 2, s[6:7]
	s_add_u32 s8, s10, s4
	s_load_dword s4, s[40:41], 0x0
	v_lshl_add_u64 v[38:39], v[34:35], 2, s[6:7]
	global_load_dword v35, v[32:33], off
	global_load_dword v27, v[38:39], off
	global_load_dword v34, v[36:37], off
	s_load_dword s14, s[0:1], 0x1c
	s_mov_b32 s44, 0xff7fffff
	v_lshlrev_b32_e32 v30, 4, v28
	s_addc_u32 s9, s11, 0
	v_lshl_or_b32 v30, v29, 8, v30
	s_waitcnt lgkmcnt(0)
	v_mov_b32_e32 v57, s14
	v_lshl_add_u64 v[30:31], s[8:9], 0, v[30:31]
	s_waitcnt vmcnt(7)
	v_cvt_pk_f32_fp8_e32 v[32:33], v22
	v_cvt_pk_f32_fp8_sdwa v[36:37], v22 src0_sel:WORD_1
	v_cvt_pk_f32_fp8_e32 v[38:39], v23
	v_cvt_pk_f32_fp8_sdwa v[40:41], v23 src0_sel:WORD_1
	v_cvt_pkrtz_f16_f32 v32, v32, v33
	v_cvt_pkrtz_f16_f32 v33, v36, v37
	s_waitcnt vmcnt(6)
	v_cvt_pk_f32_fp8_e32 v[22:23], v18
	v_cvt_pk_f32_fp8_sdwa v[50:51], v18 src0_sel:WORD_1
	v_cvt_pk_f32_fp8_e32 v[44:45], v24
	v_cvt_pk_f32_fp8_sdwa v[46:47], v24 src0_sel:WORD_1
	;; [unrolled: 2-line block ×3, first 2 shown]
	v_cvt_pkrtz_f16_f32 v36, v22, v23
	v_mfma_f32_16x16x16_f16 v[22:25], v[32:33], v[10:11], 0
	v_cvt_pkrtz_f16_f32 v32, v38, v39
	v_cvt_pkrtz_f16_f32 v33, v40, v41
	v_cvt_pk_f32_fp8_e32 v[54:55], v19
	v_cvt_pkrtz_f16_f32 v37, v50, v51
	v_cvt_pk_f32_fp8_sdwa v[18:19], v19 src0_sel:WORD_1
	v_mfma_f32_16x16x16_f16 v[22:25], v[32:33], v[12:13], v[22:25]
	v_cvt_pkrtz_f16_f32 v50, v54, v55
	v_cvt_pkrtz_f16_f32 v51, v18, v19
	;; [unrolled: 1-line block ×4, first 2 shown]
	v_mfma_f32_16x16x16_f16 v[36:39], v[36:37], v[10:11], 0
	v_cvt_pk_f32_fp8_e32 v[40:41], v20
	v_cvt_pk_f32_fp8_sdwa v[18:19], v20 src0_sel:WORD_1
	v_cvt_pkrtz_f16_f32 v44, v48, v49
	v_mfma_f32_16x16x16_f16 v[36:39], v[50:51], v[12:13], v[36:39]
	v_cvt_pk_f32_fp8_e32 v[50:51], v21
	v_cvt_pkrtz_f16_f32 v45, v52, v53
	v_cvt_pkrtz_f16_f32 v40, v40, v41
	v_mfma_f32_16x16x16_f16 v[22:25], v[32:33], v[2:3], v[22:25]
	v_cvt_pk_f32_fp8_sdwa v[32:33], v21 src0_sel:WORD_1
	v_cvt_pkrtz_f16_f32 v41, v18, v19
	v_cvt_pkrtz_f16_f32 v18, v50, v51
	v_mfma_f32_16x16x16_f16 v[44:47], v[44:45], v[4:5], v[22:25]
	v_cvt_pkrtz_f16_f32 v19, v32, v33
	s_waitcnt vmcnt(5)
	v_cvt_pk_f32_fp8_e32 v[32:33], v6
	v_cvt_pk_f32_fp8_sdwa v[48:49], v9 src0_sel:WORD_1
	v_mfma_f32_16x16x16_f16 v[22:25], v[40:41], v[2:3], v[36:39]
	v_mul_f32_e32 v50, s4, v57
	s_waitcnt vmcnt(4)
	v_mad_i64_i32 v[20:21], s[6:7], v56, s45, v[30:31]
	v_cvt_pk_f32_fp8_sdwa v[36:37], v6 src0_sel:WORD_1
	v_mfma_f32_16x16x16_f16 v[38:41], v[18:19], v[4:5], v[22:25]
	v_cvt_pk_f32_fp8_e32 v[18:19], v7
	v_cvt_pk_f32_fp8_sdwa v[6:7], v7 src0_sel:WORD_1
	v_cvt_pkrtz_f16_f32 v18, v18, v19
	v_cvt_pkrtz_f16_f32 v22, v32, v33
	;; [unrolled: 1-line block ×3, first 2 shown]
	v_cvt_pk_f32_fp8_e32 v[32:33], v8
	v_cvt_pk_f32_fp8_sdwa v[36:37], v8 src0_sel:WORD_1
	v_cvt_pkrtz_f16_f32 v19, v6, v7
	v_mfma_f32_16x16x16_f16 v[22:25], v[22:23], v[10:11], 0
	v_cvt_pkrtz_f16_f32 v32, v32, v33
	v_cvt_pkrtz_f16_f32 v33, v36, v37
	v_cvt_pk_f32_fp8_e32 v[36:37], v9
	v_mfma_f32_16x16x16_f16 v[6:9], v[18:19], v[12:13], v[22:25]
	v_cvt_pkrtz_f16_f32 v19, v48, v49
	v_cvt_pkrtz_f16_f32 v18, v36, v37
	s_nop 0
	v_pk_mul_f32 v[22:23], v[50:51], v[46:47] op_sel_hi:[0,1]
	v_mfma_f32_16x16x16_f16 v[46:49], v[32:33], v[2:3], v[6:9]
	s_waitcnt vmcnt(3)
	v_cvt_pk_f32_fp8_sdwa v[24:25], v14 src0_sel:WORD_1
	v_cvt_pk_f32_fp8_sdwa v[32:33], v16 src0_sel:WORD_1
	v_pk_mul_f32 v[36:37], v[50:51], v[40:41] op_sel_hi:[0,1]
	v_cvt_pk_f32_fp8_e32 v[8:9], v14
	v_pk_mul_f32 v[6:7], v[50:51], v[44:45] op_sel_hi:[0,1]
	v_mfma_f32_16x16x16_f16 v[44:47], v[18:19], v[4:5], v[46:49]
	v_cvt_pk_f32_fp8_e32 v[18:19], v15
	v_cvt_pkrtz_f16_f32 v8, v8, v9
	v_cvt_pkrtz_f16_f32 v9, v24, v25
	v_cvt_pk_f32_fp8_sdwa v[14:15], v15 src0_sel:WORD_1
	v_cvt_pkrtz_f16_f32 v18, v18, v19
	v_cvt_pk_f32_fp8_e32 v[24:25], v16
	v_mfma_f32_16x16x16_f16 v[8:11], v[8:9], v[10:11], 0
	v_cvt_pkrtz_f16_f32 v19, v14, v15
	v_cvt_pkrtz_f16_f32 v14, v24, v25
	;; [unrolled: 1-line block ×3, first 2 shown]
	v_cvt_pk_f32_fp8_e32 v[24:25], v17
	v_cvt_pk_f32_fp8_sdwa v[16:17], v17 src0_sel:WORD_1
	v_mfma_f32_16x16x16_f16 v[8:11], v[18:19], v[12:13], v[8:11]
	v_pk_mul_f32 v[40:41], v[50:51], v[38:39] op_sel_hi:[0,1]
	v_cvt_pkrtz_f16_f32 v12, v24, v25
	v_cvt_pkrtz_f16_f32 v13, v16, v17
	v_mfma_f32_16x16x16_f16 v[8:11], v[14:15], v[2:3], v[8:11]
	v_pk_mul_f32 v[38:39], v[50:51], v[44:45] op_sel_hi:[0,1]
	v_pk_mul_f32 v[32:33], v[50:51], v[46:47] op_sel_hi:[0,1]
	v_mfma_f32_16x16x16_f16 v[2:5], v[12:13], v[4:5], v[8:11]
	s_nop 6
	v_pk_mul_f32 v[24:25], v[50:51], v[2:3] op_sel_hi:[0,1]
	v_and_b32_e32 v2, 0xc0, v0
	v_add_u32_e32 v2, s5, v2
	v_lshl_or_b32 v2, v42, 2, v2
	v_pk_mul_f32 v[18:19], v[50:51], v[4:5] op_sel_hi:[0,1]
	v_or_b32_e32 v5, 1, v2
	v_mov_b32_e32 v3, 0xff7fffff
	v_cmp_gt_i32_e64 s[4:5], s33, v2
	v_cmp_gt_i32_e64 s[34:35], s33, v5
	v_or_b32_e32 v8, 3, v2
	v_cndmask_b32_e64 v4, v3, v6, s[4:5]
	v_cndmask_b32_e64 v5, v3, v7, s[34:35]
	v_max3_f32 v4, v4, s44, v5
	v_or_b32_e32 v5, 2, v2
	v_cmp_gt_i32_e64 s[36:37], s33, v5
	v_cmp_gt_i32_e64 s[38:39], s33, v8
	s_nop 0
	v_cndmask_b32_e64 v5, v3, v22, s[36:37]
	v_cndmask_b32_e64 v8, v3, v23, s[38:39]
	v_max3_f32 v4, v4, v5, v8
	v_or_b32_e32 v5, 16, v2
	v_or_b32_e32 v8, 17, v2
	v_cmp_gt_i32_e64 s[24:25], s33, v5
	v_cmp_gt_i32_e64 s[26:27], s33, v8
	s_nop 0
	v_cndmask_b32_e64 v5, v3, v40, s[24:25]
	v_cndmask_b32_e64 v8, v3, v41, s[26:27]
	v_max3_f32 v4, v4, v5, v8
	v_or_b32_e32 v5, 18, v2
	;; [unrolled: 8-line block ×6, first 2 shown]
	v_or_b32_e32 v2, 51, v2
	v_cmp_gt_i32_e32 vcc, s33, v5
	v_cmp_gt_i32_e64 s[6:7], s33, v2
	s_nop 0
	v_cndmask_b32_e32 v5, v3, v18, vcc
	v_cndmask_b32_e64 v2, v3, v19, s[6:7]
	v_max3_f32 v4, v4, v5, v2
	v_mbcnt_lo_u32_b32 v2, -1, 0
	v_mbcnt_hi_u32_b32 v5, -1, v2
	v_and_b32_e32 v2, 64, v5
	v_add_u32_e32 v8, 64, v2
	v_xor_b32_e32 v2, 32, v5
	v_cmp_lt_i32_e64 s[40:41], v2, v8
	s_nop 1
	v_cndmask_b32_e64 v2, v5, v2, s[40:41]
	v_lshlrev_b32_e32 v44, 2, v2
	ds_bpermute_b32 v9, v44, v4
	s_waitcnt vmcnt(2)
	v_mad_i64_i32 v[2:3], s[40:41], v35, s45, v[30:31]
	global_load_dwordx4 v[14:17], v[20:21], off
	global_load_dwordx4 v[10:13], v[2:3], off
	v_xor_b32_e32 v3, 16, v5
	v_cmp_lt_i32_e64 s[40:41], v3, v8
	s_waitcnt lgkmcnt(0)
	v_max_f32_e32 v2, v9, v9
	v_max_f32_e32 v2, v4, v2
	v_cndmask_b32_e64 v3, v5, v3, s[40:41]
	v_lshlrev_b32_e32 v45, 2, v3
	ds_bpermute_b32 v3, v45, v2
	s_waitcnt vmcnt(3)
	v_mad_i64_i32 v[20:21], s[40:41], v27, s45, v[30:31]
	s_waitcnt vmcnt(2)
	v_mad_i64_i32 v[30:31], s[40:41], v34, s45, v[30:31]
	s_waitcnt lgkmcnt(0)
	v_max_f32_e32 v3, v3, v3
	v_max_f32_e32 v27, v2, v3
	v_sub_f32_e32 v2, v6, v27
	v_mul_f32_e32 v2, 0x3fb8aa3b, v2
	v_exp_f32_e32 v34, v2
	v_sub_f32_e32 v2, v7, v27
	v_mul_f32_e32 v2, 0x3fb8aa3b, v2
	v_exp_f32_e32 v35, v2
	global_load_dwordx4 v[6:9], v[20:21], off
	global_load_dwordx4 v[2:5], v[30:31], off
	v_sub_f32_e32 v22, v22, v27
	v_mul_f32_e32 v22, 0x3fb8aa3b, v22
	v_sub_f32_e32 v23, v23, v27
	v_exp_f32_e32 v22, v22
	v_mul_f32_e32 v23, 0x3fb8aa3b, v23
	v_exp_f32_e32 v23, v23
	v_cndmask_b32_e64 v20, 0, v34, s[4:5]
	v_add_f32_e32 v30, 0, v20
	v_cndmask_b32_e64 v21, 0, v35, s[34:35]
	v_add_f32_e32 v30, v30, v21
	;; [unrolled: 2-line block ×3, first 2 shown]
	v_cndmask_b32_e64 v35, 0, v23, s[38:39]
	v_sub_f32_e32 v23, v40, v27
	v_sub_f32_e32 v30, v41, v27
	v_mul_f32_e32 v23, 0x3fb8aa3b, v23
	v_mul_f32_e32 v30, 0x3fb8aa3b, v30
	v_exp_f32_e32 v23, v23
	v_exp_f32_e32 v30, v30
	v_add_f32_e32 v31, v22, v35
	v_sub_f32_e32 v32, v32, v27
	v_cndmask_b32_e64 v22, 0, v23, s[24:25]
	v_cndmask_b32_e64 v23, 0, v30, s[26:27]
	v_sub_f32_e32 v30, v36, v27
	v_mul_f32_e32 v30, 0x3fb8aa3b, v30
	v_exp_f32_e32 v30, v30
	v_sub_f32_e32 v36, v37, v27
	v_add_f32_e32 v31, v31, v22
	v_mul_f32_e32 v36, 0x3fb8aa3b, v36
	v_exp_f32_e32 v37, v36
	v_add_f32_e32 v31, v31, v23
	v_cndmask_b32_e64 v36, 0, v30, s[20:21]
	v_add_f32_e32 v30, v31, v36
	v_sub_f32_e32 v31, v38, v27
	v_mul_f32_e32 v31, 0x3fb8aa3b, v31
	v_sub_f32_e32 v38, v39, v27
	v_exp_f32_e32 v31, v31
	v_mul_f32_e32 v38, 0x3fb8aa3b, v38
	v_exp_f32_e32 v38, v38
	v_mul_f32_e32 v32, 0x3fb8aa3b, v32
	v_sub_f32_e32 v33, v33, v27
	v_exp_f32_e32 v32, v32
	v_mul_f32_e32 v33, 0x3fb8aa3b, v33
	v_sub_f32_e32 v24, v24, v27
	v_cndmask_b32_e64 v37, 0, v37, s[22:23]
	v_exp_f32_e32 v33, v33
	v_mul_f32_e32 v24, 0x3fb8aa3b, v24
	v_sub_f32_e32 v25, v25, v27
	v_add_f32_e32 v39, v30, v37
	v_cndmask_b32_e64 v30, 0, v31, s[16:17]
	v_exp_f32_e32 v24, v24
	v_mul_f32_e32 v25, 0x3fb8aa3b, v25
	v_sub_f32_e32 v18, v18, v27
	v_add_f32_e32 v39, v39, v30
	;; [unrolled: 5-line block ×3, first 2 shown]
	v_cndmask_b32_e64 v32, 0, v32, s[12:13]
	v_exp_f32_e32 v18, v18
	v_mul_f32_e32 v19, 0x3fb8aa3b, v19
	v_add_f32_e32 v38, v38, v32
	v_cndmask_b32_e64 v33, 0, v33, s[14:15]
	v_exp_f32_e32 v19, v19
	v_add_f32_e32 v38, v38, v33
	v_cndmask_b32_e64 v24, 0, v24, s[8:9]
	v_add_f32_e32 v38, v38, v24
	v_cndmask_b32_e64 v25, 0, v25, s[10:11]
	v_add_f32_e32 v38, v38, v25
	v_cndmask_b32_e32 v18, 0, v18, vcc
	v_add_f32_e32 v38, v38, v18
	v_cndmask_b32_e64 v19, 0, v19, s[6:7]
	v_add_f32_e32 v38, v38, v19
	ds_bpermute_b32 v39, v44, v38
	v_cmp_gt_u32_e32 vcc, 16, v43
	s_waitcnt lgkmcnt(0)
	s_barrier
	v_add_f32_e32 v39, v38, v39
	ds_bpermute_b32 v40, v45, v39
	v_lshlrev_b32_e32 v38, 2, v28
	s_and_saveexec_b64 s[4:5], vcc
	s_cbranch_execz .LBB841_13
; %bb.12:
	s_waitcnt lgkmcnt(0)
	v_add_f32_e32 v39, v39, v40
	v_lshl_or_b32 v40, v29, 6, v38
	ds_write2st64_b32 v40, v27, v39 offset1:1
.LBB841_13:
	s_or_b64 exec, exec, s[4:5]
	s_load_dword s6, s[0:1], 0x94
	s_waitcnt lgkmcnt(0)
	s_barrier
	ds_read2_b32 v[40:41], v38 offset1:16
	ds_read2_b32 v[44:45], v38 offset0:32 offset1:48
	ds_read2_b32 v[46:47], v38 offset0:64 offset1:80
	s_mul_i32 s7, s29, 14
	s_waitcnt lgkmcnt(2)
	v_max3_f32 v27, v40, s44, v41
	s_waitcnt lgkmcnt(1)
	v_max3_f32 v27, v27, v44, v45
	v_sub_f32_e32 v39, v40, v27
	v_sub_f32_e32 v40, v41, v27
	v_mul_f32_e32 v40, 0x3fb8aa3b, v40
	v_mul_f32_e32 v39, 0x3fb8aa3b, v39
	v_exp_f32_e32 v43, v40
	v_sub_f32_e32 v40, v44, v27
	v_exp_f32_e32 v39, v39
	v_mul_f32_e32 v40, 0x3fb8aa3b, v40
	v_exp_f32_e32 v44, v40
	ds_read2_b32 v[40:41], v38 offset0:96 offset1:112
	v_sub_f32_e32 v38, v45, v27
	v_mul_f32_e32 v38, 0x3fb8aa3b, v38
	v_exp_f32_e32 v45, v38
	s_waitcnt lgkmcnt(1)
	v_fma_f32 v38, v39, v46, 0
	v_fmac_f32_e32 v38, v43, v47
	s_waitcnt lgkmcnt(0)
	v_fmac_f32_e32 v38, v44, v40
	v_fmac_f32_e32 v38, v45, v41
	v_add_f32_e32 v40, 0x358637bd, v38
	v_div_scale_f32 v41, s[4:5], v40, v40, 1.0
	v_rcp_f32_e32 v46, v41
	s_barrier
	v_fma_f32 v47, -v41, v46, 1.0
	v_fmac_f32_e32 v46, v47, v46
	v_div_scale_f32 v47, vcc, 1.0, v40, 1.0
	v_mul_f32_e32 v48, v47, v46
	v_fma_f32 v49, -v41, v48, v47
	v_fmac_f32_e32 v48, v49, v46
	v_fma_f32 v41, -v41, v48, v47
	v_div_fmas_f32 v41, v41, v46, v48
	v_cmp_eq_u32_e32 vcc, 1, v29
	v_div_fixup_f32 v40, v41, v40, 1.0
	s_nop 0
	v_cndmask_b32_e32 v39, v39, v43, vcc
	v_cmp_eq_u32_e32 vcc, 2, v29
	s_nop 1
	v_cndmask_b32_e32 v39, v39, v44, vcc
	v_cmp_eq_u32_e32 vcc, 3, v29
	v_lshlrev_b32_e32 v29, 11, v29
	s_nop 0
	v_cndmask_b32_e32 v39, v39, v45, vcc
	v_mul_f32_e32 v40, v39, v40
	v_pk_mul_f32 v[20:21], v[40:41], v[20:21] op_sel_hi:[0,1]
	v_pk_mul_f32 v[34:35], v[40:41], v[34:35] op_sel_hi:[0,1]
	v_cvt_f16_f32_e32 v20, v20
	v_cvt_f16_f32_e32 v21, v21
	v_pk_mul_f32 v[36:37], v[40:41], v[36:37] op_sel_hi:[0,1]
	v_pk_mul_f32 v[22:23], v[40:41], v[22:23] op_sel_hi:[0,1]
	v_cvt_f16_f32_e32 v39, v34
	v_cvt_f16_f32_e32 v35, v35
	;; [unrolled: 1-line block ×6, first 2 shown]
	v_pack_b32_f16 v34, v20, v21
	v_lshlrev_b32_e32 v20, 3, v42
	v_lshlrev_b32_e32 v21, 5, v28
	v_pack_b32_f16 v35, v39, v35
	v_or3_b32 v20, v29, v21, v20
	v_pack_b32_f16 v22, v22, v23
	v_pack_b32_f16 v23, v36, v37
	ds_write2st64_b64 v20, v[34:35], v[22:23] offset1:1
	v_pk_mul_f32 v[22:23], v[40:41], v[32:33] op_sel_hi:[0,1]
	v_pk_mul_f32 v[30:31], v[40:41], v[30:31] op_sel_hi:[0,1]
	v_cvt_f16_f32_e32 v29, v30
	v_cvt_f16_f32_e32 v30, v31
	;; [unrolled: 1-line block ×4, first 2 shown]
	v_pk_mul_f32 v[18:19], v[40:41], v[18:19] op_sel_hi:[0,1]
	v_pk_mul_f32 v[22:23], v[40:41], v[24:25] op_sel_hi:[0,1]
	v_cvt_f16_f32_e32 v22, v22
	v_cvt_f16_f32_e32 v23, v23
	;; [unrolled: 1-line block ×4, first 2 shown]
	v_pack_b32_f16 v18, v29, v30
	v_pack_b32_f16 v19, v31, v32
	;; [unrolled: 1-line block ×4, first 2 shown]
	v_cmp_gt_u32_e32 vcc, 14, v0
	ds_write2st64_b64 v20, v[18:19], v[22:23] offset0:2 offset1:3
	s_and_saveexec_b64 s[4:5], vcc
	s_cbranch_execz .LBB841_15
; %bb.14:
	s_mov_b32 s49, 0
	v_mov_b32_e32 v29, 0
	v_lshl_add_u64 v[18:19], s[48:49], 0, v[28:29]
	v_mov_b32_e32 v22, s7
	v_mad_u64_u32 v[18:19], s[12:13], s2, v22, v[18:19]
	s_mul_i32 s3, s3, s7
	v_mov_b32_e32 v28, s28
	s_load_dwordx4 s[8:11], s[0:1], 0x58
	v_add_u32_e32 v23, s3, v19
	v_mad_u64_u32 v[18:19], s[12:13], v18, s6, v[28:29]
	v_mov_b32_e32 v22, v19
	v_mad_u64_u32 v[22:23], s[12:13], v23, s6, v[22:23]
	v_mov_b32_e32 v19, v22
	v_lshlrev_b64 v[18:19], 2, v[18:19]
	s_waitcnt lgkmcnt(0)
	v_lshl_add_u64 v[22:23], s[10:11], 0, v[18:19]
	v_lshl_add_u64 v[18:19], s[8:9], 0, v[18:19]
	global_store_dword v[22:23], v27, off
	global_store_dword v[18:19], v38, off
.LBB841_15:
	s_or_b64 exec, exec, s[4:5]
	s_waitcnt vmcnt(3)
	v_cvt_pk_f32_fp8_e32 v[18:19], v14
	v_cvt_pk_f32_fp8_sdwa v[22:23], v14 src0_sel:WORD_1
	v_cvt_pk_f32_fp8_e32 v[24:25], v15
	v_lshl_or_b32 v14, v42, 9, v21
	s_waitcnt lgkmcnt(0)
	s_barrier
	v_cvt_pkrtz_f16_f32 v18, v18, v19
	v_cvt_pkrtz_f16_f32 v19, v22, v23
	v_cvt_pk_f32_fp8_sdwa v[28:29], v15 src0_sel:WORD_1
	v_cvt_pkrtz_f16_f32 v36, v24, v25
	ds_read_b128 v[22:25], v14
	v_cvt_pk_f32_fp8_e32 v[38:39], v16
	v_cvt_pkrtz_f16_f32 v37, v28, v29
	ds_read_b128 v[28:31], v14 offset:16
	v_cvt_pk_f32_fp8_sdwa v[40:41], v16 src0_sel:WORD_1
	s_waitcnt lgkmcnt(1)
	v_mfma_f32_16x16x16_f16 v[32:35], v[18:19], v[22:23], 0
	v_cvt_pkrtz_f16_f32 v18, v38, v39
	v_cvt_pk_f32_fp8_e32 v[38:39], v17
	v_cvt_pkrtz_f16_f32 v19, v40, v41
	v_mfma_f32_16x16x16_f16 v[22:25], v[36:37], v[24:25], v[32:35]
	s_waitcnt vmcnt(2)
	v_cvt_pk_f32_fp8_sdwa v[36:37], v12 src0_sel:WORD_1
	s_load_dword s4, s[42:43], 0x0
	v_cmp_gt_u32_e32 vcc, 64, v0
	v_cvt_pk_f32_fp8_sdwa v[32:33], v17 src0_sel:WORD_1
	v_cvt_pkrtz_f16_f32 v34, v38, v39
	s_waitcnt lgkmcnt(0)
	v_mfma_f32_16x16x16_f16 v[16:19], v[18:19], v[28:29], v[22:25]
	v_cvt_pk_f32_fp8_e32 v[28:29], v11
	v_cvt_pkrtz_f16_f32 v35, v32, v33
	s_mov_b32 s3, 0
	v_cvt_pk_f32_fp8_e32 v[22:23], v10
	v_cvt_pk_f32_fp8_sdwa v[24:25], v10 src0_sel:WORD_1
	v_mfma_f32_16x16x16_f16 v[16:19], v[34:35], v[30:31], v[16:19]
	v_cvt_pkrtz_f16_f32 v10, v22, v23
	v_cvt_pk_f32_fp8_sdwa v[30:31], v11 src0_sel:WORD_1
	v_cvt_pkrtz_f16_f32 v11, v24, v25
	ds_read_b128 v[22:25], v14 offset:2048
	v_cvt_pkrtz_f16_f32 v32, v28, v29
	v_cvt_pkrtz_f16_f32 v33, v30, v31
	ds_read_b128 v[28:31], v14 offset:2064
	v_cvt_pk_f32_fp8_e32 v[34:35], v12
	s_waitcnt lgkmcnt(1)
	v_mfma_f32_16x16x16_f16 v[16:19], v[10:11], v[22:23], v[16:19]
	v_cvt_pkrtz_f16_f32 v11, v36, v37
	v_cvt_pk_f32_fp8_e32 v[22:23], v13
	v_cvt_pkrtz_f16_f32 v10, v34, v35
	v_mfma_f32_16x16x16_f16 v[16:19], v[32:33], v[24:25], v[16:19]
	v_cvt_pk_f32_fp8_sdwa v[24:25], v13 src0_sel:WORD_1
	v_cvt_pkrtz_f16_f32 v22, v22, v23
	s_waitcnt vmcnt(1)
	v_cvt_pk_f32_fp8_sdwa v[32:33], v8 src0_sel:WORD_1
	s_waitcnt lgkmcnt(0)
	v_mfma_f32_16x16x16_f16 v[10:13], v[10:11], v[28:29], v[16:19]
	v_cvt_pkrtz_f16_f32 v23, v24, v25
	v_cvt_pk_f32_fp8_sdwa v[24:25], v7 src0_sel:WORD_1
	v_mov_b32_e32 v27, 0
	v_cvt_pk_f32_fp8_e32 v[16:17], v6
	v_cvt_pk_f32_fp8_sdwa v[18:19], v6 src0_sel:WORD_1
	v_mfma_f32_16x16x16_f16 v[10:13], v[22:23], v[30:31], v[10:13]
	v_cvt_pk_f32_fp8_e32 v[22:23], v7
	v_cvt_pkrtz_f16_f32 v6, v16, v17
	v_cvt_pkrtz_f16_f32 v7, v18, v19
	ds_read_b128 v[16:19], v14 offset:4096
	v_cvt_pkrtz_f16_f32 v28, v22, v23
	v_cvt_pkrtz_f16_f32 v29, v24, v25
	ds_read_b128 v[22:25], v14 offset:4112
	v_cvt_pk_f32_fp8_e32 v[30:31], v8
	s_waitcnt lgkmcnt(1)
	v_mfma_f32_16x16x16_f16 v[10:13], v[6:7], v[16:17], v[10:13]
	v_cvt_pkrtz_f16_f32 v7, v32, v33
	v_cvt_pk_f32_fp8_e32 v[16:17], v9
	v_cvt_pkrtz_f16_f32 v6, v30, v31
	v_mfma_f32_16x16x16_f16 v[10:13], v[28:29], v[18:19], v[10:13]
	v_cvt_pk_f32_fp8_sdwa v[18:19], v9 src0_sel:WORD_1
	v_cvt_pkrtz_f16_f32 v16, v16, v17
	v_cvt_pkrtz_f16_f32 v17, v18, v19
	s_waitcnt lgkmcnt(0)
	v_mfma_f32_16x16x16_f16 v[6:9], v[6:7], v[22:23], v[10:13]
	s_waitcnt vmcnt(0)
	v_cvt_pk_f32_fp8_sdwa v[18:19], v3 src0_sel:WORD_1
	s_nop 0
	v_cvt_pkrtz_f16_f32 v23, v18, v19
	v_cvt_pk_f32_fp8_e32 v[10:11], v2
	v_cvt_pk_f32_fp8_sdwa v[12:13], v2 src0_sel:WORD_1
	v_mfma_f32_16x16x16_f16 v[6:9], v[16:17], v[24:25], v[6:9]
	v_cvt_pk_f32_fp8_e32 v[16:17], v3
	v_cvt_pkrtz_f16_f32 v2, v10, v11
	v_cvt_pkrtz_f16_f32 v3, v12, v13
	ds_read_b128 v[10:13], v14 offset:6144
	v_cvt_pkrtz_f16_f32 v22, v16, v17
	v_cvt_pk_f32_fp8_e32 v[18:19], v4
	v_cvt_pk_f32_fp8_sdwa v[24:25], v4 src0_sel:WORD_1
	s_waitcnt lgkmcnt(0)
	v_mfma_f32_16x16x16_f16 v[6:9], v[2:3], v[10:11], v[6:9]
	ds_read_b128 v[14:17], v14 offset:6160
	v_cvt_pkrtz_f16_f32 v2, v18, v19
	v_cvt_pkrtz_f16_f32 v3, v24, v25
	v_cvt_pk_f32_fp8_e32 v[10:11], v5
	v_mfma_f32_16x16x16_f16 v[6:9], v[22:23], v[12:13], v[6:9]
	v_cvt_pk_f32_fp8_sdwa v[12:13], v5 src0_sel:WORD_1
	s_waitcnt lgkmcnt(0)
	v_cvt_pkrtz_f16_f32 v10, v10, v11
	v_mfma_f32_16x16x16_f16 v[2:5], v[2:3], v[14:15], v[6:9]
	v_cvt_pkrtz_f16_f32 v11, v12, v13
	s_barrier
	s_nop 0
	v_mfma_f32_16x16x16_f16 v[2:5], v[10:11], v[16:17], v[2:5]
	s_nop 6
	v_pk_mul_f32 v[4:5], v[4:5], s[4:5] op_sel_hi:[1,0]
	v_pk_mul_f32 v[2:3], v[2:3], s[4:5] op_sel_hi:[1,0]
	v_cvt_f16_f32_e32 v4, v4
	v_cvt_f16_f32_e32 v2, v2
	;; [unrolled: 1-line block ×4, first 2 shown]
	s_and_b64 s[4:5], vcc, s[30:31]
	v_pack_b32_f16 v2, v2, v3
	v_pack_b32_f16 v3, v4, v5
	ds_write_b64 v20, v[2:3]
	s_waitcnt lgkmcnt(0)
	s_barrier
	s_and_saveexec_b64 s[8:9], s[4:5]
	s_cbranch_execz .LBB841_18
; %bb.16:
	s_load_dwordx2 s[4:5], s[0:1], 0x68
	s_lshl_b32 s0, s6, 6
	s_mul_i32 s1, s7, s2
	s_mul_hi_u32 s7, s1, s0
	s_mul_i32 s6, s1, s0
	v_lshlrev_b32_e32 v0, 10, v0
	s_lshl_b64 s[6:7], s[6:7], 1
	v_and_b32_e32 v0, 0x1800, v0
	v_lshlrev_b32_e32 v2, 5, v42
	v_and_b32_e32 v1, 16, v1
	s_waitcnt lgkmcnt(0)
	s_add_u32 s1, s4, s6
	v_or3_b32 v2, v0, v2, v1
	s_addc_u32 s4, s5, s7
	s_lshl_b32 s2, s28, 6
	ds_read_b128 v[4:7], v2 offset:256
	s_lshl_b64 s[2:3], s[2:3], 1
	ds_read_b128 v[8:11], v2 offset:128
	ds_read_b128 v[12:15], v2
	s_add_u32 s2, s1, s2
	s_addc_u32 s3, s4, s3
	v_add_u32_e32 v18, s48, v42
	v_lshl_add_u64 v[0:1], s[2:3], 0, v[26:27]
	v_mad_u64_u32 v[16:17], s[2:3], v18, s0, 0
	v_lshl_add_u64 v[16:17], v[16:17], 1, v[0:1]
	s_waitcnt lgkmcnt(0)
	global_store_dwordx4 v[16:17], v[12:15], off
	v_or_b32_e32 v3, 12, v42
	v_cmp_gt_u32_e32 vcc, 14, v3
	v_add_u32_e32 v12, 4, v18
	v_mad_u64_u32 v[12:13], s[2:3], v12, s0, 0
	v_lshl_add_u64 v[12:13], v[12:13], 1, v[0:1]
	global_store_dwordx4 v[12:13], v[8:11], off
	s_nop 1
	v_add_u32_e32 v8, 8, v18
	v_mad_u64_u32 v[8:9], s[2:3], v8, s0, 0
	v_lshl_add_u64 v[8:9], v[8:9], 1, v[0:1]
	global_store_dwordx4 v[8:9], v[4:7], off
	s_and_b64 exec, exec, vcc
	s_cbranch_execz .LBB841_18
; %bb.17:
	ds_read_b128 v[4:7], v2 offset:384
	v_add_u32_e32 v2, s48, v3
	v_mad_u64_u32 v[2:3], s[0:1], v2, s0, 0
	v_lshl_add_u64 v[0:1], v[2:3], 1, v[0:1]
	s_waitcnt lgkmcnt(0)
	global_store_dwordx4 v[0:1], v[4:7], off
.LBB841_18:
	s_endpgm
	.section	.rodata,"a",@progbits
	.p2align	6, 0x0
	.amdhsa_kernel _Z39paged_attention_ll4mi_QKV_mfma16_kernelIDF16_hLN4vllm18Fp8KVCacheDataTypeE1EDF16_Li16ELi64ELi256ELb0ELi14EEvPKT_PKT0_S7_ifPKiS9_S9_iPKfiiiPfSC_PS2_PT2_iSB_SB_
		.amdhsa_group_segment_fixed_size 8192
		.amdhsa_private_segment_fixed_size 0
		.amdhsa_kernarg_size 400
		.amdhsa_user_sgpr_count 2
		.amdhsa_user_sgpr_dispatch_ptr 0
		.amdhsa_user_sgpr_queue_ptr 0
		.amdhsa_user_sgpr_kernarg_segment_ptr 1
		.amdhsa_user_sgpr_dispatch_id 0
		.amdhsa_user_sgpr_kernarg_preload_length 0
		.amdhsa_user_sgpr_kernarg_preload_offset 0
		.amdhsa_user_sgpr_private_segment_size 0
		.amdhsa_uses_dynamic_stack 0
		.amdhsa_enable_private_segment 0
		.amdhsa_system_sgpr_workgroup_id_x 1
		.amdhsa_system_sgpr_workgroup_id_y 1
		.amdhsa_system_sgpr_workgroup_id_z 1
		.amdhsa_system_sgpr_workgroup_info 0
		.amdhsa_system_vgpr_workitem_id 0
		.amdhsa_next_free_vgpr 58
		.amdhsa_next_free_sgpr 50
		.amdhsa_accum_offset 60
		.amdhsa_reserve_vcc 1
		.amdhsa_float_round_mode_32 0
		.amdhsa_float_round_mode_16_64 0
		.amdhsa_float_denorm_mode_32 3
		.amdhsa_float_denorm_mode_16_64 3
		.amdhsa_dx10_clamp 1
		.amdhsa_ieee_mode 1
		.amdhsa_fp16_overflow 0
		.amdhsa_tg_split 0
		.amdhsa_exception_fp_ieee_invalid_op 0
		.amdhsa_exception_fp_denorm_src 0
		.amdhsa_exception_fp_ieee_div_zero 0
		.amdhsa_exception_fp_ieee_overflow 0
		.amdhsa_exception_fp_ieee_underflow 0
		.amdhsa_exception_fp_ieee_inexact 0
		.amdhsa_exception_int_div_zero 0
	.end_amdhsa_kernel
	.section	.text._Z39paged_attention_ll4mi_QKV_mfma16_kernelIDF16_hLN4vllm18Fp8KVCacheDataTypeE1EDF16_Li16ELi64ELi256ELb0ELi14EEvPKT_PKT0_S7_ifPKiS9_S9_iPKfiiiPfSC_PS2_PT2_iSB_SB_,"axG",@progbits,_Z39paged_attention_ll4mi_QKV_mfma16_kernelIDF16_hLN4vllm18Fp8KVCacheDataTypeE1EDF16_Li16ELi64ELi256ELb0ELi14EEvPKT_PKT0_S7_ifPKiS9_S9_iPKfiiiPfSC_PS2_PT2_iSB_SB_,comdat
.Lfunc_end841:
	.size	_Z39paged_attention_ll4mi_QKV_mfma16_kernelIDF16_hLN4vllm18Fp8KVCacheDataTypeE1EDF16_Li16ELi64ELi256ELb0ELi14EEvPKT_PKT0_S7_ifPKiS9_S9_iPKfiiiPfSC_PS2_PT2_iSB_SB_, .Lfunc_end841-_Z39paged_attention_ll4mi_QKV_mfma16_kernelIDF16_hLN4vllm18Fp8KVCacheDataTypeE1EDF16_Li16ELi64ELi256ELb0ELi14EEvPKT_PKT0_S7_ifPKiS9_S9_iPKfiiiPfSC_PS2_PT2_iSB_SB_
                                        ; -- End function
	.section	.AMDGPU.csdata,"",@progbits
; Kernel info:
; codeLenInByte = 4640
; NumSgprs: 56
; NumVgprs: 58
; NumAgprs: 0
; TotalNumVgprs: 58
; ScratchSize: 0
; MemoryBound: 0
; FloatMode: 240
; IeeeMode: 1
; LDSByteSize: 8192 bytes/workgroup (compile time only)
; SGPRBlocks: 6
; VGPRBlocks: 7
; NumSGPRsForWavesPerEU: 56
; NumVGPRsForWavesPerEU: 58
; AccumOffset: 60
; Occupancy: 8
; WaveLimiterHint : 1
; COMPUTE_PGM_RSRC2:SCRATCH_EN: 0
; COMPUTE_PGM_RSRC2:USER_SGPR: 2
; COMPUTE_PGM_RSRC2:TRAP_HANDLER: 0
; COMPUTE_PGM_RSRC2:TGID_X_EN: 1
; COMPUTE_PGM_RSRC2:TGID_Y_EN: 1
; COMPUTE_PGM_RSRC2:TGID_Z_EN: 1
; COMPUTE_PGM_RSRC2:TIDIG_COMP_CNT: 0
; COMPUTE_PGM_RSRC3_GFX90A:ACCUM_OFFSET: 14
; COMPUTE_PGM_RSRC3_GFX90A:TG_SPLIT: 0
	.section	.text._Z39paged_attention_ll4mi_QKV_mfma16_kernelIDF16_hLN4vllm18Fp8KVCacheDataTypeE1EDF16_Li16ELi64ELi256ELb0ELi15EEvPKT_PKT0_S7_ifPKiS9_S9_iPKfiiiPfSC_PS2_PT2_iSB_SB_,"axG",@progbits,_Z39paged_attention_ll4mi_QKV_mfma16_kernelIDF16_hLN4vllm18Fp8KVCacheDataTypeE1EDF16_Li16ELi64ELi256ELb0ELi15EEvPKT_PKT0_S7_ifPKiS9_S9_iPKfiiiPfSC_PS2_PT2_iSB_SB_,comdat
	.protected	_Z39paged_attention_ll4mi_QKV_mfma16_kernelIDF16_hLN4vllm18Fp8KVCacheDataTypeE1EDF16_Li16ELi64ELi256ELb0ELi15EEvPKT_PKT0_S7_ifPKiS9_S9_iPKfiiiPfSC_PS2_PT2_iSB_SB_ ; -- Begin function _Z39paged_attention_ll4mi_QKV_mfma16_kernelIDF16_hLN4vllm18Fp8KVCacheDataTypeE1EDF16_Li16ELi64ELi256ELb0ELi15EEvPKT_PKT0_S7_ifPKiS9_S9_iPKfiiiPfSC_PS2_PT2_iSB_SB_
	.globl	_Z39paged_attention_ll4mi_QKV_mfma16_kernelIDF16_hLN4vllm18Fp8KVCacheDataTypeE1EDF16_Li16ELi64ELi256ELb0ELi15EEvPKT_PKT0_S7_ifPKiS9_S9_iPKfiiiPfSC_PS2_PT2_iSB_SB_
	.p2align	8
	.type	_Z39paged_attention_ll4mi_QKV_mfma16_kernelIDF16_hLN4vllm18Fp8KVCacheDataTypeE1EDF16_Li16ELi64ELi256ELb0ELi15EEvPKT_PKT0_S7_ifPKiS9_S9_iPKfiiiPfSC_PS2_PT2_iSB_SB_,@function
_Z39paged_attention_ll4mi_QKV_mfma16_kernelIDF16_hLN4vllm18Fp8KVCacheDataTypeE1EDF16_Li16ELi64ELi256ELb0ELi15EEvPKT_PKT0_S7_ifPKiS9_S9_iPKfiiiPfSC_PS2_PT2_iSB_SB_: ; @_Z39paged_attention_ll4mi_QKV_mfma16_kernelIDF16_hLN4vllm18Fp8KVCacheDataTypeE1EDF16_Li16ELi64ELi256ELb0ELi15EEvPKT_PKT0_S7_ifPKiS9_S9_iPKfiiiPfSC_PS2_PT2_iSB_SB_
; %bb.0:
	s_load_dwordx2 s[12:13], s[0:1], 0x30
	s_mov_b32 s28, s3
	s_mov_b64 s[6:7], 0
	s_waitcnt lgkmcnt(0)
	s_cmp_lg_u64 s[12:13], 0
	s_cselect_b64 s[14:15], -1, 0
	s_and_b64 vcc, exec, s[14:15]
	s_cbranch_vccz .LBB842_7
; %bb.1:
	s_add_i32 s8, s2, 1
	s_mov_b32 s9, 0
	s_lshl_b64 s[10:11], s[8:9], 2
	s_add_u32 s10, s12, s10
	s_mov_b32 s3, s9
	s_addc_u32 s11, s13, s11
	s_lshl_b64 s[8:9], s[2:3], 2
	s_add_u32 s8, s12, s8
	s_addc_u32 s9, s13, s9
	s_load_dword s5, s[10:11], 0x0
	s_load_dword s16, s[8:9], 0x0
	s_waitcnt lgkmcnt(0)
	s_sub_i32 s5, s5, s16
	s_cmp_eq_u32 s5, 1
	s_cselect_b64 s[8:9], -1, 0
	s_andn2_b64 vcc, exec, s[6:7]
	s_cbranch_vccnz .LBB842_3
.LBB842_2:
	s_mov_b32 s3, 0
	s_mov_b64 s[8:9], -1
.LBB842_3:
	s_andn2_b64 vcc, exec, s[8:9]
	s_cbranch_vccnz .LBB842_18
; %bb.4:
	s_load_dwordx2 s[6:7], s[0:1], 0x28
	s_lshl_b64 s[16:17], s[2:3], 2
	s_waitcnt lgkmcnt(0)
	s_add_u32 s6, s6, s16
	s_addc_u32 s7, s7, s17
	s_load_dword s33, s[6:7], 0x0
	s_lshl_b32 s5, s28, 8
	s_waitcnt lgkmcnt(0)
	s_cmp_ge_i32 s5, s33
	s_cbranch_scc1 .LBB842_18
; %bb.5:
	s_load_dwordx2 s[6:7], s[0:1], 0x20
	s_load_dword s8, s[0:1], 0x38
	s_add_i32 s9, s33, 15
	s_ashr_i32 s10, s9, 31
	v_and_b32_e32 v1, 0xcf, v0
	s_lshr_b32 s10, s10, 28
	v_add_u32_e32 v1, s5, v1
	s_add_i32 s9, s9, s10
	v_ashrrev_i32_e32 v2, 31, v1
	s_ashr_i32 s18, s9, 4
	v_lshrrev_b32_e32 v4, 28, v2
	s_add_i32 s18, s18, -1
	s_waitcnt lgkmcnt(0)
	s_mul_i32 s8, s2, s8
	s_mov_b32 s9, 0
	v_add_u32_e32 v2, v1, v4
	s_lshl_b64 s[8:9], s[8:9], 2
	v_ashrrev_i32_e32 v2, 4, v2
	v_mov_b32_e32 v5, s18
	v_cmp_gt_i32_e32 vcc, s33, v1
	s_add_u32 s6, s6, s8
	s_addc_u32 s7, s7, s9
	v_cndmask_b32_e32 v2, v5, v2, vcc
	v_ashrrev_i32_e32 v3, 31, v2
	v_lshl_add_u64 v[6:7], v[2:3], 2, s[6:7]
	v_or_b32_e32 v2, 16, v1
	v_add_u32_e32 v3, v2, v4
	v_ashrrev_i32_e32 v3, 4, v3
	v_cmp_gt_i32_e32 vcc, s33, v2
	s_load_dwordx4 s[8:11], s[0:1], 0x8
	s_nop 0
	v_cndmask_b32_e32 v2, v5, v3, vcc
	v_ashrrev_i32_e32 v3, 31, v2
	v_lshl_add_u64 v[8:9], v[2:3], 2, s[6:7]
	v_or_b32_e32 v2, 32, v1
	v_add_u32_e32 v3, v2, v4
	v_ashrrev_i32_e32 v3, 4, v3
	v_cmp_gt_i32_e32 vcc, s33, v2
	v_or_b32_e32 v1, 48, v1
	s_nop 0
	v_cndmask_b32_e32 v2, v5, v3, vcc
	v_ashrrev_i32_e32 v3, 31, v2
	v_lshl_add_u64 v[10:11], v[2:3], 2, s[6:7]
	v_add_u32_e32 v2, v1, v4
	v_ashrrev_i32_e32 v2, 4, v2
	v_cmp_gt_i32_e32 vcc, s33, v1
	s_nop 1
	v_cndmask_b32_e32 v2, v5, v2, vcc
	v_ashrrev_i32_e32 v3, 31, v2
	v_lshl_add_u64 v[12:13], v[2:3], 2, s[6:7]
	global_load_dword v4, v[6:7], off
	global_load_dword v3, v[8:9], off
	global_load_dword v2, v[10:11], off
	global_load_dword v14, v[12:13], off
	s_andn2_b64 vcc, exec, s[14:15]
	s_cbranch_vccnz .LBB842_8
; %bb.6:
	s_add_u32 s12, s12, s16
	s_addc_u32 s13, s13, s17
	s_load_dword s14, s[12:13], 0x0
	s_branch .LBB842_9
.LBB842_7:
	s_mov_b64 s[8:9], 0
	s_branch .LBB842_2
.LBB842_8:
	s_mov_b32 s14, s2
.LBB842_9:
	s_load_dwordx4 s[44:47], s[0:1], 0x48
	v_lshrrev_b32_e32 v29, 6, v0
	v_bfe_u32 v42, v0, 4, 2
	v_lshl_or_b32 v5, v29, 2, v42
	v_and_b32_e32 v28, 15, v0
	v_lshlrev_b32_e32 v1, 3, v28
	v_cmp_gt_u32_e32 vcc, 15, v5
	v_cmp_gt_u32_e64 s[30:31], 8, v28
	v_and_b32_e32 v43, 63, v0
	s_mul_i32 s48, s4, 15
	s_and_b64 s[16:17], s[30:31], vcc
	v_lshlrev_b32_e32 v26, 1, v1
	v_lshlrev_b32_e32 v1, 4, v0
	s_and_saveexec_b64 s[12:13], s[16:17]
	s_cbranch_execz .LBB842_11
; %bb.10:
	s_load_dwordx2 s[16:17], s[0:1], 0x0
	s_waitcnt lgkmcnt(0)
	s_ashr_i32 s15, s44, 31
	s_mul_hi_u32 s19, s14, s44
	s_mul_i32 s15, s14, s15
	s_add_i32 s15, s19, s15
	s_mul_i32 s14, s14, s44
	s_lshl_b64 s[14:15], s[14:15], 1
	s_add_u32 s14, s16, s14
	v_add_lshl_u32 v6, v5, s48, 6
	s_addc_u32 s15, s17, s15
	v_ashrrev_i32_e32 v7, 31, v6
	v_lshl_add_u64 v[6:7], v[6:7], 1, s[14:15]
	v_mov_b32_e32 v27, 0
	v_lshl_add_u64 v[6:7], v[6:7], 0, v[26:27]
	global_load_dwordx4 v[6:9], v[6:7], off
	v_lshlrev_b32_e32 v11, 8, v28
	v_lshlrev_b32_e32 v5, 5, v5
	v_and_b32_e32 v10, 16, v1
	v_and_b32_e32 v11, 0xe00, v11
	v_or3_b32 v5, v11, v5, v10
	s_waitcnt vmcnt(0)
	ds_write_b128 v5, v[6:9]
.LBB842_11:
	s_or_b64 exec, exec, s[12:13]
	s_waitcnt lgkmcnt(0)
	s_mul_i32 s4, s4, s46
	s_add_u32 s8, s8, s4
	v_mov_b32_e32 v31, 0
	s_addc_u32 s9, s9, 0
	v_and_b32_e32 v8, 48, v0
	v_and_b32_e32 v30, 0xf0, v1
	v_lshl_add_u64 v[6:7], s[8:9], 0, v[30:31]
	v_lshlrev_b32_e32 v30, 4, v8
	v_lshl_add_u64 v[16:17], v[6:7], 0, v[30:31]
	s_waitcnt vmcnt(3)
	v_mad_i64_i32 v[4:5], s[8:9], v4, s45, v[16:17]
	s_load_dword s29, s[0:1], 0x98
	s_load_dwordx4 s[40:43], s[0:1], 0x80
	s_waitcnt lgkmcnt(0)
	s_barrier
	global_load_dwordx4 v[22:25], v[4:5], off
	s_waitcnt vmcnt(3)
	v_mad_i64_i32 v[4:5], s[8:9], v3, s45, v[16:17]
	global_load_dwordx4 v[18:21], v[4:5], off
	v_or_b32_e32 v6, s5, v8
	v_mov_b32_e32 v27, s18
	v_ashrrev_i32_e32 v3, 4, v6
	v_cmp_gt_i32_e32 vcc, s33, v6
	v_or_b32_e32 v15, 64, v6
	v_ashrrev_i32_e32 v32, 4, v15
	v_cndmask_b32_e32 v4, v27, v3, vcc
	s_waitcnt vmcnt(3)
	v_mad_i64_i32 v[2:3], s[8:9], v2, s45, v[16:17]
	global_load_dwordx4 v[10:13], v[2:3], off
	v_cmp_ne_u32_e32 vcc, 15, v28
	v_ashrrev_i32_e32 v5, 31, v4
	v_lshl_add_u64 v[4:5], v[4:5], 2, s[6:7]
	v_cndmask_b32_e32 v2, 0, v28, vcc
	v_lshlrev_b32_e32 v2, 5, v2
	v_lshl_or_b32 v2, v42, 9, v2
	v_cmp_gt_i32_e32 vcc, s33, v15
	s_waitcnt vmcnt(3)
	v_mad_i64_i32 v[14:15], s[12:13], v14, s45, v[16:17]
	global_load_dword v56, v[4:5], off
	v_or_b32_e32 v33, 0x80, v6
	v_or_b32_e32 v35, 0xc0, v6
	ds_read_b128 v[6:9], v2
	ds_read_b128 v[2:5], v2 offset:16
	global_load_dwordx4 v[14:17], v[14:15], off
	v_ashrrev_i32_e32 v34, 4, v33
	v_cndmask_b32_e32 v32, v27, v32, vcc
	v_cmp_gt_i32_e32 vcc, s33, v33
	v_ashrrev_i32_e32 v36, 4, v35
	v_ashrrev_i32_e32 v33, 31, v32
	v_cndmask_b32_e32 v34, v27, v34, vcc
	v_cmp_gt_i32_e32 vcc, s33, v35
	v_ashrrev_i32_e32 v35, 31, v34
	v_lshl_add_u64 v[32:33], v[32:33], 2, s[6:7]
	v_cndmask_b32_e32 v36, v27, v36, vcc
	v_ashrrev_i32_e32 v37, 31, v36
	v_lshl_add_u64 v[34:35], v[34:35], 2, s[6:7]
	s_add_u32 s8, s10, s4
	s_load_dword s4, s[40:41], 0x0
	v_lshl_add_u64 v[36:37], v[36:37], 2, s[6:7]
	global_load_dword v45, v[32:33], off
	global_load_dword v27, v[34:35], off
	;; [unrolled: 1-line block ×3, first 2 shown]
	s_load_dword s14, s[0:1], 0x1c
	s_mov_b32 s44, 0xff7fffff
	v_lshlrev_b32_e32 v30, 4, v28
	s_addc_u32 s9, s11, 0
	v_lshl_or_b32 v30, v29, 8, v30
	s_waitcnt lgkmcnt(0)
	v_mov_b32_e32 v57, s14
	v_lshl_add_u64 v[30:31], s[8:9], 0, v[30:31]
	s_waitcnt vmcnt(7)
	v_cvt_pk_f32_fp8_e32 v[32:33], v22
	v_cvt_pk_f32_fp8_sdwa v[34:35], v22 src0_sel:WORD_1
	v_cvt_pk_f32_fp8_e32 v[36:37], v23
	v_cvt_pk_f32_fp8_sdwa v[38:39], v23 src0_sel:WORD_1
	s_waitcnt vmcnt(6)
	v_cvt_pk_f32_fp8_e32 v[22:23], v18
	v_cvt_pk_f32_fp8_sdwa v[50:51], v18 src0_sel:WORD_1
	v_cvt_pkrtz_f16_f32 v32, v32, v33
	v_cvt_pkrtz_f16_f32 v33, v34, v35
	v_cvt_pk_f32_fp8_e32 v[54:55], v19
	v_cvt_pkrtz_f16_f32 v34, v22, v23
	v_cvt_pkrtz_f16_f32 v35, v50, v51
	v_cvt_pk_f32_fp8_sdwa v[18:19], v19 src0_sel:WORD_1
	v_cvt_pkrtz_f16_f32 v36, v36, v37
	v_cvt_pkrtz_f16_f32 v37, v38, v39
	v_cvt_pk_f32_fp8_e32 v[40:41], v24
	v_cvt_pk_f32_fp8_sdwa v[46:47], v24 src0_sel:WORD_1
	v_cvt_pk_f32_fp8_e32 v[48:49], v25
	v_cvt_pk_f32_fp8_sdwa v[52:53], v25 src0_sel:WORD_1
	v_mfma_f32_16x16x16_f16 v[22:25], v[32:33], v[6:7], 0
	v_cvt_pkrtz_f16_f32 v50, v54, v55
	v_cvt_pkrtz_f16_f32 v51, v18, v19
	v_cvt_pk_f32_fp8_e32 v[38:39], v20
	v_mfma_f32_16x16x16_f16 v[32:35], v[34:35], v[6:7], 0
	v_cvt_pk_f32_fp8_sdwa v[18:19], v20 src0_sel:WORD_1
	v_mfma_f32_16x16x16_f16 v[22:25], v[36:37], v[8:9], v[22:25]
	v_cvt_pkrtz_f16_f32 v36, v40, v41
	v_cvt_pkrtz_f16_f32 v37, v46, v47
	v_cvt_pk_f32_fp8_e32 v[40:41], v21
	v_mfma_f32_16x16x16_f16 v[32:35], v[50:51], v[8:9], v[32:35]
	v_cvt_pkrtz_f16_f32 v46, v48, v49
	v_cvt_pkrtz_f16_f32 v47, v52, v53
	v_cvt_pk_f32_fp8_sdwa v[48:49], v21 src0_sel:WORD_1
	v_cvt_pkrtz_f16_f32 v50, v38, v39
	v_cvt_pkrtz_f16_f32 v51, v18, v19
	v_mfma_f32_16x16x16_f16 v[22:25], v[36:37], v[2:3], v[22:25]
	v_cvt_pkrtz_f16_f32 v18, v40, v41
	v_cvt_pkrtz_f16_f32 v19, v48, v49
	s_waitcnt vmcnt(5)
	v_cvt_pk_f32_fp8_sdwa v[40:41], v13 src0_sel:WORD_1
	v_mfma_f32_16x16x16_f16 v[36:39], v[46:47], v[4:5], v[22:25]
	s_waitcnt vmcnt(4)
	v_mad_i64_i32 v[20:21], s[6:7], v56, s45, v[30:31]
	v_mfma_f32_16x16x16_f16 v[22:25], v[50:51], v[2:3], v[32:35]
	v_mul_f32_e32 v50, s4, v57
	s_nop 1
	v_cvt_pk_f32_fp8_e32 v[32:33], v10
	v_cvt_pk_f32_fp8_sdwa v[34:35], v10 src0_sel:WORD_1
	v_mfma_f32_16x16x16_f16 v[46:49], v[18:19], v[4:5], v[22:25]
	v_cvt_pk_f32_fp8_e32 v[18:19], v11
	v_cvt_pk_f32_fp8_sdwa v[10:11], v11 src0_sel:WORD_1
	v_cvt_pkrtz_f16_f32 v18, v18, v19
	v_cvt_pkrtz_f16_f32 v22, v32, v33
	;; [unrolled: 1-line block ×3, first 2 shown]
	v_cvt_pk_f32_fp8_e32 v[32:33], v12
	v_cvt_pk_f32_fp8_sdwa v[34:35], v12 src0_sel:WORD_1
	v_cvt_pkrtz_f16_f32 v19, v10, v11
	v_mfma_f32_16x16x16_f16 v[22:25], v[22:23], v[6:7], 0
	v_cvt_pkrtz_f16_f32 v32, v32, v33
	v_cvt_pkrtz_f16_f32 v33, v34, v35
	v_cvt_pk_f32_fp8_e32 v[34:35], v13
	v_mfma_f32_16x16x16_f16 v[10:13], v[18:19], v[8:9], v[22:25]
	v_cvt_pkrtz_f16_f32 v19, v40, v41
	s_waitcnt vmcnt(3)
	v_cvt_pk_f32_fp8_sdwa v[40:41], v16 src0_sel:WORD_1
	v_cvt_pkrtz_f16_f32 v18, v34, v35
	v_mfma_f32_16x16x16_f16 v[10:13], v[32:33], v[2:3], v[10:13]
	v_cvt_pk_f32_fp8_e32 v[24:25], v14
	v_cvt_pk_f32_fp8_sdwa v[32:33], v14 src0_sel:WORD_1
	v_pk_mul_f32 v[22:23], v[50:51], v[38:39] op_sel_hi:[0,1]
	v_mfma_f32_16x16x16_f16 v[10:13], v[18:19], v[4:5], v[10:13]
	v_cvt_pk_f32_fp8_e32 v[18:19], v15
	v_cvt_pkrtz_f16_f32 v24, v24, v25
	v_cvt_pkrtz_f16_f32 v25, v32, v33
	v_cvt_pk_f32_fp8_sdwa v[14:15], v15 src0_sel:WORD_1
	v_cvt_pkrtz_f16_f32 v18, v18, v19
	v_cvt_pk_f32_fp8_e32 v[32:33], v16
	v_pk_mul_f32 v[34:35], v[50:51], v[36:37] op_sel_hi:[0,1]
	v_cvt_pkrtz_f16_f32 v19, v14, v15
	v_mfma_f32_16x16x16_f16 v[36:39], v[24:25], v[6:7], 0
	v_cvt_pkrtz_f16_f32 v14, v32, v33
	v_cvt_pkrtz_f16_f32 v15, v40, v41
	v_cvt_pk_f32_fp8_e32 v[24:25], v17
	v_cvt_pk_f32_fp8_sdwa v[16:17], v17 src0_sel:WORD_1
	v_mfma_f32_16x16x16_f16 v[6:9], v[18:19], v[8:9], v[36:39]
	v_pk_mul_f32 v[40:41], v[50:51], v[46:47] op_sel_hi:[0,1]
	v_cvt_pkrtz_f16_f32 v18, v24, v25
	v_cvt_pkrtz_f16_f32 v19, v16, v17
	v_mfma_f32_16x16x16_f16 v[6:9], v[14:15], v[2:3], v[6:9]
	v_pk_mul_f32 v[36:37], v[50:51], v[48:49] op_sel_hi:[0,1]
	v_pk_mul_f32 v[38:39], v[50:51], v[10:11] op_sel_hi:[0,1]
	;; [unrolled: 1-line block ×3, first 2 shown]
	v_mfma_f32_16x16x16_f16 v[2:5], v[18:19], v[4:5], v[6:9]
	s_nop 6
	v_pk_mul_f32 v[24:25], v[50:51], v[2:3] op_sel_hi:[0,1]
	v_and_b32_e32 v2, 0xc0, v0
	v_add_u32_e32 v2, s5, v2
	v_lshl_or_b32 v2, v42, 2, v2
	v_pk_mul_f32 v[18:19], v[50:51], v[4:5] op_sel_hi:[0,1]
	v_or_b32_e32 v5, 1, v2
	v_mov_b32_e32 v3, 0xff7fffff
	v_cmp_gt_i32_e64 s[4:5], s33, v2
	v_cmp_gt_i32_e64 s[34:35], s33, v5
	v_or_b32_e32 v6, 3, v2
	v_cndmask_b32_e64 v4, v3, v34, s[4:5]
	v_cndmask_b32_e64 v5, v3, v35, s[34:35]
	v_max3_f32 v4, v4, s44, v5
	v_or_b32_e32 v5, 2, v2
	v_cmp_gt_i32_e64 s[36:37], s33, v5
	v_cmp_gt_i32_e64 s[38:39], s33, v6
	s_nop 0
	v_cndmask_b32_e64 v5, v3, v22, s[36:37]
	v_cndmask_b32_e64 v6, v3, v23, s[38:39]
	v_max3_f32 v4, v4, v5, v6
	v_or_b32_e32 v5, 16, v2
	v_or_b32_e32 v6, 17, v2
	v_cmp_gt_i32_e64 s[24:25], s33, v5
	v_cmp_gt_i32_e64 s[26:27], s33, v6
	s_nop 0
	v_cndmask_b32_e64 v5, v3, v40, s[24:25]
	v_cndmask_b32_e64 v6, v3, v41, s[26:27]
	v_max3_f32 v4, v4, v5, v6
	v_or_b32_e32 v5, 18, v2
	;; [unrolled: 8-line block ×6, first 2 shown]
	v_or_b32_e32 v2, 51, v2
	v_cmp_gt_i32_e32 vcc, s33, v5
	v_cmp_gt_i32_e64 s[6:7], s33, v2
	s_nop 0
	v_cndmask_b32_e32 v5, v3, v18, vcc
	v_cndmask_b32_e64 v2, v3, v19, s[6:7]
	v_max3_f32 v4, v4, v5, v2
	v_mbcnt_lo_u32_b32 v2, -1, 0
	v_mbcnt_hi_u32_b32 v5, -1, v2
	v_and_b32_e32 v2, 64, v5
	v_add_u32_e32 v6, 64, v2
	v_xor_b32_e32 v2, 32, v5
	v_cmp_lt_i32_e64 s[40:41], v2, v6
	s_nop 1
	v_cndmask_b32_e64 v2, v5, v2, s[40:41]
	v_lshlrev_b32_e32 v46, 2, v2
	ds_bpermute_b32 v7, v46, v4
	s_waitcnt vmcnt(2)
	v_mad_i64_i32 v[2:3], s[40:41], v45, s45, v[30:31]
	global_load_dwordx4 v[14:17], v[20:21], off
	global_load_dwordx4 v[10:13], v[2:3], off
	v_xor_b32_e32 v3, 16, v5
	v_cmp_lt_i32_e64 s[40:41], v3, v6
	s_waitcnt lgkmcnt(0)
	v_max_f32_e32 v2, v7, v7
	v_max_f32_e32 v2, v4, v2
	v_cndmask_b32_e64 v3, v5, v3, s[40:41]
	v_lshlrev_b32_e32 v45, 2, v3
	ds_bpermute_b32 v3, v45, v2
	s_waitcnt vmcnt(3)
	v_mad_i64_i32 v[20:21], s[40:41], v27, s45, v[30:31]
	s_waitcnt vmcnt(2)
	v_mad_i64_i32 v[30:31], s[40:41], v44, s45, v[30:31]
	s_waitcnt lgkmcnt(0)
	v_max_f32_e32 v3, v3, v3
	v_max_f32_e32 v27, v2, v3
	v_sub_f32_e32 v2, v34, v27
	v_mul_f32_e32 v2, 0x3fb8aa3b, v2
	v_exp_f32_e32 v34, v2
	v_sub_f32_e32 v2, v35, v27
	v_mul_f32_e32 v2, 0x3fb8aa3b, v2
	v_exp_f32_e32 v35, v2
	global_load_dwordx4 v[6:9], v[20:21], off
	global_load_dwordx4 v[2:5], v[30:31], off
	v_sub_f32_e32 v22, v22, v27
	v_mul_f32_e32 v22, 0x3fb8aa3b, v22
	v_sub_f32_e32 v23, v23, v27
	v_exp_f32_e32 v22, v22
	v_mul_f32_e32 v23, 0x3fb8aa3b, v23
	v_exp_f32_e32 v23, v23
	v_cndmask_b32_e64 v20, 0, v34, s[4:5]
	v_add_f32_e32 v30, 0, v20
	v_cndmask_b32_e64 v21, 0, v35, s[34:35]
	v_add_f32_e32 v30, v30, v21
	;; [unrolled: 2-line block ×3, first 2 shown]
	v_cndmask_b32_e64 v35, 0, v23, s[38:39]
	v_sub_f32_e32 v23, v40, v27
	v_sub_f32_e32 v30, v41, v27
	v_mul_f32_e32 v23, 0x3fb8aa3b, v23
	v_mul_f32_e32 v30, 0x3fb8aa3b, v30
	v_exp_f32_e32 v23, v23
	v_exp_f32_e32 v30, v30
	v_add_f32_e32 v31, v22, v35
	v_sub_f32_e32 v32, v32, v27
	v_cndmask_b32_e64 v22, 0, v23, s[24:25]
	v_cndmask_b32_e64 v23, 0, v30, s[26:27]
	v_sub_f32_e32 v30, v36, v27
	v_mul_f32_e32 v30, 0x3fb8aa3b, v30
	v_exp_f32_e32 v30, v30
	v_sub_f32_e32 v36, v37, v27
	v_add_f32_e32 v31, v31, v22
	v_mul_f32_e32 v36, 0x3fb8aa3b, v36
	v_exp_f32_e32 v37, v36
	v_add_f32_e32 v31, v31, v23
	v_cndmask_b32_e64 v36, 0, v30, s[20:21]
	v_add_f32_e32 v30, v31, v36
	v_sub_f32_e32 v31, v38, v27
	v_mul_f32_e32 v31, 0x3fb8aa3b, v31
	v_sub_f32_e32 v38, v39, v27
	v_exp_f32_e32 v31, v31
	v_mul_f32_e32 v38, 0x3fb8aa3b, v38
	v_exp_f32_e32 v38, v38
	v_mul_f32_e32 v32, 0x3fb8aa3b, v32
	v_sub_f32_e32 v33, v33, v27
	v_exp_f32_e32 v32, v32
	v_mul_f32_e32 v33, 0x3fb8aa3b, v33
	v_sub_f32_e32 v24, v24, v27
	v_cndmask_b32_e64 v37, 0, v37, s[22:23]
	v_exp_f32_e32 v33, v33
	v_mul_f32_e32 v24, 0x3fb8aa3b, v24
	v_sub_f32_e32 v25, v25, v27
	v_add_f32_e32 v39, v30, v37
	v_cndmask_b32_e64 v30, 0, v31, s[16:17]
	v_exp_f32_e32 v24, v24
	v_mul_f32_e32 v25, 0x3fb8aa3b, v25
	v_sub_f32_e32 v18, v18, v27
	v_add_f32_e32 v39, v39, v30
	v_cndmask_b32_e64 v31, 0, v38, s[18:19]
	v_exp_f32_e32 v25, v25
	v_mul_f32_e32 v18, 0x3fb8aa3b, v18
	v_sub_f32_e32 v19, v19, v27
	v_add_f32_e32 v38, v39, v31
	v_cndmask_b32_e64 v32, 0, v32, s[12:13]
	v_exp_f32_e32 v18, v18
	v_mul_f32_e32 v19, 0x3fb8aa3b, v19
	v_add_f32_e32 v38, v38, v32
	v_cndmask_b32_e64 v33, 0, v33, s[14:15]
	v_exp_f32_e32 v19, v19
	v_add_f32_e32 v38, v38, v33
	v_cndmask_b32_e64 v24, 0, v24, s[8:9]
	v_add_f32_e32 v38, v38, v24
	v_cndmask_b32_e64 v25, 0, v25, s[10:11]
	v_add_f32_e32 v38, v38, v25
	v_cndmask_b32_e32 v18, 0, v18, vcc
	v_add_f32_e32 v38, v38, v18
	v_cndmask_b32_e64 v19, 0, v19, s[6:7]
	v_add_f32_e32 v38, v38, v19
	ds_bpermute_b32 v39, v46, v38
	v_cmp_gt_u32_e32 vcc, 16, v43
	s_waitcnt lgkmcnt(0)
	s_barrier
	v_add_f32_e32 v39, v38, v39
	ds_bpermute_b32 v40, v45, v39
	v_lshlrev_b32_e32 v38, 2, v28
	s_and_saveexec_b64 s[4:5], vcc
	s_cbranch_execz .LBB842_13
; %bb.12:
	s_waitcnt lgkmcnt(0)
	v_add_f32_e32 v39, v39, v40
	v_lshl_or_b32 v40, v29, 6, v38
	ds_write2st64_b32 v40, v27, v39 offset1:1
.LBB842_13:
	s_or_b64 exec, exec, s[4:5]
	s_load_dword s6, s[0:1], 0x94
	s_waitcnt lgkmcnt(0)
	s_barrier
	ds_read2_b32 v[40:41], v38 offset1:16
	ds_read2_b32 v[44:45], v38 offset0:32 offset1:48
	ds_read2_b32 v[46:47], v38 offset0:64 offset1:80
	s_mul_i32 s7, s29, 15
	s_waitcnt lgkmcnt(2)
	v_max3_f32 v27, v40, s44, v41
	s_waitcnt lgkmcnt(1)
	v_max3_f32 v27, v27, v44, v45
	v_sub_f32_e32 v39, v40, v27
	v_sub_f32_e32 v40, v41, v27
	v_mul_f32_e32 v40, 0x3fb8aa3b, v40
	v_mul_f32_e32 v39, 0x3fb8aa3b, v39
	v_exp_f32_e32 v43, v40
	v_sub_f32_e32 v40, v44, v27
	v_exp_f32_e32 v39, v39
	v_mul_f32_e32 v40, 0x3fb8aa3b, v40
	v_exp_f32_e32 v44, v40
	ds_read2_b32 v[40:41], v38 offset0:96 offset1:112
	v_sub_f32_e32 v38, v45, v27
	v_mul_f32_e32 v38, 0x3fb8aa3b, v38
	v_exp_f32_e32 v45, v38
	s_waitcnt lgkmcnt(1)
	v_fma_f32 v38, v39, v46, 0
	v_fmac_f32_e32 v38, v43, v47
	s_waitcnt lgkmcnt(0)
	v_fmac_f32_e32 v38, v44, v40
	v_fmac_f32_e32 v38, v45, v41
	v_add_f32_e32 v40, 0x358637bd, v38
	v_div_scale_f32 v41, s[4:5], v40, v40, 1.0
	v_rcp_f32_e32 v46, v41
	s_barrier
	v_fma_f32 v47, -v41, v46, 1.0
	v_fmac_f32_e32 v46, v47, v46
	v_div_scale_f32 v47, vcc, 1.0, v40, 1.0
	v_mul_f32_e32 v48, v47, v46
	v_fma_f32 v49, -v41, v48, v47
	v_fmac_f32_e32 v48, v49, v46
	v_fma_f32 v41, -v41, v48, v47
	v_div_fmas_f32 v41, v41, v46, v48
	v_cmp_eq_u32_e32 vcc, 1, v29
	v_div_fixup_f32 v40, v41, v40, 1.0
	s_nop 0
	v_cndmask_b32_e32 v39, v39, v43, vcc
	v_cmp_eq_u32_e32 vcc, 2, v29
	s_nop 1
	v_cndmask_b32_e32 v39, v39, v44, vcc
	v_cmp_eq_u32_e32 vcc, 3, v29
	v_lshlrev_b32_e32 v29, 11, v29
	s_nop 0
	v_cndmask_b32_e32 v39, v39, v45, vcc
	v_mul_f32_e32 v40, v39, v40
	v_pk_mul_f32 v[20:21], v[40:41], v[20:21] op_sel_hi:[0,1]
	v_pk_mul_f32 v[34:35], v[40:41], v[34:35] op_sel_hi:[0,1]
	v_cvt_f16_f32_e32 v20, v20
	v_cvt_f16_f32_e32 v21, v21
	v_pk_mul_f32 v[36:37], v[40:41], v[36:37] op_sel_hi:[0,1]
	v_pk_mul_f32 v[22:23], v[40:41], v[22:23] op_sel_hi:[0,1]
	v_cvt_f16_f32_e32 v39, v34
	v_cvt_f16_f32_e32 v35, v35
	;; [unrolled: 1-line block ×6, first 2 shown]
	v_pack_b32_f16 v34, v20, v21
	v_lshlrev_b32_e32 v20, 3, v42
	v_lshlrev_b32_e32 v21, 5, v28
	v_pack_b32_f16 v35, v39, v35
	v_or3_b32 v20, v29, v21, v20
	v_pack_b32_f16 v22, v22, v23
	v_pack_b32_f16 v23, v36, v37
	ds_write2st64_b64 v20, v[34:35], v[22:23] offset1:1
	v_pk_mul_f32 v[22:23], v[40:41], v[32:33] op_sel_hi:[0,1]
	v_pk_mul_f32 v[30:31], v[40:41], v[30:31] op_sel_hi:[0,1]
	v_cvt_f16_f32_e32 v29, v30
	v_cvt_f16_f32_e32 v30, v31
	;; [unrolled: 1-line block ×4, first 2 shown]
	v_pk_mul_f32 v[18:19], v[40:41], v[18:19] op_sel_hi:[0,1]
	v_pk_mul_f32 v[22:23], v[40:41], v[24:25] op_sel_hi:[0,1]
	v_cvt_f16_f32_e32 v22, v22
	v_cvt_f16_f32_e32 v23, v23
	;; [unrolled: 1-line block ×4, first 2 shown]
	v_pack_b32_f16 v18, v29, v30
	v_pack_b32_f16 v19, v31, v32
	;; [unrolled: 1-line block ×4, first 2 shown]
	v_cmp_gt_u32_e32 vcc, 15, v0
	ds_write2st64_b64 v20, v[18:19], v[22:23] offset0:2 offset1:3
	s_and_saveexec_b64 s[4:5], vcc
	s_cbranch_execz .LBB842_15
; %bb.14:
	s_mov_b32 s49, 0
	v_mov_b32_e32 v29, 0
	v_lshl_add_u64 v[18:19], s[48:49], 0, v[28:29]
	v_mov_b32_e32 v22, s7
	v_mad_u64_u32 v[18:19], s[12:13], s2, v22, v[18:19]
	s_mul_i32 s3, s3, s7
	v_mov_b32_e32 v28, s28
	s_load_dwordx4 s[8:11], s[0:1], 0x58
	v_add_u32_e32 v23, s3, v19
	v_mad_u64_u32 v[18:19], s[12:13], v18, s6, v[28:29]
	v_mov_b32_e32 v22, v19
	v_mad_u64_u32 v[22:23], s[12:13], v23, s6, v[22:23]
	v_mov_b32_e32 v19, v22
	v_lshlrev_b64 v[18:19], 2, v[18:19]
	s_waitcnt lgkmcnt(0)
	v_lshl_add_u64 v[22:23], s[10:11], 0, v[18:19]
	v_lshl_add_u64 v[18:19], s[8:9], 0, v[18:19]
	global_store_dword v[22:23], v27, off
	global_store_dword v[18:19], v38, off
.LBB842_15:
	s_or_b64 exec, exec, s[4:5]
	s_waitcnt vmcnt(3)
	v_cvt_pk_f32_fp8_e32 v[18:19], v14
	v_cvt_pk_f32_fp8_sdwa v[22:23], v14 src0_sel:WORD_1
	v_cvt_pk_f32_fp8_e32 v[24:25], v15
	v_lshl_or_b32 v14, v42, 9, v21
	s_waitcnt lgkmcnt(0)
	s_barrier
	v_cvt_pkrtz_f16_f32 v18, v18, v19
	v_cvt_pkrtz_f16_f32 v19, v22, v23
	v_cvt_pk_f32_fp8_sdwa v[28:29], v15 src0_sel:WORD_1
	v_cvt_pkrtz_f16_f32 v36, v24, v25
	ds_read_b128 v[22:25], v14
	v_cvt_pk_f32_fp8_e32 v[38:39], v16
	v_cvt_pkrtz_f16_f32 v37, v28, v29
	ds_read_b128 v[28:31], v14 offset:16
	v_cvt_pk_f32_fp8_sdwa v[40:41], v16 src0_sel:WORD_1
	s_waitcnt lgkmcnt(1)
	v_mfma_f32_16x16x16_f16 v[32:35], v[18:19], v[22:23], 0
	v_cvt_pkrtz_f16_f32 v18, v38, v39
	v_cvt_pk_f32_fp8_e32 v[38:39], v17
	v_cvt_pkrtz_f16_f32 v19, v40, v41
	v_mfma_f32_16x16x16_f16 v[22:25], v[36:37], v[24:25], v[32:35]
	s_waitcnt vmcnt(2)
	v_cvt_pk_f32_fp8_sdwa v[36:37], v12 src0_sel:WORD_1
	s_load_dword s4, s[42:43], 0x0
	v_cmp_gt_u32_e32 vcc, 64, v0
	v_cvt_pk_f32_fp8_sdwa v[32:33], v17 src0_sel:WORD_1
	v_cvt_pkrtz_f16_f32 v34, v38, v39
	s_waitcnt lgkmcnt(0)
	v_mfma_f32_16x16x16_f16 v[16:19], v[18:19], v[28:29], v[22:25]
	v_cvt_pk_f32_fp8_e32 v[28:29], v11
	v_cvt_pkrtz_f16_f32 v35, v32, v33
	s_mov_b32 s3, 0
	v_cvt_pk_f32_fp8_e32 v[22:23], v10
	v_cvt_pk_f32_fp8_sdwa v[24:25], v10 src0_sel:WORD_1
	v_mfma_f32_16x16x16_f16 v[16:19], v[34:35], v[30:31], v[16:19]
	v_cvt_pkrtz_f16_f32 v10, v22, v23
	v_cvt_pk_f32_fp8_sdwa v[30:31], v11 src0_sel:WORD_1
	v_cvt_pkrtz_f16_f32 v11, v24, v25
	ds_read_b128 v[22:25], v14 offset:2048
	v_cvt_pkrtz_f16_f32 v32, v28, v29
	v_cvt_pkrtz_f16_f32 v33, v30, v31
	ds_read_b128 v[28:31], v14 offset:2064
	v_cvt_pk_f32_fp8_e32 v[34:35], v12
	s_waitcnt lgkmcnt(1)
	v_mfma_f32_16x16x16_f16 v[16:19], v[10:11], v[22:23], v[16:19]
	v_cvt_pkrtz_f16_f32 v11, v36, v37
	v_cvt_pk_f32_fp8_e32 v[22:23], v13
	v_cvt_pkrtz_f16_f32 v10, v34, v35
	v_mfma_f32_16x16x16_f16 v[16:19], v[32:33], v[24:25], v[16:19]
	v_cvt_pk_f32_fp8_sdwa v[24:25], v13 src0_sel:WORD_1
	v_cvt_pkrtz_f16_f32 v22, v22, v23
	s_waitcnt vmcnt(1)
	v_cvt_pk_f32_fp8_sdwa v[32:33], v8 src0_sel:WORD_1
	s_waitcnt lgkmcnt(0)
	v_mfma_f32_16x16x16_f16 v[10:13], v[10:11], v[28:29], v[16:19]
	v_cvt_pkrtz_f16_f32 v23, v24, v25
	v_cvt_pk_f32_fp8_sdwa v[24:25], v7 src0_sel:WORD_1
	v_mov_b32_e32 v27, 0
	v_cvt_pk_f32_fp8_e32 v[16:17], v6
	v_cvt_pk_f32_fp8_sdwa v[18:19], v6 src0_sel:WORD_1
	v_mfma_f32_16x16x16_f16 v[10:13], v[22:23], v[30:31], v[10:13]
	v_cvt_pk_f32_fp8_e32 v[22:23], v7
	v_cvt_pkrtz_f16_f32 v6, v16, v17
	v_cvt_pkrtz_f16_f32 v7, v18, v19
	ds_read_b128 v[16:19], v14 offset:4096
	v_cvt_pkrtz_f16_f32 v28, v22, v23
	v_cvt_pkrtz_f16_f32 v29, v24, v25
	ds_read_b128 v[22:25], v14 offset:4112
	v_cvt_pk_f32_fp8_e32 v[30:31], v8
	s_waitcnt lgkmcnt(1)
	v_mfma_f32_16x16x16_f16 v[10:13], v[6:7], v[16:17], v[10:13]
	v_cvt_pkrtz_f16_f32 v7, v32, v33
	v_cvt_pk_f32_fp8_e32 v[16:17], v9
	v_cvt_pkrtz_f16_f32 v6, v30, v31
	v_mfma_f32_16x16x16_f16 v[10:13], v[28:29], v[18:19], v[10:13]
	v_cvt_pk_f32_fp8_sdwa v[18:19], v9 src0_sel:WORD_1
	v_cvt_pkrtz_f16_f32 v16, v16, v17
	v_cvt_pkrtz_f16_f32 v17, v18, v19
	s_waitcnt lgkmcnt(0)
	v_mfma_f32_16x16x16_f16 v[6:9], v[6:7], v[22:23], v[10:13]
	s_waitcnt vmcnt(0)
	v_cvt_pk_f32_fp8_sdwa v[18:19], v3 src0_sel:WORD_1
	s_nop 0
	v_cvt_pkrtz_f16_f32 v23, v18, v19
	v_cvt_pk_f32_fp8_e32 v[10:11], v2
	v_cvt_pk_f32_fp8_sdwa v[12:13], v2 src0_sel:WORD_1
	v_mfma_f32_16x16x16_f16 v[6:9], v[16:17], v[24:25], v[6:9]
	v_cvt_pk_f32_fp8_e32 v[16:17], v3
	v_cvt_pkrtz_f16_f32 v2, v10, v11
	v_cvt_pkrtz_f16_f32 v3, v12, v13
	ds_read_b128 v[10:13], v14 offset:6144
	v_cvt_pkrtz_f16_f32 v22, v16, v17
	v_cvt_pk_f32_fp8_e32 v[18:19], v4
	v_cvt_pk_f32_fp8_sdwa v[24:25], v4 src0_sel:WORD_1
	s_waitcnt lgkmcnt(0)
	v_mfma_f32_16x16x16_f16 v[6:9], v[2:3], v[10:11], v[6:9]
	ds_read_b128 v[14:17], v14 offset:6160
	v_cvt_pkrtz_f16_f32 v2, v18, v19
	v_cvt_pkrtz_f16_f32 v3, v24, v25
	v_cvt_pk_f32_fp8_e32 v[10:11], v5
	v_mfma_f32_16x16x16_f16 v[6:9], v[22:23], v[12:13], v[6:9]
	v_cvt_pk_f32_fp8_sdwa v[12:13], v5 src0_sel:WORD_1
	s_waitcnt lgkmcnt(0)
	v_cvt_pkrtz_f16_f32 v10, v10, v11
	v_mfma_f32_16x16x16_f16 v[2:5], v[2:3], v[14:15], v[6:9]
	v_cvt_pkrtz_f16_f32 v11, v12, v13
	s_barrier
	s_nop 0
	v_mfma_f32_16x16x16_f16 v[2:5], v[10:11], v[16:17], v[2:5]
	s_nop 6
	v_pk_mul_f32 v[4:5], v[4:5], s[4:5] op_sel_hi:[1,0]
	v_pk_mul_f32 v[2:3], v[2:3], s[4:5] op_sel_hi:[1,0]
	v_cvt_f16_f32_e32 v4, v4
	v_cvt_f16_f32_e32 v2, v2
	;; [unrolled: 1-line block ×4, first 2 shown]
	s_and_b64 s[4:5], vcc, s[30:31]
	v_pack_b32_f16 v2, v2, v3
	v_pack_b32_f16 v3, v4, v5
	ds_write_b64 v20, v[2:3]
	s_waitcnt lgkmcnt(0)
	s_barrier
	s_and_saveexec_b64 s[8:9], s[4:5]
	s_cbranch_execz .LBB842_18
; %bb.16:
	s_load_dwordx2 s[4:5], s[0:1], 0x68
	s_lshl_b32 s0, s6, 6
	s_mul_i32 s1, s7, s2
	s_mul_hi_u32 s7, s1, s0
	s_mul_i32 s6, s1, s0
	v_lshlrev_b32_e32 v0, 10, v0
	s_lshl_b64 s[6:7], s[6:7], 1
	v_and_b32_e32 v0, 0x1800, v0
	v_lshlrev_b32_e32 v2, 5, v42
	v_and_b32_e32 v1, 16, v1
	s_waitcnt lgkmcnt(0)
	s_add_u32 s1, s4, s6
	v_or3_b32 v2, v0, v2, v1
	s_addc_u32 s4, s5, s7
	s_lshl_b32 s2, s28, 6
	ds_read_b128 v[4:7], v2 offset:256
	s_lshl_b64 s[2:3], s[2:3], 1
	ds_read_b128 v[8:11], v2 offset:128
	ds_read_b128 v[12:15], v2
	s_add_u32 s2, s1, s2
	s_addc_u32 s3, s4, s3
	v_add_u32_e32 v3, s48, v42
	v_lshl_add_u64 v[0:1], s[2:3], 0, v[26:27]
	v_mad_u64_u32 v[16:17], s[2:3], v3, s0, 0
	v_lshl_add_u64 v[16:17], v[16:17], 1, v[0:1]
	s_waitcnt lgkmcnt(0)
	global_store_dwordx4 v[16:17], v[12:15], off
	v_cmp_ne_u32_e32 vcc, 3, v42
	s_nop 0
	v_add_u32_e32 v12, 4, v3
	v_mad_u64_u32 v[12:13], s[2:3], v12, s0, 0
	v_lshl_add_u64 v[12:13], v[12:13], 1, v[0:1]
	v_add_u32_e32 v3, 8, v3
	global_store_dwordx4 v[12:13], v[8:11], off
	s_nop 1
	v_mad_u64_u32 v[8:9], s[2:3], v3, s0, 0
	v_lshl_add_u64 v[8:9], v[8:9], 1, v[0:1]
	global_store_dwordx4 v[8:9], v[4:7], off
	s_and_b64 exec, exec, vcc
	s_cbranch_execz .LBB842_18
; %bb.17:
	ds_read_b128 v[2:5], v2 offset:384
	v_add3_u32 v6, s48, v42, 12
	v_mad_u64_u32 v[6:7], s[0:1], v6, s0, 0
	v_lshl_add_u64 v[0:1], v[6:7], 1, v[0:1]
	s_waitcnt lgkmcnt(0)
	global_store_dwordx4 v[0:1], v[2:5], off
.LBB842_18:
	s_endpgm
	.section	.rodata,"a",@progbits
	.p2align	6, 0x0
	.amdhsa_kernel _Z39paged_attention_ll4mi_QKV_mfma16_kernelIDF16_hLN4vllm18Fp8KVCacheDataTypeE1EDF16_Li16ELi64ELi256ELb0ELi15EEvPKT_PKT0_S7_ifPKiS9_S9_iPKfiiiPfSC_PS2_PT2_iSB_SB_
		.amdhsa_group_segment_fixed_size 8192
		.amdhsa_private_segment_fixed_size 0
		.amdhsa_kernarg_size 400
		.amdhsa_user_sgpr_count 2
		.amdhsa_user_sgpr_dispatch_ptr 0
		.amdhsa_user_sgpr_queue_ptr 0
		.amdhsa_user_sgpr_kernarg_segment_ptr 1
		.amdhsa_user_sgpr_dispatch_id 0
		.amdhsa_user_sgpr_kernarg_preload_length 0
		.amdhsa_user_sgpr_kernarg_preload_offset 0
		.amdhsa_user_sgpr_private_segment_size 0
		.amdhsa_uses_dynamic_stack 0
		.amdhsa_enable_private_segment 0
		.amdhsa_system_sgpr_workgroup_id_x 1
		.amdhsa_system_sgpr_workgroup_id_y 1
		.amdhsa_system_sgpr_workgroup_id_z 1
		.amdhsa_system_sgpr_workgroup_info 0
		.amdhsa_system_vgpr_workitem_id 0
		.amdhsa_next_free_vgpr 58
		.amdhsa_next_free_sgpr 50
		.amdhsa_accum_offset 60
		.amdhsa_reserve_vcc 1
		.amdhsa_float_round_mode_32 0
		.amdhsa_float_round_mode_16_64 0
		.amdhsa_float_denorm_mode_32 3
		.amdhsa_float_denorm_mode_16_64 3
		.amdhsa_dx10_clamp 1
		.amdhsa_ieee_mode 1
		.amdhsa_fp16_overflow 0
		.amdhsa_tg_split 0
		.amdhsa_exception_fp_ieee_invalid_op 0
		.amdhsa_exception_fp_denorm_src 0
		.amdhsa_exception_fp_ieee_div_zero 0
		.amdhsa_exception_fp_ieee_overflow 0
		.amdhsa_exception_fp_ieee_underflow 0
		.amdhsa_exception_fp_ieee_inexact 0
		.amdhsa_exception_int_div_zero 0
	.end_amdhsa_kernel
	.section	.text._Z39paged_attention_ll4mi_QKV_mfma16_kernelIDF16_hLN4vllm18Fp8KVCacheDataTypeE1EDF16_Li16ELi64ELi256ELb0ELi15EEvPKT_PKT0_S7_ifPKiS9_S9_iPKfiiiPfSC_PS2_PT2_iSB_SB_,"axG",@progbits,_Z39paged_attention_ll4mi_QKV_mfma16_kernelIDF16_hLN4vllm18Fp8KVCacheDataTypeE1EDF16_Li16ELi64ELi256ELb0ELi15EEvPKT_PKT0_S7_ifPKiS9_S9_iPKfiiiPfSC_PS2_PT2_iSB_SB_,comdat
.Lfunc_end842:
	.size	_Z39paged_attention_ll4mi_QKV_mfma16_kernelIDF16_hLN4vllm18Fp8KVCacheDataTypeE1EDF16_Li16ELi64ELi256ELb0ELi15EEvPKT_PKT0_S7_ifPKiS9_S9_iPKfiiiPfSC_PS2_PT2_iSB_SB_, .Lfunc_end842-_Z39paged_attention_ll4mi_QKV_mfma16_kernelIDF16_hLN4vllm18Fp8KVCacheDataTypeE1EDF16_Li16ELi64ELi256ELb0ELi15EEvPKT_PKT0_S7_ifPKiS9_S9_iPKfiiiPfSC_PS2_PT2_iSB_SB_
                                        ; -- End function
	.section	.AMDGPU.csdata,"",@progbits
; Kernel info:
; codeLenInByte = 4640
; NumSgprs: 56
; NumVgprs: 58
; NumAgprs: 0
; TotalNumVgprs: 58
; ScratchSize: 0
; MemoryBound: 0
; FloatMode: 240
; IeeeMode: 1
; LDSByteSize: 8192 bytes/workgroup (compile time only)
; SGPRBlocks: 6
; VGPRBlocks: 7
; NumSGPRsForWavesPerEU: 56
; NumVGPRsForWavesPerEU: 58
; AccumOffset: 60
; Occupancy: 8
; WaveLimiterHint : 1
; COMPUTE_PGM_RSRC2:SCRATCH_EN: 0
; COMPUTE_PGM_RSRC2:USER_SGPR: 2
; COMPUTE_PGM_RSRC2:TRAP_HANDLER: 0
; COMPUTE_PGM_RSRC2:TGID_X_EN: 1
; COMPUTE_PGM_RSRC2:TGID_Y_EN: 1
; COMPUTE_PGM_RSRC2:TGID_Z_EN: 1
; COMPUTE_PGM_RSRC2:TIDIG_COMP_CNT: 0
; COMPUTE_PGM_RSRC3_GFX90A:ACCUM_OFFSET: 14
; COMPUTE_PGM_RSRC3_GFX90A:TG_SPLIT: 0
	.section	.text._Z39paged_attention_ll4mi_QKV_mfma16_kernelIDF16_hLN4vllm18Fp8KVCacheDataTypeE1EDF16_Li16ELi64ELi256ELb0ELi16EEvPKT_PKT0_S7_ifPKiS9_S9_iPKfiiiPfSC_PS2_PT2_iSB_SB_,"axG",@progbits,_Z39paged_attention_ll4mi_QKV_mfma16_kernelIDF16_hLN4vllm18Fp8KVCacheDataTypeE1EDF16_Li16ELi64ELi256ELb0ELi16EEvPKT_PKT0_S7_ifPKiS9_S9_iPKfiiiPfSC_PS2_PT2_iSB_SB_,comdat
	.protected	_Z39paged_attention_ll4mi_QKV_mfma16_kernelIDF16_hLN4vllm18Fp8KVCacheDataTypeE1EDF16_Li16ELi64ELi256ELb0ELi16EEvPKT_PKT0_S7_ifPKiS9_S9_iPKfiiiPfSC_PS2_PT2_iSB_SB_ ; -- Begin function _Z39paged_attention_ll4mi_QKV_mfma16_kernelIDF16_hLN4vllm18Fp8KVCacheDataTypeE1EDF16_Li16ELi64ELi256ELb0ELi16EEvPKT_PKT0_S7_ifPKiS9_S9_iPKfiiiPfSC_PS2_PT2_iSB_SB_
	.globl	_Z39paged_attention_ll4mi_QKV_mfma16_kernelIDF16_hLN4vllm18Fp8KVCacheDataTypeE1EDF16_Li16ELi64ELi256ELb0ELi16EEvPKT_PKT0_S7_ifPKiS9_S9_iPKfiiiPfSC_PS2_PT2_iSB_SB_
	.p2align	8
	.type	_Z39paged_attention_ll4mi_QKV_mfma16_kernelIDF16_hLN4vllm18Fp8KVCacheDataTypeE1EDF16_Li16ELi64ELi256ELb0ELi16EEvPKT_PKT0_S7_ifPKiS9_S9_iPKfiiiPfSC_PS2_PT2_iSB_SB_,@function
_Z39paged_attention_ll4mi_QKV_mfma16_kernelIDF16_hLN4vllm18Fp8KVCacheDataTypeE1EDF16_Li16ELi64ELi256ELb0ELi16EEvPKT_PKT0_S7_ifPKiS9_S9_iPKfiiiPfSC_PS2_PT2_iSB_SB_: ; @_Z39paged_attention_ll4mi_QKV_mfma16_kernelIDF16_hLN4vllm18Fp8KVCacheDataTypeE1EDF16_Li16ELi64ELi256ELb0ELi16EEvPKT_PKT0_S7_ifPKiS9_S9_iPKfiiiPfSC_PS2_PT2_iSB_SB_
; %bb.0:
	s_load_dwordx2 s[12:13], s[0:1], 0x30
	s_mov_b32 s28, s3
	s_mov_b64 s[6:7], 0
	s_waitcnt lgkmcnt(0)
	s_cmp_lg_u64 s[12:13], 0
	s_cselect_b64 s[14:15], -1, 0
	s_and_b64 vcc, exec, s[14:15]
	s_cbranch_vccz .LBB843_7
; %bb.1:
	s_add_i32 s8, s2, 1
	s_mov_b32 s9, 0
	s_lshl_b64 s[10:11], s[8:9], 2
	s_add_u32 s10, s12, s10
	s_mov_b32 s3, s9
	s_addc_u32 s11, s13, s11
	s_lshl_b64 s[8:9], s[2:3], 2
	s_add_u32 s8, s12, s8
	s_addc_u32 s9, s13, s9
	s_load_dword s5, s[10:11], 0x0
	s_load_dword s16, s[8:9], 0x0
	s_waitcnt lgkmcnt(0)
	s_sub_i32 s5, s5, s16
	s_cmp_eq_u32 s5, 1
	s_cselect_b64 s[8:9], -1, 0
	s_andn2_b64 vcc, exec, s[6:7]
	s_cbranch_vccnz .LBB843_3
.LBB843_2:
	s_mov_b32 s3, 0
	s_mov_b64 s[8:9], -1
.LBB843_3:
	s_andn2_b64 vcc, exec, s[8:9]
	s_cbranch_vccnz .LBB843_17
; %bb.4:
	s_load_dwordx2 s[6:7], s[0:1], 0x28
	s_lshl_b64 s[16:17], s[2:3], 2
	s_waitcnt lgkmcnt(0)
	s_add_u32 s6, s6, s16
	s_addc_u32 s7, s7, s17
	s_load_dword s48, s[6:7], 0x0
	s_lshl_b32 s5, s28, 8
	s_waitcnt lgkmcnt(0)
	s_cmp_ge_i32 s5, s48
	s_cbranch_scc1 .LBB843_17
; %bb.5:
	s_load_dwordx2 s[6:7], s[0:1], 0x20
	s_load_dword s8, s[0:1], 0x38
	s_add_i32 s9, s48, 15
	s_ashr_i32 s10, s9, 31
	v_and_b32_e32 v1, 0xcf, v0
	s_lshr_b32 s10, s10, 28
	v_add_u32_e32 v1, s5, v1
	s_add_i32 s9, s9, s10
	v_ashrrev_i32_e32 v2, 31, v1
	s_ashr_i32 s18, s9, 4
	v_lshrrev_b32_e32 v4, 28, v2
	s_add_i32 s18, s18, -1
	s_waitcnt lgkmcnt(0)
	s_mul_i32 s8, s2, s8
	s_mov_b32 s9, 0
	v_add_u32_e32 v2, v1, v4
	s_lshl_b64 s[8:9], s[8:9], 2
	v_ashrrev_i32_e32 v2, 4, v2
	v_mov_b32_e32 v5, s18
	v_cmp_gt_i32_e32 vcc, s48, v1
	s_add_u32 s6, s6, s8
	s_addc_u32 s7, s7, s9
	v_cndmask_b32_e32 v2, v5, v2, vcc
	v_ashrrev_i32_e32 v3, 31, v2
	v_lshl_add_u64 v[6:7], v[2:3], 2, s[6:7]
	v_or_b32_e32 v2, 16, v1
	v_add_u32_e32 v3, v2, v4
	v_ashrrev_i32_e32 v3, 4, v3
	v_cmp_gt_i32_e32 vcc, s48, v2
	s_load_dwordx4 s[8:11], s[0:1], 0x8
	s_nop 0
	v_cndmask_b32_e32 v2, v5, v3, vcc
	v_ashrrev_i32_e32 v3, 31, v2
	v_lshl_add_u64 v[8:9], v[2:3], 2, s[6:7]
	v_or_b32_e32 v2, 32, v1
	v_add_u32_e32 v3, v2, v4
	v_ashrrev_i32_e32 v3, 4, v3
	v_cmp_gt_i32_e32 vcc, s48, v2
	v_or_b32_e32 v1, 48, v1
	s_nop 0
	v_cndmask_b32_e32 v2, v5, v3, vcc
	v_ashrrev_i32_e32 v3, 31, v2
	v_lshl_add_u64 v[10:11], v[2:3], 2, s[6:7]
	v_add_u32_e32 v2, v1, v4
	v_ashrrev_i32_e32 v2, 4, v2
	v_cmp_gt_i32_e32 vcc, s48, v1
	s_nop 1
	v_cndmask_b32_e32 v2, v5, v2, vcc
	v_ashrrev_i32_e32 v3, 31, v2
	v_lshl_add_u64 v[12:13], v[2:3], 2, s[6:7]
	global_load_dword v4, v[6:7], off
	global_load_dword v3, v[8:9], off
	;; [unrolled: 1-line block ×4, first 2 shown]
	s_andn2_b64 vcc, exec, s[14:15]
	s_cbranch_vccnz .LBB843_8
; %bb.6:
	s_add_u32 s12, s12, s16
	s_addc_u32 s13, s13, s17
	s_load_dword s14, s[12:13], 0x0
	s_branch .LBB843_9
.LBB843_7:
	s_mov_b64 s[8:9], 0
	s_branch .LBB843_2
.LBB843_8:
	s_mov_b32 s14, s2
.LBB843_9:
	s_load_dwordx4 s[44:47], s[0:1], 0x48
	v_and_b32_e32 v43, 15, v0
	s_movk_i32 s12, 0x100
	v_lshlrev_b32_e32 v5, 3, v43
	v_cmp_gt_u32_e32 vcc, s12, v0
	v_cmp_gt_u32_e64 s[30:31], 8, v43
	v_lshrrev_b32_e32 v41, 6, v0
	v_and_b32_e32 v42, 63, v0
	v_bfe_u32 v1, v0, 4, 2
	s_lshl_b32 s29, s4, 4
	s_and_b64 s[16:17], vcc, s[30:31]
	v_lshlrev_b32_e32 v26, 1, v5
	v_lshlrev_b32_e32 v40, 4, v0
	s_and_saveexec_b64 s[12:13], s[16:17]
	s_cbranch_execz .LBB843_11
; %bb.10:
	s_load_dwordx2 s[16:17], s[0:1], 0x0
	s_waitcnt lgkmcnt(0)
	s_ashr_i32 s15, s44, 31
	s_mul_hi_u32 s19, s14, s44
	s_mul_i32 s15, s14, s15
	s_add_i32 s15, s19, s15
	s_mul_i32 s14, s14, s44
	v_lshl_or_b32 v5, v41, 2, v1
	s_lshl_b64 s[14:15], s[14:15], 1
	s_add_u32 s14, s16, s14
	v_add_lshl_u32 v6, v5, s29, 6
	s_addc_u32 s15, s17, s15
	v_ashrrev_i32_e32 v7, 31, v6
	v_lshl_add_u64 v[6:7], v[6:7], 1, s[14:15]
	v_mov_b32_e32 v27, 0
	v_lshl_add_u64 v[6:7], v[6:7], 0, v[26:27]
	global_load_dwordx4 v[6:9], v[6:7], off
	v_lshlrev_b32_e32 v11, 8, v43
	v_lshlrev_b32_e32 v5, 5, v5
	v_and_b32_e32 v10, 16, v40
	v_and_b32_e32 v11, 0xe00, v11
	v_or3_b32 v5, v11, v5, v10
	s_waitcnt vmcnt(0)
	ds_write_b128 v5, v[6:9]
.LBB843_11:
	s_or_b64 exec, exec, s[12:13]
	s_waitcnt lgkmcnt(0)
	s_mul_i32 s4, s4, s46
	s_add_u32 s8, s8, s4
	s_addc_u32 s9, s9, 0
	v_and_b32_e32 v8, 48, v0
	v_and_b32_e32 v28, 0xf0, v40
	v_mov_b32_e32 v29, 0
	v_lshl_add_u64 v[6:7], s[8:9], 0, v[28:29]
	v_lshlrev_b32_e32 v28, 4, v8
	v_lshl_add_u64 v[16:17], v[6:7], 0, v[28:29]
	s_waitcnt vmcnt(3)
	v_mad_i64_i32 v[4:5], s[8:9], v4, s45, v[16:17]
	s_load_dword s33, s[0:1], 0x98
	s_load_dwordx4 s[40:43], s[0:1], 0x80
	s_waitcnt lgkmcnt(0)
	s_barrier
	global_load_dwordx4 v[22:25], v[4:5], off
	s_waitcnt vmcnt(3)
	v_mad_i64_i32 v[4:5], s[8:9], v3, s45, v[16:17]
	global_load_dwordx4 v[18:21], v[4:5], off
	v_or_b32_e32 v15, s5, v8
	v_mov_b32_e32 v28, s18
	v_ashrrev_i32_e32 v3, 4, v15
	v_cmp_gt_i32_e32 vcc, s48, v15
	v_or_b32_e32 v30, 64, v15
	v_lshlrev_b32_e32 v44, 5, v43
	v_cndmask_b32_e32 v4, v28, v3, vcc
	s_waitcnt vmcnt(3)
	v_mad_i64_i32 v[2:3], s[8:9], v2, s45, v[16:17]
	global_load_dwordx4 v[10:13], v[2:3], off
	v_ashrrev_i32_e32 v5, 31, v4
	v_or_b32_e32 v32, 0x80, v15
	v_or_b32_e32 v33, 0xc0, v15
	v_ashrrev_i32_e32 v15, 4, v30
	v_cmp_gt_i32_e32 vcc, s48, v30
	v_lshl_add_u64 v[4:5], v[4:5], 2, s[6:7]
	v_lshl_or_b32 v27, v1, 9, v44
	v_cndmask_b32_e32 v30, v28, v15, vcc
	s_waitcnt vmcnt(3)
	v_mad_i64_i32 v[14:15], s[12:13], v14, s45, v[16:17]
	global_load_dword v58, v[4:5], off
	ds_read_b128 v[6:9], v27
	ds_read_b128 v[2:5], v27 offset:16
	global_load_dwordx4 v[14:17], v[14:15], off
	v_ashrrev_i32_e32 v34, 4, v32
	v_cmp_gt_i32_e32 vcc, s48, v32
	v_lshlrev_b32_e32 v31, 4, v43
	v_ashrrev_i32_e32 v35, 4, v33
	v_cndmask_b32_e32 v32, v28, v34, vcc
	v_cmp_gt_i32_e32 vcc, s48, v33
	v_ashrrev_i32_e32 v33, 31, v32
	v_lshl_add_u64 v[32:33], v[32:33], 2, s[6:7]
	v_cndmask_b32_e32 v34, v28, v35, vcc
	v_lshl_or_b32 v28, v41, 8, v31
	v_ashrrev_i32_e32 v31, 31, v30
	v_ashrrev_i32_e32 v35, 31, v34
	v_lshl_add_u64 v[30:31], v[30:31], 2, s[6:7]
	s_add_u32 s8, s10, s4
	s_load_dword s4, s[40:41], 0x0
	v_lshl_add_u64 v[34:35], v[34:35], 2, s[6:7]
	global_load_dword v47, v[30:31], off
	global_load_dword v45, v[32:33], off
	;; [unrolled: 1-line block ×3, first 2 shown]
	s_load_dword s14, s[0:1], 0x1c
	s_mov_b32 s44, 0xff7fffff
	s_addc_u32 s9, s11, 0
	v_lshl_add_u64 v[28:29], s[8:9], 0, v[28:29]
	s_waitcnt lgkmcnt(0)
	v_mov_b32_e32 v59, s14
	s_waitcnt vmcnt(7)
	v_cvt_pk_f32_fp8_e32 v[30:31], v22
	v_cvt_pk_f32_fp8_sdwa v[32:33], v22 src0_sel:WORD_1
	v_cvt_pk_f32_fp8_e32 v[34:35], v23
	v_cvt_pk_f32_fp8_sdwa v[36:37], v23 src0_sel:WORD_1
	v_cvt_pkrtz_f16_f32 v30, v30, v31
	v_cvt_pkrtz_f16_f32 v31, v32, v33
	s_waitcnt vmcnt(6)
	v_cvt_pk_f32_fp8_e32 v[22:23], v18
	v_cvt_pk_f32_fp8_sdwa v[52:53], v18 src0_sel:WORD_1
	v_cvt_pkrtz_f16_f32 v34, v34, v35
	v_cvt_pkrtz_f16_f32 v35, v36, v37
	v_cvt_pk_f32_fp8_e32 v[38:39], v24
	v_cvt_pk_f32_fp8_sdwa v[48:49], v24 src0_sel:WORD_1
	v_cvt_pk_f32_fp8_e32 v[50:51], v25
	v_cvt_pk_f32_fp8_sdwa v[54:55], v25 src0_sel:WORD_1
	v_cvt_pkrtz_f16_f32 v32, v22, v23
	v_mfma_f32_16x16x16_f16 v[22:25], v[30:31], v[6:7], 0
	v_cvt_pk_f32_fp8_e32 v[56:57], v19
	v_cvt_pkrtz_f16_f32 v33, v52, v53
	v_cvt_pk_f32_fp8_sdwa v[18:19], v19 src0_sel:WORD_1
	v_mfma_f32_16x16x16_f16 v[22:25], v[34:35], v[8:9], v[22:25]
	v_cvt_pkrtz_f16_f32 v34, v38, v39
	v_cvt_pkrtz_f16_f32 v35, v48, v49
	v_cvt_pk_f32_fp8_e32 v[36:37], v20
	v_cvt_pkrtz_f16_f32 v52, v56, v57
	v_cvt_pkrtz_f16_f32 v53, v18, v19
	v_cvt_pk_f32_fp8_sdwa v[18:19], v20 src0_sel:WORD_1
	v_mfma_f32_16x16x16_f16 v[30:33], v[32:33], v[6:7], 0
	v_cvt_pkrtz_f16_f32 v36, v36, v37
	v_cvt_pk_f32_fp8_e32 v[38:39], v21
	v_cvt_pkrtz_f16_f32 v37, v18, v19
	v_mfma_f32_16x16x16_f16 v[22:25], v[34:35], v[2:3], v[22:25]
	v_cvt_pkrtz_f16_f32 v34, v50, v51
	v_cvt_pkrtz_f16_f32 v35, v54, v55
	v_cvt_pk_f32_fp8_sdwa v[18:19], v21 src0_sel:WORD_1
	v_mfma_f32_16x16x16_f16 v[30:33], v[52:53], v[8:9], v[30:33]
	v_cvt_pkrtz_f16_f32 v38, v38, v39
	v_mul_f32_e32 v52, s4, v59
	v_cvt_pkrtz_f16_f32 v39, v18, v19
	v_mfma_f32_16x16x16_f16 v[30:33], v[36:37], v[2:3], v[30:33]
	s_waitcnt vmcnt(5)
	v_cvt_pk_f32_fp8_e32 v[18:19], v10
	s_waitcnt vmcnt(4)
	v_mad_i64_i32 v[20:21], s[6:7], v58, s45, v[28:29]
	v_mfma_f32_16x16x16_f16 v[34:37], v[34:35], v[4:5], v[22:25]
	v_cvt_pkrtz_f16_f32 v18, v18, v19
	s_nop 1
	v_cvt_pk_f32_fp8_sdwa v[22:23], v10 src0_sel:WORD_1
	v_cvt_pk_f32_fp8_e32 v[24:25], v11
	v_cvt_pk_f32_fp8_sdwa v[10:11], v11 src0_sel:WORD_1
	v_mfma_f32_16x16x16_f16 v[48:51], v[38:39], v[4:5], v[30:33]
	v_cvt_pkrtz_f16_f32 v19, v22, v23
	v_cvt_pk_f32_fp8_sdwa v[38:39], v12 src0_sel:WORD_1
	s_nop 0
	v_cvt_pkrtz_f16_f32 v30, v24, v25
	v_cvt_pk_f32_fp8_e32 v[32:33], v12
	v_cvt_pkrtz_f16_f32 v31, v10, v11
	v_mfma_f32_16x16x16_f16 v[22:25], v[18:19], v[6:7], 0
	v_cvt_pkrtz_f16_f32 v19, v38, v39
	v_cvt_pkrtz_f16_f32 v18, v32, v33
	v_cvt_pk_f32_fp8_e32 v[32:33], v13
	v_cvt_pk_f32_fp8_sdwa v[38:39], v13 src0_sel:WORD_1
	v_mfma_f32_16x16x16_f16 v[10:13], v[30:31], v[8:9], v[22:25]
	s_waitcnt vmcnt(3)
	v_cvt_pk_f32_fp8_sdwa v[30:31], v14 src0_sel:WORD_1
	s_nop 0
	v_cvt_pkrtz_f16_f32 v24, v32, v33
	v_cvt_pkrtz_f16_f32 v25, v38, v39
	v_mfma_f32_16x16x16_f16 v[10:13], v[18:19], v[2:3], v[10:13]
	v_cvt_pk_f32_fp8_e32 v[18:19], v14
	v_cvt_pk_f32_fp8_sdwa v[38:39], v16 src0_sel:WORD_1
	v_pk_mul_f32 v[22:23], v[52:53], v[36:37] op_sel_hi:[0,1]
	v_mfma_f32_16x16x16_f16 v[10:13], v[24:25], v[4:5], v[10:13]
	v_cvt_pk_f32_fp8_e32 v[24:25], v15
	v_cvt_pkrtz_f16_f32 v18, v18, v19
	v_cvt_pkrtz_f16_f32 v19, v30, v31
	v_cvt_pk_f32_fp8_sdwa v[14:15], v15 src0_sel:WORD_1
	v_cvt_pkrtz_f16_f32 v24, v24, v25
	v_cvt_pk_f32_fp8_e32 v[30:31], v16
	v_pk_mul_f32 v[32:33], v[52:53], v[34:35] op_sel_hi:[0,1]
	v_cvt_pkrtz_f16_f32 v25, v14, v15
	v_mfma_f32_16x16x16_f16 v[34:37], v[18:19], v[6:7], 0
	v_cvt_pkrtz_f16_f32 v14, v30, v31
	v_cvt_pkrtz_f16_f32 v15, v38, v39
	v_cvt_pk_f32_fp8_e32 v[18:19], v17
	v_cvt_pk_f32_fp8_sdwa v[16:17], v17 src0_sel:WORD_1
	v_mfma_f32_16x16x16_f16 v[6:9], v[24:25], v[8:9], v[34:37]
	v_pk_mul_f32 v[38:39], v[52:53], v[48:49] op_sel_hi:[0,1]
	v_cvt_pkrtz_f16_f32 v18, v18, v19
	v_cvt_pkrtz_f16_f32 v19, v16, v17
	v_mfma_f32_16x16x16_f16 v[6:9], v[14:15], v[2:3], v[6:9]
	v_pk_mul_f32 v[34:35], v[52:53], v[50:51] op_sel_hi:[0,1]
	v_pk_mul_f32 v[36:37], v[52:53], v[10:11] op_sel_hi:[0,1]
	;; [unrolled: 1-line block ×3, first 2 shown]
	v_mfma_f32_16x16x16_f16 v[2:5], v[18:19], v[4:5], v[6:9]
	s_nop 6
	v_pk_mul_f32 v[24:25], v[52:53], v[2:3] op_sel_hi:[0,1]
	v_and_b32_e32 v2, 0xc0, v0
	v_add_u32_e32 v2, s5, v2
	v_lshl_or_b32 v2, v1, 2, v2
	v_pk_mul_f32 v[18:19], v[52:53], v[4:5] op_sel_hi:[0,1]
	v_or_b32_e32 v5, 1, v2
	v_mov_b32_e32 v3, 0xff7fffff
	v_cmp_gt_i32_e64 s[4:5], s48, v2
	v_cmp_gt_i32_e64 s[34:35], s48, v5
	v_or_b32_e32 v6, 3, v2
	v_cndmask_b32_e64 v4, v3, v32, s[4:5]
	v_cndmask_b32_e64 v5, v3, v33, s[34:35]
	v_max3_f32 v4, v4, s44, v5
	v_or_b32_e32 v5, 2, v2
	v_cmp_gt_i32_e64 s[36:37], s48, v5
	v_cmp_gt_i32_e64 s[38:39], s48, v6
	s_nop 0
	v_cndmask_b32_e64 v5, v3, v22, s[36:37]
	v_cndmask_b32_e64 v6, v3, v23, s[38:39]
	v_max3_f32 v4, v4, v5, v6
	v_or_b32_e32 v5, 16, v2
	v_or_b32_e32 v6, 17, v2
	v_cmp_gt_i32_e64 s[24:25], s48, v5
	v_cmp_gt_i32_e64 s[26:27], s48, v6
	s_nop 0
	v_cndmask_b32_e64 v5, v3, v38, s[24:25]
	v_cndmask_b32_e64 v6, v3, v39, s[26:27]
	v_max3_f32 v4, v4, v5, v6
	v_or_b32_e32 v5, 18, v2
	;; [unrolled: 8-line block ×6, first 2 shown]
	v_or_b32_e32 v2, 51, v2
	v_cmp_gt_i32_e32 vcc, s48, v5
	v_cmp_gt_i32_e64 s[6:7], s48, v2
	s_nop 0
	v_cndmask_b32_e32 v5, v3, v18, vcc
	v_cndmask_b32_e64 v2, v3, v19, s[6:7]
	v_max3_f32 v4, v4, v5, v2
	v_mbcnt_lo_u32_b32 v2, -1, 0
	v_mbcnt_hi_u32_b32 v5, -1, v2
	v_and_b32_e32 v2, 64, v5
	v_add_u32_e32 v6, 64, v2
	v_xor_b32_e32 v2, 32, v5
	v_cmp_lt_i32_e64 s[40:41], v2, v6
	s_nop 1
	v_cndmask_b32_e64 v2, v5, v2, s[40:41]
	v_lshlrev_b32_e32 v48, 2, v2
	ds_bpermute_b32 v7, v48, v4
	s_waitcnt vmcnt(2)
	v_mad_i64_i32 v[2:3], s[40:41], v47, s45, v[28:29]
	global_load_dwordx4 v[14:17], v[20:21], off
	global_load_dwordx4 v[10:13], v[2:3], off
	v_xor_b32_e32 v3, 16, v5
	v_cmp_lt_i32_e64 s[40:41], v3, v6
	s_waitcnt lgkmcnt(0)
	v_max_f32_e32 v2, v7, v7
	v_max_f32_e32 v2, v4, v2
	v_cndmask_b32_e64 v3, v5, v3, s[40:41]
	v_lshlrev_b32_e32 v47, 2, v3
	ds_bpermute_b32 v3, v47, v2
	s_waitcnt vmcnt(3)
	v_mad_i64_i32 v[20:21], s[40:41], v45, s45, v[28:29]
	s_waitcnt vmcnt(2)
	v_mad_i64_i32 v[28:29], s[40:41], v46, s45, v[28:29]
	s_waitcnt lgkmcnt(0)
	v_max_f32_e32 v3, v3, v3
	v_max_f32_e32 v45, v2, v3
	v_sub_f32_e32 v2, v32, v45
	v_mul_f32_e32 v2, 0x3fb8aa3b, v2
	v_exp_f32_e32 v32, v2
	v_sub_f32_e32 v2, v33, v45
	v_mul_f32_e32 v2, 0x3fb8aa3b, v2
	v_exp_f32_e32 v33, v2
	global_load_dwordx4 v[6:9], v[20:21], off
	global_load_dwordx4 v[2:5], v[28:29], off
	v_sub_f32_e32 v22, v22, v45
	v_mul_f32_e32 v22, 0x3fb8aa3b, v22
	v_sub_f32_e32 v23, v23, v45
	v_exp_f32_e32 v22, v22
	v_mul_f32_e32 v23, 0x3fb8aa3b, v23
	v_exp_f32_e32 v23, v23
	v_cndmask_b32_e64 v20, 0, v32, s[4:5]
	v_add_f32_e32 v28, 0, v20
	v_cndmask_b32_e64 v21, 0, v33, s[34:35]
	v_add_f32_e32 v28, v28, v21
	;; [unrolled: 2-line block ×3, first 2 shown]
	v_cndmask_b32_e64 v33, 0, v23, s[38:39]
	v_sub_f32_e32 v23, v38, v45
	v_sub_f32_e32 v28, v39, v45
	v_mul_f32_e32 v23, 0x3fb8aa3b, v23
	v_mul_f32_e32 v28, 0x3fb8aa3b, v28
	v_exp_f32_e32 v23, v23
	v_exp_f32_e32 v28, v28
	v_add_f32_e32 v29, v22, v33
	v_sub_f32_e32 v30, v30, v45
	v_cndmask_b32_e64 v22, 0, v23, s[24:25]
	v_cndmask_b32_e64 v23, 0, v28, s[26:27]
	v_sub_f32_e32 v28, v34, v45
	v_mul_f32_e32 v28, 0x3fb8aa3b, v28
	v_exp_f32_e32 v28, v28
	v_sub_f32_e32 v34, v35, v45
	v_add_f32_e32 v29, v29, v22
	v_mul_f32_e32 v34, 0x3fb8aa3b, v34
	v_exp_f32_e32 v35, v34
	v_add_f32_e32 v29, v29, v23
	v_cndmask_b32_e64 v34, 0, v28, s[20:21]
	v_add_f32_e32 v28, v29, v34
	v_sub_f32_e32 v29, v36, v45
	v_mul_f32_e32 v29, 0x3fb8aa3b, v29
	v_sub_f32_e32 v36, v37, v45
	v_exp_f32_e32 v29, v29
	v_mul_f32_e32 v36, 0x3fb8aa3b, v36
	v_exp_f32_e32 v36, v36
	v_mul_f32_e32 v30, 0x3fb8aa3b, v30
	v_sub_f32_e32 v31, v31, v45
	v_exp_f32_e32 v30, v30
	v_mul_f32_e32 v31, 0x3fb8aa3b, v31
	v_sub_f32_e32 v24, v24, v45
	v_cndmask_b32_e64 v35, 0, v35, s[22:23]
	v_exp_f32_e32 v31, v31
	v_mul_f32_e32 v24, 0x3fb8aa3b, v24
	v_sub_f32_e32 v25, v25, v45
	v_add_f32_e32 v37, v28, v35
	v_cndmask_b32_e64 v28, 0, v29, s[16:17]
	v_exp_f32_e32 v24, v24
	v_mul_f32_e32 v25, 0x3fb8aa3b, v25
	v_sub_f32_e32 v18, v18, v45
	v_add_f32_e32 v37, v37, v28
	;; [unrolled: 5-line block ×3, first 2 shown]
	v_cndmask_b32_e64 v30, 0, v30, s[12:13]
	v_exp_f32_e32 v18, v18
	v_mul_f32_e32 v19, 0x3fb8aa3b, v19
	v_add_f32_e32 v36, v36, v30
	v_cndmask_b32_e64 v31, 0, v31, s[14:15]
	v_exp_f32_e32 v19, v19
	v_add_f32_e32 v36, v36, v31
	v_cndmask_b32_e64 v24, 0, v24, s[8:9]
	v_add_f32_e32 v36, v36, v24
	v_cndmask_b32_e64 v25, 0, v25, s[10:11]
	v_add_f32_e32 v36, v36, v25
	v_cndmask_b32_e32 v18, 0, v18, vcc
	v_add_f32_e32 v36, v36, v18
	v_cndmask_b32_e64 v19, 0, v19, s[6:7]
	v_add_f32_e32 v36, v36, v19
	ds_bpermute_b32 v37, v48, v36
	v_cmp_gt_u32_e32 vcc, 16, v42
	s_waitcnt lgkmcnt(0)
	s_barrier
	v_add_f32_e32 v36, v36, v37
	ds_bpermute_b32 v38, v47, v36
	v_lshlrev_b32_e32 v37, 2, v43
	s_and_saveexec_b64 s[4:5], vcc
	s_cbranch_execz .LBB843_13
; %bb.12:
	s_waitcnt lgkmcnt(0)
	v_add_f32_e32 v36, v36, v38
	v_lshl_or_b32 v38, v41, 6, v37
	ds_write2st64_b32 v38, v45, v36 offset1:1
.LBB843_13:
	s_or_b64 exec, exec, s[4:5]
	s_load_dword s6, s[0:1], 0x94
	s_waitcnt lgkmcnt(0)
	s_barrier
	ds_read2_b32 v[38:39], v37 offset1:16
	ds_read2_b32 v[42:43], v37 offset0:32 offset1:48
	ds_read2_b32 v[46:47], v37 offset0:64 offset1:80
	s_lshl_b32 s7, s33, 4
	s_waitcnt lgkmcnt(2)
	v_max3_f32 v36, v38, s44, v39
	s_waitcnt lgkmcnt(1)
	v_max3_f32 v36, v36, v42, v43
	v_sub_f32_e32 v38, v38, v36
	v_mul_f32_e32 v38, 0x3fb8aa3b, v38
	v_exp_f32_e32 v45, v38
	v_sub_f32_e32 v38, v39, v36
	v_mul_f32_e32 v38, 0x3fb8aa3b, v38
	v_exp_f32_e32 v48, v38
	;; [unrolled: 3-line block ×3, first 2 shown]
	ds_read2_b32 v[38:39], v37 offset0:96 offset1:112
	v_sub_f32_e32 v37, v43, v36
	v_mul_f32_e32 v37, 0x3fb8aa3b, v37
	v_exp_f32_e32 v43, v37
	s_waitcnt lgkmcnt(1)
	v_fma_f32 v37, v45, v46, 0
	v_fmac_f32_e32 v37, v48, v47
	s_waitcnt lgkmcnt(0)
	v_fmac_f32_e32 v37, v42, v38
	v_fmac_f32_e32 v37, v43, v39
	v_add_f32_e32 v38, 0x358637bd, v37
	v_div_scale_f32 v39, s[4:5], v38, v38, 1.0
	v_rcp_f32_e32 v46, v39
	s_barrier
	v_fma_f32 v47, -v39, v46, 1.0
	v_fmac_f32_e32 v46, v47, v46
	v_div_scale_f32 v47, vcc, 1.0, v38, 1.0
	v_mul_f32_e32 v49, v47, v46
	v_fma_f32 v50, -v39, v49, v47
	v_fmac_f32_e32 v49, v50, v46
	v_fma_f32 v39, -v39, v49, v47
	v_div_fmas_f32 v39, v39, v46, v49
	v_cmp_eq_u32_e32 vcc, 1, v41
	v_div_fixup_f32 v38, v39, v38, 1.0
	s_nop 0
	v_cndmask_b32_e32 v39, v45, v48, vcc
	v_cmp_eq_u32_e32 vcc, 2, v41
	s_nop 1
	v_cndmask_b32_e32 v39, v39, v42, vcc
	v_cmp_eq_u32_e32 vcc, 3, v41
	s_nop 1
	v_cndmask_b32_e32 v39, v39, v43, vcc
	v_mul_f32_e32 v38, v39, v38
	v_pk_mul_f32 v[32:33], v[38:39], v[32:33] op_sel_hi:[0,1]
	v_pk_mul_f32 v[20:21], v[38:39], v[20:21] op_sel_hi:[0,1]
	v_cvt_f16_f32_e32 v39, v32
	v_cvt_f16_f32_e32 v33, v33
	;; [unrolled: 1-line block ×4, first 2 shown]
	v_cmp_gt_u32_e32 vcc, 16, v0
	v_pack_b32_f16 v33, v39, v33
	v_lshlrev_b32_e32 v39, 3, v1
	v_pack_b32_f16 v32, v20, v21
	v_pk_mul_f32 v[20:21], v[38:39], v[34:35] op_sel_hi:[0,1]
	v_pk_mul_f32 v[22:23], v[38:39], v[22:23] op_sel_hi:[0,1]
	v_cvt_f16_f32_e32 v22, v22
	v_cvt_f16_f32_e32 v23, v23
	;; [unrolled: 1-line block ×4, first 2 shown]
	v_lshlrev_b32_e32 v20, 11, v41
	v_or3_b32 v20, v20, v44, v39
	v_pack_b32_f16 v22, v22, v23
	v_pack_b32_f16 v23, v34, v21
	ds_write2st64_b64 v20, v[32:33], v[22:23] offset1:1
	v_pk_mul_f32 v[22:23], v[38:39], v[30:31] op_sel_hi:[0,1]
	v_pk_mul_f32 v[28:29], v[38:39], v[28:29] op_sel_hi:[0,1]
	v_cvt_f16_f32_e32 v21, v28
	v_cvt_f16_f32_e32 v28, v29
	;; [unrolled: 1-line block ×4, first 2 shown]
	v_pk_mul_f32 v[18:19], v[38:39], v[18:19] op_sel_hi:[0,1]
	v_pk_mul_f32 v[22:23], v[38:39], v[24:25] op_sel_hi:[0,1]
	v_cvt_f16_f32_e32 v22, v22
	v_cvt_f16_f32_e32 v23, v23
	;; [unrolled: 1-line block ×4, first 2 shown]
	v_pack_b32_f16 v18, v21, v28
	v_pack_b32_f16 v19, v29, v30
	;; [unrolled: 1-line block ×4, first 2 shown]
	ds_write2st64_b64 v20, v[18:19], v[22:23] offset0:2 offset1:3
	s_and_saveexec_b64 s[4:5], vcc
	s_cbranch_execz .LBB843_15
; %bb.14:
	v_or_b32_e32 v18, s29, v0
	v_mov_b32_e32 v19, 0
	v_mov_b32_e32 v21, s7
	v_mad_u64_u32 v[22:23], s[12:13], s2, v21, v[18:19]
	v_mov_b32_e32 v18, s28
	s_load_dwordx4 s[8:11], s[0:1], 0x58
	s_mul_i32 s3, s3, s7
	v_mad_u64_u32 v[18:19], s[12:13], v22, s6, v[18:19]
	v_add_u32_e32 v21, s3, v23
	v_mov_b32_e32 v22, v19
	v_mad_u64_u32 v[22:23], s[12:13], v21, s6, v[22:23]
	v_mov_b32_e32 v19, v22
	v_lshlrev_b64 v[18:19], 2, v[18:19]
	s_waitcnt lgkmcnt(0)
	v_lshl_add_u64 v[22:23], s[10:11], 0, v[18:19]
	v_lshl_add_u64 v[18:19], s[8:9], 0, v[18:19]
	global_store_dword v[22:23], v36, off
	global_store_dword v[18:19], v37, off
.LBB843_15:
	s_or_b64 exec, exec, s[4:5]
	s_waitcnt vmcnt(3)
	v_cvt_pk_f32_fp8_e32 v[18:19], v14
	v_cvt_pk_f32_fp8_sdwa v[22:23], v14 src0_sel:WORD_1
	v_cvt_pk_f32_fp8_e32 v[24:25], v15
	s_waitcnt lgkmcnt(0)
	s_barrier
	v_cvt_pkrtz_f16_f32 v14, v18, v19
	v_cvt_pk_f32_fp8_sdwa v[18:19], v15 src0_sel:WORD_1
	v_cvt_pkrtz_f16_f32 v15, v22, v23
	v_cvt_pkrtz_f16_f32 v36, v24, v25
	ds_read_b128 v[22:25], v27
	ds_read_b128 v[28:31], v27 offset:16
	v_cvt_pkrtz_f16_f32 v37, v18, v19
	v_cvt_pk_f32_fp8_e32 v[18:19], v16
	v_cvt_pk_f32_fp8_sdwa v[38:39], v16 src0_sel:WORD_1
	s_waitcnt lgkmcnt(1)
	v_mfma_f32_16x16x16_f16 v[32:35], v[14:15], v[22:23], 0
	s_load_dword s4, s[42:43], 0x0
	v_cvt_pkrtz_f16_f32 v14, v18, v19
	v_cvt_pkrtz_f16_f32 v15, v38, v39
	v_cvt_pk_f32_fp8_e32 v[18:19], v17
	v_mfma_f32_16x16x16_f16 v[22:25], v[36:37], v[24:25], v[32:35]
	v_cmp_gt_u32_e32 vcc, 64, v0
	s_mov_b32 s3, 0
	v_cvt_pkrtz_f16_f32 v18, v18, v19
	v_cvt_pk_f32_fp8_sdwa v[32:33], v17 src0_sel:WORD_1
	s_waitcnt lgkmcnt(0)
	v_mfma_f32_16x16x16_f16 v[14:17], v[14:15], v[28:29], v[22:25]
	s_waitcnt vmcnt(2)
	v_cvt_pk_f32_fp8_sdwa v[28:29], v11 src0_sel:WORD_1
	v_cvt_pk_f32_fp8_sdwa v[34:35], v12 src0_sel:WORD_1
	v_cvt_pkrtz_f16_f32 v19, v32, v33
	v_cvt_pk_f32_fp8_e32 v[22:23], v10
	v_cvt_pk_f32_fp8_e32 v[24:25], v11
	v_mfma_f32_16x16x16_f16 v[14:17], v[18:19], v[30:31], v[14:17]
	v_cvt_pk_f32_fp8_sdwa v[18:19], v10 src0_sel:WORD_1
	v_cvt_pkrtz_f16_f32 v10, v22, v23
	v_cvt_pk_f32_fp8_e32 v[32:33], v12
	v_cvt_pkrtz_f16_f32 v11, v18, v19
	v_cvt_pkrtz_f16_f32 v18, v24, v25
	ds_read_b128 v[22:25], v27 offset:2048
	v_cvt_pkrtz_f16_f32 v19, v28, v29
	ds_read_b128 v[28:31], v27 offset:2064
	s_waitcnt lgkmcnt(1)
	v_mfma_f32_16x16x16_f16 v[14:17], v[10:11], v[22:23], v[14:17]
	v_cvt_pkrtz_f16_f32 v10, v32, v33
	v_cvt_pkrtz_f16_f32 v11, v34, v35
	v_cvt_pk_f32_fp8_e32 v[22:23], v13
	v_mfma_f32_16x16x16_f16 v[14:17], v[18:19], v[24:25], v[14:17]
	v_cvt_pk_f32_fp8_sdwa v[18:19], v13 src0_sel:WORD_1
	v_cvt_pkrtz_f16_f32 v22, v22, v23
	s_waitcnt lgkmcnt(0)
	v_mfma_f32_16x16x16_f16 v[10:13], v[10:11], v[28:29], v[14:17]
	v_cvt_pkrtz_f16_f32 v23, v18, v19
	s_waitcnt vmcnt(1)
	v_cvt_pk_f32_fp8_e32 v[18:19], v7
	v_cvt_pk_f32_fp8_e32 v[28:29], v8
	;; [unrolled: 1-line block ×3, first 2 shown]
	v_cvt_pk_f32_fp8_sdwa v[16:17], v6 src0_sel:WORD_1
	v_mfma_f32_16x16x16_f16 v[10:13], v[22:23], v[30:31], v[10:13]
	v_cvt_pk_f32_fp8_sdwa v[22:23], v7 src0_sel:WORD_1
	v_cvt_pkrtz_f16_f32 v6, v14, v15
	v_cvt_pkrtz_f16_f32 v7, v16, v17
	ds_read_b128 v[14:17], v27 offset:4096
	v_cvt_pkrtz_f16_f32 v18, v18, v19
	v_cvt_pkrtz_f16_f32 v19, v22, v23
	ds_read_b128 v[22:25], v27 offset:4112
	v_cvt_pk_f32_fp8_sdwa v[30:31], v8 src0_sel:WORD_1
	s_waitcnt lgkmcnt(1)
	v_mfma_f32_16x16x16_f16 v[10:13], v[6:7], v[14:15], v[10:13]
	v_cvt_pkrtz_f16_f32 v6, v28, v29
	v_cvt_pk_f32_fp8_e32 v[14:15], v9
	v_cvt_pkrtz_f16_f32 v7, v30, v31
	v_mfma_f32_16x16x16_f16 v[10:13], v[18:19], v[16:17], v[10:13]
	v_cvt_pk_f32_fp8_sdwa v[16:17], v9 src0_sel:WORD_1
	v_cvt_pkrtz_f16_f32 v14, v14, v15
	v_cvt_pkrtz_f16_f32 v15, v16, v17
	s_waitcnt lgkmcnt(0)
	v_mfma_f32_16x16x16_f16 v[6:9], v[6:7], v[22:23], v[10:13]
	s_waitcnt vmcnt(0)
	v_cvt_pk_f32_fp8_sdwa v[16:17], v3 src0_sel:WORD_1
	v_cvt_pk_f32_fp8_e32 v[22:23], v4
	v_cvt_pkrtz_f16_f32 v19, v16, v17
	v_cvt_pk_f32_fp8_e32 v[10:11], v2
	v_cvt_pk_f32_fp8_sdwa v[12:13], v2 src0_sel:WORD_1
	v_mfma_f32_16x16x16_f16 v[6:9], v[14:15], v[24:25], v[6:9]
	v_cvt_pk_f32_fp8_e32 v[14:15], v3
	v_cvt_pkrtz_f16_f32 v2, v10, v11
	v_cvt_pkrtz_f16_f32 v3, v12, v13
	ds_read_b128 v[10:13], v27 offset:6144
	v_cvt_pkrtz_f16_f32 v18, v14, v15
	ds_read_b128 v[14:17], v27 offset:6160
	v_cvt_pk_f32_fp8_sdwa v[24:25], v4 src0_sel:WORD_1
	s_waitcnt lgkmcnt(1)
	v_mfma_f32_16x16x16_f16 v[6:9], v[2:3], v[10:11], v[6:9]
	v_cvt_pkrtz_f16_f32 v2, v22, v23
	v_cvt_pkrtz_f16_f32 v3, v24, v25
	v_cvt_pk_f32_fp8_e32 v[10:11], v5
	v_mfma_f32_16x16x16_f16 v[6:9], v[18:19], v[12:13], v[6:9]
	v_cvt_pk_f32_fp8_sdwa v[12:13], v5 src0_sel:WORD_1
	v_mov_b32_e32 v27, 0
	v_cvt_pkrtz_f16_f32 v10, v10, v11
	s_waitcnt lgkmcnt(0)
	v_mfma_f32_16x16x16_f16 v[2:5], v[2:3], v[14:15], v[6:9]
	v_cvt_pkrtz_f16_f32 v11, v12, v13
	s_barrier
	s_nop 0
	v_mfma_f32_16x16x16_f16 v[2:5], v[10:11], v[16:17], v[2:5]
	s_nop 6
	v_pk_mul_f32 v[4:5], v[4:5], s[4:5] op_sel_hi:[1,0]
	v_pk_mul_f32 v[2:3], v[2:3], s[4:5] op_sel_hi:[1,0]
	v_cvt_f16_f32_e32 v4, v4
	v_cvt_f16_f32_e32 v2, v2
	;; [unrolled: 1-line block ×4, first 2 shown]
	s_and_b64 s[4:5], vcc, s[30:31]
	v_pack_b32_f16 v2, v2, v3
	v_pack_b32_f16 v3, v4, v5
	ds_write_b64 v20, v[2:3]
	s_waitcnt lgkmcnt(0)
	s_barrier
	s_and_saveexec_b64 s[8:9], s[4:5]
	s_cbranch_execz .LBB843_17
; %bb.16:
	s_load_dwordx2 s[0:1], s[0:1], 0x68
	s_lshl_b32 s6, s6, 6
	s_mul_i32 s2, s7, s2
	s_mul_hi_u32 s5, s2, s6
	s_mul_i32 s4, s2, s6
	s_lshl_b64 s[4:5], s[4:5], 1
	s_waitcnt lgkmcnt(0)
	s_add_u32 s4, s0, s4
	s_addc_u32 s5, s1, s5
	s_lshl_b32 s2, s28, 6
	v_lshlrev_b32_e32 v0, 10, v0
	s_lshl_b64 s[0:1], s[2:3], 1
	v_and_b32_e32 v0, 0x1800, v0
	v_lshlrev_b32_e32 v2, 5, v1
	v_and_b32_e32 v3, 16, v40
	s_add_u32 s0, s4, s0
	v_or3_b32 v0, v0, v2, v3
	s_addc_u32 s1, s5, s1
	v_or_b32_e32 v20, s29, v1
	ds_read_b128 v[2:5], v0
	ds_read_b128 v[6:9], v0 offset:128
	ds_read_b128 v[10:13], v0 offset:256
	;; [unrolled: 1-line block ×3, first 2 shown]
	v_lshl_add_u64 v[18:19], s[0:1], 0, v[26:27]
	v_mad_u64_u32 v[0:1], s[0:1], v20, s6, 0
	v_lshl_add_u64 v[0:1], v[0:1], 1, v[18:19]
	s_waitcnt lgkmcnt(3)
	global_store_dwordx4 v[0:1], v[2:5], off
	v_or_b32_e32 v0, 4, v20
	v_mad_u64_u32 v[0:1], s[0:1], v0, s6, 0
	v_lshl_add_u64 v[0:1], v[0:1], 1, v[18:19]
	s_waitcnt lgkmcnt(2)
	global_store_dwordx4 v[0:1], v[6:9], off
	v_or_b32_e32 v0, 8, v20
	;; [unrolled: 5-line block ×3, first 2 shown]
	v_mad_u64_u32 v[0:1], s[0:1], v0, s6, 0
	v_lshl_add_u64 v[0:1], v[0:1], 1, v[18:19]
	s_waitcnt lgkmcnt(0)
	global_store_dwordx4 v[0:1], v[14:17], off
.LBB843_17:
	s_endpgm
	.section	.rodata,"a",@progbits
	.p2align	6, 0x0
	.amdhsa_kernel _Z39paged_attention_ll4mi_QKV_mfma16_kernelIDF16_hLN4vllm18Fp8KVCacheDataTypeE1EDF16_Li16ELi64ELi256ELb0ELi16EEvPKT_PKT0_S7_ifPKiS9_S9_iPKfiiiPfSC_PS2_PT2_iSB_SB_
		.amdhsa_group_segment_fixed_size 8192
		.amdhsa_private_segment_fixed_size 0
		.amdhsa_kernarg_size 400
		.amdhsa_user_sgpr_count 2
		.amdhsa_user_sgpr_dispatch_ptr 0
		.amdhsa_user_sgpr_queue_ptr 0
		.amdhsa_user_sgpr_kernarg_segment_ptr 1
		.amdhsa_user_sgpr_dispatch_id 0
		.amdhsa_user_sgpr_kernarg_preload_length 0
		.amdhsa_user_sgpr_kernarg_preload_offset 0
		.amdhsa_user_sgpr_private_segment_size 0
		.amdhsa_uses_dynamic_stack 0
		.amdhsa_enable_private_segment 0
		.amdhsa_system_sgpr_workgroup_id_x 1
		.amdhsa_system_sgpr_workgroup_id_y 1
		.amdhsa_system_sgpr_workgroup_id_z 1
		.amdhsa_system_sgpr_workgroup_info 0
		.amdhsa_system_vgpr_workitem_id 0
		.amdhsa_next_free_vgpr 60
		.amdhsa_next_free_sgpr 49
		.amdhsa_accum_offset 60
		.amdhsa_reserve_vcc 1
		.amdhsa_float_round_mode_32 0
		.amdhsa_float_round_mode_16_64 0
		.amdhsa_float_denorm_mode_32 3
		.amdhsa_float_denorm_mode_16_64 3
		.amdhsa_dx10_clamp 1
		.amdhsa_ieee_mode 1
		.amdhsa_fp16_overflow 0
		.amdhsa_tg_split 0
		.amdhsa_exception_fp_ieee_invalid_op 0
		.amdhsa_exception_fp_denorm_src 0
		.amdhsa_exception_fp_ieee_div_zero 0
		.amdhsa_exception_fp_ieee_overflow 0
		.amdhsa_exception_fp_ieee_underflow 0
		.amdhsa_exception_fp_ieee_inexact 0
		.amdhsa_exception_int_div_zero 0
	.end_amdhsa_kernel
	.section	.text._Z39paged_attention_ll4mi_QKV_mfma16_kernelIDF16_hLN4vllm18Fp8KVCacheDataTypeE1EDF16_Li16ELi64ELi256ELb0ELi16EEvPKT_PKT0_S7_ifPKiS9_S9_iPKfiiiPfSC_PS2_PT2_iSB_SB_,"axG",@progbits,_Z39paged_attention_ll4mi_QKV_mfma16_kernelIDF16_hLN4vllm18Fp8KVCacheDataTypeE1EDF16_Li16ELi64ELi256ELb0ELi16EEvPKT_PKT0_S7_ifPKiS9_S9_iPKfiiiPfSC_PS2_PT2_iSB_SB_,comdat
.Lfunc_end843:
	.size	_Z39paged_attention_ll4mi_QKV_mfma16_kernelIDF16_hLN4vllm18Fp8KVCacheDataTypeE1EDF16_Li16ELi64ELi256ELb0ELi16EEvPKT_PKT0_S7_ifPKiS9_S9_iPKfiiiPfSC_PS2_PT2_iSB_SB_, .Lfunc_end843-_Z39paged_attention_ll4mi_QKV_mfma16_kernelIDF16_hLN4vllm18Fp8KVCacheDataTypeE1EDF16_Li16ELi64ELi256ELb0ELi16EEvPKT_PKT0_S7_ifPKiS9_S9_iPKfiiiPfSC_PS2_PT2_iSB_SB_
                                        ; -- End function
	.section	.AMDGPU.csdata,"",@progbits
; Kernel info:
; codeLenInByte = 4604
; NumSgprs: 55
; NumVgprs: 60
; NumAgprs: 0
; TotalNumVgprs: 60
; ScratchSize: 0
; MemoryBound: 0
; FloatMode: 240
; IeeeMode: 1
; LDSByteSize: 8192 bytes/workgroup (compile time only)
; SGPRBlocks: 6
; VGPRBlocks: 7
; NumSGPRsForWavesPerEU: 55
; NumVGPRsForWavesPerEU: 60
; AccumOffset: 60
; Occupancy: 8
; WaveLimiterHint : 1
; COMPUTE_PGM_RSRC2:SCRATCH_EN: 0
; COMPUTE_PGM_RSRC2:USER_SGPR: 2
; COMPUTE_PGM_RSRC2:TRAP_HANDLER: 0
; COMPUTE_PGM_RSRC2:TGID_X_EN: 1
; COMPUTE_PGM_RSRC2:TGID_Y_EN: 1
; COMPUTE_PGM_RSRC2:TGID_Z_EN: 1
; COMPUTE_PGM_RSRC2:TIDIG_COMP_CNT: 0
; COMPUTE_PGM_RSRC3_GFX90A:ACCUM_OFFSET: 14
; COMPUTE_PGM_RSRC3_GFX90A:TG_SPLIT: 0
	.section	.text._Z39paged_attention_ll4mi_QKV_mfma16_kernelIDF16_hLN4vllm18Fp8KVCacheDataTypeE1EDF16_Li16ELi64ELi256ELb0ELi1EEvPKT_PKT0_S7_ifPKiS9_S9_iPKfiiiPfSC_PS2_PT2_iSB_SB_,"axG",@progbits,_Z39paged_attention_ll4mi_QKV_mfma16_kernelIDF16_hLN4vllm18Fp8KVCacheDataTypeE1EDF16_Li16ELi64ELi256ELb0ELi1EEvPKT_PKT0_S7_ifPKiS9_S9_iPKfiiiPfSC_PS2_PT2_iSB_SB_,comdat
	.protected	_Z39paged_attention_ll4mi_QKV_mfma16_kernelIDF16_hLN4vllm18Fp8KVCacheDataTypeE1EDF16_Li16ELi64ELi256ELb0ELi1EEvPKT_PKT0_S7_ifPKiS9_S9_iPKfiiiPfSC_PS2_PT2_iSB_SB_ ; -- Begin function _Z39paged_attention_ll4mi_QKV_mfma16_kernelIDF16_hLN4vllm18Fp8KVCacheDataTypeE1EDF16_Li16ELi64ELi256ELb0ELi1EEvPKT_PKT0_S7_ifPKiS9_S9_iPKfiiiPfSC_PS2_PT2_iSB_SB_
	.globl	_Z39paged_attention_ll4mi_QKV_mfma16_kernelIDF16_hLN4vllm18Fp8KVCacheDataTypeE1EDF16_Li16ELi64ELi256ELb0ELi1EEvPKT_PKT0_S7_ifPKiS9_S9_iPKfiiiPfSC_PS2_PT2_iSB_SB_
	.p2align	8
	.type	_Z39paged_attention_ll4mi_QKV_mfma16_kernelIDF16_hLN4vllm18Fp8KVCacheDataTypeE1EDF16_Li16ELi64ELi256ELb0ELi1EEvPKT_PKT0_S7_ifPKiS9_S9_iPKfiiiPfSC_PS2_PT2_iSB_SB_,@function
_Z39paged_attention_ll4mi_QKV_mfma16_kernelIDF16_hLN4vllm18Fp8KVCacheDataTypeE1EDF16_Li16ELi64ELi256ELb0ELi1EEvPKT_PKT0_S7_ifPKiS9_S9_iPKfiiiPfSC_PS2_PT2_iSB_SB_: ; @_Z39paged_attention_ll4mi_QKV_mfma16_kernelIDF16_hLN4vllm18Fp8KVCacheDataTypeE1EDF16_Li16ELi64ELi256ELb0ELi1EEvPKT_PKT0_S7_ifPKiS9_S9_iPKfiiiPfSC_PS2_PT2_iSB_SB_
; %bb.0:
	s_load_dwordx2 s[12:13], s[0:1], 0x30
	s_mov_b32 s5, s3
	s_mov_b64 s[6:7], 0
	s_waitcnt lgkmcnt(0)
	s_cmp_lg_u64 s[12:13], 0
	s_cselect_b64 s[14:15], -1, 0
	s_and_b64 vcc, exec, s[14:15]
	s_cbranch_vccz .LBB844_7
; %bb.1:
	s_add_i32 s8, s2, 1
	s_mov_b32 s9, 0
	s_lshl_b64 s[10:11], s[8:9], 2
	s_add_u32 s10, s12, s10
	s_mov_b32 s3, s9
	s_addc_u32 s11, s13, s11
	s_lshl_b64 s[8:9], s[2:3], 2
	s_add_u32 s8, s12, s8
	s_addc_u32 s9, s13, s9
	s_load_dword s16, s[10:11], 0x0
	s_load_dword s17, s[8:9], 0x0
	s_waitcnt lgkmcnt(0)
	s_sub_i32 s8, s16, s17
	s_cmp_eq_u32 s8, 1
	s_cselect_b64 s[8:9], -1, 0
	s_andn2_b64 vcc, exec, s[6:7]
	s_cbranch_vccnz .LBB844_3
.LBB844_2:
	s_mov_b32 s3, 0
	s_mov_b64 s[8:9], -1
.LBB844_3:
	s_andn2_b64 vcc, exec, s[8:9]
	s_cbranch_vccnz .LBB844_17
; %bb.4:
	s_load_dwordx2 s[6:7], s[0:1], 0x28
	s_lshl_b64 s[16:17], s[2:3], 2
	s_waitcnt lgkmcnt(0)
	s_add_u32 s6, s6, s16
	s_addc_u32 s7, s7, s17
	s_load_dword s33, s[6:7], 0x0
	s_lshl_b32 s18, s5, 8
	s_waitcnt lgkmcnt(0)
	s_cmp_ge_i32 s18, s33
	s_cbranch_scc1 .LBB844_17
; %bb.5:
	s_load_dwordx2 s[6:7], s[0:1], 0x20
	s_load_dword s8, s[0:1], 0x38
	s_add_i32 s9, s33, 15
	s_ashr_i32 s10, s9, 31
	v_and_b32_e32 v1, 0xcf, v0
	s_lshr_b32 s10, s10, 28
	v_add_u32_e32 v1, s18, v1
	s_add_i32 s9, s9, s10
	v_ashrrev_i32_e32 v2, 31, v1
	s_ashr_i32 s19, s9, 4
	v_lshrrev_b32_e32 v4, 28, v2
	s_add_i32 s19, s19, -1
	s_waitcnt lgkmcnt(0)
	s_mul_i32 s8, s2, s8
	s_mov_b32 s9, 0
	v_add_u32_e32 v2, v1, v4
	s_lshl_b64 s[8:9], s[8:9], 2
	v_ashrrev_i32_e32 v2, 4, v2
	v_mov_b32_e32 v5, s19
	v_cmp_gt_i32_e32 vcc, s33, v1
	s_add_u32 s6, s6, s8
	s_addc_u32 s7, s7, s9
	v_cndmask_b32_e32 v2, v5, v2, vcc
	v_ashrrev_i32_e32 v3, 31, v2
	v_lshl_add_u64 v[6:7], v[2:3], 2, s[6:7]
	v_or_b32_e32 v2, 16, v1
	v_add_u32_e32 v3, v2, v4
	v_ashrrev_i32_e32 v3, 4, v3
	v_cmp_gt_i32_e32 vcc, s33, v2
	s_load_dwordx4 s[8:11], s[0:1], 0x8
	s_nop 0
	v_cndmask_b32_e32 v2, v5, v3, vcc
	v_ashrrev_i32_e32 v3, 31, v2
	v_lshl_add_u64 v[8:9], v[2:3], 2, s[6:7]
	v_or_b32_e32 v2, 32, v1
	v_add_u32_e32 v3, v2, v4
	v_ashrrev_i32_e32 v3, 4, v3
	v_cmp_gt_i32_e32 vcc, s33, v2
	v_or_b32_e32 v1, 48, v1
	s_nop 0
	v_cndmask_b32_e32 v2, v5, v3, vcc
	v_ashrrev_i32_e32 v3, 31, v2
	v_lshl_add_u64 v[10:11], v[2:3], 2, s[6:7]
	v_add_u32_e32 v2, v1, v4
	v_ashrrev_i32_e32 v2, 4, v2
	v_cmp_gt_i32_e32 vcc, s33, v1
	s_nop 1
	v_cndmask_b32_e32 v2, v5, v2, vcc
	v_ashrrev_i32_e32 v3, 31, v2
	v_lshl_add_u64 v[12:13], v[2:3], 2, s[6:7]
	global_load_dword v4, v[6:7], off
	global_load_dword v3, v[8:9], off
	;; [unrolled: 1-line block ×4, first 2 shown]
	s_andn2_b64 vcc, exec, s[14:15]
	s_cbranch_vccnz .LBB844_8
; %bb.6:
	s_add_u32 s12, s12, s16
	s_addc_u32 s13, s13, s17
	s_load_dword s14, s[12:13], 0x0
	s_branch .LBB844_9
.LBB844_7:
	s_mov_b64 s[8:9], 0
	s_branch .LBB844_2
.LBB844_8:
	s_mov_b32 s14, s2
.LBB844_9:
	s_load_dwordx4 s[44:47], s[0:1], 0x48
	v_lshrrev_b32_e32 v42, 6, v0
	v_bfe_u32 v40, v0, 4, 2
	v_lshl_or_b32 v1, v42, 2, v40
	v_and_b32_e32 v43, 15, v0
	v_lshlrev_b32_e32 v5, 3, v43
	v_cmp_eq_u32_e32 vcc, 0, v1
	v_cmp_gt_u32_e64 s[28:29], 8, v43
	v_and_b32_e32 v44, 63, v0
	s_and_b64 s[16:17], s[28:29], vcc
	v_lshlrev_b32_e32 v1, 1, v5
	v_lshlrev_b32_e32 v41, 4, v0
	s_and_saveexec_b64 s[12:13], s[16:17]
	s_cbranch_execz .LBB844_11
; %bb.10:
	s_load_dwordx2 s[16:17], s[0:1], 0x0
	s_waitcnt lgkmcnt(0)
	s_ashr_i32 s15, s44, 31
	s_mul_hi_u32 s20, s14, s44
	s_mul_i32 s15, s14, s15
	s_add_i32 s15, s20, s15
	s_mul_i32 s14, s14, s44
	s_lshl_b64 s[14:15], s[14:15], 1
	s_add_u32 s16, s16, s14
	s_addc_u32 s17, s17, s15
	s_lshl_b32 s14, s4, 6
	s_ashr_i32 s15, s14, 31
	s_lshl_b64 s[14:15], s[14:15], 1
	s_add_u32 s14, s16, s14
	s_addc_u32 s15, s17, s15
	global_load_dwordx4 v[6:9], v1, s[14:15]
	v_lshlrev_b32_e32 v5, 8, v43
	v_and_b32_e32 v10, 16, v41
	s_movk_i32 s14, 0xe00
	v_and_or_b32 v5, v5, s14, v10
	s_waitcnt vmcnt(0)
	ds_write_b128 v5, v[6:9]
.LBB844_11:
	s_or_b64 exec, exec, s[12:13]
	s_waitcnt lgkmcnt(0)
	s_mul_i32 s12, s4, s46
	s_add_u32 s8, s8, s12
	s_addc_u32 s9, s9, 0
	v_and_b32_e32 v8, 48, v0
	v_and_b32_e32 v26, 0xf0, v41
	v_mov_b32_e32 v27, 0
	v_lshl_add_u64 v[6:7], s[8:9], 0, v[26:27]
	v_lshlrev_b32_e32 v26, 4, v8
	v_lshl_add_u64 v[16:17], v[6:7], 0, v[26:27]
	s_waitcnt vmcnt(3)
	v_mad_i64_i32 v[4:5], s[8:9], v4, s45, v[16:17]
	s_barrier
	global_load_dwordx4 v[22:25], v[4:5], off
	s_waitcnt vmcnt(3)
	v_mad_i64_i32 v[4:5], s[8:9], v3, s45, v[16:17]
	global_load_dwordx4 v[18:21], v[4:5], off
	v_or_b32_e32 v15, s18, v8
	v_mov_b32_e32 v26, s19
	v_ashrrev_i32_e32 v3, 4, v15
	v_cmp_gt_i32_e32 vcc, s33, v15
	v_or_b32_e32 v29, 64, v15
	v_or_b32_e32 v31, 0x80, v15
	v_cndmask_b32_e32 v4, v26, v3, vcc
	v_ashrrev_i32_e32 v5, 31, v4
	v_lshl_add_u64 v[4:5], v[4:5], 2, s[6:7]
	s_waitcnt vmcnt(3)
	v_mad_i64_i32 v[2:3], s[8:9], v2, s45, v[16:17]
	global_load_dword v47, v[4:5], off
	global_load_dwordx4 v[10:13], v[2:3], off
	v_or_b32_e32 v33, 0xc0, v15
	v_ashrrev_i32_e32 v15, 4, v29
	v_cmp_gt_i32_e32 vcc, s33, v29
	v_lshlrev_b32_e32 v2, 9, v40
	s_add_u32 s8, s10, s12
	v_cndmask_b32_e32 v30, v26, v15, vcc
	s_waitcnt vmcnt(4)
	v_mad_i64_i32 v[14:15], s[12:13], v14, s45, v[16:17]
	s_load_dword s14, s[0:1], 0x1c
	s_load_dwordx4 s[40:43], s[0:1], 0x80
	ds_read_b128 v[6:9], v2
	ds_read_b128 v[2:5], v2 offset:16
	global_load_dwordx4 v[14:17], v[14:15], off
	v_ashrrev_i32_e32 v32, 4, v31
	v_cmp_gt_i32_e32 vcc, s33, v31
	v_ashrrev_i32_e32 v34, 4, v33
	v_lshlrev_b32_e32 v28, 4, v43
	v_cndmask_b32_e32 v32, v26, v32, vcc
	v_cmp_gt_i32_e32 vcc, s33, v33
	v_ashrrev_i32_e32 v31, 31, v30
	v_ashrrev_i32_e32 v33, 31, v32
	v_cndmask_b32_e32 v34, v26, v34, vcc
	s_addc_u32 s9, s11, 0
	v_lshl_or_b32 v26, v42, 8, v28
	v_ashrrev_i32_e32 v35, 31, v34
	v_lshl_add_u64 v[30:31], v[30:31], 2, s[6:7]
	v_lshl_add_u64 v[32:33], v[32:33], 2, s[6:7]
	;; [unrolled: 1-line block ×3, first 2 shown]
	s_waitcnt lgkmcnt(0)
	s_load_dword s8, s[40:41], 0x0
	v_lshl_add_u64 v[34:35], v[34:35], 2, s[6:7]
	global_load_dword v46, v[30:31], off
	global_load_dword v26, v[32:33], off
	;; [unrolled: 1-line block ×3, first 2 shown]
	v_mov_b32_e32 v58, s14
	s_mov_b32 s44, 0xff7fffff
	s_waitcnt vmcnt(7)
	v_cvt_pk_f32_fp8_e32 v[30:31], v22
	v_cvt_pk_f32_fp8_sdwa v[32:33], v22 src0_sel:WORD_1
	v_cvt_pk_f32_fp8_e32 v[34:35], v23
	v_cvt_pk_f32_fp8_sdwa v[36:37], v23 src0_sel:WORD_1
	s_waitcnt vmcnt(6)
	v_cvt_pk_f32_fp8_e32 v[22:23], v18
	v_cvt_pk_f32_fp8_sdwa v[52:53], v18 src0_sel:WORD_1
	v_cvt_pkrtz_f16_f32 v30, v30, v31
	v_cvt_pkrtz_f16_f32 v31, v32, v33
	v_cvt_pk_f32_fp8_e32 v[56:57], v19
	v_cvt_pkrtz_f16_f32 v32, v22, v23
	v_cvt_pkrtz_f16_f32 v33, v52, v53
	v_cvt_pk_f32_fp8_sdwa v[18:19], v19 src0_sel:WORD_1
	v_cvt_pkrtz_f16_f32 v34, v34, v35
	v_cvt_pkrtz_f16_f32 v35, v36, v37
	v_cvt_pk_f32_fp8_e32 v[38:39], v24
	v_cvt_pk_f32_fp8_sdwa v[48:49], v24 src0_sel:WORD_1
	v_cvt_pk_f32_fp8_e32 v[50:51], v25
	v_cvt_pk_f32_fp8_sdwa v[54:55], v25 src0_sel:WORD_1
	v_mfma_f32_16x16x16_f16 v[22:25], v[30:31], v[6:7], 0
	v_cvt_pk_f32_fp8_e32 v[36:37], v20
	v_cvt_pkrtz_f16_f32 v52, v56, v57
	v_cvt_pkrtz_f16_f32 v53, v18, v19
	v_cvt_pk_f32_fp8_sdwa v[18:19], v20 src0_sel:WORD_1
	v_mfma_f32_16x16x16_f16 v[30:33], v[32:33], v[6:7], 0
	v_cvt_pkrtz_f16_f32 v20, v50, v51
	v_mfma_f32_16x16x16_f16 v[22:25], v[34:35], v[8:9], v[22:25]
	v_cvt_pkrtz_f16_f32 v34, v38, v39
	v_cvt_pkrtz_f16_f32 v35, v48, v49
	v_cvt_pk_f32_fp8_e32 v[38:39], v21
	v_cvt_pkrtz_f16_f32 v48, v36, v37
	v_cvt_pkrtz_f16_f32 v49, v18, v19
	v_cvt_pk_f32_fp8_sdwa v[18:19], v21 src0_sel:WORD_1
	v_mfma_f32_16x16x16_f16 v[30:33], v[52:53], v[8:9], v[30:33]
	v_cvt_pkrtz_f16_f32 v21, v54, v55
	s_waitcnt vmcnt(4)
	v_cvt_pk_f32_fp8_sdwa v[52:53], v12 src0_sel:WORD_1
	v_mfma_f32_16x16x16_f16 v[34:37], v[34:35], v[2:3], v[22:25]
	s_nop 2
	v_cvt_pkrtz_f16_f32 v22, v38, v39
	v_cvt_pkrtz_f16_f32 v23, v18, v19
	v_mfma_f32_16x16x16_f16 v[30:33], v[48:49], v[2:3], v[30:33]
	v_cvt_pk_f32_fp8_e32 v[18:19], v10
	v_cvt_pk_f32_fp8_sdwa v[38:39], v10 src0_sel:WORD_1
	s_waitcnt lgkmcnt(0)
	v_mul_f32_e32 v24, s8, v58
	v_mfma_f32_16x16x16_f16 v[48:51], v[22:23], v[4:5], v[30:33]
	v_cvt_pk_f32_fp8_e32 v[22:23], v11
	v_cvt_pkrtz_f16_f32 v18, v18, v19
	v_cvt_pkrtz_f16_f32 v19, v38, v39
	v_cvt_pk_f32_fp8_sdwa v[10:11], v11 src0_sel:WORD_1
	v_cvt_pkrtz_f16_f32 v22, v22, v23
	v_cvt_pk_f32_fp8_e32 v[38:39], v12
	v_mfma_f32_16x16x16_f16 v[30:33], v[18:19], v[6:7], 0
	v_cvt_pkrtz_f16_f32 v23, v10, v11
	v_cvt_pkrtz_f16_f32 v18, v38, v39
	v_cvt_pkrtz_f16_f32 v19, v52, v53
	v_cvt_pk_f32_fp8_e32 v[38:39], v13
	v_cvt_pk_f32_fp8_sdwa v[52:53], v13 src0_sel:WORD_1
	v_mfma_f32_16x16x16_f16 v[34:37], v[20:21], v[4:5], v[34:37]
	v_mad_i64_i32 v[20:21], s[6:7], v47, s45, v[28:29]
	v_mfma_f32_16x16x16_f16 v[10:13], v[22:23], v[8:9], v[30:33]
	s_nop 2
	v_cvt_pkrtz_f16_f32 v30, v38, v39
	v_cvt_pkrtz_f16_f32 v31, v52, v53
	v_mfma_f32_16x16x16_f16 v[10:13], v[18:19], v[2:3], v[10:13]
	v_pk_mul_f32 v[32:33], v[24:25], v[34:35] op_sel_hi:[0,1]
	s_waitcnt vmcnt(3)
	v_cvt_pk_f32_fp8_e32 v[18:19], v14
	v_cvt_pk_f32_fp8_sdwa v[34:35], v14 src0_sel:WORD_1
	v_mfma_f32_16x16x16_f16 v[10:13], v[30:31], v[4:5], v[10:13]
	v_cvt_pk_f32_fp8_e32 v[30:31], v15
	v_cvt_pkrtz_f16_f32 v18, v18, v19
	v_cvt_pkrtz_f16_f32 v19, v34, v35
	v_cvt_pk_f32_fp8_sdwa v[14:15], v15 src0_sel:WORD_1
	v_cvt_pkrtz_f16_f32 v30, v30, v31
	v_cvt_pk_f32_fp8_e32 v[38:39], v16
	v_cvt_pk_f32_fp8_sdwa v[52:53], v16 src0_sel:WORD_1
	v_cvt_pkrtz_f16_f32 v31, v14, v15
	v_pk_mul_f32 v[22:23], v[24:25], v[36:37] op_sel_hi:[0,1]
	v_mfma_f32_16x16x16_f16 v[34:37], v[18:19], v[6:7], 0
	v_cvt_pkrtz_f16_f32 v14, v38, v39
	v_cvt_pkrtz_f16_f32 v15, v52, v53
	v_cvt_pk_f32_fp8_e32 v[18:19], v17
	v_cvt_pk_f32_fp8_sdwa v[16:17], v17 src0_sel:WORD_1
	v_mfma_f32_16x16x16_f16 v[6:9], v[30:31], v[8:9], v[34:37]
	v_pk_mul_f32 v[38:39], v[24:25], v[48:49] op_sel_hi:[0,1]
	v_cvt_pkrtz_f16_f32 v18, v18, v19
	v_cvt_pkrtz_f16_f32 v19, v16, v17
	v_mfma_f32_16x16x16_f16 v[6:9], v[14:15], v[2:3], v[6:9]
	v_pk_mul_f32 v[34:35], v[24:25], v[50:51] op_sel_hi:[0,1]
	v_pk_mul_f32 v[30:31], v[24:25], v[12:13] op_sel_hi:[0,1]
	v_pk_mul_f32 v[36:37], v[24:25], v[10:11] op_sel_hi:[0,1]
	v_mfma_f32_16x16x16_f16 v[2:5], v[18:19], v[4:5], v[6:9]
	s_nop 6
	v_pk_mul_f32 v[18:19], v[24:25], v[4:5] op_sel_hi:[0,1]
	v_pk_mul_f32 v[24:25], v[24:25], v[2:3] op_sel_hi:[0,1]
	v_and_b32_e32 v2, 0xc0, v0
	v_add_u32_e32 v2, s18, v2
	v_lshl_or_b32 v2, v40, 2, v2
	v_or_b32_e32 v5, 1, v2
	v_mov_b32_e32 v3, 0xff7fffff
	v_cmp_gt_i32_e64 s[30:31], s33, v2
	v_cmp_gt_i32_e64 s[34:35], s33, v5
	v_or_b32_e32 v6, 3, v2
	v_cndmask_b32_e64 v4, v3, v32, s[30:31]
	v_cndmask_b32_e64 v5, v3, v33, s[34:35]
	v_max3_f32 v4, v4, s44, v5
	v_or_b32_e32 v5, 2, v2
	v_cmp_gt_i32_e64 s[36:37], s33, v5
	v_cmp_gt_i32_e64 s[38:39], s33, v6
	s_nop 0
	v_cndmask_b32_e64 v5, v3, v22, s[36:37]
	v_cndmask_b32_e64 v6, v3, v23, s[38:39]
	v_max3_f32 v4, v4, v5, v6
	v_or_b32_e32 v5, 16, v2
	v_or_b32_e32 v6, 17, v2
	v_cmp_gt_i32_e64 s[24:25], s33, v5
	v_cmp_gt_i32_e64 s[26:27], s33, v6
	s_nop 0
	v_cndmask_b32_e64 v5, v3, v38, s[24:25]
	v_cndmask_b32_e64 v6, v3, v39, s[26:27]
	v_max3_f32 v4, v4, v5, v6
	v_or_b32_e32 v5, 18, v2
	;; [unrolled: 8-line block ×6, first 2 shown]
	v_or_b32_e32 v2, 51, v2
	v_cmp_gt_i32_e32 vcc, s33, v5
	v_cmp_gt_i32_e64 s[6:7], s33, v2
	s_nop 0
	v_cndmask_b32_e32 v5, v3, v18, vcc
	v_cndmask_b32_e64 v2, v3, v19, s[6:7]
	v_max3_f32 v4, v4, v5, v2
	v_mbcnt_lo_u32_b32 v2, -1, 0
	v_mbcnt_hi_u32_b32 v5, -1, v2
	v_and_b32_e32 v2, 64, v5
	v_add_u32_e32 v6, 64, v2
	v_xor_b32_e32 v2, 32, v5
	v_cmp_lt_i32_e64 s[40:41], v2, v6
	s_nop 1
	v_cndmask_b32_e64 v2, v5, v2, s[40:41]
	v_lshlrev_b32_e32 v47, 2, v2
	ds_bpermute_b32 v7, v47, v4
	s_waitcnt vmcnt(2)
	v_mad_i64_i32 v[2:3], s[40:41], v46, s45, v[28:29]
	global_load_dwordx4 v[14:17], v[20:21], off
	global_load_dwordx4 v[10:13], v[2:3], off
	v_xor_b32_e32 v3, 16, v5
	v_cmp_lt_i32_e64 s[40:41], v3, v6
	s_waitcnt lgkmcnt(0)
	v_max_f32_e32 v2, v7, v7
	v_max_f32_e32 v2, v4, v2
	v_cndmask_b32_e64 v3, v5, v3, s[40:41]
	v_lshlrev_b32_e32 v46, 2, v3
	ds_bpermute_b32 v3, v46, v2
	s_waitcnt vmcnt(3)
	v_mad_i64_i32 v[20:21], s[40:41], v26, s45, v[28:29]
	s_waitcnt vmcnt(2)
	v_mad_i64_i32 v[28:29], s[40:41], v45, s45, v[28:29]
	s_waitcnt lgkmcnt(0)
	v_max_f32_e32 v3, v3, v3
	v_max_f32_e32 v26, v2, v3
	v_sub_f32_e32 v2, v32, v26
	v_mul_f32_e32 v2, 0x3fb8aa3b, v2
	v_exp_f32_e32 v32, v2
	v_sub_f32_e32 v2, v33, v26
	v_mul_f32_e32 v2, 0x3fb8aa3b, v2
	v_exp_f32_e32 v33, v2
	global_load_dwordx4 v[6:9], v[20:21], off
	global_load_dwordx4 v[2:5], v[28:29], off
	v_sub_f32_e32 v22, v22, v26
	v_mul_f32_e32 v22, 0x3fb8aa3b, v22
	v_sub_f32_e32 v23, v23, v26
	v_exp_f32_e32 v22, v22
	v_mul_f32_e32 v23, 0x3fb8aa3b, v23
	v_exp_f32_e32 v23, v23
	v_cndmask_b32_e64 v20, 0, v32, s[30:31]
	v_add_f32_e32 v28, 0, v20
	v_cndmask_b32_e64 v21, 0, v33, s[34:35]
	v_add_f32_e32 v28, v28, v21
	;; [unrolled: 2-line block ×3, first 2 shown]
	v_cndmask_b32_e64 v33, 0, v23, s[38:39]
	v_sub_f32_e32 v23, v38, v26
	v_sub_f32_e32 v28, v39, v26
	v_mul_f32_e32 v23, 0x3fb8aa3b, v23
	v_mul_f32_e32 v28, 0x3fb8aa3b, v28
	v_exp_f32_e32 v23, v23
	v_exp_f32_e32 v28, v28
	v_add_f32_e32 v29, v22, v33
	v_sub_f32_e32 v30, v30, v26
	v_cndmask_b32_e64 v22, 0, v23, s[24:25]
	v_cndmask_b32_e64 v23, 0, v28, s[26:27]
	v_sub_f32_e32 v28, v34, v26
	v_mul_f32_e32 v28, 0x3fb8aa3b, v28
	v_exp_f32_e32 v28, v28
	v_sub_f32_e32 v34, v35, v26
	v_add_f32_e32 v29, v29, v22
	v_mul_f32_e32 v34, 0x3fb8aa3b, v34
	v_exp_f32_e32 v35, v34
	v_add_f32_e32 v29, v29, v23
	v_cndmask_b32_e64 v34, 0, v28, s[20:21]
	v_add_f32_e32 v28, v29, v34
	v_sub_f32_e32 v29, v36, v26
	v_mul_f32_e32 v29, 0x3fb8aa3b, v29
	v_sub_f32_e32 v36, v37, v26
	v_exp_f32_e32 v29, v29
	v_mul_f32_e32 v36, 0x3fb8aa3b, v36
	v_exp_f32_e32 v36, v36
	v_mul_f32_e32 v30, 0x3fb8aa3b, v30
	v_sub_f32_e32 v31, v31, v26
	v_exp_f32_e32 v30, v30
	v_mul_f32_e32 v31, 0x3fb8aa3b, v31
	v_sub_f32_e32 v24, v24, v26
	v_cndmask_b32_e64 v35, 0, v35, s[22:23]
	v_exp_f32_e32 v31, v31
	v_mul_f32_e32 v24, 0x3fb8aa3b, v24
	v_sub_f32_e32 v25, v25, v26
	v_add_f32_e32 v37, v28, v35
	v_cndmask_b32_e64 v28, 0, v29, s[16:17]
	v_exp_f32_e32 v24, v24
	v_mul_f32_e32 v25, 0x3fb8aa3b, v25
	v_sub_f32_e32 v18, v18, v26
	v_add_f32_e32 v37, v37, v28
	;; [unrolled: 5-line block ×3, first 2 shown]
	v_cndmask_b32_e64 v30, 0, v30, s[12:13]
	v_exp_f32_e32 v18, v18
	v_mul_f32_e32 v19, 0x3fb8aa3b, v19
	v_add_f32_e32 v36, v36, v30
	v_cndmask_b32_e64 v31, 0, v31, s[14:15]
	v_exp_f32_e32 v19, v19
	v_add_f32_e32 v36, v36, v31
	v_cndmask_b32_e64 v24, 0, v24, s[8:9]
	v_add_f32_e32 v36, v36, v24
	v_cndmask_b32_e64 v25, 0, v25, s[10:11]
	v_add_f32_e32 v36, v36, v25
	v_cndmask_b32_e32 v18, 0, v18, vcc
	v_add_f32_e32 v36, v36, v18
	v_cndmask_b32_e64 v19, 0, v19, s[6:7]
	v_add_f32_e32 v36, v36, v19
	ds_bpermute_b32 v37, v47, v36
	v_cmp_gt_u32_e64 s[6:7], 16, v44
	s_waitcnt lgkmcnt(0)
	s_barrier
	v_add_f32_e32 v37, v36, v37
	ds_bpermute_b32 v38, v46, v37
	v_lshlrev_b32_e32 v36, 2, v43
	s_and_saveexec_b64 s[8:9], s[6:7]
	s_cbranch_execz .LBB844_13
; %bb.12:
	s_waitcnt lgkmcnt(0)
	v_add_f32_e32 v37, v37, v38
	v_lshl_or_b32 v38, v42, 6, v36
	ds_write2st64_b32 v38, v26, v37 offset1:1
.LBB844_13:
	s_or_b64 exec, exec, s[8:9]
	s_load_dwordx2 s[8:9], s[0:1], 0x94
	s_waitcnt lgkmcnt(0)
	s_barrier
	ds_read2_b32 v[38:39], v36 offset1:16
	ds_read2_b32 v[44:45], v36 offset0:32 offset1:48
	ds_read2_b32 v[46:47], v36 offset0:64 offset1:80
	s_waitcnt lgkmcnt(2)
	v_max3_f32 v26, v38, s44, v39
	s_waitcnt lgkmcnt(1)
	v_max3_f32 v26, v26, v44, v45
	v_sub_f32_e32 v37, v38, v26
	v_sub_f32_e32 v38, v39, v26
	v_mul_f32_e32 v38, 0x3fb8aa3b, v38
	v_mul_f32_e32 v37, 0x3fb8aa3b, v37
	v_exp_f32_e32 v48, v38
	v_sub_f32_e32 v38, v44, v26
	v_exp_f32_e32 v37, v37
	v_mul_f32_e32 v38, 0x3fb8aa3b, v38
	v_exp_f32_e32 v44, v38
	ds_read2_b32 v[38:39], v36 offset0:96 offset1:112
	v_sub_f32_e32 v36, v45, v26
	v_mul_f32_e32 v36, 0x3fb8aa3b, v36
	v_exp_f32_e32 v45, v36
	s_waitcnt lgkmcnt(1)
	v_fma_f32 v36, v37, v46, 0
	v_fmac_f32_e32 v36, v48, v47
	s_waitcnt lgkmcnt(0)
	v_fmac_f32_e32 v36, v44, v38
	v_fmac_f32_e32 v36, v45, v39
	v_add_f32_e32 v38, 0x358637bd, v36
	v_div_scale_f32 v39, s[10:11], v38, v38, 1.0
	v_rcp_f32_e32 v46, v39
	s_barrier
	v_fma_f32 v47, -v39, v46, 1.0
	v_fmac_f32_e32 v46, v47, v46
	v_div_scale_f32 v47, vcc, 1.0, v38, 1.0
	v_mul_f32_e32 v49, v47, v46
	v_fma_f32 v50, -v39, v49, v47
	v_fmac_f32_e32 v49, v50, v46
	v_fma_f32 v39, -v39, v49, v47
	v_div_fmas_f32 v39, v39, v46, v49
	v_cmp_eq_u32_e32 vcc, 1, v42
	v_div_fixup_f32 v38, v39, v38, 1.0
	s_nop 0
	v_cndmask_b32_e32 v37, v37, v48, vcc
	v_cmp_eq_u32_e32 vcc, 2, v42
	s_nop 1
	v_cndmask_b32_e32 v37, v37, v44, vcc
	v_cmp_eq_u32_e32 vcc, 3, v42
	s_nop 1
	v_cndmask_b32_e32 v37, v37, v45, vcc
	v_mul_f32_e32 v38, v37, v38
	v_pk_mul_f32 v[32:33], v[38:39], v[32:33] op_sel_hi:[0,1]
	v_pk_mul_f32 v[20:21], v[38:39], v[20:21] op_sel_hi:[0,1]
	v_cvt_f16_f32_e32 v20, v20
	v_cvt_f16_f32_e32 v21, v21
	;; [unrolled: 1-line block ×4, first 2 shown]
	v_pk_mul_f32 v[34:35], v[38:39], v[34:35] op_sel_hi:[0,1]
	v_pk_mul_f32 v[22:23], v[38:39], v[22:23] op_sel_hi:[0,1]
	v_cvt_f16_f32_e32 v22, v22
	v_cvt_f16_f32_e32 v23, v23
	v_cvt_f16_f32_e32 v34, v34
	v_cvt_f16_f32_e32 v35, v35
	v_pack_b32_f16 v32, v20, v21
	v_pack_b32_f16 v33, v37, v33
	v_lshlrev_b32_e32 v20, 3, v40
	v_lshlrev_b32_e32 v21, 5, v43
	;; [unrolled: 1-line block ×3, first 2 shown]
	v_or3_b32 v20, v37, v21, v20
	v_pack_b32_f16 v22, v22, v23
	v_pack_b32_f16 v23, v34, v35
	ds_write2st64_b64 v20, v[32:33], v[22:23] offset1:1
	v_pk_mul_f32 v[22:23], v[38:39], v[30:31] op_sel_hi:[0,1]
	v_pk_mul_f32 v[28:29], v[38:39], v[28:29] op_sel_hi:[0,1]
	v_cvt_f16_f32_e32 v30, v22
	v_cvt_f16_f32_e32 v31, v23
	v_pk_mul_f32 v[18:19], v[38:39], v[18:19] op_sel_hi:[0,1]
	v_pk_mul_f32 v[22:23], v[38:39], v[24:25] op_sel_hi:[0,1]
	v_cvt_f16_f32_e32 v28, v28
	v_cvt_f16_f32_e32 v29, v29
	;; [unrolled: 1-line block ×6, first 2 shown]
	v_pack_b32_f16 v18, v28, v29
	v_pack_b32_f16 v19, v30, v31
	;; [unrolled: 1-line block ×4, first 2 shown]
	v_cmp_eq_u32_e32 vcc, 0, v0
	ds_write2st64_b64 v20, v[18:19], v[22:23] offset0:2 offset1:3
	s_and_saveexec_b64 s[10:11], vcc
	s_cbranch_execz .LBB844_15
; %bb.14:
	s_mul_i32 s3, s3, s9
	s_mul_hi_u32 s16, s2, s9
	s_add_i32 s16, s16, s3
	s_mul_i32 s3, s2, s9
	s_add_u32 s3, s3, s4
	s_addc_u32 s16, s16, 0
	s_load_dwordx4 s[12:15], s[0:1], 0x58
	s_mul_i32 s16, s16, s8
	s_mul_hi_u32 s17, s3, s8
	s_add_i32 s17, s17, s16
	s_mul_i32 s3, s3, s8
	s_add_u32 s16, s3, s5
	s_addc_u32 s17, s17, 0
	s_lshl_b64 s[16:17], s[16:17], 2
	s_waitcnt lgkmcnt(0)
	s_add_u32 s14, s14, s16
	s_addc_u32 s15, s15, s17
	s_add_u32 s12, s12, s16
	s_addc_u32 s13, s13, s17
	global_store_dword v27, v26, s[14:15]
	global_store_dword v27, v36, s[12:13]
.LBB844_15:
	s_or_b64 exec, exec, s[10:11]
	s_waitcnt vmcnt(3)
	v_cvt_pk_f32_fp8_e32 v[18:19], v14
	v_cvt_pk_f32_fp8_sdwa v[22:23], v14 src0_sel:WORD_1
	v_cvt_pk_f32_fp8_e32 v[24:25], v15
	v_lshl_or_b32 v14, v40, 9, v21
	s_waitcnt lgkmcnt(0)
	s_barrier
	v_cvt_pkrtz_f16_f32 v18, v18, v19
	v_cvt_pkrtz_f16_f32 v19, v22, v23
	v_cvt_pk_f32_fp8_sdwa v[26:27], v15 src0_sel:WORD_1
	v_cvt_pkrtz_f16_f32 v34, v24, v25
	ds_read_b128 v[22:25], v14
	v_cvt_pk_f32_fp8_e32 v[36:37], v16
	v_cvt_pkrtz_f16_f32 v35, v26, v27
	ds_read_b128 v[26:29], v14 offset:16
	v_cvt_pk_f32_fp8_sdwa v[38:39], v16 src0_sel:WORD_1
	s_waitcnt lgkmcnt(1)
	v_mfma_f32_16x16x16_f16 v[30:33], v[18:19], v[22:23], 0
	v_cvt_pkrtz_f16_f32 v18, v36, v37
	v_cvt_pk_f32_fp8_e32 v[36:37], v17
	v_cvt_pkrtz_f16_f32 v19, v38, v39
	v_mfma_f32_16x16x16_f16 v[22:25], v[34:35], v[24:25], v[30:33]
	s_waitcnt vmcnt(2)
	v_cvt_pk_f32_fp8_sdwa v[34:35], v12 src0_sel:WORD_1
	s_load_dword s10, s[42:43], 0x0
	v_cmp_gt_u32_e32 vcc, 64, v0
	v_cvt_pk_f32_fp8_sdwa v[30:31], v17 src0_sel:WORD_1
	v_cvt_pkrtz_f16_f32 v32, v36, v37
	s_waitcnt lgkmcnt(0)
	v_mfma_f32_16x16x16_f16 v[16:19], v[18:19], v[26:27], v[22:25]
	v_cvt_pk_f32_fp8_e32 v[26:27], v11
	v_cvt_pkrtz_f16_f32 v33, v30, v31
	s_mov_b32 s3, 0
	v_cvt_pk_f32_fp8_e32 v[22:23], v10
	v_cvt_pk_f32_fp8_sdwa v[24:25], v10 src0_sel:WORD_1
	v_mfma_f32_16x16x16_f16 v[16:19], v[32:33], v[28:29], v[16:19]
	v_cvt_pkrtz_f16_f32 v10, v22, v23
	v_cvt_pk_f32_fp8_sdwa v[28:29], v11 src0_sel:WORD_1
	v_cvt_pkrtz_f16_f32 v11, v24, v25
	ds_read_b128 v[22:25], v14 offset:2048
	v_cvt_pkrtz_f16_f32 v30, v26, v27
	v_cvt_pkrtz_f16_f32 v31, v28, v29
	ds_read_b128 v[26:29], v14 offset:2064
	v_cvt_pk_f32_fp8_e32 v[32:33], v12
	s_waitcnt lgkmcnt(1)
	v_mfma_f32_16x16x16_f16 v[16:19], v[10:11], v[22:23], v[16:19]
	v_cvt_pkrtz_f16_f32 v11, v34, v35
	v_cvt_pk_f32_fp8_e32 v[22:23], v13
	v_cvt_pkrtz_f16_f32 v10, v32, v33
	v_mfma_f32_16x16x16_f16 v[16:19], v[30:31], v[24:25], v[16:19]
	v_cvt_pk_f32_fp8_sdwa v[24:25], v13 src0_sel:WORD_1
	v_cvt_pkrtz_f16_f32 v22, v22, v23
	s_waitcnt vmcnt(1)
	v_cvt_pk_f32_fp8_sdwa v[30:31], v8 src0_sel:WORD_1
	s_waitcnt lgkmcnt(0)
	v_mfma_f32_16x16x16_f16 v[10:13], v[10:11], v[26:27], v[16:19]
	v_cvt_pkrtz_f16_f32 v23, v24, v25
	v_cvt_pk_f32_fp8_sdwa v[24:25], v7 src0_sel:WORD_1
	s_nop 0
	v_cvt_pk_f32_fp8_e32 v[16:17], v6
	v_cvt_pk_f32_fp8_sdwa v[18:19], v6 src0_sel:WORD_1
	v_mfma_f32_16x16x16_f16 v[10:13], v[22:23], v[28:29], v[10:13]
	v_cvt_pk_f32_fp8_e32 v[22:23], v7
	v_cvt_pkrtz_f16_f32 v6, v16, v17
	v_cvt_pkrtz_f16_f32 v7, v18, v19
	ds_read_b128 v[16:19], v14 offset:4096
	v_cvt_pkrtz_f16_f32 v26, v22, v23
	v_cvt_pkrtz_f16_f32 v27, v24, v25
	ds_read_b128 v[22:25], v14 offset:4112
	v_cvt_pk_f32_fp8_e32 v[28:29], v8
	s_waitcnt lgkmcnt(1)
	v_mfma_f32_16x16x16_f16 v[10:13], v[6:7], v[16:17], v[10:13]
	v_cvt_pkrtz_f16_f32 v7, v30, v31
	v_cvt_pk_f32_fp8_e32 v[16:17], v9
	v_cvt_pkrtz_f16_f32 v6, v28, v29
	v_mfma_f32_16x16x16_f16 v[10:13], v[26:27], v[18:19], v[10:13]
	v_cvt_pk_f32_fp8_sdwa v[18:19], v9 src0_sel:WORD_1
	v_cvt_pkrtz_f16_f32 v16, v16, v17
	v_cvt_pkrtz_f16_f32 v17, v18, v19
	s_waitcnt lgkmcnt(0)
	v_mfma_f32_16x16x16_f16 v[6:9], v[6:7], v[22:23], v[10:13]
	s_waitcnt vmcnt(0)
	v_cvt_pk_f32_fp8_sdwa v[18:19], v3 src0_sel:WORD_1
	s_nop 0
	v_cvt_pkrtz_f16_f32 v23, v18, v19
	v_cvt_pk_f32_fp8_e32 v[10:11], v2
	v_cvt_pk_f32_fp8_sdwa v[12:13], v2 src0_sel:WORD_1
	v_mfma_f32_16x16x16_f16 v[6:9], v[16:17], v[24:25], v[6:9]
	v_cvt_pk_f32_fp8_e32 v[16:17], v3
	v_cvt_pkrtz_f16_f32 v2, v10, v11
	v_cvt_pkrtz_f16_f32 v3, v12, v13
	ds_read_b128 v[10:13], v14 offset:6144
	v_cvt_pkrtz_f16_f32 v22, v16, v17
	v_cvt_pk_f32_fp8_e32 v[18:19], v4
	v_cvt_pk_f32_fp8_sdwa v[24:25], v4 src0_sel:WORD_1
	s_waitcnt lgkmcnt(0)
	v_mfma_f32_16x16x16_f16 v[6:9], v[2:3], v[10:11], v[6:9]
	ds_read_b128 v[14:17], v14 offset:6160
	v_cvt_pkrtz_f16_f32 v2, v18, v19
	v_cvt_pkrtz_f16_f32 v3, v24, v25
	v_cvt_pk_f32_fp8_e32 v[10:11], v5
	v_mfma_f32_16x16x16_f16 v[6:9], v[22:23], v[12:13], v[6:9]
	v_cvt_pk_f32_fp8_sdwa v[12:13], v5 src0_sel:WORD_1
	s_waitcnt lgkmcnt(0)
	v_cvt_pkrtz_f16_f32 v10, v10, v11
	v_mfma_f32_16x16x16_f16 v[2:5], v[2:3], v[14:15], v[6:9]
	v_cvt_pkrtz_f16_f32 v11, v12, v13
	s_barrier
	s_nop 0
	v_mfma_f32_16x16x16_f16 v[2:5], v[10:11], v[16:17], v[2:5]
	s_nop 6
	v_pk_mul_f32 v[4:5], v[4:5], s[10:11] op_sel_hi:[1,0]
	v_pk_mul_f32 v[2:3], v[2:3], s[10:11] op_sel_hi:[1,0]
	v_cvt_f16_f32_e32 v4, v4
	v_cvt_f16_f32_e32 v2, v2
	;; [unrolled: 1-line block ×4, first 2 shown]
	s_and_b64 s[10:11], s[28:29], vcc
	s_and_b64 s[6:7], s[10:11], s[6:7]
	v_pack_b32_f16 v2, v2, v3
	v_pack_b32_f16 v3, v4, v5
	ds_write_b64 v20, v[2:3]
	s_waitcnt lgkmcnt(0)
	s_barrier
	s_and_saveexec_b64 s[10:11], s[6:7]
	s_cbranch_execz .LBB844_17
; %bb.16:
	s_load_dwordx2 s[0:1], s[0:1], 0x68
	s_mul_i32 s2, s9, s2
	s_lshl_b32 s8, s8, 6
	s_mul_hi_u32 s7, s2, s8
	s_mul_i32 s6, s2, s8
	s_lshl_b64 s[6:7], s[6:7], 1
	v_lshlrev_b32_e32 v0, 10, v0
	s_waitcnt lgkmcnt(0)
	s_add_u32 s6, s0, s6
	v_and_b32_e32 v0, 0x1800, v0
	v_lshlrev_b32_e32 v2, 5, v40
	v_and_b32_e32 v3, 16, v41
	s_addc_u32 s7, s1, s7
	s_lshl_b32 s2, s5, 6
	v_or3_b32 v0, v0, v2, v3
	s_lshl_b64 s[0:1], s[2:3], 1
	ds_read_b128 v[2:5], v0
	s_add_u32 s2, s6, s0
	s_addc_u32 s3, s7, s1
	s_mul_hi_u32 s1, s8, s4
	s_mul_i32 s0, s8, s4
	s_lshl_b64 s[0:1], s[0:1], 1
	s_add_u32 s0, s2, s0
	s_addc_u32 s1, s3, s1
	s_waitcnt lgkmcnt(0)
	global_store_dwordx4 v1, v[2:5], s[0:1]
.LBB844_17:
	s_endpgm
	.section	.rodata,"a",@progbits
	.p2align	6, 0x0
	.amdhsa_kernel _Z39paged_attention_ll4mi_QKV_mfma16_kernelIDF16_hLN4vllm18Fp8KVCacheDataTypeE1EDF16_Li16ELi64ELi256ELb0ELi1EEvPKT_PKT0_S7_ifPKiS9_S9_iPKfiiiPfSC_PS2_PT2_iSB_SB_
		.amdhsa_group_segment_fixed_size 8192
		.amdhsa_private_segment_fixed_size 0
		.amdhsa_kernarg_size 400
		.amdhsa_user_sgpr_count 2
		.amdhsa_user_sgpr_dispatch_ptr 0
		.amdhsa_user_sgpr_queue_ptr 0
		.amdhsa_user_sgpr_kernarg_segment_ptr 1
		.amdhsa_user_sgpr_dispatch_id 0
		.amdhsa_user_sgpr_kernarg_preload_length 0
		.amdhsa_user_sgpr_kernarg_preload_offset 0
		.amdhsa_user_sgpr_private_segment_size 0
		.amdhsa_uses_dynamic_stack 0
		.amdhsa_enable_private_segment 0
		.amdhsa_system_sgpr_workgroup_id_x 1
		.amdhsa_system_sgpr_workgroup_id_y 1
		.amdhsa_system_sgpr_workgroup_id_z 1
		.amdhsa_system_sgpr_workgroup_info 0
		.amdhsa_system_vgpr_workitem_id 0
		.amdhsa_next_free_vgpr 59
		.amdhsa_next_free_sgpr 48
		.amdhsa_accum_offset 60
		.amdhsa_reserve_vcc 1
		.amdhsa_float_round_mode_32 0
		.amdhsa_float_round_mode_16_64 0
		.amdhsa_float_denorm_mode_32 3
		.amdhsa_float_denorm_mode_16_64 3
		.amdhsa_dx10_clamp 1
		.amdhsa_ieee_mode 1
		.amdhsa_fp16_overflow 0
		.amdhsa_tg_split 0
		.amdhsa_exception_fp_ieee_invalid_op 0
		.amdhsa_exception_fp_denorm_src 0
		.amdhsa_exception_fp_ieee_div_zero 0
		.amdhsa_exception_fp_ieee_overflow 0
		.amdhsa_exception_fp_ieee_underflow 0
		.amdhsa_exception_fp_ieee_inexact 0
		.amdhsa_exception_int_div_zero 0
	.end_amdhsa_kernel
	.section	.text._Z39paged_attention_ll4mi_QKV_mfma16_kernelIDF16_hLN4vllm18Fp8KVCacheDataTypeE1EDF16_Li16ELi64ELi256ELb0ELi1EEvPKT_PKT0_S7_ifPKiS9_S9_iPKfiiiPfSC_PS2_PT2_iSB_SB_,"axG",@progbits,_Z39paged_attention_ll4mi_QKV_mfma16_kernelIDF16_hLN4vllm18Fp8KVCacheDataTypeE1EDF16_Li16ELi64ELi256ELb0ELi1EEvPKT_PKT0_S7_ifPKiS9_S9_iPKfiiiPfSC_PS2_PT2_iSB_SB_,comdat
.Lfunc_end844:
	.size	_Z39paged_attention_ll4mi_QKV_mfma16_kernelIDF16_hLN4vllm18Fp8KVCacheDataTypeE1EDF16_Li16ELi64ELi256ELb0ELi1EEvPKT_PKT0_S7_ifPKiS9_S9_iPKfiiiPfSC_PS2_PT2_iSB_SB_, .Lfunc_end844-_Z39paged_attention_ll4mi_QKV_mfma16_kernelIDF16_hLN4vllm18Fp8KVCacheDataTypeE1EDF16_Li16ELi64ELi256ELb0ELi1EEvPKT_PKT0_S7_ifPKiS9_S9_iPKfiiiPfSC_PS2_PT2_iSB_SB_
                                        ; -- End function
	.section	.AMDGPU.csdata,"",@progbits
; Kernel info:
; codeLenInByte = 4432
; NumSgprs: 54
; NumVgprs: 59
; NumAgprs: 0
; TotalNumVgprs: 59
; ScratchSize: 0
; MemoryBound: 0
; FloatMode: 240
; IeeeMode: 1
; LDSByteSize: 8192 bytes/workgroup (compile time only)
; SGPRBlocks: 6
; VGPRBlocks: 7
; NumSGPRsForWavesPerEU: 54
; NumVGPRsForWavesPerEU: 59
; AccumOffset: 60
; Occupancy: 8
; WaveLimiterHint : 1
; COMPUTE_PGM_RSRC2:SCRATCH_EN: 0
; COMPUTE_PGM_RSRC2:USER_SGPR: 2
; COMPUTE_PGM_RSRC2:TRAP_HANDLER: 0
; COMPUTE_PGM_RSRC2:TGID_X_EN: 1
; COMPUTE_PGM_RSRC2:TGID_Y_EN: 1
; COMPUTE_PGM_RSRC2:TGID_Z_EN: 1
; COMPUTE_PGM_RSRC2:TIDIG_COMP_CNT: 0
; COMPUTE_PGM_RSRC3_GFX90A:ACCUM_OFFSET: 14
; COMPUTE_PGM_RSRC3_GFX90A:TG_SPLIT: 0
	.section	.text._Z39paged_attention_ll4mi_QKV_mfma16_kernelIDF16_hLN4vllm18Fp8KVCacheDataTypeE1EDF16_Li16ELi64ELi256ELb0ELi2EEvPKT_PKT0_S7_ifPKiS9_S9_iPKfiiiPfSC_PS2_PT2_iSB_SB_,"axG",@progbits,_Z39paged_attention_ll4mi_QKV_mfma16_kernelIDF16_hLN4vllm18Fp8KVCacheDataTypeE1EDF16_Li16ELi64ELi256ELb0ELi2EEvPKT_PKT0_S7_ifPKiS9_S9_iPKfiiiPfSC_PS2_PT2_iSB_SB_,comdat
	.protected	_Z39paged_attention_ll4mi_QKV_mfma16_kernelIDF16_hLN4vllm18Fp8KVCacheDataTypeE1EDF16_Li16ELi64ELi256ELb0ELi2EEvPKT_PKT0_S7_ifPKiS9_S9_iPKfiiiPfSC_PS2_PT2_iSB_SB_ ; -- Begin function _Z39paged_attention_ll4mi_QKV_mfma16_kernelIDF16_hLN4vllm18Fp8KVCacheDataTypeE1EDF16_Li16ELi64ELi256ELb0ELi2EEvPKT_PKT0_S7_ifPKiS9_S9_iPKfiiiPfSC_PS2_PT2_iSB_SB_
	.globl	_Z39paged_attention_ll4mi_QKV_mfma16_kernelIDF16_hLN4vllm18Fp8KVCacheDataTypeE1EDF16_Li16ELi64ELi256ELb0ELi2EEvPKT_PKT0_S7_ifPKiS9_S9_iPKfiiiPfSC_PS2_PT2_iSB_SB_
	.p2align	8
	.type	_Z39paged_attention_ll4mi_QKV_mfma16_kernelIDF16_hLN4vllm18Fp8KVCacheDataTypeE1EDF16_Li16ELi64ELi256ELb0ELi2EEvPKT_PKT0_S7_ifPKiS9_S9_iPKfiiiPfSC_PS2_PT2_iSB_SB_,@function
_Z39paged_attention_ll4mi_QKV_mfma16_kernelIDF16_hLN4vllm18Fp8KVCacheDataTypeE1EDF16_Li16ELi64ELi256ELb0ELi2EEvPKT_PKT0_S7_ifPKiS9_S9_iPKfiiiPfSC_PS2_PT2_iSB_SB_: ; @_Z39paged_attention_ll4mi_QKV_mfma16_kernelIDF16_hLN4vllm18Fp8KVCacheDataTypeE1EDF16_Li16ELi64ELi256ELb0ELi2EEvPKT_PKT0_S7_ifPKiS9_S9_iPKfiiiPfSC_PS2_PT2_iSB_SB_
; %bb.0:
	s_load_dwordx2 s[12:13], s[0:1], 0x30
	s_mov_b32 s28, s3
	s_mov_b64 s[6:7], 0
	s_waitcnt lgkmcnt(0)
	s_cmp_lg_u64 s[12:13], 0
	s_cselect_b64 s[14:15], -1, 0
	s_and_b64 vcc, exec, s[14:15]
	s_cbranch_vccz .LBB845_7
; %bb.1:
	s_add_i32 s8, s2, 1
	s_mov_b32 s9, 0
	s_lshl_b64 s[10:11], s[8:9], 2
	s_add_u32 s10, s12, s10
	s_mov_b32 s3, s9
	s_addc_u32 s11, s13, s11
	s_lshl_b64 s[8:9], s[2:3], 2
	s_add_u32 s8, s12, s8
	s_addc_u32 s9, s13, s9
	s_load_dword s5, s[10:11], 0x0
	s_load_dword s16, s[8:9], 0x0
	s_waitcnt lgkmcnt(0)
	s_sub_i32 s5, s5, s16
	s_cmp_eq_u32 s5, 1
	s_cselect_b64 s[8:9], -1, 0
	s_andn2_b64 vcc, exec, s[6:7]
	s_cbranch_vccnz .LBB845_3
.LBB845_2:
	s_mov_b32 s3, 0
	s_mov_b64 s[8:9], -1
.LBB845_3:
	s_andn2_b64 vcc, exec, s[8:9]
	s_cbranch_vccnz .LBB845_17
; %bb.4:
	s_load_dwordx2 s[6:7], s[0:1], 0x28
	s_lshl_b64 s[16:17], s[2:3], 2
	s_waitcnt lgkmcnt(0)
	s_add_u32 s6, s6, s16
	s_addc_u32 s7, s7, s17
	s_load_dword s48, s[6:7], 0x0
	s_lshl_b32 s5, s28, 8
	s_waitcnt lgkmcnt(0)
	s_cmp_ge_i32 s5, s48
	s_cbranch_scc1 .LBB845_17
; %bb.5:
	s_load_dwordx2 s[6:7], s[0:1], 0x20
	s_load_dword s8, s[0:1], 0x38
	s_add_i32 s9, s48, 15
	s_ashr_i32 s10, s9, 31
	v_and_b32_e32 v1, 0xcf, v0
	s_lshr_b32 s10, s10, 28
	v_add_u32_e32 v1, s5, v1
	s_add_i32 s9, s9, s10
	v_ashrrev_i32_e32 v2, 31, v1
	s_ashr_i32 s18, s9, 4
	v_lshrrev_b32_e32 v4, 28, v2
	s_add_i32 s18, s18, -1
	s_waitcnt lgkmcnt(0)
	s_mul_i32 s8, s2, s8
	s_mov_b32 s9, 0
	v_add_u32_e32 v2, v1, v4
	s_lshl_b64 s[8:9], s[8:9], 2
	v_ashrrev_i32_e32 v2, 4, v2
	v_mov_b32_e32 v5, s18
	v_cmp_gt_i32_e32 vcc, s48, v1
	s_add_u32 s6, s6, s8
	s_addc_u32 s7, s7, s9
	v_cndmask_b32_e32 v2, v5, v2, vcc
	v_ashrrev_i32_e32 v3, 31, v2
	v_lshl_add_u64 v[6:7], v[2:3], 2, s[6:7]
	v_or_b32_e32 v2, 16, v1
	v_add_u32_e32 v3, v2, v4
	v_ashrrev_i32_e32 v3, 4, v3
	v_cmp_gt_i32_e32 vcc, s48, v2
	s_load_dwordx4 s[8:11], s[0:1], 0x8
	s_nop 0
	v_cndmask_b32_e32 v2, v5, v3, vcc
	v_ashrrev_i32_e32 v3, 31, v2
	v_lshl_add_u64 v[8:9], v[2:3], 2, s[6:7]
	v_or_b32_e32 v2, 32, v1
	v_add_u32_e32 v3, v2, v4
	v_ashrrev_i32_e32 v3, 4, v3
	v_cmp_gt_i32_e32 vcc, s48, v2
	v_or_b32_e32 v1, 48, v1
	s_nop 0
	v_cndmask_b32_e32 v2, v5, v3, vcc
	v_ashrrev_i32_e32 v3, 31, v2
	v_lshl_add_u64 v[10:11], v[2:3], 2, s[6:7]
	v_add_u32_e32 v2, v1, v4
	v_ashrrev_i32_e32 v2, 4, v2
	v_cmp_gt_i32_e32 vcc, s48, v1
	s_nop 1
	v_cndmask_b32_e32 v2, v5, v2, vcc
	v_ashrrev_i32_e32 v3, 31, v2
	v_lshl_add_u64 v[12:13], v[2:3], 2, s[6:7]
	global_load_dword v4, v[6:7], off
	global_load_dword v3, v[8:9], off
	;; [unrolled: 1-line block ×4, first 2 shown]
	s_andn2_b64 vcc, exec, s[14:15]
	s_cbranch_vccnz .LBB845_8
; %bb.6:
	s_add_u32 s12, s12, s16
	s_addc_u32 s13, s13, s17
	s_load_dword s14, s[12:13], 0x0
	s_branch .LBB845_9
.LBB845_7:
	s_mov_b64 s[8:9], 0
	s_branch .LBB845_2
.LBB845_8:
	s_mov_b32 s14, s2
.LBB845_9:
	s_load_dwordx4 s[44:47], s[0:1], 0x48
	v_lshrrev_b32_e32 v42, 6, v0
	v_bfe_u32 v1, v0, 4, 2
	v_lshl_or_b32 v5, v42, 2, v1
	v_and_b32_e32 v43, 15, v0
	v_lshlrev_b32_e32 v6, 3, v43
	v_cmp_gt_u32_e32 vcc, 2, v5
	v_cmp_gt_u32_e64 s[30:31], 8, v43
	v_and_b32_e32 v41, 63, v0
	s_lshl_b32 s29, s4, 1
	s_and_b64 s[16:17], s[30:31], vcc
	v_lshlrev_b32_e32 v26, 1, v6
	v_lshlrev_b32_e32 v40, 4, v0
	s_and_saveexec_b64 s[12:13], s[16:17]
	s_cbranch_execz .LBB845_11
; %bb.10:
	s_load_dwordx2 s[16:17], s[0:1], 0x0
	s_waitcnt lgkmcnt(0)
	s_ashr_i32 s15, s44, 31
	s_mul_hi_u32 s19, s14, s44
	s_mul_i32 s15, s14, s15
	s_add_i32 s15, s19, s15
	s_mul_i32 s14, s14, s44
	s_lshl_b64 s[14:15], s[14:15], 1
	s_add_u32 s14, s16, s14
	v_add_lshl_u32 v6, v1, s29, 6
	s_addc_u32 s15, s17, s15
	v_ashrrev_i32_e32 v7, 31, v6
	v_lshl_add_u64 v[6:7], v[6:7], 1, s[14:15]
	v_mov_b32_e32 v27, 0
	v_lshl_add_u64 v[6:7], v[6:7], 0, v[26:27]
	global_load_dwordx4 v[6:9], v[6:7], off
	v_lshlrev_b32_e32 v11, 8, v43
	v_lshlrev_b32_e32 v5, 5, v5
	v_and_b32_e32 v10, 16, v40
	v_and_b32_e32 v11, 0xe00, v11
	v_or3_b32 v5, v11, v5, v10
	s_waitcnt vmcnt(0)
	ds_write_b128 v5, v[6:9]
.LBB845_11:
	s_or_b64 exec, exec, s[12:13]
	s_waitcnt lgkmcnt(0)
	s_mul_i32 s4, s4, s46
	s_add_u32 s8, s8, s4
	s_addc_u32 s9, s9, 0
	v_and_b32_e32 v8, 48, v0
	v_and_b32_e32 v28, 0xf0, v40
	v_mov_b32_e32 v29, 0
	v_lshl_add_u64 v[6:7], s[8:9], 0, v[28:29]
	v_lshlrev_b32_e32 v28, 4, v8
	v_lshl_add_u64 v[16:17], v[6:7], 0, v[28:29]
	s_waitcnt vmcnt(3)
	v_mad_i64_i32 v[4:5], s[8:9], v4, s45, v[16:17]
	s_load_dword s33, s[0:1], 0x98
	s_load_dwordx4 s[40:43], s[0:1], 0x80
	s_waitcnt lgkmcnt(0)
	s_barrier
	global_load_dwordx4 v[22:25], v[4:5], off
	s_waitcnt vmcnt(3)
	v_mad_i64_i32 v[4:5], s[8:9], v3, s45, v[16:17]
	global_load_dwordx4 v[18:21], v[4:5], off
	v_or_b32_e32 v6, s5, v8
	v_mov_b32_e32 v27, s18
	v_ashrrev_i32_e32 v3, 4, v6
	v_cmp_gt_i32_e32 vcc, s48, v6
	v_or_b32_e32 v15, 64, v6
	v_ashrrev_i32_e32 v30, 4, v15
	v_cndmask_b32_e32 v4, v27, v3, vcc
	s_waitcnt vmcnt(3)
	v_mad_i64_i32 v[2:3], s[8:9], v2, s45, v[16:17]
	global_load_dwordx4 v[10:13], v[2:3], off
	v_and_b32_e32 v2, 1, v0
	v_ashrrev_i32_e32 v5, 31, v4
	v_lshlrev_b32_e32 v2, 5, v2
	v_lshl_add_u64 v[4:5], v[4:5], 2, s[6:7]
	v_lshl_or_b32 v2, v1, 9, v2
	v_cmp_gt_i32_e32 vcc, s48, v15
	s_waitcnt vmcnt(3)
	v_mad_i64_i32 v[14:15], s[12:13], v14, s45, v[16:17]
	global_load_dword v56, v[4:5], off
	v_or_b32_e32 v31, 0x80, v6
	v_or_b32_e32 v33, 0xc0, v6
	ds_read_b128 v[6:9], v2
	ds_read_b128 v[2:5], v2 offset:16
	global_load_dwordx4 v[14:17], v[14:15], off
	v_ashrrev_i32_e32 v32, 4, v31
	v_cndmask_b32_e32 v30, v27, v30, vcc
	v_cmp_gt_i32_e32 vcc, s48, v31
	v_ashrrev_i32_e32 v34, 4, v33
	v_ashrrev_i32_e32 v31, 31, v30
	v_cndmask_b32_e32 v32, v27, v32, vcc
	v_cmp_gt_i32_e32 vcc, s48, v33
	v_ashrrev_i32_e32 v33, 31, v32
	v_lshl_add_u64 v[30:31], v[30:31], 2, s[6:7]
	v_cndmask_b32_e32 v34, v27, v34, vcc
	v_ashrrev_i32_e32 v35, 31, v34
	v_lshl_add_u64 v[32:33], v[32:33], 2, s[6:7]
	s_add_u32 s8, s10, s4
	s_load_dword s4, s[40:41], 0x0
	v_lshl_add_u64 v[34:35], v[34:35], 2, s[6:7]
	global_load_dword v45, v[30:31], off
	global_load_dword v27, v[32:33], off
	global_load_dword v44, v[34:35], off
	s_load_dword s14, s[0:1], 0x1c
	s_mov_b32 s44, 0xff7fffff
	v_lshlrev_b32_e32 v28, 4, v43
	s_addc_u32 s9, s11, 0
	v_lshl_or_b32 v28, v42, 8, v28
	s_waitcnt lgkmcnt(0)
	v_mov_b32_e32 v57, s14
	v_lshl_add_u64 v[28:29], s[8:9], 0, v[28:29]
	s_waitcnt vmcnt(7)
	v_cvt_pk_f32_fp8_e32 v[30:31], v22
	v_cvt_pk_f32_fp8_sdwa v[32:33], v22 src0_sel:WORD_1
	v_cvt_pk_f32_fp8_e32 v[34:35], v23
	v_cvt_pk_f32_fp8_sdwa v[36:37], v23 src0_sel:WORD_1
	s_waitcnt vmcnt(6)
	v_cvt_pk_f32_fp8_e32 v[22:23], v18
	v_cvt_pk_f32_fp8_sdwa v[50:51], v18 src0_sel:WORD_1
	v_cvt_pkrtz_f16_f32 v30, v30, v31
	v_cvt_pkrtz_f16_f32 v31, v32, v33
	v_cvt_pk_f32_fp8_e32 v[54:55], v19
	v_cvt_pkrtz_f16_f32 v32, v22, v23
	v_cvt_pkrtz_f16_f32 v33, v50, v51
	v_cvt_pk_f32_fp8_sdwa v[18:19], v19 src0_sel:WORD_1
	v_cvt_pkrtz_f16_f32 v34, v34, v35
	v_cvt_pkrtz_f16_f32 v35, v36, v37
	v_cvt_pk_f32_fp8_e32 v[38:39], v24
	v_cvt_pk_f32_fp8_sdwa v[46:47], v24 src0_sel:WORD_1
	v_cvt_pk_f32_fp8_e32 v[48:49], v25
	v_cvt_pk_f32_fp8_sdwa v[52:53], v25 src0_sel:WORD_1
	v_mfma_f32_16x16x16_f16 v[22:25], v[30:31], v[6:7], 0
	v_cvt_pkrtz_f16_f32 v50, v54, v55
	v_cvt_pkrtz_f16_f32 v51, v18, v19
	v_cvt_pk_f32_fp8_e32 v[36:37], v20
	v_mfma_f32_16x16x16_f16 v[30:33], v[32:33], v[6:7], 0
	v_cvt_pk_f32_fp8_sdwa v[18:19], v20 src0_sel:WORD_1
	v_mfma_f32_16x16x16_f16 v[22:25], v[34:35], v[8:9], v[22:25]
	v_cvt_pkrtz_f16_f32 v34, v38, v39
	v_cvt_pkrtz_f16_f32 v35, v46, v47
	v_cvt_pk_f32_fp8_e32 v[38:39], v21
	v_mfma_f32_16x16x16_f16 v[30:33], v[50:51], v[8:9], v[30:33]
	v_cvt_pkrtz_f16_f32 v46, v48, v49
	v_cvt_pkrtz_f16_f32 v47, v52, v53
	v_cvt_pk_f32_fp8_sdwa v[48:49], v21 src0_sel:WORD_1
	v_cvt_pkrtz_f16_f32 v50, v36, v37
	v_cvt_pkrtz_f16_f32 v51, v18, v19
	v_mfma_f32_16x16x16_f16 v[22:25], v[34:35], v[2:3], v[22:25]
	v_cvt_pkrtz_f16_f32 v18, v38, v39
	v_cvt_pkrtz_f16_f32 v19, v48, v49
	s_waitcnt vmcnt(5)
	v_cvt_pk_f32_fp8_sdwa v[38:39], v13 src0_sel:WORD_1
	v_mfma_f32_16x16x16_f16 v[34:37], v[46:47], v[4:5], v[22:25]
	s_waitcnt vmcnt(4)
	v_mad_i64_i32 v[20:21], s[6:7], v56, s45, v[28:29]
	v_mfma_f32_16x16x16_f16 v[22:25], v[50:51], v[2:3], v[30:33]
	v_mul_f32_e32 v50, s4, v57
	s_nop 1
	v_cvt_pk_f32_fp8_e32 v[30:31], v10
	v_cvt_pk_f32_fp8_sdwa v[32:33], v10 src0_sel:WORD_1
	v_mfma_f32_16x16x16_f16 v[46:49], v[18:19], v[4:5], v[22:25]
	v_cvt_pk_f32_fp8_e32 v[18:19], v11
	v_cvt_pk_f32_fp8_sdwa v[10:11], v11 src0_sel:WORD_1
	v_cvt_pkrtz_f16_f32 v18, v18, v19
	v_cvt_pkrtz_f16_f32 v22, v30, v31
	;; [unrolled: 1-line block ×3, first 2 shown]
	v_cvt_pk_f32_fp8_e32 v[30:31], v12
	v_cvt_pk_f32_fp8_sdwa v[32:33], v12 src0_sel:WORD_1
	v_cvt_pkrtz_f16_f32 v19, v10, v11
	v_mfma_f32_16x16x16_f16 v[22:25], v[22:23], v[6:7], 0
	v_cvt_pkrtz_f16_f32 v30, v30, v31
	v_cvt_pkrtz_f16_f32 v31, v32, v33
	v_cvt_pk_f32_fp8_e32 v[32:33], v13
	v_mfma_f32_16x16x16_f16 v[10:13], v[18:19], v[8:9], v[22:25]
	v_cvt_pkrtz_f16_f32 v19, v38, v39
	s_waitcnt vmcnt(3)
	v_cvt_pk_f32_fp8_sdwa v[38:39], v16 src0_sel:WORD_1
	v_cvt_pkrtz_f16_f32 v18, v32, v33
	v_mfma_f32_16x16x16_f16 v[10:13], v[30:31], v[2:3], v[10:13]
	v_cvt_pk_f32_fp8_e32 v[24:25], v14
	v_cvt_pk_f32_fp8_sdwa v[30:31], v14 src0_sel:WORD_1
	v_pk_mul_f32 v[22:23], v[50:51], v[36:37] op_sel_hi:[0,1]
	v_mfma_f32_16x16x16_f16 v[10:13], v[18:19], v[4:5], v[10:13]
	v_cvt_pk_f32_fp8_e32 v[18:19], v15
	v_cvt_pkrtz_f16_f32 v24, v24, v25
	v_cvt_pkrtz_f16_f32 v25, v30, v31
	v_cvt_pk_f32_fp8_sdwa v[14:15], v15 src0_sel:WORD_1
	v_cvt_pkrtz_f16_f32 v18, v18, v19
	v_cvt_pk_f32_fp8_e32 v[30:31], v16
	v_pk_mul_f32 v[32:33], v[50:51], v[34:35] op_sel_hi:[0,1]
	v_cvt_pkrtz_f16_f32 v19, v14, v15
	v_mfma_f32_16x16x16_f16 v[34:37], v[24:25], v[6:7], 0
	v_cvt_pkrtz_f16_f32 v14, v30, v31
	v_cvt_pkrtz_f16_f32 v15, v38, v39
	v_cvt_pk_f32_fp8_e32 v[24:25], v17
	v_cvt_pk_f32_fp8_sdwa v[16:17], v17 src0_sel:WORD_1
	v_mfma_f32_16x16x16_f16 v[6:9], v[18:19], v[8:9], v[34:37]
	v_pk_mul_f32 v[38:39], v[50:51], v[46:47] op_sel_hi:[0,1]
	v_cvt_pkrtz_f16_f32 v18, v24, v25
	v_cvt_pkrtz_f16_f32 v19, v16, v17
	v_mfma_f32_16x16x16_f16 v[6:9], v[14:15], v[2:3], v[6:9]
	v_pk_mul_f32 v[34:35], v[50:51], v[48:49] op_sel_hi:[0,1]
	v_pk_mul_f32 v[36:37], v[50:51], v[10:11] op_sel_hi:[0,1]
	;; [unrolled: 1-line block ×3, first 2 shown]
	v_mfma_f32_16x16x16_f16 v[2:5], v[18:19], v[4:5], v[6:9]
	s_nop 6
	v_pk_mul_f32 v[24:25], v[50:51], v[2:3] op_sel_hi:[0,1]
	v_and_b32_e32 v2, 0xc0, v0
	v_add_u32_e32 v2, s5, v2
	v_lshl_or_b32 v2, v1, 2, v2
	v_pk_mul_f32 v[18:19], v[50:51], v[4:5] op_sel_hi:[0,1]
	v_or_b32_e32 v5, 1, v2
	v_mov_b32_e32 v3, 0xff7fffff
	v_cmp_gt_i32_e64 s[4:5], s48, v2
	v_cmp_gt_i32_e64 s[34:35], s48, v5
	v_or_b32_e32 v6, 3, v2
	v_cndmask_b32_e64 v4, v3, v32, s[4:5]
	v_cndmask_b32_e64 v5, v3, v33, s[34:35]
	v_max3_f32 v4, v4, s44, v5
	v_or_b32_e32 v5, 2, v2
	v_cmp_gt_i32_e64 s[36:37], s48, v5
	v_cmp_gt_i32_e64 s[38:39], s48, v6
	s_nop 0
	v_cndmask_b32_e64 v5, v3, v22, s[36:37]
	v_cndmask_b32_e64 v6, v3, v23, s[38:39]
	v_max3_f32 v4, v4, v5, v6
	v_or_b32_e32 v5, 16, v2
	v_or_b32_e32 v6, 17, v2
	v_cmp_gt_i32_e64 s[24:25], s48, v5
	v_cmp_gt_i32_e64 s[26:27], s48, v6
	s_nop 0
	v_cndmask_b32_e64 v5, v3, v38, s[24:25]
	v_cndmask_b32_e64 v6, v3, v39, s[26:27]
	v_max3_f32 v4, v4, v5, v6
	v_or_b32_e32 v5, 18, v2
	;; [unrolled: 8-line block ×6, first 2 shown]
	v_or_b32_e32 v2, 51, v2
	v_cmp_gt_i32_e32 vcc, s48, v5
	v_cmp_gt_i32_e64 s[6:7], s48, v2
	s_nop 0
	v_cndmask_b32_e32 v5, v3, v18, vcc
	v_cndmask_b32_e64 v2, v3, v19, s[6:7]
	v_max3_f32 v4, v4, v5, v2
	v_mbcnt_lo_u32_b32 v2, -1, 0
	v_mbcnt_hi_u32_b32 v5, -1, v2
	v_and_b32_e32 v2, 64, v5
	v_add_u32_e32 v6, 64, v2
	v_xor_b32_e32 v2, 32, v5
	v_cmp_lt_i32_e64 s[40:41], v2, v6
	s_nop 1
	v_cndmask_b32_e64 v2, v5, v2, s[40:41]
	v_lshlrev_b32_e32 v46, 2, v2
	ds_bpermute_b32 v7, v46, v4
	s_waitcnt vmcnt(2)
	v_mad_i64_i32 v[2:3], s[40:41], v45, s45, v[28:29]
	global_load_dwordx4 v[14:17], v[20:21], off
	global_load_dwordx4 v[10:13], v[2:3], off
	v_xor_b32_e32 v3, 16, v5
	v_cmp_lt_i32_e64 s[40:41], v3, v6
	s_waitcnt lgkmcnt(0)
	v_max_f32_e32 v2, v7, v7
	v_max_f32_e32 v2, v4, v2
	v_cndmask_b32_e64 v3, v5, v3, s[40:41]
	v_lshlrev_b32_e32 v45, 2, v3
	ds_bpermute_b32 v3, v45, v2
	s_waitcnt vmcnt(3)
	v_mad_i64_i32 v[20:21], s[40:41], v27, s45, v[28:29]
	s_waitcnt vmcnt(2)
	v_mad_i64_i32 v[28:29], s[40:41], v44, s45, v[28:29]
	s_waitcnt lgkmcnt(0)
	v_max_f32_e32 v3, v3, v3
	v_max_f32_e32 v27, v2, v3
	v_sub_f32_e32 v2, v32, v27
	v_mul_f32_e32 v2, 0x3fb8aa3b, v2
	v_exp_f32_e32 v32, v2
	v_sub_f32_e32 v2, v33, v27
	v_mul_f32_e32 v2, 0x3fb8aa3b, v2
	v_exp_f32_e32 v33, v2
	global_load_dwordx4 v[6:9], v[20:21], off
	global_load_dwordx4 v[2:5], v[28:29], off
	v_sub_f32_e32 v22, v22, v27
	v_mul_f32_e32 v22, 0x3fb8aa3b, v22
	v_sub_f32_e32 v23, v23, v27
	v_exp_f32_e32 v22, v22
	v_mul_f32_e32 v23, 0x3fb8aa3b, v23
	v_exp_f32_e32 v23, v23
	v_cndmask_b32_e64 v20, 0, v32, s[4:5]
	v_add_f32_e32 v28, 0, v20
	v_cndmask_b32_e64 v21, 0, v33, s[34:35]
	v_add_f32_e32 v28, v28, v21
	;; [unrolled: 2-line block ×3, first 2 shown]
	v_cndmask_b32_e64 v33, 0, v23, s[38:39]
	v_sub_f32_e32 v23, v38, v27
	v_sub_f32_e32 v28, v39, v27
	v_mul_f32_e32 v23, 0x3fb8aa3b, v23
	v_mul_f32_e32 v28, 0x3fb8aa3b, v28
	v_exp_f32_e32 v23, v23
	v_exp_f32_e32 v28, v28
	v_add_f32_e32 v29, v22, v33
	v_sub_f32_e32 v30, v30, v27
	v_cndmask_b32_e64 v22, 0, v23, s[24:25]
	v_cndmask_b32_e64 v23, 0, v28, s[26:27]
	v_sub_f32_e32 v28, v34, v27
	v_mul_f32_e32 v28, 0x3fb8aa3b, v28
	v_exp_f32_e32 v28, v28
	v_sub_f32_e32 v34, v35, v27
	v_add_f32_e32 v29, v29, v22
	v_mul_f32_e32 v34, 0x3fb8aa3b, v34
	v_exp_f32_e32 v35, v34
	v_add_f32_e32 v29, v29, v23
	v_cndmask_b32_e64 v34, 0, v28, s[20:21]
	v_add_f32_e32 v28, v29, v34
	v_sub_f32_e32 v29, v36, v27
	v_mul_f32_e32 v29, 0x3fb8aa3b, v29
	v_sub_f32_e32 v36, v37, v27
	v_exp_f32_e32 v29, v29
	v_mul_f32_e32 v36, 0x3fb8aa3b, v36
	v_exp_f32_e32 v36, v36
	v_mul_f32_e32 v30, 0x3fb8aa3b, v30
	v_sub_f32_e32 v31, v31, v27
	v_exp_f32_e32 v30, v30
	v_mul_f32_e32 v31, 0x3fb8aa3b, v31
	v_sub_f32_e32 v24, v24, v27
	v_cndmask_b32_e64 v35, 0, v35, s[22:23]
	v_exp_f32_e32 v31, v31
	v_mul_f32_e32 v24, 0x3fb8aa3b, v24
	v_sub_f32_e32 v25, v25, v27
	v_add_f32_e32 v37, v28, v35
	v_cndmask_b32_e64 v28, 0, v29, s[16:17]
	v_exp_f32_e32 v24, v24
	v_mul_f32_e32 v25, 0x3fb8aa3b, v25
	v_sub_f32_e32 v18, v18, v27
	v_add_f32_e32 v37, v37, v28
	;; [unrolled: 5-line block ×3, first 2 shown]
	v_cndmask_b32_e64 v30, 0, v30, s[12:13]
	v_exp_f32_e32 v18, v18
	v_mul_f32_e32 v19, 0x3fb8aa3b, v19
	v_add_f32_e32 v36, v36, v30
	v_cndmask_b32_e64 v31, 0, v31, s[14:15]
	v_exp_f32_e32 v19, v19
	v_add_f32_e32 v36, v36, v31
	v_cndmask_b32_e64 v24, 0, v24, s[8:9]
	v_add_f32_e32 v36, v36, v24
	v_cndmask_b32_e64 v25, 0, v25, s[10:11]
	v_add_f32_e32 v36, v36, v25
	v_cndmask_b32_e32 v18, 0, v18, vcc
	v_add_f32_e32 v36, v36, v18
	v_cndmask_b32_e64 v19, 0, v19, s[6:7]
	v_add_f32_e32 v36, v36, v19
	ds_bpermute_b32 v37, v46, v36
	v_cmp_gt_u32_e32 vcc, 16, v41
	s_waitcnt lgkmcnt(0)
	s_barrier
	v_add_f32_e32 v37, v36, v37
	ds_bpermute_b32 v38, v45, v37
	v_lshlrev_b32_e32 v36, 2, v43
	s_and_saveexec_b64 s[4:5], vcc
	s_cbranch_execz .LBB845_13
; %bb.12:
	s_waitcnt lgkmcnt(0)
	v_add_f32_e32 v37, v37, v38
	v_lshl_or_b32 v38, v42, 6, v36
	ds_write2st64_b32 v38, v27, v37 offset1:1
.LBB845_13:
	s_or_b64 exec, exec, s[4:5]
	s_load_dword s6, s[0:1], 0x94
	s_waitcnt lgkmcnt(0)
	s_barrier
	ds_read2_b32 v[38:39], v36 offset1:16
	ds_read2_b32 v[44:45], v36 offset0:32 offset1:48
	ds_read2_b32 v[46:47], v36 offset0:64 offset1:80
	s_lshl_b32 s7, s33, 1
	s_waitcnt lgkmcnt(2)
	v_max3_f32 v27, v38, s44, v39
	s_waitcnt lgkmcnt(1)
	v_max3_f32 v27, v27, v44, v45
	v_sub_f32_e32 v37, v38, v27
	v_sub_f32_e32 v38, v39, v27
	v_mul_f32_e32 v38, 0x3fb8aa3b, v38
	v_mul_f32_e32 v37, 0x3fb8aa3b, v37
	v_exp_f32_e32 v48, v38
	v_sub_f32_e32 v38, v44, v27
	v_exp_f32_e32 v37, v37
	v_mul_f32_e32 v38, 0x3fb8aa3b, v38
	v_exp_f32_e32 v44, v38
	ds_read2_b32 v[38:39], v36 offset0:96 offset1:112
	v_sub_f32_e32 v36, v45, v27
	v_mul_f32_e32 v36, 0x3fb8aa3b, v36
	v_exp_f32_e32 v45, v36
	s_waitcnt lgkmcnt(1)
	v_fma_f32 v36, v37, v46, 0
	v_fmac_f32_e32 v36, v48, v47
	s_waitcnt lgkmcnt(0)
	v_fmac_f32_e32 v36, v44, v38
	v_fmac_f32_e32 v36, v45, v39
	v_add_f32_e32 v38, 0x358637bd, v36
	v_div_scale_f32 v39, s[4:5], v38, v38, 1.0
	v_rcp_f32_e32 v46, v39
	s_barrier
	v_fma_f32 v47, -v39, v46, 1.0
	v_fmac_f32_e32 v46, v47, v46
	v_div_scale_f32 v47, vcc, 1.0, v38, 1.0
	v_mul_f32_e32 v49, v47, v46
	v_fma_f32 v50, -v39, v49, v47
	v_fmac_f32_e32 v49, v50, v46
	v_fma_f32 v39, -v39, v49, v47
	v_div_fmas_f32 v39, v39, v46, v49
	v_cmp_eq_u32_e32 vcc, 1, v42
	v_div_fixup_f32 v38, v39, v38, 1.0
	s_nop 0
	v_cndmask_b32_e32 v37, v37, v48, vcc
	v_cmp_eq_u32_e32 vcc, 2, v42
	s_nop 1
	v_cndmask_b32_e32 v37, v37, v44, vcc
	v_cmp_eq_u32_e32 vcc, 3, v42
	s_nop 1
	v_cndmask_b32_e32 v37, v37, v45, vcc
	v_mul_f32_e32 v38, v37, v38
	v_pk_mul_f32 v[32:33], v[38:39], v[32:33] op_sel_hi:[0,1]
	v_pk_mul_f32 v[20:21], v[38:39], v[20:21] op_sel_hi:[0,1]
	v_cvt_f16_f32_e32 v20, v20
	v_cvt_f16_f32_e32 v21, v21
	v_cvt_f16_f32_e32 v37, v32
	v_cvt_f16_f32_e32 v33, v33
	v_pk_mul_f32 v[34:35], v[38:39], v[34:35] op_sel_hi:[0,1]
	v_pk_mul_f32 v[22:23], v[38:39], v[22:23] op_sel_hi:[0,1]
	v_cvt_f16_f32_e32 v22, v22
	v_cvt_f16_f32_e32 v23, v23
	;; [unrolled: 1-line block ×4, first 2 shown]
	v_pack_b32_f16 v32, v20, v21
	v_pack_b32_f16 v33, v37, v33
	v_lshlrev_b32_e32 v20, 3, v1
	v_lshlrev_b32_e32 v21, 5, v43
	;; [unrolled: 1-line block ×3, first 2 shown]
	v_or3_b32 v20, v37, v21, v20
	v_pack_b32_f16 v22, v22, v23
	v_pack_b32_f16 v23, v34, v35
	ds_write2st64_b64 v20, v[32:33], v[22:23] offset1:1
	v_pk_mul_f32 v[22:23], v[38:39], v[30:31] op_sel_hi:[0,1]
	v_pk_mul_f32 v[28:29], v[38:39], v[28:29] op_sel_hi:[0,1]
	v_cvt_f16_f32_e32 v30, v22
	v_cvt_f16_f32_e32 v31, v23
	v_pk_mul_f32 v[18:19], v[38:39], v[18:19] op_sel_hi:[0,1]
	v_pk_mul_f32 v[22:23], v[38:39], v[24:25] op_sel_hi:[0,1]
	v_cvt_f16_f32_e32 v28, v28
	v_cvt_f16_f32_e32 v29, v29
	v_cvt_f16_f32_e32 v22, v22
	v_cvt_f16_f32_e32 v23, v23
	v_cvt_f16_f32_e32 v24, v18
	v_cvt_f16_f32_e32 v25, v19
	v_pack_b32_f16 v18, v28, v29
	v_pack_b32_f16 v19, v30, v31
	;; [unrolled: 1-line block ×4, first 2 shown]
	v_cmp_gt_u32_e32 vcc, 2, v0
	ds_write2st64_b64 v20, v[18:19], v[22:23] offset0:2 offset1:3
	s_and_saveexec_b64 s[4:5], vcc
	s_cbranch_execz .LBB845_15
; %bb.14:
	v_or_b32_e32 v18, s29, v0
	v_mov_b32_e32 v19, 0
	v_mov_b32_e32 v22, s7
	v_mad_u64_u32 v[22:23], s[12:13], s2, v22, v[18:19]
	v_mov_b32_e32 v18, s28
	s_load_dwordx4 s[8:11], s[0:1], 0x58
	s_mul_i32 s3, s3, s7
	v_mad_u64_u32 v[18:19], s[12:13], v22, s6, v[18:19]
	v_add_u32_e32 v23, s3, v23
	v_mov_b32_e32 v22, v19
	v_mad_u64_u32 v[22:23], s[12:13], v23, s6, v[22:23]
	v_mov_b32_e32 v19, v22
	v_lshlrev_b64 v[18:19], 2, v[18:19]
	s_waitcnt lgkmcnt(0)
	v_lshl_add_u64 v[22:23], s[10:11], 0, v[18:19]
	v_lshl_add_u64 v[18:19], s[8:9], 0, v[18:19]
	global_store_dword v[22:23], v27, off
	global_store_dword v[18:19], v36, off
.LBB845_15:
	s_or_b64 exec, exec, s[4:5]
	s_waitcnt vmcnt(3)
	v_cvt_pk_f32_fp8_e32 v[18:19], v14
	v_cvt_pk_f32_fp8_sdwa v[22:23], v14 src0_sel:WORD_1
	v_cvt_pk_f32_fp8_e32 v[24:25], v15
	v_lshl_or_b32 v14, v1, 9, v21
	s_waitcnt lgkmcnt(0)
	s_barrier
	v_cvt_pkrtz_f16_f32 v18, v18, v19
	v_cvt_pkrtz_f16_f32 v19, v22, v23
	v_cvt_pk_f32_fp8_sdwa v[28:29], v15 src0_sel:WORD_1
	v_cvt_pkrtz_f16_f32 v36, v24, v25
	ds_read_b128 v[22:25], v14
	v_cvt_pk_f32_fp8_e32 v[38:39], v16
	v_cvt_pkrtz_f16_f32 v37, v28, v29
	ds_read_b128 v[28:31], v14 offset:16
	v_cvt_pk_f32_fp8_sdwa v[42:43], v16 src0_sel:WORD_1
	s_waitcnt lgkmcnt(1)
	v_mfma_f32_16x16x16_f16 v[32:35], v[18:19], v[22:23], 0
	v_cvt_pkrtz_f16_f32 v18, v38, v39
	v_cvt_pk_f32_fp8_e32 v[38:39], v17
	v_cvt_pkrtz_f16_f32 v19, v42, v43
	v_mfma_f32_16x16x16_f16 v[22:25], v[36:37], v[24:25], v[32:35]
	s_waitcnt vmcnt(2)
	v_cvt_pk_f32_fp8_sdwa v[36:37], v12 src0_sel:WORD_1
	s_load_dword s4, s[42:43], 0x0
	v_cmp_gt_u32_e32 vcc, 64, v0
	v_cvt_pk_f32_fp8_sdwa v[32:33], v17 src0_sel:WORD_1
	v_cvt_pkrtz_f16_f32 v34, v38, v39
	s_waitcnt lgkmcnt(0)
	v_mfma_f32_16x16x16_f16 v[16:19], v[18:19], v[28:29], v[22:25]
	v_cvt_pk_f32_fp8_e32 v[28:29], v11
	v_cvt_pkrtz_f16_f32 v35, v32, v33
	s_mov_b32 s3, 0
	v_cvt_pk_f32_fp8_e32 v[22:23], v10
	v_cvt_pk_f32_fp8_sdwa v[24:25], v10 src0_sel:WORD_1
	v_mfma_f32_16x16x16_f16 v[16:19], v[34:35], v[30:31], v[16:19]
	v_cvt_pkrtz_f16_f32 v10, v22, v23
	v_cvt_pk_f32_fp8_sdwa v[30:31], v11 src0_sel:WORD_1
	v_cvt_pkrtz_f16_f32 v11, v24, v25
	ds_read_b128 v[22:25], v14 offset:2048
	v_cvt_pkrtz_f16_f32 v32, v28, v29
	v_cvt_pkrtz_f16_f32 v33, v30, v31
	ds_read_b128 v[28:31], v14 offset:2064
	v_cvt_pk_f32_fp8_e32 v[34:35], v12
	s_waitcnt lgkmcnt(1)
	v_mfma_f32_16x16x16_f16 v[16:19], v[10:11], v[22:23], v[16:19]
	v_cvt_pkrtz_f16_f32 v11, v36, v37
	v_cvt_pk_f32_fp8_e32 v[22:23], v13
	v_cvt_pkrtz_f16_f32 v10, v34, v35
	v_mfma_f32_16x16x16_f16 v[16:19], v[32:33], v[24:25], v[16:19]
	v_cvt_pk_f32_fp8_sdwa v[24:25], v13 src0_sel:WORD_1
	v_cvt_pkrtz_f16_f32 v22, v22, v23
	s_waitcnt vmcnt(1)
	v_cvt_pk_f32_fp8_sdwa v[32:33], v8 src0_sel:WORD_1
	s_waitcnt lgkmcnt(0)
	v_mfma_f32_16x16x16_f16 v[10:13], v[10:11], v[28:29], v[16:19]
	v_cvt_pkrtz_f16_f32 v23, v24, v25
	v_cvt_pk_f32_fp8_sdwa v[24:25], v7 src0_sel:WORD_1
	v_mov_b32_e32 v27, 0
	v_cvt_pk_f32_fp8_e32 v[16:17], v6
	v_cvt_pk_f32_fp8_sdwa v[18:19], v6 src0_sel:WORD_1
	v_mfma_f32_16x16x16_f16 v[10:13], v[22:23], v[30:31], v[10:13]
	v_cvt_pk_f32_fp8_e32 v[22:23], v7
	v_cvt_pkrtz_f16_f32 v6, v16, v17
	v_cvt_pkrtz_f16_f32 v7, v18, v19
	ds_read_b128 v[16:19], v14 offset:4096
	v_cvt_pkrtz_f16_f32 v28, v22, v23
	v_cvt_pkrtz_f16_f32 v29, v24, v25
	ds_read_b128 v[22:25], v14 offset:4112
	v_cvt_pk_f32_fp8_e32 v[30:31], v8
	s_waitcnt lgkmcnt(1)
	v_mfma_f32_16x16x16_f16 v[10:13], v[6:7], v[16:17], v[10:13]
	v_cvt_pkrtz_f16_f32 v7, v32, v33
	v_cvt_pk_f32_fp8_e32 v[16:17], v9
	v_cvt_pkrtz_f16_f32 v6, v30, v31
	v_mfma_f32_16x16x16_f16 v[10:13], v[28:29], v[18:19], v[10:13]
	v_cvt_pk_f32_fp8_sdwa v[18:19], v9 src0_sel:WORD_1
	v_cvt_pkrtz_f16_f32 v16, v16, v17
	v_cvt_pkrtz_f16_f32 v17, v18, v19
	s_waitcnt lgkmcnt(0)
	v_mfma_f32_16x16x16_f16 v[6:9], v[6:7], v[22:23], v[10:13]
	s_waitcnt vmcnt(0)
	v_cvt_pk_f32_fp8_sdwa v[18:19], v3 src0_sel:WORD_1
	s_nop 0
	v_cvt_pkrtz_f16_f32 v23, v18, v19
	v_cvt_pk_f32_fp8_e32 v[10:11], v2
	v_cvt_pk_f32_fp8_sdwa v[12:13], v2 src0_sel:WORD_1
	v_mfma_f32_16x16x16_f16 v[6:9], v[16:17], v[24:25], v[6:9]
	v_cvt_pk_f32_fp8_e32 v[16:17], v3
	v_cvt_pkrtz_f16_f32 v2, v10, v11
	v_cvt_pkrtz_f16_f32 v3, v12, v13
	ds_read_b128 v[10:13], v14 offset:6144
	v_cvt_pkrtz_f16_f32 v22, v16, v17
	v_cvt_pk_f32_fp8_e32 v[18:19], v4
	v_cvt_pk_f32_fp8_sdwa v[24:25], v4 src0_sel:WORD_1
	s_waitcnt lgkmcnt(0)
	v_mfma_f32_16x16x16_f16 v[6:9], v[2:3], v[10:11], v[6:9]
	ds_read_b128 v[14:17], v14 offset:6160
	v_cvt_pkrtz_f16_f32 v2, v18, v19
	v_cvt_pkrtz_f16_f32 v3, v24, v25
	v_cvt_pk_f32_fp8_e32 v[10:11], v5
	v_mfma_f32_16x16x16_f16 v[6:9], v[22:23], v[12:13], v[6:9]
	v_cvt_pk_f32_fp8_sdwa v[12:13], v5 src0_sel:WORD_1
	s_waitcnt lgkmcnt(0)
	v_cvt_pkrtz_f16_f32 v10, v10, v11
	v_mfma_f32_16x16x16_f16 v[2:5], v[2:3], v[14:15], v[6:9]
	v_cvt_pkrtz_f16_f32 v11, v12, v13
	s_barrier
	s_nop 0
	v_mfma_f32_16x16x16_f16 v[2:5], v[10:11], v[16:17], v[2:5]
	s_nop 6
	v_pk_mul_f32 v[4:5], v[4:5], s[4:5] op_sel_hi:[1,0]
	v_pk_mul_f32 v[2:3], v[2:3], s[4:5] op_sel_hi:[1,0]
	v_cvt_f16_f32_e32 v4, v4
	v_cvt_f16_f32_e32 v2, v2
	;; [unrolled: 1-line block ×4, first 2 shown]
	v_cmp_gt_u32_e64 s[4:5], 32, v41
	s_and_b64 s[4:5], s[4:5], vcc
	v_pack_b32_f16 v2, v2, v3
	v_pack_b32_f16 v3, v4, v5
	s_and_b64 s[4:5], s[4:5], s[30:31]
	ds_write_b64 v20, v[2:3]
	s_waitcnt lgkmcnt(0)
	s_barrier
	s_and_saveexec_b64 s[8:9], s[4:5]
	s_cbranch_execz .LBB845_17
; %bb.16:
	s_load_dwordx2 s[0:1], s[0:1], 0x68
	s_mul_i32 s2, s7, s2
	s_lshl_b32 s6, s6, 6
	s_mul_hi_u32 s5, s2, s6
	s_mul_i32 s4, s2, s6
	v_lshlrev_b32_e32 v0, 10, v0
	s_lshl_b64 s[4:5], s[4:5], 1
	v_and_b32_e32 v0, 0x1800, v0
	v_lshlrev_b32_e32 v2, 5, v1
	v_and_b32_e32 v3, 16, v40
	s_waitcnt lgkmcnt(0)
	s_add_u32 s4, s0, s4
	v_or3_b32 v0, v0, v2, v3
	s_addc_u32 s5, s1, s5
	s_lshl_b32 s2, s28, 6
	ds_read_b128 v[2:5], v0
	s_lshl_b64 s[0:1], s[2:3], 1
	s_add_u32 s0, s4, s0
	v_or_b32_e32 v0, s29, v1
	s_addc_u32 s1, s5, s1
	v_mad_u64_u32 v[0:1], s[2:3], s6, v0, 0
	v_lshl_add_u64 v[0:1], v[0:1], 1, s[0:1]
	v_lshl_add_u64 v[0:1], v[0:1], 0, v[26:27]
	s_waitcnt lgkmcnt(0)
	global_store_dwordx4 v[0:1], v[2:5], off
.LBB845_17:
	s_endpgm
	.section	.rodata,"a",@progbits
	.p2align	6, 0x0
	.amdhsa_kernel _Z39paged_attention_ll4mi_QKV_mfma16_kernelIDF16_hLN4vllm18Fp8KVCacheDataTypeE1EDF16_Li16ELi64ELi256ELb0ELi2EEvPKT_PKT0_S7_ifPKiS9_S9_iPKfiiiPfSC_PS2_PT2_iSB_SB_
		.amdhsa_group_segment_fixed_size 8192
		.amdhsa_private_segment_fixed_size 0
		.amdhsa_kernarg_size 400
		.amdhsa_user_sgpr_count 2
		.amdhsa_user_sgpr_dispatch_ptr 0
		.amdhsa_user_sgpr_queue_ptr 0
		.amdhsa_user_sgpr_kernarg_segment_ptr 1
		.amdhsa_user_sgpr_dispatch_id 0
		.amdhsa_user_sgpr_kernarg_preload_length 0
		.amdhsa_user_sgpr_kernarg_preload_offset 0
		.amdhsa_user_sgpr_private_segment_size 0
		.amdhsa_uses_dynamic_stack 0
		.amdhsa_enable_private_segment 0
		.amdhsa_system_sgpr_workgroup_id_x 1
		.amdhsa_system_sgpr_workgroup_id_y 1
		.amdhsa_system_sgpr_workgroup_id_z 1
		.amdhsa_system_sgpr_workgroup_info 0
		.amdhsa_system_vgpr_workitem_id 0
		.amdhsa_next_free_vgpr 58
		.amdhsa_next_free_sgpr 49
		.amdhsa_accum_offset 60
		.amdhsa_reserve_vcc 1
		.amdhsa_float_round_mode_32 0
		.amdhsa_float_round_mode_16_64 0
		.amdhsa_float_denorm_mode_32 3
		.amdhsa_float_denorm_mode_16_64 3
		.amdhsa_dx10_clamp 1
		.amdhsa_ieee_mode 1
		.amdhsa_fp16_overflow 0
		.amdhsa_tg_split 0
		.amdhsa_exception_fp_ieee_invalid_op 0
		.amdhsa_exception_fp_denorm_src 0
		.amdhsa_exception_fp_ieee_div_zero 0
		.amdhsa_exception_fp_ieee_overflow 0
		.amdhsa_exception_fp_ieee_underflow 0
		.amdhsa_exception_fp_ieee_inexact 0
		.amdhsa_exception_int_div_zero 0
	.end_amdhsa_kernel
	.section	.text._Z39paged_attention_ll4mi_QKV_mfma16_kernelIDF16_hLN4vllm18Fp8KVCacheDataTypeE1EDF16_Li16ELi64ELi256ELb0ELi2EEvPKT_PKT0_S7_ifPKiS9_S9_iPKfiiiPfSC_PS2_PT2_iSB_SB_,"axG",@progbits,_Z39paged_attention_ll4mi_QKV_mfma16_kernelIDF16_hLN4vllm18Fp8KVCacheDataTypeE1EDF16_Li16ELi64ELi256ELb0ELi2EEvPKT_PKT0_S7_ifPKiS9_S9_iPKfiiiPfSC_PS2_PT2_iSB_SB_,comdat
.Lfunc_end845:
	.size	_Z39paged_attention_ll4mi_QKV_mfma16_kernelIDF16_hLN4vllm18Fp8KVCacheDataTypeE1EDF16_Li16ELi64ELi256ELb0ELi2EEvPKT_PKT0_S7_ifPKiS9_S9_iPKfiiiPfSC_PS2_PT2_iSB_SB_, .Lfunc_end845-_Z39paged_attention_ll4mi_QKV_mfma16_kernelIDF16_hLN4vllm18Fp8KVCacheDataTypeE1EDF16_Li16ELi64ELi256ELb0ELi2EEvPKT_PKT0_S7_ifPKiS9_S9_iPKfiiiPfSC_PS2_PT2_iSB_SB_
                                        ; -- End function
	.section	.AMDGPU.csdata,"",@progbits
; Kernel info:
; codeLenInByte = 4504
; NumSgprs: 55
; NumVgprs: 58
; NumAgprs: 0
; TotalNumVgprs: 58
; ScratchSize: 0
; MemoryBound: 0
; FloatMode: 240
; IeeeMode: 1
; LDSByteSize: 8192 bytes/workgroup (compile time only)
; SGPRBlocks: 6
; VGPRBlocks: 7
; NumSGPRsForWavesPerEU: 55
; NumVGPRsForWavesPerEU: 58
; AccumOffset: 60
; Occupancy: 8
; WaveLimiterHint : 1
; COMPUTE_PGM_RSRC2:SCRATCH_EN: 0
; COMPUTE_PGM_RSRC2:USER_SGPR: 2
; COMPUTE_PGM_RSRC2:TRAP_HANDLER: 0
; COMPUTE_PGM_RSRC2:TGID_X_EN: 1
; COMPUTE_PGM_RSRC2:TGID_Y_EN: 1
; COMPUTE_PGM_RSRC2:TGID_Z_EN: 1
; COMPUTE_PGM_RSRC2:TIDIG_COMP_CNT: 0
; COMPUTE_PGM_RSRC3_GFX90A:ACCUM_OFFSET: 14
; COMPUTE_PGM_RSRC3_GFX90A:TG_SPLIT: 0
	.section	.text._Z39paged_attention_ll4mi_QKV_mfma16_kernelIDF16_hLN4vllm18Fp8KVCacheDataTypeE1EDF16_Li16ELi64ELi256ELb0ELi3EEvPKT_PKT0_S7_ifPKiS9_S9_iPKfiiiPfSC_PS2_PT2_iSB_SB_,"axG",@progbits,_Z39paged_attention_ll4mi_QKV_mfma16_kernelIDF16_hLN4vllm18Fp8KVCacheDataTypeE1EDF16_Li16ELi64ELi256ELb0ELi3EEvPKT_PKT0_S7_ifPKiS9_S9_iPKfiiiPfSC_PS2_PT2_iSB_SB_,comdat
	.protected	_Z39paged_attention_ll4mi_QKV_mfma16_kernelIDF16_hLN4vllm18Fp8KVCacheDataTypeE1EDF16_Li16ELi64ELi256ELb0ELi3EEvPKT_PKT0_S7_ifPKiS9_S9_iPKfiiiPfSC_PS2_PT2_iSB_SB_ ; -- Begin function _Z39paged_attention_ll4mi_QKV_mfma16_kernelIDF16_hLN4vllm18Fp8KVCacheDataTypeE1EDF16_Li16ELi64ELi256ELb0ELi3EEvPKT_PKT0_S7_ifPKiS9_S9_iPKfiiiPfSC_PS2_PT2_iSB_SB_
	.globl	_Z39paged_attention_ll4mi_QKV_mfma16_kernelIDF16_hLN4vllm18Fp8KVCacheDataTypeE1EDF16_Li16ELi64ELi256ELb0ELi3EEvPKT_PKT0_S7_ifPKiS9_S9_iPKfiiiPfSC_PS2_PT2_iSB_SB_
	.p2align	8
	.type	_Z39paged_attention_ll4mi_QKV_mfma16_kernelIDF16_hLN4vllm18Fp8KVCacheDataTypeE1EDF16_Li16ELi64ELi256ELb0ELi3EEvPKT_PKT0_S7_ifPKiS9_S9_iPKfiiiPfSC_PS2_PT2_iSB_SB_,@function
_Z39paged_attention_ll4mi_QKV_mfma16_kernelIDF16_hLN4vllm18Fp8KVCacheDataTypeE1EDF16_Li16ELi64ELi256ELb0ELi3EEvPKT_PKT0_S7_ifPKiS9_S9_iPKfiiiPfSC_PS2_PT2_iSB_SB_: ; @_Z39paged_attention_ll4mi_QKV_mfma16_kernelIDF16_hLN4vllm18Fp8KVCacheDataTypeE1EDF16_Li16ELi64ELi256ELb0ELi3EEvPKT_PKT0_S7_ifPKiS9_S9_iPKfiiiPfSC_PS2_PT2_iSB_SB_
; %bb.0:
	s_load_dwordx2 s[12:13], s[0:1], 0x30
	s_mov_b32 s28, s3
	s_mov_b64 s[6:7], 0
	s_waitcnt lgkmcnt(0)
	s_cmp_lg_u64 s[12:13], 0
	s_cselect_b64 s[14:15], -1, 0
	s_and_b64 vcc, exec, s[14:15]
	s_cbranch_vccz .LBB846_7
; %bb.1:
	s_add_i32 s8, s2, 1
	s_mov_b32 s9, 0
	s_lshl_b64 s[10:11], s[8:9], 2
	s_add_u32 s10, s12, s10
	s_mov_b32 s3, s9
	s_addc_u32 s11, s13, s11
	s_lshl_b64 s[8:9], s[2:3], 2
	s_add_u32 s8, s12, s8
	s_addc_u32 s9, s13, s9
	s_load_dword s5, s[10:11], 0x0
	s_load_dword s16, s[8:9], 0x0
	s_waitcnt lgkmcnt(0)
	s_sub_i32 s5, s5, s16
	s_cmp_eq_u32 s5, 1
	s_cselect_b64 s[8:9], -1, 0
	s_andn2_b64 vcc, exec, s[6:7]
	s_cbranch_vccnz .LBB846_3
.LBB846_2:
	s_mov_b32 s3, 0
	s_mov_b64 s[8:9], -1
.LBB846_3:
	s_andn2_b64 vcc, exec, s[8:9]
	s_cbranch_vccnz .LBB846_17
; %bb.4:
	s_load_dwordx2 s[6:7], s[0:1], 0x28
	s_lshl_b64 s[16:17], s[2:3], 2
	s_waitcnt lgkmcnt(0)
	s_add_u32 s6, s6, s16
	s_addc_u32 s7, s7, s17
	s_load_dword s33, s[6:7], 0x0
	s_lshl_b32 s5, s28, 8
	s_waitcnt lgkmcnt(0)
	s_cmp_ge_i32 s5, s33
	s_cbranch_scc1 .LBB846_17
; %bb.5:
	s_load_dwordx2 s[6:7], s[0:1], 0x20
	s_load_dword s8, s[0:1], 0x38
	s_add_i32 s9, s33, 15
	s_ashr_i32 s10, s9, 31
	v_and_b32_e32 v1, 0xcf, v0
	s_lshr_b32 s10, s10, 28
	v_add_u32_e32 v1, s5, v1
	s_add_i32 s9, s9, s10
	v_ashrrev_i32_e32 v2, 31, v1
	s_ashr_i32 s18, s9, 4
	v_lshrrev_b32_e32 v4, 28, v2
	s_add_i32 s18, s18, -1
	s_waitcnt lgkmcnt(0)
	s_mul_i32 s8, s2, s8
	s_mov_b32 s9, 0
	v_add_u32_e32 v2, v1, v4
	s_lshl_b64 s[8:9], s[8:9], 2
	v_ashrrev_i32_e32 v2, 4, v2
	v_mov_b32_e32 v5, s18
	v_cmp_gt_i32_e32 vcc, s33, v1
	s_add_u32 s6, s6, s8
	s_addc_u32 s7, s7, s9
	v_cndmask_b32_e32 v2, v5, v2, vcc
	v_ashrrev_i32_e32 v3, 31, v2
	v_lshl_add_u64 v[6:7], v[2:3], 2, s[6:7]
	v_or_b32_e32 v2, 16, v1
	v_add_u32_e32 v3, v2, v4
	v_ashrrev_i32_e32 v3, 4, v3
	v_cmp_gt_i32_e32 vcc, s33, v2
	s_load_dwordx4 s[8:11], s[0:1], 0x8
	s_nop 0
	v_cndmask_b32_e32 v2, v5, v3, vcc
	v_ashrrev_i32_e32 v3, 31, v2
	v_lshl_add_u64 v[10:11], v[2:3], 2, s[6:7]
	v_or_b32_e32 v2, 32, v1
	v_add_u32_e32 v3, v2, v4
	v_ashrrev_i32_e32 v3, 4, v3
	v_cmp_gt_i32_e32 vcc, s33, v2
	v_or_b32_e32 v1, 48, v1
	s_nop 0
	v_cndmask_b32_e32 v2, v5, v3, vcc
	v_ashrrev_i32_e32 v3, 31, v2
	v_lshl_add_u64 v[12:13], v[2:3], 2, s[6:7]
	v_add_u32_e32 v2, v1, v4
	v_ashrrev_i32_e32 v2, 4, v2
	v_cmp_gt_i32_e32 vcc, s33, v1
	s_nop 1
	v_cndmask_b32_e32 v2, v5, v2, vcc
	v_ashrrev_i32_e32 v3, 31, v2
	v_lshl_add_u64 v[14:15], v[2:3], 2, s[6:7]
	global_load_dword v4, v[6:7], off
	global_load_dword v3, v[10:11], off
	;; [unrolled: 1-line block ×4, first 2 shown]
	s_andn2_b64 vcc, exec, s[14:15]
	s_cbranch_vccnz .LBB846_8
; %bb.6:
	s_add_u32 s12, s12, s16
	s_addc_u32 s13, s13, s17
	s_load_dword s14, s[12:13], 0x0
	s_branch .LBB846_9
.LBB846_7:
	s_mov_b64 s[8:9], 0
	s_branch .LBB846_2
.LBB846_8:
	s_mov_b32 s14, s2
.LBB846_9:
	s_load_dwordx4 s[44:47], s[0:1], 0x48
	v_lshrrev_b32_e32 v29, 6, v0
	v_bfe_u32 v42, v0, 4, 2
	v_lshl_or_b32 v5, v29, 2, v42
	v_and_b32_e32 v28, 15, v0
	s_mul_i32 s48, s4, 3
	v_lshlrev_b32_e32 v6, 3, v28
	v_cmp_gt_u32_e32 vcc, 3, v5
	v_cmp_gt_u32_e64 s[30:31], 8, v28
	v_and_b32_e32 v44, 63, v0
	v_add_u32_e32 v1, s48, v42
	s_and_b64 s[16:17], s[30:31], vcc
	v_lshlrev_b32_e32 v26, 1, v6
	v_lshlrev_b32_e32 v43, 4, v0
	s_and_saveexec_b64 s[12:13], s[16:17]
	s_cbranch_execz .LBB846_11
; %bb.10:
	s_load_dwordx2 s[16:17], s[0:1], 0x0
	s_waitcnt lgkmcnt(0)
	s_ashr_i32 s15, s44, 31
	s_mul_hi_u32 s19, s14, s44
	s_mul_i32 s15, s14, s15
	s_add_i32 s15, s19, s15
	s_mul_i32 s14, s14, s44
	s_lshl_b64 s[14:15], s[14:15], 1
	s_add_u32 s14, s16, s14
	v_lshlrev_b32_e32 v6, 6, v1
	s_addc_u32 s15, s17, s15
	v_ashrrev_i32_e32 v7, 31, v6
	v_lshl_add_u64 v[6:7], v[6:7], 1, s[14:15]
	v_mov_b32_e32 v27, 0
	v_lshl_add_u64 v[6:7], v[6:7], 0, v[26:27]
	global_load_dwordx4 v[10:13], v[6:7], off
	v_lshlrev_b32_e32 v7, 8, v28
	v_lshlrev_b32_e32 v5, 5, v5
	v_and_b32_e32 v6, 16, v43
	v_and_b32_e32 v7, 0xe00, v7
	v_or3_b32 v5, v7, v5, v6
	s_waitcnt vmcnt(0)
	ds_write_b128 v5, v[10:13]
.LBB846_11:
	s_or_b64 exec, exec, s[12:13]
	s_waitcnt lgkmcnt(0)
	s_mul_i32 s4, s4, s46
	s_add_u32 s8, s8, s4
	s_addc_u32 s9, s9, 0
	v_and_b32_e32 v9, 48, v0
	v_and_b32_e32 v30, 0xf0, v43
	v_mov_b32_e32 v31, 0
	v_lshl_add_u64 v[6:7], s[8:9], 0, v[30:31]
	v_lshlrev_b32_e32 v30, 4, v9
	v_or_b32_e32 v9, s5, v9
	v_ashrrev_i32_e32 v10, 4, v9
	v_mov_b32_e32 v12, s18
	v_cmp_gt_i32_e32 vcc, s33, v9
	v_lshl_add_u64 v[6:7], v[6:7], 0, v[30:31]
	s_load_dword s29, s[0:1], 0x98
	s_load_dwordx4 s[40:43], s[0:1], 0x80
	v_cndmask_b32_e32 v10, v12, v10, vcc
	v_ashrrev_i32_e32 v11, 31, v10
	v_lshl_add_u64 v[10:11], v[10:11], 2, s[6:7]
	s_waitcnt lgkmcnt(0)
	s_barrier
	s_waitcnt vmcnt(3)
	v_mad_i64_i32 v[4:5], s[8:9], v4, s45, v[6:7]
	global_load_dword v38, v[10:11], off
	global_load_dwordx4 v[22:25], v[4:5], off
	s_waitcnt vmcnt(4)
	v_mad_i64_i32 v[4:5], s[8:9], v3, s45, v[6:7]
	global_load_dwordx4 v[18:21], v[4:5], off
	s_waitcnt vmcnt(4)
	v_mad_i64_i32 v[2:3], s[8:9], v2, s45, v[6:7]
	global_load_dwordx4 v[2:5], v[2:3], off
	v_mul_lo_u16_e32 v10, 0x56, v28
	v_mov_b32_e32 v11, 3
	v_mul_lo_u16_sdwa v10, v10, v11 dst_sel:DWORD dst_unused:UNUSED_PAD src0_sel:BYTE_1 src1_sel:DWORD
	v_mov_b32_e32 v13, 5
	v_sub_u16_e32 v10, v28, v10
	v_or_b32_e32 v11, 64, v9
	v_or_b32_e32 v15, 0x80, v9
	v_lshlrev_b32_sdwa v10, v13, v10 dst_sel:DWORD dst_unused:UNUSED_PAD src0_sel:DWORD src1_sel:BYTE_0
	v_ashrrev_i32_e32 v13, 4, v11
	v_cmp_gt_i32_e32 vcc, s33, v11
	v_or_b32_e32 v9, 0xc0, v9
	v_ashrrev_i32_e32 v16, 4, v15
	s_add_u32 s8, s10, s4
	v_cndmask_b32_e32 v32, v12, v13, vcc
	v_cmp_gt_i32_e32 vcc, s33, v15
	v_ashrrev_i32_e32 v17, 4, v9
	s_addc_u32 s9, s11, 0
	v_cndmask_b32_e32 v34, v12, v16, vcc
	v_cmp_gt_i32_e32 vcc, s33, v9
	s_waitcnt vmcnt(4)
	v_mad_i64_i32 v[6:7], s[10:11], v8, s45, v[6:7]
	v_lshl_add_u32 v27, v42, 9, v10
	v_cndmask_b32_e32 v36, v12, v17, vcc
	global_load_dwordx4 v[10:13], v[6:7], off
	v_ashrrev_i32_e32 v33, 31, v32
	v_ashrrev_i32_e32 v35, 31, v34
	;; [unrolled: 1-line block ×3, first 2 shown]
	v_lshlrev_b32_e32 v14, 4, v28
	v_lshl_add_u64 v[32:33], v[32:33], 2, s[6:7]
	v_lshl_add_u64 v[34:35], v[34:35], 2, s[6:7]
	;; [unrolled: 1-line block ×3, first 2 shown]
	v_lshl_or_b32 v30, v29, 8, v14
	ds_read_b128 v[14:17], v27
	ds_read_b128 v[6:9], v27 offset:16
	s_load_dword s4, s[40:41], 0x0
	global_load_dword v46, v[32:33], off
	global_load_dword v27, v[34:35], off
	;; [unrolled: 1-line block ×3, first 2 shown]
	v_lshl_add_u64 v[30:31], s[8:9], 0, v[30:31]
	s_load_dword s12, s[0:1], 0x1c
	s_mov_b32 s44, 0xff7fffff
	s_waitcnt vmcnt(7)
	v_mad_i64_i32 v[32:33], s[6:7], v38, s45, v[30:31]
	s_waitcnt vmcnt(6)
	v_cvt_pk_f32_fp8_e32 v[34:35], v22
	v_cvt_pk_f32_fp8_sdwa v[36:37], v22 src0_sel:WORD_1
	v_cvt_pk_f32_fp8_e32 v[38:39], v23
	v_cvt_pk_f32_fp8_sdwa v[40:41], v23 src0_sel:WORD_1
	v_cvt_pkrtz_f16_f32 v34, v34, v35
	v_cvt_pkrtz_f16_f32 v35, v36, v37
	s_waitcnt vmcnt(5)
	v_cvt_pk_f32_fp8_e32 v[22:23], v18
	v_cvt_pk_f32_fp8_e32 v[48:49], v24
	v_cvt_pk_f32_fp8_sdwa v[50:51], v24 src0_sel:WORD_1
	v_cvt_pkrtz_f16_f32 v38, v38, v39
	v_cvt_pkrtz_f16_f32 v39, v40, v41
	v_cvt_pk_f32_fp8_e32 v[52:53], v25
	v_cvt_pk_f32_fp8_sdwa v[54:55], v18 src0_sel:WORD_1
	v_cvt_pk_f32_fp8_sdwa v[56:57], v25 src0_sel:WORD_1
	v_cvt_pkrtz_f16_f32 v36, v22, v23
	s_waitcnt lgkmcnt(0)
	v_mfma_f32_16x16x16_f16 v[22:25], v[34:35], v[14:15], 0
	v_cvt_pkrtz_f16_f32 v40, v48, v49
	v_cvt_pkrtz_f16_f32 v41, v50, v51
	v_cvt_pk_f32_fp8_e32 v[58:59], v19
	v_cvt_pkrtz_f16_f32 v37, v54, v55
	v_cvt_pk_f32_fp8_sdwa v[18:19], v19 src0_sel:WORD_1
	v_mfma_f32_16x16x16_f16 v[22:25], v[38:39], v[16:17], v[22:25]
	v_cvt_pkrtz_f16_f32 v38, v52, v53
	v_cvt_pkrtz_f16_f32 v39, v56, v57
	v_cvt_pk_f32_fp8_e32 v[54:55], v20
	v_cvt_pk_f32_fp8_sdwa v[48:49], v20 src0_sel:WORD_1
	v_mfma_f32_16x16x16_f16 v[22:25], v[40:41], v[6:7], v[22:25]
	v_cvt_pkrtz_f16_f32 v52, v58, v59
	v_cvt_pkrtz_f16_f32 v53, v18, v19
	v_cvt_pk_f32_fp8_e32 v[50:51], v21
	v_mfma_f32_16x16x16_f16 v[34:37], v[36:37], v[14:15], 0
	v_mfma_f32_16x16x16_f16 v[38:41], v[38:39], v[8:9], v[22:25]
	s_nop 2
	v_cvt_pk_f32_fp8_sdwa v[22:23], v21 src0_sel:WORD_1
	v_cvt_pkrtz_f16_f32 v24, v54, v55
	v_cvt_pkrtz_f16_f32 v25, v48, v49
	v_mfma_f32_16x16x16_f16 v[18:21], v[52:53], v[16:17], v[34:37]
	s_waitcnt vmcnt(4)
	v_cvt_pk_f32_fp8_sdwa v[48:49], v4 src0_sel:WORD_1
	s_nop 0
	v_cvt_pkrtz_f16_f32 v34, v50, v51
	v_cvt_pkrtz_f16_f32 v35, v22, v23
	v_mfma_f32_16x16x16_f16 v[18:21], v[24:25], v[6:7], v[18:21]
	v_cvt_pk_f32_fp8_e32 v[22:23], v2
	v_cvt_pk_f32_fp8_sdwa v[24:25], v2 src0_sel:WORD_1
	v_mov_b32_e32 v36, s12
	v_mfma_f32_16x16x16_f16 v[18:21], v[34:35], v[8:9], v[18:21]
	v_cvt_pk_f32_fp8_e32 v[34:35], v3
	v_cvt_pkrtz_f16_f32 v22, v22, v23
	v_cvt_pkrtz_f16_f32 v23, v24, v25
	v_cvt_pk_f32_fp8_sdwa v[2:3], v3 src0_sel:WORD_1
	v_mul_f32_e32 v52, s4, v36
	v_cvt_pkrtz_f16_f32 v34, v34, v35
	v_cvt_pk_f32_fp8_e32 v[36:37], v4
	v_cvt_pkrtz_f16_f32 v35, v2, v3
	v_mfma_f32_16x16x16_f16 v[22:25], v[22:23], v[14:15], 0
	v_cvt_pk_f32_fp8_sdwa v[50:51], v5 src0_sel:WORD_1
	v_cvt_pkrtz_f16_f32 v36, v36, v37
	v_cvt_pkrtz_f16_f32 v37, v48, v49
	v_cvt_pk_f32_fp8_e32 v[48:49], v5
	v_mfma_f32_16x16x16_f16 v[2:5], v[34:35], v[16:17], v[22:25]
	s_nop 2
	v_cvt_pkrtz_f16_f32 v24, v48, v49
	v_cvt_pkrtz_f16_f32 v25, v50, v51
	v_mfma_f32_16x16x16_f16 v[34:37], v[36:37], v[6:7], v[2:5]
	v_pk_mul_f32 v[22:23], v[52:53], v[40:41] op_sel_hi:[0,1]
	s_waitcnt vmcnt(3)
	v_cvt_pk_f32_fp8_sdwa v[40:41], v12 src0_sel:WORD_1
	v_pk_mul_f32 v[2:3], v[52:53], v[38:39] op_sel_hi:[0,1]
	v_cvt_pk_f32_fp8_e32 v[4:5], v10
	v_cvt_pk_f32_fp8_sdwa v[38:39], v10 src0_sel:WORD_1
	v_mfma_f32_16x16x16_f16 v[48:51], v[24:25], v[8:9], v[34:37]
	v_cvt_pk_f32_fp8_e32 v[24:25], v11
	v_cvt_pkrtz_f16_f32 v4, v4, v5
	v_cvt_pkrtz_f16_f32 v5, v38, v39
	v_cvt_pk_f32_fp8_sdwa v[10:11], v11 src0_sel:WORD_1
	v_cvt_pkrtz_f16_f32 v24, v24, v25
	v_cvt_pk_f32_fp8_e32 v[38:39], v12
	v_mfma_f32_16x16x16_f16 v[34:37], v[4:5], v[14:15], 0
	v_cvt_pkrtz_f16_f32 v25, v10, v11
	v_cvt_pkrtz_f16_f32 v4, v38, v39
	;; [unrolled: 1-line block ×3, first 2 shown]
	v_cvt_pk_f32_fp8_e32 v[14:15], v13
	v_cvt_pk_f32_fp8_sdwa v[38:39], v13 src0_sel:WORD_1
	v_mfma_f32_16x16x16_f16 v[10:13], v[24:25], v[16:17], v[34:37]
	v_pk_mul_f32 v[40:41], v[52:53], v[18:19] op_sel_hi:[0,1]
	v_cvt_pkrtz_f16_f32 v14, v14, v15
	v_cvt_pkrtz_f16_f32 v15, v38, v39
	v_mfma_f32_16x16x16_f16 v[4:7], v[4:5], v[6:7], v[10:13]
	v_pk_mul_f32 v[36:37], v[52:53], v[20:21] op_sel_hi:[0,1]
	v_pk_mul_f32 v[38:39], v[52:53], v[48:49] op_sel_hi:[0,1]
	;; [unrolled: 1-line block ×3, first 2 shown]
	v_mfma_f32_16x16x16_f16 v[4:7], v[14:15], v[8:9], v[4:7]
	s_nop 6
	v_pk_mul_f32 v[24:25], v[52:53], v[4:5] op_sel_hi:[0,1]
	v_and_b32_e32 v4, 0xc0, v0
	v_add_u32_e32 v4, s5, v4
	v_lshl_or_b32 v4, v42, 2, v4
	v_pk_mul_f32 v[18:19], v[52:53], v[6:7] op_sel_hi:[0,1]
	v_or_b32_e32 v7, 1, v4
	v_mov_b32_e32 v5, 0xff7fffff
	v_cmp_gt_i32_e64 s[4:5], s33, v4
	v_cmp_gt_i32_e64 s[34:35], s33, v7
	v_or_b32_e32 v8, 3, v4
	v_cndmask_b32_e64 v6, v5, v2, s[4:5]
	v_cndmask_b32_e64 v7, v5, v3, s[34:35]
	v_max3_f32 v6, v6, s44, v7
	v_or_b32_e32 v7, 2, v4
	v_cmp_gt_i32_e64 s[36:37], s33, v7
	v_cmp_gt_i32_e64 s[38:39], s33, v8
	s_nop 0
	v_cndmask_b32_e64 v7, v5, v22, s[36:37]
	v_cndmask_b32_e64 v8, v5, v23, s[38:39]
	v_max3_f32 v6, v6, v7, v8
	v_or_b32_e32 v7, 16, v4
	v_or_b32_e32 v8, 17, v4
	v_cmp_gt_i32_e64 s[24:25], s33, v7
	v_cmp_gt_i32_e64 s[26:27], s33, v8
	s_nop 0
	v_cndmask_b32_e64 v7, v5, v40, s[24:25]
	v_cndmask_b32_e64 v8, v5, v41, s[26:27]
	v_max3_f32 v6, v6, v7, v8
	v_or_b32_e32 v7, 18, v4
	;; [unrolled: 8-line block ×6, first 2 shown]
	v_or_b32_e32 v4, 51, v4
	v_cmp_gt_i32_e32 vcc, s33, v7
	v_cmp_gt_i32_e64 s[6:7], s33, v4
	s_nop 0
	v_cndmask_b32_e32 v7, v5, v18, vcc
	v_cndmask_b32_e64 v4, v5, v19, s[6:7]
	v_max3_f32 v6, v6, v7, v4
	v_mbcnt_lo_u32_b32 v4, -1, 0
	v_mbcnt_hi_u32_b32 v7, -1, v4
	v_and_b32_e32 v4, 64, v7
	v_add_u32_e32 v8, 64, v4
	v_xor_b32_e32 v4, 32, v7
	v_cmp_lt_i32_e64 s[40:41], v4, v8
	s_nop 1
	v_cndmask_b32_e64 v4, v7, v4, s[40:41]
	v_lshlrev_b32_e32 v47, 2, v4
	ds_bpermute_b32 v9, v47, v6
	s_waitcnt vmcnt(2)
	v_mad_i64_i32 v[4:5], s[40:41], v46, s45, v[30:31]
	global_load_dwordx4 v[14:17], v[32:33], off
	global_load_dwordx4 v[10:13], v[4:5], off
	v_xor_b32_e32 v5, 16, v7
	v_cmp_lt_i32_e64 s[40:41], v5, v8
	s_waitcnt lgkmcnt(0)
	v_max_f32_e32 v4, v9, v9
	v_max_f32_e32 v4, v6, v4
	v_cndmask_b32_e64 v5, v7, v5, s[40:41]
	v_lshlrev_b32_e32 v46, 2, v5
	ds_bpermute_b32 v5, v46, v4
	s_waitcnt vmcnt(3)
	v_mad_i64_i32 v[20:21], s[40:41], v27, s45, v[30:31]
	s_waitcnt vmcnt(2)
	v_mad_i64_i32 v[30:31], s[40:41], v45, s45, v[30:31]
	s_waitcnt lgkmcnt(0)
	v_max_f32_e32 v5, v5, v5
	v_max_f32_e32 v27, v4, v5
	v_sub_f32_e32 v2, v2, v27
	v_mul_f32_e32 v2, 0x3fb8aa3b, v2
	v_exp_f32_e32 v32, v2
	v_sub_f32_e32 v2, v3, v27
	v_mul_f32_e32 v2, 0x3fb8aa3b, v2
	v_exp_f32_e32 v33, v2
	global_load_dwordx4 v[6:9], v[20:21], off
	global_load_dwordx4 v[2:5], v[30:31], off
	v_sub_f32_e32 v22, v22, v27
	v_mul_f32_e32 v22, 0x3fb8aa3b, v22
	v_sub_f32_e32 v23, v23, v27
	v_exp_f32_e32 v22, v22
	v_mul_f32_e32 v23, 0x3fb8aa3b, v23
	v_exp_f32_e32 v23, v23
	v_cndmask_b32_e64 v20, 0, v32, s[4:5]
	v_add_f32_e32 v30, 0, v20
	v_cndmask_b32_e64 v21, 0, v33, s[34:35]
	v_add_f32_e32 v30, v30, v21
	;; [unrolled: 2-line block ×3, first 2 shown]
	v_cndmask_b32_e64 v33, 0, v23, s[38:39]
	v_sub_f32_e32 v23, v40, v27
	v_sub_f32_e32 v30, v41, v27
	v_mul_f32_e32 v23, 0x3fb8aa3b, v23
	v_mul_f32_e32 v30, 0x3fb8aa3b, v30
	v_exp_f32_e32 v23, v23
	v_exp_f32_e32 v30, v30
	v_add_f32_e32 v31, v22, v33
	v_sub_f32_e32 v34, v34, v27
	v_cndmask_b32_e64 v22, 0, v23, s[24:25]
	v_cndmask_b32_e64 v23, 0, v30, s[26:27]
	v_sub_f32_e32 v30, v36, v27
	v_mul_f32_e32 v30, 0x3fb8aa3b, v30
	v_exp_f32_e32 v30, v30
	v_sub_f32_e32 v36, v37, v27
	v_add_f32_e32 v31, v31, v22
	v_mul_f32_e32 v36, 0x3fb8aa3b, v36
	v_exp_f32_e32 v37, v36
	v_add_f32_e32 v31, v31, v23
	v_cndmask_b32_e64 v36, 0, v30, s[20:21]
	v_add_f32_e32 v30, v31, v36
	v_sub_f32_e32 v31, v38, v27
	v_mul_f32_e32 v31, 0x3fb8aa3b, v31
	v_sub_f32_e32 v38, v39, v27
	v_exp_f32_e32 v31, v31
	v_mul_f32_e32 v38, 0x3fb8aa3b, v38
	v_exp_f32_e32 v38, v38
	v_mul_f32_e32 v34, 0x3fb8aa3b, v34
	v_sub_f32_e32 v35, v35, v27
	v_exp_f32_e32 v34, v34
	v_mul_f32_e32 v35, 0x3fb8aa3b, v35
	v_sub_f32_e32 v24, v24, v27
	v_cndmask_b32_e64 v37, 0, v37, s[22:23]
	v_exp_f32_e32 v35, v35
	v_mul_f32_e32 v24, 0x3fb8aa3b, v24
	v_sub_f32_e32 v25, v25, v27
	v_add_f32_e32 v39, v30, v37
	v_cndmask_b32_e64 v30, 0, v31, s[16:17]
	v_exp_f32_e32 v24, v24
	v_mul_f32_e32 v25, 0x3fb8aa3b, v25
	v_sub_f32_e32 v18, v18, v27
	v_add_f32_e32 v39, v39, v30
	;; [unrolled: 5-line block ×3, first 2 shown]
	v_cndmask_b32_e64 v34, 0, v34, s[12:13]
	v_exp_f32_e32 v18, v18
	v_mul_f32_e32 v19, 0x3fb8aa3b, v19
	v_add_f32_e32 v38, v38, v34
	v_cndmask_b32_e64 v35, 0, v35, s[14:15]
	v_exp_f32_e32 v19, v19
	v_add_f32_e32 v38, v38, v35
	v_cndmask_b32_e64 v24, 0, v24, s[8:9]
	v_add_f32_e32 v38, v38, v24
	v_cndmask_b32_e64 v25, 0, v25, s[10:11]
	v_add_f32_e32 v38, v38, v25
	v_cndmask_b32_e32 v18, 0, v18, vcc
	v_add_f32_e32 v38, v38, v18
	v_cndmask_b32_e64 v19, 0, v19, s[6:7]
	v_add_f32_e32 v38, v38, v19
	ds_bpermute_b32 v39, v47, v38
	v_cmp_gt_u32_e32 vcc, 16, v44
	s_waitcnt lgkmcnt(0)
	s_barrier
	v_add_f32_e32 v39, v38, v39
	ds_bpermute_b32 v40, v46, v39
	v_lshlrev_b32_e32 v38, 2, v28
	s_and_saveexec_b64 s[4:5], vcc
	s_cbranch_execz .LBB846_13
; %bb.12:
	s_waitcnt lgkmcnt(0)
	v_add_f32_e32 v39, v39, v40
	v_lshl_or_b32 v40, v29, 6, v38
	ds_write2st64_b32 v40, v27, v39 offset1:1
.LBB846_13:
	s_or_b64 exec, exec, s[4:5]
	s_load_dword s6, s[0:1], 0x94
	s_waitcnt lgkmcnt(0)
	s_barrier
	ds_read2_b32 v[40:41], v38 offset1:16
	ds_read2_b32 v[44:45], v38 offset0:32 offset1:48
	ds_read2_b32 v[46:47], v38 offset0:64 offset1:80
	s_mul_i32 s7, s29, 3
	s_waitcnt lgkmcnt(2)
	v_max3_f32 v27, v40, s44, v41
	s_waitcnt lgkmcnt(1)
	v_max3_f32 v27, v27, v44, v45
	v_sub_f32_e32 v39, v40, v27
	v_sub_f32_e32 v40, v41, v27
	v_mul_f32_e32 v40, 0x3fb8aa3b, v40
	v_mul_f32_e32 v39, 0x3fb8aa3b, v39
	v_exp_f32_e32 v48, v40
	v_sub_f32_e32 v40, v44, v27
	v_exp_f32_e32 v39, v39
	v_mul_f32_e32 v40, 0x3fb8aa3b, v40
	v_exp_f32_e32 v44, v40
	ds_read2_b32 v[40:41], v38 offset0:96 offset1:112
	v_sub_f32_e32 v38, v45, v27
	v_mul_f32_e32 v38, 0x3fb8aa3b, v38
	v_exp_f32_e32 v45, v38
	s_waitcnt lgkmcnt(1)
	v_fma_f32 v38, v39, v46, 0
	v_fmac_f32_e32 v38, v48, v47
	s_waitcnt lgkmcnt(0)
	v_fmac_f32_e32 v38, v44, v40
	v_fmac_f32_e32 v38, v45, v41
	v_add_f32_e32 v40, 0x358637bd, v38
	v_div_scale_f32 v41, s[4:5], v40, v40, 1.0
	v_rcp_f32_e32 v46, v41
	s_barrier
	v_fma_f32 v47, -v41, v46, 1.0
	v_fmac_f32_e32 v46, v47, v46
	v_div_scale_f32 v47, vcc, 1.0, v40, 1.0
	v_mul_f32_e32 v49, v47, v46
	v_fma_f32 v50, -v41, v49, v47
	v_fmac_f32_e32 v49, v50, v46
	v_fma_f32 v41, -v41, v49, v47
	v_div_fmas_f32 v41, v41, v46, v49
	v_cmp_eq_u32_e32 vcc, 1, v29
	v_div_fixup_f32 v40, v41, v40, 1.0
	s_nop 0
	v_cndmask_b32_e32 v39, v39, v48, vcc
	v_cmp_eq_u32_e32 vcc, 2, v29
	s_nop 1
	v_cndmask_b32_e32 v39, v39, v44, vcc
	v_cmp_eq_u32_e32 vcc, 3, v29
	v_lshlrev_b32_e32 v29, 11, v29
	s_nop 0
	v_cndmask_b32_e32 v39, v39, v45, vcc
	v_mul_f32_e32 v40, v39, v40
	v_pk_mul_f32 v[20:21], v[40:41], v[20:21] op_sel_hi:[0,1]
	v_pk_mul_f32 v[32:33], v[40:41], v[32:33] op_sel_hi:[0,1]
	v_cvt_f16_f32_e32 v20, v20
	v_cvt_f16_f32_e32 v21, v21
	v_pk_mul_f32 v[36:37], v[40:41], v[36:37] op_sel_hi:[0,1]
	v_pk_mul_f32 v[22:23], v[40:41], v[22:23] op_sel_hi:[0,1]
	v_cvt_f16_f32_e32 v39, v32
	v_cvt_f16_f32_e32 v33, v33
	;; [unrolled: 1-line block ×6, first 2 shown]
	v_pack_b32_f16 v32, v20, v21
	v_lshlrev_b32_e32 v20, 3, v42
	v_lshlrev_b32_e32 v21, 5, v28
	v_pack_b32_f16 v33, v39, v33
	v_or3_b32 v20, v29, v21, v20
	v_pack_b32_f16 v22, v22, v23
	v_pack_b32_f16 v23, v36, v37
	ds_write2st64_b64 v20, v[32:33], v[22:23] offset1:1
	v_pk_mul_f32 v[22:23], v[40:41], v[34:35] op_sel_hi:[0,1]
	v_pk_mul_f32 v[30:31], v[40:41], v[30:31] op_sel_hi:[0,1]
	v_cvt_f16_f32_e32 v29, v30
	v_cvt_f16_f32_e32 v30, v31
	;; [unrolled: 1-line block ×4, first 2 shown]
	v_pk_mul_f32 v[18:19], v[40:41], v[18:19] op_sel_hi:[0,1]
	v_pk_mul_f32 v[22:23], v[40:41], v[24:25] op_sel_hi:[0,1]
	v_cvt_f16_f32_e32 v22, v22
	v_cvt_f16_f32_e32 v23, v23
	;; [unrolled: 1-line block ×4, first 2 shown]
	v_pack_b32_f16 v18, v29, v30
	v_pack_b32_f16 v19, v31, v32
	;; [unrolled: 1-line block ×4, first 2 shown]
	v_cmp_gt_u32_e32 vcc, 3, v0
	ds_write2st64_b64 v20, v[18:19], v[22:23] offset0:2 offset1:3
	s_and_saveexec_b64 s[4:5], vcc
	s_cbranch_execz .LBB846_15
; %bb.14:
	s_mov_b32 s49, 0
	v_mov_b32_e32 v29, 0
	v_lshl_add_u64 v[18:19], s[48:49], 0, v[28:29]
	v_mov_b32_e32 v22, s7
	v_mad_u64_u32 v[18:19], s[12:13], s2, v22, v[18:19]
	s_mul_i32 s3, s3, s7
	v_mov_b32_e32 v28, s28
	s_load_dwordx4 s[8:11], s[0:1], 0x58
	v_add_u32_e32 v23, s3, v19
	v_mad_u64_u32 v[18:19], s[12:13], v18, s6, v[28:29]
	v_mov_b32_e32 v22, v19
	v_mad_u64_u32 v[22:23], s[12:13], v23, s6, v[22:23]
	v_mov_b32_e32 v19, v22
	v_lshlrev_b64 v[18:19], 2, v[18:19]
	s_waitcnt lgkmcnt(0)
	v_lshl_add_u64 v[22:23], s[10:11], 0, v[18:19]
	v_lshl_add_u64 v[18:19], s[8:9], 0, v[18:19]
	global_store_dword v[22:23], v27, off
	global_store_dword v[18:19], v38, off
.LBB846_15:
	s_or_b64 exec, exec, s[4:5]
	s_waitcnt vmcnt(3)
	v_cvt_pk_f32_fp8_e32 v[18:19], v14
	v_cvt_pk_f32_fp8_sdwa v[22:23], v14 src0_sel:WORD_1
	v_cvt_pk_f32_fp8_e32 v[24:25], v15
	v_lshl_or_b32 v14, v42, 9, v21
	s_waitcnt lgkmcnt(0)
	s_barrier
	v_cvt_pkrtz_f16_f32 v18, v18, v19
	v_cvt_pkrtz_f16_f32 v19, v22, v23
	v_cvt_pk_f32_fp8_sdwa v[28:29], v15 src0_sel:WORD_1
	v_cvt_pkrtz_f16_f32 v36, v24, v25
	ds_read_b128 v[22:25], v14
	v_cvt_pk_f32_fp8_e32 v[38:39], v16
	v_cvt_pkrtz_f16_f32 v37, v28, v29
	ds_read_b128 v[28:31], v14 offset:16
	v_cvt_pk_f32_fp8_sdwa v[40:41], v16 src0_sel:WORD_1
	s_waitcnt lgkmcnt(1)
	v_mfma_f32_16x16x16_f16 v[32:35], v[18:19], v[22:23], 0
	v_cvt_pkrtz_f16_f32 v18, v38, v39
	v_cvt_pk_f32_fp8_e32 v[38:39], v17
	v_cvt_pkrtz_f16_f32 v19, v40, v41
	v_mfma_f32_16x16x16_f16 v[22:25], v[36:37], v[24:25], v[32:35]
	s_waitcnt vmcnt(2)
	v_cvt_pk_f32_fp8_sdwa v[36:37], v12 src0_sel:WORD_1
	s_load_dword s4, s[42:43], 0x0
	v_cmp_gt_u32_e32 vcc, 64, v0
	v_cvt_pk_f32_fp8_sdwa v[32:33], v17 src0_sel:WORD_1
	v_cvt_pkrtz_f16_f32 v34, v38, v39
	s_waitcnt lgkmcnt(0)
	v_mfma_f32_16x16x16_f16 v[16:19], v[18:19], v[28:29], v[22:25]
	v_cvt_pk_f32_fp8_e32 v[28:29], v11
	v_cvt_pkrtz_f16_f32 v35, v32, v33
	s_mov_b32 s3, 0
	v_cvt_pk_f32_fp8_e32 v[22:23], v10
	v_cvt_pk_f32_fp8_sdwa v[24:25], v10 src0_sel:WORD_1
	v_mfma_f32_16x16x16_f16 v[16:19], v[34:35], v[30:31], v[16:19]
	v_cvt_pkrtz_f16_f32 v10, v22, v23
	v_cvt_pk_f32_fp8_sdwa v[30:31], v11 src0_sel:WORD_1
	v_cvt_pkrtz_f16_f32 v11, v24, v25
	ds_read_b128 v[22:25], v14 offset:2048
	v_cvt_pkrtz_f16_f32 v32, v28, v29
	v_cvt_pkrtz_f16_f32 v33, v30, v31
	ds_read_b128 v[28:31], v14 offset:2064
	v_cvt_pk_f32_fp8_e32 v[34:35], v12
	s_waitcnt lgkmcnt(1)
	v_mfma_f32_16x16x16_f16 v[16:19], v[10:11], v[22:23], v[16:19]
	v_cvt_pkrtz_f16_f32 v11, v36, v37
	v_cvt_pk_f32_fp8_e32 v[22:23], v13
	v_cvt_pkrtz_f16_f32 v10, v34, v35
	v_mfma_f32_16x16x16_f16 v[16:19], v[32:33], v[24:25], v[16:19]
	v_cvt_pk_f32_fp8_sdwa v[24:25], v13 src0_sel:WORD_1
	v_cvt_pkrtz_f16_f32 v22, v22, v23
	s_waitcnt vmcnt(1)
	v_cvt_pk_f32_fp8_sdwa v[32:33], v8 src0_sel:WORD_1
	s_waitcnt lgkmcnt(0)
	v_mfma_f32_16x16x16_f16 v[10:13], v[10:11], v[28:29], v[16:19]
	v_cvt_pkrtz_f16_f32 v23, v24, v25
	v_cvt_pk_f32_fp8_sdwa v[24:25], v7 src0_sel:WORD_1
	v_mov_b32_e32 v27, 0
	v_cvt_pk_f32_fp8_e32 v[16:17], v6
	v_cvt_pk_f32_fp8_sdwa v[18:19], v6 src0_sel:WORD_1
	v_mfma_f32_16x16x16_f16 v[10:13], v[22:23], v[30:31], v[10:13]
	v_cvt_pk_f32_fp8_e32 v[22:23], v7
	v_cvt_pkrtz_f16_f32 v6, v16, v17
	v_cvt_pkrtz_f16_f32 v7, v18, v19
	ds_read_b128 v[16:19], v14 offset:4096
	v_cvt_pkrtz_f16_f32 v28, v22, v23
	v_cvt_pkrtz_f16_f32 v29, v24, v25
	ds_read_b128 v[22:25], v14 offset:4112
	v_cvt_pk_f32_fp8_e32 v[30:31], v8
	s_waitcnt lgkmcnt(1)
	v_mfma_f32_16x16x16_f16 v[10:13], v[6:7], v[16:17], v[10:13]
	v_cvt_pkrtz_f16_f32 v7, v32, v33
	v_cvt_pk_f32_fp8_e32 v[16:17], v9
	v_cvt_pkrtz_f16_f32 v6, v30, v31
	v_mfma_f32_16x16x16_f16 v[10:13], v[28:29], v[18:19], v[10:13]
	v_cvt_pk_f32_fp8_sdwa v[18:19], v9 src0_sel:WORD_1
	v_cvt_pkrtz_f16_f32 v16, v16, v17
	v_cvt_pkrtz_f16_f32 v17, v18, v19
	s_waitcnt lgkmcnt(0)
	v_mfma_f32_16x16x16_f16 v[6:9], v[6:7], v[22:23], v[10:13]
	s_waitcnt vmcnt(0)
	v_cvt_pk_f32_fp8_sdwa v[18:19], v3 src0_sel:WORD_1
	s_nop 0
	v_cvt_pkrtz_f16_f32 v23, v18, v19
	v_cvt_pk_f32_fp8_e32 v[10:11], v2
	v_cvt_pk_f32_fp8_sdwa v[12:13], v2 src0_sel:WORD_1
	v_mfma_f32_16x16x16_f16 v[6:9], v[16:17], v[24:25], v[6:9]
	v_cvt_pk_f32_fp8_e32 v[16:17], v3
	v_cvt_pkrtz_f16_f32 v2, v10, v11
	v_cvt_pkrtz_f16_f32 v3, v12, v13
	ds_read_b128 v[10:13], v14 offset:6144
	v_cvt_pkrtz_f16_f32 v22, v16, v17
	v_cvt_pk_f32_fp8_e32 v[18:19], v4
	v_cvt_pk_f32_fp8_sdwa v[24:25], v4 src0_sel:WORD_1
	s_waitcnt lgkmcnt(0)
	v_mfma_f32_16x16x16_f16 v[6:9], v[2:3], v[10:11], v[6:9]
	ds_read_b128 v[14:17], v14 offset:6160
	v_cvt_pkrtz_f16_f32 v2, v18, v19
	v_cvt_pkrtz_f16_f32 v3, v24, v25
	v_cvt_pk_f32_fp8_e32 v[10:11], v5
	v_mfma_f32_16x16x16_f16 v[6:9], v[22:23], v[12:13], v[6:9]
	v_cvt_pk_f32_fp8_sdwa v[12:13], v5 src0_sel:WORD_1
	s_waitcnt lgkmcnt(0)
	v_cvt_pkrtz_f16_f32 v10, v10, v11
	v_mfma_f32_16x16x16_f16 v[2:5], v[2:3], v[14:15], v[6:9]
	v_cvt_pkrtz_f16_f32 v11, v12, v13
	s_barrier
	s_nop 0
	v_mfma_f32_16x16x16_f16 v[2:5], v[10:11], v[16:17], v[2:5]
	s_nop 6
	v_pk_mul_f32 v[4:5], v[4:5], s[4:5] op_sel_hi:[1,0]
	v_pk_mul_f32 v[2:3], v[2:3], s[4:5] op_sel_hi:[1,0]
	v_cvt_f16_f32_e32 v4, v4
	v_cvt_f16_f32_e32 v2, v2
	v_cvt_f16_f32_e32 v3, v3
	v_cvt_f16_f32_e32 v5, v5
	v_cmp_ne_u32_e64 s[4:5], 3, v42
	s_and_b64 s[4:5], s[4:5], vcc
	v_pack_b32_f16 v2, v2, v3
	v_pack_b32_f16 v3, v4, v5
	s_and_b64 s[4:5], s[4:5], s[30:31]
	ds_write_b64 v20, v[2:3]
	s_waitcnt lgkmcnt(0)
	s_barrier
	s_and_saveexec_b64 s[8:9], s[4:5]
	s_cbranch_execz .LBB846_17
; %bb.16:
	s_load_dwordx2 s[0:1], s[0:1], 0x68
	s_mul_i32 s2, s7, s2
	s_lshl_b32 s6, s6, 6
	s_mul_hi_u32 s5, s2, s6
	s_mul_i32 s4, s2, s6
	v_lshlrev_b32_e32 v0, 10, v0
	s_lshl_b64 s[4:5], s[4:5], 1
	v_and_b32_e32 v0, 0x1800, v0
	v_lshlrev_b32_e32 v2, 5, v42
	v_and_b32_e32 v3, 16, v43
	s_waitcnt lgkmcnt(0)
	s_add_u32 s4, s0, s4
	v_or3_b32 v0, v0, v2, v3
	s_addc_u32 s5, s1, s5
	s_lshl_b32 s2, s28, 6
	ds_read_b128 v[2:5], v0
	s_lshl_b64 s[0:1], s[2:3], 1
	s_add_u32 s0, s4, s0
	s_addc_u32 s1, s5, s1
	v_mad_u64_u32 v[0:1], s[2:3], s6, v1, 0
	v_lshl_add_u64 v[0:1], v[0:1], 1, s[0:1]
	v_lshl_add_u64 v[0:1], v[0:1], 0, v[26:27]
	s_waitcnt lgkmcnt(0)
	global_store_dwordx4 v[0:1], v[2:5], off
.LBB846_17:
	s_endpgm
	.section	.rodata,"a",@progbits
	.p2align	6, 0x0
	.amdhsa_kernel _Z39paged_attention_ll4mi_QKV_mfma16_kernelIDF16_hLN4vllm18Fp8KVCacheDataTypeE1EDF16_Li16ELi64ELi256ELb0ELi3EEvPKT_PKT0_S7_ifPKiS9_S9_iPKfiiiPfSC_PS2_PT2_iSB_SB_
		.amdhsa_group_segment_fixed_size 8192
		.amdhsa_private_segment_fixed_size 0
		.amdhsa_kernarg_size 400
		.amdhsa_user_sgpr_count 2
		.amdhsa_user_sgpr_dispatch_ptr 0
		.amdhsa_user_sgpr_queue_ptr 0
		.amdhsa_user_sgpr_kernarg_segment_ptr 1
		.amdhsa_user_sgpr_dispatch_id 0
		.amdhsa_user_sgpr_kernarg_preload_length 0
		.amdhsa_user_sgpr_kernarg_preload_offset 0
		.amdhsa_user_sgpr_private_segment_size 0
		.amdhsa_uses_dynamic_stack 0
		.amdhsa_enable_private_segment 0
		.amdhsa_system_sgpr_workgroup_id_x 1
		.amdhsa_system_sgpr_workgroup_id_y 1
		.amdhsa_system_sgpr_workgroup_id_z 1
		.amdhsa_system_sgpr_workgroup_info 0
		.amdhsa_system_vgpr_workitem_id 0
		.amdhsa_next_free_vgpr 60
		.amdhsa_next_free_sgpr 50
		.amdhsa_accum_offset 60
		.amdhsa_reserve_vcc 1
		.amdhsa_float_round_mode_32 0
		.amdhsa_float_round_mode_16_64 0
		.amdhsa_float_denorm_mode_32 3
		.amdhsa_float_denorm_mode_16_64 3
		.amdhsa_dx10_clamp 1
		.amdhsa_ieee_mode 1
		.amdhsa_fp16_overflow 0
		.amdhsa_tg_split 0
		.amdhsa_exception_fp_ieee_invalid_op 0
		.amdhsa_exception_fp_denorm_src 0
		.amdhsa_exception_fp_ieee_div_zero 0
		.amdhsa_exception_fp_ieee_overflow 0
		.amdhsa_exception_fp_ieee_underflow 0
		.amdhsa_exception_fp_ieee_inexact 0
		.amdhsa_exception_int_div_zero 0
	.end_amdhsa_kernel
	.section	.text._Z39paged_attention_ll4mi_QKV_mfma16_kernelIDF16_hLN4vllm18Fp8KVCacheDataTypeE1EDF16_Li16ELi64ELi256ELb0ELi3EEvPKT_PKT0_S7_ifPKiS9_S9_iPKfiiiPfSC_PS2_PT2_iSB_SB_,"axG",@progbits,_Z39paged_attention_ll4mi_QKV_mfma16_kernelIDF16_hLN4vllm18Fp8KVCacheDataTypeE1EDF16_Li16ELi64ELi256ELb0ELi3EEvPKT_PKT0_S7_ifPKiS9_S9_iPKfiiiPfSC_PS2_PT2_iSB_SB_,comdat
.Lfunc_end846:
	.size	_Z39paged_attention_ll4mi_QKV_mfma16_kernelIDF16_hLN4vllm18Fp8KVCacheDataTypeE1EDF16_Li16ELi64ELi256ELb0ELi3EEvPKT_PKT0_S7_ifPKiS9_S9_iPKfiiiPfSC_PS2_PT2_iSB_SB_, .Lfunc_end846-_Z39paged_attention_ll4mi_QKV_mfma16_kernelIDF16_hLN4vllm18Fp8KVCacheDataTypeE1EDF16_Li16ELi64ELi256ELb0ELi3EEvPKT_PKT0_S7_ifPKiS9_S9_iPKfiiiPfSC_PS2_PT2_iSB_SB_
                                        ; -- End function
	.section	.AMDGPU.csdata,"",@progbits
; Kernel info:
; codeLenInByte = 4544
; NumSgprs: 56
; NumVgprs: 60
; NumAgprs: 0
; TotalNumVgprs: 60
; ScratchSize: 0
; MemoryBound: 0
; FloatMode: 240
; IeeeMode: 1
; LDSByteSize: 8192 bytes/workgroup (compile time only)
; SGPRBlocks: 6
; VGPRBlocks: 7
; NumSGPRsForWavesPerEU: 56
; NumVGPRsForWavesPerEU: 60
; AccumOffset: 60
; Occupancy: 8
; WaveLimiterHint : 1
; COMPUTE_PGM_RSRC2:SCRATCH_EN: 0
; COMPUTE_PGM_RSRC2:USER_SGPR: 2
; COMPUTE_PGM_RSRC2:TRAP_HANDLER: 0
; COMPUTE_PGM_RSRC2:TGID_X_EN: 1
; COMPUTE_PGM_RSRC2:TGID_Y_EN: 1
; COMPUTE_PGM_RSRC2:TGID_Z_EN: 1
; COMPUTE_PGM_RSRC2:TIDIG_COMP_CNT: 0
; COMPUTE_PGM_RSRC3_GFX90A:ACCUM_OFFSET: 14
; COMPUTE_PGM_RSRC3_GFX90A:TG_SPLIT: 0
	.section	.text._Z39paged_attention_ll4mi_QKV_mfma16_kernelIDF16_hLN4vllm18Fp8KVCacheDataTypeE1EDF16_Li16ELi64ELi256ELb0ELi4EEvPKT_PKT0_S7_ifPKiS9_S9_iPKfiiiPfSC_PS2_PT2_iSB_SB_,"axG",@progbits,_Z39paged_attention_ll4mi_QKV_mfma16_kernelIDF16_hLN4vllm18Fp8KVCacheDataTypeE1EDF16_Li16ELi64ELi256ELb0ELi4EEvPKT_PKT0_S7_ifPKiS9_S9_iPKfiiiPfSC_PS2_PT2_iSB_SB_,comdat
	.protected	_Z39paged_attention_ll4mi_QKV_mfma16_kernelIDF16_hLN4vllm18Fp8KVCacheDataTypeE1EDF16_Li16ELi64ELi256ELb0ELi4EEvPKT_PKT0_S7_ifPKiS9_S9_iPKfiiiPfSC_PS2_PT2_iSB_SB_ ; -- Begin function _Z39paged_attention_ll4mi_QKV_mfma16_kernelIDF16_hLN4vllm18Fp8KVCacheDataTypeE1EDF16_Li16ELi64ELi256ELb0ELi4EEvPKT_PKT0_S7_ifPKiS9_S9_iPKfiiiPfSC_PS2_PT2_iSB_SB_
	.globl	_Z39paged_attention_ll4mi_QKV_mfma16_kernelIDF16_hLN4vllm18Fp8KVCacheDataTypeE1EDF16_Li16ELi64ELi256ELb0ELi4EEvPKT_PKT0_S7_ifPKiS9_S9_iPKfiiiPfSC_PS2_PT2_iSB_SB_
	.p2align	8
	.type	_Z39paged_attention_ll4mi_QKV_mfma16_kernelIDF16_hLN4vllm18Fp8KVCacheDataTypeE1EDF16_Li16ELi64ELi256ELb0ELi4EEvPKT_PKT0_S7_ifPKiS9_S9_iPKfiiiPfSC_PS2_PT2_iSB_SB_,@function
_Z39paged_attention_ll4mi_QKV_mfma16_kernelIDF16_hLN4vllm18Fp8KVCacheDataTypeE1EDF16_Li16ELi64ELi256ELb0ELi4EEvPKT_PKT0_S7_ifPKiS9_S9_iPKfiiiPfSC_PS2_PT2_iSB_SB_: ; @_Z39paged_attention_ll4mi_QKV_mfma16_kernelIDF16_hLN4vllm18Fp8KVCacheDataTypeE1EDF16_Li16ELi64ELi256ELb0ELi4EEvPKT_PKT0_S7_ifPKiS9_S9_iPKfiiiPfSC_PS2_PT2_iSB_SB_
; %bb.0:
	s_load_dwordx2 s[6:7], s[0:1], 0x30
	s_mov_b32 s26, s3
	s_mov_b64 s[8:9], 0
	s_waitcnt lgkmcnt(0)
	s_cmp_lg_u64 s[6:7], 0
	s_cselect_b64 s[14:15], -1, 0
	s_and_b64 vcc, exec, s[14:15]
	s_cbranch_vccz .LBB847_7
; %bb.1:
	s_add_i32 s10, s2, 1
	s_mov_b32 s11, 0
	s_lshl_b64 s[12:13], s[10:11], 2
	s_add_u32 s12, s6, s12
	s_mov_b32 s3, s11
	s_addc_u32 s13, s7, s13
	s_lshl_b64 s[10:11], s[2:3], 2
	s_add_u32 s10, s6, s10
	s_addc_u32 s11, s7, s11
	s_load_dword s5, s[12:13], 0x0
	s_load_dword s16, s[10:11], 0x0
	s_waitcnt lgkmcnt(0)
	s_sub_i32 s5, s5, s16
	s_cmp_eq_u32 s5, 1
	s_cselect_b64 s[10:11], -1, 0
	s_andn2_b64 vcc, exec, s[8:9]
	s_cbranch_vccnz .LBB847_3
.LBB847_2:
	s_mov_b32 s3, 0
	s_mov_b64 s[10:11], -1
.LBB847_3:
	s_andn2_b64 vcc, exec, s[10:11]
	s_cbranch_vccnz .LBB847_17
; %bb.4:
	s_load_dwordx2 s[8:9], s[0:1], 0x28
	s_lshl_b64 s[16:17], s[2:3], 2
	s_waitcnt lgkmcnt(0)
	s_add_u32 s8, s8, s16
	s_addc_u32 s9, s9, s17
	s_load_dword s5, s[8:9], 0x0
	s_lshl_b32 s18, s26, 8
	s_waitcnt lgkmcnt(0)
	s_cmp_ge_i32 s18, s5
	s_cbranch_scc1 .LBB847_17
; %bb.5:
	s_load_dwordx2 s[8:9], s[0:1], 0x20
	s_load_dword s10, s[0:1], 0x38
	s_add_i32 s11, s5, 15
	s_ashr_i32 s12, s11, 31
	v_and_b32_e32 v1, 0xcf, v0
	s_lshr_b32 s12, s12, 28
	v_add_u32_e32 v1, s18, v1
	s_add_i32 s11, s11, s12
	v_ashrrev_i32_e32 v2, 31, v1
	s_ashr_i32 s19, s11, 4
	v_lshrrev_b32_e32 v4, 28, v2
	s_add_i32 s19, s19, -1
	s_waitcnt lgkmcnt(0)
	s_mul_i32 s10, s2, s10
	s_mov_b32 s11, 0
	v_add_u32_e32 v2, v1, v4
	s_lshl_b64 s[10:11], s[10:11], 2
	v_ashrrev_i32_e32 v2, 4, v2
	v_mov_b32_e32 v5, s19
	v_cmp_gt_i32_e32 vcc, s5, v1
	s_add_u32 s12, s8, s10
	s_addc_u32 s13, s9, s11
	v_cndmask_b32_e32 v2, v5, v2, vcc
	v_ashrrev_i32_e32 v3, 31, v2
	v_lshl_add_u64 v[6:7], v[2:3], 2, s[12:13]
	v_or_b32_e32 v2, 16, v1
	v_add_u32_e32 v3, v2, v4
	v_ashrrev_i32_e32 v3, 4, v3
	v_cmp_gt_i32_e32 vcc, s5, v2
	s_load_dwordx4 s[8:11], s[0:1], 0x8
	s_nop 0
	v_cndmask_b32_e32 v2, v5, v3, vcc
	v_ashrrev_i32_e32 v3, 31, v2
	v_lshl_add_u64 v[8:9], v[2:3], 2, s[12:13]
	v_or_b32_e32 v2, 32, v1
	v_add_u32_e32 v3, v2, v4
	v_ashrrev_i32_e32 v3, 4, v3
	v_cmp_gt_i32_e32 vcc, s5, v2
	v_or_b32_e32 v1, 48, v1
	s_nop 0
	v_cndmask_b32_e32 v2, v5, v3, vcc
	v_ashrrev_i32_e32 v3, 31, v2
	v_lshl_add_u64 v[10:11], v[2:3], 2, s[12:13]
	v_add_u32_e32 v2, v1, v4
	v_ashrrev_i32_e32 v2, 4, v2
	v_cmp_gt_i32_e32 vcc, s5, v1
	s_nop 1
	v_cndmask_b32_e32 v2, v5, v2, vcc
	v_ashrrev_i32_e32 v3, 31, v2
	v_lshl_add_u64 v[12:13], v[2:3], 2, s[12:13]
	global_load_dword v4, v[6:7], off
	global_load_dword v3, v[8:9], off
	;; [unrolled: 1-line block ×4, first 2 shown]
	s_andn2_b64 vcc, exec, s[14:15]
	s_cbranch_vccnz .LBB847_8
; %bb.6:
	s_add_u32 s6, s6, s16
	s_addc_u32 s7, s7, s17
	s_load_dword s14, s[6:7], 0x0
	s_branch .LBB847_9
.LBB847_7:
	s_mov_b64 s[10:11], 0
	s_branch .LBB847_2
.LBB847_8:
	s_mov_b32 s14, s2
.LBB847_9:
	s_load_dwordx4 s[44:47], s[0:1], 0x48
	v_and_b32_e32 v44, 15, v0
	v_bfe_u32 v42, v0, 4, 2
	s_lshl_b32 s27, s4, 2
	v_lshlrev_b32_e32 v5, 3, v44
	v_cmp_gt_u32_e32 vcc, 64, v0
	v_cmp_gt_u32_e64 s[6:7], 8, v44
	v_lshrrev_b32_e32 v43, 6, v0
	v_and_b32_e32 v45, 63, v0
	v_or_b32_e32 v1, s27, v42
	s_and_b64 s[48:49], vcc, s[6:7]
	v_lshlrev_b32_e32 v26, 1, v5
	v_lshlrev_b32_e32 v40, 5, v42
	;; [unrolled: 1-line block ×3, first 2 shown]
	s_and_saveexec_b64 s[6:7], s[48:49]
	s_cbranch_execz .LBB847_11
; %bb.10:
	s_load_dwordx2 s[16:17], s[0:1], 0x0
	s_waitcnt lgkmcnt(0)
	s_ashr_i32 s15, s44, 31
	s_mul_hi_u32 s20, s14, s44
	s_mul_i32 s15, s14, s15
	s_add_i32 s15, s20, s15
	s_mul_i32 s14, s14, s44
	s_lshl_b64 s[14:15], s[14:15], 1
	s_add_u32 s14, s16, s14
	v_lshlrev_b32_e32 v6, 6, v1
	s_addc_u32 s15, s17, s15
	v_ashrrev_i32_e32 v7, 31, v6
	v_lshl_add_u64 v[6:7], v[6:7], 1, s[14:15]
	v_mov_b32_e32 v27, 0
	v_lshl_add_u64 v[6:7], v[6:7], 0, v[26:27]
	global_load_dwordx4 v[6:9], v[6:7], off
	v_lshlrev_b32_e32 v11, 8, v44
	v_lshl_or_b32 v5, v43, 7, v40
	v_and_b32_e32 v10, 16, v41
	v_and_b32_e32 v11, 0xe00, v11
	v_or3_b32 v5, v11, v5, v10
	s_waitcnt vmcnt(0)
	ds_write_b128 v5, v[6:9]
.LBB847_11:
	s_or_b64 exec, exec, s[6:7]
	s_waitcnt lgkmcnt(0)
	s_mul_i32 s4, s4, s46
	s_add_u32 s6, s8, s4
	s_addc_u32 s7, s9, 0
	v_and_b32_e32 v8, 48, v0
	v_and_b32_e32 v28, 0xf0, v41
	v_mov_b32_e32 v29, 0
	v_lshl_add_u64 v[6:7], s[6:7], 0, v[28:29]
	v_lshlrev_b32_e32 v28, 4, v8
	v_lshl_add_u64 v[16:17], v[6:7], 0, v[28:29]
	s_waitcnt vmcnt(3)
	v_mad_i64_i32 v[4:5], s[6:7], v4, s45, v[16:17]
	s_load_dword s33, s[0:1], 0x98
	s_load_dwordx4 s[40:43], s[0:1], 0x80
	s_waitcnt lgkmcnt(0)
	s_barrier
	global_load_dwordx4 v[22:25], v[4:5], off
	s_waitcnt vmcnt(3)
	v_mad_i64_i32 v[4:5], s[6:7], v3, s45, v[16:17]
	global_load_dwordx4 v[18:21], v[4:5], off
	v_or_b32_e32 v6, s18, v8
	v_mov_b32_e32 v27, s19
	v_ashrrev_i32_e32 v3, 4, v6
	v_cmp_gt_i32_e32 vcc, s5, v6
	v_or_b32_e32 v15, 64, v6
	v_ashrrev_i32_e32 v30, 4, v15
	v_cndmask_b32_e32 v4, v27, v3, vcc
	s_waitcnt vmcnt(3)
	v_mad_i64_i32 v[2:3], s[6:7], v2, s45, v[16:17]
	global_load_dwordx4 v[10:13], v[2:3], off
	v_and_b32_e32 v2, 3, v0
	v_ashrrev_i32_e32 v5, 31, v4
	v_lshlrev_b32_e32 v2, 5, v2
	v_lshl_add_u64 v[4:5], v[4:5], 2, s[12:13]
	v_lshl_or_b32 v2, v42, 9, v2
	v_cmp_gt_i32_e32 vcc, s5, v15
	s_waitcnt vmcnt(3)
	v_mad_i64_i32 v[14:15], s[8:9], v14, s45, v[16:17]
	global_load_dword v58, v[4:5], off
	v_or_b32_e32 v31, 0x80, v6
	v_or_b32_e32 v33, 0xc0, v6
	ds_read_b128 v[6:9], v2
	ds_read_b128 v[2:5], v2 offset:16
	global_load_dwordx4 v[14:17], v[14:15], off
	v_ashrrev_i32_e32 v32, 4, v31
	v_cndmask_b32_e32 v30, v27, v30, vcc
	v_cmp_gt_i32_e32 vcc, s5, v31
	v_ashrrev_i32_e32 v34, 4, v33
	v_ashrrev_i32_e32 v31, 31, v30
	v_cndmask_b32_e32 v32, v27, v32, vcc
	v_cmp_gt_i32_e32 vcc, s5, v33
	v_ashrrev_i32_e32 v33, 31, v32
	v_lshl_add_u64 v[30:31], v[30:31], 2, s[12:13]
	v_cndmask_b32_e32 v34, v27, v34, vcc
	v_ashrrev_i32_e32 v35, 31, v34
	v_lshl_add_u64 v[32:33], v[32:33], 2, s[12:13]
	s_add_u32 s6, s10, s4
	s_load_dword s4, s[40:41], 0x0
	v_lshl_add_u64 v[34:35], v[34:35], 2, s[12:13]
	global_load_dword v47, v[30:31], off
	global_load_dword v27, v[32:33], off
	;; [unrolled: 1-line block ×3, first 2 shown]
	s_load_dword s14, s[0:1], 0x1c
	s_mov_b32 s40, 0xff7fffff
	v_lshlrev_b32_e32 v28, 4, v44
	s_addc_u32 s7, s11, 0
	v_lshl_or_b32 v28, v43, 8, v28
	s_waitcnt lgkmcnt(0)
	v_mov_b32_e32 v59, s14
	v_lshl_add_u64 v[28:29], s[6:7], 0, v[28:29]
	s_waitcnt vmcnt(7)
	v_cvt_pk_f32_fp8_e32 v[30:31], v22
	v_cvt_pk_f32_fp8_sdwa v[32:33], v22 src0_sel:WORD_1
	v_cvt_pk_f32_fp8_e32 v[34:35], v23
	v_cvt_pk_f32_fp8_sdwa v[36:37], v23 src0_sel:WORD_1
	s_waitcnt vmcnt(6)
	v_cvt_pk_f32_fp8_e32 v[22:23], v18
	v_cvt_pk_f32_fp8_sdwa v[52:53], v18 src0_sel:WORD_1
	v_cvt_pkrtz_f16_f32 v30, v30, v31
	v_cvt_pkrtz_f16_f32 v31, v32, v33
	v_cvt_pk_f32_fp8_e32 v[56:57], v19
	v_cvt_pkrtz_f16_f32 v32, v22, v23
	v_cvt_pkrtz_f16_f32 v33, v52, v53
	v_cvt_pk_f32_fp8_sdwa v[18:19], v19 src0_sel:WORD_1
	v_cvt_pkrtz_f16_f32 v34, v34, v35
	v_cvt_pkrtz_f16_f32 v35, v36, v37
	v_cvt_pk_f32_fp8_e32 v[38:39], v24
	v_cvt_pk_f32_fp8_sdwa v[48:49], v24 src0_sel:WORD_1
	v_cvt_pk_f32_fp8_e32 v[50:51], v25
	v_cvt_pk_f32_fp8_sdwa v[54:55], v25 src0_sel:WORD_1
	v_mfma_f32_16x16x16_f16 v[22:25], v[30:31], v[6:7], 0
	v_cvt_pkrtz_f16_f32 v52, v56, v57
	v_cvt_pkrtz_f16_f32 v53, v18, v19
	v_cvt_pk_f32_fp8_e32 v[36:37], v20
	v_mfma_f32_16x16x16_f16 v[30:33], v[32:33], v[6:7], 0
	v_cvt_pk_f32_fp8_sdwa v[18:19], v20 src0_sel:WORD_1
	v_mfma_f32_16x16x16_f16 v[22:25], v[34:35], v[8:9], v[22:25]
	v_cvt_pkrtz_f16_f32 v34, v38, v39
	v_cvt_pkrtz_f16_f32 v35, v48, v49
	v_cvt_pk_f32_fp8_e32 v[38:39], v21
	v_mfma_f32_16x16x16_f16 v[30:33], v[52:53], v[8:9], v[30:33]
	v_cvt_pkrtz_f16_f32 v48, v50, v51
	v_cvt_pkrtz_f16_f32 v49, v54, v55
	v_cvt_pk_f32_fp8_sdwa v[50:51], v21 src0_sel:WORD_1
	v_cvt_pkrtz_f16_f32 v52, v36, v37
	v_cvt_pkrtz_f16_f32 v53, v18, v19
	v_mfma_f32_16x16x16_f16 v[22:25], v[34:35], v[2:3], v[22:25]
	v_cvt_pkrtz_f16_f32 v18, v38, v39
	v_cvt_pkrtz_f16_f32 v19, v50, v51
	s_waitcnt vmcnt(5)
	v_cvt_pk_f32_fp8_sdwa v[38:39], v13 src0_sel:WORD_1
	v_mfma_f32_16x16x16_f16 v[34:37], v[48:49], v[4:5], v[22:25]
	s_waitcnt vmcnt(4)
	v_mad_i64_i32 v[20:21], s[6:7], v58, s45, v[28:29]
	v_mfma_f32_16x16x16_f16 v[22:25], v[52:53], v[2:3], v[30:33]
	v_mul_f32_e32 v52, s4, v59
	s_nop 1
	v_cvt_pk_f32_fp8_e32 v[30:31], v10
	v_cvt_pk_f32_fp8_sdwa v[32:33], v10 src0_sel:WORD_1
	v_mfma_f32_16x16x16_f16 v[48:51], v[18:19], v[4:5], v[22:25]
	v_cvt_pk_f32_fp8_e32 v[18:19], v11
	v_cvt_pk_f32_fp8_sdwa v[10:11], v11 src0_sel:WORD_1
	v_cvt_pkrtz_f16_f32 v18, v18, v19
	v_cvt_pkrtz_f16_f32 v22, v30, v31
	;; [unrolled: 1-line block ×3, first 2 shown]
	v_cvt_pk_f32_fp8_e32 v[30:31], v12
	v_cvt_pk_f32_fp8_sdwa v[32:33], v12 src0_sel:WORD_1
	v_cvt_pkrtz_f16_f32 v19, v10, v11
	v_mfma_f32_16x16x16_f16 v[22:25], v[22:23], v[6:7], 0
	v_cvt_pkrtz_f16_f32 v30, v30, v31
	v_cvt_pkrtz_f16_f32 v31, v32, v33
	v_cvt_pk_f32_fp8_e32 v[32:33], v13
	v_mfma_f32_16x16x16_f16 v[10:13], v[18:19], v[8:9], v[22:25]
	v_cvt_pkrtz_f16_f32 v19, v38, v39
	s_waitcnt vmcnt(3)
	v_cvt_pk_f32_fp8_sdwa v[38:39], v16 src0_sel:WORD_1
	v_cvt_pkrtz_f16_f32 v18, v32, v33
	v_mfma_f32_16x16x16_f16 v[10:13], v[30:31], v[2:3], v[10:13]
	v_cvt_pk_f32_fp8_e32 v[24:25], v14
	v_cvt_pk_f32_fp8_sdwa v[30:31], v14 src0_sel:WORD_1
	v_pk_mul_f32 v[22:23], v[52:53], v[36:37] op_sel_hi:[0,1]
	v_mfma_f32_16x16x16_f16 v[10:13], v[18:19], v[4:5], v[10:13]
	v_cvt_pk_f32_fp8_e32 v[18:19], v15
	v_cvt_pkrtz_f16_f32 v24, v24, v25
	v_cvt_pkrtz_f16_f32 v25, v30, v31
	v_cvt_pk_f32_fp8_sdwa v[14:15], v15 src0_sel:WORD_1
	v_cvt_pkrtz_f16_f32 v18, v18, v19
	v_cvt_pk_f32_fp8_e32 v[30:31], v16
	v_pk_mul_f32 v[32:33], v[52:53], v[34:35] op_sel_hi:[0,1]
	v_cvt_pkrtz_f16_f32 v19, v14, v15
	v_mfma_f32_16x16x16_f16 v[34:37], v[24:25], v[6:7], 0
	v_cvt_pkrtz_f16_f32 v14, v30, v31
	v_cvt_pkrtz_f16_f32 v15, v38, v39
	v_cvt_pk_f32_fp8_e32 v[24:25], v17
	v_cvt_pk_f32_fp8_sdwa v[16:17], v17 src0_sel:WORD_1
	v_mfma_f32_16x16x16_f16 v[6:9], v[18:19], v[8:9], v[34:37]
	v_pk_mul_f32 v[38:39], v[52:53], v[48:49] op_sel_hi:[0,1]
	v_cvt_pkrtz_f16_f32 v18, v24, v25
	v_cvt_pkrtz_f16_f32 v19, v16, v17
	v_mfma_f32_16x16x16_f16 v[6:9], v[14:15], v[2:3], v[6:9]
	v_pk_mul_f32 v[34:35], v[52:53], v[50:51] op_sel_hi:[0,1]
	v_pk_mul_f32 v[36:37], v[52:53], v[10:11] op_sel_hi:[0,1]
	;; [unrolled: 1-line block ×3, first 2 shown]
	v_mfma_f32_16x16x16_f16 v[2:5], v[18:19], v[4:5], v[6:9]
	s_nop 6
	v_pk_mul_f32 v[24:25], v[52:53], v[2:3] op_sel_hi:[0,1]
	v_and_b32_e32 v2, 0xc0, v0
	v_add_u32_e32 v2, s18, v2
	v_lshl_or_b32 v2, v42, 2, v2
	v_pk_mul_f32 v[18:19], v[52:53], v[4:5] op_sel_hi:[0,1]
	v_or_b32_e32 v5, 1, v2
	v_mov_b32_e32 v3, 0xff7fffff
	v_cmp_gt_i32_e64 s[28:29], s5, v2
	v_cmp_gt_i32_e64 s[30:31], s5, v5
	v_or_b32_e32 v6, 3, v2
	v_cndmask_b32_e64 v4, v3, v32, s[28:29]
	v_cndmask_b32_e64 v5, v3, v33, s[30:31]
	v_max3_f32 v4, v4, s40, v5
	v_or_b32_e32 v5, 2, v2
	v_cmp_gt_i32_e64 s[34:35], s5, v5
	v_cmp_gt_i32_e64 s[36:37], s5, v6
	s_nop 0
	v_cndmask_b32_e64 v5, v3, v22, s[34:35]
	v_cndmask_b32_e64 v6, v3, v23, s[36:37]
	v_max3_f32 v4, v4, v5, v6
	v_or_b32_e32 v5, 16, v2
	v_or_b32_e32 v6, 17, v2
	v_cmp_gt_i32_e64 s[22:23], s5, v5
	v_cmp_gt_i32_e64 s[24:25], s5, v6
	s_nop 0
	v_cndmask_b32_e64 v5, v3, v38, s[22:23]
	v_cndmask_b32_e64 v6, v3, v39, s[24:25]
	v_max3_f32 v4, v4, v5, v6
	v_or_b32_e32 v5, 18, v2
	;; [unrolled: 8-line block ×6, first 2 shown]
	v_or_b32_e32 v2, 51, v2
	v_cmp_gt_i32_e32 vcc, s5, v5
	v_cmp_gt_i32_e64 s[4:5], s5, v2
	s_nop 0
	v_cndmask_b32_e32 v5, v3, v18, vcc
	v_cndmask_b32_e64 v2, v3, v19, s[4:5]
	v_max3_f32 v4, v4, v5, v2
	v_mbcnt_lo_u32_b32 v2, -1, 0
	v_mbcnt_hi_u32_b32 v5, -1, v2
	v_and_b32_e32 v2, 64, v5
	v_add_u32_e32 v6, 64, v2
	v_xor_b32_e32 v2, 32, v5
	v_cmp_lt_i32_e64 s[38:39], v2, v6
	s_nop 1
	v_cndmask_b32_e64 v2, v5, v2, s[38:39]
	v_lshlrev_b32_e32 v48, 2, v2
	ds_bpermute_b32 v7, v48, v4
	s_waitcnt vmcnt(2)
	v_mad_i64_i32 v[2:3], s[38:39], v47, s45, v[28:29]
	global_load_dwordx4 v[14:17], v[20:21], off
	global_load_dwordx4 v[10:13], v[2:3], off
	v_xor_b32_e32 v3, 16, v5
	v_cmp_lt_i32_e64 s[38:39], v3, v6
	s_waitcnt lgkmcnt(0)
	v_max_f32_e32 v2, v7, v7
	v_max_f32_e32 v2, v4, v2
	v_cndmask_b32_e64 v3, v5, v3, s[38:39]
	v_lshlrev_b32_e32 v47, 2, v3
	ds_bpermute_b32 v3, v47, v2
	s_waitcnt vmcnt(3)
	v_mad_i64_i32 v[20:21], s[38:39], v27, s45, v[28:29]
	s_waitcnt vmcnt(2)
	v_mad_i64_i32 v[28:29], s[38:39], v46, s45, v[28:29]
	s_waitcnt lgkmcnt(0)
	v_max_f32_e32 v3, v3, v3
	v_max_f32_e32 v27, v2, v3
	v_sub_f32_e32 v2, v32, v27
	v_mul_f32_e32 v2, 0x3fb8aa3b, v2
	v_exp_f32_e32 v32, v2
	v_sub_f32_e32 v2, v33, v27
	v_mul_f32_e32 v2, 0x3fb8aa3b, v2
	v_exp_f32_e32 v33, v2
	global_load_dwordx4 v[6:9], v[20:21], off
	global_load_dwordx4 v[2:5], v[28:29], off
	v_sub_f32_e32 v22, v22, v27
	v_mul_f32_e32 v22, 0x3fb8aa3b, v22
	v_sub_f32_e32 v23, v23, v27
	v_exp_f32_e32 v22, v22
	v_mul_f32_e32 v23, 0x3fb8aa3b, v23
	v_exp_f32_e32 v23, v23
	v_cndmask_b32_e64 v20, 0, v32, s[28:29]
	v_add_f32_e32 v28, 0, v20
	v_cndmask_b32_e64 v21, 0, v33, s[30:31]
	v_add_f32_e32 v28, v28, v21
	;; [unrolled: 2-line block ×3, first 2 shown]
	v_cndmask_b32_e64 v33, 0, v23, s[36:37]
	v_sub_f32_e32 v23, v38, v27
	v_sub_f32_e32 v28, v39, v27
	v_mul_f32_e32 v23, 0x3fb8aa3b, v23
	v_mul_f32_e32 v28, 0x3fb8aa3b, v28
	v_exp_f32_e32 v23, v23
	v_exp_f32_e32 v28, v28
	v_add_f32_e32 v29, v22, v33
	v_sub_f32_e32 v30, v30, v27
	v_cndmask_b32_e64 v22, 0, v23, s[22:23]
	v_cndmask_b32_e64 v23, 0, v28, s[24:25]
	v_sub_f32_e32 v28, v34, v27
	v_mul_f32_e32 v28, 0x3fb8aa3b, v28
	v_exp_f32_e32 v28, v28
	v_sub_f32_e32 v34, v35, v27
	v_add_f32_e32 v29, v29, v22
	v_mul_f32_e32 v34, 0x3fb8aa3b, v34
	v_exp_f32_e32 v35, v34
	v_add_f32_e32 v29, v29, v23
	v_cndmask_b32_e64 v34, 0, v28, s[18:19]
	v_add_f32_e32 v28, v29, v34
	v_sub_f32_e32 v29, v36, v27
	v_mul_f32_e32 v29, 0x3fb8aa3b, v29
	v_sub_f32_e32 v36, v37, v27
	v_exp_f32_e32 v29, v29
	v_mul_f32_e32 v36, 0x3fb8aa3b, v36
	v_exp_f32_e32 v36, v36
	v_mul_f32_e32 v30, 0x3fb8aa3b, v30
	v_sub_f32_e32 v31, v31, v27
	v_exp_f32_e32 v30, v30
	v_mul_f32_e32 v31, 0x3fb8aa3b, v31
	v_sub_f32_e32 v24, v24, v27
	v_cndmask_b32_e64 v35, 0, v35, s[20:21]
	v_exp_f32_e32 v31, v31
	v_mul_f32_e32 v24, 0x3fb8aa3b, v24
	v_sub_f32_e32 v25, v25, v27
	v_add_f32_e32 v37, v28, v35
	v_cndmask_b32_e64 v28, 0, v29, s[14:15]
	v_exp_f32_e32 v24, v24
	v_mul_f32_e32 v25, 0x3fb8aa3b, v25
	v_sub_f32_e32 v18, v18, v27
	v_add_f32_e32 v37, v37, v28
	;; [unrolled: 5-line block ×3, first 2 shown]
	v_cndmask_b32_e64 v30, 0, v30, s[10:11]
	v_exp_f32_e32 v18, v18
	v_mul_f32_e32 v19, 0x3fb8aa3b, v19
	v_add_f32_e32 v36, v36, v30
	v_cndmask_b32_e64 v31, 0, v31, s[12:13]
	v_exp_f32_e32 v19, v19
	v_add_f32_e32 v36, v36, v31
	v_cndmask_b32_e64 v24, 0, v24, s[6:7]
	v_add_f32_e32 v36, v36, v24
	v_cndmask_b32_e64 v25, 0, v25, s[8:9]
	v_add_f32_e32 v36, v36, v25
	v_cndmask_b32_e32 v18, 0, v18, vcc
	v_add_f32_e32 v36, v36, v18
	v_cndmask_b32_e64 v19, 0, v19, s[4:5]
	v_add_f32_e32 v36, v36, v19
	ds_bpermute_b32 v37, v48, v36
	v_cmp_gt_u32_e32 vcc, 16, v45
	s_waitcnt lgkmcnt(0)
	s_barrier
	v_add_f32_e32 v37, v36, v37
	ds_bpermute_b32 v38, v47, v37
	v_lshlrev_b32_e32 v36, 2, v44
	s_and_saveexec_b64 s[4:5], vcc
	s_cbranch_execz .LBB847_13
; %bb.12:
	s_waitcnt lgkmcnt(0)
	v_add_f32_e32 v37, v37, v38
	v_lshl_or_b32 v38, v43, 6, v36
	ds_write2st64_b32 v38, v27, v37 offset1:1
.LBB847_13:
	s_or_b64 exec, exec, s[4:5]
	s_load_dword s6, s[0:1], 0x94
	s_waitcnt lgkmcnt(0)
	s_barrier
	ds_read2_b32 v[38:39], v36 offset1:16
	ds_read2_b32 v[46:47], v36 offset0:32 offset1:48
	ds_read2_b32 v[48:49], v36 offset0:64 offset1:80
	s_lshl_b32 s7, s33, 2
	s_waitcnt lgkmcnt(2)
	v_max3_f32 v27, v38, s40, v39
	s_waitcnt lgkmcnt(1)
	v_max3_f32 v27, v27, v46, v47
	v_sub_f32_e32 v37, v38, v27
	v_sub_f32_e32 v38, v39, v27
	v_mul_f32_e32 v38, 0x3fb8aa3b, v38
	v_mul_f32_e32 v37, 0x3fb8aa3b, v37
	v_exp_f32_e32 v45, v38
	v_sub_f32_e32 v38, v46, v27
	v_exp_f32_e32 v37, v37
	v_mul_f32_e32 v38, 0x3fb8aa3b, v38
	v_exp_f32_e32 v46, v38
	ds_read2_b32 v[38:39], v36 offset0:96 offset1:112
	v_sub_f32_e32 v36, v47, v27
	v_mul_f32_e32 v36, 0x3fb8aa3b, v36
	v_exp_f32_e32 v47, v36
	s_waitcnt lgkmcnt(1)
	v_fma_f32 v36, v37, v48, 0
	v_fmac_f32_e32 v36, v45, v49
	s_waitcnt lgkmcnt(0)
	v_fmac_f32_e32 v36, v46, v38
	v_fmac_f32_e32 v36, v47, v39
	v_add_f32_e32 v38, 0x358637bd, v36
	v_div_scale_f32 v39, s[4:5], v38, v38, 1.0
	v_rcp_f32_e32 v48, v39
	s_barrier
	v_fma_f32 v49, -v39, v48, 1.0
	v_fmac_f32_e32 v48, v49, v48
	v_div_scale_f32 v49, vcc, 1.0, v38, 1.0
	v_mul_f32_e32 v50, v49, v48
	v_fma_f32 v51, -v39, v50, v49
	v_fmac_f32_e32 v50, v51, v48
	v_fma_f32 v39, -v39, v50, v49
	v_div_fmas_f32 v39, v39, v48, v50
	v_cmp_eq_u32_e32 vcc, 1, v43
	v_div_fixup_f32 v38, v39, v38, 1.0
	s_nop 0
	v_cndmask_b32_e32 v37, v37, v45, vcc
	v_cmp_eq_u32_e32 vcc, 2, v43
	s_nop 1
	v_cndmask_b32_e32 v37, v37, v46, vcc
	v_cmp_eq_u32_e32 vcc, 3, v43
	s_nop 1
	v_cndmask_b32_e32 v37, v37, v47, vcc
	v_mul_f32_e32 v38, v37, v38
	v_pk_mul_f32 v[32:33], v[38:39], v[32:33] op_sel_hi:[0,1]
	v_pk_mul_f32 v[20:21], v[38:39], v[20:21] op_sel_hi:[0,1]
	v_cvt_f16_f32_e32 v20, v20
	v_cvt_f16_f32_e32 v21, v21
	v_cvt_f16_f32_e32 v37, v32
	v_cvt_f16_f32_e32 v33, v33
	v_pk_mul_f32 v[34:35], v[38:39], v[34:35] op_sel_hi:[0,1]
	v_pk_mul_f32 v[22:23], v[38:39], v[22:23] op_sel_hi:[0,1]
	v_cvt_f16_f32_e32 v22, v22
	v_cvt_f16_f32_e32 v23, v23
	;; [unrolled: 1-line block ×4, first 2 shown]
	v_pack_b32_f16 v32, v20, v21
	v_pack_b32_f16 v33, v37, v33
	v_lshlrev_b32_e32 v20, 3, v42
	v_lshlrev_b32_e32 v21, 5, v44
	;; [unrolled: 1-line block ×3, first 2 shown]
	v_or3_b32 v20, v37, v21, v20
	v_pack_b32_f16 v22, v22, v23
	v_pack_b32_f16 v23, v34, v35
	ds_write2st64_b64 v20, v[32:33], v[22:23] offset1:1
	v_pk_mul_f32 v[22:23], v[38:39], v[30:31] op_sel_hi:[0,1]
	v_pk_mul_f32 v[28:29], v[38:39], v[28:29] op_sel_hi:[0,1]
	v_cvt_f16_f32_e32 v30, v22
	v_cvt_f16_f32_e32 v31, v23
	v_pk_mul_f32 v[18:19], v[38:39], v[18:19] op_sel_hi:[0,1]
	v_pk_mul_f32 v[22:23], v[38:39], v[24:25] op_sel_hi:[0,1]
	v_cvt_f16_f32_e32 v28, v28
	v_cvt_f16_f32_e32 v29, v29
	;; [unrolled: 1-line block ×6, first 2 shown]
	v_pack_b32_f16 v18, v28, v29
	v_pack_b32_f16 v19, v30, v31
	;; [unrolled: 1-line block ×4, first 2 shown]
	v_cmp_gt_u32_e32 vcc, 4, v0
	ds_write2st64_b64 v20, v[18:19], v[22:23] offset0:2 offset1:3
	s_and_saveexec_b64 s[4:5], vcc
	s_cbranch_execz .LBB847_15
; %bb.14:
	v_or_b32_e32 v18, s27, v0
	v_mov_b32_e32 v19, 0
	v_mov_b32_e32 v22, s7
	v_mad_u64_u32 v[22:23], s[12:13], s2, v22, v[18:19]
	v_mov_b32_e32 v18, s26
	s_load_dwordx4 s[8:11], s[0:1], 0x58
	s_mul_i32 s3, s3, s7
	v_mad_u64_u32 v[18:19], s[12:13], v22, s6, v[18:19]
	v_add_u32_e32 v23, s3, v23
	v_mov_b32_e32 v22, v19
	v_mad_u64_u32 v[22:23], s[12:13], v23, s6, v[22:23]
	v_mov_b32_e32 v19, v22
	v_lshlrev_b64 v[18:19], 2, v[18:19]
	s_waitcnt lgkmcnt(0)
	v_lshl_add_u64 v[22:23], s[10:11], 0, v[18:19]
	v_lshl_add_u64 v[18:19], s[8:9], 0, v[18:19]
	global_store_dword v[22:23], v27, off
	global_store_dword v[18:19], v36, off
.LBB847_15:
	s_or_b64 exec, exec, s[4:5]
	s_waitcnt vmcnt(3)
	v_cvt_pk_f32_fp8_e32 v[18:19], v14
	v_cvt_pk_f32_fp8_sdwa v[22:23], v14 src0_sel:WORD_1
	v_cvt_pk_f32_fp8_e32 v[24:25], v15
	v_lshl_or_b32 v14, v42, 9, v21
	s_waitcnt lgkmcnt(0)
	s_barrier
	v_cvt_pkrtz_f16_f32 v18, v18, v19
	v_cvt_pkrtz_f16_f32 v19, v22, v23
	v_cvt_pk_f32_fp8_sdwa v[28:29], v15 src0_sel:WORD_1
	v_cvt_pkrtz_f16_f32 v36, v24, v25
	ds_read_b128 v[22:25], v14
	v_cvt_pk_f32_fp8_e32 v[38:39], v16
	v_cvt_pkrtz_f16_f32 v37, v28, v29
	ds_read_b128 v[28:31], v14 offset:16
	v_cvt_pk_f32_fp8_sdwa v[42:43], v16 src0_sel:WORD_1
	s_waitcnt lgkmcnt(1)
	v_mfma_f32_16x16x16_f16 v[32:35], v[18:19], v[22:23], 0
	v_cvt_pkrtz_f16_f32 v18, v38, v39
	v_cvt_pk_f32_fp8_e32 v[38:39], v17
	v_cvt_pkrtz_f16_f32 v19, v42, v43
	v_mfma_f32_16x16x16_f16 v[22:25], v[36:37], v[24:25], v[32:35]
	s_waitcnt vmcnt(2)
	v_cvt_pk_f32_fp8_sdwa v[36:37], v12 src0_sel:WORD_1
	s_load_dword s4, s[42:43], 0x0
	s_mov_b32 s3, 0
	v_cvt_pk_f32_fp8_sdwa v[32:33], v17 src0_sel:WORD_1
	v_cvt_pkrtz_f16_f32 v34, v38, v39
	s_waitcnt lgkmcnt(0)
	v_mfma_f32_16x16x16_f16 v[16:19], v[18:19], v[28:29], v[22:25]
	v_cvt_pk_f32_fp8_e32 v[28:29], v11
	v_cvt_pkrtz_f16_f32 v35, v32, v33
	v_mov_b32_e32 v27, 0
	v_cvt_pk_f32_fp8_e32 v[22:23], v10
	v_cvt_pk_f32_fp8_sdwa v[24:25], v10 src0_sel:WORD_1
	v_mfma_f32_16x16x16_f16 v[16:19], v[34:35], v[30:31], v[16:19]
	v_cvt_pkrtz_f16_f32 v10, v22, v23
	v_cvt_pk_f32_fp8_sdwa v[30:31], v11 src0_sel:WORD_1
	v_cvt_pkrtz_f16_f32 v11, v24, v25
	ds_read_b128 v[22:25], v14 offset:2048
	v_cvt_pkrtz_f16_f32 v32, v28, v29
	v_cvt_pkrtz_f16_f32 v33, v30, v31
	ds_read_b128 v[28:31], v14 offset:2064
	v_cvt_pk_f32_fp8_e32 v[34:35], v12
	s_waitcnt lgkmcnt(1)
	v_mfma_f32_16x16x16_f16 v[16:19], v[10:11], v[22:23], v[16:19]
	v_cvt_pkrtz_f16_f32 v11, v36, v37
	v_cvt_pk_f32_fp8_e32 v[22:23], v13
	v_cvt_pkrtz_f16_f32 v10, v34, v35
	v_mfma_f32_16x16x16_f16 v[16:19], v[32:33], v[24:25], v[16:19]
	v_cvt_pk_f32_fp8_sdwa v[24:25], v13 src0_sel:WORD_1
	v_cvt_pkrtz_f16_f32 v22, v22, v23
	s_waitcnt vmcnt(1)
	v_cvt_pk_f32_fp8_sdwa v[32:33], v8 src0_sel:WORD_1
	s_waitcnt lgkmcnt(0)
	v_mfma_f32_16x16x16_f16 v[10:13], v[10:11], v[28:29], v[16:19]
	v_cvt_pkrtz_f16_f32 v23, v24, v25
	v_cvt_pk_f32_fp8_sdwa v[24:25], v7 src0_sel:WORD_1
	s_nop 0
	v_cvt_pk_f32_fp8_e32 v[16:17], v6
	v_cvt_pk_f32_fp8_sdwa v[18:19], v6 src0_sel:WORD_1
	v_mfma_f32_16x16x16_f16 v[10:13], v[22:23], v[30:31], v[10:13]
	v_cvt_pk_f32_fp8_e32 v[22:23], v7
	v_cvt_pkrtz_f16_f32 v6, v16, v17
	v_cvt_pkrtz_f16_f32 v7, v18, v19
	ds_read_b128 v[16:19], v14 offset:4096
	v_cvt_pkrtz_f16_f32 v28, v22, v23
	v_cvt_pkrtz_f16_f32 v29, v24, v25
	ds_read_b128 v[22:25], v14 offset:4112
	v_cvt_pk_f32_fp8_e32 v[30:31], v8
	s_waitcnt lgkmcnt(1)
	v_mfma_f32_16x16x16_f16 v[10:13], v[6:7], v[16:17], v[10:13]
	v_cvt_pkrtz_f16_f32 v7, v32, v33
	v_cvt_pk_f32_fp8_e32 v[16:17], v9
	v_cvt_pkrtz_f16_f32 v6, v30, v31
	v_mfma_f32_16x16x16_f16 v[10:13], v[28:29], v[18:19], v[10:13]
	v_cvt_pk_f32_fp8_sdwa v[18:19], v9 src0_sel:WORD_1
	v_cvt_pkrtz_f16_f32 v16, v16, v17
	v_cvt_pkrtz_f16_f32 v17, v18, v19
	s_waitcnt lgkmcnt(0)
	v_mfma_f32_16x16x16_f16 v[6:9], v[6:7], v[22:23], v[10:13]
	s_waitcnt vmcnt(0)
	v_cvt_pk_f32_fp8_sdwa v[18:19], v3 src0_sel:WORD_1
	s_nop 0
	v_cvt_pkrtz_f16_f32 v23, v18, v19
	v_cvt_pk_f32_fp8_e32 v[10:11], v2
	v_cvt_pk_f32_fp8_sdwa v[12:13], v2 src0_sel:WORD_1
	v_mfma_f32_16x16x16_f16 v[6:9], v[16:17], v[24:25], v[6:9]
	v_cvt_pk_f32_fp8_e32 v[16:17], v3
	v_cvt_pkrtz_f16_f32 v2, v10, v11
	v_cvt_pkrtz_f16_f32 v3, v12, v13
	ds_read_b128 v[10:13], v14 offset:6144
	v_cvt_pkrtz_f16_f32 v22, v16, v17
	v_cvt_pk_f32_fp8_e32 v[18:19], v4
	v_cvt_pk_f32_fp8_sdwa v[24:25], v4 src0_sel:WORD_1
	s_waitcnt lgkmcnt(0)
	v_mfma_f32_16x16x16_f16 v[6:9], v[2:3], v[10:11], v[6:9]
	ds_read_b128 v[14:17], v14 offset:6160
	v_cvt_pkrtz_f16_f32 v2, v18, v19
	v_cvt_pkrtz_f16_f32 v3, v24, v25
	v_cvt_pk_f32_fp8_e32 v[10:11], v5
	v_mfma_f32_16x16x16_f16 v[6:9], v[22:23], v[12:13], v[6:9]
	v_cvt_pk_f32_fp8_sdwa v[12:13], v5 src0_sel:WORD_1
	s_waitcnt lgkmcnt(0)
	v_cvt_pkrtz_f16_f32 v10, v10, v11
	v_mfma_f32_16x16x16_f16 v[2:5], v[2:3], v[14:15], v[6:9]
	v_cvt_pkrtz_f16_f32 v11, v12, v13
	s_barrier
	s_nop 0
	v_mfma_f32_16x16x16_f16 v[2:5], v[10:11], v[16:17], v[2:5]
	s_nop 6
	v_pk_mul_f32 v[4:5], v[4:5], s[4:5] op_sel_hi:[1,0]
	v_pk_mul_f32 v[2:3], v[2:3], s[4:5] op_sel_hi:[1,0]
	v_cvt_f16_f32_e32 v4, v4
	v_cvt_f16_f32_e32 v2, v2
	;; [unrolled: 1-line block ×4, first 2 shown]
	v_pack_b32_f16 v2, v2, v3
	v_pack_b32_f16 v3, v4, v5
	ds_write_b64 v20, v[2:3]
	s_waitcnt lgkmcnt(0)
	s_barrier
	s_and_saveexec_b64 s[4:5], s[48:49]
	s_cbranch_execz .LBB847_17
; %bb.16:
	s_load_dwordx2 s[0:1], s[0:1], 0x68
	s_lshl_b32 s6, s6, 6
	s_mul_i32 s2, s7, s2
	s_mul_hi_u32 s5, s2, s6
	s_mul_i32 s4, s2, s6
	v_lshlrev_b32_e32 v0, 10, v0
	s_lshl_b64 s[4:5], s[4:5], 1
	v_and_b32_e32 v0, 0x1800, v0
	v_and_b32_e32 v2, 16, v41
	s_waitcnt lgkmcnt(0)
	s_add_u32 s4, s0, s4
	v_or3_b32 v0, v0, v40, v2
	s_addc_u32 s5, s1, s5
	s_lshl_b32 s2, s26, 6
	ds_read_b128 v[2:5], v0
	s_lshl_b64 s[0:1], s[2:3], 1
	s_add_u32 s0, s4, s0
	s_addc_u32 s1, s5, s1
	v_mad_u64_u32 v[0:1], s[2:3], s6, v1, 0
	v_lshl_add_u64 v[0:1], v[0:1], 1, s[0:1]
	v_lshl_add_u64 v[0:1], v[0:1], 0, v[26:27]
	s_waitcnt lgkmcnt(0)
	global_store_dwordx4 v[0:1], v[2:5], off
.LBB847_17:
	s_endpgm
	.section	.rodata,"a",@progbits
	.p2align	6, 0x0
	.amdhsa_kernel _Z39paged_attention_ll4mi_QKV_mfma16_kernelIDF16_hLN4vllm18Fp8KVCacheDataTypeE1EDF16_Li16ELi64ELi256ELb0ELi4EEvPKT_PKT0_S7_ifPKiS9_S9_iPKfiiiPfSC_PS2_PT2_iSB_SB_
		.amdhsa_group_segment_fixed_size 8192
		.amdhsa_private_segment_fixed_size 0
		.amdhsa_kernarg_size 400
		.amdhsa_user_sgpr_count 2
		.amdhsa_user_sgpr_dispatch_ptr 0
		.amdhsa_user_sgpr_queue_ptr 0
		.amdhsa_user_sgpr_kernarg_segment_ptr 1
		.amdhsa_user_sgpr_dispatch_id 0
		.amdhsa_user_sgpr_kernarg_preload_length 0
		.amdhsa_user_sgpr_kernarg_preload_offset 0
		.amdhsa_user_sgpr_private_segment_size 0
		.amdhsa_uses_dynamic_stack 0
		.amdhsa_enable_private_segment 0
		.amdhsa_system_sgpr_workgroup_id_x 1
		.amdhsa_system_sgpr_workgroup_id_y 1
		.amdhsa_system_sgpr_workgroup_id_z 1
		.amdhsa_system_sgpr_workgroup_info 0
		.amdhsa_system_vgpr_workitem_id 0
		.amdhsa_next_free_vgpr 60
		.amdhsa_next_free_sgpr 50
		.amdhsa_accum_offset 60
		.amdhsa_reserve_vcc 1
		.amdhsa_float_round_mode_32 0
		.amdhsa_float_round_mode_16_64 0
		.amdhsa_float_denorm_mode_32 3
		.amdhsa_float_denorm_mode_16_64 3
		.amdhsa_dx10_clamp 1
		.amdhsa_ieee_mode 1
		.amdhsa_fp16_overflow 0
		.amdhsa_tg_split 0
		.amdhsa_exception_fp_ieee_invalid_op 0
		.amdhsa_exception_fp_denorm_src 0
		.amdhsa_exception_fp_ieee_div_zero 0
		.amdhsa_exception_fp_ieee_overflow 0
		.amdhsa_exception_fp_ieee_underflow 0
		.amdhsa_exception_fp_ieee_inexact 0
		.amdhsa_exception_int_div_zero 0
	.end_amdhsa_kernel
	.section	.text._Z39paged_attention_ll4mi_QKV_mfma16_kernelIDF16_hLN4vllm18Fp8KVCacheDataTypeE1EDF16_Li16ELi64ELi256ELb0ELi4EEvPKT_PKT0_S7_ifPKiS9_S9_iPKfiiiPfSC_PS2_PT2_iSB_SB_,"axG",@progbits,_Z39paged_attention_ll4mi_QKV_mfma16_kernelIDF16_hLN4vllm18Fp8KVCacheDataTypeE1EDF16_Li16ELi64ELi256ELb0ELi4EEvPKT_PKT0_S7_ifPKiS9_S9_iPKfiiiPfSC_PS2_PT2_iSB_SB_,comdat
.Lfunc_end847:
	.size	_Z39paged_attention_ll4mi_QKV_mfma16_kernelIDF16_hLN4vllm18Fp8KVCacheDataTypeE1EDF16_Li16ELi64ELi256ELb0ELi4EEvPKT_PKT0_S7_ifPKiS9_S9_iPKfiiiPfSC_PS2_PT2_iSB_SB_, .Lfunc_end847-_Z39paged_attention_ll4mi_QKV_mfma16_kernelIDF16_hLN4vllm18Fp8KVCacheDataTypeE1EDF16_Li16ELi64ELi256ELb0ELi4EEvPKT_PKT0_S7_ifPKiS9_S9_iPKfiiiPfSC_PS2_PT2_iSB_SB_
                                        ; -- End function
	.section	.AMDGPU.csdata,"",@progbits
; Kernel info:
; codeLenInByte = 4480
; NumSgprs: 56
; NumVgprs: 60
; NumAgprs: 0
; TotalNumVgprs: 60
; ScratchSize: 0
; MemoryBound: 0
; FloatMode: 240
; IeeeMode: 1
; LDSByteSize: 8192 bytes/workgroup (compile time only)
; SGPRBlocks: 6
; VGPRBlocks: 7
; NumSGPRsForWavesPerEU: 56
; NumVGPRsForWavesPerEU: 60
; AccumOffset: 60
; Occupancy: 8
; WaveLimiterHint : 1
; COMPUTE_PGM_RSRC2:SCRATCH_EN: 0
; COMPUTE_PGM_RSRC2:USER_SGPR: 2
; COMPUTE_PGM_RSRC2:TRAP_HANDLER: 0
; COMPUTE_PGM_RSRC2:TGID_X_EN: 1
; COMPUTE_PGM_RSRC2:TGID_Y_EN: 1
; COMPUTE_PGM_RSRC2:TGID_Z_EN: 1
; COMPUTE_PGM_RSRC2:TIDIG_COMP_CNT: 0
; COMPUTE_PGM_RSRC3_GFX90A:ACCUM_OFFSET: 14
; COMPUTE_PGM_RSRC3_GFX90A:TG_SPLIT: 0
	.section	.text._Z38paged_attention_ll4mi_QKV_mfma4_kernelIDF16_hLN4vllm18Fp8KVCacheDataTypeE1EhLi32ELi64ELi256ELb1ELi1EEvPKT_PKT0_S7_ifPKiS9_S9_iPKfiiiPfSC_PS2_PT2_iSB_SB_,"axG",@progbits,_Z38paged_attention_ll4mi_QKV_mfma4_kernelIDF16_hLN4vllm18Fp8KVCacheDataTypeE1EhLi32ELi64ELi256ELb1ELi1EEvPKT_PKT0_S7_ifPKiS9_S9_iPKfiiiPfSC_PS2_PT2_iSB_SB_,comdat
	.protected	_Z38paged_attention_ll4mi_QKV_mfma4_kernelIDF16_hLN4vllm18Fp8KVCacheDataTypeE1EhLi32ELi64ELi256ELb1ELi1EEvPKT_PKT0_S7_ifPKiS9_S9_iPKfiiiPfSC_PS2_PT2_iSB_SB_ ; -- Begin function _Z38paged_attention_ll4mi_QKV_mfma4_kernelIDF16_hLN4vllm18Fp8KVCacheDataTypeE1EhLi32ELi64ELi256ELb1ELi1EEvPKT_PKT0_S7_ifPKiS9_S9_iPKfiiiPfSC_PS2_PT2_iSB_SB_
	.globl	_Z38paged_attention_ll4mi_QKV_mfma4_kernelIDF16_hLN4vllm18Fp8KVCacheDataTypeE1EhLi32ELi64ELi256ELb1ELi1EEvPKT_PKT0_S7_ifPKiS9_S9_iPKfiiiPfSC_PS2_PT2_iSB_SB_
	.p2align	8
	.type	_Z38paged_attention_ll4mi_QKV_mfma4_kernelIDF16_hLN4vllm18Fp8KVCacheDataTypeE1EhLi32ELi64ELi256ELb1ELi1EEvPKT_PKT0_S7_ifPKiS9_S9_iPKfiiiPfSC_PS2_PT2_iSB_SB_,@function
_Z38paged_attention_ll4mi_QKV_mfma4_kernelIDF16_hLN4vllm18Fp8KVCacheDataTypeE1EhLi32ELi64ELi256ELb1ELi1EEvPKT_PKT0_S7_ifPKiS9_S9_iPKfiiiPfSC_PS2_PT2_iSB_SB_: ; @_Z38paged_attention_ll4mi_QKV_mfma4_kernelIDF16_hLN4vllm18Fp8KVCacheDataTypeE1EhLi32ELi64ELi256ELb1ELi1EEvPKT_PKT0_S7_ifPKiS9_S9_iPKfiiiPfSC_PS2_PT2_iSB_SB_
; %bb.0:
	s_load_dwordx2 s[8:9], s[0:1], 0x30
	s_mov_b32 s20, s3
	s_mov_b64 s[6:7], 0
	s_waitcnt lgkmcnt(0)
	s_cmp_lg_u64 s[8:9], 0
	s_cselect_b64 s[10:11], -1, 0
	s_and_b64 vcc, exec, s[10:11]
	s_cbranch_vccz .LBB848_10
; %bb.1:
	s_add_i32 s12, s2, 1
	s_mov_b32 s13, 0
	s_lshl_b64 s[14:15], s[12:13], 2
	s_add_u32 s14, s8, s14
	s_mov_b32 s3, s13
	s_addc_u32 s15, s9, s15
	s_lshl_b64 s[12:13], s[2:3], 2
	s_add_u32 s12, s8, s12
	s_addc_u32 s13, s9, s13
	s_load_dword s5, s[14:15], 0x0
	s_load_dword s16, s[12:13], 0x0
	s_waitcnt lgkmcnt(0)
	s_sub_i32 s5, s5, s16
	s_cmp_eq_u32 s5, 1
	s_cselect_b64 s[12:13], -1, 0
	s_andn2_b64 vcc, exec, s[6:7]
	s_cbranch_vccnz .LBB848_3
.LBB848_2:
	s_mov_b32 s3, 0
	s_mov_b64 s[12:13], -1
.LBB848_3:
	s_andn2_b64 vcc, exec, s[12:13]
	s_cbranch_vccnz .LBB848_25
; %bb.4:
	s_load_dword s5, s[0:1], 0x9c
	s_load_dwordx2 s[6:7], s[0:1], 0x28
	s_add_u32 s24, s0, 0x90
	s_addc_u32 s25, s1, 0
	s_lshl_b64 s[28:29], s[2:3], 2
	s_waitcnt lgkmcnt(0)
	s_and_b32 s5, s5, 0xffff
	s_add_u32 s6, s6, s28
	s_addc_u32 s7, s7, s29
	s_load_dword s3, s[6:7], 0x0
	s_mul_i32 s5, s20, s5
	s_waitcnt lgkmcnt(0)
	s_cmp_ge_i32 s5, s3
	s_cbranch_scc1 .LBB848_25
; %bb.5:
	v_and_b32_e32 v2, 0xc0, v0
	v_add_u32_e32 v4, s5, v2
	v_lshrrev_b32_e32 v1, 6, v0
	v_cmp_gt_i32_e64 s[6:7], s3, v4
	v_cmp_le_i32_e32 vcc, s3, v4
                                        ; implicit-def: $sgpr30
                                        ; implicit-def: $sgpr21
	s_and_saveexec_b64 s[12:13], vcc
	s_xor_b64 s[12:13], exec, s[12:13]
	s_cbranch_execz .LBB848_7
; %bb.6:
	v_mul_u32_u24_e32 v2, 20, v1
	v_or_b32_e32 v2, 0xa00, v2
	v_mov_b32_e32 v3, 0xa50
	v_mov_b32_e32 v4, 0xff7fffff
	v_mad_u32_u24 v3, v1, 20, v3
	ds_write2_b32 v2, v4, v4 offset1:1
	v_mov_b32_e32 v2, 0
	ds_write2_b32 v3, v2, v2 offset1:1
	v_mov_b32_e32 v3, 0xa08
	s_mov_b32 s21, 0xff7fffff
	s_mov_b32 s30, 0
	v_mad_u32_u24 v3, v1, 20, v3
	v_mov_b32_e32 v5, 0xa58
	v_mad_u32_u24 v5, v1, 20, v5
	ds_write2_b32 v3, v4, v4 offset1:1
	ds_write2_b32 v5, v2, v2 offset1:1
                                        ; implicit-def: $vgpr4
.LBB848_7:
	s_or_saveexec_b64 s[26:27], s[12:13]
	s_load_dwordx2 s[22:23], s[0:1], 0x68
	s_load_dwordx4 s[16:19], s[0:1], 0x58
	s_load_dword s33, s[24:25], 0x4
	s_load_dwordx4 s[12:15], s[0:1], 0x80
	v_and_b32_e32 v32, 63, v0
	v_and_b32_e32 v33, 3, v0
	v_mov_b32_e32 v21, s30
	v_mov_b32_e32 v24, s21
	;; [unrolled: 1-line block ×5, first 2 shown]
                                        ; implicit-def: $vgpr6_vgpr7
                                        ; implicit-def: $vgpr2_vgpr3
                                        ; implicit-def: $vgpr14_vgpr15
                                        ; implicit-def: $vgpr10_vgpr11
	s_xor_b64 exec, exec, s[26:27]
	s_cbranch_execz .LBB848_19
; %bb.8:
	s_load_dwordx2 s[30:31], s[0:1], 0x20
	s_load_dword s21, s[0:1], 0x38
	s_add_i32 s34, s3, 31
	s_ashr_i32 s35, s34, 31
	s_lshr_b32 s35, s35, 27
	v_add_u32_e32 v34, s5, v0
	s_add_i32 s34, s34, s35
	v_ashrrev_i32_e32 v2, 31, v34
	s_ashr_i32 s34, s34, 5
	v_lshrrev_b32_e32 v2, 27, v2
	s_add_i32 s36, s34, -1
	s_waitcnt lgkmcnt(0)
	s_mul_i32 s34, s2, s21
	s_mov_b32 s35, 0
	v_add_u32_e32 v2, v34, v2
	s_lshl_b64 s[34:35], s[34:35], 2
	v_ashrrev_i32_e32 v2, 5, v2
	v_mov_b32_e32 v3, s36
	v_cmp_gt_i32_e32 vcc, s3, v34
	s_add_u32 s30, s30, s34
	s_addc_u32 s31, s31, s35
	v_cndmask_b32_e32 v2, v3, v2, vcc
	v_ashrrev_i32_e32 v3, 31, v2
	v_lshl_add_u64 v[6:7], v[2:3], 2, s[30:31]
	v_ashrrev_i32_e32 v2, 31, v4
	v_lshrrev_b32_e32 v2, 27, v2
	v_add_u32_e32 v2, v4, v2
	v_ashrrev_i32_e32 v8, 5, v2
	v_min_i32_e32 v2, s36, v8
	v_ashrrev_i32_e32 v3, 31, v2
	v_lshl_add_u64 v[4:5], v[2:3], 2, s[30:31]
	v_add_u32_e32 v2, 1, v8
	v_min_i32_e32 v2, s36, v2
	v_ashrrev_i32_e32 v3, 31, v2
	v_lshl_add_u64 v[8:9], v[2:3], 2, s[30:31]
	global_load_dword v3, v[6:7], off
	global_load_dword v2, v[4:5], off
	;; [unrolled: 1-line block ×3, first 2 shown]
	s_load_dwordx2 s[34:35], s[0:1], 0x8
	s_andn2_b64 vcc, exec, s[10:11]
	s_cbranch_vccnz .LBB848_11
; %bb.9:
	s_add_u32 s8, s8, s28
	s_addc_u32 s9, s9, s29
	s_load_dword s5, s[8:9], 0x0
	s_branch .LBB848_12
.LBB848_10:
	s_mov_b64 s[12:13], 0
	s_branch .LBB848_2
.LBB848_11:
	s_mov_b32 s5, s2
.LBB848_12:
	s_load_dwordx2 s[28:29], s[0:1], 0x10
	s_load_dwordx4 s[8:11], s[0:1], 0x48
	v_cmp_eq_u32_e32 vcc, 0, v33
	s_mov_b32 s31, 0
	v_mov_b32_e32 v31, 0
	v_mov_b32_e32 v10, 0
	;; [unrolled: 1-line block ×5, first 2 shown]
	s_and_saveexec_b64 s[36:37], vcc
	s_cbranch_execz .LBB848_14
; %bb.13:
	s_load_dwordx2 s[38:39], s[0:1], 0x0
	s_waitcnt lgkmcnt(0)
	s_ashr_i32 s11, s8, 31
	s_mul_hi_u32 s21, s5, s8
	s_mul_i32 s11, s5, s11
	s_add_i32 s41, s21, s11
	s_mul_i32 s40, s5, s8
	s_lshl_b64 s[40:41], s[40:41], 1
	s_add_u32 s5, s38, s40
	s_addc_u32 s8, s39, s41
	s_lshl_b32 s30, s4, 6
	s_lshl_b64 s[38:39], s[30:31], 1
	s_add_u32 s38, s5, s38
	s_addc_u32 s39, s8, s39
	v_lshlrev_b32_e32 v4, 2, v32
	global_load_dwordx4 v[10:13], v4, s[38:39]
.LBB848_14:
	s_or_b64 exec, exec, s[36:37]
	s_waitcnt lgkmcnt(0)
	s_mul_i32 s8, s4, s10
	s_add_u32 s10, s8, s34
	s_addc_u32 s11, 0, s35
	v_mov_b64_e32 v[4:5], s[10:11]
	s_waitcnt vmcnt(2)
	v_mad_i64_i32 v[4:5], s[10:11], v3, s9, v[4:5]
	v_lshlrev_b32_e32 v3, 4, v0
	v_and_b32_e32 v30, 0x1f0, v3
	v_lshl_add_u64 v[4:5], v[4:5], 0, v[30:31]
	global_load_dwordx4 v[26:29], v[4:5], off
	global_load_dwordx4 v[22:25], v[4:5], off offset:512
	global_load_dwordx4 v[18:21], v[4:5], off offset:1024
	;; [unrolled: 1-line block ×3, first 2 shown]
	v_mov_b32_e32 v30, 0
	s_and_saveexec_b64 s[10:11], vcc
	s_cbranch_execz .LBB848_16
; %bb.15:
	s_load_dwordx2 s[34:35], s[0:1], 0x40
	s_mov_b32 s5, s31
	s_lshl_b64 s[30:31], s[4:5], 2
	v_mov_b32_e32 v31, 1.0
	s_waitcnt lgkmcnt(0)
	s_add_u32 s30, s34, s30
	s_addc_u32 s31, s35, s31
	s_load_dword s5, s[30:31], 0x0
	s_waitcnt lgkmcnt(0)
	v_mov_b32_e32 v30, s5
.LBB848_16:
	s_or_b64 exec, exec, s[10:11]
	s_load_dword s5, s[0:1], 0x1c
	s_add_u32 s0, s28, s8
	s_waitcnt vmcnt(5)
	v_mul_hi_i32 v3, v2, s9
	s_addc_u32 s1, s29, 0
	v_lshlrev_b32_e32 v36, 5, v32
	v_mov_b32_e32 v37, 0
	v_ashrrev_i32_e32 v3, 31, v3
	v_lshl_add_u64 v[38:39], s[0:1], 0, v[36:37]
	v_lshrrev_b32_e32 v36, 29, v3
	v_mad_i64_i32 v[2:3], s[0:1], v2, s9, v[36:37]
	s_waitcnt vmcnt(4)
	v_mul_hi_i32 v36, v35, s9
	v_ashrrev_i32_e32 v36, 31, v36
	v_lshrrev_b32_e32 v36, 29, v36
	v_and_b32_e32 v2, -8, v2
	v_mad_i64_i32 v[36:37], s[0:1], v35, s9, v[36:37]
	v_lshl_add_u64 v[40:41], v[38:39], 0, v[2:3]
	v_and_b32_e32 v36, -8, v36
	global_load_dwordx4 v[2:5], v[40:41], off offset:16
	global_load_dwordx4 v[6:9], v[40:41], off
	v_lshl_add_u64 v[36:37], v[38:39], 0, v[36:37]
	s_waitcnt vmcnt(5)
	v_cvt_pk_f32_fp8_e32 v[38:39], v26
	v_cvt_pk_f32_fp8_sdwa v[40:41], v26 src0_sel:WORD_1
	v_cvt_pk_f32_fp8_e32 v[42:43], v27
	v_cvt_pk_f32_fp8_sdwa v[26:27], v27 src0_sel:WORD_1
	v_cvt_pkrtz_f16_f32 v38, v38, v39
	v_cvt_pkrtz_f16_f32 v39, v40, v41
	;; [unrolled: 1-line block ×4, first 2 shown]
	v_mfma_f32_4x4x4_16b_f16 a[0:3], v[10:11], v[38:39], 0 cbsz:4
	v_cvt_pk_f32_fp8_e32 v[26:27], v28
	v_cvt_pk_f32_fp8_sdwa v[38:39], v28 src0_sel:WORD_1
	v_mfma_f32_4x4x4_16b_f16 a[0:3], v[12:13], v[40:41], a[0:3] cbsz:4
	v_cvt_pk_f32_fp8_e32 v[40:41], v29
	v_cvt_pk_f32_fp8_sdwa v[28:29], v29 src0_sel:WORD_1
	v_cvt_pkrtz_f16_f32 v26, v26, v27
	v_cvt_pkrtz_f16_f32 v27, v38, v39
	v_cvt_pkrtz_f16_f32 v38, v40, v41
	v_cvt_pkrtz_f16_f32 v39, v28, v29
	v_mfma_f32_4x4x4_16b_f16 a[0:3], v[10:11], v[26:27], a[0:3] cbsz:4 abid:1
	s_waitcnt vmcnt(4)
	v_cvt_pk_f32_fp8_e32 v[26:27], v22
	v_cvt_pk_f32_fp8_sdwa v[28:29], v22 src0_sel:WORD_1
	v_mfma_f32_4x4x4_16b_f16 a[0:3], v[12:13], v[38:39], a[0:3] cbsz:4 abid:1
	v_cvt_pk_f32_fp8_e32 v[38:39], v23
	v_cvt_pk_f32_fp8_sdwa v[22:23], v23 src0_sel:WORD_1
	v_cvt_pkrtz_f16_f32 v26, v26, v27
	v_cvt_pkrtz_f16_f32 v27, v28, v29
	v_cvt_pkrtz_f16_f32 v28, v38, v39
	v_cvt_pkrtz_f16_f32 v29, v22, v23
	v_mfma_f32_4x4x4_16b_f16 a[0:3], v[10:11], v[26:27], a[0:3] cbsz:4 abid:2
	v_cvt_pk_f32_fp8_e32 v[22:23], v24
	v_cvt_pk_f32_fp8_sdwa v[26:27], v24 src0_sel:WORD_1
	v_mfma_f32_4x4x4_16b_f16 a[0:3], v[12:13], v[28:29], a[0:3] cbsz:4 abid:2
	v_cvt_pk_f32_fp8_e32 v[28:29], v25
	v_cvt_pk_f32_fp8_sdwa v[24:25], v25 src0_sel:WORD_1
	v_cvt_pkrtz_f16_f32 v22, v22, v23
	v_cvt_pkrtz_f16_f32 v23, v26, v27
	v_cvt_pkrtz_f16_f32 v26, v28, v29
	v_cvt_pkrtz_f16_f32 v27, v24, v25
	v_mfma_f32_4x4x4_16b_f16 a[0:3], v[10:11], v[22:23], a[0:3] cbsz:4 abid:3
	s_waitcnt vmcnt(3)
	v_cvt_pk_f32_fp8_e32 v[22:23], v18
	v_cvt_pk_f32_fp8_sdwa v[24:25], v18 src0_sel:WORD_1
	v_mfma_f32_4x4x4_16b_f16 a[0:3], v[12:13], v[26:27], a[0:3] cbsz:4 abid:3
	v_cvt_pk_f32_fp8_e32 v[26:27], v19
	v_cvt_pk_f32_fp8_sdwa v[18:19], v19 src0_sel:WORD_1
	v_cvt_pkrtz_f16_f32 v22, v22, v23
	v_cvt_pkrtz_f16_f32 v23, v24, v25
	v_cvt_pkrtz_f16_f32 v24, v26, v27
	v_cvt_pkrtz_f16_f32 v25, v18, v19
	v_mfma_f32_4x4x4_16b_f16 a[0:3], v[10:11], v[22:23], a[0:3] cbsz:4 abid:4
	v_cvt_pk_f32_fp8_e32 v[18:19], v20
	v_cvt_pk_f32_fp8_sdwa v[22:23], v20 src0_sel:WORD_1
	v_mfma_f32_4x4x4_16b_f16 a[0:3], v[12:13], v[24:25], a[0:3] cbsz:4 abid:4
	;; [unrolled: 21-line block ×3, first 2 shown]
	v_cvt_pk_f32_fp8_e32 v[20:21], v17
	v_cvt_pk_f32_fp8_sdwa v[16:17], v17 src0_sel:WORD_1
	v_cvt_pkrtz_f16_f32 v14, v14, v15
	v_cvt_pkrtz_f16_f32 v15, v18, v19
	s_load_dword s0, s[12:13], 0x0
	v_cvt_pkrtz_f16_f32 v18, v20, v21
	v_mfma_f32_4x4x4_16b_f16 a[0:3], v[10:11], v[14:15], a[0:3] cbsz:4 abid:7
	v_cvt_pkrtz_f16_f32 v19, v16, v17
	s_waitcnt lgkmcnt(0)
	v_mov_b32_e32 v10, s5
	v_cmp_eq_u32_e32 vcc, 1, v33
	v_mfma_f32_4x4x4_16b_f16 a[0:3], v[12:13], v[18:19], a[0:3] cbsz:4 abid:7
	v_mul_f32_e32 v18, s0, v10
	v_mov_b32_e32 v25, 0xff7fffff
	s_nop 2
	v_accvgpr_read_b32 v11, a1
	v_accvgpr_read_b32 v10, a0
	v_pk_mul_f32 v[20:21], v[10:11], v[18:19] op_sel_hi:[1,0]
	global_load_dwordx4 v[10:13], v[36:37], off offset:16
	global_load_dwordx4 v[14:17], v[36:37], off
	v_accvgpr_read_b32 v23, a3
	v_accvgpr_read_b32 v22, a2
	v_pk_mul_f32 v[18:19], v[22:23], v[18:19] op_sel_hi:[1,0]
	v_mfma_f32_4x4x1_16b_f32 a[0:3], v20, v31, 0
	v_cndmask_b32_e64 v20, 0, 1.0, vcc
	v_cmp_eq_u32_e32 vcc, 2, v33
	s_nop 0
	v_mfma_f32_4x4x1_16b_f32 a[0:3], v21, v20, a[0:3]
	v_cndmask_b32_e64 v20, 0, 1.0, vcc
	v_cmp_eq_u32_e32 vcc, 3, v33
	s_nop 0
	v_mfma_f32_4x4x1_16b_f32 a[0:3], v18, v20, a[0:3]
	v_cndmask_b32_e64 v18, 0, 1.0, vcc
	s_nop 1
	v_mfma_f32_4x4x1_16b_f32 a[0:3], v19, v18, a[0:3]
	v_and_b32_e32 v18, -4, v34
	v_subrev_u32_e32 v19, s3, v18
	v_add_u32_e32 v20, 1, v19
	v_cvt_f32_i32_e32 v20, v20
	v_add_u32_e32 v21, 2, v19
	v_cvt_f32_i32_e32 v21, v21
	v_accvgpr_read_b32 v22, a0
	v_fma_f32 v20, v30, v20, v22
	v_accvgpr_read_b32 v22, a1
	v_fma_f32 v21, v30, v21, v22
	v_add_u32_e32 v22, 3, v19
	v_cvt_f32_i32_e32 v22, v22
	v_add_u32_e32 v19, 4, v19
	v_max_f32_e32 v24, 0xff7fffff, v20
	v_cmp_gt_i32_e32 vcc, s3, v18
	v_cvt_f32_i32_e32 v19, v19
	v_accvgpr_read_b32 v23, a2
	v_cndmask_b32_e32 v24, v25, v24, vcc
	v_or_b32_e32 v25, 1, v18
	v_max_f32_e32 v26, v24, v21
	v_cmp_gt_i32_e64 s[0:1], s3, v25
	v_fma_f32 v22, v30, v22, v23
	v_or_b32_e32 v18, 2, v18
	v_cndmask_b32_e64 v24, v24, v26, s[0:1]
	v_accvgpr_read_b32 v23, a3
	v_max_f32_e32 v25, v24, v22
	v_cmp_gt_i32_e64 s[8:9], s3, v18
	v_fmac_f32_e32 v23, v30, v19
	v_lshlrev_b32_e32 v19, 2, v0
	v_cndmask_b32_e64 v18, v24, v25, s[8:9]
	v_or_b32_e32 v24, 3, v34
	v_max_f32_e32 v25, v18, v23
	v_cmp_gt_i32_e64 s[10:11], s3, v24
	v_and_or_b32 v19, v19, 48, v33
	s_nop 0
	v_cndmask_b32_e64 v18, v18, v25, s[10:11]
	;;#ASMSTART
	v_nop
 v_nop
 v_max_f32_dpp v18, v18, v18 row_ror:4
	;;#ASMEND
	v_lshlrev_b32_e32 v25, 2, v19
	;;#ASMSTART
	v_nop
 v_nop
 v_max_f32_dpp v18, v18, v18 row_ror:8
	;;#ASMEND
	ds_bpermute_b32 v18, v25, v18
	s_waitcnt lgkmcnt(0)
	;;#ASMSTART
	v_nop
 v_nop
 v_max_f32_dpp v18, v18, v18 row_ror:4
	;;#ASMEND
	s_nop 0
	;;#ASMSTART
	v_nop
 v_nop
 v_max_f32_dpp v24, v18, v18 row_ror:8
	;;#ASMEND
	s_nop 0
	v_sub_f32_e32 v18, v20, v24
	v_mul_f32_e32 v18, 0x3fb8aa3b, v18
	v_sub_f32_e32 v19, v21, v24
	v_exp_f32_e32 v18, v18
	v_mul_f32_e32 v19, 0x3fb8aa3b, v19
	v_sub_f32_e32 v21, v22, v24
	v_exp_f32_e32 v19, v19
	;; [unrolled: 3-line block ×3, first 2 shown]
	v_mul_f32_e32 v22, 0x3fb8aa3b, v22
	v_exp_f32_e32 v22, v22
	v_cndmask_b32_e32 v18, 0, v18, vcc
	v_add_f32_e32 v20, 0, v18
	v_cndmask_b32_e64 v19, 0, v19, s[0:1]
	v_add_f32_e32 v23, v20, v19
	v_cndmask_b32_e64 v20, 0, v21, s[8:9]
	;; [unrolled: 2-line block ×3, first 2 shown]
	v_add_f32_e32 v22, v23, v21
	;;#ASMSTART
	v_nop
 v_nop
 v_add_f32_dpp v22, v22, v22 row_ror:4
	;;#ASMEND
	v_cmp_gt_u32_e32 vcc, 4, v32
	;;#ASMSTART
	v_nop
 v_nop
 v_add_f32_dpp v22, v22, v22 row_ror:8
	;;#ASMEND
	ds_bpermute_b32 v22, v25, v22
	s_waitcnt lgkmcnt(0)
	;;#ASMSTART
	v_nop
 v_nop
 v_add_f32_dpp v22, v22, v22 row_ror:4
	;;#ASMEND
	s_nop 0
	;;#ASMSTART
	v_nop
 v_nop
 v_add_f32_dpp v22, v22, v22 row_ror:8
	;;#ASMEND
	s_and_saveexec_b64 s[0:1], vcc
	s_cbranch_execz .LBB848_18
; %bb.17:
	v_mul_u32_u24_e32 v23, 20, v1
	v_lshl_add_u32 v23, v33, 2, v23
	v_add_u32_e32 v23, 0x800, v23
	ds_write2_b32 v23, v24, v22 offset0:128 offset1:148
.LBB848_18:
	s_or_b64 exec, exec, s[0:1]
.LBB848_19:
	s_or_b64 exec, exec, s[26:27]
	s_waitcnt lgkmcnt(0)
	s_barrier
	s_load_dword s0, s[24:25], 0x8
	v_lshlrev_b32_e32 v22, 2, v33
	v_add_u32_e32 v30, 0x800, v22
	ds_read2_b32 v[22:23], v30 offset0:128 offset1:133
	ds_read2_b32 v[26:27], v30 offset0:138 offset1:143
	s_mul_i32 s1, s33, s2
	s_waitcnt lgkmcnt(0)
	s_mul_i32 s0, s1, s0
	s_mov_b32 s1, 0xff7fffff
	v_max3_f32 v25, v22, s1, v23
	v_max3_f32 v25, v25, v26, v27
	v_sub_f32_e32 v22, v22, v25
	ds_read2_b32 v[28:29], v30 offset0:148 offset1:153
	v_mul_f32_e32 v22, 0x3fb8aa3b, v22
	v_sub_f32_e32 v23, v23, v25
	v_sub_f32_e32 v26, v26, v25
	v_exp_f32_e32 v34, v22
	v_mul_f32_e32 v23, 0x3fb8aa3b, v23
	v_mul_f32_e32 v26, 0x3fb8aa3b, v26
	v_exp_f32_e32 v23, v23
	ds_read2_b32 v[30:31], v30 offset0:158 offset1:163
	v_exp_f32_e32 v35, v26
	v_sub_f32_e32 v26, v27, v25
	v_mul_f32_e32 v26, 0x3fb8aa3b, v26
	v_exp_f32_e32 v27, v26
	s_waitcnt lgkmcnt(1)
	v_fma_f32 v26, v34, v28, 0
	v_fmac_f32_e32 v26, v23, v29
	s_waitcnt lgkmcnt(0)
	v_fmac_f32_e32 v26, v35, v30
	v_mov_b32_e32 v22, 0
	v_fmac_f32_e32 v26, v27, v31
	s_mov_b32 s1, 0
	v_cmp_eq_u32_e32 vcc, 0, v33
	s_and_saveexec_b64 s[2:3], vcc
	s_cbranch_execz .LBB848_21
; %bb.20:
	s_lshl_b64 s[8:9], s[0:1], 2
	s_add_u32 s5, s16, s8
	s_mov_b32 s21, s1
	s_addc_u32 s12, s17, s9
	s_lshl_b64 s[10:11], s[20:21], 2
	s_add_u32 s5, s5, s10
	s_addc_u32 s12, s12, s11
	s_add_u32 s8, s18, s8
	s_addc_u32 s9, s19, s9
	;; [unrolled: 2-line block ×3, first 2 shown]
	s_mul_i32 s8, s33, s4
	s_mov_b32 s9, s1
	s_lshl_b64 s[8:9], s[8:9], 2
	s_add_u32 s10, s5, s8
	s_addc_u32 s11, s12, s9
	s_add_u32 s8, s13, s8
	s_addc_u32 s9, s16, s9
	global_store_dword v22, v25, s[8:9]
	global_store_dword v22, v26, s[10:11]
.LBB848_21:
	s_or_b64 exec, exec, s[2:3]
	v_mov_b32_e32 v23, 0
	s_and_saveexec_b64 s[2:3], s[6:7]
	s_cbranch_execz .LBB848_23
; %bb.22:
	v_add_f32_e32 v22, 0x358637bd, v26
	v_div_scale_f32 v23, s[6:7], v22, v22, 1.0
	v_rcp_f32_e32 v26, v23
	v_div_scale_f32 v27, vcc, 1.0, v22, 1.0
	v_sub_f32_e32 v24, v24, v25
	v_fma_f32 v28, -v23, v26, 1.0
	v_fmac_f32_e32 v26, v28, v26
	v_mul_f32_e32 v28, v27, v26
	v_fma_f32 v29, -v23, v28, v27
	v_mul_f32_e32 v24, 0x3fb8aa3b, v24
	v_fmac_f32_e32 v28, v29, v26
	v_exp_f32_e32 v24, v24
	v_fma_f32 v23, -v23, v28, v27
	v_div_fmas_f32 v23, v23, v26, v28
	v_div_fixup_f32 v22, v23, v22, 1.0
	v_mul_f32_e32 v22, v24, v22
	v_pk_mul_f32 v[20:21], v[20:21], v[22:23] op_sel_hi:[1,0]
	v_pk_mul_f32 v[18:19], v[18:19], v[22:23] op_sel_hi:[1,0]
	v_cvt_f16_f32_e32 v22, v20
	v_cvt_f16_f32_e32 v18, v18
	;; [unrolled: 1-line block ×4, first 2 shown]
	s_waitcnt vmcnt(2)
	v_cvt_pk_f32_fp8_e32 v[20:21], v6
	v_cvt_pk_f32_fp8_e32 v[24:25], v7
	v_pack_b32_f16 v18, v18, v19
	v_pack_b32_f16 v19, v22, v23
	v_cvt_pk_f32_fp8_sdwa v[22:23], v6 src0_sel:WORD_1
	v_cvt_pkrtz_f16_f32 v6, v20, v21
	v_cvt_pk_f32_fp8_sdwa v[20:21], v7 src0_sel:WORD_1
	s_load_dword s6, s[14:15], 0x0
	v_cvt_pkrtz_f16_f32 v7, v22, v23
	v_cvt_pkrtz_f16_f32 v22, v24, v25
	;; [unrolled: 1-line block ×3, first 2 shown]
	v_mfma_f32_4x4x4_16b_f16 a[0:3], v[18:19], v[6:7], 0 cbsz:4
	v_cvt_pk_f32_fp8_e32 v[6:7], v8
	v_cvt_pk_f32_fp8_sdwa v[20:21], v8 src0_sel:WORD_1
	v_mfma_f32_4x4x4_16b_f16 a[0:3], v[18:19], v[22:23], a[0:3] cbsz:4 abid:1
	v_cvt_pk_f32_fp8_e32 v[22:23], v9
	v_cvt_pk_f32_fp8_sdwa v[8:9], v9 src0_sel:WORD_1
	v_cvt_pkrtz_f16_f32 v6, v6, v7
	v_cvt_pkrtz_f16_f32 v7, v20, v21
	;; [unrolled: 1-line block ×4, first 2 shown]
	v_mfma_f32_4x4x4_16b_f16 a[0:3], v[18:19], v[6:7], a[0:3] cbsz:4 abid:2
	v_cvt_pk_f32_fp8_e32 v[6:7], v2
	v_cvt_pk_f32_fp8_sdwa v[8:9], v2 src0_sel:WORD_1
	v_mfma_f32_4x4x4_16b_f16 a[0:3], v[18:19], v[20:21], a[0:3] cbsz:4 abid:3
	v_cvt_pk_f32_fp8_e32 v[20:21], v3
	v_cvt_pkrtz_f16_f32 v2, v6, v7
	v_cvt_pk_f32_fp8_sdwa v[6:7], v3 src0_sel:WORD_1
	v_cvt_pkrtz_f16_f32 v3, v8, v9
	v_cvt_pkrtz_f16_f32 v8, v20, v21
	s_mov_b32 s1, 0x5040100
	v_mfma_f32_4x4x4_16b_f16 a[0:3], v[18:19], v[2:3], a[0:3] cbsz:4 abid:4
	v_cvt_pkrtz_f16_f32 v9, v6, v7
	v_cvt_pk_f32_fp8_e32 v[2:3], v4
	v_cvt_pk_f32_fp8_sdwa v[6:7], v4 src0_sel:WORD_1
	v_mfma_f32_4x4x4_16b_f16 a[0:3], v[18:19], v[8:9], a[0:3] cbsz:4 abid:5
	v_cvt_pk_f32_fp8_e32 v[8:9], v5
	v_cvt_pk_f32_fp8_sdwa v[4:5], v5 src0_sel:WORD_1
	v_cvt_pkrtz_f16_f32 v2, v2, v3
	v_cvt_pkrtz_f16_f32 v3, v6, v7
	;; [unrolled: 1-line block ×4, first 2 shown]
	v_mfma_f32_4x4x4_16b_f16 a[0:3], v[18:19], v[2:3], a[0:3] cbsz:4 abid:6
	s_waitcnt vmcnt(0)
	v_cvt_pk_f32_fp8_e32 v[2:3], v14
	v_cvt_pk_f32_fp8_sdwa v[4:5], v14 src0_sel:WORD_1
	v_mfma_f32_4x4x4_16b_f16 a[0:3], v[18:19], v[6:7], a[0:3] cbsz:4 abid:7
	v_cvt_pk_f32_fp8_e32 v[6:7], v15
	v_cvt_pk_f32_fp8_sdwa v[8:9], v15 src0_sel:WORD_1
	v_cvt_pkrtz_f16_f32 v2, v2, v3
	v_cvt_pkrtz_f16_f32 v3, v4, v5
	;; [unrolled: 1-line block ×4, first 2 shown]
	v_mfma_f32_4x4x4_16b_f16 a[0:3], v[18:19], v[2:3], a[0:3] cbsz:4 abid:8
	v_cvt_pk_f32_fp8_e32 v[2:3], v16
	v_cvt_pk_f32_fp8_e32 v[6:7], v17
	v_mfma_f32_4x4x4_16b_f16 a[0:3], v[18:19], v[4:5], a[0:3] cbsz:4 abid:9
	v_cvt_pk_f32_fp8_sdwa v[4:5], v16 src0_sel:WORD_1
	v_cvt_pk_f32_fp8_sdwa v[8:9], v17 src0_sel:WORD_1
	v_cvt_pkrtz_f16_f32 v2, v2, v3
	v_cvt_pkrtz_f16_f32 v3, v4, v5
	v_cvt_pkrtz_f16_f32 v4, v6, v7
	s_nop 0
	v_mfma_f32_4x4x4_16b_f16 a[0:3], v[18:19], v[2:3], a[0:3] cbsz:4 abid:10
	v_cvt_pkrtz_f16_f32 v5, v8, v9
	v_cvt_pk_f32_fp8_e32 v[2:3], v10
	v_cvt_pk_f32_fp8_e32 v[6:7], v11
	v_mfma_f32_4x4x4_16b_f16 a[0:3], v[18:19], v[4:5], a[0:3] cbsz:4 abid:11
	v_cvt_pk_f32_fp8_sdwa v[4:5], v10 src0_sel:WORD_1
	v_cvt_pk_f32_fp8_sdwa v[8:9], v11 src0_sel:WORD_1
	v_cvt_pkrtz_f16_f32 v2, v2, v3
	v_cvt_pkrtz_f16_f32 v3, v4, v5
	v_cvt_pkrtz_f16_f32 v4, v6, v7
	s_nop 0
	v_mfma_f32_4x4x4_16b_f16 a[0:3], v[18:19], v[2:3], a[0:3] cbsz:4 abid:12
	v_cvt_pkrtz_f16_f32 v5, v8, v9
	;; [unrolled: 11-line block ×3, first 2 shown]
	s_nop 1
	v_mfma_f32_4x4x4_16b_f16 a[0:3], v[18:19], v[4:5], a[0:3] cbsz:4 abid:15
	s_nop 4
	v_accvgpr_read_b32 v5, a1
	v_accvgpr_read_b32 v3, a3
	;; [unrolled: 1-line block ×4, first 2 shown]
	s_waitcnt lgkmcnt(0)
	v_pk_mul_f32 v[2:3], v[2:3], s[6:7] op_sel_hi:[1,0]
	v_pk_mul_f32 v[4:5], v[4:5], s[6:7] op_sel_hi:[1,0]
	v_cvt_f16_f32_e32 v2, v2
	v_cvt_f16_f32_e32 v4, v4
	;; [unrolled: 1-line block ×4, first 2 shown]
	v_perm_b32 v22, v5, v4, s1
	v_perm_b32 v23, v3, v2, s1
.LBB848_23:
	s_or_b64 exec, exec, s[2:3]
	v_lshlrev_b32_e32 v1, 3, v1
	v_mad_u32_u24 v1, v32, 40, v1
	v_cmp_gt_u32_e32 vcc, 64, v0
	ds_write_b64 v1, v[22:23]
	s_waitcnt lgkmcnt(0)
	s_barrier
	s_and_saveexec_b64 s[2:3], vcc
	s_cbranch_execz .LBB848_25
; %bb.24:
	v_mul_u32_u24_e32 v1, 40, v32
	s_waitcnt vmcnt(3)
	ds_read2_b64 v[2:5], v1 offset1:1
	s_waitcnt vmcnt(2)
	ds_read2_b64 v[6:9], v1 offset0:2 offset1:3
	s_lshl_b32 s0, s0, 6
	s_mov_b32 s1, 0
	s_lshl_b64 s[2:3], s[0:1], 1
	s_add_u32 s2, s22, s2
	s_addc_u32 s3, s23, s3
	s_lshl_b32 s0, s20, 6
	s_lshl_b64 s[0:1], s[0:1], 1
	s_waitcnt lgkmcnt(1)
	v_pk_add_f16 v2, v2, 0
	s_add_u32 s0, s2, s0
	s_mul_i32 s2, s4, s33
	v_pk_add_f16 v2, v2, v4
	s_addc_u32 s1, s3, s1
	v_lshl_or_b32 v0, s2, 6, v0
	v_mov_b32_e32 v1, 0
	s_waitcnt lgkmcnt(0)
	v_pk_add_f16 v2, v2, v6
	v_lshl_add_u64 v[0:1], v[0:1], 1, s[0:1]
	v_pk_add_f16 v2, v2, v8
	global_store_short v[0:1], v2, off
.LBB848_25:
	s_endpgm
	.section	.rodata,"a",@progbits
	.p2align	6, 0x0
	.amdhsa_kernel _Z38paged_attention_ll4mi_QKV_mfma4_kernelIDF16_hLN4vllm18Fp8KVCacheDataTypeE1EhLi32ELi64ELi256ELb1ELi1EEvPKT_PKT0_S7_ifPKiS9_S9_iPKfiiiPfSC_PS2_PT2_iSB_SB_
		.amdhsa_group_segment_fixed_size 2720
		.amdhsa_private_segment_fixed_size 0
		.amdhsa_kernarg_size 400
		.amdhsa_user_sgpr_count 2
		.amdhsa_user_sgpr_dispatch_ptr 0
		.amdhsa_user_sgpr_queue_ptr 0
		.amdhsa_user_sgpr_kernarg_segment_ptr 1
		.amdhsa_user_sgpr_dispatch_id 0
		.amdhsa_user_sgpr_kernarg_preload_length 0
		.amdhsa_user_sgpr_kernarg_preload_offset 0
		.amdhsa_user_sgpr_private_segment_size 0
		.amdhsa_uses_dynamic_stack 0
		.amdhsa_enable_private_segment 0
		.amdhsa_system_sgpr_workgroup_id_x 1
		.amdhsa_system_sgpr_workgroup_id_y 1
		.amdhsa_system_sgpr_workgroup_id_z 1
		.amdhsa_system_sgpr_workgroup_info 0
		.amdhsa_system_vgpr_workitem_id 0
		.amdhsa_next_free_vgpr 48
		.amdhsa_next_free_sgpr 42
		.amdhsa_accum_offset 44
		.amdhsa_reserve_vcc 1
		.amdhsa_float_round_mode_32 0
		.amdhsa_float_round_mode_16_64 0
		.amdhsa_float_denorm_mode_32 3
		.amdhsa_float_denorm_mode_16_64 3
		.amdhsa_dx10_clamp 1
		.amdhsa_ieee_mode 1
		.amdhsa_fp16_overflow 0
		.amdhsa_tg_split 0
		.amdhsa_exception_fp_ieee_invalid_op 0
		.amdhsa_exception_fp_denorm_src 0
		.amdhsa_exception_fp_ieee_div_zero 0
		.amdhsa_exception_fp_ieee_overflow 0
		.amdhsa_exception_fp_ieee_underflow 0
		.amdhsa_exception_fp_ieee_inexact 0
		.amdhsa_exception_int_div_zero 0
	.end_amdhsa_kernel
	.section	.text._Z38paged_attention_ll4mi_QKV_mfma4_kernelIDF16_hLN4vllm18Fp8KVCacheDataTypeE1EhLi32ELi64ELi256ELb1ELi1EEvPKT_PKT0_S7_ifPKiS9_S9_iPKfiiiPfSC_PS2_PT2_iSB_SB_,"axG",@progbits,_Z38paged_attention_ll4mi_QKV_mfma4_kernelIDF16_hLN4vllm18Fp8KVCacheDataTypeE1EhLi32ELi64ELi256ELb1ELi1EEvPKT_PKT0_S7_ifPKiS9_S9_iPKfiiiPfSC_PS2_PT2_iSB_SB_,comdat
.Lfunc_end848:
	.size	_Z38paged_attention_ll4mi_QKV_mfma4_kernelIDF16_hLN4vllm18Fp8KVCacheDataTypeE1EhLi32ELi64ELi256ELb1ELi1EEvPKT_PKT0_S7_ifPKiS9_S9_iPKfiiiPfSC_PS2_PT2_iSB_SB_, .Lfunc_end848-_Z38paged_attention_ll4mi_QKV_mfma4_kernelIDF16_hLN4vllm18Fp8KVCacheDataTypeE1EhLi32ELi64ELi256ELb1ELi1EEvPKT_PKT0_S7_ifPKiS9_S9_iPKfiiiPfSC_PS2_PT2_iSB_SB_
                                        ; -- End function
	.section	.AMDGPU.csdata,"",@progbits
; Kernel info:
; codeLenInByte = 3776
; NumSgprs: 48
; NumVgprs: 44
; NumAgprs: 4
; TotalNumVgprs: 48
; ScratchSize: 0
; MemoryBound: 0
; FloatMode: 240
; IeeeMode: 1
; LDSByteSize: 2720 bytes/workgroup (compile time only)
; SGPRBlocks: 5
; VGPRBlocks: 5
; NumSGPRsForWavesPerEU: 48
; NumVGPRsForWavesPerEU: 48
; AccumOffset: 44
; Occupancy: 8
; WaveLimiterHint : 1
; COMPUTE_PGM_RSRC2:SCRATCH_EN: 0
; COMPUTE_PGM_RSRC2:USER_SGPR: 2
; COMPUTE_PGM_RSRC2:TRAP_HANDLER: 0
; COMPUTE_PGM_RSRC2:TGID_X_EN: 1
; COMPUTE_PGM_RSRC2:TGID_Y_EN: 1
; COMPUTE_PGM_RSRC2:TGID_Z_EN: 1
; COMPUTE_PGM_RSRC2:TIDIG_COMP_CNT: 0
; COMPUTE_PGM_RSRC3_GFX90A:ACCUM_OFFSET: 10
; COMPUTE_PGM_RSRC3_GFX90A:TG_SPLIT: 0
	.section	.text._Z38paged_attention_ll4mi_QKV_mfma4_kernelIDF16_hLN4vllm18Fp8KVCacheDataTypeE1EhLi32ELi64ELi256ELb1ELi2EEvPKT_PKT0_S7_ifPKiS9_S9_iPKfiiiPfSC_PS2_PT2_iSB_SB_,"axG",@progbits,_Z38paged_attention_ll4mi_QKV_mfma4_kernelIDF16_hLN4vllm18Fp8KVCacheDataTypeE1EhLi32ELi64ELi256ELb1ELi2EEvPKT_PKT0_S7_ifPKiS9_S9_iPKfiiiPfSC_PS2_PT2_iSB_SB_,comdat
	.protected	_Z38paged_attention_ll4mi_QKV_mfma4_kernelIDF16_hLN4vllm18Fp8KVCacheDataTypeE1EhLi32ELi64ELi256ELb1ELi2EEvPKT_PKT0_S7_ifPKiS9_S9_iPKfiiiPfSC_PS2_PT2_iSB_SB_ ; -- Begin function _Z38paged_attention_ll4mi_QKV_mfma4_kernelIDF16_hLN4vllm18Fp8KVCacheDataTypeE1EhLi32ELi64ELi256ELb1ELi2EEvPKT_PKT0_S7_ifPKiS9_S9_iPKfiiiPfSC_PS2_PT2_iSB_SB_
	.globl	_Z38paged_attention_ll4mi_QKV_mfma4_kernelIDF16_hLN4vllm18Fp8KVCacheDataTypeE1EhLi32ELi64ELi256ELb1ELi2EEvPKT_PKT0_S7_ifPKiS9_S9_iPKfiiiPfSC_PS2_PT2_iSB_SB_
	.p2align	8
	.type	_Z38paged_attention_ll4mi_QKV_mfma4_kernelIDF16_hLN4vllm18Fp8KVCacheDataTypeE1EhLi32ELi64ELi256ELb1ELi2EEvPKT_PKT0_S7_ifPKiS9_S9_iPKfiiiPfSC_PS2_PT2_iSB_SB_,@function
_Z38paged_attention_ll4mi_QKV_mfma4_kernelIDF16_hLN4vllm18Fp8KVCacheDataTypeE1EhLi32ELi64ELi256ELb1ELi2EEvPKT_PKT0_S7_ifPKiS9_S9_iPKfiiiPfSC_PS2_PT2_iSB_SB_: ; @_Z38paged_attention_ll4mi_QKV_mfma4_kernelIDF16_hLN4vllm18Fp8KVCacheDataTypeE1EhLi32ELi64ELi256ELb1ELi2EEvPKT_PKT0_S7_ifPKiS9_S9_iPKfiiiPfSC_PS2_PT2_iSB_SB_
; %bb.0:
	s_load_dwordx2 s[16:17], s[0:1], 0x30
	s_mov_b32 s20, s3
	s_mov_b64 s[6:7], 0
	s_waitcnt lgkmcnt(0)
	s_cmp_lg_u64 s[16:17], 0
	s_cselect_b64 s[18:19], -1, 0
	s_and_b64 vcc, exec, s[18:19]
	s_cbranch_vccz .LBB849_10
; %bb.1:
	s_add_i32 s8, s2, 1
	s_mov_b32 s9, 0
	s_lshl_b64 s[10:11], s[8:9], 2
	s_add_u32 s10, s16, s10
	s_mov_b32 s3, s9
	s_addc_u32 s11, s17, s11
	s_lshl_b64 s[8:9], s[2:3], 2
	s_add_u32 s8, s16, s8
	s_addc_u32 s9, s17, s9
	s_load_dword s5, s[10:11], 0x0
	s_load_dword s12, s[8:9], 0x0
	s_waitcnt lgkmcnt(0)
	s_sub_i32 s5, s5, s12
	s_cmp_eq_u32 s5, 1
	s_cselect_b64 s[8:9], -1, 0
	s_andn2_b64 vcc, exec, s[6:7]
	s_cbranch_vccnz .LBB849_3
.LBB849_2:
	s_mov_b32 s3, 0
	s_mov_b64 s[8:9], -1
.LBB849_3:
	s_andn2_b64 vcc, exec, s[8:9]
	s_cbranch_vccnz .LBB849_25
; %bb.4:
	s_load_dword s5, s[0:1], 0x9c
	s_load_dwordx2 s[6:7], s[0:1], 0x28
	s_add_u32 s24, s0, 0x90
	s_addc_u32 s25, s1, 0
	s_lshl_b64 s[28:29], s[2:3], 2
	s_waitcnt lgkmcnt(0)
	s_and_b32 s5, s5, 0xffff
	s_add_u32 s6, s6, s28
	s_addc_u32 s7, s7, s29
	s_load_dword s3, s[6:7], 0x0
	s_mul_i32 s5, s20, s5
	s_waitcnt lgkmcnt(0)
	s_cmp_ge_i32 s5, s3
	s_cbranch_scc1 .LBB849_25
; %bb.5:
	v_and_b32_e32 v2, 0xc0, v0
	v_add_u32_e32 v4, s5, v2
	v_lshrrev_b32_e32 v1, 6, v0
	v_cmp_gt_i32_e64 s[6:7], s3, v4
	v_cmp_le_i32_e32 vcc, s3, v4
                                        ; implicit-def: $sgpr30
                                        ; implicit-def: $sgpr21
	s_and_saveexec_b64 s[8:9], vcc
	s_xor_b64 s[8:9], exec, s[8:9]
	s_cbranch_execz .LBB849_7
; %bb.6:
	v_mul_u32_u24_e32 v2, 20, v1
	v_or_b32_e32 v2, 0xa00, v2
	v_mov_b32_e32 v3, 0xa50
	v_mov_b32_e32 v4, 0xff7fffff
	v_mad_u32_u24 v3, v1, 20, v3
	ds_write2_b32 v2, v4, v4 offset1:1
	v_mov_b32_e32 v2, 0
	ds_write2_b32 v3, v2, v2 offset1:1
	v_mov_b32_e32 v3, 0xa08
	s_mov_b32 s21, 0xff7fffff
	s_mov_b32 s30, 0
	v_mad_u32_u24 v3, v1, 20, v3
	v_mov_b32_e32 v5, 0xa58
	v_mad_u32_u24 v5, v1, 20, v5
	ds_write2_b32 v3, v4, v4 offset1:1
	ds_write2_b32 v5, v2, v2 offset1:1
                                        ; implicit-def: $vgpr4
.LBB849_7:
	s_or_saveexec_b64 s[26:27], s[8:9]
	s_load_dwordx2 s[22:23], s[0:1], 0x68
	s_load_dwordx4 s[12:15], s[0:1], 0x58
	s_load_dword s33, s[24:25], 0x4
	s_load_dwordx4 s[8:11], s[0:1], 0x80
	v_and_b32_e32 v38, 63, v0
	v_and_b32_e32 v39, 3, v0
	s_lshl_b32 s38, s4, 1
	v_mov_b32_e32 v21, s30
	v_mov_b32_e32 v24, s21
	;; [unrolled: 1-line block ×5, first 2 shown]
                                        ; implicit-def: $vgpr14_vgpr15
                                        ; implicit-def: $vgpr10_vgpr11
                                        ; implicit-def: $vgpr6_vgpr7
                                        ; implicit-def: $vgpr2_vgpr3
	s_xor_b64 exec, exec, s[26:27]
	s_cbranch_execz .LBB849_19
; %bb.8:
	s_load_dwordx2 s[30:31], s[0:1], 0x20
	s_load_dword s21, s[0:1], 0x38
	s_add_i32 s34, s3, 31
	s_ashr_i32 s35, s34, 31
	s_lshr_b32 s35, s35, 27
	v_add_u32_e32 v40, s5, v0
	s_add_i32 s34, s34, s35
	v_ashrrev_i32_e32 v2, 31, v40
	s_ashr_i32 s34, s34, 5
	v_lshrrev_b32_e32 v2, 27, v2
	s_add_i32 s36, s34, -1
	s_waitcnt lgkmcnt(0)
	s_mul_i32 s34, s2, s21
	s_mov_b32 s35, 0
	v_add_u32_e32 v2, v40, v2
	s_lshl_b64 s[34:35], s[34:35], 2
	v_ashrrev_i32_e32 v2, 5, v2
	v_mov_b32_e32 v3, s36
	v_cmp_gt_i32_e32 vcc, s3, v40
	s_add_u32 s30, s30, s34
	s_addc_u32 s31, s31, s35
	v_cndmask_b32_e32 v2, v3, v2, vcc
	v_ashrrev_i32_e32 v3, 31, v2
	v_lshl_add_u64 v[6:7], v[2:3], 2, s[30:31]
	v_ashrrev_i32_e32 v2, 31, v4
	v_lshrrev_b32_e32 v2, 27, v2
	v_add_u32_e32 v2, v4, v2
	v_ashrrev_i32_e32 v4, 5, v2
	v_min_i32_e32 v2, s36, v4
	v_ashrrev_i32_e32 v3, 31, v2
	v_lshl_add_u64 v[8:9], v[2:3], 2, s[30:31]
	v_add_u32_e32 v2, 1, v4
	v_min_i32_e32 v2, s36, v2
	v_ashrrev_i32_e32 v3, 31, v2
	v_lshl_add_u64 v[10:11], v[2:3], 2, s[30:31]
	global_load_dword v2, v[6:7], off
	global_load_dword v5, v[8:9], off
	;; [unrolled: 1-line block ×3, first 2 shown]
	s_load_dwordx2 s[30:31], s[0:1], 0x8
	s_andn2_b64 vcc, exec, s[18:19]
	s_cbranch_vccnz .LBB849_11
; %bb.9:
	s_add_u32 s16, s16, s28
	s_addc_u32 s17, s17, s29
	s_load_dword s5, s[16:17], 0x0
	s_branch .LBB849_12
.LBB849_10:
	s_mov_b64 s[8:9], 0
	s_branch .LBB849_2
.LBB849_11:
	s_mov_b32 s5, s2
.LBB849_12:
	s_load_dwordx2 s[28:29], s[0:1], 0x10
	s_load_dwordx4 s[16:19], s[0:1], 0x48
	v_cmp_gt_u32_e32 vcc, 2, v39
	s_mov_b32 s37, 0
	v_mov_b32_e32 v3, 0
	v_mov_b32_e32 v18, 0
	;; [unrolled: 1-line block ×5, first 2 shown]
	s_and_saveexec_b64 s[34:35], vcc
	s_cbranch_execz .LBB849_14
; %bb.13:
	s_load_dwordx2 s[40:41], s[0:1], 0x0
	s_waitcnt lgkmcnt(0)
	s_ashr_i32 s19, s16, 31
	s_mul_hi_u32 s21, s5, s16
	s_mul_i32 s19, s5, s19
	s_add_i32 s43, s21, s19
	s_mul_i32 s42, s5, s16
	s_lshl_b64 s[42:43], s[42:43], 1
	s_add_u32 s5, s40, s42
	s_addc_u32 s16, s41, s43
	s_lshl_b32 s36, s4, 7
	s_lshl_b64 s[36:37], s[36:37], 1
	s_add_u32 s36, s5, s36
	v_lshlrev_b32_e32 v6, 3, v39
	v_lshrrev_b32_e32 v7, 2, v38
	s_addc_u32 s37, s16, s37
	v_add_lshl_u32 v6, v6, v7, 4
	global_load_dwordx4 v[18:21], v6, s[36:37]
.LBB849_14:
	s_or_b64 exec, exec, s[34:35]
	s_waitcnt lgkmcnt(0)
	s_mul_i32 s16, s4, s18
	s_add_u32 s4, s16, s30
	s_addc_u32 s5, 0, s31
	v_mov_b64_e32 v[6:7], s[4:5]
	s_waitcnt vmcnt(2)
	v_mad_i64_i32 v[6:7], s[4:5], v2, s17, v[6:7]
	v_lshlrev_b32_e32 v2, 4, v0
	v_and_b32_e32 v2, 0x1f0, v2
	v_lshl_add_u64 v[6:7], v[6:7], 0, v[2:3]
	global_load_dwordx4 v[34:37], v[6:7], off
	global_load_dwordx4 v[30:33], v[6:7], off offset:512
	global_load_dwordx4 v[26:29], v[6:7], off offset:1024
	global_load_dwordx4 v[22:25], v[6:7], off offset:1536
	v_mov_b32_e32 v41, 0
	s_and_saveexec_b64 s[4:5], vcc
	s_cbranch_execz .LBB849_16
; %bb.15:
	s_load_dwordx2 s[18:19], s[0:1], 0x40
	v_or_b32_e32 v6, s38, v39
	v_mov_b32_e32 v7, 0
	s_waitcnt lgkmcnt(0)
	v_lshl_add_u64 v[6:7], v[6:7], 2, s[18:19]
	global_load_dword v41, v[6:7], off
.LBB849_16:
	s_or_b64 exec, exec, s[4:5]
	s_waitcnt vmcnt(5)
	v_mul_hi_i32 v6, v5, s17
	s_load_dword s4, s[0:1], 0x1c
	s_add_u32 s0, s28, s16
	v_ashrrev_i32_e32 v6, 31, v6
	s_addc_u32 s1, s29, 0
	v_lshlrev_b32_e32 v2, 5, v38
	v_lshrrev_b32_e32 v6, 29, v6
	v_mov_b32_e32 v7, 0
	v_lshl_add_u64 v[2:3], s[0:1], 0, v[2:3]
	v_mad_i64_i32 v[8:9], s[0:1], v5, s17, v[6:7]
	s_waitcnt vmcnt(4)
	v_mul_hi_i32 v5, v4, s17
	v_ashrrev_i32_e32 v5, 31, v5
	v_lshrrev_b32_e32 v6, 29, v5
	v_mad_i64_i32 v[4:5], s[0:1], v4, s17, v[6:7]
	v_and_b32_e32 v8, -8, v8
	v_and_b32_e32 v4, -8, v4
	s_waitcnt vmcnt(3)
	v_cvt_pk_f32_fp8_e32 v[44:45], v34
	v_lshl_add_u64 v[8:9], v[2:3], 0, v[8:9]
	v_lshl_add_u64 v[42:43], v[2:3], 0, v[4:5]
	global_load_dwordx4 v[10:13], v[8:9], off offset:16
	global_load_dwordx4 v[14:17], v[8:9], off
	global_load_dwordx4 v[2:5], v[42:43], off offset:16
	s_nop 0
	global_load_dwordx4 v[6:9], v[42:43], off
	v_cvt_pk_f32_fp8_sdwa v[42:43], v34 src0_sel:WORD_1
	v_cvt_pk_f32_fp8_e32 v[46:47], v35
	v_cvt_pkrtz_f16_f32 v34, v44, v45
	v_cvt_pk_f32_fp8_sdwa v[44:45], v35 src0_sel:WORD_1
	v_cvt_pkrtz_f16_f32 v35, v42, v43
	v_cvt_pkrtz_f16_f32 v42, v46, v47
	s_load_dword s0, s[8:9], 0x0
	v_mfma_f32_4x4x4_16b_f16 a[0:3], v[18:19], v[34:35], 0 cbsz:4
	v_cvt_pkrtz_f16_f32 v43, v44, v45
	v_cvt_pk_f32_fp8_e32 v[34:35], v36
	v_cvt_pk_f32_fp8_e32 v[44:45], v37
	v_mfma_f32_4x4x4_16b_f16 a[0:3], v[20:21], v[42:43], a[0:3] cbsz:4
	v_cvt_pk_f32_fp8_sdwa v[42:43], v36 src0_sel:WORD_1
	v_cvt_pk_f32_fp8_sdwa v[36:37], v37 src0_sel:WORD_1
	v_cvt_pkrtz_f16_f32 v34, v34, v35
	v_cmp_eq_u32_e32 vcc, 0, v39
	v_cvt_pkrtz_f16_f32 v35, v42, v43
	v_cvt_pkrtz_f16_f32 v43, v36, v37
	s_waitcnt vmcnt(6)
	v_cvt_pk_f32_fp8_sdwa v[36:37], v30 src0_sel:WORD_1
	v_mfma_f32_4x4x4_16b_f16 a[0:3], v[18:19], v[34:35], a[0:3] cbsz:4 abid:1
	v_cvt_pk_f32_fp8_e32 v[34:35], v30
	v_cvt_pkrtz_f16_f32 v42, v44, v45
	v_cvt_pkrtz_f16_f32 v30, v34, v35
	v_cvt_pk_f32_fp8_sdwa v[34:35], v31 src0_sel:WORD_1
	v_mfma_f32_4x4x4_16b_f16 a[0:3], v[20:21], v[42:43], a[0:3] cbsz:4 abid:1
	v_cvt_pk_f32_fp8_e32 v[42:43], v31
	v_cvt_pkrtz_f16_f32 v31, v36, v37
	v_cvt_pkrtz_f16_f32 v37, v34, v35
	;; [unrolled: 5-line block ×3, first 2 shown]
	s_nop 0
	v_mfma_f32_4x4x4_16b_f16 a[0:3], v[20:21], v[36:37], a[0:3] cbsz:4 abid:2
	v_cvt_pk_f32_fp8_e32 v[36:37], v33
	v_cvt_pk_f32_fp8_sdwa v[32:33], v33 src0_sel:WORD_1
	v_cvt_pkrtz_f16_f32 v31, v34, v35
	v_cvt_pkrtz_f16_f32 v34, v36, v37
	s_nop 0
	v_mfma_f32_4x4x4_16b_f16 a[0:3], v[18:19], v[30:31], a[0:3] cbsz:4 abid:3
	s_waitcnt vmcnt(5)
	v_cvt_pk_f32_fp8_e32 v[30:31], v26
	v_cvt_pkrtz_f16_f32 v35, v32, v33
	v_cvt_pk_f32_fp8_sdwa v[32:33], v26 src0_sel:WORD_1
	v_cvt_pkrtz_f16_f32 v26, v30, v31
	v_cvt_pk_f32_fp8_sdwa v[30:31], v27 src0_sel:WORD_1
	v_mfma_f32_4x4x4_16b_f16 a[0:3], v[20:21], v[34:35], a[0:3] cbsz:4 abid:3
	v_cvt_pk_f32_fp8_e32 v[34:35], v27
	v_cvt_pkrtz_f16_f32 v27, v32, v33
	v_cvt_pkrtz_f16_f32 v33, v30, v31
	v_cvt_pk_f32_fp8_sdwa v[30:31], v28 src0_sel:WORD_1
	v_mfma_f32_4x4x4_16b_f16 a[0:3], v[18:19], v[26:27], a[0:3] cbsz:4 abid:4
	v_cvt_pk_f32_fp8_e32 v[26:27], v28
	v_cvt_pkrtz_f16_f32 v32, v34, v35
	v_cvt_pkrtz_f16_f32 v26, v26, v27
	s_nop 0
	v_mfma_f32_4x4x4_16b_f16 a[0:3], v[20:21], v[32:33], a[0:3] cbsz:4 abid:4
	v_cvt_pk_f32_fp8_e32 v[32:33], v29
	v_cvt_pk_f32_fp8_sdwa v[28:29], v29 src0_sel:WORD_1
	v_cvt_pkrtz_f16_f32 v27, v30, v31
	v_cvt_pkrtz_f16_f32 v30, v32, v33
	s_nop 0
	v_mfma_f32_4x4x4_16b_f16 a[0:3], v[18:19], v[26:27], a[0:3] cbsz:4 abid:5
	s_waitcnt vmcnt(4)
	v_cvt_pk_f32_fp8_e32 v[26:27], v22
	v_cvt_pkrtz_f16_f32 v31, v28, v29
	v_cvt_pk_f32_fp8_sdwa v[28:29], v22 src0_sel:WORD_1
	v_cvt_pkrtz_f16_f32 v22, v26, v27
	v_cvt_pk_f32_fp8_sdwa v[26:27], v23 src0_sel:WORD_1
	v_mfma_f32_4x4x4_16b_f16 a[0:3], v[20:21], v[30:31], a[0:3] cbsz:4 abid:5
	v_cvt_pk_f32_fp8_e32 v[30:31], v23
	v_cvt_pkrtz_f16_f32 v23, v28, v29
	v_cvt_pkrtz_f16_f32 v29, v26, v27
	v_cvt_pk_f32_fp8_sdwa v[26:27], v24 src0_sel:WORD_1
	v_mfma_f32_4x4x4_16b_f16 a[0:3], v[18:19], v[22:23], a[0:3] cbsz:4 abid:6
	v_cvt_pk_f32_fp8_e32 v[22:23], v24
	v_cvt_pkrtz_f16_f32 v28, v30, v31
	v_cvt_pkrtz_f16_f32 v22, v22, v23
	s_nop 0
	v_mfma_f32_4x4x4_16b_f16 a[0:3], v[20:21], v[28:29], a[0:3] cbsz:4 abid:6
	v_cvt_pk_f32_fp8_e32 v[28:29], v25
	v_cvt_pk_f32_fp8_sdwa v[24:25], v25 src0_sel:WORD_1
	v_cvt_pkrtz_f16_f32 v23, v26, v27
	v_cvt_pkrtz_f16_f32 v26, v28, v29
	s_nop 0
	v_mfma_f32_4x4x4_16b_f16 a[0:3], v[18:19], v[22:23], a[0:3] cbsz:4 abid:7
	v_cvt_pkrtz_f16_f32 v27, v24, v25
	s_waitcnt lgkmcnt(0)
	v_mov_b32_e32 v18, s4
	v_mov_b32_e32 v25, 0xff7fffff
	v_mfma_f32_4x4x4_16b_f16 a[0:3], v[20:21], v[26:27], a[0:3] cbsz:4 abid:7
	v_mul_f32_e32 v20, s0, v18
	s_nop 3
	v_accvgpr_read_b32 v23, a1
	v_accvgpr_read_b32 v22, a0
	v_pk_mul_f32 v[22:23], v[22:23], v[20:21] op_sel_hi:[1,0]
	v_accvgpr_read_b32 v19, a3
	v_accvgpr_read_b32 v18, a2
	v_pk_mul_f32 v[18:19], v[18:19], v[20:21] op_sel_hi:[1,0]
	v_cndmask_b32_e64 v20, 0, 1.0, vcc
	v_cmp_eq_u32_e32 vcc, 1, v39
	s_nop 0
	v_mfma_f32_4x4x1_16b_f32 a[0:3], v22, v20, 0
	v_cndmask_b32_e64 v20, 0, 1.0, vcc
	v_cmp_eq_u32_e32 vcc, 2, v39
	s_nop 0
	v_mfma_f32_4x4x1_16b_f32 a[0:3], v23, v20, a[0:3]
	v_cndmask_b32_e64 v20, 0, 1.0, vcc
	v_cmp_eq_u32_e32 vcc, 3, v39
	s_nop 0
	v_mfma_f32_4x4x1_16b_f32 a[0:3], v18, v20, a[0:3]
	v_cndmask_b32_e64 v18, 0, 1.0, vcc
	s_nop 1
	v_mfma_f32_4x4x1_16b_f32 a[0:3], v19, v18, a[0:3]
	v_and_b32_e32 v18, -4, v40
	v_subrev_u32_e32 v19, s3, v18
	v_add_u32_e32 v20, 1, v19
	v_cvt_f32_i32_e32 v20, v20
	v_add_u32_e32 v21, 2, v19
	v_cvt_f32_i32_e32 v21, v21
	v_accvgpr_read_b32 v22, a0
	v_fma_f32 v20, v41, v20, v22
	v_accvgpr_read_b32 v22, a1
	v_fma_f32 v21, v41, v21, v22
	v_add_u32_e32 v22, 3, v19
	v_cvt_f32_i32_e32 v22, v22
	v_add_u32_e32 v19, 4, v19
	v_max_f32_e32 v24, 0xff7fffff, v20
	v_cmp_gt_i32_e32 vcc, s3, v18
	v_cvt_f32_i32_e32 v19, v19
	v_accvgpr_read_b32 v23, a2
	v_cndmask_b32_e32 v24, v25, v24, vcc
	v_or_b32_e32 v25, 1, v18
	v_max_f32_e32 v26, v24, v21
	v_cmp_gt_i32_e64 s[0:1], s3, v25
	v_fma_f32 v22, v41, v22, v23
	v_or_b32_e32 v18, 2, v18
	v_cndmask_b32_e64 v24, v24, v26, s[0:1]
	v_accvgpr_read_b32 v23, a3
	v_max_f32_e32 v25, v24, v22
	v_cmp_gt_i32_e64 s[4:5], s3, v18
	v_fmac_f32_e32 v23, v41, v19
	v_lshlrev_b32_e32 v19, 2, v0
	v_cndmask_b32_e64 v18, v24, v25, s[4:5]
	v_or_b32_e32 v24, 3, v40
	v_max_f32_e32 v25, v18, v23
	v_cmp_gt_i32_e64 s[8:9], s3, v24
	v_and_or_b32 v19, v19, 48, v39
	s_nop 0
	v_cndmask_b32_e64 v18, v18, v25, s[8:9]
	;;#ASMSTART
	v_nop
 v_nop
 v_max_f32_dpp v18, v18, v18 row_ror:4
	;;#ASMEND
	v_lshlrev_b32_e32 v25, 2, v19
	;;#ASMSTART
	v_nop
 v_nop
 v_max_f32_dpp v18, v18, v18 row_ror:8
	;;#ASMEND
	ds_bpermute_b32 v18, v25, v18
	s_waitcnt lgkmcnt(0)
	;;#ASMSTART
	v_nop
 v_nop
 v_max_f32_dpp v18, v18, v18 row_ror:4
	;;#ASMEND
	s_nop 0
	;;#ASMSTART
	v_nop
 v_nop
 v_max_f32_dpp v24, v18, v18 row_ror:8
	;;#ASMEND
	s_nop 0
	v_sub_f32_e32 v18, v20, v24
	v_mul_f32_e32 v18, 0x3fb8aa3b, v18
	v_sub_f32_e32 v19, v21, v24
	v_exp_f32_e32 v18, v18
	v_mul_f32_e32 v19, 0x3fb8aa3b, v19
	v_sub_f32_e32 v21, v22, v24
	v_exp_f32_e32 v19, v19
	;; [unrolled: 3-line block ×3, first 2 shown]
	v_mul_f32_e32 v22, 0x3fb8aa3b, v22
	v_exp_f32_e32 v22, v22
	v_cndmask_b32_e32 v18, 0, v18, vcc
	v_add_f32_e32 v20, 0, v18
	v_cndmask_b32_e64 v19, 0, v19, s[0:1]
	v_add_f32_e32 v23, v20, v19
	v_cndmask_b32_e64 v20, 0, v21, s[4:5]
	;; [unrolled: 2-line block ×3, first 2 shown]
	v_add_f32_e32 v22, v23, v21
	;;#ASMSTART
	v_nop
 v_nop
 v_add_f32_dpp v22, v22, v22 row_ror:4
	;;#ASMEND
	v_cmp_gt_u32_e32 vcc, 4, v38
	;;#ASMSTART
	v_nop
 v_nop
 v_add_f32_dpp v22, v22, v22 row_ror:8
	;;#ASMEND
	ds_bpermute_b32 v22, v25, v22
	s_waitcnt lgkmcnt(0)
	;;#ASMSTART
	v_nop
 v_nop
 v_add_f32_dpp v22, v22, v22 row_ror:4
	;;#ASMEND
	s_nop 0
	;;#ASMSTART
	v_nop
 v_nop
 v_add_f32_dpp v22, v22, v22 row_ror:8
	;;#ASMEND
	s_and_saveexec_b64 s[0:1], vcc
	s_cbranch_execz .LBB849_18
; %bb.17:
	v_mul_u32_u24_e32 v23, 20, v1
	v_lshl_add_u32 v23, v39, 2, v23
	v_add_u32_e32 v23, 0x800, v23
	ds_write2_b32 v23, v24, v22 offset0:128 offset1:148
.LBB849_18:
	s_or_b64 exec, exec, s[0:1]
.LBB849_19:
	s_or_b64 exec, exec, s[26:27]
	s_waitcnt lgkmcnt(0)
	s_barrier
	s_load_dword s0, s[24:25], 0x8
	v_lshlrev_b32_e32 v22, 2, v39
	v_add_u32_e32 v30, 0x800, v22
	ds_read2_b32 v[22:23], v30 offset0:128 offset1:133
	ds_read2_b32 v[26:27], v30 offset0:138 offset1:143
	s_mul_i32 s1, s2, s33
	s_waitcnt lgkmcnt(0)
	s_mul_i32 s1, s1, s0
	s_lshl_b32 s0, s1, 1
	s_mov_b32 s1, 0xff7fffff
	v_max3_f32 v25, v22, s1, v23
	v_max3_f32 v25, v25, v26, v27
	v_sub_f32_e32 v22, v22, v25
	v_mul_f32_e32 v22, 0x3fb8aa3b, v22
	ds_read2_b32 v[28:29], v30 offset0:148 offset1:153
	v_exp_f32_e32 v31, v22
	v_sub_f32_e32 v22, v23, v25
	v_sub_f32_e32 v26, v26, v25
	v_mul_f32_e32 v22, 0x3fb8aa3b, v22
	v_mul_f32_e32 v26, 0x3fb8aa3b, v26
	v_exp_f32_e32 v32, v22
	ds_read2_b32 v[22:23], v30 offset0:158 offset1:163
	v_exp_f32_e32 v30, v26
	v_sub_f32_e32 v26, v27, v25
	v_mul_f32_e32 v26, 0x3fb8aa3b, v26
	v_exp_f32_e32 v27, v26
	s_waitcnt lgkmcnt(1)
	v_fma_f32 v26, v31, v28, 0
	v_fmac_f32_e32 v26, v32, v29
	s_waitcnt lgkmcnt(0)
	v_fmac_f32_e32 v26, v30, v22
	v_fmac_f32_e32 v26, v27, v23
	v_cmp_gt_u32_e32 vcc, 2, v39
	s_and_saveexec_b64 s[2:3], vcc
	s_cbranch_execz .LBB849_21
; %bb.20:
	s_mov_b32 s1, 0
	s_lshl_b64 s[4:5], s[0:1], 2
	s_add_u32 s12, s12, s4
	s_mov_b32 s21, s1
	s_addc_u32 s13, s13, s5
	s_lshl_b64 s[8:9], s[20:21], 2
	s_add_u32 s12, s12, s8
	s_addc_u32 s13, s13, s9
	s_add_u32 s1, s14, s4
	s_addc_u32 s5, s15, s5
	v_or_b32_e32 v22, s38, v39
	s_add_u32 s4, s1, s8
	v_mul_lo_u32 v22, s33, v22
	v_mov_b32_e32 v23, 0
	s_addc_u32 s5, s5, s9
	v_lshlrev_b64 v[22:23], 2, v[22:23]
	v_lshl_add_u64 v[28:29], s[12:13], 0, v[22:23]
	v_lshl_add_u64 v[22:23], s[4:5], 0, v[22:23]
	global_store_dword v[22:23], v25, off
	global_store_dword v[28:29], v26, off
.LBB849_21:
	s_or_b64 exec, exec, s[2:3]
	v_mov_b32_e32 v22, 0
	v_mov_b32_e32 v23, 0
	s_and_saveexec_b64 s[2:3], s[6:7]
	s_cbranch_execz .LBB849_23
; %bb.22:
	v_add_f32_e32 v22, 0x358637bd, v26
	v_div_scale_f32 v23, s[4:5], v22, v22, 1.0
	v_rcp_f32_e32 v26, v23
	v_div_scale_f32 v27, vcc, 1.0, v22, 1.0
	v_sub_f32_e32 v24, v24, v25
	v_fma_f32 v28, -v23, v26, 1.0
	v_fmac_f32_e32 v26, v28, v26
	v_mul_f32_e32 v28, v27, v26
	v_fma_f32 v29, -v23, v28, v27
	v_mul_f32_e32 v24, 0x3fb8aa3b, v24
	v_fmac_f32_e32 v28, v29, v26
	v_exp_f32_e32 v24, v24
	v_fma_f32 v23, -v23, v28, v27
	v_div_fmas_f32 v23, v23, v26, v28
	v_div_fixup_f32 v22, v23, v22, 1.0
	v_mul_f32_e32 v22, v24, v22
	v_pk_mul_f32 v[20:21], v[20:21], v[22:23] op_sel_hi:[1,0]
	v_pk_mul_f32 v[18:19], v[18:19], v[22:23] op_sel_hi:[1,0]
	v_cvt_f16_f32_e32 v22, v20
	v_cvt_f16_f32_e32 v18, v18
	;; [unrolled: 1-line block ×4, first 2 shown]
	s_waitcnt vmcnt(2)
	v_cvt_pk_f32_fp8_e32 v[20:21], v14
	v_cvt_pk_f32_fp8_e32 v[24:25], v15
	v_pack_b32_f16 v18, v18, v19
	v_pack_b32_f16 v19, v22, v23
	v_cvt_pk_f32_fp8_sdwa v[22:23], v14 src0_sel:WORD_1
	v_cvt_pkrtz_f16_f32 v14, v20, v21
	v_cvt_pk_f32_fp8_sdwa v[20:21], v15 src0_sel:WORD_1
	s_load_dword s4, s[10:11], 0x0
	v_cvt_pkrtz_f16_f32 v15, v22, v23
	v_cvt_pkrtz_f16_f32 v22, v24, v25
	;; [unrolled: 1-line block ×3, first 2 shown]
	v_mfma_f32_4x4x4_16b_f16 a[0:3], v[18:19], v[14:15], 0 cbsz:4
	v_cvt_pk_f32_fp8_e32 v[14:15], v16
	v_cvt_pk_f32_fp8_sdwa v[20:21], v16 src0_sel:WORD_1
	v_mfma_f32_4x4x4_16b_f16 a[0:3], v[18:19], v[22:23], a[0:3] cbsz:4 abid:1
	v_cvt_pk_f32_fp8_e32 v[22:23], v17
	v_cvt_pk_f32_fp8_sdwa v[16:17], v17 src0_sel:WORD_1
	v_cvt_pkrtz_f16_f32 v14, v14, v15
	v_cvt_pkrtz_f16_f32 v15, v20, v21
	;; [unrolled: 1-line block ×4, first 2 shown]
	v_mfma_f32_4x4x4_16b_f16 a[0:3], v[18:19], v[14:15], a[0:3] cbsz:4 abid:2
	v_cvt_pk_f32_fp8_e32 v[14:15], v10
	v_cvt_pk_f32_fp8_sdwa v[16:17], v10 src0_sel:WORD_1
	v_mfma_f32_4x4x4_16b_f16 a[0:3], v[18:19], v[20:21], a[0:3] cbsz:4 abid:3
	v_cvt_pk_f32_fp8_e32 v[20:21], v11
	v_cvt_pkrtz_f16_f32 v10, v14, v15
	v_cvt_pk_f32_fp8_sdwa v[14:15], v11 src0_sel:WORD_1
	v_cvt_pkrtz_f16_f32 v11, v16, v17
	v_cvt_pkrtz_f16_f32 v16, v20, v21
	s_mov_b32 s1, 0x5040100
	v_mfma_f32_4x4x4_16b_f16 a[0:3], v[18:19], v[10:11], a[0:3] cbsz:4 abid:4
	v_cvt_pkrtz_f16_f32 v17, v14, v15
	v_cvt_pk_f32_fp8_e32 v[10:11], v12
	v_cvt_pk_f32_fp8_sdwa v[14:15], v12 src0_sel:WORD_1
	v_mfma_f32_4x4x4_16b_f16 a[0:3], v[18:19], v[16:17], a[0:3] cbsz:4 abid:5
	v_cvt_pk_f32_fp8_e32 v[16:17], v13
	v_cvt_pk_f32_fp8_sdwa v[12:13], v13 src0_sel:WORD_1
	v_cvt_pkrtz_f16_f32 v10, v10, v11
	v_cvt_pkrtz_f16_f32 v11, v14, v15
	;; [unrolled: 1-line block ×4, first 2 shown]
	v_mfma_f32_4x4x4_16b_f16 a[0:3], v[18:19], v[10:11], a[0:3] cbsz:4 abid:6
	s_waitcnt vmcnt(0)
	v_cvt_pk_f32_fp8_e32 v[10:11], v6
	v_cvt_pk_f32_fp8_sdwa v[12:13], v6 src0_sel:WORD_1
	v_mfma_f32_4x4x4_16b_f16 a[0:3], v[18:19], v[14:15], a[0:3] cbsz:4 abid:7
	v_cvt_pk_f32_fp8_e32 v[14:15], v7
	v_cvt_pkrtz_f16_f32 v6, v10, v11
	v_cvt_pk_f32_fp8_sdwa v[10:11], v7 src0_sel:WORD_1
	v_cvt_pkrtz_f16_f32 v7, v12, v13
	v_cvt_pkrtz_f16_f32 v12, v14, v15
	;; [unrolled: 1-line block ×3, first 2 shown]
	v_mfma_f32_4x4x4_16b_f16 a[0:3], v[18:19], v[6:7], a[0:3] cbsz:4 abid:8
	v_cvt_pk_f32_fp8_e32 v[6:7], v8
	v_cvt_pk_f32_fp8_sdwa v[10:11], v8 src0_sel:WORD_1
	v_mfma_f32_4x4x4_16b_f16 a[0:3], v[18:19], v[12:13], a[0:3] cbsz:4 abid:9
	v_cvt_pk_f32_fp8_e32 v[12:13], v9
	v_cvt_pk_f32_fp8_sdwa v[8:9], v9 src0_sel:WORD_1
	v_cvt_pkrtz_f16_f32 v6, v6, v7
	v_cvt_pkrtz_f16_f32 v7, v10, v11
	;; [unrolled: 1-line block ×4, first 2 shown]
	v_mfma_f32_4x4x4_16b_f16 a[0:3], v[18:19], v[6:7], a[0:3] cbsz:4 abid:10
	v_cvt_pk_f32_fp8_e32 v[6:7], v2
	v_cvt_pk_f32_fp8_sdwa v[8:9], v2 src0_sel:WORD_1
	v_mfma_f32_4x4x4_16b_f16 a[0:3], v[18:19], v[10:11], a[0:3] cbsz:4 abid:11
	v_cvt_pk_f32_fp8_e32 v[10:11], v3
	v_cvt_pkrtz_f16_f32 v2, v6, v7
	v_cvt_pk_f32_fp8_sdwa v[6:7], v3 src0_sel:WORD_1
	v_cvt_pkrtz_f16_f32 v3, v8, v9
	v_cvt_pkrtz_f16_f32 v8, v10, v11
	v_cvt_pkrtz_f16_f32 v9, v6, v7
	v_mfma_f32_4x4x4_16b_f16 a[0:3], v[18:19], v[2:3], a[0:3] cbsz:4 abid:12
	v_cvt_pk_f32_fp8_e32 v[2:3], v4
	v_cvt_pk_f32_fp8_sdwa v[6:7], v4 src0_sel:WORD_1
	v_mfma_f32_4x4x4_16b_f16 a[0:3], v[18:19], v[8:9], a[0:3] cbsz:4 abid:13
	v_cvt_pk_f32_fp8_e32 v[8:9], v5
	v_cvt_pk_f32_fp8_sdwa v[4:5], v5 src0_sel:WORD_1
	v_cvt_pkrtz_f16_f32 v2, v2, v3
	v_cvt_pkrtz_f16_f32 v3, v6, v7
	;; [unrolled: 1-line block ×4, first 2 shown]
	v_mfma_f32_4x4x4_16b_f16 a[0:3], v[18:19], v[2:3], a[0:3] cbsz:4 abid:14
	s_nop 1
	v_mfma_f32_4x4x4_16b_f16 a[0:3], v[18:19], v[6:7], a[0:3] cbsz:4 abid:15
	s_nop 4
	v_accvgpr_read_b32 v5, a1
	v_accvgpr_read_b32 v3, a3
	;; [unrolled: 1-line block ×4, first 2 shown]
	s_waitcnt lgkmcnt(0)
	v_pk_mul_f32 v[2:3], v[2:3], s[4:5] op_sel_hi:[1,0]
	v_pk_mul_f32 v[4:5], v[4:5], s[4:5] op_sel_hi:[1,0]
	v_cvt_f16_f32_e32 v2, v2
	v_cvt_f16_f32_e32 v4, v4
	;; [unrolled: 1-line block ×4, first 2 shown]
	v_perm_b32 v22, v5, v4, s1
	v_perm_b32 v23, v3, v2, s1
.LBB849_23:
	s_or_b64 exec, exec, s[2:3]
	v_lshlrev_b32_e32 v1, 3, v1
	v_mad_u32_u24 v1, v38, 40, v1
	v_cmp_gt_u32_e32 vcc, 64, v0
	ds_write_b64 v1, v[22:23]
	s_waitcnt lgkmcnt(0)
	s_barrier
	s_and_saveexec_b64 s[2:3], vcc
	s_cbranch_execz .LBB849_25
; %bb.24:
	s_mov_b32 s1, 0
	s_lshl_b32 s0, s0, 6
	v_mul_u32_u24_e32 v1, 40, v38
	s_lshl_b64 s[2:3], s[0:1], 1
	s_waitcnt vmcnt(1)
	ds_read2_b64 v[2:5], v1 offset1:1
	s_waitcnt vmcnt(0)
	ds_read2_b64 v[6:9], v1 offset0:2 offset1:3
	s_add_u32 s2, s22, s2
	s_addc_u32 s3, s23, s3
	s_lshl_b32 s0, s20, 6
	s_lshl_b64 s[0:1], s[0:1], 1
	s_add_u32 s0, s2, s0
	s_addc_u32 s1, s3, s1
	s_lshl_b32 s2, s33, 6
	s_waitcnt lgkmcnt(1)
	v_pk_add_f16 v1, v2, 0
	s_mul_i32 s3, s2, s38
	v_pk_add_f16 v1, v1, v4
	v_or_b32_e32 v2, s3, v0
	v_mov_b32_e32 v3, 0
	s_add_i32 s3, s3, s2
	s_waitcnt lgkmcnt(0)
	v_pk_add_f16 v1, v1, v6
	v_lshl_add_u64 v[4:5], v[2:3], 1, s[0:1]
	v_or_b32_e32 v2, s3, v0
	v_pk_add_f16 v6, v1, v8
	v_lshl_add_u64 v[0:1], v[2:3], 1, s[0:1]
	global_store_short v[4:5], v6, off
	global_store_short_d16_hi v[0:1], v6, off
.LBB849_25:
	s_endpgm
	.section	.rodata,"a",@progbits
	.p2align	6, 0x0
	.amdhsa_kernel _Z38paged_attention_ll4mi_QKV_mfma4_kernelIDF16_hLN4vllm18Fp8KVCacheDataTypeE1EhLi32ELi64ELi256ELb1ELi2EEvPKT_PKT0_S7_ifPKiS9_S9_iPKfiiiPfSC_PS2_PT2_iSB_SB_
		.amdhsa_group_segment_fixed_size 2720
		.amdhsa_private_segment_fixed_size 0
		.amdhsa_kernarg_size 400
		.amdhsa_user_sgpr_count 2
		.amdhsa_user_sgpr_dispatch_ptr 0
		.amdhsa_user_sgpr_queue_ptr 0
		.amdhsa_user_sgpr_kernarg_segment_ptr 1
		.amdhsa_user_sgpr_dispatch_id 0
		.amdhsa_user_sgpr_kernarg_preload_length 0
		.amdhsa_user_sgpr_kernarg_preload_offset 0
		.amdhsa_user_sgpr_private_segment_size 0
		.amdhsa_uses_dynamic_stack 0
		.amdhsa_enable_private_segment 0
		.amdhsa_system_sgpr_workgroup_id_x 1
		.amdhsa_system_sgpr_workgroup_id_y 1
		.amdhsa_system_sgpr_workgroup_id_z 1
		.amdhsa_system_sgpr_workgroup_info 0
		.amdhsa_system_vgpr_workitem_id 0
		.amdhsa_next_free_vgpr 52
		.amdhsa_next_free_sgpr 44
		.amdhsa_accum_offset 48
		.amdhsa_reserve_vcc 1
		.amdhsa_float_round_mode_32 0
		.amdhsa_float_round_mode_16_64 0
		.amdhsa_float_denorm_mode_32 3
		.amdhsa_float_denorm_mode_16_64 3
		.amdhsa_dx10_clamp 1
		.amdhsa_ieee_mode 1
		.amdhsa_fp16_overflow 0
		.amdhsa_tg_split 0
		.amdhsa_exception_fp_ieee_invalid_op 0
		.amdhsa_exception_fp_denorm_src 0
		.amdhsa_exception_fp_ieee_div_zero 0
		.amdhsa_exception_fp_ieee_overflow 0
		.amdhsa_exception_fp_ieee_underflow 0
		.amdhsa_exception_fp_ieee_inexact 0
		.amdhsa_exception_int_div_zero 0
	.end_amdhsa_kernel
	.section	.text._Z38paged_attention_ll4mi_QKV_mfma4_kernelIDF16_hLN4vllm18Fp8KVCacheDataTypeE1EhLi32ELi64ELi256ELb1ELi2EEvPKT_PKT0_S7_ifPKiS9_S9_iPKfiiiPfSC_PS2_PT2_iSB_SB_,"axG",@progbits,_Z38paged_attention_ll4mi_QKV_mfma4_kernelIDF16_hLN4vllm18Fp8KVCacheDataTypeE1EhLi32ELi64ELi256ELb1ELi2EEvPKT_PKT0_S7_ifPKiS9_S9_iPKfiiiPfSC_PS2_PT2_iSB_SB_,comdat
.Lfunc_end849:
	.size	_Z38paged_attention_ll4mi_QKV_mfma4_kernelIDF16_hLN4vllm18Fp8KVCacheDataTypeE1EhLi32ELi64ELi256ELb1ELi2EEvPKT_PKT0_S7_ifPKiS9_S9_iPKfiiiPfSC_PS2_PT2_iSB_SB_, .Lfunc_end849-_Z38paged_attention_ll4mi_QKV_mfma4_kernelIDF16_hLN4vllm18Fp8KVCacheDataTypeE1EhLi32ELi64ELi256ELb1ELi2EEvPKT_PKT0_S7_ifPKiS9_S9_iPKfiiiPfSC_PS2_PT2_iSB_SB_
                                        ; -- End function
	.section	.AMDGPU.csdata,"",@progbits
; Kernel info:
; codeLenInByte = 3852
; NumSgprs: 50
; NumVgprs: 48
; NumAgprs: 4
; TotalNumVgprs: 52
; ScratchSize: 0
; MemoryBound: 0
; FloatMode: 240
; IeeeMode: 1
; LDSByteSize: 2720 bytes/workgroup (compile time only)
; SGPRBlocks: 6
; VGPRBlocks: 6
; NumSGPRsForWavesPerEU: 50
; NumVGPRsForWavesPerEU: 52
; AccumOffset: 48
; Occupancy: 8
; WaveLimiterHint : 1
; COMPUTE_PGM_RSRC2:SCRATCH_EN: 0
; COMPUTE_PGM_RSRC2:USER_SGPR: 2
; COMPUTE_PGM_RSRC2:TRAP_HANDLER: 0
; COMPUTE_PGM_RSRC2:TGID_X_EN: 1
; COMPUTE_PGM_RSRC2:TGID_Y_EN: 1
; COMPUTE_PGM_RSRC2:TGID_Z_EN: 1
; COMPUTE_PGM_RSRC2:TIDIG_COMP_CNT: 0
; COMPUTE_PGM_RSRC3_GFX90A:ACCUM_OFFSET: 11
; COMPUTE_PGM_RSRC3_GFX90A:TG_SPLIT: 0
	.section	.text._Z38paged_attention_ll4mi_QKV_mfma4_kernelIDF16_hLN4vllm18Fp8KVCacheDataTypeE1EhLi32ELi64ELi256ELb1ELi3EEvPKT_PKT0_S7_ifPKiS9_S9_iPKfiiiPfSC_PS2_PT2_iSB_SB_,"axG",@progbits,_Z38paged_attention_ll4mi_QKV_mfma4_kernelIDF16_hLN4vllm18Fp8KVCacheDataTypeE1EhLi32ELi64ELi256ELb1ELi3EEvPKT_PKT0_S7_ifPKiS9_S9_iPKfiiiPfSC_PS2_PT2_iSB_SB_,comdat
	.protected	_Z38paged_attention_ll4mi_QKV_mfma4_kernelIDF16_hLN4vllm18Fp8KVCacheDataTypeE1EhLi32ELi64ELi256ELb1ELi3EEvPKT_PKT0_S7_ifPKiS9_S9_iPKfiiiPfSC_PS2_PT2_iSB_SB_ ; -- Begin function _Z38paged_attention_ll4mi_QKV_mfma4_kernelIDF16_hLN4vllm18Fp8KVCacheDataTypeE1EhLi32ELi64ELi256ELb1ELi3EEvPKT_PKT0_S7_ifPKiS9_S9_iPKfiiiPfSC_PS2_PT2_iSB_SB_
	.globl	_Z38paged_attention_ll4mi_QKV_mfma4_kernelIDF16_hLN4vllm18Fp8KVCacheDataTypeE1EhLi32ELi64ELi256ELb1ELi3EEvPKT_PKT0_S7_ifPKiS9_S9_iPKfiiiPfSC_PS2_PT2_iSB_SB_
	.p2align	8
	.type	_Z38paged_attention_ll4mi_QKV_mfma4_kernelIDF16_hLN4vllm18Fp8KVCacheDataTypeE1EhLi32ELi64ELi256ELb1ELi3EEvPKT_PKT0_S7_ifPKiS9_S9_iPKfiiiPfSC_PS2_PT2_iSB_SB_,@function
_Z38paged_attention_ll4mi_QKV_mfma4_kernelIDF16_hLN4vllm18Fp8KVCacheDataTypeE1EhLi32ELi64ELi256ELb1ELi3EEvPKT_PKT0_S7_ifPKiS9_S9_iPKfiiiPfSC_PS2_PT2_iSB_SB_: ; @_Z38paged_attention_ll4mi_QKV_mfma4_kernelIDF16_hLN4vllm18Fp8KVCacheDataTypeE1EhLi32ELi64ELi256ELb1ELi3EEvPKT_PKT0_S7_ifPKiS9_S9_iPKfiiiPfSC_PS2_PT2_iSB_SB_
; %bb.0:
	s_load_dwordx2 s[16:17], s[0:1], 0x30
	s_mov_b32 s20, s3
	s_mov_b64 s[6:7], 0
	s_waitcnt lgkmcnt(0)
	s_cmp_lg_u64 s[16:17], 0
	s_cselect_b64 s[18:19], -1, 0
	s_and_b64 vcc, exec, s[18:19]
	s_cbranch_vccz .LBB850_10
; %bb.1:
	s_add_i32 s8, s2, 1
	s_mov_b32 s9, 0
	s_lshl_b64 s[10:11], s[8:9], 2
	s_add_u32 s10, s16, s10
	s_mov_b32 s3, s9
	s_addc_u32 s11, s17, s11
	s_lshl_b64 s[8:9], s[2:3], 2
	s_add_u32 s8, s16, s8
	s_addc_u32 s9, s17, s9
	s_load_dword s5, s[10:11], 0x0
	s_load_dword s12, s[8:9], 0x0
	s_waitcnt lgkmcnt(0)
	s_sub_i32 s5, s5, s12
	s_cmp_eq_u32 s5, 1
	s_cselect_b64 s[8:9], -1, 0
	s_andn2_b64 vcc, exec, s[6:7]
	s_cbranch_vccnz .LBB850_3
.LBB850_2:
	s_mov_b32 s3, 0
	s_mov_b64 s[8:9], -1
.LBB850_3:
	s_andn2_b64 vcc, exec, s[8:9]
	s_cbranch_vccnz .LBB850_25
; %bb.4:
	s_load_dword s5, s[0:1], 0x9c
	s_load_dwordx2 s[6:7], s[0:1], 0x28
	s_add_u32 s24, s0, 0x90
	s_addc_u32 s25, s1, 0
	s_lshl_b64 s[28:29], s[2:3], 2
	s_waitcnt lgkmcnt(0)
	s_and_b32 s5, s5, 0xffff
	s_add_u32 s6, s6, s28
	s_addc_u32 s7, s7, s29
	s_load_dword s3, s[6:7], 0x0
	s_mul_i32 s5, s20, s5
	s_waitcnt lgkmcnt(0)
	s_cmp_ge_i32 s5, s3
	s_cbranch_scc1 .LBB850_25
; %bb.5:
	v_and_b32_e32 v2, 0xc0, v0
	v_add_u32_e32 v4, s5, v2
	v_lshrrev_b32_e32 v1, 6, v0
	v_cmp_gt_i32_e64 s[6:7], s3, v4
	v_cmp_le_i32_e32 vcc, s3, v4
                                        ; implicit-def: $sgpr30
                                        ; implicit-def: $sgpr21
	s_and_saveexec_b64 s[8:9], vcc
	s_xor_b64 s[8:9], exec, s[8:9]
	s_cbranch_execz .LBB850_7
; %bb.6:
	v_mul_u32_u24_e32 v2, 20, v1
	v_or_b32_e32 v2, 0xa00, v2
	v_mov_b32_e32 v3, 0xa50
	v_mov_b32_e32 v4, 0xff7fffff
	v_mad_u32_u24 v3, v1, 20, v3
	ds_write2_b32 v2, v4, v4 offset1:1
	v_mov_b32_e32 v2, 0
	ds_write2_b32 v3, v2, v2 offset1:1
	v_mov_b32_e32 v3, 0xa08
	s_mov_b32 s21, 0xff7fffff
	s_mov_b32 s30, 0
	v_mad_u32_u24 v3, v1, 20, v3
	v_mov_b32_e32 v5, 0xa58
	v_mad_u32_u24 v5, v1, 20, v5
	ds_write2_b32 v3, v4, v4 offset1:1
	ds_write2_b32 v5, v2, v2 offset1:1
                                        ; implicit-def: $vgpr4
.LBB850_7:
	s_or_saveexec_b64 s[26:27], s[8:9]
	s_load_dwordx2 s[22:23], s[0:1], 0x68
	s_load_dwordx4 s[12:15], s[0:1], 0x58
	s_load_dword s33, s[24:25], 0x4
	s_load_dwordx4 s[8:11], s[0:1], 0x80
	v_and_b32_e32 v32, 63, v0
	v_and_b32_e32 v33, 3, v0
	s_mul_i32 s38, s4, 3
	v_mov_b32_e32 v21, s30
	v_mov_b32_e32 v24, s21
	v_mov_b32_e32 v20, s30
	v_mov_b32_e32 v19, s30
	v_mov_b32_e32 v18, s30
                                        ; implicit-def: $vgpr6_vgpr7
                                        ; implicit-def: $vgpr2_vgpr3
                                        ; implicit-def: $vgpr14_vgpr15
                                        ; implicit-def: $vgpr10_vgpr11
	s_xor_b64 exec, exec, s[26:27]
	s_cbranch_execz .LBB850_19
; %bb.8:
	s_load_dwordx2 s[30:31], s[0:1], 0x20
	s_load_dword s21, s[0:1], 0x38
	s_add_i32 s34, s3, 31
	s_ashr_i32 s35, s34, 31
	s_lshr_b32 s35, s35, 27
	v_add_u32_e32 v34, s5, v0
	s_add_i32 s34, s34, s35
	v_ashrrev_i32_e32 v2, 31, v34
	s_ashr_i32 s34, s34, 5
	v_lshrrev_b32_e32 v2, 27, v2
	s_add_i32 s36, s34, -1
	s_waitcnt lgkmcnt(0)
	s_mul_i32 s34, s2, s21
	s_mov_b32 s35, 0
	v_add_u32_e32 v2, v34, v2
	s_lshl_b64 s[34:35], s[34:35], 2
	v_ashrrev_i32_e32 v2, 5, v2
	v_mov_b32_e32 v3, s36
	v_cmp_gt_i32_e32 vcc, s3, v34
	s_add_u32 s30, s30, s34
	s_addc_u32 s31, s31, s35
	v_cndmask_b32_e32 v2, v3, v2, vcc
	v_ashrrev_i32_e32 v3, 31, v2
	v_lshl_add_u64 v[6:7], v[2:3], 2, s[30:31]
	v_ashrrev_i32_e32 v2, 31, v4
	v_lshrrev_b32_e32 v2, 27, v2
	v_add_u32_e32 v2, v4, v2
	v_ashrrev_i32_e32 v4, 5, v2
	v_min_i32_e32 v2, s36, v4
	v_ashrrev_i32_e32 v3, 31, v2
	v_lshl_add_u64 v[8:9], v[2:3], 2, s[30:31]
	v_add_u32_e32 v2, 1, v4
	v_min_i32_e32 v2, s36, v2
	v_ashrrev_i32_e32 v3, 31, v2
	v_lshl_add_u64 v[10:11], v[2:3], 2, s[30:31]
	global_load_dword v2, v[6:7], off
	global_load_dword v4, v[8:9], off
	;; [unrolled: 1-line block ×3, first 2 shown]
	s_load_dwordx2 s[30:31], s[0:1], 0x8
	s_andn2_b64 vcc, exec, s[18:19]
	s_cbranch_vccnz .LBB850_11
; %bb.9:
	s_add_u32 s16, s16, s28
	s_addc_u32 s17, s17, s29
	s_load_dword s5, s[16:17], 0x0
	s_branch .LBB850_12
.LBB850_10:
	s_mov_b64 s[8:9], 0
	s_branch .LBB850_2
.LBB850_11:
	s_mov_b32 s5, s2
.LBB850_12:
	s_load_dwordx2 s[28:29], s[0:1], 0x10
	s_load_dwordx4 s[16:19], s[0:1], 0x48
	v_cmp_ne_u32_e32 vcc, 3, v33
	s_mov_b32 s37, 0
	v_mov_b32_e32 v3, 0
	v_mov_b32_e32 v10, 0
	;; [unrolled: 1-line block ×5, first 2 shown]
	s_and_saveexec_b64 s[34:35], vcc
	s_cbranch_execz .LBB850_14
; %bb.13:
	s_load_dwordx2 s[40:41], s[0:1], 0x0
	s_waitcnt lgkmcnt(0)
	s_ashr_i32 s19, s16, 31
	s_mul_hi_u32 s21, s5, s16
	s_mul_i32 s19, s5, s19
	s_add_i32 s43, s21, s19
	s_mul_i32 s42, s5, s16
	s_lshl_b64 s[42:43], s[42:43], 1
	s_add_u32 s5, s40, s42
	s_mul_i32 s36, s4, 0xc0
	s_addc_u32 s16, s41, s43
	s_lshl_b64 s[36:37], s[36:37], 1
	s_add_u32 s36, s5, s36
	v_lshlrev_b32_e32 v5, 3, v33
	v_lshrrev_b32_e32 v6, 2, v32
	s_addc_u32 s37, s16, s37
	v_add_lshl_u32 v5, v5, v6, 4
	global_load_dwordx4 v[10:13], v5, s[36:37]
.LBB850_14:
	s_or_b64 exec, exec, s[34:35]
	s_waitcnt lgkmcnt(0)
	s_mul_i32 s16, s4, s18
	s_add_u32 s4, s16, s30
	s_addc_u32 s5, 0, s31
	v_mov_b64_e32 v[6:7], s[4:5]
	s_waitcnt vmcnt(2)
	v_mad_i64_i32 v[6:7], s[4:5], v2, s17, v[6:7]
	v_lshlrev_b32_e32 v2, 4, v0
	v_and_b32_e32 v2, 0x1f0, v2
	v_lshl_add_u64 v[6:7], v[6:7], 0, v[2:3]
	global_load_dwordx4 v[26:29], v[6:7], off
	global_load_dwordx4 v[22:25], v[6:7], off offset:512
	global_load_dwordx4 v[18:21], v[6:7], off offset:1024
	;; [unrolled: 1-line block ×3, first 2 shown]
	v_mov_b32_e32 v31, 1.0
	v_mov_b32_e32 v30, 0
	s_and_saveexec_b64 s[4:5], vcc
	s_cbranch_execz .LBB850_16
; %bb.15:
	s_load_dwordx2 s[18:19], s[0:1], 0x40
	v_add_u32_e32 v30, s38, v33
	v_mov_b32_e32 v31, 0
	s_waitcnt lgkmcnt(0)
	v_lshl_add_u64 v[6:7], v[30:31], 2, s[18:19]
	global_load_dword v30, v[6:7], off
.LBB850_16:
	s_or_b64 exec, exec, s[4:5]
	s_load_dword s4, s[0:1], 0x1c
	s_add_u32 s0, s28, s16
	s_addc_u32 s1, s29, 0
	v_lshlrev_b32_e32 v2, 5, v32
	v_lshl_add_u64 v[36:37], s[0:1], 0, v[2:3]
	s_waitcnt vmcnt(5)
	v_mul_hi_i32 v2, v4, s17
	v_ashrrev_i32_e32 v2, 31, v2
	v_lshrrev_b32_e32 v38, 29, v2
	v_mov_b32_e32 v39, 0
	v_mad_i64_i32 v[2:3], s[0:1], v4, s17, v[38:39]
	s_waitcnt vmcnt(4)
	v_mul_hi_i32 v38, v35, s17
	v_and_b32_e32 v2, -8, v2
	v_ashrrev_i32_e32 v38, 31, v38
	v_lshl_add_u64 v[40:41], v[36:37], 0, v[2:3]
	v_lshrrev_b32_e32 v38, 29, v38
	global_load_dwordx4 v[2:5], v[40:41], off offset:16
	global_load_dwordx4 v[6:9], v[40:41], off
	v_mad_i64_i32 v[38:39], s[0:1], v35, s17, v[38:39]
	s_waitcnt vmcnt(5)
	v_cvt_pk_f32_fp8_e32 v[40:41], v26
	v_and_b32_e32 v38, -8, v38
	v_lshl_add_u64 v[36:37], v[36:37], 0, v[38:39]
	v_cvt_pk_f32_fp8_sdwa v[38:39], v26 src0_sel:WORD_1
	v_cvt_pk_f32_fp8_e32 v[42:43], v27
	v_cvt_pkrtz_f16_f32 v26, v40, v41
	v_cvt_pk_f32_fp8_sdwa v[40:41], v27 src0_sel:WORD_1
	v_cvt_pkrtz_f16_f32 v27, v38, v39
	v_cvt_pkrtz_f16_f32 v38, v42, v43
	s_load_dword s0, s[8:9], 0x0
	v_mfma_f32_4x4x4_16b_f16 a[0:3], v[10:11], v[26:27], 0 cbsz:4
	v_cvt_pkrtz_f16_f32 v39, v40, v41
	v_cvt_pk_f32_fp8_e32 v[26:27], v28
	v_cvt_pk_f32_fp8_e32 v[40:41], v29
	v_mfma_f32_4x4x4_16b_f16 a[0:3], v[12:13], v[38:39], a[0:3] cbsz:4
	v_cvt_pk_f32_fp8_sdwa v[38:39], v28 src0_sel:WORD_1
	v_cvt_pk_f32_fp8_sdwa v[28:29], v29 src0_sel:WORD_1
	v_cvt_pkrtz_f16_f32 v26, v26, v27
	v_cmp_eq_u32_e32 vcc, 0, v33
	v_cvt_pkrtz_f16_f32 v27, v38, v39
	v_cvt_pkrtz_f16_f32 v39, v28, v29
	s_waitcnt vmcnt(4)
	v_cvt_pk_f32_fp8_sdwa v[28:29], v22 src0_sel:WORD_1
	v_mfma_f32_4x4x4_16b_f16 a[0:3], v[10:11], v[26:27], a[0:3] cbsz:4 abid:1
	v_cvt_pk_f32_fp8_e32 v[26:27], v22
	v_cvt_pkrtz_f16_f32 v38, v40, v41
	v_cvt_pkrtz_f16_f32 v22, v26, v27
	v_cvt_pk_f32_fp8_sdwa v[26:27], v23 src0_sel:WORD_1
	v_mfma_f32_4x4x4_16b_f16 a[0:3], v[12:13], v[38:39], a[0:3] cbsz:4 abid:1
	v_cvt_pk_f32_fp8_e32 v[38:39], v23
	v_cvt_pkrtz_f16_f32 v23, v28, v29
	v_cvt_pkrtz_f16_f32 v29, v26, v27
	;; [unrolled: 5-line block ×3, first 2 shown]
	s_nop 0
	v_mfma_f32_4x4x4_16b_f16 a[0:3], v[12:13], v[28:29], a[0:3] cbsz:4 abid:2
	v_cvt_pk_f32_fp8_e32 v[28:29], v25
	v_cvt_pk_f32_fp8_sdwa v[24:25], v25 src0_sel:WORD_1
	v_cvt_pkrtz_f16_f32 v23, v26, v27
	v_cvt_pkrtz_f16_f32 v26, v28, v29
	s_nop 0
	v_mfma_f32_4x4x4_16b_f16 a[0:3], v[10:11], v[22:23], a[0:3] cbsz:4 abid:3
	s_waitcnt vmcnt(3)
	v_cvt_pk_f32_fp8_e32 v[22:23], v18
	v_cvt_pkrtz_f16_f32 v27, v24, v25
	v_cvt_pk_f32_fp8_sdwa v[24:25], v18 src0_sel:WORD_1
	v_cvt_pkrtz_f16_f32 v18, v22, v23
	v_cvt_pk_f32_fp8_sdwa v[22:23], v19 src0_sel:WORD_1
	v_mfma_f32_4x4x4_16b_f16 a[0:3], v[12:13], v[26:27], a[0:3] cbsz:4 abid:3
	v_cvt_pk_f32_fp8_e32 v[26:27], v19
	v_cvt_pkrtz_f16_f32 v19, v24, v25
	v_cvt_pkrtz_f16_f32 v25, v22, v23
	v_cvt_pk_f32_fp8_sdwa v[22:23], v20 src0_sel:WORD_1
	v_mfma_f32_4x4x4_16b_f16 a[0:3], v[10:11], v[18:19], a[0:3] cbsz:4 abid:4
	v_cvt_pk_f32_fp8_e32 v[18:19], v20
	v_cvt_pkrtz_f16_f32 v24, v26, v27
	v_cvt_pkrtz_f16_f32 v18, v18, v19
	s_nop 0
	v_mfma_f32_4x4x4_16b_f16 a[0:3], v[12:13], v[24:25], a[0:3] cbsz:4 abid:4
	v_cvt_pk_f32_fp8_e32 v[24:25], v21
	v_cvt_pk_f32_fp8_sdwa v[20:21], v21 src0_sel:WORD_1
	v_cvt_pkrtz_f16_f32 v19, v22, v23
	v_cvt_pkrtz_f16_f32 v22, v24, v25
	s_nop 0
	v_mfma_f32_4x4x4_16b_f16 a[0:3], v[10:11], v[18:19], a[0:3] cbsz:4 abid:5
	s_waitcnt vmcnt(2)
	v_cvt_pk_f32_fp8_e32 v[18:19], v14
	v_cvt_pkrtz_f16_f32 v23, v20, v21
	v_cvt_pk_f32_fp8_sdwa v[20:21], v14 src0_sel:WORD_1
	v_mov_b32_e32 v25, 0xff7fffff
	v_cvt_pkrtz_f16_f32 v14, v18, v19
	v_cvt_pk_f32_fp8_sdwa v[18:19], v15 src0_sel:WORD_1
	v_mfma_f32_4x4x4_16b_f16 a[0:3], v[12:13], v[22:23], a[0:3] cbsz:4 abid:5
	v_cvt_pk_f32_fp8_e32 v[22:23], v15
	v_cvt_pkrtz_f16_f32 v15, v20, v21
	v_cvt_pkrtz_f16_f32 v21, v18, v19
	v_cvt_pk_f32_fp8_sdwa v[18:19], v16 src0_sel:WORD_1
	v_mfma_f32_4x4x4_16b_f16 a[0:3], v[10:11], v[14:15], a[0:3] cbsz:4 abid:6
	v_cvt_pk_f32_fp8_e32 v[14:15], v16
	v_cvt_pkrtz_f16_f32 v20, v22, v23
	v_cvt_pkrtz_f16_f32 v14, v14, v15
	s_nop 0
	v_mfma_f32_4x4x4_16b_f16 a[0:3], v[12:13], v[20:21], a[0:3] cbsz:4 abid:6
	v_cvt_pk_f32_fp8_e32 v[20:21], v17
	v_cvt_pk_f32_fp8_sdwa v[16:17], v17 src0_sel:WORD_1
	v_cvt_pkrtz_f16_f32 v15, v18, v19
	v_cvt_pkrtz_f16_f32 v18, v20, v21
	s_nop 0
	v_mfma_f32_4x4x4_16b_f16 a[0:3], v[10:11], v[14:15], a[0:3] cbsz:4 abid:7
	v_cvt_pkrtz_f16_f32 v19, v16, v17
	s_waitcnt lgkmcnt(0)
	v_mov_b32_e32 v10, s4
	v_mfma_f32_4x4x4_16b_f16 a[0:3], v[12:13], v[18:19], a[0:3] cbsz:4 abid:7
	v_mul_f32_e32 v12, s0, v10
	s_nop 3
	v_accvgpr_read_b32 v15, a1
	v_accvgpr_read_b32 v14, a0
	v_pk_mul_f32 v[14:15], v[14:15], v[12:13] op_sel_hi:[1,0]
	v_accvgpr_read_b32 v11, a3
	v_accvgpr_read_b32 v10, a2
	v_pk_mul_f32 v[18:19], v[10:11], v[12:13] op_sel_hi:[1,0]
	v_cndmask_b32_e64 v10, 0, 1.0, vcc
	v_cmp_eq_u32_e32 vcc, 1, v33
	s_nop 0
	v_mfma_f32_4x4x1_16b_f32 a[0:3], v14, v10, 0
	v_cndmask_b32_e64 v10, 0, 1.0, vcc
	v_cmp_eq_u32_e32 vcc, 2, v33
	s_nop 0
	v_mfma_f32_4x4x1_16b_f32 a[0:3], v15, v10, a[0:3]
	v_cndmask_b32_e64 v10, 0, 1.0, vcc
	s_nop 1
	v_mfma_f32_4x4x1_16b_f32 a[0:3], v18, v10, a[0:3]
	global_load_dwordx4 v[10:13], v[36:37], off offset:16
	global_load_dwordx4 v[14:17], v[36:37], off
	v_and_b32_e32 v18, -4, v34
	v_mfma_f32_4x4x1_16b_f32 a[0:3], v19, v31, a[0:3]
	v_subrev_u32_e32 v19, s3, v18
	v_add_u32_e32 v20, 1, v19
	v_cvt_f32_i32_e32 v20, v20
	v_add_u32_e32 v21, 2, v19
	v_cvt_f32_i32_e32 v21, v21
	v_accvgpr_read_b32 v22, a0
	v_fma_f32 v20, v30, v20, v22
	v_accvgpr_read_b32 v22, a1
	v_fma_f32 v21, v30, v21, v22
	v_add_u32_e32 v22, 3, v19
	v_cvt_f32_i32_e32 v22, v22
	v_add_u32_e32 v19, 4, v19
	v_max_f32_e32 v24, 0xff7fffff, v20
	v_cmp_gt_i32_e32 vcc, s3, v18
	v_cvt_f32_i32_e32 v19, v19
	v_accvgpr_read_b32 v23, a2
	v_cndmask_b32_e32 v24, v25, v24, vcc
	v_or_b32_e32 v25, 1, v18
	v_max_f32_e32 v26, v24, v21
	v_cmp_gt_i32_e64 s[0:1], s3, v25
	v_fma_f32 v22, v30, v22, v23
	v_or_b32_e32 v18, 2, v18
	v_cndmask_b32_e64 v24, v24, v26, s[0:1]
	v_accvgpr_read_b32 v23, a3
	v_max_f32_e32 v25, v24, v22
	v_cmp_gt_i32_e64 s[4:5], s3, v18
	v_fmac_f32_e32 v23, v30, v19
	v_lshlrev_b32_e32 v19, 2, v0
	v_cndmask_b32_e64 v18, v24, v25, s[4:5]
	v_or_b32_e32 v24, 3, v34
	v_max_f32_e32 v25, v18, v23
	v_cmp_gt_i32_e64 s[8:9], s3, v24
	v_and_or_b32 v19, v19, 48, v33
	s_nop 0
	v_cndmask_b32_e64 v18, v18, v25, s[8:9]
	;;#ASMSTART
	v_nop
 v_nop
 v_max_f32_dpp v18, v18, v18 row_ror:4
	;;#ASMEND
	v_lshlrev_b32_e32 v25, 2, v19
	;;#ASMSTART
	v_nop
 v_nop
 v_max_f32_dpp v18, v18, v18 row_ror:8
	;;#ASMEND
	ds_bpermute_b32 v18, v25, v18
	s_waitcnt lgkmcnt(0)
	;;#ASMSTART
	v_nop
 v_nop
 v_max_f32_dpp v18, v18, v18 row_ror:4
	;;#ASMEND
	s_nop 0
	;;#ASMSTART
	v_nop
 v_nop
 v_max_f32_dpp v24, v18, v18 row_ror:8
	;;#ASMEND
	s_nop 0
	v_sub_f32_e32 v18, v20, v24
	v_mul_f32_e32 v18, 0x3fb8aa3b, v18
	v_sub_f32_e32 v19, v21, v24
	v_exp_f32_e32 v18, v18
	v_mul_f32_e32 v19, 0x3fb8aa3b, v19
	v_sub_f32_e32 v21, v22, v24
	v_exp_f32_e32 v19, v19
	;; [unrolled: 3-line block ×3, first 2 shown]
	v_mul_f32_e32 v22, 0x3fb8aa3b, v22
	v_exp_f32_e32 v22, v22
	v_cndmask_b32_e32 v18, 0, v18, vcc
	v_add_f32_e32 v20, 0, v18
	v_cndmask_b32_e64 v19, 0, v19, s[0:1]
	v_add_f32_e32 v23, v20, v19
	v_cndmask_b32_e64 v20, 0, v21, s[4:5]
	;; [unrolled: 2-line block ×3, first 2 shown]
	v_add_f32_e32 v22, v23, v21
	;;#ASMSTART
	v_nop
 v_nop
 v_add_f32_dpp v22, v22, v22 row_ror:4
	;;#ASMEND
	v_cmp_gt_u32_e32 vcc, 4, v32
	;;#ASMSTART
	v_nop
 v_nop
 v_add_f32_dpp v22, v22, v22 row_ror:8
	;;#ASMEND
	ds_bpermute_b32 v22, v25, v22
	s_waitcnt lgkmcnt(0)
	;;#ASMSTART
	v_nop
 v_nop
 v_add_f32_dpp v22, v22, v22 row_ror:4
	;;#ASMEND
	s_nop 0
	;;#ASMSTART
	v_nop
 v_nop
 v_add_f32_dpp v22, v22, v22 row_ror:8
	;;#ASMEND
	s_and_saveexec_b64 s[0:1], vcc
	s_cbranch_execz .LBB850_18
; %bb.17:
	v_mul_u32_u24_e32 v23, 20, v1
	v_lshl_add_u32 v23, v33, 2, v23
	v_add_u32_e32 v23, 0x800, v23
	ds_write2_b32 v23, v24, v22 offset0:128 offset1:148
.LBB850_18:
	s_or_b64 exec, exec, s[0:1]
.LBB850_19:
	s_or_b64 exec, exec, s[26:27]
	s_waitcnt lgkmcnt(0)
	s_barrier
	s_load_dword s0, s[24:25], 0x8
	v_lshlrev_b32_e32 v22, 2, v33
	v_add_u32_e32 v30, 0x800, v22
	ds_read2_b32 v[22:23], v30 offset0:128 offset1:133
	ds_read2_b32 v[26:27], v30 offset0:138 offset1:143
	s_mul_i32 s1, s2, s33
	s_waitcnt lgkmcnt(0)
	s_mul_i32 s0, s1, s0
	s_mov_b32 s1, 0xff7fffff
	v_max3_f32 v25, v22, s1, v23
	v_max3_f32 v25, v25, v26, v27
	v_sub_f32_e32 v22, v22, v25
	v_mul_f32_e32 v22, 0x3fb8aa3b, v22
	ds_read2_b32 v[28:29], v30 offset0:148 offset1:153
	v_exp_f32_e32 v31, v22
	v_sub_f32_e32 v22, v23, v25
	v_sub_f32_e32 v26, v26, v25
	v_mul_f32_e32 v22, 0x3fb8aa3b, v22
	v_mul_f32_e32 v26, 0x3fb8aa3b, v26
	v_exp_f32_e32 v34, v22
	ds_read2_b32 v[22:23], v30 offset0:158 offset1:163
	v_exp_f32_e32 v30, v26
	v_sub_f32_e32 v26, v27, v25
	v_mul_f32_e32 v26, 0x3fb8aa3b, v26
	v_exp_f32_e32 v27, v26
	s_waitcnt lgkmcnt(1)
	v_fma_f32 v26, v31, v28, 0
	v_fmac_f32_e32 v26, v34, v29
	s_waitcnt lgkmcnt(0)
	v_fmac_f32_e32 v26, v30, v22
	s_mul_i32 s0, s0, 3
	v_fmac_f32_e32 v26, v27, v23
	v_cmp_ne_u32_e32 vcc, 3, v33
	s_and_saveexec_b64 s[2:3], vcc
	s_cbranch_execz .LBB850_21
; %bb.20:
	s_mov_b32 s1, 0
	s_lshl_b64 s[4:5], s[0:1], 2
	s_add_u32 s12, s12, s4
	s_mov_b32 s21, s1
	s_addc_u32 s13, s13, s5
	s_lshl_b64 s[8:9], s[20:21], 2
	s_add_u32 s12, s12, s8
	s_addc_u32 s13, s13, s9
	s_add_u32 s1, s14, s4
	s_addc_u32 s5, s15, s5
	v_add_u32_e32 v22, s38, v33
	s_add_u32 s4, s1, s8
	v_mul_lo_u32 v22, s33, v22
	v_mov_b32_e32 v23, 0
	s_addc_u32 s5, s5, s9
	v_lshlrev_b64 v[22:23], 2, v[22:23]
	v_lshl_add_u64 v[28:29], s[12:13], 0, v[22:23]
	v_lshl_add_u64 v[22:23], s[4:5], 0, v[22:23]
	global_store_dword v[22:23], v25, off
	global_store_dword v[28:29], v26, off
.LBB850_21:
	s_or_b64 exec, exec, s[2:3]
	v_mov_b32_e32 v22, 0
	v_mov_b32_e32 v23, 0
	s_and_saveexec_b64 s[2:3], s[6:7]
	s_cbranch_execz .LBB850_23
; %bb.22:
	v_add_f32_e32 v22, 0x358637bd, v26
	v_div_scale_f32 v23, s[4:5], v22, v22, 1.0
	v_rcp_f32_e32 v26, v23
	v_div_scale_f32 v27, vcc, 1.0, v22, 1.0
	v_sub_f32_e32 v24, v24, v25
	v_fma_f32 v28, -v23, v26, 1.0
	v_fmac_f32_e32 v26, v28, v26
	v_mul_f32_e32 v28, v27, v26
	v_fma_f32 v29, -v23, v28, v27
	v_mul_f32_e32 v24, 0x3fb8aa3b, v24
	v_fmac_f32_e32 v28, v29, v26
	v_exp_f32_e32 v24, v24
	v_fma_f32 v23, -v23, v28, v27
	v_div_fmas_f32 v23, v23, v26, v28
	v_div_fixup_f32 v22, v23, v22, 1.0
	v_mul_f32_e32 v22, v24, v22
	v_pk_mul_f32 v[20:21], v[20:21], v[22:23] op_sel_hi:[1,0]
	v_pk_mul_f32 v[18:19], v[18:19], v[22:23] op_sel_hi:[1,0]
	v_cvt_f16_f32_e32 v22, v20
	v_cvt_f16_f32_e32 v18, v18
	;; [unrolled: 1-line block ×4, first 2 shown]
	s_waitcnt vmcnt(2)
	v_cvt_pk_f32_fp8_e32 v[20:21], v6
	v_cvt_pk_f32_fp8_e32 v[24:25], v7
	v_pack_b32_f16 v18, v18, v19
	v_pack_b32_f16 v19, v22, v23
	v_cvt_pk_f32_fp8_sdwa v[22:23], v6 src0_sel:WORD_1
	v_cvt_pkrtz_f16_f32 v6, v20, v21
	v_cvt_pk_f32_fp8_sdwa v[20:21], v7 src0_sel:WORD_1
	s_load_dword s4, s[10:11], 0x0
	v_cvt_pkrtz_f16_f32 v7, v22, v23
	v_cvt_pkrtz_f16_f32 v22, v24, v25
	;; [unrolled: 1-line block ×3, first 2 shown]
	v_mfma_f32_4x4x4_16b_f16 a[0:3], v[18:19], v[6:7], 0 cbsz:4
	v_cvt_pk_f32_fp8_e32 v[6:7], v8
	v_cvt_pk_f32_fp8_sdwa v[20:21], v8 src0_sel:WORD_1
	v_mfma_f32_4x4x4_16b_f16 a[0:3], v[18:19], v[22:23], a[0:3] cbsz:4 abid:1
	v_cvt_pk_f32_fp8_e32 v[22:23], v9
	v_cvt_pk_f32_fp8_sdwa v[8:9], v9 src0_sel:WORD_1
	v_cvt_pkrtz_f16_f32 v6, v6, v7
	v_cvt_pkrtz_f16_f32 v7, v20, v21
	;; [unrolled: 1-line block ×4, first 2 shown]
	v_mfma_f32_4x4x4_16b_f16 a[0:3], v[18:19], v[6:7], a[0:3] cbsz:4 abid:2
	v_cvt_pk_f32_fp8_e32 v[6:7], v2
	v_cvt_pk_f32_fp8_sdwa v[8:9], v2 src0_sel:WORD_1
	v_mfma_f32_4x4x4_16b_f16 a[0:3], v[18:19], v[20:21], a[0:3] cbsz:4 abid:3
	v_cvt_pk_f32_fp8_e32 v[20:21], v3
	v_cvt_pkrtz_f16_f32 v2, v6, v7
	v_cvt_pk_f32_fp8_sdwa v[6:7], v3 src0_sel:WORD_1
	v_cvt_pkrtz_f16_f32 v3, v8, v9
	v_cvt_pkrtz_f16_f32 v8, v20, v21
	s_mov_b32 s1, 0x5040100
	v_mfma_f32_4x4x4_16b_f16 a[0:3], v[18:19], v[2:3], a[0:3] cbsz:4 abid:4
	v_cvt_pkrtz_f16_f32 v9, v6, v7
	v_cvt_pk_f32_fp8_e32 v[2:3], v4
	v_cvt_pk_f32_fp8_sdwa v[6:7], v4 src0_sel:WORD_1
	v_mfma_f32_4x4x4_16b_f16 a[0:3], v[18:19], v[8:9], a[0:3] cbsz:4 abid:5
	v_cvt_pk_f32_fp8_e32 v[8:9], v5
	v_cvt_pk_f32_fp8_sdwa v[4:5], v5 src0_sel:WORD_1
	v_cvt_pkrtz_f16_f32 v2, v2, v3
	v_cvt_pkrtz_f16_f32 v3, v6, v7
	;; [unrolled: 1-line block ×4, first 2 shown]
	v_mfma_f32_4x4x4_16b_f16 a[0:3], v[18:19], v[2:3], a[0:3] cbsz:4 abid:6
	s_waitcnt vmcnt(0)
	v_cvt_pk_f32_fp8_e32 v[2:3], v14
	v_cvt_pk_f32_fp8_sdwa v[4:5], v14 src0_sel:WORD_1
	v_mfma_f32_4x4x4_16b_f16 a[0:3], v[18:19], v[6:7], a[0:3] cbsz:4 abid:7
	v_cvt_pk_f32_fp8_e32 v[6:7], v15
	v_cvt_pk_f32_fp8_sdwa v[8:9], v15 src0_sel:WORD_1
	v_cvt_pkrtz_f16_f32 v2, v2, v3
	v_cvt_pkrtz_f16_f32 v3, v4, v5
	;; [unrolled: 1-line block ×4, first 2 shown]
	v_mfma_f32_4x4x4_16b_f16 a[0:3], v[18:19], v[2:3], a[0:3] cbsz:4 abid:8
	v_cvt_pk_f32_fp8_e32 v[2:3], v16
	v_cvt_pk_f32_fp8_e32 v[6:7], v17
	v_mfma_f32_4x4x4_16b_f16 a[0:3], v[18:19], v[4:5], a[0:3] cbsz:4 abid:9
	v_cvt_pk_f32_fp8_sdwa v[4:5], v16 src0_sel:WORD_1
	v_cvt_pk_f32_fp8_sdwa v[8:9], v17 src0_sel:WORD_1
	v_cvt_pkrtz_f16_f32 v2, v2, v3
	v_cvt_pkrtz_f16_f32 v3, v4, v5
	v_cvt_pkrtz_f16_f32 v4, v6, v7
	s_nop 0
	v_mfma_f32_4x4x4_16b_f16 a[0:3], v[18:19], v[2:3], a[0:3] cbsz:4 abid:10
	v_cvt_pkrtz_f16_f32 v5, v8, v9
	v_cvt_pk_f32_fp8_e32 v[2:3], v10
	v_cvt_pk_f32_fp8_e32 v[6:7], v11
	v_mfma_f32_4x4x4_16b_f16 a[0:3], v[18:19], v[4:5], a[0:3] cbsz:4 abid:11
	v_cvt_pk_f32_fp8_sdwa v[4:5], v10 src0_sel:WORD_1
	v_cvt_pk_f32_fp8_sdwa v[8:9], v11 src0_sel:WORD_1
	v_cvt_pkrtz_f16_f32 v2, v2, v3
	v_cvt_pkrtz_f16_f32 v3, v4, v5
	v_cvt_pkrtz_f16_f32 v4, v6, v7
	s_nop 0
	v_mfma_f32_4x4x4_16b_f16 a[0:3], v[18:19], v[2:3], a[0:3] cbsz:4 abid:12
	v_cvt_pkrtz_f16_f32 v5, v8, v9
	;; [unrolled: 11-line block ×3, first 2 shown]
	s_nop 1
	v_mfma_f32_4x4x4_16b_f16 a[0:3], v[18:19], v[4:5], a[0:3] cbsz:4 abid:15
	s_nop 4
	v_accvgpr_read_b32 v5, a1
	v_accvgpr_read_b32 v3, a3
	;; [unrolled: 1-line block ×4, first 2 shown]
	s_waitcnt lgkmcnt(0)
	v_pk_mul_f32 v[2:3], v[2:3], s[4:5] op_sel_hi:[1,0]
	v_pk_mul_f32 v[4:5], v[4:5], s[4:5] op_sel_hi:[1,0]
	v_cvt_f16_f32_e32 v2, v2
	v_cvt_f16_f32_e32 v4, v4
	;; [unrolled: 1-line block ×4, first 2 shown]
	v_perm_b32 v22, v5, v4, s1
	v_perm_b32 v23, v3, v2, s1
.LBB850_23:
	s_or_b64 exec, exec, s[2:3]
	v_lshlrev_b32_e32 v1, 3, v1
	v_mad_u32_u24 v1, v32, 40, v1
	v_cmp_gt_u32_e32 vcc, 64, v0
	ds_write_b64 v1, v[22:23]
	s_waitcnt lgkmcnt(0)
	s_barrier
	s_and_saveexec_b64 s[2:3], vcc
	s_cbranch_execz .LBB850_25
; %bb.24:
	v_mul_u32_u24_e32 v1, 40, v32
	s_waitcnt vmcnt(3)
	ds_read2_b64 v[2:5], v1 offset1:1
	s_waitcnt vmcnt(2)
	ds_read2_b64 v[6:9], v1 offset0:2 offset1:3
	s_mov_b32 s1, 0
	s_lshl_b32 s0, s0, 6
	s_lshl_b64 s[2:3], s[0:1], 1
	s_add_u32 s2, s22, s2
	s_addc_u32 s3, s23, s3
	s_lshl_b32 s0, s20, 6
	s_lshl_b64 s[0:1], s[0:1], 1
	s_waitcnt lgkmcnt(1)
	v_pk_add_f16 v1, v2, 0
	v_pk_add_f16 v2, v3, 0
	s_add_u32 s0, s2, s0
	v_pk_add_f16 v2, v2, v5
	s_addc_u32 s1, s3, s1
	s_lshl_b32 s2, s33, 6
	v_pk_add_f16 v1, v1, v4
	s_waitcnt lgkmcnt(0)
	v_pk_add_f16 v2, v2, v7
	s_mul_i32 s3, s2, s38
	v_pk_add_f16 v1, v1, v6
	v_pk_add_f16 v6, v2, v9
	v_or_b32_e32 v2, s3, v0
	v_mov_b32_e32 v3, 0
	s_add_i32 s3, s3, s2
	v_pk_add_f16 v1, v1, v8
	v_lshl_add_u64 v[4:5], v[2:3], 1, s[0:1]
	v_or_b32_e32 v2, s3, v0
	s_add_i32 s3, s3, s2
	global_store_short v[4:5], v1, off
	v_lshl_add_u64 v[4:5], v[2:3], 1, s[0:1]
	v_or_b32_e32 v2, s3, v0
	global_store_short_d16_hi v[4:5], v1, off
	v_lshl_add_u64 v[0:1], v[2:3], 1, s[0:1]
	global_store_short v[0:1], v6, off
.LBB850_25:
	s_endpgm
	.section	.rodata,"a",@progbits
	.p2align	6, 0x0
	.amdhsa_kernel _Z38paged_attention_ll4mi_QKV_mfma4_kernelIDF16_hLN4vllm18Fp8KVCacheDataTypeE1EhLi32ELi64ELi256ELb1ELi3EEvPKT_PKT0_S7_ifPKiS9_S9_iPKfiiiPfSC_PS2_PT2_iSB_SB_
		.amdhsa_group_segment_fixed_size 2720
		.amdhsa_private_segment_fixed_size 0
		.amdhsa_kernarg_size 400
		.amdhsa_user_sgpr_count 2
		.amdhsa_user_sgpr_dispatch_ptr 0
		.amdhsa_user_sgpr_queue_ptr 0
		.amdhsa_user_sgpr_kernarg_segment_ptr 1
		.amdhsa_user_sgpr_dispatch_id 0
		.amdhsa_user_sgpr_kernarg_preload_length 0
		.amdhsa_user_sgpr_kernarg_preload_offset 0
		.amdhsa_user_sgpr_private_segment_size 0
		.amdhsa_uses_dynamic_stack 0
		.amdhsa_enable_private_segment 0
		.amdhsa_system_sgpr_workgroup_id_x 1
		.amdhsa_system_sgpr_workgroup_id_y 1
		.amdhsa_system_sgpr_workgroup_id_z 1
		.amdhsa_system_sgpr_workgroup_info 0
		.amdhsa_system_vgpr_workitem_id 0
		.amdhsa_next_free_vgpr 48
		.amdhsa_next_free_sgpr 44
		.amdhsa_accum_offset 44
		.amdhsa_reserve_vcc 1
		.amdhsa_float_round_mode_32 0
		.amdhsa_float_round_mode_16_64 0
		.amdhsa_float_denorm_mode_32 3
		.amdhsa_float_denorm_mode_16_64 3
		.amdhsa_dx10_clamp 1
		.amdhsa_ieee_mode 1
		.amdhsa_fp16_overflow 0
		.amdhsa_tg_split 0
		.amdhsa_exception_fp_ieee_invalid_op 0
		.amdhsa_exception_fp_denorm_src 0
		.amdhsa_exception_fp_ieee_div_zero 0
		.amdhsa_exception_fp_ieee_overflow 0
		.amdhsa_exception_fp_ieee_underflow 0
		.amdhsa_exception_fp_ieee_inexact 0
		.amdhsa_exception_int_div_zero 0
	.end_amdhsa_kernel
	.section	.text._Z38paged_attention_ll4mi_QKV_mfma4_kernelIDF16_hLN4vllm18Fp8KVCacheDataTypeE1EhLi32ELi64ELi256ELb1ELi3EEvPKT_PKT0_S7_ifPKiS9_S9_iPKfiiiPfSC_PS2_PT2_iSB_SB_,"axG",@progbits,_Z38paged_attention_ll4mi_QKV_mfma4_kernelIDF16_hLN4vllm18Fp8KVCacheDataTypeE1EhLi32ELi64ELi256ELb1ELi3EEvPKT_PKT0_S7_ifPKiS9_S9_iPKfiiiPfSC_PS2_PT2_iSB_SB_,comdat
.Lfunc_end850:
	.size	_Z38paged_attention_ll4mi_QKV_mfma4_kernelIDF16_hLN4vllm18Fp8KVCacheDataTypeE1EhLi32ELi64ELi256ELb1ELi3EEvPKT_PKT0_S7_ifPKiS9_S9_iPKfiiiPfSC_PS2_PT2_iSB_SB_, .Lfunc_end850-_Z38paged_attention_ll4mi_QKV_mfma4_kernelIDF16_hLN4vllm18Fp8KVCacheDataTypeE1EhLi32ELi64ELi256ELb1ELi3EEvPKT_PKT0_S7_ifPKiS9_S9_iPKfiiiPfSC_PS2_PT2_iSB_SB_
                                        ; -- End function
	.section	.AMDGPU.csdata,"",@progbits
; Kernel info:
; codeLenInByte = 3908
; NumSgprs: 50
; NumVgprs: 44
; NumAgprs: 4
; TotalNumVgprs: 48
; ScratchSize: 0
; MemoryBound: 0
; FloatMode: 240
; IeeeMode: 1
; LDSByteSize: 2720 bytes/workgroup (compile time only)
; SGPRBlocks: 6
; VGPRBlocks: 5
; NumSGPRsForWavesPerEU: 50
; NumVGPRsForWavesPerEU: 48
; AccumOffset: 44
; Occupancy: 8
; WaveLimiterHint : 1
; COMPUTE_PGM_RSRC2:SCRATCH_EN: 0
; COMPUTE_PGM_RSRC2:USER_SGPR: 2
; COMPUTE_PGM_RSRC2:TRAP_HANDLER: 0
; COMPUTE_PGM_RSRC2:TGID_X_EN: 1
; COMPUTE_PGM_RSRC2:TGID_Y_EN: 1
; COMPUTE_PGM_RSRC2:TGID_Z_EN: 1
; COMPUTE_PGM_RSRC2:TIDIG_COMP_CNT: 0
; COMPUTE_PGM_RSRC3_GFX90A:ACCUM_OFFSET: 10
; COMPUTE_PGM_RSRC3_GFX90A:TG_SPLIT: 0
	.section	.text._Z38paged_attention_ll4mi_QKV_mfma4_kernelIDF16_hLN4vllm18Fp8KVCacheDataTypeE1EhLi32ELi64ELi256ELb1ELi4EEvPKT_PKT0_S7_ifPKiS9_S9_iPKfiiiPfSC_PS2_PT2_iSB_SB_,"axG",@progbits,_Z38paged_attention_ll4mi_QKV_mfma4_kernelIDF16_hLN4vllm18Fp8KVCacheDataTypeE1EhLi32ELi64ELi256ELb1ELi4EEvPKT_PKT0_S7_ifPKiS9_S9_iPKfiiiPfSC_PS2_PT2_iSB_SB_,comdat
	.protected	_Z38paged_attention_ll4mi_QKV_mfma4_kernelIDF16_hLN4vllm18Fp8KVCacheDataTypeE1EhLi32ELi64ELi256ELb1ELi4EEvPKT_PKT0_S7_ifPKiS9_S9_iPKfiiiPfSC_PS2_PT2_iSB_SB_ ; -- Begin function _Z38paged_attention_ll4mi_QKV_mfma4_kernelIDF16_hLN4vllm18Fp8KVCacheDataTypeE1EhLi32ELi64ELi256ELb1ELi4EEvPKT_PKT0_S7_ifPKiS9_S9_iPKfiiiPfSC_PS2_PT2_iSB_SB_
	.globl	_Z38paged_attention_ll4mi_QKV_mfma4_kernelIDF16_hLN4vllm18Fp8KVCacheDataTypeE1EhLi32ELi64ELi256ELb1ELi4EEvPKT_PKT0_S7_ifPKiS9_S9_iPKfiiiPfSC_PS2_PT2_iSB_SB_
	.p2align	8
	.type	_Z38paged_attention_ll4mi_QKV_mfma4_kernelIDF16_hLN4vllm18Fp8KVCacheDataTypeE1EhLi32ELi64ELi256ELb1ELi4EEvPKT_PKT0_S7_ifPKiS9_S9_iPKfiiiPfSC_PS2_PT2_iSB_SB_,@function
_Z38paged_attention_ll4mi_QKV_mfma4_kernelIDF16_hLN4vllm18Fp8KVCacheDataTypeE1EhLi32ELi64ELi256ELb1ELi4EEvPKT_PKT0_S7_ifPKiS9_S9_iPKfiiiPfSC_PS2_PT2_iSB_SB_: ; @_Z38paged_attention_ll4mi_QKV_mfma4_kernelIDF16_hLN4vllm18Fp8KVCacheDataTypeE1EhLi32ELi64ELi256ELb1ELi4EEvPKT_PKT0_S7_ifPKiS9_S9_iPKfiiiPfSC_PS2_PT2_iSB_SB_
; %bb.0:
	s_load_dwordx2 s[16:17], s[0:1], 0x30
	s_mov_b32 s24, s3
	s_mov_b64 s[6:7], 0
	s_waitcnt lgkmcnt(0)
	s_cmp_lg_u64 s[16:17], 0
	s_cselect_b64 s[18:19], -1, 0
	s_and_b64 vcc, exec, s[18:19]
	s_cbranch_vccz .LBB851_18
; %bb.1:
	s_add_i32 s8, s2, 1
	s_mov_b32 s9, 0
	s_lshl_b64 s[10:11], s[8:9], 2
	s_add_u32 s10, s16, s10
	s_mov_b32 s3, s9
	s_addc_u32 s11, s17, s11
	s_lshl_b64 s[8:9], s[2:3], 2
	s_add_u32 s8, s16, s8
	s_addc_u32 s9, s17, s9
	s_load_dword s5, s[10:11], 0x0
	s_load_dword s12, s[8:9], 0x0
	s_mov_b64 s[34:35], s[2:3]
	s_waitcnt lgkmcnt(0)
	s_sub_i32 s5, s5, s12
	s_cmp_eq_u32 s5, 1
	s_cselect_b64 s[8:9], -1, 0
	s_andn2_b64 vcc, exec, s[6:7]
	s_cbranch_vccnz .LBB851_3
.LBB851_2:
	s_mov_b32 s3, 0
	s_mov_b64 s[8:9], -1
	s_mov_b64 s[34:35], s[2:3]
.LBB851_3:
	s_andn2_b64 vcc, exec, s[8:9]
	s_cbranch_vccnz .LBB851_17
; %bb.4:
	s_load_dword s3, s[0:1], 0x9c
	s_load_dwordx2 s[6:7], s[0:1], 0x28
	s_add_u32 s28, s0, 0x90
	s_addc_u32 s29, s1, 0
	s_lshl_b64 s[42:43], s[34:35], 2
	s_waitcnt lgkmcnt(0)
	s_and_b32 s5, s3, 0xffff
	s_add_u32 s6, s6, s42
	s_addc_u32 s7, s7, s43
	s_load_dword s3, s[6:7], 0x0
	s_mul_i32 s5, s24, s5
	s_waitcnt lgkmcnt(0)
	s_cmp_ge_i32 s5, s3
	s_cbranch_scc1 .LBB851_17
; %bb.5:
	v_and_b32_e32 v2, 0xc0, v0
	v_and_b32_e32 v25, 3, v0
	s_lshl_b32 s33, s4, 2
	v_add_u32_e32 v4, s5, v2
	v_lshrrev_b32_e32 v1, 6, v0
	v_cmp_gt_i32_e64 s[6:7], s3, v4
	v_cmp_le_i32_e32 vcc, s3, v4
	v_or_b32_e32 v18, s33, v25
                                        ; implicit-def: $sgpr21
                                        ; implicit-def: $sgpr20
	s_and_saveexec_b64 s[8:9], vcc
	s_xor_b64 s[8:9], exec, s[8:9]
	s_cbranch_execz .LBB851_7
; %bb.6:
	v_mul_u32_u24_e32 v2, 20, v1
	v_or_b32_e32 v2, 0xa00, v2
	v_mov_b32_e32 v3, 0xa50
	v_mov_b32_e32 v4, 0xff7fffff
	v_mad_u32_u24 v3, v1, 20, v3
	ds_write2_b32 v2, v4, v4 offset1:1
	v_mov_b32_e32 v2, 0
	ds_write2_b32 v3, v2, v2 offset1:1
	v_mov_b32_e32 v3, 0xa08
	s_mov_b32 s20, 0xff7fffff
	s_mov_b32 s21, 0
	v_mad_u32_u24 v3, v1, 20, v3
	v_mov_b32_e32 v5, 0xa58
	v_or_b32_e32 v18, s33, v25
	v_mad_u32_u24 v5, v1, 20, v5
	ds_write2_b32 v3, v4, v4 offset1:1
	ds_write2_b32 v5, v2, v2 offset1:1
                                        ; implicit-def: $vgpr4
.LBB851_7:
	s_or_saveexec_b64 s[30:31], s[8:9]
	s_load_dwordx2 s[26:27], s[0:1], 0x68
	s_load_dwordx4 s[12:15], s[0:1], 0x58
	s_load_dword s44, s[28:29], 0x4
	s_load_dwordx4 s[8:11], s[0:1], 0x80
	v_and_b32_e32 v24, 63, v0
	v_mov_b32_e32 v23, s21
	v_mov_b32_e32 v26, s20
	;; [unrolled: 1-line block ×5, first 2 shown]
                                        ; implicit-def: $vgpr14_vgpr15
                                        ; implicit-def: $vgpr6_vgpr7
                                        ; implicit-def: $vgpr10_vgpr11
                                        ; implicit-def: $vgpr2_vgpr3
	s_xor_b64 exec, exec, s[30:31]
	s_cbranch_execz .LBB851_13
; %bb.8:
	s_load_dwordx2 s[20:21], s[0:1], 0x20
	s_load_dword s22, s[0:1], 0x38
	s_add_i32 s23, s3, 31
	s_ashr_i32 s25, s23, 31
	s_lshr_b32 s25, s25, 27
	v_add_u32_e32 v20, s5, v0
	s_add_i32 s23, s23, s25
	v_ashrrev_i32_e32 v2, 31, v20
	s_ashr_i32 s23, s23, 5
	v_lshrrev_b32_e32 v2, 27, v2
	s_add_i32 s25, s23, -1
	s_waitcnt lgkmcnt(0)
	s_mul_i32 s36, s2, s22
	s_mov_b32 s37, 0
	v_add_u32_e32 v2, v20, v2
	s_lshl_b64 s[22:23], s[36:37], 2
	v_ashrrev_i32_e32 v2, 5, v2
	v_mov_b32_e32 v3, s25
	v_cmp_gt_i32_e32 vcc, s3, v20
	s_add_u32 s20, s20, s22
	s_addc_u32 s21, s21, s23
	v_cndmask_b32_e32 v2, v3, v2, vcc
	v_ashrrev_i32_e32 v3, 31, v2
	v_lshl_add_u64 v[6:7], v[2:3], 2, s[20:21]
	v_ashrrev_i32_e32 v2, 31, v4
	v_lshrrev_b32_e32 v2, 27, v2
	v_add_u32_e32 v2, v4, v2
	v_ashrrev_i32_e32 v4, 5, v2
	v_min_i32_e32 v2, s25, v4
	v_ashrrev_i32_e32 v3, 31, v2
	v_lshl_add_u64 v[8:9], v[2:3], 2, s[20:21]
	v_add_u32_e32 v2, 1, v4
	v_min_i32_e32 v2, s25, v2
	v_ashrrev_i32_e32 v3, 31, v2
	v_lshl_add_u64 v[10:11], v[2:3], 2, s[20:21]
	global_load_dword v4, v[6:7], off
	global_load_dword v3, v[8:9], off
	;; [unrolled: 1-line block ×3, first 2 shown]
	s_load_dwordx2 s[40:41], s[0:1], 0x40
	s_load_dwordx4 s[20:23], s[0:1], 0x0
	s_load_dwordx2 s[38:39], s[0:1], 0x10
	s_andn2_b64 vcc, exec, s[18:19]
	s_cbranch_vccnz .LBB851_10
; %bb.9:
	s_add_u32 s16, s16, s42
	s_addc_u32 s17, s17, s43
	s_load_dword s36, s[16:17], 0x0
	s_waitcnt lgkmcnt(0)
	s_mov_b64 s[34:35], s[36:37]
.LBB851_10:
	s_load_dwordx4 s[16:19], s[0:1], 0x48
	s_waitcnt lgkmcnt(0)
	s_load_dword s19, s[0:1], 0x1c
                                        ; kill: killed $sgpr0 killed $sgpr1
	v_cmp_eq_u32_e32 vcc, 0, v25
	s_ashr_i32 s1, s16, 31
	s_mul_hi_u32 s5, s34, s16
	s_mul_i32 s1, s34, s1
	s_mul_i32 s25, s35, s16
	s_add_i32 s1, s5, s1
	s_mul_i32 s0, s34, s16
	s_add_i32 s1, s1, s25
	s_lshl_b64 s[0:1], s[0:1], 1
	s_add_u32 s5, s20, s0
	s_addc_u32 s16, s21, s1
	s_lshl_b32 s36, s4, 8
	s_lshl_b64 s[0:1], s[36:37], 1
	s_add_u32 s0, s5, s0
	s_addc_u32 s1, s16, s1
	s_mul_i32 s16, s4, s18
	s_add_u32 s4, s16, s22
	s_addc_u32 s5, 0, s23
	v_mov_b64_e32 v[6:7], s[4:5]
	s_waitcnt vmcnt(2)
	v_mad_i64_i32 v[4:5], s[4:5], v4, s17, v[6:7]
	v_lshlrev_b32_e32 v6, 4, v0
	v_and_b32_e32 v6, 0x1f0, v6
	v_mov_b32_e32 v7, 0
	v_lshl_add_u64 v[4:5], v[4:5], 0, v[6:7]
	global_load_dwordx4 v[10:13], v[4:5], off
	global_load_dwordx4 v[26:29], v[4:5], off offset:512
	global_load_dwordx4 v[30:33], v[4:5], off offset:1024
	;; [unrolled: 1-line block ×3, first 2 shown]
	v_lshrrev_b32_e32 v4, 2, v24
	v_lshlrev_b32_e32 v5, 3, v25
	v_add_lshl_u32 v4, v5, v4, 4
	global_load_dwordx4 v[38:41], v4, s[0:1]
	v_mov_b32_e32 v19, v7
	v_lshl_add_u64 v[4:5], v[18:19], 2, s[40:41]
	global_load_dword v19, v[4:5], off
	s_waitcnt vmcnt(7)
	v_mul_hi_i32 v4, v3, s17
	s_add_u32 s0, s38, s16
	s_waitcnt vmcnt(6)
	v_mul_hi_i32 v5, v2, s17
	v_ashrrev_i32_e32 v8, 31, v4
	s_addc_u32 s1, s39, 0
	v_lshlrev_b32_e32 v6, 5, v24
	v_ashrrev_i32_e32 v14, 31, v5
	v_lshl_add_u64 v[4:5], s[0:1], 0, v[6:7]
	v_lshrrev_b32_e32 v6, 29, v8
	v_mad_i64_i32 v[8:9], s[0:1], v3, s17, v[6:7]
	v_and_b32_e32 v8, -8, v8
	v_lshrrev_b32_e32 v6, 29, v14
	v_lshl_add_u64 v[22:23], v[4:5], 0, v[8:9]
	v_mad_i64_i32 v[2:3], s[0:1], v2, s17, v[6:7]
	global_load_dwordx4 v[6:9], v[22:23], off offset:16
	global_load_dwordx4 v[14:17], v[22:23], off
	v_and_b32_e32 v2, -8, v2
	v_lshl_add_u64 v[42:43], v[4:5], 0, v[2:3]
	s_waitcnt lgkmcnt(0)
	v_mov_b32_e32 v21, s19
	s_waitcnt vmcnt(7)
	v_cvt_pk_f32_fp8_e32 v[22:23], v10
	v_cvt_pk_f32_fp8_sdwa v[44:45], v10 src0_sel:WORD_1
	v_cvt_pk_f32_fp8_e32 v[46:47], v11
	v_cvt_pk_f32_fp8_sdwa v[48:49], v11 src0_sel:WORD_1
	;; [unrolled: 2-line block ×3, first 2 shown]
	v_cvt_pkrtz_f16_f32 v22, v22, v23
	v_cvt_pkrtz_f16_f32 v23, v44, v45
	v_cvt_pk_f32_fp8_e32 v[54:55], v13
	v_cvt_pk_f32_fp8_sdwa v[56:57], v13 src0_sel:WORD_1
	s_waitcnt vmcnt(3)
	v_mfma_f32_4x4x4_16b_f16 a[0:3], v[38:39], v[22:23], 0 cbsz:4
	v_cvt_pkrtz_f16_f32 v44, v46, v47
	v_cvt_pkrtz_f16_f32 v45, v48, v49
	v_cvt_pk_f32_fp8_e32 v[58:59], v26
	v_cvt_pk_f32_fp8_sdwa v[60:61], v26 src0_sel:WORD_1
	v_mfma_f32_4x4x4_16b_f16 a[0:3], v[40:41], v[44:45], a[0:3] cbsz:4
	v_cvt_pkrtz_f16_f32 v48, v50, v51
	v_cvt_pkrtz_f16_f32 v49, v52, v53
	global_load_dwordx4 v[2:5], v[42:43], off offset:16
	global_load_dwordx4 v[10:13], v[42:43], off
	v_mfma_f32_4x4x4_16b_f16 a[0:3], v[38:39], v[48:49], a[0:3] cbsz:4 abid:1
	v_cvt_pk_f32_fp8_e32 v[62:63], v27
	v_cvt_pk_f32_fp8_sdwa v[26:27], v27 src0_sel:WORD_1
	v_cvt_pkrtz_f16_f32 v52, v54, v55
	v_cvt_pkrtz_f16_f32 v53, v56, v57
	v_cvt_pk_f32_fp8_e32 v[64:65], v28
	v_cvt_pk_f32_fp8_sdwa v[66:67], v28 src0_sel:WORD_1
	v_mfma_f32_4x4x4_16b_f16 a[0:3], v[40:41], v[52:53], a[0:3] cbsz:4 abid:1
	v_cvt_pkrtz_f16_f32 v54, v58, v59
	v_cvt_pkrtz_f16_f32 v55, v60, v61
	v_cvt_pk_f32_fp8_e32 v[68:69], v29
	v_cvt_pk_f32_fp8_sdwa v[28:29], v29 src0_sel:WORD_1
	v_mfma_f32_4x4x4_16b_f16 a[0:3], v[38:39], v[54:55], a[0:3] cbsz:4 abid:2
	;; [unrolled: 5-line block ×9, first 2 shown]
	v_cvt_pkrtz_f16_f32 v22, v42, v43
	v_cvt_pkrtz_f16_f32 v23, v46, v47
	v_cvt_pk_f32_fp8_e32 v[62:63], v37
	v_cvt_pkrtz_f16_f32 v28, v50, v51
	v_mfma_f32_4x4x4_16b_f16 a[0:3], v[38:39], v[22:23], a[0:3] cbsz:4 abid:6
	v_cvt_pkrtz_f16_f32 v29, v34, v35
	v_cvt_pk_f32_fp8_sdwa v[22:23], v37 src0_sel:WORD_1
	s_load_dword s0, s[8:9], 0x0
	v_mfma_f32_4x4x4_16b_f16 a[0:3], v[40:41], v[28:29], a[0:3] cbsz:4 abid:6
	v_cvt_pkrtz_f16_f32 v28, v56, v57
	v_cvt_pkrtz_f16_f32 v29, v26, v27
	;; [unrolled: 1-line block ×4, first 2 shown]
	v_mfma_f32_4x4x4_16b_f16 a[0:3], v[38:39], v[28:29], a[0:3] cbsz:4 abid:7
	s_nop 1
	v_mfma_f32_4x4x4_16b_f16 a[0:3], v[40:41], v[26:27], a[0:3] cbsz:4 abid:7
	s_waitcnt lgkmcnt(0)
	v_mul_f32_e32 v26, s0, v21
	v_cndmask_b32_e64 v21, 0, 1.0, vcc
	v_cmp_eq_u32_e32 vcc, 1, v25
	s_nop 0
	v_accvgpr_read_b32 v29, a1
	v_accvgpr_read_b32 v28, a0
	v_pk_mul_f32 v[28:29], v[28:29], v[26:27] op_sel_hi:[1,0]
	v_accvgpr_read_b32 v23, a3
	v_accvgpr_read_b32 v22, a2
	v_pk_mul_f32 v[22:23], v[22:23], v[26:27] op_sel_hi:[1,0]
	v_mfma_f32_4x4x1_16b_f32 a[0:3], v28, v21, 0
	v_cndmask_b32_e64 v21, 0, 1.0, vcc
	v_cmp_eq_u32_e32 vcc, 2, v25
	s_nop 0
	v_mfma_f32_4x4x1_16b_f32 a[0:3], v29, v21, a[0:3]
	v_cndmask_b32_e64 v21, 0, 1.0, vcc
	v_cmp_eq_u32_e32 vcc, 3, v25
	s_nop 0
	v_mfma_f32_4x4x1_16b_f32 a[0:3], v22, v21, a[0:3]
	v_cndmask_b32_e64 v21, 0, 1.0, vcc
	s_nop 1
	v_mfma_f32_4x4x1_16b_f32 a[0:3], v23, v21, a[0:3]
	v_and_b32_e32 v21, -4, v20
	v_subrev_u32_e32 v22, s3, v21
	v_add_u32_e32 v23, 1, v22
	v_cvt_f32_i32_e32 v23, v23
	v_add_u32_e32 v26, 2, v22
	v_cvt_f32_i32_e32 v26, v26
	v_accvgpr_read_b32 v27, a0
	s_waitcnt vmcnt(4)
	v_fma_f32 v23, v19, v23, v27
	v_accvgpr_read_b32 v27, a1
	v_fma_f32 v27, v19, v26, v27
	v_add_u32_e32 v26, 3, v22
	v_add_u32_e32 v22, 4, v22
	v_cvt_f32_i32_e32 v26, v26
	v_cvt_f32_i32_e32 v22, v22
	v_accvgpr_read_b32 v28, a2
	v_accvgpr_read_b32 v29, a3
	v_fma_f32 v28, v19, v26, v28
	v_fmac_f32_e32 v29, v19, v22
	v_max_f32_e32 v22, 0xff7fffff, v23
	v_mov_b32_e32 v26, 0xff7fffff
	v_cmp_gt_i32_e32 vcc, s3, v21
	v_or_b32_e32 v20, 3, v20
	v_cmp_gt_i32_e64 s[8:9], s3, v20
	v_cndmask_b32_e32 v22, v26, v22, vcc
	v_or_b32_e32 v26, 1, v21
	v_max_f32_e32 v30, v22, v27
	v_cmp_gt_i32_e64 s[0:1], s3, v26
	v_or_b32_e32 v21, 2, v21
	v_cmp_gt_i32_e64 s[4:5], s3, v21
	v_cndmask_b32_e64 v22, v22, v30, s[0:1]
	v_max_f32_e32 v26, v22, v28
	v_cndmask_b32_e64 v21, v22, v26, s[4:5]
	v_max_f32_e32 v22, v21, v29
	v_lshlrev_b32_e32 v19, 2, v0
	v_cndmask_b32_e64 v20, v21, v22, s[8:9]
	v_and_or_b32 v19, v19, 48, v25
	;;#ASMSTART
	v_nop
 v_nop
 v_max_f32_dpp v20, v20, v20 row_ror:4
	;;#ASMEND
	v_lshlrev_b32_e32 v19, 2, v19
	;;#ASMSTART
	v_nop
 v_nop
 v_max_f32_dpp v20, v20, v20 row_ror:8
	;;#ASMEND
	ds_bpermute_b32 v20, v19, v20
	s_waitcnt lgkmcnt(0)
	;;#ASMSTART
	v_nop
 v_nop
 v_max_f32_dpp v20, v20, v20 row_ror:4
	;;#ASMEND
	s_nop 0
	;;#ASMSTART
	v_nop
 v_nop
 v_max_f32_dpp v26, v20, v20 row_ror:8
	;;#ASMEND
	s_nop 0
	v_sub_f32_e32 v20, v23, v26
	v_mul_f32_e32 v20, 0x3fb8aa3b, v20
	v_sub_f32_e32 v21, v27, v26
	v_exp_f32_e32 v20, v20
	v_mul_f32_e32 v21, 0x3fb8aa3b, v21
	v_sub_f32_e32 v23, v28, v26
	v_exp_f32_e32 v21, v21
	;; [unrolled: 3-line block ×3, first 2 shown]
	v_mul_f32_e32 v27, 0x3fb8aa3b, v27
	v_exp_f32_e32 v27, v27
	v_cndmask_b32_e32 v20, 0, v20, vcc
	v_add_f32_e32 v22, 0, v20
	v_cndmask_b32_e64 v21, 0, v21, s[0:1]
	v_add_f32_e32 v28, v22, v21
	v_cndmask_b32_e64 v22, 0, v23, s[4:5]
	;; [unrolled: 2-line block ×3, first 2 shown]
	v_add_f32_e32 v27, v28, v23
	;;#ASMSTART
	v_nop
 v_nop
 v_add_f32_dpp v27, v27, v27 row_ror:4
	;;#ASMEND
	v_cmp_gt_u32_e32 vcc, 4, v24
	;;#ASMSTART
	v_nop
 v_nop
 v_add_f32_dpp v27, v27, v27 row_ror:8
	;;#ASMEND
	ds_bpermute_b32 v19, v19, v27
	s_waitcnt lgkmcnt(0)
	;;#ASMSTART
	v_nop
 v_nop
 v_add_f32_dpp v19, v19, v19 row_ror:4
	;;#ASMEND
	s_nop 0
	;;#ASMSTART
	v_nop
 v_nop
 v_add_f32_dpp v19, v19, v19 row_ror:8
	;;#ASMEND
	s_and_saveexec_b64 s[0:1], vcc
	s_cbranch_execz .LBB851_12
; %bb.11:
	v_mul_u32_u24_e32 v27, 20, v1
	v_lshl_add_u32 v27, v25, 2, v27
	v_add_u32_e32 v27, 0x800, v27
	ds_write2_b32 v27, v26, v19 offset0:128 offset1:148
.LBB851_12:
	s_or_b64 exec, exec, s[0:1]
.LBB851_13:
	s_or_b64 exec, exec, s[30:31]
	v_lshlrev_b32_e32 v19, 2, v25
	v_add_u32_e32 v19, 0x800, v19
	s_waitcnt lgkmcnt(0)
	s_barrier
	s_load_dword s0, s[28:29], 0x8
	ds_read2_b32 v[28:29], v19 offset0:128 offset1:133
	ds_read2_b32 v[30:31], v19 offset0:138 offset1:143
	s_mov_b32 s4, 0xff7fffff
	s_mul_i32 s1, s2, s44
	ds_read2_b32 v[32:33], v19 offset0:148 offset1:153
	s_waitcnt lgkmcnt(0)
	v_max3_f32 v25, v28, s4, v29
	s_mul_i32 s1, s1, s0
	v_max3_f32 v25, v25, v30, v31
	s_lshl_b32 s0, s1, 2
	s_mov_b32 s1, 0
	v_sub_f32_e32 v27, v28, v25
	v_sub_f32_e32 v28, v29, v25
	s_lshl_b64 s[2:3], s[0:1], 2
	v_mul_f32_e32 v27, 0x3fb8aa3b, v27
	v_mul_f32_e32 v28, 0x3fb8aa3b, v28
	s_mov_b32 s25, s1
	s_add_u32 s1, s12, s2
	v_exp_f32_e32 v27, v27
	v_exp_f32_e32 v34, v28
	ds_read2_b32 v[28:29], v19 offset0:158 offset1:163
	v_sub_f32_e32 v19, v30, v25
	s_addc_u32 s8, s13, s3
	v_mul_f32_e32 v19, 0x3fb8aa3b, v19
	v_sub_f32_e32 v30, v31, v25
	s_add_u32 s4, s14, s2
	v_exp_f32_e32 v19, v19
	v_mul_f32_e32 v30, 0x3fb8aa3b, v30
	s_addc_u32 s5, s15, s3
	s_lshl_b64 s[2:3], s[24:25], 2
	v_exp_f32_e32 v30, v30
	s_add_u32 s4, s4, s2
	v_fma_f32 v27, v27, v32, 0
	s_addc_u32 s5, s5, s3
	v_fmac_f32_e32 v27, v34, v33
	s_waitcnt lgkmcnt(0)
	v_fmac_f32_e32 v27, v19, v28
	s_add_u32 s2, s1, s2
	v_mul_lo_u32 v18, s44, v18
	v_mov_b32_e32 v19, 0
	v_fmac_f32_e32 v27, v30, v29
	s_addc_u32 s3, s8, s3
	v_lshlrev_b64 v[28:29], 2, v[18:19]
	v_lshl_add_u64 v[30:31], s[4:5], 0, v[28:29]
	v_lshl_add_u64 v[28:29], s[2:3], 0, v[28:29]
	v_mov_b32_e32 v18, v19
	global_store_dword v[30:31], v25, off
	global_store_dword v[28:29], v27, off
	s_and_saveexec_b64 s[2:3], s[6:7]
	s_cbranch_execz .LBB851_15
; %bb.14:
	v_add_f32_e32 v18, 0x358637bd, v27
	v_div_scale_f32 v19, s[4:5], v18, v18, 1.0
	v_rcp_f32_e32 v27, v19
	v_div_scale_f32 v28, vcc, 1.0, v18, 1.0
	v_sub_f32_e32 v25, v26, v25
	v_fma_f32 v29, -v19, v27, 1.0
	v_fmac_f32_e32 v27, v29, v27
	v_mul_f32_e32 v29, v28, v27
	v_fma_f32 v30, -v19, v29, v28
	v_mul_f32_e32 v25, 0x3fb8aa3b, v25
	v_fmac_f32_e32 v29, v30, v27
	v_exp_f32_e32 v25, v25
	v_fma_f32 v19, -v19, v29, v28
	v_div_fmas_f32 v19, v19, v27, v29
	v_div_fixup_f32 v18, v19, v18, 1.0
	v_mul_f32_e32 v18, v25, v18
	v_pk_mul_f32 v[22:23], v[22:23], v[18:19] op_sel_hi:[1,0]
	v_pk_mul_f32 v[18:19], v[20:21], v[18:19] op_sel_hi:[1,0]
	v_cvt_f16_f32_e32 v22, v22
	v_cvt_f16_f32_e32 v18, v18
	;; [unrolled: 1-line block ×4, first 2 shown]
	s_waitcnt vmcnt(4)
	v_cvt_pk_f32_fp8_e32 v[20:21], v14
	v_cvt_pk_f32_fp8_e32 v[26:27], v15
	v_pack_b32_f16 v18, v18, v19
	v_pack_b32_f16 v19, v22, v23
	v_cvt_pk_f32_fp8_sdwa v[22:23], v14 src0_sel:WORD_1
	v_cvt_pkrtz_f16_f32 v14, v20, v21
	v_cvt_pk_f32_fp8_sdwa v[20:21], v15 src0_sel:WORD_1
	s_load_dword s4, s[10:11], 0x0
	v_cvt_pkrtz_f16_f32 v15, v22, v23
	v_cvt_pkrtz_f16_f32 v22, v26, v27
	;; [unrolled: 1-line block ×3, first 2 shown]
	v_mfma_f32_4x4x4_16b_f16 a[0:3], v[18:19], v[14:15], 0 cbsz:4
	v_cvt_pk_f32_fp8_e32 v[14:15], v16
	v_cvt_pk_f32_fp8_sdwa v[20:21], v16 src0_sel:WORD_1
	v_mfma_f32_4x4x4_16b_f16 a[0:3], v[18:19], v[22:23], a[0:3] cbsz:4 abid:1
	v_cvt_pk_f32_fp8_e32 v[22:23], v17
	v_cvt_pk_f32_fp8_sdwa v[16:17], v17 src0_sel:WORD_1
	v_cvt_pkrtz_f16_f32 v14, v14, v15
	v_cvt_pkrtz_f16_f32 v15, v20, v21
	;; [unrolled: 1-line block ×4, first 2 shown]
	v_mfma_f32_4x4x4_16b_f16 a[0:3], v[18:19], v[14:15], a[0:3] cbsz:4 abid:2
	v_cvt_pk_f32_fp8_e32 v[14:15], v6
	v_cvt_pk_f32_fp8_sdwa v[16:17], v6 src0_sel:WORD_1
	v_mfma_f32_4x4x4_16b_f16 a[0:3], v[18:19], v[20:21], a[0:3] cbsz:4 abid:3
	v_cvt_pk_f32_fp8_e32 v[20:21], v7
	v_cvt_pkrtz_f16_f32 v6, v14, v15
	v_cvt_pk_f32_fp8_sdwa v[14:15], v7 src0_sel:WORD_1
	v_cvt_pkrtz_f16_f32 v7, v16, v17
	v_cvt_pkrtz_f16_f32 v16, v20, v21
	s_mov_b32 s1, 0x5040100
	v_mfma_f32_4x4x4_16b_f16 a[0:3], v[18:19], v[6:7], a[0:3] cbsz:4 abid:4
	v_cvt_pkrtz_f16_f32 v17, v14, v15
	v_cvt_pk_f32_fp8_e32 v[6:7], v8
	v_cvt_pk_f32_fp8_sdwa v[14:15], v8 src0_sel:WORD_1
	v_mfma_f32_4x4x4_16b_f16 a[0:3], v[18:19], v[16:17], a[0:3] cbsz:4 abid:5
	v_cvt_pk_f32_fp8_e32 v[16:17], v9
	v_cvt_pk_f32_fp8_sdwa v[8:9], v9 src0_sel:WORD_1
	v_cvt_pkrtz_f16_f32 v6, v6, v7
	v_cvt_pkrtz_f16_f32 v7, v14, v15
	;; [unrolled: 1-line block ×4, first 2 shown]
	v_mfma_f32_4x4x4_16b_f16 a[0:3], v[18:19], v[6:7], a[0:3] cbsz:4 abid:6
	s_waitcnt vmcnt(2)
	v_cvt_pk_f32_fp8_e32 v[6:7], v10
	v_cvt_pk_f32_fp8_sdwa v[8:9], v10 src0_sel:WORD_1
	v_mfma_f32_4x4x4_16b_f16 a[0:3], v[18:19], v[14:15], a[0:3] cbsz:4 abid:7
	v_cvt_pk_f32_fp8_e32 v[14:15], v11
	v_cvt_pk_f32_fp8_sdwa v[10:11], v11 src0_sel:WORD_1
	v_cvt_pkrtz_f16_f32 v6, v6, v7
	v_cvt_pkrtz_f16_f32 v7, v8, v9
	;; [unrolled: 1-line block ×4, first 2 shown]
	v_mfma_f32_4x4x4_16b_f16 a[0:3], v[18:19], v[6:7], a[0:3] cbsz:4 abid:8
	v_cvt_pk_f32_fp8_e32 v[6:7], v12
	v_cvt_pk_f32_fp8_e32 v[10:11], v13
	v_mfma_f32_4x4x4_16b_f16 a[0:3], v[18:19], v[8:9], a[0:3] cbsz:4 abid:9
	v_cvt_pk_f32_fp8_sdwa v[8:9], v12 src0_sel:WORD_1
	v_cvt_pk_f32_fp8_sdwa v[12:13], v13 src0_sel:WORD_1
	v_cvt_pkrtz_f16_f32 v6, v6, v7
	v_cvt_pkrtz_f16_f32 v7, v8, v9
	;; [unrolled: 1-line block ×3, first 2 shown]
	s_nop 0
	v_mfma_f32_4x4x4_16b_f16 a[0:3], v[18:19], v[6:7], a[0:3] cbsz:4 abid:10
	v_cvt_pk_f32_fp8_e32 v[6:7], v2
	v_cvt_pkrtz_f16_f32 v9, v12, v13
	v_cvt_pk_f32_fp8_e32 v[10:11], v3
	s_nop 0
	v_mfma_f32_4x4x4_16b_f16 a[0:3], v[18:19], v[8:9], a[0:3] cbsz:4 abid:11
	v_cvt_pk_f32_fp8_sdwa v[8:9], v2 src0_sel:WORD_1
	v_cvt_pkrtz_f16_f32 v2, v6, v7
	v_cvt_pk_f32_fp8_sdwa v[6:7], v3 src0_sel:WORD_1
	v_cvt_pkrtz_f16_f32 v3, v8, v9
	v_cvt_pkrtz_f16_f32 v8, v10, v11
	s_nop 0
	v_mfma_f32_4x4x4_16b_f16 a[0:3], v[18:19], v[2:3], a[0:3] cbsz:4 abid:12
	v_cvt_pkrtz_f16_f32 v9, v6, v7
	v_cvt_pk_f32_fp8_e32 v[2:3], v4
	v_cvt_pk_f32_fp8_sdwa v[6:7], v4 src0_sel:WORD_1
	v_mfma_f32_4x4x4_16b_f16 a[0:3], v[18:19], v[8:9], a[0:3] cbsz:4 abid:13
	v_cvt_pk_f32_fp8_e32 v[8:9], v5
	v_cvt_pk_f32_fp8_sdwa v[4:5], v5 src0_sel:WORD_1
	v_cvt_pkrtz_f16_f32 v2, v2, v3
	v_cvt_pkrtz_f16_f32 v3, v6, v7
	v_cvt_pkrtz_f16_f32 v6, v8, v9
	v_cvt_pkrtz_f16_f32 v7, v4, v5
	v_mfma_f32_4x4x4_16b_f16 a[0:3], v[18:19], v[2:3], a[0:3] cbsz:4 abid:14
	s_nop 1
	v_mfma_f32_4x4x4_16b_f16 a[0:3], v[18:19], v[6:7], a[0:3] cbsz:4 abid:15
	s_nop 4
	v_accvgpr_read_b32 v5, a1
	v_accvgpr_read_b32 v3, a3
	;; [unrolled: 1-line block ×4, first 2 shown]
	s_waitcnt lgkmcnt(0)
	v_pk_mul_f32 v[2:3], v[2:3], s[4:5] op_sel_hi:[1,0]
	v_pk_mul_f32 v[4:5], v[4:5], s[4:5] op_sel_hi:[1,0]
	v_cvt_f16_f32_e32 v2, v2
	v_cvt_f16_f32_e32 v4, v4
	;; [unrolled: 1-line block ×4, first 2 shown]
	v_perm_b32 v18, v5, v4, s1
	v_perm_b32 v19, v3, v2, s1
.LBB851_15:
	s_or_b64 exec, exec, s[2:3]
	v_lshlrev_b32_e32 v1, 3, v1
	v_mad_u32_u24 v1, v24, 40, v1
	v_cmp_gt_u32_e32 vcc, 64, v0
	ds_write_b64 v1, v[18:19]
	s_waitcnt lgkmcnt(0)
	s_barrier
	s_and_saveexec_b64 s[2:3], vcc
	s_cbranch_execz .LBB851_17
; %bb.16:
	v_mul_u32_u24_e32 v1, 40, v24
	s_waitcnt vmcnt(3)
	ds_read2_b64 v[2:5], v1 offset1:1
	ds_read2_b64 v[6:9], v1 offset0:2 offset1:3
	s_mov_b32 s1, 0
	s_lshl_b32 s0, s0, 6
	s_lshl_b64 s[2:3], s[0:1], 1
	s_add_u32 s2, s26, s2
	s_addc_u32 s3, s27, s3
	s_lshl_b32 s0, s24, 6
	s_lshl_b64 s[0:1], s[0:1], 1
	s_waitcnt lgkmcnt(1)
	v_pk_add_f16 v1, v2, 0
	v_pk_add_f16 v2, v3, 0
	s_add_u32 s0, s2, s0
	v_pk_add_f16 v2, v2, v5
	s_addc_u32 s1, s3, s1
	s_lshl_b32 s2, s44, 6
	v_pk_add_f16 v1, v1, v4
	s_waitcnt lgkmcnt(0)
	v_pk_add_f16 v2, v2, v7
	s_mul_i32 s3, s2, s33
	v_pk_add_f16 v1, v1, v6
	v_pk_add_f16 v6, v2, v9
	v_or_b32_e32 v2, s3, v0
	v_mov_b32_e32 v3, 0
	s_add_i32 s3, s3, s2
	v_pk_add_f16 v1, v1, v8
	v_lshl_add_u64 v[4:5], v[2:3], 1, s[0:1]
	v_or_b32_e32 v2, s3, v0
	s_add_i32 s3, s3, s2
	global_store_short v[4:5], v1, off
	v_lshl_add_u64 v[4:5], v[2:3], 1, s[0:1]
	v_or_b32_e32 v2, s3, v0
	s_add_i32 s3, s3, s2
	global_store_short_d16_hi v[4:5], v1, off
	v_lshl_add_u64 v[4:5], v[2:3], 1, s[0:1]
	v_or_b32_e32 v2, s3, v0
	v_lshl_add_u64 v[0:1], v[2:3], 1, s[0:1]
	global_store_short v[4:5], v6, off
	global_store_short_d16_hi v[0:1], v6, off
.LBB851_17:
	s_endpgm
.LBB851_18:
	s_mov_b64 s[8:9], 0
                                        ; implicit-def: $sgpr34_sgpr35
	s_branch .LBB851_2
	.section	.rodata,"a",@progbits
	.p2align	6, 0x0
	.amdhsa_kernel _Z38paged_attention_ll4mi_QKV_mfma4_kernelIDF16_hLN4vllm18Fp8KVCacheDataTypeE1EhLi32ELi64ELi256ELb1ELi4EEvPKT_PKT0_S7_ifPKiS9_S9_iPKfiiiPfSC_PS2_PT2_iSB_SB_
		.amdhsa_group_segment_fixed_size 2720
		.amdhsa_private_segment_fixed_size 0
		.amdhsa_kernarg_size 400
		.amdhsa_user_sgpr_count 2
		.amdhsa_user_sgpr_dispatch_ptr 0
		.amdhsa_user_sgpr_queue_ptr 0
		.amdhsa_user_sgpr_kernarg_segment_ptr 1
		.amdhsa_user_sgpr_dispatch_id 0
		.amdhsa_user_sgpr_kernarg_preload_length 0
		.amdhsa_user_sgpr_kernarg_preload_offset 0
		.amdhsa_user_sgpr_private_segment_size 0
		.amdhsa_uses_dynamic_stack 0
		.amdhsa_enable_private_segment 0
		.amdhsa_system_sgpr_workgroup_id_x 1
		.amdhsa_system_sgpr_workgroup_id_y 1
		.amdhsa_system_sgpr_workgroup_id_z 1
		.amdhsa_system_sgpr_workgroup_info 0
		.amdhsa_system_vgpr_workitem_id 0
		.amdhsa_next_free_vgpr 88
		.amdhsa_next_free_sgpr 45
		.amdhsa_accum_offset 84
		.amdhsa_reserve_vcc 1
		.amdhsa_float_round_mode_32 0
		.amdhsa_float_round_mode_16_64 0
		.amdhsa_float_denorm_mode_32 3
		.amdhsa_float_denorm_mode_16_64 3
		.amdhsa_dx10_clamp 1
		.amdhsa_ieee_mode 1
		.amdhsa_fp16_overflow 0
		.amdhsa_tg_split 0
		.amdhsa_exception_fp_ieee_invalid_op 0
		.amdhsa_exception_fp_denorm_src 0
		.amdhsa_exception_fp_ieee_div_zero 0
		.amdhsa_exception_fp_ieee_overflow 0
		.amdhsa_exception_fp_ieee_underflow 0
		.amdhsa_exception_fp_ieee_inexact 0
		.amdhsa_exception_int_div_zero 0
	.end_amdhsa_kernel
	.section	.text._Z38paged_attention_ll4mi_QKV_mfma4_kernelIDF16_hLN4vllm18Fp8KVCacheDataTypeE1EhLi32ELi64ELi256ELb1ELi4EEvPKT_PKT0_S7_ifPKiS9_S9_iPKfiiiPfSC_PS2_PT2_iSB_SB_,"axG",@progbits,_Z38paged_attention_ll4mi_QKV_mfma4_kernelIDF16_hLN4vllm18Fp8KVCacheDataTypeE1EhLi32ELi64ELi256ELb1ELi4EEvPKT_PKT0_S7_ifPKiS9_S9_iPKfiiiPfSC_PS2_PT2_iSB_SB_,comdat
.Lfunc_end851:
	.size	_Z38paged_attention_ll4mi_QKV_mfma4_kernelIDF16_hLN4vllm18Fp8KVCacheDataTypeE1EhLi32ELi64ELi256ELb1ELi4EEvPKT_PKT0_S7_ifPKiS9_S9_iPKfiiiPfSC_PS2_PT2_iSB_SB_, .Lfunc_end851-_Z38paged_attention_ll4mi_QKV_mfma4_kernelIDF16_hLN4vllm18Fp8KVCacheDataTypeE1EhLi32ELi64ELi256ELb1ELi4EEvPKT_PKT0_S7_ifPKiS9_S9_iPKfiiiPfSC_PS2_PT2_iSB_SB_
                                        ; -- End function
	.section	.AMDGPU.csdata,"",@progbits
; Kernel info:
; codeLenInByte = 3828
; NumSgprs: 51
; NumVgprs: 82
; NumAgprs: 4
; TotalNumVgprs: 88
; ScratchSize: 0
; MemoryBound: 0
; FloatMode: 240
; IeeeMode: 1
; LDSByteSize: 2720 bytes/workgroup (compile time only)
; SGPRBlocks: 6
; VGPRBlocks: 10
; NumSGPRsForWavesPerEU: 51
; NumVGPRsForWavesPerEU: 88
; AccumOffset: 84
; Occupancy: 5
; WaveLimiterHint : 1
; COMPUTE_PGM_RSRC2:SCRATCH_EN: 0
; COMPUTE_PGM_RSRC2:USER_SGPR: 2
; COMPUTE_PGM_RSRC2:TRAP_HANDLER: 0
; COMPUTE_PGM_RSRC2:TGID_X_EN: 1
; COMPUTE_PGM_RSRC2:TGID_Y_EN: 1
; COMPUTE_PGM_RSRC2:TGID_Z_EN: 1
; COMPUTE_PGM_RSRC2:TIDIG_COMP_CNT: 0
; COMPUTE_PGM_RSRC3_GFX90A:ACCUM_OFFSET: 20
; COMPUTE_PGM_RSRC3_GFX90A:TG_SPLIT: 0
	.section	.text._Z39paged_attention_ll4mi_QKV_mfma16_kernelIDF16_hLN4vllm18Fp8KVCacheDataTypeE1EhLi32ELi64ELi256ELb1ELi5EEvPKT_PKT0_S7_ifPKiS9_S9_iPKfiiiPfSC_PS2_PT2_iSB_SB_,"axG",@progbits,_Z39paged_attention_ll4mi_QKV_mfma16_kernelIDF16_hLN4vllm18Fp8KVCacheDataTypeE1EhLi32ELi64ELi256ELb1ELi5EEvPKT_PKT0_S7_ifPKiS9_S9_iPKfiiiPfSC_PS2_PT2_iSB_SB_,comdat
	.protected	_Z39paged_attention_ll4mi_QKV_mfma16_kernelIDF16_hLN4vllm18Fp8KVCacheDataTypeE1EhLi32ELi64ELi256ELb1ELi5EEvPKT_PKT0_S7_ifPKiS9_S9_iPKfiiiPfSC_PS2_PT2_iSB_SB_ ; -- Begin function _Z39paged_attention_ll4mi_QKV_mfma16_kernelIDF16_hLN4vllm18Fp8KVCacheDataTypeE1EhLi32ELi64ELi256ELb1ELi5EEvPKT_PKT0_S7_ifPKiS9_S9_iPKfiiiPfSC_PS2_PT2_iSB_SB_
	.globl	_Z39paged_attention_ll4mi_QKV_mfma16_kernelIDF16_hLN4vllm18Fp8KVCacheDataTypeE1EhLi32ELi64ELi256ELb1ELi5EEvPKT_PKT0_S7_ifPKiS9_S9_iPKfiiiPfSC_PS2_PT2_iSB_SB_
	.p2align	8
	.type	_Z39paged_attention_ll4mi_QKV_mfma16_kernelIDF16_hLN4vllm18Fp8KVCacheDataTypeE1EhLi32ELi64ELi256ELb1ELi5EEvPKT_PKT0_S7_ifPKiS9_S9_iPKfiiiPfSC_PS2_PT2_iSB_SB_,@function
_Z39paged_attention_ll4mi_QKV_mfma16_kernelIDF16_hLN4vllm18Fp8KVCacheDataTypeE1EhLi32ELi64ELi256ELb1ELi5EEvPKT_PKT0_S7_ifPKiS9_S9_iPKfiiiPfSC_PS2_PT2_iSB_SB_: ; @_Z39paged_attention_ll4mi_QKV_mfma16_kernelIDF16_hLN4vllm18Fp8KVCacheDataTypeE1EhLi32ELi64ELi256ELb1ELi5EEvPKT_PKT0_S7_ifPKiS9_S9_iPKfiiiPfSC_PS2_PT2_iSB_SB_
; %bb.0:
	s_load_dwordx2 s[6:7], s[0:1], 0x30
	s_mov_b32 s28, s3
	s_mov_b64 s[8:9], 0
	s_waitcnt lgkmcnt(0)
	s_cmp_lg_u64 s[6:7], 0
	s_cselect_b64 s[10:11], -1, 0
	s_and_b64 vcc, exec, s[10:11]
	s_cbranch_vccz .LBB852_7
; %bb.1:
	s_add_i32 s12, s2, 1
	s_mov_b32 s13, 0
	s_lshl_b64 s[14:15], s[12:13], 2
	s_add_u32 s14, s6, s14
	s_mov_b32 s3, s13
	s_addc_u32 s15, s7, s15
	s_lshl_b64 s[12:13], s[2:3], 2
	s_add_u32 s12, s6, s12
	s_addc_u32 s13, s7, s13
	s_load_dword s5, s[14:15], 0x0
	s_load_dword s16, s[12:13], 0x0
	s_waitcnt lgkmcnt(0)
	s_sub_i32 s5, s5, s16
	s_cmp_eq_u32 s5, 1
	s_cselect_b64 s[12:13], -1, 0
	s_andn2_b64 vcc, exec, s[8:9]
	s_cbranch_vccnz .LBB852_3
.LBB852_2:
	s_mov_b32 s3, 0
	s_mov_b64 s[12:13], -1
.LBB852_3:
	s_andn2_b64 vcc, exec, s[12:13]
	s_cbranch_vccnz .LBB852_20
; %bb.4:
	s_load_dwordx2 s[8:9], s[0:1], 0x28
	s_lshl_b64 s[12:13], s[2:3], 2
	s_waitcnt lgkmcnt(0)
	s_add_u32 s8, s8, s12
	s_addc_u32 s9, s9, s13
	s_load_dword s29, s[8:9], 0x0
	s_lshl_b32 s16, s28, 8
	s_waitcnt lgkmcnt(0)
	s_cmp_ge_i32 s16, s29
	s_cbranch_scc1 .LBB852_20
; %bb.5:
	s_load_dwordx2 s[8:9], s[0:1], 0x20
	s_load_dword s5, s[0:1], 0x38
	s_add_i32 s14, s29, 31
	s_ashr_i32 s15, s14, 31
	v_and_b32_e32 v1, 0xcf, v0
	s_lshr_b32 s15, s15, 27
	v_add_u32_e32 v1, s16, v1
	s_add_i32 s14, s14, s15
	v_ashrrev_i32_e32 v2, 31, v1
	s_ashr_i32 s17, s14, 5
	v_lshrrev_b32_e32 v4, 27, v2
	s_add_i32 s17, s17, -1
	s_waitcnt lgkmcnt(0)
	s_mul_i32 s14, s2, s5
	s_mov_b32 s15, 0
	v_add_u32_e32 v2, v1, v4
	s_lshl_b64 s[14:15], s[14:15], 2
	v_ashrrev_i32_e32 v2, 5, v2
	v_mov_b32_e32 v5, s17
	v_cmp_gt_i32_e32 vcc, s29, v1
	s_add_u32 s8, s8, s14
	s_addc_u32 s9, s9, s15
	v_cndmask_b32_e32 v2, v5, v2, vcc
	v_ashrrev_i32_e32 v3, 31, v2
	v_lshl_add_u64 v[6:7], v[2:3], 2, s[8:9]
	v_or_b32_e32 v2, 16, v1
	v_add_u32_e32 v3, v2, v4
	v_ashrrev_i32_e32 v3, 5, v3
	v_cmp_gt_i32_e32 vcc, s29, v2
	s_load_dwordx2 s[14:15], s[0:1], 0x8
	s_nop 0
	v_cndmask_b32_e32 v2, v5, v3, vcc
	v_ashrrev_i32_e32 v3, 31, v2
	v_lshl_add_u64 v[8:9], v[2:3], 2, s[8:9]
	v_or_b32_e32 v2, 32, v1
	v_add_u32_e32 v3, v2, v4
	v_ashrrev_i32_e32 v3, 5, v3
	v_cmp_gt_i32_e32 vcc, s29, v2
	v_or_b32_e32 v1, 48, v1
	s_nop 0
	v_cndmask_b32_e32 v2, v5, v3, vcc
	v_ashrrev_i32_e32 v3, 31, v2
	v_lshl_add_u64 v[10:11], v[2:3], 2, s[8:9]
	v_add_u32_e32 v2, v1, v4
	v_ashrrev_i32_e32 v2, 5, v2
	v_cmp_gt_i32_e32 vcc, s29, v1
	s_nop 1
	v_cndmask_b32_e32 v2, v5, v2, vcc
	v_ashrrev_i32_e32 v3, 31, v2
	v_lshl_add_u64 v[12:13], v[2:3], 2, s[8:9]
	global_load_dword v5, v[6:7], off
	global_load_dword v4, v[8:9], off
	;; [unrolled: 1-line block ×4, first 2 shown]
	s_andn2_b64 vcc, exec, s[10:11]
	s_cbranch_vccnz .LBB852_8
; %bb.6:
	s_add_u32 s6, s6, s12
	s_addc_u32 s7, s7, s13
	s_load_dword s5, s[6:7], 0x0
	s_branch .LBB852_9
.LBB852_7:
	s_mov_b64 s[12:13], 0
	s_branch .LBB852_2
.LBB852_8:
	s_mov_b32 s5, s2
.LBB852_9:
	s_load_dwordx2 s[10:11], s[0:1], 0x10
	s_load_dwordx4 s[44:47], s[0:1], 0x48
	v_lshrrev_b32_e32 v29, 6, v0
	v_bfe_u32 v42, v0, 4, 2
	v_lshl_or_b32 v6, v29, 2, v42
	v_and_b32_e32 v28, 15, v0
	v_lshlrev_b32_e32 v1, 3, v28
	v_cmp_gt_u32_e32 vcc, 5, v6
	v_cmp_gt_u32_e64 s[30:31], 8, v28
	s_mul_i32 s48, s4, 5
	s_and_b64 s[12:13], s[30:31], vcc
	v_lshlrev_b32_e32 v26, 1, v1
	v_lshlrev_b32_e32 v1, 4, v0
	s_and_saveexec_b64 s[6:7], s[12:13]
	s_cbranch_execz .LBB852_11
; %bb.10:
	s_load_dwordx2 s[12:13], s[0:1], 0x0
	s_waitcnt lgkmcnt(0)
	s_ashr_i32 s18, s44, 31
	s_mul_hi_u32 s19, s5, s44
	s_mul_i32 s18, s5, s18
	s_add_i32 s19, s19, s18
	s_mul_i32 s18, s5, s44
	s_lshl_b64 s[18:19], s[18:19], 1
	s_add_u32 s12, s12, s18
	v_add_lshl_u32 v8, v6, s48, 6
	s_addc_u32 s13, s13, s19
	v_ashrrev_i32_e32 v9, 31, v8
	v_lshl_add_u64 v[8:9], v[8:9], 1, s[12:13]
	v_mov_b32_e32 v27, 0
	v_lshl_add_u64 v[8:9], v[8:9], 0, v[26:27]
	global_load_dwordx4 v[8:11], v[8:9], off
	v_lshlrev_b32_e32 v12, 8, v28
	v_lshlrev_b32_e32 v6, 5, v6
	v_and_b32_e32 v7, 16, v1
	v_and_b32_e32 v12, 0xe00, v12
	v_or3_b32 v6, v12, v6, v7
	s_waitcnt vmcnt(0)
	ds_write_b128 v6, v[8:11]
.LBB852_11:
	s_or_b64 exec, exec, s[6:7]
	s_waitcnt lgkmcnt(0)
	s_mul_i32 s12, s4, s46
	s_add_u32 s4, s14, s12
	s_addc_u32 s5, s15, 0
	v_mov_b32_e32 v31, 0
	v_mov_b64_e32 v[6:7], s[4:5]
	v_lshlrev_b32_e32 v10, 4, v28
	v_and_b32_e32 v27, 48, v0
	s_waitcnt vmcnt(3)
	v_mad_i64_i32 v[8:9], s[4:5], v5, s45, v[6:7]
	v_mov_b32_e32 v11, v31
	s_waitcnt vmcnt(2)
	v_mad_i64_i32 v[4:5], s[4:5], v4, s45, v[6:7]
	v_or_b32_e32 v12, 0x100, v10
	v_mov_b32_e32 v13, v31
	v_lshlrev_b32_e32 v30, 5, v27
	v_lshl_add_u64 v[8:9], v[8:9], 0, v[10:11]
	v_lshl_add_u64 v[4:5], v[4:5], 0, v[12:13]
	;; [unrolled: 1-line block ×4, first 2 shown]
	s_barrier
	global_load_dwordx4 v[22:25], v[8:9], off
	global_load_dwordx4 v[18:21], v[4:5], off
	s_waitcnt vmcnt(3)
	v_mad_i64_i32 v[4:5], s[4:5], v3, s45, v[6:7]
	v_lshl_add_u64 v[4:5], v[4:5], 0, v[10:11]
	s_waitcnt vmcnt(2)
	v_mad_i64_i32 v[2:3], s[4:5], v2, s45, v[6:7]
	v_lshl_add_u64 v[4:5], v[4:5], 0, v[30:31]
	v_lshl_add_u64 v[2:3], v[2:3], 0, v[12:13]
	;; [unrolled: 1-line block ×3, first 2 shown]
	global_load_dwordx4 v[14:17], v[4:5], off
	global_load_dwordx4 v[6:9], v[2:3], off
	v_mul_lo_u16_e32 v2, 52, v28
	v_mov_b32_e32 v3, 5
	v_mul_lo_u16_sdwa v2, v2, v3 dst_sel:DWORD dst_unused:UNUSED_PAD src0_sel:BYTE_1 src1_sel:DWORD
	v_sub_u16_e32 v2, v28, v2
	v_lshlrev_b32_sdwa v2, v3, v2 dst_sel:DWORD dst_unused:UNUSED_PAD src0_sel:DWORD src1_sel:BYTE_0
	v_lshl_add_u32 v2, v42, 9, v2
	ds_read_b128 v[10:13], v2
	ds_read_b128 v[2:5], v2 offset:16
	v_and_b32_e32 v43, 63, v0
	v_cmp_gt_u32_e32 vcc, 5, v28
	v_mov_b32_e32 v44, 0
	s_and_saveexec_b64 s[4:5], vcc
	s_cbranch_execz .LBB852_13
; %bb.12:
	s_load_dwordx2 s[6:7], s[0:1], 0x40
	v_add_u32_e32 v32, s48, v28
	v_ashrrev_i32_e32 v33, 31, v32
	s_waitcnt lgkmcnt(0)
	v_lshl_add_u64 v[32:33], v[32:33], 2, s[6:7]
	global_load_dword v44, v[32:33], off
.LBB852_13:
	s_or_b64 exec, exec, s[4:5]
	s_ashr_i32 s4, s16, 31
	v_or_b32_e32 v45, s16, v27
	s_lshr_b32 s13, s4, 27
	v_add_u32_e32 v27, s13, v45
	v_ashrrev_i32_e32 v27, 5, v27
	s_waitcnt vmcnt(3)
	v_cvt_pk_f32_fp8_e32 v[32:33], v22
	v_cvt_pk_f32_fp8_sdwa v[34:35], v22 src0_sel:WORD_1
	s_waitcnt vmcnt(2)
	v_cvt_pk_f32_fp8_e32 v[56:57], v20
	v_cvt_pk_f32_fp8_sdwa v[58:59], v20 src0_sel:WORD_1
	v_mov_b32_e32 v20, s17
	v_cmp_gt_i32_e32 vcc, s29, v45
	v_cvt_pk_f32_fp8_e32 v[48:49], v18
	v_cvt_pk_f32_fp8_sdwa v[50:51], v18 src0_sel:WORD_1
	v_cndmask_b32_e32 v18, v20, v27, vcc
	v_cvt_pk_f32_fp8_e32 v[52:53], v19
	v_cvt_pk_f32_fp8_sdwa v[54:55], v19 src0_sel:WORD_1
	v_ashrrev_i32_e32 v19, 31, v18
	v_lshl_add_u64 v[18:19], v[18:19], 2, s[8:9]
	v_cvt_pk_f32_fp8_e32 v[36:37], v23
	v_cvt_pk_f32_fp8_sdwa v[22:23], v23 src0_sel:WORD_1
	global_load_dword v70, v[18:19], off
	v_cvt_pkrtz_f16_f32 v18, v32, v33
	v_cvt_pkrtz_f16_f32 v19, v34, v35
	v_cvt_pk_f32_fp8_e32 v[60:61], v21
	v_cvt_pk_f32_fp8_sdwa v[62:63], v21 src0_sel:WORD_1
	v_or_b32_e32 v21, 64, v45
	v_or_b32_e32 v32, 0x80, v45
	;; [unrolled: 1-line block ×3, first 2 shown]
	v_cmp_gt_i32_e32 vcc, s29, v21
	v_add_u32_e32 v21, s13, v21
	v_cmp_gt_i32_e64 s[4:5], s29, v32
	v_add_u32_e32 v32, s13, v32
	v_cmp_gt_i32_e64 s[6:7], s29, v33
	v_add_u32_e32 v33, s13, v33
	v_cvt_pk_f32_fp8_e32 v[38:39], v24
	v_cvt_pk_f32_fp8_sdwa v[40:41], v24 src0_sel:WORD_1
	v_ashrrev_i32_e32 v21, 5, v21
	v_ashrrev_i32_e32 v34, 5, v32
	;; [unrolled: 1-line block ×3, first 2 shown]
	v_cvt_pkrtz_f16_f32 v32, v36, v37
	v_cvt_pkrtz_f16_f32 v33, v22, v23
	v_cndmask_b32_e32 v36, v20, v21, vcc
	v_cndmask_b32_e64 v64, v20, v34, s[4:5]
	v_cndmask_b32_e64 v66, v20, v35, s[6:7]
	s_waitcnt lgkmcnt(1)
	v_mfma_f32_16x16x16_f16 v[18:21], v[18:19], v[10:11], 0
	v_cvt_pk_f32_fp8_e32 v[46:47], v25
	v_cvt_pkrtz_f16_f32 v22, v48, v49
	v_cvt_pkrtz_f16_f32 v23, v50, v51
	v_cvt_pk_f32_fp8_sdwa v[24:25], v25 src0_sel:WORD_1
	v_cvt_pkrtz_f16_f32 v38, v38, v39
	v_cvt_pkrtz_f16_f32 v39, v40, v41
	v_mfma_f32_16x16x16_f16 v[32:35], v[32:33], v[12:13], v[18:21]
	s_add_u32 s10, s10, s12
	v_and_b32_e32 v30, 16, v0
	v_lshlrev_b32_e32 v27, 5, v28
	s_addc_u32 s11, s11, 0
	v_cvt_pkrtz_f16_f32 v68, v46, v47
	v_cvt_pkrtz_f16_f32 v46, v52, v53
	;; [unrolled: 1-line block ×3, first 2 shown]
	s_load_dword s14, s[0:1], 0x1c
	s_load_dwordx4 s[40:43], s[0:1], 0x80
	v_lshl_add_u64 v[40:41], s[10:11], 0, v[30:31]
	v_lshl_or_b32 v30, v29, 9, v27
	v_cvt_pkrtz_f16_f32 v69, v24, v25
	v_mfma_f32_16x16x16_f16 v[22:25], v[22:23], v[10:11], 0
	v_lshl_add_u64 v[18:19], v[40:41], 0, v[30:31]
	v_ashrrev_i32_e32 v37, 31, v36
	v_ashrrev_i32_e32 v65, 31, v64
	s_waitcnt lgkmcnt(0)
	v_mfma_f32_16x16x16_f16 v[30:33], v[38:39], v[2:3], v[32:35]
	v_ashrrev_i32_e32 v67, 31, v66
	v_cvt_pkrtz_f16_f32 v48, v56, v57
	v_cvt_pkrtz_f16_f32 v49, v58, v59
	v_mfma_f32_16x16x16_f16 v[20:23], v[46:47], v[12:13], v[22:25]
	v_lshl_add_u64 v[34:35], v[64:65], 2, s[8:9]
	s_load_dword s4, s[40:41], 0x0
	v_cvt_pkrtz_f16_f32 v50, v60, v61
	v_lshl_add_u64 v[24:25], v[36:37], 2, s[8:9]
	v_lshl_add_u64 v[36:37], v[66:67], 2, s[8:9]
	global_load_dword v47, v[24:25], off
	global_load_dword v45, v[34:35], off
	;; [unrolled: 1-line block ×3, first 2 shown]
	v_mfma_f32_16x16x16_f16 v[34:37], v[68:69], v[4:5], v[30:33]
	s_waitcnt vmcnt(5)
	v_cvt_pk_f32_fp8_e32 v[24:25], v14
	v_cvt_pkrtz_f16_f32 v51, v62, v63
	v_cvt_pk_f32_fp8_e32 v[38:39], v15
	v_cvt_pk_f32_fp8_sdwa v[32:33], v14 src0_sel:WORD_1
	v_mfma_f32_16x16x16_f16 v[20:23], v[48:49], v[2:3], v[20:23]
	v_cvt_pkrtz_f16_f32 v24, v24, v25
	v_cvt_pk_f32_fp8_sdwa v[14:15], v15 src0_sel:WORD_1
	v_cvt_pkrtz_f16_f32 v25, v32, v33
	v_mov_b32_e32 v40, s14
	v_mfma_f32_16x16x16_f16 v[20:23], v[50:51], v[4:5], v[20:23]
	v_cvt_pkrtz_f16_f32 v32, v38, v39
	v_cvt_pk_f32_fp8_e32 v[50:51], v16
	v_cvt_pk_f32_fp8_sdwa v[52:53], v16 src0_sel:WORD_1
	v_cvt_pkrtz_f16_f32 v33, v14, v15
	s_waitcnt lgkmcnt(0)
	v_mul_f32_e32 v48, s4, v40
	v_mfma_f32_16x16x16_f16 v[38:41], v[24:25], v[10:11], 0
	v_cvt_pkrtz_f16_f32 v24, v50, v51
	v_cvt_pkrtz_f16_f32 v25, v52, v53
	v_cvt_pk_f32_fp8_e32 v[50:51], v17
	v_cvt_pk_f32_fp8_sdwa v[52:53], v17 src0_sel:WORD_1
	v_mfma_f32_16x16x16_f16 v[14:17], v[32:33], v[12:13], v[38:41]
	v_pk_mul_f32 v[32:33], v[48:49], v[36:37] op_sel_hi:[0,1]
	v_cvt_pkrtz_f16_f32 v36, v50, v51
	v_cvt_pkrtz_f16_f32 v37, v52, v53
	v_mfma_f32_16x16x16_f16 v[14:17], v[24:25], v[2:3], v[14:17]
	v_pk_mul_f32 v[38:39], v[48:49], v[34:35] op_sel_hi:[0,1]
	s_waitcnt vmcnt(4)
	v_cvt_pk_f32_fp8_e32 v[24:25], v6
	v_cvt_pk_f32_fp8_sdwa v[34:35], v6 src0_sel:WORD_1
	v_mfma_f32_16x16x16_f16 v[14:17], v[36:37], v[4:5], v[14:17]
	v_cvt_pk_f32_fp8_e32 v[36:37], v7
	v_cvt_pkrtz_f16_f32 v24, v24, v25
	v_cvt_pkrtz_f16_f32 v25, v34, v35
	v_cvt_pk_f32_fp8_sdwa v[6:7], v7 src0_sel:WORD_1
	v_cvt_pkrtz_f16_f32 v40, v36, v37
	v_cvt_pk_f32_fp8_e32 v[50:51], v8
	v_cvt_pk_f32_fp8_sdwa v[52:53], v8 src0_sel:WORD_1
	v_cvt_pkrtz_f16_f32 v41, v6, v7
	v_mfma_f32_16x16x16_f16 v[34:37], v[24:25], v[10:11], 0
	v_cvt_pkrtz_f16_f32 v10, v50, v51
	v_cvt_pkrtz_f16_f32 v11, v52, v53
	v_cvt_pk_f32_fp8_e32 v[24:25], v9
	v_cvt_pk_f32_fp8_sdwa v[50:51], v9 src0_sel:WORD_1
	v_mfma_f32_16x16x16_f16 v[6:9], v[40:41], v[12:13], v[34:37]
	v_pk_mul_f32 v[40:41], v[48:49], v[20:21] op_sel_hi:[0,1]
	v_cvt_pkrtz_f16_f32 v12, v24, v25
	v_cvt_pkrtz_f16_f32 v13, v50, v51
	v_mfma_f32_16x16x16_f16 v[6:9], v[10:11], v[2:3], v[6:9]
	v_pk_mul_f32 v[36:37], v[48:49], v[22:23] op_sel_hi:[0,1]
	v_pk_mul_f32 v[24:25], v[48:49], v[16:17] op_sel_hi:[0,1]
	;; [unrolled: 1-line block ×3, first 2 shown]
	v_mfma_f32_16x16x16_f16 v[2:5], v[12:13], v[4:5], v[6:9]
	s_waitcnt vmcnt(3)
	v_mad_i64_i32 v[30:31], s[4:5], v70, s45, v[18:19]
	s_mov_b32 s33, 0xff7fffff
	s_nop 3
	v_pk_mul_f32 v[22:23], v[48:49], v[2:3] op_sel_hi:[0,1]
	v_and_b32_e32 v2, 0xc0, v0
	v_add_u32_e32 v2, s16, v2
	v_lshl_or_b32 v2, v42, 2, v2
	v_or_b32_e32 v3, 1, v2
	v_pk_mul_f32 v[20:21], v[48:49], v[4:5] op_sel_hi:[0,1]
	v_subrev_u32_e32 v4, s29, v3
	v_add_u32_e32 v6, 1, v4
	v_add_u32_e32 v7, 2, v4
	;; [unrolled: 1-line block ×3, first 2 shown]
	v_cvt_f32_i32_e32 v6, v6
	v_cvt_f32_i32_e32 v7, v7
	;; [unrolled: 1-line block ×3, first 2 shown]
	v_add_u32_e32 v9, 19, v4
	v_fmac_f32_e32 v39, v44, v6
	v_fma_f32 v32, v44, v7, v32
	v_fmac_f32_e32 v33, v44, v8
	v_add_u32_e32 v6, 16, v4
	v_add_u32_e32 v7, 17, v4
	;; [unrolled: 1-line block ×3, first 2 shown]
	v_cvt_f32_i32_e32 v6, v6
	v_cvt_f32_i32_e32 v7, v7
	;; [unrolled: 1-line block ×4, first 2 shown]
	v_fma_f32 v40, v44, v6, v40
	v_fmac_f32_e32 v41, v44, v7
	v_fma_f32 v36, v44, v8, v36
	v_add_u32_e32 v6, 32, v4
	v_add_u32_e32 v7, 33, v4
	;; [unrolled: 1-line block ×3, first 2 shown]
	v_cvt_f32_i32_e32 v6, v6
	v_cvt_f32_i32_e32 v7, v7
	;; [unrolled: 1-line block ×4, first 2 shown]
	v_fmac_f32_e32 v37, v44, v9
	v_add_u32_e32 v9, 35, v4
	v_fma_f32 v48, v44, v6, v34
	v_fmac_f32_e32 v35, v44, v7
	v_fma_f32 v24, v44, v8, v24
	v_add_u32_e32 v6, 48, v4
	v_add_u32_e32 v7, 49, v4
	;; [unrolled: 1-line block ×4, first 2 shown]
	v_cvt_f32_i32_e32 v4, v4
	v_cvt_f32_i32_e32 v6, v6
	;; [unrolled: 1-line block ×3, first 2 shown]
	v_fma_f32 v5, v44, v5, v38
	v_fmac_f32_e32 v21, v44, v4
	v_mov_b32_e32 v4, 0xff7fffff
	v_cmp_gt_i32_e64 s[4:5], s29, v2
	v_cmp_gt_i32_e64 s[34:35], s29, v3
	v_fma_f32 v22, v44, v6, v22
	v_cndmask_b32_e64 v6, v4, v5, s[4:5]
	v_cndmask_b32_e64 v3, v4, v39, s[34:35]
	v_fmac_f32_e32 v23, v44, v7
	v_max3_f32 v3, v6, s33, v3
	v_or_b32_e32 v6, 2, v2
	v_or_b32_e32 v7, 3, v2
	v_cmp_gt_i32_e64 s[36:37], s29, v6
	v_cmp_gt_i32_e64 s[38:39], s29, v7
	v_cvt_f32_i32_e32 v9, v9
	v_cndmask_b32_e64 v6, v4, v32, s[36:37]
	v_cndmask_b32_e64 v7, v4, v33, s[38:39]
	v_max3_f32 v3, v3, v6, v7
	v_or_b32_e32 v6, 16, v2
	v_or_b32_e32 v7, 17, v2
	v_cmp_gt_i32_e64 s[24:25], s29, v6
	v_cmp_gt_i32_e64 s[26:27], s29, v7
	v_fmac_f32_e32 v25, v44, v9
	v_cndmask_b32_e64 v6, v4, v40, s[24:25]
	v_cndmask_b32_e64 v7, v4, v41, s[26:27]
	v_max3_f32 v3, v3, v6, v7
	v_or_b32_e32 v6, 18, v2
	v_or_b32_e32 v7, 19, v2
	v_cmp_gt_i32_e64 s[20:21], s29, v6
	v_cmp_gt_i32_e64 s[22:23], s29, v7
	v_cvt_f32_i32_e32 v8, v8
	v_cndmask_b32_e64 v6, v4, v36, s[20:21]
	v_cndmask_b32_e64 v7, v4, v37, s[22:23]
	v_max3_f32 v3, v3, v6, v7
	v_or_b32_e32 v6, 32, v2
	v_or_b32_e32 v7, 33, v2
	v_cmp_gt_i32_e64 s[16:17], s29, v6
	v_cmp_gt_i32_e64 s[18:19], s29, v7
	v_fma_f32 v20, v44, v8, v20
	v_cndmask_b32_e64 v6, v4, v48, s[16:17]
	v_cndmask_b32_e64 v7, v4, v35, s[18:19]
	v_max3_f32 v3, v3, v6, v7
	v_or_b32_e32 v6, 34, v2
	v_or_b32_e32 v7, 35, v2
	v_cmp_gt_i32_e64 s[12:13], s29, v6
	v_cmp_gt_i32_e64 s[14:15], s29, v7
	s_nop 0
	v_cndmask_b32_e64 v6, v4, v24, s[12:13]
	v_cndmask_b32_e64 v7, v4, v25, s[14:15]
	v_max3_f32 v3, v3, v6, v7
	v_or_b32_e32 v6, 48, v2
	v_or_b32_e32 v7, 49, v2
	v_cmp_gt_i32_e64 s[8:9], s29, v6
	v_cmp_gt_i32_e64 s[10:11], s29, v7
	s_nop 0
	v_cndmask_b32_e64 v6, v4, v22, s[8:9]
	v_cndmask_b32_e64 v7, v4, v23, s[10:11]
	v_max3_f32 v3, v3, v6, v7
	v_or_b32_e32 v6, 50, v2
	v_or_b32_e32 v2, 51, v2
	v_cmp_gt_i32_e32 vcc, s29, v6
	v_cmp_gt_i32_e64 s[6:7], s29, v2
	s_nop 0
	v_cndmask_b32_e32 v6, v4, v20, vcc
	v_cndmask_b32_e64 v2, v4, v21, s[6:7]
	v_max3_f32 v4, v3, v6, v2
	v_mbcnt_lo_u32_b32 v2, -1, 0
	v_mbcnt_hi_u32_b32 v6, -1, v2
	v_and_b32_e32 v2, 64, v6
	v_add_u32_e32 v7, 64, v2
	v_xor_b32_e32 v2, 32, v6
	v_cmp_lt_i32_e64 s[40:41], v2, v7
	s_nop 1
	v_cndmask_b32_e64 v2, v6, v2, s[40:41]
	v_lshlrev_b32_e32 v44, 2, v2
	ds_bpermute_b32 v8, v44, v4
	s_waitcnt vmcnt(2)
	v_mad_i64_i32 v[2:3], s[40:41], v47, s45, v[18:19]
	global_load_dwordx4 v[14:17], v[30:31], off
	global_load_dwordx4 v[10:13], v[2:3], off
	v_xor_b32_e32 v3, 16, v6
	v_cmp_lt_i32_e64 s[40:41], v3, v7
	s_waitcnt lgkmcnt(0)
	v_max_f32_e32 v2, v8, v8
	v_max_f32_e32 v2, v4, v2
	v_cndmask_b32_e64 v3, v6, v3, s[40:41]
	v_lshlrev_b32_e32 v47, 2, v3
	ds_bpermute_b32 v3, v47, v2
	s_waitcnt vmcnt(3)
	v_mad_i64_i32 v[30:31], s[40:41], v45, s45, v[18:19]
	s_waitcnt vmcnt(2)
	v_mad_i64_i32 v[18:19], s[40:41], v46, s45, v[18:19]
	s_waitcnt lgkmcnt(0)
	v_max_f32_e32 v3, v3, v3
	v_max_f32_e32 v34, v2, v3
	v_sub_f32_e32 v2, v5, v34
	v_mul_f32_e32 v2, 0x3fb8aa3b, v2
	v_exp_f32_e32 v38, v2
	v_sub_f32_e32 v2, v39, v34
	v_mul_f32_e32 v2, 0x3fb8aa3b, v2
	v_exp_f32_e32 v39, v2
	global_load_dwordx4 v[6:9], v[30:31], off
	global_load_dwordx4 v[2:5], v[18:19], off
	v_sub_f32_e32 v31, v32, v34
	v_sub_f32_e32 v32, v33, v34
	v_mul_f32_e32 v31, 0x3fb8aa3b, v31
	v_mul_f32_e32 v32, 0x3fb8aa3b, v32
	v_exp_f32_e32 v31, v31
	v_exp_f32_e32 v32, v32
	v_cndmask_b32_e64 v18, 0, v38, s[4:5]
	v_cndmask_b32_e64 v19, 0, v39, s[34:35]
	;; [unrolled: 1-line block ×4, first 2 shown]
	v_sub_f32_e32 v31, v40, v34
	v_sub_f32_e32 v32, v41, v34
	v_mul_f32_e32 v31, 0x3fb8aa3b, v31
	v_mul_f32_e32 v32, 0x3fb8aa3b, v32
	v_exp_f32_e32 v31, v31
	v_exp_f32_e32 v32, v32
	v_add_f32_e32 v30, 0, v18
	v_add_f32_e32 v30, v30, v19
	v_add_f32_e32 v30, v30, v38
	v_add_f32_e32 v33, v30, v39
	v_cndmask_b32_e64 v30, 0, v31, s[24:25]
	v_cndmask_b32_e64 v31, 0, v32, s[26:27]
	v_sub_f32_e32 v32, v36, v34
	v_mul_f32_e32 v32, 0x3fb8aa3b, v32
	v_exp_f32_e32 v32, v32
	v_sub_f32_e32 v36, v37, v34
	v_add_f32_e32 v33, v33, v30
	v_mul_f32_e32 v36, 0x3fb8aa3b, v36
	v_exp_f32_e32 v37, v36
	v_add_f32_e32 v33, v33, v31
	v_cndmask_b32_e64 v36, 0, v32, s[20:21]
	v_add_f32_e32 v32, v33, v36
	v_sub_f32_e32 v33, v48, v34
	v_mul_f32_e32 v33, 0x3fb8aa3b, v33
	v_sub_f32_e32 v35, v35, v34
	v_exp_f32_e32 v33, v33
	v_mul_f32_e32 v35, 0x3fb8aa3b, v35
	v_sub_f32_e32 v24, v24, v34
	v_exp_f32_e32 v35, v35
	;; [unrolled: 3-line block ×3, first 2 shown]
	v_mul_f32_e32 v25, 0x3fb8aa3b, v25
	v_sub_f32_e32 v22, v22, v34
	v_cndmask_b32_e64 v37, 0, v37, s[22:23]
	v_exp_f32_e32 v25, v25
	v_mul_f32_e32 v22, 0x3fb8aa3b, v22
	v_sub_f32_e32 v23, v23, v34
	v_add_f32_e32 v40, v32, v37
	v_cndmask_b32_e64 v32, 0, v33, s[16:17]
	v_exp_f32_e32 v22, v22
	v_mul_f32_e32 v23, 0x3fb8aa3b, v23
	v_sub_f32_e32 v20, v20, v34
	v_add_f32_e32 v40, v40, v32
	;; [unrolled: 5-line block ×3, first 2 shown]
	v_cndmask_b32_e64 v24, 0, v24, s[12:13]
	v_exp_f32_e32 v20, v20
	v_mul_f32_e32 v21, 0x3fb8aa3b, v21
	v_add_f32_e32 v35, v35, v24
	v_cndmask_b32_e64 v25, 0, v25, s[14:15]
	v_exp_f32_e32 v21, v21
	v_add_f32_e32 v35, v35, v25
	v_cndmask_b32_e64 v22, 0, v22, s[8:9]
	v_add_f32_e32 v35, v35, v22
	v_cndmask_b32_e64 v23, 0, v23, s[10:11]
	v_add_f32_e32 v35, v35, v23
	v_cndmask_b32_e32 v20, 0, v20, vcc
	v_add_f32_e32 v35, v35, v20
	v_cndmask_b32_e64 v21, 0, v21, s[6:7]
	v_add_f32_e32 v35, v35, v21
	ds_bpermute_b32 v40, v44, v35
	s_load_dword s9, s[0:1], 0x98
	v_cmp_gt_u32_e64 s[6:7], 16, v43
	s_waitcnt lgkmcnt(0)
	s_barrier
	v_add_f32_e32 v40, v35, v40
	ds_bpermute_b32 v41, v47, v40
	v_lshlrev_b32_e32 v35, 2, v28
	s_waitcnt lgkmcnt(0)
	s_and_saveexec_b64 s[4:5], s[6:7]
	s_cbranch_execz .LBB852_15
; %bb.14:
	v_add_f32_e32 v40, v40, v41
	v_lshl_or_b32 v41, v29, 6, v35
	ds_write2st64_b32 v41, v34, v40 offset1:1
.LBB852_15:
	s_or_b64 exec, exec, s[4:5]
	s_load_dword s8, s[0:1], 0x94
	s_waitcnt lgkmcnt(0)
	s_barrier
	ds_read2_b32 v[40:41], v35 offset1:16
	ds_read2_b32 v[44:45], v35 offset0:32 offset1:48
	ds_read2_b32 v[46:47], v35 offset0:64 offset1:80
	s_mul_i32 s9, s9, 5
	s_waitcnt lgkmcnt(2)
	v_max3_f32 v34, v40, s33, v41
	s_waitcnt lgkmcnt(1)
	v_max3_f32 v34, v34, v44, v45
	v_sub_f32_e32 v40, v40, v34
	v_mul_f32_e32 v40, 0x3fb8aa3b, v40
	v_exp_f32_e32 v43, v40
	v_sub_f32_e32 v40, v41, v34
	v_mul_f32_e32 v40, 0x3fb8aa3b, v40
	v_exp_f32_e32 v48, v40
	;; [unrolled: 3-line block ×3, first 2 shown]
	ds_read2_b32 v[40:41], v35 offset0:96 offset1:112
	v_sub_f32_e32 v35, v45, v34
	v_mul_f32_e32 v35, 0x3fb8aa3b, v35
	v_exp_f32_e32 v45, v35
	s_waitcnt lgkmcnt(1)
	v_fma_f32 v35, v43, v46, 0
	v_fmac_f32_e32 v35, v48, v47
	s_waitcnt lgkmcnt(0)
	v_fmac_f32_e32 v35, v44, v40
	v_fmac_f32_e32 v35, v45, v41
	v_add_f32_e32 v40, 0x358637bd, v35
	v_div_scale_f32 v41, s[4:5], v40, v40, 1.0
	v_rcp_f32_e32 v46, v41
	s_barrier
	v_fma_f32 v47, -v41, v46, 1.0
	v_fmac_f32_e32 v46, v47, v46
	v_div_scale_f32 v47, vcc, 1.0, v40, 1.0
	v_mul_f32_e32 v49, v47, v46
	v_fma_f32 v50, -v41, v49, v47
	v_fmac_f32_e32 v49, v50, v46
	v_fma_f32 v41, -v41, v49, v47
	v_div_fmas_f32 v41, v41, v46, v49
	v_cmp_eq_u32_e32 vcc, 1, v29
	v_div_fixup_f32 v40, v41, v40, 1.0
	s_nop 0
	v_cndmask_b32_e32 v41, v43, v48, vcc
	v_cmp_eq_u32_e32 vcc, 2, v29
	s_nop 1
	v_cndmask_b32_e32 v41, v41, v44, vcc
	v_cmp_eq_u32_e32 vcc, 3, v29
	s_nop 1
	v_cndmask_b32_e32 v41, v41, v45, vcc
	v_mul_f32_e32 v40, v41, v40
	v_pk_mul_f32 v[38:39], v[40:41], v[38:39] op_sel_hi:[0,1]
	v_pk_mul_f32 v[18:19], v[40:41], v[18:19] op_sel_hi:[0,1]
	v_cvt_f16_f32_e32 v41, v38
	v_cvt_f16_f32_e32 v39, v39
	;; [unrolled: 1-line block ×4, first 2 shown]
	v_cmp_gt_u32_e32 vcc, 5, v0
	v_pack_b32_f16 v39, v41, v39
	v_lshlrev_b32_e32 v41, 3, v42
	v_pack_b32_f16 v38, v18, v19
	v_pk_mul_f32 v[18:19], v[40:41], v[36:37] op_sel_hi:[0,1]
	v_pk_mul_f32 v[30:31], v[40:41], v[30:31] op_sel_hi:[0,1]
	v_cvt_f16_f32_e32 v30, v30
	v_cvt_f16_f32_e32 v31, v31
	;; [unrolled: 1-line block ×4, first 2 shown]
	v_lshlrev_b32_e32 v18, 11, v29
	v_or3_b32 v18, v18, v27, v41
	v_pack_b32_f16 v30, v30, v31
	v_pack_b32_f16 v31, v36, v19
	ds_write2st64_b64 v18, v[38:39], v[30:31] offset1:1
	v_pk_mul_f32 v[24:25], v[40:41], v[24:25] op_sel_hi:[0,1]
	v_pk_mul_f32 v[30:31], v[40:41], v[32:33] op_sel_hi:[0,1]
	;; [unrolled: 1-line block ×4, first 2 shown]
	v_cvt_f16_f32_e32 v19, v30
	v_cvt_f16_f32_e32 v29, v31
	v_cvt_f16_f32_e32 v24, v24
	v_cvt_f16_f32_e32 v25, v25
	v_cvt_f16_f32_e32 v22, v22
	v_cvt_f16_f32_e32 v23, v23
	v_cvt_f16_f32_e32 v30, v20
	v_cvt_f16_f32_e32 v31, v21
	v_pack_b32_f16 v20, v19, v29
	v_pack_b32_f16 v21, v24, v25
	;; [unrolled: 1-line block ×4, first 2 shown]
	ds_write2st64_b64 v18, v[20:21], v[22:23] offset0:2 offset1:3
	s_and_saveexec_b64 s[4:5], vcc
	s_cbranch_execz .LBB852_17
; %bb.16:
	s_mov_b32 s49, 0
	v_mov_b32_e32 v29, 0
	v_lshl_add_u64 v[20:21], s[48:49], 0, v[28:29]
	v_mov_b32_e32 v19, s9
	v_mad_u64_u32 v[20:21], s[10:11], s2, v19, v[20:21]
	s_mul_i32 s3, s3, s9
	v_mov_b32_e32 v28, s28
	s_load_dwordx4 s[12:15], s[0:1], 0x58
	v_add_u32_e32 v19, s3, v21
	v_mad_u64_u32 v[20:21], s[10:11], v20, s8, v[28:29]
	v_mov_b32_e32 v22, v21
	v_mad_u64_u32 v[22:23], s[10:11], v19, s8, v[22:23]
	v_mov_b32_e32 v21, v22
	v_lshlrev_b64 v[20:21], 2, v[20:21]
	s_waitcnt lgkmcnt(0)
	v_lshl_add_u64 v[22:23], s[14:15], 0, v[20:21]
	v_lshl_add_u64 v[20:21], s[12:13], 0, v[20:21]
	global_store_dword v[22:23], v34, off
	global_store_dword v[20:21], v35, off
.LBB852_17:
	s_or_b64 exec, exec, s[4:5]
	s_waitcnt vmcnt(3)
	v_cvt_pk_f32_fp8_e32 v[20:21], v14
	v_cvt_pk_f32_fp8_sdwa v[22:23], v14 src0_sel:WORD_1
	v_lshl_or_b32 v14, v42, 9, v27
	s_waitcnt lgkmcnt(0)
	s_barrier
	v_cvt_pk_f32_fp8_e32 v[24:25], v15
	v_cvt_pkrtz_f16_f32 v32, v20, v21
	v_cvt_pkrtz_f16_f32 v33, v22, v23
	v_cvt_pk_f32_fp8_sdwa v[28:29], v15 src0_sel:WORD_1
	ds_read_b128 v[20:23], v14
	v_cvt_pkrtz_f16_f32 v24, v24, v25
	v_cvt_pk_f32_fp8_e32 v[36:37], v16
	v_cvt_pkrtz_f16_f32 v25, v28, v29
	ds_read_b128 v[28:31], v14 offset:16
	v_cvt_pk_f32_fp8_sdwa v[38:39], v16 src0_sel:WORD_1
	s_waitcnt lgkmcnt(1)
	v_mfma_f32_16x16x16_f16 v[32:35], v[32:33], v[20:21], 0
	v_cvt_pkrtz_f16_f32 v36, v36, v37
	s_load_dword s4, s[42:43], 0x0
	v_cvt_pkrtz_f16_f32 v37, v38, v39
	v_cvt_pk_f32_fp8_e32 v[38:39], v17
	v_cvt_pk_f32_fp8_sdwa v[16:17], v17 src0_sel:WORD_1
	v_mfma_f32_16x16x16_f16 v[20:23], v[24:25], v[22:23], v[32:35]
	v_cmp_gt_u32_e32 vcc, 64, v0
	v_cvt_pkrtz_f16_f32 v24, v38, v39
	v_cvt_pkrtz_f16_f32 v25, v16, v17
	s_waitcnt lgkmcnt(0)
	v_mfma_f32_16x16x16_f16 v[20:23], v[36:37], v[28:29], v[20:23]
	s_waitcnt vmcnt(2)
	v_cvt_pk_f32_fp8_e32 v[16:17], v10
	v_cvt_pk_f32_fp8_e32 v[28:29], v11
	v_cvt_pk_f32_fp8_sdwa v[36:37], v12 src0_sel:WORD_1
	v_mfma_f32_16x16x16_f16 v[20:23], v[24:25], v[30:31], v[20:23]
	v_cvt_pk_f32_fp8_sdwa v[24:25], v10 src0_sel:WORD_1
	v_cvt_pkrtz_f16_f32 v10, v16, v17
	v_cvt_pk_f32_fp8_sdwa v[16:17], v11 src0_sel:WORD_1
	ds_read_b128 v[32:35], v14 offset:2064
	v_cvt_pkrtz_f16_f32 v11, v24, v25
	v_cvt_pkrtz_f16_f32 v24, v28, v29
	ds_read_b128 v[28:31], v14 offset:2048
	v_cvt_pkrtz_f16_f32 v25, v16, v17
	v_cvt_pk_f32_fp8_e32 v[16:17], v12
	s_waitcnt lgkmcnt(0)
	v_mfma_f32_16x16x16_f16 v[20:23], v[10:11], v[28:29], v[20:23]
	v_cvt_pkrtz_f16_f32 v10, v16, v17
	v_cvt_pkrtz_f16_f32 v11, v36, v37
	v_cvt_pk_f32_fp8_e32 v[16:17], v13
	v_mfma_f32_16x16x16_f16 v[20:23], v[24:25], v[30:31], v[20:23]
	v_cvt_pk_f32_fp8_sdwa v[24:25], v13 src0_sel:WORD_1
	ds_read_b128 v[28:31], v14 offset:4112
	v_cvt_pkrtz_f16_f32 v16, v16, v17
	v_mfma_f32_16x16x16_f16 v[10:13], v[10:11], v[32:33], v[20:23]
	v_cvt_pkrtz_f16_f32 v17, v24, v25
	s_waitcnt vmcnt(1)
	v_cvt_pk_f32_fp8_sdwa v[24:25], v7 src0_sel:WORD_1
	v_cvt_pk_f32_fp8_sdwa v[32:33], v8 src0_sel:WORD_1
	v_cvt_pk_f32_fp8_e32 v[20:21], v6
	v_mfma_f32_16x16x16_f16 v[10:13], v[16:17], v[34:35], v[10:13]
	v_cvt_pk_f32_fp8_sdwa v[16:17], v6 src0_sel:WORD_1
	v_cvt_pk_f32_fp8_e32 v[22:23], v7
	v_cvt_pkrtz_f16_f32 v6, v20, v21
	s_mov_b32 s3, 0
	v_cvt_pkrtz_f16_f32 v7, v16, v17
	v_cvt_pkrtz_f16_f32 v16, v22, v23
	ds_read_b128 v[20:23], v14 offset:4096
	v_cvt_pkrtz_f16_f32 v17, v24, v25
	v_cvt_pk_f32_fp8_e32 v[24:25], v8
	s_waitcnt lgkmcnt(0)
	v_mfma_f32_16x16x16_f16 v[10:13], v[6:7], v[20:21], v[10:13]
	v_cvt_pkrtz_f16_f32 v6, v24, v25
	v_cvt_pkrtz_f16_f32 v7, v32, v33
	v_cvt_pk_f32_fp8_e32 v[20:21], v9
	v_mfma_f32_16x16x16_f16 v[10:13], v[16:17], v[22:23], v[10:13]
	v_cvt_pk_f32_fp8_sdwa v[16:17], v9 src0_sel:WORD_1
	s_waitcnt vmcnt(0)
	v_cvt_pk_f32_fp8_sdwa v[24:25], v4 src0_sel:WORD_1
	v_cvt_pkrtz_f16_f32 v20, v20, v21
	v_mfma_f32_16x16x16_f16 v[6:9], v[6:7], v[28:29], v[10:13]
	v_cvt_pkrtz_f16_f32 v21, v16, v17
	v_cvt_pk_f32_fp8_e32 v[16:17], v3
	v_mov_b32_e32 v27, 0
	v_cvt_pk_f32_fp8_e32 v[10:11], v2
	v_cvt_pk_f32_fp8_sdwa v[12:13], v2 src0_sel:WORD_1
	v_mfma_f32_16x16x16_f16 v[6:9], v[20:21], v[30:31], v[6:9]
	v_cvt_pk_f32_fp8_sdwa v[20:21], v3 src0_sel:WORD_1
	v_cvt_pkrtz_f16_f32 v2, v10, v11
	v_cvt_pkrtz_f16_f32 v3, v12, v13
	ds_read_b128 v[10:13], v14 offset:6144
	v_cvt_pkrtz_f16_f32 v22, v16, v17
	v_cvt_pkrtz_f16_f32 v23, v20, v21
	v_cvt_pk_f32_fp8_e32 v[20:21], v4
	s_waitcnt lgkmcnt(0)
	v_mfma_f32_16x16x16_f16 v[6:9], v[2:3], v[10:11], v[6:9]
	ds_read_b128 v[14:17], v14 offset:6160
	v_cvt_pkrtz_f16_f32 v2, v20, v21
	v_cvt_pkrtz_f16_f32 v3, v24, v25
	v_cvt_pk_f32_fp8_e32 v[10:11], v5
	v_mfma_f32_16x16x16_f16 v[6:9], v[22:23], v[12:13], v[6:9]
	v_cvt_pk_f32_fp8_sdwa v[12:13], v5 src0_sel:WORD_1
	s_waitcnt lgkmcnt(0)
	v_cvt_pkrtz_f16_f32 v10, v10, v11
	v_mfma_f32_16x16x16_f16 v[2:5], v[2:3], v[14:15], v[6:9]
	v_cvt_pkrtz_f16_f32 v11, v12, v13
	s_barrier
	s_nop 0
	v_mfma_f32_16x16x16_f16 v[2:5], v[10:11], v[16:17], v[2:5]
	s_nop 6
	v_pk_mul_f32 v[4:5], v[4:5], s[4:5] op_sel_hi:[1,0]
	v_pk_mul_f32 v[2:3], v[2:3], s[4:5] op_sel_hi:[1,0]
	v_cvt_f16_f32_e32 v4, v4
	v_cvt_f16_f32_e32 v2, v2
	v_cvt_f16_f32_e32 v3, v3
	v_cvt_f16_f32_e32 v5, v5
	s_and_b64 s[4:5], vcc, s[30:31]
	v_pack_b32_f16 v2, v2, v3
	v_pack_b32_f16 v3, v4, v5
	ds_write_b64 v18, v[2:3]
	s_waitcnt lgkmcnt(0)
	s_barrier
	s_and_saveexec_b64 s[10:11], s[4:5]
	s_cbranch_execz .LBB852_20
; %bb.18:
	s_load_dwordx2 s[4:5], s[0:1], 0x68
	s_lshl_b32 s0, s8, 6
	s_mul_i32 s1, s9, s2
	s_mul_hi_u32 s9, s1, s0
	s_mul_i32 s8, s1, s0
	v_lshlrev_b32_e32 v0, 10, v0
	s_lshl_b64 s[8:9], s[8:9], 1
	v_and_b32_e32 v0, 0x1800, v0
	v_lshlrev_b32_e32 v2, 5, v42
	v_and_b32_e32 v1, 16, v1
	s_waitcnt lgkmcnt(0)
	s_add_u32 s1, s4, s8
	v_or3_b32 v2, v0, v2, v1
	s_addc_u32 s4, s5, s9
	s_lshl_b32 s2, s28, 6
	s_lshl_b64 s[2:3], s[2:3], 1
	ds_read_b128 v[4:7], v2
	s_add_u32 s2, s1, s2
	s_addc_u32 s3, s4, s3
	v_add_u32_e32 v3, s48, v42
	v_lshl_add_u64 v[0:1], s[2:3], 0, v[26:27]
	v_mad_u64_u32 v[8:9], s[2:3], v3, s0, 0
	v_lshl_add_u64 v[8:9], v[8:9], 1, v[0:1]
	s_waitcnt lgkmcnt(0)
	global_store_dwordx4 v[8:9], v[4:7], off
	s_and_b64 exec, exec, s[6:7]
	s_cbranch_execz .LBB852_20
; %bb.19:
	ds_read_b128 v[2:5], v2 offset:128
	v_add3_u32 v6, s48, v42, 4
	v_mad_u64_u32 v[6:7], s[0:1], v6, s0, 0
	v_lshl_add_u64 v[0:1], v[6:7], 1, v[0:1]
	s_waitcnt lgkmcnt(0)
	global_store_dwordx4 v[0:1], v[2:5], off
.LBB852_20:
	s_endpgm
	.section	.rodata,"a",@progbits
	.p2align	6, 0x0
	.amdhsa_kernel _Z39paged_attention_ll4mi_QKV_mfma16_kernelIDF16_hLN4vllm18Fp8KVCacheDataTypeE1EhLi32ELi64ELi256ELb1ELi5EEvPKT_PKT0_S7_ifPKiS9_S9_iPKfiiiPfSC_PS2_PT2_iSB_SB_
		.amdhsa_group_segment_fixed_size 8192
		.amdhsa_private_segment_fixed_size 0
		.amdhsa_kernarg_size 400
		.amdhsa_user_sgpr_count 2
		.amdhsa_user_sgpr_dispatch_ptr 0
		.amdhsa_user_sgpr_queue_ptr 0
		.amdhsa_user_sgpr_kernarg_segment_ptr 1
		.amdhsa_user_sgpr_dispatch_id 0
		.amdhsa_user_sgpr_kernarg_preload_length 0
		.amdhsa_user_sgpr_kernarg_preload_offset 0
		.amdhsa_user_sgpr_private_segment_size 0
		.amdhsa_uses_dynamic_stack 0
		.amdhsa_enable_private_segment 0
		.amdhsa_system_sgpr_workgroup_id_x 1
		.amdhsa_system_sgpr_workgroup_id_y 1
		.amdhsa_system_sgpr_workgroup_id_z 1
		.amdhsa_system_sgpr_workgroup_info 0
		.amdhsa_system_vgpr_workitem_id 0
		.amdhsa_next_free_vgpr 71
		.amdhsa_next_free_sgpr 50
		.amdhsa_accum_offset 72
		.amdhsa_reserve_vcc 1
		.amdhsa_float_round_mode_32 0
		.amdhsa_float_round_mode_16_64 0
		.amdhsa_float_denorm_mode_32 3
		.amdhsa_float_denorm_mode_16_64 3
		.amdhsa_dx10_clamp 1
		.amdhsa_ieee_mode 1
		.amdhsa_fp16_overflow 0
		.amdhsa_tg_split 0
		.amdhsa_exception_fp_ieee_invalid_op 0
		.amdhsa_exception_fp_denorm_src 0
		.amdhsa_exception_fp_ieee_div_zero 0
		.amdhsa_exception_fp_ieee_overflow 0
		.amdhsa_exception_fp_ieee_underflow 0
		.amdhsa_exception_fp_ieee_inexact 0
		.amdhsa_exception_int_div_zero 0
	.end_amdhsa_kernel
	.section	.text._Z39paged_attention_ll4mi_QKV_mfma16_kernelIDF16_hLN4vllm18Fp8KVCacheDataTypeE1EhLi32ELi64ELi256ELb1ELi5EEvPKT_PKT0_S7_ifPKiS9_S9_iPKfiiiPfSC_PS2_PT2_iSB_SB_,"axG",@progbits,_Z39paged_attention_ll4mi_QKV_mfma16_kernelIDF16_hLN4vllm18Fp8KVCacheDataTypeE1EhLi32ELi64ELi256ELb1ELi5EEvPKT_PKT0_S7_ifPKiS9_S9_iPKfiiiPfSC_PS2_PT2_iSB_SB_,comdat
.Lfunc_end852:
	.size	_Z39paged_attention_ll4mi_QKV_mfma16_kernelIDF16_hLN4vllm18Fp8KVCacheDataTypeE1EhLi32ELi64ELi256ELb1ELi5EEvPKT_PKT0_S7_ifPKiS9_S9_iPKfiiiPfSC_PS2_PT2_iSB_SB_, .Lfunc_end852-_Z39paged_attention_ll4mi_QKV_mfma16_kernelIDF16_hLN4vllm18Fp8KVCacheDataTypeE1EhLi32ELi64ELi256ELb1ELi5EEvPKT_PKT0_S7_ifPKiS9_S9_iPKfiiiPfSC_PS2_PT2_iSB_SB_
                                        ; -- End function
	.section	.AMDGPU.csdata,"",@progbits
; Kernel info:
; codeLenInByte = 4948
; NumSgprs: 56
; NumVgprs: 71
; NumAgprs: 0
; TotalNumVgprs: 71
; ScratchSize: 0
; MemoryBound: 0
; FloatMode: 240
; IeeeMode: 1
; LDSByteSize: 8192 bytes/workgroup (compile time only)
; SGPRBlocks: 6
; VGPRBlocks: 8
; NumSGPRsForWavesPerEU: 56
; NumVGPRsForWavesPerEU: 71
; AccumOffset: 72
; Occupancy: 7
; WaveLimiterHint : 1
; COMPUTE_PGM_RSRC2:SCRATCH_EN: 0
; COMPUTE_PGM_RSRC2:USER_SGPR: 2
; COMPUTE_PGM_RSRC2:TRAP_HANDLER: 0
; COMPUTE_PGM_RSRC2:TGID_X_EN: 1
; COMPUTE_PGM_RSRC2:TGID_Y_EN: 1
; COMPUTE_PGM_RSRC2:TGID_Z_EN: 1
; COMPUTE_PGM_RSRC2:TIDIG_COMP_CNT: 0
; COMPUTE_PGM_RSRC3_GFX90A:ACCUM_OFFSET: 17
; COMPUTE_PGM_RSRC3_GFX90A:TG_SPLIT: 0
	.section	.text._Z39paged_attention_ll4mi_QKV_mfma16_kernelIDF16_hLN4vllm18Fp8KVCacheDataTypeE1EhLi32ELi64ELi256ELb1ELi6EEvPKT_PKT0_S7_ifPKiS9_S9_iPKfiiiPfSC_PS2_PT2_iSB_SB_,"axG",@progbits,_Z39paged_attention_ll4mi_QKV_mfma16_kernelIDF16_hLN4vllm18Fp8KVCacheDataTypeE1EhLi32ELi64ELi256ELb1ELi6EEvPKT_PKT0_S7_ifPKiS9_S9_iPKfiiiPfSC_PS2_PT2_iSB_SB_,comdat
	.protected	_Z39paged_attention_ll4mi_QKV_mfma16_kernelIDF16_hLN4vllm18Fp8KVCacheDataTypeE1EhLi32ELi64ELi256ELb1ELi6EEvPKT_PKT0_S7_ifPKiS9_S9_iPKfiiiPfSC_PS2_PT2_iSB_SB_ ; -- Begin function _Z39paged_attention_ll4mi_QKV_mfma16_kernelIDF16_hLN4vllm18Fp8KVCacheDataTypeE1EhLi32ELi64ELi256ELb1ELi6EEvPKT_PKT0_S7_ifPKiS9_S9_iPKfiiiPfSC_PS2_PT2_iSB_SB_
	.globl	_Z39paged_attention_ll4mi_QKV_mfma16_kernelIDF16_hLN4vllm18Fp8KVCacheDataTypeE1EhLi32ELi64ELi256ELb1ELi6EEvPKT_PKT0_S7_ifPKiS9_S9_iPKfiiiPfSC_PS2_PT2_iSB_SB_
	.p2align	8
	.type	_Z39paged_attention_ll4mi_QKV_mfma16_kernelIDF16_hLN4vllm18Fp8KVCacheDataTypeE1EhLi32ELi64ELi256ELb1ELi6EEvPKT_PKT0_S7_ifPKiS9_S9_iPKfiiiPfSC_PS2_PT2_iSB_SB_,@function
_Z39paged_attention_ll4mi_QKV_mfma16_kernelIDF16_hLN4vllm18Fp8KVCacheDataTypeE1EhLi32ELi64ELi256ELb1ELi6EEvPKT_PKT0_S7_ifPKiS9_S9_iPKfiiiPfSC_PS2_PT2_iSB_SB_: ; @_Z39paged_attention_ll4mi_QKV_mfma16_kernelIDF16_hLN4vllm18Fp8KVCacheDataTypeE1EhLi32ELi64ELi256ELb1ELi6EEvPKT_PKT0_S7_ifPKiS9_S9_iPKfiiiPfSC_PS2_PT2_iSB_SB_
; %bb.0:
	s_load_dwordx2 s[6:7], s[0:1], 0x30
	s_mov_b32 s28, s3
	s_mov_b64 s[8:9], 0
	s_waitcnt lgkmcnt(0)
	s_cmp_lg_u64 s[6:7], 0
	s_cselect_b64 s[10:11], -1, 0
	s_and_b64 vcc, exec, s[10:11]
	s_cbranch_vccz .LBB853_7
; %bb.1:
	s_add_i32 s12, s2, 1
	s_mov_b32 s13, 0
	s_lshl_b64 s[14:15], s[12:13], 2
	s_add_u32 s14, s6, s14
	s_mov_b32 s3, s13
	s_addc_u32 s15, s7, s15
	s_lshl_b64 s[12:13], s[2:3], 2
	s_add_u32 s12, s6, s12
	s_addc_u32 s13, s7, s13
	s_load_dword s5, s[14:15], 0x0
	s_load_dword s16, s[12:13], 0x0
	s_waitcnt lgkmcnt(0)
	s_sub_i32 s5, s5, s16
	s_cmp_eq_u32 s5, 1
	s_cselect_b64 s[12:13], -1, 0
	s_andn2_b64 vcc, exec, s[8:9]
	s_cbranch_vccnz .LBB853_3
.LBB853_2:
	s_mov_b32 s3, 0
	s_mov_b64 s[12:13], -1
.LBB853_3:
	s_andn2_b64 vcc, exec, s[12:13]
	s_cbranch_vccnz .LBB853_20
; %bb.4:
	s_load_dwordx2 s[8:9], s[0:1], 0x28
	s_lshl_b64 s[12:13], s[2:3], 2
	s_waitcnt lgkmcnt(0)
	s_add_u32 s8, s8, s12
	s_addc_u32 s9, s9, s13
	s_load_dword s29, s[8:9], 0x0
	s_lshl_b32 s16, s28, 8
	s_waitcnt lgkmcnt(0)
	s_cmp_ge_i32 s16, s29
	s_cbranch_scc1 .LBB853_20
; %bb.5:
	s_load_dwordx2 s[8:9], s[0:1], 0x20
	s_load_dword s5, s[0:1], 0x38
	s_add_i32 s14, s29, 31
	s_ashr_i32 s15, s14, 31
	v_and_b32_e32 v1, 0xcf, v0
	s_lshr_b32 s15, s15, 27
	v_add_u32_e32 v1, s16, v1
	s_add_i32 s14, s14, s15
	v_ashrrev_i32_e32 v2, 31, v1
	s_ashr_i32 s17, s14, 5
	v_lshrrev_b32_e32 v4, 27, v2
	s_add_i32 s17, s17, -1
	s_waitcnt lgkmcnt(0)
	s_mul_i32 s14, s2, s5
	s_mov_b32 s15, 0
	v_add_u32_e32 v2, v1, v4
	s_lshl_b64 s[14:15], s[14:15], 2
	v_ashrrev_i32_e32 v2, 5, v2
	v_mov_b32_e32 v5, s17
	v_cmp_gt_i32_e32 vcc, s29, v1
	s_add_u32 s8, s8, s14
	s_addc_u32 s9, s9, s15
	v_cndmask_b32_e32 v2, v5, v2, vcc
	v_ashrrev_i32_e32 v3, 31, v2
	v_lshl_add_u64 v[6:7], v[2:3], 2, s[8:9]
	v_or_b32_e32 v2, 16, v1
	v_add_u32_e32 v3, v2, v4
	v_ashrrev_i32_e32 v3, 5, v3
	v_cmp_gt_i32_e32 vcc, s29, v2
	s_load_dwordx2 s[14:15], s[0:1], 0x8
	s_nop 0
	v_cndmask_b32_e32 v2, v5, v3, vcc
	v_ashrrev_i32_e32 v3, 31, v2
	v_lshl_add_u64 v[8:9], v[2:3], 2, s[8:9]
	v_or_b32_e32 v2, 32, v1
	v_add_u32_e32 v3, v2, v4
	v_ashrrev_i32_e32 v3, 5, v3
	v_cmp_gt_i32_e32 vcc, s29, v2
	v_or_b32_e32 v1, 48, v1
	s_nop 0
	v_cndmask_b32_e32 v2, v5, v3, vcc
	v_ashrrev_i32_e32 v3, 31, v2
	v_lshl_add_u64 v[10:11], v[2:3], 2, s[8:9]
	v_add_u32_e32 v2, v1, v4
	v_ashrrev_i32_e32 v2, 5, v2
	v_cmp_gt_i32_e32 vcc, s29, v1
	s_nop 1
	v_cndmask_b32_e32 v2, v5, v2, vcc
	v_ashrrev_i32_e32 v3, 31, v2
	v_lshl_add_u64 v[12:13], v[2:3], 2, s[8:9]
	global_load_dword v5, v[6:7], off
	global_load_dword v4, v[8:9], off
	;; [unrolled: 1-line block ×4, first 2 shown]
	s_andn2_b64 vcc, exec, s[10:11]
	s_cbranch_vccnz .LBB853_8
; %bb.6:
	s_add_u32 s6, s6, s12
	s_addc_u32 s7, s7, s13
	s_load_dword s5, s[6:7], 0x0
	s_branch .LBB853_9
.LBB853_7:
	s_mov_b64 s[12:13], 0
	s_branch .LBB853_2
.LBB853_8:
	s_mov_b32 s5, s2
.LBB853_9:
	s_load_dwordx2 s[10:11], s[0:1], 0x10
	s_load_dwordx4 s[44:47], s[0:1], 0x48
	v_lshrrev_b32_e32 v29, 6, v0
	v_bfe_u32 v42, v0, 4, 2
	v_lshl_or_b32 v6, v29, 2, v42
	v_and_b32_e32 v28, 15, v0
	v_lshlrev_b32_e32 v1, 3, v28
	v_cmp_gt_u32_e32 vcc, 6, v6
	v_cmp_gt_u32_e64 s[30:31], 8, v28
	s_mul_i32 s48, s4, 6
	s_and_b64 s[12:13], s[30:31], vcc
	v_lshlrev_b32_e32 v26, 1, v1
	v_lshlrev_b32_e32 v1, 4, v0
	s_and_saveexec_b64 s[6:7], s[12:13]
	s_cbranch_execz .LBB853_11
; %bb.10:
	s_load_dwordx2 s[12:13], s[0:1], 0x0
	s_waitcnt lgkmcnt(0)
	s_ashr_i32 s18, s44, 31
	s_mul_hi_u32 s19, s5, s44
	s_mul_i32 s18, s5, s18
	s_add_i32 s19, s19, s18
	s_mul_i32 s18, s5, s44
	s_lshl_b64 s[18:19], s[18:19], 1
	s_add_u32 s12, s12, s18
	v_add_lshl_u32 v8, v6, s48, 6
	s_addc_u32 s13, s13, s19
	v_ashrrev_i32_e32 v9, 31, v8
	v_lshl_add_u64 v[8:9], v[8:9], 1, s[12:13]
	v_mov_b32_e32 v27, 0
	v_lshl_add_u64 v[8:9], v[8:9], 0, v[26:27]
	global_load_dwordx4 v[8:11], v[8:9], off
	v_lshlrev_b32_e32 v12, 8, v28
	v_lshlrev_b32_e32 v6, 5, v6
	v_and_b32_e32 v7, 16, v1
	v_and_b32_e32 v12, 0xe00, v12
	v_or3_b32 v6, v12, v6, v7
	s_waitcnt vmcnt(0)
	ds_write_b128 v6, v[8:11]
.LBB853_11:
	s_or_b64 exec, exec, s[6:7]
	s_waitcnt lgkmcnt(0)
	s_mul_i32 s12, s4, s46
	s_add_u32 s4, s14, s12
	s_addc_u32 s5, s15, 0
	v_mov_b32_e32 v31, 0
	v_mov_b64_e32 v[6:7], s[4:5]
	v_lshlrev_b32_e32 v10, 4, v28
	v_and_b32_e32 v27, 48, v0
	s_waitcnt vmcnt(3)
	v_mad_i64_i32 v[8:9], s[4:5], v5, s45, v[6:7]
	v_mov_b32_e32 v11, v31
	s_waitcnt vmcnt(2)
	v_mad_i64_i32 v[4:5], s[4:5], v4, s45, v[6:7]
	v_or_b32_e32 v12, 0x100, v10
	v_mov_b32_e32 v13, v31
	v_lshlrev_b32_e32 v30, 5, v27
	v_lshl_add_u64 v[8:9], v[8:9], 0, v[10:11]
	v_lshl_add_u64 v[4:5], v[4:5], 0, v[12:13]
	;; [unrolled: 1-line block ×4, first 2 shown]
	s_barrier
	global_load_dwordx4 v[22:25], v[8:9], off
	global_load_dwordx4 v[18:21], v[4:5], off
	s_waitcnt vmcnt(3)
	v_mad_i64_i32 v[4:5], s[4:5], v3, s45, v[6:7]
	v_lshl_add_u64 v[4:5], v[4:5], 0, v[10:11]
	s_waitcnt vmcnt(2)
	v_mad_i64_i32 v[2:3], s[4:5], v2, s45, v[6:7]
	v_lshl_add_u64 v[4:5], v[4:5], 0, v[30:31]
	v_lshl_add_u64 v[2:3], v[2:3], 0, v[12:13]
	;; [unrolled: 1-line block ×3, first 2 shown]
	global_load_dwordx4 v[14:17], v[4:5], off
	global_load_dwordx4 v[6:9], v[2:3], off
	v_mul_lo_u16_e32 v2, 43, v28
	v_mov_b32_e32 v3, 6
	v_mul_lo_u16_sdwa v2, v2, v3 dst_sel:DWORD dst_unused:UNUSED_PAD src0_sel:BYTE_1 src1_sel:DWORD
	v_sub_u16_e32 v2, v28, v2
	v_mov_b32_e32 v3, 5
	v_lshlrev_b32_sdwa v2, v3, v2 dst_sel:DWORD dst_unused:UNUSED_PAD src0_sel:DWORD src1_sel:BYTE_0
	v_lshl_add_u32 v2, v42, 9, v2
	ds_read_b128 v[10:13], v2
	ds_read_b128 v[2:5], v2 offset:16
	v_and_b32_e32 v43, 63, v0
	v_cmp_gt_u32_e32 vcc, 6, v28
	v_mov_b32_e32 v44, 0
	s_and_saveexec_b64 s[4:5], vcc
	s_cbranch_execz .LBB853_13
; %bb.12:
	s_load_dwordx2 s[6:7], s[0:1], 0x40
	v_add_u32_e32 v32, s48, v28
	v_ashrrev_i32_e32 v33, 31, v32
	s_waitcnt lgkmcnt(0)
	v_lshl_add_u64 v[32:33], v[32:33], 2, s[6:7]
	global_load_dword v44, v[32:33], off
.LBB853_13:
	s_or_b64 exec, exec, s[4:5]
	s_ashr_i32 s4, s16, 31
	v_or_b32_e32 v45, s16, v27
	s_lshr_b32 s13, s4, 27
	v_add_u32_e32 v27, s13, v45
	v_ashrrev_i32_e32 v27, 5, v27
	s_waitcnt vmcnt(3)
	v_cvt_pk_f32_fp8_e32 v[32:33], v22
	v_cvt_pk_f32_fp8_sdwa v[34:35], v22 src0_sel:WORD_1
	s_waitcnt vmcnt(2)
	v_cvt_pk_f32_fp8_e32 v[56:57], v20
	v_cvt_pk_f32_fp8_sdwa v[58:59], v20 src0_sel:WORD_1
	v_mov_b32_e32 v20, s17
	v_cmp_gt_i32_e32 vcc, s29, v45
	v_cvt_pk_f32_fp8_e32 v[48:49], v18
	v_cvt_pk_f32_fp8_sdwa v[50:51], v18 src0_sel:WORD_1
	v_cndmask_b32_e32 v18, v20, v27, vcc
	v_cvt_pk_f32_fp8_e32 v[52:53], v19
	v_cvt_pk_f32_fp8_sdwa v[54:55], v19 src0_sel:WORD_1
	v_ashrrev_i32_e32 v19, 31, v18
	v_lshl_add_u64 v[18:19], v[18:19], 2, s[8:9]
	v_cvt_pk_f32_fp8_e32 v[36:37], v23
	v_cvt_pk_f32_fp8_sdwa v[22:23], v23 src0_sel:WORD_1
	global_load_dword v70, v[18:19], off
	v_cvt_pkrtz_f16_f32 v18, v32, v33
	v_cvt_pkrtz_f16_f32 v19, v34, v35
	v_cvt_pk_f32_fp8_e32 v[60:61], v21
	v_cvt_pk_f32_fp8_sdwa v[62:63], v21 src0_sel:WORD_1
	v_or_b32_e32 v21, 64, v45
	v_or_b32_e32 v32, 0x80, v45
	;; [unrolled: 1-line block ×3, first 2 shown]
	v_cmp_gt_i32_e32 vcc, s29, v21
	v_add_u32_e32 v21, s13, v21
	v_cmp_gt_i32_e64 s[4:5], s29, v32
	v_add_u32_e32 v32, s13, v32
	v_cmp_gt_i32_e64 s[6:7], s29, v33
	v_add_u32_e32 v33, s13, v33
	v_cvt_pk_f32_fp8_e32 v[38:39], v24
	v_cvt_pk_f32_fp8_sdwa v[40:41], v24 src0_sel:WORD_1
	v_ashrrev_i32_e32 v21, 5, v21
	v_ashrrev_i32_e32 v34, 5, v32
	;; [unrolled: 1-line block ×3, first 2 shown]
	v_cvt_pkrtz_f16_f32 v32, v36, v37
	v_cvt_pkrtz_f16_f32 v33, v22, v23
	v_cndmask_b32_e32 v36, v20, v21, vcc
	v_cndmask_b32_e64 v64, v20, v34, s[4:5]
	v_cndmask_b32_e64 v66, v20, v35, s[6:7]
	s_waitcnt lgkmcnt(1)
	v_mfma_f32_16x16x16_f16 v[18:21], v[18:19], v[10:11], 0
	v_cvt_pk_f32_fp8_e32 v[46:47], v25
	v_cvt_pkrtz_f16_f32 v22, v48, v49
	v_cvt_pkrtz_f16_f32 v23, v50, v51
	v_cvt_pk_f32_fp8_sdwa v[24:25], v25 src0_sel:WORD_1
	v_cvt_pkrtz_f16_f32 v38, v38, v39
	v_cvt_pkrtz_f16_f32 v39, v40, v41
	v_mfma_f32_16x16x16_f16 v[32:35], v[32:33], v[12:13], v[18:21]
	s_add_u32 s10, s10, s12
	v_and_b32_e32 v30, 16, v0
	v_lshlrev_b32_e32 v27, 5, v28
	s_addc_u32 s11, s11, 0
	v_cvt_pkrtz_f16_f32 v68, v46, v47
	v_cvt_pkrtz_f16_f32 v46, v52, v53
	;; [unrolled: 1-line block ×3, first 2 shown]
	s_load_dword s14, s[0:1], 0x1c
	s_load_dwordx4 s[40:43], s[0:1], 0x80
	v_lshl_add_u64 v[40:41], s[10:11], 0, v[30:31]
	v_lshl_or_b32 v30, v29, 9, v27
	v_cvt_pkrtz_f16_f32 v69, v24, v25
	v_mfma_f32_16x16x16_f16 v[22:25], v[22:23], v[10:11], 0
	v_lshl_add_u64 v[18:19], v[40:41], 0, v[30:31]
	v_ashrrev_i32_e32 v37, 31, v36
	v_ashrrev_i32_e32 v65, 31, v64
	s_waitcnt lgkmcnt(0)
	v_mfma_f32_16x16x16_f16 v[30:33], v[38:39], v[2:3], v[32:35]
	v_ashrrev_i32_e32 v67, 31, v66
	v_cvt_pkrtz_f16_f32 v48, v56, v57
	v_cvt_pkrtz_f16_f32 v49, v58, v59
	v_mfma_f32_16x16x16_f16 v[20:23], v[46:47], v[12:13], v[22:25]
	v_lshl_add_u64 v[34:35], v[64:65], 2, s[8:9]
	s_load_dword s4, s[40:41], 0x0
	v_cvt_pkrtz_f16_f32 v50, v60, v61
	v_lshl_add_u64 v[24:25], v[36:37], 2, s[8:9]
	v_lshl_add_u64 v[36:37], v[66:67], 2, s[8:9]
	global_load_dword v47, v[24:25], off
	global_load_dword v45, v[34:35], off
	;; [unrolled: 1-line block ×3, first 2 shown]
	v_mfma_f32_16x16x16_f16 v[34:37], v[68:69], v[4:5], v[30:33]
	s_waitcnt vmcnt(5)
	v_cvt_pk_f32_fp8_e32 v[24:25], v14
	v_cvt_pkrtz_f16_f32 v51, v62, v63
	v_cvt_pk_f32_fp8_e32 v[38:39], v15
	v_cvt_pk_f32_fp8_sdwa v[32:33], v14 src0_sel:WORD_1
	v_mfma_f32_16x16x16_f16 v[20:23], v[48:49], v[2:3], v[20:23]
	v_cvt_pkrtz_f16_f32 v24, v24, v25
	v_cvt_pk_f32_fp8_sdwa v[14:15], v15 src0_sel:WORD_1
	v_cvt_pkrtz_f16_f32 v25, v32, v33
	v_mov_b32_e32 v40, s14
	v_mfma_f32_16x16x16_f16 v[20:23], v[50:51], v[4:5], v[20:23]
	v_cvt_pkrtz_f16_f32 v32, v38, v39
	v_cvt_pk_f32_fp8_e32 v[50:51], v16
	v_cvt_pk_f32_fp8_sdwa v[52:53], v16 src0_sel:WORD_1
	v_cvt_pkrtz_f16_f32 v33, v14, v15
	s_waitcnt lgkmcnt(0)
	v_mul_f32_e32 v48, s4, v40
	v_mfma_f32_16x16x16_f16 v[38:41], v[24:25], v[10:11], 0
	v_cvt_pkrtz_f16_f32 v24, v50, v51
	v_cvt_pkrtz_f16_f32 v25, v52, v53
	v_cvt_pk_f32_fp8_e32 v[50:51], v17
	v_cvt_pk_f32_fp8_sdwa v[52:53], v17 src0_sel:WORD_1
	v_mfma_f32_16x16x16_f16 v[14:17], v[32:33], v[12:13], v[38:41]
	v_pk_mul_f32 v[32:33], v[48:49], v[36:37] op_sel_hi:[0,1]
	v_cvt_pkrtz_f16_f32 v36, v50, v51
	v_cvt_pkrtz_f16_f32 v37, v52, v53
	v_mfma_f32_16x16x16_f16 v[14:17], v[24:25], v[2:3], v[14:17]
	v_pk_mul_f32 v[38:39], v[48:49], v[34:35] op_sel_hi:[0,1]
	s_waitcnt vmcnt(4)
	v_cvt_pk_f32_fp8_e32 v[24:25], v6
	v_cvt_pk_f32_fp8_sdwa v[34:35], v6 src0_sel:WORD_1
	v_mfma_f32_16x16x16_f16 v[14:17], v[36:37], v[4:5], v[14:17]
	v_cvt_pk_f32_fp8_e32 v[36:37], v7
	v_cvt_pkrtz_f16_f32 v24, v24, v25
	v_cvt_pkrtz_f16_f32 v25, v34, v35
	v_cvt_pk_f32_fp8_sdwa v[6:7], v7 src0_sel:WORD_1
	v_cvt_pkrtz_f16_f32 v40, v36, v37
	v_cvt_pk_f32_fp8_e32 v[50:51], v8
	v_cvt_pk_f32_fp8_sdwa v[52:53], v8 src0_sel:WORD_1
	v_cvt_pkrtz_f16_f32 v41, v6, v7
	v_mfma_f32_16x16x16_f16 v[34:37], v[24:25], v[10:11], 0
	v_cvt_pkrtz_f16_f32 v10, v50, v51
	v_cvt_pkrtz_f16_f32 v11, v52, v53
	v_cvt_pk_f32_fp8_e32 v[24:25], v9
	v_cvt_pk_f32_fp8_sdwa v[50:51], v9 src0_sel:WORD_1
	v_mfma_f32_16x16x16_f16 v[6:9], v[40:41], v[12:13], v[34:37]
	v_pk_mul_f32 v[40:41], v[48:49], v[20:21] op_sel_hi:[0,1]
	v_cvt_pkrtz_f16_f32 v12, v24, v25
	v_cvt_pkrtz_f16_f32 v13, v50, v51
	v_mfma_f32_16x16x16_f16 v[6:9], v[10:11], v[2:3], v[6:9]
	v_pk_mul_f32 v[36:37], v[48:49], v[22:23] op_sel_hi:[0,1]
	v_pk_mul_f32 v[24:25], v[48:49], v[16:17] op_sel_hi:[0,1]
	;; [unrolled: 1-line block ×3, first 2 shown]
	v_mfma_f32_16x16x16_f16 v[2:5], v[12:13], v[4:5], v[6:9]
	s_waitcnt vmcnt(3)
	v_mad_i64_i32 v[30:31], s[4:5], v70, s45, v[18:19]
	s_mov_b32 s33, 0xff7fffff
	s_nop 3
	v_pk_mul_f32 v[22:23], v[48:49], v[2:3] op_sel_hi:[0,1]
	v_and_b32_e32 v2, 0xc0, v0
	v_add_u32_e32 v2, s16, v2
	v_lshl_or_b32 v2, v42, 2, v2
	v_or_b32_e32 v3, 1, v2
	v_pk_mul_f32 v[20:21], v[48:49], v[4:5] op_sel_hi:[0,1]
	v_subrev_u32_e32 v4, s29, v3
	v_add_u32_e32 v6, 1, v4
	v_add_u32_e32 v7, 2, v4
	v_add_u32_e32 v8, 3, v4
	v_cvt_f32_i32_e32 v6, v6
	v_cvt_f32_i32_e32 v7, v7
	;; [unrolled: 1-line block ×3, first 2 shown]
	v_add_u32_e32 v9, 19, v4
	v_fmac_f32_e32 v39, v44, v6
	v_fma_f32 v32, v44, v7, v32
	v_fmac_f32_e32 v33, v44, v8
	v_add_u32_e32 v6, 16, v4
	v_add_u32_e32 v7, 17, v4
	;; [unrolled: 1-line block ×3, first 2 shown]
	v_cvt_f32_i32_e32 v6, v6
	v_cvt_f32_i32_e32 v7, v7
	;; [unrolled: 1-line block ×4, first 2 shown]
	v_fma_f32 v40, v44, v6, v40
	v_fmac_f32_e32 v41, v44, v7
	v_fma_f32 v36, v44, v8, v36
	v_add_u32_e32 v6, 32, v4
	v_add_u32_e32 v7, 33, v4
	;; [unrolled: 1-line block ×3, first 2 shown]
	v_cvt_f32_i32_e32 v6, v6
	v_cvt_f32_i32_e32 v7, v7
	;; [unrolled: 1-line block ×4, first 2 shown]
	v_fmac_f32_e32 v37, v44, v9
	v_add_u32_e32 v9, 35, v4
	v_fma_f32 v48, v44, v6, v34
	v_fmac_f32_e32 v35, v44, v7
	v_fma_f32 v24, v44, v8, v24
	v_add_u32_e32 v6, 48, v4
	v_add_u32_e32 v7, 49, v4
	;; [unrolled: 1-line block ×4, first 2 shown]
	v_cvt_f32_i32_e32 v4, v4
	v_cvt_f32_i32_e32 v6, v6
	;; [unrolled: 1-line block ×3, first 2 shown]
	v_fma_f32 v5, v44, v5, v38
	v_fmac_f32_e32 v21, v44, v4
	v_mov_b32_e32 v4, 0xff7fffff
	v_cmp_gt_i32_e64 s[4:5], s29, v2
	v_cmp_gt_i32_e64 s[34:35], s29, v3
	v_fma_f32 v22, v44, v6, v22
	v_cndmask_b32_e64 v6, v4, v5, s[4:5]
	v_cndmask_b32_e64 v3, v4, v39, s[34:35]
	v_fmac_f32_e32 v23, v44, v7
	v_max3_f32 v3, v6, s33, v3
	v_or_b32_e32 v6, 2, v2
	v_or_b32_e32 v7, 3, v2
	v_cmp_gt_i32_e64 s[36:37], s29, v6
	v_cmp_gt_i32_e64 s[38:39], s29, v7
	v_cvt_f32_i32_e32 v9, v9
	v_cndmask_b32_e64 v6, v4, v32, s[36:37]
	v_cndmask_b32_e64 v7, v4, v33, s[38:39]
	v_max3_f32 v3, v3, v6, v7
	v_or_b32_e32 v6, 16, v2
	v_or_b32_e32 v7, 17, v2
	v_cmp_gt_i32_e64 s[24:25], s29, v6
	v_cmp_gt_i32_e64 s[26:27], s29, v7
	v_fmac_f32_e32 v25, v44, v9
	v_cndmask_b32_e64 v6, v4, v40, s[24:25]
	v_cndmask_b32_e64 v7, v4, v41, s[26:27]
	v_max3_f32 v3, v3, v6, v7
	v_or_b32_e32 v6, 18, v2
	v_or_b32_e32 v7, 19, v2
	v_cmp_gt_i32_e64 s[20:21], s29, v6
	v_cmp_gt_i32_e64 s[22:23], s29, v7
	v_cvt_f32_i32_e32 v8, v8
	v_cndmask_b32_e64 v6, v4, v36, s[20:21]
	v_cndmask_b32_e64 v7, v4, v37, s[22:23]
	v_max3_f32 v3, v3, v6, v7
	v_or_b32_e32 v6, 32, v2
	v_or_b32_e32 v7, 33, v2
	v_cmp_gt_i32_e64 s[16:17], s29, v6
	v_cmp_gt_i32_e64 s[18:19], s29, v7
	v_fma_f32 v20, v44, v8, v20
	v_cndmask_b32_e64 v6, v4, v48, s[16:17]
	v_cndmask_b32_e64 v7, v4, v35, s[18:19]
	v_max3_f32 v3, v3, v6, v7
	v_or_b32_e32 v6, 34, v2
	v_or_b32_e32 v7, 35, v2
	v_cmp_gt_i32_e64 s[12:13], s29, v6
	v_cmp_gt_i32_e64 s[14:15], s29, v7
	s_nop 0
	v_cndmask_b32_e64 v6, v4, v24, s[12:13]
	v_cndmask_b32_e64 v7, v4, v25, s[14:15]
	v_max3_f32 v3, v3, v6, v7
	v_or_b32_e32 v6, 48, v2
	v_or_b32_e32 v7, 49, v2
	v_cmp_gt_i32_e64 s[8:9], s29, v6
	v_cmp_gt_i32_e64 s[10:11], s29, v7
	s_nop 0
	v_cndmask_b32_e64 v6, v4, v22, s[8:9]
	v_cndmask_b32_e64 v7, v4, v23, s[10:11]
	v_max3_f32 v3, v3, v6, v7
	v_or_b32_e32 v6, 50, v2
	v_or_b32_e32 v2, 51, v2
	v_cmp_gt_i32_e32 vcc, s29, v6
	v_cmp_gt_i32_e64 s[6:7], s29, v2
	s_nop 0
	v_cndmask_b32_e32 v6, v4, v20, vcc
	v_cndmask_b32_e64 v2, v4, v21, s[6:7]
	v_max3_f32 v4, v3, v6, v2
	v_mbcnt_lo_u32_b32 v2, -1, 0
	v_mbcnt_hi_u32_b32 v6, -1, v2
	v_and_b32_e32 v2, 64, v6
	v_add_u32_e32 v7, 64, v2
	v_xor_b32_e32 v2, 32, v6
	v_cmp_lt_i32_e64 s[40:41], v2, v7
	s_nop 1
	v_cndmask_b32_e64 v2, v6, v2, s[40:41]
	v_lshlrev_b32_e32 v44, 2, v2
	ds_bpermute_b32 v8, v44, v4
	s_waitcnt vmcnt(2)
	v_mad_i64_i32 v[2:3], s[40:41], v47, s45, v[18:19]
	global_load_dwordx4 v[14:17], v[30:31], off
	global_load_dwordx4 v[10:13], v[2:3], off
	v_xor_b32_e32 v3, 16, v6
	v_cmp_lt_i32_e64 s[40:41], v3, v7
	s_waitcnt lgkmcnt(0)
	v_max_f32_e32 v2, v8, v8
	v_max_f32_e32 v2, v4, v2
	v_cndmask_b32_e64 v3, v6, v3, s[40:41]
	v_lshlrev_b32_e32 v47, 2, v3
	ds_bpermute_b32 v3, v47, v2
	s_waitcnt vmcnt(3)
	v_mad_i64_i32 v[30:31], s[40:41], v45, s45, v[18:19]
	s_waitcnt vmcnt(2)
	v_mad_i64_i32 v[18:19], s[40:41], v46, s45, v[18:19]
	s_waitcnt lgkmcnt(0)
	v_max_f32_e32 v3, v3, v3
	v_max_f32_e32 v34, v2, v3
	v_sub_f32_e32 v2, v5, v34
	v_mul_f32_e32 v2, 0x3fb8aa3b, v2
	v_exp_f32_e32 v38, v2
	v_sub_f32_e32 v2, v39, v34
	v_mul_f32_e32 v2, 0x3fb8aa3b, v2
	v_exp_f32_e32 v39, v2
	global_load_dwordx4 v[6:9], v[30:31], off
	global_load_dwordx4 v[2:5], v[18:19], off
	v_sub_f32_e32 v31, v32, v34
	v_sub_f32_e32 v32, v33, v34
	v_mul_f32_e32 v31, 0x3fb8aa3b, v31
	v_mul_f32_e32 v32, 0x3fb8aa3b, v32
	v_exp_f32_e32 v31, v31
	v_exp_f32_e32 v32, v32
	v_cndmask_b32_e64 v18, 0, v38, s[4:5]
	v_cndmask_b32_e64 v19, 0, v39, s[34:35]
	;; [unrolled: 1-line block ×4, first 2 shown]
	v_sub_f32_e32 v31, v40, v34
	v_sub_f32_e32 v32, v41, v34
	v_mul_f32_e32 v31, 0x3fb8aa3b, v31
	v_mul_f32_e32 v32, 0x3fb8aa3b, v32
	v_exp_f32_e32 v31, v31
	v_exp_f32_e32 v32, v32
	v_add_f32_e32 v30, 0, v18
	v_add_f32_e32 v30, v30, v19
	v_add_f32_e32 v30, v30, v38
	v_add_f32_e32 v33, v30, v39
	v_cndmask_b32_e64 v30, 0, v31, s[24:25]
	v_cndmask_b32_e64 v31, 0, v32, s[26:27]
	v_sub_f32_e32 v32, v36, v34
	v_mul_f32_e32 v32, 0x3fb8aa3b, v32
	v_exp_f32_e32 v32, v32
	v_sub_f32_e32 v36, v37, v34
	v_add_f32_e32 v33, v33, v30
	v_mul_f32_e32 v36, 0x3fb8aa3b, v36
	v_exp_f32_e32 v37, v36
	v_add_f32_e32 v33, v33, v31
	v_cndmask_b32_e64 v36, 0, v32, s[20:21]
	v_add_f32_e32 v32, v33, v36
	v_sub_f32_e32 v33, v48, v34
	v_mul_f32_e32 v33, 0x3fb8aa3b, v33
	v_sub_f32_e32 v35, v35, v34
	v_exp_f32_e32 v33, v33
	v_mul_f32_e32 v35, 0x3fb8aa3b, v35
	v_sub_f32_e32 v24, v24, v34
	v_exp_f32_e32 v35, v35
	;; [unrolled: 3-line block ×3, first 2 shown]
	v_mul_f32_e32 v25, 0x3fb8aa3b, v25
	v_sub_f32_e32 v22, v22, v34
	v_cndmask_b32_e64 v37, 0, v37, s[22:23]
	v_exp_f32_e32 v25, v25
	v_mul_f32_e32 v22, 0x3fb8aa3b, v22
	v_sub_f32_e32 v23, v23, v34
	v_add_f32_e32 v40, v32, v37
	v_cndmask_b32_e64 v32, 0, v33, s[16:17]
	v_exp_f32_e32 v22, v22
	v_mul_f32_e32 v23, 0x3fb8aa3b, v23
	v_sub_f32_e32 v20, v20, v34
	v_add_f32_e32 v40, v40, v32
	v_cndmask_b32_e64 v33, 0, v35, s[18:19]
	v_exp_f32_e32 v23, v23
	v_mul_f32_e32 v20, 0x3fb8aa3b, v20
	v_sub_f32_e32 v21, v21, v34
	v_add_f32_e32 v35, v40, v33
	v_cndmask_b32_e64 v24, 0, v24, s[12:13]
	v_exp_f32_e32 v20, v20
	v_mul_f32_e32 v21, 0x3fb8aa3b, v21
	v_add_f32_e32 v35, v35, v24
	v_cndmask_b32_e64 v25, 0, v25, s[14:15]
	v_exp_f32_e32 v21, v21
	v_add_f32_e32 v35, v35, v25
	v_cndmask_b32_e64 v22, 0, v22, s[8:9]
	v_add_f32_e32 v35, v35, v22
	v_cndmask_b32_e64 v23, 0, v23, s[10:11]
	v_add_f32_e32 v35, v35, v23
	v_cndmask_b32_e32 v20, 0, v20, vcc
	v_add_f32_e32 v35, v35, v20
	v_cndmask_b32_e64 v21, 0, v21, s[6:7]
	v_add_f32_e32 v35, v35, v21
	ds_bpermute_b32 v40, v44, v35
	s_load_dword s7, s[0:1], 0x98
	v_cmp_gt_u32_e32 vcc, 16, v43
	s_waitcnt lgkmcnt(0)
	s_barrier
	v_add_f32_e32 v40, v35, v40
	ds_bpermute_b32 v41, v47, v40
	v_lshlrev_b32_e32 v35, 2, v28
	s_waitcnt lgkmcnt(0)
	s_and_saveexec_b64 s[4:5], vcc
	s_cbranch_execz .LBB853_15
; %bb.14:
	v_add_f32_e32 v40, v40, v41
	v_lshl_or_b32 v41, v29, 6, v35
	ds_write2st64_b32 v41, v34, v40 offset1:1
.LBB853_15:
	s_or_b64 exec, exec, s[4:5]
	s_load_dword s6, s[0:1], 0x94
	s_waitcnt lgkmcnt(0)
	s_barrier
	ds_read2_b32 v[40:41], v35 offset1:16
	ds_read2_b32 v[44:45], v35 offset0:32 offset1:48
	ds_read2_b32 v[46:47], v35 offset0:64 offset1:80
	s_mul_i32 s7, s7, 6
	s_waitcnt lgkmcnt(2)
	v_max3_f32 v34, v40, s33, v41
	s_waitcnt lgkmcnt(1)
	v_max3_f32 v34, v34, v44, v45
	v_sub_f32_e32 v40, v40, v34
	v_mul_f32_e32 v40, 0x3fb8aa3b, v40
	v_exp_f32_e32 v43, v40
	v_sub_f32_e32 v40, v41, v34
	v_mul_f32_e32 v40, 0x3fb8aa3b, v40
	v_exp_f32_e32 v48, v40
	;; [unrolled: 3-line block ×3, first 2 shown]
	ds_read2_b32 v[40:41], v35 offset0:96 offset1:112
	v_sub_f32_e32 v35, v45, v34
	v_mul_f32_e32 v35, 0x3fb8aa3b, v35
	v_exp_f32_e32 v45, v35
	s_waitcnt lgkmcnt(1)
	v_fma_f32 v35, v43, v46, 0
	v_fmac_f32_e32 v35, v48, v47
	s_waitcnt lgkmcnt(0)
	v_fmac_f32_e32 v35, v44, v40
	v_fmac_f32_e32 v35, v45, v41
	v_add_f32_e32 v40, 0x358637bd, v35
	v_div_scale_f32 v41, s[4:5], v40, v40, 1.0
	v_rcp_f32_e32 v46, v41
	s_barrier
	v_fma_f32 v47, -v41, v46, 1.0
	v_fmac_f32_e32 v46, v47, v46
	v_div_scale_f32 v47, vcc, 1.0, v40, 1.0
	v_mul_f32_e32 v49, v47, v46
	v_fma_f32 v50, -v41, v49, v47
	v_fmac_f32_e32 v49, v50, v46
	v_fma_f32 v41, -v41, v49, v47
	v_div_fmas_f32 v41, v41, v46, v49
	v_cmp_eq_u32_e32 vcc, 1, v29
	v_div_fixup_f32 v40, v41, v40, 1.0
	s_nop 0
	v_cndmask_b32_e32 v41, v43, v48, vcc
	v_cmp_eq_u32_e32 vcc, 2, v29
	s_nop 1
	v_cndmask_b32_e32 v41, v41, v44, vcc
	v_cmp_eq_u32_e32 vcc, 3, v29
	s_nop 1
	v_cndmask_b32_e32 v41, v41, v45, vcc
	v_mul_f32_e32 v40, v41, v40
	v_pk_mul_f32 v[38:39], v[40:41], v[38:39] op_sel_hi:[0,1]
	v_pk_mul_f32 v[18:19], v[40:41], v[18:19] op_sel_hi:[0,1]
	v_cvt_f16_f32_e32 v41, v38
	v_cvt_f16_f32_e32 v39, v39
	;; [unrolled: 1-line block ×4, first 2 shown]
	v_cmp_gt_u32_e32 vcc, 6, v0
	v_pack_b32_f16 v39, v41, v39
	v_lshlrev_b32_e32 v41, 3, v42
	v_pack_b32_f16 v38, v18, v19
	v_pk_mul_f32 v[18:19], v[40:41], v[36:37] op_sel_hi:[0,1]
	v_pk_mul_f32 v[30:31], v[40:41], v[30:31] op_sel_hi:[0,1]
	v_cvt_f16_f32_e32 v30, v30
	v_cvt_f16_f32_e32 v31, v31
	;; [unrolled: 1-line block ×4, first 2 shown]
	v_lshlrev_b32_e32 v18, 11, v29
	v_or3_b32 v18, v18, v27, v41
	v_pack_b32_f16 v30, v30, v31
	v_pack_b32_f16 v31, v36, v19
	ds_write2st64_b64 v18, v[38:39], v[30:31] offset1:1
	v_pk_mul_f32 v[24:25], v[40:41], v[24:25] op_sel_hi:[0,1]
	v_pk_mul_f32 v[30:31], v[40:41], v[32:33] op_sel_hi:[0,1]
	;; [unrolled: 1-line block ×4, first 2 shown]
	v_cvt_f16_f32_e32 v19, v30
	v_cvt_f16_f32_e32 v29, v31
	;; [unrolled: 1-line block ×8, first 2 shown]
	v_pack_b32_f16 v20, v19, v29
	v_pack_b32_f16 v21, v24, v25
	;; [unrolled: 1-line block ×4, first 2 shown]
	ds_write2st64_b64 v18, v[20:21], v[22:23] offset0:2 offset1:3
	s_and_saveexec_b64 s[4:5], vcc
	s_cbranch_execz .LBB853_17
; %bb.16:
	s_mov_b32 s49, 0
	v_mov_b32_e32 v29, 0
	v_lshl_add_u64 v[20:21], s[48:49], 0, v[28:29]
	v_mov_b32_e32 v19, s7
	v_mad_u64_u32 v[20:21], s[12:13], s2, v19, v[20:21]
	s_mul_i32 s3, s3, s7
	v_mov_b32_e32 v28, s28
	s_load_dwordx4 s[8:11], s[0:1], 0x58
	v_add_u32_e32 v19, s3, v21
	v_mad_u64_u32 v[20:21], s[12:13], v20, s6, v[28:29]
	v_mov_b32_e32 v22, v21
	v_mad_u64_u32 v[22:23], s[12:13], v19, s6, v[22:23]
	v_mov_b32_e32 v21, v22
	v_lshlrev_b64 v[20:21], 2, v[20:21]
	s_waitcnt lgkmcnt(0)
	v_lshl_add_u64 v[22:23], s[10:11], 0, v[20:21]
	v_lshl_add_u64 v[20:21], s[8:9], 0, v[20:21]
	global_store_dword v[22:23], v34, off
	global_store_dword v[20:21], v35, off
.LBB853_17:
	s_or_b64 exec, exec, s[4:5]
	s_waitcnt vmcnt(3)
	v_cvt_pk_f32_fp8_e32 v[20:21], v14
	v_cvt_pk_f32_fp8_sdwa v[22:23], v14 src0_sel:WORD_1
	v_lshl_or_b32 v14, v42, 9, v27
	s_waitcnt lgkmcnt(0)
	s_barrier
	v_cvt_pk_f32_fp8_e32 v[24:25], v15
	v_cvt_pkrtz_f16_f32 v32, v20, v21
	v_cvt_pkrtz_f16_f32 v33, v22, v23
	v_cvt_pk_f32_fp8_sdwa v[28:29], v15 src0_sel:WORD_1
	ds_read_b128 v[20:23], v14
	v_cvt_pkrtz_f16_f32 v24, v24, v25
	v_cvt_pk_f32_fp8_e32 v[36:37], v16
	v_cvt_pkrtz_f16_f32 v25, v28, v29
	ds_read_b128 v[28:31], v14 offset:16
	v_cvt_pk_f32_fp8_sdwa v[38:39], v16 src0_sel:WORD_1
	s_waitcnt lgkmcnt(1)
	v_mfma_f32_16x16x16_f16 v[32:35], v[32:33], v[20:21], 0
	v_cvt_pkrtz_f16_f32 v36, v36, v37
	s_load_dword s4, s[42:43], 0x0
	v_cvt_pkrtz_f16_f32 v37, v38, v39
	v_cvt_pk_f32_fp8_e32 v[38:39], v17
	v_cvt_pk_f32_fp8_sdwa v[16:17], v17 src0_sel:WORD_1
	v_mfma_f32_16x16x16_f16 v[20:23], v[24:25], v[22:23], v[32:35]
	v_cmp_gt_u32_e32 vcc, 64, v0
	v_cvt_pkrtz_f16_f32 v24, v38, v39
	v_cvt_pkrtz_f16_f32 v25, v16, v17
	s_waitcnt lgkmcnt(0)
	v_mfma_f32_16x16x16_f16 v[20:23], v[36:37], v[28:29], v[20:23]
	s_waitcnt vmcnt(2)
	v_cvt_pk_f32_fp8_e32 v[16:17], v10
	v_cvt_pk_f32_fp8_e32 v[28:29], v11
	v_cvt_pk_f32_fp8_sdwa v[36:37], v12 src0_sel:WORD_1
	v_mfma_f32_16x16x16_f16 v[20:23], v[24:25], v[30:31], v[20:23]
	v_cvt_pk_f32_fp8_sdwa v[24:25], v10 src0_sel:WORD_1
	v_cvt_pkrtz_f16_f32 v10, v16, v17
	v_cvt_pk_f32_fp8_sdwa v[16:17], v11 src0_sel:WORD_1
	ds_read_b128 v[32:35], v14 offset:2064
	v_cvt_pkrtz_f16_f32 v11, v24, v25
	v_cvt_pkrtz_f16_f32 v24, v28, v29
	ds_read_b128 v[28:31], v14 offset:2048
	v_cvt_pkrtz_f16_f32 v25, v16, v17
	v_cvt_pk_f32_fp8_e32 v[16:17], v12
	s_waitcnt lgkmcnt(0)
	v_mfma_f32_16x16x16_f16 v[20:23], v[10:11], v[28:29], v[20:23]
	v_cvt_pkrtz_f16_f32 v10, v16, v17
	v_cvt_pkrtz_f16_f32 v11, v36, v37
	v_cvt_pk_f32_fp8_e32 v[16:17], v13
	v_mfma_f32_16x16x16_f16 v[20:23], v[24:25], v[30:31], v[20:23]
	v_cvt_pk_f32_fp8_sdwa v[24:25], v13 src0_sel:WORD_1
	ds_read_b128 v[28:31], v14 offset:4112
	v_cvt_pkrtz_f16_f32 v16, v16, v17
	v_mfma_f32_16x16x16_f16 v[10:13], v[10:11], v[32:33], v[20:23]
	v_cvt_pkrtz_f16_f32 v17, v24, v25
	s_waitcnt vmcnt(1)
	v_cvt_pk_f32_fp8_sdwa v[24:25], v7 src0_sel:WORD_1
	v_cvt_pk_f32_fp8_sdwa v[32:33], v8 src0_sel:WORD_1
	v_cvt_pk_f32_fp8_e32 v[20:21], v6
	v_mfma_f32_16x16x16_f16 v[10:13], v[16:17], v[34:35], v[10:13]
	v_cvt_pk_f32_fp8_sdwa v[16:17], v6 src0_sel:WORD_1
	v_cvt_pk_f32_fp8_e32 v[22:23], v7
	v_cvt_pkrtz_f16_f32 v6, v20, v21
	s_mov_b32 s3, 0
	v_cvt_pkrtz_f16_f32 v7, v16, v17
	v_cvt_pkrtz_f16_f32 v16, v22, v23
	ds_read_b128 v[20:23], v14 offset:4096
	v_cvt_pkrtz_f16_f32 v17, v24, v25
	v_cvt_pk_f32_fp8_e32 v[24:25], v8
	s_waitcnt lgkmcnt(0)
	v_mfma_f32_16x16x16_f16 v[10:13], v[6:7], v[20:21], v[10:13]
	v_cvt_pkrtz_f16_f32 v6, v24, v25
	v_cvt_pkrtz_f16_f32 v7, v32, v33
	v_cvt_pk_f32_fp8_e32 v[20:21], v9
	v_mfma_f32_16x16x16_f16 v[10:13], v[16:17], v[22:23], v[10:13]
	v_cvt_pk_f32_fp8_sdwa v[16:17], v9 src0_sel:WORD_1
	s_waitcnt vmcnt(0)
	v_cvt_pk_f32_fp8_sdwa v[24:25], v4 src0_sel:WORD_1
	v_cvt_pkrtz_f16_f32 v20, v20, v21
	v_mfma_f32_16x16x16_f16 v[6:9], v[6:7], v[28:29], v[10:13]
	v_cvt_pkrtz_f16_f32 v21, v16, v17
	v_cvt_pk_f32_fp8_e32 v[16:17], v3
	v_mov_b32_e32 v27, 0
	v_cvt_pk_f32_fp8_e32 v[10:11], v2
	v_cvt_pk_f32_fp8_sdwa v[12:13], v2 src0_sel:WORD_1
	v_mfma_f32_16x16x16_f16 v[6:9], v[20:21], v[30:31], v[6:9]
	v_cvt_pk_f32_fp8_sdwa v[20:21], v3 src0_sel:WORD_1
	v_cvt_pkrtz_f16_f32 v2, v10, v11
	v_cvt_pkrtz_f16_f32 v3, v12, v13
	ds_read_b128 v[10:13], v14 offset:6144
	v_cvt_pkrtz_f16_f32 v22, v16, v17
	v_cvt_pkrtz_f16_f32 v23, v20, v21
	v_cvt_pk_f32_fp8_e32 v[20:21], v4
	s_waitcnt lgkmcnt(0)
	v_mfma_f32_16x16x16_f16 v[6:9], v[2:3], v[10:11], v[6:9]
	ds_read_b128 v[14:17], v14 offset:6160
	v_cvt_pkrtz_f16_f32 v2, v20, v21
	v_cvt_pkrtz_f16_f32 v3, v24, v25
	v_cvt_pk_f32_fp8_e32 v[10:11], v5
	v_mfma_f32_16x16x16_f16 v[6:9], v[22:23], v[12:13], v[6:9]
	v_cvt_pk_f32_fp8_sdwa v[12:13], v5 src0_sel:WORD_1
	s_waitcnt lgkmcnt(0)
	v_cvt_pkrtz_f16_f32 v10, v10, v11
	v_mfma_f32_16x16x16_f16 v[2:5], v[2:3], v[14:15], v[6:9]
	v_cvt_pkrtz_f16_f32 v11, v12, v13
	s_barrier
	s_nop 0
	v_mfma_f32_16x16x16_f16 v[2:5], v[10:11], v[16:17], v[2:5]
	s_nop 6
	v_pk_mul_f32 v[4:5], v[4:5], s[4:5] op_sel_hi:[1,0]
	v_pk_mul_f32 v[2:3], v[2:3], s[4:5] op_sel_hi:[1,0]
	v_cvt_f16_f32_e32 v4, v4
	v_cvt_f16_f32_e32 v2, v2
	;; [unrolled: 1-line block ×4, first 2 shown]
	s_and_b64 s[4:5], vcc, s[30:31]
	v_pack_b32_f16 v2, v2, v3
	v_pack_b32_f16 v3, v4, v5
	ds_write_b64 v18, v[2:3]
	s_waitcnt lgkmcnt(0)
	s_barrier
	s_and_saveexec_b64 s[8:9], s[4:5]
	s_cbranch_execz .LBB853_20
; %bb.18:
	s_load_dwordx2 s[4:5], s[0:1], 0x68
	s_lshl_b32 s0, s6, 6
	s_mul_i32 s1, s7, s2
	s_mul_hi_u32 s7, s1, s0
	s_mul_i32 s6, s1, s0
	v_lshlrev_b32_e32 v0, 10, v0
	s_lshl_b64 s[6:7], s[6:7], 1
	v_and_b32_e32 v0, 0x1800, v0
	v_lshlrev_b32_e32 v3, 5, v42
	v_and_b32_e32 v1, 16, v1
	s_waitcnt lgkmcnt(0)
	s_add_u32 s1, s4, s6
	v_or3_b32 v3, v0, v3, v1
	s_addc_u32 s4, s5, s7
	s_lshl_b32 s2, s28, 6
	s_lshl_b64 s[2:3], s[2:3], 1
	ds_read_b128 v[4:7], v3
	s_add_u32 s2, s1, s2
	s_addc_u32 s3, s4, s3
	v_add_u32_e32 v8, s48, v42
	v_or_b32_e32 v2, 4, v42
	v_lshl_add_u64 v[0:1], s[2:3], 0, v[26:27]
	v_mad_u64_u32 v[8:9], s[2:3], v8, s0, 0
	v_lshl_add_u64 v[8:9], v[8:9], 1, v[0:1]
	v_cmp_gt_u32_e32 vcc, 6, v2
	s_waitcnt lgkmcnt(0)
	global_store_dwordx4 v[8:9], v[4:7], off
	s_and_b64 exec, exec, vcc
	s_cbranch_execz .LBB853_20
; %bb.19:
	ds_read_b128 v[4:7], v3 offset:128
	v_add_u32_e32 v2, s48, v2
	v_mad_u64_u32 v[2:3], s[0:1], v2, s0, 0
	v_lshl_add_u64 v[0:1], v[2:3], 1, v[0:1]
	s_waitcnt lgkmcnt(0)
	global_store_dwordx4 v[0:1], v[4:7], off
.LBB853_20:
	s_endpgm
	.section	.rodata,"a",@progbits
	.p2align	6, 0x0
	.amdhsa_kernel _Z39paged_attention_ll4mi_QKV_mfma16_kernelIDF16_hLN4vllm18Fp8KVCacheDataTypeE1EhLi32ELi64ELi256ELb1ELi6EEvPKT_PKT0_S7_ifPKiS9_S9_iPKfiiiPfSC_PS2_PT2_iSB_SB_
		.amdhsa_group_segment_fixed_size 8192
		.amdhsa_private_segment_fixed_size 0
		.amdhsa_kernarg_size 400
		.amdhsa_user_sgpr_count 2
		.amdhsa_user_sgpr_dispatch_ptr 0
		.amdhsa_user_sgpr_queue_ptr 0
		.amdhsa_user_sgpr_kernarg_segment_ptr 1
		.amdhsa_user_sgpr_dispatch_id 0
		.amdhsa_user_sgpr_kernarg_preload_length 0
		.amdhsa_user_sgpr_kernarg_preload_offset 0
		.amdhsa_user_sgpr_private_segment_size 0
		.amdhsa_uses_dynamic_stack 0
		.amdhsa_enable_private_segment 0
		.amdhsa_system_sgpr_workgroup_id_x 1
		.amdhsa_system_sgpr_workgroup_id_y 1
		.amdhsa_system_sgpr_workgroup_id_z 1
		.amdhsa_system_sgpr_workgroup_info 0
		.amdhsa_system_vgpr_workitem_id 0
		.amdhsa_next_free_vgpr 71
		.amdhsa_next_free_sgpr 50
		.amdhsa_accum_offset 72
		.amdhsa_reserve_vcc 1
		.amdhsa_float_round_mode_32 0
		.amdhsa_float_round_mode_16_64 0
		.amdhsa_float_denorm_mode_32 3
		.amdhsa_float_denorm_mode_16_64 3
		.amdhsa_dx10_clamp 1
		.amdhsa_ieee_mode 1
		.amdhsa_fp16_overflow 0
		.amdhsa_tg_split 0
		.amdhsa_exception_fp_ieee_invalid_op 0
		.amdhsa_exception_fp_denorm_src 0
		.amdhsa_exception_fp_ieee_div_zero 0
		.amdhsa_exception_fp_ieee_overflow 0
		.amdhsa_exception_fp_ieee_underflow 0
		.amdhsa_exception_fp_ieee_inexact 0
		.amdhsa_exception_int_div_zero 0
	.end_amdhsa_kernel
	.section	.text._Z39paged_attention_ll4mi_QKV_mfma16_kernelIDF16_hLN4vllm18Fp8KVCacheDataTypeE1EhLi32ELi64ELi256ELb1ELi6EEvPKT_PKT0_S7_ifPKiS9_S9_iPKfiiiPfSC_PS2_PT2_iSB_SB_,"axG",@progbits,_Z39paged_attention_ll4mi_QKV_mfma16_kernelIDF16_hLN4vllm18Fp8KVCacheDataTypeE1EhLi32ELi64ELi256ELb1ELi6EEvPKT_PKT0_S7_ifPKiS9_S9_iPKfiiiPfSC_PS2_PT2_iSB_SB_,comdat
.Lfunc_end853:
	.size	_Z39paged_attention_ll4mi_QKV_mfma16_kernelIDF16_hLN4vllm18Fp8KVCacheDataTypeE1EhLi32ELi64ELi256ELb1ELi6EEvPKT_PKT0_S7_ifPKiS9_S9_iPKfiiiPfSC_PS2_PT2_iSB_SB_, .Lfunc_end853-_Z39paged_attention_ll4mi_QKV_mfma16_kernelIDF16_hLN4vllm18Fp8KVCacheDataTypeE1EhLi32ELi64ELi256ELb1ELi6EEvPKT_PKT0_S7_ifPKiS9_S9_iPKfiiiPfSC_PS2_PT2_iSB_SB_
                                        ; -- End function
	.section	.AMDGPU.csdata,"",@progbits
; Kernel info:
; codeLenInByte = 4952
; NumSgprs: 56
; NumVgprs: 71
; NumAgprs: 0
; TotalNumVgprs: 71
; ScratchSize: 0
; MemoryBound: 0
; FloatMode: 240
; IeeeMode: 1
; LDSByteSize: 8192 bytes/workgroup (compile time only)
; SGPRBlocks: 6
; VGPRBlocks: 8
; NumSGPRsForWavesPerEU: 56
; NumVGPRsForWavesPerEU: 71
; AccumOffset: 72
; Occupancy: 7
; WaveLimiterHint : 1
; COMPUTE_PGM_RSRC2:SCRATCH_EN: 0
; COMPUTE_PGM_RSRC2:USER_SGPR: 2
; COMPUTE_PGM_RSRC2:TRAP_HANDLER: 0
; COMPUTE_PGM_RSRC2:TGID_X_EN: 1
; COMPUTE_PGM_RSRC2:TGID_Y_EN: 1
; COMPUTE_PGM_RSRC2:TGID_Z_EN: 1
; COMPUTE_PGM_RSRC2:TIDIG_COMP_CNT: 0
; COMPUTE_PGM_RSRC3_GFX90A:ACCUM_OFFSET: 17
; COMPUTE_PGM_RSRC3_GFX90A:TG_SPLIT: 0
	.section	.text._Z39paged_attention_ll4mi_QKV_mfma16_kernelIDF16_hLN4vllm18Fp8KVCacheDataTypeE1EhLi32ELi64ELi256ELb1ELi7EEvPKT_PKT0_S7_ifPKiS9_S9_iPKfiiiPfSC_PS2_PT2_iSB_SB_,"axG",@progbits,_Z39paged_attention_ll4mi_QKV_mfma16_kernelIDF16_hLN4vllm18Fp8KVCacheDataTypeE1EhLi32ELi64ELi256ELb1ELi7EEvPKT_PKT0_S7_ifPKiS9_S9_iPKfiiiPfSC_PS2_PT2_iSB_SB_,comdat
	.protected	_Z39paged_attention_ll4mi_QKV_mfma16_kernelIDF16_hLN4vllm18Fp8KVCacheDataTypeE1EhLi32ELi64ELi256ELb1ELi7EEvPKT_PKT0_S7_ifPKiS9_S9_iPKfiiiPfSC_PS2_PT2_iSB_SB_ ; -- Begin function _Z39paged_attention_ll4mi_QKV_mfma16_kernelIDF16_hLN4vllm18Fp8KVCacheDataTypeE1EhLi32ELi64ELi256ELb1ELi7EEvPKT_PKT0_S7_ifPKiS9_S9_iPKfiiiPfSC_PS2_PT2_iSB_SB_
	.globl	_Z39paged_attention_ll4mi_QKV_mfma16_kernelIDF16_hLN4vllm18Fp8KVCacheDataTypeE1EhLi32ELi64ELi256ELb1ELi7EEvPKT_PKT0_S7_ifPKiS9_S9_iPKfiiiPfSC_PS2_PT2_iSB_SB_
	.p2align	8
	.type	_Z39paged_attention_ll4mi_QKV_mfma16_kernelIDF16_hLN4vllm18Fp8KVCacheDataTypeE1EhLi32ELi64ELi256ELb1ELi7EEvPKT_PKT0_S7_ifPKiS9_S9_iPKfiiiPfSC_PS2_PT2_iSB_SB_,@function
_Z39paged_attention_ll4mi_QKV_mfma16_kernelIDF16_hLN4vllm18Fp8KVCacheDataTypeE1EhLi32ELi64ELi256ELb1ELi7EEvPKT_PKT0_S7_ifPKiS9_S9_iPKfiiiPfSC_PS2_PT2_iSB_SB_: ; @_Z39paged_attention_ll4mi_QKV_mfma16_kernelIDF16_hLN4vllm18Fp8KVCacheDataTypeE1EhLi32ELi64ELi256ELb1ELi7EEvPKT_PKT0_S7_ifPKiS9_S9_iPKfiiiPfSC_PS2_PT2_iSB_SB_
; %bb.0:
	s_load_dwordx2 s[6:7], s[0:1], 0x30
	s_mov_b32 s28, s3
	s_mov_b64 s[8:9], 0
	s_waitcnt lgkmcnt(0)
	s_cmp_lg_u64 s[6:7], 0
	s_cselect_b64 s[10:11], -1, 0
	s_and_b64 vcc, exec, s[10:11]
	s_cbranch_vccz .LBB854_7
; %bb.1:
	s_add_i32 s12, s2, 1
	s_mov_b32 s13, 0
	s_lshl_b64 s[14:15], s[12:13], 2
	s_add_u32 s14, s6, s14
	s_mov_b32 s3, s13
	s_addc_u32 s15, s7, s15
	s_lshl_b64 s[12:13], s[2:3], 2
	s_add_u32 s12, s6, s12
	s_addc_u32 s13, s7, s13
	s_load_dword s5, s[14:15], 0x0
	s_load_dword s16, s[12:13], 0x0
	s_waitcnt lgkmcnt(0)
	s_sub_i32 s5, s5, s16
	s_cmp_eq_u32 s5, 1
	s_cselect_b64 s[12:13], -1, 0
	s_andn2_b64 vcc, exec, s[8:9]
	s_cbranch_vccnz .LBB854_3
.LBB854_2:
	s_mov_b32 s3, 0
	s_mov_b64 s[12:13], -1
.LBB854_3:
	s_andn2_b64 vcc, exec, s[12:13]
	s_cbranch_vccnz .LBB854_20
; %bb.4:
	s_load_dwordx2 s[8:9], s[0:1], 0x28
	s_lshl_b64 s[12:13], s[2:3], 2
	s_waitcnt lgkmcnt(0)
	s_add_u32 s8, s8, s12
	s_addc_u32 s9, s9, s13
	s_load_dword s29, s[8:9], 0x0
	s_lshl_b32 s16, s28, 8
	s_waitcnt lgkmcnt(0)
	s_cmp_ge_i32 s16, s29
	s_cbranch_scc1 .LBB854_20
; %bb.5:
	s_load_dwordx2 s[8:9], s[0:1], 0x20
	s_load_dword s5, s[0:1], 0x38
	s_add_i32 s14, s29, 31
	s_ashr_i32 s15, s14, 31
	v_and_b32_e32 v1, 0xcf, v0
	s_lshr_b32 s15, s15, 27
	v_add_u32_e32 v1, s16, v1
	s_add_i32 s14, s14, s15
	v_ashrrev_i32_e32 v2, 31, v1
	s_ashr_i32 s17, s14, 5
	v_lshrrev_b32_e32 v4, 27, v2
	s_add_i32 s17, s17, -1
	s_waitcnt lgkmcnt(0)
	s_mul_i32 s14, s2, s5
	s_mov_b32 s15, 0
	v_add_u32_e32 v2, v1, v4
	s_lshl_b64 s[14:15], s[14:15], 2
	v_ashrrev_i32_e32 v2, 5, v2
	v_mov_b32_e32 v5, s17
	v_cmp_gt_i32_e32 vcc, s29, v1
	s_add_u32 s8, s8, s14
	s_addc_u32 s9, s9, s15
	v_cndmask_b32_e32 v2, v5, v2, vcc
	v_ashrrev_i32_e32 v3, 31, v2
	v_lshl_add_u64 v[6:7], v[2:3], 2, s[8:9]
	v_or_b32_e32 v2, 16, v1
	v_add_u32_e32 v3, v2, v4
	v_ashrrev_i32_e32 v3, 5, v3
	v_cmp_gt_i32_e32 vcc, s29, v2
	s_load_dwordx2 s[14:15], s[0:1], 0x8
	s_nop 0
	v_cndmask_b32_e32 v2, v5, v3, vcc
	v_ashrrev_i32_e32 v3, 31, v2
	v_lshl_add_u64 v[8:9], v[2:3], 2, s[8:9]
	v_or_b32_e32 v2, 32, v1
	v_add_u32_e32 v3, v2, v4
	v_ashrrev_i32_e32 v3, 5, v3
	v_cmp_gt_i32_e32 vcc, s29, v2
	v_or_b32_e32 v1, 48, v1
	s_nop 0
	v_cndmask_b32_e32 v2, v5, v3, vcc
	v_ashrrev_i32_e32 v3, 31, v2
	v_lshl_add_u64 v[10:11], v[2:3], 2, s[8:9]
	v_add_u32_e32 v2, v1, v4
	v_ashrrev_i32_e32 v2, 5, v2
	v_cmp_gt_i32_e32 vcc, s29, v1
	s_nop 1
	v_cndmask_b32_e32 v2, v5, v2, vcc
	v_ashrrev_i32_e32 v3, 31, v2
	v_lshl_add_u64 v[12:13], v[2:3], 2, s[8:9]
	global_load_dword v5, v[6:7], off
	global_load_dword v4, v[8:9], off
	;; [unrolled: 1-line block ×4, first 2 shown]
	s_andn2_b64 vcc, exec, s[10:11]
	s_cbranch_vccnz .LBB854_8
; %bb.6:
	s_add_u32 s6, s6, s12
	s_addc_u32 s7, s7, s13
	s_load_dword s5, s[6:7], 0x0
	s_branch .LBB854_9
.LBB854_7:
	s_mov_b64 s[12:13], 0
	s_branch .LBB854_2
.LBB854_8:
	s_mov_b32 s5, s2
.LBB854_9:
	s_load_dwordx2 s[10:11], s[0:1], 0x10
	s_load_dwordx4 s[44:47], s[0:1], 0x48
	v_lshrrev_b32_e32 v29, 6, v0
	v_bfe_u32 v42, v0, 4, 2
	v_lshl_or_b32 v6, v29, 2, v42
	v_and_b32_e32 v28, 15, v0
	v_lshlrev_b32_e32 v1, 3, v28
	v_cmp_gt_u32_e32 vcc, 7, v6
	v_cmp_gt_u32_e64 s[30:31], 8, v28
	s_mul_i32 s48, s4, 7
	s_and_b64 s[12:13], s[30:31], vcc
	v_lshlrev_b32_e32 v26, 1, v1
	v_lshlrev_b32_e32 v1, 4, v0
	s_and_saveexec_b64 s[6:7], s[12:13]
	s_cbranch_execz .LBB854_11
; %bb.10:
	s_load_dwordx2 s[12:13], s[0:1], 0x0
	s_waitcnt lgkmcnt(0)
	s_ashr_i32 s18, s44, 31
	s_mul_hi_u32 s19, s5, s44
	s_mul_i32 s18, s5, s18
	s_add_i32 s19, s19, s18
	s_mul_i32 s18, s5, s44
	s_lshl_b64 s[18:19], s[18:19], 1
	s_add_u32 s12, s12, s18
	v_add_lshl_u32 v8, v6, s48, 6
	s_addc_u32 s13, s13, s19
	v_ashrrev_i32_e32 v9, 31, v8
	v_lshl_add_u64 v[8:9], v[8:9], 1, s[12:13]
	v_mov_b32_e32 v27, 0
	v_lshl_add_u64 v[8:9], v[8:9], 0, v[26:27]
	global_load_dwordx4 v[8:11], v[8:9], off
	v_lshlrev_b32_e32 v12, 8, v28
	v_lshlrev_b32_e32 v6, 5, v6
	v_and_b32_e32 v7, 16, v1
	v_and_b32_e32 v12, 0xe00, v12
	v_or3_b32 v6, v12, v6, v7
	s_waitcnt vmcnt(0)
	ds_write_b128 v6, v[8:11]
.LBB854_11:
	s_or_b64 exec, exec, s[6:7]
	s_waitcnt lgkmcnt(0)
	s_mul_i32 s12, s4, s46
	s_add_u32 s4, s14, s12
	s_addc_u32 s5, s15, 0
	v_mov_b32_e32 v31, 0
	v_mov_b64_e32 v[6:7], s[4:5]
	v_lshlrev_b32_e32 v10, 4, v28
	v_and_b32_e32 v27, 48, v0
	s_waitcnt vmcnt(3)
	v_mad_i64_i32 v[8:9], s[4:5], v5, s45, v[6:7]
	v_mov_b32_e32 v11, v31
	s_waitcnt vmcnt(2)
	v_mad_i64_i32 v[4:5], s[4:5], v4, s45, v[6:7]
	v_or_b32_e32 v12, 0x100, v10
	v_mov_b32_e32 v13, v31
	v_lshlrev_b32_e32 v30, 5, v27
	v_lshl_add_u64 v[8:9], v[8:9], 0, v[10:11]
	v_lshl_add_u64 v[4:5], v[4:5], 0, v[12:13]
	;; [unrolled: 1-line block ×4, first 2 shown]
	s_barrier
	global_load_dwordx4 v[22:25], v[8:9], off
	global_load_dwordx4 v[18:21], v[4:5], off
	s_waitcnt vmcnt(3)
	v_mad_i64_i32 v[4:5], s[4:5], v3, s45, v[6:7]
	v_lshl_add_u64 v[4:5], v[4:5], 0, v[10:11]
	s_waitcnt vmcnt(2)
	v_mad_i64_i32 v[2:3], s[4:5], v2, s45, v[6:7]
	v_lshl_add_u64 v[4:5], v[4:5], 0, v[30:31]
	v_lshl_add_u64 v[2:3], v[2:3], 0, v[12:13]
	;; [unrolled: 1-line block ×3, first 2 shown]
	global_load_dwordx4 v[14:17], v[4:5], off
	global_load_dwordx4 v[6:9], v[2:3], off
	v_mul_lo_u16_e32 v2, 37, v28
	v_mov_b32_e32 v3, 7
	v_mul_lo_u16_sdwa v2, v2, v3 dst_sel:DWORD dst_unused:UNUSED_PAD src0_sel:BYTE_1 src1_sel:DWORD
	v_sub_u16_e32 v2, v28, v2
	v_mov_b32_e32 v3, 5
	v_lshlrev_b32_sdwa v2, v3, v2 dst_sel:DWORD dst_unused:UNUSED_PAD src0_sel:DWORD src1_sel:BYTE_0
	v_lshl_add_u32 v2, v42, 9, v2
	ds_read_b128 v[10:13], v2
	ds_read_b128 v[2:5], v2 offset:16
	v_and_b32_e32 v43, 63, v0
	v_cmp_gt_u32_e32 vcc, 7, v28
	v_mov_b32_e32 v44, 0
	s_and_saveexec_b64 s[4:5], vcc
	s_cbranch_execz .LBB854_13
; %bb.12:
	s_load_dwordx2 s[6:7], s[0:1], 0x40
	v_add_u32_e32 v32, s48, v28
	v_ashrrev_i32_e32 v33, 31, v32
	s_waitcnt lgkmcnt(0)
	v_lshl_add_u64 v[32:33], v[32:33], 2, s[6:7]
	global_load_dword v44, v[32:33], off
.LBB854_13:
	s_or_b64 exec, exec, s[4:5]
	s_ashr_i32 s4, s16, 31
	v_or_b32_e32 v45, s16, v27
	s_lshr_b32 s13, s4, 27
	v_add_u32_e32 v27, s13, v45
	v_ashrrev_i32_e32 v27, 5, v27
	s_waitcnt vmcnt(3)
	v_cvt_pk_f32_fp8_e32 v[32:33], v22
	v_cvt_pk_f32_fp8_sdwa v[34:35], v22 src0_sel:WORD_1
	s_waitcnt vmcnt(2)
	v_cvt_pk_f32_fp8_e32 v[56:57], v20
	v_cvt_pk_f32_fp8_sdwa v[58:59], v20 src0_sel:WORD_1
	v_mov_b32_e32 v20, s17
	v_cmp_gt_i32_e32 vcc, s29, v45
	v_cvt_pk_f32_fp8_e32 v[48:49], v18
	v_cvt_pk_f32_fp8_sdwa v[50:51], v18 src0_sel:WORD_1
	v_cndmask_b32_e32 v18, v20, v27, vcc
	v_cvt_pk_f32_fp8_e32 v[52:53], v19
	v_cvt_pk_f32_fp8_sdwa v[54:55], v19 src0_sel:WORD_1
	v_ashrrev_i32_e32 v19, 31, v18
	v_lshl_add_u64 v[18:19], v[18:19], 2, s[8:9]
	v_cvt_pk_f32_fp8_e32 v[36:37], v23
	v_cvt_pk_f32_fp8_sdwa v[22:23], v23 src0_sel:WORD_1
	global_load_dword v70, v[18:19], off
	v_cvt_pkrtz_f16_f32 v18, v32, v33
	v_cvt_pkrtz_f16_f32 v19, v34, v35
	v_cvt_pk_f32_fp8_e32 v[60:61], v21
	v_cvt_pk_f32_fp8_sdwa v[62:63], v21 src0_sel:WORD_1
	v_or_b32_e32 v21, 64, v45
	v_or_b32_e32 v32, 0x80, v45
	;; [unrolled: 1-line block ×3, first 2 shown]
	v_cmp_gt_i32_e32 vcc, s29, v21
	v_add_u32_e32 v21, s13, v21
	v_cmp_gt_i32_e64 s[4:5], s29, v32
	v_add_u32_e32 v32, s13, v32
	v_cmp_gt_i32_e64 s[6:7], s29, v33
	v_add_u32_e32 v33, s13, v33
	v_cvt_pk_f32_fp8_e32 v[38:39], v24
	v_cvt_pk_f32_fp8_sdwa v[40:41], v24 src0_sel:WORD_1
	v_ashrrev_i32_e32 v21, 5, v21
	v_ashrrev_i32_e32 v34, 5, v32
	;; [unrolled: 1-line block ×3, first 2 shown]
	v_cvt_pkrtz_f16_f32 v32, v36, v37
	v_cvt_pkrtz_f16_f32 v33, v22, v23
	v_cndmask_b32_e32 v36, v20, v21, vcc
	v_cndmask_b32_e64 v64, v20, v34, s[4:5]
	v_cndmask_b32_e64 v66, v20, v35, s[6:7]
	s_waitcnt lgkmcnt(1)
	v_mfma_f32_16x16x16_f16 v[18:21], v[18:19], v[10:11], 0
	v_cvt_pk_f32_fp8_e32 v[46:47], v25
	v_cvt_pkrtz_f16_f32 v22, v48, v49
	v_cvt_pkrtz_f16_f32 v23, v50, v51
	v_cvt_pk_f32_fp8_sdwa v[24:25], v25 src0_sel:WORD_1
	v_cvt_pkrtz_f16_f32 v38, v38, v39
	v_cvt_pkrtz_f16_f32 v39, v40, v41
	v_mfma_f32_16x16x16_f16 v[32:35], v[32:33], v[12:13], v[18:21]
	s_add_u32 s10, s10, s12
	v_and_b32_e32 v30, 16, v0
	v_lshlrev_b32_e32 v27, 5, v28
	s_addc_u32 s11, s11, 0
	v_cvt_pkrtz_f16_f32 v68, v46, v47
	v_cvt_pkrtz_f16_f32 v46, v52, v53
	;; [unrolled: 1-line block ×3, first 2 shown]
	s_load_dword s14, s[0:1], 0x1c
	s_load_dwordx4 s[40:43], s[0:1], 0x80
	v_lshl_add_u64 v[40:41], s[10:11], 0, v[30:31]
	v_lshl_or_b32 v30, v29, 9, v27
	v_cvt_pkrtz_f16_f32 v69, v24, v25
	v_mfma_f32_16x16x16_f16 v[22:25], v[22:23], v[10:11], 0
	v_lshl_add_u64 v[18:19], v[40:41], 0, v[30:31]
	v_ashrrev_i32_e32 v37, 31, v36
	v_ashrrev_i32_e32 v65, 31, v64
	s_waitcnt lgkmcnt(0)
	v_mfma_f32_16x16x16_f16 v[30:33], v[38:39], v[2:3], v[32:35]
	v_ashrrev_i32_e32 v67, 31, v66
	v_cvt_pkrtz_f16_f32 v48, v56, v57
	v_cvt_pkrtz_f16_f32 v49, v58, v59
	v_mfma_f32_16x16x16_f16 v[20:23], v[46:47], v[12:13], v[22:25]
	v_lshl_add_u64 v[34:35], v[64:65], 2, s[8:9]
	s_load_dword s4, s[40:41], 0x0
	v_cvt_pkrtz_f16_f32 v50, v60, v61
	v_lshl_add_u64 v[24:25], v[36:37], 2, s[8:9]
	v_lshl_add_u64 v[36:37], v[66:67], 2, s[8:9]
	global_load_dword v47, v[24:25], off
	global_load_dword v45, v[34:35], off
	;; [unrolled: 1-line block ×3, first 2 shown]
	v_mfma_f32_16x16x16_f16 v[34:37], v[68:69], v[4:5], v[30:33]
	s_waitcnt vmcnt(5)
	v_cvt_pk_f32_fp8_e32 v[24:25], v14
	v_cvt_pkrtz_f16_f32 v51, v62, v63
	v_cvt_pk_f32_fp8_e32 v[38:39], v15
	v_cvt_pk_f32_fp8_sdwa v[32:33], v14 src0_sel:WORD_1
	v_mfma_f32_16x16x16_f16 v[20:23], v[48:49], v[2:3], v[20:23]
	v_cvt_pkrtz_f16_f32 v24, v24, v25
	v_cvt_pk_f32_fp8_sdwa v[14:15], v15 src0_sel:WORD_1
	v_cvt_pkrtz_f16_f32 v25, v32, v33
	v_mov_b32_e32 v40, s14
	v_mfma_f32_16x16x16_f16 v[20:23], v[50:51], v[4:5], v[20:23]
	v_cvt_pkrtz_f16_f32 v32, v38, v39
	v_cvt_pk_f32_fp8_e32 v[50:51], v16
	v_cvt_pk_f32_fp8_sdwa v[52:53], v16 src0_sel:WORD_1
	v_cvt_pkrtz_f16_f32 v33, v14, v15
	s_waitcnt lgkmcnt(0)
	v_mul_f32_e32 v48, s4, v40
	v_mfma_f32_16x16x16_f16 v[38:41], v[24:25], v[10:11], 0
	v_cvt_pkrtz_f16_f32 v24, v50, v51
	v_cvt_pkrtz_f16_f32 v25, v52, v53
	v_cvt_pk_f32_fp8_e32 v[50:51], v17
	v_cvt_pk_f32_fp8_sdwa v[52:53], v17 src0_sel:WORD_1
	v_mfma_f32_16x16x16_f16 v[14:17], v[32:33], v[12:13], v[38:41]
	v_pk_mul_f32 v[32:33], v[48:49], v[36:37] op_sel_hi:[0,1]
	v_cvt_pkrtz_f16_f32 v36, v50, v51
	v_cvt_pkrtz_f16_f32 v37, v52, v53
	v_mfma_f32_16x16x16_f16 v[14:17], v[24:25], v[2:3], v[14:17]
	v_pk_mul_f32 v[38:39], v[48:49], v[34:35] op_sel_hi:[0,1]
	s_waitcnt vmcnt(4)
	v_cvt_pk_f32_fp8_e32 v[24:25], v6
	v_cvt_pk_f32_fp8_sdwa v[34:35], v6 src0_sel:WORD_1
	v_mfma_f32_16x16x16_f16 v[14:17], v[36:37], v[4:5], v[14:17]
	v_cvt_pk_f32_fp8_e32 v[36:37], v7
	v_cvt_pkrtz_f16_f32 v24, v24, v25
	v_cvt_pkrtz_f16_f32 v25, v34, v35
	v_cvt_pk_f32_fp8_sdwa v[6:7], v7 src0_sel:WORD_1
	v_cvt_pkrtz_f16_f32 v40, v36, v37
	v_cvt_pk_f32_fp8_e32 v[50:51], v8
	v_cvt_pk_f32_fp8_sdwa v[52:53], v8 src0_sel:WORD_1
	v_cvt_pkrtz_f16_f32 v41, v6, v7
	v_mfma_f32_16x16x16_f16 v[34:37], v[24:25], v[10:11], 0
	v_cvt_pkrtz_f16_f32 v10, v50, v51
	v_cvt_pkrtz_f16_f32 v11, v52, v53
	v_cvt_pk_f32_fp8_e32 v[24:25], v9
	v_cvt_pk_f32_fp8_sdwa v[50:51], v9 src0_sel:WORD_1
	v_mfma_f32_16x16x16_f16 v[6:9], v[40:41], v[12:13], v[34:37]
	v_pk_mul_f32 v[40:41], v[48:49], v[20:21] op_sel_hi:[0,1]
	v_cvt_pkrtz_f16_f32 v12, v24, v25
	v_cvt_pkrtz_f16_f32 v13, v50, v51
	v_mfma_f32_16x16x16_f16 v[6:9], v[10:11], v[2:3], v[6:9]
	v_pk_mul_f32 v[36:37], v[48:49], v[22:23] op_sel_hi:[0,1]
	v_pk_mul_f32 v[24:25], v[48:49], v[16:17] op_sel_hi:[0,1]
	v_pk_mul_f32 v[34:35], v[48:49], v[14:15] op_sel_hi:[0,1]
	v_mfma_f32_16x16x16_f16 v[2:5], v[12:13], v[4:5], v[6:9]
	s_waitcnt vmcnt(3)
	v_mad_i64_i32 v[30:31], s[4:5], v70, s45, v[18:19]
	s_mov_b32 s33, 0xff7fffff
	s_nop 3
	v_pk_mul_f32 v[22:23], v[48:49], v[2:3] op_sel_hi:[0,1]
	v_and_b32_e32 v2, 0xc0, v0
	v_add_u32_e32 v2, s16, v2
	v_lshl_or_b32 v2, v42, 2, v2
	v_or_b32_e32 v3, 1, v2
	v_pk_mul_f32 v[20:21], v[48:49], v[4:5] op_sel_hi:[0,1]
	v_subrev_u32_e32 v4, s29, v3
	v_add_u32_e32 v6, 1, v4
	v_add_u32_e32 v7, 2, v4
	;; [unrolled: 1-line block ×3, first 2 shown]
	v_cvt_f32_i32_e32 v6, v6
	v_cvt_f32_i32_e32 v7, v7
	;; [unrolled: 1-line block ×3, first 2 shown]
	v_add_u32_e32 v9, 19, v4
	v_fmac_f32_e32 v39, v44, v6
	v_fma_f32 v32, v44, v7, v32
	v_fmac_f32_e32 v33, v44, v8
	v_add_u32_e32 v6, 16, v4
	v_add_u32_e32 v7, 17, v4
	v_add_u32_e32 v8, 18, v4
	v_cvt_f32_i32_e32 v6, v6
	v_cvt_f32_i32_e32 v7, v7
	v_cvt_f32_i32_e32 v8, v8
	v_cvt_f32_i32_e32 v9, v9
	v_fma_f32 v40, v44, v6, v40
	v_fmac_f32_e32 v41, v44, v7
	v_fma_f32 v36, v44, v8, v36
	v_add_u32_e32 v6, 32, v4
	v_add_u32_e32 v7, 33, v4
	;; [unrolled: 1-line block ×3, first 2 shown]
	v_cvt_f32_i32_e32 v6, v6
	v_cvt_f32_i32_e32 v7, v7
	;; [unrolled: 1-line block ×4, first 2 shown]
	v_fmac_f32_e32 v37, v44, v9
	v_add_u32_e32 v9, 35, v4
	v_fma_f32 v48, v44, v6, v34
	v_fmac_f32_e32 v35, v44, v7
	v_fma_f32 v24, v44, v8, v24
	v_add_u32_e32 v6, 48, v4
	v_add_u32_e32 v7, 49, v4
	;; [unrolled: 1-line block ×4, first 2 shown]
	v_cvt_f32_i32_e32 v4, v4
	v_cvt_f32_i32_e32 v6, v6
	;; [unrolled: 1-line block ×3, first 2 shown]
	v_fma_f32 v5, v44, v5, v38
	v_fmac_f32_e32 v21, v44, v4
	v_mov_b32_e32 v4, 0xff7fffff
	v_cmp_gt_i32_e64 s[4:5], s29, v2
	v_cmp_gt_i32_e64 s[34:35], s29, v3
	v_fma_f32 v22, v44, v6, v22
	v_cndmask_b32_e64 v6, v4, v5, s[4:5]
	v_cndmask_b32_e64 v3, v4, v39, s[34:35]
	v_fmac_f32_e32 v23, v44, v7
	v_max3_f32 v3, v6, s33, v3
	v_or_b32_e32 v6, 2, v2
	v_or_b32_e32 v7, 3, v2
	v_cmp_gt_i32_e64 s[36:37], s29, v6
	v_cmp_gt_i32_e64 s[38:39], s29, v7
	v_cvt_f32_i32_e32 v9, v9
	v_cndmask_b32_e64 v6, v4, v32, s[36:37]
	v_cndmask_b32_e64 v7, v4, v33, s[38:39]
	v_max3_f32 v3, v3, v6, v7
	v_or_b32_e32 v6, 16, v2
	v_or_b32_e32 v7, 17, v2
	v_cmp_gt_i32_e64 s[24:25], s29, v6
	v_cmp_gt_i32_e64 s[26:27], s29, v7
	v_fmac_f32_e32 v25, v44, v9
	v_cndmask_b32_e64 v6, v4, v40, s[24:25]
	v_cndmask_b32_e64 v7, v4, v41, s[26:27]
	v_max3_f32 v3, v3, v6, v7
	v_or_b32_e32 v6, 18, v2
	v_or_b32_e32 v7, 19, v2
	v_cmp_gt_i32_e64 s[20:21], s29, v6
	v_cmp_gt_i32_e64 s[22:23], s29, v7
	v_cvt_f32_i32_e32 v8, v8
	v_cndmask_b32_e64 v6, v4, v36, s[20:21]
	v_cndmask_b32_e64 v7, v4, v37, s[22:23]
	v_max3_f32 v3, v3, v6, v7
	v_or_b32_e32 v6, 32, v2
	v_or_b32_e32 v7, 33, v2
	v_cmp_gt_i32_e64 s[16:17], s29, v6
	v_cmp_gt_i32_e64 s[18:19], s29, v7
	v_fma_f32 v20, v44, v8, v20
	v_cndmask_b32_e64 v6, v4, v48, s[16:17]
	v_cndmask_b32_e64 v7, v4, v35, s[18:19]
	v_max3_f32 v3, v3, v6, v7
	v_or_b32_e32 v6, 34, v2
	v_or_b32_e32 v7, 35, v2
	v_cmp_gt_i32_e64 s[12:13], s29, v6
	v_cmp_gt_i32_e64 s[14:15], s29, v7
	s_nop 0
	v_cndmask_b32_e64 v6, v4, v24, s[12:13]
	v_cndmask_b32_e64 v7, v4, v25, s[14:15]
	v_max3_f32 v3, v3, v6, v7
	v_or_b32_e32 v6, 48, v2
	v_or_b32_e32 v7, 49, v2
	v_cmp_gt_i32_e64 s[8:9], s29, v6
	v_cmp_gt_i32_e64 s[10:11], s29, v7
	s_nop 0
	v_cndmask_b32_e64 v6, v4, v22, s[8:9]
	v_cndmask_b32_e64 v7, v4, v23, s[10:11]
	v_max3_f32 v3, v3, v6, v7
	v_or_b32_e32 v6, 50, v2
	v_or_b32_e32 v2, 51, v2
	v_cmp_gt_i32_e32 vcc, s29, v6
	v_cmp_gt_i32_e64 s[6:7], s29, v2
	s_nop 0
	v_cndmask_b32_e32 v6, v4, v20, vcc
	v_cndmask_b32_e64 v2, v4, v21, s[6:7]
	v_max3_f32 v4, v3, v6, v2
	v_mbcnt_lo_u32_b32 v2, -1, 0
	v_mbcnt_hi_u32_b32 v6, -1, v2
	v_and_b32_e32 v2, 64, v6
	v_add_u32_e32 v7, 64, v2
	v_xor_b32_e32 v2, 32, v6
	v_cmp_lt_i32_e64 s[40:41], v2, v7
	s_nop 1
	v_cndmask_b32_e64 v2, v6, v2, s[40:41]
	v_lshlrev_b32_e32 v44, 2, v2
	ds_bpermute_b32 v8, v44, v4
	s_waitcnt vmcnt(2)
	v_mad_i64_i32 v[2:3], s[40:41], v47, s45, v[18:19]
	global_load_dwordx4 v[14:17], v[30:31], off
	global_load_dwordx4 v[10:13], v[2:3], off
	v_xor_b32_e32 v3, 16, v6
	v_cmp_lt_i32_e64 s[40:41], v3, v7
	s_waitcnt lgkmcnt(0)
	v_max_f32_e32 v2, v8, v8
	v_max_f32_e32 v2, v4, v2
	v_cndmask_b32_e64 v3, v6, v3, s[40:41]
	v_lshlrev_b32_e32 v47, 2, v3
	ds_bpermute_b32 v3, v47, v2
	s_waitcnt vmcnt(3)
	v_mad_i64_i32 v[30:31], s[40:41], v45, s45, v[18:19]
	s_waitcnt vmcnt(2)
	v_mad_i64_i32 v[18:19], s[40:41], v46, s45, v[18:19]
	s_waitcnt lgkmcnt(0)
	v_max_f32_e32 v3, v3, v3
	v_max_f32_e32 v34, v2, v3
	v_sub_f32_e32 v2, v5, v34
	v_mul_f32_e32 v2, 0x3fb8aa3b, v2
	v_exp_f32_e32 v38, v2
	v_sub_f32_e32 v2, v39, v34
	v_mul_f32_e32 v2, 0x3fb8aa3b, v2
	v_exp_f32_e32 v39, v2
	global_load_dwordx4 v[6:9], v[30:31], off
	global_load_dwordx4 v[2:5], v[18:19], off
	v_sub_f32_e32 v31, v32, v34
	v_sub_f32_e32 v32, v33, v34
	v_mul_f32_e32 v31, 0x3fb8aa3b, v31
	v_mul_f32_e32 v32, 0x3fb8aa3b, v32
	v_exp_f32_e32 v31, v31
	v_exp_f32_e32 v32, v32
	v_cndmask_b32_e64 v18, 0, v38, s[4:5]
	v_cndmask_b32_e64 v19, 0, v39, s[34:35]
	;; [unrolled: 1-line block ×4, first 2 shown]
	v_sub_f32_e32 v31, v40, v34
	v_sub_f32_e32 v32, v41, v34
	v_mul_f32_e32 v31, 0x3fb8aa3b, v31
	v_mul_f32_e32 v32, 0x3fb8aa3b, v32
	v_exp_f32_e32 v31, v31
	v_exp_f32_e32 v32, v32
	v_add_f32_e32 v30, 0, v18
	v_add_f32_e32 v30, v30, v19
	;; [unrolled: 1-line block ×4, first 2 shown]
	v_cndmask_b32_e64 v30, 0, v31, s[24:25]
	v_cndmask_b32_e64 v31, 0, v32, s[26:27]
	v_sub_f32_e32 v32, v36, v34
	v_mul_f32_e32 v32, 0x3fb8aa3b, v32
	v_exp_f32_e32 v32, v32
	v_sub_f32_e32 v36, v37, v34
	v_add_f32_e32 v33, v33, v30
	v_mul_f32_e32 v36, 0x3fb8aa3b, v36
	v_exp_f32_e32 v37, v36
	v_add_f32_e32 v33, v33, v31
	v_cndmask_b32_e64 v36, 0, v32, s[20:21]
	v_add_f32_e32 v32, v33, v36
	v_sub_f32_e32 v33, v48, v34
	v_mul_f32_e32 v33, 0x3fb8aa3b, v33
	v_sub_f32_e32 v35, v35, v34
	v_exp_f32_e32 v33, v33
	v_mul_f32_e32 v35, 0x3fb8aa3b, v35
	v_sub_f32_e32 v24, v24, v34
	v_exp_f32_e32 v35, v35
	;; [unrolled: 3-line block ×3, first 2 shown]
	v_mul_f32_e32 v25, 0x3fb8aa3b, v25
	v_sub_f32_e32 v22, v22, v34
	v_cndmask_b32_e64 v37, 0, v37, s[22:23]
	v_exp_f32_e32 v25, v25
	v_mul_f32_e32 v22, 0x3fb8aa3b, v22
	v_sub_f32_e32 v23, v23, v34
	v_add_f32_e32 v40, v32, v37
	v_cndmask_b32_e64 v32, 0, v33, s[16:17]
	v_exp_f32_e32 v22, v22
	v_mul_f32_e32 v23, 0x3fb8aa3b, v23
	v_sub_f32_e32 v20, v20, v34
	v_add_f32_e32 v40, v40, v32
	;; [unrolled: 5-line block ×3, first 2 shown]
	v_cndmask_b32_e64 v24, 0, v24, s[12:13]
	v_exp_f32_e32 v20, v20
	v_mul_f32_e32 v21, 0x3fb8aa3b, v21
	v_add_f32_e32 v35, v35, v24
	v_cndmask_b32_e64 v25, 0, v25, s[14:15]
	v_exp_f32_e32 v21, v21
	v_add_f32_e32 v35, v35, v25
	v_cndmask_b32_e64 v22, 0, v22, s[8:9]
	v_add_f32_e32 v35, v35, v22
	v_cndmask_b32_e64 v23, 0, v23, s[10:11]
	v_add_f32_e32 v35, v35, v23
	v_cndmask_b32_e32 v20, 0, v20, vcc
	v_add_f32_e32 v35, v35, v20
	v_cndmask_b32_e64 v21, 0, v21, s[6:7]
	v_add_f32_e32 v35, v35, v21
	ds_bpermute_b32 v40, v44, v35
	s_load_dword s7, s[0:1], 0x98
	v_cmp_gt_u32_e32 vcc, 16, v43
	s_waitcnt lgkmcnt(0)
	s_barrier
	v_add_f32_e32 v40, v35, v40
	ds_bpermute_b32 v41, v47, v40
	v_lshlrev_b32_e32 v35, 2, v28
	s_waitcnt lgkmcnt(0)
	s_and_saveexec_b64 s[4:5], vcc
	s_cbranch_execz .LBB854_15
; %bb.14:
	v_add_f32_e32 v40, v40, v41
	v_lshl_or_b32 v41, v29, 6, v35
	ds_write2st64_b32 v41, v34, v40 offset1:1
.LBB854_15:
	s_or_b64 exec, exec, s[4:5]
	s_load_dword s6, s[0:1], 0x94
	s_waitcnt lgkmcnt(0)
	s_barrier
	ds_read2_b32 v[40:41], v35 offset1:16
	ds_read2_b32 v[44:45], v35 offset0:32 offset1:48
	ds_read2_b32 v[46:47], v35 offset0:64 offset1:80
	s_mul_i32 s7, s7, 7
	s_waitcnt lgkmcnt(2)
	v_max3_f32 v34, v40, s33, v41
	s_waitcnt lgkmcnt(1)
	v_max3_f32 v34, v34, v44, v45
	v_sub_f32_e32 v40, v40, v34
	v_mul_f32_e32 v40, 0x3fb8aa3b, v40
	v_exp_f32_e32 v43, v40
	v_sub_f32_e32 v40, v41, v34
	v_mul_f32_e32 v40, 0x3fb8aa3b, v40
	v_exp_f32_e32 v48, v40
	;; [unrolled: 3-line block ×3, first 2 shown]
	ds_read2_b32 v[40:41], v35 offset0:96 offset1:112
	v_sub_f32_e32 v35, v45, v34
	v_mul_f32_e32 v35, 0x3fb8aa3b, v35
	v_exp_f32_e32 v45, v35
	s_waitcnt lgkmcnt(1)
	v_fma_f32 v35, v43, v46, 0
	v_fmac_f32_e32 v35, v48, v47
	s_waitcnt lgkmcnt(0)
	v_fmac_f32_e32 v35, v44, v40
	v_fmac_f32_e32 v35, v45, v41
	v_add_f32_e32 v40, 0x358637bd, v35
	v_div_scale_f32 v41, s[4:5], v40, v40, 1.0
	v_rcp_f32_e32 v46, v41
	s_barrier
	v_fma_f32 v47, -v41, v46, 1.0
	v_fmac_f32_e32 v46, v47, v46
	v_div_scale_f32 v47, vcc, 1.0, v40, 1.0
	v_mul_f32_e32 v49, v47, v46
	v_fma_f32 v50, -v41, v49, v47
	v_fmac_f32_e32 v49, v50, v46
	v_fma_f32 v41, -v41, v49, v47
	v_div_fmas_f32 v41, v41, v46, v49
	v_cmp_eq_u32_e32 vcc, 1, v29
	v_div_fixup_f32 v40, v41, v40, 1.0
	s_nop 0
	v_cndmask_b32_e32 v41, v43, v48, vcc
	v_cmp_eq_u32_e32 vcc, 2, v29
	s_nop 1
	v_cndmask_b32_e32 v41, v41, v44, vcc
	v_cmp_eq_u32_e32 vcc, 3, v29
	s_nop 1
	v_cndmask_b32_e32 v41, v41, v45, vcc
	v_mul_f32_e32 v40, v41, v40
	v_pk_mul_f32 v[38:39], v[40:41], v[38:39] op_sel_hi:[0,1]
	v_pk_mul_f32 v[18:19], v[40:41], v[18:19] op_sel_hi:[0,1]
	v_cvt_f16_f32_e32 v41, v38
	v_cvt_f16_f32_e32 v39, v39
	;; [unrolled: 1-line block ×4, first 2 shown]
	v_cmp_gt_u32_e32 vcc, 7, v0
	v_pack_b32_f16 v39, v41, v39
	v_lshlrev_b32_e32 v41, 3, v42
	v_pack_b32_f16 v38, v18, v19
	v_pk_mul_f32 v[18:19], v[40:41], v[36:37] op_sel_hi:[0,1]
	v_pk_mul_f32 v[30:31], v[40:41], v[30:31] op_sel_hi:[0,1]
	v_cvt_f16_f32_e32 v30, v30
	v_cvt_f16_f32_e32 v31, v31
	;; [unrolled: 1-line block ×4, first 2 shown]
	v_lshlrev_b32_e32 v18, 11, v29
	v_or3_b32 v18, v18, v27, v41
	v_pack_b32_f16 v30, v30, v31
	v_pack_b32_f16 v31, v36, v19
	ds_write2st64_b64 v18, v[38:39], v[30:31] offset1:1
	v_pk_mul_f32 v[24:25], v[40:41], v[24:25] op_sel_hi:[0,1]
	v_pk_mul_f32 v[30:31], v[40:41], v[32:33] op_sel_hi:[0,1]
	;; [unrolled: 1-line block ×4, first 2 shown]
	v_cvt_f16_f32_e32 v19, v30
	v_cvt_f16_f32_e32 v29, v31
	;; [unrolled: 1-line block ×8, first 2 shown]
	v_pack_b32_f16 v20, v19, v29
	v_pack_b32_f16 v21, v24, v25
	;; [unrolled: 1-line block ×4, first 2 shown]
	ds_write2st64_b64 v18, v[20:21], v[22:23] offset0:2 offset1:3
	s_and_saveexec_b64 s[4:5], vcc
	s_cbranch_execz .LBB854_17
; %bb.16:
	s_mov_b32 s49, 0
	v_mov_b32_e32 v29, 0
	v_lshl_add_u64 v[20:21], s[48:49], 0, v[28:29]
	v_mov_b32_e32 v19, s7
	v_mad_u64_u32 v[20:21], s[12:13], s2, v19, v[20:21]
	s_mul_i32 s3, s3, s7
	v_mov_b32_e32 v28, s28
	s_load_dwordx4 s[8:11], s[0:1], 0x58
	v_add_u32_e32 v19, s3, v21
	v_mad_u64_u32 v[20:21], s[12:13], v20, s6, v[28:29]
	v_mov_b32_e32 v22, v21
	v_mad_u64_u32 v[22:23], s[12:13], v19, s6, v[22:23]
	v_mov_b32_e32 v21, v22
	v_lshlrev_b64 v[20:21], 2, v[20:21]
	s_waitcnt lgkmcnt(0)
	v_lshl_add_u64 v[22:23], s[10:11], 0, v[20:21]
	v_lshl_add_u64 v[20:21], s[8:9], 0, v[20:21]
	global_store_dword v[22:23], v34, off
	global_store_dword v[20:21], v35, off
.LBB854_17:
	s_or_b64 exec, exec, s[4:5]
	s_waitcnt vmcnt(3)
	v_cvt_pk_f32_fp8_e32 v[20:21], v14
	v_cvt_pk_f32_fp8_sdwa v[22:23], v14 src0_sel:WORD_1
	v_lshl_or_b32 v14, v42, 9, v27
	s_waitcnt lgkmcnt(0)
	s_barrier
	v_cvt_pk_f32_fp8_e32 v[24:25], v15
	v_cvt_pkrtz_f16_f32 v32, v20, v21
	v_cvt_pkrtz_f16_f32 v33, v22, v23
	v_cvt_pk_f32_fp8_sdwa v[28:29], v15 src0_sel:WORD_1
	ds_read_b128 v[20:23], v14
	v_cvt_pkrtz_f16_f32 v24, v24, v25
	v_cvt_pk_f32_fp8_e32 v[36:37], v16
	v_cvt_pkrtz_f16_f32 v25, v28, v29
	ds_read_b128 v[28:31], v14 offset:16
	v_cvt_pk_f32_fp8_sdwa v[38:39], v16 src0_sel:WORD_1
	s_waitcnt lgkmcnt(1)
	v_mfma_f32_16x16x16_f16 v[32:35], v[32:33], v[20:21], 0
	v_cvt_pkrtz_f16_f32 v36, v36, v37
	s_load_dword s4, s[42:43], 0x0
	v_cvt_pkrtz_f16_f32 v37, v38, v39
	v_cvt_pk_f32_fp8_e32 v[38:39], v17
	v_cvt_pk_f32_fp8_sdwa v[16:17], v17 src0_sel:WORD_1
	v_mfma_f32_16x16x16_f16 v[20:23], v[24:25], v[22:23], v[32:35]
	v_cmp_gt_u32_e32 vcc, 64, v0
	v_cvt_pkrtz_f16_f32 v24, v38, v39
	v_cvt_pkrtz_f16_f32 v25, v16, v17
	s_waitcnt lgkmcnt(0)
	v_mfma_f32_16x16x16_f16 v[20:23], v[36:37], v[28:29], v[20:23]
	s_waitcnt vmcnt(2)
	v_cvt_pk_f32_fp8_e32 v[16:17], v10
	v_cvt_pk_f32_fp8_e32 v[28:29], v11
	v_cvt_pk_f32_fp8_sdwa v[36:37], v12 src0_sel:WORD_1
	v_mfma_f32_16x16x16_f16 v[20:23], v[24:25], v[30:31], v[20:23]
	v_cvt_pk_f32_fp8_sdwa v[24:25], v10 src0_sel:WORD_1
	v_cvt_pkrtz_f16_f32 v10, v16, v17
	v_cvt_pk_f32_fp8_sdwa v[16:17], v11 src0_sel:WORD_1
	ds_read_b128 v[32:35], v14 offset:2064
	v_cvt_pkrtz_f16_f32 v11, v24, v25
	v_cvt_pkrtz_f16_f32 v24, v28, v29
	ds_read_b128 v[28:31], v14 offset:2048
	v_cvt_pkrtz_f16_f32 v25, v16, v17
	v_cvt_pk_f32_fp8_e32 v[16:17], v12
	s_waitcnt lgkmcnt(0)
	v_mfma_f32_16x16x16_f16 v[20:23], v[10:11], v[28:29], v[20:23]
	v_cvt_pkrtz_f16_f32 v10, v16, v17
	v_cvt_pkrtz_f16_f32 v11, v36, v37
	v_cvt_pk_f32_fp8_e32 v[16:17], v13
	v_mfma_f32_16x16x16_f16 v[20:23], v[24:25], v[30:31], v[20:23]
	v_cvt_pk_f32_fp8_sdwa v[24:25], v13 src0_sel:WORD_1
	ds_read_b128 v[28:31], v14 offset:4112
	v_cvt_pkrtz_f16_f32 v16, v16, v17
	v_mfma_f32_16x16x16_f16 v[10:13], v[10:11], v[32:33], v[20:23]
	v_cvt_pkrtz_f16_f32 v17, v24, v25
	s_waitcnt vmcnt(1)
	v_cvt_pk_f32_fp8_sdwa v[24:25], v7 src0_sel:WORD_1
	v_cvt_pk_f32_fp8_sdwa v[32:33], v8 src0_sel:WORD_1
	v_cvt_pk_f32_fp8_e32 v[20:21], v6
	v_mfma_f32_16x16x16_f16 v[10:13], v[16:17], v[34:35], v[10:13]
	v_cvt_pk_f32_fp8_sdwa v[16:17], v6 src0_sel:WORD_1
	v_cvt_pk_f32_fp8_e32 v[22:23], v7
	v_cvt_pkrtz_f16_f32 v6, v20, v21
	s_mov_b32 s3, 0
	v_cvt_pkrtz_f16_f32 v7, v16, v17
	v_cvt_pkrtz_f16_f32 v16, v22, v23
	ds_read_b128 v[20:23], v14 offset:4096
	v_cvt_pkrtz_f16_f32 v17, v24, v25
	v_cvt_pk_f32_fp8_e32 v[24:25], v8
	s_waitcnt lgkmcnt(0)
	v_mfma_f32_16x16x16_f16 v[10:13], v[6:7], v[20:21], v[10:13]
	v_cvt_pkrtz_f16_f32 v6, v24, v25
	v_cvt_pkrtz_f16_f32 v7, v32, v33
	v_cvt_pk_f32_fp8_e32 v[20:21], v9
	v_mfma_f32_16x16x16_f16 v[10:13], v[16:17], v[22:23], v[10:13]
	v_cvt_pk_f32_fp8_sdwa v[16:17], v9 src0_sel:WORD_1
	s_waitcnt vmcnt(0)
	v_cvt_pk_f32_fp8_sdwa v[24:25], v4 src0_sel:WORD_1
	v_cvt_pkrtz_f16_f32 v20, v20, v21
	v_mfma_f32_16x16x16_f16 v[6:9], v[6:7], v[28:29], v[10:13]
	v_cvt_pkrtz_f16_f32 v21, v16, v17
	v_cvt_pk_f32_fp8_e32 v[16:17], v3
	v_mov_b32_e32 v27, 0
	v_cvt_pk_f32_fp8_e32 v[10:11], v2
	v_cvt_pk_f32_fp8_sdwa v[12:13], v2 src0_sel:WORD_1
	v_mfma_f32_16x16x16_f16 v[6:9], v[20:21], v[30:31], v[6:9]
	v_cvt_pk_f32_fp8_sdwa v[20:21], v3 src0_sel:WORD_1
	v_cvt_pkrtz_f16_f32 v2, v10, v11
	v_cvt_pkrtz_f16_f32 v3, v12, v13
	ds_read_b128 v[10:13], v14 offset:6144
	v_cvt_pkrtz_f16_f32 v22, v16, v17
	v_cvt_pkrtz_f16_f32 v23, v20, v21
	v_cvt_pk_f32_fp8_e32 v[20:21], v4
	s_waitcnt lgkmcnt(0)
	v_mfma_f32_16x16x16_f16 v[6:9], v[2:3], v[10:11], v[6:9]
	ds_read_b128 v[14:17], v14 offset:6160
	v_cvt_pkrtz_f16_f32 v2, v20, v21
	v_cvt_pkrtz_f16_f32 v3, v24, v25
	v_cvt_pk_f32_fp8_e32 v[10:11], v5
	v_mfma_f32_16x16x16_f16 v[6:9], v[22:23], v[12:13], v[6:9]
	v_cvt_pk_f32_fp8_sdwa v[12:13], v5 src0_sel:WORD_1
	s_waitcnt lgkmcnt(0)
	v_cvt_pkrtz_f16_f32 v10, v10, v11
	v_mfma_f32_16x16x16_f16 v[2:5], v[2:3], v[14:15], v[6:9]
	v_cvt_pkrtz_f16_f32 v11, v12, v13
	s_barrier
	s_nop 0
	v_mfma_f32_16x16x16_f16 v[2:5], v[10:11], v[16:17], v[2:5]
	s_nop 6
	v_pk_mul_f32 v[4:5], v[4:5], s[4:5] op_sel_hi:[1,0]
	v_pk_mul_f32 v[2:3], v[2:3], s[4:5] op_sel_hi:[1,0]
	v_cvt_f16_f32_e32 v4, v4
	v_cvt_f16_f32_e32 v2, v2
	;; [unrolled: 1-line block ×4, first 2 shown]
	s_and_b64 s[4:5], vcc, s[30:31]
	v_pack_b32_f16 v2, v2, v3
	v_pack_b32_f16 v3, v4, v5
	ds_write_b64 v18, v[2:3]
	s_waitcnt lgkmcnt(0)
	s_barrier
	s_and_saveexec_b64 s[8:9], s[4:5]
	s_cbranch_execz .LBB854_20
; %bb.18:
	s_load_dwordx2 s[4:5], s[0:1], 0x68
	s_lshl_b32 s0, s6, 6
	s_mul_i32 s1, s7, s2
	s_mul_hi_u32 s7, s1, s0
	s_mul_i32 s6, s1, s0
	v_lshlrev_b32_e32 v0, 10, v0
	s_lshl_b64 s[6:7], s[6:7], 1
	v_and_b32_e32 v0, 0x1800, v0
	v_lshlrev_b32_e32 v2, 5, v42
	v_and_b32_e32 v1, 16, v1
	s_waitcnt lgkmcnt(0)
	s_add_u32 s1, s4, s6
	v_or3_b32 v2, v0, v2, v1
	s_addc_u32 s4, s5, s7
	s_lshl_b32 s2, s28, 6
	s_lshl_b64 s[2:3], s[2:3], 1
	ds_read_b128 v[4:7], v2
	s_add_u32 s2, s1, s2
	s_addc_u32 s3, s4, s3
	v_add_u32_e32 v3, s48, v42
	v_lshl_add_u64 v[0:1], s[2:3], 0, v[26:27]
	v_mad_u64_u32 v[8:9], s[2:3], v3, s0, 0
	v_lshl_add_u64 v[8:9], v[8:9], 1, v[0:1]
	v_cmp_ne_u32_e32 vcc, 3, v42
	s_waitcnt lgkmcnt(0)
	global_store_dwordx4 v[8:9], v[4:7], off
	s_and_b64 exec, exec, vcc
	s_cbranch_execz .LBB854_20
; %bb.19:
	ds_read_b128 v[2:5], v2 offset:128
	v_add3_u32 v6, s48, v42, 4
	v_mad_u64_u32 v[6:7], s[0:1], v6, s0, 0
	v_lshl_add_u64 v[0:1], v[6:7], 1, v[0:1]
	s_waitcnt lgkmcnt(0)
	global_store_dwordx4 v[0:1], v[2:5], off
.LBB854_20:
	s_endpgm
	.section	.rodata,"a",@progbits
	.p2align	6, 0x0
	.amdhsa_kernel _Z39paged_attention_ll4mi_QKV_mfma16_kernelIDF16_hLN4vllm18Fp8KVCacheDataTypeE1EhLi32ELi64ELi256ELb1ELi7EEvPKT_PKT0_S7_ifPKiS9_S9_iPKfiiiPfSC_PS2_PT2_iSB_SB_
		.amdhsa_group_segment_fixed_size 8192
		.amdhsa_private_segment_fixed_size 0
		.amdhsa_kernarg_size 400
		.amdhsa_user_sgpr_count 2
		.amdhsa_user_sgpr_dispatch_ptr 0
		.amdhsa_user_sgpr_queue_ptr 0
		.amdhsa_user_sgpr_kernarg_segment_ptr 1
		.amdhsa_user_sgpr_dispatch_id 0
		.amdhsa_user_sgpr_kernarg_preload_length 0
		.amdhsa_user_sgpr_kernarg_preload_offset 0
		.amdhsa_user_sgpr_private_segment_size 0
		.amdhsa_uses_dynamic_stack 0
		.amdhsa_enable_private_segment 0
		.amdhsa_system_sgpr_workgroup_id_x 1
		.amdhsa_system_sgpr_workgroup_id_y 1
		.amdhsa_system_sgpr_workgroup_id_z 1
		.amdhsa_system_sgpr_workgroup_info 0
		.amdhsa_system_vgpr_workitem_id 0
		.amdhsa_next_free_vgpr 71
		.amdhsa_next_free_sgpr 50
		.amdhsa_accum_offset 72
		.amdhsa_reserve_vcc 1
		.amdhsa_float_round_mode_32 0
		.amdhsa_float_round_mode_16_64 0
		.amdhsa_float_denorm_mode_32 3
		.amdhsa_float_denorm_mode_16_64 3
		.amdhsa_dx10_clamp 1
		.amdhsa_ieee_mode 1
		.amdhsa_fp16_overflow 0
		.amdhsa_tg_split 0
		.amdhsa_exception_fp_ieee_invalid_op 0
		.amdhsa_exception_fp_denorm_src 0
		.amdhsa_exception_fp_ieee_div_zero 0
		.amdhsa_exception_fp_ieee_overflow 0
		.amdhsa_exception_fp_ieee_underflow 0
		.amdhsa_exception_fp_ieee_inexact 0
		.amdhsa_exception_int_div_zero 0
	.end_amdhsa_kernel
	.section	.text._Z39paged_attention_ll4mi_QKV_mfma16_kernelIDF16_hLN4vllm18Fp8KVCacheDataTypeE1EhLi32ELi64ELi256ELb1ELi7EEvPKT_PKT0_S7_ifPKiS9_S9_iPKfiiiPfSC_PS2_PT2_iSB_SB_,"axG",@progbits,_Z39paged_attention_ll4mi_QKV_mfma16_kernelIDF16_hLN4vllm18Fp8KVCacheDataTypeE1EhLi32ELi64ELi256ELb1ELi7EEvPKT_PKT0_S7_ifPKiS9_S9_iPKfiiiPfSC_PS2_PT2_iSB_SB_,comdat
.Lfunc_end854:
	.size	_Z39paged_attention_ll4mi_QKV_mfma16_kernelIDF16_hLN4vllm18Fp8KVCacheDataTypeE1EhLi32ELi64ELi256ELb1ELi7EEvPKT_PKT0_S7_ifPKiS9_S9_iPKfiiiPfSC_PS2_PT2_iSB_SB_, .Lfunc_end854-_Z39paged_attention_ll4mi_QKV_mfma16_kernelIDF16_hLN4vllm18Fp8KVCacheDataTypeE1EhLi32ELi64ELi256ELb1ELi7EEvPKT_PKT0_S7_ifPKiS9_S9_iPKfiiiPfSC_PS2_PT2_iSB_SB_
                                        ; -- End function
	.section	.AMDGPU.csdata,"",@progbits
; Kernel info:
; codeLenInByte = 4952
; NumSgprs: 56
; NumVgprs: 71
; NumAgprs: 0
; TotalNumVgprs: 71
; ScratchSize: 0
; MemoryBound: 0
; FloatMode: 240
; IeeeMode: 1
; LDSByteSize: 8192 bytes/workgroup (compile time only)
; SGPRBlocks: 6
; VGPRBlocks: 8
; NumSGPRsForWavesPerEU: 56
; NumVGPRsForWavesPerEU: 71
; AccumOffset: 72
; Occupancy: 7
; WaveLimiterHint : 1
; COMPUTE_PGM_RSRC2:SCRATCH_EN: 0
; COMPUTE_PGM_RSRC2:USER_SGPR: 2
; COMPUTE_PGM_RSRC2:TRAP_HANDLER: 0
; COMPUTE_PGM_RSRC2:TGID_X_EN: 1
; COMPUTE_PGM_RSRC2:TGID_Y_EN: 1
; COMPUTE_PGM_RSRC2:TGID_Z_EN: 1
; COMPUTE_PGM_RSRC2:TIDIG_COMP_CNT: 0
; COMPUTE_PGM_RSRC3_GFX90A:ACCUM_OFFSET: 17
; COMPUTE_PGM_RSRC3_GFX90A:TG_SPLIT: 0
	.section	.text._Z39paged_attention_ll4mi_QKV_mfma16_kernelIDF16_hLN4vllm18Fp8KVCacheDataTypeE1EhLi32ELi64ELi256ELb1ELi8EEvPKT_PKT0_S7_ifPKiS9_S9_iPKfiiiPfSC_PS2_PT2_iSB_SB_,"axG",@progbits,_Z39paged_attention_ll4mi_QKV_mfma16_kernelIDF16_hLN4vllm18Fp8KVCacheDataTypeE1EhLi32ELi64ELi256ELb1ELi8EEvPKT_PKT0_S7_ifPKiS9_S9_iPKfiiiPfSC_PS2_PT2_iSB_SB_,comdat
	.protected	_Z39paged_attention_ll4mi_QKV_mfma16_kernelIDF16_hLN4vllm18Fp8KVCacheDataTypeE1EhLi32ELi64ELi256ELb1ELi8EEvPKT_PKT0_S7_ifPKiS9_S9_iPKfiiiPfSC_PS2_PT2_iSB_SB_ ; -- Begin function _Z39paged_attention_ll4mi_QKV_mfma16_kernelIDF16_hLN4vllm18Fp8KVCacheDataTypeE1EhLi32ELi64ELi256ELb1ELi8EEvPKT_PKT0_S7_ifPKiS9_S9_iPKfiiiPfSC_PS2_PT2_iSB_SB_
	.globl	_Z39paged_attention_ll4mi_QKV_mfma16_kernelIDF16_hLN4vllm18Fp8KVCacheDataTypeE1EhLi32ELi64ELi256ELb1ELi8EEvPKT_PKT0_S7_ifPKiS9_S9_iPKfiiiPfSC_PS2_PT2_iSB_SB_
	.p2align	8
	.type	_Z39paged_attention_ll4mi_QKV_mfma16_kernelIDF16_hLN4vllm18Fp8KVCacheDataTypeE1EhLi32ELi64ELi256ELb1ELi8EEvPKT_PKT0_S7_ifPKiS9_S9_iPKfiiiPfSC_PS2_PT2_iSB_SB_,@function
_Z39paged_attention_ll4mi_QKV_mfma16_kernelIDF16_hLN4vllm18Fp8KVCacheDataTypeE1EhLi32ELi64ELi256ELb1ELi8EEvPKT_PKT0_S7_ifPKiS9_S9_iPKfiiiPfSC_PS2_PT2_iSB_SB_: ; @_Z39paged_attention_ll4mi_QKV_mfma16_kernelIDF16_hLN4vllm18Fp8KVCacheDataTypeE1EhLi32ELi64ELi256ELb1ELi8EEvPKT_PKT0_S7_ifPKiS9_S9_iPKfiiiPfSC_PS2_PT2_iSB_SB_
; %bb.0:
	s_load_dwordx2 s[8:9], s[0:1], 0x30
	s_mov_b32 s28, s3
	s_mov_b64 s[6:7], 0
	s_waitcnt lgkmcnt(0)
	s_cmp_lg_u64 s[8:9], 0
	s_cselect_b64 s[10:11], -1, 0
	s_and_b64 vcc, exec, s[10:11]
	s_cbranch_vccz .LBB855_7
; %bb.1:
	s_add_i32 s12, s2, 1
	s_mov_b32 s13, 0
	s_lshl_b64 s[14:15], s[12:13], 2
	s_add_u32 s14, s8, s14
	s_mov_b32 s3, s13
	s_addc_u32 s15, s9, s15
	s_lshl_b64 s[12:13], s[2:3], 2
	s_add_u32 s12, s8, s12
	s_addc_u32 s13, s9, s13
	s_load_dword s5, s[14:15], 0x0
	s_load_dword s16, s[12:13], 0x0
	s_waitcnt lgkmcnt(0)
	s_sub_i32 s5, s5, s16
	s_cmp_eq_u32 s5, 1
	s_cselect_b64 s[12:13], -1, 0
	s_andn2_b64 vcc, exec, s[6:7]
	s_cbranch_vccnz .LBB855_3
.LBB855_2:
	s_mov_b32 s3, 0
	s_mov_b64 s[12:13], -1
.LBB855_3:
	s_andn2_b64 vcc, exec, s[12:13]
	s_cbranch_vccnz .LBB855_19
; %bb.4:
	s_load_dwordx2 s[6:7], s[0:1], 0x28
	s_lshl_b64 s[12:13], s[2:3], 2
	s_waitcnt lgkmcnt(0)
	s_add_u32 s6, s6, s12
	s_addc_u32 s7, s7, s13
	s_load_dword s33, s[6:7], 0x0
	s_lshl_b32 s16, s28, 8
	s_waitcnt lgkmcnt(0)
	s_cmp_ge_i32 s16, s33
	s_cbranch_scc1 .LBB855_19
; %bb.5:
	s_load_dwordx2 s[6:7], s[0:1], 0x20
	s_load_dword s5, s[0:1], 0x38
	s_add_i32 s14, s33, 31
	s_ashr_i32 s15, s14, 31
	v_and_b32_e32 v1, 0xcf, v0
	s_lshr_b32 s15, s15, 27
	v_add_u32_e32 v1, s16, v1
	s_add_i32 s14, s14, s15
	v_ashrrev_i32_e32 v2, 31, v1
	s_ashr_i32 s17, s14, 5
	v_lshrrev_b32_e32 v4, 27, v2
	s_add_i32 s17, s17, -1
	s_waitcnt lgkmcnt(0)
	s_mul_i32 s14, s2, s5
	s_mov_b32 s15, 0
	v_add_u32_e32 v2, v1, v4
	s_lshl_b64 s[14:15], s[14:15], 2
	v_ashrrev_i32_e32 v2, 5, v2
	v_mov_b32_e32 v5, s17
	v_cmp_gt_i32_e32 vcc, s33, v1
	s_add_u32 s6, s6, s14
	s_addc_u32 s7, s7, s15
	v_cndmask_b32_e32 v2, v5, v2, vcc
	v_ashrrev_i32_e32 v3, 31, v2
	v_lshl_add_u64 v[6:7], v[2:3], 2, s[6:7]
	v_or_b32_e32 v2, 16, v1
	v_add_u32_e32 v3, v2, v4
	v_ashrrev_i32_e32 v3, 5, v3
	v_cmp_gt_i32_e32 vcc, s33, v2
	s_load_dwordx2 s[14:15], s[0:1], 0x8
	s_nop 0
	v_cndmask_b32_e32 v2, v5, v3, vcc
	v_ashrrev_i32_e32 v3, 31, v2
	v_lshl_add_u64 v[8:9], v[2:3], 2, s[6:7]
	v_or_b32_e32 v2, 32, v1
	v_add_u32_e32 v3, v2, v4
	v_ashrrev_i32_e32 v3, 5, v3
	v_cmp_gt_i32_e32 vcc, s33, v2
	v_or_b32_e32 v1, 48, v1
	s_nop 0
	v_cndmask_b32_e32 v2, v5, v3, vcc
	v_ashrrev_i32_e32 v3, 31, v2
	v_lshl_add_u64 v[10:11], v[2:3], 2, s[6:7]
	v_add_u32_e32 v2, v1, v4
	v_ashrrev_i32_e32 v2, 5, v2
	v_cmp_gt_i32_e32 vcc, s33, v1
	s_nop 1
	v_cndmask_b32_e32 v2, v5, v2, vcc
	v_ashrrev_i32_e32 v3, 31, v2
	v_lshl_add_u64 v[12:13], v[2:3], 2, s[6:7]
	global_load_dword v5, v[6:7], off
	global_load_dword v4, v[8:9], off
	;; [unrolled: 1-line block ×4, first 2 shown]
	s_andn2_b64 vcc, exec, s[10:11]
	s_cbranch_vccnz .LBB855_8
; %bb.6:
	s_add_u32 s8, s8, s12
	s_addc_u32 s9, s9, s13
	s_load_dword s5, s[8:9], 0x0
	s_branch .LBB855_9
.LBB855_7:
	s_mov_b64 s[12:13], 0
	s_branch .LBB855_2
.LBB855_8:
	s_mov_b32 s5, s2
.LBB855_9:
	s_load_dwordx2 s[8:9], s[0:1], 0x10
	s_load_dwordx4 s[44:47], s[0:1], 0x48
	v_and_b32_e32 v42, 15, v0
	s_movk_i32 s10, 0x80
	v_lshlrev_b32_e32 v6, 3, v42
	v_cmp_gt_u32_e32 vcc, s10, v0
	v_cmp_gt_u32_e64 s[30:31], 8, v42
	v_lshrrev_b32_e32 v41, 6, v0
	v_bfe_u32 v1, v0, 4, 2
	s_lshl_b32 s29, s4, 3
	s_and_b64 s[12:13], vcc, s[30:31]
	v_lshlrev_b32_e32 v26, 1, v6
	v_lshlrev_b32_e32 v40, 4, v0
	s_and_saveexec_b64 s[10:11], s[12:13]
	s_cbranch_execz .LBB855_11
; %bb.10:
	s_load_dwordx2 s[12:13], s[0:1], 0x0
	s_waitcnt lgkmcnt(0)
	s_ashr_i32 s18, s44, 31
	s_mul_hi_u32 s19, s5, s44
	s_mul_i32 s18, s5, s18
	s_add_i32 s19, s19, s18
	s_mul_i32 s18, s5, s44
	v_lshl_or_b32 v10, v41, 2, v1
	s_lshl_b64 s[18:19], s[18:19], 1
	s_add_u32 s12, s12, s18
	v_add_lshl_u32 v6, v10, s29, 6
	s_addc_u32 s13, s13, s19
	v_ashrrev_i32_e32 v7, 31, v6
	v_lshl_add_u64 v[6:7], v[6:7], 1, s[12:13]
	v_mov_b32_e32 v27, 0
	v_lshl_add_u64 v[6:7], v[6:7], 0, v[26:27]
	global_load_dwordx4 v[6:9], v[6:7], off
	v_lshlrev_b32_e32 v12, 8, v42
	v_lshlrev_b32_e32 v10, 5, v10
	v_and_b32_e32 v11, 16, v40
	v_and_b32_e32 v12, 0xe00, v12
	v_or3_b32 v10, v12, v10, v11
	s_waitcnt vmcnt(0)
	ds_write_b128 v10, v[6:9]
.LBB855_11:
	s_or_b64 exec, exec, s[10:11]
	s_waitcnt lgkmcnt(0)
	s_mul_i32 s10, s4, s46
	s_add_u32 s4, s14, s10
	s_addc_u32 s5, s15, 0
	v_mov_b32_e32 v29, 0
	v_mov_b64_e32 v[6:7], s[4:5]
	v_lshlrev_b32_e32 v10, 4, v42
	v_and_b32_e32 v27, 48, v0
	s_waitcnt vmcnt(3)
	v_mad_i64_i32 v[8:9], s[4:5], v5, s45, v[6:7]
	v_mov_b32_e32 v11, v29
	s_waitcnt vmcnt(2)
	v_mad_i64_i32 v[4:5], s[4:5], v4, s45, v[6:7]
	v_or_b32_e32 v12, 0x100, v10
	v_mov_b32_e32 v13, v29
	v_lshlrev_b32_e32 v28, 5, v27
	v_lshl_add_u64 v[8:9], v[8:9], 0, v[10:11]
	v_lshl_add_u64 v[4:5], v[4:5], 0, v[12:13]
	v_lshl_add_u64 v[8:9], v[8:9], 0, v[28:29]
	v_lshl_add_u64 v[4:5], v[4:5], 0, v[28:29]
	s_barrier
	global_load_dwordx4 v[22:25], v[8:9], off
	global_load_dwordx4 v[18:21], v[4:5], off
	s_waitcnt vmcnt(3)
	v_mad_i64_i32 v[4:5], s[4:5], v3, s45, v[6:7]
	v_lshl_add_u64 v[4:5], v[4:5], 0, v[10:11]
	s_waitcnt vmcnt(2)
	v_mad_i64_i32 v[2:3], s[4:5], v2, s45, v[6:7]
	v_lshl_add_u64 v[4:5], v[4:5], 0, v[28:29]
	v_lshl_add_u64 v[2:3], v[2:3], 0, v[12:13]
	;; [unrolled: 1-line block ×3, first 2 shown]
	global_load_dwordx4 v[14:17], v[4:5], off
	global_load_dwordx4 v[6:9], v[2:3], off
	v_and_b32_e32 v2, 7, v0
	v_lshlrev_b32_e32 v2, 5, v2
	v_lshl_or_b32 v2, v1, 9, v2
	ds_read_b128 v[10:13], v2
	ds_read_b128 v[2:5], v2 offset:16
	v_and_b32_e32 v43, 63, v0
	v_mov_b32_e32 v44, 0
	s_and_saveexec_b64 s[4:5], s[30:31]
	s_cbranch_execz .LBB855_13
; %bb.12:
	s_load_dwordx2 s[12:13], s[0:1], 0x40
	v_or_b32_e32 v30, s29, v42
	v_ashrrev_i32_e32 v31, 31, v30
	s_waitcnt lgkmcnt(0)
	v_lshl_add_u64 v[30:31], v[30:31], 2, s[12:13]
	global_load_dword v44, v[30:31], off
.LBB855_13:
	s_or_b64 exec, exec, s[4:5]
	s_ashr_i32 s4, s16, 31
	v_or_b32_e32 v45, s16, v27
	s_lshr_b32 s4, s4, 27
	v_add_u32_e32 v27, s4, v45
	v_ashrrev_i32_e32 v27, 5, v27
	v_mov_b32_e32 v65, s17
	v_cmp_gt_i32_e32 vcc, s33, v45
	s_waitcnt vmcnt(3)
	v_cvt_pk_f32_fp8_sdwa v[32:33], v22 src0_sel:WORD_1
	s_waitcnt vmcnt(2)
	v_cvt_pk_f32_fp8_e32 v[48:49], v18
	v_cndmask_b32_e32 v30, v65, v27, vcc
	v_ashrrev_i32_e32 v31, 31, v30
	v_lshl_add_u64 v[30:31], v[30:31], 2, s[6:7]
	global_load_dword v72, v[30:31], off
	v_cvt_pk_f32_fp8_e32 v[30:31], v22
	v_cvt_pk_f32_fp8_sdwa v[50:51], v18 src0_sel:WORD_1
	v_or_b32_e32 v18, 64, v45
	v_cvt_pk_f32_fp8_e32 v[56:57], v20
	v_cvt_pk_f32_fp8_sdwa v[58:59], v20 src0_sel:WORD_1
	v_cvt_pk_f32_fp8_e32 v[60:61], v21
	v_cvt_pk_f32_fp8_sdwa v[62:63], v21 src0_sel:WORD_1
	v_or_b32_e32 v20, 0xc0, v45
	v_add_u32_e32 v21, s4, v18
	v_cvt_pk_f32_fp8_e32 v[52:53], v19
	v_cvt_pk_f32_fp8_sdwa v[54:55], v19 src0_sel:WORD_1
	v_or_b32_e32 v19, 0x80, v45
	v_add_u32_e32 v64, s4, v20
	v_ashrrev_i32_e32 v21, 5, v21
	v_cmp_gt_i32_e32 vcc, s33, v18
	v_cvt_pk_f32_fp8_e32 v[34:35], v23
	v_cvt_pk_f32_fp8_sdwa v[22:23], v23 src0_sel:WORD_1
	v_add_u32_e32 v45, s4, v19
	v_ashrrev_i32_e32 v67, 5, v64
	v_cndmask_b32_e32 v64, v65, v21, vcc
	v_cmp_gt_i32_e32 vcc, s33, v19
	v_cvt_pkrtz_f16_f32 v18, v30, v31
	v_cvt_pkrtz_f16_f32 v19, v32, v33
	v_cvt_pk_f32_fp8_e32 v[36:37], v24
	v_cvt_pk_f32_fp8_sdwa v[38:39], v24 src0_sel:WORD_1
	v_ashrrev_i32_e32 v45, 5, v45
	v_cvt_pkrtz_f16_f32 v30, v34, v35
	v_cvt_pkrtz_f16_f32 v31, v22, v23
	v_cvt_pkrtz_f16_f32 v22, v48, v49
	v_cvt_pkrtz_f16_f32 v23, v50, v51
	v_cvt_pk_f32_fp8_e32 v[46:47], v25
	v_cvt_pk_f32_fp8_sdwa v[24:25], v25 src0_sel:WORD_1
	v_cndmask_b32_e32 v66, v65, v45, vcc
	v_cmp_gt_i32_e32 vcc, s33, v20
	s_waitcnt lgkmcnt(1)
	v_mfma_f32_16x16x16_f16 v[18:21], v[18:19], v[10:11], 0
	v_cvt_pkrtz_f16_f32 v34, v36, v37
	v_cvt_pkrtz_f16_f32 v35, v38, v39
	;; [unrolled: 1-line block ×5, first 2 shown]
	v_mfma_f32_16x16x16_f16 v[22:25], v[22:23], v[10:11], 0
	s_add_u32 s4, s8, s10
	v_and_b32_e32 v28, 16, v0
	v_lshlrev_b32_e32 v27, 5, v42
	v_mfma_f32_16x16x16_f16 v[30:33], v[30:31], v[12:13], v[18:21]
	s_addc_u32 s5, s9, 0
	s_load_dword s11, s[0:1], 0x1c
	s_load_dwordx4 s[40:43], s[0:1], 0x80
	v_lshl_add_u64 v[70:71], s[4:5], 0, v[28:29]
	v_lshl_or_b32 v28, v41, 9, v27
	v_cvt_pkrtz_f16_f32 v36, v46, v47
	v_cvt_pkrtz_f16_f32 v46, v56, v57
	;; [unrolled: 1-line block ×3, first 2 shown]
	v_mfma_f32_16x16x16_f16 v[20:23], v[38:39], v[12:13], v[22:25]
	v_lshl_add_u64 v[18:19], v[70:71], 0, v[28:29]
	v_cndmask_b32_e32 v68, v65, v67, vcc
	v_ashrrev_i32_e32 v65, 31, v64
	s_waitcnt lgkmcnt(0)
	v_mfma_f32_16x16x16_f16 v[28:31], v[34:35], v[2:3], v[30:33]
	v_ashrrev_i32_e32 v67, 31, v66
	v_ashrrev_i32_e32 v69, 31, v68
	v_lshl_add_u64 v[24:25], v[64:65], 2, s[6:7]
	v_lshl_add_u64 v[32:33], v[66:67], 2, s[6:7]
	;; [unrolled: 1-line block ×3, first 2 shown]
	s_load_dword s4, s[40:41], 0x0
	v_mfma_f32_16x16x16_f16 v[20:23], v[46:47], v[2:3], v[20:23]
	global_load_dword v47, v[24:25], off
	global_load_dword v45, v[32:33], off
	;; [unrolled: 1-line block ×3, first 2 shown]
	s_waitcnt vmcnt(5)
	v_cvt_pk_f32_fp8_e32 v[24:25], v14
	v_cvt_pkrtz_f16_f32 v48, v60, v61
	v_mfma_f32_16x16x16_f16 v[32:35], v[36:37], v[4:5], v[28:31]
	v_cvt_pkrtz_f16_f32 v49, v62, v63
	v_cvt_pk_f32_fp8_e32 v[36:37], v15
	v_cvt_pkrtz_f16_f32 v24, v24, v25
	v_cvt_pk_f32_fp8_sdwa v[30:31], v14 src0_sel:WORD_1
	v_cvt_pk_f32_fp8_sdwa v[14:15], v15 src0_sel:WORD_1
	v_mov_b32_e32 v38, s11
	v_mfma_f32_16x16x16_f16 v[20:23], v[48:49], v[4:5], v[20:23]
	v_cvt_pkrtz_f16_f32 v25, v30, v31
	v_cvt_pkrtz_f16_f32 v30, v36, v37
	v_cvt_pk_f32_fp8_e32 v[48:49], v16
	v_cvt_pk_f32_fp8_sdwa v[52:53], v16 src0_sel:WORD_1
	v_cvt_pkrtz_f16_f32 v31, v14, v15
	s_waitcnt lgkmcnt(0)
	v_mul_f32_e32 v50, s4, v38
	v_mfma_f32_16x16x16_f16 v[36:39], v[24:25], v[10:11], 0
	v_cvt_pkrtz_f16_f32 v24, v48, v49
	v_cvt_pkrtz_f16_f32 v25, v52, v53
	v_cvt_pk_f32_fp8_e32 v[48:49], v17
	v_cvt_pk_f32_fp8_sdwa v[52:53], v17 src0_sel:WORD_1
	v_mfma_f32_16x16x16_f16 v[14:17], v[30:31], v[12:13], v[36:39]
	v_pk_mul_f32 v[30:31], v[50:51], v[34:35] op_sel_hi:[0,1]
	v_cvt_pkrtz_f16_f32 v34, v48, v49
	v_cvt_pkrtz_f16_f32 v35, v52, v53
	v_mfma_f32_16x16x16_f16 v[14:17], v[24:25], v[2:3], v[14:17]
	v_pk_mul_f32 v[36:37], v[50:51], v[32:33] op_sel_hi:[0,1]
	s_waitcnt vmcnt(4)
	v_cvt_pk_f32_fp8_e32 v[24:25], v6
	v_cvt_pk_f32_fp8_sdwa v[32:33], v6 src0_sel:WORD_1
	v_mfma_f32_16x16x16_f16 v[14:17], v[34:35], v[4:5], v[14:17]
	v_cvt_pk_f32_fp8_e32 v[34:35], v7
	v_cvt_pkrtz_f16_f32 v24, v24, v25
	v_cvt_pkrtz_f16_f32 v25, v32, v33
	v_cvt_pk_f32_fp8_sdwa v[6:7], v7 src0_sel:WORD_1
	v_cvt_pkrtz_f16_f32 v38, v34, v35
	v_cvt_pk_f32_fp8_e32 v[48:49], v8
	v_cvt_pk_f32_fp8_sdwa v[52:53], v8 src0_sel:WORD_1
	v_cvt_pkrtz_f16_f32 v39, v6, v7
	v_mfma_f32_16x16x16_f16 v[32:35], v[24:25], v[10:11], 0
	v_cvt_pkrtz_f16_f32 v10, v48, v49
	v_cvt_pkrtz_f16_f32 v11, v52, v53
	v_cvt_pk_f32_fp8_e32 v[24:25], v9
	v_cvt_pk_f32_fp8_sdwa v[48:49], v9 src0_sel:WORD_1
	v_mfma_f32_16x16x16_f16 v[6:9], v[38:39], v[12:13], v[32:35]
	v_pk_mul_f32 v[38:39], v[50:51], v[20:21] op_sel_hi:[0,1]
	v_cvt_pkrtz_f16_f32 v12, v24, v25
	v_cvt_pkrtz_f16_f32 v13, v48, v49
	v_mfma_f32_16x16x16_f16 v[6:9], v[10:11], v[2:3], v[6:9]
	v_pk_mul_f32 v[34:35], v[50:51], v[22:23] op_sel_hi:[0,1]
	v_pk_mul_f32 v[24:25], v[50:51], v[16:17] op_sel_hi:[0,1]
	;; [unrolled: 1-line block ×3, first 2 shown]
	v_mfma_f32_16x16x16_f16 v[2:5], v[12:13], v[4:5], v[6:9]
	s_waitcnt vmcnt(3)
	v_mad_i64_i32 v[28:29], s[4:5], v72, s45, v[18:19]
	s_mov_b32 s44, 0xff7fffff
	s_nop 3
	v_pk_mul_f32 v[22:23], v[50:51], v[2:3] op_sel_hi:[0,1]
	v_and_b32_e32 v2, 0xc0, v0
	v_add_u32_e32 v2, s16, v2
	v_lshl_or_b32 v2, v1, 2, v2
	v_or_b32_e32 v3, 1, v2
	v_pk_mul_f32 v[20:21], v[50:51], v[4:5] op_sel_hi:[0,1]
	v_subrev_u32_e32 v4, s33, v3
	v_add_u32_e32 v6, 1, v4
	v_add_u32_e32 v7, 2, v4
	;; [unrolled: 1-line block ×3, first 2 shown]
	v_cvt_f32_i32_e32 v6, v6
	v_cvt_f32_i32_e32 v7, v7
	;; [unrolled: 1-line block ×3, first 2 shown]
	v_add_u32_e32 v9, 19, v4
	v_fmac_f32_e32 v37, v44, v6
	v_fma_f32 v30, v44, v7, v30
	v_fmac_f32_e32 v31, v44, v8
	v_add_u32_e32 v6, 16, v4
	v_add_u32_e32 v7, 17, v4
	;; [unrolled: 1-line block ×3, first 2 shown]
	v_cvt_f32_i32_e32 v6, v6
	v_cvt_f32_i32_e32 v7, v7
	;; [unrolled: 1-line block ×4, first 2 shown]
	v_fma_f32 v38, v44, v6, v38
	v_fmac_f32_e32 v39, v44, v7
	v_fma_f32 v34, v44, v8, v34
	v_add_u32_e32 v6, 32, v4
	v_add_u32_e32 v7, 33, v4
	;; [unrolled: 1-line block ×3, first 2 shown]
	v_cvt_f32_i32_e32 v6, v6
	v_cvt_f32_i32_e32 v7, v7
	;; [unrolled: 1-line block ×4, first 2 shown]
	v_fmac_f32_e32 v35, v44, v9
	v_add_u32_e32 v9, 35, v4
	v_fma_f32 v48, v44, v6, v32
	v_fmac_f32_e32 v33, v44, v7
	v_fma_f32 v24, v44, v8, v24
	v_add_u32_e32 v6, 48, v4
	v_add_u32_e32 v7, 49, v4
	;; [unrolled: 1-line block ×4, first 2 shown]
	v_cvt_f32_i32_e32 v4, v4
	v_cvt_f32_i32_e32 v6, v6
	v_cvt_f32_i32_e32 v7, v7
	v_fma_f32 v5, v44, v5, v36
	v_fmac_f32_e32 v21, v44, v4
	v_mov_b32_e32 v4, 0xff7fffff
	v_cmp_gt_i32_e64 s[4:5], s33, v2
	v_cmp_gt_i32_e64 s[34:35], s33, v3
	v_fma_f32 v22, v44, v6, v22
	v_cndmask_b32_e64 v6, v4, v5, s[4:5]
	v_cndmask_b32_e64 v3, v4, v37, s[34:35]
	v_fmac_f32_e32 v23, v44, v7
	v_max3_f32 v3, v6, s44, v3
	v_or_b32_e32 v6, 2, v2
	v_or_b32_e32 v7, 3, v2
	v_cmp_gt_i32_e64 s[36:37], s33, v6
	v_cmp_gt_i32_e64 s[38:39], s33, v7
	v_cvt_f32_i32_e32 v9, v9
	v_cndmask_b32_e64 v6, v4, v30, s[36:37]
	v_cndmask_b32_e64 v7, v4, v31, s[38:39]
	v_max3_f32 v3, v3, v6, v7
	v_or_b32_e32 v6, 16, v2
	v_or_b32_e32 v7, 17, v2
	v_cmp_gt_i32_e64 s[24:25], s33, v6
	v_cmp_gt_i32_e64 s[26:27], s33, v7
	v_fmac_f32_e32 v25, v44, v9
	v_cndmask_b32_e64 v6, v4, v38, s[24:25]
	v_cndmask_b32_e64 v7, v4, v39, s[26:27]
	v_max3_f32 v3, v3, v6, v7
	v_or_b32_e32 v6, 18, v2
	v_or_b32_e32 v7, 19, v2
	v_cmp_gt_i32_e64 s[20:21], s33, v6
	v_cmp_gt_i32_e64 s[22:23], s33, v7
	v_cvt_f32_i32_e32 v8, v8
	v_cndmask_b32_e64 v6, v4, v34, s[20:21]
	v_cndmask_b32_e64 v7, v4, v35, s[22:23]
	v_max3_f32 v3, v3, v6, v7
	v_or_b32_e32 v6, 32, v2
	v_or_b32_e32 v7, 33, v2
	v_cmp_gt_i32_e64 s[16:17], s33, v6
	v_cmp_gt_i32_e64 s[18:19], s33, v7
	v_fma_f32 v20, v44, v8, v20
	v_cndmask_b32_e64 v6, v4, v48, s[16:17]
	v_cndmask_b32_e64 v7, v4, v33, s[18:19]
	v_max3_f32 v3, v3, v6, v7
	v_or_b32_e32 v6, 34, v2
	v_or_b32_e32 v7, 35, v2
	v_cmp_gt_i32_e64 s[12:13], s33, v6
	v_cmp_gt_i32_e64 s[14:15], s33, v7
	s_nop 0
	v_cndmask_b32_e64 v6, v4, v24, s[12:13]
	v_cndmask_b32_e64 v7, v4, v25, s[14:15]
	v_max3_f32 v3, v3, v6, v7
	v_or_b32_e32 v6, 48, v2
	v_or_b32_e32 v7, 49, v2
	v_cmp_gt_i32_e64 s[8:9], s33, v6
	v_cmp_gt_i32_e64 s[10:11], s33, v7
	s_nop 0
	v_cndmask_b32_e64 v6, v4, v22, s[8:9]
	v_cndmask_b32_e64 v7, v4, v23, s[10:11]
	v_max3_f32 v3, v3, v6, v7
	v_or_b32_e32 v6, 50, v2
	v_or_b32_e32 v2, 51, v2
	v_cmp_gt_i32_e32 vcc, s33, v6
	v_cmp_gt_i32_e64 s[6:7], s33, v2
	s_nop 0
	v_cndmask_b32_e32 v6, v4, v20, vcc
	v_cndmask_b32_e64 v2, v4, v21, s[6:7]
	v_max3_f32 v4, v3, v6, v2
	v_mbcnt_lo_u32_b32 v2, -1, 0
	v_mbcnt_hi_u32_b32 v6, -1, v2
	v_and_b32_e32 v2, 64, v6
	v_add_u32_e32 v7, 64, v2
	v_xor_b32_e32 v2, 32, v6
	v_cmp_lt_i32_e64 s[40:41], v2, v7
	s_nop 1
	v_cndmask_b32_e64 v2, v6, v2, s[40:41]
	v_lshlrev_b32_e32 v44, 2, v2
	ds_bpermute_b32 v8, v44, v4
	s_waitcnt vmcnt(2)
	v_mad_i64_i32 v[2:3], s[40:41], v47, s45, v[18:19]
	global_load_dwordx4 v[14:17], v[28:29], off
	global_load_dwordx4 v[10:13], v[2:3], off
	v_xor_b32_e32 v3, 16, v6
	v_cmp_lt_i32_e64 s[40:41], v3, v7
	s_waitcnt lgkmcnt(0)
	v_max_f32_e32 v2, v8, v8
	v_max_f32_e32 v2, v4, v2
	v_cndmask_b32_e64 v3, v6, v3, s[40:41]
	v_lshlrev_b32_e32 v47, 2, v3
	ds_bpermute_b32 v3, v47, v2
	s_waitcnt vmcnt(3)
	v_mad_i64_i32 v[28:29], s[40:41], v45, s45, v[18:19]
	s_waitcnt vmcnt(2)
	v_mad_i64_i32 v[18:19], s[40:41], v46, s45, v[18:19]
	s_waitcnt lgkmcnt(0)
	v_max_f32_e32 v3, v3, v3
	v_max_f32_e32 v32, v2, v3
	v_sub_f32_e32 v2, v5, v32
	v_mul_f32_e32 v2, 0x3fb8aa3b, v2
	v_exp_f32_e32 v36, v2
	v_sub_f32_e32 v2, v37, v32
	v_mul_f32_e32 v2, 0x3fb8aa3b, v2
	v_exp_f32_e32 v37, v2
	global_load_dwordx4 v[6:9], v[28:29], off
	global_load_dwordx4 v[2:5], v[18:19], off
	v_sub_f32_e32 v29, v30, v32
	v_sub_f32_e32 v30, v31, v32
	v_mul_f32_e32 v29, 0x3fb8aa3b, v29
	v_mul_f32_e32 v30, 0x3fb8aa3b, v30
	v_exp_f32_e32 v29, v29
	v_exp_f32_e32 v30, v30
	v_cndmask_b32_e64 v18, 0, v36, s[4:5]
	v_cndmask_b32_e64 v19, 0, v37, s[34:35]
	;; [unrolled: 1-line block ×4, first 2 shown]
	v_sub_f32_e32 v29, v38, v32
	v_sub_f32_e32 v30, v39, v32
	v_mul_f32_e32 v29, 0x3fb8aa3b, v29
	v_mul_f32_e32 v30, 0x3fb8aa3b, v30
	v_exp_f32_e32 v29, v29
	v_exp_f32_e32 v30, v30
	v_add_f32_e32 v28, 0, v18
	v_add_f32_e32 v28, v28, v19
	;; [unrolled: 1-line block ×4, first 2 shown]
	v_cndmask_b32_e64 v28, 0, v29, s[24:25]
	v_cndmask_b32_e64 v29, 0, v30, s[26:27]
	v_sub_f32_e32 v30, v34, v32
	v_mul_f32_e32 v30, 0x3fb8aa3b, v30
	v_exp_f32_e32 v30, v30
	v_sub_f32_e32 v34, v35, v32
	v_add_f32_e32 v31, v31, v28
	v_mul_f32_e32 v34, 0x3fb8aa3b, v34
	v_exp_f32_e32 v35, v34
	v_add_f32_e32 v31, v31, v29
	v_cndmask_b32_e64 v34, 0, v30, s[20:21]
	v_add_f32_e32 v30, v31, v34
	v_sub_f32_e32 v31, v48, v32
	v_mul_f32_e32 v31, 0x3fb8aa3b, v31
	v_sub_f32_e32 v33, v33, v32
	v_exp_f32_e32 v31, v31
	v_mul_f32_e32 v33, 0x3fb8aa3b, v33
	v_sub_f32_e32 v24, v24, v32
	v_exp_f32_e32 v33, v33
	v_mul_f32_e32 v24, 0x3fb8aa3b, v24
	v_sub_f32_e32 v25, v25, v32
	v_exp_f32_e32 v24, v24
	v_mul_f32_e32 v25, 0x3fb8aa3b, v25
	v_sub_f32_e32 v22, v22, v32
	v_cndmask_b32_e64 v35, 0, v35, s[22:23]
	v_exp_f32_e32 v25, v25
	v_mul_f32_e32 v22, 0x3fb8aa3b, v22
	v_sub_f32_e32 v23, v23, v32
	v_add_f32_e32 v38, v30, v35
	v_cndmask_b32_e64 v30, 0, v31, s[16:17]
	v_exp_f32_e32 v22, v22
	v_mul_f32_e32 v23, 0x3fb8aa3b, v23
	v_sub_f32_e32 v20, v20, v32
	v_add_f32_e32 v38, v38, v30
	;; [unrolled: 5-line block ×3, first 2 shown]
	v_cndmask_b32_e64 v24, 0, v24, s[12:13]
	v_exp_f32_e32 v20, v20
	v_mul_f32_e32 v21, 0x3fb8aa3b, v21
	v_add_f32_e32 v33, v33, v24
	v_cndmask_b32_e64 v25, 0, v25, s[14:15]
	v_exp_f32_e32 v21, v21
	v_add_f32_e32 v33, v33, v25
	v_cndmask_b32_e64 v22, 0, v22, s[8:9]
	v_add_f32_e32 v33, v33, v22
	v_cndmask_b32_e64 v23, 0, v23, s[10:11]
	v_add_f32_e32 v33, v33, v23
	v_cndmask_b32_e32 v20, 0, v20, vcc
	v_add_f32_e32 v33, v33, v20
	v_cndmask_b32_e64 v21, 0, v21, s[6:7]
	v_add_f32_e32 v33, v33, v21
	ds_bpermute_b32 v38, v44, v33
	s_load_dword s7, s[0:1], 0x98
	v_cmp_gt_u32_e32 vcc, 16, v43
	s_waitcnt lgkmcnt(0)
	s_barrier
	v_add_f32_e32 v38, v33, v38
	ds_bpermute_b32 v39, v47, v38
	v_lshlrev_b32_e32 v33, 2, v42
	s_waitcnt lgkmcnt(0)
	s_and_saveexec_b64 s[4:5], vcc
	s_cbranch_execz .LBB855_15
; %bb.14:
	v_add_f32_e32 v38, v38, v39
	v_lshl_or_b32 v39, v41, 6, v33
	ds_write2st64_b32 v39, v32, v38 offset1:1
.LBB855_15:
	s_or_b64 exec, exec, s[4:5]
	s_load_dword s6, s[0:1], 0x94
	s_waitcnt lgkmcnt(0)
	s_barrier
	ds_read2_b32 v[38:39], v33 offset1:16
	ds_read2_b32 v[42:43], v33 offset0:32 offset1:48
	ds_read2_b32 v[44:45], v33 offset0:64 offset1:80
	s_lshl_b32 s7, s7, 3
	s_waitcnt lgkmcnt(2)
	v_max3_f32 v32, v38, s44, v39
	s_waitcnt lgkmcnt(1)
	v_max3_f32 v32, v32, v42, v43
	v_sub_f32_e32 v38, v38, v32
	v_mul_f32_e32 v38, 0x3fb8aa3b, v38
	v_exp_f32_e32 v46, v38
	v_sub_f32_e32 v38, v39, v32
	v_mul_f32_e32 v38, 0x3fb8aa3b, v38
	v_exp_f32_e32 v47, v38
	;; [unrolled: 3-line block ×3, first 2 shown]
	ds_read2_b32 v[38:39], v33 offset0:96 offset1:112
	v_sub_f32_e32 v33, v43, v32
	v_mul_f32_e32 v33, 0x3fb8aa3b, v33
	v_exp_f32_e32 v43, v33
	s_waitcnt lgkmcnt(1)
	v_fma_f32 v33, v46, v44, 0
	v_fmac_f32_e32 v33, v47, v45
	s_waitcnt lgkmcnt(0)
	v_fmac_f32_e32 v33, v42, v38
	v_fmac_f32_e32 v33, v43, v39
	v_add_f32_e32 v38, 0x358637bd, v33
	v_div_scale_f32 v39, s[4:5], v38, v38, 1.0
	v_rcp_f32_e32 v44, v39
	s_barrier
	v_fma_f32 v45, -v39, v44, 1.0
	v_fmac_f32_e32 v44, v45, v44
	v_div_scale_f32 v45, vcc, 1.0, v38, 1.0
	v_mul_f32_e32 v48, v45, v44
	v_fma_f32 v49, -v39, v48, v45
	v_fmac_f32_e32 v48, v49, v44
	v_fma_f32 v39, -v39, v48, v45
	v_div_fmas_f32 v39, v39, v44, v48
	v_cmp_eq_u32_e32 vcc, 1, v41
	v_div_fixup_f32 v38, v39, v38, 1.0
	s_nop 0
	v_cndmask_b32_e32 v39, v46, v47, vcc
	v_cmp_eq_u32_e32 vcc, 2, v41
	s_nop 1
	v_cndmask_b32_e32 v39, v39, v42, vcc
	v_cmp_eq_u32_e32 vcc, 3, v41
	s_nop 1
	v_cndmask_b32_e32 v39, v39, v43, vcc
	v_mul_f32_e32 v38, v39, v38
	v_pk_mul_f32 v[36:37], v[38:39], v[36:37] op_sel_hi:[0,1]
	v_pk_mul_f32 v[18:19], v[38:39], v[18:19] op_sel_hi:[0,1]
	v_cvt_f16_f32_e32 v39, v36
	v_cvt_f16_f32_e32 v37, v37
	;; [unrolled: 1-line block ×4, first 2 shown]
	v_cmp_gt_u32_e32 vcc, 8, v0
	v_pack_b32_f16 v37, v39, v37
	v_lshlrev_b32_e32 v39, 3, v1
	v_pack_b32_f16 v36, v18, v19
	v_pk_mul_f32 v[18:19], v[38:39], v[34:35] op_sel_hi:[0,1]
	v_pk_mul_f32 v[28:29], v[38:39], v[28:29] op_sel_hi:[0,1]
	v_cvt_f16_f32_e32 v28, v28
	v_cvt_f16_f32_e32 v29, v29
	v_cvt_f16_f32_e32 v34, v18
	v_cvt_f16_f32_e32 v19, v19
	v_lshlrev_b32_e32 v18, 11, v41
	v_or3_b32 v18, v18, v27, v39
	v_pack_b32_f16 v28, v28, v29
	v_pack_b32_f16 v29, v34, v19
	ds_write2st64_b64 v18, v[36:37], v[28:29] offset1:1
	v_pk_mul_f32 v[24:25], v[38:39], v[24:25] op_sel_hi:[0,1]
	v_pk_mul_f32 v[28:29], v[38:39], v[30:31] op_sel_hi:[0,1]
	;; [unrolled: 1-line block ×4, first 2 shown]
	v_cvt_f16_f32_e32 v19, v28
	v_cvt_f16_f32_e32 v28, v29
	;; [unrolled: 1-line block ×8, first 2 shown]
	v_pack_b32_f16 v20, v19, v28
	v_pack_b32_f16 v21, v24, v25
	;; [unrolled: 1-line block ×4, first 2 shown]
	ds_write2st64_b64 v18, v[20:21], v[22:23] offset0:2 offset1:3
	s_and_saveexec_b64 s[4:5], vcc
	s_cbranch_execz .LBB855_17
; %bb.16:
	v_or_b32_e32 v20, s29, v0
	v_mov_b32_e32 v21, 0
	v_mov_b32_e32 v19, s7
	v_mad_u64_u32 v[22:23], s[12:13], s2, v19, v[20:21]
	v_mov_b32_e32 v20, s28
	s_load_dwordx4 s[8:11], s[0:1], 0x58
	s_mul_i32 s3, s3, s7
	v_mad_u64_u32 v[20:21], s[12:13], v22, s6, v[20:21]
	v_add_u32_e32 v19, s3, v23
	v_mov_b32_e32 v22, v21
	v_mad_u64_u32 v[22:23], s[12:13], v19, s6, v[22:23]
	v_mov_b32_e32 v21, v22
	v_lshlrev_b64 v[20:21], 2, v[20:21]
	s_waitcnt lgkmcnt(0)
	v_lshl_add_u64 v[22:23], s[10:11], 0, v[20:21]
	v_lshl_add_u64 v[20:21], s[8:9], 0, v[20:21]
	global_store_dword v[22:23], v32, off
	global_store_dword v[20:21], v33, off
.LBB855_17:
	s_or_b64 exec, exec, s[4:5]
	s_waitcnt vmcnt(3)
	v_cvt_pk_f32_fp8_e32 v[20:21], v14
	v_cvt_pk_f32_fp8_sdwa v[22:23], v14 src0_sel:WORD_1
	v_lshl_or_b32 v14, v1, 9, v27
	s_waitcnt lgkmcnt(0)
	s_barrier
	v_cvt_pk_f32_fp8_e32 v[24:25], v15
	v_cvt_pkrtz_f16_f32 v32, v20, v21
	v_cvt_pkrtz_f16_f32 v33, v22, v23
	v_cvt_pk_f32_fp8_sdwa v[28:29], v15 src0_sel:WORD_1
	ds_read_b128 v[20:23], v14
	v_cvt_pkrtz_f16_f32 v24, v24, v25
	v_cvt_pk_f32_fp8_e32 v[36:37], v16
	v_cvt_pkrtz_f16_f32 v25, v28, v29
	ds_read_b128 v[28:31], v14 offset:16
	v_cvt_pk_f32_fp8_sdwa v[38:39], v16 src0_sel:WORD_1
	s_waitcnt lgkmcnt(1)
	v_mfma_f32_16x16x16_f16 v[32:35], v[32:33], v[20:21], 0
	v_cvt_pkrtz_f16_f32 v36, v36, v37
	s_load_dword s4, s[42:43], 0x0
	v_cvt_pkrtz_f16_f32 v37, v38, v39
	v_cvt_pk_f32_fp8_e32 v[38:39], v17
	v_cvt_pk_f32_fp8_sdwa v[16:17], v17 src0_sel:WORD_1
	v_mfma_f32_16x16x16_f16 v[20:23], v[24:25], v[22:23], v[32:35]
	v_cmp_gt_u32_e32 vcc, 64, v0
	v_cvt_pkrtz_f16_f32 v24, v38, v39
	v_cvt_pkrtz_f16_f32 v25, v16, v17
	s_waitcnt lgkmcnt(0)
	v_mfma_f32_16x16x16_f16 v[20:23], v[36:37], v[28:29], v[20:23]
	s_waitcnt vmcnt(2)
	v_cvt_pk_f32_fp8_e32 v[16:17], v10
	v_cvt_pk_f32_fp8_e32 v[28:29], v11
	v_cvt_pk_f32_fp8_sdwa v[36:37], v12 src0_sel:WORD_1
	v_mfma_f32_16x16x16_f16 v[20:23], v[24:25], v[30:31], v[20:23]
	v_cvt_pk_f32_fp8_sdwa v[24:25], v10 src0_sel:WORD_1
	v_cvt_pkrtz_f16_f32 v10, v16, v17
	v_cvt_pk_f32_fp8_sdwa v[16:17], v11 src0_sel:WORD_1
	ds_read_b128 v[32:35], v14 offset:2064
	v_cvt_pkrtz_f16_f32 v11, v24, v25
	v_cvt_pkrtz_f16_f32 v24, v28, v29
	ds_read_b128 v[28:31], v14 offset:2048
	v_cvt_pkrtz_f16_f32 v25, v16, v17
	v_cvt_pk_f32_fp8_e32 v[16:17], v12
	s_waitcnt lgkmcnt(0)
	v_mfma_f32_16x16x16_f16 v[20:23], v[10:11], v[28:29], v[20:23]
	v_cvt_pkrtz_f16_f32 v10, v16, v17
	v_cvt_pkrtz_f16_f32 v11, v36, v37
	v_cvt_pk_f32_fp8_e32 v[16:17], v13
	v_mfma_f32_16x16x16_f16 v[20:23], v[24:25], v[30:31], v[20:23]
	v_cvt_pk_f32_fp8_sdwa v[24:25], v13 src0_sel:WORD_1
	ds_read_b128 v[28:31], v14 offset:4112
	v_cvt_pkrtz_f16_f32 v16, v16, v17
	v_mfma_f32_16x16x16_f16 v[10:13], v[10:11], v[32:33], v[20:23]
	v_cvt_pkrtz_f16_f32 v17, v24, v25
	s_waitcnt vmcnt(1)
	v_cvt_pk_f32_fp8_sdwa v[24:25], v7 src0_sel:WORD_1
	v_cvt_pk_f32_fp8_sdwa v[32:33], v8 src0_sel:WORD_1
	v_cvt_pk_f32_fp8_e32 v[20:21], v6
	v_mfma_f32_16x16x16_f16 v[10:13], v[16:17], v[34:35], v[10:13]
	v_cvt_pk_f32_fp8_sdwa v[16:17], v6 src0_sel:WORD_1
	v_cvt_pk_f32_fp8_e32 v[22:23], v7
	v_cvt_pkrtz_f16_f32 v6, v20, v21
	s_mov_b32 s3, 0
	v_cvt_pkrtz_f16_f32 v7, v16, v17
	v_cvt_pkrtz_f16_f32 v16, v22, v23
	ds_read_b128 v[20:23], v14 offset:4096
	v_cvt_pkrtz_f16_f32 v17, v24, v25
	v_cvt_pk_f32_fp8_e32 v[24:25], v8
	s_waitcnt lgkmcnt(0)
	v_mfma_f32_16x16x16_f16 v[10:13], v[6:7], v[20:21], v[10:13]
	v_cvt_pkrtz_f16_f32 v6, v24, v25
	v_cvt_pkrtz_f16_f32 v7, v32, v33
	v_cvt_pk_f32_fp8_e32 v[20:21], v9
	v_mfma_f32_16x16x16_f16 v[10:13], v[16:17], v[22:23], v[10:13]
	v_cvt_pk_f32_fp8_sdwa v[16:17], v9 src0_sel:WORD_1
	s_waitcnt vmcnt(0)
	v_cvt_pk_f32_fp8_sdwa v[24:25], v4 src0_sel:WORD_1
	v_cvt_pkrtz_f16_f32 v20, v20, v21
	v_mfma_f32_16x16x16_f16 v[6:9], v[6:7], v[28:29], v[10:13]
	v_cvt_pkrtz_f16_f32 v21, v16, v17
	v_cvt_pk_f32_fp8_e32 v[16:17], v3
	v_mov_b32_e32 v27, 0
	v_cvt_pk_f32_fp8_e32 v[10:11], v2
	v_cvt_pk_f32_fp8_sdwa v[12:13], v2 src0_sel:WORD_1
	v_mfma_f32_16x16x16_f16 v[6:9], v[20:21], v[30:31], v[6:9]
	v_cvt_pk_f32_fp8_sdwa v[20:21], v3 src0_sel:WORD_1
	v_cvt_pkrtz_f16_f32 v2, v10, v11
	v_cvt_pkrtz_f16_f32 v3, v12, v13
	ds_read_b128 v[10:13], v14 offset:6144
	v_cvt_pkrtz_f16_f32 v22, v16, v17
	v_cvt_pkrtz_f16_f32 v23, v20, v21
	v_cvt_pk_f32_fp8_e32 v[20:21], v4
	s_waitcnt lgkmcnt(0)
	v_mfma_f32_16x16x16_f16 v[6:9], v[2:3], v[10:11], v[6:9]
	ds_read_b128 v[14:17], v14 offset:6160
	v_cvt_pkrtz_f16_f32 v2, v20, v21
	v_cvt_pkrtz_f16_f32 v3, v24, v25
	v_cvt_pk_f32_fp8_e32 v[10:11], v5
	v_mfma_f32_16x16x16_f16 v[6:9], v[22:23], v[12:13], v[6:9]
	v_cvt_pk_f32_fp8_sdwa v[12:13], v5 src0_sel:WORD_1
	s_waitcnt lgkmcnt(0)
	v_cvt_pkrtz_f16_f32 v10, v10, v11
	v_mfma_f32_16x16x16_f16 v[2:5], v[2:3], v[14:15], v[6:9]
	v_cvt_pkrtz_f16_f32 v11, v12, v13
	s_barrier
	s_nop 0
	v_mfma_f32_16x16x16_f16 v[2:5], v[10:11], v[16:17], v[2:5]
	s_nop 6
	v_pk_mul_f32 v[4:5], v[4:5], s[4:5] op_sel_hi:[1,0]
	v_pk_mul_f32 v[2:3], v[2:3], s[4:5] op_sel_hi:[1,0]
	v_cvt_f16_f32_e32 v4, v4
	v_cvt_f16_f32_e32 v2, v2
	v_cvt_f16_f32_e32 v3, v3
	v_cvt_f16_f32_e32 v5, v5
	s_and_b64 s[4:5], vcc, s[30:31]
	v_pack_b32_f16 v2, v2, v3
	v_pack_b32_f16 v3, v4, v5
	ds_write_b64 v18, v[2:3]
	s_waitcnt lgkmcnt(0)
	s_barrier
	s_and_saveexec_b64 s[8:9], s[4:5]
	s_cbranch_execz .LBB855_19
; %bb.18:
	s_load_dwordx2 s[0:1], s[0:1], 0x68
	s_lshl_b32 s6, s6, 6
	s_mul_i32 s2, s7, s2
	s_mul_hi_u32 s5, s2, s6
	s_mul_i32 s4, s2, s6
	s_lshl_b64 s[4:5], s[4:5], 1
	v_lshlrev_b32_e32 v0, 10, v0
	s_waitcnt lgkmcnt(0)
	s_add_u32 s4, s0, s4
	v_and_b32_e32 v0, 0x1800, v0
	v_lshlrev_b32_e32 v2, 5, v1
	v_and_b32_e32 v3, 16, v40
	s_addc_u32 s5, s1, s5
	s_lshl_b32 s2, s28, 6
	v_or3_b32 v0, v0, v2, v3
	s_lshl_b64 s[0:1], s[2:3], 1
	ds_read_b128 v[2:5], v0
	ds_read_b128 v[6:9], v0 offset:128
	s_add_u32 s0, s4, s0
	s_addc_u32 s1, s5, s1
	v_or_b32_e32 v12, s29, v1
	v_lshl_add_u64 v[10:11], s[0:1], 0, v[26:27]
	v_mad_u64_u32 v[0:1], s[0:1], v12, s6, 0
	v_lshl_add_u64 v[0:1], v[0:1], 1, v[10:11]
	s_waitcnt lgkmcnt(1)
	global_store_dwordx4 v[0:1], v[2:5], off
	v_or_b32_e32 v0, 4, v12
	v_mad_u64_u32 v[0:1], s[0:1], v0, s6, 0
	v_lshl_add_u64 v[0:1], v[0:1], 1, v[10:11]
	s_waitcnt lgkmcnt(0)
	global_store_dwordx4 v[0:1], v[6:9], off
.LBB855_19:
	s_endpgm
	.section	.rodata,"a",@progbits
	.p2align	6, 0x0
	.amdhsa_kernel _Z39paged_attention_ll4mi_QKV_mfma16_kernelIDF16_hLN4vllm18Fp8KVCacheDataTypeE1EhLi32ELi64ELi256ELb1ELi8EEvPKT_PKT0_S7_ifPKiS9_S9_iPKfiiiPfSC_PS2_PT2_iSB_SB_
		.amdhsa_group_segment_fixed_size 8192
		.amdhsa_private_segment_fixed_size 0
		.amdhsa_kernarg_size 400
		.amdhsa_user_sgpr_count 2
		.amdhsa_user_sgpr_dispatch_ptr 0
		.amdhsa_user_sgpr_queue_ptr 0
		.amdhsa_user_sgpr_kernarg_segment_ptr 1
		.amdhsa_user_sgpr_dispatch_id 0
		.amdhsa_user_sgpr_kernarg_preload_length 0
		.amdhsa_user_sgpr_kernarg_preload_offset 0
		.amdhsa_user_sgpr_private_segment_size 0
		.amdhsa_uses_dynamic_stack 0
		.amdhsa_enable_private_segment 0
		.amdhsa_system_sgpr_workgroup_id_x 1
		.amdhsa_system_sgpr_workgroup_id_y 1
		.amdhsa_system_sgpr_workgroup_id_z 1
		.amdhsa_system_sgpr_workgroup_info 0
		.amdhsa_system_vgpr_workitem_id 0
		.amdhsa_next_free_vgpr 73
		.amdhsa_next_free_sgpr 48
		.amdhsa_accum_offset 76
		.amdhsa_reserve_vcc 1
		.amdhsa_float_round_mode_32 0
		.amdhsa_float_round_mode_16_64 0
		.amdhsa_float_denorm_mode_32 3
		.amdhsa_float_denorm_mode_16_64 3
		.amdhsa_dx10_clamp 1
		.amdhsa_ieee_mode 1
		.amdhsa_fp16_overflow 0
		.amdhsa_tg_split 0
		.amdhsa_exception_fp_ieee_invalid_op 0
		.amdhsa_exception_fp_denorm_src 0
		.amdhsa_exception_fp_ieee_div_zero 0
		.amdhsa_exception_fp_ieee_overflow 0
		.amdhsa_exception_fp_ieee_underflow 0
		.amdhsa_exception_fp_ieee_inexact 0
		.amdhsa_exception_int_div_zero 0
	.end_amdhsa_kernel
	.section	.text._Z39paged_attention_ll4mi_QKV_mfma16_kernelIDF16_hLN4vllm18Fp8KVCacheDataTypeE1EhLi32ELi64ELi256ELb1ELi8EEvPKT_PKT0_S7_ifPKiS9_S9_iPKfiiiPfSC_PS2_PT2_iSB_SB_,"axG",@progbits,_Z39paged_attention_ll4mi_QKV_mfma16_kernelIDF16_hLN4vllm18Fp8KVCacheDataTypeE1EhLi32ELi64ELi256ELb1ELi8EEvPKT_PKT0_S7_ifPKiS9_S9_iPKfiiiPfSC_PS2_PT2_iSB_SB_,comdat
.Lfunc_end855:
	.size	_Z39paged_attention_ll4mi_QKV_mfma16_kernelIDF16_hLN4vllm18Fp8KVCacheDataTypeE1EhLi32ELi64ELi256ELb1ELi8EEvPKT_PKT0_S7_ifPKiS9_S9_iPKfiiiPfSC_PS2_PT2_iSB_SB_, .Lfunc_end855-_Z39paged_attention_ll4mi_QKV_mfma16_kernelIDF16_hLN4vllm18Fp8KVCacheDataTypeE1EhLi32ELi64ELi256ELb1ELi8EEvPKT_PKT0_S7_ifPKiS9_S9_iPKfiiiPfSC_PS2_PT2_iSB_SB_
                                        ; -- End function
	.section	.AMDGPU.csdata,"",@progbits
; Kernel info:
; codeLenInByte = 4888
; NumSgprs: 54
; NumVgprs: 73
; NumAgprs: 0
; TotalNumVgprs: 73
; ScratchSize: 0
; MemoryBound: 0
; FloatMode: 240
; IeeeMode: 1
; LDSByteSize: 8192 bytes/workgroup (compile time only)
; SGPRBlocks: 6
; VGPRBlocks: 9
; NumSGPRsForWavesPerEU: 54
; NumVGPRsForWavesPerEU: 73
; AccumOffset: 76
; Occupancy: 6
; WaveLimiterHint : 1
; COMPUTE_PGM_RSRC2:SCRATCH_EN: 0
; COMPUTE_PGM_RSRC2:USER_SGPR: 2
; COMPUTE_PGM_RSRC2:TRAP_HANDLER: 0
; COMPUTE_PGM_RSRC2:TGID_X_EN: 1
; COMPUTE_PGM_RSRC2:TGID_Y_EN: 1
; COMPUTE_PGM_RSRC2:TGID_Z_EN: 1
; COMPUTE_PGM_RSRC2:TIDIG_COMP_CNT: 0
; COMPUTE_PGM_RSRC3_GFX90A:ACCUM_OFFSET: 18
; COMPUTE_PGM_RSRC3_GFX90A:TG_SPLIT: 0
	.section	.text._Z39paged_attention_ll4mi_QKV_mfma16_kernelIDF16_hLN4vllm18Fp8KVCacheDataTypeE1EhLi32ELi64ELi256ELb1ELi9EEvPKT_PKT0_S7_ifPKiS9_S9_iPKfiiiPfSC_PS2_PT2_iSB_SB_,"axG",@progbits,_Z39paged_attention_ll4mi_QKV_mfma16_kernelIDF16_hLN4vllm18Fp8KVCacheDataTypeE1EhLi32ELi64ELi256ELb1ELi9EEvPKT_PKT0_S7_ifPKiS9_S9_iPKfiiiPfSC_PS2_PT2_iSB_SB_,comdat
	.protected	_Z39paged_attention_ll4mi_QKV_mfma16_kernelIDF16_hLN4vllm18Fp8KVCacheDataTypeE1EhLi32ELi64ELi256ELb1ELi9EEvPKT_PKT0_S7_ifPKiS9_S9_iPKfiiiPfSC_PS2_PT2_iSB_SB_ ; -- Begin function _Z39paged_attention_ll4mi_QKV_mfma16_kernelIDF16_hLN4vllm18Fp8KVCacheDataTypeE1EhLi32ELi64ELi256ELb1ELi9EEvPKT_PKT0_S7_ifPKiS9_S9_iPKfiiiPfSC_PS2_PT2_iSB_SB_
	.globl	_Z39paged_attention_ll4mi_QKV_mfma16_kernelIDF16_hLN4vllm18Fp8KVCacheDataTypeE1EhLi32ELi64ELi256ELb1ELi9EEvPKT_PKT0_S7_ifPKiS9_S9_iPKfiiiPfSC_PS2_PT2_iSB_SB_
	.p2align	8
	.type	_Z39paged_attention_ll4mi_QKV_mfma16_kernelIDF16_hLN4vllm18Fp8KVCacheDataTypeE1EhLi32ELi64ELi256ELb1ELi9EEvPKT_PKT0_S7_ifPKiS9_S9_iPKfiiiPfSC_PS2_PT2_iSB_SB_,@function
_Z39paged_attention_ll4mi_QKV_mfma16_kernelIDF16_hLN4vllm18Fp8KVCacheDataTypeE1EhLi32ELi64ELi256ELb1ELi9EEvPKT_PKT0_S7_ifPKiS9_S9_iPKfiiiPfSC_PS2_PT2_iSB_SB_: ; @_Z39paged_attention_ll4mi_QKV_mfma16_kernelIDF16_hLN4vllm18Fp8KVCacheDataTypeE1EhLi32ELi64ELi256ELb1ELi9EEvPKT_PKT0_S7_ifPKiS9_S9_iPKfiiiPfSC_PS2_PT2_iSB_SB_
; %bb.0:
	s_load_dwordx2 s[6:7], s[0:1], 0x30
	s_mov_b32 s28, s3
	s_mov_b64 s[8:9], 0
	s_waitcnt lgkmcnt(0)
	s_cmp_lg_u64 s[6:7], 0
	s_cselect_b64 s[10:11], -1, 0
	s_and_b64 vcc, exec, s[10:11]
	s_cbranch_vccz .LBB856_7
; %bb.1:
	s_add_i32 s12, s2, 1
	s_mov_b32 s13, 0
	s_lshl_b64 s[14:15], s[12:13], 2
	s_add_u32 s14, s6, s14
	s_mov_b32 s3, s13
	s_addc_u32 s15, s7, s15
	s_lshl_b64 s[12:13], s[2:3], 2
	s_add_u32 s12, s6, s12
	s_addc_u32 s13, s7, s13
	s_load_dword s5, s[14:15], 0x0
	s_load_dword s16, s[12:13], 0x0
	s_waitcnt lgkmcnt(0)
	s_sub_i32 s5, s5, s16
	s_cmp_eq_u32 s5, 1
	s_cselect_b64 s[12:13], -1, 0
	s_andn2_b64 vcc, exec, s[8:9]
	s_cbranch_vccnz .LBB856_3
.LBB856_2:
	s_mov_b32 s3, 0
	s_mov_b64 s[12:13], -1
.LBB856_3:
	s_andn2_b64 vcc, exec, s[12:13]
	s_cbranch_vccnz .LBB856_20
; %bb.4:
	s_load_dwordx2 s[8:9], s[0:1], 0x28
	s_lshl_b64 s[12:13], s[2:3], 2
	s_waitcnt lgkmcnt(0)
	s_add_u32 s8, s8, s12
	s_addc_u32 s9, s9, s13
	s_load_dword s29, s[8:9], 0x0
	s_lshl_b32 s16, s28, 8
	s_waitcnt lgkmcnt(0)
	s_cmp_ge_i32 s16, s29
	s_cbranch_scc1 .LBB856_20
; %bb.5:
	s_load_dwordx2 s[8:9], s[0:1], 0x20
	s_load_dword s5, s[0:1], 0x38
	s_add_i32 s14, s29, 31
	s_ashr_i32 s15, s14, 31
	v_and_b32_e32 v1, 0xcf, v0
	s_lshr_b32 s15, s15, 27
	v_add_u32_e32 v1, s16, v1
	s_add_i32 s14, s14, s15
	v_ashrrev_i32_e32 v2, 31, v1
	s_ashr_i32 s17, s14, 5
	v_lshrrev_b32_e32 v4, 27, v2
	s_add_i32 s17, s17, -1
	s_waitcnt lgkmcnt(0)
	s_mul_i32 s14, s2, s5
	s_mov_b32 s15, 0
	v_add_u32_e32 v2, v1, v4
	s_lshl_b64 s[14:15], s[14:15], 2
	v_ashrrev_i32_e32 v2, 5, v2
	v_mov_b32_e32 v5, s17
	v_cmp_gt_i32_e32 vcc, s29, v1
	s_add_u32 s8, s8, s14
	s_addc_u32 s9, s9, s15
	v_cndmask_b32_e32 v2, v5, v2, vcc
	v_ashrrev_i32_e32 v3, 31, v2
	v_lshl_add_u64 v[6:7], v[2:3], 2, s[8:9]
	v_or_b32_e32 v2, 16, v1
	v_add_u32_e32 v3, v2, v4
	v_ashrrev_i32_e32 v3, 5, v3
	v_cmp_gt_i32_e32 vcc, s29, v2
	s_load_dwordx2 s[14:15], s[0:1], 0x8
	s_nop 0
	v_cndmask_b32_e32 v2, v5, v3, vcc
	v_ashrrev_i32_e32 v3, 31, v2
	v_lshl_add_u64 v[8:9], v[2:3], 2, s[8:9]
	v_or_b32_e32 v2, 32, v1
	v_add_u32_e32 v3, v2, v4
	v_ashrrev_i32_e32 v3, 5, v3
	v_cmp_gt_i32_e32 vcc, s29, v2
	v_or_b32_e32 v1, 48, v1
	s_nop 0
	v_cndmask_b32_e32 v2, v5, v3, vcc
	v_ashrrev_i32_e32 v3, 31, v2
	v_lshl_add_u64 v[10:11], v[2:3], 2, s[8:9]
	v_add_u32_e32 v2, v1, v4
	v_ashrrev_i32_e32 v2, 5, v2
	v_cmp_gt_i32_e32 vcc, s29, v1
	s_nop 1
	v_cndmask_b32_e32 v2, v5, v2, vcc
	v_ashrrev_i32_e32 v3, 31, v2
	v_lshl_add_u64 v[12:13], v[2:3], 2, s[8:9]
	global_load_dword v5, v[6:7], off
	global_load_dword v4, v[8:9], off
	;; [unrolled: 1-line block ×4, first 2 shown]
	s_andn2_b64 vcc, exec, s[10:11]
	s_cbranch_vccnz .LBB856_8
; %bb.6:
	s_add_u32 s6, s6, s12
	s_addc_u32 s7, s7, s13
	s_load_dword s5, s[6:7], 0x0
	s_branch .LBB856_9
.LBB856_7:
	s_mov_b64 s[12:13], 0
	s_branch .LBB856_2
.LBB856_8:
	s_mov_b32 s5, s2
.LBB856_9:
	s_load_dwordx2 s[10:11], s[0:1], 0x10
	s_load_dwordx4 s[44:47], s[0:1], 0x48
	v_lshrrev_b32_e32 v29, 6, v0
	v_bfe_u32 v42, v0, 4, 2
	v_lshl_or_b32 v6, v29, 2, v42
	v_and_b32_e32 v28, 15, v0
	v_lshlrev_b32_e32 v1, 3, v28
	v_cmp_gt_u32_e32 vcc, 9, v6
	v_cmp_gt_u32_e64 s[30:31], 8, v28
	s_mul_i32 s48, s4, 9
	s_and_b64 s[12:13], s[30:31], vcc
	v_lshlrev_b32_e32 v26, 1, v1
	v_lshlrev_b32_e32 v1, 4, v0
	s_and_saveexec_b64 s[6:7], s[12:13]
	s_cbranch_execz .LBB856_11
; %bb.10:
	s_load_dwordx2 s[12:13], s[0:1], 0x0
	s_waitcnt lgkmcnt(0)
	s_ashr_i32 s18, s44, 31
	s_mul_hi_u32 s19, s5, s44
	s_mul_i32 s18, s5, s18
	s_add_i32 s19, s19, s18
	s_mul_i32 s18, s5, s44
	s_lshl_b64 s[18:19], s[18:19], 1
	s_add_u32 s12, s12, s18
	v_add_lshl_u32 v8, v6, s48, 6
	s_addc_u32 s13, s13, s19
	v_ashrrev_i32_e32 v9, 31, v8
	v_lshl_add_u64 v[8:9], v[8:9], 1, s[12:13]
	v_mov_b32_e32 v27, 0
	v_lshl_add_u64 v[8:9], v[8:9], 0, v[26:27]
	global_load_dwordx4 v[8:11], v[8:9], off
	v_lshlrev_b32_e32 v12, 8, v28
	v_lshlrev_b32_e32 v6, 5, v6
	v_and_b32_e32 v7, 16, v1
	v_and_b32_e32 v12, 0xe00, v12
	v_or3_b32 v6, v12, v6, v7
	s_waitcnt vmcnt(0)
	ds_write_b128 v6, v[8:11]
.LBB856_11:
	s_or_b64 exec, exec, s[6:7]
	s_waitcnt lgkmcnt(0)
	s_mul_i32 s12, s4, s46
	s_add_u32 s4, s14, s12
	s_addc_u32 s5, s15, 0
	v_mov_b32_e32 v31, 0
	v_mov_b64_e32 v[6:7], s[4:5]
	v_lshlrev_b32_e32 v10, 4, v28
	v_and_b32_e32 v27, 48, v0
	s_waitcnt vmcnt(3)
	v_mad_i64_i32 v[8:9], s[4:5], v5, s45, v[6:7]
	v_mov_b32_e32 v11, v31
	s_waitcnt vmcnt(2)
	v_mad_i64_i32 v[4:5], s[4:5], v4, s45, v[6:7]
	v_or_b32_e32 v12, 0x100, v10
	v_mov_b32_e32 v13, v31
	v_lshlrev_b32_e32 v30, 5, v27
	v_lshl_add_u64 v[8:9], v[8:9], 0, v[10:11]
	v_lshl_add_u64 v[4:5], v[4:5], 0, v[12:13]
	;; [unrolled: 1-line block ×4, first 2 shown]
	s_barrier
	global_load_dwordx4 v[22:25], v[8:9], off
	global_load_dwordx4 v[18:21], v[4:5], off
	s_waitcnt vmcnt(3)
	v_mad_i64_i32 v[4:5], s[4:5], v3, s45, v[6:7]
	v_lshl_add_u64 v[4:5], v[4:5], 0, v[10:11]
	s_waitcnt vmcnt(2)
	v_mad_i64_i32 v[2:3], s[4:5], v2, s45, v[6:7]
	v_lshl_add_u64 v[4:5], v[4:5], 0, v[30:31]
	v_lshl_add_u64 v[2:3], v[2:3], 0, v[12:13]
	;; [unrolled: 1-line block ×3, first 2 shown]
	global_load_dwordx4 v[14:17], v[4:5], off
	global_load_dwordx4 v[6:9], v[2:3], off
	v_add_u32_e32 v2, -9, v28
	v_cmp_gt_u32_e32 vcc, 9, v28
	v_and_b32_e32 v43, 63, v0
	v_mov_b32_e32 v44, 0
	v_cndmask_b32_e32 v2, v2, v28, vcc
	v_lshlrev_b32_e32 v2, 5, v2
	v_lshl_add_u32 v2, v42, 9, v2
	ds_read_b128 v[10:13], v2
	ds_read_b128 v[2:5], v2 offset:16
	s_and_saveexec_b64 s[4:5], vcc
	s_cbranch_execz .LBB856_13
; %bb.12:
	s_load_dwordx2 s[6:7], s[0:1], 0x40
	v_add_u32_e32 v32, s48, v28
	v_ashrrev_i32_e32 v33, 31, v32
	s_waitcnt lgkmcnt(0)
	v_lshl_add_u64 v[32:33], v[32:33], 2, s[6:7]
	global_load_dword v44, v[32:33], off
.LBB856_13:
	s_or_b64 exec, exec, s[4:5]
	s_ashr_i32 s4, s16, 31
	v_or_b32_e32 v45, s16, v27
	s_lshr_b32 s13, s4, 27
	v_add_u32_e32 v27, s13, v45
	v_ashrrev_i32_e32 v27, 5, v27
	s_waitcnt vmcnt(3)
	v_cvt_pk_f32_fp8_e32 v[32:33], v22
	v_cvt_pk_f32_fp8_sdwa v[34:35], v22 src0_sel:WORD_1
	s_waitcnt vmcnt(2)
	v_cvt_pk_f32_fp8_e32 v[56:57], v20
	v_cvt_pk_f32_fp8_sdwa v[58:59], v20 src0_sel:WORD_1
	v_mov_b32_e32 v20, s17
	v_cmp_gt_i32_e32 vcc, s29, v45
	v_cvt_pk_f32_fp8_e32 v[48:49], v18
	v_cvt_pk_f32_fp8_sdwa v[50:51], v18 src0_sel:WORD_1
	v_cndmask_b32_e32 v18, v20, v27, vcc
	v_cvt_pk_f32_fp8_e32 v[52:53], v19
	v_cvt_pk_f32_fp8_sdwa v[54:55], v19 src0_sel:WORD_1
	v_ashrrev_i32_e32 v19, 31, v18
	v_lshl_add_u64 v[18:19], v[18:19], 2, s[8:9]
	v_cvt_pk_f32_fp8_e32 v[36:37], v23
	v_cvt_pk_f32_fp8_sdwa v[22:23], v23 src0_sel:WORD_1
	global_load_dword v70, v[18:19], off
	v_cvt_pkrtz_f16_f32 v18, v32, v33
	v_cvt_pkrtz_f16_f32 v19, v34, v35
	v_cvt_pk_f32_fp8_e32 v[60:61], v21
	v_cvt_pk_f32_fp8_sdwa v[62:63], v21 src0_sel:WORD_1
	v_or_b32_e32 v21, 64, v45
	v_or_b32_e32 v32, 0x80, v45
	;; [unrolled: 1-line block ×3, first 2 shown]
	v_cmp_gt_i32_e32 vcc, s29, v21
	v_add_u32_e32 v21, s13, v21
	v_cmp_gt_i32_e64 s[4:5], s29, v32
	v_add_u32_e32 v32, s13, v32
	v_cmp_gt_i32_e64 s[6:7], s29, v33
	v_add_u32_e32 v33, s13, v33
	v_cvt_pk_f32_fp8_e32 v[38:39], v24
	v_cvt_pk_f32_fp8_sdwa v[40:41], v24 src0_sel:WORD_1
	v_ashrrev_i32_e32 v21, 5, v21
	v_ashrrev_i32_e32 v34, 5, v32
	;; [unrolled: 1-line block ×3, first 2 shown]
	v_cvt_pkrtz_f16_f32 v32, v36, v37
	v_cvt_pkrtz_f16_f32 v33, v22, v23
	v_cndmask_b32_e32 v36, v20, v21, vcc
	v_cndmask_b32_e64 v64, v20, v34, s[4:5]
	v_cndmask_b32_e64 v66, v20, v35, s[6:7]
	s_waitcnt lgkmcnt(1)
	v_mfma_f32_16x16x16_f16 v[18:21], v[18:19], v[10:11], 0
	v_cvt_pk_f32_fp8_e32 v[46:47], v25
	v_cvt_pkrtz_f16_f32 v22, v48, v49
	v_cvt_pkrtz_f16_f32 v23, v50, v51
	v_cvt_pk_f32_fp8_sdwa v[24:25], v25 src0_sel:WORD_1
	v_cvt_pkrtz_f16_f32 v38, v38, v39
	v_cvt_pkrtz_f16_f32 v39, v40, v41
	v_mfma_f32_16x16x16_f16 v[32:35], v[32:33], v[12:13], v[18:21]
	s_add_u32 s10, s10, s12
	v_and_b32_e32 v30, 16, v0
	v_lshlrev_b32_e32 v27, 5, v28
	s_addc_u32 s11, s11, 0
	v_cvt_pkrtz_f16_f32 v68, v46, v47
	v_cvt_pkrtz_f16_f32 v46, v52, v53
	;; [unrolled: 1-line block ×3, first 2 shown]
	s_load_dword s14, s[0:1], 0x1c
	s_load_dwordx4 s[40:43], s[0:1], 0x80
	v_lshl_add_u64 v[40:41], s[10:11], 0, v[30:31]
	v_lshl_or_b32 v30, v29, 9, v27
	v_cvt_pkrtz_f16_f32 v69, v24, v25
	v_mfma_f32_16x16x16_f16 v[22:25], v[22:23], v[10:11], 0
	v_lshl_add_u64 v[18:19], v[40:41], 0, v[30:31]
	v_ashrrev_i32_e32 v37, 31, v36
	v_ashrrev_i32_e32 v65, 31, v64
	s_waitcnt lgkmcnt(0)
	v_mfma_f32_16x16x16_f16 v[30:33], v[38:39], v[2:3], v[32:35]
	v_ashrrev_i32_e32 v67, 31, v66
	v_cvt_pkrtz_f16_f32 v48, v56, v57
	v_cvt_pkrtz_f16_f32 v49, v58, v59
	v_mfma_f32_16x16x16_f16 v[20:23], v[46:47], v[12:13], v[22:25]
	v_lshl_add_u64 v[34:35], v[64:65], 2, s[8:9]
	s_load_dword s4, s[40:41], 0x0
	v_cvt_pkrtz_f16_f32 v50, v60, v61
	v_lshl_add_u64 v[24:25], v[36:37], 2, s[8:9]
	v_lshl_add_u64 v[36:37], v[66:67], 2, s[8:9]
	global_load_dword v47, v[24:25], off
	global_load_dword v45, v[34:35], off
	;; [unrolled: 1-line block ×3, first 2 shown]
	v_mfma_f32_16x16x16_f16 v[34:37], v[68:69], v[4:5], v[30:33]
	s_waitcnt vmcnt(5)
	v_cvt_pk_f32_fp8_e32 v[24:25], v14
	v_cvt_pkrtz_f16_f32 v51, v62, v63
	v_cvt_pk_f32_fp8_e32 v[38:39], v15
	v_cvt_pk_f32_fp8_sdwa v[32:33], v14 src0_sel:WORD_1
	v_mfma_f32_16x16x16_f16 v[20:23], v[48:49], v[2:3], v[20:23]
	v_cvt_pkrtz_f16_f32 v24, v24, v25
	v_cvt_pk_f32_fp8_sdwa v[14:15], v15 src0_sel:WORD_1
	v_cvt_pkrtz_f16_f32 v25, v32, v33
	v_mov_b32_e32 v40, s14
	v_mfma_f32_16x16x16_f16 v[20:23], v[50:51], v[4:5], v[20:23]
	v_cvt_pkrtz_f16_f32 v32, v38, v39
	v_cvt_pk_f32_fp8_e32 v[50:51], v16
	v_cvt_pk_f32_fp8_sdwa v[52:53], v16 src0_sel:WORD_1
	v_cvt_pkrtz_f16_f32 v33, v14, v15
	s_waitcnt lgkmcnt(0)
	v_mul_f32_e32 v48, s4, v40
	v_mfma_f32_16x16x16_f16 v[38:41], v[24:25], v[10:11], 0
	v_cvt_pkrtz_f16_f32 v24, v50, v51
	v_cvt_pkrtz_f16_f32 v25, v52, v53
	v_cvt_pk_f32_fp8_e32 v[50:51], v17
	v_cvt_pk_f32_fp8_sdwa v[52:53], v17 src0_sel:WORD_1
	v_mfma_f32_16x16x16_f16 v[14:17], v[32:33], v[12:13], v[38:41]
	v_pk_mul_f32 v[32:33], v[48:49], v[36:37] op_sel_hi:[0,1]
	v_cvt_pkrtz_f16_f32 v36, v50, v51
	v_cvt_pkrtz_f16_f32 v37, v52, v53
	v_mfma_f32_16x16x16_f16 v[14:17], v[24:25], v[2:3], v[14:17]
	v_pk_mul_f32 v[38:39], v[48:49], v[34:35] op_sel_hi:[0,1]
	s_waitcnt vmcnt(4)
	v_cvt_pk_f32_fp8_e32 v[24:25], v6
	v_cvt_pk_f32_fp8_sdwa v[34:35], v6 src0_sel:WORD_1
	v_mfma_f32_16x16x16_f16 v[14:17], v[36:37], v[4:5], v[14:17]
	v_cvt_pk_f32_fp8_e32 v[36:37], v7
	v_cvt_pkrtz_f16_f32 v24, v24, v25
	v_cvt_pkrtz_f16_f32 v25, v34, v35
	v_cvt_pk_f32_fp8_sdwa v[6:7], v7 src0_sel:WORD_1
	v_cvt_pkrtz_f16_f32 v40, v36, v37
	v_cvt_pk_f32_fp8_e32 v[50:51], v8
	v_cvt_pk_f32_fp8_sdwa v[52:53], v8 src0_sel:WORD_1
	v_cvt_pkrtz_f16_f32 v41, v6, v7
	v_mfma_f32_16x16x16_f16 v[34:37], v[24:25], v[10:11], 0
	v_cvt_pkrtz_f16_f32 v10, v50, v51
	v_cvt_pkrtz_f16_f32 v11, v52, v53
	v_cvt_pk_f32_fp8_e32 v[24:25], v9
	v_cvt_pk_f32_fp8_sdwa v[50:51], v9 src0_sel:WORD_1
	v_mfma_f32_16x16x16_f16 v[6:9], v[40:41], v[12:13], v[34:37]
	v_pk_mul_f32 v[40:41], v[48:49], v[20:21] op_sel_hi:[0,1]
	v_cvt_pkrtz_f16_f32 v12, v24, v25
	v_cvt_pkrtz_f16_f32 v13, v50, v51
	v_mfma_f32_16x16x16_f16 v[6:9], v[10:11], v[2:3], v[6:9]
	v_pk_mul_f32 v[36:37], v[48:49], v[22:23] op_sel_hi:[0,1]
	v_pk_mul_f32 v[24:25], v[48:49], v[16:17] op_sel_hi:[0,1]
	;; [unrolled: 1-line block ×3, first 2 shown]
	v_mfma_f32_16x16x16_f16 v[2:5], v[12:13], v[4:5], v[6:9]
	s_waitcnt vmcnt(3)
	v_mad_i64_i32 v[30:31], s[4:5], v70, s45, v[18:19]
	s_mov_b32 s33, 0xff7fffff
	s_nop 3
	v_pk_mul_f32 v[22:23], v[48:49], v[2:3] op_sel_hi:[0,1]
	v_and_b32_e32 v2, 0xc0, v0
	v_add_u32_e32 v2, s16, v2
	v_lshl_or_b32 v2, v42, 2, v2
	v_or_b32_e32 v3, 1, v2
	v_pk_mul_f32 v[20:21], v[48:49], v[4:5] op_sel_hi:[0,1]
	v_subrev_u32_e32 v4, s29, v3
	v_add_u32_e32 v6, 1, v4
	v_add_u32_e32 v7, 2, v4
	;; [unrolled: 1-line block ×3, first 2 shown]
	v_cvt_f32_i32_e32 v6, v6
	v_cvt_f32_i32_e32 v7, v7
	v_cvt_f32_i32_e32 v8, v8
	v_add_u32_e32 v9, 19, v4
	v_fmac_f32_e32 v39, v44, v6
	v_fma_f32 v32, v44, v7, v32
	v_fmac_f32_e32 v33, v44, v8
	v_add_u32_e32 v6, 16, v4
	v_add_u32_e32 v7, 17, v4
	;; [unrolled: 1-line block ×3, first 2 shown]
	v_cvt_f32_i32_e32 v6, v6
	v_cvt_f32_i32_e32 v7, v7
	;; [unrolled: 1-line block ×4, first 2 shown]
	v_fma_f32 v40, v44, v6, v40
	v_fmac_f32_e32 v41, v44, v7
	v_fma_f32 v36, v44, v8, v36
	v_add_u32_e32 v6, 32, v4
	v_add_u32_e32 v7, 33, v4
	;; [unrolled: 1-line block ×3, first 2 shown]
	v_cvt_f32_i32_e32 v6, v6
	v_cvt_f32_i32_e32 v7, v7
	;; [unrolled: 1-line block ×4, first 2 shown]
	v_fmac_f32_e32 v37, v44, v9
	v_add_u32_e32 v9, 35, v4
	v_fma_f32 v48, v44, v6, v34
	v_fmac_f32_e32 v35, v44, v7
	v_fma_f32 v24, v44, v8, v24
	v_add_u32_e32 v6, 48, v4
	v_add_u32_e32 v7, 49, v4
	;; [unrolled: 1-line block ×4, first 2 shown]
	v_cvt_f32_i32_e32 v4, v4
	v_cvt_f32_i32_e32 v6, v6
	;; [unrolled: 1-line block ×3, first 2 shown]
	v_fma_f32 v5, v44, v5, v38
	v_fmac_f32_e32 v21, v44, v4
	v_mov_b32_e32 v4, 0xff7fffff
	v_cmp_gt_i32_e64 s[4:5], s29, v2
	v_cmp_gt_i32_e64 s[34:35], s29, v3
	v_fma_f32 v22, v44, v6, v22
	v_cndmask_b32_e64 v6, v4, v5, s[4:5]
	v_cndmask_b32_e64 v3, v4, v39, s[34:35]
	v_fmac_f32_e32 v23, v44, v7
	v_max3_f32 v3, v6, s33, v3
	v_or_b32_e32 v6, 2, v2
	v_or_b32_e32 v7, 3, v2
	v_cmp_gt_i32_e64 s[36:37], s29, v6
	v_cmp_gt_i32_e64 s[38:39], s29, v7
	v_cvt_f32_i32_e32 v9, v9
	v_cndmask_b32_e64 v6, v4, v32, s[36:37]
	v_cndmask_b32_e64 v7, v4, v33, s[38:39]
	v_max3_f32 v3, v3, v6, v7
	v_or_b32_e32 v6, 16, v2
	v_or_b32_e32 v7, 17, v2
	v_cmp_gt_i32_e64 s[24:25], s29, v6
	v_cmp_gt_i32_e64 s[26:27], s29, v7
	v_fmac_f32_e32 v25, v44, v9
	v_cndmask_b32_e64 v6, v4, v40, s[24:25]
	v_cndmask_b32_e64 v7, v4, v41, s[26:27]
	v_max3_f32 v3, v3, v6, v7
	v_or_b32_e32 v6, 18, v2
	v_or_b32_e32 v7, 19, v2
	v_cmp_gt_i32_e64 s[20:21], s29, v6
	v_cmp_gt_i32_e64 s[22:23], s29, v7
	v_cvt_f32_i32_e32 v8, v8
	v_cndmask_b32_e64 v6, v4, v36, s[20:21]
	v_cndmask_b32_e64 v7, v4, v37, s[22:23]
	v_max3_f32 v3, v3, v6, v7
	v_or_b32_e32 v6, 32, v2
	v_or_b32_e32 v7, 33, v2
	v_cmp_gt_i32_e64 s[16:17], s29, v6
	v_cmp_gt_i32_e64 s[18:19], s29, v7
	v_fma_f32 v20, v44, v8, v20
	v_cndmask_b32_e64 v6, v4, v48, s[16:17]
	v_cndmask_b32_e64 v7, v4, v35, s[18:19]
	v_max3_f32 v3, v3, v6, v7
	v_or_b32_e32 v6, 34, v2
	v_or_b32_e32 v7, 35, v2
	v_cmp_gt_i32_e64 s[12:13], s29, v6
	v_cmp_gt_i32_e64 s[14:15], s29, v7
	s_nop 0
	v_cndmask_b32_e64 v6, v4, v24, s[12:13]
	v_cndmask_b32_e64 v7, v4, v25, s[14:15]
	v_max3_f32 v3, v3, v6, v7
	v_or_b32_e32 v6, 48, v2
	v_or_b32_e32 v7, 49, v2
	v_cmp_gt_i32_e64 s[8:9], s29, v6
	v_cmp_gt_i32_e64 s[10:11], s29, v7
	s_nop 0
	v_cndmask_b32_e64 v6, v4, v22, s[8:9]
	v_cndmask_b32_e64 v7, v4, v23, s[10:11]
	v_max3_f32 v3, v3, v6, v7
	v_or_b32_e32 v6, 50, v2
	v_or_b32_e32 v2, 51, v2
	v_cmp_gt_i32_e32 vcc, s29, v6
	v_cmp_gt_i32_e64 s[6:7], s29, v2
	s_nop 0
	v_cndmask_b32_e32 v6, v4, v20, vcc
	v_cndmask_b32_e64 v2, v4, v21, s[6:7]
	v_max3_f32 v4, v3, v6, v2
	v_mbcnt_lo_u32_b32 v2, -1, 0
	v_mbcnt_hi_u32_b32 v6, -1, v2
	v_and_b32_e32 v2, 64, v6
	v_add_u32_e32 v7, 64, v2
	v_xor_b32_e32 v2, 32, v6
	v_cmp_lt_i32_e64 s[40:41], v2, v7
	s_nop 1
	v_cndmask_b32_e64 v2, v6, v2, s[40:41]
	v_lshlrev_b32_e32 v44, 2, v2
	ds_bpermute_b32 v8, v44, v4
	s_waitcnt vmcnt(2)
	v_mad_i64_i32 v[2:3], s[40:41], v47, s45, v[18:19]
	global_load_dwordx4 v[14:17], v[30:31], off
	global_load_dwordx4 v[10:13], v[2:3], off
	v_xor_b32_e32 v3, 16, v6
	v_cmp_lt_i32_e64 s[40:41], v3, v7
	s_waitcnt lgkmcnt(0)
	v_max_f32_e32 v2, v8, v8
	v_max_f32_e32 v2, v4, v2
	v_cndmask_b32_e64 v3, v6, v3, s[40:41]
	v_lshlrev_b32_e32 v47, 2, v3
	ds_bpermute_b32 v3, v47, v2
	s_waitcnt vmcnt(3)
	v_mad_i64_i32 v[30:31], s[40:41], v45, s45, v[18:19]
	s_waitcnt vmcnt(2)
	v_mad_i64_i32 v[18:19], s[40:41], v46, s45, v[18:19]
	s_waitcnt lgkmcnt(0)
	v_max_f32_e32 v3, v3, v3
	v_max_f32_e32 v34, v2, v3
	v_sub_f32_e32 v2, v5, v34
	v_mul_f32_e32 v2, 0x3fb8aa3b, v2
	v_exp_f32_e32 v38, v2
	v_sub_f32_e32 v2, v39, v34
	v_mul_f32_e32 v2, 0x3fb8aa3b, v2
	v_exp_f32_e32 v39, v2
	global_load_dwordx4 v[6:9], v[30:31], off
	global_load_dwordx4 v[2:5], v[18:19], off
	v_sub_f32_e32 v31, v32, v34
	v_sub_f32_e32 v32, v33, v34
	v_mul_f32_e32 v31, 0x3fb8aa3b, v31
	v_mul_f32_e32 v32, 0x3fb8aa3b, v32
	v_exp_f32_e32 v31, v31
	v_exp_f32_e32 v32, v32
	v_cndmask_b32_e64 v18, 0, v38, s[4:5]
	v_cndmask_b32_e64 v19, 0, v39, s[34:35]
	;; [unrolled: 1-line block ×4, first 2 shown]
	v_sub_f32_e32 v31, v40, v34
	v_sub_f32_e32 v32, v41, v34
	v_mul_f32_e32 v31, 0x3fb8aa3b, v31
	v_mul_f32_e32 v32, 0x3fb8aa3b, v32
	v_exp_f32_e32 v31, v31
	v_exp_f32_e32 v32, v32
	v_add_f32_e32 v30, 0, v18
	v_add_f32_e32 v30, v30, v19
	;; [unrolled: 1-line block ×4, first 2 shown]
	v_cndmask_b32_e64 v30, 0, v31, s[24:25]
	v_cndmask_b32_e64 v31, 0, v32, s[26:27]
	v_sub_f32_e32 v32, v36, v34
	v_mul_f32_e32 v32, 0x3fb8aa3b, v32
	v_exp_f32_e32 v32, v32
	v_sub_f32_e32 v36, v37, v34
	v_add_f32_e32 v33, v33, v30
	v_mul_f32_e32 v36, 0x3fb8aa3b, v36
	v_exp_f32_e32 v37, v36
	v_add_f32_e32 v33, v33, v31
	v_cndmask_b32_e64 v36, 0, v32, s[20:21]
	v_add_f32_e32 v32, v33, v36
	v_sub_f32_e32 v33, v48, v34
	v_mul_f32_e32 v33, 0x3fb8aa3b, v33
	v_sub_f32_e32 v35, v35, v34
	v_exp_f32_e32 v33, v33
	v_mul_f32_e32 v35, 0x3fb8aa3b, v35
	v_sub_f32_e32 v24, v24, v34
	v_exp_f32_e32 v35, v35
	v_mul_f32_e32 v24, 0x3fb8aa3b, v24
	v_sub_f32_e32 v25, v25, v34
	v_exp_f32_e32 v24, v24
	v_mul_f32_e32 v25, 0x3fb8aa3b, v25
	v_sub_f32_e32 v22, v22, v34
	v_cndmask_b32_e64 v37, 0, v37, s[22:23]
	v_exp_f32_e32 v25, v25
	v_mul_f32_e32 v22, 0x3fb8aa3b, v22
	v_sub_f32_e32 v23, v23, v34
	v_add_f32_e32 v40, v32, v37
	v_cndmask_b32_e64 v32, 0, v33, s[16:17]
	v_exp_f32_e32 v22, v22
	v_mul_f32_e32 v23, 0x3fb8aa3b, v23
	v_sub_f32_e32 v20, v20, v34
	v_add_f32_e32 v40, v40, v32
	;; [unrolled: 5-line block ×3, first 2 shown]
	v_cndmask_b32_e64 v24, 0, v24, s[12:13]
	v_exp_f32_e32 v20, v20
	v_mul_f32_e32 v21, 0x3fb8aa3b, v21
	v_add_f32_e32 v35, v35, v24
	v_cndmask_b32_e64 v25, 0, v25, s[14:15]
	v_exp_f32_e32 v21, v21
	v_add_f32_e32 v35, v35, v25
	v_cndmask_b32_e64 v22, 0, v22, s[8:9]
	v_add_f32_e32 v35, v35, v22
	v_cndmask_b32_e64 v23, 0, v23, s[10:11]
	v_add_f32_e32 v35, v35, v23
	v_cndmask_b32_e32 v20, 0, v20, vcc
	v_add_f32_e32 v35, v35, v20
	v_cndmask_b32_e64 v21, 0, v21, s[6:7]
	v_add_f32_e32 v35, v35, v21
	ds_bpermute_b32 v40, v44, v35
	s_load_dword s9, s[0:1], 0x98
	v_cmp_gt_u32_e64 s[6:7], 16, v43
	s_waitcnt lgkmcnt(0)
	s_barrier
	v_add_f32_e32 v40, v35, v40
	ds_bpermute_b32 v41, v47, v40
	v_lshlrev_b32_e32 v35, 2, v28
	s_waitcnt lgkmcnt(0)
	s_and_saveexec_b64 s[4:5], s[6:7]
	s_cbranch_execz .LBB856_15
; %bb.14:
	v_add_f32_e32 v40, v40, v41
	v_lshl_or_b32 v41, v29, 6, v35
	ds_write2st64_b32 v41, v34, v40 offset1:1
.LBB856_15:
	s_or_b64 exec, exec, s[4:5]
	s_load_dword s8, s[0:1], 0x94
	s_waitcnt lgkmcnt(0)
	s_barrier
	ds_read2_b32 v[40:41], v35 offset1:16
	ds_read2_b32 v[44:45], v35 offset0:32 offset1:48
	ds_read2_b32 v[46:47], v35 offset0:64 offset1:80
	s_mul_i32 s9, s9, 9
	s_waitcnt lgkmcnt(2)
	v_max3_f32 v34, v40, s33, v41
	s_waitcnt lgkmcnt(1)
	v_max3_f32 v34, v34, v44, v45
	v_sub_f32_e32 v40, v40, v34
	v_mul_f32_e32 v40, 0x3fb8aa3b, v40
	v_exp_f32_e32 v43, v40
	v_sub_f32_e32 v40, v41, v34
	v_mul_f32_e32 v40, 0x3fb8aa3b, v40
	v_exp_f32_e32 v48, v40
	;; [unrolled: 3-line block ×3, first 2 shown]
	ds_read2_b32 v[40:41], v35 offset0:96 offset1:112
	v_sub_f32_e32 v35, v45, v34
	v_mul_f32_e32 v35, 0x3fb8aa3b, v35
	v_exp_f32_e32 v45, v35
	s_waitcnt lgkmcnt(1)
	v_fma_f32 v35, v43, v46, 0
	v_fmac_f32_e32 v35, v48, v47
	s_waitcnt lgkmcnt(0)
	v_fmac_f32_e32 v35, v44, v40
	v_fmac_f32_e32 v35, v45, v41
	v_add_f32_e32 v40, 0x358637bd, v35
	v_div_scale_f32 v41, s[4:5], v40, v40, 1.0
	v_rcp_f32_e32 v46, v41
	s_barrier
	v_fma_f32 v47, -v41, v46, 1.0
	v_fmac_f32_e32 v46, v47, v46
	v_div_scale_f32 v47, vcc, 1.0, v40, 1.0
	v_mul_f32_e32 v49, v47, v46
	v_fma_f32 v50, -v41, v49, v47
	v_fmac_f32_e32 v49, v50, v46
	v_fma_f32 v41, -v41, v49, v47
	v_div_fmas_f32 v41, v41, v46, v49
	v_cmp_eq_u32_e32 vcc, 1, v29
	v_div_fixup_f32 v40, v41, v40, 1.0
	s_nop 0
	v_cndmask_b32_e32 v41, v43, v48, vcc
	v_cmp_eq_u32_e32 vcc, 2, v29
	s_nop 1
	v_cndmask_b32_e32 v41, v41, v44, vcc
	v_cmp_eq_u32_e32 vcc, 3, v29
	s_nop 1
	v_cndmask_b32_e32 v41, v41, v45, vcc
	v_mul_f32_e32 v40, v41, v40
	v_pk_mul_f32 v[38:39], v[40:41], v[38:39] op_sel_hi:[0,1]
	v_pk_mul_f32 v[18:19], v[40:41], v[18:19] op_sel_hi:[0,1]
	v_cvt_f16_f32_e32 v41, v38
	v_cvt_f16_f32_e32 v39, v39
	;; [unrolled: 1-line block ×4, first 2 shown]
	v_cmp_gt_u32_e32 vcc, 9, v0
	v_pack_b32_f16 v39, v41, v39
	v_lshlrev_b32_e32 v41, 3, v42
	v_pack_b32_f16 v38, v18, v19
	v_pk_mul_f32 v[18:19], v[40:41], v[36:37] op_sel_hi:[0,1]
	v_pk_mul_f32 v[30:31], v[40:41], v[30:31] op_sel_hi:[0,1]
	v_cvt_f16_f32_e32 v30, v30
	v_cvt_f16_f32_e32 v31, v31
	;; [unrolled: 1-line block ×4, first 2 shown]
	v_lshlrev_b32_e32 v18, 11, v29
	v_or3_b32 v18, v18, v27, v41
	v_pack_b32_f16 v30, v30, v31
	v_pack_b32_f16 v31, v36, v19
	ds_write2st64_b64 v18, v[38:39], v[30:31] offset1:1
	v_pk_mul_f32 v[24:25], v[40:41], v[24:25] op_sel_hi:[0,1]
	v_pk_mul_f32 v[30:31], v[40:41], v[32:33] op_sel_hi:[0,1]
	;; [unrolled: 1-line block ×4, first 2 shown]
	v_cvt_f16_f32_e32 v19, v30
	v_cvt_f16_f32_e32 v29, v31
	v_cvt_f16_f32_e32 v24, v24
	v_cvt_f16_f32_e32 v25, v25
	v_cvt_f16_f32_e32 v22, v22
	v_cvt_f16_f32_e32 v23, v23
	v_cvt_f16_f32_e32 v30, v20
	v_cvt_f16_f32_e32 v31, v21
	v_pack_b32_f16 v20, v19, v29
	v_pack_b32_f16 v21, v24, v25
	;; [unrolled: 1-line block ×4, first 2 shown]
	ds_write2st64_b64 v18, v[20:21], v[22:23] offset0:2 offset1:3
	s_and_saveexec_b64 s[4:5], vcc
	s_cbranch_execz .LBB856_17
; %bb.16:
	s_mov_b32 s49, 0
	v_mov_b32_e32 v29, 0
	v_lshl_add_u64 v[20:21], s[48:49], 0, v[28:29]
	v_mov_b32_e32 v19, s9
	v_mad_u64_u32 v[20:21], s[10:11], s2, v19, v[20:21]
	s_mul_i32 s3, s3, s9
	v_mov_b32_e32 v28, s28
	s_load_dwordx4 s[12:15], s[0:1], 0x58
	v_add_u32_e32 v19, s3, v21
	v_mad_u64_u32 v[20:21], s[10:11], v20, s8, v[28:29]
	v_mov_b32_e32 v22, v21
	v_mad_u64_u32 v[22:23], s[10:11], v19, s8, v[22:23]
	v_mov_b32_e32 v21, v22
	v_lshlrev_b64 v[20:21], 2, v[20:21]
	s_waitcnt lgkmcnt(0)
	v_lshl_add_u64 v[22:23], s[14:15], 0, v[20:21]
	v_lshl_add_u64 v[20:21], s[12:13], 0, v[20:21]
	global_store_dword v[22:23], v34, off
	global_store_dword v[20:21], v35, off
.LBB856_17:
	s_or_b64 exec, exec, s[4:5]
	s_waitcnt vmcnt(3)
	v_cvt_pk_f32_fp8_e32 v[20:21], v14
	v_cvt_pk_f32_fp8_sdwa v[22:23], v14 src0_sel:WORD_1
	v_lshl_or_b32 v14, v42, 9, v27
	s_waitcnt lgkmcnt(0)
	s_barrier
	v_cvt_pk_f32_fp8_e32 v[24:25], v15
	v_cvt_pkrtz_f16_f32 v32, v20, v21
	v_cvt_pkrtz_f16_f32 v33, v22, v23
	v_cvt_pk_f32_fp8_sdwa v[28:29], v15 src0_sel:WORD_1
	ds_read_b128 v[20:23], v14
	v_cvt_pkrtz_f16_f32 v24, v24, v25
	v_cvt_pk_f32_fp8_e32 v[36:37], v16
	v_cvt_pkrtz_f16_f32 v25, v28, v29
	ds_read_b128 v[28:31], v14 offset:16
	v_cvt_pk_f32_fp8_sdwa v[38:39], v16 src0_sel:WORD_1
	s_waitcnt lgkmcnt(1)
	v_mfma_f32_16x16x16_f16 v[32:35], v[32:33], v[20:21], 0
	v_cvt_pkrtz_f16_f32 v36, v36, v37
	s_load_dword s4, s[42:43], 0x0
	v_cvt_pkrtz_f16_f32 v37, v38, v39
	v_cvt_pk_f32_fp8_e32 v[38:39], v17
	v_cvt_pk_f32_fp8_sdwa v[16:17], v17 src0_sel:WORD_1
	v_mfma_f32_16x16x16_f16 v[20:23], v[24:25], v[22:23], v[32:35]
	v_cmp_gt_u32_e32 vcc, 64, v0
	v_cvt_pkrtz_f16_f32 v24, v38, v39
	v_cvt_pkrtz_f16_f32 v25, v16, v17
	s_waitcnt lgkmcnt(0)
	v_mfma_f32_16x16x16_f16 v[20:23], v[36:37], v[28:29], v[20:23]
	s_waitcnt vmcnt(2)
	v_cvt_pk_f32_fp8_e32 v[16:17], v10
	v_cvt_pk_f32_fp8_e32 v[28:29], v11
	v_cvt_pk_f32_fp8_sdwa v[36:37], v12 src0_sel:WORD_1
	v_mfma_f32_16x16x16_f16 v[20:23], v[24:25], v[30:31], v[20:23]
	v_cvt_pk_f32_fp8_sdwa v[24:25], v10 src0_sel:WORD_1
	v_cvt_pkrtz_f16_f32 v10, v16, v17
	v_cvt_pk_f32_fp8_sdwa v[16:17], v11 src0_sel:WORD_1
	ds_read_b128 v[32:35], v14 offset:2064
	v_cvt_pkrtz_f16_f32 v11, v24, v25
	v_cvt_pkrtz_f16_f32 v24, v28, v29
	ds_read_b128 v[28:31], v14 offset:2048
	v_cvt_pkrtz_f16_f32 v25, v16, v17
	v_cvt_pk_f32_fp8_e32 v[16:17], v12
	s_waitcnt lgkmcnt(0)
	v_mfma_f32_16x16x16_f16 v[20:23], v[10:11], v[28:29], v[20:23]
	v_cvt_pkrtz_f16_f32 v10, v16, v17
	v_cvt_pkrtz_f16_f32 v11, v36, v37
	v_cvt_pk_f32_fp8_e32 v[16:17], v13
	v_mfma_f32_16x16x16_f16 v[20:23], v[24:25], v[30:31], v[20:23]
	v_cvt_pk_f32_fp8_sdwa v[24:25], v13 src0_sel:WORD_1
	ds_read_b128 v[28:31], v14 offset:4112
	v_cvt_pkrtz_f16_f32 v16, v16, v17
	v_mfma_f32_16x16x16_f16 v[10:13], v[10:11], v[32:33], v[20:23]
	v_cvt_pkrtz_f16_f32 v17, v24, v25
	s_waitcnt vmcnt(1)
	v_cvt_pk_f32_fp8_sdwa v[24:25], v7 src0_sel:WORD_1
	v_cvt_pk_f32_fp8_sdwa v[32:33], v8 src0_sel:WORD_1
	v_cvt_pk_f32_fp8_e32 v[20:21], v6
	v_mfma_f32_16x16x16_f16 v[10:13], v[16:17], v[34:35], v[10:13]
	v_cvt_pk_f32_fp8_sdwa v[16:17], v6 src0_sel:WORD_1
	v_cvt_pk_f32_fp8_e32 v[22:23], v7
	v_cvt_pkrtz_f16_f32 v6, v20, v21
	s_mov_b32 s3, 0
	v_cvt_pkrtz_f16_f32 v7, v16, v17
	v_cvt_pkrtz_f16_f32 v16, v22, v23
	ds_read_b128 v[20:23], v14 offset:4096
	v_cvt_pkrtz_f16_f32 v17, v24, v25
	v_cvt_pk_f32_fp8_e32 v[24:25], v8
	s_waitcnt lgkmcnt(0)
	v_mfma_f32_16x16x16_f16 v[10:13], v[6:7], v[20:21], v[10:13]
	v_cvt_pkrtz_f16_f32 v6, v24, v25
	v_cvt_pkrtz_f16_f32 v7, v32, v33
	v_cvt_pk_f32_fp8_e32 v[20:21], v9
	v_mfma_f32_16x16x16_f16 v[10:13], v[16:17], v[22:23], v[10:13]
	v_cvt_pk_f32_fp8_sdwa v[16:17], v9 src0_sel:WORD_1
	s_waitcnt vmcnt(0)
	v_cvt_pk_f32_fp8_sdwa v[24:25], v4 src0_sel:WORD_1
	v_cvt_pkrtz_f16_f32 v20, v20, v21
	v_mfma_f32_16x16x16_f16 v[6:9], v[6:7], v[28:29], v[10:13]
	v_cvt_pkrtz_f16_f32 v21, v16, v17
	v_cvt_pk_f32_fp8_e32 v[16:17], v3
	v_mov_b32_e32 v27, 0
	v_cvt_pk_f32_fp8_e32 v[10:11], v2
	v_cvt_pk_f32_fp8_sdwa v[12:13], v2 src0_sel:WORD_1
	v_mfma_f32_16x16x16_f16 v[6:9], v[20:21], v[30:31], v[6:9]
	v_cvt_pk_f32_fp8_sdwa v[20:21], v3 src0_sel:WORD_1
	v_cvt_pkrtz_f16_f32 v2, v10, v11
	v_cvt_pkrtz_f16_f32 v3, v12, v13
	ds_read_b128 v[10:13], v14 offset:6144
	v_cvt_pkrtz_f16_f32 v22, v16, v17
	v_cvt_pkrtz_f16_f32 v23, v20, v21
	v_cvt_pk_f32_fp8_e32 v[20:21], v4
	s_waitcnt lgkmcnt(0)
	v_mfma_f32_16x16x16_f16 v[6:9], v[2:3], v[10:11], v[6:9]
	ds_read_b128 v[14:17], v14 offset:6160
	v_cvt_pkrtz_f16_f32 v2, v20, v21
	v_cvt_pkrtz_f16_f32 v3, v24, v25
	v_cvt_pk_f32_fp8_e32 v[10:11], v5
	v_mfma_f32_16x16x16_f16 v[6:9], v[22:23], v[12:13], v[6:9]
	v_cvt_pk_f32_fp8_sdwa v[12:13], v5 src0_sel:WORD_1
	s_waitcnt lgkmcnt(0)
	v_cvt_pkrtz_f16_f32 v10, v10, v11
	v_mfma_f32_16x16x16_f16 v[2:5], v[2:3], v[14:15], v[6:9]
	v_cvt_pkrtz_f16_f32 v11, v12, v13
	s_barrier
	s_nop 0
	v_mfma_f32_16x16x16_f16 v[2:5], v[10:11], v[16:17], v[2:5]
	s_nop 6
	v_pk_mul_f32 v[4:5], v[4:5], s[4:5] op_sel_hi:[1,0]
	v_pk_mul_f32 v[2:3], v[2:3], s[4:5] op_sel_hi:[1,0]
	v_cvt_f16_f32_e32 v4, v4
	v_cvt_f16_f32_e32 v2, v2
	;; [unrolled: 1-line block ×4, first 2 shown]
	s_and_b64 s[4:5], vcc, s[30:31]
	v_pack_b32_f16 v2, v2, v3
	v_pack_b32_f16 v3, v4, v5
	ds_write_b64 v18, v[2:3]
	s_waitcnt lgkmcnt(0)
	s_barrier
	s_and_saveexec_b64 s[10:11], s[4:5]
	s_cbranch_execz .LBB856_20
; %bb.18:
	s_load_dwordx2 s[4:5], s[0:1], 0x68
	s_lshl_b32 s0, s8, 6
	s_mul_i32 s1, s9, s2
	s_mul_hi_u32 s9, s1, s0
	s_mul_i32 s8, s1, s0
	v_lshlrev_b32_e32 v0, 10, v0
	s_lshl_b64 s[8:9], s[8:9], 1
	v_and_b32_e32 v0, 0x1800, v0
	v_lshlrev_b32_e32 v2, 5, v42
	v_and_b32_e32 v1, 16, v1
	s_waitcnt lgkmcnt(0)
	s_add_u32 s1, s4, s8
	v_or3_b32 v2, v0, v2, v1
	s_addc_u32 s4, s5, s9
	s_lshl_b32 s2, s28, 6
	s_lshl_b64 s[2:3], s[2:3], 1
	ds_read_b128 v[4:7], v2 offset:128
	ds_read_b128 v[8:11], v2
	s_add_u32 s2, s1, s2
	s_addc_u32 s3, s4, s3
	v_add_u32_e32 v3, s48, v42
	v_lshl_add_u64 v[0:1], s[2:3], 0, v[26:27]
	v_mad_u64_u32 v[12:13], s[2:3], v3, s0, 0
	v_lshl_add_u64 v[12:13], v[12:13], 1, v[0:1]
	v_add_u32_e32 v3, 4, v3
	s_waitcnt lgkmcnt(0)
	global_store_dwordx4 v[12:13], v[8:11], off
	s_nop 1
	v_mad_u64_u32 v[8:9], s[2:3], v3, s0, 0
	v_lshl_add_u64 v[8:9], v[8:9], 1, v[0:1]
	global_store_dwordx4 v[8:9], v[4:7], off
	s_and_b64 exec, exec, s[6:7]
	s_cbranch_execz .LBB856_20
; %bb.19:
	ds_read_b128 v[2:5], v2 offset:256
	v_add3_u32 v6, s48, v42, 8
	v_mad_u64_u32 v[6:7], s[0:1], v6, s0, 0
	v_lshl_add_u64 v[0:1], v[6:7], 1, v[0:1]
	s_waitcnt lgkmcnt(0)
	global_store_dwordx4 v[0:1], v[2:5], off
.LBB856_20:
	s_endpgm
	.section	.rodata,"a",@progbits
	.p2align	6, 0x0
	.amdhsa_kernel _Z39paged_attention_ll4mi_QKV_mfma16_kernelIDF16_hLN4vllm18Fp8KVCacheDataTypeE1EhLi32ELi64ELi256ELb1ELi9EEvPKT_PKT0_S7_ifPKiS9_S9_iPKfiiiPfSC_PS2_PT2_iSB_SB_
		.amdhsa_group_segment_fixed_size 8192
		.amdhsa_private_segment_fixed_size 0
		.amdhsa_kernarg_size 400
		.amdhsa_user_sgpr_count 2
		.amdhsa_user_sgpr_dispatch_ptr 0
		.amdhsa_user_sgpr_queue_ptr 0
		.amdhsa_user_sgpr_kernarg_segment_ptr 1
		.amdhsa_user_sgpr_dispatch_id 0
		.amdhsa_user_sgpr_kernarg_preload_length 0
		.amdhsa_user_sgpr_kernarg_preload_offset 0
		.amdhsa_user_sgpr_private_segment_size 0
		.amdhsa_uses_dynamic_stack 0
		.amdhsa_enable_private_segment 0
		.amdhsa_system_sgpr_workgroup_id_x 1
		.amdhsa_system_sgpr_workgroup_id_y 1
		.amdhsa_system_sgpr_workgroup_id_z 1
		.amdhsa_system_sgpr_workgroup_info 0
		.amdhsa_system_vgpr_workitem_id 0
		.amdhsa_next_free_vgpr 71
		.amdhsa_next_free_sgpr 50
		.amdhsa_accum_offset 72
		.amdhsa_reserve_vcc 1
		.amdhsa_float_round_mode_32 0
		.amdhsa_float_round_mode_16_64 0
		.amdhsa_float_denorm_mode_32 3
		.amdhsa_float_denorm_mode_16_64 3
		.amdhsa_dx10_clamp 1
		.amdhsa_ieee_mode 1
		.amdhsa_fp16_overflow 0
		.amdhsa_tg_split 0
		.amdhsa_exception_fp_ieee_invalid_op 0
		.amdhsa_exception_fp_denorm_src 0
		.amdhsa_exception_fp_ieee_div_zero 0
		.amdhsa_exception_fp_ieee_overflow 0
		.amdhsa_exception_fp_ieee_underflow 0
		.amdhsa_exception_fp_ieee_inexact 0
		.amdhsa_exception_int_div_zero 0
	.end_amdhsa_kernel
	.section	.text._Z39paged_attention_ll4mi_QKV_mfma16_kernelIDF16_hLN4vllm18Fp8KVCacheDataTypeE1EhLi32ELi64ELi256ELb1ELi9EEvPKT_PKT0_S7_ifPKiS9_S9_iPKfiiiPfSC_PS2_PT2_iSB_SB_,"axG",@progbits,_Z39paged_attention_ll4mi_QKV_mfma16_kernelIDF16_hLN4vllm18Fp8KVCacheDataTypeE1EhLi32ELi64ELi256ELb1ELi9EEvPKT_PKT0_S7_ifPKiS9_S9_iPKfiiiPfSC_PS2_PT2_iSB_SB_,comdat
.Lfunc_end856:
	.size	_Z39paged_attention_ll4mi_QKV_mfma16_kernelIDF16_hLN4vllm18Fp8KVCacheDataTypeE1EhLi32ELi64ELi256ELb1ELi9EEvPKT_PKT0_S7_ifPKiS9_S9_iPKfiiiPfSC_PS2_PT2_iSB_SB_, .Lfunc_end856-_Z39paged_attention_ll4mi_QKV_mfma16_kernelIDF16_hLN4vllm18Fp8KVCacheDataTypeE1EhLi32ELi64ELi256ELb1ELi9EEvPKT_PKT0_S7_ifPKiS9_S9_iPKfiiiPfSC_PS2_PT2_iSB_SB_
                                        ; -- End function
	.section	.AMDGPU.csdata,"",@progbits
; Kernel info:
; codeLenInByte = 4972
; NumSgprs: 56
; NumVgprs: 71
; NumAgprs: 0
; TotalNumVgprs: 71
; ScratchSize: 0
; MemoryBound: 0
; FloatMode: 240
; IeeeMode: 1
; LDSByteSize: 8192 bytes/workgroup (compile time only)
; SGPRBlocks: 6
; VGPRBlocks: 8
; NumSGPRsForWavesPerEU: 56
; NumVGPRsForWavesPerEU: 71
; AccumOffset: 72
; Occupancy: 7
; WaveLimiterHint : 1
; COMPUTE_PGM_RSRC2:SCRATCH_EN: 0
; COMPUTE_PGM_RSRC2:USER_SGPR: 2
; COMPUTE_PGM_RSRC2:TRAP_HANDLER: 0
; COMPUTE_PGM_RSRC2:TGID_X_EN: 1
; COMPUTE_PGM_RSRC2:TGID_Y_EN: 1
; COMPUTE_PGM_RSRC2:TGID_Z_EN: 1
; COMPUTE_PGM_RSRC2:TIDIG_COMP_CNT: 0
; COMPUTE_PGM_RSRC3_GFX90A:ACCUM_OFFSET: 17
; COMPUTE_PGM_RSRC3_GFX90A:TG_SPLIT: 0
	.section	.text._Z39paged_attention_ll4mi_QKV_mfma16_kernelIDF16_hLN4vllm18Fp8KVCacheDataTypeE1EhLi32ELi64ELi256ELb1ELi10EEvPKT_PKT0_S7_ifPKiS9_S9_iPKfiiiPfSC_PS2_PT2_iSB_SB_,"axG",@progbits,_Z39paged_attention_ll4mi_QKV_mfma16_kernelIDF16_hLN4vllm18Fp8KVCacheDataTypeE1EhLi32ELi64ELi256ELb1ELi10EEvPKT_PKT0_S7_ifPKiS9_S9_iPKfiiiPfSC_PS2_PT2_iSB_SB_,comdat
	.protected	_Z39paged_attention_ll4mi_QKV_mfma16_kernelIDF16_hLN4vllm18Fp8KVCacheDataTypeE1EhLi32ELi64ELi256ELb1ELi10EEvPKT_PKT0_S7_ifPKiS9_S9_iPKfiiiPfSC_PS2_PT2_iSB_SB_ ; -- Begin function _Z39paged_attention_ll4mi_QKV_mfma16_kernelIDF16_hLN4vllm18Fp8KVCacheDataTypeE1EhLi32ELi64ELi256ELb1ELi10EEvPKT_PKT0_S7_ifPKiS9_S9_iPKfiiiPfSC_PS2_PT2_iSB_SB_
	.globl	_Z39paged_attention_ll4mi_QKV_mfma16_kernelIDF16_hLN4vllm18Fp8KVCacheDataTypeE1EhLi32ELi64ELi256ELb1ELi10EEvPKT_PKT0_S7_ifPKiS9_S9_iPKfiiiPfSC_PS2_PT2_iSB_SB_
	.p2align	8
	.type	_Z39paged_attention_ll4mi_QKV_mfma16_kernelIDF16_hLN4vllm18Fp8KVCacheDataTypeE1EhLi32ELi64ELi256ELb1ELi10EEvPKT_PKT0_S7_ifPKiS9_S9_iPKfiiiPfSC_PS2_PT2_iSB_SB_,@function
_Z39paged_attention_ll4mi_QKV_mfma16_kernelIDF16_hLN4vllm18Fp8KVCacheDataTypeE1EhLi32ELi64ELi256ELb1ELi10EEvPKT_PKT0_S7_ifPKiS9_S9_iPKfiiiPfSC_PS2_PT2_iSB_SB_: ; @_Z39paged_attention_ll4mi_QKV_mfma16_kernelIDF16_hLN4vllm18Fp8KVCacheDataTypeE1EhLi32ELi64ELi256ELb1ELi10EEvPKT_PKT0_S7_ifPKiS9_S9_iPKfiiiPfSC_PS2_PT2_iSB_SB_
; %bb.0:
	s_load_dwordx2 s[6:7], s[0:1], 0x30
	s_mov_b32 s28, s3
	s_mov_b64 s[8:9], 0
	s_waitcnt lgkmcnt(0)
	s_cmp_lg_u64 s[6:7], 0
	s_cselect_b64 s[10:11], -1, 0
	s_and_b64 vcc, exec, s[10:11]
	s_cbranch_vccz .LBB857_7
; %bb.1:
	s_add_i32 s12, s2, 1
	s_mov_b32 s13, 0
	s_lshl_b64 s[14:15], s[12:13], 2
	s_add_u32 s14, s6, s14
	s_mov_b32 s3, s13
	s_addc_u32 s15, s7, s15
	s_lshl_b64 s[12:13], s[2:3], 2
	s_add_u32 s12, s6, s12
	s_addc_u32 s13, s7, s13
	s_load_dword s5, s[14:15], 0x0
	s_load_dword s16, s[12:13], 0x0
	s_waitcnt lgkmcnt(0)
	s_sub_i32 s5, s5, s16
	s_cmp_eq_u32 s5, 1
	s_cselect_b64 s[12:13], -1, 0
	s_andn2_b64 vcc, exec, s[8:9]
	s_cbranch_vccnz .LBB857_3
.LBB857_2:
	s_mov_b32 s3, 0
	s_mov_b64 s[12:13], -1
.LBB857_3:
	s_andn2_b64 vcc, exec, s[12:13]
	s_cbranch_vccnz .LBB857_20
; %bb.4:
	s_load_dwordx2 s[8:9], s[0:1], 0x28
	s_lshl_b64 s[12:13], s[2:3], 2
	s_waitcnt lgkmcnt(0)
	s_add_u32 s8, s8, s12
	s_addc_u32 s9, s9, s13
	s_load_dword s29, s[8:9], 0x0
	s_lshl_b32 s16, s28, 8
	s_waitcnt lgkmcnt(0)
	s_cmp_ge_i32 s16, s29
	s_cbranch_scc1 .LBB857_20
; %bb.5:
	s_load_dwordx2 s[8:9], s[0:1], 0x20
	s_load_dword s5, s[0:1], 0x38
	s_add_i32 s14, s29, 31
	s_ashr_i32 s15, s14, 31
	v_and_b32_e32 v1, 0xcf, v0
	s_lshr_b32 s15, s15, 27
	v_add_u32_e32 v1, s16, v1
	s_add_i32 s14, s14, s15
	v_ashrrev_i32_e32 v2, 31, v1
	s_ashr_i32 s17, s14, 5
	v_lshrrev_b32_e32 v4, 27, v2
	s_add_i32 s17, s17, -1
	s_waitcnt lgkmcnt(0)
	s_mul_i32 s14, s2, s5
	s_mov_b32 s15, 0
	v_add_u32_e32 v2, v1, v4
	s_lshl_b64 s[14:15], s[14:15], 2
	v_ashrrev_i32_e32 v2, 5, v2
	v_mov_b32_e32 v5, s17
	v_cmp_gt_i32_e32 vcc, s29, v1
	s_add_u32 s8, s8, s14
	s_addc_u32 s9, s9, s15
	v_cndmask_b32_e32 v2, v5, v2, vcc
	v_ashrrev_i32_e32 v3, 31, v2
	v_lshl_add_u64 v[6:7], v[2:3], 2, s[8:9]
	v_or_b32_e32 v2, 16, v1
	v_add_u32_e32 v3, v2, v4
	v_ashrrev_i32_e32 v3, 5, v3
	v_cmp_gt_i32_e32 vcc, s29, v2
	s_load_dwordx2 s[14:15], s[0:1], 0x8
	s_nop 0
	v_cndmask_b32_e32 v2, v5, v3, vcc
	v_ashrrev_i32_e32 v3, 31, v2
	v_lshl_add_u64 v[8:9], v[2:3], 2, s[8:9]
	v_or_b32_e32 v2, 32, v1
	v_add_u32_e32 v3, v2, v4
	v_ashrrev_i32_e32 v3, 5, v3
	v_cmp_gt_i32_e32 vcc, s29, v2
	v_or_b32_e32 v1, 48, v1
	s_nop 0
	v_cndmask_b32_e32 v2, v5, v3, vcc
	v_ashrrev_i32_e32 v3, 31, v2
	v_lshl_add_u64 v[10:11], v[2:3], 2, s[8:9]
	v_add_u32_e32 v2, v1, v4
	v_ashrrev_i32_e32 v2, 5, v2
	v_cmp_gt_i32_e32 vcc, s29, v1
	s_nop 1
	v_cndmask_b32_e32 v2, v5, v2, vcc
	v_ashrrev_i32_e32 v3, 31, v2
	v_lshl_add_u64 v[12:13], v[2:3], 2, s[8:9]
	global_load_dword v5, v[6:7], off
	global_load_dword v4, v[8:9], off
	;; [unrolled: 1-line block ×4, first 2 shown]
	s_andn2_b64 vcc, exec, s[10:11]
	s_cbranch_vccnz .LBB857_8
; %bb.6:
	s_add_u32 s6, s6, s12
	s_addc_u32 s7, s7, s13
	s_load_dword s5, s[6:7], 0x0
	s_branch .LBB857_9
.LBB857_7:
	s_mov_b64 s[12:13], 0
	s_branch .LBB857_2
.LBB857_8:
	s_mov_b32 s5, s2
.LBB857_9:
	s_load_dwordx2 s[10:11], s[0:1], 0x10
	s_load_dwordx4 s[44:47], s[0:1], 0x48
	v_lshrrev_b32_e32 v29, 6, v0
	v_bfe_u32 v42, v0, 4, 2
	v_lshl_or_b32 v6, v29, 2, v42
	v_and_b32_e32 v28, 15, v0
	v_lshlrev_b32_e32 v1, 3, v28
	v_cmp_gt_u32_e32 vcc, 10, v6
	v_cmp_gt_u32_e64 s[30:31], 8, v28
	s_mul_i32 s48, s4, 10
	s_and_b64 s[12:13], s[30:31], vcc
	v_lshlrev_b32_e32 v26, 1, v1
	v_lshlrev_b32_e32 v1, 4, v0
	s_and_saveexec_b64 s[6:7], s[12:13]
	s_cbranch_execz .LBB857_11
; %bb.10:
	s_load_dwordx2 s[12:13], s[0:1], 0x0
	s_waitcnt lgkmcnt(0)
	s_ashr_i32 s18, s44, 31
	s_mul_hi_u32 s19, s5, s44
	s_mul_i32 s18, s5, s18
	s_add_i32 s19, s19, s18
	s_mul_i32 s18, s5, s44
	s_lshl_b64 s[18:19], s[18:19], 1
	s_add_u32 s12, s12, s18
	v_add_lshl_u32 v8, v6, s48, 6
	s_addc_u32 s13, s13, s19
	v_ashrrev_i32_e32 v9, 31, v8
	v_lshl_add_u64 v[8:9], v[8:9], 1, s[12:13]
	v_mov_b32_e32 v27, 0
	v_lshl_add_u64 v[8:9], v[8:9], 0, v[26:27]
	global_load_dwordx4 v[8:11], v[8:9], off
	v_lshlrev_b32_e32 v12, 8, v28
	v_lshlrev_b32_e32 v6, 5, v6
	v_and_b32_e32 v7, 16, v1
	v_and_b32_e32 v12, 0xe00, v12
	v_or3_b32 v6, v12, v6, v7
	s_waitcnt vmcnt(0)
	ds_write_b128 v6, v[8:11]
.LBB857_11:
	s_or_b64 exec, exec, s[6:7]
	s_waitcnt lgkmcnt(0)
	s_mul_i32 s12, s4, s46
	s_add_u32 s4, s14, s12
	s_addc_u32 s5, s15, 0
	v_mov_b32_e32 v31, 0
	v_mov_b64_e32 v[6:7], s[4:5]
	v_lshlrev_b32_e32 v10, 4, v28
	v_and_b32_e32 v27, 48, v0
	s_waitcnt vmcnt(3)
	v_mad_i64_i32 v[8:9], s[4:5], v5, s45, v[6:7]
	v_mov_b32_e32 v11, v31
	s_waitcnt vmcnt(2)
	v_mad_i64_i32 v[4:5], s[4:5], v4, s45, v[6:7]
	v_or_b32_e32 v12, 0x100, v10
	v_mov_b32_e32 v13, v31
	v_lshlrev_b32_e32 v30, 5, v27
	v_lshl_add_u64 v[8:9], v[8:9], 0, v[10:11]
	v_lshl_add_u64 v[4:5], v[4:5], 0, v[12:13]
	;; [unrolled: 1-line block ×4, first 2 shown]
	s_barrier
	global_load_dwordx4 v[22:25], v[8:9], off
	global_load_dwordx4 v[18:21], v[4:5], off
	s_waitcnt vmcnt(3)
	v_mad_i64_i32 v[4:5], s[4:5], v3, s45, v[6:7]
	v_lshl_add_u64 v[4:5], v[4:5], 0, v[10:11]
	s_waitcnt vmcnt(2)
	v_mad_i64_i32 v[2:3], s[4:5], v2, s45, v[6:7]
	v_lshl_add_u64 v[4:5], v[4:5], 0, v[30:31]
	v_lshl_add_u64 v[2:3], v[2:3], 0, v[12:13]
	;; [unrolled: 1-line block ×3, first 2 shown]
	global_load_dwordx4 v[14:17], v[4:5], off
	global_load_dwordx4 v[6:9], v[2:3], off
	v_add_u32_e32 v2, -10, v28
	v_cmp_gt_u32_e32 vcc, 10, v28
	v_and_b32_e32 v43, 63, v0
	v_mov_b32_e32 v44, 0
	v_cndmask_b32_e32 v2, v2, v28, vcc
	v_lshlrev_b32_e32 v2, 5, v2
	v_lshl_add_u32 v2, v42, 9, v2
	ds_read_b128 v[10:13], v2
	ds_read_b128 v[2:5], v2 offset:16
	s_and_saveexec_b64 s[4:5], vcc
	s_cbranch_execz .LBB857_13
; %bb.12:
	s_load_dwordx2 s[6:7], s[0:1], 0x40
	v_add_u32_e32 v32, s48, v28
	v_ashrrev_i32_e32 v33, 31, v32
	s_waitcnt lgkmcnt(0)
	v_lshl_add_u64 v[32:33], v[32:33], 2, s[6:7]
	global_load_dword v44, v[32:33], off
.LBB857_13:
	s_or_b64 exec, exec, s[4:5]
	s_ashr_i32 s4, s16, 31
	v_or_b32_e32 v45, s16, v27
	s_lshr_b32 s13, s4, 27
	v_add_u32_e32 v27, s13, v45
	v_ashrrev_i32_e32 v27, 5, v27
	s_waitcnt vmcnt(3)
	v_cvt_pk_f32_fp8_e32 v[32:33], v22
	v_cvt_pk_f32_fp8_sdwa v[34:35], v22 src0_sel:WORD_1
	s_waitcnt vmcnt(2)
	v_cvt_pk_f32_fp8_e32 v[56:57], v20
	v_cvt_pk_f32_fp8_sdwa v[58:59], v20 src0_sel:WORD_1
	v_mov_b32_e32 v20, s17
	v_cmp_gt_i32_e32 vcc, s29, v45
	v_cvt_pk_f32_fp8_e32 v[48:49], v18
	v_cvt_pk_f32_fp8_sdwa v[50:51], v18 src0_sel:WORD_1
	v_cndmask_b32_e32 v18, v20, v27, vcc
	v_cvt_pk_f32_fp8_e32 v[52:53], v19
	v_cvt_pk_f32_fp8_sdwa v[54:55], v19 src0_sel:WORD_1
	v_ashrrev_i32_e32 v19, 31, v18
	v_lshl_add_u64 v[18:19], v[18:19], 2, s[8:9]
	v_cvt_pk_f32_fp8_e32 v[36:37], v23
	v_cvt_pk_f32_fp8_sdwa v[22:23], v23 src0_sel:WORD_1
	global_load_dword v70, v[18:19], off
	v_cvt_pkrtz_f16_f32 v18, v32, v33
	v_cvt_pkrtz_f16_f32 v19, v34, v35
	v_cvt_pk_f32_fp8_e32 v[60:61], v21
	v_cvt_pk_f32_fp8_sdwa v[62:63], v21 src0_sel:WORD_1
	v_or_b32_e32 v21, 64, v45
	v_or_b32_e32 v32, 0x80, v45
	;; [unrolled: 1-line block ×3, first 2 shown]
	v_cmp_gt_i32_e32 vcc, s29, v21
	v_add_u32_e32 v21, s13, v21
	v_cmp_gt_i32_e64 s[4:5], s29, v32
	v_add_u32_e32 v32, s13, v32
	v_cmp_gt_i32_e64 s[6:7], s29, v33
	v_add_u32_e32 v33, s13, v33
	v_cvt_pk_f32_fp8_e32 v[38:39], v24
	v_cvt_pk_f32_fp8_sdwa v[40:41], v24 src0_sel:WORD_1
	v_ashrrev_i32_e32 v21, 5, v21
	v_ashrrev_i32_e32 v34, 5, v32
	;; [unrolled: 1-line block ×3, first 2 shown]
	v_cvt_pkrtz_f16_f32 v32, v36, v37
	v_cvt_pkrtz_f16_f32 v33, v22, v23
	v_cndmask_b32_e32 v36, v20, v21, vcc
	v_cndmask_b32_e64 v64, v20, v34, s[4:5]
	v_cndmask_b32_e64 v66, v20, v35, s[6:7]
	s_waitcnt lgkmcnt(1)
	v_mfma_f32_16x16x16_f16 v[18:21], v[18:19], v[10:11], 0
	v_cvt_pk_f32_fp8_e32 v[46:47], v25
	v_cvt_pkrtz_f16_f32 v22, v48, v49
	v_cvt_pkrtz_f16_f32 v23, v50, v51
	v_cvt_pk_f32_fp8_sdwa v[24:25], v25 src0_sel:WORD_1
	v_cvt_pkrtz_f16_f32 v38, v38, v39
	v_cvt_pkrtz_f16_f32 v39, v40, v41
	v_mfma_f32_16x16x16_f16 v[32:35], v[32:33], v[12:13], v[18:21]
	s_add_u32 s10, s10, s12
	v_and_b32_e32 v30, 16, v0
	v_lshlrev_b32_e32 v27, 5, v28
	s_addc_u32 s11, s11, 0
	v_cvt_pkrtz_f16_f32 v68, v46, v47
	v_cvt_pkrtz_f16_f32 v46, v52, v53
	;; [unrolled: 1-line block ×3, first 2 shown]
	s_load_dword s14, s[0:1], 0x1c
	s_load_dwordx4 s[40:43], s[0:1], 0x80
	v_lshl_add_u64 v[40:41], s[10:11], 0, v[30:31]
	v_lshl_or_b32 v30, v29, 9, v27
	v_cvt_pkrtz_f16_f32 v69, v24, v25
	v_mfma_f32_16x16x16_f16 v[22:25], v[22:23], v[10:11], 0
	v_lshl_add_u64 v[18:19], v[40:41], 0, v[30:31]
	v_ashrrev_i32_e32 v37, 31, v36
	v_ashrrev_i32_e32 v65, 31, v64
	s_waitcnt lgkmcnt(0)
	v_mfma_f32_16x16x16_f16 v[30:33], v[38:39], v[2:3], v[32:35]
	v_ashrrev_i32_e32 v67, 31, v66
	v_cvt_pkrtz_f16_f32 v48, v56, v57
	v_cvt_pkrtz_f16_f32 v49, v58, v59
	v_mfma_f32_16x16x16_f16 v[20:23], v[46:47], v[12:13], v[22:25]
	v_lshl_add_u64 v[34:35], v[64:65], 2, s[8:9]
	s_load_dword s4, s[40:41], 0x0
	v_cvt_pkrtz_f16_f32 v50, v60, v61
	v_lshl_add_u64 v[24:25], v[36:37], 2, s[8:9]
	v_lshl_add_u64 v[36:37], v[66:67], 2, s[8:9]
	global_load_dword v47, v[24:25], off
	global_load_dword v45, v[34:35], off
	;; [unrolled: 1-line block ×3, first 2 shown]
	v_mfma_f32_16x16x16_f16 v[34:37], v[68:69], v[4:5], v[30:33]
	s_waitcnt vmcnt(5)
	v_cvt_pk_f32_fp8_e32 v[24:25], v14
	v_cvt_pkrtz_f16_f32 v51, v62, v63
	v_cvt_pk_f32_fp8_e32 v[38:39], v15
	v_cvt_pk_f32_fp8_sdwa v[32:33], v14 src0_sel:WORD_1
	v_mfma_f32_16x16x16_f16 v[20:23], v[48:49], v[2:3], v[20:23]
	v_cvt_pkrtz_f16_f32 v24, v24, v25
	v_cvt_pk_f32_fp8_sdwa v[14:15], v15 src0_sel:WORD_1
	v_cvt_pkrtz_f16_f32 v25, v32, v33
	v_mov_b32_e32 v40, s14
	v_mfma_f32_16x16x16_f16 v[20:23], v[50:51], v[4:5], v[20:23]
	v_cvt_pkrtz_f16_f32 v32, v38, v39
	v_cvt_pk_f32_fp8_e32 v[50:51], v16
	v_cvt_pk_f32_fp8_sdwa v[52:53], v16 src0_sel:WORD_1
	v_cvt_pkrtz_f16_f32 v33, v14, v15
	s_waitcnt lgkmcnt(0)
	v_mul_f32_e32 v48, s4, v40
	v_mfma_f32_16x16x16_f16 v[38:41], v[24:25], v[10:11], 0
	v_cvt_pkrtz_f16_f32 v24, v50, v51
	v_cvt_pkrtz_f16_f32 v25, v52, v53
	v_cvt_pk_f32_fp8_e32 v[50:51], v17
	v_cvt_pk_f32_fp8_sdwa v[52:53], v17 src0_sel:WORD_1
	v_mfma_f32_16x16x16_f16 v[14:17], v[32:33], v[12:13], v[38:41]
	v_pk_mul_f32 v[32:33], v[48:49], v[36:37] op_sel_hi:[0,1]
	v_cvt_pkrtz_f16_f32 v36, v50, v51
	v_cvt_pkrtz_f16_f32 v37, v52, v53
	v_mfma_f32_16x16x16_f16 v[14:17], v[24:25], v[2:3], v[14:17]
	v_pk_mul_f32 v[38:39], v[48:49], v[34:35] op_sel_hi:[0,1]
	s_waitcnt vmcnt(4)
	v_cvt_pk_f32_fp8_e32 v[24:25], v6
	v_cvt_pk_f32_fp8_sdwa v[34:35], v6 src0_sel:WORD_1
	v_mfma_f32_16x16x16_f16 v[14:17], v[36:37], v[4:5], v[14:17]
	v_cvt_pk_f32_fp8_e32 v[36:37], v7
	v_cvt_pkrtz_f16_f32 v24, v24, v25
	v_cvt_pkrtz_f16_f32 v25, v34, v35
	v_cvt_pk_f32_fp8_sdwa v[6:7], v7 src0_sel:WORD_1
	v_cvt_pkrtz_f16_f32 v40, v36, v37
	v_cvt_pk_f32_fp8_e32 v[50:51], v8
	v_cvt_pk_f32_fp8_sdwa v[52:53], v8 src0_sel:WORD_1
	v_cvt_pkrtz_f16_f32 v41, v6, v7
	v_mfma_f32_16x16x16_f16 v[34:37], v[24:25], v[10:11], 0
	v_cvt_pkrtz_f16_f32 v10, v50, v51
	v_cvt_pkrtz_f16_f32 v11, v52, v53
	v_cvt_pk_f32_fp8_e32 v[24:25], v9
	v_cvt_pk_f32_fp8_sdwa v[50:51], v9 src0_sel:WORD_1
	v_mfma_f32_16x16x16_f16 v[6:9], v[40:41], v[12:13], v[34:37]
	v_pk_mul_f32 v[40:41], v[48:49], v[20:21] op_sel_hi:[0,1]
	v_cvt_pkrtz_f16_f32 v12, v24, v25
	v_cvt_pkrtz_f16_f32 v13, v50, v51
	v_mfma_f32_16x16x16_f16 v[6:9], v[10:11], v[2:3], v[6:9]
	v_pk_mul_f32 v[36:37], v[48:49], v[22:23] op_sel_hi:[0,1]
	v_pk_mul_f32 v[24:25], v[48:49], v[16:17] op_sel_hi:[0,1]
	;; [unrolled: 1-line block ×3, first 2 shown]
	v_mfma_f32_16x16x16_f16 v[2:5], v[12:13], v[4:5], v[6:9]
	s_waitcnt vmcnt(3)
	v_mad_i64_i32 v[30:31], s[4:5], v70, s45, v[18:19]
	s_mov_b32 s33, 0xff7fffff
	s_nop 3
	v_pk_mul_f32 v[22:23], v[48:49], v[2:3] op_sel_hi:[0,1]
	v_and_b32_e32 v2, 0xc0, v0
	v_add_u32_e32 v2, s16, v2
	v_lshl_or_b32 v2, v42, 2, v2
	v_or_b32_e32 v3, 1, v2
	v_pk_mul_f32 v[20:21], v[48:49], v[4:5] op_sel_hi:[0,1]
	v_subrev_u32_e32 v4, s29, v3
	v_add_u32_e32 v6, 1, v4
	v_add_u32_e32 v7, 2, v4
	;; [unrolled: 1-line block ×3, first 2 shown]
	v_cvt_f32_i32_e32 v6, v6
	v_cvt_f32_i32_e32 v7, v7
	v_cvt_f32_i32_e32 v8, v8
	v_add_u32_e32 v9, 19, v4
	v_fmac_f32_e32 v39, v44, v6
	v_fma_f32 v32, v44, v7, v32
	v_fmac_f32_e32 v33, v44, v8
	v_add_u32_e32 v6, 16, v4
	v_add_u32_e32 v7, 17, v4
	;; [unrolled: 1-line block ×3, first 2 shown]
	v_cvt_f32_i32_e32 v6, v6
	v_cvt_f32_i32_e32 v7, v7
	;; [unrolled: 1-line block ×4, first 2 shown]
	v_fma_f32 v40, v44, v6, v40
	v_fmac_f32_e32 v41, v44, v7
	v_fma_f32 v36, v44, v8, v36
	v_add_u32_e32 v6, 32, v4
	v_add_u32_e32 v7, 33, v4
	;; [unrolled: 1-line block ×3, first 2 shown]
	v_cvt_f32_i32_e32 v6, v6
	v_cvt_f32_i32_e32 v7, v7
	;; [unrolled: 1-line block ×4, first 2 shown]
	v_fmac_f32_e32 v37, v44, v9
	v_add_u32_e32 v9, 35, v4
	v_fma_f32 v48, v44, v6, v34
	v_fmac_f32_e32 v35, v44, v7
	v_fma_f32 v24, v44, v8, v24
	v_add_u32_e32 v6, 48, v4
	v_add_u32_e32 v7, 49, v4
	;; [unrolled: 1-line block ×4, first 2 shown]
	v_cvt_f32_i32_e32 v4, v4
	v_cvt_f32_i32_e32 v6, v6
	;; [unrolled: 1-line block ×3, first 2 shown]
	v_fma_f32 v5, v44, v5, v38
	v_fmac_f32_e32 v21, v44, v4
	v_mov_b32_e32 v4, 0xff7fffff
	v_cmp_gt_i32_e64 s[4:5], s29, v2
	v_cmp_gt_i32_e64 s[34:35], s29, v3
	v_fma_f32 v22, v44, v6, v22
	v_cndmask_b32_e64 v6, v4, v5, s[4:5]
	v_cndmask_b32_e64 v3, v4, v39, s[34:35]
	v_fmac_f32_e32 v23, v44, v7
	v_max3_f32 v3, v6, s33, v3
	v_or_b32_e32 v6, 2, v2
	v_or_b32_e32 v7, 3, v2
	v_cmp_gt_i32_e64 s[36:37], s29, v6
	v_cmp_gt_i32_e64 s[38:39], s29, v7
	v_cvt_f32_i32_e32 v9, v9
	v_cndmask_b32_e64 v6, v4, v32, s[36:37]
	v_cndmask_b32_e64 v7, v4, v33, s[38:39]
	v_max3_f32 v3, v3, v6, v7
	v_or_b32_e32 v6, 16, v2
	v_or_b32_e32 v7, 17, v2
	v_cmp_gt_i32_e64 s[24:25], s29, v6
	v_cmp_gt_i32_e64 s[26:27], s29, v7
	v_fmac_f32_e32 v25, v44, v9
	v_cndmask_b32_e64 v6, v4, v40, s[24:25]
	v_cndmask_b32_e64 v7, v4, v41, s[26:27]
	v_max3_f32 v3, v3, v6, v7
	v_or_b32_e32 v6, 18, v2
	v_or_b32_e32 v7, 19, v2
	v_cmp_gt_i32_e64 s[20:21], s29, v6
	v_cmp_gt_i32_e64 s[22:23], s29, v7
	v_cvt_f32_i32_e32 v8, v8
	v_cndmask_b32_e64 v6, v4, v36, s[20:21]
	v_cndmask_b32_e64 v7, v4, v37, s[22:23]
	v_max3_f32 v3, v3, v6, v7
	v_or_b32_e32 v6, 32, v2
	v_or_b32_e32 v7, 33, v2
	v_cmp_gt_i32_e64 s[16:17], s29, v6
	v_cmp_gt_i32_e64 s[18:19], s29, v7
	v_fma_f32 v20, v44, v8, v20
	v_cndmask_b32_e64 v6, v4, v48, s[16:17]
	v_cndmask_b32_e64 v7, v4, v35, s[18:19]
	v_max3_f32 v3, v3, v6, v7
	v_or_b32_e32 v6, 34, v2
	v_or_b32_e32 v7, 35, v2
	v_cmp_gt_i32_e64 s[12:13], s29, v6
	v_cmp_gt_i32_e64 s[14:15], s29, v7
	s_nop 0
	v_cndmask_b32_e64 v6, v4, v24, s[12:13]
	v_cndmask_b32_e64 v7, v4, v25, s[14:15]
	v_max3_f32 v3, v3, v6, v7
	v_or_b32_e32 v6, 48, v2
	v_or_b32_e32 v7, 49, v2
	v_cmp_gt_i32_e64 s[8:9], s29, v6
	v_cmp_gt_i32_e64 s[10:11], s29, v7
	s_nop 0
	v_cndmask_b32_e64 v6, v4, v22, s[8:9]
	v_cndmask_b32_e64 v7, v4, v23, s[10:11]
	v_max3_f32 v3, v3, v6, v7
	v_or_b32_e32 v6, 50, v2
	v_or_b32_e32 v2, 51, v2
	v_cmp_gt_i32_e32 vcc, s29, v6
	v_cmp_gt_i32_e64 s[6:7], s29, v2
	s_nop 0
	v_cndmask_b32_e32 v6, v4, v20, vcc
	v_cndmask_b32_e64 v2, v4, v21, s[6:7]
	v_max3_f32 v4, v3, v6, v2
	v_mbcnt_lo_u32_b32 v2, -1, 0
	v_mbcnt_hi_u32_b32 v6, -1, v2
	v_and_b32_e32 v2, 64, v6
	v_add_u32_e32 v7, 64, v2
	v_xor_b32_e32 v2, 32, v6
	v_cmp_lt_i32_e64 s[40:41], v2, v7
	s_nop 1
	v_cndmask_b32_e64 v2, v6, v2, s[40:41]
	v_lshlrev_b32_e32 v44, 2, v2
	ds_bpermute_b32 v8, v44, v4
	s_waitcnt vmcnt(2)
	v_mad_i64_i32 v[2:3], s[40:41], v47, s45, v[18:19]
	global_load_dwordx4 v[14:17], v[30:31], off
	global_load_dwordx4 v[10:13], v[2:3], off
	v_xor_b32_e32 v3, 16, v6
	v_cmp_lt_i32_e64 s[40:41], v3, v7
	s_waitcnt lgkmcnt(0)
	v_max_f32_e32 v2, v8, v8
	v_max_f32_e32 v2, v4, v2
	v_cndmask_b32_e64 v3, v6, v3, s[40:41]
	v_lshlrev_b32_e32 v47, 2, v3
	ds_bpermute_b32 v3, v47, v2
	s_waitcnt vmcnt(3)
	v_mad_i64_i32 v[30:31], s[40:41], v45, s45, v[18:19]
	s_waitcnt vmcnt(2)
	v_mad_i64_i32 v[18:19], s[40:41], v46, s45, v[18:19]
	s_waitcnt lgkmcnt(0)
	v_max_f32_e32 v3, v3, v3
	v_max_f32_e32 v34, v2, v3
	v_sub_f32_e32 v2, v5, v34
	v_mul_f32_e32 v2, 0x3fb8aa3b, v2
	v_exp_f32_e32 v38, v2
	v_sub_f32_e32 v2, v39, v34
	v_mul_f32_e32 v2, 0x3fb8aa3b, v2
	v_exp_f32_e32 v39, v2
	global_load_dwordx4 v[6:9], v[30:31], off
	global_load_dwordx4 v[2:5], v[18:19], off
	v_sub_f32_e32 v31, v32, v34
	v_sub_f32_e32 v32, v33, v34
	v_mul_f32_e32 v31, 0x3fb8aa3b, v31
	v_mul_f32_e32 v32, 0x3fb8aa3b, v32
	v_exp_f32_e32 v31, v31
	v_exp_f32_e32 v32, v32
	v_cndmask_b32_e64 v18, 0, v38, s[4:5]
	v_cndmask_b32_e64 v19, 0, v39, s[34:35]
	;; [unrolled: 1-line block ×4, first 2 shown]
	v_sub_f32_e32 v31, v40, v34
	v_sub_f32_e32 v32, v41, v34
	v_mul_f32_e32 v31, 0x3fb8aa3b, v31
	v_mul_f32_e32 v32, 0x3fb8aa3b, v32
	v_exp_f32_e32 v31, v31
	v_exp_f32_e32 v32, v32
	v_add_f32_e32 v30, 0, v18
	v_add_f32_e32 v30, v30, v19
	;; [unrolled: 1-line block ×4, first 2 shown]
	v_cndmask_b32_e64 v30, 0, v31, s[24:25]
	v_cndmask_b32_e64 v31, 0, v32, s[26:27]
	v_sub_f32_e32 v32, v36, v34
	v_mul_f32_e32 v32, 0x3fb8aa3b, v32
	v_exp_f32_e32 v32, v32
	v_sub_f32_e32 v36, v37, v34
	v_add_f32_e32 v33, v33, v30
	v_mul_f32_e32 v36, 0x3fb8aa3b, v36
	v_exp_f32_e32 v37, v36
	v_add_f32_e32 v33, v33, v31
	v_cndmask_b32_e64 v36, 0, v32, s[20:21]
	v_add_f32_e32 v32, v33, v36
	v_sub_f32_e32 v33, v48, v34
	v_mul_f32_e32 v33, 0x3fb8aa3b, v33
	v_sub_f32_e32 v35, v35, v34
	v_exp_f32_e32 v33, v33
	v_mul_f32_e32 v35, 0x3fb8aa3b, v35
	v_sub_f32_e32 v24, v24, v34
	v_exp_f32_e32 v35, v35
	;; [unrolled: 3-line block ×3, first 2 shown]
	v_mul_f32_e32 v25, 0x3fb8aa3b, v25
	v_sub_f32_e32 v22, v22, v34
	v_cndmask_b32_e64 v37, 0, v37, s[22:23]
	v_exp_f32_e32 v25, v25
	v_mul_f32_e32 v22, 0x3fb8aa3b, v22
	v_sub_f32_e32 v23, v23, v34
	v_add_f32_e32 v40, v32, v37
	v_cndmask_b32_e64 v32, 0, v33, s[16:17]
	v_exp_f32_e32 v22, v22
	v_mul_f32_e32 v23, 0x3fb8aa3b, v23
	v_sub_f32_e32 v20, v20, v34
	v_add_f32_e32 v40, v40, v32
	;; [unrolled: 5-line block ×3, first 2 shown]
	v_cndmask_b32_e64 v24, 0, v24, s[12:13]
	v_exp_f32_e32 v20, v20
	v_mul_f32_e32 v21, 0x3fb8aa3b, v21
	v_add_f32_e32 v35, v35, v24
	v_cndmask_b32_e64 v25, 0, v25, s[14:15]
	v_exp_f32_e32 v21, v21
	v_add_f32_e32 v35, v35, v25
	v_cndmask_b32_e64 v22, 0, v22, s[8:9]
	v_add_f32_e32 v35, v35, v22
	v_cndmask_b32_e64 v23, 0, v23, s[10:11]
	v_add_f32_e32 v35, v35, v23
	v_cndmask_b32_e32 v20, 0, v20, vcc
	v_add_f32_e32 v35, v35, v20
	v_cndmask_b32_e64 v21, 0, v21, s[6:7]
	v_add_f32_e32 v35, v35, v21
	ds_bpermute_b32 v40, v44, v35
	s_load_dword s7, s[0:1], 0x98
	v_cmp_gt_u32_e32 vcc, 16, v43
	s_waitcnt lgkmcnt(0)
	s_barrier
	v_add_f32_e32 v40, v35, v40
	ds_bpermute_b32 v41, v47, v40
	v_lshlrev_b32_e32 v35, 2, v28
	s_waitcnt lgkmcnt(0)
	s_and_saveexec_b64 s[4:5], vcc
	s_cbranch_execz .LBB857_15
; %bb.14:
	v_add_f32_e32 v40, v40, v41
	v_lshl_or_b32 v41, v29, 6, v35
	ds_write2st64_b32 v41, v34, v40 offset1:1
.LBB857_15:
	s_or_b64 exec, exec, s[4:5]
	s_load_dword s6, s[0:1], 0x94
	s_waitcnt lgkmcnt(0)
	s_barrier
	ds_read2_b32 v[40:41], v35 offset1:16
	ds_read2_b32 v[44:45], v35 offset0:32 offset1:48
	ds_read2_b32 v[46:47], v35 offset0:64 offset1:80
	s_mul_i32 s7, s7, 10
	s_waitcnt lgkmcnt(2)
	v_max3_f32 v34, v40, s33, v41
	s_waitcnt lgkmcnt(1)
	v_max3_f32 v34, v34, v44, v45
	v_sub_f32_e32 v40, v40, v34
	v_mul_f32_e32 v40, 0x3fb8aa3b, v40
	v_exp_f32_e32 v43, v40
	v_sub_f32_e32 v40, v41, v34
	v_mul_f32_e32 v40, 0x3fb8aa3b, v40
	v_exp_f32_e32 v48, v40
	;; [unrolled: 3-line block ×3, first 2 shown]
	ds_read2_b32 v[40:41], v35 offset0:96 offset1:112
	v_sub_f32_e32 v35, v45, v34
	v_mul_f32_e32 v35, 0x3fb8aa3b, v35
	v_exp_f32_e32 v45, v35
	s_waitcnt lgkmcnt(1)
	v_fma_f32 v35, v43, v46, 0
	v_fmac_f32_e32 v35, v48, v47
	s_waitcnt lgkmcnt(0)
	v_fmac_f32_e32 v35, v44, v40
	v_fmac_f32_e32 v35, v45, v41
	v_add_f32_e32 v40, 0x358637bd, v35
	v_div_scale_f32 v41, s[4:5], v40, v40, 1.0
	v_rcp_f32_e32 v46, v41
	s_barrier
	v_fma_f32 v47, -v41, v46, 1.0
	v_fmac_f32_e32 v46, v47, v46
	v_div_scale_f32 v47, vcc, 1.0, v40, 1.0
	v_mul_f32_e32 v49, v47, v46
	v_fma_f32 v50, -v41, v49, v47
	v_fmac_f32_e32 v49, v50, v46
	v_fma_f32 v41, -v41, v49, v47
	v_div_fmas_f32 v41, v41, v46, v49
	v_cmp_eq_u32_e32 vcc, 1, v29
	v_div_fixup_f32 v40, v41, v40, 1.0
	s_nop 0
	v_cndmask_b32_e32 v41, v43, v48, vcc
	v_cmp_eq_u32_e32 vcc, 2, v29
	s_nop 1
	v_cndmask_b32_e32 v41, v41, v44, vcc
	v_cmp_eq_u32_e32 vcc, 3, v29
	s_nop 1
	v_cndmask_b32_e32 v41, v41, v45, vcc
	v_mul_f32_e32 v40, v41, v40
	v_pk_mul_f32 v[38:39], v[40:41], v[38:39] op_sel_hi:[0,1]
	v_pk_mul_f32 v[18:19], v[40:41], v[18:19] op_sel_hi:[0,1]
	v_cvt_f16_f32_e32 v41, v38
	v_cvt_f16_f32_e32 v39, v39
	;; [unrolled: 1-line block ×4, first 2 shown]
	v_cmp_gt_u32_e32 vcc, 10, v0
	v_pack_b32_f16 v39, v41, v39
	v_lshlrev_b32_e32 v41, 3, v42
	v_pack_b32_f16 v38, v18, v19
	v_pk_mul_f32 v[18:19], v[40:41], v[36:37] op_sel_hi:[0,1]
	v_pk_mul_f32 v[30:31], v[40:41], v[30:31] op_sel_hi:[0,1]
	v_cvt_f16_f32_e32 v30, v30
	v_cvt_f16_f32_e32 v31, v31
	;; [unrolled: 1-line block ×4, first 2 shown]
	v_lshlrev_b32_e32 v18, 11, v29
	v_or3_b32 v18, v18, v27, v41
	v_pack_b32_f16 v30, v30, v31
	v_pack_b32_f16 v31, v36, v19
	ds_write2st64_b64 v18, v[38:39], v[30:31] offset1:1
	v_pk_mul_f32 v[24:25], v[40:41], v[24:25] op_sel_hi:[0,1]
	v_pk_mul_f32 v[30:31], v[40:41], v[32:33] op_sel_hi:[0,1]
	v_pk_mul_f32 v[20:21], v[40:41], v[20:21] op_sel_hi:[0,1]
	v_pk_mul_f32 v[22:23], v[40:41], v[22:23] op_sel_hi:[0,1]
	v_cvt_f16_f32_e32 v19, v30
	v_cvt_f16_f32_e32 v29, v31
	;; [unrolled: 1-line block ×8, first 2 shown]
	v_pack_b32_f16 v20, v19, v29
	v_pack_b32_f16 v21, v24, v25
	;; [unrolled: 1-line block ×4, first 2 shown]
	ds_write2st64_b64 v18, v[20:21], v[22:23] offset0:2 offset1:3
	s_and_saveexec_b64 s[4:5], vcc
	s_cbranch_execz .LBB857_17
; %bb.16:
	s_mov_b32 s49, 0
	v_mov_b32_e32 v29, 0
	v_lshl_add_u64 v[20:21], s[48:49], 0, v[28:29]
	v_mov_b32_e32 v19, s7
	v_mad_u64_u32 v[20:21], s[12:13], s2, v19, v[20:21]
	s_mul_i32 s3, s3, s7
	v_mov_b32_e32 v28, s28
	s_load_dwordx4 s[8:11], s[0:1], 0x58
	v_add_u32_e32 v19, s3, v21
	v_mad_u64_u32 v[20:21], s[12:13], v20, s6, v[28:29]
	v_mov_b32_e32 v22, v21
	v_mad_u64_u32 v[22:23], s[12:13], v19, s6, v[22:23]
	v_mov_b32_e32 v21, v22
	v_lshlrev_b64 v[20:21], 2, v[20:21]
	s_waitcnt lgkmcnt(0)
	v_lshl_add_u64 v[22:23], s[10:11], 0, v[20:21]
	v_lshl_add_u64 v[20:21], s[8:9], 0, v[20:21]
	global_store_dword v[22:23], v34, off
	global_store_dword v[20:21], v35, off
.LBB857_17:
	s_or_b64 exec, exec, s[4:5]
	s_waitcnt vmcnt(3)
	v_cvt_pk_f32_fp8_e32 v[20:21], v14
	v_cvt_pk_f32_fp8_sdwa v[22:23], v14 src0_sel:WORD_1
	v_lshl_or_b32 v14, v42, 9, v27
	s_waitcnt lgkmcnt(0)
	s_barrier
	v_cvt_pk_f32_fp8_e32 v[24:25], v15
	v_cvt_pkrtz_f16_f32 v32, v20, v21
	v_cvt_pkrtz_f16_f32 v33, v22, v23
	v_cvt_pk_f32_fp8_sdwa v[28:29], v15 src0_sel:WORD_1
	ds_read_b128 v[20:23], v14
	v_cvt_pkrtz_f16_f32 v24, v24, v25
	v_cvt_pk_f32_fp8_e32 v[36:37], v16
	v_cvt_pkrtz_f16_f32 v25, v28, v29
	ds_read_b128 v[28:31], v14 offset:16
	v_cvt_pk_f32_fp8_sdwa v[38:39], v16 src0_sel:WORD_1
	s_waitcnt lgkmcnt(1)
	v_mfma_f32_16x16x16_f16 v[32:35], v[32:33], v[20:21], 0
	v_cvt_pkrtz_f16_f32 v36, v36, v37
	s_load_dword s4, s[42:43], 0x0
	v_cvt_pkrtz_f16_f32 v37, v38, v39
	v_cvt_pk_f32_fp8_e32 v[38:39], v17
	v_cvt_pk_f32_fp8_sdwa v[16:17], v17 src0_sel:WORD_1
	v_mfma_f32_16x16x16_f16 v[20:23], v[24:25], v[22:23], v[32:35]
	v_cmp_gt_u32_e32 vcc, 64, v0
	v_cvt_pkrtz_f16_f32 v24, v38, v39
	v_cvt_pkrtz_f16_f32 v25, v16, v17
	s_waitcnt lgkmcnt(0)
	v_mfma_f32_16x16x16_f16 v[20:23], v[36:37], v[28:29], v[20:23]
	s_waitcnt vmcnt(2)
	v_cvt_pk_f32_fp8_e32 v[16:17], v10
	v_cvt_pk_f32_fp8_e32 v[28:29], v11
	v_cvt_pk_f32_fp8_sdwa v[36:37], v12 src0_sel:WORD_1
	v_mfma_f32_16x16x16_f16 v[20:23], v[24:25], v[30:31], v[20:23]
	v_cvt_pk_f32_fp8_sdwa v[24:25], v10 src0_sel:WORD_1
	v_cvt_pkrtz_f16_f32 v10, v16, v17
	v_cvt_pk_f32_fp8_sdwa v[16:17], v11 src0_sel:WORD_1
	ds_read_b128 v[32:35], v14 offset:2064
	v_cvt_pkrtz_f16_f32 v11, v24, v25
	v_cvt_pkrtz_f16_f32 v24, v28, v29
	ds_read_b128 v[28:31], v14 offset:2048
	v_cvt_pkrtz_f16_f32 v25, v16, v17
	v_cvt_pk_f32_fp8_e32 v[16:17], v12
	s_waitcnt lgkmcnt(0)
	v_mfma_f32_16x16x16_f16 v[20:23], v[10:11], v[28:29], v[20:23]
	v_cvt_pkrtz_f16_f32 v10, v16, v17
	v_cvt_pkrtz_f16_f32 v11, v36, v37
	v_cvt_pk_f32_fp8_e32 v[16:17], v13
	v_mfma_f32_16x16x16_f16 v[20:23], v[24:25], v[30:31], v[20:23]
	v_cvt_pk_f32_fp8_sdwa v[24:25], v13 src0_sel:WORD_1
	ds_read_b128 v[28:31], v14 offset:4112
	v_cvt_pkrtz_f16_f32 v16, v16, v17
	v_mfma_f32_16x16x16_f16 v[10:13], v[10:11], v[32:33], v[20:23]
	v_cvt_pkrtz_f16_f32 v17, v24, v25
	s_waitcnt vmcnt(1)
	v_cvt_pk_f32_fp8_sdwa v[24:25], v7 src0_sel:WORD_1
	v_cvt_pk_f32_fp8_sdwa v[32:33], v8 src0_sel:WORD_1
	v_cvt_pk_f32_fp8_e32 v[20:21], v6
	v_mfma_f32_16x16x16_f16 v[10:13], v[16:17], v[34:35], v[10:13]
	v_cvt_pk_f32_fp8_sdwa v[16:17], v6 src0_sel:WORD_1
	v_cvt_pk_f32_fp8_e32 v[22:23], v7
	v_cvt_pkrtz_f16_f32 v6, v20, v21
	s_mov_b32 s3, 0
	v_cvt_pkrtz_f16_f32 v7, v16, v17
	v_cvt_pkrtz_f16_f32 v16, v22, v23
	ds_read_b128 v[20:23], v14 offset:4096
	v_cvt_pkrtz_f16_f32 v17, v24, v25
	v_cvt_pk_f32_fp8_e32 v[24:25], v8
	s_waitcnt lgkmcnt(0)
	v_mfma_f32_16x16x16_f16 v[10:13], v[6:7], v[20:21], v[10:13]
	v_cvt_pkrtz_f16_f32 v6, v24, v25
	v_cvt_pkrtz_f16_f32 v7, v32, v33
	v_cvt_pk_f32_fp8_e32 v[20:21], v9
	v_mfma_f32_16x16x16_f16 v[10:13], v[16:17], v[22:23], v[10:13]
	v_cvt_pk_f32_fp8_sdwa v[16:17], v9 src0_sel:WORD_1
	s_waitcnt vmcnt(0)
	v_cvt_pk_f32_fp8_sdwa v[24:25], v4 src0_sel:WORD_1
	v_cvt_pkrtz_f16_f32 v20, v20, v21
	v_mfma_f32_16x16x16_f16 v[6:9], v[6:7], v[28:29], v[10:13]
	v_cvt_pkrtz_f16_f32 v21, v16, v17
	v_cvt_pk_f32_fp8_e32 v[16:17], v3
	v_mov_b32_e32 v27, 0
	v_cvt_pk_f32_fp8_e32 v[10:11], v2
	v_cvt_pk_f32_fp8_sdwa v[12:13], v2 src0_sel:WORD_1
	v_mfma_f32_16x16x16_f16 v[6:9], v[20:21], v[30:31], v[6:9]
	v_cvt_pk_f32_fp8_sdwa v[20:21], v3 src0_sel:WORD_1
	v_cvt_pkrtz_f16_f32 v2, v10, v11
	v_cvt_pkrtz_f16_f32 v3, v12, v13
	ds_read_b128 v[10:13], v14 offset:6144
	v_cvt_pkrtz_f16_f32 v22, v16, v17
	v_cvt_pkrtz_f16_f32 v23, v20, v21
	v_cvt_pk_f32_fp8_e32 v[20:21], v4
	s_waitcnt lgkmcnt(0)
	v_mfma_f32_16x16x16_f16 v[6:9], v[2:3], v[10:11], v[6:9]
	ds_read_b128 v[14:17], v14 offset:6160
	v_cvt_pkrtz_f16_f32 v2, v20, v21
	v_cvt_pkrtz_f16_f32 v3, v24, v25
	v_cvt_pk_f32_fp8_e32 v[10:11], v5
	v_mfma_f32_16x16x16_f16 v[6:9], v[22:23], v[12:13], v[6:9]
	v_cvt_pk_f32_fp8_sdwa v[12:13], v5 src0_sel:WORD_1
	s_waitcnt lgkmcnt(0)
	v_cvt_pkrtz_f16_f32 v10, v10, v11
	v_mfma_f32_16x16x16_f16 v[2:5], v[2:3], v[14:15], v[6:9]
	v_cvt_pkrtz_f16_f32 v11, v12, v13
	s_barrier
	s_nop 0
	v_mfma_f32_16x16x16_f16 v[2:5], v[10:11], v[16:17], v[2:5]
	s_nop 6
	v_pk_mul_f32 v[4:5], v[4:5], s[4:5] op_sel_hi:[1,0]
	v_pk_mul_f32 v[2:3], v[2:3], s[4:5] op_sel_hi:[1,0]
	v_cvt_f16_f32_e32 v4, v4
	v_cvt_f16_f32_e32 v2, v2
	v_cvt_f16_f32_e32 v3, v3
	v_cvt_f16_f32_e32 v5, v5
	s_and_b64 s[4:5], vcc, s[30:31]
	v_pack_b32_f16 v2, v2, v3
	v_pack_b32_f16 v3, v4, v5
	ds_write_b64 v18, v[2:3]
	s_waitcnt lgkmcnt(0)
	s_barrier
	s_and_saveexec_b64 s[8:9], s[4:5]
	s_cbranch_execz .LBB857_20
; %bb.18:
	s_load_dwordx2 s[4:5], s[0:1], 0x68
	s_lshl_b32 s0, s6, 6
	s_mul_i32 s1, s7, s2
	s_mul_hi_u32 s7, s1, s0
	s_mul_i32 s6, s1, s0
	v_lshlrev_b32_e32 v0, 10, v0
	s_lshl_b64 s[6:7], s[6:7], 1
	v_and_b32_e32 v0, 0x1800, v0
	v_lshlrev_b32_e32 v2, 5, v42
	v_and_b32_e32 v1, 16, v1
	s_waitcnt lgkmcnt(0)
	s_add_u32 s1, s4, s6
	v_or3_b32 v2, v0, v2, v1
	s_addc_u32 s4, s5, s7
	s_lshl_b32 s2, s28, 6
	s_lshl_b64 s[2:3], s[2:3], 1
	ds_read_b128 v[4:7], v2 offset:128
	ds_read_b128 v[8:11], v2
	s_add_u32 s2, s1, s2
	s_addc_u32 s3, s4, s3
	v_add_u32_e32 v14, s48, v42
	v_lshl_add_u64 v[0:1], s[2:3], 0, v[26:27]
	v_mad_u64_u32 v[12:13], s[2:3], v14, s0, 0
	v_lshl_add_u64 v[12:13], v[12:13], 1, v[0:1]
	s_waitcnt lgkmcnt(0)
	global_store_dwordx4 v[12:13], v[8:11], off
	v_or_b32_e32 v3, 8, v42
	v_cmp_gt_u32_e32 vcc, 10, v3
	v_add_u32_e32 v8, 4, v14
	v_mad_u64_u32 v[8:9], s[2:3], v8, s0, 0
	v_lshl_add_u64 v[8:9], v[8:9], 1, v[0:1]
	global_store_dwordx4 v[8:9], v[4:7], off
	s_and_b64 exec, exec, vcc
	s_cbranch_execz .LBB857_20
; %bb.19:
	ds_read_b128 v[4:7], v2 offset:256
	v_add_u32_e32 v2, s48, v3
	v_mad_u64_u32 v[2:3], s[0:1], v2, s0, 0
	v_lshl_add_u64 v[0:1], v[2:3], 1, v[0:1]
	s_waitcnt lgkmcnt(0)
	global_store_dwordx4 v[0:1], v[4:7], off
.LBB857_20:
	s_endpgm
	.section	.rodata,"a",@progbits
	.p2align	6, 0x0
	.amdhsa_kernel _Z39paged_attention_ll4mi_QKV_mfma16_kernelIDF16_hLN4vllm18Fp8KVCacheDataTypeE1EhLi32ELi64ELi256ELb1ELi10EEvPKT_PKT0_S7_ifPKiS9_S9_iPKfiiiPfSC_PS2_PT2_iSB_SB_
		.amdhsa_group_segment_fixed_size 8192
		.amdhsa_private_segment_fixed_size 0
		.amdhsa_kernarg_size 400
		.amdhsa_user_sgpr_count 2
		.amdhsa_user_sgpr_dispatch_ptr 0
		.amdhsa_user_sgpr_queue_ptr 0
		.amdhsa_user_sgpr_kernarg_segment_ptr 1
		.amdhsa_user_sgpr_dispatch_id 0
		.amdhsa_user_sgpr_kernarg_preload_length 0
		.amdhsa_user_sgpr_kernarg_preload_offset 0
		.amdhsa_user_sgpr_private_segment_size 0
		.amdhsa_uses_dynamic_stack 0
		.amdhsa_enable_private_segment 0
		.amdhsa_system_sgpr_workgroup_id_x 1
		.amdhsa_system_sgpr_workgroup_id_y 1
		.amdhsa_system_sgpr_workgroup_id_z 1
		.amdhsa_system_sgpr_workgroup_info 0
		.amdhsa_system_vgpr_workitem_id 0
		.amdhsa_next_free_vgpr 71
		.amdhsa_next_free_sgpr 50
		.amdhsa_accum_offset 72
		.amdhsa_reserve_vcc 1
		.amdhsa_float_round_mode_32 0
		.amdhsa_float_round_mode_16_64 0
		.amdhsa_float_denorm_mode_32 3
		.amdhsa_float_denorm_mode_16_64 3
		.amdhsa_dx10_clamp 1
		.amdhsa_ieee_mode 1
		.amdhsa_fp16_overflow 0
		.amdhsa_tg_split 0
		.amdhsa_exception_fp_ieee_invalid_op 0
		.amdhsa_exception_fp_denorm_src 0
		.amdhsa_exception_fp_ieee_div_zero 0
		.amdhsa_exception_fp_ieee_overflow 0
		.amdhsa_exception_fp_ieee_underflow 0
		.amdhsa_exception_fp_ieee_inexact 0
		.amdhsa_exception_int_div_zero 0
	.end_amdhsa_kernel
	.section	.text._Z39paged_attention_ll4mi_QKV_mfma16_kernelIDF16_hLN4vllm18Fp8KVCacheDataTypeE1EhLi32ELi64ELi256ELb1ELi10EEvPKT_PKT0_S7_ifPKiS9_S9_iPKfiiiPfSC_PS2_PT2_iSB_SB_,"axG",@progbits,_Z39paged_attention_ll4mi_QKV_mfma16_kernelIDF16_hLN4vllm18Fp8KVCacheDataTypeE1EhLi32ELi64ELi256ELb1ELi10EEvPKT_PKT0_S7_ifPKiS9_S9_iPKfiiiPfSC_PS2_PT2_iSB_SB_,comdat
.Lfunc_end857:
	.size	_Z39paged_attention_ll4mi_QKV_mfma16_kernelIDF16_hLN4vllm18Fp8KVCacheDataTypeE1EhLi32ELi64ELi256ELb1ELi10EEvPKT_PKT0_S7_ifPKiS9_S9_iPKfiiiPfSC_PS2_PT2_iSB_SB_, .Lfunc_end857-_Z39paged_attention_ll4mi_QKV_mfma16_kernelIDF16_hLN4vllm18Fp8KVCacheDataTypeE1EhLi32ELi64ELi256ELb1ELi10EEvPKT_PKT0_S7_ifPKiS9_S9_iPKfiiiPfSC_PS2_PT2_iSB_SB_
                                        ; -- End function
	.section	.AMDGPU.csdata,"",@progbits
; Kernel info:
; codeLenInByte = 4968
; NumSgprs: 56
; NumVgprs: 71
; NumAgprs: 0
; TotalNumVgprs: 71
; ScratchSize: 0
; MemoryBound: 0
; FloatMode: 240
; IeeeMode: 1
; LDSByteSize: 8192 bytes/workgroup (compile time only)
; SGPRBlocks: 6
; VGPRBlocks: 8
; NumSGPRsForWavesPerEU: 56
; NumVGPRsForWavesPerEU: 71
; AccumOffset: 72
; Occupancy: 7
; WaveLimiterHint : 1
; COMPUTE_PGM_RSRC2:SCRATCH_EN: 0
; COMPUTE_PGM_RSRC2:USER_SGPR: 2
; COMPUTE_PGM_RSRC2:TRAP_HANDLER: 0
; COMPUTE_PGM_RSRC2:TGID_X_EN: 1
; COMPUTE_PGM_RSRC2:TGID_Y_EN: 1
; COMPUTE_PGM_RSRC2:TGID_Z_EN: 1
; COMPUTE_PGM_RSRC2:TIDIG_COMP_CNT: 0
; COMPUTE_PGM_RSRC3_GFX90A:ACCUM_OFFSET: 17
; COMPUTE_PGM_RSRC3_GFX90A:TG_SPLIT: 0
	.section	.text._Z39paged_attention_ll4mi_QKV_mfma16_kernelIDF16_hLN4vllm18Fp8KVCacheDataTypeE1EhLi32ELi64ELi256ELb1ELi11EEvPKT_PKT0_S7_ifPKiS9_S9_iPKfiiiPfSC_PS2_PT2_iSB_SB_,"axG",@progbits,_Z39paged_attention_ll4mi_QKV_mfma16_kernelIDF16_hLN4vllm18Fp8KVCacheDataTypeE1EhLi32ELi64ELi256ELb1ELi11EEvPKT_PKT0_S7_ifPKiS9_S9_iPKfiiiPfSC_PS2_PT2_iSB_SB_,comdat
	.protected	_Z39paged_attention_ll4mi_QKV_mfma16_kernelIDF16_hLN4vllm18Fp8KVCacheDataTypeE1EhLi32ELi64ELi256ELb1ELi11EEvPKT_PKT0_S7_ifPKiS9_S9_iPKfiiiPfSC_PS2_PT2_iSB_SB_ ; -- Begin function _Z39paged_attention_ll4mi_QKV_mfma16_kernelIDF16_hLN4vllm18Fp8KVCacheDataTypeE1EhLi32ELi64ELi256ELb1ELi11EEvPKT_PKT0_S7_ifPKiS9_S9_iPKfiiiPfSC_PS2_PT2_iSB_SB_
	.globl	_Z39paged_attention_ll4mi_QKV_mfma16_kernelIDF16_hLN4vllm18Fp8KVCacheDataTypeE1EhLi32ELi64ELi256ELb1ELi11EEvPKT_PKT0_S7_ifPKiS9_S9_iPKfiiiPfSC_PS2_PT2_iSB_SB_
	.p2align	8
	.type	_Z39paged_attention_ll4mi_QKV_mfma16_kernelIDF16_hLN4vllm18Fp8KVCacheDataTypeE1EhLi32ELi64ELi256ELb1ELi11EEvPKT_PKT0_S7_ifPKiS9_S9_iPKfiiiPfSC_PS2_PT2_iSB_SB_,@function
_Z39paged_attention_ll4mi_QKV_mfma16_kernelIDF16_hLN4vllm18Fp8KVCacheDataTypeE1EhLi32ELi64ELi256ELb1ELi11EEvPKT_PKT0_S7_ifPKiS9_S9_iPKfiiiPfSC_PS2_PT2_iSB_SB_: ; @_Z39paged_attention_ll4mi_QKV_mfma16_kernelIDF16_hLN4vllm18Fp8KVCacheDataTypeE1EhLi32ELi64ELi256ELb1ELi11EEvPKT_PKT0_S7_ifPKiS9_S9_iPKfiiiPfSC_PS2_PT2_iSB_SB_
; %bb.0:
	s_load_dwordx2 s[6:7], s[0:1], 0x30
	s_mov_b32 s28, s3
	s_mov_b64 s[8:9], 0
	s_waitcnt lgkmcnt(0)
	s_cmp_lg_u64 s[6:7], 0
	s_cselect_b64 s[10:11], -1, 0
	s_and_b64 vcc, exec, s[10:11]
	s_cbranch_vccz .LBB858_7
; %bb.1:
	s_add_i32 s12, s2, 1
	s_mov_b32 s13, 0
	s_lshl_b64 s[14:15], s[12:13], 2
	s_add_u32 s14, s6, s14
	s_mov_b32 s3, s13
	s_addc_u32 s15, s7, s15
	s_lshl_b64 s[12:13], s[2:3], 2
	s_add_u32 s12, s6, s12
	s_addc_u32 s13, s7, s13
	s_load_dword s5, s[14:15], 0x0
	s_load_dword s16, s[12:13], 0x0
	s_waitcnt lgkmcnt(0)
	s_sub_i32 s5, s5, s16
	s_cmp_eq_u32 s5, 1
	s_cselect_b64 s[12:13], -1, 0
	s_andn2_b64 vcc, exec, s[8:9]
	s_cbranch_vccnz .LBB858_3
.LBB858_2:
	s_mov_b32 s3, 0
	s_mov_b64 s[12:13], -1
.LBB858_3:
	s_andn2_b64 vcc, exec, s[12:13]
	s_cbranch_vccnz .LBB858_20
; %bb.4:
	s_load_dwordx2 s[8:9], s[0:1], 0x28
	s_lshl_b64 s[12:13], s[2:3], 2
	s_waitcnt lgkmcnt(0)
	s_add_u32 s8, s8, s12
	s_addc_u32 s9, s9, s13
	s_load_dword s29, s[8:9], 0x0
	s_lshl_b32 s16, s28, 8
	s_waitcnt lgkmcnt(0)
	s_cmp_ge_i32 s16, s29
	s_cbranch_scc1 .LBB858_20
; %bb.5:
	s_load_dwordx2 s[8:9], s[0:1], 0x20
	s_load_dword s5, s[0:1], 0x38
	s_add_i32 s14, s29, 31
	s_ashr_i32 s15, s14, 31
	v_and_b32_e32 v1, 0xcf, v0
	s_lshr_b32 s15, s15, 27
	v_add_u32_e32 v1, s16, v1
	s_add_i32 s14, s14, s15
	v_ashrrev_i32_e32 v2, 31, v1
	s_ashr_i32 s17, s14, 5
	v_lshrrev_b32_e32 v4, 27, v2
	s_add_i32 s17, s17, -1
	s_waitcnt lgkmcnt(0)
	s_mul_i32 s14, s2, s5
	s_mov_b32 s15, 0
	v_add_u32_e32 v2, v1, v4
	s_lshl_b64 s[14:15], s[14:15], 2
	v_ashrrev_i32_e32 v2, 5, v2
	v_mov_b32_e32 v5, s17
	v_cmp_gt_i32_e32 vcc, s29, v1
	s_add_u32 s8, s8, s14
	s_addc_u32 s9, s9, s15
	v_cndmask_b32_e32 v2, v5, v2, vcc
	v_ashrrev_i32_e32 v3, 31, v2
	v_lshl_add_u64 v[6:7], v[2:3], 2, s[8:9]
	v_or_b32_e32 v2, 16, v1
	v_add_u32_e32 v3, v2, v4
	v_ashrrev_i32_e32 v3, 5, v3
	v_cmp_gt_i32_e32 vcc, s29, v2
	s_load_dwordx2 s[14:15], s[0:1], 0x8
	s_nop 0
	v_cndmask_b32_e32 v2, v5, v3, vcc
	v_ashrrev_i32_e32 v3, 31, v2
	v_lshl_add_u64 v[8:9], v[2:3], 2, s[8:9]
	v_or_b32_e32 v2, 32, v1
	v_add_u32_e32 v3, v2, v4
	v_ashrrev_i32_e32 v3, 5, v3
	v_cmp_gt_i32_e32 vcc, s29, v2
	v_or_b32_e32 v1, 48, v1
	s_nop 0
	v_cndmask_b32_e32 v2, v5, v3, vcc
	v_ashrrev_i32_e32 v3, 31, v2
	v_lshl_add_u64 v[10:11], v[2:3], 2, s[8:9]
	v_add_u32_e32 v2, v1, v4
	v_ashrrev_i32_e32 v2, 5, v2
	v_cmp_gt_i32_e32 vcc, s29, v1
	s_nop 1
	v_cndmask_b32_e32 v2, v5, v2, vcc
	v_ashrrev_i32_e32 v3, 31, v2
	v_lshl_add_u64 v[12:13], v[2:3], 2, s[8:9]
	global_load_dword v5, v[6:7], off
	global_load_dword v4, v[8:9], off
	;; [unrolled: 1-line block ×4, first 2 shown]
	s_andn2_b64 vcc, exec, s[10:11]
	s_cbranch_vccnz .LBB858_8
; %bb.6:
	s_add_u32 s6, s6, s12
	s_addc_u32 s7, s7, s13
	s_load_dword s5, s[6:7], 0x0
	s_branch .LBB858_9
.LBB858_7:
	s_mov_b64 s[12:13], 0
	s_branch .LBB858_2
.LBB858_8:
	s_mov_b32 s5, s2
.LBB858_9:
	s_load_dwordx2 s[10:11], s[0:1], 0x10
	s_load_dwordx4 s[44:47], s[0:1], 0x48
	v_lshrrev_b32_e32 v29, 6, v0
	v_bfe_u32 v42, v0, 4, 2
	v_lshl_or_b32 v6, v29, 2, v42
	v_and_b32_e32 v28, 15, v0
	v_lshlrev_b32_e32 v1, 3, v28
	v_cmp_gt_u32_e32 vcc, 11, v6
	v_cmp_gt_u32_e64 s[30:31], 8, v28
	s_mul_i32 s48, s4, 11
	s_and_b64 s[12:13], s[30:31], vcc
	v_lshlrev_b32_e32 v26, 1, v1
	v_lshlrev_b32_e32 v1, 4, v0
	s_and_saveexec_b64 s[6:7], s[12:13]
	s_cbranch_execz .LBB858_11
; %bb.10:
	s_load_dwordx2 s[12:13], s[0:1], 0x0
	s_waitcnt lgkmcnt(0)
	s_ashr_i32 s18, s44, 31
	s_mul_hi_u32 s19, s5, s44
	s_mul_i32 s18, s5, s18
	s_add_i32 s19, s19, s18
	s_mul_i32 s18, s5, s44
	s_lshl_b64 s[18:19], s[18:19], 1
	s_add_u32 s12, s12, s18
	v_add_lshl_u32 v8, v6, s48, 6
	s_addc_u32 s13, s13, s19
	v_ashrrev_i32_e32 v9, 31, v8
	v_lshl_add_u64 v[8:9], v[8:9], 1, s[12:13]
	v_mov_b32_e32 v27, 0
	v_lshl_add_u64 v[8:9], v[8:9], 0, v[26:27]
	global_load_dwordx4 v[8:11], v[8:9], off
	v_lshlrev_b32_e32 v12, 8, v28
	v_lshlrev_b32_e32 v6, 5, v6
	v_and_b32_e32 v7, 16, v1
	v_and_b32_e32 v12, 0xe00, v12
	v_or3_b32 v6, v12, v6, v7
	s_waitcnt vmcnt(0)
	ds_write_b128 v6, v[8:11]
.LBB858_11:
	s_or_b64 exec, exec, s[6:7]
	s_waitcnt lgkmcnt(0)
	s_mul_i32 s12, s4, s46
	s_add_u32 s4, s14, s12
	s_addc_u32 s5, s15, 0
	v_mov_b32_e32 v31, 0
	v_mov_b64_e32 v[6:7], s[4:5]
	v_lshlrev_b32_e32 v10, 4, v28
	v_and_b32_e32 v27, 48, v0
	s_waitcnt vmcnt(3)
	v_mad_i64_i32 v[8:9], s[4:5], v5, s45, v[6:7]
	v_mov_b32_e32 v11, v31
	s_waitcnt vmcnt(2)
	v_mad_i64_i32 v[4:5], s[4:5], v4, s45, v[6:7]
	v_or_b32_e32 v12, 0x100, v10
	v_mov_b32_e32 v13, v31
	v_lshlrev_b32_e32 v30, 5, v27
	v_lshl_add_u64 v[8:9], v[8:9], 0, v[10:11]
	v_lshl_add_u64 v[4:5], v[4:5], 0, v[12:13]
	;; [unrolled: 1-line block ×4, first 2 shown]
	s_barrier
	global_load_dwordx4 v[22:25], v[8:9], off
	global_load_dwordx4 v[18:21], v[4:5], off
	s_waitcnt vmcnt(3)
	v_mad_i64_i32 v[4:5], s[4:5], v3, s45, v[6:7]
	v_lshl_add_u64 v[4:5], v[4:5], 0, v[10:11]
	s_waitcnt vmcnt(2)
	v_mad_i64_i32 v[2:3], s[4:5], v2, s45, v[6:7]
	v_lshl_add_u64 v[4:5], v[4:5], 0, v[30:31]
	v_lshl_add_u64 v[2:3], v[2:3], 0, v[12:13]
	;; [unrolled: 1-line block ×3, first 2 shown]
	global_load_dwordx4 v[14:17], v[4:5], off
	global_load_dwordx4 v[6:9], v[2:3], off
	v_add_u32_e32 v2, -11, v28
	v_cmp_gt_u32_e32 vcc, 11, v28
	v_and_b32_e32 v43, 63, v0
	v_mov_b32_e32 v44, 0
	v_cndmask_b32_e32 v2, v2, v28, vcc
	v_lshlrev_b32_e32 v2, 5, v2
	v_lshl_add_u32 v2, v42, 9, v2
	ds_read_b128 v[10:13], v2
	ds_read_b128 v[2:5], v2 offset:16
	s_and_saveexec_b64 s[4:5], vcc
	s_cbranch_execz .LBB858_13
; %bb.12:
	s_load_dwordx2 s[6:7], s[0:1], 0x40
	v_add_u32_e32 v32, s48, v28
	v_ashrrev_i32_e32 v33, 31, v32
	s_waitcnt lgkmcnt(0)
	v_lshl_add_u64 v[32:33], v[32:33], 2, s[6:7]
	global_load_dword v44, v[32:33], off
.LBB858_13:
	s_or_b64 exec, exec, s[4:5]
	s_ashr_i32 s4, s16, 31
	v_or_b32_e32 v45, s16, v27
	s_lshr_b32 s13, s4, 27
	v_add_u32_e32 v27, s13, v45
	v_ashrrev_i32_e32 v27, 5, v27
	s_waitcnt vmcnt(3)
	v_cvt_pk_f32_fp8_e32 v[32:33], v22
	v_cvt_pk_f32_fp8_sdwa v[34:35], v22 src0_sel:WORD_1
	s_waitcnt vmcnt(2)
	v_cvt_pk_f32_fp8_e32 v[56:57], v20
	v_cvt_pk_f32_fp8_sdwa v[58:59], v20 src0_sel:WORD_1
	v_mov_b32_e32 v20, s17
	v_cmp_gt_i32_e32 vcc, s29, v45
	v_cvt_pk_f32_fp8_e32 v[48:49], v18
	v_cvt_pk_f32_fp8_sdwa v[50:51], v18 src0_sel:WORD_1
	v_cndmask_b32_e32 v18, v20, v27, vcc
	v_cvt_pk_f32_fp8_e32 v[52:53], v19
	v_cvt_pk_f32_fp8_sdwa v[54:55], v19 src0_sel:WORD_1
	v_ashrrev_i32_e32 v19, 31, v18
	v_lshl_add_u64 v[18:19], v[18:19], 2, s[8:9]
	v_cvt_pk_f32_fp8_e32 v[36:37], v23
	v_cvt_pk_f32_fp8_sdwa v[22:23], v23 src0_sel:WORD_1
	global_load_dword v70, v[18:19], off
	v_cvt_pkrtz_f16_f32 v18, v32, v33
	v_cvt_pkrtz_f16_f32 v19, v34, v35
	v_cvt_pk_f32_fp8_e32 v[60:61], v21
	v_cvt_pk_f32_fp8_sdwa v[62:63], v21 src0_sel:WORD_1
	v_or_b32_e32 v21, 64, v45
	v_or_b32_e32 v32, 0x80, v45
	;; [unrolled: 1-line block ×3, first 2 shown]
	v_cmp_gt_i32_e32 vcc, s29, v21
	v_add_u32_e32 v21, s13, v21
	v_cmp_gt_i32_e64 s[4:5], s29, v32
	v_add_u32_e32 v32, s13, v32
	v_cmp_gt_i32_e64 s[6:7], s29, v33
	v_add_u32_e32 v33, s13, v33
	v_cvt_pk_f32_fp8_e32 v[38:39], v24
	v_cvt_pk_f32_fp8_sdwa v[40:41], v24 src0_sel:WORD_1
	v_ashrrev_i32_e32 v21, 5, v21
	v_ashrrev_i32_e32 v34, 5, v32
	;; [unrolled: 1-line block ×3, first 2 shown]
	v_cvt_pkrtz_f16_f32 v32, v36, v37
	v_cvt_pkrtz_f16_f32 v33, v22, v23
	v_cndmask_b32_e32 v36, v20, v21, vcc
	v_cndmask_b32_e64 v64, v20, v34, s[4:5]
	v_cndmask_b32_e64 v66, v20, v35, s[6:7]
	s_waitcnt lgkmcnt(1)
	v_mfma_f32_16x16x16_f16 v[18:21], v[18:19], v[10:11], 0
	v_cvt_pk_f32_fp8_e32 v[46:47], v25
	v_cvt_pkrtz_f16_f32 v22, v48, v49
	v_cvt_pkrtz_f16_f32 v23, v50, v51
	v_cvt_pk_f32_fp8_sdwa v[24:25], v25 src0_sel:WORD_1
	v_cvt_pkrtz_f16_f32 v38, v38, v39
	v_cvt_pkrtz_f16_f32 v39, v40, v41
	v_mfma_f32_16x16x16_f16 v[32:35], v[32:33], v[12:13], v[18:21]
	s_add_u32 s10, s10, s12
	v_and_b32_e32 v30, 16, v0
	v_lshlrev_b32_e32 v27, 5, v28
	s_addc_u32 s11, s11, 0
	v_cvt_pkrtz_f16_f32 v68, v46, v47
	v_cvt_pkrtz_f16_f32 v46, v52, v53
	;; [unrolled: 1-line block ×3, first 2 shown]
	s_load_dword s14, s[0:1], 0x1c
	s_load_dwordx4 s[40:43], s[0:1], 0x80
	v_lshl_add_u64 v[40:41], s[10:11], 0, v[30:31]
	v_lshl_or_b32 v30, v29, 9, v27
	v_cvt_pkrtz_f16_f32 v69, v24, v25
	v_mfma_f32_16x16x16_f16 v[22:25], v[22:23], v[10:11], 0
	v_lshl_add_u64 v[18:19], v[40:41], 0, v[30:31]
	v_ashrrev_i32_e32 v37, 31, v36
	v_ashrrev_i32_e32 v65, 31, v64
	s_waitcnt lgkmcnt(0)
	v_mfma_f32_16x16x16_f16 v[30:33], v[38:39], v[2:3], v[32:35]
	v_ashrrev_i32_e32 v67, 31, v66
	v_cvt_pkrtz_f16_f32 v48, v56, v57
	v_cvt_pkrtz_f16_f32 v49, v58, v59
	v_mfma_f32_16x16x16_f16 v[20:23], v[46:47], v[12:13], v[22:25]
	v_lshl_add_u64 v[34:35], v[64:65], 2, s[8:9]
	s_load_dword s4, s[40:41], 0x0
	v_cvt_pkrtz_f16_f32 v50, v60, v61
	v_lshl_add_u64 v[24:25], v[36:37], 2, s[8:9]
	v_lshl_add_u64 v[36:37], v[66:67], 2, s[8:9]
	global_load_dword v47, v[24:25], off
	global_load_dword v45, v[34:35], off
	;; [unrolled: 1-line block ×3, first 2 shown]
	v_mfma_f32_16x16x16_f16 v[34:37], v[68:69], v[4:5], v[30:33]
	s_waitcnt vmcnt(5)
	v_cvt_pk_f32_fp8_e32 v[24:25], v14
	v_cvt_pkrtz_f16_f32 v51, v62, v63
	v_cvt_pk_f32_fp8_e32 v[38:39], v15
	v_cvt_pk_f32_fp8_sdwa v[32:33], v14 src0_sel:WORD_1
	v_mfma_f32_16x16x16_f16 v[20:23], v[48:49], v[2:3], v[20:23]
	v_cvt_pkrtz_f16_f32 v24, v24, v25
	v_cvt_pk_f32_fp8_sdwa v[14:15], v15 src0_sel:WORD_1
	v_cvt_pkrtz_f16_f32 v25, v32, v33
	v_mov_b32_e32 v40, s14
	v_mfma_f32_16x16x16_f16 v[20:23], v[50:51], v[4:5], v[20:23]
	v_cvt_pkrtz_f16_f32 v32, v38, v39
	v_cvt_pk_f32_fp8_e32 v[50:51], v16
	v_cvt_pk_f32_fp8_sdwa v[52:53], v16 src0_sel:WORD_1
	v_cvt_pkrtz_f16_f32 v33, v14, v15
	s_waitcnt lgkmcnt(0)
	v_mul_f32_e32 v48, s4, v40
	v_mfma_f32_16x16x16_f16 v[38:41], v[24:25], v[10:11], 0
	v_cvt_pkrtz_f16_f32 v24, v50, v51
	v_cvt_pkrtz_f16_f32 v25, v52, v53
	v_cvt_pk_f32_fp8_e32 v[50:51], v17
	v_cvt_pk_f32_fp8_sdwa v[52:53], v17 src0_sel:WORD_1
	v_mfma_f32_16x16x16_f16 v[14:17], v[32:33], v[12:13], v[38:41]
	v_pk_mul_f32 v[32:33], v[48:49], v[36:37] op_sel_hi:[0,1]
	v_cvt_pkrtz_f16_f32 v36, v50, v51
	v_cvt_pkrtz_f16_f32 v37, v52, v53
	v_mfma_f32_16x16x16_f16 v[14:17], v[24:25], v[2:3], v[14:17]
	v_pk_mul_f32 v[38:39], v[48:49], v[34:35] op_sel_hi:[0,1]
	s_waitcnt vmcnt(4)
	v_cvt_pk_f32_fp8_e32 v[24:25], v6
	v_cvt_pk_f32_fp8_sdwa v[34:35], v6 src0_sel:WORD_1
	v_mfma_f32_16x16x16_f16 v[14:17], v[36:37], v[4:5], v[14:17]
	v_cvt_pk_f32_fp8_e32 v[36:37], v7
	v_cvt_pkrtz_f16_f32 v24, v24, v25
	v_cvt_pkrtz_f16_f32 v25, v34, v35
	v_cvt_pk_f32_fp8_sdwa v[6:7], v7 src0_sel:WORD_1
	v_cvt_pkrtz_f16_f32 v40, v36, v37
	v_cvt_pk_f32_fp8_e32 v[50:51], v8
	v_cvt_pk_f32_fp8_sdwa v[52:53], v8 src0_sel:WORD_1
	v_cvt_pkrtz_f16_f32 v41, v6, v7
	v_mfma_f32_16x16x16_f16 v[34:37], v[24:25], v[10:11], 0
	v_cvt_pkrtz_f16_f32 v10, v50, v51
	v_cvt_pkrtz_f16_f32 v11, v52, v53
	v_cvt_pk_f32_fp8_e32 v[24:25], v9
	v_cvt_pk_f32_fp8_sdwa v[50:51], v9 src0_sel:WORD_1
	v_mfma_f32_16x16x16_f16 v[6:9], v[40:41], v[12:13], v[34:37]
	v_pk_mul_f32 v[40:41], v[48:49], v[20:21] op_sel_hi:[0,1]
	v_cvt_pkrtz_f16_f32 v12, v24, v25
	v_cvt_pkrtz_f16_f32 v13, v50, v51
	v_mfma_f32_16x16x16_f16 v[6:9], v[10:11], v[2:3], v[6:9]
	v_pk_mul_f32 v[36:37], v[48:49], v[22:23] op_sel_hi:[0,1]
	v_pk_mul_f32 v[24:25], v[48:49], v[16:17] op_sel_hi:[0,1]
	;; [unrolled: 1-line block ×3, first 2 shown]
	v_mfma_f32_16x16x16_f16 v[2:5], v[12:13], v[4:5], v[6:9]
	s_waitcnt vmcnt(3)
	v_mad_i64_i32 v[30:31], s[4:5], v70, s45, v[18:19]
	s_mov_b32 s33, 0xff7fffff
	s_nop 3
	v_pk_mul_f32 v[22:23], v[48:49], v[2:3] op_sel_hi:[0,1]
	v_and_b32_e32 v2, 0xc0, v0
	v_add_u32_e32 v2, s16, v2
	v_lshl_or_b32 v2, v42, 2, v2
	v_or_b32_e32 v3, 1, v2
	v_pk_mul_f32 v[20:21], v[48:49], v[4:5] op_sel_hi:[0,1]
	v_subrev_u32_e32 v4, s29, v3
	v_add_u32_e32 v6, 1, v4
	v_add_u32_e32 v7, 2, v4
	;; [unrolled: 1-line block ×3, first 2 shown]
	v_cvt_f32_i32_e32 v6, v6
	v_cvt_f32_i32_e32 v7, v7
	;; [unrolled: 1-line block ×3, first 2 shown]
	v_add_u32_e32 v9, 19, v4
	v_fmac_f32_e32 v39, v44, v6
	v_fma_f32 v32, v44, v7, v32
	v_fmac_f32_e32 v33, v44, v8
	v_add_u32_e32 v6, 16, v4
	v_add_u32_e32 v7, 17, v4
	;; [unrolled: 1-line block ×3, first 2 shown]
	v_cvt_f32_i32_e32 v6, v6
	v_cvt_f32_i32_e32 v7, v7
	;; [unrolled: 1-line block ×4, first 2 shown]
	v_fma_f32 v40, v44, v6, v40
	v_fmac_f32_e32 v41, v44, v7
	v_fma_f32 v36, v44, v8, v36
	v_add_u32_e32 v6, 32, v4
	v_add_u32_e32 v7, 33, v4
	;; [unrolled: 1-line block ×3, first 2 shown]
	v_cvt_f32_i32_e32 v6, v6
	v_cvt_f32_i32_e32 v7, v7
	v_cvt_f32_i32_e32 v8, v8
	v_cvt_f32_i32_e32 v5, v4
	v_fmac_f32_e32 v37, v44, v9
	v_add_u32_e32 v9, 35, v4
	v_fma_f32 v48, v44, v6, v34
	v_fmac_f32_e32 v35, v44, v7
	v_fma_f32 v24, v44, v8, v24
	v_add_u32_e32 v6, 48, v4
	v_add_u32_e32 v7, 49, v4
	;; [unrolled: 1-line block ×4, first 2 shown]
	v_cvt_f32_i32_e32 v4, v4
	v_cvt_f32_i32_e32 v6, v6
	;; [unrolled: 1-line block ×3, first 2 shown]
	v_fma_f32 v5, v44, v5, v38
	v_fmac_f32_e32 v21, v44, v4
	v_mov_b32_e32 v4, 0xff7fffff
	v_cmp_gt_i32_e64 s[4:5], s29, v2
	v_cmp_gt_i32_e64 s[34:35], s29, v3
	v_fma_f32 v22, v44, v6, v22
	v_cndmask_b32_e64 v6, v4, v5, s[4:5]
	v_cndmask_b32_e64 v3, v4, v39, s[34:35]
	v_fmac_f32_e32 v23, v44, v7
	v_max3_f32 v3, v6, s33, v3
	v_or_b32_e32 v6, 2, v2
	v_or_b32_e32 v7, 3, v2
	v_cmp_gt_i32_e64 s[36:37], s29, v6
	v_cmp_gt_i32_e64 s[38:39], s29, v7
	v_cvt_f32_i32_e32 v9, v9
	v_cndmask_b32_e64 v6, v4, v32, s[36:37]
	v_cndmask_b32_e64 v7, v4, v33, s[38:39]
	v_max3_f32 v3, v3, v6, v7
	v_or_b32_e32 v6, 16, v2
	v_or_b32_e32 v7, 17, v2
	v_cmp_gt_i32_e64 s[24:25], s29, v6
	v_cmp_gt_i32_e64 s[26:27], s29, v7
	v_fmac_f32_e32 v25, v44, v9
	v_cndmask_b32_e64 v6, v4, v40, s[24:25]
	v_cndmask_b32_e64 v7, v4, v41, s[26:27]
	v_max3_f32 v3, v3, v6, v7
	v_or_b32_e32 v6, 18, v2
	v_or_b32_e32 v7, 19, v2
	v_cmp_gt_i32_e64 s[20:21], s29, v6
	v_cmp_gt_i32_e64 s[22:23], s29, v7
	v_cvt_f32_i32_e32 v8, v8
	v_cndmask_b32_e64 v6, v4, v36, s[20:21]
	v_cndmask_b32_e64 v7, v4, v37, s[22:23]
	v_max3_f32 v3, v3, v6, v7
	v_or_b32_e32 v6, 32, v2
	v_or_b32_e32 v7, 33, v2
	v_cmp_gt_i32_e64 s[16:17], s29, v6
	v_cmp_gt_i32_e64 s[18:19], s29, v7
	v_fma_f32 v20, v44, v8, v20
	v_cndmask_b32_e64 v6, v4, v48, s[16:17]
	v_cndmask_b32_e64 v7, v4, v35, s[18:19]
	v_max3_f32 v3, v3, v6, v7
	v_or_b32_e32 v6, 34, v2
	v_or_b32_e32 v7, 35, v2
	v_cmp_gt_i32_e64 s[12:13], s29, v6
	v_cmp_gt_i32_e64 s[14:15], s29, v7
	s_nop 0
	v_cndmask_b32_e64 v6, v4, v24, s[12:13]
	v_cndmask_b32_e64 v7, v4, v25, s[14:15]
	v_max3_f32 v3, v3, v6, v7
	v_or_b32_e32 v6, 48, v2
	v_or_b32_e32 v7, 49, v2
	v_cmp_gt_i32_e64 s[8:9], s29, v6
	v_cmp_gt_i32_e64 s[10:11], s29, v7
	s_nop 0
	v_cndmask_b32_e64 v6, v4, v22, s[8:9]
	v_cndmask_b32_e64 v7, v4, v23, s[10:11]
	v_max3_f32 v3, v3, v6, v7
	v_or_b32_e32 v6, 50, v2
	v_or_b32_e32 v2, 51, v2
	v_cmp_gt_i32_e32 vcc, s29, v6
	v_cmp_gt_i32_e64 s[6:7], s29, v2
	s_nop 0
	v_cndmask_b32_e32 v6, v4, v20, vcc
	v_cndmask_b32_e64 v2, v4, v21, s[6:7]
	v_max3_f32 v4, v3, v6, v2
	v_mbcnt_lo_u32_b32 v2, -1, 0
	v_mbcnt_hi_u32_b32 v6, -1, v2
	v_and_b32_e32 v2, 64, v6
	v_add_u32_e32 v7, 64, v2
	v_xor_b32_e32 v2, 32, v6
	v_cmp_lt_i32_e64 s[40:41], v2, v7
	s_nop 1
	v_cndmask_b32_e64 v2, v6, v2, s[40:41]
	v_lshlrev_b32_e32 v44, 2, v2
	ds_bpermute_b32 v8, v44, v4
	s_waitcnt vmcnt(2)
	v_mad_i64_i32 v[2:3], s[40:41], v47, s45, v[18:19]
	global_load_dwordx4 v[14:17], v[30:31], off
	global_load_dwordx4 v[10:13], v[2:3], off
	v_xor_b32_e32 v3, 16, v6
	v_cmp_lt_i32_e64 s[40:41], v3, v7
	s_waitcnt lgkmcnt(0)
	v_max_f32_e32 v2, v8, v8
	v_max_f32_e32 v2, v4, v2
	v_cndmask_b32_e64 v3, v6, v3, s[40:41]
	v_lshlrev_b32_e32 v47, 2, v3
	ds_bpermute_b32 v3, v47, v2
	s_waitcnt vmcnt(3)
	v_mad_i64_i32 v[30:31], s[40:41], v45, s45, v[18:19]
	s_waitcnt vmcnt(2)
	v_mad_i64_i32 v[18:19], s[40:41], v46, s45, v[18:19]
	s_waitcnt lgkmcnt(0)
	v_max_f32_e32 v3, v3, v3
	v_max_f32_e32 v34, v2, v3
	v_sub_f32_e32 v2, v5, v34
	v_mul_f32_e32 v2, 0x3fb8aa3b, v2
	v_exp_f32_e32 v38, v2
	v_sub_f32_e32 v2, v39, v34
	v_mul_f32_e32 v2, 0x3fb8aa3b, v2
	v_exp_f32_e32 v39, v2
	global_load_dwordx4 v[6:9], v[30:31], off
	global_load_dwordx4 v[2:5], v[18:19], off
	v_sub_f32_e32 v31, v32, v34
	v_sub_f32_e32 v32, v33, v34
	v_mul_f32_e32 v31, 0x3fb8aa3b, v31
	v_mul_f32_e32 v32, 0x3fb8aa3b, v32
	v_exp_f32_e32 v31, v31
	v_exp_f32_e32 v32, v32
	v_cndmask_b32_e64 v18, 0, v38, s[4:5]
	v_cndmask_b32_e64 v19, 0, v39, s[34:35]
	;; [unrolled: 1-line block ×4, first 2 shown]
	v_sub_f32_e32 v31, v40, v34
	v_sub_f32_e32 v32, v41, v34
	v_mul_f32_e32 v31, 0x3fb8aa3b, v31
	v_mul_f32_e32 v32, 0x3fb8aa3b, v32
	v_exp_f32_e32 v31, v31
	v_exp_f32_e32 v32, v32
	v_add_f32_e32 v30, 0, v18
	v_add_f32_e32 v30, v30, v19
	;; [unrolled: 1-line block ×4, first 2 shown]
	v_cndmask_b32_e64 v30, 0, v31, s[24:25]
	v_cndmask_b32_e64 v31, 0, v32, s[26:27]
	v_sub_f32_e32 v32, v36, v34
	v_mul_f32_e32 v32, 0x3fb8aa3b, v32
	v_exp_f32_e32 v32, v32
	v_sub_f32_e32 v36, v37, v34
	v_add_f32_e32 v33, v33, v30
	v_mul_f32_e32 v36, 0x3fb8aa3b, v36
	v_exp_f32_e32 v37, v36
	v_add_f32_e32 v33, v33, v31
	v_cndmask_b32_e64 v36, 0, v32, s[20:21]
	v_add_f32_e32 v32, v33, v36
	v_sub_f32_e32 v33, v48, v34
	v_mul_f32_e32 v33, 0x3fb8aa3b, v33
	v_sub_f32_e32 v35, v35, v34
	v_exp_f32_e32 v33, v33
	v_mul_f32_e32 v35, 0x3fb8aa3b, v35
	v_sub_f32_e32 v24, v24, v34
	v_exp_f32_e32 v35, v35
	;; [unrolled: 3-line block ×3, first 2 shown]
	v_mul_f32_e32 v25, 0x3fb8aa3b, v25
	v_sub_f32_e32 v22, v22, v34
	v_cndmask_b32_e64 v37, 0, v37, s[22:23]
	v_exp_f32_e32 v25, v25
	v_mul_f32_e32 v22, 0x3fb8aa3b, v22
	v_sub_f32_e32 v23, v23, v34
	v_add_f32_e32 v40, v32, v37
	v_cndmask_b32_e64 v32, 0, v33, s[16:17]
	v_exp_f32_e32 v22, v22
	v_mul_f32_e32 v23, 0x3fb8aa3b, v23
	v_sub_f32_e32 v20, v20, v34
	v_add_f32_e32 v40, v40, v32
	;; [unrolled: 5-line block ×3, first 2 shown]
	v_cndmask_b32_e64 v24, 0, v24, s[12:13]
	v_exp_f32_e32 v20, v20
	v_mul_f32_e32 v21, 0x3fb8aa3b, v21
	v_add_f32_e32 v35, v35, v24
	v_cndmask_b32_e64 v25, 0, v25, s[14:15]
	v_exp_f32_e32 v21, v21
	v_add_f32_e32 v35, v35, v25
	v_cndmask_b32_e64 v22, 0, v22, s[8:9]
	v_add_f32_e32 v35, v35, v22
	v_cndmask_b32_e64 v23, 0, v23, s[10:11]
	v_add_f32_e32 v35, v35, v23
	v_cndmask_b32_e32 v20, 0, v20, vcc
	v_add_f32_e32 v35, v35, v20
	v_cndmask_b32_e64 v21, 0, v21, s[6:7]
	v_add_f32_e32 v35, v35, v21
	ds_bpermute_b32 v40, v44, v35
	s_load_dword s7, s[0:1], 0x98
	v_cmp_gt_u32_e32 vcc, 16, v43
	s_waitcnt lgkmcnt(0)
	s_barrier
	v_add_f32_e32 v40, v35, v40
	ds_bpermute_b32 v41, v47, v40
	v_lshlrev_b32_e32 v35, 2, v28
	s_waitcnt lgkmcnt(0)
	s_and_saveexec_b64 s[4:5], vcc
	s_cbranch_execz .LBB858_15
; %bb.14:
	v_add_f32_e32 v40, v40, v41
	v_lshl_or_b32 v41, v29, 6, v35
	ds_write2st64_b32 v41, v34, v40 offset1:1
.LBB858_15:
	s_or_b64 exec, exec, s[4:5]
	s_load_dword s6, s[0:1], 0x94
	s_waitcnt lgkmcnt(0)
	s_barrier
	ds_read2_b32 v[40:41], v35 offset1:16
	ds_read2_b32 v[44:45], v35 offset0:32 offset1:48
	ds_read2_b32 v[46:47], v35 offset0:64 offset1:80
	s_mul_i32 s7, s7, 11
	s_waitcnt lgkmcnt(2)
	v_max3_f32 v34, v40, s33, v41
	s_waitcnt lgkmcnt(1)
	v_max3_f32 v34, v34, v44, v45
	v_sub_f32_e32 v40, v40, v34
	v_mul_f32_e32 v40, 0x3fb8aa3b, v40
	v_exp_f32_e32 v43, v40
	v_sub_f32_e32 v40, v41, v34
	v_mul_f32_e32 v40, 0x3fb8aa3b, v40
	v_exp_f32_e32 v48, v40
	;; [unrolled: 3-line block ×3, first 2 shown]
	ds_read2_b32 v[40:41], v35 offset0:96 offset1:112
	v_sub_f32_e32 v35, v45, v34
	v_mul_f32_e32 v35, 0x3fb8aa3b, v35
	v_exp_f32_e32 v45, v35
	s_waitcnt lgkmcnt(1)
	v_fma_f32 v35, v43, v46, 0
	v_fmac_f32_e32 v35, v48, v47
	s_waitcnt lgkmcnt(0)
	v_fmac_f32_e32 v35, v44, v40
	v_fmac_f32_e32 v35, v45, v41
	v_add_f32_e32 v40, 0x358637bd, v35
	v_div_scale_f32 v41, s[4:5], v40, v40, 1.0
	v_rcp_f32_e32 v46, v41
	s_barrier
	v_fma_f32 v47, -v41, v46, 1.0
	v_fmac_f32_e32 v46, v47, v46
	v_div_scale_f32 v47, vcc, 1.0, v40, 1.0
	v_mul_f32_e32 v49, v47, v46
	v_fma_f32 v50, -v41, v49, v47
	v_fmac_f32_e32 v49, v50, v46
	v_fma_f32 v41, -v41, v49, v47
	v_div_fmas_f32 v41, v41, v46, v49
	v_cmp_eq_u32_e32 vcc, 1, v29
	v_div_fixup_f32 v40, v41, v40, 1.0
	s_nop 0
	v_cndmask_b32_e32 v41, v43, v48, vcc
	v_cmp_eq_u32_e32 vcc, 2, v29
	s_nop 1
	v_cndmask_b32_e32 v41, v41, v44, vcc
	v_cmp_eq_u32_e32 vcc, 3, v29
	s_nop 1
	v_cndmask_b32_e32 v41, v41, v45, vcc
	v_mul_f32_e32 v40, v41, v40
	v_pk_mul_f32 v[38:39], v[40:41], v[38:39] op_sel_hi:[0,1]
	v_pk_mul_f32 v[18:19], v[40:41], v[18:19] op_sel_hi:[0,1]
	v_cvt_f16_f32_e32 v41, v38
	v_cvt_f16_f32_e32 v39, v39
	;; [unrolled: 1-line block ×4, first 2 shown]
	v_cmp_gt_u32_e32 vcc, 11, v0
	v_pack_b32_f16 v39, v41, v39
	v_lshlrev_b32_e32 v41, 3, v42
	v_pack_b32_f16 v38, v18, v19
	v_pk_mul_f32 v[18:19], v[40:41], v[36:37] op_sel_hi:[0,1]
	v_pk_mul_f32 v[30:31], v[40:41], v[30:31] op_sel_hi:[0,1]
	v_cvt_f16_f32_e32 v30, v30
	v_cvt_f16_f32_e32 v31, v31
	;; [unrolled: 1-line block ×4, first 2 shown]
	v_lshlrev_b32_e32 v18, 11, v29
	v_or3_b32 v18, v18, v27, v41
	v_pack_b32_f16 v30, v30, v31
	v_pack_b32_f16 v31, v36, v19
	ds_write2st64_b64 v18, v[38:39], v[30:31] offset1:1
	v_pk_mul_f32 v[24:25], v[40:41], v[24:25] op_sel_hi:[0,1]
	v_pk_mul_f32 v[30:31], v[40:41], v[32:33] op_sel_hi:[0,1]
	;; [unrolled: 1-line block ×4, first 2 shown]
	v_cvt_f16_f32_e32 v19, v30
	v_cvt_f16_f32_e32 v29, v31
	;; [unrolled: 1-line block ×8, first 2 shown]
	v_pack_b32_f16 v20, v19, v29
	v_pack_b32_f16 v21, v24, v25
	;; [unrolled: 1-line block ×4, first 2 shown]
	ds_write2st64_b64 v18, v[20:21], v[22:23] offset0:2 offset1:3
	s_and_saveexec_b64 s[4:5], vcc
	s_cbranch_execz .LBB858_17
; %bb.16:
	s_mov_b32 s49, 0
	v_mov_b32_e32 v29, 0
	v_lshl_add_u64 v[20:21], s[48:49], 0, v[28:29]
	v_mov_b32_e32 v19, s7
	v_mad_u64_u32 v[20:21], s[12:13], s2, v19, v[20:21]
	s_mul_i32 s3, s3, s7
	v_mov_b32_e32 v28, s28
	s_load_dwordx4 s[8:11], s[0:1], 0x58
	v_add_u32_e32 v19, s3, v21
	v_mad_u64_u32 v[20:21], s[12:13], v20, s6, v[28:29]
	v_mov_b32_e32 v22, v21
	v_mad_u64_u32 v[22:23], s[12:13], v19, s6, v[22:23]
	v_mov_b32_e32 v21, v22
	v_lshlrev_b64 v[20:21], 2, v[20:21]
	s_waitcnt lgkmcnt(0)
	v_lshl_add_u64 v[22:23], s[10:11], 0, v[20:21]
	v_lshl_add_u64 v[20:21], s[8:9], 0, v[20:21]
	global_store_dword v[22:23], v34, off
	global_store_dword v[20:21], v35, off
.LBB858_17:
	s_or_b64 exec, exec, s[4:5]
	s_waitcnt vmcnt(3)
	v_cvt_pk_f32_fp8_e32 v[20:21], v14
	v_cvt_pk_f32_fp8_sdwa v[22:23], v14 src0_sel:WORD_1
	v_lshl_or_b32 v14, v42, 9, v27
	s_waitcnt lgkmcnt(0)
	s_barrier
	v_cvt_pk_f32_fp8_e32 v[24:25], v15
	v_cvt_pkrtz_f16_f32 v32, v20, v21
	v_cvt_pkrtz_f16_f32 v33, v22, v23
	v_cvt_pk_f32_fp8_sdwa v[28:29], v15 src0_sel:WORD_1
	ds_read_b128 v[20:23], v14
	v_cvt_pkrtz_f16_f32 v24, v24, v25
	v_cvt_pk_f32_fp8_e32 v[36:37], v16
	v_cvt_pkrtz_f16_f32 v25, v28, v29
	ds_read_b128 v[28:31], v14 offset:16
	v_cvt_pk_f32_fp8_sdwa v[38:39], v16 src0_sel:WORD_1
	s_waitcnt lgkmcnt(1)
	v_mfma_f32_16x16x16_f16 v[32:35], v[32:33], v[20:21], 0
	v_cvt_pkrtz_f16_f32 v36, v36, v37
	s_load_dword s4, s[42:43], 0x0
	v_cvt_pkrtz_f16_f32 v37, v38, v39
	v_cvt_pk_f32_fp8_e32 v[38:39], v17
	v_cvt_pk_f32_fp8_sdwa v[16:17], v17 src0_sel:WORD_1
	v_mfma_f32_16x16x16_f16 v[20:23], v[24:25], v[22:23], v[32:35]
	v_cmp_gt_u32_e32 vcc, 64, v0
	v_cvt_pkrtz_f16_f32 v24, v38, v39
	v_cvt_pkrtz_f16_f32 v25, v16, v17
	s_waitcnt lgkmcnt(0)
	v_mfma_f32_16x16x16_f16 v[20:23], v[36:37], v[28:29], v[20:23]
	s_waitcnt vmcnt(2)
	v_cvt_pk_f32_fp8_e32 v[16:17], v10
	v_cvt_pk_f32_fp8_e32 v[28:29], v11
	v_cvt_pk_f32_fp8_sdwa v[36:37], v12 src0_sel:WORD_1
	v_mfma_f32_16x16x16_f16 v[20:23], v[24:25], v[30:31], v[20:23]
	v_cvt_pk_f32_fp8_sdwa v[24:25], v10 src0_sel:WORD_1
	v_cvt_pkrtz_f16_f32 v10, v16, v17
	v_cvt_pk_f32_fp8_sdwa v[16:17], v11 src0_sel:WORD_1
	ds_read_b128 v[32:35], v14 offset:2064
	v_cvt_pkrtz_f16_f32 v11, v24, v25
	v_cvt_pkrtz_f16_f32 v24, v28, v29
	ds_read_b128 v[28:31], v14 offset:2048
	v_cvt_pkrtz_f16_f32 v25, v16, v17
	v_cvt_pk_f32_fp8_e32 v[16:17], v12
	s_waitcnt lgkmcnt(0)
	v_mfma_f32_16x16x16_f16 v[20:23], v[10:11], v[28:29], v[20:23]
	v_cvt_pkrtz_f16_f32 v10, v16, v17
	v_cvt_pkrtz_f16_f32 v11, v36, v37
	v_cvt_pk_f32_fp8_e32 v[16:17], v13
	v_mfma_f32_16x16x16_f16 v[20:23], v[24:25], v[30:31], v[20:23]
	v_cvt_pk_f32_fp8_sdwa v[24:25], v13 src0_sel:WORD_1
	ds_read_b128 v[28:31], v14 offset:4112
	v_cvt_pkrtz_f16_f32 v16, v16, v17
	v_mfma_f32_16x16x16_f16 v[10:13], v[10:11], v[32:33], v[20:23]
	v_cvt_pkrtz_f16_f32 v17, v24, v25
	s_waitcnt vmcnt(1)
	v_cvt_pk_f32_fp8_sdwa v[24:25], v7 src0_sel:WORD_1
	v_cvt_pk_f32_fp8_sdwa v[32:33], v8 src0_sel:WORD_1
	v_cvt_pk_f32_fp8_e32 v[20:21], v6
	v_mfma_f32_16x16x16_f16 v[10:13], v[16:17], v[34:35], v[10:13]
	v_cvt_pk_f32_fp8_sdwa v[16:17], v6 src0_sel:WORD_1
	v_cvt_pk_f32_fp8_e32 v[22:23], v7
	v_cvt_pkrtz_f16_f32 v6, v20, v21
	s_mov_b32 s3, 0
	v_cvt_pkrtz_f16_f32 v7, v16, v17
	v_cvt_pkrtz_f16_f32 v16, v22, v23
	ds_read_b128 v[20:23], v14 offset:4096
	v_cvt_pkrtz_f16_f32 v17, v24, v25
	v_cvt_pk_f32_fp8_e32 v[24:25], v8
	s_waitcnt lgkmcnt(0)
	v_mfma_f32_16x16x16_f16 v[10:13], v[6:7], v[20:21], v[10:13]
	v_cvt_pkrtz_f16_f32 v6, v24, v25
	v_cvt_pkrtz_f16_f32 v7, v32, v33
	v_cvt_pk_f32_fp8_e32 v[20:21], v9
	v_mfma_f32_16x16x16_f16 v[10:13], v[16:17], v[22:23], v[10:13]
	v_cvt_pk_f32_fp8_sdwa v[16:17], v9 src0_sel:WORD_1
	s_waitcnt vmcnt(0)
	v_cvt_pk_f32_fp8_sdwa v[24:25], v4 src0_sel:WORD_1
	v_cvt_pkrtz_f16_f32 v20, v20, v21
	v_mfma_f32_16x16x16_f16 v[6:9], v[6:7], v[28:29], v[10:13]
	v_cvt_pkrtz_f16_f32 v21, v16, v17
	v_cvt_pk_f32_fp8_e32 v[16:17], v3
	v_mov_b32_e32 v27, 0
	v_cvt_pk_f32_fp8_e32 v[10:11], v2
	v_cvt_pk_f32_fp8_sdwa v[12:13], v2 src0_sel:WORD_1
	v_mfma_f32_16x16x16_f16 v[6:9], v[20:21], v[30:31], v[6:9]
	v_cvt_pk_f32_fp8_sdwa v[20:21], v3 src0_sel:WORD_1
	v_cvt_pkrtz_f16_f32 v2, v10, v11
	v_cvt_pkrtz_f16_f32 v3, v12, v13
	ds_read_b128 v[10:13], v14 offset:6144
	v_cvt_pkrtz_f16_f32 v22, v16, v17
	v_cvt_pkrtz_f16_f32 v23, v20, v21
	v_cvt_pk_f32_fp8_e32 v[20:21], v4
	s_waitcnt lgkmcnt(0)
	v_mfma_f32_16x16x16_f16 v[6:9], v[2:3], v[10:11], v[6:9]
	ds_read_b128 v[14:17], v14 offset:6160
	v_cvt_pkrtz_f16_f32 v2, v20, v21
	v_cvt_pkrtz_f16_f32 v3, v24, v25
	v_cvt_pk_f32_fp8_e32 v[10:11], v5
	v_mfma_f32_16x16x16_f16 v[6:9], v[22:23], v[12:13], v[6:9]
	v_cvt_pk_f32_fp8_sdwa v[12:13], v5 src0_sel:WORD_1
	s_waitcnt lgkmcnt(0)
	v_cvt_pkrtz_f16_f32 v10, v10, v11
	v_mfma_f32_16x16x16_f16 v[2:5], v[2:3], v[14:15], v[6:9]
	v_cvt_pkrtz_f16_f32 v11, v12, v13
	s_barrier
	s_nop 0
	v_mfma_f32_16x16x16_f16 v[2:5], v[10:11], v[16:17], v[2:5]
	s_nop 6
	v_pk_mul_f32 v[4:5], v[4:5], s[4:5] op_sel_hi:[1,0]
	v_pk_mul_f32 v[2:3], v[2:3], s[4:5] op_sel_hi:[1,0]
	v_cvt_f16_f32_e32 v4, v4
	v_cvt_f16_f32_e32 v2, v2
	v_cvt_f16_f32_e32 v3, v3
	v_cvt_f16_f32_e32 v5, v5
	s_and_b64 s[4:5], vcc, s[30:31]
	v_pack_b32_f16 v2, v2, v3
	v_pack_b32_f16 v3, v4, v5
	ds_write_b64 v18, v[2:3]
	s_waitcnt lgkmcnt(0)
	s_barrier
	s_and_saveexec_b64 s[8:9], s[4:5]
	s_cbranch_execz .LBB858_20
; %bb.18:
	s_load_dwordx2 s[4:5], s[0:1], 0x68
	s_lshl_b32 s0, s6, 6
	s_mul_i32 s1, s7, s2
	s_mul_hi_u32 s7, s1, s0
	s_mul_i32 s6, s1, s0
	v_lshlrev_b32_e32 v0, 10, v0
	s_lshl_b64 s[6:7], s[6:7], 1
	v_and_b32_e32 v0, 0x1800, v0
	v_lshlrev_b32_e32 v2, 5, v42
	v_and_b32_e32 v1, 16, v1
	s_waitcnt lgkmcnt(0)
	s_add_u32 s1, s4, s6
	v_or3_b32 v2, v0, v2, v1
	s_addc_u32 s4, s5, s7
	s_lshl_b32 s2, s28, 6
	s_lshl_b64 s[2:3], s[2:3], 1
	ds_read_b128 v[4:7], v2 offset:128
	ds_read_b128 v[8:11], v2
	s_add_u32 s2, s1, s2
	s_addc_u32 s3, s4, s3
	v_add_u32_e32 v3, s48, v42
	v_lshl_add_u64 v[0:1], s[2:3], 0, v[26:27]
	v_mad_u64_u32 v[12:13], s[2:3], v3, s0, 0
	v_lshl_add_u64 v[12:13], v[12:13], 1, v[0:1]
	v_add_u32_e32 v3, 4, v3
	s_waitcnt lgkmcnt(0)
	global_store_dwordx4 v[12:13], v[8:11], off
	v_cmp_ne_u32_e32 vcc, 3, v42
	s_nop 0
	v_mad_u64_u32 v[8:9], s[2:3], v3, s0, 0
	v_lshl_add_u64 v[8:9], v[8:9], 1, v[0:1]
	global_store_dwordx4 v[8:9], v[4:7], off
	s_and_b64 exec, exec, vcc
	s_cbranch_execz .LBB858_20
; %bb.19:
	ds_read_b128 v[2:5], v2 offset:256
	v_add3_u32 v6, s48, v42, 8
	v_mad_u64_u32 v[6:7], s[0:1], v6, s0, 0
	v_lshl_add_u64 v[0:1], v[6:7], 1, v[0:1]
	s_waitcnt lgkmcnt(0)
	global_store_dwordx4 v[0:1], v[2:5], off
.LBB858_20:
	s_endpgm
	.section	.rodata,"a",@progbits
	.p2align	6, 0x0
	.amdhsa_kernel _Z39paged_attention_ll4mi_QKV_mfma16_kernelIDF16_hLN4vllm18Fp8KVCacheDataTypeE1EhLi32ELi64ELi256ELb1ELi11EEvPKT_PKT0_S7_ifPKiS9_S9_iPKfiiiPfSC_PS2_PT2_iSB_SB_
		.amdhsa_group_segment_fixed_size 8192
		.amdhsa_private_segment_fixed_size 0
		.amdhsa_kernarg_size 400
		.amdhsa_user_sgpr_count 2
		.amdhsa_user_sgpr_dispatch_ptr 0
		.amdhsa_user_sgpr_queue_ptr 0
		.amdhsa_user_sgpr_kernarg_segment_ptr 1
		.amdhsa_user_sgpr_dispatch_id 0
		.amdhsa_user_sgpr_kernarg_preload_length 0
		.amdhsa_user_sgpr_kernarg_preload_offset 0
		.amdhsa_user_sgpr_private_segment_size 0
		.amdhsa_uses_dynamic_stack 0
		.amdhsa_enable_private_segment 0
		.amdhsa_system_sgpr_workgroup_id_x 1
		.amdhsa_system_sgpr_workgroup_id_y 1
		.amdhsa_system_sgpr_workgroup_id_z 1
		.amdhsa_system_sgpr_workgroup_info 0
		.amdhsa_system_vgpr_workitem_id 0
		.amdhsa_next_free_vgpr 71
		.amdhsa_next_free_sgpr 50
		.amdhsa_accum_offset 72
		.amdhsa_reserve_vcc 1
		.amdhsa_float_round_mode_32 0
		.amdhsa_float_round_mode_16_64 0
		.amdhsa_float_denorm_mode_32 3
		.amdhsa_float_denorm_mode_16_64 3
		.amdhsa_dx10_clamp 1
		.amdhsa_ieee_mode 1
		.amdhsa_fp16_overflow 0
		.amdhsa_tg_split 0
		.amdhsa_exception_fp_ieee_invalid_op 0
		.amdhsa_exception_fp_denorm_src 0
		.amdhsa_exception_fp_ieee_div_zero 0
		.amdhsa_exception_fp_ieee_overflow 0
		.amdhsa_exception_fp_ieee_underflow 0
		.amdhsa_exception_fp_ieee_inexact 0
		.amdhsa_exception_int_div_zero 0
	.end_amdhsa_kernel
	.section	.text._Z39paged_attention_ll4mi_QKV_mfma16_kernelIDF16_hLN4vllm18Fp8KVCacheDataTypeE1EhLi32ELi64ELi256ELb1ELi11EEvPKT_PKT0_S7_ifPKiS9_S9_iPKfiiiPfSC_PS2_PT2_iSB_SB_,"axG",@progbits,_Z39paged_attention_ll4mi_QKV_mfma16_kernelIDF16_hLN4vllm18Fp8KVCacheDataTypeE1EhLi32ELi64ELi256ELb1ELi11EEvPKT_PKT0_S7_ifPKiS9_S9_iPKfiiiPfSC_PS2_PT2_iSB_SB_,comdat
.Lfunc_end858:
	.size	_Z39paged_attention_ll4mi_QKV_mfma16_kernelIDF16_hLN4vllm18Fp8KVCacheDataTypeE1EhLi32ELi64ELi256ELb1ELi11EEvPKT_PKT0_S7_ifPKiS9_S9_iPKfiiiPfSC_PS2_PT2_iSB_SB_, .Lfunc_end858-_Z39paged_attention_ll4mi_QKV_mfma16_kernelIDF16_hLN4vllm18Fp8KVCacheDataTypeE1EhLi32ELi64ELi256ELb1ELi11EEvPKT_PKT0_S7_ifPKiS9_S9_iPKfiiiPfSC_PS2_PT2_iSB_SB_
                                        ; -- End function
	.section	.AMDGPU.csdata,"",@progbits
; Kernel info:
; codeLenInByte = 4972
; NumSgprs: 56
; NumVgprs: 71
; NumAgprs: 0
; TotalNumVgprs: 71
; ScratchSize: 0
; MemoryBound: 0
; FloatMode: 240
; IeeeMode: 1
; LDSByteSize: 8192 bytes/workgroup (compile time only)
; SGPRBlocks: 6
; VGPRBlocks: 8
; NumSGPRsForWavesPerEU: 56
; NumVGPRsForWavesPerEU: 71
; AccumOffset: 72
; Occupancy: 7
; WaveLimiterHint : 1
; COMPUTE_PGM_RSRC2:SCRATCH_EN: 0
; COMPUTE_PGM_RSRC2:USER_SGPR: 2
; COMPUTE_PGM_RSRC2:TRAP_HANDLER: 0
; COMPUTE_PGM_RSRC2:TGID_X_EN: 1
; COMPUTE_PGM_RSRC2:TGID_Y_EN: 1
; COMPUTE_PGM_RSRC2:TGID_Z_EN: 1
; COMPUTE_PGM_RSRC2:TIDIG_COMP_CNT: 0
; COMPUTE_PGM_RSRC3_GFX90A:ACCUM_OFFSET: 17
; COMPUTE_PGM_RSRC3_GFX90A:TG_SPLIT: 0
	.section	.text._Z39paged_attention_ll4mi_QKV_mfma16_kernelIDF16_hLN4vllm18Fp8KVCacheDataTypeE1EhLi32ELi64ELi256ELb1ELi12EEvPKT_PKT0_S7_ifPKiS9_S9_iPKfiiiPfSC_PS2_PT2_iSB_SB_,"axG",@progbits,_Z39paged_attention_ll4mi_QKV_mfma16_kernelIDF16_hLN4vllm18Fp8KVCacheDataTypeE1EhLi32ELi64ELi256ELb1ELi12EEvPKT_PKT0_S7_ifPKiS9_S9_iPKfiiiPfSC_PS2_PT2_iSB_SB_,comdat
	.protected	_Z39paged_attention_ll4mi_QKV_mfma16_kernelIDF16_hLN4vllm18Fp8KVCacheDataTypeE1EhLi32ELi64ELi256ELb1ELi12EEvPKT_PKT0_S7_ifPKiS9_S9_iPKfiiiPfSC_PS2_PT2_iSB_SB_ ; -- Begin function _Z39paged_attention_ll4mi_QKV_mfma16_kernelIDF16_hLN4vllm18Fp8KVCacheDataTypeE1EhLi32ELi64ELi256ELb1ELi12EEvPKT_PKT0_S7_ifPKiS9_S9_iPKfiiiPfSC_PS2_PT2_iSB_SB_
	.globl	_Z39paged_attention_ll4mi_QKV_mfma16_kernelIDF16_hLN4vllm18Fp8KVCacheDataTypeE1EhLi32ELi64ELi256ELb1ELi12EEvPKT_PKT0_S7_ifPKiS9_S9_iPKfiiiPfSC_PS2_PT2_iSB_SB_
	.p2align	8
	.type	_Z39paged_attention_ll4mi_QKV_mfma16_kernelIDF16_hLN4vllm18Fp8KVCacheDataTypeE1EhLi32ELi64ELi256ELb1ELi12EEvPKT_PKT0_S7_ifPKiS9_S9_iPKfiiiPfSC_PS2_PT2_iSB_SB_,@function
_Z39paged_attention_ll4mi_QKV_mfma16_kernelIDF16_hLN4vllm18Fp8KVCacheDataTypeE1EhLi32ELi64ELi256ELb1ELi12EEvPKT_PKT0_S7_ifPKiS9_S9_iPKfiiiPfSC_PS2_PT2_iSB_SB_: ; @_Z39paged_attention_ll4mi_QKV_mfma16_kernelIDF16_hLN4vllm18Fp8KVCacheDataTypeE1EhLi32ELi64ELi256ELb1ELi12EEvPKT_PKT0_S7_ifPKiS9_S9_iPKfiiiPfSC_PS2_PT2_iSB_SB_
; %bb.0:
	s_load_dwordx2 s[6:7], s[0:1], 0x30
	s_mov_b32 s28, s3
	s_mov_b64 s[8:9], 0
	s_waitcnt lgkmcnt(0)
	s_cmp_lg_u64 s[6:7], 0
	s_cselect_b64 s[10:11], -1, 0
	s_and_b64 vcc, exec, s[10:11]
	s_cbranch_vccz .LBB859_7
; %bb.1:
	s_add_i32 s12, s2, 1
	s_mov_b32 s13, 0
	s_lshl_b64 s[14:15], s[12:13], 2
	s_add_u32 s14, s6, s14
	s_mov_b32 s3, s13
	s_addc_u32 s15, s7, s15
	s_lshl_b64 s[12:13], s[2:3], 2
	s_add_u32 s12, s6, s12
	s_addc_u32 s13, s7, s13
	s_load_dword s5, s[14:15], 0x0
	s_load_dword s16, s[12:13], 0x0
	s_waitcnt lgkmcnt(0)
	s_sub_i32 s5, s5, s16
	s_cmp_eq_u32 s5, 1
	s_cselect_b64 s[12:13], -1, 0
	s_andn2_b64 vcc, exec, s[8:9]
	s_cbranch_vccnz .LBB859_3
.LBB859_2:
	s_mov_b32 s3, 0
	s_mov_b64 s[12:13], -1
.LBB859_3:
	s_andn2_b64 vcc, exec, s[12:13]
	s_cbranch_vccnz .LBB859_19
; %bb.4:
	s_load_dwordx2 s[8:9], s[0:1], 0x28
	s_lshl_b64 s[12:13], s[2:3], 2
	s_waitcnt lgkmcnt(0)
	s_add_u32 s8, s8, s12
	s_addc_u32 s9, s9, s13
	s_load_dword s29, s[8:9], 0x0
	s_lshl_b32 s16, s28, 8
	s_waitcnt lgkmcnt(0)
	s_cmp_ge_i32 s16, s29
	s_cbranch_scc1 .LBB859_19
; %bb.5:
	s_load_dwordx2 s[8:9], s[0:1], 0x20
	s_load_dword s5, s[0:1], 0x38
	s_add_i32 s14, s29, 31
	s_ashr_i32 s15, s14, 31
	v_and_b32_e32 v1, 0xcf, v0
	s_lshr_b32 s15, s15, 27
	v_add_u32_e32 v1, s16, v1
	s_add_i32 s14, s14, s15
	v_ashrrev_i32_e32 v2, 31, v1
	s_ashr_i32 s17, s14, 5
	v_lshrrev_b32_e32 v4, 27, v2
	s_add_i32 s17, s17, -1
	s_waitcnt lgkmcnt(0)
	s_mul_i32 s14, s2, s5
	s_mov_b32 s15, 0
	v_add_u32_e32 v2, v1, v4
	s_lshl_b64 s[14:15], s[14:15], 2
	v_ashrrev_i32_e32 v2, 5, v2
	v_mov_b32_e32 v5, s17
	v_cmp_gt_i32_e32 vcc, s29, v1
	s_add_u32 s8, s8, s14
	s_addc_u32 s9, s9, s15
	v_cndmask_b32_e32 v2, v5, v2, vcc
	v_ashrrev_i32_e32 v3, 31, v2
	v_lshl_add_u64 v[6:7], v[2:3], 2, s[8:9]
	v_or_b32_e32 v2, 16, v1
	v_add_u32_e32 v3, v2, v4
	v_ashrrev_i32_e32 v3, 5, v3
	v_cmp_gt_i32_e32 vcc, s29, v2
	s_load_dwordx2 s[14:15], s[0:1], 0x8
	s_nop 0
	v_cndmask_b32_e32 v2, v5, v3, vcc
	v_ashrrev_i32_e32 v3, 31, v2
	v_lshl_add_u64 v[8:9], v[2:3], 2, s[8:9]
	v_or_b32_e32 v2, 32, v1
	v_add_u32_e32 v3, v2, v4
	v_ashrrev_i32_e32 v3, 5, v3
	v_cmp_gt_i32_e32 vcc, s29, v2
	v_or_b32_e32 v1, 48, v1
	s_nop 0
	v_cndmask_b32_e32 v2, v5, v3, vcc
	v_ashrrev_i32_e32 v3, 31, v2
	v_lshl_add_u64 v[10:11], v[2:3], 2, s[8:9]
	v_add_u32_e32 v2, v1, v4
	v_ashrrev_i32_e32 v2, 5, v2
	v_cmp_gt_i32_e32 vcc, s29, v1
	s_nop 1
	v_cndmask_b32_e32 v2, v5, v2, vcc
	v_ashrrev_i32_e32 v3, 31, v2
	v_lshl_add_u64 v[12:13], v[2:3], 2, s[8:9]
	global_load_dword v5, v[6:7], off
	global_load_dword v4, v[8:9], off
	;; [unrolled: 1-line block ×4, first 2 shown]
	s_andn2_b64 vcc, exec, s[10:11]
	s_cbranch_vccnz .LBB859_8
; %bb.6:
	s_add_u32 s6, s6, s12
	s_addc_u32 s7, s7, s13
	s_load_dword s5, s[6:7], 0x0
	s_branch .LBB859_9
.LBB859_7:
	s_mov_b64 s[12:13], 0
	s_branch .LBB859_2
.LBB859_8:
	s_mov_b32 s5, s2
.LBB859_9:
	s_load_dwordx2 s[10:11], s[0:1], 0x10
	s_load_dwordx4 s[44:47], s[0:1], 0x48
	v_and_b32_e32 v28, 15, v0
	s_movk_i32 s6, 0xc0
	v_lshlrev_b32_e32 v6, 3, v28
	v_cmp_gt_u32_e32 vcc, s6, v0
	v_cmp_gt_u32_e64 s[30:31], 8, v28
	v_lshrrev_b32_e32 v29, 6, v0
	v_bfe_u32 v1, v0, 4, 2
	s_mul_i32 s48, s4, 12
	s_and_b64 s[12:13], vcc, s[30:31]
	v_lshlrev_b32_e32 v26, 1, v6
	v_lshlrev_b32_e32 v42, 4, v0
	s_and_saveexec_b64 s[6:7], s[12:13]
	s_cbranch_execz .LBB859_11
; %bb.10:
	s_load_dwordx2 s[12:13], s[0:1], 0x0
	s_waitcnt lgkmcnt(0)
	s_ashr_i32 s18, s44, 31
	s_mul_hi_u32 s19, s5, s44
	s_mul_i32 s18, s5, s18
	s_add_i32 s19, s19, s18
	s_mul_i32 s18, s5, s44
	v_lshl_or_b32 v10, v29, 2, v1
	s_lshl_b64 s[18:19], s[18:19], 1
	s_add_u32 s12, s12, s18
	v_add_lshl_u32 v6, v10, s48, 6
	s_addc_u32 s13, s13, s19
	v_ashrrev_i32_e32 v7, 31, v6
	v_lshl_add_u64 v[6:7], v[6:7], 1, s[12:13]
	v_mov_b32_e32 v27, 0
	v_lshl_add_u64 v[6:7], v[6:7], 0, v[26:27]
	global_load_dwordx4 v[6:9], v[6:7], off
	v_lshlrev_b32_e32 v12, 8, v28
	v_lshlrev_b32_e32 v10, 5, v10
	v_and_b32_e32 v11, 16, v42
	v_and_b32_e32 v12, 0xe00, v12
	v_or3_b32 v10, v12, v10, v11
	s_waitcnt vmcnt(0)
	ds_write_b128 v10, v[6:9]
.LBB859_11:
	s_or_b64 exec, exec, s[6:7]
	s_waitcnt lgkmcnt(0)
	s_mul_i32 s12, s4, s46
	s_add_u32 s4, s14, s12
	s_addc_u32 s5, s15, 0
	v_mov_b32_e32 v31, 0
	v_mov_b64_e32 v[6:7], s[4:5]
	v_lshlrev_b32_e32 v10, 4, v28
	v_and_b32_e32 v27, 48, v0
	s_waitcnt vmcnt(3)
	v_mad_i64_i32 v[8:9], s[4:5], v5, s45, v[6:7]
	v_mov_b32_e32 v11, v31
	s_waitcnt vmcnt(2)
	v_mad_i64_i32 v[4:5], s[4:5], v4, s45, v[6:7]
	v_or_b32_e32 v12, 0x100, v10
	v_mov_b32_e32 v13, v31
	v_lshlrev_b32_e32 v30, 5, v27
	v_lshl_add_u64 v[8:9], v[8:9], 0, v[10:11]
	v_lshl_add_u64 v[4:5], v[4:5], 0, v[12:13]
	v_lshl_add_u64 v[8:9], v[8:9], 0, v[30:31]
	v_lshl_add_u64 v[4:5], v[4:5], 0, v[30:31]
	s_barrier
	global_load_dwordx4 v[22:25], v[8:9], off
	global_load_dwordx4 v[18:21], v[4:5], off
	s_waitcnt vmcnt(3)
	v_mad_i64_i32 v[4:5], s[4:5], v3, s45, v[6:7]
	v_lshl_add_u64 v[4:5], v[4:5], 0, v[10:11]
	s_waitcnt vmcnt(2)
	v_mad_i64_i32 v[2:3], s[4:5], v2, s45, v[6:7]
	v_lshl_add_u64 v[4:5], v[4:5], 0, v[30:31]
	v_lshl_add_u64 v[2:3], v[2:3], 0, v[12:13]
	;; [unrolled: 1-line block ×3, first 2 shown]
	global_load_dwordx4 v[14:17], v[4:5], off
	global_load_dwordx4 v[6:9], v[2:3], off
	v_add_u32_e32 v2, -12, v28
	v_cmp_gt_u32_e32 vcc, 12, v28
	v_and_b32_e32 v43, 63, v0
	v_mov_b32_e32 v44, 0
	v_cndmask_b32_e32 v2, v2, v28, vcc
	v_lshlrev_b32_e32 v2, 5, v2
	v_lshl_add_u32 v2, v1, 9, v2
	ds_read_b128 v[10:13], v2
	ds_read_b128 v[2:5], v2 offset:16
	s_and_saveexec_b64 s[4:5], vcc
	s_cbranch_execz .LBB859_13
; %bb.12:
	s_load_dwordx2 s[6:7], s[0:1], 0x40
	v_add_u32_e32 v32, s48, v28
	v_ashrrev_i32_e32 v33, 31, v32
	s_waitcnt lgkmcnt(0)
	v_lshl_add_u64 v[32:33], v[32:33], 2, s[6:7]
	global_load_dword v44, v[32:33], off
.LBB859_13:
	s_or_b64 exec, exec, s[4:5]
	s_ashr_i32 s4, s16, 31
	v_or_b32_e32 v45, s16, v27
	s_lshr_b32 s13, s4, 27
	v_add_u32_e32 v27, s13, v45
	v_ashrrev_i32_e32 v27, 5, v27
	s_waitcnt vmcnt(3)
	v_cvt_pk_f32_fp8_e32 v[32:33], v22
	v_cvt_pk_f32_fp8_sdwa v[34:35], v22 src0_sel:WORD_1
	s_waitcnt vmcnt(2)
	v_cvt_pk_f32_fp8_e32 v[56:57], v20
	v_cvt_pk_f32_fp8_sdwa v[58:59], v20 src0_sel:WORD_1
	v_mov_b32_e32 v20, s17
	v_cmp_gt_i32_e32 vcc, s29, v45
	v_cvt_pk_f32_fp8_e32 v[48:49], v18
	v_cvt_pk_f32_fp8_sdwa v[50:51], v18 src0_sel:WORD_1
	v_cndmask_b32_e32 v18, v20, v27, vcc
	v_cvt_pk_f32_fp8_e32 v[52:53], v19
	v_cvt_pk_f32_fp8_sdwa v[54:55], v19 src0_sel:WORD_1
	v_ashrrev_i32_e32 v19, 31, v18
	v_lshl_add_u64 v[18:19], v[18:19], 2, s[8:9]
	v_cvt_pk_f32_fp8_e32 v[36:37], v23
	v_cvt_pk_f32_fp8_sdwa v[22:23], v23 src0_sel:WORD_1
	global_load_dword v70, v[18:19], off
	v_cvt_pkrtz_f16_f32 v18, v32, v33
	v_cvt_pkrtz_f16_f32 v19, v34, v35
	v_cvt_pk_f32_fp8_e32 v[60:61], v21
	v_cvt_pk_f32_fp8_sdwa v[62:63], v21 src0_sel:WORD_1
	v_or_b32_e32 v21, 64, v45
	v_or_b32_e32 v32, 0x80, v45
	v_or_b32_e32 v33, 0xc0, v45
	v_cmp_gt_i32_e32 vcc, s29, v21
	v_add_u32_e32 v21, s13, v21
	v_cmp_gt_i32_e64 s[4:5], s29, v32
	v_add_u32_e32 v32, s13, v32
	v_cmp_gt_i32_e64 s[6:7], s29, v33
	v_add_u32_e32 v33, s13, v33
	v_cvt_pk_f32_fp8_e32 v[38:39], v24
	v_cvt_pk_f32_fp8_sdwa v[40:41], v24 src0_sel:WORD_1
	v_ashrrev_i32_e32 v21, 5, v21
	v_ashrrev_i32_e32 v34, 5, v32
	;; [unrolled: 1-line block ×3, first 2 shown]
	v_cvt_pkrtz_f16_f32 v32, v36, v37
	v_cvt_pkrtz_f16_f32 v33, v22, v23
	v_cndmask_b32_e32 v36, v20, v21, vcc
	v_cndmask_b32_e64 v64, v20, v34, s[4:5]
	v_cndmask_b32_e64 v66, v20, v35, s[6:7]
	s_waitcnt lgkmcnt(1)
	v_mfma_f32_16x16x16_f16 v[18:21], v[18:19], v[10:11], 0
	v_cvt_pk_f32_fp8_e32 v[46:47], v25
	v_cvt_pkrtz_f16_f32 v22, v48, v49
	v_cvt_pkrtz_f16_f32 v23, v50, v51
	v_cvt_pk_f32_fp8_sdwa v[24:25], v25 src0_sel:WORD_1
	v_cvt_pkrtz_f16_f32 v38, v38, v39
	v_cvt_pkrtz_f16_f32 v39, v40, v41
	v_mfma_f32_16x16x16_f16 v[32:35], v[32:33], v[12:13], v[18:21]
	s_add_u32 s10, s10, s12
	v_and_b32_e32 v30, 16, v0
	v_lshlrev_b32_e32 v27, 5, v28
	s_addc_u32 s11, s11, 0
	v_cvt_pkrtz_f16_f32 v68, v46, v47
	v_cvt_pkrtz_f16_f32 v46, v52, v53
	;; [unrolled: 1-line block ×3, first 2 shown]
	s_load_dword s14, s[0:1], 0x1c
	s_load_dwordx4 s[40:43], s[0:1], 0x80
	v_lshl_add_u64 v[40:41], s[10:11], 0, v[30:31]
	v_lshl_or_b32 v30, v29, 9, v27
	v_cvt_pkrtz_f16_f32 v69, v24, v25
	v_mfma_f32_16x16x16_f16 v[22:25], v[22:23], v[10:11], 0
	v_lshl_add_u64 v[18:19], v[40:41], 0, v[30:31]
	v_ashrrev_i32_e32 v37, 31, v36
	v_ashrrev_i32_e32 v65, 31, v64
	s_waitcnt lgkmcnt(0)
	v_mfma_f32_16x16x16_f16 v[30:33], v[38:39], v[2:3], v[32:35]
	v_ashrrev_i32_e32 v67, 31, v66
	v_cvt_pkrtz_f16_f32 v48, v56, v57
	v_cvt_pkrtz_f16_f32 v49, v58, v59
	v_mfma_f32_16x16x16_f16 v[20:23], v[46:47], v[12:13], v[22:25]
	v_lshl_add_u64 v[34:35], v[64:65], 2, s[8:9]
	s_load_dword s4, s[40:41], 0x0
	v_cvt_pkrtz_f16_f32 v50, v60, v61
	v_lshl_add_u64 v[24:25], v[36:37], 2, s[8:9]
	v_lshl_add_u64 v[36:37], v[66:67], 2, s[8:9]
	global_load_dword v47, v[24:25], off
	global_load_dword v45, v[34:35], off
	;; [unrolled: 1-line block ×3, first 2 shown]
	v_mfma_f32_16x16x16_f16 v[34:37], v[68:69], v[4:5], v[30:33]
	s_waitcnt vmcnt(5)
	v_cvt_pk_f32_fp8_e32 v[24:25], v14
	v_cvt_pkrtz_f16_f32 v51, v62, v63
	v_cvt_pk_f32_fp8_e32 v[38:39], v15
	v_cvt_pk_f32_fp8_sdwa v[32:33], v14 src0_sel:WORD_1
	v_mfma_f32_16x16x16_f16 v[20:23], v[48:49], v[2:3], v[20:23]
	v_cvt_pkrtz_f16_f32 v24, v24, v25
	v_cvt_pk_f32_fp8_sdwa v[14:15], v15 src0_sel:WORD_1
	v_cvt_pkrtz_f16_f32 v25, v32, v33
	v_mov_b32_e32 v40, s14
	v_mfma_f32_16x16x16_f16 v[20:23], v[50:51], v[4:5], v[20:23]
	v_cvt_pkrtz_f16_f32 v32, v38, v39
	v_cvt_pk_f32_fp8_e32 v[50:51], v16
	v_cvt_pk_f32_fp8_sdwa v[52:53], v16 src0_sel:WORD_1
	v_cvt_pkrtz_f16_f32 v33, v14, v15
	s_waitcnt lgkmcnt(0)
	v_mul_f32_e32 v48, s4, v40
	v_mfma_f32_16x16x16_f16 v[38:41], v[24:25], v[10:11], 0
	v_cvt_pkrtz_f16_f32 v24, v50, v51
	v_cvt_pkrtz_f16_f32 v25, v52, v53
	v_cvt_pk_f32_fp8_e32 v[50:51], v17
	v_cvt_pk_f32_fp8_sdwa v[52:53], v17 src0_sel:WORD_1
	v_mfma_f32_16x16x16_f16 v[14:17], v[32:33], v[12:13], v[38:41]
	v_pk_mul_f32 v[32:33], v[48:49], v[36:37] op_sel_hi:[0,1]
	v_cvt_pkrtz_f16_f32 v36, v50, v51
	v_cvt_pkrtz_f16_f32 v37, v52, v53
	v_mfma_f32_16x16x16_f16 v[14:17], v[24:25], v[2:3], v[14:17]
	v_pk_mul_f32 v[38:39], v[48:49], v[34:35] op_sel_hi:[0,1]
	s_waitcnt vmcnt(4)
	v_cvt_pk_f32_fp8_e32 v[24:25], v6
	v_cvt_pk_f32_fp8_sdwa v[34:35], v6 src0_sel:WORD_1
	v_mfma_f32_16x16x16_f16 v[14:17], v[36:37], v[4:5], v[14:17]
	v_cvt_pk_f32_fp8_e32 v[36:37], v7
	v_cvt_pkrtz_f16_f32 v24, v24, v25
	v_cvt_pkrtz_f16_f32 v25, v34, v35
	v_cvt_pk_f32_fp8_sdwa v[6:7], v7 src0_sel:WORD_1
	v_cvt_pkrtz_f16_f32 v40, v36, v37
	v_cvt_pk_f32_fp8_e32 v[50:51], v8
	v_cvt_pk_f32_fp8_sdwa v[52:53], v8 src0_sel:WORD_1
	v_cvt_pkrtz_f16_f32 v41, v6, v7
	v_mfma_f32_16x16x16_f16 v[34:37], v[24:25], v[10:11], 0
	v_cvt_pkrtz_f16_f32 v10, v50, v51
	v_cvt_pkrtz_f16_f32 v11, v52, v53
	v_cvt_pk_f32_fp8_e32 v[24:25], v9
	v_cvt_pk_f32_fp8_sdwa v[50:51], v9 src0_sel:WORD_1
	v_mfma_f32_16x16x16_f16 v[6:9], v[40:41], v[12:13], v[34:37]
	v_pk_mul_f32 v[40:41], v[48:49], v[20:21] op_sel_hi:[0,1]
	v_cvt_pkrtz_f16_f32 v12, v24, v25
	v_cvt_pkrtz_f16_f32 v13, v50, v51
	v_mfma_f32_16x16x16_f16 v[6:9], v[10:11], v[2:3], v[6:9]
	v_pk_mul_f32 v[36:37], v[48:49], v[22:23] op_sel_hi:[0,1]
	v_pk_mul_f32 v[24:25], v[48:49], v[16:17] op_sel_hi:[0,1]
	;; [unrolled: 1-line block ×3, first 2 shown]
	v_mfma_f32_16x16x16_f16 v[2:5], v[12:13], v[4:5], v[6:9]
	s_waitcnt vmcnt(3)
	v_mad_i64_i32 v[30:31], s[4:5], v70, s45, v[18:19]
	s_mov_b32 s33, 0xff7fffff
	s_nop 3
	v_pk_mul_f32 v[22:23], v[48:49], v[2:3] op_sel_hi:[0,1]
	v_and_b32_e32 v2, 0xc0, v0
	v_add_u32_e32 v2, s16, v2
	v_lshl_or_b32 v2, v1, 2, v2
	v_or_b32_e32 v3, 1, v2
	v_pk_mul_f32 v[20:21], v[48:49], v[4:5] op_sel_hi:[0,1]
	v_subrev_u32_e32 v4, s29, v3
	v_add_u32_e32 v6, 1, v4
	v_add_u32_e32 v7, 2, v4
	;; [unrolled: 1-line block ×3, first 2 shown]
	v_cvt_f32_i32_e32 v6, v6
	v_cvt_f32_i32_e32 v7, v7
	;; [unrolled: 1-line block ×3, first 2 shown]
	v_add_u32_e32 v9, 19, v4
	v_fmac_f32_e32 v39, v44, v6
	v_fma_f32 v32, v44, v7, v32
	v_fmac_f32_e32 v33, v44, v8
	v_add_u32_e32 v6, 16, v4
	v_add_u32_e32 v7, 17, v4
	;; [unrolled: 1-line block ×3, first 2 shown]
	v_cvt_f32_i32_e32 v6, v6
	v_cvt_f32_i32_e32 v7, v7
	;; [unrolled: 1-line block ×4, first 2 shown]
	v_fma_f32 v40, v44, v6, v40
	v_fmac_f32_e32 v41, v44, v7
	v_fma_f32 v36, v44, v8, v36
	v_add_u32_e32 v6, 32, v4
	v_add_u32_e32 v7, 33, v4
	;; [unrolled: 1-line block ×3, first 2 shown]
	v_cvt_f32_i32_e32 v6, v6
	v_cvt_f32_i32_e32 v7, v7
	;; [unrolled: 1-line block ×4, first 2 shown]
	v_fmac_f32_e32 v37, v44, v9
	v_add_u32_e32 v9, 35, v4
	v_fma_f32 v48, v44, v6, v34
	v_fmac_f32_e32 v35, v44, v7
	v_fma_f32 v24, v44, v8, v24
	v_add_u32_e32 v6, 48, v4
	v_add_u32_e32 v7, 49, v4
	;; [unrolled: 1-line block ×4, first 2 shown]
	v_cvt_f32_i32_e32 v4, v4
	v_cvt_f32_i32_e32 v6, v6
	;; [unrolled: 1-line block ×3, first 2 shown]
	v_fma_f32 v5, v44, v5, v38
	v_fmac_f32_e32 v21, v44, v4
	v_mov_b32_e32 v4, 0xff7fffff
	v_cmp_gt_i32_e64 s[4:5], s29, v2
	v_cmp_gt_i32_e64 s[34:35], s29, v3
	v_fma_f32 v22, v44, v6, v22
	v_cndmask_b32_e64 v6, v4, v5, s[4:5]
	v_cndmask_b32_e64 v3, v4, v39, s[34:35]
	v_fmac_f32_e32 v23, v44, v7
	v_max3_f32 v3, v6, s33, v3
	v_or_b32_e32 v6, 2, v2
	v_or_b32_e32 v7, 3, v2
	v_cmp_gt_i32_e64 s[36:37], s29, v6
	v_cmp_gt_i32_e64 s[38:39], s29, v7
	v_cvt_f32_i32_e32 v9, v9
	v_cndmask_b32_e64 v6, v4, v32, s[36:37]
	v_cndmask_b32_e64 v7, v4, v33, s[38:39]
	v_max3_f32 v3, v3, v6, v7
	v_or_b32_e32 v6, 16, v2
	v_or_b32_e32 v7, 17, v2
	v_cmp_gt_i32_e64 s[24:25], s29, v6
	v_cmp_gt_i32_e64 s[26:27], s29, v7
	v_fmac_f32_e32 v25, v44, v9
	v_cndmask_b32_e64 v6, v4, v40, s[24:25]
	v_cndmask_b32_e64 v7, v4, v41, s[26:27]
	v_max3_f32 v3, v3, v6, v7
	v_or_b32_e32 v6, 18, v2
	v_or_b32_e32 v7, 19, v2
	v_cmp_gt_i32_e64 s[20:21], s29, v6
	v_cmp_gt_i32_e64 s[22:23], s29, v7
	v_cvt_f32_i32_e32 v8, v8
	v_cndmask_b32_e64 v6, v4, v36, s[20:21]
	v_cndmask_b32_e64 v7, v4, v37, s[22:23]
	v_max3_f32 v3, v3, v6, v7
	v_or_b32_e32 v6, 32, v2
	v_or_b32_e32 v7, 33, v2
	v_cmp_gt_i32_e64 s[16:17], s29, v6
	v_cmp_gt_i32_e64 s[18:19], s29, v7
	v_fma_f32 v20, v44, v8, v20
	v_cndmask_b32_e64 v6, v4, v48, s[16:17]
	v_cndmask_b32_e64 v7, v4, v35, s[18:19]
	v_max3_f32 v3, v3, v6, v7
	v_or_b32_e32 v6, 34, v2
	v_or_b32_e32 v7, 35, v2
	v_cmp_gt_i32_e64 s[12:13], s29, v6
	v_cmp_gt_i32_e64 s[14:15], s29, v7
	s_nop 0
	v_cndmask_b32_e64 v6, v4, v24, s[12:13]
	v_cndmask_b32_e64 v7, v4, v25, s[14:15]
	v_max3_f32 v3, v3, v6, v7
	v_or_b32_e32 v6, 48, v2
	v_or_b32_e32 v7, 49, v2
	v_cmp_gt_i32_e64 s[8:9], s29, v6
	v_cmp_gt_i32_e64 s[10:11], s29, v7
	s_nop 0
	v_cndmask_b32_e64 v6, v4, v22, s[8:9]
	v_cndmask_b32_e64 v7, v4, v23, s[10:11]
	v_max3_f32 v3, v3, v6, v7
	v_or_b32_e32 v6, 50, v2
	v_or_b32_e32 v2, 51, v2
	v_cmp_gt_i32_e32 vcc, s29, v6
	v_cmp_gt_i32_e64 s[6:7], s29, v2
	s_nop 0
	v_cndmask_b32_e32 v6, v4, v20, vcc
	v_cndmask_b32_e64 v2, v4, v21, s[6:7]
	v_max3_f32 v4, v3, v6, v2
	v_mbcnt_lo_u32_b32 v2, -1, 0
	v_mbcnt_hi_u32_b32 v6, -1, v2
	v_and_b32_e32 v2, 64, v6
	v_add_u32_e32 v7, 64, v2
	v_xor_b32_e32 v2, 32, v6
	v_cmp_lt_i32_e64 s[40:41], v2, v7
	s_nop 1
	v_cndmask_b32_e64 v2, v6, v2, s[40:41]
	v_lshlrev_b32_e32 v44, 2, v2
	ds_bpermute_b32 v8, v44, v4
	s_waitcnt vmcnt(2)
	v_mad_i64_i32 v[2:3], s[40:41], v47, s45, v[18:19]
	global_load_dwordx4 v[14:17], v[30:31], off
	global_load_dwordx4 v[10:13], v[2:3], off
	v_xor_b32_e32 v3, 16, v6
	v_cmp_lt_i32_e64 s[40:41], v3, v7
	s_waitcnt lgkmcnt(0)
	v_max_f32_e32 v2, v8, v8
	v_max_f32_e32 v2, v4, v2
	v_cndmask_b32_e64 v3, v6, v3, s[40:41]
	v_lshlrev_b32_e32 v47, 2, v3
	ds_bpermute_b32 v3, v47, v2
	s_waitcnt vmcnt(3)
	v_mad_i64_i32 v[30:31], s[40:41], v45, s45, v[18:19]
	s_waitcnt vmcnt(2)
	v_mad_i64_i32 v[18:19], s[40:41], v46, s45, v[18:19]
	s_waitcnt lgkmcnt(0)
	v_max_f32_e32 v3, v3, v3
	v_max_f32_e32 v34, v2, v3
	v_sub_f32_e32 v2, v5, v34
	v_mul_f32_e32 v2, 0x3fb8aa3b, v2
	v_exp_f32_e32 v38, v2
	v_sub_f32_e32 v2, v39, v34
	v_mul_f32_e32 v2, 0x3fb8aa3b, v2
	v_exp_f32_e32 v39, v2
	global_load_dwordx4 v[6:9], v[30:31], off
	global_load_dwordx4 v[2:5], v[18:19], off
	v_sub_f32_e32 v31, v32, v34
	v_sub_f32_e32 v32, v33, v34
	v_mul_f32_e32 v31, 0x3fb8aa3b, v31
	v_mul_f32_e32 v32, 0x3fb8aa3b, v32
	v_exp_f32_e32 v31, v31
	v_exp_f32_e32 v32, v32
	v_cndmask_b32_e64 v18, 0, v38, s[4:5]
	v_cndmask_b32_e64 v19, 0, v39, s[34:35]
	;; [unrolled: 1-line block ×4, first 2 shown]
	v_sub_f32_e32 v31, v40, v34
	v_sub_f32_e32 v32, v41, v34
	v_mul_f32_e32 v31, 0x3fb8aa3b, v31
	v_mul_f32_e32 v32, 0x3fb8aa3b, v32
	v_exp_f32_e32 v31, v31
	v_exp_f32_e32 v32, v32
	v_add_f32_e32 v30, 0, v18
	v_add_f32_e32 v30, v30, v19
	;; [unrolled: 1-line block ×4, first 2 shown]
	v_cndmask_b32_e64 v30, 0, v31, s[24:25]
	v_cndmask_b32_e64 v31, 0, v32, s[26:27]
	v_sub_f32_e32 v32, v36, v34
	v_mul_f32_e32 v32, 0x3fb8aa3b, v32
	v_exp_f32_e32 v32, v32
	v_sub_f32_e32 v36, v37, v34
	v_add_f32_e32 v33, v33, v30
	v_mul_f32_e32 v36, 0x3fb8aa3b, v36
	v_exp_f32_e32 v37, v36
	v_add_f32_e32 v33, v33, v31
	v_cndmask_b32_e64 v36, 0, v32, s[20:21]
	v_add_f32_e32 v32, v33, v36
	v_sub_f32_e32 v33, v48, v34
	v_mul_f32_e32 v33, 0x3fb8aa3b, v33
	v_sub_f32_e32 v35, v35, v34
	v_exp_f32_e32 v33, v33
	v_mul_f32_e32 v35, 0x3fb8aa3b, v35
	v_sub_f32_e32 v24, v24, v34
	v_exp_f32_e32 v35, v35
	;; [unrolled: 3-line block ×3, first 2 shown]
	v_mul_f32_e32 v25, 0x3fb8aa3b, v25
	v_sub_f32_e32 v22, v22, v34
	v_cndmask_b32_e64 v37, 0, v37, s[22:23]
	v_exp_f32_e32 v25, v25
	v_mul_f32_e32 v22, 0x3fb8aa3b, v22
	v_sub_f32_e32 v23, v23, v34
	v_add_f32_e32 v40, v32, v37
	v_cndmask_b32_e64 v32, 0, v33, s[16:17]
	v_exp_f32_e32 v22, v22
	v_mul_f32_e32 v23, 0x3fb8aa3b, v23
	v_sub_f32_e32 v20, v20, v34
	v_add_f32_e32 v40, v40, v32
	;; [unrolled: 5-line block ×3, first 2 shown]
	v_cndmask_b32_e64 v24, 0, v24, s[12:13]
	v_exp_f32_e32 v20, v20
	v_mul_f32_e32 v21, 0x3fb8aa3b, v21
	v_add_f32_e32 v35, v35, v24
	v_cndmask_b32_e64 v25, 0, v25, s[14:15]
	v_exp_f32_e32 v21, v21
	v_add_f32_e32 v35, v35, v25
	v_cndmask_b32_e64 v22, 0, v22, s[8:9]
	v_add_f32_e32 v35, v35, v22
	v_cndmask_b32_e64 v23, 0, v23, s[10:11]
	v_add_f32_e32 v35, v35, v23
	v_cndmask_b32_e32 v20, 0, v20, vcc
	v_add_f32_e32 v35, v35, v20
	v_cndmask_b32_e64 v21, 0, v21, s[6:7]
	v_add_f32_e32 v35, v35, v21
	ds_bpermute_b32 v40, v44, v35
	s_load_dword s7, s[0:1], 0x98
	v_cmp_gt_u32_e32 vcc, 16, v43
	s_waitcnt lgkmcnt(0)
	s_barrier
	v_add_f32_e32 v40, v35, v40
	ds_bpermute_b32 v41, v47, v40
	v_lshlrev_b32_e32 v35, 2, v28
	s_waitcnt lgkmcnt(0)
	s_and_saveexec_b64 s[4:5], vcc
	s_cbranch_execz .LBB859_15
; %bb.14:
	v_add_f32_e32 v40, v40, v41
	v_lshl_or_b32 v41, v29, 6, v35
	ds_write2st64_b32 v41, v34, v40 offset1:1
.LBB859_15:
	s_or_b64 exec, exec, s[4:5]
	s_load_dword s6, s[0:1], 0x94
	s_waitcnt lgkmcnt(0)
	s_barrier
	ds_read2_b32 v[40:41], v35 offset1:16
	ds_read2_b32 v[44:45], v35 offset0:32 offset1:48
	ds_read2_b32 v[46:47], v35 offset0:64 offset1:80
	s_mul_i32 s7, s7, 12
	s_waitcnt lgkmcnt(2)
	v_max3_f32 v34, v40, s33, v41
	s_waitcnt lgkmcnt(1)
	v_max3_f32 v34, v34, v44, v45
	v_sub_f32_e32 v40, v40, v34
	v_mul_f32_e32 v40, 0x3fb8aa3b, v40
	v_exp_f32_e32 v43, v40
	v_sub_f32_e32 v40, v41, v34
	v_mul_f32_e32 v40, 0x3fb8aa3b, v40
	v_exp_f32_e32 v48, v40
	;; [unrolled: 3-line block ×3, first 2 shown]
	ds_read2_b32 v[40:41], v35 offset0:96 offset1:112
	v_sub_f32_e32 v35, v45, v34
	v_mul_f32_e32 v35, 0x3fb8aa3b, v35
	v_exp_f32_e32 v45, v35
	s_waitcnt lgkmcnt(1)
	v_fma_f32 v35, v43, v46, 0
	v_fmac_f32_e32 v35, v48, v47
	s_waitcnt lgkmcnt(0)
	v_fmac_f32_e32 v35, v44, v40
	v_fmac_f32_e32 v35, v45, v41
	v_add_f32_e32 v40, 0x358637bd, v35
	v_div_scale_f32 v41, s[4:5], v40, v40, 1.0
	v_rcp_f32_e32 v46, v41
	s_barrier
	v_fma_f32 v47, -v41, v46, 1.0
	v_fmac_f32_e32 v46, v47, v46
	v_div_scale_f32 v47, vcc, 1.0, v40, 1.0
	v_mul_f32_e32 v49, v47, v46
	v_fma_f32 v50, -v41, v49, v47
	v_fmac_f32_e32 v49, v50, v46
	v_fma_f32 v41, -v41, v49, v47
	v_div_fmas_f32 v41, v41, v46, v49
	v_cmp_eq_u32_e32 vcc, 1, v29
	v_div_fixup_f32 v40, v41, v40, 1.0
	s_nop 0
	v_cndmask_b32_e32 v41, v43, v48, vcc
	v_cmp_eq_u32_e32 vcc, 2, v29
	s_nop 1
	v_cndmask_b32_e32 v41, v41, v44, vcc
	v_cmp_eq_u32_e32 vcc, 3, v29
	s_nop 1
	v_cndmask_b32_e32 v41, v41, v45, vcc
	v_mul_f32_e32 v40, v41, v40
	v_pk_mul_f32 v[38:39], v[40:41], v[38:39] op_sel_hi:[0,1]
	v_pk_mul_f32 v[18:19], v[40:41], v[18:19] op_sel_hi:[0,1]
	v_cvt_f16_f32_e32 v41, v38
	v_cvt_f16_f32_e32 v39, v39
	;; [unrolled: 1-line block ×4, first 2 shown]
	v_cmp_gt_u32_e32 vcc, 12, v0
	v_pack_b32_f16 v39, v41, v39
	v_lshlrev_b32_e32 v41, 3, v1
	v_pack_b32_f16 v38, v18, v19
	v_pk_mul_f32 v[18:19], v[40:41], v[36:37] op_sel_hi:[0,1]
	v_pk_mul_f32 v[30:31], v[40:41], v[30:31] op_sel_hi:[0,1]
	v_cvt_f16_f32_e32 v30, v30
	v_cvt_f16_f32_e32 v31, v31
	;; [unrolled: 1-line block ×4, first 2 shown]
	v_lshlrev_b32_e32 v18, 11, v29
	v_or3_b32 v18, v18, v27, v41
	v_pack_b32_f16 v30, v30, v31
	v_pack_b32_f16 v31, v36, v19
	ds_write2st64_b64 v18, v[38:39], v[30:31] offset1:1
	v_pk_mul_f32 v[24:25], v[40:41], v[24:25] op_sel_hi:[0,1]
	v_pk_mul_f32 v[30:31], v[40:41], v[32:33] op_sel_hi:[0,1]
	;; [unrolled: 1-line block ×4, first 2 shown]
	v_cvt_f16_f32_e32 v19, v30
	v_cvt_f16_f32_e32 v29, v31
	;; [unrolled: 1-line block ×8, first 2 shown]
	v_pack_b32_f16 v20, v19, v29
	v_pack_b32_f16 v21, v24, v25
	;; [unrolled: 1-line block ×4, first 2 shown]
	ds_write2st64_b64 v18, v[20:21], v[22:23] offset0:2 offset1:3
	s_and_saveexec_b64 s[4:5], vcc
	s_cbranch_execz .LBB859_17
; %bb.16:
	s_mov_b32 s49, 0
	v_mov_b32_e32 v29, 0
	v_lshl_add_u64 v[20:21], s[48:49], 0, v[28:29]
	v_mov_b32_e32 v19, s7
	v_mad_u64_u32 v[20:21], s[12:13], s2, v19, v[20:21]
	s_mul_i32 s3, s3, s7
	v_mov_b32_e32 v28, s28
	s_load_dwordx4 s[8:11], s[0:1], 0x58
	v_add_u32_e32 v19, s3, v21
	v_mad_u64_u32 v[20:21], s[12:13], v20, s6, v[28:29]
	v_mov_b32_e32 v22, v21
	v_mad_u64_u32 v[22:23], s[12:13], v19, s6, v[22:23]
	v_mov_b32_e32 v21, v22
	v_lshlrev_b64 v[20:21], 2, v[20:21]
	s_waitcnt lgkmcnt(0)
	v_lshl_add_u64 v[22:23], s[10:11], 0, v[20:21]
	v_lshl_add_u64 v[20:21], s[8:9], 0, v[20:21]
	global_store_dword v[22:23], v34, off
	global_store_dword v[20:21], v35, off
.LBB859_17:
	s_or_b64 exec, exec, s[4:5]
	s_waitcnt vmcnt(3)
	v_cvt_pk_f32_fp8_e32 v[20:21], v14
	v_cvt_pk_f32_fp8_sdwa v[22:23], v14 src0_sel:WORD_1
	v_lshl_or_b32 v14, v1, 9, v27
	s_waitcnt lgkmcnt(0)
	s_barrier
	v_cvt_pk_f32_fp8_e32 v[24:25], v15
	v_cvt_pkrtz_f16_f32 v32, v20, v21
	v_cvt_pkrtz_f16_f32 v33, v22, v23
	v_cvt_pk_f32_fp8_sdwa v[28:29], v15 src0_sel:WORD_1
	ds_read_b128 v[20:23], v14
	v_cvt_pkrtz_f16_f32 v24, v24, v25
	v_cvt_pk_f32_fp8_e32 v[36:37], v16
	v_cvt_pkrtz_f16_f32 v25, v28, v29
	ds_read_b128 v[28:31], v14 offset:16
	v_cvt_pk_f32_fp8_sdwa v[38:39], v16 src0_sel:WORD_1
	s_waitcnt lgkmcnt(1)
	v_mfma_f32_16x16x16_f16 v[32:35], v[32:33], v[20:21], 0
	v_cvt_pkrtz_f16_f32 v36, v36, v37
	s_load_dword s4, s[42:43], 0x0
	v_cvt_pkrtz_f16_f32 v37, v38, v39
	v_cvt_pk_f32_fp8_e32 v[38:39], v17
	v_cvt_pk_f32_fp8_sdwa v[16:17], v17 src0_sel:WORD_1
	v_mfma_f32_16x16x16_f16 v[20:23], v[24:25], v[22:23], v[32:35]
	v_cmp_gt_u32_e32 vcc, 64, v0
	v_cvt_pkrtz_f16_f32 v24, v38, v39
	v_cvt_pkrtz_f16_f32 v25, v16, v17
	s_waitcnt lgkmcnt(0)
	v_mfma_f32_16x16x16_f16 v[20:23], v[36:37], v[28:29], v[20:23]
	s_waitcnt vmcnt(2)
	v_cvt_pk_f32_fp8_e32 v[16:17], v10
	v_cvt_pk_f32_fp8_e32 v[28:29], v11
	v_cvt_pk_f32_fp8_sdwa v[36:37], v12 src0_sel:WORD_1
	v_mfma_f32_16x16x16_f16 v[20:23], v[24:25], v[30:31], v[20:23]
	v_cvt_pk_f32_fp8_sdwa v[24:25], v10 src0_sel:WORD_1
	v_cvt_pkrtz_f16_f32 v10, v16, v17
	v_cvt_pk_f32_fp8_sdwa v[16:17], v11 src0_sel:WORD_1
	ds_read_b128 v[32:35], v14 offset:2064
	v_cvt_pkrtz_f16_f32 v11, v24, v25
	v_cvt_pkrtz_f16_f32 v24, v28, v29
	ds_read_b128 v[28:31], v14 offset:2048
	v_cvt_pkrtz_f16_f32 v25, v16, v17
	v_cvt_pk_f32_fp8_e32 v[16:17], v12
	s_waitcnt lgkmcnt(0)
	v_mfma_f32_16x16x16_f16 v[20:23], v[10:11], v[28:29], v[20:23]
	v_cvt_pkrtz_f16_f32 v10, v16, v17
	v_cvt_pkrtz_f16_f32 v11, v36, v37
	v_cvt_pk_f32_fp8_e32 v[16:17], v13
	v_mfma_f32_16x16x16_f16 v[20:23], v[24:25], v[30:31], v[20:23]
	v_cvt_pk_f32_fp8_sdwa v[24:25], v13 src0_sel:WORD_1
	ds_read_b128 v[28:31], v14 offset:4112
	v_cvt_pkrtz_f16_f32 v16, v16, v17
	v_mfma_f32_16x16x16_f16 v[10:13], v[10:11], v[32:33], v[20:23]
	v_cvt_pkrtz_f16_f32 v17, v24, v25
	s_waitcnt vmcnt(1)
	v_cvt_pk_f32_fp8_sdwa v[24:25], v7 src0_sel:WORD_1
	v_cvt_pk_f32_fp8_sdwa v[32:33], v8 src0_sel:WORD_1
	v_cvt_pk_f32_fp8_e32 v[20:21], v6
	v_mfma_f32_16x16x16_f16 v[10:13], v[16:17], v[34:35], v[10:13]
	v_cvt_pk_f32_fp8_sdwa v[16:17], v6 src0_sel:WORD_1
	v_cvt_pk_f32_fp8_e32 v[22:23], v7
	v_cvt_pkrtz_f16_f32 v6, v20, v21
	s_mov_b32 s3, 0
	v_cvt_pkrtz_f16_f32 v7, v16, v17
	v_cvt_pkrtz_f16_f32 v16, v22, v23
	ds_read_b128 v[20:23], v14 offset:4096
	v_cvt_pkrtz_f16_f32 v17, v24, v25
	v_cvt_pk_f32_fp8_e32 v[24:25], v8
	s_waitcnt lgkmcnt(0)
	v_mfma_f32_16x16x16_f16 v[10:13], v[6:7], v[20:21], v[10:13]
	v_cvt_pkrtz_f16_f32 v6, v24, v25
	v_cvt_pkrtz_f16_f32 v7, v32, v33
	v_cvt_pk_f32_fp8_e32 v[20:21], v9
	v_mfma_f32_16x16x16_f16 v[10:13], v[16:17], v[22:23], v[10:13]
	v_cvt_pk_f32_fp8_sdwa v[16:17], v9 src0_sel:WORD_1
	s_waitcnt vmcnt(0)
	v_cvt_pk_f32_fp8_sdwa v[24:25], v4 src0_sel:WORD_1
	v_cvt_pkrtz_f16_f32 v20, v20, v21
	v_mfma_f32_16x16x16_f16 v[6:9], v[6:7], v[28:29], v[10:13]
	v_cvt_pkrtz_f16_f32 v21, v16, v17
	v_cvt_pk_f32_fp8_e32 v[16:17], v3
	v_mov_b32_e32 v27, 0
	v_cvt_pk_f32_fp8_e32 v[10:11], v2
	v_cvt_pk_f32_fp8_sdwa v[12:13], v2 src0_sel:WORD_1
	v_mfma_f32_16x16x16_f16 v[6:9], v[20:21], v[30:31], v[6:9]
	v_cvt_pk_f32_fp8_sdwa v[20:21], v3 src0_sel:WORD_1
	v_cvt_pkrtz_f16_f32 v2, v10, v11
	v_cvt_pkrtz_f16_f32 v3, v12, v13
	ds_read_b128 v[10:13], v14 offset:6144
	v_cvt_pkrtz_f16_f32 v22, v16, v17
	v_cvt_pkrtz_f16_f32 v23, v20, v21
	v_cvt_pk_f32_fp8_e32 v[20:21], v4
	s_waitcnt lgkmcnt(0)
	v_mfma_f32_16x16x16_f16 v[6:9], v[2:3], v[10:11], v[6:9]
	ds_read_b128 v[14:17], v14 offset:6160
	v_cvt_pkrtz_f16_f32 v2, v20, v21
	v_cvt_pkrtz_f16_f32 v3, v24, v25
	v_cvt_pk_f32_fp8_e32 v[10:11], v5
	v_mfma_f32_16x16x16_f16 v[6:9], v[22:23], v[12:13], v[6:9]
	v_cvt_pk_f32_fp8_sdwa v[12:13], v5 src0_sel:WORD_1
	s_waitcnt lgkmcnt(0)
	v_cvt_pkrtz_f16_f32 v10, v10, v11
	v_mfma_f32_16x16x16_f16 v[2:5], v[2:3], v[14:15], v[6:9]
	v_cvt_pkrtz_f16_f32 v11, v12, v13
	s_barrier
	s_nop 0
	v_mfma_f32_16x16x16_f16 v[2:5], v[10:11], v[16:17], v[2:5]
	s_nop 6
	v_pk_mul_f32 v[4:5], v[4:5], s[4:5] op_sel_hi:[1,0]
	v_pk_mul_f32 v[2:3], v[2:3], s[4:5] op_sel_hi:[1,0]
	v_cvt_f16_f32_e32 v4, v4
	v_cvt_f16_f32_e32 v2, v2
	;; [unrolled: 1-line block ×4, first 2 shown]
	s_and_b64 s[4:5], vcc, s[30:31]
	v_pack_b32_f16 v2, v2, v3
	v_pack_b32_f16 v3, v4, v5
	ds_write_b64 v18, v[2:3]
	s_waitcnt lgkmcnt(0)
	s_barrier
	s_and_saveexec_b64 s[8:9], s[4:5]
	s_cbranch_execz .LBB859_19
; %bb.18:
	s_load_dwordx2 s[0:1], s[0:1], 0x68
	s_lshl_b32 s6, s6, 6
	s_mul_i32 s2, s7, s2
	s_mul_hi_u32 s5, s2, s6
	s_mul_i32 s4, s2, s6
	s_lshl_b64 s[4:5], s[4:5], 1
	s_waitcnt lgkmcnt(0)
	s_add_u32 s4, s0, s4
	v_lshlrev_b32_e32 v0, 10, v0
	s_addc_u32 s5, s1, s5
	s_lshl_b32 s2, s28, 6
	v_and_b32_e32 v0, 0x1800, v0
	v_lshlrev_b32_e32 v2, 5, v1
	v_and_b32_e32 v3, 16, v42
	s_lshl_b64 s[0:1], s[2:3], 1
	v_or3_b32 v0, v0, v2, v3
	s_add_u32 s0, s4, s0
	ds_read_b128 v[2:5], v0
	ds_read_b128 v[6:9], v0 offset:128
	ds_read_b128 v[10:13], v0 offset:256
	s_addc_u32 s1, s5, s1
	v_or_b32_e32 v16, s48, v1
	v_lshl_add_u64 v[0:1], s[0:1], 0, v[26:27]
	v_mad_u64_u32 v[14:15], s[0:1], v16, s6, 0
	v_lshl_add_u64 v[14:15], v[14:15], 1, v[0:1]
	s_waitcnt lgkmcnt(2)
	global_store_dwordx4 v[14:15], v[2:5], off
	s_nop 1
	v_add_u32_e32 v2, 4, v16
	v_mad_u64_u32 v[2:3], s[0:1], v2, s6, 0
	v_lshl_add_u64 v[2:3], v[2:3], 1, v[0:1]
	s_waitcnt lgkmcnt(1)
	global_store_dwordx4 v[2:3], v[6:9], off
	v_add_u32_e32 v2, 8, v16
	v_mad_u64_u32 v[2:3], s[0:1], v2, s6, 0
	v_lshl_add_u64 v[0:1], v[2:3], 1, v[0:1]
	s_waitcnt lgkmcnt(0)
	global_store_dwordx4 v[0:1], v[10:13], off
.LBB859_19:
	s_endpgm
	.section	.rodata,"a",@progbits
	.p2align	6, 0x0
	.amdhsa_kernel _Z39paged_attention_ll4mi_QKV_mfma16_kernelIDF16_hLN4vllm18Fp8KVCacheDataTypeE1EhLi32ELi64ELi256ELb1ELi12EEvPKT_PKT0_S7_ifPKiS9_S9_iPKfiiiPfSC_PS2_PT2_iSB_SB_
		.amdhsa_group_segment_fixed_size 8192
		.amdhsa_private_segment_fixed_size 0
		.amdhsa_kernarg_size 400
		.amdhsa_user_sgpr_count 2
		.amdhsa_user_sgpr_dispatch_ptr 0
		.amdhsa_user_sgpr_queue_ptr 0
		.amdhsa_user_sgpr_kernarg_segment_ptr 1
		.amdhsa_user_sgpr_dispatch_id 0
		.amdhsa_user_sgpr_kernarg_preload_length 0
		.amdhsa_user_sgpr_kernarg_preload_offset 0
		.amdhsa_user_sgpr_private_segment_size 0
		.amdhsa_uses_dynamic_stack 0
		.amdhsa_enable_private_segment 0
		.amdhsa_system_sgpr_workgroup_id_x 1
		.amdhsa_system_sgpr_workgroup_id_y 1
		.amdhsa_system_sgpr_workgroup_id_z 1
		.amdhsa_system_sgpr_workgroup_info 0
		.amdhsa_system_vgpr_workitem_id 0
		.amdhsa_next_free_vgpr 71
		.amdhsa_next_free_sgpr 50
		.amdhsa_accum_offset 72
		.amdhsa_reserve_vcc 1
		.amdhsa_float_round_mode_32 0
		.amdhsa_float_round_mode_16_64 0
		.amdhsa_float_denorm_mode_32 3
		.amdhsa_float_denorm_mode_16_64 3
		.amdhsa_dx10_clamp 1
		.amdhsa_ieee_mode 1
		.amdhsa_fp16_overflow 0
		.amdhsa_tg_split 0
		.amdhsa_exception_fp_ieee_invalid_op 0
		.amdhsa_exception_fp_denorm_src 0
		.amdhsa_exception_fp_ieee_div_zero 0
		.amdhsa_exception_fp_ieee_overflow 0
		.amdhsa_exception_fp_ieee_underflow 0
		.amdhsa_exception_fp_ieee_inexact 0
		.amdhsa_exception_int_div_zero 0
	.end_amdhsa_kernel
	.section	.text._Z39paged_attention_ll4mi_QKV_mfma16_kernelIDF16_hLN4vllm18Fp8KVCacheDataTypeE1EhLi32ELi64ELi256ELb1ELi12EEvPKT_PKT0_S7_ifPKiS9_S9_iPKfiiiPfSC_PS2_PT2_iSB_SB_,"axG",@progbits,_Z39paged_attention_ll4mi_QKV_mfma16_kernelIDF16_hLN4vllm18Fp8KVCacheDataTypeE1EhLi32ELi64ELi256ELb1ELi12EEvPKT_PKT0_S7_ifPKiS9_S9_iPKfiiiPfSC_PS2_PT2_iSB_SB_,comdat
.Lfunc_end859:
	.size	_Z39paged_attention_ll4mi_QKV_mfma16_kernelIDF16_hLN4vllm18Fp8KVCacheDataTypeE1EhLi32ELi64ELi256ELb1ELi12EEvPKT_PKT0_S7_ifPKiS9_S9_iPKfiiiPfSC_PS2_PT2_iSB_SB_, .Lfunc_end859-_Z39paged_attention_ll4mi_QKV_mfma16_kernelIDF16_hLN4vllm18Fp8KVCacheDataTypeE1EhLi32ELi64ELi256ELb1ELi12EEvPKT_PKT0_S7_ifPKiS9_S9_iPKfiiiPfSC_PS2_PT2_iSB_SB_
                                        ; -- End function
	.section	.AMDGPU.csdata,"",@progbits
; Kernel info:
; codeLenInByte = 4964
; NumSgprs: 56
; NumVgprs: 71
; NumAgprs: 0
; TotalNumVgprs: 71
; ScratchSize: 0
; MemoryBound: 0
; FloatMode: 240
; IeeeMode: 1
; LDSByteSize: 8192 bytes/workgroup (compile time only)
; SGPRBlocks: 6
; VGPRBlocks: 8
; NumSGPRsForWavesPerEU: 56
; NumVGPRsForWavesPerEU: 71
; AccumOffset: 72
; Occupancy: 7
; WaveLimiterHint : 1
; COMPUTE_PGM_RSRC2:SCRATCH_EN: 0
; COMPUTE_PGM_RSRC2:USER_SGPR: 2
; COMPUTE_PGM_RSRC2:TRAP_HANDLER: 0
; COMPUTE_PGM_RSRC2:TGID_X_EN: 1
; COMPUTE_PGM_RSRC2:TGID_Y_EN: 1
; COMPUTE_PGM_RSRC2:TGID_Z_EN: 1
; COMPUTE_PGM_RSRC2:TIDIG_COMP_CNT: 0
; COMPUTE_PGM_RSRC3_GFX90A:ACCUM_OFFSET: 17
; COMPUTE_PGM_RSRC3_GFX90A:TG_SPLIT: 0
	.section	.text._Z39paged_attention_ll4mi_QKV_mfma16_kernelIDF16_hLN4vllm18Fp8KVCacheDataTypeE1EhLi32ELi64ELi256ELb1ELi13EEvPKT_PKT0_S7_ifPKiS9_S9_iPKfiiiPfSC_PS2_PT2_iSB_SB_,"axG",@progbits,_Z39paged_attention_ll4mi_QKV_mfma16_kernelIDF16_hLN4vllm18Fp8KVCacheDataTypeE1EhLi32ELi64ELi256ELb1ELi13EEvPKT_PKT0_S7_ifPKiS9_S9_iPKfiiiPfSC_PS2_PT2_iSB_SB_,comdat
	.protected	_Z39paged_attention_ll4mi_QKV_mfma16_kernelIDF16_hLN4vllm18Fp8KVCacheDataTypeE1EhLi32ELi64ELi256ELb1ELi13EEvPKT_PKT0_S7_ifPKiS9_S9_iPKfiiiPfSC_PS2_PT2_iSB_SB_ ; -- Begin function _Z39paged_attention_ll4mi_QKV_mfma16_kernelIDF16_hLN4vllm18Fp8KVCacheDataTypeE1EhLi32ELi64ELi256ELb1ELi13EEvPKT_PKT0_S7_ifPKiS9_S9_iPKfiiiPfSC_PS2_PT2_iSB_SB_
	.globl	_Z39paged_attention_ll4mi_QKV_mfma16_kernelIDF16_hLN4vllm18Fp8KVCacheDataTypeE1EhLi32ELi64ELi256ELb1ELi13EEvPKT_PKT0_S7_ifPKiS9_S9_iPKfiiiPfSC_PS2_PT2_iSB_SB_
	.p2align	8
	.type	_Z39paged_attention_ll4mi_QKV_mfma16_kernelIDF16_hLN4vllm18Fp8KVCacheDataTypeE1EhLi32ELi64ELi256ELb1ELi13EEvPKT_PKT0_S7_ifPKiS9_S9_iPKfiiiPfSC_PS2_PT2_iSB_SB_,@function
_Z39paged_attention_ll4mi_QKV_mfma16_kernelIDF16_hLN4vllm18Fp8KVCacheDataTypeE1EhLi32ELi64ELi256ELb1ELi13EEvPKT_PKT0_S7_ifPKiS9_S9_iPKfiiiPfSC_PS2_PT2_iSB_SB_: ; @_Z39paged_attention_ll4mi_QKV_mfma16_kernelIDF16_hLN4vllm18Fp8KVCacheDataTypeE1EhLi32ELi64ELi256ELb1ELi13EEvPKT_PKT0_S7_ifPKiS9_S9_iPKfiiiPfSC_PS2_PT2_iSB_SB_
; %bb.0:
	s_load_dwordx2 s[6:7], s[0:1], 0x30
	s_mov_b32 s28, s3
	s_mov_b64 s[8:9], 0
	s_waitcnt lgkmcnt(0)
	s_cmp_lg_u64 s[6:7], 0
	s_cselect_b64 s[10:11], -1, 0
	s_and_b64 vcc, exec, s[10:11]
	s_cbranch_vccz .LBB860_7
; %bb.1:
	s_add_i32 s12, s2, 1
	s_mov_b32 s13, 0
	s_lshl_b64 s[14:15], s[12:13], 2
	s_add_u32 s14, s6, s14
	s_mov_b32 s3, s13
	s_addc_u32 s15, s7, s15
	s_lshl_b64 s[12:13], s[2:3], 2
	s_add_u32 s12, s6, s12
	s_addc_u32 s13, s7, s13
	s_load_dword s5, s[14:15], 0x0
	s_load_dword s16, s[12:13], 0x0
	s_waitcnt lgkmcnt(0)
	s_sub_i32 s5, s5, s16
	s_cmp_eq_u32 s5, 1
	s_cselect_b64 s[12:13], -1, 0
	s_andn2_b64 vcc, exec, s[8:9]
	s_cbranch_vccnz .LBB860_3
.LBB860_2:
	s_mov_b32 s3, 0
	s_mov_b64 s[12:13], -1
.LBB860_3:
	s_andn2_b64 vcc, exec, s[12:13]
	s_cbranch_vccnz .LBB860_20
; %bb.4:
	s_load_dwordx2 s[8:9], s[0:1], 0x28
	s_lshl_b64 s[12:13], s[2:3], 2
	s_waitcnt lgkmcnt(0)
	s_add_u32 s8, s8, s12
	s_addc_u32 s9, s9, s13
	s_load_dword s29, s[8:9], 0x0
	s_lshl_b32 s16, s28, 8
	s_waitcnt lgkmcnt(0)
	s_cmp_ge_i32 s16, s29
	s_cbranch_scc1 .LBB860_20
; %bb.5:
	s_load_dwordx2 s[8:9], s[0:1], 0x20
	s_load_dword s5, s[0:1], 0x38
	s_add_i32 s14, s29, 31
	s_ashr_i32 s15, s14, 31
	v_and_b32_e32 v1, 0xcf, v0
	s_lshr_b32 s15, s15, 27
	v_add_u32_e32 v1, s16, v1
	s_add_i32 s14, s14, s15
	v_ashrrev_i32_e32 v2, 31, v1
	s_ashr_i32 s17, s14, 5
	v_lshrrev_b32_e32 v4, 27, v2
	s_add_i32 s17, s17, -1
	s_waitcnt lgkmcnt(0)
	s_mul_i32 s14, s2, s5
	s_mov_b32 s15, 0
	v_add_u32_e32 v2, v1, v4
	s_lshl_b64 s[14:15], s[14:15], 2
	v_ashrrev_i32_e32 v2, 5, v2
	v_mov_b32_e32 v5, s17
	v_cmp_gt_i32_e32 vcc, s29, v1
	s_add_u32 s8, s8, s14
	s_addc_u32 s9, s9, s15
	v_cndmask_b32_e32 v2, v5, v2, vcc
	v_ashrrev_i32_e32 v3, 31, v2
	v_lshl_add_u64 v[6:7], v[2:3], 2, s[8:9]
	v_or_b32_e32 v2, 16, v1
	v_add_u32_e32 v3, v2, v4
	v_ashrrev_i32_e32 v3, 5, v3
	v_cmp_gt_i32_e32 vcc, s29, v2
	s_load_dwordx2 s[14:15], s[0:1], 0x8
	s_nop 0
	v_cndmask_b32_e32 v2, v5, v3, vcc
	v_ashrrev_i32_e32 v3, 31, v2
	v_lshl_add_u64 v[8:9], v[2:3], 2, s[8:9]
	v_or_b32_e32 v2, 32, v1
	v_add_u32_e32 v3, v2, v4
	v_ashrrev_i32_e32 v3, 5, v3
	v_cmp_gt_i32_e32 vcc, s29, v2
	v_or_b32_e32 v1, 48, v1
	s_nop 0
	v_cndmask_b32_e32 v2, v5, v3, vcc
	v_ashrrev_i32_e32 v3, 31, v2
	v_lshl_add_u64 v[10:11], v[2:3], 2, s[8:9]
	v_add_u32_e32 v2, v1, v4
	v_ashrrev_i32_e32 v2, 5, v2
	v_cmp_gt_i32_e32 vcc, s29, v1
	s_nop 1
	v_cndmask_b32_e32 v2, v5, v2, vcc
	v_ashrrev_i32_e32 v3, 31, v2
	v_lshl_add_u64 v[12:13], v[2:3], 2, s[8:9]
	global_load_dword v5, v[6:7], off
	global_load_dword v4, v[8:9], off
	global_load_dword v3, v[10:11], off
	global_load_dword v2, v[12:13], off
	s_andn2_b64 vcc, exec, s[10:11]
	s_cbranch_vccnz .LBB860_8
; %bb.6:
	s_add_u32 s6, s6, s12
	s_addc_u32 s7, s7, s13
	s_load_dword s5, s[6:7], 0x0
	s_branch .LBB860_9
.LBB860_7:
	s_mov_b64 s[12:13], 0
	s_branch .LBB860_2
.LBB860_8:
	s_mov_b32 s5, s2
.LBB860_9:
	s_load_dwordx2 s[10:11], s[0:1], 0x10
	s_load_dwordx4 s[44:47], s[0:1], 0x48
	v_lshrrev_b32_e32 v29, 6, v0
	v_bfe_u32 v42, v0, 4, 2
	v_lshl_or_b32 v6, v29, 2, v42
	v_and_b32_e32 v28, 15, v0
	v_lshlrev_b32_e32 v1, 3, v28
	v_cmp_gt_u32_e32 vcc, 13, v6
	v_cmp_gt_u32_e64 s[30:31], 8, v28
	s_mul_i32 s48, s4, 13
	s_and_b64 s[12:13], s[30:31], vcc
	v_lshlrev_b32_e32 v26, 1, v1
	v_lshlrev_b32_e32 v1, 4, v0
	s_and_saveexec_b64 s[6:7], s[12:13]
	s_cbranch_execz .LBB860_11
; %bb.10:
	s_load_dwordx2 s[12:13], s[0:1], 0x0
	s_waitcnt lgkmcnt(0)
	s_ashr_i32 s18, s44, 31
	s_mul_hi_u32 s19, s5, s44
	s_mul_i32 s18, s5, s18
	s_add_i32 s19, s19, s18
	s_mul_i32 s18, s5, s44
	s_lshl_b64 s[18:19], s[18:19], 1
	s_add_u32 s12, s12, s18
	v_add_lshl_u32 v8, v6, s48, 6
	s_addc_u32 s13, s13, s19
	v_ashrrev_i32_e32 v9, 31, v8
	v_lshl_add_u64 v[8:9], v[8:9], 1, s[12:13]
	v_mov_b32_e32 v27, 0
	v_lshl_add_u64 v[8:9], v[8:9], 0, v[26:27]
	global_load_dwordx4 v[8:11], v[8:9], off
	v_lshlrev_b32_e32 v12, 8, v28
	v_lshlrev_b32_e32 v6, 5, v6
	v_and_b32_e32 v7, 16, v1
	v_and_b32_e32 v12, 0xe00, v12
	v_or3_b32 v6, v12, v6, v7
	s_waitcnt vmcnt(0)
	ds_write_b128 v6, v[8:11]
.LBB860_11:
	s_or_b64 exec, exec, s[6:7]
	s_waitcnt lgkmcnt(0)
	s_mul_i32 s12, s4, s46
	s_add_u32 s4, s14, s12
	s_addc_u32 s5, s15, 0
	v_mov_b32_e32 v31, 0
	v_mov_b64_e32 v[6:7], s[4:5]
	v_lshlrev_b32_e32 v10, 4, v28
	v_and_b32_e32 v27, 48, v0
	s_waitcnt vmcnt(3)
	v_mad_i64_i32 v[8:9], s[4:5], v5, s45, v[6:7]
	v_mov_b32_e32 v11, v31
	s_waitcnt vmcnt(2)
	v_mad_i64_i32 v[4:5], s[4:5], v4, s45, v[6:7]
	v_or_b32_e32 v12, 0x100, v10
	v_mov_b32_e32 v13, v31
	v_lshlrev_b32_e32 v30, 5, v27
	v_lshl_add_u64 v[8:9], v[8:9], 0, v[10:11]
	v_lshl_add_u64 v[4:5], v[4:5], 0, v[12:13]
	;; [unrolled: 1-line block ×4, first 2 shown]
	s_barrier
	global_load_dwordx4 v[22:25], v[8:9], off
	global_load_dwordx4 v[18:21], v[4:5], off
	s_waitcnt vmcnt(3)
	v_mad_i64_i32 v[4:5], s[4:5], v3, s45, v[6:7]
	v_lshl_add_u64 v[4:5], v[4:5], 0, v[10:11]
	s_waitcnt vmcnt(2)
	v_mad_i64_i32 v[2:3], s[4:5], v2, s45, v[6:7]
	v_lshl_add_u64 v[4:5], v[4:5], 0, v[30:31]
	v_lshl_add_u64 v[2:3], v[2:3], 0, v[12:13]
	;; [unrolled: 1-line block ×3, first 2 shown]
	global_load_dwordx4 v[14:17], v[4:5], off
	global_load_dwordx4 v[6:9], v[2:3], off
	v_add_u32_e32 v2, -13, v28
	v_cmp_gt_u32_e32 vcc, 13, v28
	v_and_b32_e32 v43, 63, v0
	v_mov_b32_e32 v44, 0
	v_cndmask_b32_e32 v2, v2, v28, vcc
	v_lshlrev_b32_e32 v2, 5, v2
	v_lshl_add_u32 v2, v42, 9, v2
	ds_read_b128 v[10:13], v2
	ds_read_b128 v[2:5], v2 offset:16
	s_and_saveexec_b64 s[4:5], vcc
	s_cbranch_execz .LBB860_13
; %bb.12:
	s_load_dwordx2 s[6:7], s[0:1], 0x40
	v_add_u32_e32 v32, s48, v28
	v_ashrrev_i32_e32 v33, 31, v32
	s_waitcnt lgkmcnt(0)
	v_lshl_add_u64 v[32:33], v[32:33], 2, s[6:7]
	global_load_dword v44, v[32:33], off
.LBB860_13:
	s_or_b64 exec, exec, s[4:5]
	s_ashr_i32 s4, s16, 31
	v_or_b32_e32 v45, s16, v27
	s_lshr_b32 s13, s4, 27
	v_add_u32_e32 v27, s13, v45
	v_ashrrev_i32_e32 v27, 5, v27
	s_waitcnt vmcnt(3)
	v_cvt_pk_f32_fp8_e32 v[32:33], v22
	v_cvt_pk_f32_fp8_sdwa v[34:35], v22 src0_sel:WORD_1
	s_waitcnt vmcnt(2)
	v_cvt_pk_f32_fp8_e32 v[56:57], v20
	v_cvt_pk_f32_fp8_sdwa v[58:59], v20 src0_sel:WORD_1
	v_mov_b32_e32 v20, s17
	v_cmp_gt_i32_e32 vcc, s29, v45
	v_cvt_pk_f32_fp8_e32 v[48:49], v18
	v_cvt_pk_f32_fp8_sdwa v[50:51], v18 src0_sel:WORD_1
	v_cndmask_b32_e32 v18, v20, v27, vcc
	v_cvt_pk_f32_fp8_e32 v[52:53], v19
	v_cvt_pk_f32_fp8_sdwa v[54:55], v19 src0_sel:WORD_1
	v_ashrrev_i32_e32 v19, 31, v18
	v_lshl_add_u64 v[18:19], v[18:19], 2, s[8:9]
	v_cvt_pk_f32_fp8_e32 v[36:37], v23
	v_cvt_pk_f32_fp8_sdwa v[22:23], v23 src0_sel:WORD_1
	global_load_dword v70, v[18:19], off
	v_cvt_pkrtz_f16_f32 v18, v32, v33
	v_cvt_pkrtz_f16_f32 v19, v34, v35
	v_cvt_pk_f32_fp8_e32 v[60:61], v21
	v_cvt_pk_f32_fp8_sdwa v[62:63], v21 src0_sel:WORD_1
	v_or_b32_e32 v21, 64, v45
	v_or_b32_e32 v32, 0x80, v45
	;; [unrolled: 1-line block ×3, first 2 shown]
	v_cmp_gt_i32_e32 vcc, s29, v21
	v_add_u32_e32 v21, s13, v21
	v_cmp_gt_i32_e64 s[4:5], s29, v32
	v_add_u32_e32 v32, s13, v32
	v_cmp_gt_i32_e64 s[6:7], s29, v33
	v_add_u32_e32 v33, s13, v33
	v_cvt_pk_f32_fp8_e32 v[38:39], v24
	v_cvt_pk_f32_fp8_sdwa v[40:41], v24 src0_sel:WORD_1
	v_ashrrev_i32_e32 v21, 5, v21
	v_ashrrev_i32_e32 v34, 5, v32
	;; [unrolled: 1-line block ×3, first 2 shown]
	v_cvt_pkrtz_f16_f32 v32, v36, v37
	v_cvt_pkrtz_f16_f32 v33, v22, v23
	v_cndmask_b32_e32 v36, v20, v21, vcc
	v_cndmask_b32_e64 v64, v20, v34, s[4:5]
	v_cndmask_b32_e64 v66, v20, v35, s[6:7]
	s_waitcnt lgkmcnt(1)
	v_mfma_f32_16x16x16_f16 v[18:21], v[18:19], v[10:11], 0
	v_cvt_pk_f32_fp8_e32 v[46:47], v25
	v_cvt_pkrtz_f16_f32 v22, v48, v49
	v_cvt_pkrtz_f16_f32 v23, v50, v51
	v_cvt_pk_f32_fp8_sdwa v[24:25], v25 src0_sel:WORD_1
	v_cvt_pkrtz_f16_f32 v38, v38, v39
	v_cvt_pkrtz_f16_f32 v39, v40, v41
	v_mfma_f32_16x16x16_f16 v[32:35], v[32:33], v[12:13], v[18:21]
	s_add_u32 s10, s10, s12
	v_and_b32_e32 v30, 16, v0
	v_lshlrev_b32_e32 v27, 5, v28
	s_addc_u32 s11, s11, 0
	v_cvt_pkrtz_f16_f32 v68, v46, v47
	v_cvt_pkrtz_f16_f32 v46, v52, v53
	;; [unrolled: 1-line block ×3, first 2 shown]
	s_load_dword s14, s[0:1], 0x1c
	s_load_dwordx4 s[40:43], s[0:1], 0x80
	v_lshl_add_u64 v[40:41], s[10:11], 0, v[30:31]
	v_lshl_or_b32 v30, v29, 9, v27
	v_cvt_pkrtz_f16_f32 v69, v24, v25
	v_mfma_f32_16x16x16_f16 v[22:25], v[22:23], v[10:11], 0
	v_lshl_add_u64 v[18:19], v[40:41], 0, v[30:31]
	v_ashrrev_i32_e32 v37, 31, v36
	v_ashrrev_i32_e32 v65, 31, v64
	s_waitcnt lgkmcnt(0)
	v_mfma_f32_16x16x16_f16 v[30:33], v[38:39], v[2:3], v[32:35]
	v_ashrrev_i32_e32 v67, 31, v66
	v_cvt_pkrtz_f16_f32 v48, v56, v57
	v_cvt_pkrtz_f16_f32 v49, v58, v59
	v_mfma_f32_16x16x16_f16 v[20:23], v[46:47], v[12:13], v[22:25]
	v_lshl_add_u64 v[34:35], v[64:65], 2, s[8:9]
	s_load_dword s4, s[40:41], 0x0
	v_cvt_pkrtz_f16_f32 v50, v60, v61
	v_lshl_add_u64 v[24:25], v[36:37], 2, s[8:9]
	v_lshl_add_u64 v[36:37], v[66:67], 2, s[8:9]
	global_load_dword v47, v[24:25], off
	global_load_dword v45, v[34:35], off
	;; [unrolled: 1-line block ×3, first 2 shown]
	v_mfma_f32_16x16x16_f16 v[34:37], v[68:69], v[4:5], v[30:33]
	s_waitcnt vmcnt(5)
	v_cvt_pk_f32_fp8_e32 v[24:25], v14
	v_cvt_pkrtz_f16_f32 v51, v62, v63
	v_cvt_pk_f32_fp8_e32 v[38:39], v15
	v_cvt_pk_f32_fp8_sdwa v[32:33], v14 src0_sel:WORD_1
	v_mfma_f32_16x16x16_f16 v[20:23], v[48:49], v[2:3], v[20:23]
	v_cvt_pkrtz_f16_f32 v24, v24, v25
	v_cvt_pk_f32_fp8_sdwa v[14:15], v15 src0_sel:WORD_1
	v_cvt_pkrtz_f16_f32 v25, v32, v33
	v_mov_b32_e32 v40, s14
	v_mfma_f32_16x16x16_f16 v[20:23], v[50:51], v[4:5], v[20:23]
	v_cvt_pkrtz_f16_f32 v32, v38, v39
	v_cvt_pk_f32_fp8_e32 v[50:51], v16
	v_cvt_pk_f32_fp8_sdwa v[52:53], v16 src0_sel:WORD_1
	v_cvt_pkrtz_f16_f32 v33, v14, v15
	s_waitcnt lgkmcnt(0)
	v_mul_f32_e32 v48, s4, v40
	v_mfma_f32_16x16x16_f16 v[38:41], v[24:25], v[10:11], 0
	v_cvt_pkrtz_f16_f32 v24, v50, v51
	v_cvt_pkrtz_f16_f32 v25, v52, v53
	v_cvt_pk_f32_fp8_e32 v[50:51], v17
	v_cvt_pk_f32_fp8_sdwa v[52:53], v17 src0_sel:WORD_1
	v_mfma_f32_16x16x16_f16 v[14:17], v[32:33], v[12:13], v[38:41]
	v_pk_mul_f32 v[32:33], v[48:49], v[36:37] op_sel_hi:[0,1]
	v_cvt_pkrtz_f16_f32 v36, v50, v51
	v_cvt_pkrtz_f16_f32 v37, v52, v53
	v_mfma_f32_16x16x16_f16 v[14:17], v[24:25], v[2:3], v[14:17]
	v_pk_mul_f32 v[38:39], v[48:49], v[34:35] op_sel_hi:[0,1]
	s_waitcnt vmcnt(4)
	v_cvt_pk_f32_fp8_e32 v[24:25], v6
	v_cvt_pk_f32_fp8_sdwa v[34:35], v6 src0_sel:WORD_1
	v_mfma_f32_16x16x16_f16 v[14:17], v[36:37], v[4:5], v[14:17]
	v_cvt_pk_f32_fp8_e32 v[36:37], v7
	v_cvt_pkrtz_f16_f32 v24, v24, v25
	v_cvt_pkrtz_f16_f32 v25, v34, v35
	v_cvt_pk_f32_fp8_sdwa v[6:7], v7 src0_sel:WORD_1
	v_cvt_pkrtz_f16_f32 v40, v36, v37
	v_cvt_pk_f32_fp8_e32 v[50:51], v8
	v_cvt_pk_f32_fp8_sdwa v[52:53], v8 src0_sel:WORD_1
	v_cvt_pkrtz_f16_f32 v41, v6, v7
	v_mfma_f32_16x16x16_f16 v[34:37], v[24:25], v[10:11], 0
	v_cvt_pkrtz_f16_f32 v10, v50, v51
	v_cvt_pkrtz_f16_f32 v11, v52, v53
	v_cvt_pk_f32_fp8_e32 v[24:25], v9
	v_cvt_pk_f32_fp8_sdwa v[50:51], v9 src0_sel:WORD_1
	v_mfma_f32_16x16x16_f16 v[6:9], v[40:41], v[12:13], v[34:37]
	v_pk_mul_f32 v[40:41], v[48:49], v[20:21] op_sel_hi:[0,1]
	v_cvt_pkrtz_f16_f32 v12, v24, v25
	v_cvt_pkrtz_f16_f32 v13, v50, v51
	v_mfma_f32_16x16x16_f16 v[6:9], v[10:11], v[2:3], v[6:9]
	v_pk_mul_f32 v[36:37], v[48:49], v[22:23] op_sel_hi:[0,1]
	v_pk_mul_f32 v[24:25], v[48:49], v[16:17] op_sel_hi:[0,1]
	;; [unrolled: 1-line block ×3, first 2 shown]
	v_mfma_f32_16x16x16_f16 v[2:5], v[12:13], v[4:5], v[6:9]
	s_waitcnt vmcnt(3)
	v_mad_i64_i32 v[30:31], s[4:5], v70, s45, v[18:19]
	s_mov_b32 s33, 0xff7fffff
	s_nop 3
	v_pk_mul_f32 v[22:23], v[48:49], v[2:3] op_sel_hi:[0,1]
	v_and_b32_e32 v2, 0xc0, v0
	v_add_u32_e32 v2, s16, v2
	v_lshl_or_b32 v2, v42, 2, v2
	v_or_b32_e32 v3, 1, v2
	v_pk_mul_f32 v[20:21], v[48:49], v[4:5] op_sel_hi:[0,1]
	v_subrev_u32_e32 v4, s29, v3
	v_add_u32_e32 v6, 1, v4
	v_add_u32_e32 v7, 2, v4
	;; [unrolled: 1-line block ×3, first 2 shown]
	v_cvt_f32_i32_e32 v6, v6
	v_cvt_f32_i32_e32 v7, v7
	;; [unrolled: 1-line block ×3, first 2 shown]
	v_add_u32_e32 v9, 19, v4
	v_fmac_f32_e32 v39, v44, v6
	v_fma_f32 v32, v44, v7, v32
	v_fmac_f32_e32 v33, v44, v8
	v_add_u32_e32 v6, 16, v4
	v_add_u32_e32 v7, 17, v4
	v_add_u32_e32 v8, 18, v4
	v_cvt_f32_i32_e32 v6, v6
	v_cvt_f32_i32_e32 v7, v7
	v_cvt_f32_i32_e32 v8, v8
	v_cvt_f32_i32_e32 v9, v9
	v_fma_f32 v40, v44, v6, v40
	v_fmac_f32_e32 v41, v44, v7
	v_fma_f32 v36, v44, v8, v36
	v_add_u32_e32 v6, 32, v4
	v_add_u32_e32 v7, 33, v4
	;; [unrolled: 1-line block ×3, first 2 shown]
	v_cvt_f32_i32_e32 v6, v6
	v_cvt_f32_i32_e32 v7, v7
	;; [unrolled: 1-line block ×4, first 2 shown]
	v_fmac_f32_e32 v37, v44, v9
	v_add_u32_e32 v9, 35, v4
	v_fma_f32 v48, v44, v6, v34
	v_fmac_f32_e32 v35, v44, v7
	v_fma_f32 v24, v44, v8, v24
	v_add_u32_e32 v6, 48, v4
	v_add_u32_e32 v7, 49, v4
	;; [unrolled: 1-line block ×4, first 2 shown]
	v_cvt_f32_i32_e32 v4, v4
	v_cvt_f32_i32_e32 v6, v6
	;; [unrolled: 1-line block ×3, first 2 shown]
	v_fma_f32 v5, v44, v5, v38
	v_fmac_f32_e32 v21, v44, v4
	v_mov_b32_e32 v4, 0xff7fffff
	v_cmp_gt_i32_e64 s[4:5], s29, v2
	v_cmp_gt_i32_e64 s[34:35], s29, v3
	v_fma_f32 v22, v44, v6, v22
	v_cndmask_b32_e64 v6, v4, v5, s[4:5]
	v_cndmask_b32_e64 v3, v4, v39, s[34:35]
	v_fmac_f32_e32 v23, v44, v7
	v_max3_f32 v3, v6, s33, v3
	v_or_b32_e32 v6, 2, v2
	v_or_b32_e32 v7, 3, v2
	v_cmp_gt_i32_e64 s[36:37], s29, v6
	v_cmp_gt_i32_e64 s[38:39], s29, v7
	v_cvt_f32_i32_e32 v9, v9
	v_cndmask_b32_e64 v6, v4, v32, s[36:37]
	v_cndmask_b32_e64 v7, v4, v33, s[38:39]
	v_max3_f32 v3, v3, v6, v7
	v_or_b32_e32 v6, 16, v2
	v_or_b32_e32 v7, 17, v2
	v_cmp_gt_i32_e64 s[24:25], s29, v6
	v_cmp_gt_i32_e64 s[26:27], s29, v7
	v_fmac_f32_e32 v25, v44, v9
	v_cndmask_b32_e64 v6, v4, v40, s[24:25]
	v_cndmask_b32_e64 v7, v4, v41, s[26:27]
	v_max3_f32 v3, v3, v6, v7
	v_or_b32_e32 v6, 18, v2
	v_or_b32_e32 v7, 19, v2
	v_cmp_gt_i32_e64 s[20:21], s29, v6
	v_cmp_gt_i32_e64 s[22:23], s29, v7
	v_cvt_f32_i32_e32 v8, v8
	v_cndmask_b32_e64 v6, v4, v36, s[20:21]
	v_cndmask_b32_e64 v7, v4, v37, s[22:23]
	v_max3_f32 v3, v3, v6, v7
	v_or_b32_e32 v6, 32, v2
	v_or_b32_e32 v7, 33, v2
	v_cmp_gt_i32_e64 s[16:17], s29, v6
	v_cmp_gt_i32_e64 s[18:19], s29, v7
	v_fma_f32 v20, v44, v8, v20
	v_cndmask_b32_e64 v6, v4, v48, s[16:17]
	v_cndmask_b32_e64 v7, v4, v35, s[18:19]
	v_max3_f32 v3, v3, v6, v7
	v_or_b32_e32 v6, 34, v2
	v_or_b32_e32 v7, 35, v2
	v_cmp_gt_i32_e64 s[12:13], s29, v6
	v_cmp_gt_i32_e64 s[14:15], s29, v7
	s_nop 0
	v_cndmask_b32_e64 v6, v4, v24, s[12:13]
	v_cndmask_b32_e64 v7, v4, v25, s[14:15]
	v_max3_f32 v3, v3, v6, v7
	v_or_b32_e32 v6, 48, v2
	v_or_b32_e32 v7, 49, v2
	v_cmp_gt_i32_e64 s[8:9], s29, v6
	v_cmp_gt_i32_e64 s[10:11], s29, v7
	s_nop 0
	v_cndmask_b32_e64 v6, v4, v22, s[8:9]
	v_cndmask_b32_e64 v7, v4, v23, s[10:11]
	v_max3_f32 v3, v3, v6, v7
	v_or_b32_e32 v6, 50, v2
	v_or_b32_e32 v2, 51, v2
	v_cmp_gt_i32_e32 vcc, s29, v6
	v_cmp_gt_i32_e64 s[6:7], s29, v2
	s_nop 0
	v_cndmask_b32_e32 v6, v4, v20, vcc
	v_cndmask_b32_e64 v2, v4, v21, s[6:7]
	v_max3_f32 v4, v3, v6, v2
	v_mbcnt_lo_u32_b32 v2, -1, 0
	v_mbcnt_hi_u32_b32 v6, -1, v2
	v_and_b32_e32 v2, 64, v6
	v_add_u32_e32 v7, 64, v2
	v_xor_b32_e32 v2, 32, v6
	v_cmp_lt_i32_e64 s[40:41], v2, v7
	s_nop 1
	v_cndmask_b32_e64 v2, v6, v2, s[40:41]
	v_lshlrev_b32_e32 v44, 2, v2
	ds_bpermute_b32 v8, v44, v4
	s_waitcnt vmcnt(2)
	v_mad_i64_i32 v[2:3], s[40:41], v47, s45, v[18:19]
	global_load_dwordx4 v[14:17], v[30:31], off
	global_load_dwordx4 v[10:13], v[2:3], off
	v_xor_b32_e32 v3, 16, v6
	v_cmp_lt_i32_e64 s[40:41], v3, v7
	s_waitcnt lgkmcnt(0)
	v_max_f32_e32 v2, v8, v8
	v_max_f32_e32 v2, v4, v2
	v_cndmask_b32_e64 v3, v6, v3, s[40:41]
	v_lshlrev_b32_e32 v47, 2, v3
	ds_bpermute_b32 v3, v47, v2
	s_waitcnt vmcnt(3)
	v_mad_i64_i32 v[30:31], s[40:41], v45, s45, v[18:19]
	s_waitcnt vmcnt(2)
	v_mad_i64_i32 v[18:19], s[40:41], v46, s45, v[18:19]
	s_waitcnt lgkmcnt(0)
	v_max_f32_e32 v3, v3, v3
	v_max_f32_e32 v34, v2, v3
	v_sub_f32_e32 v2, v5, v34
	v_mul_f32_e32 v2, 0x3fb8aa3b, v2
	v_exp_f32_e32 v38, v2
	v_sub_f32_e32 v2, v39, v34
	v_mul_f32_e32 v2, 0x3fb8aa3b, v2
	v_exp_f32_e32 v39, v2
	global_load_dwordx4 v[6:9], v[30:31], off
	global_load_dwordx4 v[2:5], v[18:19], off
	v_sub_f32_e32 v31, v32, v34
	v_sub_f32_e32 v32, v33, v34
	v_mul_f32_e32 v31, 0x3fb8aa3b, v31
	v_mul_f32_e32 v32, 0x3fb8aa3b, v32
	v_exp_f32_e32 v31, v31
	v_exp_f32_e32 v32, v32
	v_cndmask_b32_e64 v18, 0, v38, s[4:5]
	v_cndmask_b32_e64 v19, 0, v39, s[34:35]
	;; [unrolled: 1-line block ×4, first 2 shown]
	v_sub_f32_e32 v31, v40, v34
	v_sub_f32_e32 v32, v41, v34
	v_mul_f32_e32 v31, 0x3fb8aa3b, v31
	v_mul_f32_e32 v32, 0x3fb8aa3b, v32
	v_exp_f32_e32 v31, v31
	v_exp_f32_e32 v32, v32
	v_add_f32_e32 v30, 0, v18
	v_add_f32_e32 v30, v30, v19
	;; [unrolled: 1-line block ×4, first 2 shown]
	v_cndmask_b32_e64 v30, 0, v31, s[24:25]
	v_cndmask_b32_e64 v31, 0, v32, s[26:27]
	v_sub_f32_e32 v32, v36, v34
	v_mul_f32_e32 v32, 0x3fb8aa3b, v32
	v_exp_f32_e32 v32, v32
	v_sub_f32_e32 v36, v37, v34
	v_add_f32_e32 v33, v33, v30
	v_mul_f32_e32 v36, 0x3fb8aa3b, v36
	v_exp_f32_e32 v37, v36
	v_add_f32_e32 v33, v33, v31
	v_cndmask_b32_e64 v36, 0, v32, s[20:21]
	v_add_f32_e32 v32, v33, v36
	v_sub_f32_e32 v33, v48, v34
	v_mul_f32_e32 v33, 0x3fb8aa3b, v33
	v_sub_f32_e32 v35, v35, v34
	v_exp_f32_e32 v33, v33
	v_mul_f32_e32 v35, 0x3fb8aa3b, v35
	v_sub_f32_e32 v24, v24, v34
	v_exp_f32_e32 v35, v35
	;; [unrolled: 3-line block ×3, first 2 shown]
	v_mul_f32_e32 v25, 0x3fb8aa3b, v25
	v_sub_f32_e32 v22, v22, v34
	v_cndmask_b32_e64 v37, 0, v37, s[22:23]
	v_exp_f32_e32 v25, v25
	v_mul_f32_e32 v22, 0x3fb8aa3b, v22
	v_sub_f32_e32 v23, v23, v34
	v_add_f32_e32 v40, v32, v37
	v_cndmask_b32_e64 v32, 0, v33, s[16:17]
	v_exp_f32_e32 v22, v22
	v_mul_f32_e32 v23, 0x3fb8aa3b, v23
	v_sub_f32_e32 v20, v20, v34
	v_add_f32_e32 v40, v40, v32
	;; [unrolled: 5-line block ×3, first 2 shown]
	v_cndmask_b32_e64 v24, 0, v24, s[12:13]
	v_exp_f32_e32 v20, v20
	v_mul_f32_e32 v21, 0x3fb8aa3b, v21
	v_add_f32_e32 v35, v35, v24
	v_cndmask_b32_e64 v25, 0, v25, s[14:15]
	v_exp_f32_e32 v21, v21
	v_add_f32_e32 v35, v35, v25
	v_cndmask_b32_e64 v22, 0, v22, s[8:9]
	v_add_f32_e32 v35, v35, v22
	v_cndmask_b32_e64 v23, 0, v23, s[10:11]
	v_add_f32_e32 v35, v35, v23
	v_cndmask_b32_e32 v20, 0, v20, vcc
	v_add_f32_e32 v35, v35, v20
	v_cndmask_b32_e64 v21, 0, v21, s[6:7]
	v_add_f32_e32 v35, v35, v21
	ds_bpermute_b32 v40, v44, v35
	s_load_dword s9, s[0:1], 0x98
	v_cmp_gt_u32_e64 s[6:7], 16, v43
	s_waitcnt lgkmcnt(0)
	s_barrier
	v_add_f32_e32 v40, v35, v40
	ds_bpermute_b32 v41, v47, v40
	v_lshlrev_b32_e32 v35, 2, v28
	s_waitcnt lgkmcnt(0)
	s_and_saveexec_b64 s[4:5], s[6:7]
	s_cbranch_execz .LBB860_15
; %bb.14:
	v_add_f32_e32 v40, v40, v41
	v_lshl_or_b32 v41, v29, 6, v35
	ds_write2st64_b32 v41, v34, v40 offset1:1
.LBB860_15:
	s_or_b64 exec, exec, s[4:5]
	s_load_dword s8, s[0:1], 0x94
	s_waitcnt lgkmcnt(0)
	s_barrier
	ds_read2_b32 v[40:41], v35 offset1:16
	ds_read2_b32 v[44:45], v35 offset0:32 offset1:48
	ds_read2_b32 v[46:47], v35 offset0:64 offset1:80
	s_mul_i32 s9, s9, 13
	s_waitcnt lgkmcnt(2)
	v_max3_f32 v34, v40, s33, v41
	s_waitcnt lgkmcnt(1)
	v_max3_f32 v34, v34, v44, v45
	v_sub_f32_e32 v40, v40, v34
	v_mul_f32_e32 v40, 0x3fb8aa3b, v40
	v_exp_f32_e32 v43, v40
	v_sub_f32_e32 v40, v41, v34
	v_mul_f32_e32 v40, 0x3fb8aa3b, v40
	v_exp_f32_e32 v48, v40
	;; [unrolled: 3-line block ×3, first 2 shown]
	ds_read2_b32 v[40:41], v35 offset0:96 offset1:112
	v_sub_f32_e32 v35, v45, v34
	v_mul_f32_e32 v35, 0x3fb8aa3b, v35
	v_exp_f32_e32 v45, v35
	s_waitcnt lgkmcnt(1)
	v_fma_f32 v35, v43, v46, 0
	v_fmac_f32_e32 v35, v48, v47
	s_waitcnt lgkmcnt(0)
	v_fmac_f32_e32 v35, v44, v40
	v_fmac_f32_e32 v35, v45, v41
	v_add_f32_e32 v40, 0x358637bd, v35
	v_div_scale_f32 v41, s[4:5], v40, v40, 1.0
	v_rcp_f32_e32 v46, v41
	s_barrier
	v_fma_f32 v47, -v41, v46, 1.0
	v_fmac_f32_e32 v46, v47, v46
	v_div_scale_f32 v47, vcc, 1.0, v40, 1.0
	v_mul_f32_e32 v49, v47, v46
	v_fma_f32 v50, -v41, v49, v47
	v_fmac_f32_e32 v49, v50, v46
	v_fma_f32 v41, -v41, v49, v47
	v_div_fmas_f32 v41, v41, v46, v49
	v_cmp_eq_u32_e32 vcc, 1, v29
	v_div_fixup_f32 v40, v41, v40, 1.0
	s_nop 0
	v_cndmask_b32_e32 v41, v43, v48, vcc
	v_cmp_eq_u32_e32 vcc, 2, v29
	s_nop 1
	v_cndmask_b32_e32 v41, v41, v44, vcc
	v_cmp_eq_u32_e32 vcc, 3, v29
	s_nop 1
	v_cndmask_b32_e32 v41, v41, v45, vcc
	v_mul_f32_e32 v40, v41, v40
	v_pk_mul_f32 v[38:39], v[40:41], v[38:39] op_sel_hi:[0,1]
	v_pk_mul_f32 v[18:19], v[40:41], v[18:19] op_sel_hi:[0,1]
	v_cvt_f16_f32_e32 v41, v38
	v_cvt_f16_f32_e32 v39, v39
	;; [unrolled: 1-line block ×4, first 2 shown]
	v_cmp_gt_u32_e32 vcc, 13, v0
	v_pack_b32_f16 v39, v41, v39
	v_lshlrev_b32_e32 v41, 3, v42
	v_pack_b32_f16 v38, v18, v19
	v_pk_mul_f32 v[18:19], v[40:41], v[36:37] op_sel_hi:[0,1]
	v_pk_mul_f32 v[30:31], v[40:41], v[30:31] op_sel_hi:[0,1]
	v_cvt_f16_f32_e32 v30, v30
	v_cvt_f16_f32_e32 v31, v31
	;; [unrolled: 1-line block ×4, first 2 shown]
	v_lshlrev_b32_e32 v18, 11, v29
	v_or3_b32 v18, v18, v27, v41
	v_pack_b32_f16 v30, v30, v31
	v_pack_b32_f16 v31, v36, v19
	ds_write2st64_b64 v18, v[38:39], v[30:31] offset1:1
	v_pk_mul_f32 v[24:25], v[40:41], v[24:25] op_sel_hi:[0,1]
	v_pk_mul_f32 v[30:31], v[40:41], v[32:33] op_sel_hi:[0,1]
	;; [unrolled: 1-line block ×4, first 2 shown]
	v_cvt_f16_f32_e32 v19, v30
	v_cvt_f16_f32_e32 v29, v31
	;; [unrolled: 1-line block ×8, first 2 shown]
	v_pack_b32_f16 v20, v19, v29
	v_pack_b32_f16 v21, v24, v25
	;; [unrolled: 1-line block ×4, first 2 shown]
	ds_write2st64_b64 v18, v[20:21], v[22:23] offset0:2 offset1:3
	s_and_saveexec_b64 s[4:5], vcc
	s_cbranch_execz .LBB860_17
; %bb.16:
	s_mov_b32 s49, 0
	v_mov_b32_e32 v29, 0
	v_lshl_add_u64 v[20:21], s[48:49], 0, v[28:29]
	v_mov_b32_e32 v19, s9
	v_mad_u64_u32 v[20:21], s[10:11], s2, v19, v[20:21]
	s_mul_i32 s3, s3, s9
	v_mov_b32_e32 v28, s28
	s_load_dwordx4 s[12:15], s[0:1], 0x58
	v_add_u32_e32 v19, s3, v21
	v_mad_u64_u32 v[20:21], s[10:11], v20, s8, v[28:29]
	v_mov_b32_e32 v22, v21
	v_mad_u64_u32 v[22:23], s[10:11], v19, s8, v[22:23]
	v_mov_b32_e32 v21, v22
	v_lshlrev_b64 v[20:21], 2, v[20:21]
	s_waitcnt lgkmcnt(0)
	v_lshl_add_u64 v[22:23], s[14:15], 0, v[20:21]
	v_lshl_add_u64 v[20:21], s[12:13], 0, v[20:21]
	global_store_dword v[22:23], v34, off
	global_store_dword v[20:21], v35, off
.LBB860_17:
	s_or_b64 exec, exec, s[4:5]
	s_waitcnt vmcnt(3)
	v_cvt_pk_f32_fp8_e32 v[20:21], v14
	v_cvt_pk_f32_fp8_sdwa v[22:23], v14 src0_sel:WORD_1
	v_lshl_or_b32 v14, v42, 9, v27
	s_waitcnt lgkmcnt(0)
	s_barrier
	v_cvt_pk_f32_fp8_e32 v[24:25], v15
	v_cvt_pkrtz_f16_f32 v32, v20, v21
	v_cvt_pkrtz_f16_f32 v33, v22, v23
	v_cvt_pk_f32_fp8_sdwa v[28:29], v15 src0_sel:WORD_1
	ds_read_b128 v[20:23], v14
	v_cvt_pkrtz_f16_f32 v24, v24, v25
	v_cvt_pk_f32_fp8_e32 v[36:37], v16
	v_cvt_pkrtz_f16_f32 v25, v28, v29
	ds_read_b128 v[28:31], v14 offset:16
	v_cvt_pk_f32_fp8_sdwa v[38:39], v16 src0_sel:WORD_1
	s_waitcnt lgkmcnt(1)
	v_mfma_f32_16x16x16_f16 v[32:35], v[32:33], v[20:21], 0
	v_cvt_pkrtz_f16_f32 v36, v36, v37
	s_load_dword s4, s[42:43], 0x0
	v_cvt_pkrtz_f16_f32 v37, v38, v39
	v_cvt_pk_f32_fp8_e32 v[38:39], v17
	v_cvt_pk_f32_fp8_sdwa v[16:17], v17 src0_sel:WORD_1
	v_mfma_f32_16x16x16_f16 v[20:23], v[24:25], v[22:23], v[32:35]
	v_cmp_gt_u32_e32 vcc, 64, v0
	v_cvt_pkrtz_f16_f32 v24, v38, v39
	v_cvt_pkrtz_f16_f32 v25, v16, v17
	s_waitcnt lgkmcnt(0)
	v_mfma_f32_16x16x16_f16 v[20:23], v[36:37], v[28:29], v[20:23]
	s_waitcnt vmcnt(2)
	v_cvt_pk_f32_fp8_e32 v[16:17], v10
	v_cvt_pk_f32_fp8_e32 v[28:29], v11
	v_cvt_pk_f32_fp8_sdwa v[36:37], v12 src0_sel:WORD_1
	v_mfma_f32_16x16x16_f16 v[20:23], v[24:25], v[30:31], v[20:23]
	v_cvt_pk_f32_fp8_sdwa v[24:25], v10 src0_sel:WORD_1
	v_cvt_pkrtz_f16_f32 v10, v16, v17
	v_cvt_pk_f32_fp8_sdwa v[16:17], v11 src0_sel:WORD_1
	ds_read_b128 v[32:35], v14 offset:2064
	v_cvt_pkrtz_f16_f32 v11, v24, v25
	v_cvt_pkrtz_f16_f32 v24, v28, v29
	ds_read_b128 v[28:31], v14 offset:2048
	v_cvt_pkrtz_f16_f32 v25, v16, v17
	v_cvt_pk_f32_fp8_e32 v[16:17], v12
	s_waitcnt lgkmcnt(0)
	v_mfma_f32_16x16x16_f16 v[20:23], v[10:11], v[28:29], v[20:23]
	v_cvt_pkrtz_f16_f32 v10, v16, v17
	v_cvt_pkrtz_f16_f32 v11, v36, v37
	v_cvt_pk_f32_fp8_e32 v[16:17], v13
	v_mfma_f32_16x16x16_f16 v[20:23], v[24:25], v[30:31], v[20:23]
	v_cvt_pk_f32_fp8_sdwa v[24:25], v13 src0_sel:WORD_1
	ds_read_b128 v[28:31], v14 offset:4112
	v_cvt_pkrtz_f16_f32 v16, v16, v17
	v_mfma_f32_16x16x16_f16 v[10:13], v[10:11], v[32:33], v[20:23]
	v_cvt_pkrtz_f16_f32 v17, v24, v25
	s_waitcnt vmcnt(1)
	v_cvt_pk_f32_fp8_sdwa v[24:25], v7 src0_sel:WORD_1
	v_cvt_pk_f32_fp8_sdwa v[32:33], v8 src0_sel:WORD_1
	v_cvt_pk_f32_fp8_e32 v[20:21], v6
	v_mfma_f32_16x16x16_f16 v[10:13], v[16:17], v[34:35], v[10:13]
	v_cvt_pk_f32_fp8_sdwa v[16:17], v6 src0_sel:WORD_1
	v_cvt_pk_f32_fp8_e32 v[22:23], v7
	v_cvt_pkrtz_f16_f32 v6, v20, v21
	s_mov_b32 s3, 0
	v_cvt_pkrtz_f16_f32 v7, v16, v17
	v_cvt_pkrtz_f16_f32 v16, v22, v23
	ds_read_b128 v[20:23], v14 offset:4096
	v_cvt_pkrtz_f16_f32 v17, v24, v25
	v_cvt_pk_f32_fp8_e32 v[24:25], v8
	s_waitcnt lgkmcnt(0)
	v_mfma_f32_16x16x16_f16 v[10:13], v[6:7], v[20:21], v[10:13]
	v_cvt_pkrtz_f16_f32 v6, v24, v25
	v_cvt_pkrtz_f16_f32 v7, v32, v33
	v_cvt_pk_f32_fp8_e32 v[20:21], v9
	v_mfma_f32_16x16x16_f16 v[10:13], v[16:17], v[22:23], v[10:13]
	v_cvt_pk_f32_fp8_sdwa v[16:17], v9 src0_sel:WORD_1
	s_waitcnt vmcnt(0)
	v_cvt_pk_f32_fp8_sdwa v[24:25], v4 src0_sel:WORD_1
	v_cvt_pkrtz_f16_f32 v20, v20, v21
	v_mfma_f32_16x16x16_f16 v[6:9], v[6:7], v[28:29], v[10:13]
	v_cvt_pkrtz_f16_f32 v21, v16, v17
	v_cvt_pk_f32_fp8_e32 v[16:17], v3
	v_mov_b32_e32 v27, 0
	v_cvt_pk_f32_fp8_e32 v[10:11], v2
	v_cvt_pk_f32_fp8_sdwa v[12:13], v2 src0_sel:WORD_1
	v_mfma_f32_16x16x16_f16 v[6:9], v[20:21], v[30:31], v[6:9]
	v_cvt_pk_f32_fp8_sdwa v[20:21], v3 src0_sel:WORD_1
	v_cvt_pkrtz_f16_f32 v2, v10, v11
	v_cvt_pkrtz_f16_f32 v3, v12, v13
	ds_read_b128 v[10:13], v14 offset:6144
	v_cvt_pkrtz_f16_f32 v22, v16, v17
	v_cvt_pkrtz_f16_f32 v23, v20, v21
	v_cvt_pk_f32_fp8_e32 v[20:21], v4
	s_waitcnt lgkmcnt(0)
	v_mfma_f32_16x16x16_f16 v[6:9], v[2:3], v[10:11], v[6:9]
	ds_read_b128 v[14:17], v14 offset:6160
	v_cvt_pkrtz_f16_f32 v2, v20, v21
	v_cvt_pkrtz_f16_f32 v3, v24, v25
	v_cvt_pk_f32_fp8_e32 v[10:11], v5
	v_mfma_f32_16x16x16_f16 v[6:9], v[22:23], v[12:13], v[6:9]
	v_cvt_pk_f32_fp8_sdwa v[12:13], v5 src0_sel:WORD_1
	s_waitcnt lgkmcnt(0)
	v_cvt_pkrtz_f16_f32 v10, v10, v11
	v_mfma_f32_16x16x16_f16 v[2:5], v[2:3], v[14:15], v[6:9]
	v_cvt_pkrtz_f16_f32 v11, v12, v13
	s_barrier
	s_nop 0
	v_mfma_f32_16x16x16_f16 v[2:5], v[10:11], v[16:17], v[2:5]
	s_nop 6
	v_pk_mul_f32 v[4:5], v[4:5], s[4:5] op_sel_hi:[1,0]
	v_pk_mul_f32 v[2:3], v[2:3], s[4:5] op_sel_hi:[1,0]
	v_cvt_f16_f32_e32 v4, v4
	v_cvt_f16_f32_e32 v2, v2
	;; [unrolled: 1-line block ×4, first 2 shown]
	s_and_b64 s[4:5], vcc, s[30:31]
	v_pack_b32_f16 v2, v2, v3
	v_pack_b32_f16 v3, v4, v5
	ds_write_b64 v18, v[2:3]
	s_waitcnt lgkmcnt(0)
	s_barrier
	s_and_saveexec_b64 s[10:11], s[4:5]
	s_cbranch_execz .LBB860_20
; %bb.18:
	s_load_dwordx2 s[4:5], s[0:1], 0x68
	s_lshl_b32 s0, s8, 6
	s_mul_i32 s1, s9, s2
	s_mul_hi_u32 s9, s1, s0
	s_mul_i32 s8, s1, s0
	v_lshlrev_b32_e32 v0, 10, v0
	s_lshl_b64 s[8:9], s[8:9], 1
	v_and_b32_e32 v0, 0x1800, v0
	v_lshlrev_b32_e32 v2, 5, v42
	v_and_b32_e32 v1, 16, v1
	s_waitcnt lgkmcnt(0)
	s_add_u32 s1, s4, s8
	v_or3_b32 v2, v0, v2, v1
	s_addc_u32 s4, s5, s9
	s_lshl_b32 s2, s28, 6
	ds_read_b128 v[4:7], v2 offset:256
	s_lshl_b64 s[2:3], s[2:3], 1
	ds_read_b128 v[8:11], v2 offset:128
	ds_read_b128 v[12:15], v2
	s_add_u32 s2, s1, s2
	s_addc_u32 s3, s4, s3
	v_add_u32_e32 v3, s48, v42
	v_lshl_add_u64 v[0:1], s[2:3], 0, v[26:27]
	v_mad_u64_u32 v[16:17], s[2:3], v3, s0, 0
	v_lshl_add_u64 v[16:17], v[16:17], 1, v[0:1]
	s_waitcnt lgkmcnt(0)
	global_store_dwordx4 v[16:17], v[12:15], off
	s_nop 1
	v_add_u32_e32 v12, 4, v3
	v_mad_u64_u32 v[12:13], s[2:3], v12, s0, 0
	v_lshl_add_u64 v[12:13], v[12:13], 1, v[0:1]
	v_add_u32_e32 v3, 8, v3
	global_store_dwordx4 v[12:13], v[8:11], off
	s_nop 1
	v_mad_u64_u32 v[8:9], s[2:3], v3, s0, 0
	v_lshl_add_u64 v[8:9], v[8:9], 1, v[0:1]
	global_store_dwordx4 v[8:9], v[4:7], off
	s_and_b64 exec, exec, s[6:7]
	s_cbranch_execz .LBB860_20
; %bb.19:
	ds_read_b128 v[2:5], v2 offset:384
	v_add3_u32 v6, s48, v42, 12
	v_mad_u64_u32 v[6:7], s[0:1], v6, s0, 0
	v_lshl_add_u64 v[0:1], v[6:7], 1, v[0:1]
	s_waitcnt lgkmcnt(0)
	global_store_dwordx4 v[0:1], v[2:5], off
.LBB860_20:
	s_endpgm
	.section	.rodata,"a",@progbits
	.p2align	6, 0x0
	.amdhsa_kernel _Z39paged_attention_ll4mi_QKV_mfma16_kernelIDF16_hLN4vllm18Fp8KVCacheDataTypeE1EhLi32ELi64ELi256ELb1ELi13EEvPKT_PKT0_S7_ifPKiS9_S9_iPKfiiiPfSC_PS2_PT2_iSB_SB_
		.amdhsa_group_segment_fixed_size 8192
		.amdhsa_private_segment_fixed_size 0
		.amdhsa_kernarg_size 400
		.amdhsa_user_sgpr_count 2
		.amdhsa_user_sgpr_dispatch_ptr 0
		.amdhsa_user_sgpr_queue_ptr 0
		.amdhsa_user_sgpr_kernarg_segment_ptr 1
		.amdhsa_user_sgpr_dispatch_id 0
		.amdhsa_user_sgpr_kernarg_preload_length 0
		.amdhsa_user_sgpr_kernarg_preload_offset 0
		.amdhsa_user_sgpr_private_segment_size 0
		.amdhsa_uses_dynamic_stack 0
		.amdhsa_enable_private_segment 0
		.amdhsa_system_sgpr_workgroup_id_x 1
		.amdhsa_system_sgpr_workgroup_id_y 1
		.amdhsa_system_sgpr_workgroup_id_z 1
		.amdhsa_system_sgpr_workgroup_info 0
		.amdhsa_system_vgpr_workitem_id 0
		.amdhsa_next_free_vgpr 71
		.amdhsa_next_free_sgpr 50
		.amdhsa_accum_offset 72
		.amdhsa_reserve_vcc 1
		.amdhsa_float_round_mode_32 0
		.amdhsa_float_round_mode_16_64 0
		.amdhsa_float_denorm_mode_32 3
		.amdhsa_float_denorm_mode_16_64 3
		.amdhsa_dx10_clamp 1
		.amdhsa_ieee_mode 1
		.amdhsa_fp16_overflow 0
		.amdhsa_tg_split 0
		.amdhsa_exception_fp_ieee_invalid_op 0
		.amdhsa_exception_fp_denorm_src 0
		.amdhsa_exception_fp_ieee_div_zero 0
		.amdhsa_exception_fp_ieee_overflow 0
		.amdhsa_exception_fp_ieee_underflow 0
		.amdhsa_exception_fp_ieee_inexact 0
		.amdhsa_exception_int_div_zero 0
	.end_amdhsa_kernel
	.section	.text._Z39paged_attention_ll4mi_QKV_mfma16_kernelIDF16_hLN4vllm18Fp8KVCacheDataTypeE1EhLi32ELi64ELi256ELb1ELi13EEvPKT_PKT0_S7_ifPKiS9_S9_iPKfiiiPfSC_PS2_PT2_iSB_SB_,"axG",@progbits,_Z39paged_attention_ll4mi_QKV_mfma16_kernelIDF16_hLN4vllm18Fp8KVCacheDataTypeE1EhLi32ELi64ELi256ELb1ELi13EEvPKT_PKT0_S7_ifPKiS9_S9_iPKfiiiPfSC_PS2_PT2_iSB_SB_,comdat
.Lfunc_end860:
	.size	_Z39paged_attention_ll4mi_QKV_mfma16_kernelIDF16_hLN4vllm18Fp8KVCacheDataTypeE1EhLi32ELi64ELi256ELb1ELi13EEvPKT_PKT0_S7_ifPKiS9_S9_iPKfiiiPfSC_PS2_PT2_iSB_SB_, .Lfunc_end860-_Z39paged_attention_ll4mi_QKV_mfma16_kernelIDF16_hLN4vllm18Fp8KVCacheDataTypeE1EhLi32ELi64ELi256ELb1ELi13EEvPKT_PKT0_S7_ifPKiS9_S9_iPKfiiiPfSC_PS2_PT2_iSB_SB_
                                        ; -- End function
	.section	.AMDGPU.csdata,"",@progbits
; Kernel info:
; codeLenInByte = 5012
; NumSgprs: 56
; NumVgprs: 71
; NumAgprs: 0
; TotalNumVgprs: 71
; ScratchSize: 0
; MemoryBound: 0
; FloatMode: 240
; IeeeMode: 1
; LDSByteSize: 8192 bytes/workgroup (compile time only)
; SGPRBlocks: 6
; VGPRBlocks: 8
; NumSGPRsForWavesPerEU: 56
; NumVGPRsForWavesPerEU: 71
; AccumOffset: 72
; Occupancy: 7
; WaveLimiterHint : 1
; COMPUTE_PGM_RSRC2:SCRATCH_EN: 0
; COMPUTE_PGM_RSRC2:USER_SGPR: 2
; COMPUTE_PGM_RSRC2:TRAP_HANDLER: 0
; COMPUTE_PGM_RSRC2:TGID_X_EN: 1
; COMPUTE_PGM_RSRC2:TGID_Y_EN: 1
; COMPUTE_PGM_RSRC2:TGID_Z_EN: 1
; COMPUTE_PGM_RSRC2:TIDIG_COMP_CNT: 0
; COMPUTE_PGM_RSRC3_GFX90A:ACCUM_OFFSET: 17
; COMPUTE_PGM_RSRC3_GFX90A:TG_SPLIT: 0
	.section	.text._Z39paged_attention_ll4mi_QKV_mfma16_kernelIDF16_hLN4vllm18Fp8KVCacheDataTypeE1EhLi32ELi64ELi256ELb1ELi14EEvPKT_PKT0_S7_ifPKiS9_S9_iPKfiiiPfSC_PS2_PT2_iSB_SB_,"axG",@progbits,_Z39paged_attention_ll4mi_QKV_mfma16_kernelIDF16_hLN4vllm18Fp8KVCacheDataTypeE1EhLi32ELi64ELi256ELb1ELi14EEvPKT_PKT0_S7_ifPKiS9_S9_iPKfiiiPfSC_PS2_PT2_iSB_SB_,comdat
	.protected	_Z39paged_attention_ll4mi_QKV_mfma16_kernelIDF16_hLN4vllm18Fp8KVCacheDataTypeE1EhLi32ELi64ELi256ELb1ELi14EEvPKT_PKT0_S7_ifPKiS9_S9_iPKfiiiPfSC_PS2_PT2_iSB_SB_ ; -- Begin function _Z39paged_attention_ll4mi_QKV_mfma16_kernelIDF16_hLN4vllm18Fp8KVCacheDataTypeE1EhLi32ELi64ELi256ELb1ELi14EEvPKT_PKT0_S7_ifPKiS9_S9_iPKfiiiPfSC_PS2_PT2_iSB_SB_
	.globl	_Z39paged_attention_ll4mi_QKV_mfma16_kernelIDF16_hLN4vllm18Fp8KVCacheDataTypeE1EhLi32ELi64ELi256ELb1ELi14EEvPKT_PKT0_S7_ifPKiS9_S9_iPKfiiiPfSC_PS2_PT2_iSB_SB_
	.p2align	8
	.type	_Z39paged_attention_ll4mi_QKV_mfma16_kernelIDF16_hLN4vllm18Fp8KVCacheDataTypeE1EhLi32ELi64ELi256ELb1ELi14EEvPKT_PKT0_S7_ifPKiS9_S9_iPKfiiiPfSC_PS2_PT2_iSB_SB_,@function
_Z39paged_attention_ll4mi_QKV_mfma16_kernelIDF16_hLN4vllm18Fp8KVCacheDataTypeE1EhLi32ELi64ELi256ELb1ELi14EEvPKT_PKT0_S7_ifPKiS9_S9_iPKfiiiPfSC_PS2_PT2_iSB_SB_: ; @_Z39paged_attention_ll4mi_QKV_mfma16_kernelIDF16_hLN4vllm18Fp8KVCacheDataTypeE1EhLi32ELi64ELi256ELb1ELi14EEvPKT_PKT0_S7_ifPKiS9_S9_iPKfiiiPfSC_PS2_PT2_iSB_SB_
; %bb.0:
	s_load_dwordx2 s[6:7], s[0:1], 0x30
	s_mov_b32 s28, s3
	s_mov_b64 s[8:9], 0
	s_waitcnt lgkmcnt(0)
	s_cmp_lg_u64 s[6:7], 0
	s_cselect_b64 s[10:11], -1, 0
	s_and_b64 vcc, exec, s[10:11]
	s_cbranch_vccz .LBB861_7
; %bb.1:
	s_add_i32 s12, s2, 1
	s_mov_b32 s13, 0
	s_lshl_b64 s[14:15], s[12:13], 2
	s_add_u32 s14, s6, s14
	s_mov_b32 s3, s13
	s_addc_u32 s15, s7, s15
	s_lshl_b64 s[12:13], s[2:3], 2
	s_add_u32 s12, s6, s12
	s_addc_u32 s13, s7, s13
	s_load_dword s5, s[14:15], 0x0
	s_load_dword s16, s[12:13], 0x0
	s_waitcnt lgkmcnt(0)
	s_sub_i32 s5, s5, s16
	s_cmp_eq_u32 s5, 1
	s_cselect_b64 s[12:13], -1, 0
	s_andn2_b64 vcc, exec, s[8:9]
	s_cbranch_vccnz .LBB861_3
.LBB861_2:
	s_mov_b32 s3, 0
	s_mov_b64 s[12:13], -1
.LBB861_3:
	s_andn2_b64 vcc, exec, s[12:13]
	s_cbranch_vccnz .LBB861_20
; %bb.4:
	s_load_dwordx2 s[8:9], s[0:1], 0x28
	s_lshl_b64 s[12:13], s[2:3], 2
	s_waitcnt lgkmcnt(0)
	s_add_u32 s8, s8, s12
	s_addc_u32 s9, s9, s13
	s_load_dword s29, s[8:9], 0x0
	s_lshl_b32 s16, s28, 8
	s_waitcnt lgkmcnt(0)
	s_cmp_ge_i32 s16, s29
	s_cbranch_scc1 .LBB861_20
; %bb.5:
	s_load_dwordx2 s[8:9], s[0:1], 0x20
	s_load_dword s5, s[0:1], 0x38
	s_add_i32 s14, s29, 31
	s_ashr_i32 s15, s14, 31
	v_and_b32_e32 v1, 0xcf, v0
	s_lshr_b32 s15, s15, 27
	v_add_u32_e32 v1, s16, v1
	s_add_i32 s14, s14, s15
	v_ashrrev_i32_e32 v2, 31, v1
	s_ashr_i32 s17, s14, 5
	v_lshrrev_b32_e32 v4, 27, v2
	s_add_i32 s17, s17, -1
	s_waitcnt lgkmcnt(0)
	s_mul_i32 s14, s2, s5
	s_mov_b32 s15, 0
	v_add_u32_e32 v2, v1, v4
	s_lshl_b64 s[14:15], s[14:15], 2
	v_ashrrev_i32_e32 v2, 5, v2
	v_mov_b32_e32 v5, s17
	v_cmp_gt_i32_e32 vcc, s29, v1
	s_add_u32 s8, s8, s14
	s_addc_u32 s9, s9, s15
	v_cndmask_b32_e32 v2, v5, v2, vcc
	v_ashrrev_i32_e32 v3, 31, v2
	v_lshl_add_u64 v[6:7], v[2:3], 2, s[8:9]
	v_or_b32_e32 v2, 16, v1
	v_add_u32_e32 v3, v2, v4
	v_ashrrev_i32_e32 v3, 5, v3
	v_cmp_gt_i32_e32 vcc, s29, v2
	s_load_dwordx2 s[14:15], s[0:1], 0x8
	s_nop 0
	v_cndmask_b32_e32 v2, v5, v3, vcc
	v_ashrrev_i32_e32 v3, 31, v2
	v_lshl_add_u64 v[8:9], v[2:3], 2, s[8:9]
	v_or_b32_e32 v2, 32, v1
	v_add_u32_e32 v3, v2, v4
	v_ashrrev_i32_e32 v3, 5, v3
	v_cmp_gt_i32_e32 vcc, s29, v2
	v_or_b32_e32 v1, 48, v1
	s_nop 0
	v_cndmask_b32_e32 v2, v5, v3, vcc
	v_ashrrev_i32_e32 v3, 31, v2
	v_lshl_add_u64 v[10:11], v[2:3], 2, s[8:9]
	v_add_u32_e32 v2, v1, v4
	v_ashrrev_i32_e32 v2, 5, v2
	v_cmp_gt_i32_e32 vcc, s29, v1
	s_nop 1
	v_cndmask_b32_e32 v2, v5, v2, vcc
	v_ashrrev_i32_e32 v3, 31, v2
	v_lshl_add_u64 v[12:13], v[2:3], 2, s[8:9]
	global_load_dword v5, v[6:7], off
	global_load_dword v4, v[8:9], off
	;; [unrolled: 1-line block ×4, first 2 shown]
	s_andn2_b64 vcc, exec, s[10:11]
	s_cbranch_vccnz .LBB861_8
; %bb.6:
	s_add_u32 s6, s6, s12
	s_addc_u32 s7, s7, s13
	s_load_dword s5, s[6:7], 0x0
	s_branch .LBB861_9
.LBB861_7:
	s_mov_b64 s[12:13], 0
	s_branch .LBB861_2
.LBB861_8:
	s_mov_b32 s5, s2
.LBB861_9:
	s_load_dwordx2 s[10:11], s[0:1], 0x10
	s_load_dwordx4 s[44:47], s[0:1], 0x48
	v_lshrrev_b32_e32 v29, 6, v0
	v_bfe_u32 v42, v0, 4, 2
	v_lshl_or_b32 v6, v29, 2, v42
	v_and_b32_e32 v28, 15, v0
	v_lshlrev_b32_e32 v1, 3, v28
	v_cmp_gt_u32_e32 vcc, 14, v6
	v_cmp_gt_u32_e64 s[30:31], 8, v28
	s_mul_i32 s48, s4, 14
	s_and_b64 s[12:13], s[30:31], vcc
	v_lshlrev_b32_e32 v26, 1, v1
	v_lshlrev_b32_e32 v1, 4, v0
	s_and_saveexec_b64 s[6:7], s[12:13]
	s_cbranch_execz .LBB861_11
; %bb.10:
	s_load_dwordx2 s[12:13], s[0:1], 0x0
	s_waitcnt lgkmcnt(0)
	s_ashr_i32 s18, s44, 31
	s_mul_hi_u32 s19, s5, s44
	s_mul_i32 s18, s5, s18
	s_add_i32 s19, s19, s18
	s_mul_i32 s18, s5, s44
	s_lshl_b64 s[18:19], s[18:19], 1
	s_add_u32 s12, s12, s18
	v_add_lshl_u32 v8, v6, s48, 6
	s_addc_u32 s13, s13, s19
	v_ashrrev_i32_e32 v9, 31, v8
	v_lshl_add_u64 v[8:9], v[8:9], 1, s[12:13]
	v_mov_b32_e32 v27, 0
	v_lshl_add_u64 v[8:9], v[8:9], 0, v[26:27]
	global_load_dwordx4 v[8:11], v[8:9], off
	v_lshlrev_b32_e32 v12, 8, v28
	v_lshlrev_b32_e32 v6, 5, v6
	v_and_b32_e32 v7, 16, v1
	v_and_b32_e32 v12, 0xe00, v12
	v_or3_b32 v6, v12, v6, v7
	s_waitcnt vmcnt(0)
	ds_write_b128 v6, v[8:11]
.LBB861_11:
	s_or_b64 exec, exec, s[6:7]
	s_waitcnt lgkmcnt(0)
	s_mul_i32 s12, s4, s46
	s_add_u32 s4, s14, s12
	s_addc_u32 s5, s15, 0
	v_mov_b32_e32 v31, 0
	v_mov_b64_e32 v[6:7], s[4:5]
	v_lshlrev_b32_e32 v10, 4, v28
	v_and_b32_e32 v27, 48, v0
	s_waitcnt vmcnt(3)
	v_mad_i64_i32 v[8:9], s[4:5], v5, s45, v[6:7]
	v_mov_b32_e32 v11, v31
	s_waitcnt vmcnt(2)
	v_mad_i64_i32 v[4:5], s[4:5], v4, s45, v[6:7]
	v_or_b32_e32 v12, 0x100, v10
	v_mov_b32_e32 v13, v31
	v_lshlrev_b32_e32 v30, 5, v27
	v_lshl_add_u64 v[8:9], v[8:9], 0, v[10:11]
	v_lshl_add_u64 v[4:5], v[4:5], 0, v[12:13]
	;; [unrolled: 1-line block ×4, first 2 shown]
	s_barrier
	global_load_dwordx4 v[22:25], v[8:9], off
	global_load_dwordx4 v[18:21], v[4:5], off
	s_waitcnt vmcnt(3)
	v_mad_i64_i32 v[4:5], s[4:5], v3, s45, v[6:7]
	v_lshl_add_u64 v[4:5], v[4:5], 0, v[10:11]
	s_waitcnt vmcnt(2)
	v_mad_i64_i32 v[2:3], s[4:5], v2, s45, v[6:7]
	v_lshl_add_u64 v[4:5], v[4:5], 0, v[30:31]
	v_lshl_add_u64 v[2:3], v[2:3], 0, v[12:13]
	;; [unrolled: 1-line block ×3, first 2 shown]
	global_load_dwordx4 v[14:17], v[4:5], off
	global_load_dwordx4 v[6:9], v[2:3], off
	v_add_u32_e32 v2, -14, v28
	v_cmp_gt_u32_e32 vcc, 14, v28
	v_and_b32_e32 v43, 63, v0
	v_mov_b32_e32 v44, 0
	v_cndmask_b32_e32 v2, v2, v28, vcc
	v_lshlrev_b32_e32 v2, 5, v2
	v_lshl_add_u32 v2, v42, 9, v2
	ds_read_b128 v[10:13], v2
	ds_read_b128 v[2:5], v2 offset:16
	s_and_saveexec_b64 s[4:5], vcc
	s_cbranch_execz .LBB861_13
; %bb.12:
	s_load_dwordx2 s[6:7], s[0:1], 0x40
	v_add_u32_e32 v32, s48, v28
	v_ashrrev_i32_e32 v33, 31, v32
	s_waitcnt lgkmcnt(0)
	v_lshl_add_u64 v[32:33], v[32:33], 2, s[6:7]
	global_load_dword v44, v[32:33], off
.LBB861_13:
	s_or_b64 exec, exec, s[4:5]
	s_ashr_i32 s4, s16, 31
	v_or_b32_e32 v45, s16, v27
	s_lshr_b32 s13, s4, 27
	v_add_u32_e32 v27, s13, v45
	v_ashrrev_i32_e32 v27, 5, v27
	s_waitcnt vmcnt(3)
	v_cvt_pk_f32_fp8_e32 v[32:33], v22
	v_cvt_pk_f32_fp8_sdwa v[34:35], v22 src0_sel:WORD_1
	s_waitcnt vmcnt(2)
	v_cvt_pk_f32_fp8_e32 v[56:57], v20
	v_cvt_pk_f32_fp8_sdwa v[58:59], v20 src0_sel:WORD_1
	v_mov_b32_e32 v20, s17
	v_cmp_gt_i32_e32 vcc, s29, v45
	v_cvt_pk_f32_fp8_e32 v[48:49], v18
	v_cvt_pk_f32_fp8_sdwa v[50:51], v18 src0_sel:WORD_1
	v_cndmask_b32_e32 v18, v20, v27, vcc
	v_cvt_pk_f32_fp8_e32 v[52:53], v19
	v_cvt_pk_f32_fp8_sdwa v[54:55], v19 src0_sel:WORD_1
	v_ashrrev_i32_e32 v19, 31, v18
	v_lshl_add_u64 v[18:19], v[18:19], 2, s[8:9]
	v_cvt_pk_f32_fp8_e32 v[36:37], v23
	v_cvt_pk_f32_fp8_sdwa v[22:23], v23 src0_sel:WORD_1
	global_load_dword v70, v[18:19], off
	v_cvt_pkrtz_f16_f32 v18, v32, v33
	v_cvt_pkrtz_f16_f32 v19, v34, v35
	v_cvt_pk_f32_fp8_e32 v[60:61], v21
	v_cvt_pk_f32_fp8_sdwa v[62:63], v21 src0_sel:WORD_1
	v_or_b32_e32 v21, 64, v45
	v_or_b32_e32 v32, 0x80, v45
	;; [unrolled: 1-line block ×3, first 2 shown]
	v_cmp_gt_i32_e32 vcc, s29, v21
	v_add_u32_e32 v21, s13, v21
	v_cmp_gt_i32_e64 s[4:5], s29, v32
	v_add_u32_e32 v32, s13, v32
	v_cmp_gt_i32_e64 s[6:7], s29, v33
	v_add_u32_e32 v33, s13, v33
	v_cvt_pk_f32_fp8_e32 v[38:39], v24
	v_cvt_pk_f32_fp8_sdwa v[40:41], v24 src0_sel:WORD_1
	v_ashrrev_i32_e32 v21, 5, v21
	v_ashrrev_i32_e32 v34, 5, v32
	v_ashrrev_i32_e32 v35, 5, v33
	v_cvt_pkrtz_f16_f32 v32, v36, v37
	v_cvt_pkrtz_f16_f32 v33, v22, v23
	v_cndmask_b32_e32 v36, v20, v21, vcc
	v_cndmask_b32_e64 v64, v20, v34, s[4:5]
	v_cndmask_b32_e64 v66, v20, v35, s[6:7]
	s_waitcnt lgkmcnt(1)
	v_mfma_f32_16x16x16_f16 v[18:21], v[18:19], v[10:11], 0
	v_cvt_pk_f32_fp8_e32 v[46:47], v25
	v_cvt_pkrtz_f16_f32 v22, v48, v49
	v_cvt_pkrtz_f16_f32 v23, v50, v51
	v_cvt_pk_f32_fp8_sdwa v[24:25], v25 src0_sel:WORD_1
	v_cvt_pkrtz_f16_f32 v38, v38, v39
	v_cvt_pkrtz_f16_f32 v39, v40, v41
	v_mfma_f32_16x16x16_f16 v[32:35], v[32:33], v[12:13], v[18:21]
	s_add_u32 s10, s10, s12
	v_and_b32_e32 v30, 16, v0
	v_lshlrev_b32_e32 v27, 5, v28
	s_addc_u32 s11, s11, 0
	v_cvt_pkrtz_f16_f32 v68, v46, v47
	v_cvt_pkrtz_f16_f32 v46, v52, v53
	;; [unrolled: 1-line block ×3, first 2 shown]
	s_load_dword s14, s[0:1], 0x1c
	s_load_dwordx4 s[40:43], s[0:1], 0x80
	v_lshl_add_u64 v[40:41], s[10:11], 0, v[30:31]
	v_lshl_or_b32 v30, v29, 9, v27
	v_cvt_pkrtz_f16_f32 v69, v24, v25
	v_mfma_f32_16x16x16_f16 v[22:25], v[22:23], v[10:11], 0
	v_lshl_add_u64 v[18:19], v[40:41], 0, v[30:31]
	v_ashrrev_i32_e32 v37, 31, v36
	v_ashrrev_i32_e32 v65, 31, v64
	s_waitcnt lgkmcnt(0)
	v_mfma_f32_16x16x16_f16 v[30:33], v[38:39], v[2:3], v[32:35]
	v_ashrrev_i32_e32 v67, 31, v66
	v_cvt_pkrtz_f16_f32 v48, v56, v57
	v_cvt_pkrtz_f16_f32 v49, v58, v59
	v_mfma_f32_16x16x16_f16 v[20:23], v[46:47], v[12:13], v[22:25]
	v_lshl_add_u64 v[34:35], v[64:65], 2, s[8:9]
	s_load_dword s4, s[40:41], 0x0
	v_cvt_pkrtz_f16_f32 v50, v60, v61
	v_lshl_add_u64 v[24:25], v[36:37], 2, s[8:9]
	v_lshl_add_u64 v[36:37], v[66:67], 2, s[8:9]
	global_load_dword v47, v[24:25], off
	global_load_dword v45, v[34:35], off
	;; [unrolled: 1-line block ×3, first 2 shown]
	v_mfma_f32_16x16x16_f16 v[34:37], v[68:69], v[4:5], v[30:33]
	s_waitcnt vmcnt(5)
	v_cvt_pk_f32_fp8_e32 v[24:25], v14
	v_cvt_pkrtz_f16_f32 v51, v62, v63
	v_cvt_pk_f32_fp8_e32 v[38:39], v15
	v_cvt_pk_f32_fp8_sdwa v[32:33], v14 src0_sel:WORD_1
	v_mfma_f32_16x16x16_f16 v[20:23], v[48:49], v[2:3], v[20:23]
	v_cvt_pkrtz_f16_f32 v24, v24, v25
	v_cvt_pk_f32_fp8_sdwa v[14:15], v15 src0_sel:WORD_1
	v_cvt_pkrtz_f16_f32 v25, v32, v33
	v_mov_b32_e32 v40, s14
	v_mfma_f32_16x16x16_f16 v[20:23], v[50:51], v[4:5], v[20:23]
	v_cvt_pkrtz_f16_f32 v32, v38, v39
	v_cvt_pk_f32_fp8_e32 v[50:51], v16
	v_cvt_pk_f32_fp8_sdwa v[52:53], v16 src0_sel:WORD_1
	v_cvt_pkrtz_f16_f32 v33, v14, v15
	s_waitcnt lgkmcnt(0)
	v_mul_f32_e32 v48, s4, v40
	v_mfma_f32_16x16x16_f16 v[38:41], v[24:25], v[10:11], 0
	v_cvt_pkrtz_f16_f32 v24, v50, v51
	v_cvt_pkrtz_f16_f32 v25, v52, v53
	v_cvt_pk_f32_fp8_e32 v[50:51], v17
	v_cvt_pk_f32_fp8_sdwa v[52:53], v17 src0_sel:WORD_1
	v_mfma_f32_16x16x16_f16 v[14:17], v[32:33], v[12:13], v[38:41]
	v_pk_mul_f32 v[32:33], v[48:49], v[36:37] op_sel_hi:[0,1]
	v_cvt_pkrtz_f16_f32 v36, v50, v51
	v_cvt_pkrtz_f16_f32 v37, v52, v53
	v_mfma_f32_16x16x16_f16 v[14:17], v[24:25], v[2:3], v[14:17]
	v_pk_mul_f32 v[38:39], v[48:49], v[34:35] op_sel_hi:[0,1]
	s_waitcnt vmcnt(4)
	v_cvt_pk_f32_fp8_e32 v[24:25], v6
	v_cvt_pk_f32_fp8_sdwa v[34:35], v6 src0_sel:WORD_1
	v_mfma_f32_16x16x16_f16 v[14:17], v[36:37], v[4:5], v[14:17]
	v_cvt_pk_f32_fp8_e32 v[36:37], v7
	v_cvt_pkrtz_f16_f32 v24, v24, v25
	v_cvt_pkrtz_f16_f32 v25, v34, v35
	v_cvt_pk_f32_fp8_sdwa v[6:7], v7 src0_sel:WORD_1
	v_cvt_pkrtz_f16_f32 v40, v36, v37
	v_cvt_pk_f32_fp8_e32 v[50:51], v8
	v_cvt_pk_f32_fp8_sdwa v[52:53], v8 src0_sel:WORD_1
	v_cvt_pkrtz_f16_f32 v41, v6, v7
	v_mfma_f32_16x16x16_f16 v[34:37], v[24:25], v[10:11], 0
	v_cvt_pkrtz_f16_f32 v10, v50, v51
	v_cvt_pkrtz_f16_f32 v11, v52, v53
	v_cvt_pk_f32_fp8_e32 v[24:25], v9
	v_cvt_pk_f32_fp8_sdwa v[50:51], v9 src0_sel:WORD_1
	v_mfma_f32_16x16x16_f16 v[6:9], v[40:41], v[12:13], v[34:37]
	v_pk_mul_f32 v[40:41], v[48:49], v[20:21] op_sel_hi:[0,1]
	v_cvt_pkrtz_f16_f32 v12, v24, v25
	v_cvt_pkrtz_f16_f32 v13, v50, v51
	v_mfma_f32_16x16x16_f16 v[6:9], v[10:11], v[2:3], v[6:9]
	v_pk_mul_f32 v[36:37], v[48:49], v[22:23] op_sel_hi:[0,1]
	v_pk_mul_f32 v[24:25], v[48:49], v[16:17] op_sel_hi:[0,1]
	;; [unrolled: 1-line block ×3, first 2 shown]
	v_mfma_f32_16x16x16_f16 v[2:5], v[12:13], v[4:5], v[6:9]
	s_waitcnt vmcnt(3)
	v_mad_i64_i32 v[30:31], s[4:5], v70, s45, v[18:19]
	s_mov_b32 s33, 0xff7fffff
	s_nop 3
	v_pk_mul_f32 v[22:23], v[48:49], v[2:3] op_sel_hi:[0,1]
	v_and_b32_e32 v2, 0xc0, v0
	v_add_u32_e32 v2, s16, v2
	v_lshl_or_b32 v2, v42, 2, v2
	v_or_b32_e32 v3, 1, v2
	v_pk_mul_f32 v[20:21], v[48:49], v[4:5] op_sel_hi:[0,1]
	v_subrev_u32_e32 v4, s29, v3
	v_add_u32_e32 v6, 1, v4
	v_add_u32_e32 v7, 2, v4
	;; [unrolled: 1-line block ×3, first 2 shown]
	v_cvt_f32_i32_e32 v6, v6
	v_cvt_f32_i32_e32 v7, v7
	;; [unrolled: 1-line block ×3, first 2 shown]
	v_add_u32_e32 v9, 19, v4
	v_fmac_f32_e32 v39, v44, v6
	v_fma_f32 v32, v44, v7, v32
	v_fmac_f32_e32 v33, v44, v8
	v_add_u32_e32 v6, 16, v4
	v_add_u32_e32 v7, 17, v4
	;; [unrolled: 1-line block ×3, first 2 shown]
	v_cvt_f32_i32_e32 v6, v6
	v_cvt_f32_i32_e32 v7, v7
	;; [unrolled: 1-line block ×4, first 2 shown]
	v_fma_f32 v40, v44, v6, v40
	v_fmac_f32_e32 v41, v44, v7
	v_fma_f32 v36, v44, v8, v36
	v_add_u32_e32 v6, 32, v4
	v_add_u32_e32 v7, 33, v4
	;; [unrolled: 1-line block ×3, first 2 shown]
	v_cvt_f32_i32_e32 v6, v6
	v_cvt_f32_i32_e32 v7, v7
	;; [unrolled: 1-line block ×4, first 2 shown]
	v_fmac_f32_e32 v37, v44, v9
	v_add_u32_e32 v9, 35, v4
	v_fma_f32 v48, v44, v6, v34
	v_fmac_f32_e32 v35, v44, v7
	v_fma_f32 v24, v44, v8, v24
	v_add_u32_e32 v6, 48, v4
	v_add_u32_e32 v7, 49, v4
	;; [unrolled: 1-line block ×4, first 2 shown]
	v_cvt_f32_i32_e32 v4, v4
	v_cvt_f32_i32_e32 v6, v6
	;; [unrolled: 1-line block ×3, first 2 shown]
	v_fma_f32 v5, v44, v5, v38
	v_fmac_f32_e32 v21, v44, v4
	v_mov_b32_e32 v4, 0xff7fffff
	v_cmp_gt_i32_e64 s[4:5], s29, v2
	v_cmp_gt_i32_e64 s[34:35], s29, v3
	v_fma_f32 v22, v44, v6, v22
	v_cndmask_b32_e64 v6, v4, v5, s[4:5]
	v_cndmask_b32_e64 v3, v4, v39, s[34:35]
	v_fmac_f32_e32 v23, v44, v7
	v_max3_f32 v3, v6, s33, v3
	v_or_b32_e32 v6, 2, v2
	v_or_b32_e32 v7, 3, v2
	v_cmp_gt_i32_e64 s[36:37], s29, v6
	v_cmp_gt_i32_e64 s[38:39], s29, v7
	v_cvt_f32_i32_e32 v9, v9
	v_cndmask_b32_e64 v6, v4, v32, s[36:37]
	v_cndmask_b32_e64 v7, v4, v33, s[38:39]
	v_max3_f32 v3, v3, v6, v7
	v_or_b32_e32 v6, 16, v2
	v_or_b32_e32 v7, 17, v2
	v_cmp_gt_i32_e64 s[24:25], s29, v6
	v_cmp_gt_i32_e64 s[26:27], s29, v7
	v_fmac_f32_e32 v25, v44, v9
	v_cndmask_b32_e64 v6, v4, v40, s[24:25]
	v_cndmask_b32_e64 v7, v4, v41, s[26:27]
	v_max3_f32 v3, v3, v6, v7
	v_or_b32_e32 v6, 18, v2
	v_or_b32_e32 v7, 19, v2
	v_cmp_gt_i32_e64 s[20:21], s29, v6
	v_cmp_gt_i32_e64 s[22:23], s29, v7
	v_cvt_f32_i32_e32 v8, v8
	v_cndmask_b32_e64 v6, v4, v36, s[20:21]
	v_cndmask_b32_e64 v7, v4, v37, s[22:23]
	v_max3_f32 v3, v3, v6, v7
	v_or_b32_e32 v6, 32, v2
	v_or_b32_e32 v7, 33, v2
	v_cmp_gt_i32_e64 s[16:17], s29, v6
	v_cmp_gt_i32_e64 s[18:19], s29, v7
	v_fma_f32 v20, v44, v8, v20
	v_cndmask_b32_e64 v6, v4, v48, s[16:17]
	v_cndmask_b32_e64 v7, v4, v35, s[18:19]
	v_max3_f32 v3, v3, v6, v7
	v_or_b32_e32 v6, 34, v2
	v_or_b32_e32 v7, 35, v2
	v_cmp_gt_i32_e64 s[12:13], s29, v6
	v_cmp_gt_i32_e64 s[14:15], s29, v7
	s_nop 0
	v_cndmask_b32_e64 v6, v4, v24, s[12:13]
	v_cndmask_b32_e64 v7, v4, v25, s[14:15]
	v_max3_f32 v3, v3, v6, v7
	v_or_b32_e32 v6, 48, v2
	v_or_b32_e32 v7, 49, v2
	v_cmp_gt_i32_e64 s[8:9], s29, v6
	v_cmp_gt_i32_e64 s[10:11], s29, v7
	s_nop 0
	v_cndmask_b32_e64 v6, v4, v22, s[8:9]
	v_cndmask_b32_e64 v7, v4, v23, s[10:11]
	v_max3_f32 v3, v3, v6, v7
	v_or_b32_e32 v6, 50, v2
	v_or_b32_e32 v2, 51, v2
	v_cmp_gt_i32_e32 vcc, s29, v6
	v_cmp_gt_i32_e64 s[6:7], s29, v2
	s_nop 0
	v_cndmask_b32_e32 v6, v4, v20, vcc
	v_cndmask_b32_e64 v2, v4, v21, s[6:7]
	v_max3_f32 v4, v3, v6, v2
	v_mbcnt_lo_u32_b32 v2, -1, 0
	v_mbcnt_hi_u32_b32 v6, -1, v2
	v_and_b32_e32 v2, 64, v6
	v_add_u32_e32 v7, 64, v2
	v_xor_b32_e32 v2, 32, v6
	v_cmp_lt_i32_e64 s[40:41], v2, v7
	s_nop 1
	v_cndmask_b32_e64 v2, v6, v2, s[40:41]
	v_lshlrev_b32_e32 v44, 2, v2
	ds_bpermute_b32 v8, v44, v4
	s_waitcnt vmcnt(2)
	v_mad_i64_i32 v[2:3], s[40:41], v47, s45, v[18:19]
	global_load_dwordx4 v[14:17], v[30:31], off
	global_load_dwordx4 v[10:13], v[2:3], off
	v_xor_b32_e32 v3, 16, v6
	v_cmp_lt_i32_e64 s[40:41], v3, v7
	s_waitcnt lgkmcnt(0)
	v_max_f32_e32 v2, v8, v8
	v_max_f32_e32 v2, v4, v2
	v_cndmask_b32_e64 v3, v6, v3, s[40:41]
	v_lshlrev_b32_e32 v47, 2, v3
	ds_bpermute_b32 v3, v47, v2
	s_waitcnt vmcnt(3)
	v_mad_i64_i32 v[30:31], s[40:41], v45, s45, v[18:19]
	s_waitcnt vmcnt(2)
	v_mad_i64_i32 v[18:19], s[40:41], v46, s45, v[18:19]
	s_waitcnt lgkmcnt(0)
	v_max_f32_e32 v3, v3, v3
	v_max_f32_e32 v34, v2, v3
	v_sub_f32_e32 v2, v5, v34
	v_mul_f32_e32 v2, 0x3fb8aa3b, v2
	v_exp_f32_e32 v38, v2
	v_sub_f32_e32 v2, v39, v34
	v_mul_f32_e32 v2, 0x3fb8aa3b, v2
	v_exp_f32_e32 v39, v2
	global_load_dwordx4 v[6:9], v[30:31], off
	global_load_dwordx4 v[2:5], v[18:19], off
	v_sub_f32_e32 v31, v32, v34
	v_sub_f32_e32 v32, v33, v34
	v_mul_f32_e32 v31, 0x3fb8aa3b, v31
	v_mul_f32_e32 v32, 0x3fb8aa3b, v32
	v_exp_f32_e32 v31, v31
	v_exp_f32_e32 v32, v32
	v_cndmask_b32_e64 v18, 0, v38, s[4:5]
	v_cndmask_b32_e64 v19, 0, v39, s[34:35]
	;; [unrolled: 1-line block ×4, first 2 shown]
	v_sub_f32_e32 v31, v40, v34
	v_sub_f32_e32 v32, v41, v34
	v_mul_f32_e32 v31, 0x3fb8aa3b, v31
	v_mul_f32_e32 v32, 0x3fb8aa3b, v32
	v_exp_f32_e32 v31, v31
	v_exp_f32_e32 v32, v32
	v_add_f32_e32 v30, 0, v18
	v_add_f32_e32 v30, v30, v19
	;; [unrolled: 1-line block ×4, first 2 shown]
	v_cndmask_b32_e64 v30, 0, v31, s[24:25]
	v_cndmask_b32_e64 v31, 0, v32, s[26:27]
	v_sub_f32_e32 v32, v36, v34
	v_mul_f32_e32 v32, 0x3fb8aa3b, v32
	v_exp_f32_e32 v32, v32
	v_sub_f32_e32 v36, v37, v34
	v_add_f32_e32 v33, v33, v30
	v_mul_f32_e32 v36, 0x3fb8aa3b, v36
	v_exp_f32_e32 v37, v36
	v_add_f32_e32 v33, v33, v31
	v_cndmask_b32_e64 v36, 0, v32, s[20:21]
	v_add_f32_e32 v32, v33, v36
	v_sub_f32_e32 v33, v48, v34
	v_mul_f32_e32 v33, 0x3fb8aa3b, v33
	v_sub_f32_e32 v35, v35, v34
	v_exp_f32_e32 v33, v33
	v_mul_f32_e32 v35, 0x3fb8aa3b, v35
	v_sub_f32_e32 v24, v24, v34
	v_exp_f32_e32 v35, v35
	;; [unrolled: 3-line block ×3, first 2 shown]
	v_mul_f32_e32 v25, 0x3fb8aa3b, v25
	v_sub_f32_e32 v22, v22, v34
	v_cndmask_b32_e64 v37, 0, v37, s[22:23]
	v_exp_f32_e32 v25, v25
	v_mul_f32_e32 v22, 0x3fb8aa3b, v22
	v_sub_f32_e32 v23, v23, v34
	v_add_f32_e32 v40, v32, v37
	v_cndmask_b32_e64 v32, 0, v33, s[16:17]
	v_exp_f32_e32 v22, v22
	v_mul_f32_e32 v23, 0x3fb8aa3b, v23
	v_sub_f32_e32 v20, v20, v34
	v_add_f32_e32 v40, v40, v32
	v_cndmask_b32_e64 v33, 0, v35, s[18:19]
	v_exp_f32_e32 v23, v23
	v_mul_f32_e32 v20, 0x3fb8aa3b, v20
	v_sub_f32_e32 v21, v21, v34
	v_add_f32_e32 v35, v40, v33
	v_cndmask_b32_e64 v24, 0, v24, s[12:13]
	v_exp_f32_e32 v20, v20
	v_mul_f32_e32 v21, 0x3fb8aa3b, v21
	v_add_f32_e32 v35, v35, v24
	v_cndmask_b32_e64 v25, 0, v25, s[14:15]
	v_exp_f32_e32 v21, v21
	v_add_f32_e32 v35, v35, v25
	v_cndmask_b32_e64 v22, 0, v22, s[8:9]
	v_add_f32_e32 v35, v35, v22
	v_cndmask_b32_e64 v23, 0, v23, s[10:11]
	v_add_f32_e32 v35, v35, v23
	v_cndmask_b32_e32 v20, 0, v20, vcc
	v_add_f32_e32 v35, v35, v20
	v_cndmask_b32_e64 v21, 0, v21, s[6:7]
	v_add_f32_e32 v35, v35, v21
	ds_bpermute_b32 v40, v44, v35
	s_load_dword s7, s[0:1], 0x98
	v_cmp_gt_u32_e32 vcc, 16, v43
	s_waitcnt lgkmcnt(0)
	s_barrier
	v_add_f32_e32 v40, v35, v40
	ds_bpermute_b32 v41, v47, v40
	v_lshlrev_b32_e32 v35, 2, v28
	s_waitcnt lgkmcnt(0)
	s_and_saveexec_b64 s[4:5], vcc
	s_cbranch_execz .LBB861_15
; %bb.14:
	v_add_f32_e32 v40, v40, v41
	v_lshl_or_b32 v41, v29, 6, v35
	ds_write2st64_b32 v41, v34, v40 offset1:1
.LBB861_15:
	s_or_b64 exec, exec, s[4:5]
	s_load_dword s6, s[0:1], 0x94
	s_waitcnt lgkmcnt(0)
	s_barrier
	ds_read2_b32 v[40:41], v35 offset1:16
	ds_read2_b32 v[44:45], v35 offset0:32 offset1:48
	ds_read2_b32 v[46:47], v35 offset0:64 offset1:80
	s_mul_i32 s7, s7, 14
	s_waitcnt lgkmcnt(2)
	v_max3_f32 v34, v40, s33, v41
	s_waitcnt lgkmcnt(1)
	v_max3_f32 v34, v34, v44, v45
	v_sub_f32_e32 v40, v40, v34
	v_mul_f32_e32 v40, 0x3fb8aa3b, v40
	v_exp_f32_e32 v43, v40
	v_sub_f32_e32 v40, v41, v34
	v_mul_f32_e32 v40, 0x3fb8aa3b, v40
	v_exp_f32_e32 v48, v40
	;; [unrolled: 3-line block ×3, first 2 shown]
	ds_read2_b32 v[40:41], v35 offset0:96 offset1:112
	v_sub_f32_e32 v35, v45, v34
	v_mul_f32_e32 v35, 0x3fb8aa3b, v35
	v_exp_f32_e32 v45, v35
	s_waitcnt lgkmcnt(1)
	v_fma_f32 v35, v43, v46, 0
	v_fmac_f32_e32 v35, v48, v47
	s_waitcnt lgkmcnt(0)
	v_fmac_f32_e32 v35, v44, v40
	v_fmac_f32_e32 v35, v45, v41
	v_add_f32_e32 v40, 0x358637bd, v35
	v_div_scale_f32 v41, s[4:5], v40, v40, 1.0
	v_rcp_f32_e32 v46, v41
	s_barrier
	v_fma_f32 v47, -v41, v46, 1.0
	v_fmac_f32_e32 v46, v47, v46
	v_div_scale_f32 v47, vcc, 1.0, v40, 1.0
	v_mul_f32_e32 v49, v47, v46
	v_fma_f32 v50, -v41, v49, v47
	v_fmac_f32_e32 v49, v50, v46
	v_fma_f32 v41, -v41, v49, v47
	v_div_fmas_f32 v41, v41, v46, v49
	v_cmp_eq_u32_e32 vcc, 1, v29
	v_div_fixup_f32 v40, v41, v40, 1.0
	s_nop 0
	v_cndmask_b32_e32 v41, v43, v48, vcc
	v_cmp_eq_u32_e32 vcc, 2, v29
	s_nop 1
	v_cndmask_b32_e32 v41, v41, v44, vcc
	v_cmp_eq_u32_e32 vcc, 3, v29
	s_nop 1
	v_cndmask_b32_e32 v41, v41, v45, vcc
	v_mul_f32_e32 v40, v41, v40
	v_pk_mul_f32 v[38:39], v[40:41], v[38:39] op_sel_hi:[0,1]
	v_pk_mul_f32 v[18:19], v[40:41], v[18:19] op_sel_hi:[0,1]
	v_cvt_f16_f32_e32 v41, v38
	v_cvt_f16_f32_e32 v39, v39
	;; [unrolled: 1-line block ×4, first 2 shown]
	v_cmp_gt_u32_e32 vcc, 14, v0
	v_pack_b32_f16 v39, v41, v39
	v_lshlrev_b32_e32 v41, 3, v42
	v_pack_b32_f16 v38, v18, v19
	v_pk_mul_f32 v[18:19], v[40:41], v[36:37] op_sel_hi:[0,1]
	v_pk_mul_f32 v[30:31], v[40:41], v[30:31] op_sel_hi:[0,1]
	v_cvt_f16_f32_e32 v30, v30
	v_cvt_f16_f32_e32 v31, v31
	;; [unrolled: 1-line block ×4, first 2 shown]
	v_lshlrev_b32_e32 v18, 11, v29
	v_or3_b32 v18, v18, v27, v41
	v_pack_b32_f16 v30, v30, v31
	v_pack_b32_f16 v31, v36, v19
	ds_write2st64_b64 v18, v[38:39], v[30:31] offset1:1
	v_pk_mul_f32 v[24:25], v[40:41], v[24:25] op_sel_hi:[0,1]
	v_pk_mul_f32 v[30:31], v[40:41], v[32:33] op_sel_hi:[0,1]
	;; [unrolled: 1-line block ×4, first 2 shown]
	v_cvt_f16_f32_e32 v19, v30
	v_cvt_f16_f32_e32 v29, v31
	;; [unrolled: 1-line block ×8, first 2 shown]
	v_pack_b32_f16 v20, v19, v29
	v_pack_b32_f16 v21, v24, v25
	v_pack_b32_f16 v22, v22, v23
	v_pack_b32_f16 v23, v30, v31
	ds_write2st64_b64 v18, v[20:21], v[22:23] offset0:2 offset1:3
	s_and_saveexec_b64 s[4:5], vcc
	s_cbranch_execz .LBB861_17
; %bb.16:
	s_mov_b32 s49, 0
	v_mov_b32_e32 v29, 0
	v_lshl_add_u64 v[20:21], s[48:49], 0, v[28:29]
	v_mov_b32_e32 v19, s7
	v_mad_u64_u32 v[20:21], s[12:13], s2, v19, v[20:21]
	s_mul_i32 s3, s3, s7
	v_mov_b32_e32 v28, s28
	s_load_dwordx4 s[8:11], s[0:1], 0x58
	v_add_u32_e32 v19, s3, v21
	v_mad_u64_u32 v[20:21], s[12:13], v20, s6, v[28:29]
	v_mov_b32_e32 v22, v21
	v_mad_u64_u32 v[22:23], s[12:13], v19, s6, v[22:23]
	v_mov_b32_e32 v21, v22
	v_lshlrev_b64 v[20:21], 2, v[20:21]
	s_waitcnt lgkmcnt(0)
	v_lshl_add_u64 v[22:23], s[10:11], 0, v[20:21]
	v_lshl_add_u64 v[20:21], s[8:9], 0, v[20:21]
	global_store_dword v[22:23], v34, off
	global_store_dword v[20:21], v35, off
.LBB861_17:
	s_or_b64 exec, exec, s[4:5]
	s_waitcnt vmcnt(3)
	v_cvt_pk_f32_fp8_e32 v[20:21], v14
	v_cvt_pk_f32_fp8_sdwa v[22:23], v14 src0_sel:WORD_1
	v_lshl_or_b32 v14, v42, 9, v27
	s_waitcnt lgkmcnt(0)
	s_barrier
	v_cvt_pk_f32_fp8_e32 v[24:25], v15
	v_cvt_pkrtz_f16_f32 v32, v20, v21
	v_cvt_pkrtz_f16_f32 v33, v22, v23
	v_cvt_pk_f32_fp8_sdwa v[28:29], v15 src0_sel:WORD_1
	ds_read_b128 v[20:23], v14
	v_cvt_pkrtz_f16_f32 v24, v24, v25
	v_cvt_pk_f32_fp8_e32 v[36:37], v16
	v_cvt_pkrtz_f16_f32 v25, v28, v29
	ds_read_b128 v[28:31], v14 offset:16
	v_cvt_pk_f32_fp8_sdwa v[38:39], v16 src0_sel:WORD_1
	s_waitcnt lgkmcnt(1)
	v_mfma_f32_16x16x16_f16 v[32:35], v[32:33], v[20:21], 0
	v_cvt_pkrtz_f16_f32 v36, v36, v37
	s_load_dword s4, s[42:43], 0x0
	v_cvt_pkrtz_f16_f32 v37, v38, v39
	v_cvt_pk_f32_fp8_e32 v[38:39], v17
	v_cvt_pk_f32_fp8_sdwa v[16:17], v17 src0_sel:WORD_1
	v_mfma_f32_16x16x16_f16 v[20:23], v[24:25], v[22:23], v[32:35]
	v_cmp_gt_u32_e32 vcc, 64, v0
	v_cvt_pkrtz_f16_f32 v24, v38, v39
	v_cvt_pkrtz_f16_f32 v25, v16, v17
	s_waitcnt lgkmcnt(0)
	v_mfma_f32_16x16x16_f16 v[20:23], v[36:37], v[28:29], v[20:23]
	s_waitcnt vmcnt(2)
	v_cvt_pk_f32_fp8_e32 v[16:17], v10
	v_cvt_pk_f32_fp8_e32 v[28:29], v11
	v_cvt_pk_f32_fp8_sdwa v[36:37], v12 src0_sel:WORD_1
	v_mfma_f32_16x16x16_f16 v[20:23], v[24:25], v[30:31], v[20:23]
	v_cvt_pk_f32_fp8_sdwa v[24:25], v10 src0_sel:WORD_1
	v_cvt_pkrtz_f16_f32 v10, v16, v17
	v_cvt_pk_f32_fp8_sdwa v[16:17], v11 src0_sel:WORD_1
	ds_read_b128 v[32:35], v14 offset:2064
	v_cvt_pkrtz_f16_f32 v11, v24, v25
	v_cvt_pkrtz_f16_f32 v24, v28, v29
	ds_read_b128 v[28:31], v14 offset:2048
	v_cvt_pkrtz_f16_f32 v25, v16, v17
	v_cvt_pk_f32_fp8_e32 v[16:17], v12
	s_waitcnt lgkmcnt(0)
	v_mfma_f32_16x16x16_f16 v[20:23], v[10:11], v[28:29], v[20:23]
	v_cvt_pkrtz_f16_f32 v10, v16, v17
	v_cvt_pkrtz_f16_f32 v11, v36, v37
	v_cvt_pk_f32_fp8_e32 v[16:17], v13
	v_mfma_f32_16x16x16_f16 v[20:23], v[24:25], v[30:31], v[20:23]
	v_cvt_pk_f32_fp8_sdwa v[24:25], v13 src0_sel:WORD_1
	ds_read_b128 v[28:31], v14 offset:4112
	v_cvt_pkrtz_f16_f32 v16, v16, v17
	v_mfma_f32_16x16x16_f16 v[10:13], v[10:11], v[32:33], v[20:23]
	v_cvt_pkrtz_f16_f32 v17, v24, v25
	s_waitcnt vmcnt(1)
	v_cvt_pk_f32_fp8_sdwa v[24:25], v7 src0_sel:WORD_1
	v_cvt_pk_f32_fp8_sdwa v[32:33], v8 src0_sel:WORD_1
	v_cvt_pk_f32_fp8_e32 v[20:21], v6
	v_mfma_f32_16x16x16_f16 v[10:13], v[16:17], v[34:35], v[10:13]
	v_cvt_pk_f32_fp8_sdwa v[16:17], v6 src0_sel:WORD_1
	v_cvt_pk_f32_fp8_e32 v[22:23], v7
	v_cvt_pkrtz_f16_f32 v6, v20, v21
	s_mov_b32 s3, 0
	v_cvt_pkrtz_f16_f32 v7, v16, v17
	v_cvt_pkrtz_f16_f32 v16, v22, v23
	ds_read_b128 v[20:23], v14 offset:4096
	v_cvt_pkrtz_f16_f32 v17, v24, v25
	v_cvt_pk_f32_fp8_e32 v[24:25], v8
	s_waitcnt lgkmcnt(0)
	v_mfma_f32_16x16x16_f16 v[10:13], v[6:7], v[20:21], v[10:13]
	v_cvt_pkrtz_f16_f32 v6, v24, v25
	v_cvt_pkrtz_f16_f32 v7, v32, v33
	v_cvt_pk_f32_fp8_e32 v[20:21], v9
	v_mfma_f32_16x16x16_f16 v[10:13], v[16:17], v[22:23], v[10:13]
	v_cvt_pk_f32_fp8_sdwa v[16:17], v9 src0_sel:WORD_1
	s_waitcnt vmcnt(0)
	v_cvt_pk_f32_fp8_sdwa v[24:25], v4 src0_sel:WORD_1
	v_cvt_pkrtz_f16_f32 v20, v20, v21
	v_mfma_f32_16x16x16_f16 v[6:9], v[6:7], v[28:29], v[10:13]
	v_cvt_pkrtz_f16_f32 v21, v16, v17
	v_cvt_pk_f32_fp8_e32 v[16:17], v3
	v_mov_b32_e32 v27, 0
	v_cvt_pk_f32_fp8_e32 v[10:11], v2
	v_cvt_pk_f32_fp8_sdwa v[12:13], v2 src0_sel:WORD_1
	v_mfma_f32_16x16x16_f16 v[6:9], v[20:21], v[30:31], v[6:9]
	v_cvt_pk_f32_fp8_sdwa v[20:21], v3 src0_sel:WORD_1
	v_cvt_pkrtz_f16_f32 v2, v10, v11
	v_cvt_pkrtz_f16_f32 v3, v12, v13
	ds_read_b128 v[10:13], v14 offset:6144
	v_cvt_pkrtz_f16_f32 v22, v16, v17
	v_cvt_pkrtz_f16_f32 v23, v20, v21
	v_cvt_pk_f32_fp8_e32 v[20:21], v4
	s_waitcnt lgkmcnt(0)
	v_mfma_f32_16x16x16_f16 v[6:9], v[2:3], v[10:11], v[6:9]
	ds_read_b128 v[14:17], v14 offset:6160
	v_cvt_pkrtz_f16_f32 v2, v20, v21
	v_cvt_pkrtz_f16_f32 v3, v24, v25
	v_cvt_pk_f32_fp8_e32 v[10:11], v5
	v_mfma_f32_16x16x16_f16 v[6:9], v[22:23], v[12:13], v[6:9]
	v_cvt_pk_f32_fp8_sdwa v[12:13], v5 src0_sel:WORD_1
	s_waitcnt lgkmcnt(0)
	v_cvt_pkrtz_f16_f32 v10, v10, v11
	v_mfma_f32_16x16x16_f16 v[2:5], v[2:3], v[14:15], v[6:9]
	v_cvt_pkrtz_f16_f32 v11, v12, v13
	s_barrier
	s_nop 0
	v_mfma_f32_16x16x16_f16 v[2:5], v[10:11], v[16:17], v[2:5]
	s_nop 6
	v_pk_mul_f32 v[4:5], v[4:5], s[4:5] op_sel_hi:[1,0]
	v_pk_mul_f32 v[2:3], v[2:3], s[4:5] op_sel_hi:[1,0]
	v_cvt_f16_f32_e32 v4, v4
	v_cvt_f16_f32_e32 v2, v2
	;; [unrolled: 1-line block ×4, first 2 shown]
	s_and_b64 s[4:5], vcc, s[30:31]
	v_pack_b32_f16 v2, v2, v3
	v_pack_b32_f16 v3, v4, v5
	ds_write_b64 v18, v[2:3]
	s_waitcnt lgkmcnt(0)
	s_barrier
	s_and_saveexec_b64 s[8:9], s[4:5]
	s_cbranch_execz .LBB861_20
; %bb.18:
	s_load_dwordx2 s[4:5], s[0:1], 0x68
	s_lshl_b32 s0, s6, 6
	s_mul_i32 s1, s7, s2
	s_mul_hi_u32 s7, s1, s0
	s_mul_i32 s6, s1, s0
	v_lshlrev_b32_e32 v0, 10, v0
	s_lshl_b64 s[6:7], s[6:7], 1
	v_and_b32_e32 v0, 0x1800, v0
	v_lshlrev_b32_e32 v2, 5, v42
	v_and_b32_e32 v1, 16, v1
	s_waitcnt lgkmcnt(0)
	s_add_u32 s1, s4, s6
	v_or3_b32 v2, v0, v2, v1
	s_addc_u32 s4, s5, s7
	s_lshl_b32 s2, s28, 6
	ds_read_b128 v[4:7], v2 offset:256
	s_lshl_b64 s[2:3], s[2:3], 1
	ds_read_b128 v[8:11], v2 offset:128
	ds_read_b128 v[12:15], v2
	s_add_u32 s2, s1, s2
	s_addc_u32 s3, s4, s3
	v_add_u32_e32 v18, s48, v42
	v_lshl_add_u64 v[0:1], s[2:3], 0, v[26:27]
	v_mad_u64_u32 v[16:17], s[2:3], v18, s0, 0
	v_lshl_add_u64 v[16:17], v[16:17], 1, v[0:1]
	s_waitcnt lgkmcnt(0)
	global_store_dwordx4 v[16:17], v[12:15], off
	v_or_b32_e32 v3, 12, v42
	v_cmp_gt_u32_e32 vcc, 14, v3
	v_add_u32_e32 v12, 4, v18
	v_mad_u64_u32 v[12:13], s[2:3], v12, s0, 0
	v_lshl_add_u64 v[12:13], v[12:13], 1, v[0:1]
	global_store_dwordx4 v[12:13], v[8:11], off
	s_nop 1
	v_add_u32_e32 v8, 8, v18
	v_mad_u64_u32 v[8:9], s[2:3], v8, s0, 0
	v_lshl_add_u64 v[8:9], v[8:9], 1, v[0:1]
	global_store_dwordx4 v[8:9], v[4:7], off
	s_and_b64 exec, exec, vcc
	s_cbranch_execz .LBB861_20
; %bb.19:
	ds_read_b128 v[4:7], v2 offset:384
	v_add_u32_e32 v2, s48, v3
	v_mad_u64_u32 v[2:3], s[0:1], v2, s0, 0
	v_lshl_add_u64 v[0:1], v[2:3], 1, v[0:1]
	s_waitcnt lgkmcnt(0)
	global_store_dwordx4 v[0:1], v[4:7], off
.LBB861_20:
	s_endpgm
	.section	.rodata,"a",@progbits
	.p2align	6, 0x0
	.amdhsa_kernel _Z39paged_attention_ll4mi_QKV_mfma16_kernelIDF16_hLN4vllm18Fp8KVCacheDataTypeE1EhLi32ELi64ELi256ELb1ELi14EEvPKT_PKT0_S7_ifPKiS9_S9_iPKfiiiPfSC_PS2_PT2_iSB_SB_
		.amdhsa_group_segment_fixed_size 8192
		.amdhsa_private_segment_fixed_size 0
		.amdhsa_kernarg_size 400
		.amdhsa_user_sgpr_count 2
		.amdhsa_user_sgpr_dispatch_ptr 0
		.amdhsa_user_sgpr_queue_ptr 0
		.amdhsa_user_sgpr_kernarg_segment_ptr 1
		.amdhsa_user_sgpr_dispatch_id 0
		.amdhsa_user_sgpr_kernarg_preload_length 0
		.amdhsa_user_sgpr_kernarg_preload_offset 0
		.amdhsa_user_sgpr_private_segment_size 0
		.amdhsa_uses_dynamic_stack 0
		.amdhsa_enable_private_segment 0
		.amdhsa_system_sgpr_workgroup_id_x 1
		.amdhsa_system_sgpr_workgroup_id_y 1
		.amdhsa_system_sgpr_workgroup_id_z 1
		.amdhsa_system_sgpr_workgroup_info 0
		.amdhsa_system_vgpr_workitem_id 0
		.amdhsa_next_free_vgpr 71
		.amdhsa_next_free_sgpr 50
		.amdhsa_accum_offset 72
		.amdhsa_reserve_vcc 1
		.amdhsa_float_round_mode_32 0
		.amdhsa_float_round_mode_16_64 0
		.amdhsa_float_denorm_mode_32 3
		.amdhsa_float_denorm_mode_16_64 3
		.amdhsa_dx10_clamp 1
		.amdhsa_ieee_mode 1
		.amdhsa_fp16_overflow 0
		.amdhsa_tg_split 0
		.amdhsa_exception_fp_ieee_invalid_op 0
		.amdhsa_exception_fp_denorm_src 0
		.amdhsa_exception_fp_ieee_div_zero 0
		.amdhsa_exception_fp_ieee_overflow 0
		.amdhsa_exception_fp_ieee_underflow 0
		.amdhsa_exception_fp_ieee_inexact 0
		.amdhsa_exception_int_div_zero 0
	.end_amdhsa_kernel
	.section	.text._Z39paged_attention_ll4mi_QKV_mfma16_kernelIDF16_hLN4vllm18Fp8KVCacheDataTypeE1EhLi32ELi64ELi256ELb1ELi14EEvPKT_PKT0_S7_ifPKiS9_S9_iPKfiiiPfSC_PS2_PT2_iSB_SB_,"axG",@progbits,_Z39paged_attention_ll4mi_QKV_mfma16_kernelIDF16_hLN4vllm18Fp8KVCacheDataTypeE1EhLi32ELi64ELi256ELb1ELi14EEvPKT_PKT0_S7_ifPKiS9_S9_iPKfiiiPfSC_PS2_PT2_iSB_SB_,comdat
.Lfunc_end861:
	.size	_Z39paged_attention_ll4mi_QKV_mfma16_kernelIDF16_hLN4vllm18Fp8KVCacheDataTypeE1EhLi32ELi64ELi256ELb1ELi14EEvPKT_PKT0_S7_ifPKiS9_S9_iPKfiiiPfSC_PS2_PT2_iSB_SB_, .Lfunc_end861-_Z39paged_attention_ll4mi_QKV_mfma16_kernelIDF16_hLN4vllm18Fp8KVCacheDataTypeE1EhLi32ELi64ELi256ELb1ELi14EEvPKT_PKT0_S7_ifPKiS9_S9_iPKfiiiPfSC_PS2_PT2_iSB_SB_
                                        ; -- End function
	.section	.AMDGPU.csdata,"",@progbits
; Kernel info:
; codeLenInByte = 5008
; NumSgprs: 56
; NumVgprs: 71
; NumAgprs: 0
; TotalNumVgprs: 71
; ScratchSize: 0
; MemoryBound: 0
; FloatMode: 240
; IeeeMode: 1
; LDSByteSize: 8192 bytes/workgroup (compile time only)
; SGPRBlocks: 6
; VGPRBlocks: 8
; NumSGPRsForWavesPerEU: 56
; NumVGPRsForWavesPerEU: 71
; AccumOffset: 72
; Occupancy: 7
; WaveLimiterHint : 1
; COMPUTE_PGM_RSRC2:SCRATCH_EN: 0
; COMPUTE_PGM_RSRC2:USER_SGPR: 2
; COMPUTE_PGM_RSRC2:TRAP_HANDLER: 0
; COMPUTE_PGM_RSRC2:TGID_X_EN: 1
; COMPUTE_PGM_RSRC2:TGID_Y_EN: 1
; COMPUTE_PGM_RSRC2:TGID_Z_EN: 1
; COMPUTE_PGM_RSRC2:TIDIG_COMP_CNT: 0
; COMPUTE_PGM_RSRC3_GFX90A:ACCUM_OFFSET: 17
; COMPUTE_PGM_RSRC3_GFX90A:TG_SPLIT: 0
	.section	.text._Z39paged_attention_ll4mi_QKV_mfma16_kernelIDF16_hLN4vllm18Fp8KVCacheDataTypeE1EhLi32ELi64ELi256ELb1ELi15EEvPKT_PKT0_S7_ifPKiS9_S9_iPKfiiiPfSC_PS2_PT2_iSB_SB_,"axG",@progbits,_Z39paged_attention_ll4mi_QKV_mfma16_kernelIDF16_hLN4vllm18Fp8KVCacheDataTypeE1EhLi32ELi64ELi256ELb1ELi15EEvPKT_PKT0_S7_ifPKiS9_S9_iPKfiiiPfSC_PS2_PT2_iSB_SB_,comdat
	.protected	_Z39paged_attention_ll4mi_QKV_mfma16_kernelIDF16_hLN4vllm18Fp8KVCacheDataTypeE1EhLi32ELi64ELi256ELb1ELi15EEvPKT_PKT0_S7_ifPKiS9_S9_iPKfiiiPfSC_PS2_PT2_iSB_SB_ ; -- Begin function _Z39paged_attention_ll4mi_QKV_mfma16_kernelIDF16_hLN4vllm18Fp8KVCacheDataTypeE1EhLi32ELi64ELi256ELb1ELi15EEvPKT_PKT0_S7_ifPKiS9_S9_iPKfiiiPfSC_PS2_PT2_iSB_SB_
	.globl	_Z39paged_attention_ll4mi_QKV_mfma16_kernelIDF16_hLN4vllm18Fp8KVCacheDataTypeE1EhLi32ELi64ELi256ELb1ELi15EEvPKT_PKT0_S7_ifPKiS9_S9_iPKfiiiPfSC_PS2_PT2_iSB_SB_
	.p2align	8
	.type	_Z39paged_attention_ll4mi_QKV_mfma16_kernelIDF16_hLN4vllm18Fp8KVCacheDataTypeE1EhLi32ELi64ELi256ELb1ELi15EEvPKT_PKT0_S7_ifPKiS9_S9_iPKfiiiPfSC_PS2_PT2_iSB_SB_,@function
_Z39paged_attention_ll4mi_QKV_mfma16_kernelIDF16_hLN4vllm18Fp8KVCacheDataTypeE1EhLi32ELi64ELi256ELb1ELi15EEvPKT_PKT0_S7_ifPKiS9_S9_iPKfiiiPfSC_PS2_PT2_iSB_SB_: ; @_Z39paged_attention_ll4mi_QKV_mfma16_kernelIDF16_hLN4vllm18Fp8KVCacheDataTypeE1EhLi32ELi64ELi256ELb1ELi15EEvPKT_PKT0_S7_ifPKiS9_S9_iPKfiiiPfSC_PS2_PT2_iSB_SB_
; %bb.0:
	s_load_dwordx2 s[6:7], s[0:1], 0x30
	s_mov_b32 s28, s3
	s_mov_b64 s[8:9], 0
	s_waitcnt lgkmcnt(0)
	s_cmp_lg_u64 s[6:7], 0
	s_cselect_b64 s[10:11], -1, 0
	s_and_b64 vcc, exec, s[10:11]
	s_cbranch_vccz .LBB862_7
; %bb.1:
	s_add_i32 s12, s2, 1
	s_mov_b32 s13, 0
	s_lshl_b64 s[14:15], s[12:13], 2
	s_add_u32 s14, s6, s14
	s_mov_b32 s3, s13
	s_addc_u32 s15, s7, s15
	s_lshl_b64 s[12:13], s[2:3], 2
	s_add_u32 s12, s6, s12
	s_addc_u32 s13, s7, s13
	s_load_dword s5, s[14:15], 0x0
	s_load_dword s16, s[12:13], 0x0
	s_waitcnt lgkmcnt(0)
	s_sub_i32 s5, s5, s16
	s_cmp_eq_u32 s5, 1
	s_cselect_b64 s[12:13], -1, 0
	s_andn2_b64 vcc, exec, s[8:9]
	s_cbranch_vccnz .LBB862_3
.LBB862_2:
	s_mov_b32 s3, 0
	s_mov_b64 s[12:13], -1
.LBB862_3:
	s_andn2_b64 vcc, exec, s[12:13]
	s_cbranch_vccnz .LBB862_20
; %bb.4:
	s_load_dwordx2 s[8:9], s[0:1], 0x28
	s_lshl_b64 s[12:13], s[2:3], 2
	s_waitcnt lgkmcnt(0)
	s_add_u32 s8, s8, s12
	s_addc_u32 s9, s9, s13
	s_load_dword s29, s[8:9], 0x0
	s_lshl_b32 s16, s28, 8
	s_waitcnt lgkmcnt(0)
	s_cmp_ge_i32 s16, s29
	s_cbranch_scc1 .LBB862_20
; %bb.5:
	s_load_dwordx2 s[8:9], s[0:1], 0x20
	s_load_dword s5, s[0:1], 0x38
	s_add_i32 s14, s29, 31
	s_ashr_i32 s15, s14, 31
	v_and_b32_e32 v1, 0xcf, v0
	s_lshr_b32 s15, s15, 27
	v_add_u32_e32 v1, s16, v1
	s_add_i32 s14, s14, s15
	v_ashrrev_i32_e32 v2, 31, v1
	s_ashr_i32 s17, s14, 5
	v_lshrrev_b32_e32 v4, 27, v2
	s_add_i32 s17, s17, -1
	s_waitcnt lgkmcnt(0)
	s_mul_i32 s14, s2, s5
	s_mov_b32 s15, 0
	v_add_u32_e32 v2, v1, v4
	s_lshl_b64 s[14:15], s[14:15], 2
	v_ashrrev_i32_e32 v2, 5, v2
	v_mov_b32_e32 v5, s17
	v_cmp_gt_i32_e32 vcc, s29, v1
	s_add_u32 s8, s8, s14
	s_addc_u32 s9, s9, s15
	v_cndmask_b32_e32 v2, v5, v2, vcc
	v_ashrrev_i32_e32 v3, 31, v2
	v_lshl_add_u64 v[6:7], v[2:3], 2, s[8:9]
	v_or_b32_e32 v2, 16, v1
	v_add_u32_e32 v3, v2, v4
	v_ashrrev_i32_e32 v3, 5, v3
	v_cmp_gt_i32_e32 vcc, s29, v2
	s_load_dwordx2 s[14:15], s[0:1], 0x8
	s_nop 0
	v_cndmask_b32_e32 v2, v5, v3, vcc
	v_ashrrev_i32_e32 v3, 31, v2
	v_lshl_add_u64 v[8:9], v[2:3], 2, s[8:9]
	v_or_b32_e32 v2, 32, v1
	v_add_u32_e32 v3, v2, v4
	v_ashrrev_i32_e32 v3, 5, v3
	v_cmp_gt_i32_e32 vcc, s29, v2
	v_or_b32_e32 v1, 48, v1
	s_nop 0
	v_cndmask_b32_e32 v2, v5, v3, vcc
	v_ashrrev_i32_e32 v3, 31, v2
	v_lshl_add_u64 v[10:11], v[2:3], 2, s[8:9]
	v_add_u32_e32 v2, v1, v4
	v_ashrrev_i32_e32 v2, 5, v2
	v_cmp_gt_i32_e32 vcc, s29, v1
	s_nop 1
	v_cndmask_b32_e32 v2, v5, v2, vcc
	v_ashrrev_i32_e32 v3, 31, v2
	v_lshl_add_u64 v[12:13], v[2:3], 2, s[8:9]
	global_load_dword v5, v[6:7], off
	global_load_dword v4, v[8:9], off
	global_load_dword v3, v[10:11], off
	global_load_dword v2, v[12:13], off
	s_andn2_b64 vcc, exec, s[10:11]
	s_cbranch_vccnz .LBB862_8
; %bb.6:
	s_add_u32 s6, s6, s12
	s_addc_u32 s7, s7, s13
	s_load_dword s5, s[6:7], 0x0
	s_branch .LBB862_9
.LBB862_7:
	s_mov_b64 s[12:13], 0
	s_branch .LBB862_2
.LBB862_8:
	s_mov_b32 s5, s2
.LBB862_9:
	s_load_dwordx2 s[10:11], s[0:1], 0x10
	s_load_dwordx4 s[44:47], s[0:1], 0x48
	v_lshrrev_b32_e32 v29, 6, v0
	v_bfe_u32 v42, v0, 4, 2
	v_lshl_or_b32 v6, v29, 2, v42
	v_and_b32_e32 v28, 15, v0
	v_lshlrev_b32_e32 v1, 3, v28
	v_cmp_gt_u32_e32 vcc, 15, v6
	v_cmp_gt_u32_e64 s[30:31], 8, v28
	s_mul_i32 s48, s4, 15
	s_and_b64 s[12:13], s[30:31], vcc
	v_lshlrev_b32_e32 v26, 1, v1
	v_lshlrev_b32_e32 v1, 4, v0
	s_and_saveexec_b64 s[6:7], s[12:13]
	s_cbranch_execz .LBB862_11
; %bb.10:
	s_load_dwordx2 s[12:13], s[0:1], 0x0
	s_waitcnt lgkmcnt(0)
	s_ashr_i32 s18, s44, 31
	s_mul_hi_u32 s19, s5, s44
	s_mul_i32 s18, s5, s18
	s_add_i32 s19, s19, s18
	s_mul_i32 s18, s5, s44
	s_lshl_b64 s[18:19], s[18:19], 1
	s_add_u32 s12, s12, s18
	v_add_lshl_u32 v8, v6, s48, 6
	s_addc_u32 s13, s13, s19
	v_ashrrev_i32_e32 v9, 31, v8
	v_lshl_add_u64 v[8:9], v[8:9], 1, s[12:13]
	v_mov_b32_e32 v27, 0
	v_lshl_add_u64 v[8:9], v[8:9], 0, v[26:27]
	global_load_dwordx4 v[8:11], v[8:9], off
	v_lshlrev_b32_e32 v12, 8, v28
	v_lshlrev_b32_e32 v6, 5, v6
	v_and_b32_e32 v7, 16, v1
	v_and_b32_e32 v12, 0xe00, v12
	v_or3_b32 v6, v12, v6, v7
	s_waitcnt vmcnt(0)
	ds_write_b128 v6, v[8:11]
.LBB862_11:
	s_or_b64 exec, exec, s[6:7]
	s_waitcnt lgkmcnt(0)
	s_mul_i32 s12, s4, s46
	s_add_u32 s4, s14, s12
	s_addc_u32 s5, s15, 0
	v_mov_b32_e32 v31, 0
	v_mov_b64_e32 v[6:7], s[4:5]
	v_lshlrev_b32_e32 v10, 4, v28
	v_and_b32_e32 v27, 48, v0
	s_waitcnt vmcnt(3)
	v_mad_i64_i32 v[8:9], s[4:5], v5, s45, v[6:7]
	v_mov_b32_e32 v11, v31
	s_waitcnt vmcnt(2)
	v_mad_i64_i32 v[4:5], s[4:5], v4, s45, v[6:7]
	v_or_b32_e32 v12, 0x100, v10
	v_mov_b32_e32 v13, v31
	v_lshlrev_b32_e32 v30, 5, v27
	v_lshl_add_u64 v[8:9], v[8:9], 0, v[10:11]
	v_lshl_add_u64 v[4:5], v[4:5], 0, v[12:13]
	;; [unrolled: 1-line block ×4, first 2 shown]
	s_barrier
	global_load_dwordx4 v[22:25], v[8:9], off
	global_load_dwordx4 v[18:21], v[4:5], off
	s_waitcnt vmcnt(3)
	v_mad_i64_i32 v[4:5], s[4:5], v3, s45, v[6:7]
	v_lshl_add_u64 v[4:5], v[4:5], 0, v[10:11]
	s_waitcnt vmcnt(2)
	v_mad_i64_i32 v[2:3], s[4:5], v2, s45, v[6:7]
	v_lshl_add_u64 v[4:5], v[4:5], 0, v[30:31]
	v_lshl_add_u64 v[2:3], v[2:3], 0, v[12:13]
	;; [unrolled: 1-line block ×3, first 2 shown]
	global_load_dwordx4 v[14:17], v[4:5], off
	global_load_dwordx4 v[6:9], v[2:3], off
	v_cmp_ne_u32_e32 vcc, 15, v28
	v_and_b32_e32 v43, 63, v0
	v_mov_b32_e32 v44, 0
	v_cndmask_b32_e32 v2, 0, v28, vcc
	v_lshlrev_b32_e32 v2, 5, v2
	v_lshl_or_b32 v2, v42, 9, v2
	ds_read_b128 v[10:13], v2
	ds_read_b128 v[2:5], v2 offset:16
	s_and_saveexec_b64 s[4:5], vcc
	s_cbranch_execz .LBB862_13
; %bb.12:
	s_load_dwordx2 s[6:7], s[0:1], 0x40
	v_add_u32_e32 v32, s48, v28
	v_ashrrev_i32_e32 v33, 31, v32
	s_waitcnt lgkmcnt(0)
	v_lshl_add_u64 v[32:33], v[32:33], 2, s[6:7]
	global_load_dword v44, v[32:33], off
.LBB862_13:
	s_or_b64 exec, exec, s[4:5]
	s_ashr_i32 s4, s16, 31
	v_or_b32_e32 v45, s16, v27
	s_lshr_b32 s13, s4, 27
	v_add_u32_e32 v27, s13, v45
	v_ashrrev_i32_e32 v27, 5, v27
	s_waitcnt vmcnt(3)
	v_cvt_pk_f32_fp8_e32 v[32:33], v22
	v_cvt_pk_f32_fp8_sdwa v[34:35], v22 src0_sel:WORD_1
	s_waitcnt vmcnt(2)
	v_cvt_pk_f32_fp8_e32 v[56:57], v20
	v_cvt_pk_f32_fp8_sdwa v[58:59], v20 src0_sel:WORD_1
	v_mov_b32_e32 v20, s17
	v_cmp_gt_i32_e32 vcc, s29, v45
	v_cvt_pk_f32_fp8_e32 v[48:49], v18
	v_cvt_pk_f32_fp8_sdwa v[50:51], v18 src0_sel:WORD_1
	v_cndmask_b32_e32 v18, v20, v27, vcc
	v_cvt_pk_f32_fp8_e32 v[52:53], v19
	v_cvt_pk_f32_fp8_sdwa v[54:55], v19 src0_sel:WORD_1
	v_ashrrev_i32_e32 v19, 31, v18
	v_lshl_add_u64 v[18:19], v[18:19], 2, s[8:9]
	v_cvt_pk_f32_fp8_e32 v[36:37], v23
	v_cvt_pk_f32_fp8_sdwa v[22:23], v23 src0_sel:WORD_1
	global_load_dword v70, v[18:19], off
	v_cvt_pkrtz_f16_f32 v18, v32, v33
	v_cvt_pkrtz_f16_f32 v19, v34, v35
	v_cvt_pk_f32_fp8_e32 v[60:61], v21
	v_cvt_pk_f32_fp8_sdwa v[62:63], v21 src0_sel:WORD_1
	v_or_b32_e32 v21, 64, v45
	v_or_b32_e32 v32, 0x80, v45
	;; [unrolled: 1-line block ×3, first 2 shown]
	v_cmp_gt_i32_e32 vcc, s29, v21
	v_add_u32_e32 v21, s13, v21
	v_cmp_gt_i32_e64 s[4:5], s29, v32
	v_add_u32_e32 v32, s13, v32
	v_cmp_gt_i32_e64 s[6:7], s29, v33
	v_add_u32_e32 v33, s13, v33
	v_cvt_pk_f32_fp8_e32 v[38:39], v24
	v_cvt_pk_f32_fp8_sdwa v[40:41], v24 src0_sel:WORD_1
	v_ashrrev_i32_e32 v21, 5, v21
	v_ashrrev_i32_e32 v34, 5, v32
	v_ashrrev_i32_e32 v35, 5, v33
	v_cvt_pkrtz_f16_f32 v32, v36, v37
	v_cvt_pkrtz_f16_f32 v33, v22, v23
	v_cndmask_b32_e32 v36, v20, v21, vcc
	v_cndmask_b32_e64 v64, v20, v34, s[4:5]
	v_cndmask_b32_e64 v66, v20, v35, s[6:7]
	s_waitcnt lgkmcnt(1)
	v_mfma_f32_16x16x16_f16 v[18:21], v[18:19], v[10:11], 0
	v_cvt_pk_f32_fp8_e32 v[46:47], v25
	v_cvt_pkrtz_f16_f32 v22, v48, v49
	v_cvt_pkrtz_f16_f32 v23, v50, v51
	v_cvt_pk_f32_fp8_sdwa v[24:25], v25 src0_sel:WORD_1
	v_cvt_pkrtz_f16_f32 v38, v38, v39
	v_cvt_pkrtz_f16_f32 v39, v40, v41
	v_mfma_f32_16x16x16_f16 v[32:35], v[32:33], v[12:13], v[18:21]
	s_add_u32 s10, s10, s12
	v_and_b32_e32 v30, 16, v0
	v_lshlrev_b32_e32 v27, 5, v28
	s_addc_u32 s11, s11, 0
	v_cvt_pkrtz_f16_f32 v68, v46, v47
	v_cvt_pkrtz_f16_f32 v46, v52, v53
	;; [unrolled: 1-line block ×3, first 2 shown]
	s_load_dword s14, s[0:1], 0x1c
	s_load_dwordx4 s[40:43], s[0:1], 0x80
	v_lshl_add_u64 v[40:41], s[10:11], 0, v[30:31]
	v_lshl_or_b32 v30, v29, 9, v27
	v_cvt_pkrtz_f16_f32 v69, v24, v25
	v_mfma_f32_16x16x16_f16 v[22:25], v[22:23], v[10:11], 0
	v_lshl_add_u64 v[18:19], v[40:41], 0, v[30:31]
	v_ashrrev_i32_e32 v37, 31, v36
	v_ashrrev_i32_e32 v65, 31, v64
	s_waitcnt lgkmcnt(0)
	v_mfma_f32_16x16x16_f16 v[30:33], v[38:39], v[2:3], v[32:35]
	v_ashrrev_i32_e32 v67, 31, v66
	v_cvt_pkrtz_f16_f32 v48, v56, v57
	v_cvt_pkrtz_f16_f32 v49, v58, v59
	v_mfma_f32_16x16x16_f16 v[20:23], v[46:47], v[12:13], v[22:25]
	v_lshl_add_u64 v[34:35], v[64:65], 2, s[8:9]
	s_load_dword s4, s[40:41], 0x0
	v_cvt_pkrtz_f16_f32 v50, v60, v61
	v_lshl_add_u64 v[24:25], v[36:37], 2, s[8:9]
	v_lshl_add_u64 v[36:37], v[66:67], 2, s[8:9]
	global_load_dword v47, v[24:25], off
	global_load_dword v45, v[34:35], off
	;; [unrolled: 1-line block ×3, first 2 shown]
	v_mfma_f32_16x16x16_f16 v[34:37], v[68:69], v[4:5], v[30:33]
	s_waitcnt vmcnt(5)
	v_cvt_pk_f32_fp8_e32 v[24:25], v14
	v_cvt_pkrtz_f16_f32 v51, v62, v63
	v_cvt_pk_f32_fp8_e32 v[38:39], v15
	v_cvt_pk_f32_fp8_sdwa v[32:33], v14 src0_sel:WORD_1
	v_mfma_f32_16x16x16_f16 v[20:23], v[48:49], v[2:3], v[20:23]
	v_cvt_pkrtz_f16_f32 v24, v24, v25
	v_cvt_pk_f32_fp8_sdwa v[14:15], v15 src0_sel:WORD_1
	v_cvt_pkrtz_f16_f32 v25, v32, v33
	v_mov_b32_e32 v40, s14
	v_mfma_f32_16x16x16_f16 v[20:23], v[50:51], v[4:5], v[20:23]
	v_cvt_pkrtz_f16_f32 v32, v38, v39
	v_cvt_pk_f32_fp8_e32 v[50:51], v16
	v_cvt_pk_f32_fp8_sdwa v[52:53], v16 src0_sel:WORD_1
	v_cvt_pkrtz_f16_f32 v33, v14, v15
	s_waitcnt lgkmcnt(0)
	v_mul_f32_e32 v48, s4, v40
	v_mfma_f32_16x16x16_f16 v[38:41], v[24:25], v[10:11], 0
	v_cvt_pkrtz_f16_f32 v24, v50, v51
	v_cvt_pkrtz_f16_f32 v25, v52, v53
	v_cvt_pk_f32_fp8_e32 v[50:51], v17
	v_cvt_pk_f32_fp8_sdwa v[52:53], v17 src0_sel:WORD_1
	v_mfma_f32_16x16x16_f16 v[14:17], v[32:33], v[12:13], v[38:41]
	v_pk_mul_f32 v[32:33], v[48:49], v[36:37] op_sel_hi:[0,1]
	v_cvt_pkrtz_f16_f32 v36, v50, v51
	v_cvt_pkrtz_f16_f32 v37, v52, v53
	v_mfma_f32_16x16x16_f16 v[14:17], v[24:25], v[2:3], v[14:17]
	v_pk_mul_f32 v[38:39], v[48:49], v[34:35] op_sel_hi:[0,1]
	s_waitcnt vmcnt(4)
	v_cvt_pk_f32_fp8_e32 v[24:25], v6
	v_cvt_pk_f32_fp8_sdwa v[34:35], v6 src0_sel:WORD_1
	v_mfma_f32_16x16x16_f16 v[14:17], v[36:37], v[4:5], v[14:17]
	v_cvt_pk_f32_fp8_e32 v[36:37], v7
	v_cvt_pkrtz_f16_f32 v24, v24, v25
	v_cvt_pkrtz_f16_f32 v25, v34, v35
	v_cvt_pk_f32_fp8_sdwa v[6:7], v7 src0_sel:WORD_1
	v_cvt_pkrtz_f16_f32 v40, v36, v37
	v_cvt_pk_f32_fp8_e32 v[50:51], v8
	v_cvt_pk_f32_fp8_sdwa v[52:53], v8 src0_sel:WORD_1
	v_cvt_pkrtz_f16_f32 v41, v6, v7
	v_mfma_f32_16x16x16_f16 v[34:37], v[24:25], v[10:11], 0
	v_cvt_pkrtz_f16_f32 v10, v50, v51
	v_cvt_pkrtz_f16_f32 v11, v52, v53
	v_cvt_pk_f32_fp8_e32 v[24:25], v9
	v_cvt_pk_f32_fp8_sdwa v[50:51], v9 src0_sel:WORD_1
	v_mfma_f32_16x16x16_f16 v[6:9], v[40:41], v[12:13], v[34:37]
	v_pk_mul_f32 v[40:41], v[48:49], v[20:21] op_sel_hi:[0,1]
	v_cvt_pkrtz_f16_f32 v12, v24, v25
	v_cvt_pkrtz_f16_f32 v13, v50, v51
	v_mfma_f32_16x16x16_f16 v[6:9], v[10:11], v[2:3], v[6:9]
	v_pk_mul_f32 v[36:37], v[48:49], v[22:23] op_sel_hi:[0,1]
	v_pk_mul_f32 v[24:25], v[48:49], v[16:17] op_sel_hi:[0,1]
	;; [unrolled: 1-line block ×3, first 2 shown]
	v_mfma_f32_16x16x16_f16 v[2:5], v[12:13], v[4:5], v[6:9]
	s_waitcnt vmcnt(3)
	v_mad_i64_i32 v[30:31], s[4:5], v70, s45, v[18:19]
	s_mov_b32 s33, 0xff7fffff
	s_nop 3
	v_pk_mul_f32 v[22:23], v[48:49], v[2:3] op_sel_hi:[0,1]
	v_and_b32_e32 v2, 0xc0, v0
	v_add_u32_e32 v2, s16, v2
	v_lshl_or_b32 v2, v42, 2, v2
	v_or_b32_e32 v3, 1, v2
	v_pk_mul_f32 v[20:21], v[48:49], v[4:5] op_sel_hi:[0,1]
	v_subrev_u32_e32 v4, s29, v3
	v_add_u32_e32 v6, 1, v4
	v_add_u32_e32 v7, 2, v4
	;; [unrolled: 1-line block ×3, first 2 shown]
	v_cvt_f32_i32_e32 v6, v6
	v_cvt_f32_i32_e32 v7, v7
	;; [unrolled: 1-line block ×3, first 2 shown]
	v_add_u32_e32 v9, 19, v4
	v_fmac_f32_e32 v39, v44, v6
	v_fma_f32 v32, v44, v7, v32
	v_fmac_f32_e32 v33, v44, v8
	v_add_u32_e32 v6, 16, v4
	v_add_u32_e32 v7, 17, v4
	;; [unrolled: 1-line block ×3, first 2 shown]
	v_cvt_f32_i32_e32 v6, v6
	v_cvt_f32_i32_e32 v7, v7
	;; [unrolled: 1-line block ×4, first 2 shown]
	v_fma_f32 v40, v44, v6, v40
	v_fmac_f32_e32 v41, v44, v7
	v_fma_f32 v36, v44, v8, v36
	v_add_u32_e32 v6, 32, v4
	v_add_u32_e32 v7, 33, v4
	;; [unrolled: 1-line block ×3, first 2 shown]
	v_cvt_f32_i32_e32 v6, v6
	v_cvt_f32_i32_e32 v7, v7
	;; [unrolled: 1-line block ×4, first 2 shown]
	v_fmac_f32_e32 v37, v44, v9
	v_add_u32_e32 v9, 35, v4
	v_fma_f32 v48, v44, v6, v34
	v_fmac_f32_e32 v35, v44, v7
	v_fma_f32 v24, v44, v8, v24
	v_add_u32_e32 v6, 48, v4
	v_add_u32_e32 v7, 49, v4
	;; [unrolled: 1-line block ×4, first 2 shown]
	v_cvt_f32_i32_e32 v4, v4
	v_cvt_f32_i32_e32 v6, v6
	;; [unrolled: 1-line block ×3, first 2 shown]
	v_fma_f32 v5, v44, v5, v38
	v_fmac_f32_e32 v21, v44, v4
	v_mov_b32_e32 v4, 0xff7fffff
	v_cmp_gt_i32_e64 s[4:5], s29, v2
	v_cmp_gt_i32_e64 s[34:35], s29, v3
	v_fma_f32 v22, v44, v6, v22
	v_cndmask_b32_e64 v6, v4, v5, s[4:5]
	v_cndmask_b32_e64 v3, v4, v39, s[34:35]
	v_fmac_f32_e32 v23, v44, v7
	v_max3_f32 v3, v6, s33, v3
	v_or_b32_e32 v6, 2, v2
	v_or_b32_e32 v7, 3, v2
	v_cmp_gt_i32_e64 s[36:37], s29, v6
	v_cmp_gt_i32_e64 s[38:39], s29, v7
	v_cvt_f32_i32_e32 v9, v9
	v_cndmask_b32_e64 v6, v4, v32, s[36:37]
	v_cndmask_b32_e64 v7, v4, v33, s[38:39]
	v_max3_f32 v3, v3, v6, v7
	v_or_b32_e32 v6, 16, v2
	v_or_b32_e32 v7, 17, v2
	v_cmp_gt_i32_e64 s[24:25], s29, v6
	v_cmp_gt_i32_e64 s[26:27], s29, v7
	v_fmac_f32_e32 v25, v44, v9
	v_cndmask_b32_e64 v6, v4, v40, s[24:25]
	v_cndmask_b32_e64 v7, v4, v41, s[26:27]
	v_max3_f32 v3, v3, v6, v7
	v_or_b32_e32 v6, 18, v2
	v_or_b32_e32 v7, 19, v2
	v_cmp_gt_i32_e64 s[20:21], s29, v6
	v_cmp_gt_i32_e64 s[22:23], s29, v7
	v_cvt_f32_i32_e32 v8, v8
	v_cndmask_b32_e64 v6, v4, v36, s[20:21]
	v_cndmask_b32_e64 v7, v4, v37, s[22:23]
	v_max3_f32 v3, v3, v6, v7
	v_or_b32_e32 v6, 32, v2
	v_or_b32_e32 v7, 33, v2
	v_cmp_gt_i32_e64 s[16:17], s29, v6
	v_cmp_gt_i32_e64 s[18:19], s29, v7
	v_fma_f32 v20, v44, v8, v20
	v_cndmask_b32_e64 v6, v4, v48, s[16:17]
	v_cndmask_b32_e64 v7, v4, v35, s[18:19]
	v_max3_f32 v3, v3, v6, v7
	v_or_b32_e32 v6, 34, v2
	v_or_b32_e32 v7, 35, v2
	v_cmp_gt_i32_e64 s[12:13], s29, v6
	v_cmp_gt_i32_e64 s[14:15], s29, v7
	s_nop 0
	v_cndmask_b32_e64 v6, v4, v24, s[12:13]
	v_cndmask_b32_e64 v7, v4, v25, s[14:15]
	v_max3_f32 v3, v3, v6, v7
	v_or_b32_e32 v6, 48, v2
	v_or_b32_e32 v7, 49, v2
	v_cmp_gt_i32_e64 s[8:9], s29, v6
	v_cmp_gt_i32_e64 s[10:11], s29, v7
	s_nop 0
	v_cndmask_b32_e64 v6, v4, v22, s[8:9]
	v_cndmask_b32_e64 v7, v4, v23, s[10:11]
	v_max3_f32 v3, v3, v6, v7
	v_or_b32_e32 v6, 50, v2
	v_or_b32_e32 v2, 51, v2
	v_cmp_gt_i32_e32 vcc, s29, v6
	v_cmp_gt_i32_e64 s[6:7], s29, v2
	s_nop 0
	v_cndmask_b32_e32 v6, v4, v20, vcc
	v_cndmask_b32_e64 v2, v4, v21, s[6:7]
	v_max3_f32 v4, v3, v6, v2
	v_mbcnt_lo_u32_b32 v2, -1, 0
	v_mbcnt_hi_u32_b32 v6, -1, v2
	v_and_b32_e32 v2, 64, v6
	v_add_u32_e32 v7, 64, v2
	v_xor_b32_e32 v2, 32, v6
	v_cmp_lt_i32_e64 s[40:41], v2, v7
	s_nop 1
	v_cndmask_b32_e64 v2, v6, v2, s[40:41]
	v_lshlrev_b32_e32 v44, 2, v2
	ds_bpermute_b32 v8, v44, v4
	s_waitcnt vmcnt(2)
	v_mad_i64_i32 v[2:3], s[40:41], v47, s45, v[18:19]
	global_load_dwordx4 v[14:17], v[30:31], off
	global_load_dwordx4 v[10:13], v[2:3], off
	v_xor_b32_e32 v3, 16, v6
	v_cmp_lt_i32_e64 s[40:41], v3, v7
	s_waitcnt lgkmcnt(0)
	v_max_f32_e32 v2, v8, v8
	v_max_f32_e32 v2, v4, v2
	v_cndmask_b32_e64 v3, v6, v3, s[40:41]
	v_lshlrev_b32_e32 v47, 2, v3
	ds_bpermute_b32 v3, v47, v2
	s_waitcnt vmcnt(3)
	v_mad_i64_i32 v[30:31], s[40:41], v45, s45, v[18:19]
	s_waitcnt vmcnt(2)
	v_mad_i64_i32 v[18:19], s[40:41], v46, s45, v[18:19]
	s_waitcnt lgkmcnt(0)
	v_max_f32_e32 v3, v3, v3
	v_max_f32_e32 v34, v2, v3
	v_sub_f32_e32 v2, v5, v34
	v_mul_f32_e32 v2, 0x3fb8aa3b, v2
	v_exp_f32_e32 v38, v2
	v_sub_f32_e32 v2, v39, v34
	v_mul_f32_e32 v2, 0x3fb8aa3b, v2
	v_exp_f32_e32 v39, v2
	global_load_dwordx4 v[6:9], v[30:31], off
	global_load_dwordx4 v[2:5], v[18:19], off
	v_sub_f32_e32 v31, v32, v34
	v_sub_f32_e32 v32, v33, v34
	v_mul_f32_e32 v31, 0x3fb8aa3b, v31
	v_mul_f32_e32 v32, 0x3fb8aa3b, v32
	v_exp_f32_e32 v31, v31
	v_exp_f32_e32 v32, v32
	v_cndmask_b32_e64 v18, 0, v38, s[4:5]
	v_cndmask_b32_e64 v19, 0, v39, s[34:35]
	;; [unrolled: 1-line block ×4, first 2 shown]
	v_sub_f32_e32 v31, v40, v34
	v_sub_f32_e32 v32, v41, v34
	v_mul_f32_e32 v31, 0x3fb8aa3b, v31
	v_mul_f32_e32 v32, 0x3fb8aa3b, v32
	v_exp_f32_e32 v31, v31
	v_exp_f32_e32 v32, v32
	v_add_f32_e32 v30, 0, v18
	v_add_f32_e32 v30, v30, v19
	;; [unrolled: 1-line block ×4, first 2 shown]
	v_cndmask_b32_e64 v30, 0, v31, s[24:25]
	v_cndmask_b32_e64 v31, 0, v32, s[26:27]
	v_sub_f32_e32 v32, v36, v34
	v_mul_f32_e32 v32, 0x3fb8aa3b, v32
	v_exp_f32_e32 v32, v32
	v_sub_f32_e32 v36, v37, v34
	v_add_f32_e32 v33, v33, v30
	v_mul_f32_e32 v36, 0x3fb8aa3b, v36
	v_exp_f32_e32 v37, v36
	v_add_f32_e32 v33, v33, v31
	v_cndmask_b32_e64 v36, 0, v32, s[20:21]
	v_add_f32_e32 v32, v33, v36
	v_sub_f32_e32 v33, v48, v34
	v_mul_f32_e32 v33, 0x3fb8aa3b, v33
	v_sub_f32_e32 v35, v35, v34
	v_exp_f32_e32 v33, v33
	v_mul_f32_e32 v35, 0x3fb8aa3b, v35
	v_sub_f32_e32 v24, v24, v34
	v_exp_f32_e32 v35, v35
	;; [unrolled: 3-line block ×3, first 2 shown]
	v_mul_f32_e32 v25, 0x3fb8aa3b, v25
	v_sub_f32_e32 v22, v22, v34
	v_cndmask_b32_e64 v37, 0, v37, s[22:23]
	v_exp_f32_e32 v25, v25
	v_mul_f32_e32 v22, 0x3fb8aa3b, v22
	v_sub_f32_e32 v23, v23, v34
	v_add_f32_e32 v40, v32, v37
	v_cndmask_b32_e64 v32, 0, v33, s[16:17]
	v_exp_f32_e32 v22, v22
	v_mul_f32_e32 v23, 0x3fb8aa3b, v23
	v_sub_f32_e32 v20, v20, v34
	v_add_f32_e32 v40, v40, v32
	;; [unrolled: 5-line block ×3, first 2 shown]
	v_cndmask_b32_e64 v24, 0, v24, s[12:13]
	v_exp_f32_e32 v20, v20
	v_mul_f32_e32 v21, 0x3fb8aa3b, v21
	v_add_f32_e32 v35, v35, v24
	v_cndmask_b32_e64 v25, 0, v25, s[14:15]
	v_exp_f32_e32 v21, v21
	v_add_f32_e32 v35, v35, v25
	v_cndmask_b32_e64 v22, 0, v22, s[8:9]
	v_add_f32_e32 v35, v35, v22
	v_cndmask_b32_e64 v23, 0, v23, s[10:11]
	v_add_f32_e32 v35, v35, v23
	v_cndmask_b32_e32 v20, 0, v20, vcc
	v_add_f32_e32 v35, v35, v20
	v_cndmask_b32_e64 v21, 0, v21, s[6:7]
	v_add_f32_e32 v35, v35, v21
	ds_bpermute_b32 v40, v44, v35
	s_load_dword s7, s[0:1], 0x98
	v_cmp_gt_u32_e32 vcc, 16, v43
	s_waitcnt lgkmcnt(0)
	s_barrier
	v_add_f32_e32 v40, v35, v40
	ds_bpermute_b32 v41, v47, v40
	v_lshlrev_b32_e32 v35, 2, v28
	s_waitcnt lgkmcnt(0)
	s_and_saveexec_b64 s[4:5], vcc
	s_cbranch_execz .LBB862_15
; %bb.14:
	v_add_f32_e32 v40, v40, v41
	v_lshl_or_b32 v41, v29, 6, v35
	ds_write2st64_b32 v41, v34, v40 offset1:1
.LBB862_15:
	s_or_b64 exec, exec, s[4:5]
	s_load_dword s6, s[0:1], 0x94
	s_waitcnt lgkmcnt(0)
	s_barrier
	ds_read2_b32 v[40:41], v35 offset1:16
	ds_read2_b32 v[44:45], v35 offset0:32 offset1:48
	ds_read2_b32 v[46:47], v35 offset0:64 offset1:80
	s_mul_i32 s7, s7, 15
	s_waitcnt lgkmcnt(2)
	v_max3_f32 v34, v40, s33, v41
	s_waitcnt lgkmcnt(1)
	v_max3_f32 v34, v34, v44, v45
	v_sub_f32_e32 v40, v40, v34
	v_mul_f32_e32 v40, 0x3fb8aa3b, v40
	v_exp_f32_e32 v43, v40
	v_sub_f32_e32 v40, v41, v34
	v_mul_f32_e32 v40, 0x3fb8aa3b, v40
	v_exp_f32_e32 v48, v40
	;; [unrolled: 3-line block ×3, first 2 shown]
	ds_read2_b32 v[40:41], v35 offset0:96 offset1:112
	v_sub_f32_e32 v35, v45, v34
	v_mul_f32_e32 v35, 0x3fb8aa3b, v35
	v_exp_f32_e32 v45, v35
	s_waitcnt lgkmcnt(1)
	v_fma_f32 v35, v43, v46, 0
	v_fmac_f32_e32 v35, v48, v47
	s_waitcnt lgkmcnt(0)
	v_fmac_f32_e32 v35, v44, v40
	v_fmac_f32_e32 v35, v45, v41
	v_add_f32_e32 v40, 0x358637bd, v35
	v_div_scale_f32 v41, s[4:5], v40, v40, 1.0
	v_rcp_f32_e32 v46, v41
	s_barrier
	v_fma_f32 v47, -v41, v46, 1.0
	v_fmac_f32_e32 v46, v47, v46
	v_div_scale_f32 v47, vcc, 1.0, v40, 1.0
	v_mul_f32_e32 v49, v47, v46
	v_fma_f32 v50, -v41, v49, v47
	v_fmac_f32_e32 v49, v50, v46
	v_fma_f32 v41, -v41, v49, v47
	v_div_fmas_f32 v41, v41, v46, v49
	v_cmp_eq_u32_e32 vcc, 1, v29
	v_div_fixup_f32 v40, v41, v40, 1.0
	s_nop 0
	v_cndmask_b32_e32 v41, v43, v48, vcc
	v_cmp_eq_u32_e32 vcc, 2, v29
	s_nop 1
	v_cndmask_b32_e32 v41, v41, v44, vcc
	v_cmp_eq_u32_e32 vcc, 3, v29
	s_nop 1
	v_cndmask_b32_e32 v41, v41, v45, vcc
	v_mul_f32_e32 v40, v41, v40
	v_pk_mul_f32 v[38:39], v[40:41], v[38:39] op_sel_hi:[0,1]
	v_pk_mul_f32 v[18:19], v[40:41], v[18:19] op_sel_hi:[0,1]
	v_cvt_f16_f32_e32 v41, v38
	v_cvt_f16_f32_e32 v39, v39
	;; [unrolled: 1-line block ×4, first 2 shown]
	v_cmp_gt_u32_e32 vcc, 15, v0
	v_pack_b32_f16 v39, v41, v39
	v_lshlrev_b32_e32 v41, 3, v42
	v_pack_b32_f16 v38, v18, v19
	v_pk_mul_f32 v[18:19], v[40:41], v[36:37] op_sel_hi:[0,1]
	v_pk_mul_f32 v[30:31], v[40:41], v[30:31] op_sel_hi:[0,1]
	v_cvt_f16_f32_e32 v30, v30
	v_cvt_f16_f32_e32 v31, v31
	;; [unrolled: 1-line block ×4, first 2 shown]
	v_lshlrev_b32_e32 v18, 11, v29
	v_or3_b32 v18, v18, v27, v41
	v_pack_b32_f16 v30, v30, v31
	v_pack_b32_f16 v31, v36, v19
	ds_write2st64_b64 v18, v[38:39], v[30:31] offset1:1
	v_pk_mul_f32 v[24:25], v[40:41], v[24:25] op_sel_hi:[0,1]
	v_pk_mul_f32 v[30:31], v[40:41], v[32:33] op_sel_hi:[0,1]
	;; [unrolled: 1-line block ×4, first 2 shown]
	v_cvt_f16_f32_e32 v19, v30
	v_cvt_f16_f32_e32 v29, v31
	;; [unrolled: 1-line block ×8, first 2 shown]
	v_pack_b32_f16 v20, v19, v29
	v_pack_b32_f16 v21, v24, v25
	;; [unrolled: 1-line block ×4, first 2 shown]
	ds_write2st64_b64 v18, v[20:21], v[22:23] offset0:2 offset1:3
	s_and_saveexec_b64 s[4:5], vcc
	s_cbranch_execz .LBB862_17
; %bb.16:
	s_mov_b32 s49, 0
	v_mov_b32_e32 v29, 0
	v_lshl_add_u64 v[20:21], s[48:49], 0, v[28:29]
	v_mov_b32_e32 v19, s7
	v_mad_u64_u32 v[20:21], s[12:13], s2, v19, v[20:21]
	s_mul_i32 s3, s3, s7
	v_mov_b32_e32 v28, s28
	s_load_dwordx4 s[8:11], s[0:1], 0x58
	v_add_u32_e32 v19, s3, v21
	v_mad_u64_u32 v[20:21], s[12:13], v20, s6, v[28:29]
	v_mov_b32_e32 v22, v21
	v_mad_u64_u32 v[22:23], s[12:13], v19, s6, v[22:23]
	v_mov_b32_e32 v21, v22
	v_lshlrev_b64 v[20:21], 2, v[20:21]
	s_waitcnt lgkmcnt(0)
	v_lshl_add_u64 v[22:23], s[10:11], 0, v[20:21]
	v_lshl_add_u64 v[20:21], s[8:9], 0, v[20:21]
	global_store_dword v[22:23], v34, off
	global_store_dword v[20:21], v35, off
.LBB862_17:
	s_or_b64 exec, exec, s[4:5]
	s_waitcnt vmcnt(3)
	v_cvt_pk_f32_fp8_e32 v[20:21], v14
	v_cvt_pk_f32_fp8_sdwa v[22:23], v14 src0_sel:WORD_1
	v_lshl_or_b32 v14, v42, 9, v27
	s_waitcnt lgkmcnt(0)
	s_barrier
	v_cvt_pk_f32_fp8_e32 v[24:25], v15
	v_cvt_pkrtz_f16_f32 v32, v20, v21
	v_cvt_pkrtz_f16_f32 v33, v22, v23
	v_cvt_pk_f32_fp8_sdwa v[28:29], v15 src0_sel:WORD_1
	ds_read_b128 v[20:23], v14
	v_cvt_pkrtz_f16_f32 v24, v24, v25
	v_cvt_pk_f32_fp8_e32 v[36:37], v16
	v_cvt_pkrtz_f16_f32 v25, v28, v29
	ds_read_b128 v[28:31], v14 offset:16
	v_cvt_pk_f32_fp8_sdwa v[38:39], v16 src0_sel:WORD_1
	s_waitcnt lgkmcnt(1)
	v_mfma_f32_16x16x16_f16 v[32:35], v[32:33], v[20:21], 0
	v_cvt_pkrtz_f16_f32 v36, v36, v37
	s_load_dword s4, s[42:43], 0x0
	v_cvt_pkrtz_f16_f32 v37, v38, v39
	v_cvt_pk_f32_fp8_e32 v[38:39], v17
	v_cvt_pk_f32_fp8_sdwa v[16:17], v17 src0_sel:WORD_1
	v_mfma_f32_16x16x16_f16 v[20:23], v[24:25], v[22:23], v[32:35]
	v_cmp_gt_u32_e32 vcc, 64, v0
	v_cvt_pkrtz_f16_f32 v24, v38, v39
	v_cvt_pkrtz_f16_f32 v25, v16, v17
	s_waitcnt lgkmcnt(0)
	v_mfma_f32_16x16x16_f16 v[20:23], v[36:37], v[28:29], v[20:23]
	s_waitcnt vmcnt(2)
	v_cvt_pk_f32_fp8_e32 v[16:17], v10
	v_cvt_pk_f32_fp8_e32 v[28:29], v11
	v_cvt_pk_f32_fp8_sdwa v[36:37], v12 src0_sel:WORD_1
	v_mfma_f32_16x16x16_f16 v[20:23], v[24:25], v[30:31], v[20:23]
	v_cvt_pk_f32_fp8_sdwa v[24:25], v10 src0_sel:WORD_1
	v_cvt_pkrtz_f16_f32 v10, v16, v17
	v_cvt_pk_f32_fp8_sdwa v[16:17], v11 src0_sel:WORD_1
	ds_read_b128 v[32:35], v14 offset:2064
	v_cvt_pkrtz_f16_f32 v11, v24, v25
	v_cvt_pkrtz_f16_f32 v24, v28, v29
	ds_read_b128 v[28:31], v14 offset:2048
	v_cvt_pkrtz_f16_f32 v25, v16, v17
	v_cvt_pk_f32_fp8_e32 v[16:17], v12
	s_waitcnt lgkmcnt(0)
	v_mfma_f32_16x16x16_f16 v[20:23], v[10:11], v[28:29], v[20:23]
	v_cvt_pkrtz_f16_f32 v10, v16, v17
	v_cvt_pkrtz_f16_f32 v11, v36, v37
	v_cvt_pk_f32_fp8_e32 v[16:17], v13
	v_mfma_f32_16x16x16_f16 v[20:23], v[24:25], v[30:31], v[20:23]
	v_cvt_pk_f32_fp8_sdwa v[24:25], v13 src0_sel:WORD_1
	ds_read_b128 v[28:31], v14 offset:4112
	v_cvt_pkrtz_f16_f32 v16, v16, v17
	v_mfma_f32_16x16x16_f16 v[10:13], v[10:11], v[32:33], v[20:23]
	v_cvt_pkrtz_f16_f32 v17, v24, v25
	s_waitcnt vmcnt(1)
	v_cvt_pk_f32_fp8_sdwa v[24:25], v7 src0_sel:WORD_1
	v_cvt_pk_f32_fp8_sdwa v[32:33], v8 src0_sel:WORD_1
	v_cvt_pk_f32_fp8_e32 v[20:21], v6
	v_mfma_f32_16x16x16_f16 v[10:13], v[16:17], v[34:35], v[10:13]
	v_cvt_pk_f32_fp8_sdwa v[16:17], v6 src0_sel:WORD_1
	v_cvt_pk_f32_fp8_e32 v[22:23], v7
	v_cvt_pkrtz_f16_f32 v6, v20, v21
	s_mov_b32 s3, 0
	v_cvt_pkrtz_f16_f32 v7, v16, v17
	v_cvt_pkrtz_f16_f32 v16, v22, v23
	ds_read_b128 v[20:23], v14 offset:4096
	v_cvt_pkrtz_f16_f32 v17, v24, v25
	v_cvt_pk_f32_fp8_e32 v[24:25], v8
	s_waitcnt lgkmcnt(0)
	v_mfma_f32_16x16x16_f16 v[10:13], v[6:7], v[20:21], v[10:13]
	v_cvt_pkrtz_f16_f32 v6, v24, v25
	v_cvt_pkrtz_f16_f32 v7, v32, v33
	v_cvt_pk_f32_fp8_e32 v[20:21], v9
	v_mfma_f32_16x16x16_f16 v[10:13], v[16:17], v[22:23], v[10:13]
	v_cvt_pk_f32_fp8_sdwa v[16:17], v9 src0_sel:WORD_1
	s_waitcnt vmcnt(0)
	v_cvt_pk_f32_fp8_sdwa v[24:25], v4 src0_sel:WORD_1
	v_cvt_pkrtz_f16_f32 v20, v20, v21
	v_mfma_f32_16x16x16_f16 v[6:9], v[6:7], v[28:29], v[10:13]
	v_cvt_pkrtz_f16_f32 v21, v16, v17
	v_cvt_pk_f32_fp8_e32 v[16:17], v3
	v_mov_b32_e32 v27, 0
	v_cvt_pk_f32_fp8_e32 v[10:11], v2
	v_cvt_pk_f32_fp8_sdwa v[12:13], v2 src0_sel:WORD_1
	v_mfma_f32_16x16x16_f16 v[6:9], v[20:21], v[30:31], v[6:9]
	v_cvt_pk_f32_fp8_sdwa v[20:21], v3 src0_sel:WORD_1
	v_cvt_pkrtz_f16_f32 v2, v10, v11
	v_cvt_pkrtz_f16_f32 v3, v12, v13
	ds_read_b128 v[10:13], v14 offset:6144
	v_cvt_pkrtz_f16_f32 v22, v16, v17
	v_cvt_pkrtz_f16_f32 v23, v20, v21
	v_cvt_pk_f32_fp8_e32 v[20:21], v4
	s_waitcnt lgkmcnt(0)
	v_mfma_f32_16x16x16_f16 v[6:9], v[2:3], v[10:11], v[6:9]
	ds_read_b128 v[14:17], v14 offset:6160
	v_cvt_pkrtz_f16_f32 v2, v20, v21
	v_cvt_pkrtz_f16_f32 v3, v24, v25
	v_cvt_pk_f32_fp8_e32 v[10:11], v5
	v_mfma_f32_16x16x16_f16 v[6:9], v[22:23], v[12:13], v[6:9]
	v_cvt_pk_f32_fp8_sdwa v[12:13], v5 src0_sel:WORD_1
	s_waitcnt lgkmcnt(0)
	v_cvt_pkrtz_f16_f32 v10, v10, v11
	v_mfma_f32_16x16x16_f16 v[2:5], v[2:3], v[14:15], v[6:9]
	v_cvt_pkrtz_f16_f32 v11, v12, v13
	s_barrier
	s_nop 0
	v_mfma_f32_16x16x16_f16 v[2:5], v[10:11], v[16:17], v[2:5]
	s_nop 6
	v_pk_mul_f32 v[4:5], v[4:5], s[4:5] op_sel_hi:[1,0]
	v_pk_mul_f32 v[2:3], v[2:3], s[4:5] op_sel_hi:[1,0]
	v_cvt_f16_f32_e32 v4, v4
	v_cvt_f16_f32_e32 v2, v2
	;; [unrolled: 1-line block ×4, first 2 shown]
	s_and_b64 s[4:5], vcc, s[30:31]
	v_pack_b32_f16 v2, v2, v3
	v_pack_b32_f16 v3, v4, v5
	ds_write_b64 v18, v[2:3]
	s_waitcnt lgkmcnt(0)
	s_barrier
	s_and_saveexec_b64 s[8:9], s[4:5]
	s_cbranch_execz .LBB862_20
; %bb.18:
	s_load_dwordx2 s[4:5], s[0:1], 0x68
	s_lshl_b32 s0, s6, 6
	s_mul_i32 s1, s7, s2
	s_mul_hi_u32 s7, s1, s0
	s_mul_i32 s6, s1, s0
	v_lshlrev_b32_e32 v0, 10, v0
	s_lshl_b64 s[6:7], s[6:7], 1
	v_and_b32_e32 v0, 0x1800, v0
	v_lshlrev_b32_e32 v2, 5, v42
	v_and_b32_e32 v1, 16, v1
	s_waitcnt lgkmcnt(0)
	s_add_u32 s1, s4, s6
	v_or3_b32 v2, v0, v2, v1
	s_addc_u32 s4, s5, s7
	s_lshl_b32 s2, s28, 6
	ds_read_b128 v[4:7], v2 offset:256
	s_lshl_b64 s[2:3], s[2:3], 1
	ds_read_b128 v[8:11], v2 offset:128
	ds_read_b128 v[12:15], v2
	s_add_u32 s2, s1, s2
	s_addc_u32 s3, s4, s3
	v_add_u32_e32 v3, s48, v42
	v_lshl_add_u64 v[0:1], s[2:3], 0, v[26:27]
	v_mad_u64_u32 v[16:17], s[2:3], v3, s0, 0
	v_lshl_add_u64 v[16:17], v[16:17], 1, v[0:1]
	s_waitcnt lgkmcnt(0)
	global_store_dwordx4 v[16:17], v[12:15], off
	v_cmp_ne_u32_e32 vcc, 3, v42
	s_nop 0
	v_add_u32_e32 v12, 4, v3
	v_mad_u64_u32 v[12:13], s[2:3], v12, s0, 0
	v_lshl_add_u64 v[12:13], v[12:13], 1, v[0:1]
	v_add_u32_e32 v3, 8, v3
	global_store_dwordx4 v[12:13], v[8:11], off
	s_nop 1
	v_mad_u64_u32 v[8:9], s[2:3], v3, s0, 0
	v_lshl_add_u64 v[8:9], v[8:9], 1, v[0:1]
	global_store_dwordx4 v[8:9], v[4:7], off
	s_and_b64 exec, exec, vcc
	s_cbranch_execz .LBB862_20
; %bb.19:
	ds_read_b128 v[2:5], v2 offset:384
	v_add3_u32 v6, s48, v42, 12
	v_mad_u64_u32 v[6:7], s[0:1], v6, s0, 0
	v_lshl_add_u64 v[0:1], v[6:7], 1, v[0:1]
	s_waitcnt lgkmcnt(0)
	global_store_dwordx4 v[0:1], v[2:5], off
.LBB862_20:
	s_endpgm
	.section	.rodata,"a",@progbits
	.p2align	6, 0x0
	.amdhsa_kernel _Z39paged_attention_ll4mi_QKV_mfma16_kernelIDF16_hLN4vllm18Fp8KVCacheDataTypeE1EhLi32ELi64ELi256ELb1ELi15EEvPKT_PKT0_S7_ifPKiS9_S9_iPKfiiiPfSC_PS2_PT2_iSB_SB_
		.amdhsa_group_segment_fixed_size 8192
		.amdhsa_private_segment_fixed_size 0
		.amdhsa_kernarg_size 400
		.amdhsa_user_sgpr_count 2
		.amdhsa_user_sgpr_dispatch_ptr 0
		.amdhsa_user_sgpr_queue_ptr 0
		.amdhsa_user_sgpr_kernarg_segment_ptr 1
		.amdhsa_user_sgpr_dispatch_id 0
		.amdhsa_user_sgpr_kernarg_preload_length 0
		.amdhsa_user_sgpr_kernarg_preload_offset 0
		.amdhsa_user_sgpr_private_segment_size 0
		.amdhsa_uses_dynamic_stack 0
		.amdhsa_enable_private_segment 0
		.amdhsa_system_sgpr_workgroup_id_x 1
		.amdhsa_system_sgpr_workgroup_id_y 1
		.amdhsa_system_sgpr_workgroup_id_z 1
		.amdhsa_system_sgpr_workgroup_info 0
		.amdhsa_system_vgpr_workitem_id 0
		.amdhsa_next_free_vgpr 71
		.amdhsa_next_free_sgpr 50
		.amdhsa_accum_offset 72
		.amdhsa_reserve_vcc 1
		.amdhsa_float_round_mode_32 0
		.amdhsa_float_round_mode_16_64 0
		.amdhsa_float_denorm_mode_32 3
		.amdhsa_float_denorm_mode_16_64 3
		.amdhsa_dx10_clamp 1
		.amdhsa_ieee_mode 1
		.amdhsa_fp16_overflow 0
		.amdhsa_tg_split 0
		.amdhsa_exception_fp_ieee_invalid_op 0
		.amdhsa_exception_fp_denorm_src 0
		.amdhsa_exception_fp_ieee_div_zero 0
		.amdhsa_exception_fp_ieee_overflow 0
		.amdhsa_exception_fp_ieee_underflow 0
		.amdhsa_exception_fp_ieee_inexact 0
		.amdhsa_exception_int_div_zero 0
	.end_amdhsa_kernel
	.section	.text._Z39paged_attention_ll4mi_QKV_mfma16_kernelIDF16_hLN4vllm18Fp8KVCacheDataTypeE1EhLi32ELi64ELi256ELb1ELi15EEvPKT_PKT0_S7_ifPKiS9_S9_iPKfiiiPfSC_PS2_PT2_iSB_SB_,"axG",@progbits,_Z39paged_attention_ll4mi_QKV_mfma16_kernelIDF16_hLN4vllm18Fp8KVCacheDataTypeE1EhLi32ELi64ELi256ELb1ELi15EEvPKT_PKT0_S7_ifPKiS9_S9_iPKfiiiPfSC_PS2_PT2_iSB_SB_,comdat
.Lfunc_end862:
	.size	_Z39paged_attention_ll4mi_QKV_mfma16_kernelIDF16_hLN4vllm18Fp8KVCacheDataTypeE1EhLi32ELi64ELi256ELb1ELi15EEvPKT_PKT0_S7_ifPKiS9_S9_iPKfiiiPfSC_PS2_PT2_iSB_SB_, .Lfunc_end862-_Z39paged_attention_ll4mi_QKV_mfma16_kernelIDF16_hLN4vllm18Fp8KVCacheDataTypeE1EhLi32ELi64ELi256ELb1ELi15EEvPKT_PKT0_S7_ifPKiS9_S9_iPKfiiiPfSC_PS2_PT2_iSB_SB_
                                        ; -- End function
	.section	.AMDGPU.csdata,"",@progbits
; Kernel info:
; codeLenInByte = 5008
; NumSgprs: 56
; NumVgprs: 71
; NumAgprs: 0
; TotalNumVgprs: 71
; ScratchSize: 0
; MemoryBound: 0
; FloatMode: 240
; IeeeMode: 1
; LDSByteSize: 8192 bytes/workgroup (compile time only)
; SGPRBlocks: 6
; VGPRBlocks: 8
; NumSGPRsForWavesPerEU: 56
; NumVGPRsForWavesPerEU: 71
; AccumOffset: 72
; Occupancy: 7
; WaveLimiterHint : 1
; COMPUTE_PGM_RSRC2:SCRATCH_EN: 0
; COMPUTE_PGM_RSRC2:USER_SGPR: 2
; COMPUTE_PGM_RSRC2:TRAP_HANDLER: 0
; COMPUTE_PGM_RSRC2:TGID_X_EN: 1
; COMPUTE_PGM_RSRC2:TGID_Y_EN: 1
; COMPUTE_PGM_RSRC2:TGID_Z_EN: 1
; COMPUTE_PGM_RSRC2:TIDIG_COMP_CNT: 0
; COMPUTE_PGM_RSRC3_GFX90A:ACCUM_OFFSET: 17
; COMPUTE_PGM_RSRC3_GFX90A:TG_SPLIT: 0
	.section	.text._Z39paged_attention_ll4mi_QKV_mfma16_kernelIDF16_hLN4vllm18Fp8KVCacheDataTypeE1EhLi32ELi64ELi256ELb1ELi16EEvPKT_PKT0_S7_ifPKiS9_S9_iPKfiiiPfSC_PS2_PT2_iSB_SB_,"axG",@progbits,_Z39paged_attention_ll4mi_QKV_mfma16_kernelIDF16_hLN4vllm18Fp8KVCacheDataTypeE1EhLi32ELi64ELi256ELb1ELi16EEvPKT_PKT0_S7_ifPKiS9_S9_iPKfiiiPfSC_PS2_PT2_iSB_SB_,comdat
	.protected	_Z39paged_attention_ll4mi_QKV_mfma16_kernelIDF16_hLN4vllm18Fp8KVCacheDataTypeE1EhLi32ELi64ELi256ELb1ELi16EEvPKT_PKT0_S7_ifPKiS9_S9_iPKfiiiPfSC_PS2_PT2_iSB_SB_ ; -- Begin function _Z39paged_attention_ll4mi_QKV_mfma16_kernelIDF16_hLN4vllm18Fp8KVCacheDataTypeE1EhLi32ELi64ELi256ELb1ELi16EEvPKT_PKT0_S7_ifPKiS9_S9_iPKfiiiPfSC_PS2_PT2_iSB_SB_
	.globl	_Z39paged_attention_ll4mi_QKV_mfma16_kernelIDF16_hLN4vllm18Fp8KVCacheDataTypeE1EhLi32ELi64ELi256ELb1ELi16EEvPKT_PKT0_S7_ifPKiS9_S9_iPKfiiiPfSC_PS2_PT2_iSB_SB_
	.p2align	8
	.type	_Z39paged_attention_ll4mi_QKV_mfma16_kernelIDF16_hLN4vllm18Fp8KVCacheDataTypeE1EhLi32ELi64ELi256ELb1ELi16EEvPKT_PKT0_S7_ifPKiS9_S9_iPKfiiiPfSC_PS2_PT2_iSB_SB_,@function
_Z39paged_attention_ll4mi_QKV_mfma16_kernelIDF16_hLN4vllm18Fp8KVCacheDataTypeE1EhLi32ELi64ELi256ELb1ELi16EEvPKT_PKT0_S7_ifPKiS9_S9_iPKfiiiPfSC_PS2_PT2_iSB_SB_: ; @_Z39paged_attention_ll4mi_QKV_mfma16_kernelIDF16_hLN4vllm18Fp8KVCacheDataTypeE1EhLi32ELi64ELi256ELb1ELi16EEvPKT_PKT0_S7_ifPKiS9_S9_iPKfiiiPfSC_PS2_PT2_iSB_SB_
; %bb.0:
	s_load_dwordx2 s[14:15], s[0:1], 0x30
	s_mov_b32 s24, s3
	s_mov_b64 s[6:7], 0
	s_waitcnt lgkmcnt(0)
	s_cmp_lg_u64 s[14:15], 0
	s_cselect_b64 s[16:17], -1, 0
	s_and_b64 vcc, exec, s[16:17]
	s_cbranch_vccz .LBB863_7
; %bb.1:
	s_add_i32 s8, s2, 1
	s_mov_b32 s9, 0
	s_lshl_b64 s[10:11], s[8:9], 2
	s_add_u32 s10, s14, s10
	s_mov_b32 s3, s9
	s_addc_u32 s11, s15, s11
	s_lshl_b64 s[8:9], s[2:3], 2
	s_add_u32 s8, s14, s8
	s_addc_u32 s9, s15, s9
	s_load_dword s5, s[10:11], 0x0
	s_load_dword s12, s[8:9], 0x0
	s_waitcnt lgkmcnt(0)
	s_sub_i32 s5, s5, s12
	s_cmp_eq_u32 s5, 1
	s_cselect_b64 s[8:9], -1, 0
	s_andn2_b64 vcc, exec, s[6:7]
	s_cbranch_vccnz .LBB863_3
.LBB863_2:
	s_mov_b32 s3, 0
	s_mov_b64 s[8:9], -1
.LBB863_3:
	s_andn2_b64 vcc, exec, s[8:9]
	s_cbranch_vccnz .LBB863_17
; %bb.4:
	s_load_dwordx2 s[6:7], s[0:1], 0x28
	s_lshl_b64 s[18:19], s[2:3], 2
	s_waitcnt lgkmcnt(0)
	s_add_u32 s6, s6, s18
	s_addc_u32 s7, s7, s19
	s_load_dword s48, s[6:7], 0x0
	s_lshl_b32 s5, s24, 8
	s_waitcnt lgkmcnt(0)
	s_cmp_ge_i32 s5, s48
	s_cbranch_scc1 .LBB863_17
; %bb.5:
	s_load_dwordx2 s[6:7], s[0:1], 0x20
	s_load_dword s8, s[0:1], 0x38
	s_add_i32 s9, s48, 31
	s_ashr_i32 s10, s9, 31
	v_and_b32_e32 v1, 0xcf, v0
	s_lshr_b32 s10, s10, 27
	v_add_u32_e32 v1, s5, v1
	s_add_i32 s9, s9, s10
	v_ashrrev_i32_e32 v2, 31, v1
	s_ashr_i32 s20, s9, 5
	v_lshrrev_b32_e32 v10, 27, v2
	s_add_i32 s20, s20, -1
	s_waitcnt lgkmcnt(0)
	s_mul_i32 s8, s2, s8
	s_mov_b32 s9, 0
	v_add_u32_e32 v2, v1, v10
	s_lshl_b64 s[8:9], s[8:9], 2
	v_ashrrev_i32_e32 v2, 5, v2
	v_mov_b32_e32 v11, s20
	v_cmp_gt_i32_e32 vcc, s48, v1
	s_add_u32 s6, s6, s8
	s_addc_u32 s7, s7, s9
	v_cndmask_b32_e32 v2, v11, v2, vcc
	v_ashrrev_i32_e32 v3, 31, v2
	v_lshl_add_u64 v[4:5], v[2:3], 2, s[6:7]
	v_or_b32_e32 v2, 16, v1
	v_add_u32_e32 v3, v2, v10
	v_ashrrev_i32_e32 v3, 5, v3
	v_cmp_gt_i32_e32 vcc, s48, v2
	s_nop 1
	v_cndmask_b32_e32 v2, v11, v3, vcc
	v_ashrrev_i32_e32 v3, 31, v2
	v_lshl_add_u64 v[6:7], v[2:3], 2, s[6:7]
	v_or_b32_e32 v2, 32, v1
	v_add_u32_e32 v3, v2, v10
	v_ashrrev_i32_e32 v3, 5, v3
	v_cmp_gt_i32_e32 vcc, s48, v2
	v_or_b32_e32 v1, 48, v1
	s_nop 0
	v_cndmask_b32_e32 v2, v11, v3, vcc
	v_ashrrev_i32_e32 v3, 31, v2
	v_lshl_add_u64 v[8:9], v[2:3], 2, s[6:7]
	v_add_u32_e32 v2, v1, v10
	v_ashrrev_i32_e32 v2, 5, v2
	v_cmp_gt_i32_e32 vcc, s48, v1
	s_nop 1
	v_cndmask_b32_e32 v2, v11, v2, vcc
	v_ashrrev_i32_e32 v3, 31, v2
	v_lshl_add_u64 v[12:13], v[2:3], 2, s[6:7]
	global_load_dword v3, v[4:5], off
	global_load_dword v2, v[6:7], off
	;; [unrolled: 1-line block ×4, first 2 shown]
	s_load_dwordx2 s[12:13], s[0:1], 0x40
	s_load_dwordx4 s[8:11], s[0:1], 0x8
	s_andn2_b64 vcc, exec, s[16:17]
	s_cbranch_vccnz .LBB863_8
; %bb.6:
	s_add_u32 s14, s14, s18
	s_addc_u32 s15, s15, s19
	s_load_dword s16, s[14:15], 0x0
	s_branch .LBB863_9
.LBB863_7:
	s_mov_b64 s[8:9], 0
	s_branch .LBB863_2
.LBB863_8:
	s_mov_b32 s16, s2
.LBB863_9:
	s_load_dwordx4 s[44:47], s[0:1], 0x48
	v_and_b32_e32 v45, 15, v0
	s_movk_i32 s14, 0x100
	v_lshlrev_b32_e32 v4, 3, v45
	v_cmp_gt_u32_e32 vcc, s14, v0
	v_cmp_gt_u32_e64 s[26:27], 8, v45
	v_lshrrev_b32_e32 v43, 6, v0
	v_and_b32_e32 v44, 63, v0
	v_bfe_u32 v1, v0, 4, 2
	s_lshl_b32 s25, s4, 4
	s_and_b64 s[18:19], vcc, s[26:27]
	v_lshlrev_b32_e32 v26, 1, v4
	v_lshlrev_b32_e32 v42, 4, v0
	s_and_saveexec_b64 s[14:15], s[18:19]
	s_cbranch_execz .LBB863_11
; %bb.10:
	s_load_dwordx2 s[18:19], s[0:1], 0x0
	s_waitcnt lgkmcnt(0)
	s_ashr_i32 s17, s44, 31
	s_mul_hi_u32 s21, s16, s44
	s_mul_i32 s17, s16, s17
	s_add_i32 s17, s21, s17
	s_mul_i32 s16, s16, s44
	v_lshl_or_b32 v8, v43, 2, v1
	s_lshl_b64 s[16:17], s[16:17], 1
	s_add_u32 s16, s18, s16
	v_add_lshl_u32 v4, v8, s25, 6
	s_addc_u32 s17, s19, s17
	v_ashrrev_i32_e32 v5, 31, v4
	v_lshl_add_u64 v[4:5], v[4:5], 1, s[16:17]
	v_mov_b32_e32 v27, 0
	v_lshl_add_u64 v[4:5], v[4:5], 0, v[26:27]
	global_load_dwordx4 v[4:7], v[4:5], off
	v_lshlrev_b32_e32 v11, 8, v45
	v_lshlrev_b32_e32 v8, 5, v8
	v_and_b32_e32 v9, 16, v42
	v_and_b32_e32 v11, 0xe00, v11
	v_or3_b32 v8, v11, v8, v9
	s_waitcnt vmcnt(0)
	ds_write_b128 v8, v[4:7]
.LBB863_11:
	s_or_b64 exec, exec, s[14:15]
	s_waitcnt lgkmcnt(0)
	s_mul_i32 s4, s4, s46
	s_add_u32 s8, s8, s4
	s_addc_u32 s9, s9, 0
	v_mov_b32_e32 v31, 0
	v_mov_b64_e32 v[14:15], s[8:9]
	v_and_b32_e32 v6, 48, v0
	s_waitcnt vmcnt(3)
	v_mad_i64_i32 v[4:5], s[8:9], v3, s45, v[14:15]
	v_lshlrev_b32_e32 v12, 4, v45
	v_mov_b32_e32 v13, v31
	v_lshlrev_b32_e32 v30, 5, v6
	v_lshl_add_u64 v[4:5], v[4:5], 0, v[12:13]
	v_lshl_add_u64 v[4:5], v[4:5], 0, v[30:31]
	s_load_dword s33, s[0:1], 0x98
	s_load_dwordx4 s[40:43], s[0:1], 0x80
	s_waitcnt lgkmcnt(0)
	s_barrier
	global_load_dwordx4 v[18:21], v[4:5], off
	s_waitcnt vmcnt(3)
	v_mad_i64_i32 v[2:3], s[8:9], v2, s45, v[14:15]
	v_or_b32_e32 v32, 0x100, v12
	v_mov_b32_e32 v33, v31
	v_lshl_add_u64 v[2:3], v[2:3], 0, v[32:33]
	v_lshl_add_u64 v[2:3], v[2:3], 0, v[30:31]
	global_load_dwordx4 v[22:25], v[2:3], off
	s_ashr_i32 s8, s5, 31
	v_or_b32_e32 v17, s5, v6
	s_lshr_b32 s14, s8, 27
	v_add_u32_e32 v4, s14, v17
	v_ashrrev_i32_e32 v4, 5, v4
	v_mov_b32_e32 v36, s20
	v_cmp_gt_i32_e32 vcc, s48, v17
	s_waitcnt vmcnt(3)
	v_mad_i64_i32 v[10:11], s[8:9], v10, s45, v[14:15]
	v_cndmask_b32_e32 v4, v36, v4, vcc
	v_ashrrev_i32_e32 v5, 31, v4
	v_lshlrev_b32_e32 v46, 5, v45
	v_lshl_add_u64 v[10:11], v[10:11], 0, v[12:13]
	v_lshl_add_u64 v[4:5], v[4:5], 2, s[6:7]
	v_lshl_or_b32 v27, v1, 9, v46
	v_lshl_add_u64 v[10:11], v[10:11], 0, v[30:31]
	global_load_dword v52, v[4:5], off
	ds_read_b128 v[6:9], v27
	ds_read_b128 v[2:5], v27 offset:16
	global_load_dwordx4 v[10:13], v[10:11], off
	v_or_b32_e32 v28, s25, v45
	v_ashrrev_i32_e32 v29, 31, v28
	v_lshl_add_u64 v[34:35], v[28:29], 2, s[12:13]
	v_or_b32_e32 v29, 64, v17
	v_or_b32_e32 v37, 0x80, v17
	s_waitcnt vmcnt(4)
	v_mad_i64_i32 v[14:15], s[8:9], v16, s45, v[14:15]
	v_add_u32_e32 v16, s14, v29
	global_load_dword v49, v[34:35], off
	v_add_u32_e32 v34, s14, v37
	v_lshl_add_u64 v[14:15], v[14:15], 0, v[32:33]
	v_ashrrev_i32_e32 v16, 5, v16
	v_cmp_gt_i32_e32 vcc, s48, v29
	v_or_b32_e32 v17, 0xc0, v17
	v_ashrrev_i32_e32 v33, 5, v34
	v_lshl_add_u64 v[14:15], v[14:15], 0, v[30:31]
	v_cndmask_b32_e32 v32, v36, v16, vcc
	v_cmp_gt_i32_e32 vcc, s48, v37
	v_add_u32_e32 v35, s14, v17
	v_ashrrev_i32_e32 v35, 5, v35
	v_cndmask_b32_e32 v34, v36, v33, vcc
	v_cmp_gt_i32_e32 vcc, s48, v17
	global_load_dwordx4 v[14:17], v[14:15], off
	v_ashrrev_i32_e32 v33, 31, v32
	v_cndmask_b32_e32 v36, v36, v35, vcc
	v_ashrrev_i32_e32 v35, 31, v34
	v_ashrrev_i32_e32 v37, 31, v36
	v_lshl_add_u64 v[32:33], v[32:33], 2, s[6:7]
	v_lshl_add_u64 v[34:35], v[34:35], 2, s[6:7]
	;; [unrolled: 1-line block ×3, first 2 shown]
	global_load_dword v48, v[32:33], off
	global_load_dword v29, v[34:35], off
	;; [unrolled: 1-line block ×3, first 2 shown]
	s_add_u32 s8, s10, s4
	s_addc_u32 s9, s11, 0
	v_and_b32_e32 v30, 16, v0
	v_lshl_add_u64 v[38:39], s[8:9], 0, v[30:31]
	v_lshl_or_b32 v30, v43, 9, v46
	v_lshl_add_u64 v[30:31], v[38:39], 0, v[30:31]
	s_load_dword s15, s[0:1], 0x1c
	s_load_dword s4, s[40:41], 0x0
	s_mov_b32 s44, 0xff7fffff
	s_waitcnt vmcnt(8)
	v_cvt_pk_f32_fp8_e32 v[32:33], v18
	v_cvt_pk_f32_fp8_sdwa v[34:35], v18 src0_sel:WORD_1
	v_cvt_pk_f32_fp8_e32 v[36:37], v19
	v_cvt_pk_f32_fp8_sdwa v[18:19], v19 src0_sel:WORD_1
	v_cvt_pkrtz_f16_f32 v32, v32, v33
	v_cvt_pkrtz_f16_f32 v33, v34, v35
	v_cvt_pk_f32_fp8_e32 v[38:39], v20
	v_cvt_pk_f32_fp8_sdwa v[40:41], v20 src0_sel:WORD_1
	v_cvt_pkrtz_f16_f32 v36, v36, v37
	v_cvt_pkrtz_f16_f32 v37, v18, v19
	s_waitcnt lgkmcnt(0)
	v_mfma_f32_16x16x16_f16 v[32:35], v[32:33], v[6:7], 0
	v_cvt_pk_f32_fp8_e32 v[50:51], v21
	v_cvt_pkrtz_f16_f32 v38, v38, v39
	v_cvt_pkrtz_f16_f32 v39, v40, v41
	v_cvt_pk_f32_fp8_sdwa v[20:21], v21 src0_sel:WORD_1
	v_mfma_f32_16x16x16_f16 v[32:35], v[36:37], v[8:9], v[32:35]
	v_cvt_pkrtz_f16_f32 v36, v50, v51
	s_waitcnt vmcnt(7)
	v_cvt_pk_f32_fp8_sdwa v[40:41], v24 src0_sel:WORD_1
	v_cvt_pkrtz_f16_f32 v37, v20, v21
	v_mfma_f32_16x16x16_f16 v[32:35], v[38:39], v[2:3], v[32:35]
	v_cvt_pk_f32_fp8_e32 v[20:21], v22
	v_cvt_pk_f32_fp8_sdwa v[38:39], v22 src0_sel:WORD_1
	v_mov_b32_e32 v50, s15
	v_mfma_f32_16x16x16_f16 v[34:37], v[36:37], v[4:5], v[32:35]
	v_cvt_pkrtz_f16_f32 v20, v20, v21
	v_cvt_pkrtz_f16_f32 v21, v38, v39
	v_cvt_pk_f32_fp8_e32 v[38:39], v24
	v_cvt_pk_f32_fp8_e32 v[32:33], v23
	v_cvt_pk_f32_fp8_sdwa v[22:23], v23 src0_sel:WORD_1
	s_waitcnt vmcnt(6)
	v_mad_i64_i32 v[18:19], s[6:7], v52, s45, v[30:31]
	v_cvt_pkrtz_f16_f32 v32, v32, v33
	v_cvt_pkrtz_f16_f32 v33, v22, v23
	v_mfma_f32_16x16x16_f16 v[20:23], v[20:21], v[6:7], 0
	v_cvt_pkrtz_f16_f32 v38, v38, v39
	v_cvt_pkrtz_f16_f32 v39, v40, v41
	v_cvt_pk_f32_fp8_e32 v[40:41], v25
	v_cvt_pk_f32_fp8_sdwa v[24:25], v25 src0_sel:WORD_1
	v_mfma_f32_16x16x16_f16 v[20:23], v[32:33], v[8:9], v[20:23]
	s_waitcnt vmcnt(5)
	v_cvt_pk_f32_fp8_e32 v[52:53], v12
	v_cvt_pkrtz_f16_f32 v32, v40, v41
	v_cvt_pkrtz_f16_f32 v33, v24, v25
	v_mfma_f32_16x16x16_f16 v[20:23], v[38:39], v[2:3], v[20:23]
	v_cvt_pk_f32_fp8_e32 v[24:25], v10
	v_cvt_pk_f32_fp8_sdwa v[38:39], v10 src0_sel:WORD_1
	v_cvt_pk_f32_fp8_sdwa v[54:55], v12 src0_sel:WORD_1
	v_mfma_f32_16x16x16_f16 v[20:23], v[32:33], v[4:5], v[20:23]
	v_cvt_pk_f32_fp8_e32 v[32:33], v11
	v_cvt_pkrtz_f16_f32 v24, v24, v25
	v_cvt_pkrtz_f16_f32 v25, v38, v39
	v_cvt_pk_f32_fp8_sdwa v[10:11], v11 src0_sel:WORD_1
	v_cvt_pkrtz_f16_f32 v32, v32, v33
	v_mfma_f32_16x16x16_f16 v[38:41], v[24:25], v[6:7], 0
	v_cvt_pkrtz_f16_f32 v33, v10, v11
	v_cvt_pkrtz_f16_f32 v24, v52, v53
	;; [unrolled: 1-line block ×3, first 2 shown]
	v_cvt_pk_f32_fp8_e32 v[52:53], v13
	v_cvt_pk_f32_fp8_sdwa v[54:55], v13 src0_sel:WORD_1
	v_mfma_f32_16x16x16_f16 v[10:13], v[32:33], v[8:9], v[38:41]
	v_mul_f32_e32 v50, s4, v50
	v_pk_mul_f32 v[32:33], v[50:51], v[36:37] op_sel_hi:[0,1]
	v_cvt_pkrtz_f16_f32 v36, v52, v53
	v_cvt_pkrtz_f16_f32 v37, v54, v55
	v_mfma_f32_16x16x16_f16 v[10:13], v[24:25], v[2:3], v[10:13]
	v_pk_mul_f32 v[38:39], v[50:51], v[34:35] op_sel_hi:[0,1]
	s_waitcnt vmcnt(3)
	v_cvt_pk_f32_fp8_e32 v[24:25], v14
	v_cvt_pk_f32_fp8_sdwa v[34:35], v14 src0_sel:WORD_1
	v_mfma_f32_16x16x16_f16 v[10:13], v[36:37], v[4:5], v[10:13]
	v_cvt_pk_f32_fp8_e32 v[36:37], v15
	v_cvt_pkrtz_f16_f32 v24, v24, v25
	v_cvt_pkrtz_f16_f32 v25, v34, v35
	v_cvt_pk_f32_fp8_sdwa v[14:15], v15 src0_sel:WORD_1
	v_cvt_pkrtz_f16_f32 v40, v36, v37
	v_cvt_pk_f32_fp8_e32 v[52:53], v16
	v_cvt_pk_f32_fp8_sdwa v[54:55], v16 src0_sel:WORD_1
	v_cvt_pkrtz_f16_f32 v41, v14, v15
	v_mfma_f32_16x16x16_f16 v[34:37], v[24:25], v[6:7], 0
	v_cvt_pkrtz_f16_f32 v14, v52, v53
	v_cvt_pkrtz_f16_f32 v15, v54, v55
	v_cvt_pk_f32_fp8_e32 v[24:25], v17
	v_cvt_pk_f32_fp8_sdwa v[16:17], v17 src0_sel:WORD_1
	v_mfma_f32_16x16x16_f16 v[6:9], v[40:41], v[8:9], v[34:37]
	v_pk_mul_f32 v[40:41], v[50:51], v[20:21] op_sel_hi:[0,1]
	s_nop 1
	v_pk_mul_f32 v[36:37], v[50:51], v[22:23] op_sel_hi:[0,1]
	v_cvt_pkrtz_f16_f32 v22, v24, v25
	v_cvt_pkrtz_f16_f32 v23, v16, v17
	v_mfma_f32_16x16x16_f16 v[6:9], v[14:15], v[2:3], v[6:9]
	v_pk_mul_f32 v[24:25], v[50:51], v[12:13] op_sel_hi:[0,1]
	v_pk_mul_f32 v[34:35], v[50:51], v[10:11] op_sel_hi:[0,1]
	v_mfma_f32_16x16x16_f16 v[2:5], v[22:23], v[4:5], v[6:9]
	s_nop 6
	v_pk_mul_f32 v[22:23], v[50:51], v[2:3] op_sel_hi:[0,1]
	v_and_b32_e32 v2, 0xc0, v0
	v_add_u32_e32 v2, s5, v2
	v_lshl_or_b32 v2, v1, 2, v2
	v_or_b32_e32 v3, 1, v2
	v_pk_mul_f32 v[20:21], v[50:51], v[4:5] op_sel_hi:[0,1]
	v_subrev_u32_e32 v4, s48, v3
	v_add_u32_e32 v6, 1, v4
	v_add_u32_e32 v7, 2, v4
	v_cvt_f32_i32_e32 v5, v4
	v_cvt_f32_i32_e32 v6, v6
	;; [unrolled: 1-line block ×3, first 2 shown]
	v_add_u32_e32 v8, 3, v4
	v_fma_f32 v9, v49, v5, v38
	v_fmac_f32_e32 v39, v49, v6
	v_fma_f32 v32, v49, v7, v32
	v_add_u32_e32 v5, 16, v4
	v_add_u32_e32 v6, 17, v4
	;; [unrolled: 1-line block ×3, first 2 shown]
	v_cvt_f32_i32_e32 v8, v8
	v_cvt_f32_i32_e32 v5, v5
	;; [unrolled: 1-line block ×4, first 2 shown]
	v_fmac_f32_e32 v33, v49, v8
	v_add_u32_e32 v8, 19, v4
	v_fma_f32 v40, v49, v5, v40
	v_fmac_f32_e32 v41, v49, v6
	v_fma_f32 v36, v49, v7, v36
	v_add_u32_e32 v5, 32, v4
	v_add_u32_e32 v6, 33, v4
	;; [unrolled: 1-line block ×3, first 2 shown]
	v_cvt_f32_i32_e32 v8, v8
	v_cvt_f32_i32_e32 v5, v5
	;; [unrolled: 1-line block ×4, first 2 shown]
	v_fmac_f32_e32 v37, v49, v8
	v_add_u32_e32 v8, 35, v4
	v_fma_f32 v34, v49, v5, v34
	v_fmac_f32_e32 v35, v49, v6
	v_fma_f32 v24, v49, v7, v24
	v_add_u32_e32 v5, 48, v4
	v_add_u32_e32 v6, 49, v4
	v_add_u32_e32 v7, 50, v4
	v_add_u32_e32 v4, 51, v4
	v_cvt_f32_i32_e32 v4, v4
	v_cvt_f32_i32_e32 v5, v5
	;; [unrolled: 1-line block ×3, first 2 shown]
	v_cmp_gt_i32_e64 s[4:5], s48, v2
	v_fmac_f32_e32 v21, v49, v4
	v_mov_b32_e32 v4, 0xff7fffff
	v_cmp_gt_i32_e64 s[28:29], s48, v3
	v_fma_f32 v22, v49, v5, v22
	v_cndmask_b32_e64 v5, v4, v9, s[4:5]
	v_cndmask_b32_e64 v3, v4, v39, s[28:29]
	v_fmac_f32_e32 v23, v49, v6
	v_max3_f32 v3, v5, s44, v3
	v_or_b32_e32 v5, 2, v2
	v_or_b32_e32 v6, 3, v2
	v_cmp_gt_i32_e64 s[30:31], s48, v5
	v_cmp_gt_i32_e64 s[34:35], s48, v6
	v_cvt_f32_i32_e32 v8, v8
	v_cndmask_b32_e64 v5, v4, v32, s[30:31]
	v_cndmask_b32_e64 v6, v4, v33, s[34:35]
	v_max3_f32 v3, v3, v5, v6
	v_or_b32_e32 v5, 16, v2
	v_or_b32_e32 v6, 17, v2
	v_cmp_gt_i32_e64 s[36:37], s48, v5
	v_cmp_gt_i32_e64 s[38:39], s48, v6
	v_fmac_f32_e32 v25, v49, v8
	v_cndmask_b32_e64 v5, v4, v40, s[36:37]
	v_cndmask_b32_e64 v6, v4, v41, s[38:39]
	v_max3_f32 v3, v3, v5, v6
	v_or_b32_e32 v5, 18, v2
	v_or_b32_e32 v6, 19, v2
	v_cmp_gt_i32_e64 s[20:21], s48, v5
	v_cmp_gt_i32_e64 s[22:23], s48, v6
	v_cvt_f32_i32_e32 v7, v7
	v_cndmask_b32_e64 v5, v4, v36, s[20:21]
	v_cndmask_b32_e64 v6, v4, v37, s[22:23]
	v_max3_f32 v3, v3, v5, v6
	v_or_b32_e32 v5, 32, v2
	v_or_b32_e32 v6, 33, v2
	v_cmp_gt_i32_e64 s[16:17], s48, v5
	v_cmp_gt_i32_e64 s[18:19], s48, v6
	v_fma_f32 v20, v49, v7, v20
	v_cndmask_b32_e64 v5, v4, v34, s[16:17]
	v_cndmask_b32_e64 v6, v4, v35, s[18:19]
	v_max3_f32 v3, v3, v5, v6
	v_or_b32_e32 v5, 34, v2
	v_or_b32_e32 v6, 35, v2
	v_cmp_gt_i32_e64 s[12:13], s48, v5
	v_cmp_gt_i32_e64 s[14:15], s48, v6
	s_nop 0
	v_cndmask_b32_e64 v5, v4, v24, s[12:13]
	v_cndmask_b32_e64 v6, v4, v25, s[14:15]
	v_max3_f32 v3, v3, v5, v6
	v_or_b32_e32 v5, 48, v2
	v_or_b32_e32 v6, 49, v2
	v_cmp_gt_i32_e64 s[8:9], s48, v5
	v_cmp_gt_i32_e64 s[10:11], s48, v6
	s_nop 0
	v_cndmask_b32_e64 v5, v4, v22, s[8:9]
	v_cndmask_b32_e64 v6, v4, v23, s[10:11]
	v_max3_f32 v3, v3, v5, v6
	v_or_b32_e32 v5, 50, v2
	v_or_b32_e32 v2, 51, v2
	v_cmp_gt_i32_e32 vcc, s48, v5
	v_cmp_gt_i32_e64 s[6:7], s48, v2
	s_nop 0
	v_cndmask_b32_e32 v5, v4, v20, vcc
	v_cndmask_b32_e64 v2, v4, v21, s[6:7]
	v_max3_f32 v4, v3, v5, v2
	v_mbcnt_lo_u32_b32 v2, -1, 0
	v_mbcnt_hi_u32_b32 v5, -1, v2
	v_and_b32_e32 v2, 64, v5
	v_add_u32_e32 v6, 64, v2
	v_xor_b32_e32 v2, 32, v5
	v_cmp_lt_i32_e64 s[40:41], v2, v6
	s_nop 1
	v_cndmask_b32_e64 v2, v5, v2, s[40:41]
	v_lshlrev_b32_e32 v49, 2, v2
	ds_bpermute_b32 v7, v49, v4
	s_waitcnt vmcnt(2)
	v_mad_i64_i32 v[2:3], s[40:41], v48, s45, v[30:31]
	global_load_dwordx4 v[14:17], v[18:19], off
	global_load_dwordx4 v[10:13], v[2:3], off
	s_waitcnt lgkmcnt(0)
	v_max_f32_e32 v2, v7, v7
	v_max_f32_e32 v7, v4, v2
	v_xor_b32_e32 v2, 16, v5
	v_cmp_lt_i32_e64 s[40:41], v2, v6
	s_nop 1
	v_cndmask_b32_e64 v2, v5, v2, s[40:41]
	v_lshlrev_b32_e32 v48, 2, v2
	ds_bpermute_b32 v6, v48, v7
	s_waitcnt vmcnt(3)
	v_mad_i64_i32 v[2:3], s[40:41], v29, s45, v[30:31]
	s_waitcnt vmcnt(2)
	v_mad_i64_i32 v[4:5], s[40:41], v47, s45, v[30:31]
	s_waitcnt lgkmcnt(0)
	v_max_f32_e32 v6, v6, v6
	v_max_f32_e32 v29, v7, v6
	v_sub_f32_e32 v6, v9, v29
	v_mul_f32_e32 v6, 0x3fb8aa3b, v6
	v_exp_f32_e32 v18, v6
	v_sub_f32_e32 v6, v39, v29
	v_mul_f32_e32 v6, 0x3fb8aa3b, v6
	v_exp_f32_e32 v19, v6
	global_load_dwordx4 v[6:9], v[2:3], off
	s_nop 0
	global_load_dwordx4 v[2:5], v[4:5], off
	v_sub_f32_e32 v31, v32, v29
	v_sub_f32_e32 v32, v33, v29
	v_mul_f32_e32 v31, 0x3fb8aa3b, v31
	v_mul_f32_e32 v32, 0x3fb8aa3b, v32
	v_exp_f32_e32 v31, v31
	v_exp_f32_e32 v32, v32
	v_cndmask_b32_e64 v18, 0, v18, s[4:5]
	v_add_f32_e32 v30, 0, v18
	v_cndmask_b32_e64 v38, 0, v31, s[30:31]
	v_cndmask_b32_e64 v39, 0, v32, s[34:35]
	v_sub_f32_e32 v31, v40, v29
	v_sub_f32_e32 v32, v41, v29
	v_mul_f32_e32 v31, 0x3fb8aa3b, v31
	v_mul_f32_e32 v32, 0x3fb8aa3b, v32
	v_exp_f32_e32 v31, v31
	v_exp_f32_e32 v32, v32
	v_cndmask_b32_e64 v19, 0, v19, s[28:29]
	v_add_f32_e32 v30, v30, v19
	v_add_f32_e32 v30, v30, v38
	;; [unrolled: 1-line block ×3, first 2 shown]
	v_cndmask_b32_e64 v30, 0, v31, s[36:37]
	v_cndmask_b32_e64 v31, 0, v32, s[38:39]
	v_sub_f32_e32 v32, v36, v29
	v_mul_f32_e32 v32, 0x3fb8aa3b, v32
	v_exp_f32_e32 v32, v32
	v_sub_f32_e32 v36, v37, v29
	v_add_f32_e32 v33, v33, v30
	v_mul_f32_e32 v36, 0x3fb8aa3b, v36
	v_exp_f32_e32 v37, v36
	v_add_f32_e32 v33, v33, v31
	v_cndmask_b32_e64 v36, 0, v32, s[20:21]
	v_add_f32_e32 v32, v33, v36
	v_sub_f32_e32 v33, v34, v29
	v_mul_f32_e32 v33, 0x3fb8aa3b, v33
	v_sub_f32_e32 v34, v35, v29
	v_exp_f32_e32 v33, v33
	v_mul_f32_e32 v34, 0x3fb8aa3b, v34
	v_sub_f32_e32 v24, v24, v29
	v_exp_f32_e32 v34, v34
	;; [unrolled: 3-line block ×3, first 2 shown]
	v_mul_f32_e32 v25, 0x3fb8aa3b, v25
	v_sub_f32_e32 v22, v22, v29
	v_cndmask_b32_e64 v37, 0, v37, s[22:23]
	v_exp_f32_e32 v25, v25
	v_mul_f32_e32 v22, 0x3fb8aa3b, v22
	v_sub_f32_e32 v23, v23, v29
	v_add_f32_e32 v35, v32, v37
	v_cndmask_b32_e64 v32, 0, v33, s[16:17]
	v_exp_f32_e32 v22, v22
	v_mul_f32_e32 v23, 0x3fb8aa3b, v23
	v_sub_f32_e32 v20, v20, v29
	v_add_f32_e32 v35, v35, v32
	;; [unrolled: 5-line block ×3, first 2 shown]
	v_cndmask_b32_e64 v24, 0, v24, s[12:13]
	v_exp_f32_e32 v20, v20
	v_mul_f32_e32 v21, 0x3fb8aa3b, v21
	v_add_f32_e32 v34, v34, v24
	v_cndmask_b32_e64 v25, 0, v25, s[14:15]
	v_exp_f32_e32 v21, v21
	v_add_f32_e32 v34, v34, v25
	v_cndmask_b32_e64 v22, 0, v22, s[8:9]
	v_add_f32_e32 v34, v34, v22
	v_cndmask_b32_e64 v23, 0, v23, s[10:11]
	v_add_f32_e32 v34, v34, v23
	v_cndmask_b32_e32 v20, 0, v20, vcc
	v_add_f32_e32 v34, v34, v20
	v_cndmask_b32_e64 v21, 0, v21, s[6:7]
	v_add_f32_e32 v34, v34, v21
	ds_bpermute_b32 v35, v49, v34
	v_cmp_gt_u32_e32 vcc, 16, v44
	s_waitcnt lgkmcnt(0)
	s_barrier
	v_add_f32_e32 v34, v34, v35
	ds_bpermute_b32 v40, v48, v34
	v_lshlrev_b32_e32 v35, 2, v45
	s_and_saveexec_b64 s[4:5], vcc
	s_cbranch_execz .LBB863_13
; %bb.12:
	s_waitcnt lgkmcnt(0)
	v_add_f32_e32 v34, v34, v40
	v_lshl_or_b32 v40, v43, 6, v35
	ds_write2st64_b32 v40, v29, v34 offset1:1
.LBB863_13:
	s_or_b64 exec, exec, s[4:5]
	s_load_dword s6, s[0:1], 0x94
	s_waitcnt lgkmcnt(0)
	s_barrier
	ds_read2_b32 v[40:41], v35 offset1:16
	ds_read2_b32 v[44:45], v35 offset0:32 offset1:48
	ds_read2_b32 v[48:49], v35 offset0:64 offset1:80
	s_lshl_b32 s7, s33, 4
	s_waitcnt lgkmcnt(2)
	v_max3_f32 v29, v40, s44, v41
	s_waitcnt lgkmcnt(1)
	v_max3_f32 v34, v29, v44, v45
	v_sub_f32_e32 v29, v40, v34
	v_sub_f32_e32 v40, v41, v34
	v_mul_f32_e32 v40, 0x3fb8aa3b, v40
	v_mul_f32_e32 v29, 0x3fb8aa3b, v29
	v_exp_f32_e32 v47, v40
	v_sub_f32_e32 v40, v44, v34
	v_exp_f32_e32 v29, v29
	v_mul_f32_e32 v40, 0x3fb8aa3b, v40
	v_exp_f32_e32 v44, v40
	ds_read2_b32 v[40:41], v35 offset0:96 offset1:112
	v_sub_f32_e32 v35, v45, v34
	v_mul_f32_e32 v35, 0x3fb8aa3b, v35
	v_exp_f32_e32 v45, v35
	s_waitcnt lgkmcnt(1)
	v_fma_f32 v35, v29, v48, 0
	v_fmac_f32_e32 v35, v47, v49
	s_waitcnt lgkmcnt(0)
	v_fmac_f32_e32 v35, v44, v40
	v_fmac_f32_e32 v35, v45, v41
	v_add_f32_e32 v40, 0x358637bd, v35
	v_div_scale_f32 v41, s[4:5], v40, v40, 1.0
	v_rcp_f32_e32 v48, v41
	s_barrier
	v_fma_f32 v49, -v41, v48, 1.0
	v_fmac_f32_e32 v48, v49, v48
	v_div_scale_f32 v49, vcc, 1.0, v40, 1.0
	v_mul_f32_e32 v50, v49, v48
	v_fma_f32 v51, -v41, v50, v49
	v_fmac_f32_e32 v50, v51, v48
	v_fma_f32 v41, -v41, v50, v49
	v_div_fmas_f32 v41, v41, v48, v50
	v_cmp_eq_u32_e32 vcc, 1, v43
	v_div_fixup_f32 v40, v41, v40, 1.0
	s_nop 0
	v_cndmask_b32_e32 v29, v29, v47, vcc
	v_cmp_eq_u32_e32 vcc, 2, v43
	s_nop 1
	v_cndmask_b32_e32 v29, v29, v44, vcc
	v_cmp_eq_u32_e32 vcc, 3, v43
	s_nop 1
	v_cndmask_b32_e32 v29, v29, v45, vcc
	v_mul_f32_e32 v40, v29, v40
	v_pk_mul_f32 v[18:19], v[40:41], v[18:19] op_sel_hi:[0,1]
	v_cvt_f16_f32_e32 v18, v18
	v_cvt_f16_f32_e32 v19, v19
	v_pk_mul_f32 v[38:39], v[40:41], v[38:39] op_sel_hi:[0,1]
	v_cvt_f16_f32_e32 v29, v38
	v_cvt_f16_f32_e32 v39, v39
	v_pack_b32_f16 v38, v18, v19
	v_pk_mul_f32 v[18:19], v[40:41], v[36:37] op_sel_hi:[0,1]
	v_pk_mul_f32 v[30:31], v[40:41], v[30:31] op_sel_hi:[0,1]
	v_cvt_f16_f32_e32 v30, v30
	v_cvt_f16_f32_e32 v31, v31
	;; [unrolled: 1-line block ×4, first 2 shown]
	v_pack_b32_f16 v39, v29, v39
	v_lshlrev_b32_e32 v29, 3, v1
	v_lshlrev_b32_e32 v18, 11, v43
	v_or3_b32 v18, v18, v46, v29
	v_pack_b32_f16 v30, v30, v31
	v_pack_b32_f16 v31, v36, v19
	ds_write2st64_b64 v18, v[38:39], v[30:31] offset1:1
	v_pk_mul_f32 v[24:25], v[40:41], v[24:25] op_sel_hi:[0,1]
	v_pk_mul_f32 v[30:31], v[40:41], v[32:33] op_sel_hi:[0,1]
	;; [unrolled: 1-line block ×4, first 2 shown]
	v_cvt_f16_f32_e32 v19, v30
	v_cvt_f16_f32_e32 v29, v31
	;; [unrolled: 1-line block ×8, first 2 shown]
	v_pack_b32_f16 v20, v19, v29
	v_pack_b32_f16 v21, v24, v25
	;; [unrolled: 1-line block ×4, first 2 shown]
	v_cmp_gt_u32_e32 vcc, 16, v0
	ds_write2st64_b64 v18, v[20:21], v[22:23] offset0:2 offset1:3
	s_and_saveexec_b64 s[4:5], vcc
	s_cbranch_execz .LBB863_15
; %bb.14:
	v_mov_b32_e32 v29, 0
	v_mov_b32_e32 v19, s7
	s_mul_i32 s3, s3, s7
	v_mad_u64_u32 v[20:21], s[12:13], s2, v19, v[28:29]
	v_mov_b32_e32 v28, s24
	s_load_dwordx4 s[8:11], s[0:1], 0x58
	v_add_u32_e32 v19, s3, v21
	v_mad_u64_u32 v[20:21], s[12:13], v20, s6, v[28:29]
	v_mov_b32_e32 v22, v21
	v_mad_u64_u32 v[22:23], s[12:13], v19, s6, v[22:23]
	v_mov_b32_e32 v21, v22
	v_lshlrev_b64 v[20:21], 2, v[20:21]
	s_waitcnt lgkmcnt(0)
	v_lshl_add_u64 v[22:23], s[10:11], 0, v[20:21]
	v_lshl_add_u64 v[20:21], s[8:9], 0, v[20:21]
	global_store_dword v[22:23], v34, off
	global_store_dword v[20:21], v35, off
.LBB863_15:
	s_or_b64 exec, exec, s[4:5]
	s_waitcnt vmcnt(3)
	v_cvt_pk_f32_fp8_e32 v[20:21], v14
	v_cvt_pk_f32_fp8_sdwa v[22:23], v14 src0_sel:WORD_1
	s_waitcnt lgkmcnt(0)
	s_barrier
	v_cvt_pk_f32_fp8_e32 v[24:25], v15
	v_cvt_pkrtz_f16_f32 v14, v20, v21
	v_cvt_pk_f32_fp8_sdwa v[28:29], v15 src0_sel:WORD_1
	v_cvt_pkrtz_f16_f32 v15, v22, v23
	ds_read_b128 v[20:23], v27
	v_cvt_pkrtz_f16_f32 v24, v24, v25
	v_cvt_pkrtz_f16_f32 v25, v28, v29
	ds_read_b128 v[28:31], v27 offset:16
	v_cvt_pk_f32_fp8_e32 v[36:37], v16
	v_cvt_pk_f32_fp8_sdwa v[38:39], v16 src0_sel:WORD_1
	s_waitcnt lgkmcnt(1)
	v_mfma_f32_16x16x16_f16 v[32:35], v[14:15], v[20:21], 0
	s_load_dword s4, s[42:43], 0x0
	v_cvt_pkrtz_f16_f32 v14, v36, v37
	v_cvt_pkrtz_f16_f32 v15, v38, v39
	v_cvt_pk_f32_fp8_e32 v[36:37], v17
	v_mfma_f32_16x16x16_f16 v[20:23], v[24:25], v[22:23], v[32:35]
	v_cvt_pk_f32_fp8_sdwa v[24:25], v17 src0_sel:WORD_1
	v_cmp_gt_u32_e32 vcc, 64, v0
	s_mov_b32 s3, 0
	v_cvt_pkrtz_f16_f32 v32, v36, v37
	s_waitcnt lgkmcnt(0)
	v_mfma_f32_16x16x16_f16 v[14:17], v[14:15], v[28:29], v[20:23]
	v_cvt_pkrtz_f16_f32 v33, v24, v25
	s_waitcnt vmcnt(2)
	v_cvt_pk_f32_fp8_e32 v[24:25], v11
	v_cvt_pk_f32_fp8_sdwa v[28:29], v11 src0_sel:WORD_1
	v_cvt_pk_f32_fp8_e32 v[20:21], v10
	v_cvt_pk_f32_fp8_sdwa v[22:23], v10 src0_sel:WORD_1
	v_mfma_f32_16x16x16_f16 v[14:17], v[32:33], v[30:31], v[14:17]
	v_cvt_pkrtz_f16_f32 v24, v24, v25
	v_cvt_pkrtz_f16_f32 v10, v20, v21
	;; [unrolled: 1-line block ×3, first 2 shown]
	ds_read_b128 v[20:23], v27 offset:2048
	v_cvt_pkrtz_f16_f32 v25, v28, v29
	ds_read_b128 v[28:31], v27 offset:2064
	v_cvt_pk_f32_fp8_e32 v[32:33], v12
	v_cvt_pk_f32_fp8_sdwa v[34:35], v12 src0_sel:WORD_1
	s_waitcnt lgkmcnt(1)
	v_mfma_f32_16x16x16_f16 v[14:17], v[10:11], v[20:21], v[14:17]
	v_cvt_pk_f32_fp8_e32 v[20:21], v13
	v_cvt_pkrtz_f16_f32 v10, v32, v33
	v_cvt_pkrtz_f16_f32 v11, v34, v35
	v_mfma_f32_16x16x16_f16 v[14:17], v[24:25], v[22:23], v[14:17]
	v_cvt_pk_f32_fp8_sdwa v[22:23], v13 src0_sel:WORD_1
	v_cvt_pkrtz_f16_f32 v20, v20, v21
	v_cvt_pkrtz_f16_f32 v21, v22, v23
	s_waitcnt lgkmcnt(0)
	v_mfma_f32_16x16x16_f16 v[10:13], v[10:11], v[28:29], v[14:17]
	s_waitcnt vmcnt(1)
	v_cvt_pk_f32_fp8_sdwa v[22:23], v7 src0_sel:WORD_1
	v_cvt_pk_f32_fp8_e32 v[28:29], v8
	v_cvt_pkrtz_f16_f32 v25, v22, v23
	v_cvt_pk_f32_fp8_e32 v[14:15], v6
	v_cvt_pk_f32_fp8_sdwa v[16:17], v6 src0_sel:WORD_1
	v_mfma_f32_16x16x16_f16 v[10:13], v[20:21], v[30:31], v[10:13]
	v_cvt_pk_f32_fp8_e32 v[20:21], v7
	v_cvt_pkrtz_f16_f32 v6, v14, v15
	v_cvt_pkrtz_f16_f32 v7, v16, v17
	ds_read_b128 v[14:17], v27 offset:4096
	v_cvt_pkrtz_f16_f32 v24, v20, v21
	ds_read_b128 v[20:23], v27 offset:4112
	v_cvt_pk_f32_fp8_sdwa v[30:31], v8 src0_sel:WORD_1
	s_waitcnt lgkmcnt(1)
	v_mfma_f32_16x16x16_f16 v[10:13], v[6:7], v[14:15], v[10:13]
	v_cvt_pkrtz_f16_f32 v6, v28, v29
	v_cvt_pkrtz_f16_f32 v7, v30, v31
	v_cvt_pk_f32_fp8_e32 v[14:15], v9
	v_mfma_f32_16x16x16_f16 v[10:13], v[24:25], v[16:17], v[10:13]
	v_cvt_pk_f32_fp8_sdwa v[16:17], v9 src0_sel:WORD_1
	s_waitcnt vmcnt(0)
	v_cvt_pk_f32_fp8_sdwa v[24:25], v4 src0_sel:WORD_1
	v_cvt_pkrtz_f16_f32 v14, v14, v15
	s_waitcnt lgkmcnt(0)
	v_mfma_f32_16x16x16_f16 v[6:9], v[6:7], v[20:21], v[10:13]
	v_cvt_pkrtz_f16_f32 v15, v16, v17
	v_cvt_pk_f32_fp8_sdwa v[16:17], v3 src0_sel:WORD_1
	s_nop 0
	v_cvt_pk_f32_fp8_e32 v[10:11], v2
	v_cvt_pk_f32_fp8_sdwa v[12:13], v2 src0_sel:WORD_1
	v_mfma_f32_16x16x16_f16 v[6:9], v[14:15], v[22:23], v[6:9]
	v_cvt_pk_f32_fp8_e32 v[14:15], v3
	v_cvt_pkrtz_f16_f32 v2, v10, v11
	v_cvt_pkrtz_f16_f32 v3, v12, v13
	ds_read_b128 v[10:13], v27 offset:6144
	v_cvt_pkrtz_f16_f32 v20, v14, v15
	v_cvt_pkrtz_f16_f32 v21, v16, v17
	ds_read_b128 v[14:17], v27 offset:6160
	v_cvt_pk_f32_fp8_e32 v[22:23], v4
	s_waitcnt lgkmcnt(1)
	v_mfma_f32_16x16x16_f16 v[6:9], v[2:3], v[10:11], v[6:9]
	v_cvt_pkrtz_f16_f32 v3, v24, v25
	v_cvt_pk_f32_fp8_e32 v[10:11], v5
	v_cvt_pkrtz_f16_f32 v2, v22, v23
	v_mfma_f32_16x16x16_f16 v[6:9], v[20:21], v[12:13], v[6:9]
	v_cvt_pk_f32_fp8_sdwa v[12:13], v5 src0_sel:WORD_1
	v_cvt_pkrtz_f16_f32 v10, v10, v11
	v_mov_b32_e32 v27, 0
	s_waitcnt lgkmcnt(0)
	v_mfma_f32_16x16x16_f16 v[2:5], v[2:3], v[14:15], v[6:9]
	v_cvt_pkrtz_f16_f32 v11, v12, v13
	s_barrier
	s_nop 0
	v_mfma_f32_16x16x16_f16 v[2:5], v[10:11], v[16:17], v[2:5]
	s_nop 6
	v_pk_mul_f32 v[4:5], v[4:5], s[4:5] op_sel_hi:[1,0]
	v_pk_mul_f32 v[2:3], v[2:3], s[4:5] op_sel_hi:[1,0]
	v_cvt_f16_f32_e32 v4, v4
	v_cvt_f16_f32_e32 v2, v2
	;; [unrolled: 1-line block ×4, first 2 shown]
	s_and_b64 s[4:5], vcc, s[26:27]
	v_pack_b32_f16 v2, v2, v3
	v_pack_b32_f16 v3, v4, v5
	ds_write_b64 v18, v[2:3]
	s_waitcnt lgkmcnt(0)
	s_barrier
	s_and_saveexec_b64 s[8:9], s[4:5]
	s_cbranch_execz .LBB863_17
; %bb.16:
	s_load_dwordx2 s[0:1], s[0:1], 0x68
	s_lshl_b32 s6, s6, 6
	s_mul_i32 s2, s7, s2
	s_mul_hi_u32 s5, s2, s6
	s_mul_i32 s4, s2, s6
	s_lshl_b64 s[4:5], s[4:5], 1
	s_waitcnt lgkmcnt(0)
	s_add_u32 s4, s0, s4
	s_addc_u32 s5, s1, s5
	s_lshl_b32 s2, s24, 6
	v_lshlrev_b32_e32 v0, 10, v0
	s_lshl_b64 s[0:1], s[2:3], 1
	v_and_b32_e32 v0, 0x1800, v0
	v_lshlrev_b32_e32 v2, 5, v1
	v_and_b32_e32 v3, 16, v42
	s_add_u32 s0, s4, s0
	v_or3_b32 v0, v0, v2, v3
	s_addc_u32 s1, s5, s1
	v_or_b32_e32 v20, s25, v1
	ds_read_b128 v[2:5], v0
	ds_read_b128 v[6:9], v0 offset:128
	ds_read_b128 v[10:13], v0 offset:256
	;; [unrolled: 1-line block ×3, first 2 shown]
	v_lshl_add_u64 v[18:19], s[0:1], 0, v[26:27]
	v_mad_u64_u32 v[0:1], s[0:1], v20, s6, 0
	v_lshl_add_u64 v[0:1], v[0:1], 1, v[18:19]
	s_waitcnt lgkmcnt(3)
	global_store_dwordx4 v[0:1], v[2:5], off
	v_or_b32_e32 v0, 4, v20
	v_mad_u64_u32 v[0:1], s[0:1], v0, s6, 0
	v_lshl_add_u64 v[0:1], v[0:1], 1, v[18:19]
	s_waitcnt lgkmcnt(2)
	global_store_dwordx4 v[0:1], v[6:9], off
	v_or_b32_e32 v0, 8, v20
	;; [unrolled: 5-line block ×3, first 2 shown]
	v_mad_u64_u32 v[0:1], s[0:1], v0, s6, 0
	v_lshl_add_u64 v[0:1], v[0:1], 1, v[18:19]
	s_waitcnt lgkmcnt(0)
	global_store_dwordx4 v[0:1], v[14:17], off
.LBB863_17:
	s_endpgm
	.section	.rodata,"a",@progbits
	.p2align	6, 0x0
	.amdhsa_kernel _Z39paged_attention_ll4mi_QKV_mfma16_kernelIDF16_hLN4vllm18Fp8KVCacheDataTypeE1EhLi32ELi64ELi256ELb1ELi16EEvPKT_PKT0_S7_ifPKiS9_S9_iPKfiiiPfSC_PS2_PT2_iSB_SB_
		.amdhsa_group_segment_fixed_size 8192
		.amdhsa_private_segment_fixed_size 0
		.amdhsa_kernarg_size 400
		.amdhsa_user_sgpr_count 2
		.amdhsa_user_sgpr_dispatch_ptr 0
		.amdhsa_user_sgpr_queue_ptr 0
		.amdhsa_user_sgpr_kernarg_segment_ptr 1
		.amdhsa_user_sgpr_dispatch_id 0
		.amdhsa_user_sgpr_kernarg_preload_length 0
		.amdhsa_user_sgpr_kernarg_preload_offset 0
		.amdhsa_user_sgpr_private_segment_size 0
		.amdhsa_uses_dynamic_stack 0
		.amdhsa_enable_private_segment 0
		.amdhsa_system_sgpr_workgroup_id_x 1
		.amdhsa_system_sgpr_workgroup_id_y 1
		.amdhsa_system_sgpr_workgroup_id_z 1
		.amdhsa_system_sgpr_workgroup_info 0
		.amdhsa_system_vgpr_workitem_id 0
		.amdhsa_next_free_vgpr 56
		.amdhsa_next_free_sgpr 49
		.amdhsa_accum_offset 56
		.amdhsa_reserve_vcc 1
		.amdhsa_float_round_mode_32 0
		.amdhsa_float_round_mode_16_64 0
		.amdhsa_float_denorm_mode_32 3
		.amdhsa_float_denorm_mode_16_64 3
		.amdhsa_dx10_clamp 1
		.amdhsa_ieee_mode 1
		.amdhsa_fp16_overflow 0
		.amdhsa_tg_split 0
		.amdhsa_exception_fp_ieee_invalid_op 0
		.amdhsa_exception_fp_denorm_src 0
		.amdhsa_exception_fp_ieee_div_zero 0
		.amdhsa_exception_fp_ieee_overflow 0
		.amdhsa_exception_fp_ieee_underflow 0
		.amdhsa_exception_fp_ieee_inexact 0
		.amdhsa_exception_int_div_zero 0
	.end_amdhsa_kernel
	.section	.text._Z39paged_attention_ll4mi_QKV_mfma16_kernelIDF16_hLN4vllm18Fp8KVCacheDataTypeE1EhLi32ELi64ELi256ELb1ELi16EEvPKT_PKT0_S7_ifPKiS9_S9_iPKfiiiPfSC_PS2_PT2_iSB_SB_,"axG",@progbits,_Z39paged_attention_ll4mi_QKV_mfma16_kernelIDF16_hLN4vllm18Fp8KVCacheDataTypeE1EhLi32ELi64ELi256ELb1ELi16EEvPKT_PKT0_S7_ifPKiS9_S9_iPKfiiiPfSC_PS2_PT2_iSB_SB_,comdat
.Lfunc_end863:
	.size	_Z39paged_attention_ll4mi_QKV_mfma16_kernelIDF16_hLN4vllm18Fp8KVCacheDataTypeE1EhLi32ELi64ELi256ELb1ELi16EEvPKT_PKT0_S7_ifPKiS9_S9_iPKfiiiPfSC_PS2_PT2_iSB_SB_, .Lfunc_end863-_Z39paged_attention_ll4mi_QKV_mfma16_kernelIDF16_hLN4vllm18Fp8KVCacheDataTypeE1EhLi32ELi64ELi256ELb1ELi16EEvPKT_PKT0_S7_ifPKiS9_S9_iPKfiiiPfSC_PS2_PT2_iSB_SB_
                                        ; -- End function
	.section	.AMDGPU.csdata,"",@progbits
; Kernel info:
; codeLenInByte = 4940
; NumSgprs: 55
; NumVgprs: 56
; NumAgprs: 0
; TotalNumVgprs: 56
; ScratchSize: 0
; MemoryBound: 0
; FloatMode: 240
; IeeeMode: 1
; LDSByteSize: 8192 bytes/workgroup (compile time only)
; SGPRBlocks: 6
; VGPRBlocks: 6
; NumSGPRsForWavesPerEU: 55
; NumVGPRsForWavesPerEU: 56
; AccumOffset: 56
; Occupancy: 8
; WaveLimiterHint : 1
; COMPUTE_PGM_RSRC2:SCRATCH_EN: 0
; COMPUTE_PGM_RSRC2:USER_SGPR: 2
; COMPUTE_PGM_RSRC2:TRAP_HANDLER: 0
; COMPUTE_PGM_RSRC2:TGID_X_EN: 1
; COMPUTE_PGM_RSRC2:TGID_Y_EN: 1
; COMPUTE_PGM_RSRC2:TGID_Z_EN: 1
; COMPUTE_PGM_RSRC2:TIDIG_COMP_CNT: 0
; COMPUTE_PGM_RSRC3_GFX90A:ACCUM_OFFSET: 13
; COMPUTE_PGM_RSRC3_GFX90A:TG_SPLIT: 0
	.section	.text._Z39paged_attention_ll4mi_QKV_mfma16_kernelIDF16_hLN4vllm18Fp8KVCacheDataTypeE1EhLi32ELi64ELi256ELb1ELi1EEvPKT_PKT0_S7_ifPKiS9_S9_iPKfiiiPfSC_PS2_PT2_iSB_SB_,"axG",@progbits,_Z39paged_attention_ll4mi_QKV_mfma16_kernelIDF16_hLN4vllm18Fp8KVCacheDataTypeE1EhLi32ELi64ELi256ELb1ELi1EEvPKT_PKT0_S7_ifPKiS9_S9_iPKfiiiPfSC_PS2_PT2_iSB_SB_,comdat
	.protected	_Z39paged_attention_ll4mi_QKV_mfma16_kernelIDF16_hLN4vllm18Fp8KVCacheDataTypeE1EhLi32ELi64ELi256ELb1ELi1EEvPKT_PKT0_S7_ifPKiS9_S9_iPKfiiiPfSC_PS2_PT2_iSB_SB_ ; -- Begin function _Z39paged_attention_ll4mi_QKV_mfma16_kernelIDF16_hLN4vllm18Fp8KVCacheDataTypeE1EhLi32ELi64ELi256ELb1ELi1EEvPKT_PKT0_S7_ifPKiS9_S9_iPKfiiiPfSC_PS2_PT2_iSB_SB_
	.globl	_Z39paged_attention_ll4mi_QKV_mfma16_kernelIDF16_hLN4vllm18Fp8KVCacheDataTypeE1EhLi32ELi64ELi256ELb1ELi1EEvPKT_PKT0_S7_ifPKiS9_S9_iPKfiiiPfSC_PS2_PT2_iSB_SB_
	.p2align	8
	.type	_Z39paged_attention_ll4mi_QKV_mfma16_kernelIDF16_hLN4vllm18Fp8KVCacheDataTypeE1EhLi32ELi64ELi256ELb1ELi1EEvPKT_PKT0_S7_ifPKiS9_S9_iPKfiiiPfSC_PS2_PT2_iSB_SB_,@function
_Z39paged_attention_ll4mi_QKV_mfma16_kernelIDF16_hLN4vllm18Fp8KVCacheDataTypeE1EhLi32ELi64ELi256ELb1ELi1EEvPKT_PKT0_S7_ifPKiS9_S9_iPKfiiiPfSC_PS2_PT2_iSB_SB_: ; @_Z39paged_attention_ll4mi_QKV_mfma16_kernelIDF16_hLN4vllm18Fp8KVCacheDataTypeE1EhLi32ELi64ELi256ELb1ELi1EEvPKT_PKT0_S7_ifPKiS9_S9_iPKfiiiPfSC_PS2_PT2_iSB_SB_
; %bb.0:
	s_load_dwordx2 s[6:7], s[0:1], 0x30
	s_mov_b32 s30, s3
	s_mov_b64 s[8:9], 0
	s_waitcnt lgkmcnt(0)
	s_cmp_lg_u64 s[6:7], 0
	s_cselect_b64 s[10:11], -1, 0
	s_and_b64 vcc, exec, s[10:11]
	s_cbranch_vccz .LBB864_7
; %bb.1:
	s_add_i32 s12, s2, 1
	s_mov_b32 s13, 0
	s_lshl_b64 s[14:15], s[12:13], 2
	s_add_u32 s14, s6, s14
	s_mov_b32 s3, s13
	s_addc_u32 s15, s7, s15
	s_lshl_b64 s[12:13], s[2:3], 2
	s_add_u32 s12, s6, s12
	s_addc_u32 s13, s7, s13
	s_load_dword s5, s[14:15], 0x0
	s_load_dword s16, s[12:13], 0x0
	s_waitcnt lgkmcnt(0)
	s_sub_i32 s5, s5, s16
	s_cmp_eq_u32 s5, 1
	s_cselect_b64 s[12:13], -1, 0
	s_andn2_b64 vcc, exec, s[8:9]
	s_cbranch_vccnz .LBB864_3
.LBB864_2:
	s_mov_b32 s3, 0
	s_mov_b64 s[12:13], -1
.LBB864_3:
	s_andn2_b64 vcc, exec, s[12:13]
	s_cbranch_vccnz .LBB864_19
; %bb.4:
	s_load_dwordx2 s[8:9], s[0:1], 0x28
	s_lshl_b64 s[12:13], s[2:3], 2
	s_waitcnt lgkmcnt(0)
	s_add_u32 s8, s8, s12
	s_addc_u32 s9, s9, s13
	s_load_dword s31, s[8:9], 0x0
	s_lshl_b32 s16, s30, 8
	s_waitcnt lgkmcnt(0)
	s_cmp_ge_i32 s16, s31
	s_cbranch_scc1 .LBB864_19
; %bb.5:
	s_load_dwordx2 s[8:9], s[0:1], 0x20
	s_load_dword s5, s[0:1], 0x38
	s_add_i32 s14, s31, 31
	s_ashr_i32 s15, s14, 31
	v_and_b32_e32 v1, 0xcf, v0
	s_lshr_b32 s15, s15, 27
	v_add_u32_e32 v1, s16, v1
	s_add_i32 s14, s14, s15
	v_ashrrev_i32_e32 v2, 31, v1
	s_ashr_i32 s17, s14, 5
	v_lshrrev_b32_e32 v4, 27, v2
	s_add_i32 s17, s17, -1
	s_waitcnt lgkmcnt(0)
	s_mul_i32 s14, s2, s5
	s_mov_b32 s15, 0
	v_add_u32_e32 v2, v1, v4
	s_lshl_b64 s[14:15], s[14:15], 2
	v_ashrrev_i32_e32 v2, 5, v2
	v_mov_b32_e32 v5, s17
	v_cmp_gt_i32_e32 vcc, s31, v1
	s_add_u32 s8, s8, s14
	s_addc_u32 s9, s9, s15
	v_cndmask_b32_e32 v2, v5, v2, vcc
	v_ashrrev_i32_e32 v3, 31, v2
	v_lshl_add_u64 v[6:7], v[2:3], 2, s[8:9]
	v_or_b32_e32 v2, 16, v1
	v_add_u32_e32 v3, v2, v4
	v_ashrrev_i32_e32 v3, 5, v3
	v_cmp_gt_i32_e32 vcc, s31, v2
	s_load_dwordx2 s[14:15], s[0:1], 0x8
	s_nop 0
	v_cndmask_b32_e32 v2, v5, v3, vcc
	v_ashrrev_i32_e32 v3, 31, v2
	v_lshl_add_u64 v[8:9], v[2:3], 2, s[8:9]
	v_or_b32_e32 v2, 32, v1
	v_add_u32_e32 v3, v2, v4
	v_ashrrev_i32_e32 v3, 5, v3
	v_cmp_gt_i32_e32 vcc, s31, v2
	v_or_b32_e32 v1, 48, v1
	s_nop 0
	v_cndmask_b32_e32 v2, v5, v3, vcc
	v_ashrrev_i32_e32 v3, 31, v2
	v_lshl_add_u64 v[10:11], v[2:3], 2, s[8:9]
	v_add_u32_e32 v2, v1, v4
	v_ashrrev_i32_e32 v2, 5, v2
	v_cmp_gt_i32_e32 vcc, s31, v1
	s_nop 1
	v_cndmask_b32_e32 v2, v5, v2, vcc
	v_ashrrev_i32_e32 v3, 31, v2
	v_lshl_add_u64 v[12:13], v[2:3], 2, s[8:9]
	global_load_dword v5, v[6:7], off
	global_load_dword v4, v[8:9], off
	;; [unrolled: 1-line block ×4, first 2 shown]
	s_andn2_b64 vcc, exec, s[10:11]
	s_cbranch_vccnz .LBB864_8
; %bb.6:
	s_add_u32 s6, s6, s12
	s_addc_u32 s7, s7, s13
	s_load_dword s5, s[6:7], 0x0
	s_branch .LBB864_9
.LBB864_7:
	s_mov_b64 s[12:13], 0
	s_branch .LBB864_2
.LBB864_8:
	s_mov_b32 s5, s2
.LBB864_9:
	s_load_dwordx2 s[10:11], s[0:1], 0x10
	s_load_dwordx4 s[48:51], s[0:1], 0x48
	v_lshrrev_b32_e32 v40, 6, v0
	v_bfe_u32 v38, v0, 4, 2
	v_lshl_or_b32 v1, v40, 2, v38
	v_and_b32_e32 v42, 15, v0
	v_lshlrev_b32_e32 v6, 3, v42
	v_cmp_eq_u32_e32 vcc, 0, v1
	v_cmp_gt_u32_e64 s[6:7], 8, v42
	s_and_b64 s[18:19], s[6:7], vcc
	v_lshlrev_b32_e32 v1, 1, v6
	v_lshlrev_b32_e32 v39, 4, v0
	s_and_saveexec_b64 s[12:13], s[18:19]
	s_cbranch_execz .LBB864_11
; %bb.10:
	s_load_dwordx2 s[18:19], s[0:1], 0x0
	s_waitcnt lgkmcnt(0)
	s_ashr_i32 s20, s48, 31
	s_mul_hi_u32 s21, s5, s48
	s_mul_i32 s20, s5, s20
	s_add_i32 s21, s21, s20
	s_mul_i32 s20, s5, s48
	s_lshl_b64 s[20:21], s[20:21], 1
	s_add_u32 s5, s18, s20
	s_addc_u32 s20, s19, s21
	s_lshl_b32 s18, s4, 6
	s_ashr_i32 s19, s18, 31
	s_lshl_b64 s[18:19], s[18:19], 1
	s_add_u32 s18, s5, s18
	s_addc_u32 s19, s20, s19
	global_load_dwordx4 v[6:9], v1, s[18:19]
	v_lshlrev_b32_e32 v10, 8, v42
	v_and_b32_e32 v11, 16, v39
	s_movk_i32 s5, 0xe00
	v_and_or_b32 v10, v10, s5, v11
	s_waitcnt vmcnt(0)
	ds_write_b128 v10, v[6:9]
.LBB864_11:
	s_or_b64 exec, exec, s[12:13]
	s_waitcnt lgkmcnt(0)
	s_mul_i32 s18, s4, s50
	s_add_u32 s12, s14, s18
	s_addc_u32 s13, s15, 0
	v_mov_b32_e32 v27, 0
	v_mov_b64_e32 v[6:7], s[12:13]
	v_lshlrev_b32_e32 v10, 4, v42
	v_and_b32_e32 v28, 48, v0
	s_waitcnt vmcnt(3)
	v_mad_i64_i32 v[8:9], s[12:13], v5, s49, v[6:7]
	v_mov_b32_e32 v11, v27
	s_waitcnt vmcnt(2)
	v_mad_i64_i32 v[4:5], s[12:13], v4, s49, v[6:7]
	v_or_b32_e32 v12, 0x100, v10
	v_mov_b32_e32 v13, v27
	v_lshlrev_b32_e32 v26, 5, v28
	v_lshl_add_u64 v[8:9], v[8:9], 0, v[10:11]
	v_lshl_add_u64 v[4:5], v[4:5], 0, v[12:13]
	;; [unrolled: 1-line block ×4, first 2 shown]
	s_barrier
	global_load_dwordx4 v[22:25], v[8:9], off
	global_load_dwordx4 v[18:21], v[4:5], off
	s_waitcnt vmcnt(3)
	v_mad_i64_i32 v[4:5], s[12:13], v3, s49, v[6:7]
	v_lshl_add_u64 v[4:5], v[4:5], 0, v[10:11]
	s_waitcnt vmcnt(2)
	v_mad_i64_i32 v[2:3], s[12:13], v2, s49, v[6:7]
	v_lshl_add_u64 v[4:5], v[4:5], 0, v[26:27]
	v_lshl_add_u64 v[2:3], v[2:3], 0, v[12:13]
	;; [unrolled: 1-line block ×3, first 2 shown]
	global_load_dwordx4 v[14:17], v[4:5], off
	global_load_dwordx4 v[6:9], v[2:3], off
	v_lshlrev_b32_e32 v2, 9, v38
	ds_read_b128 v[10:13], v2
	ds_read_b128 v[2:5], v2 offset:16
	v_and_b32_e32 v43, 63, v0
	v_cmp_eq_u32_e32 vcc, 0, v42
	v_mov_b32_e32 v44, 0
	s_and_saveexec_b64 s[12:13], vcc
	s_cbranch_execz .LBB864_13
; %bb.12:
	s_load_dwordx2 s[14:15], s[0:1], 0x40
	s_ashr_i32 s5, s4, 31
	s_lshl_b64 s[20:21], s[4:5], 2
	s_waitcnt lgkmcnt(0)
	s_add_u32 s14, s14, s20
	s_addc_u32 s15, s15, s21
	s_load_dword s5, s[14:15], 0x0
	s_waitcnt lgkmcnt(0)
	v_mov_b32_e32 v44, s5
.LBB864_13:
	s_or_b64 exec, exec, s[12:13]
	s_ashr_i32 s5, s16, 31
	v_or_b32_e32 v45, s16, v28
	s_lshr_b32 s5, s5, 27
	v_add_u32_e32 v26, s5, v45
	v_ashrrev_i32_e32 v26, 5, v26
	v_mov_b32_e32 v65, s17
	v_cmp_gt_i32_e32 vcc, s31, v45
	s_waitcnt vmcnt(3)
	v_cvt_pk_f32_fp8_sdwa v[30:31], v22 src0_sel:WORD_1
	s_waitcnt vmcnt(2)
	v_cvt_pk_f32_fp8_e32 v[48:49], v18
	v_cndmask_b32_e32 v28, v65, v26, vcc
	v_ashrrev_i32_e32 v29, 31, v28
	v_lshl_add_u64 v[28:29], v[28:29], 2, s[8:9]
	global_load_dword v72, v[28:29], off
	v_cvt_pk_f32_fp8_e32 v[28:29], v22
	v_cvt_pk_f32_fp8_sdwa v[50:51], v18 src0_sel:WORD_1
	v_or_b32_e32 v18, 64, v45
	v_cvt_pk_f32_fp8_e32 v[56:57], v20
	v_cvt_pk_f32_fp8_sdwa v[58:59], v20 src0_sel:WORD_1
	v_cvt_pk_f32_fp8_e32 v[60:61], v21
	v_cvt_pk_f32_fp8_sdwa v[62:63], v21 src0_sel:WORD_1
	v_or_b32_e32 v20, 0xc0, v45
	v_add_u32_e32 v21, s5, v18
	v_cvt_pk_f32_fp8_e32 v[52:53], v19
	v_cvt_pk_f32_fp8_sdwa v[54:55], v19 src0_sel:WORD_1
	v_or_b32_e32 v19, 0x80, v45
	v_add_u32_e32 v64, s5, v20
	v_ashrrev_i32_e32 v21, 5, v21
	v_cmp_gt_i32_e32 vcc, s31, v18
	v_cvt_pk_f32_fp8_e32 v[32:33], v23
	v_cvt_pk_f32_fp8_sdwa v[22:23], v23 src0_sel:WORD_1
	v_add_u32_e32 v45, s5, v19
	v_ashrrev_i32_e32 v67, 5, v64
	v_cndmask_b32_e32 v64, v65, v21, vcc
	v_cmp_gt_i32_e32 vcc, s31, v19
	v_cvt_pkrtz_f16_f32 v18, v28, v29
	v_cvt_pkrtz_f16_f32 v19, v30, v31
	v_cvt_pk_f32_fp8_e32 v[34:35], v24
	v_cvt_pk_f32_fp8_sdwa v[36:37], v24 src0_sel:WORD_1
	v_ashrrev_i32_e32 v45, 5, v45
	v_cvt_pkrtz_f16_f32 v28, v32, v33
	v_cvt_pkrtz_f16_f32 v29, v22, v23
	;; [unrolled: 1-line block ×4, first 2 shown]
	v_cvt_pk_f32_fp8_e32 v[46:47], v25
	v_cvt_pk_f32_fp8_sdwa v[24:25], v25 src0_sel:WORD_1
	v_cndmask_b32_e32 v66, v65, v45, vcc
	v_cmp_gt_i32_e32 vcc, s31, v20
	s_waitcnt lgkmcnt(1)
	v_mfma_f32_16x16x16_f16 v[18:21], v[18:19], v[10:11], 0
	v_cvt_pkrtz_f16_f32 v32, v34, v35
	v_cvt_pkrtz_f16_f32 v33, v36, v37
	;; [unrolled: 1-line block ×5, first 2 shown]
	v_mfma_f32_16x16x16_f16 v[22:25], v[22:23], v[10:11], 0
	s_add_u32 s10, s10, s18
	v_and_b32_e32 v26, 16, v0
	v_lshlrev_b32_e32 v41, 5, v42
	v_mfma_f32_16x16x16_f16 v[28:31], v[28:29], v[12:13], v[18:21]
	s_addc_u32 s11, s11, 0
	s_load_dword s12, s[0:1], 0x1c
	s_load_dwordx4 s[44:47], s[0:1], 0x80
	v_lshl_add_u64 v[70:71], s[10:11], 0, v[26:27]
	v_lshl_or_b32 v26, v40, 9, v41
	v_cvt_pkrtz_f16_f32 v34, v46, v47
	v_cvt_pkrtz_f16_f32 v46, v56, v57
	;; [unrolled: 1-line block ×3, first 2 shown]
	v_mfma_f32_16x16x16_f16 v[20:23], v[36:37], v[12:13], v[22:25]
	v_lshl_add_u64 v[18:19], v[70:71], 0, v[26:27]
	v_cndmask_b32_e32 v68, v65, v67, vcc
	v_ashrrev_i32_e32 v65, 31, v64
	s_waitcnt lgkmcnt(0)
	v_mfma_f32_16x16x16_f16 v[24:27], v[32:33], v[2:3], v[28:31]
	v_ashrrev_i32_e32 v67, 31, v66
	v_ashrrev_i32_e32 v69, 31, v68
	v_lshl_add_u64 v[32:33], v[68:69], 2, s[8:9]
	v_lshl_add_u64 v[28:29], v[64:65], 2, s[8:9]
	;; [unrolled: 1-line block ×3, first 2 shown]
	s_load_dword s5, s[44:45], 0x0
	v_mfma_f32_16x16x16_f16 v[20:23], v[46:47], v[2:3], v[20:23]
	global_load_dword v47, v[28:29], off
	global_load_dword v45, v[30:31], off
	;; [unrolled: 1-line block ×3, first 2 shown]
	s_waitcnt vmcnt(5)
	v_cvt_pk_f32_fp8_sdwa v[28:29], v14 src0_sel:WORD_1
	v_cvt_pkrtz_f16_f32 v48, v60, v61
	v_mfma_f32_16x16x16_f16 v[30:33], v[34:35], v[4:5], v[24:27]
	v_cvt_pkrtz_f16_f32 v49, v62, v63
	v_cvt_pk_f32_fp8_e32 v[34:35], v15
	v_mov_b32_e32 v36, s12
	v_cvt_pk_f32_fp8_e32 v[24:25], v14
	v_cvt_pk_f32_fp8_sdwa v[14:15], v15 src0_sel:WORD_1
	v_mfma_f32_16x16x16_f16 v[20:23], v[48:49], v[4:5], v[20:23]
	v_cvt_pk_f32_fp8_e32 v[48:49], v16
	v_cvt_pkrtz_f16_f32 v24, v24, v25
	v_cvt_pkrtz_f16_f32 v25, v28, v29
	;; [unrolled: 1-line block ×3, first 2 shown]
	v_cvt_pk_f32_fp8_sdwa v[52:53], v16 src0_sel:WORD_1
	v_cvt_pkrtz_f16_f32 v29, v14, v15
	s_waitcnt lgkmcnt(0)
	v_mul_f32_e32 v50, s5, v36
	v_mfma_f32_16x16x16_f16 v[34:37], v[24:25], v[10:11], 0
	v_cvt_pkrtz_f16_f32 v24, v48, v49
	v_cvt_pkrtz_f16_f32 v25, v52, v53
	v_cvt_pk_f32_fp8_e32 v[48:49], v17
	v_cvt_pk_f32_fp8_sdwa v[52:53], v17 src0_sel:WORD_1
	v_mfma_f32_16x16x16_f16 v[14:17], v[28:29], v[12:13], v[34:37]
	v_pk_mul_f32 v[28:29], v[50:51], v[32:33] op_sel_hi:[0,1]
	v_cvt_pkrtz_f16_f32 v32, v48, v49
	v_cvt_pkrtz_f16_f32 v33, v52, v53
	v_mfma_f32_16x16x16_f16 v[14:17], v[24:25], v[2:3], v[14:17]
	v_pk_mul_f32 v[34:35], v[50:51], v[30:31] op_sel_hi:[0,1]
	s_waitcnt vmcnt(4)
	v_cvt_pk_f32_fp8_e32 v[24:25], v6
	v_cvt_pk_f32_fp8_sdwa v[30:31], v6 src0_sel:WORD_1
	v_mfma_f32_16x16x16_f16 v[14:17], v[32:33], v[4:5], v[14:17]
	v_cvt_pk_f32_fp8_e32 v[32:33], v7
	v_cvt_pkrtz_f16_f32 v24, v24, v25
	v_cvt_pkrtz_f16_f32 v25, v30, v31
	v_cvt_pk_f32_fp8_sdwa v[6:7], v7 src0_sel:WORD_1
	v_cvt_pkrtz_f16_f32 v36, v32, v33
	v_cvt_pk_f32_fp8_e32 v[48:49], v8
	v_cvt_pk_f32_fp8_sdwa v[52:53], v8 src0_sel:WORD_1
	v_cvt_pkrtz_f16_f32 v37, v6, v7
	v_mfma_f32_16x16x16_f16 v[30:33], v[24:25], v[10:11], 0
	v_cvt_pkrtz_f16_f32 v10, v48, v49
	v_cvt_pkrtz_f16_f32 v11, v52, v53
	v_cvt_pk_f32_fp8_e32 v[24:25], v9
	v_cvt_pk_f32_fp8_sdwa v[48:49], v9 src0_sel:WORD_1
	v_mfma_f32_16x16x16_f16 v[6:9], v[36:37], v[12:13], v[30:33]
	v_pk_mul_f32 v[36:37], v[50:51], v[20:21] op_sel_hi:[0,1]
	v_cvt_pkrtz_f16_f32 v12, v24, v25
	v_cvt_pkrtz_f16_f32 v13, v48, v49
	v_mfma_f32_16x16x16_f16 v[6:9], v[10:11], v[2:3], v[6:9]
	v_pk_mul_f32 v[32:33], v[50:51], v[22:23] op_sel_hi:[0,1]
	v_pk_mul_f32 v[24:25], v[50:51], v[16:17] op_sel_hi:[0,1]
	v_pk_mul_f32 v[30:31], v[50:51], v[14:15] op_sel_hi:[0,1]
	v_mfma_f32_16x16x16_f16 v[2:5], v[12:13], v[4:5], v[6:9]
	s_mov_b32 s5, 0xff7fffff
	s_waitcnt vmcnt(3)
	v_mad_i64_i32 v[26:27], s[8:9], v72, s49, v[18:19]
	s_nop 3
	v_pk_mul_f32 v[22:23], v[50:51], v[2:3] op_sel_hi:[0,1]
	v_and_b32_e32 v2, 0xc0, v0
	v_add_u32_e32 v2, s16, v2
	v_lshl_or_b32 v2, v38, 2, v2
	v_or_b32_e32 v3, 1, v2
	v_pk_mul_f32 v[20:21], v[50:51], v[4:5] op_sel_hi:[0,1]
	v_subrev_u32_e32 v4, s31, v3
	v_add_u32_e32 v6, 1, v4
	v_add_u32_e32 v7, 2, v4
	;; [unrolled: 1-line block ×3, first 2 shown]
	v_cvt_f32_i32_e32 v6, v6
	v_cvt_f32_i32_e32 v7, v7
	v_cvt_f32_i32_e32 v8, v8
	v_add_u32_e32 v9, 19, v4
	v_fmac_f32_e32 v35, v44, v6
	v_fma_f32 v28, v44, v7, v28
	v_fmac_f32_e32 v29, v44, v8
	v_add_u32_e32 v6, 16, v4
	v_add_u32_e32 v7, 17, v4
	;; [unrolled: 1-line block ×3, first 2 shown]
	v_cvt_f32_i32_e32 v6, v6
	v_cvt_f32_i32_e32 v7, v7
	;; [unrolled: 1-line block ×4, first 2 shown]
	v_fma_f32 v36, v44, v6, v36
	v_fmac_f32_e32 v37, v44, v7
	v_fma_f32 v32, v44, v8, v32
	v_add_u32_e32 v6, 32, v4
	v_add_u32_e32 v7, 33, v4
	;; [unrolled: 1-line block ×3, first 2 shown]
	v_cvt_f32_i32_e32 v6, v6
	v_cvt_f32_i32_e32 v7, v7
	;; [unrolled: 1-line block ×4, first 2 shown]
	v_fmac_f32_e32 v33, v44, v9
	v_add_u32_e32 v9, 35, v4
	v_fma_f32 v48, v44, v6, v30
	v_fmac_f32_e32 v31, v44, v7
	v_fma_f32 v24, v44, v8, v24
	v_add_u32_e32 v6, 48, v4
	v_add_u32_e32 v7, 49, v4
	;; [unrolled: 1-line block ×4, first 2 shown]
	v_cvt_f32_i32_e32 v4, v4
	v_cvt_f32_i32_e32 v6, v6
	;; [unrolled: 1-line block ×3, first 2 shown]
	v_fma_f32 v5, v44, v5, v34
	v_fmac_f32_e32 v21, v44, v4
	v_mov_b32_e32 v4, 0xff7fffff
	v_cmp_gt_i32_e64 s[34:35], s31, v2
	v_cmp_gt_i32_e64 s[36:37], s31, v3
	v_fma_f32 v22, v44, v6, v22
	v_cndmask_b32_e64 v6, v4, v5, s[34:35]
	v_cndmask_b32_e64 v3, v4, v35, s[36:37]
	v_fmac_f32_e32 v23, v44, v7
	v_max3_f32 v3, v6, s5, v3
	v_or_b32_e32 v6, 2, v2
	v_or_b32_e32 v7, 3, v2
	v_cmp_gt_i32_e64 s[38:39], s31, v6
	v_cmp_gt_i32_e64 s[40:41], s31, v7
	v_cvt_f32_i32_e32 v9, v9
	v_cndmask_b32_e64 v6, v4, v28, s[38:39]
	v_cndmask_b32_e64 v7, v4, v29, s[40:41]
	v_max3_f32 v3, v3, v6, v7
	v_or_b32_e32 v6, 16, v2
	v_or_b32_e32 v7, 17, v2
	v_cmp_gt_i32_e64 s[26:27], s31, v6
	v_cmp_gt_i32_e64 s[28:29], s31, v7
	v_fmac_f32_e32 v25, v44, v9
	v_cndmask_b32_e64 v6, v4, v36, s[26:27]
	v_cndmask_b32_e64 v7, v4, v37, s[28:29]
	v_max3_f32 v3, v3, v6, v7
	v_or_b32_e32 v6, 18, v2
	v_or_b32_e32 v7, 19, v2
	v_cmp_gt_i32_e64 s[22:23], s31, v6
	v_cmp_gt_i32_e64 s[24:25], s31, v7
	v_cvt_f32_i32_e32 v8, v8
	v_cndmask_b32_e64 v6, v4, v32, s[22:23]
	v_cndmask_b32_e64 v7, v4, v33, s[24:25]
	v_max3_f32 v3, v3, v6, v7
	v_or_b32_e32 v6, 32, v2
	v_or_b32_e32 v7, 33, v2
	v_cmp_gt_i32_e64 s[18:19], s31, v6
	v_cmp_gt_i32_e64 s[20:21], s31, v7
	v_fma_f32 v20, v44, v8, v20
	v_cndmask_b32_e64 v6, v4, v48, s[18:19]
	v_cndmask_b32_e64 v7, v4, v31, s[20:21]
	v_max3_f32 v3, v3, v6, v7
	v_or_b32_e32 v6, 34, v2
	v_or_b32_e32 v7, 35, v2
	v_cmp_gt_i32_e64 s[14:15], s31, v6
	v_cmp_gt_i32_e64 s[16:17], s31, v7
	s_nop 0
	v_cndmask_b32_e64 v6, v4, v24, s[14:15]
	v_cndmask_b32_e64 v7, v4, v25, s[16:17]
	v_max3_f32 v3, v3, v6, v7
	v_or_b32_e32 v6, 48, v2
	v_or_b32_e32 v7, 49, v2
	v_cmp_gt_i32_e64 s[10:11], s31, v6
	v_cmp_gt_i32_e64 s[12:13], s31, v7
	s_nop 0
	v_cndmask_b32_e64 v6, v4, v22, s[10:11]
	v_cndmask_b32_e64 v7, v4, v23, s[12:13]
	v_max3_f32 v3, v3, v6, v7
	v_or_b32_e32 v6, 50, v2
	v_or_b32_e32 v2, 51, v2
	v_cmp_gt_i32_e32 vcc, s31, v6
	v_cmp_gt_i32_e64 s[8:9], s31, v2
	s_nop 0
	v_cndmask_b32_e32 v6, v4, v20, vcc
	v_cndmask_b32_e64 v2, v4, v21, s[8:9]
	v_max3_f32 v4, v3, v6, v2
	v_mbcnt_lo_u32_b32 v2, -1, 0
	v_mbcnt_hi_u32_b32 v6, -1, v2
	v_and_b32_e32 v2, 64, v6
	v_add_u32_e32 v7, 64, v2
	v_xor_b32_e32 v2, 32, v6
	v_cmp_lt_i32_e64 s[42:43], v2, v7
	s_nop 1
	v_cndmask_b32_e64 v2, v6, v2, s[42:43]
	v_lshlrev_b32_e32 v44, 2, v2
	ds_bpermute_b32 v8, v44, v4
	s_waitcnt vmcnt(2)
	v_mad_i64_i32 v[2:3], s[42:43], v47, s49, v[18:19]
	global_load_dwordx4 v[14:17], v[26:27], off
	global_load_dwordx4 v[10:13], v[2:3], off
	v_xor_b32_e32 v3, 16, v6
	v_cmp_lt_i32_e64 s[42:43], v3, v7
	s_waitcnt lgkmcnt(0)
	v_max_f32_e32 v2, v8, v8
	v_max_f32_e32 v2, v4, v2
	v_cndmask_b32_e64 v3, v6, v3, s[42:43]
	v_lshlrev_b32_e32 v47, 2, v3
	ds_bpermute_b32 v3, v47, v2
	s_waitcnt vmcnt(3)
	v_mad_i64_i32 v[26:27], s[42:43], v45, s49, v[18:19]
	s_waitcnt vmcnt(2)
	v_mad_i64_i32 v[18:19], s[42:43], v46, s49, v[18:19]
	s_waitcnt lgkmcnt(0)
	v_max_f32_e32 v3, v3, v3
	v_max_f32_e32 v30, v2, v3
	v_sub_f32_e32 v2, v5, v30
	v_mul_f32_e32 v2, 0x3fb8aa3b, v2
	v_exp_f32_e32 v34, v2
	v_sub_f32_e32 v2, v35, v30
	v_mul_f32_e32 v2, 0x3fb8aa3b, v2
	v_exp_f32_e32 v35, v2
	global_load_dwordx4 v[6:9], v[26:27], off
	global_load_dwordx4 v[2:5], v[18:19], off
	v_sub_f32_e32 v27, v28, v30
	v_sub_f32_e32 v28, v29, v30
	v_mul_f32_e32 v27, 0x3fb8aa3b, v27
	v_mul_f32_e32 v28, 0x3fb8aa3b, v28
	v_exp_f32_e32 v27, v27
	v_exp_f32_e32 v28, v28
	v_cndmask_b32_e64 v18, 0, v34, s[34:35]
	v_cndmask_b32_e64 v19, 0, v35, s[36:37]
	;; [unrolled: 1-line block ×4, first 2 shown]
	v_sub_f32_e32 v27, v36, v30
	v_sub_f32_e32 v28, v37, v30
	v_mul_f32_e32 v27, 0x3fb8aa3b, v27
	v_mul_f32_e32 v28, 0x3fb8aa3b, v28
	v_exp_f32_e32 v27, v27
	v_exp_f32_e32 v28, v28
	v_add_f32_e32 v26, 0, v18
	v_add_f32_e32 v26, v26, v19
	;; [unrolled: 1-line block ×4, first 2 shown]
	v_cndmask_b32_e64 v26, 0, v27, s[26:27]
	v_cndmask_b32_e64 v27, 0, v28, s[28:29]
	v_sub_f32_e32 v28, v32, v30
	v_mul_f32_e32 v28, 0x3fb8aa3b, v28
	v_exp_f32_e32 v28, v28
	v_sub_f32_e32 v32, v33, v30
	v_add_f32_e32 v29, v29, v26
	v_mul_f32_e32 v32, 0x3fb8aa3b, v32
	v_exp_f32_e32 v33, v32
	v_add_f32_e32 v29, v29, v27
	v_cndmask_b32_e64 v32, 0, v28, s[22:23]
	v_add_f32_e32 v28, v29, v32
	v_sub_f32_e32 v29, v48, v30
	v_mul_f32_e32 v29, 0x3fb8aa3b, v29
	v_sub_f32_e32 v31, v31, v30
	v_exp_f32_e32 v29, v29
	v_mul_f32_e32 v31, 0x3fb8aa3b, v31
	v_sub_f32_e32 v24, v24, v30
	v_exp_f32_e32 v31, v31
	;; [unrolled: 3-line block ×3, first 2 shown]
	v_mul_f32_e32 v25, 0x3fb8aa3b, v25
	v_sub_f32_e32 v22, v22, v30
	v_cndmask_b32_e64 v33, 0, v33, s[24:25]
	v_exp_f32_e32 v25, v25
	v_mul_f32_e32 v22, 0x3fb8aa3b, v22
	v_sub_f32_e32 v23, v23, v30
	v_add_f32_e32 v36, v28, v33
	v_cndmask_b32_e64 v28, 0, v29, s[18:19]
	v_exp_f32_e32 v22, v22
	v_mul_f32_e32 v23, 0x3fb8aa3b, v23
	v_sub_f32_e32 v20, v20, v30
	v_add_f32_e32 v36, v36, v28
	;; [unrolled: 5-line block ×3, first 2 shown]
	v_cndmask_b32_e64 v24, 0, v24, s[14:15]
	v_exp_f32_e32 v20, v20
	v_mul_f32_e32 v21, 0x3fb8aa3b, v21
	v_add_f32_e32 v31, v31, v24
	v_cndmask_b32_e64 v25, 0, v25, s[16:17]
	v_exp_f32_e32 v21, v21
	v_add_f32_e32 v31, v31, v25
	v_cndmask_b32_e64 v22, 0, v22, s[10:11]
	v_add_f32_e32 v31, v31, v22
	v_cndmask_b32_e64 v23, 0, v23, s[12:13]
	v_add_f32_e32 v31, v31, v23
	v_cndmask_b32_e32 v20, 0, v20, vcc
	v_add_f32_e32 v31, v31, v20
	v_cndmask_b32_e64 v21, 0, v21, s[8:9]
	v_add_f32_e32 v31, v31, v21
	ds_bpermute_b32 v36, v44, v31
	v_cmp_gt_u32_e64 s[8:9], 16, v43
	s_waitcnt lgkmcnt(0)
	s_barrier
	v_add_f32_e32 v36, v31, v36
	ds_bpermute_b32 v37, v47, v36
	v_lshlrev_b32_e32 v31, 2, v42
	s_and_saveexec_b64 s[10:11], s[8:9]
	s_cbranch_execz .LBB864_15
; %bb.14:
	s_waitcnt lgkmcnt(0)
	v_add_f32_e32 v36, v36, v37
	v_lshl_or_b32 v37, v40, 6, v31
	ds_write2st64_b32 v37, v30, v36 offset1:1
.LBB864_15:
	s_or_b64 exec, exec, s[10:11]
	s_load_dwordx2 s[10:11], s[0:1], 0x94
	s_waitcnt lgkmcnt(0)
	s_barrier
	ds_read2_b32 v[36:37], v31 offset1:16
	ds_read2_b32 v[42:43], v31 offset0:32 offset1:48
	ds_read2_b32 v[44:45], v31 offset0:64 offset1:80
	s_waitcnt lgkmcnt(2)
	v_max3_f32 v30, v36, s5, v37
	s_waitcnt lgkmcnt(1)
	v_max3_f32 v30, v30, v42, v43
	v_sub_f32_e32 v36, v36, v30
	v_mul_f32_e32 v36, 0x3fb8aa3b, v36
	v_exp_f32_e32 v46, v36
	v_sub_f32_e32 v36, v37, v30
	v_mul_f32_e32 v36, 0x3fb8aa3b, v36
	v_exp_f32_e32 v47, v36
	;; [unrolled: 3-line block ×3, first 2 shown]
	ds_read2_b32 v[36:37], v31 offset0:96 offset1:112
	v_sub_f32_e32 v31, v43, v30
	v_mul_f32_e32 v31, 0x3fb8aa3b, v31
	v_exp_f32_e32 v43, v31
	s_waitcnt lgkmcnt(1)
	v_fma_f32 v31, v46, v44, 0
	v_fmac_f32_e32 v31, v47, v45
	s_waitcnt lgkmcnt(0)
	v_fmac_f32_e32 v31, v42, v36
	v_fmac_f32_e32 v31, v43, v37
	v_add_f32_e32 v37, 0x358637bd, v31
	v_div_scale_f32 v44, s[12:13], v37, v37, 1.0
	v_rcp_f32_e32 v45, v44
	s_barrier
	v_fma_f32 v48, -v44, v45, 1.0
	v_fmac_f32_e32 v45, v48, v45
	v_div_scale_f32 v48, vcc, 1.0, v37, 1.0
	v_mul_f32_e32 v49, v48, v45
	v_fma_f32 v50, -v44, v49, v48
	v_fmac_f32_e32 v49, v50, v45
	v_fma_f32 v44, -v44, v49, v48
	v_div_fmas_f32 v44, v44, v45, v49
	v_cmp_eq_u32_e32 vcc, 1, v40
	v_div_fixup_f32 v37, v44, v37, 1.0
	v_mov_b32_e32 v36, 0
	v_cndmask_b32_e32 v44, v46, v47, vcc
	v_cmp_eq_u32_e32 vcc, 2, v40
	s_nop 1
	v_cndmask_b32_e32 v42, v44, v42, vcc
	v_cmp_eq_u32_e32 vcc, 3, v40
	s_nop 1
	v_cndmask_b32_e32 v42, v42, v43, vcc
	v_mul_f32_e32 v42, v42, v37
	v_pk_mul_f32 v[18:19], v[42:43], v[18:19] op_sel_hi:[0,1]
	v_cvt_f16_f32_e32 v18, v18
	v_cvt_f16_f32_e32 v19, v19
	v_pk_mul_f32 v[34:35], v[42:43], v[34:35] op_sel_hi:[0,1]
	v_cvt_f16_f32_e32 v37, v34
	v_cvt_f16_f32_e32 v35, v35
	v_pack_b32_f16 v34, v18, v19
	v_pk_mul_f32 v[18:19], v[42:43], v[32:33] op_sel_hi:[0,1]
	v_pk_mul_f32 v[26:27], v[42:43], v[26:27] op_sel_hi:[0,1]
	v_cvt_f16_f32_e32 v26, v26
	v_cvt_f16_f32_e32 v27, v27
	;; [unrolled: 1-line block ×4, first 2 shown]
	v_pack_b32_f16 v35, v37, v35
	v_lshlrev_b32_e32 v37, 3, v38
	v_lshlrev_b32_e32 v18, 11, v40
	v_or3_b32 v18, v18, v41, v37
	v_pack_b32_f16 v26, v26, v27
	v_pack_b32_f16 v27, v32, v19
	ds_write2st64_b64 v18, v[34:35], v[26:27] offset1:1
	v_pk_mul_f32 v[24:25], v[42:43], v[24:25] op_sel_hi:[0,1]
	v_pk_mul_f32 v[26:27], v[42:43], v[28:29] op_sel_hi:[0,1]
	v_pk_mul_f32 v[20:21], v[42:43], v[20:21] op_sel_hi:[0,1]
	v_pk_mul_f32 v[22:23], v[42:43], v[22:23] op_sel_hi:[0,1]
	v_cvt_f16_f32_e32 v19, v26
	v_cvt_f16_f32_e32 v26, v27
	;; [unrolled: 1-line block ×8, first 2 shown]
	v_pack_b32_f16 v20, v19, v26
	v_pack_b32_f16 v21, v24, v25
	;; [unrolled: 1-line block ×4, first 2 shown]
	v_cmp_eq_u32_e32 vcc, 0, v0
	ds_write2st64_b64 v18, v[20:21], v[22:23] offset0:2 offset1:3
	s_and_saveexec_b64 s[12:13], vcc
	s_cbranch_execz .LBB864_17
; %bb.16:
	s_mul_i32 s3, s3, s11
	s_mul_hi_u32 s5, s2, s11
	s_add_i32 s5, s5, s3
	s_mul_i32 s3, s2, s11
	s_add_u32 s3, s3, s4
	s_addc_u32 s5, s5, 0
	s_load_dwordx4 s[16:19], s[0:1], 0x58
	s_mul_i32 s5, s5, s10
	s_mul_hi_u32 s14, s3, s10
	s_add_i32 s5, s14, s5
	s_mul_i32 s3, s3, s10
	s_add_u32 s14, s3, s30
	s_addc_u32 s15, s5, 0
	s_lshl_b64 s[14:15], s[14:15], 2
	s_waitcnt lgkmcnt(0)
	s_add_u32 s18, s18, s14
	s_addc_u32 s19, s19, s15
	s_add_u32 s14, s16, s14
	s_addc_u32 s15, s17, s15
	global_store_dword v36, v30, s[18:19]
	global_store_dword v36, v31, s[14:15]
.LBB864_17:
	s_or_b64 exec, exec, s[12:13]
	s_waitcnt vmcnt(3)
	v_cvt_pk_f32_fp8_e32 v[20:21], v14
	v_cvt_pk_f32_fp8_sdwa v[22:23], v14 src0_sel:WORD_1
	v_lshl_or_b32 v14, v38, 9, v41
	s_waitcnt lgkmcnt(0)
	s_barrier
	v_cvt_pk_f32_fp8_e32 v[24:25], v15
	v_cvt_pkrtz_f16_f32 v28, v20, v21
	v_cvt_pkrtz_f16_f32 v29, v22, v23
	v_cvt_pk_f32_fp8_sdwa v[26:27], v15 src0_sel:WORD_1
	ds_read_b128 v[20:23], v14
	v_cvt_pkrtz_f16_f32 v32, v24, v25
	v_cvt_pk_f32_fp8_e32 v[34:35], v16
	v_cvt_pkrtz_f16_f32 v33, v26, v27
	ds_read_b128 v[24:27], v14 offset:16
	v_cvt_pk_f32_fp8_sdwa v[36:37], v16 src0_sel:WORD_1
	s_waitcnt lgkmcnt(1)
	v_mfma_f32_16x16x16_f16 v[28:31], v[28:29], v[20:21], 0
	v_cvt_pkrtz_f16_f32 v34, v34, v35
	s_load_dword s12, s[46:47], 0x0
	v_cvt_pkrtz_f16_f32 v35, v36, v37
	v_cvt_pk_f32_fp8_e32 v[36:37], v17
	v_cvt_pk_f32_fp8_sdwa v[16:17], v17 src0_sel:WORD_1
	v_mfma_f32_16x16x16_f16 v[20:23], v[32:33], v[22:23], v[28:31]
	v_cmp_gt_u32_e32 vcc, 64, v0
	s_and_b64 s[6:7], s[6:7], vcc
	s_mov_b32 s3, 0
	v_cvt_pkrtz_f16_f32 v28, v36, v37
	v_cvt_pkrtz_f16_f32 v29, v16, v17
	s_waitcnt lgkmcnt(0)
	v_mfma_f32_16x16x16_f16 v[20:23], v[34:35], v[24:25], v[20:23]
	s_waitcnt vmcnt(2)
	v_cvt_pk_f32_fp8_e32 v[16:17], v10
	v_cvt_pk_f32_fp8_sdwa v[24:25], v10 src0_sel:WORD_1
	v_cvt_pk_f32_fp8_sdwa v[34:35], v12 src0_sel:WORD_1
	v_mfma_f32_16x16x16_f16 v[20:23], v[28:29], v[26:27], v[20:23]
	v_cvt_pk_f32_fp8_e32 v[26:27], v11
	v_cvt_pkrtz_f16_f32 v10, v16, v17
	v_cvt_pk_f32_fp8_sdwa v[16:17], v11 src0_sel:WORD_1
	v_cvt_pkrtz_f16_f32 v11, v24, v25
	v_cvt_pkrtz_f16_f32 v32, v26, v27
	ds_read_b128 v[24:27], v14 offset:2048
	ds_read_b128 v[28:31], v14 offset:2064
	v_cvt_pkrtz_f16_f32 v33, v16, v17
	v_cvt_pk_f32_fp8_e32 v[16:17], v12
	s_waitcnt lgkmcnt(1)
	v_mfma_f32_16x16x16_f16 v[20:23], v[10:11], v[24:25], v[20:23]
	v_cvt_pkrtz_f16_f32 v11, v34, v35
	v_cvt_pkrtz_f16_f32 v10, v16, v17
	v_cvt_pk_f32_fp8_e32 v[16:17], v13
	v_cvt_pk_f32_fp8_sdwa v[24:25], v13 src0_sel:WORD_1
	v_mfma_f32_16x16x16_f16 v[20:23], v[32:33], v[26:27], v[20:23]
	s_and_b64 s[6:7], s[6:7], s[8:9]
	v_cvt_pkrtz_f16_f32 v16, v16, v17
	v_cvt_pkrtz_f16_f32 v17, v24, v25
	s_waitcnt lgkmcnt(0)
	v_mfma_f32_16x16x16_f16 v[10:13], v[10:11], v[28:29], v[20:23]
	s_waitcnt vmcnt(1)
	v_cvt_pk_f32_fp8_sdwa v[24:25], v7 src0_sel:WORD_1
	v_cvt_pk_f32_fp8_e32 v[28:29], v8
	v_cvt_pk_f32_fp8_e32 v[20:21], v6
	v_mfma_f32_16x16x16_f16 v[10:13], v[16:17], v[30:31], v[10:13]
	v_cvt_pk_f32_fp8_sdwa v[16:17], v6 src0_sel:WORD_1
	v_cvt_pk_f32_fp8_e32 v[22:23], v7
	v_cvt_pkrtz_f16_f32 v6, v20, v21
	v_cvt_pk_f32_fp8_sdwa v[30:31], v8 src0_sel:WORD_1
	v_cvt_pkrtz_f16_f32 v7, v16, v17
	v_cvt_pkrtz_f16_f32 v16, v22, v23
	ds_read_b128 v[20:23], v14 offset:4096
	v_cvt_pkrtz_f16_f32 v17, v24, v25
	ds_read_b128 v[24:27], v14 offset:4112
	s_waitcnt lgkmcnt(1)
	v_mfma_f32_16x16x16_f16 v[10:13], v[6:7], v[20:21], v[10:13]
	v_cvt_pkrtz_f16_f32 v6, v28, v29
	v_cvt_pkrtz_f16_f32 v7, v30, v31
	v_cvt_pk_f32_fp8_e32 v[20:21], v9
	v_mfma_f32_16x16x16_f16 v[10:13], v[16:17], v[22:23], v[10:13]
	v_cvt_pk_f32_fp8_sdwa v[16:17], v9 src0_sel:WORD_1
	v_cvt_pkrtz_f16_f32 v20, v20, v21
	s_waitcnt lgkmcnt(0)
	v_mfma_f32_16x16x16_f16 v[6:9], v[6:7], v[24:25], v[10:13]
	v_cvt_pkrtz_f16_f32 v21, v16, v17
	s_waitcnt vmcnt(0)
	v_cvt_pk_f32_fp8_e32 v[16:17], v3
	v_cvt_pk_f32_fp8_sdwa v[24:25], v4 src0_sel:WORD_1
	v_cvt_pk_f32_fp8_e32 v[10:11], v2
	v_cvt_pk_f32_fp8_sdwa v[12:13], v2 src0_sel:WORD_1
	v_mfma_f32_16x16x16_f16 v[6:9], v[20:21], v[26:27], v[6:9]
	v_cvt_pk_f32_fp8_sdwa v[20:21], v3 src0_sel:WORD_1
	v_cvt_pkrtz_f16_f32 v2, v10, v11
	v_cvt_pkrtz_f16_f32 v3, v12, v13
	ds_read_b128 v[10:13], v14 offset:6144
	v_cvt_pkrtz_f16_f32 v22, v16, v17
	v_cvt_pkrtz_f16_f32 v23, v20, v21
	v_cvt_pk_f32_fp8_e32 v[20:21], v4
	s_waitcnt lgkmcnt(0)
	v_mfma_f32_16x16x16_f16 v[6:9], v[2:3], v[10:11], v[6:9]
	ds_read_b128 v[14:17], v14 offset:6160
	v_cvt_pkrtz_f16_f32 v2, v20, v21
	v_cvt_pkrtz_f16_f32 v3, v24, v25
	v_cvt_pk_f32_fp8_e32 v[10:11], v5
	v_mfma_f32_16x16x16_f16 v[6:9], v[22:23], v[12:13], v[6:9]
	v_cvt_pk_f32_fp8_sdwa v[12:13], v5 src0_sel:WORD_1
	s_waitcnt lgkmcnt(0)
	v_cvt_pkrtz_f16_f32 v10, v10, v11
	v_mfma_f32_16x16x16_f16 v[2:5], v[2:3], v[14:15], v[6:9]
	v_cvt_pkrtz_f16_f32 v11, v12, v13
	s_barrier
	s_nop 0
	v_mfma_f32_16x16x16_f16 v[2:5], v[10:11], v[16:17], v[2:5]
	s_nop 6
	v_pk_mul_f32 v[4:5], v[4:5], s[12:13] op_sel_hi:[1,0]
	v_pk_mul_f32 v[2:3], v[2:3], s[12:13] op_sel_hi:[1,0]
	v_cvt_f16_f32_e32 v4, v4
	v_cvt_f16_f32_e32 v2, v2
	;; [unrolled: 1-line block ×4, first 2 shown]
	v_pack_b32_f16 v2, v2, v3
	v_pack_b32_f16 v3, v4, v5
	ds_write_b64 v18, v[2:3]
	s_waitcnt lgkmcnt(0)
	s_barrier
	s_and_saveexec_b64 s[8:9], s[6:7]
	s_cbranch_execz .LBB864_19
; %bb.18:
	s_load_dwordx2 s[0:1], s[0:1], 0x68
	s_mul_i32 s2, s11, s2
	s_lshl_b32 s5, s10, 6
	s_mul_hi_u32 s7, s2, s5
	s_mul_i32 s6, s2, s5
	s_lshl_b64 s[6:7], s[6:7], 1
	v_lshlrev_b32_e32 v0, 10, v0
	s_waitcnt lgkmcnt(0)
	s_add_u32 s6, s0, s6
	v_and_b32_e32 v0, 0x1800, v0
	v_lshlrev_b32_e32 v2, 5, v38
	v_and_b32_e32 v3, 16, v39
	s_addc_u32 s7, s1, s7
	s_lshl_b32 s2, s30, 6
	v_or3_b32 v0, v0, v2, v3
	s_lshl_b64 s[0:1], s[2:3], 1
	ds_read_b128 v[2:5], v0
	s_add_u32 s2, s6, s0
	s_addc_u32 s3, s7, s1
	s_mul_hi_u32 s1, s5, s4
	s_mul_i32 s0, s5, s4
	s_lshl_b64 s[0:1], s[0:1], 1
	s_add_u32 s0, s2, s0
	s_addc_u32 s1, s3, s1
	s_waitcnt lgkmcnt(0)
	global_store_dwordx4 v1, v[2:5], s[0:1]
.LBB864_19:
	s_endpgm
	.section	.rodata,"a",@progbits
	.p2align	6, 0x0
	.amdhsa_kernel _Z39paged_attention_ll4mi_QKV_mfma16_kernelIDF16_hLN4vllm18Fp8KVCacheDataTypeE1EhLi32ELi64ELi256ELb1ELi1EEvPKT_PKT0_S7_ifPKiS9_S9_iPKfiiiPfSC_PS2_PT2_iSB_SB_
		.amdhsa_group_segment_fixed_size 8192
		.amdhsa_private_segment_fixed_size 0
		.amdhsa_kernarg_size 400
		.amdhsa_user_sgpr_count 2
		.amdhsa_user_sgpr_dispatch_ptr 0
		.amdhsa_user_sgpr_queue_ptr 0
		.amdhsa_user_sgpr_kernarg_segment_ptr 1
		.amdhsa_user_sgpr_dispatch_id 0
		.amdhsa_user_sgpr_kernarg_preload_length 0
		.amdhsa_user_sgpr_kernarg_preload_offset 0
		.amdhsa_user_sgpr_private_segment_size 0
		.amdhsa_uses_dynamic_stack 0
		.amdhsa_enable_private_segment 0
		.amdhsa_system_sgpr_workgroup_id_x 1
		.amdhsa_system_sgpr_workgroup_id_y 1
		.amdhsa_system_sgpr_workgroup_id_z 1
		.amdhsa_system_sgpr_workgroup_info 0
		.amdhsa_system_vgpr_workitem_id 0
		.amdhsa_next_free_vgpr 73
		.amdhsa_next_free_sgpr 52
		.amdhsa_accum_offset 76
		.amdhsa_reserve_vcc 1
		.amdhsa_float_round_mode_32 0
		.amdhsa_float_round_mode_16_64 0
		.amdhsa_float_denorm_mode_32 3
		.amdhsa_float_denorm_mode_16_64 3
		.amdhsa_dx10_clamp 1
		.amdhsa_ieee_mode 1
		.amdhsa_fp16_overflow 0
		.amdhsa_tg_split 0
		.amdhsa_exception_fp_ieee_invalid_op 0
		.amdhsa_exception_fp_denorm_src 0
		.amdhsa_exception_fp_ieee_div_zero 0
		.amdhsa_exception_fp_ieee_overflow 0
		.amdhsa_exception_fp_ieee_underflow 0
		.amdhsa_exception_fp_ieee_inexact 0
		.amdhsa_exception_int_div_zero 0
	.end_amdhsa_kernel
	.section	.text._Z39paged_attention_ll4mi_QKV_mfma16_kernelIDF16_hLN4vllm18Fp8KVCacheDataTypeE1EhLi32ELi64ELi256ELb1ELi1EEvPKT_PKT0_S7_ifPKiS9_S9_iPKfiiiPfSC_PS2_PT2_iSB_SB_,"axG",@progbits,_Z39paged_attention_ll4mi_QKV_mfma16_kernelIDF16_hLN4vllm18Fp8KVCacheDataTypeE1EhLi32ELi64ELi256ELb1ELi1EEvPKT_PKT0_S7_ifPKiS9_S9_iPKfiiiPfSC_PS2_PT2_iSB_SB_,comdat
.Lfunc_end864:
	.size	_Z39paged_attention_ll4mi_QKV_mfma16_kernelIDF16_hLN4vllm18Fp8KVCacheDataTypeE1EhLi32ELi64ELi256ELb1ELi1EEvPKT_PKT0_S7_ifPKiS9_S9_iPKfiiiPfSC_PS2_PT2_iSB_SB_, .Lfunc_end864-_Z39paged_attention_ll4mi_QKV_mfma16_kernelIDF16_hLN4vllm18Fp8KVCacheDataTypeE1EhLi32ELi64ELi256ELb1ELi1EEvPKT_PKT0_S7_ifPKiS9_S9_iPKfiiiPfSC_PS2_PT2_iSB_SB_
                                        ; -- End function
	.section	.AMDGPU.csdata,"",@progbits
; Kernel info:
; codeLenInByte = 4800
; NumSgprs: 58
; NumVgprs: 73
; NumAgprs: 0
; TotalNumVgprs: 73
; ScratchSize: 0
; MemoryBound: 0
; FloatMode: 240
; IeeeMode: 1
; LDSByteSize: 8192 bytes/workgroup (compile time only)
; SGPRBlocks: 7
; VGPRBlocks: 9
; NumSGPRsForWavesPerEU: 58
; NumVGPRsForWavesPerEU: 73
; AccumOffset: 76
; Occupancy: 6
; WaveLimiterHint : 1
; COMPUTE_PGM_RSRC2:SCRATCH_EN: 0
; COMPUTE_PGM_RSRC2:USER_SGPR: 2
; COMPUTE_PGM_RSRC2:TRAP_HANDLER: 0
; COMPUTE_PGM_RSRC2:TGID_X_EN: 1
; COMPUTE_PGM_RSRC2:TGID_Y_EN: 1
; COMPUTE_PGM_RSRC2:TGID_Z_EN: 1
; COMPUTE_PGM_RSRC2:TIDIG_COMP_CNT: 0
; COMPUTE_PGM_RSRC3_GFX90A:ACCUM_OFFSET: 18
; COMPUTE_PGM_RSRC3_GFX90A:TG_SPLIT: 0
	.section	.text._Z39paged_attention_ll4mi_QKV_mfma16_kernelIDF16_hLN4vllm18Fp8KVCacheDataTypeE1EhLi32ELi64ELi256ELb1ELi2EEvPKT_PKT0_S7_ifPKiS9_S9_iPKfiiiPfSC_PS2_PT2_iSB_SB_,"axG",@progbits,_Z39paged_attention_ll4mi_QKV_mfma16_kernelIDF16_hLN4vllm18Fp8KVCacheDataTypeE1EhLi32ELi64ELi256ELb1ELi2EEvPKT_PKT0_S7_ifPKiS9_S9_iPKfiiiPfSC_PS2_PT2_iSB_SB_,comdat
	.protected	_Z39paged_attention_ll4mi_QKV_mfma16_kernelIDF16_hLN4vllm18Fp8KVCacheDataTypeE1EhLi32ELi64ELi256ELb1ELi2EEvPKT_PKT0_S7_ifPKiS9_S9_iPKfiiiPfSC_PS2_PT2_iSB_SB_ ; -- Begin function _Z39paged_attention_ll4mi_QKV_mfma16_kernelIDF16_hLN4vllm18Fp8KVCacheDataTypeE1EhLi32ELi64ELi256ELb1ELi2EEvPKT_PKT0_S7_ifPKiS9_S9_iPKfiiiPfSC_PS2_PT2_iSB_SB_
	.globl	_Z39paged_attention_ll4mi_QKV_mfma16_kernelIDF16_hLN4vllm18Fp8KVCacheDataTypeE1EhLi32ELi64ELi256ELb1ELi2EEvPKT_PKT0_S7_ifPKiS9_S9_iPKfiiiPfSC_PS2_PT2_iSB_SB_
	.p2align	8
	.type	_Z39paged_attention_ll4mi_QKV_mfma16_kernelIDF16_hLN4vllm18Fp8KVCacheDataTypeE1EhLi32ELi64ELi256ELb1ELi2EEvPKT_PKT0_S7_ifPKiS9_S9_iPKfiiiPfSC_PS2_PT2_iSB_SB_,@function
_Z39paged_attention_ll4mi_QKV_mfma16_kernelIDF16_hLN4vllm18Fp8KVCacheDataTypeE1EhLi32ELi64ELi256ELb1ELi2EEvPKT_PKT0_S7_ifPKiS9_S9_iPKfiiiPfSC_PS2_PT2_iSB_SB_: ; @_Z39paged_attention_ll4mi_QKV_mfma16_kernelIDF16_hLN4vllm18Fp8KVCacheDataTypeE1EhLi32ELi64ELi256ELb1ELi2EEvPKT_PKT0_S7_ifPKiS9_S9_iPKfiiiPfSC_PS2_PT2_iSB_SB_
; %bb.0:
	s_load_dwordx2 s[8:9], s[0:1], 0x30
	s_mov_b32 s28, s3
	s_mov_b64 s[6:7], 0
	s_waitcnt lgkmcnt(0)
	s_cmp_lg_u64 s[8:9], 0
	s_cselect_b64 s[10:11], -1, 0
	s_and_b64 vcc, exec, s[10:11]
	s_cbranch_vccz .LBB865_7
; %bb.1:
	s_add_i32 s12, s2, 1
	s_mov_b32 s13, 0
	s_lshl_b64 s[14:15], s[12:13], 2
	s_add_u32 s14, s8, s14
	s_mov_b32 s3, s13
	s_addc_u32 s15, s9, s15
	s_lshl_b64 s[12:13], s[2:3], 2
	s_add_u32 s12, s8, s12
	s_addc_u32 s13, s9, s13
	s_load_dword s5, s[14:15], 0x0
	s_load_dword s16, s[12:13], 0x0
	s_waitcnt lgkmcnt(0)
	s_sub_i32 s5, s5, s16
	s_cmp_eq_u32 s5, 1
	s_cselect_b64 s[12:13], -1, 0
	s_andn2_b64 vcc, exec, s[6:7]
	s_cbranch_vccnz .LBB865_3
.LBB865_2:
	s_mov_b32 s3, 0
	s_mov_b64 s[12:13], -1
.LBB865_3:
	s_andn2_b64 vcc, exec, s[12:13]
	s_cbranch_vccnz .LBB865_19
; %bb.4:
	s_load_dwordx2 s[6:7], s[0:1], 0x28
	s_lshl_b64 s[12:13], s[2:3], 2
	s_waitcnt lgkmcnt(0)
	s_add_u32 s6, s6, s12
	s_addc_u32 s7, s7, s13
	s_load_dword s33, s[6:7], 0x0
	s_lshl_b32 s16, s28, 8
	s_waitcnt lgkmcnt(0)
	s_cmp_ge_i32 s16, s33
	s_cbranch_scc1 .LBB865_19
; %bb.5:
	s_load_dwordx2 s[6:7], s[0:1], 0x20
	s_load_dword s5, s[0:1], 0x38
	s_add_i32 s14, s33, 31
	s_ashr_i32 s15, s14, 31
	v_and_b32_e32 v1, 0xcf, v0
	s_lshr_b32 s15, s15, 27
	v_add_u32_e32 v1, s16, v1
	s_add_i32 s14, s14, s15
	v_ashrrev_i32_e32 v2, 31, v1
	s_ashr_i32 s17, s14, 5
	v_lshrrev_b32_e32 v4, 27, v2
	s_add_i32 s17, s17, -1
	s_waitcnt lgkmcnt(0)
	s_mul_i32 s14, s2, s5
	s_mov_b32 s15, 0
	v_add_u32_e32 v2, v1, v4
	s_lshl_b64 s[14:15], s[14:15], 2
	v_ashrrev_i32_e32 v2, 5, v2
	v_mov_b32_e32 v5, s17
	v_cmp_gt_i32_e32 vcc, s33, v1
	s_add_u32 s6, s6, s14
	s_addc_u32 s7, s7, s15
	v_cndmask_b32_e32 v2, v5, v2, vcc
	v_ashrrev_i32_e32 v3, 31, v2
	v_lshl_add_u64 v[6:7], v[2:3], 2, s[6:7]
	v_or_b32_e32 v2, 16, v1
	v_add_u32_e32 v3, v2, v4
	v_ashrrev_i32_e32 v3, 5, v3
	v_cmp_gt_i32_e32 vcc, s33, v2
	s_load_dwordx2 s[14:15], s[0:1], 0x8
	s_nop 0
	v_cndmask_b32_e32 v2, v5, v3, vcc
	v_ashrrev_i32_e32 v3, 31, v2
	v_lshl_add_u64 v[8:9], v[2:3], 2, s[6:7]
	v_or_b32_e32 v2, 32, v1
	v_add_u32_e32 v3, v2, v4
	v_ashrrev_i32_e32 v3, 5, v3
	v_cmp_gt_i32_e32 vcc, s33, v2
	v_or_b32_e32 v1, 48, v1
	s_nop 0
	v_cndmask_b32_e32 v2, v5, v3, vcc
	v_ashrrev_i32_e32 v3, 31, v2
	v_lshl_add_u64 v[10:11], v[2:3], 2, s[6:7]
	v_add_u32_e32 v2, v1, v4
	v_ashrrev_i32_e32 v2, 5, v2
	v_cmp_gt_i32_e32 vcc, s33, v1
	s_nop 1
	v_cndmask_b32_e32 v2, v5, v2, vcc
	v_ashrrev_i32_e32 v3, 31, v2
	v_lshl_add_u64 v[12:13], v[2:3], 2, s[6:7]
	global_load_dword v5, v[6:7], off
	global_load_dword v4, v[8:9], off
	;; [unrolled: 1-line block ×4, first 2 shown]
	s_andn2_b64 vcc, exec, s[10:11]
	s_cbranch_vccnz .LBB865_8
; %bb.6:
	s_add_u32 s8, s8, s12
	s_addc_u32 s9, s9, s13
	s_load_dword s5, s[8:9], 0x0
	s_branch .LBB865_9
.LBB865_7:
	s_mov_b64 s[12:13], 0
	s_branch .LBB865_2
.LBB865_8:
	s_mov_b32 s5, s2
.LBB865_9:
	s_load_dwordx2 s[8:9], s[0:1], 0x10
	s_load_dwordx4 s[44:47], s[0:1], 0x48
	v_lshrrev_b32_e32 v42, 6, v0
	v_bfe_u32 v1, v0, 4, 2
	v_lshl_or_b32 v6, v42, 2, v1
	v_and_b32_e32 v43, 15, v0
	v_lshlrev_b32_e32 v7, 3, v43
	v_cmp_gt_u32_e32 vcc, 2, v6
	v_cmp_gt_u32_e64 s[30:31], 8, v43
	s_lshl_b32 s29, s4, 1
	s_and_b64 s[12:13], s[30:31], vcc
	v_lshlrev_b32_e32 v26, 1, v7
	v_lshlrev_b32_e32 v40, 4, v0
	s_and_saveexec_b64 s[10:11], s[12:13]
	s_cbranch_execz .LBB865_11
; %bb.10:
	s_load_dwordx2 s[12:13], s[0:1], 0x0
	s_waitcnt lgkmcnt(0)
	s_ashr_i32 s18, s44, 31
	s_mul_hi_u32 s19, s5, s44
	s_mul_i32 s18, s5, s18
	s_add_i32 s19, s19, s18
	s_mul_i32 s18, s5, s44
	s_lshl_b64 s[18:19], s[18:19], 1
	s_add_u32 s12, s12, s18
	v_add_lshl_u32 v8, v1, s29, 6
	s_addc_u32 s13, s13, s19
	v_ashrrev_i32_e32 v9, 31, v8
	v_lshl_add_u64 v[8:9], v[8:9], 1, s[12:13]
	v_mov_b32_e32 v27, 0
	v_lshl_add_u64 v[8:9], v[8:9], 0, v[26:27]
	global_load_dwordx4 v[8:11], v[8:9], off
	v_lshlrev_b32_e32 v12, 8, v43
	v_lshlrev_b32_e32 v6, 5, v6
	v_and_b32_e32 v7, 16, v40
	v_and_b32_e32 v12, 0xe00, v12
	v_or3_b32 v6, v12, v6, v7
	s_waitcnt vmcnt(0)
	ds_write_b128 v6, v[8:11]
.LBB865_11:
	s_or_b64 exec, exec, s[10:11]
	s_waitcnt lgkmcnt(0)
	s_mul_i32 s10, s4, s46
	s_add_u32 s4, s14, s10
	s_addc_u32 s5, s15, 0
	v_mov_b32_e32 v29, 0
	v_mov_b64_e32 v[6:7], s[4:5]
	v_lshlrev_b32_e32 v10, 4, v43
	v_and_b32_e32 v27, 48, v0
	s_waitcnt vmcnt(3)
	v_mad_i64_i32 v[8:9], s[4:5], v5, s45, v[6:7]
	v_mov_b32_e32 v11, v29
	s_waitcnt vmcnt(2)
	v_mad_i64_i32 v[4:5], s[4:5], v4, s45, v[6:7]
	v_or_b32_e32 v12, 0x100, v10
	v_mov_b32_e32 v13, v29
	v_lshlrev_b32_e32 v28, 5, v27
	v_lshl_add_u64 v[8:9], v[8:9], 0, v[10:11]
	v_lshl_add_u64 v[4:5], v[4:5], 0, v[12:13]
	;; [unrolled: 1-line block ×4, first 2 shown]
	s_barrier
	global_load_dwordx4 v[22:25], v[8:9], off
	global_load_dwordx4 v[18:21], v[4:5], off
	s_waitcnt vmcnt(3)
	v_mad_i64_i32 v[4:5], s[4:5], v3, s45, v[6:7]
	v_lshl_add_u64 v[4:5], v[4:5], 0, v[10:11]
	s_waitcnt vmcnt(2)
	v_mad_i64_i32 v[2:3], s[4:5], v2, s45, v[6:7]
	v_lshl_add_u64 v[4:5], v[4:5], 0, v[28:29]
	v_lshl_add_u64 v[2:3], v[2:3], 0, v[12:13]
	;; [unrolled: 1-line block ×3, first 2 shown]
	global_load_dwordx4 v[14:17], v[4:5], off
	global_load_dwordx4 v[6:9], v[2:3], off
	v_and_b32_e32 v2, 1, v0
	v_lshlrev_b32_e32 v2, 5, v2
	v_lshl_or_b32 v2, v1, 9, v2
	ds_read_b128 v[10:13], v2
	ds_read_b128 v[2:5], v2 offset:16
	v_and_b32_e32 v41, 63, v0
	v_cmp_gt_u32_e32 vcc, 2, v43
	v_mov_b32_e32 v44, 0
	s_and_saveexec_b64 s[4:5], vcc
	s_cbranch_execz .LBB865_13
; %bb.12:
	s_load_dwordx2 s[12:13], s[0:1], 0x40
	v_or_b32_e32 v30, s29, v43
	v_ashrrev_i32_e32 v31, 31, v30
	s_waitcnt lgkmcnt(0)
	v_lshl_add_u64 v[30:31], v[30:31], 2, s[12:13]
	global_load_dword v44, v[30:31], off
.LBB865_13:
	s_or_b64 exec, exec, s[4:5]
	s_ashr_i32 s4, s16, 31
	v_or_b32_e32 v45, s16, v27
	s_lshr_b32 s4, s4, 27
	v_add_u32_e32 v27, s4, v45
	v_ashrrev_i32_e32 v27, 5, v27
	v_mov_b32_e32 v65, s17
	v_cmp_gt_i32_e32 vcc, s33, v45
	s_waitcnt vmcnt(3)
	v_cvt_pk_f32_fp8_sdwa v[32:33], v22 src0_sel:WORD_1
	s_waitcnt vmcnt(2)
	v_cvt_pk_f32_fp8_e32 v[48:49], v18
	v_cndmask_b32_e32 v30, v65, v27, vcc
	v_ashrrev_i32_e32 v31, 31, v30
	v_lshl_add_u64 v[30:31], v[30:31], 2, s[6:7]
	global_load_dword v72, v[30:31], off
	v_cvt_pk_f32_fp8_e32 v[30:31], v22
	v_cvt_pk_f32_fp8_sdwa v[50:51], v18 src0_sel:WORD_1
	v_or_b32_e32 v18, 64, v45
	v_cvt_pk_f32_fp8_e32 v[56:57], v20
	v_cvt_pk_f32_fp8_sdwa v[58:59], v20 src0_sel:WORD_1
	v_cvt_pk_f32_fp8_e32 v[60:61], v21
	v_cvt_pk_f32_fp8_sdwa v[62:63], v21 src0_sel:WORD_1
	v_or_b32_e32 v20, 0xc0, v45
	v_add_u32_e32 v21, s4, v18
	v_cvt_pk_f32_fp8_e32 v[52:53], v19
	v_cvt_pk_f32_fp8_sdwa v[54:55], v19 src0_sel:WORD_1
	v_or_b32_e32 v19, 0x80, v45
	v_add_u32_e32 v64, s4, v20
	v_ashrrev_i32_e32 v21, 5, v21
	v_cmp_gt_i32_e32 vcc, s33, v18
	v_cvt_pk_f32_fp8_e32 v[34:35], v23
	v_cvt_pk_f32_fp8_sdwa v[22:23], v23 src0_sel:WORD_1
	v_add_u32_e32 v45, s4, v19
	v_ashrrev_i32_e32 v67, 5, v64
	v_cndmask_b32_e32 v64, v65, v21, vcc
	v_cmp_gt_i32_e32 vcc, s33, v19
	v_cvt_pkrtz_f16_f32 v18, v30, v31
	v_cvt_pkrtz_f16_f32 v19, v32, v33
	v_cvt_pk_f32_fp8_e32 v[36:37], v24
	v_cvt_pk_f32_fp8_sdwa v[38:39], v24 src0_sel:WORD_1
	v_ashrrev_i32_e32 v45, 5, v45
	v_cvt_pkrtz_f16_f32 v30, v34, v35
	v_cvt_pkrtz_f16_f32 v31, v22, v23
	;; [unrolled: 1-line block ×4, first 2 shown]
	v_cvt_pk_f32_fp8_e32 v[46:47], v25
	v_cvt_pk_f32_fp8_sdwa v[24:25], v25 src0_sel:WORD_1
	v_cndmask_b32_e32 v66, v65, v45, vcc
	v_cmp_gt_i32_e32 vcc, s33, v20
	s_waitcnt lgkmcnt(1)
	v_mfma_f32_16x16x16_f16 v[18:21], v[18:19], v[10:11], 0
	v_cvt_pkrtz_f16_f32 v34, v36, v37
	v_cvt_pkrtz_f16_f32 v35, v38, v39
	v_cvt_pkrtz_f16_f32 v38, v52, v53
	v_cvt_pkrtz_f16_f32 v39, v54, v55
	v_cvt_pkrtz_f16_f32 v37, v24, v25
	v_mfma_f32_16x16x16_f16 v[22:25], v[22:23], v[10:11], 0
	s_add_u32 s4, s8, s10
	v_and_b32_e32 v28, 16, v0
	v_lshlrev_b32_e32 v27, 5, v43
	v_mfma_f32_16x16x16_f16 v[30:33], v[30:31], v[12:13], v[18:21]
	s_addc_u32 s5, s9, 0
	s_load_dword s11, s[0:1], 0x1c
	s_load_dwordx4 s[40:43], s[0:1], 0x80
	v_lshl_add_u64 v[70:71], s[4:5], 0, v[28:29]
	v_lshl_or_b32 v28, v42, 9, v27
	v_cvt_pkrtz_f16_f32 v36, v46, v47
	v_cvt_pkrtz_f16_f32 v46, v56, v57
	;; [unrolled: 1-line block ×3, first 2 shown]
	v_mfma_f32_16x16x16_f16 v[20:23], v[38:39], v[12:13], v[22:25]
	v_lshl_add_u64 v[18:19], v[70:71], 0, v[28:29]
	v_cndmask_b32_e32 v68, v65, v67, vcc
	v_ashrrev_i32_e32 v65, 31, v64
	s_waitcnt lgkmcnt(0)
	v_mfma_f32_16x16x16_f16 v[28:31], v[34:35], v[2:3], v[30:33]
	v_ashrrev_i32_e32 v67, 31, v66
	v_ashrrev_i32_e32 v69, 31, v68
	v_lshl_add_u64 v[24:25], v[64:65], 2, s[6:7]
	v_lshl_add_u64 v[32:33], v[66:67], 2, s[6:7]
	;; [unrolled: 1-line block ×3, first 2 shown]
	s_load_dword s4, s[40:41], 0x0
	v_mfma_f32_16x16x16_f16 v[20:23], v[46:47], v[2:3], v[20:23]
	global_load_dword v47, v[24:25], off
	global_load_dword v45, v[32:33], off
	;; [unrolled: 1-line block ×3, first 2 shown]
	s_waitcnt vmcnt(5)
	v_cvt_pk_f32_fp8_e32 v[24:25], v14
	v_cvt_pkrtz_f16_f32 v48, v60, v61
	v_mfma_f32_16x16x16_f16 v[32:35], v[36:37], v[4:5], v[28:31]
	v_cvt_pkrtz_f16_f32 v49, v62, v63
	v_cvt_pk_f32_fp8_e32 v[36:37], v15
	v_cvt_pkrtz_f16_f32 v24, v24, v25
	v_cvt_pk_f32_fp8_sdwa v[30:31], v14 src0_sel:WORD_1
	v_cvt_pk_f32_fp8_sdwa v[14:15], v15 src0_sel:WORD_1
	v_mov_b32_e32 v38, s11
	v_mfma_f32_16x16x16_f16 v[20:23], v[48:49], v[4:5], v[20:23]
	v_cvt_pkrtz_f16_f32 v25, v30, v31
	v_cvt_pkrtz_f16_f32 v30, v36, v37
	v_cvt_pk_f32_fp8_e32 v[48:49], v16
	v_cvt_pk_f32_fp8_sdwa v[52:53], v16 src0_sel:WORD_1
	v_cvt_pkrtz_f16_f32 v31, v14, v15
	s_waitcnt lgkmcnt(0)
	v_mul_f32_e32 v50, s4, v38
	v_mfma_f32_16x16x16_f16 v[36:39], v[24:25], v[10:11], 0
	v_cvt_pkrtz_f16_f32 v24, v48, v49
	v_cvt_pkrtz_f16_f32 v25, v52, v53
	v_cvt_pk_f32_fp8_e32 v[48:49], v17
	v_cvt_pk_f32_fp8_sdwa v[52:53], v17 src0_sel:WORD_1
	v_mfma_f32_16x16x16_f16 v[14:17], v[30:31], v[12:13], v[36:39]
	v_pk_mul_f32 v[30:31], v[50:51], v[34:35] op_sel_hi:[0,1]
	v_cvt_pkrtz_f16_f32 v34, v48, v49
	v_cvt_pkrtz_f16_f32 v35, v52, v53
	v_mfma_f32_16x16x16_f16 v[14:17], v[24:25], v[2:3], v[14:17]
	v_pk_mul_f32 v[36:37], v[50:51], v[32:33] op_sel_hi:[0,1]
	s_waitcnt vmcnt(4)
	v_cvt_pk_f32_fp8_e32 v[24:25], v6
	v_cvt_pk_f32_fp8_sdwa v[32:33], v6 src0_sel:WORD_1
	v_mfma_f32_16x16x16_f16 v[14:17], v[34:35], v[4:5], v[14:17]
	v_cvt_pk_f32_fp8_e32 v[34:35], v7
	v_cvt_pkrtz_f16_f32 v24, v24, v25
	v_cvt_pkrtz_f16_f32 v25, v32, v33
	v_cvt_pk_f32_fp8_sdwa v[6:7], v7 src0_sel:WORD_1
	v_cvt_pkrtz_f16_f32 v38, v34, v35
	v_cvt_pk_f32_fp8_e32 v[48:49], v8
	v_cvt_pk_f32_fp8_sdwa v[52:53], v8 src0_sel:WORD_1
	v_cvt_pkrtz_f16_f32 v39, v6, v7
	v_mfma_f32_16x16x16_f16 v[32:35], v[24:25], v[10:11], 0
	v_cvt_pkrtz_f16_f32 v10, v48, v49
	v_cvt_pkrtz_f16_f32 v11, v52, v53
	v_cvt_pk_f32_fp8_e32 v[24:25], v9
	v_cvt_pk_f32_fp8_sdwa v[48:49], v9 src0_sel:WORD_1
	v_mfma_f32_16x16x16_f16 v[6:9], v[38:39], v[12:13], v[32:35]
	v_pk_mul_f32 v[38:39], v[50:51], v[20:21] op_sel_hi:[0,1]
	v_cvt_pkrtz_f16_f32 v12, v24, v25
	v_cvt_pkrtz_f16_f32 v13, v48, v49
	v_mfma_f32_16x16x16_f16 v[6:9], v[10:11], v[2:3], v[6:9]
	v_pk_mul_f32 v[34:35], v[50:51], v[22:23] op_sel_hi:[0,1]
	v_pk_mul_f32 v[24:25], v[50:51], v[16:17] op_sel_hi:[0,1]
	;; [unrolled: 1-line block ×3, first 2 shown]
	v_mfma_f32_16x16x16_f16 v[2:5], v[12:13], v[4:5], v[6:9]
	s_waitcnt vmcnt(3)
	v_mad_i64_i32 v[28:29], s[4:5], v72, s45, v[18:19]
	s_mov_b32 s44, 0xff7fffff
	s_nop 3
	v_pk_mul_f32 v[22:23], v[50:51], v[2:3] op_sel_hi:[0,1]
	v_and_b32_e32 v2, 0xc0, v0
	v_add_u32_e32 v2, s16, v2
	v_lshl_or_b32 v2, v1, 2, v2
	v_or_b32_e32 v3, 1, v2
	v_pk_mul_f32 v[20:21], v[50:51], v[4:5] op_sel_hi:[0,1]
	v_subrev_u32_e32 v4, s33, v3
	v_add_u32_e32 v6, 1, v4
	v_add_u32_e32 v7, 2, v4
	;; [unrolled: 1-line block ×3, first 2 shown]
	v_cvt_f32_i32_e32 v6, v6
	v_cvt_f32_i32_e32 v7, v7
	;; [unrolled: 1-line block ×3, first 2 shown]
	v_add_u32_e32 v9, 19, v4
	v_fmac_f32_e32 v37, v44, v6
	v_fma_f32 v30, v44, v7, v30
	v_fmac_f32_e32 v31, v44, v8
	v_add_u32_e32 v6, 16, v4
	v_add_u32_e32 v7, 17, v4
	v_add_u32_e32 v8, 18, v4
	v_cvt_f32_i32_e32 v6, v6
	v_cvt_f32_i32_e32 v7, v7
	;; [unrolled: 1-line block ×4, first 2 shown]
	v_fma_f32 v38, v44, v6, v38
	v_fmac_f32_e32 v39, v44, v7
	v_fma_f32 v34, v44, v8, v34
	v_add_u32_e32 v6, 32, v4
	v_add_u32_e32 v7, 33, v4
	;; [unrolled: 1-line block ×3, first 2 shown]
	v_cvt_f32_i32_e32 v6, v6
	v_cvt_f32_i32_e32 v7, v7
	;; [unrolled: 1-line block ×4, first 2 shown]
	v_fmac_f32_e32 v35, v44, v9
	v_add_u32_e32 v9, 35, v4
	v_fma_f32 v48, v44, v6, v32
	v_fmac_f32_e32 v33, v44, v7
	v_fma_f32 v24, v44, v8, v24
	v_add_u32_e32 v6, 48, v4
	v_add_u32_e32 v7, 49, v4
	v_add_u32_e32 v8, 50, v4
	v_add_u32_e32 v4, 51, v4
	v_cvt_f32_i32_e32 v4, v4
	v_cvt_f32_i32_e32 v6, v6
	;; [unrolled: 1-line block ×3, first 2 shown]
	v_fma_f32 v5, v44, v5, v36
	v_fmac_f32_e32 v21, v44, v4
	v_mov_b32_e32 v4, 0xff7fffff
	v_cmp_gt_i32_e64 s[4:5], s33, v2
	v_cmp_gt_i32_e64 s[34:35], s33, v3
	v_fma_f32 v22, v44, v6, v22
	v_cndmask_b32_e64 v6, v4, v5, s[4:5]
	v_cndmask_b32_e64 v3, v4, v37, s[34:35]
	v_fmac_f32_e32 v23, v44, v7
	v_max3_f32 v3, v6, s44, v3
	v_or_b32_e32 v6, 2, v2
	v_or_b32_e32 v7, 3, v2
	v_cmp_gt_i32_e64 s[36:37], s33, v6
	v_cmp_gt_i32_e64 s[38:39], s33, v7
	v_cvt_f32_i32_e32 v9, v9
	v_cndmask_b32_e64 v6, v4, v30, s[36:37]
	v_cndmask_b32_e64 v7, v4, v31, s[38:39]
	v_max3_f32 v3, v3, v6, v7
	v_or_b32_e32 v6, 16, v2
	v_or_b32_e32 v7, 17, v2
	v_cmp_gt_i32_e64 s[24:25], s33, v6
	v_cmp_gt_i32_e64 s[26:27], s33, v7
	v_fmac_f32_e32 v25, v44, v9
	v_cndmask_b32_e64 v6, v4, v38, s[24:25]
	v_cndmask_b32_e64 v7, v4, v39, s[26:27]
	v_max3_f32 v3, v3, v6, v7
	v_or_b32_e32 v6, 18, v2
	v_or_b32_e32 v7, 19, v2
	v_cmp_gt_i32_e64 s[20:21], s33, v6
	v_cmp_gt_i32_e64 s[22:23], s33, v7
	v_cvt_f32_i32_e32 v8, v8
	v_cndmask_b32_e64 v6, v4, v34, s[20:21]
	v_cndmask_b32_e64 v7, v4, v35, s[22:23]
	v_max3_f32 v3, v3, v6, v7
	v_or_b32_e32 v6, 32, v2
	v_or_b32_e32 v7, 33, v2
	v_cmp_gt_i32_e64 s[16:17], s33, v6
	v_cmp_gt_i32_e64 s[18:19], s33, v7
	v_fma_f32 v20, v44, v8, v20
	v_cndmask_b32_e64 v6, v4, v48, s[16:17]
	v_cndmask_b32_e64 v7, v4, v33, s[18:19]
	v_max3_f32 v3, v3, v6, v7
	v_or_b32_e32 v6, 34, v2
	v_or_b32_e32 v7, 35, v2
	v_cmp_gt_i32_e64 s[12:13], s33, v6
	v_cmp_gt_i32_e64 s[14:15], s33, v7
	s_nop 0
	v_cndmask_b32_e64 v6, v4, v24, s[12:13]
	v_cndmask_b32_e64 v7, v4, v25, s[14:15]
	v_max3_f32 v3, v3, v6, v7
	v_or_b32_e32 v6, 48, v2
	v_or_b32_e32 v7, 49, v2
	v_cmp_gt_i32_e64 s[8:9], s33, v6
	v_cmp_gt_i32_e64 s[10:11], s33, v7
	s_nop 0
	v_cndmask_b32_e64 v6, v4, v22, s[8:9]
	v_cndmask_b32_e64 v7, v4, v23, s[10:11]
	v_max3_f32 v3, v3, v6, v7
	v_or_b32_e32 v6, 50, v2
	v_or_b32_e32 v2, 51, v2
	v_cmp_gt_i32_e32 vcc, s33, v6
	v_cmp_gt_i32_e64 s[6:7], s33, v2
	s_nop 0
	v_cndmask_b32_e32 v6, v4, v20, vcc
	v_cndmask_b32_e64 v2, v4, v21, s[6:7]
	v_max3_f32 v4, v3, v6, v2
	v_mbcnt_lo_u32_b32 v2, -1, 0
	v_mbcnt_hi_u32_b32 v6, -1, v2
	v_and_b32_e32 v2, 64, v6
	v_add_u32_e32 v7, 64, v2
	v_xor_b32_e32 v2, 32, v6
	v_cmp_lt_i32_e64 s[40:41], v2, v7
	s_nop 1
	v_cndmask_b32_e64 v2, v6, v2, s[40:41]
	v_lshlrev_b32_e32 v44, 2, v2
	ds_bpermute_b32 v8, v44, v4
	s_waitcnt vmcnt(2)
	v_mad_i64_i32 v[2:3], s[40:41], v47, s45, v[18:19]
	global_load_dwordx4 v[14:17], v[28:29], off
	global_load_dwordx4 v[10:13], v[2:3], off
	v_xor_b32_e32 v3, 16, v6
	v_cmp_lt_i32_e64 s[40:41], v3, v7
	s_waitcnt lgkmcnt(0)
	v_max_f32_e32 v2, v8, v8
	v_max_f32_e32 v2, v4, v2
	v_cndmask_b32_e64 v3, v6, v3, s[40:41]
	v_lshlrev_b32_e32 v47, 2, v3
	ds_bpermute_b32 v3, v47, v2
	s_waitcnt vmcnt(3)
	v_mad_i64_i32 v[28:29], s[40:41], v45, s45, v[18:19]
	s_waitcnt vmcnt(2)
	v_mad_i64_i32 v[18:19], s[40:41], v46, s45, v[18:19]
	s_waitcnt lgkmcnt(0)
	v_max_f32_e32 v3, v3, v3
	v_max_f32_e32 v32, v2, v3
	v_sub_f32_e32 v2, v5, v32
	v_mul_f32_e32 v2, 0x3fb8aa3b, v2
	v_exp_f32_e32 v36, v2
	v_sub_f32_e32 v2, v37, v32
	v_mul_f32_e32 v2, 0x3fb8aa3b, v2
	v_exp_f32_e32 v37, v2
	global_load_dwordx4 v[6:9], v[28:29], off
	global_load_dwordx4 v[2:5], v[18:19], off
	v_sub_f32_e32 v29, v30, v32
	v_sub_f32_e32 v30, v31, v32
	v_mul_f32_e32 v29, 0x3fb8aa3b, v29
	v_mul_f32_e32 v30, 0x3fb8aa3b, v30
	v_exp_f32_e32 v29, v29
	v_exp_f32_e32 v30, v30
	v_cndmask_b32_e64 v18, 0, v36, s[4:5]
	v_cndmask_b32_e64 v19, 0, v37, s[34:35]
	;; [unrolled: 1-line block ×4, first 2 shown]
	v_sub_f32_e32 v29, v38, v32
	v_sub_f32_e32 v30, v39, v32
	v_mul_f32_e32 v29, 0x3fb8aa3b, v29
	v_mul_f32_e32 v30, 0x3fb8aa3b, v30
	v_exp_f32_e32 v29, v29
	v_exp_f32_e32 v30, v30
	v_add_f32_e32 v28, 0, v18
	v_add_f32_e32 v28, v28, v19
	;; [unrolled: 1-line block ×4, first 2 shown]
	v_cndmask_b32_e64 v28, 0, v29, s[24:25]
	v_cndmask_b32_e64 v29, 0, v30, s[26:27]
	v_sub_f32_e32 v30, v34, v32
	v_mul_f32_e32 v30, 0x3fb8aa3b, v30
	v_exp_f32_e32 v30, v30
	v_sub_f32_e32 v34, v35, v32
	v_add_f32_e32 v31, v31, v28
	v_mul_f32_e32 v34, 0x3fb8aa3b, v34
	v_exp_f32_e32 v35, v34
	v_add_f32_e32 v31, v31, v29
	v_cndmask_b32_e64 v34, 0, v30, s[20:21]
	v_add_f32_e32 v30, v31, v34
	v_sub_f32_e32 v31, v48, v32
	v_mul_f32_e32 v31, 0x3fb8aa3b, v31
	v_sub_f32_e32 v33, v33, v32
	v_exp_f32_e32 v31, v31
	v_mul_f32_e32 v33, 0x3fb8aa3b, v33
	v_sub_f32_e32 v24, v24, v32
	v_exp_f32_e32 v33, v33
	;; [unrolled: 3-line block ×3, first 2 shown]
	v_mul_f32_e32 v25, 0x3fb8aa3b, v25
	v_sub_f32_e32 v22, v22, v32
	v_cndmask_b32_e64 v35, 0, v35, s[22:23]
	v_exp_f32_e32 v25, v25
	v_mul_f32_e32 v22, 0x3fb8aa3b, v22
	v_sub_f32_e32 v23, v23, v32
	v_add_f32_e32 v38, v30, v35
	v_cndmask_b32_e64 v30, 0, v31, s[16:17]
	v_exp_f32_e32 v22, v22
	v_mul_f32_e32 v23, 0x3fb8aa3b, v23
	v_sub_f32_e32 v20, v20, v32
	v_add_f32_e32 v38, v38, v30
	;; [unrolled: 5-line block ×3, first 2 shown]
	v_cndmask_b32_e64 v24, 0, v24, s[12:13]
	v_exp_f32_e32 v20, v20
	v_mul_f32_e32 v21, 0x3fb8aa3b, v21
	v_add_f32_e32 v33, v33, v24
	v_cndmask_b32_e64 v25, 0, v25, s[14:15]
	v_exp_f32_e32 v21, v21
	v_add_f32_e32 v33, v33, v25
	v_cndmask_b32_e64 v22, 0, v22, s[8:9]
	v_add_f32_e32 v33, v33, v22
	v_cndmask_b32_e64 v23, 0, v23, s[10:11]
	v_add_f32_e32 v33, v33, v23
	v_cndmask_b32_e32 v20, 0, v20, vcc
	v_add_f32_e32 v33, v33, v20
	v_cndmask_b32_e64 v21, 0, v21, s[6:7]
	v_add_f32_e32 v33, v33, v21
	ds_bpermute_b32 v38, v44, v33
	s_load_dword s7, s[0:1], 0x98
	v_cmp_gt_u32_e32 vcc, 16, v41
	s_waitcnt lgkmcnt(0)
	s_barrier
	v_add_f32_e32 v38, v33, v38
	ds_bpermute_b32 v39, v47, v38
	v_lshlrev_b32_e32 v33, 2, v43
	s_waitcnt lgkmcnt(0)
	s_and_saveexec_b64 s[4:5], vcc
	s_cbranch_execz .LBB865_15
; %bb.14:
	v_add_f32_e32 v38, v38, v39
	v_lshl_or_b32 v39, v42, 6, v33
	ds_write2st64_b32 v39, v32, v38 offset1:1
.LBB865_15:
	s_or_b64 exec, exec, s[4:5]
	s_load_dword s6, s[0:1], 0x94
	s_waitcnt lgkmcnt(0)
	s_barrier
	ds_read2_b32 v[38:39], v33 offset1:16
	ds_read2_b32 v[44:45], v33 offset0:32 offset1:48
	ds_read2_b32 v[46:47], v33 offset0:64 offset1:80
	s_lshl_b32 s7, s7, 1
	s_waitcnt lgkmcnt(2)
	v_max3_f32 v32, v38, s44, v39
	s_waitcnt lgkmcnt(1)
	v_max3_f32 v32, v32, v44, v45
	v_sub_f32_e32 v38, v38, v32
	v_mul_f32_e32 v38, 0x3fb8aa3b, v38
	v_exp_f32_e32 v43, v38
	v_sub_f32_e32 v38, v39, v32
	v_mul_f32_e32 v38, 0x3fb8aa3b, v38
	v_exp_f32_e32 v48, v38
	;; [unrolled: 3-line block ×3, first 2 shown]
	ds_read2_b32 v[38:39], v33 offset0:96 offset1:112
	v_sub_f32_e32 v33, v45, v32
	v_mul_f32_e32 v33, 0x3fb8aa3b, v33
	v_exp_f32_e32 v45, v33
	s_waitcnt lgkmcnt(1)
	v_fma_f32 v33, v43, v46, 0
	v_fmac_f32_e32 v33, v48, v47
	s_waitcnt lgkmcnt(0)
	v_fmac_f32_e32 v33, v44, v38
	v_fmac_f32_e32 v33, v45, v39
	v_add_f32_e32 v38, 0x358637bd, v33
	v_div_scale_f32 v39, s[4:5], v38, v38, 1.0
	v_rcp_f32_e32 v46, v39
	s_barrier
	v_fma_f32 v47, -v39, v46, 1.0
	v_fmac_f32_e32 v46, v47, v46
	v_div_scale_f32 v47, vcc, 1.0, v38, 1.0
	v_mul_f32_e32 v49, v47, v46
	v_fma_f32 v50, -v39, v49, v47
	v_fmac_f32_e32 v49, v50, v46
	v_fma_f32 v39, -v39, v49, v47
	v_div_fmas_f32 v39, v39, v46, v49
	v_cmp_eq_u32_e32 vcc, 1, v42
	v_div_fixup_f32 v38, v39, v38, 1.0
	s_nop 0
	v_cndmask_b32_e32 v39, v43, v48, vcc
	v_cmp_eq_u32_e32 vcc, 2, v42
	s_nop 1
	v_cndmask_b32_e32 v39, v39, v44, vcc
	v_cmp_eq_u32_e32 vcc, 3, v42
	s_nop 1
	v_cndmask_b32_e32 v39, v39, v45, vcc
	v_mul_f32_e32 v38, v39, v38
	v_pk_mul_f32 v[36:37], v[38:39], v[36:37] op_sel_hi:[0,1]
	v_pk_mul_f32 v[18:19], v[38:39], v[18:19] op_sel_hi:[0,1]
	v_cvt_f16_f32_e32 v39, v36
	v_cvt_f16_f32_e32 v37, v37
	;; [unrolled: 1-line block ×4, first 2 shown]
	v_cmp_gt_u32_e32 vcc, 2, v0
	v_pack_b32_f16 v37, v39, v37
	v_lshlrev_b32_e32 v39, 3, v1
	v_pack_b32_f16 v36, v18, v19
	v_pk_mul_f32 v[18:19], v[38:39], v[34:35] op_sel_hi:[0,1]
	v_pk_mul_f32 v[28:29], v[38:39], v[28:29] op_sel_hi:[0,1]
	v_cvt_f16_f32_e32 v28, v28
	v_cvt_f16_f32_e32 v29, v29
	;; [unrolled: 1-line block ×4, first 2 shown]
	v_lshlrev_b32_e32 v18, 11, v42
	v_or3_b32 v18, v18, v27, v39
	v_pack_b32_f16 v28, v28, v29
	v_pack_b32_f16 v29, v34, v19
	ds_write2st64_b64 v18, v[36:37], v[28:29] offset1:1
	v_pk_mul_f32 v[24:25], v[38:39], v[24:25] op_sel_hi:[0,1]
	v_pk_mul_f32 v[28:29], v[38:39], v[30:31] op_sel_hi:[0,1]
	;; [unrolled: 1-line block ×4, first 2 shown]
	v_cvt_f16_f32_e32 v19, v28
	v_cvt_f16_f32_e32 v28, v29
	;; [unrolled: 1-line block ×8, first 2 shown]
	v_pack_b32_f16 v20, v19, v28
	v_pack_b32_f16 v21, v24, v25
	;; [unrolled: 1-line block ×4, first 2 shown]
	ds_write2st64_b64 v18, v[20:21], v[22:23] offset0:2 offset1:3
	s_and_saveexec_b64 s[4:5], vcc
	s_cbranch_execz .LBB865_17
; %bb.16:
	v_or_b32_e32 v20, s29, v0
	v_mov_b32_e32 v21, 0
	v_mov_b32_e32 v19, s7
	v_mad_u64_u32 v[22:23], s[12:13], s2, v19, v[20:21]
	v_mov_b32_e32 v20, s28
	s_load_dwordx4 s[8:11], s[0:1], 0x58
	s_mul_i32 s3, s3, s7
	v_mad_u64_u32 v[20:21], s[12:13], v22, s6, v[20:21]
	v_add_u32_e32 v19, s3, v23
	v_mov_b32_e32 v22, v21
	v_mad_u64_u32 v[22:23], s[12:13], v19, s6, v[22:23]
	v_mov_b32_e32 v21, v22
	v_lshlrev_b64 v[20:21], 2, v[20:21]
	s_waitcnt lgkmcnt(0)
	v_lshl_add_u64 v[22:23], s[10:11], 0, v[20:21]
	v_lshl_add_u64 v[20:21], s[8:9], 0, v[20:21]
	global_store_dword v[22:23], v32, off
	global_store_dword v[20:21], v33, off
.LBB865_17:
	s_or_b64 exec, exec, s[4:5]
	s_waitcnt vmcnt(3)
	v_cvt_pk_f32_fp8_e32 v[20:21], v14
	v_cvt_pk_f32_fp8_sdwa v[22:23], v14 src0_sel:WORD_1
	v_lshl_or_b32 v14, v1, 9, v27
	s_waitcnt lgkmcnt(0)
	s_barrier
	v_cvt_pk_f32_fp8_e32 v[24:25], v15
	v_cvt_pkrtz_f16_f32 v32, v20, v21
	v_cvt_pkrtz_f16_f32 v33, v22, v23
	v_cvt_pk_f32_fp8_sdwa v[28:29], v15 src0_sel:WORD_1
	ds_read_b128 v[20:23], v14
	v_cvt_pkrtz_f16_f32 v24, v24, v25
	v_cvt_pk_f32_fp8_e32 v[36:37], v16
	v_cvt_pkrtz_f16_f32 v25, v28, v29
	ds_read_b128 v[28:31], v14 offset:16
	v_cvt_pk_f32_fp8_sdwa v[38:39], v16 src0_sel:WORD_1
	s_waitcnt lgkmcnt(1)
	v_mfma_f32_16x16x16_f16 v[32:35], v[32:33], v[20:21], 0
	v_cvt_pkrtz_f16_f32 v36, v36, v37
	s_load_dword s4, s[42:43], 0x0
	v_cvt_pkrtz_f16_f32 v37, v38, v39
	v_cvt_pk_f32_fp8_e32 v[38:39], v17
	v_cvt_pk_f32_fp8_sdwa v[16:17], v17 src0_sel:WORD_1
	v_mfma_f32_16x16x16_f16 v[20:23], v[24:25], v[22:23], v[32:35]
	v_cmp_gt_u32_e32 vcc, 64, v0
	v_cvt_pkrtz_f16_f32 v24, v38, v39
	v_cvt_pkrtz_f16_f32 v25, v16, v17
	s_waitcnt lgkmcnt(0)
	v_mfma_f32_16x16x16_f16 v[20:23], v[36:37], v[28:29], v[20:23]
	s_waitcnt vmcnt(2)
	v_cvt_pk_f32_fp8_e32 v[16:17], v10
	v_cvt_pk_f32_fp8_e32 v[28:29], v11
	v_cvt_pk_f32_fp8_sdwa v[36:37], v12 src0_sel:WORD_1
	v_mfma_f32_16x16x16_f16 v[20:23], v[24:25], v[30:31], v[20:23]
	v_cvt_pk_f32_fp8_sdwa v[24:25], v10 src0_sel:WORD_1
	v_cvt_pkrtz_f16_f32 v10, v16, v17
	v_cvt_pk_f32_fp8_sdwa v[16:17], v11 src0_sel:WORD_1
	ds_read_b128 v[32:35], v14 offset:2064
	v_cvt_pkrtz_f16_f32 v11, v24, v25
	v_cvt_pkrtz_f16_f32 v24, v28, v29
	ds_read_b128 v[28:31], v14 offset:2048
	v_cvt_pkrtz_f16_f32 v25, v16, v17
	v_cvt_pk_f32_fp8_e32 v[16:17], v12
	s_waitcnt lgkmcnt(0)
	v_mfma_f32_16x16x16_f16 v[20:23], v[10:11], v[28:29], v[20:23]
	v_cvt_pkrtz_f16_f32 v10, v16, v17
	v_cvt_pkrtz_f16_f32 v11, v36, v37
	v_cvt_pk_f32_fp8_e32 v[16:17], v13
	v_mfma_f32_16x16x16_f16 v[20:23], v[24:25], v[30:31], v[20:23]
	v_cvt_pk_f32_fp8_sdwa v[24:25], v13 src0_sel:WORD_1
	ds_read_b128 v[28:31], v14 offset:4112
	v_cvt_pkrtz_f16_f32 v16, v16, v17
	v_mfma_f32_16x16x16_f16 v[10:13], v[10:11], v[32:33], v[20:23]
	v_cvt_pkrtz_f16_f32 v17, v24, v25
	s_waitcnt vmcnt(1)
	v_cvt_pk_f32_fp8_sdwa v[24:25], v7 src0_sel:WORD_1
	v_cvt_pk_f32_fp8_sdwa v[32:33], v8 src0_sel:WORD_1
	v_cvt_pk_f32_fp8_e32 v[20:21], v6
	v_mfma_f32_16x16x16_f16 v[10:13], v[16:17], v[34:35], v[10:13]
	v_cvt_pk_f32_fp8_sdwa v[16:17], v6 src0_sel:WORD_1
	v_cvt_pk_f32_fp8_e32 v[22:23], v7
	v_cvt_pkrtz_f16_f32 v6, v20, v21
	s_mov_b32 s3, 0
	v_cvt_pkrtz_f16_f32 v7, v16, v17
	v_cvt_pkrtz_f16_f32 v16, v22, v23
	ds_read_b128 v[20:23], v14 offset:4096
	v_cvt_pkrtz_f16_f32 v17, v24, v25
	v_cvt_pk_f32_fp8_e32 v[24:25], v8
	s_waitcnt lgkmcnt(0)
	v_mfma_f32_16x16x16_f16 v[10:13], v[6:7], v[20:21], v[10:13]
	v_cvt_pkrtz_f16_f32 v6, v24, v25
	v_cvt_pkrtz_f16_f32 v7, v32, v33
	v_cvt_pk_f32_fp8_e32 v[20:21], v9
	v_mfma_f32_16x16x16_f16 v[10:13], v[16:17], v[22:23], v[10:13]
	v_cvt_pk_f32_fp8_sdwa v[16:17], v9 src0_sel:WORD_1
	s_waitcnt vmcnt(0)
	v_cvt_pk_f32_fp8_sdwa v[24:25], v4 src0_sel:WORD_1
	v_cvt_pkrtz_f16_f32 v20, v20, v21
	v_mfma_f32_16x16x16_f16 v[6:9], v[6:7], v[28:29], v[10:13]
	v_cvt_pkrtz_f16_f32 v21, v16, v17
	v_cvt_pk_f32_fp8_e32 v[16:17], v3
	v_mov_b32_e32 v27, 0
	v_cvt_pk_f32_fp8_e32 v[10:11], v2
	v_cvt_pk_f32_fp8_sdwa v[12:13], v2 src0_sel:WORD_1
	v_mfma_f32_16x16x16_f16 v[6:9], v[20:21], v[30:31], v[6:9]
	v_cvt_pk_f32_fp8_sdwa v[20:21], v3 src0_sel:WORD_1
	v_cvt_pkrtz_f16_f32 v2, v10, v11
	v_cvt_pkrtz_f16_f32 v3, v12, v13
	ds_read_b128 v[10:13], v14 offset:6144
	v_cvt_pkrtz_f16_f32 v22, v16, v17
	v_cvt_pkrtz_f16_f32 v23, v20, v21
	v_cvt_pk_f32_fp8_e32 v[20:21], v4
	s_waitcnt lgkmcnt(0)
	v_mfma_f32_16x16x16_f16 v[6:9], v[2:3], v[10:11], v[6:9]
	ds_read_b128 v[14:17], v14 offset:6160
	v_cvt_pkrtz_f16_f32 v2, v20, v21
	v_cvt_pkrtz_f16_f32 v3, v24, v25
	v_cvt_pk_f32_fp8_e32 v[10:11], v5
	v_mfma_f32_16x16x16_f16 v[6:9], v[22:23], v[12:13], v[6:9]
	v_cvt_pk_f32_fp8_sdwa v[12:13], v5 src0_sel:WORD_1
	s_waitcnt lgkmcnt(0)
	v_cvt_pkrtz_f16_f32 v10, v10, v11
	v_mfma_f32_16x16x16_f16 v[2:5], v[2:3], v[14:15], v[6:9]
	v_cvt_pkrtz_f16_f32 v11, v12, v13
	s_barrier
	s_nop 0
	v_mfma_f32_16x16x16_f16 v[2:5], v[10:11], v[16:17], v[2:5]
	s_nop 6
	v_pk_mul_f32 v[4:5], v[4:5], s[4:5] op_sel_hi:[1,0]
	v_pk_mul_f32 v[2:3], v[2:3], s[4:5] op_sel_hi:[1,0]
	v_cvt_f16_f32_e32 v4, v4
	v_cvt_f16_f32_e32 v2, v2
	;; [unrolled: 1-line block ×4, first 2 shown]
	v_cmp_gt_u32_e64 s[4:5], 32, v41
	s_and_b64 s[4:5], s[4:5], vcc
	v_pack_b32_f16 v2, v2, v3
	v_pack_b32_f16 v3, v4, v5
	s_and_b64 s[4:5], s[4:5], s[30:31]
	ds_write_b64 v18, v[2:3]
	s_waitcnt lgkmcnt(0)
	s_barrier
	s_and_saveexec_b64 s[8:9], s[4:5]
	s_cbranch_execz .LBB865_19
; %bb.18:
	s_load_dwordx2 s[0:1], s[0:1], 0x68
	s_mul_i32 s2, s7, s2
	s_lshl_b32 s6, s6, 6
	s_mul_hi_u32 s5, s2, s6
	s_mul_i32 s4, s2, s6
	v_lshlrev_b32_e32 v0, 10, v0
	s_lshl_b64 s[4:5], s[4:5], 1
	v_and_b32_e32 v0, 0x1800, v0
	v_lshlrev_b32_e32 v2, 5, v1
	v_and_b32_e32 v3, 16, v40
	s_waitcnt lgkmcnt(0)
	s_add_u32 s4, s0, s4
	v_or3_b32 v0, v0, v2, v3
	s_addc_u32 s5, s1, s5
	s_lshl_b32 s2, s28, 6
	ds_read_b128 v[2:5], v0
	s_lshl_b64 s[0:1], s[2:3], 1
	s_add_u32 s0, s4, s0
	v_or_b32_e32 v0, s29, v1
	s_addc_u32 s1, s5, s1
	v_mad_u64_u32 v[0:1], s[2:3], s6, v0, 0
	v_lshl_add_u64 v[0:1], v[0:1], 1, s[0:1]
	v_lshl_add_u64 v[0:1], v[0:1], 0, v[26:27]
	s_waitcnt lgkmcnt(0)
	global_store_dwordx4 v[0:1], v[2:5], off
.LBB865_19:
	s_endpgm
	.section	.rodata,"a",@progbits
	.p2align	6, 0x0
	.amdhsa_kernel _Z39paged_attention_ll4mi_QKV_mfma16_kernelIDF16_hLN4vllm18Fp8KVCacheDataTypeE1EhLi32ELi64ELi256ELb1ELi2EEvPKT_PKT0_S7_ifPKiS9_S9_iPKfiiiPfSC_PS2_PT2_iSB_SB_
		.amdhsa_group_segment_fixed_size 8192
		.amdhsa_private_segment_fixed_size 0
		.amdhsa_kernarg_size 400
		.amdhsa_user_sgpr_count 2
		.amdhsa_user_sgpr_dispatch_ptr 0
		.amdhsa_user_sgpr_queue_ptr 0
		.amdhsa_user_sgpr_kernarg_segment_ptr 1
		.amdhsa_user_sgpr_dispatch_id 0
		.amdhsa_user_sgpr_kernarg_preload_length 0
		.amdhsa_user_sgpr_kernarg_preload_offset 0
		.amdhsa_user_sgpr_private_segment_size 0
		.amdhsa_uses_dynamic_stack 0
		.amdhsa_enable_private_segment 0
		.amdhsa_system_sgpr_workgroup_id_x 1
		.amdhsa_system_sgpr_workgroup_id_y 1
		.amdhsa_system_sgpr_workgroup_id_z 1
		.amdhsa_system_sgpr_workgroup_info 0
		.amdhsa_system_vgpr_workitem_id 0
		.amdhsa_next_free_vgpr 73
		.amdhsa_next_free_sgpr 48
		.amdhsa_accum_offset 76
		.amdhsa_reserve_vcc 1
		.amdhsa_float_round_mode_32 0
		.amdhsa_float_round_mode_16_64 0
		.amdhsa_float_denorm_mode_32 3
		.amdhsa_float_denorm_mode_16_64 3
		.amdhsa_dx10_clamp 1
		.amdhsa_ieee_mode 1
		.amdhsa_fp16_overflow 0
		.amdhsa_tg_split 0
		.amdhsa_exception_fp_ieee_invalid_op 0
		.amdhsa_exception_fp_denorm_src 0
		.amdhsa_exception_fp_ieee_div_zero 0
		.amdhsa_exception_fp_ieee_overflow 0
		.amdhsa_exception_fp_ieee_underflow 0
		.amdhsa_exception_fp_ieee_inexact 0
		.amdhsa_exception_int_div_zero 0
	.end_amdhsa_kernel
	.section	.text._Z39paged_attention_ll4mi_QKV_mfma16_kernelIDF16_hLN4vllm18Fp8KVCacheDataTypeE1EhLi32ELi64ELi256ELb1ELi2EEvPKT_PKT0_S7_ifPKiS9_S9_iPKfiiiPfSC_PS2_PT2_iSB_SB_,"axG",@progbits,_Z39paged_attention_ll4mi_QKV_mfma16_kernelIDF16_hLN4vllm18Fp8KVCacheDataTypeE1EhLi32ELi64ELi256ELb1ELi2EEvPKT_PKT0_S7_ifPKiS9_S9_iPKfiiiPfSC_PS2_PT2_iSB_SB_,comdat
.Lfunc_end865:
	.size	_Z39paged_attention_ll4mi_QKV_mfma16_kernelIDF16_hLN4vllm18Fp8KVCacheDataTypeE1EhLi32ELi64ELi256ELb1ELi2EEvPKT_PKT0_S7_ifPKiS9_S9_iPKfiiiPfSC_PS2_PT2_iSB_SB_, .Lfunc_end865-_Z39paged_attention_ll4mi_QKV_mfma16_kernelIDF16_hLN4vllm18Fp8KVCacheDataTypeE1EhLi32ELi64ELi256ELb1ELi2EEvPKT_PKT0_S7_ifPKiS9_S9_iPKfiiiPfSC_PS2_PT2_iSB_SB_
                                        ; -- End function
	.section	.AMDGPU.csdata,"",@progbits
; Kernel info:
; codeLenInByte = 4860
; NumSgprs: 54
; NumVgprs: 73
; NumAgprs: 0
; TotalNumVgprs: 73
; ScratchSize: 0
; MemoryBound: 0
; FloatMode: 240
; IeeeMode: 1
; LDSByteSize: 8192 bytes/workgroup (compile time only)
; SGPRBlocks: 6
; VGPRBlocks: 9
; NumSGPRsForWavesPerEU: 54
; NumVGPRsForWavesPerEU: 73
; AccumOffset: 76
; Occupancy: 6
; WaveLimiterHint : 1
; COMPUTE_PGM_RSRC2:SCRATCH_EN: 0
; COMPUTE_PGM_RSRC2:USER_SGPR: 2
; COMPUTE_PGM_RSRC2:TRAP_HANDLER: 0
; COMPUTE_PGM_RSRC2:TGID_X_EN: 1
; COMPUTE_PGM_RSRC2:TGID_Y_EN: 1
; COMPUTE_PGM_RSRC2:TGID_Z_EN: 1
; COMPUTE_PGM_RSRC2:TIDIG_COMP_CNT: 0
; COMPUTE_PGM_RSRC3_GFX90A:ACCUM_OFFSET: 18
; COMPUTE_PGM_RSRC3_GFX90A:TG_SPLIT: 0
	.section	.text._Z39paged_attention_ll4mi_QKV_mfma16_kernelIDF16_hLN4vllm18Fp8KVCacheDataTypeE1EhLi32ELi64ELi256ELb1ELi3EEvPKT_PKT0_S7_ifPKiS9_S9_iPKfiiiPfSC_PS2_PT2_iSB_SB_,"axG",@progbits,_Z39paged_attention_ll4mi_QKV_mfma16_kernelIDF16_hLN4vllm18Fp8KVCacheDataTypeE1EhLi32ELi64ELi256ELb1ELi3EEvPKT_PKT0_S7_ifPKiS9_S9_iPKfiiiPfSC_PS2_PT2_iSB_SB_,comdat
	.protected	_Z39paged_attention_ll4mi_QKV_mfma16_kernelIDF16_hLN4vllm18Fp8KVCacheDataTypeE1EhLi32ELi64ELi256ELb1ELi3EEvPKT_PKT0_S7_ifPKiS9_S9_iPKfiiiPfSC_PS2_PT2_iSB_SB_ ; -- Begin function _Z39paged_attention_ll4mi_QKV_mfma16_kernelIDF16_hLN4vllm18Fp8KVCacheDataTypeE1EhLi32ELi64ELi256ELb1ELi3EEvPKT_PKT0_S7_ifPKiS9_S9_iPKfiiiPfSC_PS2_PT2_iSB_SB_
	.globl	_Z39paged_attention_ll4mi_QKV_mfma16_kernelIDF16_hLN4vllm18Fp8KVCacheDataTypeE1EhLi32ELi64ELi256ELb1ELi3EEvPKT_PKT0_S7_ifPKiS9_S9_iPKfiiiPfSC_PS2_PT2_iSB_SB_
	.p2align	8
	.type	_Z39paged_attention_ll4mi_QKV_mfma16_kernelIDF16_hLN4vllm18Fp8KVCacheDataTypeE1EhLi32ELi64ELi256ELb1ELi3EEvPKT_PKT0_S7_ifPKiS9_S9_iPKfiiiPfSC_PS2_PT2_iSB_SB_,@function
_Z39paged_attention_ll4mi_QKV_mfma16_kernelIDF16_hLN4vllm18Fp8KVCacheDataTypeE1EhLi32ELi64ELi256ELb1ELi3EEvPKT_PKT0_S7_ifPKiS9_S9_iPKfiiiPfSC_PS2_PT2_iSB_SB_: ; @_Z39paged_attention_ll4mi_QKV_mfma16_kernelIDF16_hLN4vllm18Fp8KVCacheDataTypeE1EhLi32ELi64ELi256ELb1ELi3EEvPKT_PKT0_S7_ifPKiS9_S9_iPKfiiiPfSC_PS2_PT2_iSB_SB_
; %bb.0:
	s_load_dwordx2 s[6:7], s[0:1], 0x30
	s_mov_b32 s28, s3
	s_mov_b64 s[8:9], 0
	s_waitcnt lgkmcnt(0)
	s_cmp_lg_u64 s[6:7], 0
	s_cselect_b64 s[10:11], -1, 0
	s_and_b64 vcc, exec, s[10:11]
	s_cbranch_vccz .LBB866_7
; %bb.1:
	s_add_i32 s12, s2, 1
	s_mov_b32 s13, 0
	s_lshl_b64 s[14:15], s[12:13], 2
	s_add_u32 s14, s6, s14
	s_mov_b32 s3, s13
	s_addc_u32 s15, s7, s15
	s_lshl_b64 s[12:13], s[2:3], 2
	s_add_u32 s12, s6, s12
	s_addc_u32 s13, s7, s13
	s_load_dword s5, s[14:15], 0x0
	s_load_dword s16, s[12:13], 0x0
	s_waitcnt lgkmcnt(0)
	s_sub_i32 s5, s5, s16
	s_cmp_eq_u32 s5, 1
	s_cselect_b64 s[12:13], -1, 0
	s_andn2_b64 vcc, exec, s[8:9]
	s_cbranch_vccnz .LBB866_3
.LBB866_2:
	s_mov_b32 s3, 0
	s_mov_b64 s[12:13], -1
.LBB866_3:
	s_andn2_b64 vcc, exec, s[12:13]
	s_cbranch_vccnz .LBB866_19
; %bb.4:
	s_load_dwordx2 s[8:9], s[0:1], 0x28
	s_lshl_b64 s[12:13], s[2:3], 2
	s_waitcnt lgkmcnt(0)
	s_add_u32 s8, s8, s12
	s_addc_u32 s9, s9, s13
	s_load_dword s29, s[8:9], 0x0
	s_lshl_b32 s16, s28, 8
	s_waitcnt lgkmcnt(0)
	s_cmp_ge_i32 s16, s29
	s_cbranch_scc1 .LBB866_19
; %bb.5:
	s_load_dwordx2 s[8:9], s[0:1], 0x20
	s_load_dword s5, s[0:1], 0x38
	s_add_i32 s14, s29, 31
	s_ashr_i32 s15, s14, 31
	v_and_b32_e32 v1, 0xcf, v0
	s_lshr_b32 s15, s15, 27
	v_add_u32_e32 v1, s16, v1
	s_add_i32 s14, s14, s15
	v_ashrrev_i32_e32 v2, 31, v1
	s_ashr_i32 s17, s14, 5
	v_lshrrev_b32_e32 v4, 27, v2
	s_add_i32 s17, s17, -1
	s_waitcnt lgkmcnt(0)
	s_mul_i32 s14, s2, s5
	s_mov_b32 s15, 0
	v_add_u32_e32 v2, v1, v4
	s_lshl_b64 s[14:15], s[14:15], 2
	v_ashrrev_i32_e32 v2, 5, v2
	v_mov_b32_e32 v5, s17
	v_cmp_gt_i32_e32 vcc, s29, v1
	s_add_u32 s8, s8, s14
	s_addc_u32 s9, s9, s15
	v_cndmask_b32_e32 v2, v5, v2, vcc
	v_ashrrev_i32_e32 v3, 31, v2
	v_lshl_add_u64 v[6:7], v[2:3], 2, s[8:9]
	v_or_b32_e32 v2, 16, v1
	v_add_u32_e32 v3, v2, v4
	v_ashrrev_i32_e32 v3, 5, v3
	v_cmp_gt_i32_e32 vcc, s29, v2
	s_load_dwordx2 s[14:15], s[0:1], 0x8
	s_nop 0
	v_cndmask_b32_e32 v2, v5, v3, vcc
	v_ashrrev_i32_e32 v3, 31, v2
	v_lshl_add_u64 v[8:9], v[2:3], 2, s[8:9]
	v_or_b32_e32 v2, 32, v1
	v_add_u32_e32 v3, v2, v4
	v_ashrrev_i32_e32 v3, 5, v3
	v_cmp_gt_i32_e32 vcc, s29, v2
	v_or_b32_e32 v1, 48, v1
	s_nop 0
	v_cndmask_b32_e32 v2, v5, v3, vcc
	v_ashrrev_i32_e32 v3, 31, v2
	v_lshl_add_u64 v[10:11], v[2:3], 2, s[8:9]
	v_add_u32_e32 v2, v1, v4
	v_ashrrev_i32_e32 v2, 5, v2
	v_cmp_gt_i32_e32 vcc, s29, v1
	s_nop 1
	v_cndmask_b32_e32 v2, v5, v2, vcc
	v_ashrrev_i32_e32 v3, 31, v2
	v_lshl_add_u64 v[12:13], v[2:3], 2, s[8:9]
	global_load_dword v5, v[6:7], off
	global_load_dword v4, v[8:9], off
	global_load_dword v3, v[10:11], off
	global_load_dword v2, v[12:13], off
	s_andn2_b64 vcc, exec, s[10:11]
	s_cbranch_vccnz .LBB866_8
; %bb.6:
	s_add_u32 s6, s6, s12
	s_addc_u32 s7, s7, s13
	s_load_dword s5, s[6:7], 0x0
	s_branch .LBB866_9
.LBB866_7:
	s_mov_b64 s[12:13], 0
	s_branch .LBB866_2
.LBB866_8:
	s_mov_b32 s5, s2
.LBB866_9:
	s_load_dwordx2 s[10:11], s[0:1], 0x10
	s_load_dwordx4 s[44:47], s[0:1], 0x48
	v_lshrrev_b32_e32 v29, 6, v0
	v_bfe_u32 v42, v0, 4, 2
	v_lshl_or_b32 v6, v29, 2, v42
	v_and_b32_e32 v28, 15, v0
	s_mul_i32 s48, s4, 3
	v_lshlrev_b32_e32 v7, 3, v28
	v_cmp_gt_u32_e32 vcc, 3, v6
	v_cmp_gt_u32_e64 s[30:31], 8, v28
	v_add_u32_e32 v1, s48, v42
	s_and_b64 s[12:13], s[30:31], vcc
	v_lshlrev_b32_e32 v26, 1, v7
	v_lshlrev_b32_e32 v43, 4, v0
	s_and_saveexec_b64 s[6:7], s[12:13]
	s_cbranch_execz .LBB866_11
; %bb.10:
	s_load_dwordx2 s[12:13], s[0:1], 0x0
	s_waitcnt lgkmcnt(0)
	s_ashr_i32 s18, s44, 31
	s_mul_hi_u32 s19, s5, s44
	s_mul_i32 s18, s5, s18
	s_add_i32 s19, s19, s18
	s_mul_i32 s18, s5, s44
	s_lshl_b64 s[18:19], s[18:19], 1
	s_add_u32 s12, s12, s18
	v_lshlrev_b32_e32 v8, 6, v1
	s_addc_u32 s13, s13, s19
	v_ashrrev_i32_e32 v9, 31, v8
	v_lshl_add_u64 v[8:9], v[8:9], 1, s[12:13]
	v_mov_b32_e32 v27, 0
	v_lshl_add_u64 v[8:9], v[8:9], 0, v[26:27]
	global_load_dwordx4 v[8:11], v[8:9], off
	v_lshlrev_b32_e32 v12, 8, v28
	v_lshlrev_b32_e32 v6, 5, v6
	v_and_b32_e32 v7, 16, v43
	v_and_b32_e32 v12, 0xe00, v12
	v_or3_b32 v6, v12, v6, v7
	s_waitcnt vmcnt(0)
	ds_write_b128 v6, v[8:11]
.LBB866_11:
	s_or_b64 exec, exec, s[6:7]
	s_waitcnt lgkmcnt(0)
	s_mul_i32 s12, s4, s46
	s_add_u32 s4, s14, s12
	s_addc_u32 s5, s15, 0
	v_mov_b32_e32 v31, 0
	v_mov_b64_e32 v[6:7], s[4:5]
	v_lshlrev_b32_e32 v10, 4, v28
	v_and_b32_e32 v27, 48, v0
	s_waitcnt vmcnt(3)
	v_mad_i64_i32 v[8:9], s[4:5], v5, s45, v[6:7]
	v_mov_b32_e32 v11, v31
	s_waitcnt vmcnt(2)
	v_mad_i64_i32 v[4:5], s[4:5], v4, s45, v[6:7]
	v_or_b32_e32 v12, 0x100, v10
	v_mov_b32_e32 v13, v31
	v_lshlrev_b32_e32 v30, 5, v27
	v_lshl_add_u64 v[8:9], v[8:9], 0, v[10:11]
	v_lshl_add_u64 v[4:5], v[4:5], 0, v[12:13]
	;; [unrolled: 1-line block ×4, first 2 shown]
	s_barrier
	global_load_dwordx4 v[22:25], v[8:9], off
	global_load_dwordx4 v[18:21], v[4:5], off
	s_waitcnt vmcnt(3)
	v_mad_i64_i32 v[4:5], s[4:5], v3, s45, v[6:7]
	v_lshl_add_u64 v[4:5], v[4:5], 0, v[10:11]
	s_waitcnt vmcnt(2)
	v_mad_i64_i32 v[2:3], s[4:5], v2, s45, v[6:7]
	v_lshl_add_u64 v[4:5], v[4:5], 0, v[30:31]
	v_lshl_add_u64 v[2:3], v[2:3], 0, v[12:13]
	;; [unrolled: 1-line block ×3, first 2 shown]
	global_load_dwordx4 v[14:17], v[4:5], off
	global_load_dwordx4 v[6:9], v[2:3], off
	v_mul_lo_u16_e32 v2, 0x56, v28
	v_mov_b32_e32 v3, 3
	v_mul_lo_u16_sdwa v2, v2, v3 dst_sel:DWORD dst_unused:UNUSED_PAD src0_sel:BYTE_1 src1_sel:DWORD
	v_sub_u16_e32 v2, v28, v2
	v_mov_b32_e32 v3, 5
	v_lshlrev_b32_sdwa v2, v3, v2 dst_sel:DWORD dst_unused:UNUSED_PAD src0_sel:DWORD src1_sel:BYTE_0
	v_lshl_add_u32 v2, v42, 9, v2
	ds_read_b128 v[10:13], v2
	ds_read_b128 v[2:5], v2 offset:16
	v_and_b32_e32 v44, 63, v0
	v_cmp_gt_u32_e32 vcc, 3, v28
	v_mov_b32_e32 v45, 0
	s_and_saveexec_b64 s[4:5], vcc
	s_cbranch_execz .LBB866_13
; %bb.12:
	s_load_dwordx2 s[6:7], s[0:1], 0x40
	v_add_u32_e32 v32, s48, v28
	v_ashrrev_i32_e32 v33, 31, v32
	s_waitcnt lgkmcnt(0)
	v_lshl_add_u64 v[32:33], v[32:33], 2, s[6:7]
	global_load_dword v45, v[32:33], off
.LBB866_13:
	s_or_b64 exec, exec, s[4:5]
	s_ashr_i32 s4, s16, 31
	v_or_b32_e32 v64, s16, v27
	s_lshr_b32 s13, s4, 27
	v_add_u32_e32 v27, s13, v64
	v_ashrrev_i32_e32 v27, 5, v27
	s_waitcnt vmcnt(3)
	v_cvt_pk_f32_fp8_e32 v[32:33], v22
	v_cvt_pk_f32_fp8_sdwa v[34:35], v22 src0_sel:WORD_1
	s_waitcnt vmcnt(2)
	v_cvt_pk_f32_fp8_e32 v[56:57], v20
	v_cvt_pk_f32_fp8_sdwa v[58:59], v20 src0_sel:WORD_1
	v_mov_b32_e32 v20, s17
	v_cmp_gt_i32_e32 vcc, s29, v64
	v_cvt_pk_f32_fp8_e32 v[48:49], v18
	v_cvt_pk_f32_fp8_sdwa v[50:51], v18 src0_sel:WORD_1
	v_cndmask_b32_e32 v18, v20, v27, vcc
	v_cvt_pk_f32_fp8_e32 v[52:53], v19
	v_cvt_pk_f32_fp8_sdwa v[54:55], v19 src0_sel:WORD_1
	v_ashrrev_i32_e32 v19, 31, v18
	v_lshl_add_u64 v[18:19], v[18:19], 2, s[8:9]
	v_cvt_pk_f32_fp8_e32 v[36:37], v23
	v_cvt_pk_f32_fp8_sdwa v[22:23], v23 src0_sel:WORD_1
	global_load_dword v70, v[18:19], off
	v_cvt_pkrtz_f16_f32 v18, v32, v33
	v_cvt_pkrtz_f16_f32 v19, v34, v35
	v_cvt_pk_f32_fp8_e32 v[60:61], v21
	v_cvt_pk_f32_fp8_sdwa v[62:63], v21 src0_sel:WORD_1
	v_or_b32_e32 v21, 64, v64
	v_or_b32_e32 v32, 0x80, v64
	;; [unrolled: 1-line block ×3, first 2 shown]
	v_cmp_gt_i32_e32 vcc, s29, v21
	v_add_u32_e32 v21, s13, v21
	v_cmp_gt_i32_e64 s[4:5], s29, v32
	v_add_u32_e32 v32, s13, v32
	v_cmp_gt_i32_e64 s[6:7], s29, v33
	v_add_u32_e32 v33, s13, v33
	v_cvt_pk_f32_fp8_e32 v[38:39], v24
	v_cvt_pk_f32_fp8_sdwa v[40:41], v24 src0_sel:WORD_1
	v_ashrrev_i32_e32 v21, 5, v21
	v_ashrrev_i32_e32 v34, 5, v32
	;; [unrolled: 1-line block ×3, first 2 shown]
	v_cvt_pkrtz_f16_f32 v32, v36, v37
	v_cvt_pkrtz_f16_f32 v33, v22, v23
	v_cndmask_b32_e32 v36, v20, v21, vcc
	v_cndmask_b32_e64 v64, v20, v34, s[4:5]
	v_cndmask_b32_e64 v66, v20, v35, s[6:7]
	s_waitcnt lgkmcnt(1)
	v_mfma_f32_16x16x16_f16 v[18:21], v[18:19], v[10:11], 0
	v_cvt_pk_f32_fp8_e32 v[46:47], v25
	v_cvt_pkrtz_f16_f32 v22, v48, v49
	v_cvt_pkrtz_f16_f32 v23, v50, v51
	v_cvt_pk_f32_fp8_sdwa v[24:25], v25 src0_sel:WORD_1
	v_cvt_pkrtz_f16_f32 v38, v38, v39
	v_cvt_pkrtz_f16_f32 v39, v40, v41
	v_mfma_f32_16x16x16_f16 v[32:35], v[32:33], v[12:13], v[18:21]
	s_add_u32 s10, s10, s12
	v_and_b32_e32 v30, 16, v0
	v_lshlrev_b32_e32 v27, 5, v28
	s_addc_u32 s11, s11, 0
	v_cvt_pkrtz_f16_f32 v68, v46, v47
	v_cvt_pkrtz_f16_f32 v46, v52, v53
	v_cvt_pkrtz_f16_f32 v47, v54, v55
	s_load_dword s14, s[0:1], 0x1c
	s_load_dwordx4 s[40:43], s[0:1], 0x80
	v_lshl_add_u64 v[40:41], s[10:11], 0, v[30:31]
	v_lshl_or_b32 v30, v29, 9, v27
	v_cvt_pkrtz_f16_f32 v69, v24, v25
	v_mfma_f32_16x16x16_f16 v[22:25], v[22:23], v[10:11], 0
	v_lshl_add_u64 v[18:19], v[40:41], 0, v[30:31]
	v_ashrrev_i32_e32 v37, 31, v36
	v_ashrrev_i32_e32 v65, 31, v64
	s_waitcnt lgkmcnt(0)
	v_mfma_f32_16x16x16_f16 v[30:33], v[38:39], v[2:3], v[32:35]
	v_ashrrev_i32_e32 v67, 31, v66
	v_cvt_pkrtz_f16_f32 v50, v56, v57
	v_cvt_pkrtz_f16_f32 v51, v58, v59
	v_mfma_f32_16x16x16_f16 v[20:23], v[46:47], v[12:13], v[22:25]
	v_lshl_add_u64 v[34:35], v[64:65], 2, s[8:9]
	s_load_dword s4, s[40:41], 0x0
	v_cvt_pkrtz_f16_f32 v52, v60, v61
	v_lshl_add_u64 v[24:25], v[36:37], 2, s[8:9]
	v_lshl_add_u64 v[36:37], v[66:67], 2, s[8:9]
	global_load_dword v48, v[24:25], off
	global_load_dword v46, v[34:35], off
	;; [unrolled: 1-line block ×3, first 2 shown]
	v_mfma_f32_16x16x16_f16 v[34:37], v[68:69], v[4:5], v[30:33]
	s_waitcnt vmcnt(5)
	v_cvt_pk_f32_fp8_e32 v[24:25], v14
	v_cvt_pkrtz_f16_f32 v53, v62, v63
	v_cvt_pk_f32_fp8_e32 v[38:39], v15
	v_cvt_pk_f32_fp8_sdwa v[32:33], v14 src0_sel:WORD_1
	v_mfma_f32_16x16x16_f16 v[20:23], v[50:51], v[2:3], v[20:23]
	v_cvt_pkrtz_f16_f32 v24, v24, v25
	v_cvt_pk_f32_fp8_sdwa v[14:15], v15 src0_sel:WORD_1
	v_cvt_pkrtz_f16_f32 v25, v32, v33
	v_mov_b32_e32 v40, s14
	v_mfma_f32_16x16x16_f16 v[20:23], v[52:53], v[4:5], v[20:23]
	v_cvt_pkrtz_f16_f32 v32, v38, v39
	v_cvt_pk_f32_fp8_e32 v[52:53], v16
	v_cvt_pk_f32_fp8_sdwa v[54:55], v16 src0_sel:WORD_1
	v_cvt_pkrtz_f16_f32 v33, v14, v15
	s_waitcnt lgkmcnt(0)
	v_mul_f32_e32 v50, s4, v40
	v_mfma_f32_16x16x16_f16 v[38:41], v[24:25], v[10:11], 0
	v_cvt_pkrtz_f16_f32 v24, v52, v53
	v_cvt_pkrtz_f16_f32 v25, v54, v55
	v_cvt_pk_f32_fp8_e32 v[52:53], v17
	v_cvt_pk_f32_fp8_sdwa v[54:55], v17 src0_sel:WORD_1
	v_mfma_f32_16x16x16_f16 v[14:17], v[32:33], v[12:13], v[38:41]
	v_pk_mul_f32 v[32:33], v[50:51], v[36:37] op_sel_hi:[0,1]
	v_cvt_pkrtz_f16_f32 v36, v52, v53
	v_cvt_pkrtz_f16_f32 v37, v54, v55
	v_mfma_f32_16x16x16_f16 v[14:17], v[24:25], v[2:3], v[14:17]
	v_pk_mul_f32 v[38:39], v[50:51], v[34:35] op_sel_hi:[0,1]
	s_waitcnt vmcnt(4)
	v_cvt_pk_f32_fp8_e32 v[24:25], v6
	v_cvt_pk_f32_fp8_sdwa v[34:35], v6 src0_sel:WORD_1
	v_mfma_f32_16x16x16_f16 v[14:17], v[36:37], v[4:5], v[14:17]
	v_cvt_pk_f32_fp8_e32 v[36:37], v7
	v_cvt_pkrtz_f16_f32 v24, v24, v25
	v_cvt_pkrtz_f16_f32 v25, v34, v35
	v_cvt_pk_f32_fp8_sdwa v[6:7], v7 src0_sel:WORD_1
	v_cvt_pkrtz_f16_f32 v40, v36, v37
	v_cvt_pk_f32_fp8_e32 v[52:53], v8
	v_cvt_pk_f32_fp8_sdwa v[54:55], v8 src0_sel:WORD_1
	v_cvt_pkrtz_f16_f32 v41, v6, v7
	v_mfma_f32_16x16x16_f16 v[34:37], v[24:25], v[10:11], 0
	v_cvt_pkrtz_f16_f32 v10, v52, v53
	v_cvt_pkrtz_f16_f32 v11, v54, v55
	v_cvt_pk_f32_fp8_e32 v[24:25], v9
	v_cvt_pk_f32_fp8_sdwa v[52:53], v9 src0_sel:WORD_1
	v_mfma_f32_16x16x16_f16 v[6:9], v[40:41], v[12:13], v[34:37]
	v_pk_mul_f32 v[40:41], v[50:51], v[20:21] op_sel_hi:[0,1]
	v_cvt_pkrtz_f16_f32 v12, v24, v25
	v_cvt_pkrtz_f16_f32 v13, v52, v53
	v_mfma_f32_16x16x16_f16 v[6:9], v[10:11], v[2:3], v[6:9]
	v_pk_mul_f32 v[36:37], v[50:51], v[22:23] op_sel_hi:[0,1]
	v_pk_mul_f32 v[24:25], v[50:51], v[16:17] op_sel_hi:[0,1]
	;; [unrolled: 1-line block ×3, first 2 shown]
	v_mfma_f32_16x16x16_f16 v[2:5], v[12:13], v[4:5], v[6:9]
	s_waitcnt vmcnt(3)
	v_mad_i64_i32 v[30:31], s[4:5], v70, s45, v[18:19]
	s_mov_b32 s33, 0xff7fffff
	s_nop 3
	v_pk_mul_f32 v[22:23], v[50:51], v[2:3] op_sel_hi:[0,1]
	v_and_b32_e32 v2, 0xc0, v0
	v_add_u32_e32 v2, s16, v2
	v_lshl_or_b32 v2, v42, 2, v2
	v_or_b32_e32 v3, 1, v2
	v_pk_mul_f32 v[20:21], v[50:51], v[4:5] op_sel_hi:[0,1]
	v_subrev_u32_e32 v4, s29, v3
	v_add_u32_e32 v6, 1, v4
	v_add_u32_e32 v7, 2, v4
	;; [unrolled: 1-line block ×3, first 2 shown]
	v_cvt_f32_i32_e32 v6, v6
	v_cvt_f32_i32_e32 v7, v7
	;; [unrolled: 1-line block ×3, first 2 shown]
	v_add_u32_e32 v9, 19, v4
	v_fmac_f32_e32 v39, v45, v6
	v_fma_f32 v32, v45, v7, v32
	v_fmac_f32_e32 v33, v45, v8
	v_add_u32_e32 v6, 16, v4
	v_add_u32_e32 v7, 17, v4
	v_add_u32_e32 v8, 18, v4
	v_cvt_f32_i32_e32 v6, v6
	v_cvt_f32_i32_e32 v7, v7
	;; [unrolled: 1-line block ×4, first 2 shown]
	v_fma_f32 v40, v45, v6, v40
	v_fmac_f32_e32 v41, v45, v7
	v_fma_f32 v36, v45, v8, v36
	v_add_u32_e32 v6, 32, v4
	v_add_u32_e32 v7, 33, v4
	;; [unrolled: 1-line block ×3, first 2 shown]
	v_cvt_f32_i32_e32 v6, v6
	v_cvt_f32_i32_e32 v7, v7
	;; [unrolled: 1-line block ×4, first 2 shown]
	v_fmac_f32_e32 v37, v45, v9
	v_add_u32_e32 v9, 35, v4
	v_fma_f32 v49, v45, v6, v34
	v_fmac_f32_e32 v35, v45, v7
	v_fma_f32 v24, v45, v8, v24
	v_add_u32_e32 v6, 48, v4
	v_add_u32_e32 v7, 49, v4
	;; [unrolled: 1-line block ×4, first 2 shown]
	v_cvt_f32_i32_e32 v4, v4
	v_cvt_f32_i32_e32 v6, v6
	;; [unrolled: 1-line block ×3, first 2 shown]
	v_fma_f32 v5, v45, v5, v38
	v_fmac_f32_e32 v21, v45, v4
	v_mov_b32_e32 v4, 0xff7fffff
	v_cmp_gt_i32_e64 s[4:5], s29, v2
	v_cmp_gt_i32_e64 s[34:35], s29, v3
	v_fma_f32 v22, v45, v6, v22
	v_cndmask_b32_e64 v6, v4, v5, s[4:5]
	v_cndmask_b32_e64 v3, v4, v39, s[34:35]
	v_fmac_f32_e32 v23, v45, v7
	v_max3_f32 v3, v6, s33, v3
	v_or_b32_e32 v6, 2, v2
	v_or_b32_e32 v7, 3, v2
	v_cmp_gt_i32_e64 s[36:37], s29, v6
	v_cmp_gt_i32_e64 s[38:39], s29, v7
	v_cvt_f32_i32_e32 v9, v9
	v_cndmask_b32_e64 v6, v4, v32, s[36:37]
	v_cndmask_b32_e64 v7, v4, v33, s[38:39]
	v_max3_f32 v3, v3, v6, v7
	v_or_b32_e32 v6, 16, v2
	v_or_b32_e32 v7, 17, v2
	v_cmp_gt_i32_e64 s[24:25], s29, v6
	v_cmp_gt_i32_e64 s[26:27], s29, v7
	v_fmac_f32_e32 v25, v45, v9
	v_cndmask_b32_e64 v6, v4, v40, s[24:25]
	v_cndmask_b32_e64 v7, v4, v41, s[26:27]
	v_max3_f32 v3, v3, v6, v7
	v_or_b32_e32 v6, 18, v2
	v_or_b32_e32 v7, 19, v2
	v_cmp_gt_i32_e64 s[20:21], s29, v6
	v_cmp_gt_i32_e64 s[22:23], s29, v7
	v_cvt_f32_i32_e32 v8, v8
	v_cndmask_b32_e64 v6, v4, v36, s[20:21]
	v_cndmask_b32_e64 v7, v4, v37, s[22:23]
	v_max3_f32 v3, v3, v6, v7
	v_or_b32_e32 v6, 32, v2
	v_or_b32_e32 v7, 33, v2
	v_cmp_gt_i32_e64 s[16:17], s29, v6
	v_cmp_gt_i32_e64 s[18:19], s29, v7
	v_fma_f32 v20, v45, v8, v20
	v_cndmask_b32_e64 v6, v4, v49, s[16:17]
	v_cndmask_b32_e64 v7, v4, v35, s[18:19]
	v_max3_f32 v3, v3, v6, v7
	v_or_b32_e32 v6, 34, v2
	v_or_b32_e32 v7, 35, v2
	v_cmp_gt_i32_e64 s[12:13], s29, v6
	v_cmp_gt_i32_e64 s[14:15], s29, v7
	s_nop 0
	v_cndmask_b32_e64 v6, v4, v24, s[12:13]
	v_cndmask_b32_e64 v7, v4, v25, s[14:15]
	v_max3_f32 v3, v3, v6, v7
	v_or_b32_e32 v6, 48, v2
	v_or_b32_e32 v7, 49, v2
	v_cmp_gt_i32_e64 s[8:9], s29, v6
	v_cmp_gt_i32_e64 s[10:11], s29, v7
	s_nop 0
	v_cndmask_b32_e64 v6, v4, v22, s[8:9]
	v_cndmask_b32_e64 v7, v4, v23, s[10:11]
	v_max3_f32 v3, v3, v6, v7
	v_or_b32_e32 v6, 50, v2
	v_or_b32_e32 v2, 51, v2
	v_cmp_gt_i32_e32 vcc, s29, v6
	v_cmp_gt_i32_e64 s[6:7], s29, v2
	s_nop 0
	v_cndmask_b32_e32 v6, v4, v20, vcc
	v_cndmask_b32_e64 v2, v4, v21, s[6:7]
	v_max3_f32 v4, v3, v6, v2
	v_mbcnt_lo_u32_b32 v2, -1, 0
	v_mbcnt_hi_u32_b32 v6, -1, v2
	v_and_b32_e32 v2, 64, v6
	v_add_u32_e32 v7, 64, v2
	v_xor_b32_e32 v2, 32, v6
	v_cmp_lt_i32_e64 s[40:41], v2, v7
	s_nop 1
	v_cndmask_b32_e64 v2, v6, v2, s[40:41]
	v_lshlrev_b32_e32 v45, 2, v2
	ds_bpermute_b32 v8, v45, v4
	s_waitcnt vmcnt(2)
	v_mad_i64_i32 v[2:3], s[40:41], v48, s45, v[18:19]
	global_load_dwordx4 v[14:17], v[30:31], off
	global_load_dwordx4 v[10:13], v[2:3], off
	v_xor_b32_e32 v3, 16, v6
	v_cmp_lt_i32_e64 s[40:41], v3, v7
	s_waitcnt lgkmcnt(0)
	v_max_f32_e32 v2, v8, v8
	v_max_f32_e32 v2, v4, v2
	v_cndmask_b32_e64 v3, v6, v3, s[40:41]
	v_lshlrev_b32_e32 v48, 2, v3
	ds_bpermute_b32 v3, v48, v2
	s_waitcnt vmcnt(3)
	v_mad_i64_i32 v[30:31], s[40:41], v46, s45, v[18:19]
	s_waitcnt vmcnt(2)
	v_mad_i64_i32 v[18:19], s[40:41], v47, s45, v[18:19]
	s_waitcnt lgkmcnt(0)
	v_max_f32_e32 v3, v3, v3
	v_max_f32_e32 v34, v2, v3
	v_sub_f32_e32 v2, v5, v34
	v_mul_f32_e32 v2, 0x3fb8aa3b, v2
	v_exp_f32_e32 v38, v2
	v_sub_f32_e32 v2, v39, v34
	v_mul_f32_e32 v2, 0x3fb8aa3b, v2
	v_exp_f32_e32 v39, v2
	global_load_dwordx4 v[6:9], v[30:31], off
	global_load_dwordx4 v[2:5], v[18:19], off
	v_sub_f32_e32 v31, v32, v34
	v_sub_f32_e32 v32, v33, v34
	v_mul_f32_e32 v31, 0x3fb8aa3b, v31
	v_mul_f32_e32 v32, 0x3fb8aa3b, v32
	v_exp_f32_e32 v31, v31
	v_exp_f32_e32 v32, v32
	v_cndmask_b32_e64 v18, 0, v38, s[4:5]
	v_cndmask_b32_e64 v19, 0, v39, s[34:35]
	;; [unrolled: 1-line block ×4, first 2 shown]
	v_sub_f32_e32 v31, v40, v34
	v_sub_f32_e32 v32, v41, v34
	v_mul_f32_e32 v31, 0x3fb8aa3b, v31
	v_mul_f32_e32 v32, 0x3fb8aa3b, v32
	v_exp_f32_e32 v31, v31
	v_exp_f32_e32 v32, v32
	v_add_f32_e32 v30, 0, v18
	v_add_f32_e32 v30, v30, v19
	;; [unrolled: 1-line block ×4, first 2 shown]
	v_cndmask_b32_e64 v30, 0, v31, s[24:25]
	v_cndmask_b32_e64 v31, 0, v32, s[26:27]
	v_sub_f32_e32 v32, v36, v34
	v_mul_f32_e32 v32, 0x3fb8aa3b, v32
	v_exp_f32_e32 v32, v32
	v_sub_f32_e32 v36, v37, v34
	v_add_f32_e32 v33, v33, v30
	v_mul_f32_e32 v36, 0x3fb8aa3b, v36
	v_exp_f32_e32 v37, v36
	v_add_f32_e32 v33, v33, v31
	v_cndmask_b32_e64 v36, 0, v32, s[20:21]
	v_add_f32_e32 v32, v33, v36
	v_sub_f32_e32 v33, v49, v34
	v_mul_f32_e32 v33, 0x3fb8aa3b, v33
	v_sub_f32_e32 v35, v35, v34
	v_exp_f32_e32 v33, v33
	v_mul_f32_e32 v35, 0x3fb8aa3b, v35
	v_sub_f32_e32 v24, v24, v34
	v_exp_f32_e32 v35, v35
	;; [unrolled: 3-line block ×3, first 2 shown]
	v_mul_f32_e32 v25, 0x3fb8aa3b, v25
	v_sub_f32_e32 v22, v22, v34
	v_cndmask_b32_e64 v37, 0, v37, s[22:23]
	v_exp_f32_e32 v25, v25
	v_mul_f32_e32 v22, 0x3fb8aa3b, v22
	v_sub_f32_e32 v23, v23, v34
	v_add_f32_e32 v40, v32, v37
	v_cndmask_b32_e64 v32, 0, v33, s[16:17]
	v_exp_f32_e32 v22, v22
	v_mul_f32_e32 v23, 0x3fb8aa3b, v23
	v_sub_f32_e32 v20, v20, v34
	v_add_f32_e32 v40, v40, v32
	;; [unrolled: 5-line block ×3, first 2 shown]
	v_cndmask_b32_e64 v24, 0, v24, s[12:13]
	v_exp_f32_e32 v20, v20
	v_mul_f32_e32 v21, 0x3fb8aa3b, v21
	v_add_f32_e32 v35, v35, v24
	v_cndmask_b32_e64 v25, 0, v25, s[14:15]
	v_exp_f32_e32 v21, v21
	v_add_f32_e32 v35, v35, v25
	v_cndmask_b32_e64 v22, 0, v22, s[8:9]
	v_add_f32_e32 v35, v35, v22
	v_cndmask_b32_e64 v23, 0, v23, s[10:11]
	v_add_f32_e32 v35, v35, v23
	v_cndmask_b32_e32 v20, 0, v20, vcc
	v_add_f32_e32 v35, v35, v20
	v_cndmask_b32_e64 v21, 0, v21, s[6:7]
	v_add_f32_e32 v35, v35, v21
	ds_bpermute_b32 v40, v45, v35
	s_load_dword s7, s[0:1], 0x98
	v_cmp_gt_u32_e32 vcc, 16, v44
	s_waitcnt lgkmcnt(0)
	s_barrier
	v_add_f32_e32 v40, v35, v40
	ds_bpermute_b32 v41, v48, v40
	v_lshlrev_b32_e32 v35, 2, v28
	s_waitcnt lgkmcnt(0)
	s_and_saveexec_b64 s[4:5], vcc
	s_cbranch_execz .LBB866_15
; %bb.14:
	v_add_f32_e32 v40, v40, v41
	v_lshl_or_b32 v41, v29, 6, v35
	ds_write2st64_b32 v41, v34, v40 offset1:1
.LBB866_15:
	s_or_b64 exec, exec, s[4:5]
	s_load_dword s6, s[0:1], 0x94
	s_waitcnt lgkmcnt(0)
	s_barrier
	ds_read2_b32 v[40:41], v35 offset1:16
	ds_read2_b32 v[44:45], v35 offset0:32 offset1:48
	ds_read2_b32 v[46:47], v35 offset0:64 offset1:80
	s_mul_i32 s7, s7, 3
	s_waitcnt lgkmcnt(2)
	v_max3_f32 v34, v40, s33, v41
	s_waitcnt lgkmcnt(1)
	v_max3_f32 v34, v34, v44, v45
	v_sub_f32_e32 v40, v40, v34
	v_mul_f32_e32 v40, 0x3fb8aa3b, v40
	v_exp_f32_e32 v48, v40
	v_sub_f32_e32 v40, v41, v34
	v_mul_f32_e32 v40, 0x3fb8aa3b, v40
	v_exp_f32_e32 v49, v40
	v_sub_f32_e32 v40, v44, v34
	v_mul_f32_e32 v40, 0x3fb8aa3b, v40
	v_exp_f32_e32 v44, v40
	ds_read2_b32 v[40:41], v35 offset0:96 offset1:112
	v_sub_f32_e32 v35, v45, v34
	v_mul_f32_e32 v35, 0x3fb8aa3b, v35
	v_exp_f32_e32 v45, v35
	s_waitcnt lgkmcnt(1)
	v_fma_f32 v35, v48, v46, 0
	v_fmac_f32_e32 v35, v49, v47
	s_waitcnt lgkmcnt(0)
	v_fmac_f32_e32 v35, v44, v40
	v_fmac_f32_e32 v35, v45, v41
	v_add_f32_e32 v40, 0x358637bd, v35
	v_div_scale_f32 v41, s[4:5], v40, v40, 1.0
	v_rcp_f32_e32 v46, v41
	s_barrier
	v_fma_f32 v47, -v41, v46, 1.0
	v_fmac_f32_e32 v46, v47, v46
	v_div_scale_f32 v47, vcc, 1.0, v40, 1.0
	v_mul_f32_e32 v50, v47, v46
	v_fma_f32 v51, -v41, v50, v47
	v_fmac_f32_e32 v50, v51, v46
	v_fma_f32 v41, -v41, v50, v47
	v_div_fmas_f32 v41, v41, v46, v50
	v_cmp_eq_u32_e32 vcc, 1, v29
	v_div_fixup_f32 v40, v41, v40, 1.0
	s_nop 0
	v_cndmask_b32_e32 v41, v48, v49, vcc
	v_cmp_eq_u32_e32 vcc, 2, v29
	s_nop 1
	v_cndmask_b32_e32 v41, v41, v44, vcc
	v_cmp_eq_u32_e32 vcc, 3, v29
	s_nop 1
	v_cndmask_b32_e32 v41, v41, v45, vcc
	v_mul_f32_e32 v40, v41, v40
	v_pk_mul_f32 v[38:39], v[40:41], v[38:39] op_sel_hi:[0,1]
	v_pk_mul_f32 v[18:19], v[40:41], v[18:19] op_sel_hi:[0,1]
	v_cvt_f16_f32_e32 v41, v38
	v_cvt_f16_f32_e32 v39, v39
	v_cvt_f16_f32_e32 v18, v18
	v_cvt_f16_f32_e32 v19, v19
	v_cmp_gt_u32_e32 vcc, 3, v0
	v_pack_b32_f16 v39, v41, v39
	v_lshlrev_b32_e32 v41, 3, v42
	v_pack_b32_f16 v38, v18, v19
	v_pk_mul_f32 v[18:19], v[40:41], v[36:37] op_sel_hi:[0,1]
	v_pk_mul_f32 v[30:31], v[40:41], v[30:31] op_sel_hi:[0,1]
	v_cvt_f16_f32_e32 v30, v30
	v_cvt_f16_f32_e32 v31, v31
	;; [unrolled: 1-line block ×4, first 2 shown]
	v_lshlrev_b32_e32 v18, 11, v29
	v_or3_b32 v18, v18, v27, v41
	v_pack_b32_f16 v30, v30, v31
	v_pack_b32_f16 v31, v36, v19
	ds_write2st64_b64 v18, v[38:39], v[30:31] offset1:1
	v_pk_mul_f32 v[24:25], v[40:41], v[24:25] op_sel_hi:[0,1]
	v_pk_mul_f32 v[30:31], v[40:41], v[32:33] op_sel_hi:[0,1]
	v_pk_mul_f32 v[20:21], v[40:41], v[20:21] op_sel_hi:[0,1]
	v_pk_mul_f32 v[22:23], v[40:41], v[22:23] op_sel_hi:[0,1]
	v_cvt_f16_f32_e32 v19, v30
	v_cvt_f16_f32_e32 v29, v31
	;; [unrolled: 1-line block ×8, first 2 shown]
	v_pack_b32_f16 v20, v19, v29
	v_pack_b32_f16 v21, v24, v25
	;; [unrolled: 1-line block ×4, first 2 shown]
	ds_write2st64_b64 v18, v[20:21], v[22:23] offset0:2 offset1:3
	s_and_saveexec_b64 s[4:5], vcc
	s_cbranch_execz .LBB866_17
; %bb.16:
	s_mov_b32 s49, 0
	v_mov_b32_e32 v29, 0
	v_lshl_add_u64 v[20:21], s[48:49], 0, v[28:29]
	v_mov_b32_e32 v19, s7
	v_mad_u64_u32 v[20:21], s[12:13], s2, v19, v[20:21]
	s_mul_i32 s3, s3, s7
	v_mov_b32_e32 v28, s28
	s_load_dwordx4 s[8:11], s[0:1], 0x58
	v_add_u32_e32 v19, s3, v21
	v_mad_u64_u32 v[20:21], s[12:13], v20, s6, v[28:29]
	v_mov_b32_e32 v22, v21
	v_mad_u64_u32 v[22:23], s[12:13], v19, s6, v[22:23]
	v_mov_b32_e32 v21, v22
	v_lshlrev_b64 v[20:21], 2, v[20:21]
	s_waitcnt lgkmcnt(0)
	v_lshl_add_u64 v[22:23], s[10:11], 0, v[20:21]
	v_lshl_add_u64 v[20:21], s[8:9], 0, v[20:21]
	global_store_dword v[22:23], v34, off
	global_store_dword v[20:21], v35, off
.LBB866_17:
	s_or_b64 exec, exec, s[4:5]
	s_waitcnt vmcnt(3)
	v_cvt_pk_f32_fp8_e32 v[20:21], v14
	v_cvt_pk_f32_fp8_sdwa v[22:23], v14 src0_sel:WORD_1
	v_lshl_or_b32 v14, v42, 9, v27
	s_waitcnt lgkmcnt(0)
	s_barrier
	v_cvt_pk_f32_fp8_e32 v[24:25], v15
	v_cvt_pkrtz_f16_f32 v32, v20, v21
	v_cvt_pkrtz_f16_f32 v33, v22, v23
	v_cvt_pk_f32_fp8_sdwa v[28:29], v15 src0_sel:WORD_1
	ds_read_b128 v[20:23], v14
	v_cvt_pkrtz_f16_f32 v24, v24, v25
	v_cvt_pk_f32_fp8_e32 v[36:37], v16
	v_cvt_pkrtz_f16_f32 v25, v28, v29
	ds_read_b128 v[28:31], v14 offset:16
	v_cvt_pk_f32_fp8_sdwa v[38:39], v16 src0_sel:WORD_1
	s_waitcnt lgkmcnt(1)
	v_mfma_f32_16x16x16_f16 v[32:35], v[32:33], v[20:21], 0
	v_cvt_pkrtz_f16_f32 v36, v36, v37
	s_load_dword s4, s[42:43], 0x0
	v_cvt_pkrtz_f16_f32 v37, v38, v39
	v_cvt_pk_f32_fp8_e32 v[38:39], v17
	v_cvt_pk_f32_fp8_sdwa v[16:17], v17 src0_sel:WORD_1
	v_mfma_f32_16x16x16_f16 v[20:23], v[24:25], v[22:23], v[32:35]
	v_cmp_gt_u32_e32 vcc, 64, v0
	v_cvt_pkrtz_f16_f32 v24, v38, v39
	v_cvt_pkrtz_f16_f32 v25, v16, v17
	s_waitcnt lgkmcnt(0)
	v_mfma_f32_16x16x16_f16 v[20:23], v[36:37], v[28:29], v[20:23]
	s_waitcnt vmcnt(2)
	v_cvt_pk_f32_fp8_e32 v[16:17], v10
	v_cvt_pk_f32_fp8_e32 v[28:29], v11
	v_cvt_pk_f32_fp8_sdwa v[36:37], v12 src0_sel:WORD_1
	v_mfma_f32_16x16x16_f16 v[20:23], v[24:25], v[30:31], v[20:23]
	v_cvt_pk_f32_fp8_sdwa v[24:25], v10 src0_sel:WORD_1
	v_cvt_pkrtz_f16_f32 v10, v16, v17
	v_cvt_pk_f32_fp8_sdwa v[16:17], v11 src0_sel:WORD_1
	ds_read_b128 v[32:35], v14 offset:2064
	v_cvt_pkrtz_f16_f32 v11, v24, v25
	v_cvt_pkrtz_f16_f32 v24, v28, v29
	ds_read_b128 v[28:31], v14 offset:2048
	v_cvt_pkrtz_f16_f32 v25, v16, v17
	v_cvt_pk_f32_fp8_e32 v[16:17], v12
	s_waitcnt lgkmcnt(0)
	v_mfma_f32_16x16x16_f16 v[20:23], v[10:11], v[28:29], v[20:23]
	v_cvt_pkrtz_f16_f32 v10, v16, v17
	v_cvt_pkrtz_f16_f32 v11, v36, v37
	v_cvt_pk_f32_fp8_e32 v[16:17], v13
	v_mfma_f32_16x16x16_f16 v[20:23], v[24:25], v[30:31], v[20:23]
	v_cvt_pk_f32_fp8_sdwa v[24:25], v13 src0_sel:WORD_1
	ds_read_b128 v[28:31], v14 offset:4112
	v_cvt_pkrtz_f16_f32 v16, v16, v17
	v_mfma_f32_16x16x16_f16 v[10:13], v[10:11], v[32:33], v[20:23]
	v_cvt_pkrtz_f16_f32 v17, v24, v25
	s_waitcnt vmcnt(1)
	v_cvt_pk_f32_fp8_sdwa v[24:25], v7 src0_sel:WORD_1
	v_cvt_pk_f32_fp8_sdwa v[32:33], v8 src0_sel:WORD_1
	v_cvt_pk_f32_fp8_e32 v[20:21], v6
	v_mfma_f32_16x16x16_f16 v[10:13], v[16:17], v[34:35], v[10:13]
	v_cvt_pk_f32_fp8_sdwa v[16:17], v6 src0_sel:WORD_1
	v_cvt_pk_f32_fp8_e32 v[22:23], v7
	v_cvt_pkrtz_f16_f32 v6, v20, v21
	s_mov_b32 s3, 0
	v_cvt_pkrtz_f16_f32 v7, v16, v17
	v_cvt_pkrtz_f16_f32 v16, v22, v23
	ds_read_b128 v[20:23], v14 offset:4096
	v_cvt_pkrtz_f16_f32 v17, v24, v25
	v_cvt_pk_f32_fp8_e32 v[24:25], v8
	s_waitcnt lgkmcnt(0)
	v_mfma_f32_16x16x16_f16 v[10:13], v[6:7], v[20:21], v[10:13]
	v_cvt_pkrtz_f16_f32 v6, v24, v25
	v_cvt_pkrtz_f16_f32 v7, v32, v33
	v_cvt_pk_f32_fp8_e32 v[20:21], v9
	v_mfma_f32_16x16x16_f16 v[10:13], v[16:17], v[22:23], v[10:13]
	v_cvt_pk_f32_fp8_sdwa v[16:17], v9 src0_sel:WORD_1
	s_waitcnt vmcnt(0)
	v_cvt_pk_f32_fp8_sdwa v[24:25], v4 src0_sel:WORD_1
	v_cvt_pkrtz_f16_f32 v20, v20, v21
	v_mfma_f32_16x16x16_f16 v[6:9], v[6:7], v[28:29], v[10:13]
	v_cvt_pkrtz_f16_f32 v21, v16, v17
	v_cvt_pk_f32_fp8_e32 v[16:17], v3
	v_mov_b32_e32 v27, 0
	v_cvt_pk_f32_fp8_e32 v[10:11], v2
	v_cvt_pk_f32_fp8_sdwa v[12:13], v2 src0_sel:WORD_1
	v_mfma_f32_16x16x16_f16 v[6:9], v[20:21], v[30:31], v[6:9]
	v_cvt_pk_f32_fp8_sdwa v[20:21], v3 src0_sel:WORD_1
	v_cvt_pkrtz_f16_f32 v2, v10, v11
	v_cvt_pkrtz_f16_f32 v3, v12, v13
	ds_read_b128 v[10:13], v14 offset:6144
	v_cvt_pkrtz_f16_f32 v22, v16, v17
	v_cvt_pkrtz_f16_f32 v23, v20, v21
	v_cvt_pk_f32_fp8_e32 v[20:21], v4
	s_waitcnt lgkmcnt(0)
	v_mfma_f32_16x16x16_f16 v[6:9], v[2:3], v[10:11], v[6:9]
	ds_read_b128 v[14:17], v14 offset:6160
	v_cvt_pkrtz_f16_f32 v2, v20, v21
	v_cvt_pkrtz_f16_f32 v3, v24, v25
	v_cvt_pk_f32_fp8_e32 v[10:11], v5
	v_mfma_f32_16x16x16_f16 v[6:9], v[22:23], v[12:13], v[6:9]
	v_cvt_pk_f32_fp8_sdwa v[12:13], v5 src0_sel:WORD_1
	s_waitcnt lgkmcnt(0)
	v_cvt_pkrtz_f16_f32 v10, v10, v11
	v_mfma_f32_16x16x16_f16 v[2:5], v[2:3], v[14:15], v[6:9]
	v_cvt_pkrtz_f16_f32 v11, v12, v13
	s_barrier
	s_nop 0
	v_mfma_f32_16x16x16_f16 v[2:5], v[10:11], v[16:17], v[2:5]
	s_nop 6
	v_pk_mul_f32 v[4:5], v[4:5], s[4:5] op_sel_hi:[1,0]
	v_pk_mul_f32 v[2:3], v[2:3], s[4:5] op_sel_hi:[1,0]
	v_cvt_f16_f32_e32 v4, v4
	v_cvt_f16_f32_e32 v2, v2
	;; [unrolled: 1-line block ×4, first 2 shown]
	v_cmp_ne_u32_e64 s[4:5], 3, v42
	s_and_b64 s[4:5], s[4:5], vcc
	v_pack_b32_f16 v2, v2, v3
	v_pack_b32_f16 v3, v4, v5
	s_and_b64 s[4:5], s[4:5], s[30:31]
	ds_write_b64 v18, v[2:3]
	s_waitcnt lgkmcnt(0)
	s_barrier
	s_and_saveexec_b64 s[8:9], s[4:5]
	s_cbranch_execz .LBB866_19
; %bb.18:
	s_load_dwordx2 s[0:1], s[0:1], 0x68
	s_mul_i32 s2, s7, s2
	s_lshl_b32 s6, s6, 6
	s_mul_hi_u32 s5, s2, s6
	s_mul_i32 s4, s2, s6
	v_lshlrev_b32_e32 v0, 10, v0
	s_lshl_b64 s[4:5], s[4:5], 1
	v_and_b32_e32 v0, 0x1800, v0
	v_lshlrev_b32_e32 v2, 5, v42
	v_and_b32_e32 v3, 16, v43
	s_waitcnt lgkmcnt(0)
	s_add_u32 s4, s0, s4
	v_or3_b32 v0, v0, v2, v3
	s_addc_u32 s5, s1, s5
	s_lshl_b32 s2, s28, 6
	ds_read_b128 v[2:5], v0
	s_lshl_b64 s[0:1], s[2:3], 1
	s_add_u32 s0, s4, s0
	s_addc_u32 s1, s5, s1
	v_mad_u64_u32 v[0:1], s[2:3], s6, v1, 0
	v_lshl_add_u64 v[0:1], v[0:1], 1, s[0:1]
	v_lshl_add_u64 v[0:1], v[0:1], 0, v[26:27]
	s_waitcnt lgkmcnt(0)
	global_store_dwordx4 v[0:1], v[2:5], off
.LBB866_19:
	s_endpgm
	.section	.rodata,"a",@progbits
	.p2align	6, 0x0
	.amdhsa_kernel _Z39paged_attention_ll4mi_QKV_mfma16_kernelIDF16_hLN4vllm18Fp8KVCacheDataTypeE1EhLi32ELi64ELi256ELb1ELi3EEvPKT_PKT0_S7_ifPKiS9_S9_iPKfiiiPfSC_PS2_PT2_iSB_SB_
		.amdhsa_group_segment_fixed_size 8192
		.amdhsa_private_segment_fixed_size 0
		.amdhsa_kernarg_size 400
		.amdhsa_user_sgpr_count 2
		.amdhsa_user_sgpr_dispatch_ptr 0
		.amdhsa_user_sgpr_queue_ptr 0
		.amdhsa_user_sgpr_kernarg_segment_ptr 1
		.amdhsa_user_sgpr_dispatch_id 0
		.amdhsa_user_sgpr_kernarg_preload_length 0
		.amdhsa_user_sgpr_kernarg_preload_offset 0
		.amdhsa_user_sgpr_private_segment_size 0
		.amdhsa_uses_dynamic_stack 0
		.amdhsa_enable_private_segment 0
		.amdhsa_system_sgpr_workgroup_id_x 1
		.amdhsa_system_sgpr_workgroup_id_y 1
		.amdhsa_system_sgpr_workgroup_id_z 1
		.amdhsa_system_sgpr_workgroup_info 0
		.amdhsa_system_vgpr_workitem_id 0
		.amdhsa_next_free_vgpr 71
		.amdhsa_next_free_sgpr 50
		.amdhsa_accum_offset 72
		.amdhsa_reserve_vcc 1
		.amdhsa_float_round_mode_32 0
		.amdhsa_float_round_mode_16_64 0
		.amdhsa_float_denorm_mode_32 3
		.amdhsa_float_denorm_mode_16_64 3
		.amdhsa_dx10_clamp 1
		.amdhsa_ieee_mode 1
		.amdhsa_fp16_overflow 0
		.amdhsa_tg_split 0
		.amdhsa_exception_fp_ieee_invalid_op 0
		.amdhsa_exception_fp_denorm_src 0
		.amdhsa_exception_fp_ieee_div_zero 0
		.amdhsa_exception_fp_ieee_overflow 0
		.amdhsa_exception_fp_ieee_underflow 0
		.amdhsa_exception_fp_ieee_inexact 0
		.amdhsa_exception_int_div_zero 0
	.end_amdhsa_kernel
	.section	.text._Z39paged_attention_ll4mi_QKV_mfma16_kernelIDF16_hLN4vllm18Fp8KVCacheDataTypeE1EhLi32ELi64ELi256ELb1ELi3EEvPKT_PKT0_S7_ifPKiS9_S9_iPKfiiiPfSC_PS2_PT2_iSB_SB_,"axG",@progbits,_Z39paged_attention_ll4mi_QKV_mfma16_kernelIDF16_hLN4vllm18Fp8KVCacheDataTypeE1EhLi32ELi64ELi256ELb1ELi3EEvPKT_PKT0_S7_ifPKiS9_S9_iPKfiiiPfSC_PS2_PT2_iSB_SB_,comdat
.Lfunc_end866:
	.size	_Z39paged_attention_ll4mi_QKV_mfma16_kernelIDF16_hLN4vllm18Fp8KVCacheDataTypeE1EhLi32ELi64ELi256ELb1ELi3EEvPKT_PKT0_S7_ifPKiS9_S9_iPKfiiiPfSC_PS2_PT2_iSB_SB_, .Lfunc_end866-_Z39paged_attention_ll4mi_QKV_mfma16_kernelIDF16_hLN4vllm18Fp8KVCacheDataTypeE1EhLi32ELi64ELi256ELb1ELi3EEvPKT_PKT0_S7_ifPKiS9_S9_iPKfiiiPfSC_PS2_PT2_iSB_SB_
                                        ; -- End function
	.section	.AMDGPU.csdata,"",@progbits
; Kernel info:
; codeLenInByte = 4908
; NumSgprs: 56
; NumVgprs: 71
; NumAgprs: 0
; TotalNumVgprs: 71
; ScratchSize: 0
; MemoryBound: 0
; FloatMode: 240
; IeeeMode: 1
; LDSByteSize: 8192 bytes/workgroup (compile time only)
; SGPRBlocks: 6
; VGPRBlocks: 8
; NumSGPRsForWavesPerEU: 56
; NumVGPRsForWavesPerEU: 71
; AccumOffset: 72
; Occupancy: 7
; WaveLimiterHint : 1
; COMPUTE_PGM_RSRC2:SCRATCH_EN: 0
; COMPUTE_PGM_RSRC2:USER_SGPR: 2
; COMPUTE_PGM_RSRC2:TRAP_HANDLER: 0
; COMPUTE_PGM_RSRC2:TGID_X_EN: 1
; COMPUTE_PGM_RSRC2:TGID_Y_EN: 1
; COMPUTE_PGM_RSRC2:TGID_Z_EN: 1
; COMPUTE_PGM_RSRC2:TIDIG_COMP_CNT: 0
; COMPUTE_PGM_RSRC3_GFX90A:ACCUM_OFFSET: 17
; COMPUTE_PGM_RSRC3_GFX90A:TG_SPLIT: 0
	.section	.text._Z39paged_attention_ll4mi_QKV_mfma16_kernelIDF16_hLN4vllm18Fp8KVCacheDataTypeE1EhLi32ELi64ELi256ELb1ELi4EEvPKT_PKT0_S7_ifPKiS9_S9_iPKfiiiPfSC_PS2_PT2_iSB_SB_,"axG",@progbits,_Z39paged_attention_ll4mi_QKV_mfma16_kernelIDF16_hLN4vllm18Fp8KVCacheDataTypeE1EhLi32ELi64ELi256ELb1ELi4EEvPKT_PKT0_S7_ifPKiS9_S9_iPKfiiiPfSC_PS2_PT2_iSB_SB_,comdat
	.protected	_Z39paged_attention_ll4mi_QKV_mfma16_kernelIDF16_hLN4vllm18Fp8KVCacheDataTypeE1EhLi32ELi64ELi256ELb1ELi4EEvPKT_PKT0_S7_ifPKiS9_S9_iPKfiiiPfSC_PS2_PT2_iSB_SB_ ; -- Begin function _Z39paged_attention_ll4mi_QKV_mfma16_kernelIDF16_hLN4vllm18Fp8KVCacheDataTypeE1EhLi32ELi64ELi256ELb1ELi4EEvPKT_PKT0_S7_ifPKiS9_S9_iPKfiiiPfSC_PS2_PT2_iSB_SB_
	.globl	_Z39paged_attention_ll4mi_QKV_mfma16_kernelIDF16_hLN4vllm18Fp8KVCacheDataTypeE1EhLi32ELi64ELi256ELb1ELi4EEvPKT_PKT0_S7_ifPKiS9_S9_iPKfiiiPfSC_PS2_PT2_iSB_SB_
	.p2align	8
	.type	_Z39paged_attention_ll4mi_QKV_mfma16_kernelIDF16_hLN4vllm18Fp8KVCacheDataTypeE1EhLi32ELi64ELi256ELb1ELi4EEvPKT_PKT0_S7_ifPKiS9_S9_iPKfiiiPfSC_PS2_PT2_iSB_SB_,@function
_Z39paged_attention_ll4mi_QKV_mfma16_kernelIDF16_hLN4vllm18Fp8KVCacheDataTypeE1EhLi32ELi64ELi256ELb1ELi4EEvPKT_PKT0_S7_ifPKiS9_S9_iPKfiiiPfSC_PS2_PT2_iSB_SB_: ; @_Z39paged_attention_ll4mi_QKV_mfma16_kernelIDF16_hLN4vllm18Fp8KVCacheDataTypeE1EhLi32ELi64ELi256ELb1ELi4EEvPKT_PKT0_S7_ifPKiS9_S9_iPKfiiiPfSC_PS2_PT2_iSB_SB_
; %bb.0:
	s_load_dwordx2 s[6:7], s[0:1], 0x30
	s_mov_b32 s22, s3
	s_mov_b64 s[8:9], 0
	s_waitcnt lgkmcnt(0)
	s_cmp_lg_u64 s[6:7], 0
	s_cselect_b64 s[10:11], -1, 0
	s_and_b64 vcc, exec, s[10:11]
	s_cbranch_vccz .LBB867_7
; %bb.1:
	s_add_i32 s12, s2, 1
	s_mov_b32 s13, 0
	s_lshl_b64 s[14:15], s[12:13], 2
	s_add_u32 s14, s6, s14
	s_mov_b32 s3, s13
	s_addc_u32 s15, s7, s15
	s_lshl_b64 s[12:13], s[2:3], 2
	s_add_u32 s12, s6, s12
	s_addc_u32 s13, s7, s13
	s_load_dword s5, s[14:15], 0x0
	s_load_dword s16, s[12:13], 0x0
	s_waitcnt lgkmcnt(0)
	s_sub_i32 s5, s5, s16
	s_cmp_eq_u32 s5, 1
	s_cselect_b64 s[12:13], -1, 0
	s_andn2_b64 vcc, exec, s[8:9]
	s_cbranch_vccnz .LBB867_3
.LBB867_2:
	s_mov_b32 s3, 0
	s_mov_b64 s[12:13], -1
.LBB867_3:
	s_andn2_b64 vcc, exec, s[12:13]
	s_cbranch_vccnz .LBB867_19
; %bb.4:
	s_load_dwordx2 s[8:9], s[0:1], 0x28
	s_lshl_b64 s[12:13], s[2:3], 2
	s_waitcnt lgkmcnt(0)
	s_add_u32 s8, s8, s12
	s_addc_u32 s9, s9, s13
	s_load_dword s33, s[8:9], 0x0
	s_lshl_b32 s16, s22, 8
	s_waitcnt lgkmcnt(0)
	s_cmp_ge_i32 s16, s33
	s_cbranch_scc1 .LBB867_19
; %bb.5:
	s_load_dwordx2 s[8:9], s[0:1], 0x20
	s_load_dword s5, s[0:1], 0x38
	s_add_i32 s14, s33, 31
	s_ashr_i32 s15, s14, 31
	v_and_b32_e32 v1, 0xcf, v0
	s_lshr_b32 s15, s15, 27
	v_add_u32_e32 v1, s16, v1
	s_add_i32 s14, s14, s15
	v_ashrrev_i32_e32 v2, 31, v1
	s_ashr_i32 s17, s14, 5
	v_lshrrev_b32_e32 v4, 27, v2
	s_add_i32 s17, s17, -1
	s_waitcnt lgkmcnt(0)
	s_mul_i32 s14, s2, s5
	s_mov_b32 s15, 0
	v_add_u32_e32 v2, v1, v4
	s_lshl_b64 s[14:15], s[14:15], 2
	v_ashrrev_i32_e32 v2, 5, v2
	v_mov_b32_e32 v5, s17
	v_cmp_gt_i32_e32 vcc, s33, v1
	s_add_u32 s8, s8, s14
	s_addc_u32 s9, s9, s15
	v_cndmask_b32_e32 v2, v5, v2, vcc
	v_ashrrev_i32_e32 v3, 31, v2
	v_lshl_add_u64 v[6:7], v[2:3], 2, s[8:9]
	v_or_b32_e32 v2, 16, v1
	v_add_u32_e32 v3, v2, v4
	v_ashrrev_i32_e32 v3, 5, v3
	v_cmp_gt_i32_e32 vcc, s33, v2
	s_load_dwordx2 s[14:15], s[0:1], 0x8
	s_nop 0
	v_cndmask_b32_e32 v2, v5, v3, vcc
	v_ashrrev_i32_e32 v3, 31, v2
	v_lshl_add_u64 v[8:9], v[2:3], 2, s[8:9]
	v_or_b32_e32 v2, 32, v1
	v_add_u32_e32 v3, v2, v4
	v_ashrrev_i32_e32 v3, 5, v3
	v_cmp_gt_i32_e32 vcc, s33, v2
	v_or_b32_e32 v1, 48, v1
	s_nop 0
	v_cndmask_b32_e32 v2, v5, v3, vcc
	v_ashrrev_i32_e32 v3, 31, v2
	v_lshl_add_u64 v[10:11], v[2:3], 2, s[8:9]
	v_add_u32_e32 v2, v1, v4
	v_ashrrev_i32_e32 v2, 5, v2
	v_cmp_gt_i32_e32 vcc, s33, v1
	s_nop 1
	v_cndmask_b32_e32 v2, v5, v2, vcc
	v_ashrrev_i32_e32 v3, 31, v2
	v_lshl_add_u64 v[12:13], v[2:3], 2, s[8:9]
	global_load_dword v5, v[6:7], off
	global_load_dword v4, v[8:9], off
	;; [unrolled: 1-line block ×4, first 2 shown]
	s_andn2_b64 vcc, exec, s[10:11]
	s_cbranch_vccnz .LBB867_8
; %bb.6:
	s_add_u32 s6, s6, s12
	s_addc_u32 s7, s7, s13
	s_load_dword s5, s[6:7], 0x0
	s_branch .LBB867_9
.LBB867_7:
	s_mov_b64 s[12:13], 0
	s_branch .LBB867_2
.LBB867_8:
	s_mov_b32 s5, s2
.LBB867_9:
	s_load_dwordx2 s[10:11], s[0:1], 0x10
	s_load_dwordx4 s[44:47], s[0:1], 0x48
	v_and_b32_e32 v44, 15, v0
	v_bfe_u32 v42, v0, 4, 2
	s_lshl_b32 s23, s4, 2
	v_lshlrev_b32_e32 v6, 3, v44
	v_cmp_gt_u32_e32 vcc, 64, v0
	v_cmp_gt_u32_e64 s[6:7], 8, v44
	v_lshrrev_b32_e32 v43, 6, v0
	v_or_b32_e32 v1, s23, v42
	s_and_b64 s[48:49], vcc, s[6:7]
	v_lshlrev_b32_e32 v26, 1, v6
	v_lshlrev_b32_e32 v40, 5, v42
	;; [unrolled: 1-line block ×3, first 2 shown]
	s_and_saveexec_b64 s[6:7], s[48:49]
	s_cbranch_execz .LBB867_11
; %bb.10:
	s_load_dwordx2 s[12:13], s[0:1], 0x0
	s_waitcnt lgkmcnt(0)
	s_ashr_i32 s18, s44, 31
	s_mul_hi_u32 s19, s5, s44
	s_mul_i32 s18, s5, s18
	s_add_i32 s19, s19, s18
	s_mul_i32 s18, s5, s44
	s_lshl_b64 s[18:19], s[18:19], 1
	s_add_u32 s12, s12, s18
	v_lshlrev_b32_e32 v6, 6, v1
	s_addc_u32 s13, s13, s19
	v_ashrrev_i32_e32 v7, 31, v6
	v_lshl_add_u64 v[6:7], v[6:7], 1, s[12:13]
	v_mov_b32_e32 v27, 0
	v_lshl_add_u64 v[6:7], v[6:7], 0, v[26:27]
	global_load_dwordx4 v[6:9], v[6:7], off
	v_lshlrev_b32_e32 v12, 8, v44
	v_lshl_or_b32 v10, v43, 7, v40
	v_and_b32_e32 v11, 16, v41
	v_and_b32_e32 v12, 0xe00, v12
	v_or3_b32 v10, v12, v10, v11
	s_waitcnt vmcnt(0)
	ds_write_b128 v10, v[6:9]
.LBB867_11:
	s_or_b64 exec, exec, s[6:7]
	s_waitcnt lgkmcnt(0)
	s_mul_i32 s6, s4, s46
	s_add_u32 s4, s14, s6
	s_addc_u32 s5, s15, 0
	v_mov_b32_e32 v29, 0
	v_mov_b64_e32 v[6:7], s[4:5]
	v_lshlrev_b32_e32 v10, 4, v44
	v_and_b32_e32 v27, 48, v0
	s_waitcnt vmcnt(3)
	v_mad_i64_i32 v[8:9], s[4:5], v5, s45, v[6:7]
	v_mov_b32_e32 v11, v29
	s_waitcnt vmcnt(2)
	v_mad_i64_i32 v[4:5], s[4:5], v4, s45, v[6:7]
	v_or_b32_e32 v12, 0x100, v10
	v_mov_b32_e32 v13, v29
	v_lshlrev_b32_e32 v28, 5, v27
	v_lshl_add_u64 v[8:9], v[8:9], 0, v[10:11]
	v_lshl_add_u64 v[4:5], v[4:5], 0, v[12:13]
	;; [unrolled: 1-line block ×4, first 2 shown]
	s_barrier
	global_load_dwordx4 v[22:25], v[8:9], off
	global_load_dwordx4 v[18:21], v[4:5], off
	s_waitcnt vmcnt(3)
	v_mad_i64_i32 v[4:5], s[4:5], v3, s45, v[6:7]
	v_lshl_add_u64 v[4:5], v[4:5], 0, v[10:11]
	s_waitcnt vmcnt(2)
	v_mad_i64_i32 v[2:3], s[4:5], v2, s45, v[6:7]
	v_lshl_add_u64 v[4:5], v[4:5], 0, v[28:29]
	v_lshl_add_u64 v[2:3], v[2:3], 0, v[12:13]
	;; [unrolled: 1-line block ×3, first 2 shown]
	global_load_dwordx4 v[14:17], v[4:5], off
	global_load_dwordx4 v[6:9], v[2:3], off
	v_and_b32_e32 v2, 3, v0
	v_lshlrev_b32_e32 v2, 5, v2
	v_lshl_or_b32 v2, v42, 9, v2
	ds_read_b128 v[10:13], v2
	ds_read_b128 v[2:5], v2 offset:16
	v_and_b32_e32 v45, 63, v0
	v_cmp_gt_u32_e32 vcc, 4, v44
	v_mov_b32_e32 v46, 0
	s_and_saveexec_b64 s[4:5], vcc
	s_cbranch_execz .LBB867_13
; %bb.12:
	s_load_dwordx2 s[12:13], s[0:1], 0x40
	v_or_b32_e32 v30, s23, v44
	v_ashrrev_i32_e32 v31, 31, v30
	s_waitcnt lgkmcnt(0)
	v_lshl_add_u64 v[30:31], v[30:31], 2, s[12:13]
	global_load_dword v46, v[30:31], off
.LBB867_13:
	s_or_b64 exec, exec, s[4:5]
	s_ashr_i32 s4, s16, 31
	v_or_b32_e32 v47, s16, v27
	s_lshr_b32 s4, s4, 27
	v_add_u32_e32 v27, s4, v47
	v_ashrrev_i32_e32 v27, 5, v27
	v_mov_b32_e32 v67, s17
	v_cmp_gt_i32_e32 vcc, s33, v47
	s_waitcnt vmcnt(3)
	v_cvt_pk_f32_fp8_sdwa v[32:33], v22 src0_sel:WORD_1
	v_cvt_pk_f32_fp8_e32 v[34:35], v23
	v_cndmask_b32_e32 v30, v67, v27, vcc
	v_ashrrev_i32_e32 v31, 31, v30
	v_lshl_add_u64 v[30:31], v[30:31], 2, s[8:9]
	global_load_dword v74, v[30:31], off
	v_cvt_pk_f32_fp8_e32 v[30:31], v22
	v_cvt_pk_f32_fp8_sdwa v[22:23], v23 src0_sel:WORD_1
	s_waitcnt vmcnt(3)
	v_cvt_pk_f32_fp8_e32 v[50:51], v18
	v_cvt_pk_f32_fp8_sdwa v[52:53], v18 src0_sel:WORD_1
	v_or_b32_e32 v18, 64, v47
	v_cvt_pk_f32_fp8_e32 v[58:59], v20
	v_cvt_pk_f32_fp8_sdwa v[60:61], v20 src0_sel:WORD_1
	v_cvt_pk_f32_fp8_e32 v[62:63], v21
	v_cvt_pk_f32_fp8_sdwa v[64:65], v21 src0_sel:WORD_1
	v_or_b32_e32 v20, 0xc0, v47
	v_add_u32_e32 v21, s4, v18
	v_cvt_pk_f32_fp8_e32 v[54:55], v19
	v_cvt_pk_f32_fp8_sdwa v[56:57], v19 src0_sel:WORD_1
	v_or_b32_e32 v19, 0x80, v47
	v_add_u32_e32 v66, s4, v20
	v_ashrrev_i32_e32 v21, 5, v21
	v_cmp_gt_i32_e32 vcc, s33, v18
	v_add_u32_e32 v47, s4, v19
	v_ashrrev_i32_e32 v69, 5, v66
	v_cndmask_b32_e32 v66, v67, v21, vcc
	v_cmp_gt_i32_e32 vcc, s33, v19
	v_cvt_pkrtz_f16_f32 v18, v30, v31
	v_cvt_pkrtz_f16_f32 v19, v32, v33
	v_cvt_pk_f32_fp8_sdwa v[38:39], v24 src0_sel:WORD_1
	v_cvt_pkrtz_f16_f32 v31, v22, v23
	v_cvt_pkrtz_f16_f32 v22, v50, v51
	;; [unrolled: 1-line block ×3, first 2 shown]
	v_cvt_pk_f32_fp8_e32 v[36:37], v24
	v_cvt_pk_f32_fp8_e32 v[48:49], v25
	v_cvt_pk_f32_fp8_sdwa v[24:25], v25 src0_sel:WORD_1
	v_ashrrev_i32_e32 v47, 5, v47
	v_cvt_pkrtz_f16_f32 v30, v34, v35
	v_cndmask_b32_e32 v68, v67, v47, vcc
	v_cmp_gt_i32_e32 vcc, s33, v20
	v_cvt_pkrtz_f16_f32 v35, v38, v39
	s_waitcnt lgkmcnt(1)
	v_mfma_f32_16x16x16_f16 v[18:21], v[18:19], v[10:11], 0
	v_cvt_pkrtz_f16_f32 v38, v54, v55
	v_cvt_pkrtz_f16_f32 v39, v56, v57
	v_cvt_pkrtz_f16_f32 v34, v36, v37
	v_cvt_pkrtz_f16_f32 v37, v24, v25
	v_mfma_f32_16x16x16_f16 v[22:25], v[22:23], v[10:11], 0
	s_load_dword s7, s[0:1], 0x1c
	s_load_dwordx4 s[40:43], s[0:1], 0x80
	v_cvt_pkrtz_f16_f32 v36, v48, v49
	v_cvt_pkrtz_f16_f32 v48, v58, v59
	;; [unrolled: 1-line block ×3, first 2 shown]
	v_mfma_f32_16x16x16_f16 v[30:33], v[30:31], v[12:13], v[18:21]
	s_add_u32 s4, s10, s6
	v_and_b32_e32 v28, 16, v0
	v_lshlrev_b32_e32 v27, 5, v44
	v_mfma_f32_16x16x16_f16 v[20:23], v[38:39], v[12:13], v[22:25]
	s_addc_u32 s5, s11, 0
	v_cndmask_b32_e32 v70, v67, v69, vcc
	v_lshl_add_u64 v[72:73], s[4:5], 0, v[28:29]
	v_lshl_or_b32 v28, v43, 9, v27
	v_ashrrev_i32_e32 v67, 31, v66
	v_ashrrev_i32_e32 v69, 31, v68
	;; [unrolled: 1-line block ×3, first 2 shown]
	v_lshl_add_u64 v[18:19], v[72:73], 0, v[28:29]
	s_waitcnt lgkmcnt(0)
	v_mfma_f32_16x16x16_f16 v[28:31], v[34:35], v[2:3], v[30:33]
	v_lshl_add_u64 v[24:25], v[66:67], 2, s[8:9]
	v_lshl_add_u64 v[34:35], v[70:71], 2, s[8:9]
	s_load_dword s4, s[40:41], 0x0
	v_lshl_add_u64 v[32:33], v[68:69], 2, s[8:9]
	v_mfma_f32_16x16x16_f16 v[20:23], v[48:49], v[2:3], v[20:23]
	global_load_dword v49, v[24:25], off
	global_load_dword v47, v[32:33], off
	;; [unrolled: 1-line block ×3, first 2 shown]
	s_waitcnt vmcnt(5)
	v_cvt_pk_f32_fp8_e32 v[32:33], v14
	v_cvt_pk_f32_fp8_sdwa v[34:35], v14 src0_sel:WORD_1
	v_cvt_pkrtz_f16_f32 v50, v62, v63
	v_cvt_pkrtz_f16_f32 v51, v64, v65
	v_mfma_f32_16x16x16_f16 v[28:31], v[36:37], v[4:5], v[28:31]
	v_cvt_pk_f32_fp8_e32 v[36:37], v15
	v_cvt_pkrtz_f16_f32 v32, v32, v33
	v_cvt_pkrtz_f16_f32 v33, v34, v35
	v_cvt_pk_f32_fp8_sdwa v[14:15], v15 src0_sel:WORD_1
	v_mov_b32_e32 v38, s7
	s_waitcnt lgkmcnt(0)
	v_mul_f32_e32 v52, s4, v38
	v_mfma_f32_16x16x16_f16 v[20:23], v[50:51], v[4:5], v[20:23]
	v_cvt_pkrtz_f16_f32 v36, v36, v37
	v_cvt_pk_f32_fp8_e32 v[38:39], v16
	v_cvt_pk_f32_fp8_sdwa v[50:51], v16 src0_sel:WORD_1
	v_cvt_pkrtz_f16_f32 v37, v14, v15
	v_mfma_f32_16x16x16_f16 v[32:35], v[32:33], v[10:11], 0
	v_cvt_pkrtz_f16_f32 v38, v38, v39
	v_cvt_pkrtz_f16_f32 v39, v50, v51
	v_cvt_pk_f32_fp8_e32 v[50:51], v17
	v_cvt_pk_f32_fp8_sdwa v[54:55], v17 src0_sel:WORD_1
	v_mfma_f32_16x16x16_f16 v[14:17], v[36:37], v[12:13], v[32:35]
	v_pk_mul_f32 v[36:37], v[52:53], v[28:29] op_sel_hi:[0,1]
	s_waitcnt vmcnt(4)
	v_cvt_pk_f32_fp8_e32 v[28:29], v6
	v_pk_mul_f32 v[30:31], v[52:53], v[30:31] op_sel_hi:[0,1]
	v_cvt_pkrtz_f16_f32 v32, v50, v51
	v_cvt_pkrtz_f16_f32 v33, v54, v55
	v_mfma_f32_16x16x16_f16 v[14:17], v[38:39], v[2:3], v[14:17]
	v_cvt_pk_f32_fp8_sdwa v[34:35], v6 src0_sel:WORD_1
	v_cvt_pkrtz_f16_f32 v28, v28, v29
	v_cvt_pk_f32_fp8_e32 v[50:51], v8
	v_mfma_f32_16x16x16_f16 v[14:17], v[32:33], v[4:5], v[14:17]
	v_cvt_pk_f32_fp8_e32 v[32:33], v7
	v_cvt_pkrtz_f16_f32 v29, v34, v35
	v_cvt_pk_f32_fp8_sdwa v[6:7], v7 src0_sel:WORD_1
	v_cvt_pk_f32_fp8_sdwa v[54:55], v8 src0_sel:WORD_1
	v_cvt_pkrtz_f16_f32 v38, v32, v33
	v_mfma_f32_16x16x16_f16 v[32:35], v[28:29], v[10:11], 0
	v_cvt_pkrtz_f16_f32 v39, v6, v7
	v_cvt_pkrtz_f16_f32 v10, v50, v51
	;; [unrolled: 1-line block ×3, first 2 shown]
	v_cvt_pk_f32_fp8_e32 v[28:29], v9
	v_cvt_pk_f32_fp8_sdwa v[50:51], v9 src0_sel:WORD_1
	v_mfma_f32_16x16x16_f16 v[6:9], v[38:39], v[12:13], v[32:35]
	v_pk_mul_f32 v[38:39], v[52:53], v[20:21] op_sel_hi:[0,1]
	v_cvt_pkrtz_f16_f32 v12, v28, v29
	v_cvt_pkrtz_f16_f32 v13, v50, v51
	v_mfma_f32_16x16x16_f16 v[6:9], v[10:11], v[2:3], v[6:9]
	v_pk_mul_f32 v[34:35], v[52:53], v[22:23] op_sel_hi:[0,1]
	v_pk_mul_f32 v[28:29], v[52:53], v[16:17] op_sel_hi:[0,1]
	;; [unrolled: 1-line block ×3, first 2 shown]
	v_mfma_f32_16x16x16_f16 v[2:5], v[12:13], v[4:5], v[6:9]
	s_mov_b32 s40, 0xff7fffff
	s_waitcnt vmcnt(3)
	v_mad_i64_i32 v[24:25], s[4:5], v74, s45, v[18:19]
	s_nop 3
	v_pk_mul_f32 v[22:23], v[52:53], v[2:3] op_sel_hi:[0,1]
	v_and_b32_e32 v2, 0xc0, v0
	v_add_u32_e32 v2, s16, v2
	v_lshl_or_b32 v2, v42, 2, v2
	v_or_b32_e32 v3, 1, v2
	v_pk_mul_f32 v[20:21], v[52:53], v[4:5] op_sel_hi:[0,1]
	v_subrev_u32_e32 v4, s33, v3
	v_add_u32_e32 v6, 1, v4
	v_add_u32_e32 v7, 2, v4
	v_cvt_f32_i32_e32 v5, v4
	v_cvt_f32_i32_e32 v6, v6
	v_cvt_f32_i32_e32 v7, v7
	v_add_u32_e32 v8, 3, v4
	v_fma_f32 v9, v46, v5, v36
	v_fmac_f32_e32 v37, v46, v6
	v_fma_f32 v30, v46, v7, v30
	v_add_u32_e32 v5, 16, v4
	v_add_u32_e32 v6, 17, v4
	;; [unrolled: 1-line block ×3, first 2 shown]
	v_cvt_f32_i32_e32 v8, v8
	v_cvt_f32_i32_e32 v5, v5
	;; [unrolled: 1-line block ×4, first 2 shown]
	v_fmac_f32_e32 v31, v46, v8
	v_add_u32_e32 v8, 19, v4
	v_fma_f32 v38, v46, v5, v38
	v_fmac_f32_e32 v39, v46, v6
	v_fma_f32 v34, v46, v7, v34
	v_add_u32_e32 v5, 32, v4
	v_add_u32_e32 v6, 33, v4
	;; [unrolled: 1-line block ×3, first 2 shown]
	v_cvt_f32_i32_e32 v8, v8
	v_cvt_f32_i32_e32 v5, v5
	;; [unrolled: 1-line block ×4, first 2 shown]
	v_fmac_f32_e32 v35, v46, v8
	v_add_u32_e32 v8, 35, v4
	v_fma_f32 v50, v46, v5, v32
	v_fmac_f32_e32 v33, v46, v6
	v_fma_f32 v28, v46, v7, v28
	v_add_u32_e32 v5, 48, v4
	v_add_u32_e32 v6, 49, v4
	;; [unrolled: 1-line block ×4, first 2 shown]
	v_cvt_f32_i32_e32 v4, v4
	v_cvt_f32_i32_e32 v5, v5
	;; [unrolled: 1-line block ×3, first 2 shown]
	v_cmp_gt_i32_e64 s[24:25], s33, v2
	v_fmac_f32_e32 v21, v46, v4
	v_mov_b32_e32 v4, 0xff7fffff
	v_cmp_gt_i32_e64 s[26:27], s33, v3
	v_fma_f32 v22, v46, v5, v22
	v_cndmask_b32_e64 v5, v4, v9, s[24:25]
	v_cndmask_b32_e64 v3, v4, v37, s[26:27]
	v_fmac_f32_e32 v23, v46, v6
	v_max3_f32 v3, v5, s40, v3
	v_or_b32_e32 v5, 2, v2
	v_or_b32_e32 v6, 3, v2
	v_cmp_gt_i32_e64 s[28:29], s33, v5
	v_cmp_gt_i32_e64 s[30:31], s33, v6
	v_cvt_f32_i32_e32 v8, v8
	v_cndmask_b32_e64 v5, v4, v30, s[28:29]
	v_cndmask_b32_e64 v6, v4, v31, s[30:31]
	v_max3_f32 v3, v3, v5, v6
	v_or_b32_e32 v5, 16, v2
	v_or_b32_e32 v6, 17, v2
	v_cmp_gt_i32_e64 s[34:35], s33, v5
	v_cmp_gt_i32_e64 s[36:37], s33, v6
	v_fmac_f32_e32 v29, v46, v8
	v_cndmask_b32_e64 v5, v4, v38, s[34:35]
	v_cndmask_b32_e64 v6, v4, v39, s[36:37]
	v_max3_f32 v3, v3, v5, v6
	v_or_b32_e32 v5, 18, v2
	v_or_b32_e32 v6, 19, v2
	v_cmp_gt_i32_e64 s[18:19], s33, v5
	v_cmp_gt_i32_e64 s[20:21], s33, v6
	v_cvt_f32_i32_e32 v7, v7
	v_cndmask_b32_e64 v5, v4, v34, s[18:19]
	v_cndmask_b32_e64 v6, v4, v35, s[20:21]
	v_max3_f32 v3, v3, v5, v6
	v_or_b32_e32 v5, 32, v2
	v_or_b32_e32 v6, 33, v2
	v_cmp_gt_i32_e64 s[14:15], s33, v5
	v_cmp_gt_i32_e64 s[16:17], s33, v6
	v_fma_f32 v20, v46, v7, v20
	v_cndmask_b32_e64 v5, v4, v50, s[14:15]
	v_cndmask_b32_e64 v6, v4, v33, s[16:17]
	v_max3_f32 v3, v3, v5, v6
	v_or_b32_e32 v5, 34, v2
	v_or_b32_e32 v6, 35, v2
	v_cmp_gt_i32_e64 s[10:11], s33, v5
	v_cmp_gt_i32_e64 s[12:13], s33, v6
	s_nop 0
	v_cndmask_b32_e64 v5, v4, v28, s[10:11]
	v_cndmask_b32_e64 v6, v4, v29, s[12:13]
	v_max3_f32 v3, v3, v5, v6
	v_or_b32_e32 v5, 48, v2
	v_or_b32_e32 v6, 49, v2
	v_cmp_gt_i32_e64 s[6:7], s33, v5
	v_cmp_gt_i32_e64 s[8:9], s33, v6
	s_nop 0
	v_cndmask_b32_e64 v5, v4, v22, s[6:7]
	v_cndmask_b32_e64 v6, v4, v23, s[8:9]
	v_max3_f32 v3, v3, v5, v6
	v_or_b32_e32 v5, 50, v2
	v_or_b32_e32 v2, 51, v2
	v_cmp_gt_i32_e32 vcc, s33, v5
	v_cmp_gt_i32_e64 s[4:5], s33, v2
	s_nop 0
	v_cndmask_b32_e32 v5, v4, v20, vcc
	v_cndmask_b32_e64 v2, v4, v21, s[4:5]
	v_max3_f32 v4, v3, v5, v2
	v_mbcnt_lo_u32_b32 v2, -1, 0
	v_mbcnt_hi_u32_b32 v5, -1, v2
	v_and_b32_e32 v2, 64, v5
	v_add_u32_e32 v6, 64, v2
	v_xor_b32_e32 v2, 32, v5
	v_cmp_lt_i32_e64 s[38:39], v2, v6
	s_nop 1
	v_cndmask_b32_e64 v2, v5, v2, s[38:39]
	v_lshlrev_b32_e32 v46, 2, v2
	ds_bpermute_b32 v7, v46, v4
	s_waitcnt vmcnt(2)
	v_mad_i64_i32 v[2:3], s[38:39], v49, s45, v[18:19]
	global_load_dwordx4 v[14:17], v[24:25], off
	global_load_dwordx4 v[10:13], v[2:3], off
	s_waitcnt lgkmcnt(0)
	v_max_f32_e32 v2, v7, v7
	v_max_f32_e32 v7, v4, v2
	v_xor_b32_e32 v2, 16, v5
	v_cmp_lt_i32_e64 s[38:39], v2, v6
	s_nop 1
	v_cndmask_b32_e64 v2, v5, v2, s[38:39]
	v_lshlrev_b32_e32 v49, 2, v2
	ds_bpermute_b32 v6, v49, v7
	s_waitcnt vmcnt(3)
	v_mad_i64_i32 v[2:3], s[38:39], v47, s45, v[18:19]
	s_waitcnt vmcnt(2)
	v_mad_i64_i32 v[4:5], s[38:39], v48, s45, v[18:19]
	s_waitcnt lgkmcnt(0)
	v_max_f32_e32 v6, v6, v6
	v_max_f32_e32 v32, v7, v6
	v_sub_f32_e32 v6, v9, v32
	v_mul_f32_e32 v6, 0x3fb8aa3b, v6
	v_exp_f32_e32 v18, v6
	v_sub_f32_e32 v6, v37, v32
	v_mul_f32_e32 v6, 0x3fb8aa3b, v6
	v_exp_f32_e32 v19, v6
	global_load_dwordx4 v[6:9], v[2:3], off
	s_nop 0
	global_load_dwordx4 v[2:5], v[4:5], off
	v_sub_f32_e32 v25, v30, v32
	v_sub_f32_e32 v30, v31, v32
	v_mul_f32_e32 v25, 0x3fb8aa3b, v25
	v_mul_f32_e32 v30, 0x3fb8aa3b, v30
	v_exp_f32_e32 v25, v25
	v_exp_f32_e32 v30, v30
	v_cndmask_b32_e64 v18, 0, v18, s[24:25]
	v_add_f32_e32 v24, 0, v18
	v_cndmask_b32_e64 v36, 0, v25, s[28:29]
	v_cndmask_b32_e64 v37, 0, v30, s[30:31]
	v_sub_f32_e32 v25, v38, v32
	v_sub_f32_e32 v30, v39, v32
	v_mul_f32_e32 v25, 0x3fb8aa3b, v25
	v_mul_f32_e32 v30, 0x3fb8aa3b, v30
	v_exp_f32_e32 v25, v25
	v_exp_f32_e32 v30, v30
	v_cndmask_b32_e64 v19, 0, v19, s[26:27]
	v_add_f32_e32 v24, v24, v19
	v_add_f32_e32 v24, v24, v36
	;; [unrolled: 1-line block ×3, first 2 shown]
	v_cndmask_b32_e64 v24, 0, v25, s[34:35]
	v_cndmask_b32_e64 v25, 0, v30, s[36:37]
	v_sub_f32_e32 v30, v34, v32
	v_mul_f32_e32 v30, 0x3fb8aa3b, v30
	v_exp_f32_e32 v30, v30
	v_sub_f32_e32 v34, v35, v32
	v_add_f32_e32 v31, v31, v24
	v_mul_f32_e32 v34, 0x3fb8aa3b, v34
	v_exp_f32_e32 v35, v34
	v_add_f32_e32 v31, v31, v25
	v_cndmask_b32_e64 v34, 0, v30, s[18:19]
	v_add_f32_e32 v30, v31, v34
	v_sub_f32_e32 v31, v50, v32
	v_mul_f32_e32 v31, 0x3fb8aa3b, v31
	v_sub_f32_e32 v33, v33, v32
	v_exp_f32_e32 v31, v31
	v_mul_f32_e32 v33, 0x3fb8aa3b, v33
	v_sub_f32_e32 v28, v28, v32
	v_exp_f32_e32 v33, v33
	v_mul_f32_e32 v28, 0x3fb8aa3b, v28
	v_sub_f32_e32 v29, v29, v32
	v_exp_f32_e32 v28, v28
	v_mul_f32_e32 v29, 0x3fb8aa3b, v29
	v_sub_f32_e32 v22, v22, v32
	v_cndmask_b32_e64 v35, 0, v35, s[20:21]
	v_exp_f32_e32 v29, v29
	v_mul_f32_e32 v22, 0x3fb8aa3b, v22
	v_sub_f32_e32 v23, v23, v32
	v_add_f32_e32 v38, v30, v35
	v_cndmask_b32_e64 v30, 0, v31, s[14:15]
	v_exp_f32_e32 v22, v22
	v_mul_f32_e32 v23, 0x3fb8aa3b, v23
	v_sub_f32_e32 v20, v20, v32
	v_add_f32_e32 v38, v38, v30
	;; [unrolled: 5-line block ×3, first 2 shown]
	v_cndmask_b32_e64 v28, 0, v28, s[10:11]
	v_exp_f32_e32 v20, v20
	v_mul_f32_e32 v21, 0x3fb8aa3b, v21
	v_add_f32_e32 v33, v33, v28
	v_cndmask_b32_e64 v29, 0, v29, s[12:13]
	v_exp_f32_e32 v21, v21
	v_add_f32_e32 v33, v33, v29
	v_cndmask_b32_e64 v22, 0, v22, s[6:7]
	v_add_f32_e32 v33, v33, v22
	v_cndmask_b32_e64 v23, 0, v23, s[8:9]
	v_add_f32_e32 v33, v33, v23
	v_cndmask_b32_e32 v20, 0, v20, vcc
	v_add_f32_e32 v33, v33, v20
	v_cndmask_b32_e64 v21, 0, v21, s[4:5]
	v_add_f32_e32 v33, v33, v21
	ds_bpermute_b32 v38, v46, v33
	s_load_dword s7, s[0:1], 0x98
	v_cmp_gt_u32_e32 vcc, 16, v45
	s_waitcnt lgkmcnt(0)
	s_barrier
	v_add_f32_e32 v38, v33, v38
	ds_bpermute_b32 v39, v49, v38
	v_lshlrev_b32_e32 v33, 2, v44
	s_waitcnt lgkmcnt(0)
	s_and_saveexec_b64 s[4:5], vcc
	s_cbranch_execz .LBB867_15
; %bb.14:
	v_add_f32_e32 v38, v38, v39
	v_lshl_or_b32 v39, v43, 6, v33
	ds_write2st64_b32 v39, v32, v38 offset1:1
.LBB867_15:
	s_or_b64 exec, exec, s[4:5]
	s_load_dword s6, s[0:1], 0x94
	s_waitcnt lgkmcnt(0)
	s_barrier
	ds_read2_b32 v[38:39], v33 offset1:16
	ds_read2_b32 v[44:45], v33 offset0:32 offset1:48
	ds_read2_b32 v[46:47], v33 offset0:64 offset1:80
	s_lshl_b32 s7, s7, 2
	s_waitcnt lgkmcnt(2)
	v_max3_f32 v32, v38, s40, v39
	s_waitcnt lgkmcnt(1)
	v_max3_f32 v32, v32, v44, v45
	v_sub_f32_e32 v38, v38, v32
	v_mul_f32_e32 v38, 0x3fb8aa3b, v38
	v_exp_f32_e32 v48, v38
	v_sub_f32_e32 v38, v39, v32
	v_mul_f32_e32 v38, 0x3fb8aa3b, v38
	v_exp_f32_e32 v49, v38
	;; [unrolled: 3-line block ×3, first 2 shown]
	ds_read2_b32 v[38:39], v33 offset0:96 offset1:112
	v_sub_f32_e32 v33, v45, v32
	v_mul_f32_e32 v33, 0x3fb8aa3b, v33
	v_exp_f32_e32 v45, v33
	s_waitcnt lgkmcnt(1)
	v_fma_f32 v33, v48, v46, 0
	v_fmac_f32_e32 v33, v49, v47
	s_waitcnt lgkmcnt(0)
	v_fmac_f32_e32 v33, v44, v38
	v_fmac_f32_e32 v33, v45, v39
	v_add_f32_e32 v38, 0x358637bd, v33
	v_div_scale_f32 v39, s[4:5], v38, v38, 1.0
	v_rcp_f32_e32 v46, v39
	s_barrier
	v_fma_f32 v47, -v39, v46, 1.0
	v_fmac_f32_e32 v46, v47, v46
	v_div_scale_f32 v47, vcc, 1.0, v38, 1.0
	v_mul_f32_e32 v50, v47, v46
	v_fma_f32 v51, -v39, v50, v47
	v_fmac_f32_e32 v50, v51, v46
	v_fma_f32 v39, -v39, v50, v47
	v_div_fmas_f32 v39, v39, v46, v50
	v_cmp_eq_u32_e32 vcc, 1, v43
	v_div_fixup_f32 v38, v39, v38, 1.0
	s_nop 0
	v_cndmask_b32_e32 v39, v48, v49, vcc
	v_cmp_eq_u32_e32 vcc, 2, v43
	s_nop 1
	v_cndmask_b32_e32 v39, v39, v44, vcc
	v_cmp_eq_u32_e32 vcc, 3, v43
	s_nop 1
	v_cndmask_b32_e32 v39, v39, v45, vcc
	v_mul_f32_e32 v38, v39, v38
	v_pk_mul_f32 v[36:37], v[38:39], v[36:37] op_sel_hi:[0,1]
	v_pk_mul_f32 v[18:19], v[38:39], v[18:19] op_sel_hi:[0,1]
	v_cvt_f16_f32_e32 v39, v36
	v_cvt_f16_f32_e32 v37, v37
	v_cvt_f16_f32_e32 v18, v18
	v_cvt_f16_f32_e32 v19, v19
	v_cmp_gt_u32_e32 vcc, 4, v0
	v_pack_b32_f16 v37, v39, v37
	v_lshlrev_b32_e32 v39, 3, v42
	v_pack_b32_f16 v36, v18, v19
	v_pk_mul_f32 v[18:19], v[38:39], v[34:35] op_sel_hi:[0,1]
	v_pk_mul_f32 v[24:25], v[38:39], v[24:25] op_sel_hi:[0,1]
	v_cvt_f16_f32_e32 v24, v24
	v_cvt_f16_f32_e32 v25, v25
	;; [unrolled: 1-line block ×4, first 2 shown]
	v_lshlrev_b32_e32 v18, 11, v43
	v_or3_b32 v18, v18, v27, v39
	v_pack_b32_f16 v24, v24, v25
	v_pack_b32_f16 v25, v34, v19
	ds_write2st64_b64 v18, v[36:37], v[24:25] offset1:1
	v_pk_mul_f32 v[24:25], v[38:39], v[28:29] op_sel_hi:[0,1]
	v_pk_mul_f32 v[28:29], v[38:39], v[30:31] op_sel_hi:[0,1]
	;; [unrolled: 1-line block ×4, first 2 shown]
	v_cvt_f16_f32_e32 v19, v28
	v_cvt_f16_f32_e32 v28, v29
	v_cvt_f16_f32_e32 v24, v24
	v_cvt_f16_f32_e32 v25, v25
	v_cvt_f16_f32_e32 v22, v22
	v_cvt_f16_f32_e32 v23, v23
	v_cvt_f16_f32_e32 v29, v20
	v_cvt_f16_f32_e32 v30, v21
	v_pack_b32_f16 v20, v19, v28
	v_pack_b32_f16 v21, v24, v25
	;; [unrolled: 1-line block ×4, first 2 shown]
	ds_write2st64_b64 v18, v[20:21], v[22:23] offset0:2 offset1:3
	s_and_saveexec_b64 s[4:5], vcc
	s_cbranch_execz .LBB867_17
; %bb.16:
	v_or_b32_e32 v20, s23, v0
	v_mov_b32_e32 v21, 0
	v_mov_b32_e32 v19, s7
	v_mad_u64_u32 v[22:23], s[12:13], s2, v19, v[20:21]
	v_mov_b32_e32 v20, s22
	s_load_dwordx4 s[8:11], s[0:1], 0x58
	s_mul_i32 s3, s3, s7
	v_mad_u64_u32 v[20:21], s[12:13], v22, s6, v[20:21]
	v_add_u32_e32 v19, s3, v23
	v_mov_b32_e32 v22, v21
	v_mad_u64_u32 v[22:23], s[12:13], v19, s6, v[22:23]
	v_mov_b32_e32 v21, v22
	v_lshlrev_b64 v[20:21], 2, v[20:21]
	s_waitcnt lgkmcnt(0)
	v_lshl_add_u64 v[22:23], s[10:11], 0, v[20:21]
	v_lshl_add_u64 v[20:21], s[8:9], 0, v[20:21]
	global_store_dword v[22:23], v32, off
	global_store_dword v[20:21], v33, off
.LBB867_17:
	s_or_b64 exec, exec, s[4:5]
	s_waitcnt vmcnt(3)
	v_cvt_pk_f32_fp8_e32 v[20:21], v14
	v_cvt_pk_f32_fp8_sdwa v[22:23], v14 src0_sel:WORD_1
	v_lshl_or_b32 v14, v42, 9, v27
	s_waitcnt lgkmcnt(0)
	s_barrier
	v_cvt_pk_f32_fp8_e32 v[24:25], v15
	v_cvt_pkrtz_f16_f32 v32, v20, v21
	v_cvt_pkrtz_f16_f32 v33, v22, v23
	v_cvt_pk_f32_fp8_sdwa v[28:29], v15 src0_sel:WORD_1
	ds_read_b128 v[20:23], v14
	v_cvt_pkrtz_f16_f32 v24, v24, v25
	v_cvt_pk_f32_fp8_e32 v[36:37], v16
	v_cvt_pkrtz_f16_f32 v25, v28, v29
	ds_read_b128 v[28:31], v14 offset:16
	v_cvt_pk_f32_fp8_sdwa v[38:39], v16 src0_sel:WORD_1
	s_waitcnt lgkmcnt(1)
	v_mfma_f32_16x16x16_f16 v[32:35], v[32:33], v[20:21], 0
	v_cvt_pkrtz_f16_f32 v36, v36, v37
	s_load_dword s4, s[42:43], 0x0
	v_cvt_pkrtz_f16_f32 v37, v38, v39
	v_cvt_pk_f32_fp8_e32 v[38:39], v17
	v_cvt_pk_f32_fp8_sdwa v[16:17], v17 src0_sel:WORD_1
	v_mfma_f32_16x16x16_f16 v[20:23], v[24:25], v[22:23], v[32:35]
	s_mov_b32 s3, 0
	v_cvt_pkrtz_f16_f32 v24, v38, v39
	v_cvt_pkrtz_f16_f32 v25, v16, v17
	s_waitcnt lgkmcnt(0)
	v_mfma_f32_16x16x16_f16 v[20:23], v[36:37], v[28:29], v[20:23]
	s_waitcnt vmcnt(2)
	v_cvt_pk_f32_fp8_e32 v[16:17], v10
	v_cvt_pk_f32_fp8_e32 v[28:29], v11
	v_cvt_pk_f32_fp8_sdwa v[36:37], v12 src0_sel:WORD_1
	v_mfma_f32_16x16x16_f16 v[20:23], v[24:25], v[30:31], v[20:23]
	v_cvt_pk_f32_fp8_sdwa v[24:25], v10 src0_sel:WORD_1
	v_cvt_pkrtz_f16_f32 v10, v16, v17
	v_cvt_pk_f32_fp8_sdwa v[16:17], v11 src0_sel:WORD_1
	ds_read_b128 v[32:35], v14 offset:2064
	v_cvt_pkrtz_f16_f32 v11, v24, v25
	v_cvt_pkrtz_f16_f32 v24, v28, v29
	ds_read_b128 v[28:31], v14 offset:2048
	v_cvt_pkrtz_f16_f32 v25, v16, v17
	v_cvt_pk_f32_fp8_e32 v[16:17], v12
	s_waitcnt lgkmcnt(0)
	v_mfma_f32_16x16x16_f16 v[20:23], v[10:11], v[28:29], v[20:23]
	v_cvt_pkrtz_f16_f32 v10, v16, v17
	v_cvt_pkrtz_f16_f32 v11, v36, v37
	v_cvt_pk_f32_fp8_e32 v[16:17], v13
	v_mfma_f32_16x16x16_f16 v[20:23], v[24:25], v[30:31], v[20:23]
	v_cvt_pk_f32_fp8_sdwa v[24:25], v13 src0_sel:WORD_1
	ds_read_b128 v[28:31], v14 offset:4112
	v_cvt_pkrtz_f16_f32 v16, v16, v17
	v_mfma_f32_16x16x16_f16 v[10:13], v[10:11], v[32:33], v[20:23]
	v_cvt_pkrtz_f16_f32 v17, v24, v25
	s_waitcnt vmcnt(1)
	v_cvt_pk_f32_fp8_sdwa v[24:25], v7 src0_sel:WORD_1
	v_cvt_pk_f32_fp8_sdwa v[32:33], v8 src0_sel:WORD_1
	v_cvt_pk_f32_fp8_e32 v[20:21], v6
	v_mfma_f32_16x16x16_f16 v[10:13], v[16:17], v[34:35], v[10:13]
	v_cvt_pk_f32_fp8_sdwa v[16:17], v6 src0_sel:WORD_1
	v_cvt_pk_f32_fp8_e32 v[22:23], v7
	v_cvt_pkrtz_f16_f32 v6, v20, v21
	v_mov_b32_e32 v27, 0
	v_cvt_pkrtz_f16_f32 v7, v16, v17
	v_cvt_pkrtz_f16_f32 v16, v22, v23
	ds_read_b128 v[20:23], v14 offset:4096
	v_cvt_pkrtz_f16_f32 v17, v24, v25
	v_cvt_pk_f32_fp8_e32 v[24:25], v8
	s_waitcnt lgkmcnt(0)
	v_mfma_f32_16x16x16_f16 v[10:13], v[6:7], v[20:21], v[10:13]
	v_cvt_pkrtz_f16_f32 v6, v24, v25
	v_cvt_pkrtz_f16_f32 v7, v32, v33
	v_cvt_pk_f32_fp8_e32 v[20:21], v9
	v_mfma_f32_16x16x16_f16 v[10:13], v[16:17], v[22:23], v[10:13]
	v_cvt_pk_f32_fp8_sdwa v[16:17], v9 src0_sel:WORD_1
	s_waitcnt vmcnt(0)
	v_cvt_pk_f32_fp8_sdwa v[24:25], v4 src0_sel:WORD_1
	v_cvt_pkrtz_f16_f32 v20, v20, v21
	v_mfma_f32_16x16x16_f16 v[6:9], v[6:7], v[28:29], v[10:13]
	v_cvt_pkrtz_f16_f32 v21, v16, v17
	v_cvt_pk_f32_fp8_e32 v[16:17], v3
	v_cvt_pkrtz_f16_f32 v22, v16, v17
	v_cvt_pk_f32_fp8_e32 v[10:11], v2
	v_cvt_pk_f32_fp8_sdwa v[12:13], v2 src0_sel:WORD_1
	v_mfma_f32_16x16x16_f16 v[6:9], v[20:21], v[30:31], v[6:9]
	v_cvt_pk_f32_fp8_sdwa v[20:21], v3 src0_sel:WORD_1
	v_cvt_pkrtz_f16_f32 v2, v10, v11
	v_cvt_pkrtz_f16_f32 v3, v12, v13
	ds_read_b128 v[10:13], v14 offset:6144
	v_cvt_pkrtz_f16_f32 v23, v20, v21
	v_cvt_pk_f32_fp8_e32 v[20:21], v4
	s_waitcnt lgkmcnt(0)
	v_mfma_f32_16x16x16_f16 v[6:9], v[2:3], v[10:11], v[6:9]
	ds_read_b128 v[14:17], v14 offset:6160
	v_cvt_pkrtz_f16_f32 v2, v20, v21
	v_cvt_pkrtz_f16_f32 v3, v24, v25
	v_cvt_pk_f32_fp8_e32 v[10:11], v5
	v_mfma_f32_16x16x16_f16 v[6:9], v[22:23], v[12:13], v[6:9]
	v_cvt_pk_f32_fp8_sdwa v[12:13], v5 src0_sel:WORD_1
	s_waitcnt lgkmcnt(0)
	v_cvt_pkrtz_f16_f32 v10, v10, v11
	v_mfma_f32_16x16x16_f16 v[2:5], v[2:3], v[14:15], v[6:9]
	v_cvt_pkrtz_f16_f32 v11, v12, v13
	s_barrier
	s_nop 0
	v_mfma_f32_16x16x16_f16 v[2:5], v[10:11], v[16:17], v[2:5]
	s_nop 6
	v_pk_mul_f32 v[4:5], v[4:5], s[4:5] op_sel_hi:[1,0]
	v_pk_mul_f32 v[2:3], v[2:3], s[4:5] op_sel_hi:[1,0]
	v_cvt_f16_f32_e32 v4, v4
	v_cvt_f16_f32_e32 v2, v2
	;; [unrolled: 1-line block ×4, first 2 shown]
	v_pack_b32_f16 v2, v2, v3
	v_pack_b32_f16 v3, v4, v5
	ds_write_b64 v18, v[2:3]
	s_waitcnt lgkmcnt(0)
	s_barrier
	s_and_saveexec_b64 s[4:5], s[48:49]
	s_cbranch_execz .LBB867_19
; %bb.18:
	s_load_dwordx2 s[0:1], s[0:1], 0x68
	s_lshl_b32 s6, s6, 6
	s_mul_i32 s2, s7, s2
	s_mul_hi_u32 s5, s2, s6
	s_mul_i32 s4, s2, s6
	v_lshlrev_b32_e32 v0, 10, v0
	s_lshl_b64 s[4:5], s[4:5], 1
	v_and_b32_e32 v0, 0x1800, v0
	v_and_b32_e32 v2, 16, v41
	s_waitcnt lgkmcnt(0)
	s_add_u32 s4, s0, s4
	v_or3_b32 v0, v0, v40, v2
	s_addc_u32 s5, s1, s5
	s_lshl_b32 s2, s22, 6
	ds_read_b128 v[2:5], v0
	s_lshl_b64 s[0:1], s[2:3], 1
	s_add_u32 s0, s4, s0
	s_addc_u32 s1, s5, s1
	v_mad_u64_u32 v[0:1], s[2:3], s6, v1, 0
	v_lshl_add_u64 v[0:1], v[0:1], 1, s[0:1]
	v_lshl_add_u64 v[0:1], v[0:1], 0, v[26:27]
	s_waitcnt lgkmcnt(0)
	global_store_dwordx4 v[0:1], v[2:5], off
.LBB867_19:
	s_endpgm
	.section	.rodata,"a",@progbits
	.p2align	6, 0x0
	.amdhsa_kernel _Z39paged_attention_ll4mi_QKV_mfma16_kernelIDF16_hLN4vllm18Fp8KVCacheDataTypeE1EhLi32ELi64ELi256ELb1ELi4EEvPKT_PKT0_S7_ifPKiS9_S9_iPKfiiiPfSC_PS2_PT2_iSB_SB_
		.amdhsa_group_segment_fixed_size 8192
		.amdhsa_private_segment_fixed_size 0
		.amdhsa_kernarg_size 400
		.amdhsa_user_sgpr_count 2
		.amdhsa_user_sgpr_dispatch_ptr 0
		.amdhsa_user_sgpr_queue_ptr 0
		.amdhsa_user_sgpr_kernarg_segment_ptr 1
		.amdhsa_user_sgpr_dispatch_id 0
		.amdhsa_user_sgpr_kernarg_preload_length 0
		.amdhsa_user_sgpr_kernarg_preload_offset 0
		.amdhsa_user_sgpr_private_segment_size 0
		.amdhsa_uses_dynamic_stack 0
		.amdhsa_enable_private_segment 0
		.amdhsa_system_sgpr_workgroup_id_x 1
		.amdhsa_system_sgpr_workgroup_id_y 1
		.amdhsa_system_sgpr_workgroup_id_z 1
		.amdhsa_system_sgpr_workgroup_info 0
		.amdhsa_system_vgpr_workitem_id 0
		.amdhsa_next_free_vgpr 75
		.amdhsa_next_free_sgpr 50
		.amdhsa_accum_offset 76
		.amdhsa_reserve_vcc 1
		.amdhsa_float_round_mode_32 0
		.amdhsa_float_round_mode_16_64 0
		.amdhsa_float_denorm_mode_32 3
		.amdhsa_float_denorm_mode_16_64 3
		.amdhsa_dx10_clamp 1
		.amdhsa_ieee_mode 1
		.amdhsa_fp16_overflow 0
		.amdhsa_tg_split 0
		.amdhsa_exception_fp_ieee_invalid_op 0
		.amdhsa_exception_fp_denorm_src 0
		.amdhsa_exception_fp_ieee_div_zero 0
		.amdhsa_exception_fp_ieee_overflow 0
		.amdhsa_exception_fp_ieee_underflow 0
		.amdhsa_exception_fp_ieee_inexact 0
		.amdhsa_exception_int_div_zero 0
	.end_amdhsa_kernel
	.section	.text._Z39paged_attention_ll4mi_QKV_mfma16_kernelIDF16_hLN4vllm18Fp8KVCacheDataTypeE1EhLi32ELi64ELi256ELb1ELi4EEvPKT_PKT0_S7_ifPKiS9_S9_iPKfiiiPfSC_PS2_PT2_iSB_SB_,"axG",@progbits,_Z39paged_attention_ll4mi_QKV_mfma16_kernelIDF16_hLN4vllm18Fp8KVCacheDataTypeE1EhLi32ELi64ELi256ELb1ELi4EEvPKT_PKT0_S7_ifPKiS9_S9_iPKfiiiPfSC_PS2_PT2_iSB_SB_,comdat
.Lfunc_end867:
	.size	_Z39paged_attention_ll4mi_QKV_mfma16_kernelIDF16_hLN4vllm18Fp8KVCacheDataTypeE1EhLi32ELi64ELi256ELb1ELi4EEvPKT_PKT0_S7_ifPKiS9_S9_iPKfiiiPfSC_PS2_PT2_iSB_SB_, .Lfunc_end867-_Z39paged_attention_ll4mi_QKV_mfma16_kernelIDF16_hLN4vllm18Fp8KVCacheDataTypeE1EhLi32ELi64ELi256ELb1ELi4EEvPKT_PKT0_S7_ifPKiS9_S9_iPKfiiiPfSC_PS2_PT2_iSB_SB_
                                        ; -- End function
	.section	.AMDGPU.csdata,"",@progbits
; Kernel info:
; codeLenInByte = 4840
; NumSgprs: 56
; NumVgprs: 75
; NumAgprs: 0
; TotalNumVgprs: 75
; ScratchSize: 0
; MemoryBound: 0
; FloatMode: 240
; IeeeMode: 1
; LDSByteSize: 8192 bytes/workgroup (compile time only)
; SGPRBlocks: 6
; VGPRBlocks: 9
; NumSGPRsForWavesPerEU: 56
; NumVGPRsForWavesPerEU: 75
; AccumOffset: 76
; Occupancy: 6
; WaveLimiterHint : 1
; COMPUTE_PGM_RSRC2:SCRATCH_EN: 0
; COMPUTE_PGM_RSRC2:USER_SGPR: 2
; COMPUTE_PGM_RSRC2:TRAP_HANDLER: 0
; COMPUTE_PGM_RSRC2:TGID_X_EN: 1
; COMPUTE_PGM_RSRC2:TGID_Y_EN: 1
; COMPUTE_PGM_RSRC2:TGID_Z_EN: 1
; COMPUTE_PGM_RSRC2:TIDIG_COMP_CNT: 0
; COMPUTE_PGM_RSRC3_GFX90A:ACCUM_OFFSET: 18
; COMPUTE_PGM_RSRC3_GFX90A:TG_SPLIT: 0
	.section	.text._Z38paged_attention_ll4mi_QKV_mfma4_kernelIDF16_hLN4vllm18Fp8KVCacheDataTypeE1EhLi32ELi64ELi256ELb0ELi1EEvPKT_PKT0_S7_ifPKiS9_S9_iPKfiiiPfSC_PS2_PT2_iSB_SB_,"axG",@progbits,_Z38paged_attention_ll4mi_QKV_mfma4_kernelIDF16_hLN4vllm18Fp8KVCacheDataTypeE1EhLi32ELi64ELi256ELb0ELi1EEvPKT_PKT0_S7_ifPKiS9_S9_iPKfiiiPfSC_PS2_PT2_iSB_SB_,comdat
	.protected	_Z38paged_attention_ll4mi_QKV_mfma4_kernelIDF16_hLN4vllm18Fp8KVCacheDataTypeE1EhLi32ELi64ELi256ELb0ELi1EEvPKT_PKT0_S7_ifPKiS9_S9_iPKfiiiPfSC_PS2_PT2_iSB_SB_ ; -- Begin function _Z38paged_attention_ll4mi_QKV_mfma4_kernelIDF16_hLN4vllm18Fp8KVCacheDataTypeE1EhLi32ELi64ELi256ELb0ELi1EEvPKT_PKT0_S7_ifPKiS9_S9_iPKfiiiPfSC_PS2_PT2_iSB_SB_
	.globl	_Z38paged_attention_ll4mi_QKV_mfma4_kernelIDF16_hLN4vllm18Fp8KVCacheDataTypeE1EhLi32ELi64ELi256ELb0ELi1EEvPKT_PKT0_S7_ifPKiS9_S9_iPKfiiiPfSC_PS2_PT2_iSB_SB_
	.p2align	8
	.type	_Z38paged_attention_ll4mi_QKV_mfma4_kernelIDF16_hLN4vllm18Fp8KVCacheDataTypeE1EhLi32ELi64ELi256ELb0ELi1EEvPKT_PKT0_S7_ifPKiS9_S9_iPKfiiiPfSC_PS2_PT2_iSB_SB_,@function
_Z38paged_attention_ll4mi_QKV_mfma4_kernelIDF16_hLN4vllm18Fp8KVCacheDataTypeE1EhLi32ELi64ELi256ELb0ELi1EEvPKT_PKT0_S7_ifPKiS9_S9_iPKfiiiPfSC_PS2_PT2_iSB_SB_: ; @_Z38paged_attention_ll4mi_QKV_mfma4_kernelIDF16_hLN4vllm18Fp8KVCacheDataTypeE1EhLi32ELi64ELi256ELb0ELi1EEvPKT_PKT0_S7_ifPKiS9_S9_iPKfiiiPfSC_PS2_PT2_iSB_SB_
; %bb.0:
	s_load_dwordx2 s[20:21], s[0:1], 0x30
	s_mov_b32 s24, s3
	s_mov_b64 s[6:7], 0
	s_waitcnt lgkmcnt(0)
	s_cmp_lg_u64 s[20:21], 0
	s_cselect_b64 s[22:23], -1, 0
	s_and_b64 vcc, exec, s[22:23]
	s_cbranch_vccz .LBB868_10
; %bb.1:
	s_add_i32 s8, s2, 1
	s_mov_b32 s9, 0
	s_lshl_b64 s[10:11], s[8:9], 2
	s_add_u32 s10, s20, s10
	s_mov_b32 s3, s9
	s_addc_u32 s11, s21, s11
	s_lshl_b64 s[8:9], s[2:3], 2
	s_add_u32 s8, s20, s8
	s_addc_u32 s9, s21, s9
	s_load_dword s5, s[10:11], 0x0
	s_load_dword s12, s[8:9], 0x0
	s_waitcnt lgkmcnt(0)
	s_sub_i32 s5, s5, s12
	s_cmp_eq_u32 s5, 1
	s_cselect_b64 s[8:9], -1, 0
	s_andn2_b64 vcc, exec, s[6:7]
	s_cbranch_vccnz .LBB868_3
.LBB868_2:
	s_mov_b32 s3, 0
	s_mov_b64 s[8:9], -1
.LBB868_3:
	s_andn2_b64 vcc, exec, s[8:9]
	s_cbranch_vccnz .LBB868_23
; %bb.4:
	s_load_dword s5, s[0:1], 0x9c
	s_load_dwordx2 s[6:7], s[0:1], 0x28
	s_add_u32 s28, s0, 0x90
	s_addc_u32 s29, s1, 0
	s_lshl_b64 s[34:35], s[2:3], 2
	s_waitcnt lgkmcnt(0)
	s_and_b32 s5, s5, 0xffff
	s_add_u32 s6, s6, s34
	s_addc_u32 s7, s7, s35
	s_load_dword s3, s[6:7], 0x0
	s_mul_i32 s10, s24, s5
	s_waitcnt lgkmcnt(0)
	s_cmp_ge_i32 s10, s3
	s_cbranch_scc1 .LBB868_23
; %bb.5:
	v_and_b32_e32 v2, 0xc0, v0
	v_add_u32_e32 v4, s10, v2
	v_lshrrev_b32_e32 v1, 6, v0
	v_cmp_gt_i32_e64 s[6:7], s3, v4
	v_cmp_le_i32_e32 vcc, s3, v4
                                        ; implicit-def: $sgpr25
                                        ; implicit-def: $sgpr11
	s_and_saveexec_b64 s[8:9], vcc
	s_xor_b64 s[8:9], exec, s[8:9]
	s_cbranch_execz .LBB868_7
; %bb.6:
	v_mul_u32_u24_e32 v2, 20, v1
	v_or_b32_e32 v2, 0xa00, v2
	v_mov_b32_e32 v3, 0xa50
	v_mov_b32_e32 v4, 0xff7fffff
	v_mad_u32_u24 v3, v1, 20, v3
	ds_write2_b32 v2, v4, v4 offset1:1
	v_mov_b32_e32 v2, 0
	ds_write2_b32 v3, v2, v2 offset1:1
	v_mov_b32_e32 v3, 0xa08
	s_mov_b32 s11, 0xff7fffff
	s_mov_b32 s25, 0
	v_mad_u32_u24 v3, v1, 20, v3
	v_mov_b32_e32 v5, 0xa58
	v_mad_u32_u24 v5, v1, 20, v5
	ds_write2_b32 v3, v4, v4 offset1:1
	ds_write2_b32 v5, v2, v2 offset1:1
                                        ; implicit-def: $vgpr4
.LBB868_7:
	s_or_saveexec_b64 s[30:31], s[8:9]
	s_load_dwordx2 s[26:27], s[0:1], 0x68
	s_load_dwordx4 s[16:19], s[0:1], 0x58
	s_load_dword s5, s[28:29], 0x4
	s_load_dwordx4 s[12:15], s[0:1], 0x80
	v_and_b32_e32 v30, 63, v0
	v_and_b32_e32 v31, 3, v0
	v_mov_b32_e32 v21, s25
	v_mov_b32_e32 v24, s11
	;; [unrolled: 1-line block ×5, first 2 shown]
                                        ; implicit-def: $vgpr10_vgpr11
                                        ; implicit-def: $vgpr6_vgpr7
                                        ; implicit-def: $vgpr14_vgpr15
                                        ; implicit-def: $vgpr2_vgpr3
	s_xor_b64 exec, exec, s[30:31]
	s_cbranch_execz .LBB868_17
; %bb.8:
	s_load_dwordx2 s[8:9], s[0:1], 0x20
	s_load_dword s11, s[0:1], 0x38
	s_add_i32 s25, s3, 31
	s_ashr_i32 s33, s25, 31
	s_lshr_b32 s33, s33, 27
	v_add_u32_e32 v32, s10, v0
	s_add_i32 s25, s25, s33
	v_ashrrev_i32_e32 v2, 31, v32
	v_ashrrev_i32_e32 v5, 31, v4
	s_ashr_i32 s25, s25, 5
	v_lshrrev_b32_e32 v2, 27, v2
	v_lshrrev_b32_e32 v5, 27, v5
	s_add_i32 s25, s25, -1
	s_waitcnt lgkmcnt(0)
	s_mul_i32 s36, s2, s11
	s_mov_b32 s37, 0
	v_add_u32_e32 v2, v32, v2
	v_add_u32_e32 v4, v4, v5
	s_lshl_b64 s[36:37], s[36:37], 2
	v_ashrrev_i32_e32 v2, 5, v2
	v_mov_b32_e32 v3, s25
	v_cmp_gt_i32_e32 vcc, s3, v32
	v_ashrrev_i32_e32 v6, 5, v4
	s_add_u32 s8, s8, s36
	v_cndmask_b32_e32 v2, v3, v2, vcc
	v_min_i32_e32 v4, s25, v6
	v_add_u32_e32 v6, 1, v6
	s_addc_u32 s9, s9, s37
	v_ashrrev_i32_e32 v3, 31, v2
	v_min_i32_e32 v6, s25, v6
	v_lshl_add_u64 v[2:3], v[2:3], 2, s[8:9]
	v_ashrrev_i32_e32 v5, 31, v4
	v_ashrrev_i32_e32 v7, 31, v6
	v_lshl_add_u64 v[4:5], v[4:5], 2, s[8:9]
	v_lshl_add_u64 v[10:11], v[6:7], 2, s[8:9]
	global_load_dword v6, v[2:3], off
	global_load_dword v9, v[4:5], off
	;; [unrolled: 1-line block ×3, first 2 shown]
	s_load_dwordx4 s[8:11], s[0:1], 0x8
	s_andn2_b64 vcc, exec, s[22:23]
	s_cbranch_vccnz .LBB868_11
; %bb.9:
	s_add_u32 s20, s20, s34
	s_addc_u32 s21, s21, s35
	s_load_dword s25, s[20:21], 0x0
	s_branch .LBB868_12
.LBB868_10:
	s_mov_b64 s[8:9], 0
	s_branch .LBB868_2
.LBB868_11:
	s_mov_b32 s25, s2
.LBB868_12:
	s_load_dwordx4 s[20:23], s[0:1], 0x48
	v_cmp_eq_u32_e32 vcc, 0, v31
	s_mov_b32 s37, 0
	v_mov_b32_e32 v33, 0
	v_mov_b32_e32 v7, 0
	v_mov_b32_e32 v2, 0
	v_mov_b32_e32 v3, 0
	v_mov_b32_e32 v4, 0
	v_mov_b32_e32 v5, 0
	s_and_saveexec_b64 s[34:35], vcc
	s_cbranch_execz .LBB868_14
; %bb.13:
	s_load_dwordx2 s[38:39], s[0:1], 0x0
	s_waitcnt lgkmcnt(0)
	s_ashr_i32 s23, s20, 31
	s_mul_hi_u32 s33, s25, s20
	s_mul_i32 s23, s25, s23
	s_add_i32 s41, s33, s23
	s_mul_i32 s40, s25, s20
	s_lshl_b64 s[40:41], s[40:41], 1
	s_add_u32 s20, s38, s40
	s_addc_u32 s23, s39, s41
	s_lshl_b32 s36, s4, 6
	s_lshl_b64 s[36:37], s[36:37], 1
	s_add_u32 s36, s20, s36
	s_addc_u32 s37, s23, s37
	v_lshlrev_b32_e32 v2, 2, v30
	global_load_dwordx4 v[2:5], v2, s[36:37]
	v_mov_b32_e32 v33, 1.0
.LBB868_14:
	s_or_b64 exec, exec, s[34:35]
	s_waitcnt lgkmcnt(0)
	s_mul_i32 s20, s4, s22
	s_add_u32 s8, s20, s8
	s_addc_u32 s9, 0, s9
	v_mov_b64_e32 v[10:11], s[8:9]
	s_waitcnt vmcnt(2)
	v_mad_i64_i32 v[10:11], s[8:9], v6, s21, v[10:11]
	v_lshlrev_b32_e32 v6, 4, v0
	v_and_b32_e32 v6, 0x1f0, v6
	v_lshl_add_u64 v[10:11], v[10:11], 0, v[6:7]
	global_load_dwordx4 v[26:29], v[10:11], off
	global_load_dwordx4 v[22:25], v[10:11], off offset:512
	global_load_dwordx4 v[18:21], v[10:11], off offset:1024
	;; [unrolled: 1-line block ×3, first 2 shown]
	s_load_dword s8, s[0:1], 0x1c
	s_load_dword s9, s[12:13], 0x0
	s_waitcnt vmcnt(5)
	v_mul_hi_i32 v6, v9, s21
	s_add_u32 s0, s10, s20
	s_waitcnt vmcnt(4)
	v_mul_hi_i32 v10, v8, s21
	v_ashrrev_i32_e32 v12, 31, v6
	s_addc_u32 s1, s11, 0
	v_lshlrev_b32_e32 v6, 5, v30
	v_ashrrev_i32_e32 v36, 31, v10
	s_waitcnt lgkmcnt(0)
	v_mov_b32_e32 v13, s8
	v_lshl_add_u64 v[10:11], s[0:1], 0, v[6:7]
	v_lshrrev_b32_e32 v6, 29, v12
	v_mul_f32_e32 v34, s9, v13
	v_mad_i64_i32 v[12:13], s[0:1], v9, s21, v[6:7]
	v_lshrrev_b32_e32 v6, 29, v36
	v_and_b32_e32 v12, -8, v12
	v_mad_i64_i32 v[6:7], s[0:1], v8, s21, v[6:7]
	v_lshl_add_u64 v[36:37], v[10:11], 0, v[12:13]
	v_and_b32_e32 v6, -8, v6
	v_lshl_add_u64 v[38:39], v[10:11], 0, v[6:7]
	global_load_dwordx4 v[6:9], v[36:37], off offset:16
	global_load_dwordx4 v[10:13], v[36:37], off
	v_and_b32_e32 v35, -4, v32
	v_cmp_eq_u32_e32 vcc, 1, v31
	s_waitcnt vmcnt(5)
	v_cvt_pk_f32_fp8_e32 v[36:37], v26
	v_cvt_pk_f32_fp8_sdwa v[40:41], v26 src0_sel:WORD_1
	v_cvt_pk_f32_fp8_e32 v[42:43], v27
	v_cvt_pk_f32_fp8_sdwa v[26:27], v27 src0_sel:WORD_1
	;; [unrolled: 2-line block ×3, first 2 shown]
	v_cvt_pkrtz_f16_f32 v36, v36, v37
	v_cvt_pkrtz_f16_f32 v37, v40, v41
	v_cvt_pk_f32_fp8_e32 v[48:49], v29
	v_cvt_pk_f32_fp8_sdwa v[28:29], v29 src0_sel:WORD_1
	v_mfma_f32_4x4x4_16b_f16 a[0:3], v[2:3], v[36:37], 0 cbsz:4
	v_cvt_pkrtz_f16_f32 v40, v42, v43
	v_cvt_pkrtz_f16_f32 v41, v26, v27
	s_waitcnt vmcnt(4)
	v_cvt_pk_f32_fp8_e32 v[50:51], v22
	v_cvt_pk_f32_fp8_sdwa v[52:53], v22 src0_sel:WORD_1
	v_mfma_f32_4x4x4_16b_f16 a[0:3], v[4:5], v[40:41], a[0:3] cbsz:4
	v_cvt_pkrtz_f16_f32 v26, v44, v45
	v_cvt_pkrtz_f16_f32 v27, v46, v47
	v_cvt_pk_f32_fp8_e32 v[54:55], v23
	v_cvt_pk_f32_fp8_sdwa v[22:23], v23 src0_sel:WORD_1
	v_mfma_f32_4x4x4_16b_f16 a[0:3], v[2:3], v[26:27], a[0:3] cbsz:4 abid:1
	v_cvt_pkrtz_f16_f32 v42, v48, v49
	v_cvt_pkrtz_f16_f32 v43, v28, v29
	v_cvt_pk_f32_fp8_e32 v[56:57], v24
	v_cvt_pk_f32_fp8_sdwa v[58:59], v24 src0_sel:WORD_1
	v_mfma_f32_4x4x4_16b_f16 a[0:3], v[4:5], v[42:43], a[0:3] cbsz:4 abid:1
	;; [unrolled: 5-line block ×3, first 2 shown]
	v_cvt_pkrtz_f16_f32 v44, v54, v55
	v_cvt_pkrtz_f16_f32 v45, v22, v23
	s_waitcnt vmcnt(3)
	v_cvt_pk_f32_fp8_e32 v[62:63], v18
	v_cvt_pk_f32_fp8_sdwa v[64:65], v18 src0_sel:WORD_1
	v_mfma_f32_4x4x4_16b_f16 a[0:3], v[4:5], v[44:45], a[0:3] cbsz:4 abid:2
	v_cvt_pkrtz_f16_f32 v22, v56, v57
	v_cvt_pkrtz_f16_f32 v23, v58, v59
	v_cvt_pk_f32_fp8_e32 v[66:67], v19
	v_cvt_pk_f32_fp8_sdwa v[18:19], v19 src0_sel:WORD_1
	v_mfma_f32_4x4x4_16b_f16 a[0:3], v[2:3], v[22:23], a[0:3] cbsz:4 abid:3
	v_cvt_pkrtz_f16_f32 v46, v60, v61
	v_cvt_pkrtz_f16_f32 v47, v24, v25
	;; [unrolled: 5-line block ×4, first 2 shown]
	s_waitcnt vmcnt(2)
	v_cvt_pk_f32_fp8_e32 v[74:75], v14
	v_cvt_pk_f32_fp8_sdwa v[76:77], v14 src0_sel:WORD_1
	v_mfma_f32_4x4x4_16b_f16 a[0:3], v[4:5], v[36:37], a[0:3] cbsz:4 abid:4
	v_cvt_pkrtz_f16_f32 v18, v68, v69
	v_cvt_pkrtz_f16_f32 v19, v70, v71
	v_cvt_pk_f32_fp8_e32 v[78:79], v15
	v_cvt_pk_f32_fp8_sdwa v[14:15], v15 src0_sel:WORD_1
	v_mfma_f32_4x4x4_16b_f16 a[0:3], v[2:3], v[18:19], a[0:3] cbsz:4 abid:5
	v_cvt_pkrtz_f16_f32 v26, v72, v73
	v_cvt_pkrtz_f16_f32 v27, v20, v21
	v_cvt_pk_f32_fp8_e32 v[80:81], v16
	v_cvt_pk_f32_fp8_sdwa v[82:83], v16 src0_sel:WORD_1
	v_mfma_f32_4x4x4_16b_f16 a[0:3], v[4:5], v[26:27], a[0:3] cbsz:4 abid:5
	v_cvt_pkrtz_f16_f32 v20, v74, v75
	v_cvt_pkrtz_f16_f32 v21, v76, v77
	v_cvt_pk_f32_fp8_e32 v[84:85], v17
	v_cvt_pk_f32_fp8_sdwa v[16:17], v17 src0_sel:WORD_1
	v_mfma_f32_4x4x4_16b_f16 a[0:3], v[2:3], v[20:21], a[0:3] cbsz:4 abid:6
	v_cvt_pkrtz_f16_f32 v22, v78, v79
	v_cvt_pkrtz_f16_f32 v23, v14, v15
	v_cvt_pkrtz_f16_f32 v14, v80, v81
	v_cvt_pkrtz_f16_f32 v15, v82, v83
	v_mfma_f32_4x4x4_16b_f16 a[0:3], v[4:5], v[22:23], a[0:3] cbsz:4 abid:6
	v_cvt_pkrtz_f16_f32 v18, v84, v85
	v_cvt_pkrtz_f16_f32 v19, v16, v17
	v_mfma_f32_4x4x4_16b_f16 a[0:3], v[2:3], v[14:15], a[0:3] cbsz:4 abid:7
	v_cndmask_b32_e64 v86, 0, 1.0, vcc
	v_cmp_eq_u32_e32 vcc, 2, v31
	v_mfma_f32_4x4x4_16b_f16 a[0:3], v[4:5], v[18:19], a[0:3] cbsz:4 abid:7
	s_nop 4
	v_accvgpr_read_b32 v3, a1
	v_accvgpr_read_b32 v2, a0
	v_pk_mul_f32 v[18:19], v[2:3], v[34:35] op_sel_hi:[1,0]
	global_load_dwordx4 v[2:5], v[38:39], off offset:16
	global_load_dwordx4 v[14:17], v[38:39], off
	v_accvgpr_read_b32 v21, a3
	v_accvgpr_read_b32 v20, a2
	v_pk_mul_f32 v[20:21], v[20:21], v[34:35] op_sel_hi:[1,0]
	v_mfma_f32_4x4x1_16b_f32 a[0:3], v18, v33, 0
	v_cndmask_b32_e64 v18, 0, 1.0, vcc
	v_cmp_eq_u32_e32 vcc, 3, v31
	v_mfma_f32_4x4x1_16b_f32 a[0:3], v19, v86, a[0:3]
	s_nop 0
	v_cndmask_b32_e64 v19, 0, 1.0, vcc
	v_mfma_f32_4x4x1_16b_f32 a[0:3], v20, v18, a[0:3]
	v_cmp_gt_i32_e32 vcc, s3, v35
	v_lshlrev_b32_e32 v18, 2, v0
	v_mfma_f32_4x4x1_16b_f32 a[0:3], v21, v19, a[0:3]
	v_mov_b32_e32 v21, 0xff7fffff
	v_and_or_b32 v18, v18, 48, v31
	v_lshlrev_b32_e32 v26, 2, v18
	s_nop 0
	v_accvgpr_read_b32 v19, a0
	v_max_f32_e32 v20, v19, v19
	v_max_f32_e32 v20, 0xff7fffff, v20
	v_accvgpr_read_b32 v22, a1
	v_cndmask_b32_e32 v20, v21, v20, vcc
	v_or_b32_e32 v21, 1, v35
	v_max_f32_e32 v23, v22, v22
	v_max_f32_e32 v23, v20, v23
	v_cmp_gt_i32_e64 s[0:1], s3, v21
	v_or_b32_e32 v21, 2, v35
	v_cmp_gt_i32_e64 s[8:9], s3, v21
	v_cndmask_b32_e64 v20, v20, v23, s[0:1]
	v_accvgpr_read_b32 v23, a2
	v_max_f32_e32 v24, v23, v23
	v_max_f32_e32 v24, v20, v24
	v_accvgpr_read_b32 v25, a3
	v_cndmask_b32_e64 v20, v20, v24, s[8:9]
	v_or_b32_e32 v21, 3, v32
	v_max_f32_e32 v24, v25, v25
	v_max_f32_e32 v24, v20, v24
	v_cmp_gt_i32_e64 s[10:11], s3, v21
	s_nop 1
	v_cndmask_b32_e64 v20, v20, v24, s[10:11]
	;;#ASMSTART
	v_nop
 v_nop
 v_max_f32_dpp v18, v20, v20 row_ror:4
	;;#ASMEND
	s_nop 0
	;;#ASMSTART
	v_nop
 v_nop
 v_max_f32_dpp v18, v18, v18 row_ror:8
	;;#ASMEND
	ds_bpermute_b32 v18, v26, v18
	s_waitcnt lgkmcnt(0)
	;;#ASMSTART
	v_nop
 v_nop
 v_max_f32_dpp v18, v18, v18 row_ror:4
	;;#ASMEND
	s_nop 0
	;;#ASMSTART
	v_nop
 v_nop
 v_max_f32_dpp v24, v18, v18 row_ror:8
	;;#ASMEND
	s_nop 0
	v_sub_f32_e32 v18, v19, v24
	v_mul_f32_e32 v18, 0x3fb8aa3b, v18
	v_sub_f32_e32 v19, v22, v24
	v_exp_f32_e32 v18, v18
	v_mul_f32_e32 v19, 0x3fb8aa3b, v19
	v_sub_f32_e32 v21, v23, v24
	v_exp_f32_e32 v19, v19
	;; [unrolled: 3-line block ×3, first 2 shown]
	v_mul_f32_e32 v22, 0x3fb8aa3b, v22
	v_exp_f32_e32 v22, v22
	v_cndmask_b32_e32 v18, 0, v18, vcc
	v_add_f32_e32 v20, 0, v18
	v_cndmask_b32_e64 v19, 0, v19, s[0:1]
	v_add_f32_e32 v23, v20, v19
	v_cndmask_b32_e64 v20, 0, v21, s[8:9]
	;; [unrolled: 2-line block ×3, first 2 shown]
	v_add_f32_e32 v22, v23, v21
	;;#ASMSTART
	v_nop
 v_nop
 v_add_f32_dpp v22, v22, v22 row_ror:4
	;;#ASMEND
	v_cmp_gt_u32_e32 vcc, 4, v30
	;;#ASMSTART
	v_nop
 v_nop
 v_add_f32_dpp v22, v22, v22 row_ror:8
	;;#ASMEND
	ds_bpermute_b32 v22, v26, v22
	s_waitcnt lgkmcnt(0)
	;;#ASMSTART
	v_nop
 v_nop
 v_add_f32_dpp v22, v22, v22 row_ror:4
	;;#ASMEND
	s_nop 0
	;;#ASMSTART
	v_nop
 v_nop
 v_add_f32_dpp v22, v22, v22 row_ror:8
	;;#ASMEND
	s_and_saveexec_b64 s[0:1], vcc
	s_cbranch_execz .LBB868_16
; %bb.15:
	v_mul_u32_u24_e32 v23, 20, v1
	v_lshl_add_u32 v23, v31, 2, v23
	v_add_u32_e32 v23, 0x800, v23
	ds_write2_b32 v23, v24, v22 offset0:128 offset1:148
.LBB868_16:
	s_or_b64 exec, exec, s[0:1]
.LBB868_17:
	s_or_b64 exec, exec, s[30:31]
	s_waitcnt lgkmcnt(0)
	s_barrier
	s_load_dword s0, s[28:29], 0x8
	v_lshlrev_b32_e32 v22, 2, v31
	v_add_u32_e32 v32, 0x800, v22
	ds_read2_b32 v[22:23], v32 offset0:128 offset1:133
	ds_read2_b32 v[26:27], v32 offset0:138 offset1:143
	s_mul_i32 s1, s5, s2
	s_waitcnt lgkmcnt(0)
	s_mul_i32 s0, s1, s0
	s_mov_b32 s1, 0xff7fffff
	v_max3_f32 v25, v22, s1, v23
	v_max3_f32 v25, v25, v26, v27
	v_sub_f32_e32 v22, v22, v25
	ds_read2_b32 v[28:29], v32 offset0:148 offset1:153
	v_mul_f32_e32 v22, 0x3fb8aa3b, v22
	v_sub_f32_e32 v23, v23, v25
	v_sub_f32_e32 v26, v26, v25
	v_exp_f32_e32 v34, v22
	v_mul_f32_e32 v23, 0x3fb8aa3b, v23
	v_mul_f32_e32 v26, 0x3fb8aa3b, v26
	v_exp_f32_e32 v23, v23
	ds_read2_b32 v[32:33], v32 offset0:158 offset1:163
	v_exp_f32_e32 v35, v26
	v_sub_f32_e32 v26, v27, v25
	v_mul_f32_e32 v26, 0x3fb8aa3b, v26
	v_exp_f32_e32 v27, v26
	s_waitcnt lgkmcnt(1)
	v_fma_f32 v26, v34, v28, 0
	v_fmac_f32_e32 v26, v23, v29
	s_waitcnt lgkmcnt(0)
	v_fmac_f32_e32 v26, v35, v32
	v_mov_b32_e32 v22, 0
	v_fmac_f32_e32 v26, v27, v33
	s_mov_b32 s1, 0
	v_cmp_eq_u32_e32 vcc, 0, v31
	s_and_saveexec_b64 s[2:3], vcc
	s_cbranch_execz .LBB868_19
; %bb.18:
	s_lshl_b64 s[8:9], s[0:1], 2
	s_add_u32 s12, s16, s8
	s_mov_b32 s25, s1
	s_addc_u32 s13, s17, s9
	s_lshl_b64 s[10:11], s[24:25], 2
	s_add_u32 s12, s12, s10
	s_addc_u32 s13, s13, s11
	s_add_u32 s8, s18, s8
	s_addc_u32 s9, s19, s9
	;; [unrolled: 2-line block ×3, first 2 shown]
	s_mul_i32 s8, s5, s4
	s_mov_b32 s9, s1
	s_lshl_b64 s[8:9], s[8:9], 2
	s_add_u32 s10, s12, s8
	s_addc_u32 s11, s13, s9
	s_add_u32 s8, s16, s8
	s_addc_u32 s9, s17, s9
	global_store_dword v22, v25, s[8:9]
	global_store_dword v22, v26, s[10:11]
.LBB868_19:
	s_or_b64 exec, exec, s[2:3]
	v_mov_b32_e32 v23, 0
	s_and_saveexec_b64 s[2:3], s[6:7]
	s_cbranch_execz .LBB868_21
; %bb.20:
	v_add_f32_e32 v22, 0x358637bd, v26
	v_div_scale_f32 v23, s[6:7], v22, v22, 1.0
	v_rcp_f32_e32 v26, v23
	v_div_scale_f32 v27, vcc, 1.0, v22, 1.0
	v_sub_f32_e32 v24, v24, v25
	v_fma_f32 v28, -v23, v26, 1.0
	v_fmac_f32_e32 v26, v28, v26
	v_mul_f32_e32 v28, v27, v26
	v_fma_f32 v29, -v23, v28, v27
	v_mul_f32_e32 v24, 0x3fb8aa3b, v24
	v_fmac_f32_e32 v28, v29, v26
	v_exp_f32_e32 v24, v24
	v_fma_f32 v23, -v23, v28, v27
	v_div_fmas_f32 v23, v23, v26, v28
	v_div_fixup_f32 v22, v23, v22, 1.0
	v_mul_f32_e32 v22, v24, v22
	v_pk_mul_f32 v[20:21], v[20:21], v[22:23] op_sel_hi:[1,0]
	v_pk_mul_f32 v[18:19], v[18:19], v[22:23] op_sel_hi:[1,0]
	v_cvt_f16_f32_e32 v22, v20
	v_cvt_f16_f32_e32 v18, v18
	v_cvt_f16_f32_e32 v19, v19
	v_cvt_f16_f32_e32 v23, v21
	s_waitcnt vmcnt(2)
	v_cvt_pk_f32_fp8_e32 v[20:21], v10
	v_cvt_pk_f32_fp8_e32 v[24:25], v11
	v_pack_b32_f16 v18, v18, v19
	v_pack_b32_f16 v19, v22, v23
	v_cvt_pk_f32_fp8_sdwa v[22:23], v10 src0_sel:WORD_1
	v_cvt_pkrtz_f16_f32 v10, v20, v21
	v_cvt_pk_f32_fp8_sdwa v[20:21], v11 src0_sel:WORD_1
	s_load_dword s6, s[14:15], 0x0
	v_cvt_pkrtz_f16_f32 v11, v22, v23
	v_cvt_pkrtz_f16_f32 v22, v24, v25
	;; [unrolled: 1-line block ×3, first 2 shown]
	v_mfma_f32_4x4x4_16b_f16 a[0:3], v[18:19], v[10:11], 0 cbsz:4
	v_cvt_pk_f32_fp8_e32 v[10:11], v12
	v_cvt_pk_f32_fp8_sdwa v[20:21], v12 src0_sel:WORD_1
	v_mfma_f32_4x4x4_16b_f16 a[0:3], v[18:19], v[22:23], a[0:3] cbsz:4 abid:1
	v_cvt_pk_f32_fp8_e32 v[22:23], v13
	v_cvt_pk_f32_fp8_sdwa v[12:13], v13 src0_sel:WORD_1
	v_cvt_pkrtz_f16_f32 v10, v10, v11
	v_cvt_pkrtz_f16_f32 v11, v20, v21
	v_cvt_pkrtz_f16_f32 v20, v22, v23
	v_cvt_pkrtz_f16_f32 v21, v12, v13
	v_mfma_f32_4x4x4_16b_f16 a[0:3], v[18:19], v[10:11], a[0:3] cbsz:4 abid:2
	v_cvt_pk_f32_fp8_e32 v[10:11], v6
	v_cvt_pk_f32_fp8_sdwa v[12:13], v6 src0_sel:WORD_1
	v_mfma_f32_4x4x4_16b_f16 a[0:3], v[18:19], v[20:21], a[0:3] cbsz:4 abid:3
	v_cvt_pk_f32_fp8_e32 v[20:21], v7
	v_cvt_pkrtz_f16_f32 v6, v10, v11
	v_cvt_pk_f32_fp8_sdwa v[10:11], v7 src0_sel:WORD_1
	v_cvt_pkrtz_f16_f32 v7, v12, v13
	v_cvt_pkrtz_f16_f32 v12, v20, v21
	s_mov_b32 s1, 0x5040100
	v_mfma_f32_4x4x4_16b_f16 a[0:3], v[18:19], v[6:7], a[0:3] cbsz:4 abid:4
	v_cvt_pkrtz_f16_f32 v13, v10, v11
	v_cvt_pk_f32_fp8_e32 v[6:7], v8
	v_cvt_pk_f32_fp8_sdwa v[10:11], v8 src0_sel:WORD_1
	v_mfma_f32_4x4x4_16b_f16 a[0:3], v[18:19], v[12:13], a[0:3] cbsz:4 abid:5
	v_cvt_pk_f32_fp8_e32 v[12:13], v9
	v_cvt_pk_f32_fp8_sdwa v[8:9], v9 src0_sel:WORD_1
	v_cvt_pkrtz_f16_f32 v6, v6, v7
	v_cvt_pkrtz_f16_f32 v7, v10, v11
	;; [unrolled: 1-line block ×4, first 2 shown]
	v_mfma_f32_4x4x4_16b_f16 a[0:3], v[18:19], v[6:7], a[0:3] cbsz:4 abid:6
	s_waitcnt vmcnt(0)
	v_cvt_pk_f32_fp8_e32 v[6:7], v14
	v_cvt_pk_f32_fp8_sdwa v[8:9], v14 src0_sel:WORD_1
	v_mfma_f32_4x4x4_16b_f16 a[0:3], v[18:19], v[10:11], a[0:3] cbsz:4 abid:7
	v_cvt_pk_f32_fp8_e32 v[10:11], v15
	v_cvt_pk_f32_fp8_sdwa v[12:13], v15 src0_sel:WORD_1
	v_cvt_pkrtz_f16_f32 v6, v6, v7
	v_cvt_pkrtz_f16_f32 v7, v8, v9
	;; [unrolled: 1-line block ×4, first 2 shown]
	v_mfma_f32_4x4x4_16b_f16 a[0:3], v[18:19], v[6:7], a[0:3] cbsz:4 abid:8
	v_cvt_pk_f32_fp8_e32 v[6:7], v16
	v_cvt_pk_f32_fp8_e32 v[10:11], v17
	v_mfma_f32_4x4x4_16b_f16 a[0:3], v[18:19], v[8:9], a[0:3] cbsz:4 abid:9
	v_cvt_pk_f32_fp8_sdwa v[8:9], v16 src0_sel:WORD_1
	v_cvt_pk_f32_fp8_sdwa v[12:13], v17 src0_sel:WORD_1
	v_cvt_pkrtz_f16_f32 v6, v6, v7
	v_cvt_pkrtz_f16_f32 v7, v8, v9
	;; [unrolled: 1-line block ×3, first 2 shown]
	s_nop 0
	v_mfma_f32_4x4x4_16b_f16 a[0:3], v[18:19], v[6:7], a[0:3] cbsz:4 abid:10
	v_cvt_pk_f32_fp8_e32 v[6:7], v2
	v_cvt_pkrtz_f16_f32 v9, v12, v13
	v_cvt_pk_f32_fp8_e32 v[10:11], v3
	s_nop 0
	v_mfma_f32_4x4x4_16b_f16 a[0:3], v[18:19], v[8:9], a[0:3] cbsz:4 abid:11
	v_cvt_pk_f32_fp8_sdwa v[8:9], v2 src0_sel:WORD_1
	v_cvt_pkrtz_f16_f32 v2, v6, v7
	v_cvt_pk_f32_fp8_sdwa v[6:7], v3 src0_sel:WORD_1
	v_cvt_pkrtz_f16_f32 v3, v8, v9
	v_cvt_pkrtz_f16_f32 v8, v10, v11
	s_nop 0
	v_mfma_f32_4x4x4_16b_f16 a[0:3], v[18:19], v[2:3], a[0:3] cbsz:4 abid:12
	v_cvt_pkrtz_f16_f32 v9, v6, v7
	v_cvt_pk_f32_fp8_e32 v[2:3], v4
	v_cvt_pk_f32_fp8_sdwa v[6:7], v4 src0_sel:WORD_1
	v_mfma_f32_4x4x4_16b_f16 a[0:3], v[18:19], v[8:9], a[0:3] cbsz:4 abid:13
	v_cvt_pk_f32_fp8_e32 v[8:9], v5
	v_cvt_pk_f32_fp8_sdwa v[4:5], v5 src0_sel:WORD_1
	v_cvt_pkrtz_f16_f32 v2, v2, v3
	v_cvt_pkrtz_f16_f32 v3, v6, v7
	;; [unrolled: 1-line block ×4, first 2 shown]
	v_mfma_f32_4x4x4_16b_f16 a[0:3], v[18:19], v[2:3], a[0:3] cbsz:4 abid:14
	s_nop 1
	v_mfma_f32_4x4x4_16b_f16 a[0:3], v[18:19], v[6:7], a[0:3] cbsz:4 abid:15
	s_nop 4
	v_accvgpr_read_b32 v5, a1
	v_accvgpr_read_b32 v3, a3
	;; [unrolled: 1-line block ×4, first 2 shown]
	s_waitcnt lgkmcnt(0)
	v_pk_mul_f32 v[2:3], v[2:3], s[6:7] op_sel_hi:[1,0]
	v_pk_mul_f32 v[4:5], v[4:5], s[6:7] op_sel_hi:[1,0]
	v_cvt_f16_f32_e32 v2, v2
	v_cvt_f16_f32_e32 v4, v4
	;; [unrolled: 1-line block ×4, first 2 shown]
	v_perm_b32 v22, v5, v4, s1
	v_perm_b32 v23, v3, v2, s1
.LBB868_21:
	s_or_b64 exec, exec, s[2:3]
	v_lshlrev_b32_e32 v1, 3, v1
	v_mad_u32_u24 v1, v30, 40, v1
	v_cmp_gt_u32_e32 vcc, 64, v0
	ds_write_b64 v1, v[22:23]
	s_waitcnt lgkmcnt(0)
	s_barrier
	s_and_saveexec_b64 s[2:3], vcc
	s_cbranch_execz .LBB868_23
; %bb.22:
	v_mul_u32_u24_e32 v1, 40, v30
	s_waitcnt vmcnt(1)
	ds_read2_b64 v[2:5], v1 offset1:1
	ds_read2_b64 v[6:9], v1 offset0:2 offset1:3
	s_lshl_b32 s0, s0, 6
	s_mov_b32 s1, 0
	s_lshl_b64 s[2:3], s[0:1], 1
	s_add_u32 s2, s26, s2
	s_addc_u32 s3, s27, s3
	s_lshl_b32 s0, s24, 6
	s_lshl_b64 s[0:1], s[0:1], 1
	s_waitcnt lgkmcnt(1)
	v_pk_add_f16 v2, v2, 0
	s_add_u32 s0, s2, s0
	s_mul_i32 s4, s4, s5
	v_pk_add_f16 v2, v2, v4
	s_addc_u32 s1, s3, s1
	v_lshl_or_b32 v0, s4, 6, v0
	v_mov_b32_e32 v1, 0
	s_waitcnt lgkmcnt(0)
	v_pk_add_f16 v2, v2, v6
	v_lshl_add_u64 v[0:1], v[0:1], 1, s[0:1]
	v_pk_add_f16 v2, v2, v8
	global_store_short v[0:1], v2, off
.LBB868_23:
	s_endpgm
	.section	.rodata,"a",@progbits
	.p2align	6, 0x0
	.amdhsa_kernel _Z38paged_attention_ll4mi_QKV_mfma4_kernelIDF16_hLN4vllm18Fp8KVCacheDataTypeE1EhLi32ELi64ELi256ELb0ELi1EEvPKT_PKT0_S7_ifPKiS9_S9_iPKfiiiPfSC_PS2_PT2_iSB_SB_
		.amdhsa_group_segment_fixed_size 2720
		.amdhsa_private_segment_fixed_size 0
		.amdhsa_kernarg_size 400
		.amdhsa_user_sgpr_count 2
		.amdhsa_user_sgpr_dispatch_ptr 0
		.amdhsa_user_sgpr_queue_ptr 0
		.amdhsa_user_sgpr_kernarg_segment_ptr 1
		.amdhsa_user_sgpr_dispatch_id 0
		.amdhsa_user_sgpr_kernarg_preload_length 0
		.amdhsa_user_sgpr_kernarg_preload_offset 0
		.amdhsa_user_sgpr_private_segment_size 0
		.amdhsa_uses_dynamic_stack 0
		.amdhsa_enable_private_segment 0
		.amdhsa_system_sgpr_workgroup_id_x 1
		.amdhsa_system_sgpr_workgroup_id_y 1
		.amdhsa_system_sgpr_workgroup_id_z 1
		.amdhsa_system_sgpr_workgroup_info 0
		.amdhsa_system_vgpr_workitem_id 0
		.amdhsa_next_free_vgpr 92
		.amdhsa_next_free_sgpr 42
		.amdhsa_accum_offset 88
		.amdhsa_reserve_vcc 1
		.amdhsa_float_round_mode_32 0
		.amdhsa_float_round_mode_16_64 0
		.amdhsa_float_denorm_mode_32 3
		.amdhsa_float_denorm_mode_16_64 3
		.amdhsa_dx10_clamp 1
		.amdhsa_ieee_mode 1
		.amdhsa_fp16_overflow 0
		.amdhsa_tg_split 0
		.amdhsa_exception_fp_ieee_invalid_op 0
		.amdhsa_exception_fp_denorm_src 0
		.amdhsa_exception_fp_ieee_div_zero 0
		.amdhsa_exception_fp_ieee_overflow 0
		.amdhsa_exception_fp_ieee_underflow 0
		.amdhsa_exception_fp_ieee_inexact 0
		.amdhsa_exception_int_div_zero 0
	.end_amdhsa_kernel
	.section	.text._Z38paged_attention_ll4mi_QKV_mfma4_kernelIDF16_hLN4vllm18Fp8KVCacheDataTypeE1EhLi32ELi64ELi256ELb0ELi1EEvPKT_PKT0_S7_ifPKiS9_S9_iPKfiiiPfSC_PS2_PT2_iSB_SB_,"axG",@progbits,_Z38paged_attention_ll4mi_QKV_mfma4_kernelIDF16_hLN4vllm18Fp8KVCacheDataTypeE1EhLi32ELi64ELi256ELb0ELi1EEvPKT_PKT0_S7_ifPKiS9_S9_iPKfiiiPfSC_PS2_PT2_iSB_SB_,comdat
.Lfunc_end868:
	.size	_Z38paged_attention_ll4mi_QKV_mfma4_kernelIDF16_hLN4vllm18Fp8KVCacheDataTypeE1EhLi32ELi64ELi256ELb0ELi1EEvPKT_PKT0_S7_ifPKiS9_S9_iPKfiiiPfSC_PS2_PT2_iSB_SB_, .Lfunc_end868-_Z38paged_attention_ll4mi_QKV_mfma4_kernelIDF16_hLN4vllm18Fp8KVCacheDataTypeE1EhLi32ELi64ELi256ELb0ELi1EEvPKT_PKT0_S7_ifPKiS9_S9_iPKfiiiPfSC_PS2_PT2_iSB_SB_
                                        ; -- End function
	.section	.AMDGPU.csdata,"",@progbits
; Kernel info:
; codeLenInByte = 3656
; NumSgprs: 48
; NumVgprs: 87
; NumAgprs: 4
; TotalNumVgprs: 92
; ScratchSize: 0
; MemoryBound: 0
; FloatMode: 240
; IeeeMode: 1
; LDSByteSize: 2720 bytes/workgroup (compile time only)
; SGPRBlocks: 5
; VGPRBlocks: 11
; NumSGPRsForWavesPerEU: 48
; NumVGPRsForWavesPerEU: 92
; AccumOffset: 88
; Occupancy: 5
; WaveLimiterHint : 1
; COMPUTE_PGM_RSRC2:SCRATCH_EN: 0
; COMPUTE_PGM_RSRC2:USER_SGPR: 2
; COMPUTE_PGM_RSRC2:TRAP_HANDLER: 0
; COMPUTE_PGM_RSRC2:TGID_X_EN: 1
; COMPUTE_PGM_RSRC2:TGID_Y_EN: 1
; COMPUTE_PGM_RSRC2:TGID_Z_EN: 1
; COMPUTE_PGM_RSRC2:TIDIG_COMP_CNT: 0
; COMPUTE_PGM_RSRC3_GFX90A:ACCUM_OFFSET: 21
; COMPUTE_PGM_RSRC3_GFX90A:TG_SPLIT: 0
	.section	.text._Z38paged_attention_ll4mi_QKV_mfma4_kernelIDF16_hLN4vllm18Fp8KVCacheDataTypeE1EhLi32ELi64ELi256ELb0ELi2EEvPKT_PKT0_S7_ifPKiS9_S9_iPKfiiiPfSC_PS2_PT2_iSB_SB_,"axG",@progbits,_Z38paged_attention_ll4mi_QKV_mfma4_kernelIDF16_hLN4vllm18Fp8KVCacheDataTypeE1EhLi32ELi64ELi256ELb0ELi2EEvPKT_PKT0_S7_ifPKiS9_S9_iPKfiiiPfSC_PS2_PT2_iSB_SB_,comdat
	.protected	_Z38paged_attention_ll4mi_QKV_mfma4_kernelIDF16_hLN4vllm18Fp8KVCacheDataTypeE1EhLi32ELi64ELi256ELb0ELi2EEvPKT_PKT0_S7_ifPKiS9_S9_iPKfiiiPfSC_PS2_PT2_iSB_SB_ ; -- Begin function _Z38paged_attention_ll4mi_QKV_mfma4_kernelIDF16_hLN4vllm18Fp8KVCacheDataTypeE1EhLi32ELi64ELi256ELb0ELi2EEvPKT_PKT0_S7_ifPKiS9_S9_iPKfiiiPfSC_PS2_PT2_iSB_SB_
	.globl	_Z38paged_attention_ll4mi_QKV_mfma4_kernelIDF16_hLN4vllm18Fp8KVCacheDataTypeE1EhLi32ELi64ELi256ELb0ELi2EEvPKT_PKT0_S7_ifPKiS9_S9_iPKfiiiPfSC_PS2_PT2_iSB_SB_
	.p2align	8
	.type	_Z38paged_attention_ll4mi_QKV_mfma4_kernelIDF16_hLN4vllm18Fp8KVCacheDataTypeE1EhLi32ELi64ELi256ELb0ELi2EEvPKT_PKT0_S7_ifPKiS9_S9_iPKfiiiPfSC_PS2_PT2_iSB_SB_,@function
_Z38paged_attention_ll4mi_QKV_mfma4_kernelIDF16_hLN4vllm18Fp8KVCacheDataTypeE1EhLi32ELi64ELi256ELb0ELi2EEvPKT_PKT0_S7_ifPKiS9_S9_iPKfiiiPfSC_PS2_PT2_iSB_SB_: ; @_Z38paged_attention_ll4mi_QKV_mfma4_kernelIDF16_hLN4vllm18Fp8KVCacheDataTypeE1EhLi32ELi64ELi256ELb0ELi2EEvPKT_PKT0_S7_ifPKiS9_S9_iPKfiiiPfSC_PS2_PT2_iSB_SB_
; %bb.0:
	s_load_dwordx2 s[20:21], s[0:1], 0x30
	s_mov_b32 s24, s3
	s_mov_b64 s[6:7], 0
	s_waitcnt lgkmcnt(0)
	s_cmp_lg_u64 s[20:21], 0
	s_cselect_b64 s[22:23], -1, 0
	s_and_b64 vcc, exec, s[22:23]
	s_cbranch_vccz .LBB869_10
; %bb.1:
	s_add_i32 s8, s2, 1
	s_mov_b32 s9, 0
	s_lshl_b64 s[10:11], s[8:9], 2
	s_add_u32 s10, s20, s10
	s_mov_b32 s3, s9
	s_addc_u32 s11, s21, s11
	s_lshl_b64 s[8:9], s[2:3], 2
	s_add_u32 s8, s20, s8
	s_addc_u32 s9, s21, s9
	s_load_dword s5, s[10:11], 0x0
	s_load_dword s12, s[8:9], 0x0
	s_waitcnt lgkmcnt(0)
	s_sub_i32 s5, s5, s12
	s_cmp_eq_u32 s5, 1
	s_cselect_b64 s[8:9], -1, 0
	s_andn2_b64 vcc, exec, s[6:7]
	s_cbranch_vccnz .LBB869_3
.LBB869_2:
	s_mov_b32 s3, 0
	s_mov_b64 s[8:9], -1
.LBB869_3:
	s_andn2_b64 vcc, exec, s[8:9]
	s_cbranch_vccnz .LBB869_23
; %bb.4:
	s_load_dword s5, s[0:1], 0x9c
	s_load_dwordx2 s[6:7], s[0:1], 0x28
	s_add_u32 s28, s0, 0x90
	s_addc_u32 s29, s1, 0
	s_lshl_b64 s[34:35], s[2:3], 2
	s_waitcnt lgkmcnt(0)
	s_and_b32 s5, s5, 0xffff
	s_add_u32 s6, s6, s34
	s_addc_u32 s7, s7, s35
	s_load_dword s3, s[6:7], 0x0
	s_mul_i32 s10, s24, s5
	s_waitcnt lgkmcnt(0)
	s_cmp_ge_i32 s10, s3
	s_cbranch_scc1 .LBB869_23
; %bb.5:
	v_and_b32_e32 v2, 0xc0, v0
	v_add_u32_e32 v4, s10, v2
	v_lshrrev_b32_e32 v1, 6, v0
	v_cmp_gt_i32_e64 s[6:7], s3, v4
	v_cmp_le_i32_e32 vcc, s3, v4
                                        ; implicit-def: $sgpr25
                                        ; implicit-def: $sgpr11
	s_and_saveexec_b64 s[8:9], vcc
	s_xor_b64 s[8:9], exec, s[8:9]
	s_cbranch_execz .LBB869_7
; %bb.6:
	v_mul_u32_u24_e32 v2, 20, v1
	v_or_b32_e32 v2, 0xa00, v2
	v_mov_b32_e32 v3, 0xa50
	v_mov_b32_e32 v4, 0xff7fffff
	v_mad_u32_u24 v3, v1, 20, v3
	ds_write2_b32 v2, v4, v4 offset1:1
	v_mov_b32_e32 v2, 0
	ds_write2_b32 v3, v2, v2 offset1:1
	v_mov_b32_e32 v3, 0xa08
	s_mov_b32 s11, 0xff7fffff
	s_mov_b32 s25, 0
	v_mad_u32_u24 v3, v1, 20, v3
	v_mov_b32_e32 v5, 0xa58
	v_mad_u32_u24 v5, v1, 20, v5
	ds_write2_b32 v3, v4, v4 offset1:1
	ds_write2_b32 v5, v2, v2 offset1:1
                                        ; implicit-def: $vgpr4
.LBB869_7:
	s_or_saveexec_b64 s[30:31], s[8:9]
	s_load_dwordx2 s[26:27], s[0:1], 0x68
	s_load_dwordx4 s[16:19], s[0:1], 0x58
	s_load_dword s5, s[28:29], 0x4
	s_load_dwordx4 s[12:15], s[0:1], 0x80
	v_and_b32_e32 v30, 63, v0
	v_and_b32_e32 v31, 3, v0
	v_mov_b32_e32 v21, s25
	v_mov_b32_e32 v24, s11
	;; [unrolled: 1-line block ×5, first 2 shown]
                                        ; implicit-def: $vgpr10_vgpr11
                                        ; implicit-def: $vgpr6_vgpr7
                                        ; implicit-def: $vgpr14_vgpr15
                                        ; implicit-def: $vgpr2_vgpr3
	s_xor_b64 exec, exec, s[30:31]
	s_cbranch_execz .LBB869_17
; %bb.8:
	s_load_dwordx2 s[8:9], s[0:1], 0x20
	s_load_dword s11, s[0:1], 0x38
	s_add_i32 s25, s3, 31
	s_ashr_i32 s33, s25, 31
	s_lshr_b32 s33, s33, 27
	v_add_u32_e32 v32, s10, v0
	s_add_i32 s25, s25, s33
	v_ashrrev_i32_e32 v2, 31, v32
	v_ashrrev_i32_e32 v5, 31, v4
	s_ashr_i32 s25, s25, 5
	v_lshrrev_b32_e32 v2, 27, v2
	v_lshrrev_b32_e32 v5, 27, v5
	s_add_i32 s25, s25, -1
	s_waitcnt lgkmcnt(0)
	s_mul_i32 s36, s2, s11
	s_mov_b32 s37, 0
	v_add_u32_e32 v2, v32, v2
	v_add_u32_e32 v4, v4, v5
	s_lshl_b64 s[36:37], s[36:37], 2
	v_ashrrev_i32_e32 v2, 5, v2
	v_mov_b32_e32 v3, s25
	v_cmp_gt_i32_e32 vcc, s3, v32
	v_ashrrev_i32_e32 v6, 5, v4
	s_add_u32 s8, s8, s36
	v_cndmask_b32_e32 v2, v3, v2, vcc
	v_min_i32_e32 v4, s25, v6
	v_add_u32_e32 v6, 1, v6
	s_addc_u32 s9, s9, s37
	v_ashrrev_i32_e32 v3, 31, v2
	v_min_i32_e32 v6, s25, v6
	v_lshl_add_u64 v[2:3], v[2:3], 2, s[8:9]
	v_ashrrev_i32_e32 v5, 31, v4
	v_ashrrev_i32_e32 v7, 31, v6
	v_lshl_add_u64 v[4:5], v[4:5], 2, s[8:9]
	v_lshl_add_u64 v[10:11], v[6:7], 2, s[8:9]
	global_load_dword v6, v[2:3], off
	global_load_dword v9, v[4:5], off
	;; [unrolled: 1-line block ×3, first 2 shown]
	s_load_dwordx4 s[8:11], s[0:1], 0x8
	s_andn2_b64 vcc, exec, s[22:23]
	s_cbranch_vccnz .LBB869_11
; %bb.9:
	s_add_u32 s20, s20, s34
	s_addc_u32 s21, s21, s35
	s_load_dword s25, s[20:21], 0x0
	s_branch .LBB869_12
.LBB869_10:
	s_mov_b64 s[8:9], 0
	s_branch .LBB869_2
.LBB869_11:
	s_mov_b32 s25, s2
.LBB869_12:
	s_load_dwordx4 s[20:23], s[0:1], 0x48
	v_cmp_gt_u32_e32 vcc, 2, v31
	s_mov_b32 s37, 0
	v_mov_b32_e32 v7, 0
	v_mov_b32_e32 v2, 0
	;; [unrolled: 1-line block ×5, first 2 shown]
	s_and_saveexec_b64 s[34:35], vcc
	s_cbranch_execz .LBB869_14
; %bb.13:
	s_load_dwordx2 s[38:39], s[0:1], 0x0
	s_waitcnt lgkmcnt(0)
	s_ashr_i32 s23, s20, 31
	s_mul_hi_u32 s33, s25, s20
	s_mul_i32 s23, s25, s23
	s_add_i32 s41, s33, s23
	s_mul_i32 s40, s25, s20
	s_lshl_b64 s[40:41], s[40:41], 1
	s_add_u32 s20, s38, s40
	s_addc_u32 s23, s39, s41
	s_lshl_b32 s36, s4, 7
	s_lshl_b64 s[36:37], s[36:37], 1
	s_add_u32 s36, s20, s36
	v_lshlrev_b32_e32 v2, 3, v31
	v_lshrrev_b32_e32 v3, 2, v30
	s_addc_u32 s37, s23, s37
	v_add_lshl_u32 v2, v2, v3, 4
	global_load_dwordx4 v[2:5], v2, s[36:37]
.LBB869_14:
	s_or_b64 exec, exec, s[34:35]
	s_waitcnt lgkmcnt(0)
	s_mul_i32 s20, s4, s22
	s_add_u32 s8, s20, s8
	s_addc_u32 s9, 0, s9
	v_mov_b64_e32 v[10:11], s[8:9]
	s_waitcnt vmcnt(2)
	v_mad_i64_i32 v[10:11], s[8:9], v6, s21, v[10:11]
	v_lshlrev_b32_e32 v6, 4, v0
	v_and_b32_e32 v6, 0x1f0, v6
	v_lshl_add_u64 v[10:11], v[10:11], 0, v[6:7]
	global_load_dwordx4 v[26:29], v[10:11], off
	global_load_dwordx4 v[22:25], v[10:11], off offset:512
	global_load_dwordx4 v[18:21], v[10:11], off offset:1024
	global_load_dwordx4 v[14:17], v[10:11], off offset:1536
	s_load_dword s8, s[0:1], 0x1c
	s_load_dword s9, s[12:13], 0x0
	s_waitcnt vmcnt(5)
	v_mul_hi_i32 v6, v9, s21
	s_add_u32 s0, s10, s20
	s_waitcnt vmcnt(4)
	v_mul_hi_i32 v10, v8, s21
	v_ashrrev_i32_e32 v12, 31, v6
	s_addc_u32 s1, s11, 0
	v_lshlrev_b32_e32 v6, 5, v30
	v_ashrrev_i32_e32 v35, 31, v10
	s_waitcnt lgkmcnt(0)
	v_mov_b32_e32 v13, s8
	v_lshl_add_u64 v[10:11], s[0:1], 0, v[6:7]
	v_lshrrev_b32_e32 v6, 29, v12
	v_mul_f32_e32 v34, s9, v13
	v_mad_i64_i32 v[12:13], s[0:1], v9, s21, v[6:7]
	v_lshrrev_b32_e32 v6, 29, v35
	v_and_b32_e32 v12, -8, v12
	v_mad_i64_i32 v[6:7], s[0:1], v8, s21, v[6:7]
	v_lshl_add_u64 v[36:37], v[10:11], 0, v[12:13]
	v_and_b32_e32 v6, -8, v6
	v_lshl_add_u64 v[38:39], v[10:11], 0, v[6:7]
	global_load_dwordx4 v[6:9], v[36:37], off offset:16
	global_load_dwordx4 v[10:13], v[36:37], off
	v_cmp_eq_u32_e32 vcc, 0, v31
	s_waitcnt vmcnt(5)
	v_cvt_pk_f32_fp8_e32 v[36:37], v26
	v_cvt_pk_f32_fp8_sdwa v[40:41], v26 src0_sel:WORD_1
	v_cvt_pk_f32_fp8_e32 v[42:43], v27
	v_cvt_pk_f32_fp8_sdwa v[26:27], v27 src0_sel:WORD_1
	;; [unrolled: 2-line block ×3, first 2 shown]
	v_cvt_pkrtz_f16_f32 v36, v36, v37
	v_cvt_pkrtz_f16_f32 v37, v40, v41
	v_cvt_pk_f32_fp8_e32 v[48:49], v29
	v_cvt_pk_f32_fp8_sdwa v[28:29], v29 src0_sel:WORD_1
	v_mfma_f32_4x4x4_16b_f16 a[0:3], v[2:3], v[36:37], 0 cbsz:4
	v_cvt_pkrtz_f16_f32 v40, v42, v43
	v_cvt_pkrtz_f16_f32 v41, v26, v27
	s_waitcnt vmcnt(4)
	v_cvt_pk_f32_fp8_e32 v[50:51], v22
	v_cvt_pk_f32_fp8_sdwa v[52:53], v22 src0_sel:WORD_1
	v_mfma_f32_4x4x4_16b_f16 a[0:3], v[4:5], v[40:41], a[0:3] cbsz:4
	v_cvt_pkrtz_f16_f32 v26, v44, v45
	v_cvt_pkrtz_f16_f32 v27, v46, v47
	v_cvt_pk_f32_fp8_e32 v[54:55], v23
	v_cvt_pk_f32_fp8_sdwa v[22:23], v23 src0_sel:WORD_1
	v_mfma_f32_4x4x4_16b_f16 a[0:3], v[2:3], v[26:27], a[0:3] cbsz:4 abid:1
	v_cvt_pkrtz_f16_f32 v42, v48, v49
	v_cvt_pkrtz_f16_f32 v43, v28, v29
	v_cvt_pk_f32_fp8_e32 v[56:57], v24
	v_cvt_pk_f32_fp8_sdwa v[58:59], v24 src0_sel:WORD_1
	v_mfma_f32_4x4x4_16b_f16 a[0:3], v[4:5], v[42:43], a[0:3] cbsz:4 abid:1
	;; [unrolled: 5-line block ×3, first 2 shown]
	v_cvt_pkrtz_f16_f32 v44, v54, v55
	v_cvt_pkrtz_f16_f32 v45, v22, v23
	s_waitcnt vmcnt(3)
	v_cvt_pk_f32_fp8_e32 v[62:63], v18
	v_cvt_pk_f32_fp8_sdwa v[64:65], v18 src0_sel:WORD_1
	v_mfma_f32_4x4x4_16b_f16 a[0:3], v[4:5], v[44:45], a[0:3] cbsz:4 abid:2
	v_cvt_pkrtz_f16_f32 v22, v56, v57
	v_cvt_pkrtz_f16_f32 v23, v58, v59
	v_cvt_pk_f32_fp8_e32 v[66:67], v19
	v_cvt_pk_f32_fp8_sdwa v[18:19], v19 src0_sel:WORD_1
	v_mfma_f32_4x4x4_16b_f16 a[0:3], v[2:3], v[22:23], a[0:3] cbsz:4 abid:3
	v_cvt_pkrtz_f16_f32 v46, v60, v61
	v_cvt_pkrtz_f16_f32 v47, v24, v25
	;; [unrolled: 5-line block ×4, first 2 shown]
	s_waitcnt vmcnt(2)
	v_cvt_pk_f32_fp8_e32 v[74:75], v14
	v_cvt_pk_f32_fp8_sdwa v[76:77], v14 src0_sel:WORD_1
	v_mfma_f32_4x4x4_16b_f16 a[0:3], v[4:5], v[36:37], a[0:3] cbsz:4 abid:4
	v_cvt_pkrtz_f16_f32 v18, v68, v69
	v_cvt_pkrtz_f16_f32 v19, v70, v71
	v_cvt_pk_f32_fp8_e32 v[78:79], v15
	v_cvt_pk_f32_fp8_sdwa v[14:15], v15 src0_sel:WORD_1
	v_mfma_f32_4x4x4_16b_f16 a[0:3], v[2:3], v[18:19], a[0:3] cbsz:4 abid:5
	v_cvt_pkrtz_f16_f32 v26, v72, v73
	v_cvt_pkrtz_f16_f32 v27, v20, v21
	;; [unrolled: 5-line block ×4, first 2 shown]
	v_cvt_pkrtz_f16_f32 v14, v80, v81
	v_cvt_pkrtz_f16_f32 v15, v82, v83
	v_mfma_f32_4x4x4_16b_f16 a[0:3], v[4:5], v[22:23], a[0:3] cbsz:4 abid:6
	v_cvt_pkrtz_f16_f32 v18, v84, v85
	v_cvt_pkrtz_f16_f32 v19, v16, v17
	v_mfma_f32_4x4x4_16b_f16 a[0:3], v[2:3], v[14:15], a[0:3] cbsz:4 abid:7
	v_cndmask_b32_e64 v33, 0, 1.0, vcc
	v_cmp_eq_u32_e32 vcc, 1, v31
	v_mfma_f32_4x4x4_16b_f16 a[0:3], v[4:5], v[18:19], a[0:3] cbsz:4 abid:7
	v_mov_b32_e32 v22, 0xff7fffff
	s_nop 3
	v_accvgpr_read_b32 v3, a1
	v_accvgpr_read_b32 v2, a0
	v_pk_mul_f32 v[18:19], v[2:3], v[34:35] op_sel_hi:[1,0]
	global_load_dwordx4 v[2:5], v[38:39], off offset:16
	global_load_dwordx4 v[14:17], v[38:39], off
	v_accvgpr_read_b32 v21, a3
	v_accvgpr_read_b32 v20, a2
	v_pk_mul_f32 v[20:21], v[20:21], v[34:35] op_sel_hi:[1,0]
	v_mfma_f32_4x4x1_16b_f32 a[0:3], v18, v33, 0
	v_cndmask_b32_e64 v18, 0, 1.0, vcc
	v_cmp_eq_u32_e32 vcc, 2, v31
	s_nop 0
	v_mfma_f32_4x4x1_16b_f32 a[0:3], v19, v18, a[0:3]
	v_cndmask_b32_e64 v18, 0, 1.0, vcc
	v_cmp_eq_u32_e32 vcc, 3, v31
	v_lshlrev_b32_e32 v19, 2, v0
	v_mfma_f32_4x4x1_16b_f32 a[0:3], v20, v18, a[0:3]
	v_cndmask_b32_e64 v18, 0, 1.0, vcc
	v_and_or_b32 v19, v19, 48, v31
	v_lshlrev_b32_e32 v26, 2, v19
	v_mfma_f32_4x4x1_16b_f32 a[0:3], v21, v18, a[0:3]
	v_and_b32_e32 v18, -4, v32
	v_cmp_gt_i32_e32 vcc, s3, v18
	s_nop 1
	v_accvgpr_read_b32 v20, a0
	v_max_f32_e32 v21, v20, v20
	v_max_f32_e32 v21, 0xff7fffff, v21
	v_accvgpr_read_b32 v23, a1
	v_cndmask_b32_e32 v21, v22, v21, vcc
	v_or_b32_e32 v22, 1, v18
	v_max_f32_e32 v24, v23, v23
	v_max_f32_e32 v24, v21, v24
	v_cmp_gt_i32_e64 s[0:1], s3, v22
	v_accvgpr_read_b32 v22, a2
	v_or_b32_e32 v18, 2, v18
	v_cndmask_b32_e64 v21, v21, v24, s[0:1]
	v_max_f32_e32 v24, v22, v22
	v_max_f32_e32 v24, v21, v24
	v_cmp_gt_i32_e64 s[8:9], s3, v18
	v_accvgpr_read_b32 v25, a3
	s_nop 0
	v_cndmask_b32_e64 v18, v21, v24, s[8:9]
	v_or_b32_e32 v21, 3, v32
	v_max_f32_e32 v24, v25, v25
	v_max_f32_e32 v24, v18, v24
	v_cmp_gt_i32_e64 s[10:11], s3, v21
	s_nop 1
	v_cndmask_b32_e64 v18, v18, v24, s[10:11]
	;;#ASMSTART
	v_nop
 v_nop
 v_max_f32_dpp v18, v18, v18 row_ror:4
	;;#ASMEND
	s_nop 0
	;;#ASMSTART
	v_nop
 v_nop
 v_max_f32_dpp v18, v18, v18 row_ror:8
	;;#ASMEND
	ds_bpermute_b32 v18, v26, v18
	s_waitcnt lgkmcnt(0)
	;;#ASMSTART
	v_nop
 v_nop
 v_max_f32_dpp v18, v18, v18 row_ror:4
	;;#ASMEND
	s_nop 0
	;;#ASMSTART
	v_nop
 v_nop
 v_max_f32_dpp v24, v18, v18 row_ror:8
	;;#ASMEND
	s_nop 0
	v_sub_f32_e32 v18, v20, v24
	v_mul_f32_e32 v18, 0x3fb8aa3b, v18
	v_sub_f32_e32 v19, v23, v24
	v_exp_f32_e32 v18, v18
	v_mul_f32_e32 v19, 0x3fb8aa3b, v19
	v_sub_f32_e32 v21, v22, v24
	v_exp_f32_e32 v19, v19
	;; [unrolled: 3-line block ×3, first 2 shown]
	v_mul_f32_e32 v22, 0x3fb8aa3b, v22
	v_exp_f32_e32 v22, v22
	v_cndmask_b32_e32 v18, 0, v18, vcc
	v_add_f32_e32 v20, 0, v18
	v_cndmask_b32_e64 v19, 0, v19, s[0:1]
	v_add_f32_e32 v23, v20, v19
	v_cndmask_b32_e64 v20, 0, v21, s[8:9]
	;; [unrolled: 2-line block ×3, first 2 shown]
	v_add_f32_e32 v22, v23, v21
	;;#ASMSTART
	v_nop
 v_nop
 v_add_f32_dpp v22, v22, v22 row_ror:4
	;;#ASMEND
	v_cmp_gt_u32_e32 vcc, 4, v30
	;;#ASMSTART
	v_nop
 v_nop
 v_add_f32_dpp v22, v22, v22 row_ror:8
	;;#ASMEND
	ds_bpermute_b32 v22, v26, v22
	s_waitcnt lgkmcnt(0)
	;;#ASMSTART
	v_nop
 v_nop
 v_add_f32_dpp v22, v22, v22 row_ror:4
	;;#ASMEND
	s_nop 0
	;;#ASMSTART
	v_nop
 v_nop
 v_add_f32_dpp v22, v22, v22 row_ror:8
	;;#ASMEND
	s_and_saveexec_b64 s[0:1], vcc
	s_cbranch_execz .LBB869_16
; %bb.15:
	v_mul_u32_u24_e32 v23, 20, v1
	v_lshl_add_u32 v23, v31, 2, v23
	v_add_u32_e32 v23, 0x800, v23
	ds_write2_b32 v23, v24, v22 offset0:128 offset1:148
.LBB869_16:
	s_or_b64 exec, exec, s[0:1]
.LBB869_17:
	s_or_b64 exec, exec, s[30:31]
	s_waitcnt lgkmcnt(0)
	s_barrier
	s_load_dword s0, s[28:29], 0x8
	v_lshlrev_b32_e32 v22, 2, v31
	v_add_u32_e32 v32, 0x800, v22
	ds_read2_b32 v[22:23], v32 offset0:128 offset1:133
	ds_read2_b32 v[26:27], v32 offset0:138 offset1:143
	s_mul_i32 s1, s2, s5
	s_waitcnt lgkmcnt(0)
	s_mul_i32 s1, s1, s0
	s_lshl_b32 s0, s1, 1
	s_mov_b32 s1, 0xff7fffff
	v_max3_f32 v25, v22, s1, v23
	v_max3_f32 v25, v25, v26, v27
	v_sub_f32_e32 v22, v22, v25
	v_mul_f32_e32 v22, 0x3fb8aa3b, v22
	ds_read2_b32 v[28:29], v32 offset0:148 offset1:153
	v_exp_f32_e32 v33, v22
	v_sub_f32_e32 v22, v23, v25
	v_sub_f32_e32 v26, v26, v25
	v_mul_f32_e32 v22, 0x3fb8aa3b, v22
	v_mul_f32_e32 v26, 0x3fb8aa3b, v26
	v_exp_f32_e32 v34, v22
	ds_read2_b32 v[22:23], v32 offset0:158 offset1:163
	v_exp_f32_e32 v32, v26
	v_sub_f32_e32 v26, v27, v25
	v_mul_f32_e32 v26, 0x3fb8aa3b, v26
	v_exp_f32_e32 v27, v26
	s_waitcnt lgkmcnt(1)
	v_fma_f32 v26, v33, v28, 0
	v_fmac_f32_e32 v26, v34, v29
	s_waitcnt lgkmcnt(0)
	v_fmac_f32_e32 v26, v32, v22
	s_lshl_b32 s4, s4, 1
	v_fmac_f32_e32 v26, v27, v23
	v_cmp_gt_u32_e32 vcc, 2, v31
	s_and_saveexec_b64 s[2:3], vcc
	s_cbranch_execz .LBB869_19
; %bb.18:
	s_mov_b32 s1, 0
	s_lshl_b64 s[8:9], s[0:1], 2
	s_add_u32 s12, s16, s8
	s_mov_b32 s25, s1
	s_addc_u32 s13, s17, s9
	s_lshl_b64 s[10:11], s[24:25], 2
	s_add_u32 s12, s12, s10
	s_addc_u32 s13, s13, s11
	s_add_u32 s1, s18, s8
	s_addc_u32 s9, s19, s9
	v_or_b32_e32 v22, s4, v31
	s_add_u32 s8, s1, s10
	v_mul_lo_u32 v22, s5, v22
	v_mov_b32_e32 v23, 0
	s_addc_u32 s9, s9, s11
	v_lshlrev_b64 v[22:23], 2, v[22:23]
	v_lshl_add_u64 v[28:29], s[12:13], 0, v[22:23]
	v_lshl_add_u64 v[22:23], s[8:9], 0, v[22:23]
	global_store_dword v[22:23], v25, off
	global_store_dword v[28:29], v26, off
.LBB869_19:
	s_or_b64 exec, exec, s[2:3]
	v_mov_b32_e32 v22, 0
	v_mov_b32_e32 v23, 0
	s_and_saveexec_b64 s[2:3], s[6:7]
	s_cbranch_execz .LBB869_21
; %bb.20:
	v_add_f32_e32 v22, 0x358637bd, v26
	v_div_scale_f32 v23, s[6:7], v22, v22, 1.0
	v_rcp_f32_e32 v26, v23
	v_div_scale_f32 v27, vcc, 1.0, v22, 1.0
	v_sub_f32_e32 v24, v24, v25
	v_fma_f32 v28, -v23, v26, 1.0
	v_fmac_f32_e32 v26, v28, v26
	v_mul_f32_e32 v28, v27, v26
	v_fma_f32 v29, -v23, v28, v27
	v_mul_f32_e32 v24, 0x3fb8aa3b, v24
	v_fmac_f32_e32 v28, v29, v26
	v_exp_f32_e32 v24, v24
	v_fma_f32 v23, -v23, v28, v27
	v_div_fmas_f32 v23, v23, v26, v28
	v_div_fixup_f32 v22, v23, v22, 1.0
	v_mul_f32_e32 v22, v24, v22
	v_pk_mul_f32 v[20:21], v[20:21], v[22:23] op_sel_hi:[1,0]
	v_pk_mul_f32 v[18:19], v[18:19], v[22:23] op_sel_hi:[1,0]
	v_cvt_f16_f32_e32 v22, v20
	v_cvt_f16_f32_e32 v18, v18
	;; [unrolled: 1-line block ×4, first 2 shown]
	s_waitcnt vmcnt(2)
	v_cvt_pk_f32_fp8_e32 v[20:21], v10
	v_cvt_pk_f32_fp8_e32 v[24:25], v11
	v_pack_b32_f16 v18, v18, v19
	v_pack_b32_f16 v19, v22, v23
	v_cvt_pk_f32_fp8_sdwa v[22:23], v10 src0_sel:WORD_1
	v_cvt_pkrtz_f16_f32 v10, v20, v21
	v_cvt_pk_f32_fp8_sdwa v[20:21], v11 src0_sel:WORD_1
	s_load_dword s6, s[14:15], 0x0
	v_cvt_pkrtz_f16_f32 v11, v22, v23
	v_cvt_pkrtz_f16_f32 v22, v24, v25
	;; [unrolled: 1-line block ×3, first 2 shown]
	v_mfma_f32_4x4x4_16b_f16 a[0:3], v[18:19], v[10:11], 0 cbsz:4
	v_cvt_pk_f32_fp8_e32 v[10:11], v12
	v_cvt_pk_f32_fp8_sdwa v[20:21], v12 src0_sel:WORD_1
	v_mfma_f32_4x4x4_16b_f16 a[0:3], v[18:19], v[22:23], a[0:3] cbsz:4 abid:1
	v_cvt_pk_f32_fp8_e32 v[22:23], v13
	v_cvt_pk_f32_fp8_sdwa v[12:13], v13 src0_sel:WORD_1
	v_cvt_pkrtz_f16_f32 v10, v10, v11
	v_cvt_pkrtz_f16_f32 v11, v20, v21
	;; [unrolled: 1-line block ×4, first 2 shown]
	v_mfma_f32_4x4x4_16b_f16 a[0:3], v[18:19], v[10:11], a[0:3] cbsz:4 abid:2
	v_cvt_pk_f32_fp8_e32 v[10:11], v6
	v_cvt_pk_f32_fp8_sdwa v[12:13], v6 src0_sel:WORD_1
	v_mfma_f32_4x4x4_16b_f16 a[0:3], v[18:19], v[20:21], a[0:3] cbsz:4 abid:3
	v_cvt_pk_f32_fp8_e32 v[20:21], v7
	v_cvt_pkrtz_f16_f32 v6, v10, v11
	v_cvt_pk_f32_fp8_sdwa v[10:11], v7 src0_sel:WORD_1
	v_cvt_pkrtz_f16_f32 v7, v12, v13
	v_cvt_pkrtz_f16_f32 v12, v20, v21
	s_mov_b32 s1, 0x5040100
	v_mfma_f32_4x4x4_16b_f16 a[0:3], v[18:19], v[6:7], a[0:3] cbsz:4 abid:4
	v_cvt_pkrtz_f16_f32 v13, v10, v11
	v_cvt_pk_f32_fp8_e32 v[6:7], v8
	v_cvt_pk_f32_fp8_sdwa v[10:11], v8 src0_sel:WORD_1
	v_mfma_f32_4x4x4_16b_f16 a[0:3], v[18:19], v[12:13], a[0:3] cbsz:4 abid:5
	v_cvt_pk_f32_fp8_e32 v[12:13], v9
	v_cvt_pk_f32_fp8_sdwa v[8:9], v9 src0_sel:WORD_1
	v_cvt_pkrtz_f16_f32 v6, v6, v7
	v_cvt_pkrtz_f16_f32 v7, v10, v11
	;; [unrolled: 1-line block ×4, first 2 shown]
	v_mfma_f32_4x4x4_16b_f16 a[0:3], v[18:19], v[6:7], a[0:3] cbsz:4 abid:6
	s_waitcnt vmcnt(0)
	v_cvt_pk_f32_fp8_e32 v[6:7], v14
	v_cvt_pk_f32_fp8_sdwa v[8:9], v14 src0_sel:WORD_1
	v_mfma_f32_4x4x4_16b_f16 a[0:3], v[18:19], v[10:11], a[0:3] cbsz:4 abid:7
	v_cvt_pk_f32_fp8_e32 v[10:11], v15
	v_cvt_pk_f32_fp8_sdwa v[12:13], v15 src0_sel:WORD_1
	v_cvt_pkrtz_f16_f32 v6, v6, v7
	v_cvt_pkrtz_f16_f32 v7, v8, v9
	;; [unrolled: 1-line block ×4, first 2 shown]
	v_mfma_f32_4x4x4_16b_f16 a[0:3], v[18:19], v[6:7], a[0:3] cbsz:4 abid:8
	v_cvt_pk_f32_fp8_e32 v[6:7], v16
	v_cvt_pk_f32_fp8_e32 v[10:11], v17
	v_mfma_f32_4x4x4_16b_f16 a[0:3], v[18:19], v[8:9], a[0:3] cbsz:4 abid:9
	v_cvt_pk_f32_fp8_sdwa v[8:9], v16 src0_sel:WORD_1
	v_cvt_pk_f32_fp8_sdwa v[12:13], v17 src0_sel:WORD_1
	v_cvt_pkrtz_f16_f32 v6, v6, v7
	v_cvt_pkrtz_f16_f32 v7, v8, v9
	;; [unrolled: 1-line block ×3, first 2 shown]
	s_nop 0
	v_mfma_f32_4x4x4_16b_f16 a[0:3], v[18:19], v[6:7], a[0:3] cbsz:4 abid:10
	v_cvt_pk_f32_fp8_e32 v[6:7], v2
	v_cvt_pkrtz_f16_f32 v9, v12, v13
	v_cvt_pk_f32_fp8_e32 v[10:11], v3
	s_nop 0
	v_mfma_f32_4x4x4_16b_f16 a[0:3], v[18:19], v[8:9], a[0:3] cbsz:4 abid:11
	v_cvt_pk_f32_fp8_sdwa v[8:9], v2 src0_sel:WORD_1
	v_cvt_pkrtz_f16_f32 v2, v6, v7
	v_cvt_pk_f32_fp8_sdwa v[6:7], v3 src0_sel:WORD_1
	v_cvt_pkrtz_f16_f32 v3, v8, v9
	v_cvt_pkrtz_f16_f32 v8, v10, v11
	s_nop 0
	v_mfma_f32_4x4x4_16b_f16 a[0:3], v[18:19], v[2:3], a[0:3] cbsz:4 abid:12
	v_cvt_pkrtz_f16_f32 v9, v6, v7
	v_cvt_pk_f32_fp8_e32 v[2:3], v4
	v_cvt_pk_f32_fp8_sdwa v[6:7], v4 src0_sel:WORD_1
	v_mfma_f32_4x4x4_16b_f16 a[0:3], v[18:19], v[8:9], a[0:3] cbsz:4 abid:13
	v_cvt_pk_f32_fp8_e32 v[8:9], v5
	v_cvt_pk_f32_fp8_sdwa v[4:5], v5 src0_sel:WORD_1
	v_cvt_pkrtz_f16_f32 v2, v2, v3
	v_cvt_pkrtz_f16_f32 v3, v6, v7
	;; [unrolled: 1-line block ×4, first 2 shown]
	v_mfma_f32_4x4x4_16b_f16 a[0:3], v[18:19], v[2:3], a[0:3] cbsz:4 abid:14
	s_nop 1
	v_mfma_f32_4x4x4_16b_f16 a[0:3], v[18:19], v[6:7], a[0:3] cbsz:4 abid:15
	s_nop 4
	v_accvgpr_read_b32 v5, a1
	v_accvgpr_read_b32 v3, a3
	;; [unrolled: 1-line block ×4, first 2 shown]
	s_waitcnt lgkmcnt(0)
	v_pk_mul_f32 v[2:3], v[2:3], s[6:7] op_sel_hi:[1,0]
	v_pk_mul_f32 v[4:5], v[4:5], s[6:7] op_sel_hi:[1,0]
	v_cvt_f16_f32_e32 v2, v2
	v_cvt_f16_f32_e32 v4, v4
	;; [unrolled: 1-line block ×4, first 2 shown]
	v_perm_b32 v22, v5, v4, s1
	v_perm_b32 v23, v3, v2, s1
.LBB869_21:
	s_or_b64 exec, exec, s[2:3]
	v_lshlrev_b32_e32 v1, 3, v1
	v_mad_u32_u24 v1, v30, 40, v1
	v_cmp_gt_u32_e32 vcc, 64, v0
	ds_write_b64 v1, v[22:23]
	s_waitcnt lgkmcnt(0)
	s_barrier
	s_and_saveexec_b64 s[2:3], vcc
	s_cbranch_execz .LBB869_23
; %bb.22:
	s_mov_b32 s1, 0
	s_lshl_b32 s0, s0, 6
	v_mul_u32_u24_e32 v1, 40, v30
	s_lshl_b64 s[2:3], s[0:1], 1
	s_waitcnt vmcnt(1)
	ds_read2_b64 v[2:5], v1 offset1:1
	ds_read2_b64 v[6:9], v1 offset0:2 offset1:3
	s_add_u32 s2, s26, s2
	s_addc_u32 s3, s27, s3
	s_lshl_b32 s0, s24, 6
	s_lshl_b64 s[0:1], s[0:1], 1
	s_add_u32 s0, s2, s0
	s_addc_u32 s1, s3, s1
	s_lshl_b32 s2, s5, 6
	s_waitcnt lgkmcnt(1)
	v_pk_add_f16 v1, v2, 0
	s_mul_i32 s3, s2, s4
	v_pk_add_f16 v1, v1, v4
	v_or_b32_e32 v2, s3, v0
	v_mov_b32_e32 v3, 0
	s_add_i32 s3, s3, s2
	s_waitcnt lgkmcnt(0)
	v_pk_add_f16 v1, v1, v6
	v_lshl_add_u64 v[4:5], v[2:3], 1, s[0:1]
	v_or_b32_e32 v2, s3, v0
	v_pk_add_f16 v6, v1, v8
	v_lshl_add_u64 v[0:1], v[2:3], 1, s[0:1]
	global_store_short v[4:5], v6, off
	global_store_short_d16_hi v[0:1], v6, off
.LBB869_23:
	s_endpgm
	.section	.rodata,"a",@progbits
	.p2align	6, 0x0
	.amdhsa_kernel _Z38paged_attention_ll4mi_QKV_mfma4_kernelIDF16_hLN4vllm18Fp8KVCacheDataTypeE1EhLi32ELi64ELi256ELb0ELi2EEvPKT_PKT0_S7_ifPKiS9_S9_iPKfiiiPfSC_PS2_PT2_iSB_SB_
		.amdhsa_group_segment_fixed_size 2720
		.amdhsa_private_segment_fixed_size 0
		.amdhsa_kernarg_size 400
		.amdhsa_user_sgpr_count 2
		.amdhsa_user_sgpr_dispatch_ptr 0
		.amdhsa_user_sgpr_queue_ptr 0
		.amdhsa_user_sgpr_kernarg_segment_ptr 1
		.amdhsa_user_sgpr_dispatch_id 0
		.amdhsa_user_sgpr_kernarg_preload_length 0
		.amdhsa_user_sgpr_kernarg_preload_offset 0
		.amdhsa_user_sgpr_private_segment_size 0
		.amdhsa_uses_dynamic_stack 0
		.amdhsa_enable_private_segment 0
		.amdhsa_system_sgpr_workgroup_id_x 1
		.amdhsa_system_sgpr_workgroup_id_y 1
		.amdhsa_system_sgpr_workgroup_id_z 1
		.amdhsa_system_sgpr_workgroup_info 0
		.amdhsa_system_vgpr_workitem_id 0
		.amdhsa_next_free_vgpr 92
		.amdhsa_next_free_sgpr 42
		.amdhsa_accum_offset 88
		.amdhsa_reserve_vcc 1
		.amdhsa_float_round_mode_32 0
		.amdhsa_float_round_mode_16_64 0
		.amdhsa_float_denorm_mode_32 3
		.amdhsa_float_denorm_mode_16_64 3
		.amdhsa_dx10_clamp 1
		.amdhsa_ieee_mode 1
		.amdhsa_fp16_overflow 0
		.amdhsa_tg_split 0
		.amdhsa_exception_fp_ieee_invalid_op 0
		.amdhsa_exception_fp_denorm_src 0
		.amdhsa_exception_fp_ieee_div_zero 0
		.amdhsa_exception_fp_ieee_overflow 0
		.amdhsa_exception_fp_ieee_underflow 0
		.amdhsa_exception_fp_ieee_inexact 0
		.amdhsa_exception_int_div_zero 0
	.end_amdhsa_kernel
	.section	.text._Z38paged_attention_ll4mi_QKV_mfma4_kernelIDF16_hLN4vllm18Fp8KVCacheDataTypeE1EhLi32ELi64ELi256ELb0ELi2EEvPKT_PKT0_S7_ifPKiS9_S9_iPKfiiiPfSC_PS2_PT2_iSB_SB_,"axG",@progbits,_Z38paged_attention_ll4mi_QKV_mfma4_kernelIDF16_hLN4vllm18Fp8KVCacheDataTypeE1EhLi32ELi64ELi256ELb0ELi2EEvPKT_PKT0_S7_ifPKiS9_S9_iPKfiiiPfSC_PS2_PT2_iSB_SB_,comdat
.Lfunc_end869:
	.size	_Z38paged_attention_ll4mi_QKV_mfma4_kernelIDF16_hLN4vllm18Fp8KVCacheDataTypeE1EhLi32ELi64ELi256ELb0ELi2EEvPKT_PKT0_S7_ifPKiS9_S9_iPKfiiiPfSC_PS2_PT2_iSB_SB_, .Lfunc_end869-_Z38paged_attention_ll4mi_QKV_mfma4_kernelIDF16_hLN4vllm18Fp8KVCacheDataTypeE1EhLi32ELi64ELi256ELb0ELi2EEvPKT_PKT0_S7_ifPKiS9_S9_iPKfiiiPfSC_PS2_PT2_iSB_SB_
                                        ; -- End function
	.section	.AMDGPU.csdata,"",@progbits
; Kernel info:
; codeLenInByte = 3720
; NumSgprs: 48
; NumVgprs: 86
; NumAgprs: 4
; TotalNumVgprs: 92
; ScratchSize: 0
; MemoryBound: 0
; FloatMode: 240
; IeeeMode: 1
; LDSByteSize: 2720 bytes/workgroup (compile time only)
; SGPRBlocks: 5
; VGPRBlocks: 11
; NumSGPRsForWavesPerEU: 48
; NumVGPRsForWavesPerEU: 92
; AccumOffset: 88
; Occupancy: 5
; WaveLimiterHint : 1
; COMPUTE_PGM_RSRC2:SCRATCH_EN: 0
; COMPUTE_PGM_RSRC2:USER_SGPR: 2
; COMPUTE_PGM_RSRC2:TRAP_HANDLER: 0
; COMPUTE_PGM_RSRC2:TGID_X_EN: 1
; COMPUTE_PGM_RSRC2:TGID_Y_EN: 1
; COMPUTE_PGM_RSRC2:TGID_Z_EN: 1
; COMPUTE_PGM_RSRC2:TIDIG_COMP_CNT: 0
; COMPUTE_PGM_RSRC3_GFX90A:ACCUM_OFFSET: 21
; COMPUTE_PGM_RSRC3_GFX90A:TG_SPLIT: 0
	.section	.text._Z38paged_attention_ll4mi_QKV_mfma4_kernelIDF16_hLN4vllm18Fp8KVCacheDataTypeE1EhLi32ELi64ELi256ELb0ELi3EEvPKT_PKT0_S7_ifPKiS9_S9_iPKfiiiPfSC_PS2_PT2_iSB_SB_,"axG",@progbits,_Z38paged_attention_ll4mi_QKV_mfma4_kernelIDF16_hLN4vllm18Fp8KVCacheDataTypeE1EhLi32ELi64ELi256ELb0ELi3EEvPKT_PKT0_S7_ifPKiS9_S9_iPKfiiiPfSC_PS2_PT2_iSB_SB_,comdat
	.protected	_Z38paged_attention_ll4mi_QKV_mfma4_kernelIDF16_hLN4vllm18Fp8KVCacheDataTypeE1EhLi32ELi64ELi256ELb0ELi3EEvPKT_PKT0_S7_ifPKiS9_S9_iPKfiiiPfSC_PS2_PT2_iSB_SB_ ; -- Begin function _Z38paged_attention_ll4mi_QKV_mfma4_kernelIDF16_hLN4vllm18Fp8KVCacheDataTypeE1EhLi32ELi64ELi256ELb0ELi3EEvPKT_PKT0_S7_ifPKiS9_S9_iPKfiiiPfSC_PS2_PT2_iSB_SB_
	.globl	_Z38paged_attention_ll4mi_QKV_mfma4_kernelIDF16_hLN4vllm18Fp8KVCacheDataTypeE1EhLi32ELi64ELi256ELb0ELi3EEvPKT_PKT0_S7_ifPKiS9_S9_iPKfiiiPfSC_PS2_PT2_iSB_SB_
	.p2align	8
	.type	_Z38paged_attention_ll4mi_QKV_mfma4_kernelIDF16_hLN4vllm18Fp8KVCacheDataTypeE1EhLi32ELi64ELi256ELb0ELi3EEvPKT_PKT0_S7_ifPKiS9_S9_iPKfiiiPfSC_PS2_PT2_iSB_SB_,@function
_Z38paged_attention_ll4mi_QKV_mfma4_kernelIDF16_hLN4vllm18Fp8KVCacheDataTypeE1EhLi32ELi64ELi256ELb0ELi3EEvPKT_PKT0_S7_ifPKiS9_S9_iPKfiiiPfSC_PS2_PT2_iSB_SB_: ; @_Z38paged_attention_ll4mi_QKV_mfma4_kernelIDF16_hLN4vllm18Fp8KVCacheDataTypeE1EhLi32ELi64ELi256ELb0ELi3EEvPKT_PKT0_S7_ifPKiS9_S9_iPKfiiiPfSC_PS2_PT2_iSB_SB_
; %bb.0:
	s_load_dwordx2 s[20:21], s[0:1], 0x30
	s_mov_b32 s24, s3
	s_mov_b64 s[6:7], 0
	s_waitcnt lgkmcnt(0)
	s_cmp_lg_u64 s[20:21], 0
	s_cselect_b64 s[22:23], -1, 0
	s_and_b64 vcc, exec, s[22:23]
	s_cbranch_vccz .LBB870_10
; %bb.1:
	s_add_i32 s8, s2, 1
	s_mov_b32 s9, 0
	s_lshl_b64 s[10:11], s[8:9], 2
	s_add_u32 s10, s20, s10
	s_mov_b32 s3, s9
	s_addc_u32 s11, s21, s11
	s_lshl_b64 s[8:9], s[2:3], 2
	s_add_u32 s8, s20, s8
	s_addc_u32 s9, s21, s9
	s_load_dword s5, s[10:11], 0x0
	s_load_dword s12, s[8:9], 0x0
	s_waitcnt lgkmcnt(0)
	s_sub_i32 s5, s5, s12
	s_cmp_eq_u32 s5, 1
	s_cselect_b64 s[8:9], -1, 0
	s_andn2_b64 vcc, exec, s[6:7]
	s_cbranch_vccnz .LBB870_3
.LBB870_2:
	s_mov_b32 s3, 0
	s_mov_b64 s[8:9], -1
.LBB870_3:
	s_andn2_b64 vcc, exec, s[8:9]
	s_cbranch_vccnz .LBB870_23
; %bb.4:
	s_load_dword s5, s[0:1], 0x9c
	s_load_dwordx2 s[6:7], s[0:1], 0x28
	s_add_u32 s28, s0, 0x90
	s_addc_u32 s29, s1, 0
	s_lshl_b64 s[34:35], s[2:3], 2
	s_waitcnt lgkmcnt(0)
	s_and_b32 s5, s5, 0xffff
	s_add_u32 s6, s6, s34
	s_addc_u32 s7, s7, s35
	s_load_dword s3, s[6:7], 0x0
	s_mul_i32 s10, s24, s5
	s_waitcnt lgkmcnt(0)
	s_cmp_ge_i32 s10, s3
	s_cbranch_scc1 .LBB870_23
; %bb.5:
	v_and_b32_e32 v2, 0xc0, v0
	v_add_u32_e32 v4, s10, v2
	v_lshrrev_b32_e32 v1, 6, v0
	v_cmp_gt_i32_e64 s[6:7], s3, v4
	v_cmp_le_i32_e32 vcc, s3, v4
                                        ; implicit-def: $sgpr25
                                        ; implicit-def: $sgpr11
	s_and_saveexec_b64 s[8:9], vcc
	s_xor_b64 s[8:9], exec, s[8:9]
	s_cbranch_execz .LBB870_7
; %bb.6:
	v_mul_u32_u24_e32 v2, 20, v1
	v_or_b32_e32 v2, 0xa00, v2
	v_mov_b32_e32 v3, 0xa50
	v_mov_b32_e32 v4, 0xff7fffff
	v_mad_u32_u24 v3, v1, 20, v3
	ds_write2_b32 v2, v4, v4 offset1:1
	v_mov_b32_e32 v2, 0
	ds_write2_b32 v3, v2, v2 offset1:1
	v_mov_b32_e32 v3, 0xa08
	s_mov_b32 s11, 0xff7fffff
	s_mov_b32 s25, 0
	v_mad_u32_u24 v3, v1, 20, v3
	v_mov_b32_e32 v5, 0xa58
	v_mad_u32_u24 v5, v1, 20, v5
	ds_write2_b32 v3, v4, v4 offset1:1
	ds_write2_b32 v5, v2, v2 offset1:1
                                        ; implicit-def: $vgpr4
.LBB870_7:
	s_or_saveexec_b64 s[30:31], s[8:9]
	s_load_dwordx2 s[26:27], s[0:1], 0x68
	s_load_dwordx4 s[16:19], s[0:1], 0x58
	s_load_dword s5, s[28:29], 0x4
	s_load_dwordx4 s[12:15], s[0:1], 0x80
	v_and_b32_e32 v30, 63, v0
	v_and_b32_e32 v31, 3, v0
	v_mov_b32_e32 v21, s25
	v_mov_b32_e32 v24, s11
	;; [unrolled: 1-line block ×5, first 2 shown]
                                        ; implicit-def: $vgpr10_vgpr11
                                        ; implicit-def: $vgpr6_vgpr7
                                        ; implicit-def: $vgpr14_vgpr15
                                        ; implicit-def: $vgpr2_vgpr3
	s_xor_b64 exec, exec, s[30:31]
	s_cbranch_execz .LBB870_17
; %bb.8:
	s_load_dwordx2 s[8:9], s[0:1], 0x20
	s_load_dword s11, s[0:1], 0x38
	s_add_i32 s25, s3, 31
	s_ashr_i32 s33, s25, 31
	s_lshr_b32 s33, s33, 27
	v_add_u32_e32 v32, s10, v0
	s_add_i32 s25, s25, s33
	v_ashrrev_i32_e32 v2, 31, v32
	v_ashrrev_i32_e32 v5, 31, v4
	s_ashr_i32 s25, s25, 5
	v_lshrrev_b32_e32 v2, 27, v2
	v_lshrrev_b32_e32 v5, 27, v5
	s_add_i32 s25, s25, -1
	s_waitcnt lgkmcnt(0)
	s_mul_i32 s36, s2, s11
	s_mov_b32 s37, 0
	v_add_u32_e32 v2, v32, v2
	v_add_u32_e32 v4, v4, v5
	s_lshl_b64 s[36:37], s[36:37], 2
	v_ashrrev_i32_e32 v2, 5, v2
	v_mov_b32_e32 v3, s25
	v_cmp_gt_i32_e32 vcc, s3, v32
	v_ashrrev_i32_e32 v6, 5, v4
	s_add_u32 s8, s8, s36
	v_cndmask_b32_e32 v2, v3, v2, vcc
	v_min_i32_e32 v4, s25, v6
	v_add_u32_e32 v6, 1, v6
	s_addc_u32 s9, s9, s37
	v_ashrrev_i32_e32 v3, 31, v2
	v_min_i32_e32 v6, s25, v6
	v_lshl_add_u64 v[2:3], v[2:3], 2, s[8:9]
	v_ashrrev_i32_e32 v5, 31, v4
	v_ashrrev_i32_e32 v7, 31, v6
	v_lshl_add_u64 v[4:5], v[4:5], 2, s[8:9]
	v_lshl_add_u64 v[10:11], v[6:7], 2, s[8:9]
	global_load_dword v6, v[2:3], off
	global_load_dword v9, v[4:5], off
	;; [unrolled: 1-line block ×3, first 2 shown]
	s_load_dwordx4 s[8:11], s[0:1], 0x8
	s_andn2_b64 vcc, exec, s[22:23]
	s_cbranch_vccnz .LBB870_11
; %bb.9:
	s_add_u32 s20, s20, s34
	s_addc_u32 s21, s21, s35
	s_load_dword s25, s[20:21], 0x0
	s_branch .LBB870_12
.LBB870_10:
	s_mov_b64 s[8:9], 0
	s_branch .LBB870_2
.LBB870_11:
	s_mov_b32 s25, s2
.LBB870_12:
	s_load_dwordx4 s[20:23], s[0:1], 0x48
	v_cmp_ne_u32_e32 vcc, 3, v31
	s_mov_b32 s37, 0
	v_mov_b32_e32 v33, 1.0
	v_mov_b32_e32 v7, 0
	v_mov_b32_e32 v2, 0
	;; [unrolled: 1-line block ×5, first 2 shown]
	s_and_saveexec_b64 s[34:35], vcc
	s_cbranch_execz .LBB870_14
; %bb.13:
	s_load_dwordx2 s[38:39], s[0:1], 0x0
	s_waitcnt lgkmcnt(0)
	s_ashr_i32 s23, s20, 31
	s_mul_hi_u32 s33, s25, s20
	s_mul_i32 s23, s25, s23
	s_add_i32 s41, s33, s23
	s_mul_i32 s40, s25, s20
	s_lshl_b64 s[40:41], s[40:41], 1
	s_add_u32 s20, s38, s40
	s_mul_i32 s36, s4, 0xc0
	s_addc_u32 s23, s39, s41
	s_lshl_b64 s[36:37], s[36:37], 1
	s_add_u32 s36, s20, s36
	v_lshlrev_b32_e32 v2, 3, v31
	v_lshrrev_b32_e32 v3, 2, v30
	s_addc_u32 s37, s23, s37
	v_add_lshl_u32 v2, v2, v3, 4
	global_load_dwordx4 v[2:5], v2, s[36:37]
	v_mov_b32_e32 v33, 0
.LBB870_14:
	s_or_b64 exec, exec, s[34:35]
	s_waitcnt lgkmcnt(0)
	s_mul_i32 s20, s4, s22
	s_add_u32 s8, s20, s8
	s_addc_u32 s9, 0, s9
	v_mov_b64_e32 v[10:11], s[8:9]
	s_waitcnt vmcnt(2)
	v_mad_i64_i32 v[10:11], s[8:9], v6, s21, v[10:11]
	v_lshlrev_b32_e32 v6, 4, v0
	v_and_b32_e32 v6, 0x1f0, v6
	v_lshl_add_u64 v[10:11], v[10:11], 0, v[6:7]
	global_load_dwordx4 v[26:29], v[10:11], off
	global_load_dwordx4 v[22:25], v[10:11], off offset:512
	global_load_dwordx4 v[18:21], v[10:11], off offset:1024
	;; [unrolled: 1-line block ×3, first 2 shown]
	s_load_dword s8, s[0:1], 0x1c
	s_load_dword s9, s[12:13], 0x0
	s_waitcnt vmcnt(5)
	v_mul_hi_i32 v6, v9, s21
	s_add_u32 s0, s10, s20
	s_waitcnt vmcnt(4)
	v_mul_hi_i32 v10, v8, s21
	v_ashrrev_i32_e32 v12, 31, v6
	s_addc_u32 s1, s11, 0
	v_lshlrev_b32_e32 v6, 5, v30
	v_ashrrev_i32_e32 v36, 31, v10
	s_waitcnt lgkmcnt(0)
	v_mov_b32_e32 v13, s8
	v_lshl_add_u64 v[10:11], s[0:1], 0, v[6:7]
	v_lshrrev_b32_e32 v6, 29, v12
	v_mul_f32_e32 v34, s9, v13
	v_mad_i64_i32 v[12:13], s[0:1], v9, s21, v[6:7]
	v_lshrrev_b32_e32 v6, 29, v36
	v_and_b32_e32 v12, -8, v12
	v_mad_i64_i32 v[6:7], s[0:1], v8, s21, v[6:7]
	v_lshl_add_u64 v[36:37], v[10:11], 0, v[12:13]
	v_and_b32_e32 v6, -8, v6
	v_lshl_add_u64 v[38:39], v[10:11], 0, v[6:7]
	global_load_dwordx4 v[6:9], v[36:37], off offset:16
	global_load_dwordx4 v[10:13], v[36:37], off
	v_and_b32_e32 v35, -4, v32
	v_cmp_eq_u32_e32 vcc, 0, v31
	s_waitcnt vmcnt(5)
	v_cvt_pk_f32_fp8_e32 v[36:37], v26
	v_cvt_pk_f32_fp8_sdwa v[40:41], v26 src0_sel:WORD_1
	v_cvt_pk_f32_fp8_e32 v[42:43], v27
	v_cvt_pk_f32_fp8_sdwa v[26:27], v27 src0_sel:WORD_1
	;; [unrolled: 2-line block ×3, first 2 shown]
	v_cvt_pkrtz_f16_f32 v36, v36, v37
	v_cvt_pkrtz_f16_f32 v37, v40, v41
	v_cvt_pk_f32_fp8_e32 v[48:49], v29
	v_cvt_pk_f32_fp8_sdwa v[28:29], v29 src0_sel:WORD_1
	v_mfma_f32_4x4x4_16b_f16 a[0:3], v[2:3], v[36:37], 0 cbsz:4
	v_cvt_pkrtz_f16_f32 v40, v42, v43
	v_cvt_pkrtz_f16_f32 v41, v26, v27
	s_waitcnt vmcnt(4)
	v_cvt_pk_f32_fp8_e32 v[50:51], v22
	v_cvt_pk_f32_fp8_sdwa v[52:53], v22 src0_sel:WORD_1
	v_mfma_f32_4x4x4_16b_f16 a[0:3], v[4:5], v[40:41], a[0:3] cbsz:4
	v_cvt_pkrtz_f16_f32 v26, v44, v45
	v_cvt_pkrtz_f16_f32 v27, v46, v47
	v_cvt_pk_f32_fp8_e32 v[54:55], v23
	v_cvt_pk_f32_fp8_sdwa v[22:23], v23 src0_sel:WORD_1
	v_mfma_f32_4x4x4_16b_f16 a[0:3], v[2:3], v[26:27], a[0:3] cbsz:4 abid:1
	v_cvt_pkrtz_f16_f32 v42, v48, v49
	v_cvt_pkrtz_f16_f32 v43, v28, v29
	v_cvt_pk_f32_fp8_e32 v[56:57], v24
	v_cvt_pk_f32_fp8_sdwa v[58:59], v24 src0_sel:WORD_1
	v_mfma_f32_4x4x4_16b_f16 a[0:3], v[4:5], v[42:43], a[0:3] cbsz:4 abid:1
	;; [unrolled: 5-line block ×3, first 2 shown]
	v_cvt_pkrtz_f16_f32 v44, v54, v55
	v_cvt_pkrtz_f16_f32 v45, v22, v23
	s_waitcnt vmcnt(3)
	v_cvt_pk_f32_fp8_e32 v[62:63], v18
	v_cvt_pk_f32_fp8_sdwa v[64:65], v18 src0_sel:WORD_1
	v_mfma_f32_4x4x4_16b_f16 a[0:3], v[4:5], v[44:45], a[0:3] cbsz:4 abid:2
	v_cvt_pkrtz_f16_f32 v22, v56, v57
	v_cvt_pkrtz_f16_f32 v23, v58, v59
	v_cvt_pk_f32_fp8_e32 v[66:67], v19
	v_cvt_pk_f32_fp8_sdwa v[18:19], v19 src0_sel:WORD_1
	v_mfma_f32_4x4x4_16b_f16 a[0:3], v[2:3], v[22:23], a[0:3] cbsz:4 abid:3
	v_cvt_pkrtz_f16_f32 v46, v60, v61
	v_cvt_pkrtz_f16_f32 v47, v24, v25
	v_cvt_pk_f32_fp8_e32 v[68:69], v20
	v_cvt_pk_f32_fp8_sdwa v[70:71], v20 src0_sel:WORD_1
	v_mfma_f32_4x4x4_16b_f16 a[0:3], v[4:5], v[46:47], a[0:3] cbsz:4 abid:3
	v_cvt_pkrtz_f16_f32 v24, v62, v63
	v_cvt_pkrtz_f16_f32 v25, v64, v65
	v_cvt_pk_f32_fp8_e32 v[72:73], v21
	v_cvt_pk_f32_fp8_sdwa v[20:21], v21 src0_sel:WORD_1
	v_mfma_f32_4x4x4_16b_f16 a[0:3], v[2:3], v[24:25], a[0:3] cbsz:4 abid:4
	v_cvt_pkrtz_f16_f32 v36, v66, v67
	v_cvt_pkrtz_f16_f32 v37, v18, v19
	s_waitcnt vmcnt(2)
	v_cvt_pk_f32_fp8_e32 v[74:75], v14
	v_cvt_pk_f32_fp8_sdwa v[76:77], v14 src0_sel:WORD_1
	v_mfma_f32_4x4x4_16b_f16 a[0:3], v[4:5], v[36:37], a[0:3] cbsz:4 abid:4
	v_cvt_pkrtz_f16_f32 v18, v68, v69
	v_cvt_pkrtz_f16_f32 v19, v70, v71
	v_cvt_pk_f32_fp8_e32 v[78:79], v15
	v_cvt_pk_f32_fp8_sdwa v[14:15], v15 src0_sel:WORD_1
	v_mfma_f32_4x4x4_16b_f16 a[0:3], v[2:3], v[18:19], a[0:3] cbsz:4 abid:5
	v_cvt_pkrtz_f16_f32 v26, v72, v73
	v_cvt_pkrtz_f16_f32 v27, v20, v21
	;; [unrolled: 5-line block ×4, first 2 shown]
	v_cvt_pkrtz_f16_f32 v14, v80, v81
	v_cvt_pkrtz_f16_f32 v15, v82, v83
	v_mfma_f32_4x4x4_16b_f16 a[0:3], v[4:5], v[22:23], a[0:3] cbsz:4 abid:6
	v_cvt_pkrtz_f16_f32 v18, v84, v85
	v_cvt_pkrtz_f16_f32 v19, v16, v17
	v_mfma_f32_4x4x4_16b_f16 a[0:3], v[2:3], v[14:15], a[0:3] cbsz:4 abid:7
	v_cndmask_b32_e64 v86, 0, 1.0, vcc
	v_cmp_eq_u32_e32 vcc, 1, v31
	v_mfma_f32_4x4x4_16b_f16 a[0:3], v[4:5], v[18:19], a[0:3] cbsz:4 abid:7
	s_nop 4
	v_accvgpr_read_b32 v3, a1
	v_accvgpr_read_b32 v2, a0
	v_pk_mul_f32 v[18:19], v[2:3], v[34:35] op_sel_hi:[1,0]
	global_load_dwordx4 v[2:5], v[38:39], off offset:16
	global_load_dwordx4 v[14:17], v[38:39], off
	v_accvgpr_read_b32 v21, a3
	v_accvgpr_read_b32 v20, a2
	v_pk_mul_f32 v[20:21], v[20:21], v[34:35] op_sel_hi:[1,0]
	v_mfma_f32_4x4x1_16b_f32 a[0:3], v18, v86, 0
	v_cndmask_b32_e64 v18, 0, 1.0, vcc
	v_cmp_eq_u32_e32 vcc, 2, v31
	s_nop 0
	v_mfma_f32_4x4x1_16b_f32 a[0:3], v19, v18, a[0:3]
	v_cndmask_b32_e64 v18, 0, 1.0, vcc
	v_cmp_gt_i32_e32 vcc, s3, v35
	s_nop 0
	v_mfma_f32_4x4x1_16b_f32 a[0:3], v20, v18, a[0:3]
	v_lshlrev_b32_e32 v18, 2, v0
	v_and_or_b32 v18, v18, 48, v31
	v_mfma_f32_4x4x1_16b_f32 a[0:3], v21, v33, a[0:3]
	v_mov_b32_e32 v21, 0xff7fffff
	v_lshlrev_b32_e32 v26, 2, v18
	s_nop 1
	v_accvgpr_read_b32 v19, a0
	v_max_f32_e32 v20, v19, v19
	v_max_f32_e32 v20, 0xff7fffff, v20
	v_accvgpr_read_b32 v22, a1
	v_cndmask_b32_e32 v20, v21, v20, vcc
	v_or_b32_e32 v21, 1, v35
	v_max_f32_e32 v23, v22, v22
	v_max_f32_e32 v23, v20, v23
	v_cmp_gt_i32_e64 s[0:1], s3, v21
	v_or_b32_e32 v21, 2, v35
	v_cmp_gt_i32_e64 s[8:9], s3, v21
	v_cndmask_b32_e64 v20, v20, v23, s[0:1]
	v_accvgpr_read_b32 v23, a2
	v_max_f32_e32 v24, v23, v23
	v_max_f32_e32 v24, v20, v24
	v_accvgpr_read_b32 v25, a3
	v_cndmask_b32_e64 v20, v20, v24, s[8:9]
	v_or_b32_e32 v21, 3, v32
	v_max_f32_e32 v24, v25, v25
	v_max_f32_e32 v24, v20, v24
	v_cmp_gt_i32_e64 s[10:11], s3, v21
	s_nop 1
	v_cndmask_b32_e64 v20, v20, v24, s[10:11]
	;;#ASMSTART
	v_nop
 v_nop
 v_max_f32_dpp v18, v20, v20 row_ror:4
	;;#ASMEND
	s_nop 0
	;;#ASMSTART
	v_nop
 v_nop
 v_max_f32_dpp v18, v18, v18 row_ror:8
	;;#ASMEND
	ds_bpermute_b32 v18, v26, v18
	s_waitcnt lgkmcnt(0)
	;;#ASMSTART
	v_nop
 v_nop
 v_max_f32_dpp v18, v18, v18 row_ror:4
	;;#ASMEND
	s_nop 0
	;;#ASMSTART
	v_nop
 v_nop
 v_max_f32_dpp v24, v18, v18 row_ror:8
	;;#ASMEND
	s_nop 0
	v_sub_f32_e32 v18, v19, v24
	v_mul_f32_e32 v18, 0x3fb8aa3b, v18
	v_sub_f32_e32 v19, v22, v24
	v_exp_f32_e32 v18, v18
	v_mul_f32_e32 v19, 0x3fb8aa3b, v19
	v_sub_f32_e32 v21, v23, v24
	v_exp_f32_e32 v19, v19
	;; [unrolled: 3-line block ×3, first 2 shown]
	v_mul_f32_e32 v22, 0x3fb8aa3b, v22
	v_exp_f32_e32 v22, v22
	v_cndmask_b32_e32 v18, 0, v18, vcc
	v_add_f32_e32 v20, 0, v18
	v_cndmask_b32_e64 v19, 0, v19, s[0:1]
	v_add_f32_e32 v23, v20, v19
	v_cndmask_b32_e64 v20, 0, v21, s[8:9]
	;; [unrolled: 2-line block ×3, first 2 shown]
	v_add_f32_e32 v22, v23, v21
	;;#ASMSTART
	v_nop
 v_nop
 v_add_f32_dpp v22, v22, v22 row_ror:4
	;;#ASMEND
	v_cmp_gt_u32_e32 vcc, 4, v30
	;;#ASMSTART
	v_nop
 v_nop
 v_add_f32_dpp v22, v22, v22 row_ror:8
	;;#ASMEND
	ds_bpermute_b32 v22, v26, v22
	s_waitcnt lgkmcnt(0)
	;;#ASMSTART
	v_nop
 v_nop
 v_add_f32_dpp v22, v22, v22 row_ror:4
	;;#ASMEND
	s_nop 0
	;;#ASMSTART
	v_nop
 v_nop
 v_add_f32_dpp v22, v22, v22 row_ror:8
	;;#ASMEND
	s_and_saveexec_b64 s[0:1], vcc
	s_cbranch_execz .LBB870_16
; %bb.15:
	v_mul_u32_u24_e32 v23, 20, v1
	v_lshl_add_u32 v23, v31, 2, v23
	v_add_u32_e32 v23, 0x800, v23
	ds_write2_b32 v23, v24, v22 offset0:128 offset1:148
.LBB870_16:
	s_or_b64 exec, exec, s[0:1]
.LBB870_17:
	s_or_b64 exec, exec, s[30:31]
	s_waitcnt lgkmcnt(0)
	s_barrier
	s_load_dword s0, s[28:29], 0x8
	v_lshlrev_b32_e32 v22, 2, v31
	v_add_u32_e32 v32, 0x800, v22
	ds_read2_b32 v[22:23], v32 offset0:128 offset1:133
	ds_read2_b32 v[26:27], v32 offset0:138 offset1:143
	s_mul_i32 s1, s2, s5
	s_waitcnt lgkmcnt(0)
	s_mul_i32 s0, s1, s0
	s_mov_b32 s1, 0xff7fffff
	v_max3_f32 v25, v22, s1, v23
	v_max3_f32 v25, v25, v26, v27
	v_sub_f32_e32 v22, v22, v25
	v_mul_f32_e32 v22, 0x3fb8aa3b, v22
	ds_read2_b32 v[28:29], v32 offset0:148 offset1:153
	v_exp_f32_e32 v33, v22
	v_sub_f32_e32 v22, v23, v25
	v_sub_f32_e32 v26, v26, v25
	v_mul_f32_e32 v22, 0x3fb8aa3b, v22
	v_mul_f32_e32 v26, 0x3fb8aa3b, v26
	v_exp_f32_e32 v34, v22
	ds_read2_b32 v[22:23], v32 offset0:158 offset1:163
	v_exp_f32_e32 v32, v26
	v_sub_f32_e32 v26, v27, v25
	v_mul_f32_e32 v26, 0x3fb8aa3b, v26
	v_exp_f32_e32 v27, v26
	s_waitcnt lgkmcnt(1)
	v_fma_f32 v26, v33, v28, 0
	v_fmac_f32_e32 v26, v34, v29
	s_waitcnt lgkmcnt(0)
	v_fmac_f32_e32 v26, v32, v22
	s_mul_i32 s4, s4, 3
	s_mul_i32 s0, s0, 3
	v_fmac_f32_e32 v26, v27, v23
	v_cmp_ne_u32_e32 vcc, 3, v31
	s_and_saveexec_b64 s[2:3], vcc
	s_cbranch_execz .LBB870_19
; %bb.18:
	s_mov_b32 s1, 0
	s_lshl_b64 s[8:9], s[0:1], 2
	s_add_u32 s12, s16, s8
	s_mov_b32 s25, s1
	s_addc_u32 s13, s17, s9
	s_lshl_b64 s[10:11], s[24:25], 2
	s_add_u32 s12, s12, s10
	s_addc_u32 s13, s13, s11
	s_add_u32 s1, s18, s8
	s_addc_u32 s9, s19, s9
	v_add_u32_e32 v22, s4, v31
	s_add_u32 s8, s1, s10
	v_mul_lo_u32 v22, s5, v22
	v_mov_b32_e32 v23, 0
	s_addc_u32 s9, s9, s11
	v_lshlrev_b64 v[22:23], 2, v[22:23]
	v_lshl_add_u64 v[28:29], s[12:13], 0, v[22:23]
	v_lshl_add_u64 v[22:23], s[8:9], 0, v[22:23]
	global_store_dword v[22:23], v25, off
	global_store_dword v[28:29], v26, off
.LBB870_19:
	s_or_b64 exec, exec, s[2:3]
	v_mov_b32_e32 v22, 0
	v_mov_b32_e32 v23, 0
	s_and_saveexec_b64 s[2:3], s[6:7]
	s_cbranch_execz .LBB870_21
; %bb.20:
	v_add_f32_e32 v22, 0x358637bd, v26
	v_div_scale_f32 v23, s[6:7], v22, v22, 1.0
	v_rcp_f32_e32 v26, v23
	v_div_scale_f32 v27, vcc, 1.0, v22, 1.0
	v_sub_f32_e32 v24, v24, v25
	v_fma_f32 v28, -v23, v26, 1.0
	v_fmac_f32_e32 v26, v28, v26
	v_mul_f32_e32 v28, v27, v26
	v_fma_f32 v29, -v23, v28, v27
	v_mul_f32_e32 v24, 0x3fb8aa3b, v24
	v_fmac_f32_e32 v28, v29, v26
	v_exp_f32_e32 v24, v24
	v_fma_f32 v23, -v23, v28, v27
	v_div_fmas_f32 v23, v23, v26, v28
	v_div_fixup_f32 v22, v23, v22, 1.0
	v_mul_f32_e32 v22, v24, v22
	v_pk_mul_f32 v[20:21], v[20:21], v[22:23] op_sel_hi:[1,0]
	v_pk_mul_f32 v[18:19], v[18:19], v[22:23] op_sel_hi:[1,0]
	v_cvt_f16_f32_e32 v22, v20
	v_cvt_f16_f32_e32 v18, v18
	;; [unrolled: 1-line block ×4, first 2 shown]
	s_waitcnt vmcnt(2)
	v_cvt_pk_f32_fp8_e32 v[20:21], v10
	v_cvt_pk_f32_fp8_e32 v[24:25], v11
	v_pack_b32_f16 v18, v18, v19
	v_pack_b32_f16 v19, v22, v23
	v_cvt_pk_f32_fp8_sdwa v[22:23], v10 src0_sel:WORD_1
	v_cvt_pkrtz_f16_f32 v10, v20, v21
	v_cvt_pk_f32_fp8_sdwa v[20:21], v11 src0_sel:WORD_1
	s_load_dword s6, s[14:15], 0x0
	v_cvt_pkrtz_f16_f32 v11, v22, v23
	v_cvt_pkrtz_f16_f32 v22, v24, v25
	;; [unrolled: 1-line block ×3, first 2 shown]
	v_mfma_f32_4x4x4_16b_f16 a[0:3], v[18:19], v[10:11], 0 cbsz:4
	v_cvt_pk_f32_fp8_e32 v[10:11], v12
	v_cvt_pk_f32_fp8_sdwa v[20:21], v12 src0_sel:WORD_1
	v_mfma_f32_4x4x4_16b_f16 a[0:3], v[18:19], v[22:23], a[0:3] cbsz:4 abid:1
	v_cvt_pk_f32_fp8_e32 v[22:23], v13
	v_cvt_pk_f32_fp8_sdwa v[12:13], v13 src0_sel:WORD_1
	v_cvt_pkrtz_f16_f32 v10, v10, v11
	v_cvt_pkrtz_f16_f32 v11, v20, v21
	;; [unrolled: 1-line block ×4, first 2 shown]
	v_mfma_f32_4x4x4_16b_f16 a[0:3], v[18:19], v[10:11], a[0:3] cbsz:4 abid:2
	v_cvt_pk_f32_fp8_e32 v[10:11], v6
	v_cvt_pk_f32_fp8_sdwa v[12:13], v6 src0_sel:WORD_1
	v_mfma_f32_4x4x4_16b_f16 a[0:3], v[18:19], v[20:21], a[0:3] cbsz:4 abid:3
	v_cvt_pk_f32_fp8_e32 v[20:21], v7
	v_cvt_pkrtz_f16_f32 v6, v10, v11
	v_cvt_pk_f32_fp8_sdwa v[10:11], v7 src0_sel:WORD_1
	v_cvt_pkrtz_f16_f32 v7, v12, v13
	v_cvt_pkrtz_f16_f32 v12, v20, v21
	s_mov_b32 s1, 0x5040100
	v_mfma_f32_4x4x4_16b_f16 a[0:3], v[18:19], v[6:7], a[0:3] cbsz:4 abid:4
	v_cvt_pkrtz_f16_f32 v13, v10, v11
	v_cvt_pk_f32_fp8_e32 v[6:7], v8
	v_cvt_pk_f32_fp8_sdwa v[10:11], v8 src0_sel:WORD_1
	v_mfma_f32_4x4x4_16b_f16 a[0:3], v[18:19], v[12:13], a[0:3] cbsz:4 abid:5
	v_cvt_pk_f32_fp8_e32 v[12:13], v9
	v_cvt_pk_f32_fp8_sdwa v[8:9], v9 src0_sel:WORD_1
	v_cvt_pkrtz_f16_f32 v6, v6, v7
	v_cvt_pkrtz_f16_f32 v7, v10, v11
	;; [unrolled: 1-line block ×4, first 2 shown]
	v_mfma_f32_4x4x4_16b_f16 a[0:3], v[18:19], v[6:7], a[0:3] cbsz:4 abid:6
	s_waitcnt vmcnt(0)
	v_cvt_pk_f32_fp8_e32 v[6:7], v14
	v_cvt_pk_f32_fp8_sdwa v[8:9], v14 src0_sel:WORD_1
	v_mfma_f32_4x4x4_16b_f16 a[0:3], v[18:19], v[10:11], a[0:3] cbsz:4 abid:7
	v_cvt_pk_f32_fp8_e32 v[10:11], v15
	v_cvt_pk_f32_fp8_sdwa v[12:13], v15 src0_sel:WORD_1
	v_cvt_pkrtz_f16_f32 v6, v6, v7
	v_cvt_pkrtz_f16_f32 v7, v8, v9
	;; [unrolled: 1-line block ×4, first 2 shown]
	v_mfma_f32_4x4x4_16b_f16 a[0:3], v[18:19], v[6:7], a[0:3] cbsz:4 abid:8
	v_cvt_pk_f32_fp8_e32 v[6:7], v16
	v_cvt_pk_f32_fp8_e32 v[10:11], v17
	v_mfma_f32_4x4x4_16b_f16 a[0:3], v[18:19], v[8:9], a[0:3] cbsz:4 abid:9
	v_cvt_pk_f32_fp8_sdwa v[8:9], v16 src0_sel:WORD_1
	v_cvt_pk_f32_fp8_sdwa v[12:13], v17 src0_sel:WORD_1
	v_cvt_pkrtz_f16_f32 v6, v6, v7
	v_cvt_pkrtz_f16_f32 v7, v8, v9
	;; [unrolled: 1-line block ×3, first 2 shown]
	s_nop 0
	v_mfma_f32_4x4x4_16b_f16 a[0:3], v[18:19], v[6:7], a[0:3] cbsz:4 abid:10
	v_cvt_pk_f32_fp8_e32 v[6:7], v2
	v_cvt_pkrtz_f16_f32 v9, v12, v13
	v_cvt_pk_f32_fp8_e32 v[10:11], v3
	s_nop 0
	v_mfma_f32_4x4x4_16b_f16 a[0:3], v[18:19], v[8:9], a[0:3] cbsz:4 abid:11
	v_cvt_pk_f32_fp8_sdwa v[8:9], v2 src0_sel:WORD_1
	v_cvt_pkrtz_f16_f32 v2, v6, v7
	v_cvt_pk_f32_fp8_sdwa v[6:7], v3 src0_sel:WORD_1
	v_cvt_pkrtz_f16_f32 v3, v8, v9
	v_cvt_pkrtz_f16_f32 v8, v10, v11
	s_nop 0
	v_mfma_f32_4x4x4_16b_f16 a[0:3], v[18:19], v[2:3], a[0:3] cbsz:4 abid:12
	v_cvt_pkrtz_f16_f32 v9, v6, v7
	v_cvt_pk_f32_fp8_e32 v[2:3], v4
	v_cvt_pk_f32_fp8_sdwa v[6:7], v4 src0_sel:WORD_1
	v_mfma_f32_4x4x4_16b_f16 a[0:3], v[18:19], v[8:9], a[0:3] cbsz:4 abid:13
	v_cvt_pk_f32_fp8_e32 v[8:9], v5
	v_cvt_pk_f32_fp8_sdwa v[4:5], v5 src0_sel:WORD_1
	v_cvt_pkrtz_f16_f32 v2, v2, v3
	v_cvt_pkrtz_f16_f32 v3, v6, v7
	;; [unrolled: 1-line block ×4, first 2 shown]
	v_mfma_f32_4x4x4_16b_f16 a[0:3], v[18:19], v[2:3], a[0:3] cbsz:4 abid:14
	s_nop 1
	v_mfma_f32_4x4x4_16b_f16 a[0:3], v[18:19], v[6:7], a[0:3] cbsz:4 abid:15
	s_nop 4
	v_accvgpr_read_b32 v5, a1
	v_accvgpr_read_b32 v3, a3
	;; [unrolled: 1-line block ×4, first 2 shown]
	s_waitcnt lgkmcnt(0)
	v_pk_mul_f32 v[2:3], v[2:3], s[6:7] op_sel_hi:[1,0]
	v_pk_mul_f32 v[4:5], v[4:5], s[6:7] op_sel_hi:[1,0]
	v_cvt_f16_f32_e32 v2, v2
	v_cvt_f16_f32_e32 v4, v4
	;; [unrolled: 1-line block ×4, first 2 shown]
	v_perm_b32 v22, v5, v4, s1
	v_perm_b32 v23, v3, v2, s1
.LBB870_21:
	s_or_b64 exec, exec, s[2:3]
	v_lshlrev_b32_e32 v1, 3, v1
	v_mad_u32_u24 v1, v30, 40, v1
	v_cmp_gt_u32_e32 vcc, 64, v0
	ds_write_b64 v1, v[22:23]
	s_waitcnt lgkmcnt(0)
	s_barrier
	s_and_saveexec_b64 s[2:3], vcc
	s_cbranch_execz .LBB870_23
; %bb.22:
	v_mul_u32_u24_e32 v1, 40, v30
	s_waitcnt vmcnt(1)
	ds_read2_b64 v[2:5], v1 offset1:1
	ds_read2_b64 v[6:9], v1 offset0:2 offset1:3
	s_mov_b32 s1, 0
	s_lshl_b32 s0, s0, 6
	s_lshl_b64 s[2:3], s[0:1], 1
	s_add_u32 s2, s26, s2
	s_addc_u32 s3, s27, s3
	s_lshl_b32 s0, s24, 6
	s_lshl_b64 s[0:1], s[0:1], 1
	s_waitcnt lgkmcnt(1)
	v_pk_add_f16 v1, v2, 0
	v_pk_add_f16 v2, v3, 0
	s_add_u32 s0, s2, s0
	v_pk_add_f16 v2, v2, v5
	s_addc_u32 s1, s3, s1
	s_lshl_b32 s2, s5, 6
	v_pk_add_f16 v1, v1, v4
	s_waitcnt lgkmcnt(0)
	v_pk_add_f16 v2, v2, v7
	s_mul_i32 s3, s2, s4
	v_pk_add_f16 v1, v1, v6
	v_pk_add_f16 v6, v2, v9
	v_or_b32_e32 v2, s3, v0
	v_mov_b32_e32 v3, 0
	s_add_i32 s3, s3, s2
	v_pk_add_f16 v1, v1, v8
	v_lshl_add_u64 v[4:5], v[2:3], 1, s[0:1]
	v_or_b32_e32 v2, s3, v0
	s_add_i32 s3, s3, s2
	global_store_short v[4:5], v1, off
	v_lshl_add_u64 v[4:5], v[2:3], 1, s[0:1]
	v_or_b32_e32 v2, s3, v0
	global_store_short_d16_hi v[4:5], v1, off
	v_lshl_add_u64 v[0:1], v[2:3], 1, s[0:1]
	global_store_short v[0:1], v6, off
.LBB870_23:
	s_endpgm
	.section	.rodata,"a",@progbits
	.p2align	6, 0x0
	.amdhsa_kernel _Z38paged_attention_ll4mi_QKV_mfma4_kernelIDF16_hLN4vllm18Fp8KVCacheDataTypeE1EhLi32ELi64ELi256ELb0ELi3EEvPKT_PKT0_S7_ifPKiS9_S9_iPKfiiiPfSC_PS2_PT2_iSB_SB_
		.amdhsa_group_segment_fixed_size 2720
		.amdhsa_private_segment_fixed_size 0
		.amdhsa_kernarg_size 400
		.amdhsa_user_sgpr_count 2
		.amdhsa_user_sgpr_dispatch_ptr 0
		.amdhsa_user_sgpr_queue_ptr 0
		.amdhsa_user_sgpr_kernarg_segment_ptr 1
		.amdhsa_user_sgpr_dispatch_id 0
		.amdhsa_user_sgpr_kernarg_preload_length 0
		.amdhsa_user_sgpr_kernarg_preload_offset 0
		.amdhsa_user_sgpr_private_segment_size 0
		.amdhsa_uses_dynamic_stack 0
		.amdhsa_enable_private_segment 0
		.amdhsa_system_sgpr_workgroup_id_x 1
		.amdhsa_system_sgpr_workgroup_id_y 1
		.amdhsa_system_sgpr_workgroup_id_z 1
		.amdhsa_system_sgpr_workgroup_info 0
		.amdhsa_system_vgpr_workitem_id 0
		.amdhsa_next_free_vgpr 92
		.amdhsa_next_free_sgpr 42
		.amdhsa_accum_offset 88
		.amdhsa_reserve_vcc 1
		.amdhsa_float_round_mode_32 0
		.amdhsa_float_round_mode_16_64 0
		.amdhsa_float_denorm_mode_32 3
		.amdhsa_float_denorm_mode_16_64 3
		.amdhsa_dx10_clamp 1
		.amdhsa_ieee_mode 1
		.amdhsa_fp16_overflow 0
		.amdhsa_tg_split 0
		.amdhsa_exception_fp_ieee_invalid_op 0
		.amdhsa_exception_fp_denorm_src 0
		.amdhsa_exception_fp_ieee_div_zero 0
		.amdhsa_exception_fp_ieee_overflow 0
		.amdhsa_exception_fp_ieee_underflow 0
		.amdhsa_exception_fp_ieee_inexact 0
		.amdhsa_exception_int_div_zero 0
	.end_amdhsa_kernel
	.section	.text._Z38paged_attention_ll4mi_QKV_mfma4_kernelIDF16_hLN4vllm18Fp8KVCacheDataTypeE1EhLi32ELi64ELi256ELb0ELi3EEvPKT_PKT0_S7_ifPKiS9_S9_iPKfiiiPfSC_PS2_PT2_iSB_SB_,"axG",@progbits,_Z38paged_attention_ll4mi_QKV_mfma4_kernelIDF16_hLN4vllm18Fp8KVCacheDataTypeE1EhLi32ELi64ELi256ELb0ELi3EEvPKT_PKT0_S7_ifPKiS9_S9_iPKfiiiPfSC_PS2_PT2_iSB_SB_,comdat
.Lfunc_end870:
	.size	_Z38paged_attention_ll4mi_QKV_mfma4_kernelIDF16_hLN4vllm18Fp8KVCacheDataTypeE1EhLi32ELi64ELi256ELb0ELi3EEvPKT_PKT0_S7_ifPKiS9_S9_iPKfiiiPfSC_PS2_PT2_iSB_SB_, .Lfunc_end870-_Z38paged_attention_ll4mi_QKV_mfma4_kernelIDF16_hLN4vllm18Fp8KVCacheDataTypeE1EhLi32ELi64ELi256ELb0ELi3EEvPKT_PKT0_S7_ifPKiS9_S9_iPKfiiiPfSC_PS2_PT2_iSB_SB_
                                        ; -- End function
	.section	.AMDGPU.csdata,"",@progbits
; Kernel info:
; codeLenInByte = 3776
; NumSgprs: 48
; NumVgprs: 87
; NumAgprs: 4
; TotalNumVgprs: 92
; ScratchSize: 0
; MemoryBound: 0
; FloatMode: 240
; IeeeMode: 1
; LDSByteSize: 2720 bytes/workgroup (compile time only)
; SGPRBlocks: 5
; VGPRBlocks: 11
; NumSGPRsForWavesPerEU: 48
; NumVGPRsForWavesPerEU: 92
; AccumOffset: 88
; Occupancy: 5
; WaveLimiterHint : 1
; COMPUTE_PGM_RSRC2:SCRATCH_EN: 0
; COMPUTE_PGM_RSRC2:USER_SGPR: 2
; COMPUTE_PGM_RSRC2:TRAP_HANDLER: 0
; COMPUTE_PGM_RSRC2:TGID_X_EN: 1
; COMPUTE_PGM_RSRC2:TGID_Y_EN: 1
; COMPUTE_PGM_RSRC2:TGID_Z_EN: 1
; COMPUTE_PGM_RSRC2:TIDIG_COMP_CNT: 0
; COMPUTE_PGM_RSRC3_GFX90A:ACCUM_OFFSET: 21
; COMPUTE_PGM_RSRC3_GFX90A:TG_SPLIT: 0
	.section	.text._Z38paged_attention_ll4mi_QKV_mfma4_kernelIDF16_hLN4vllm18Fp8KVCacheDataTypeE1EhLi32ELi64ELi256ELb0ELi4EEvPKT_PKT0_S7_ifPKiS9_S9_iPKfiiiPfSC_PS2_PT2_iSB_SB_,"axG",@progbits,_Z38paged_attention_ll4mi_QKV_mfma4_kernelIDF16_hLN4vllm18Fp8KVCacheDataTypeE1EhLi32ELi64ELi256ELb0ELi4EEvPKT_PKT0_S7_ifPKiS9_S9_iPKfiiiPfSC_PS2_PT2_iSB_SB_,comdat
	.protected	_Z38paged_attention_ll4mi_QKV_mfma4_kernelIDF16_hLN4vllm18Fp8KVCacheDataTypeE1EhLi32ELi64ELi256ELb0ELi4EEvPKT_PKT0_S7_ifPKiS9_S9_iPKfiiiPfSC_PS2_PT2_iSB_SB_ ; -- Begin function _Z38paged_attention_ll4mi_QKV_mfma4_kernelIDF16_hLN4vllm18Fp8KVCacheDataTypeE1EhLi32ELi64ELi256ELb0ELi4EEvPKT_PKT0_S7_ifPKiS9_S9_iPKfiiiPfSC_PS2_PT2_iSB_SB_
	.globl	_Z38paged_attention_ll4mi_QKV_mfma4_kernelIDF16_hLN4vllm18Fp8KVCacheDataTypeE1EhLi32ELi64ELi256ELb0ELi4EEvPKT_PKT0_S7_ifPKiS9_S9_iPKfiiiPfSC_PS2_PT2_iSB_SB_
	.p2align	8
	.type	_Z38paged_attention_ll4mi_QKV_mfma4_kernelIDF16_hLN4vllm18Fp8KVCacheDataTypeE1EhLi32ELi64ELi256ELb0ELi4EEvPKT_PKT0_S7_ifPKiS9_S9_iPKfiiiPfSC_PS2_PT2_iSB_SB_,@function
_Z38paged_attention_ll4mi_QKV_mfma4_kernelIDF16_hLN4vllm18Fp8KVCacheDataTypeE1EhLi32ELi64ELi256ELb0ELi4EEvPKT_PKT0_S7_ifPKiS9_S9_iPKfiiiPfSC_PS2_PT2_iSB_SB_: ; @_Z38paged_attention_ll4mi_QKV_mfma4_kernelIDF16_hLN4vllm18Fp8KVCacheDataTypeE1EhLi32ELi64ELi256ELb0ELi4EEvPKT_PKT0_S7_ifPKiS9_S9_iPKfiiiPfSC_PS2_PT2_iSB_SB_
; %bb.0:
	s_load_dwordx2 s[8:9], s[0:1], 0x30
	s_mov_b32 s24, s3
	s_mov_b64 s[6:7], 0
	s_waitcnt lgkmcnt(0)
	s_cmp_lg_u64 s[8:9], 0
	s_cselect_b64 s[10:11], -1, 0
	s_and_b64 vcc, exec, s[10:11]
	s_cbranch_vccz .LBB871_18
; %bb.1:
	s_add_i32 s12, s2, 1
	s_mov_b32 s13, 0
	s_lshl_b64 s[14:15], s[12:13], 2
	s_add_u32 s14, s8, s14
	s_mov_b32 s3, s13
	s_addc_u32 s15, s9, s15
	s_lshl_b64 s[12:13], s[2:3], 2
	s_add_u32 s12, s8, s12
	s_addc_u32 s13, s9, s13
	s_load_dword s5, s[14:15], 0x0
	s_load_dword s16, s[12:13], 0x0
	s_mov_b64 s[34:35], s[2:3]
	s_waitcnt lgkmcnt(0)
	s_sub_i32 s5, s5, s16
	s_cmp_eq_u32 s5, 1
	s_cselect_b64 s[12:13], -1, 0
	s_andn2_b64 vcc, exec, s[6:7]
	s_cbranch_vccnz .LBB871_3
.LBB871_2:
	s_mov_b32 s3, 0
	s_mov_b64 s[12:13], -1
	s_mov_b64 s[34:35], s[2:3]
.LBB871_3:
	s_andn2_b64 vcc, exec, s[12:13]
	s_cbranch_vccnz .LBB871_17
; %bb.4:
	s_load_dword s3, s[0:1], 0x9c
	s_load_dwordx2 s[6:7], s[0:1], 0x28
	s_add_u32 s28, s0, 0x90
	s_addc_u32 s29, s1, 0
	s_lshl_b64 s[40:41], s[34:35], 2
	s_waitcnt lgkmcnt(0)
	s_and_b32 s5, s3, 0xffff
	s_add_u32 s6, s6, s40
	s_addc_u32 s7, s7, s41
	s_load_dword s3, s[6:7], 0x0
	s_mul_i32 s20, s24, s5
	s_waitcnt lgkmcnt(0)
	s_cmp_ge_i32 s20, s3
	s_cbranch_scc1 .LBB871_17
; %bb.5:
	v_and_b32_e32 v2, 0xc0, v0
	v_add_u32_e32 v4, s20, v2
	v_lshrrev_b32_e32 v1, 6, v0
	v_cmp_gt_i32_e64 s[6:7], s3, v4
	v_cmp_le_i32_e32 vcc, s3, v4
                                        ; implicit-def: $sgpr22
                                        ; implicit-def: $sgpr21
	s_and_saveexec_b64 s[12:13], vcc
	s_xor_b64 s[12:13], exec, s[12:13]
	s_cbranch_execz .LBB871_7
; %bb.6:
	v_mul_u32_u24_e32 v2, 20, v1
	v_or_b32_e32 v2, 0xa00, v2
	v_mov_b32_e32 v3, 0xa50
	v_mov_b32_e32 v4, 0xff7fffff
	v_mad_u32_u24 v3, v1, 20, v3
	ds_write2_b32 v2, v4, v4 offset1:1
	v_mov_b32_e32 v2, 0
	ds_write2_b32 v3, v2, v2 offset1:1
	v_mov_b32_e32 v3, 0xa08
	s_mov_b32 s21, 0xff7fffff
	s_mov_b32 s22, 0
	v_mad_u32_u24 v3, v1, 20, v3
	v_mov_b32_e32 v5, 0xa58
	v_mad_u32_u24 v5, v1, 20, v5
	ds_write2_b32 v3, v4, v4 offset1:1
	ds_write2_b32 v5, v2, v2 offset1:1
                                        ; implicit-def: $vgpr4
.LBB871_7:
	s_or_saveexec_b64 s[30:31], s[12:13]
	s_load_dwordx2 s[26:27], s[0:1], 0x68
	s_load_dwordx4 s[16:19], s[0:1], 0x58
	s_load_dword s5, s[28:29], 0x4
	s_load_dwordx4 s[12:15], s[0:1], 0x80
	v_and_b32_e32 v24, 63, v0
	v_and_b32_e32 v22, 3, v0
	v_mov_b32_e32 v21, s22
	v_mov_b32_e32 v25, s21
	;; [unrolled: 1-line block ×5, first 2 shown]
                                        ; implicit-def: $vgpr14_vgpr15
                                        ; implicit-def: $vgpr10_vgpr11
                                        ; implicit-def: $vgpr6_vgpr7
                                        ; implicit-def: $vgpr2_vgpr3
	s_xor_b64 exec, exec, s[30:31]
	s_cbranch_execz .LBB871_13
; %bb.8:
	s_load_dwordx2 s[22:23], s[0:1], 0x20
	s_load_dword s21, s[0:1], 0x38
	s_add_i32 s25, s3, 31
	s_ashr_i32 s33, s25, 31
	s_lshr_b32 s33, s33, 27
	v_add_u32_e32 v18, s20, v0
	s_add_i32 s25, s25, s33
	v_ashrrev_i32_e32 v2, 31, v18
	s_ashr_i32 s25, s25, 5
	v_lshrrev_b32_e32 v2, 27, v2
	s_add_i32 s25, s25, -1
	s_waitcnt lgkmcnt(0)
	s_mul_i32 s36, s2, s21
	s_mov_b32 s37, 0
	v_add_u32_e32 v2, v18, v2
	s_lshl_b64 s[38:39], s[36:37], 2
	v_ashrrev_i32_e32 v2, 5, v2
	v_mov_b32_e32 v3, s25
	v_cmp_gt_i32_e32 vcc, s3, v18
	s_add_u32 s22, s22, s38
	s_addc_u32 s23, s23, s39
	v_cndmask_b32_e32 v2, v3, v2, vcc
	v_ashrrev_i32_e32 v3, 31, v2
	v_lshl_add_u64 v[6:7], v[2:3], 2, s[22:23]
	v_ashrrev_i32_e32 v2, 31, v4
	v_lshrrev_b32_e32 v2, 27, v2
	v_add_u32_e32 v2, v4, v2
	v_ashrrev_i32_e32 v4, 5, v2
	v_min_i32_e32 v2, s25, v4
	v_ashrrev_i32_e32 v3, 31, v2
	v_lshl_add_u64 v[8:9], v[2:3], 2, s[22:23]
	v_add_u32_e32 v2, 1, v4
	v_min_i32_e32 v2, s25, v2
	v_ashrrev_i32_e32 v3, 31, v2
	v_lshl_add_u64 v[10:11], v[2:3], 2, s[22:23]
	global_load_dword v4, v[6:7], off
	global_load_dword v3, v[8:9], off
	;; [unrolled: 1-line block ×3, first 2 shown]
	s_load_dwordx4 s[20:23], s[0:1], 0x0
	s_load_dwordx2 s[38:39], s[0:1], 0x10
	s_andn2_b64 vcc, exec, s[10:11]
	s_cbranch_vccnz .LBB871_10
; %bb.9:
	s_add_u32 s8, s8, s40
	s_addc_u32 s9, s9, s41
	s_load_dword s36, s[8:9], 0x0
	s_waitcnt lgkmcnt(0)
	s_mov_b64 s[34:35], s[36:37]
.LBB871_10:
	s_load_dwordx4 s[8:11], s[0:1], 0x48
	s_load_dword s25, s[0:1], 0x1c
	v_cmp_eq_u32_e32 vcc, 0, v22
	v_mov_b32_e32 v25, 0xff7fffff
	s_waitcnt lgkmcnt(0)
	s_ashr_i32 s1, s8, 31
	s_mul_hi_u32 s11, s34, s8
	s_mul_i32 s1, s34, s1
	s_mul_i32 s33, s35, s8
	s_add_i32 s1, s11, s1
	s_mul_i32 s0, s34, s8
	s_add_i32 s1, s1, s33
	s_lshl_b64 s[0:1], s[0:1], 1
	s_add_u32 s8, s20, s0
	s_addc_u32 s11, s21, s1
	s_lshl_b32 s36, s4, 8
	s_lshl_b64 s[0:1], s[36:37], 1
	s_add_u32 s0, s8, s0
	s_addc_u32 s1, s11, s1
	s_mul_i32 s8, s4, s10
	s_add_u32 s10, s8, s22
	s_addc_u32 s11, 0, s23
	v_mov_b64_e32 v[6:7], s[10:11]
	s_waitcnt vmcnt(2)
	v_mad_i64_i32 v[4:5], s[10:11], v4, s9, v[6:7]
	v_lshlrev_b32_e32 v6, 4, v0
	v_and_b32_e32 v6, 0x1f0, v6
	v_mov_b32_e32 v7, 0
	v_lshl_add_u64 v[4:5], v[4:5], 0, v[6:7]
	global_load_dwordx4 v[26:29], v[4:5], off
	global_load_dwordx4 v[30:33], v[4:5], off offset:512
	global_load_dwordx4 v[34:37], v[4:5], off offset:1024
	;; [unrolled: 1-line block ×3, first 2 shown]
	v_lshrrev_b32_e32 v4, 2, v24
	v_lshlrev_b32_e32 v5, 3, v22
	v_add_lshl_u32 v4, v5, v4, 4
	global_load_dwordx4 v[42:45], v4, s[0:1]
	s_waitcnt vmcnt(6)
	v_mul_hi_i32 v4, v3, s9
	s_add_u32 s0, s38, s8
	s_waitcnt vmcnt(5)
	v_mul_hi_i32 v5, v2, s9
	v_ashrrev_i32_e32 v8, 31, v4
	s_addc_u32 s1, s39, 0
	v_lshlrev_b32_e32 v6, 5, v24
	v_ashrrev_i32_e32 v10, 31, v5
	v_lshl_add_u64 v[4:5], s[0:1], 0, v[6:7]
	v_lshrrev_b32_e32 v6, 29, v8
	v_mad_i64_i32 v[8:9], s[0:1], v3, s9, v[6:7]
	v_lshrrev_b32_e32 v6, 29, v10
	v_mad_i64_i32 v[2:3], s[0:1], v2, s9, v[6:7]
	v_and_b32_e32 v8, -8, v8
	v_and_b32_e32 v2, -8, v2
	v_lshl_add_u64 v[20:21], v[4:5], 0, v[8:9]
	v_lshl_add_u64 v[46:47], v[4:5], 0, v[2:3]
	global_load_dwordx4 v[10:13], v[20:21], off offset:16
	global_load_dwordx4 v[14:17], v[20:21], off
	global_load_dwordx4 v[2:5], v[46:47], off offset:16
	global_load_dwordx4 v[6:9], v[46:47], off
	s_load_dword s0, s[12:13], 0x0
	v_mov_b32_e32 v19, s25
	s_waitcnt vmcnt(8)
	v_cvt_pk_f32_fp8_e32 v[20:21], v26
	v_cvt_pk_f32_fp8_sdwa v[46:47], v26 src0_sel:WORD_1
	v_cvt_pk_f32_fp8_e32 v[48:49], v27
	v_cvt_pk_f32_fp8_sdwa v[26:27], v27 src0_sel:WORD_1
	;; [unrolled: 2-line block ×3, first 2 shown]
	v_cvt_pkrtz_f16_f32 v20, v20, v21
	v_cvt_pkrtz_f16_f32 v21, v46, v47
	v_cvt_pk_f32_fp8_e32 v[54:55], v29
	v_cvt_pk_f32_fp8_sdwa v[28:29], v29 src0_sel:WORD_1
	s_waitcnt vmcnt(4)
	v_mfma_f32_4x4x4_16b_f16 a[0:3], v[42:43], v[20:21], 0 cbsz:4
	v_cvt_pkrtz_f16_f32 v46, v48, v49
	v_cvt_pkrtz_f16_f32 v47, v26, v27
	v_cvt_pk_f32_fp8_e32 v[56:57], v30
	v_cvt_pk_f32_fp8_sdwa v[58:59], v30 src0_sel:WORD_1
	v_mfma_f32_4x4x4_16b_f16 a[0:3], v[44:45], v[46:47], a[0:3] cbsz:4
	v_cvt_pkrtz_f16_f32 v26, v50, v51
	v_cvt_pkrtz_f16_f32 v27, v52, v53
	v_cvt_pk_f32_fp8_e32 v[60:61], v31
	v_cvt_pk_f32_fp8_sdwa v[30:31], v31 src0_sel:WORD_1
	v_mfma_f32_4x4x4_16b_f16 a[0:3], v[42:43], v[26:27], a[0:3] cbsz:4 abid:1
	v_cvt_pkrtz_f16_f32 v48, v54, v55
	v_cvt_pkrtz_f16_f32 v49, v28, v29
	v_cvt_pk_f32_fp8_e32 v[62:63], v32
	v_cvt_pk_f32_fp8_sdwa v[64:65], v32 src0_sel:WORD_1
	v_mfma_f32_4x4x4_16b_f16 a[0:3], v[44:45], v[48:49], a[0:3] cbsz:4 abid:1
	v_cvt_pkrtz_f16_f32 v28, v56, v57
	v_cvt_pkrtz_f16_f32 v29, v58, v59
	v_cvt_pk_f32_fp8_e32 v[66:67], v33
	v_cvt_pk_f32_fp8_sdwa v[32:33], v33 src0_sel:WORD_1
	v_mfma_f32_4x4x4_16b_f16 a[0:3], v[42:43], v[28:29], a[0:3] cbsz:4 abid:2
	v_cvt_pkrtz_f16_f32 v50, v60, v61
	v_cvt_pkrtz_f16_f32 v51, v30, v31
	v_cvt_pk_f32_fp8_e32 v[68:69], v34
	v_cvt_pk_f32_fp8_sdwa v[70:71], v34 src0_sel:WORD_1
	v_mfma_f32_4x4x4_16b_f16 a[0:3], v[44:45], v[50:51], a[0:3] cbsz:4 abid:2
	v_cvt_pkrtz_f16_f32 v30, v62, v63
	v_cvt_pkrtz_f16_f32 v31, v64, v65
	v_cvt_pk_f32_fp8_e32 v[72:73], v35
	v_cvt_pk_f32_fp8_sdwa v[34:35], v35 src0_sel:WORD_1
	v_mfma_f32_4x4x4_16b_f16 a[0:3], v[42:43], v[30:31], a[0:3] cbsz:4 abid:3
	v_cvt_pkrtz_f16_f32 v52, v66, v67
	v_cvt_pkrtz_f16_f32 v53, v32, v33
	v_cvt_pk_f32_fp8_e32 v[74:75], v36
	v_cvt_pk_f32_fp8_sdwa v[76:77], v36 src0_sel:WORD_1
	v_mfma_f32_4x4x4_16b_f16 a[0:3], v[44:45], v[52:53], a[0:3] cbsz:4 abid:3
	v_cvt_pkrtz_f16_f32 v32, v68, v69
	v_cvt_pkrtz_f16_f32 v33, v70, v71
	v_cvt_pk_f32_fp8_e32 v[78:79], v37
	v_cvt_pk_f32_fp8_sdwa v[36:37], v37 src0_sel:WORD_1
	v_mfma_f32_4x4x4_16b_f16 a[0:3], v[42:43], v[32:33], a[0:3] cbsz:4 abid:4
	v_cvt_pkrtz_f16_f32 v20, v72, v73
	v_cvt_pkrtz_f16_f32 v21, v34, v35
	v_cvt_pk_f32_fp8_e32 v[80:81], v38
	v_cvt_pk_f32_fp8_sdwa v[82:83], v38 src0_sel:WORD_1
	v_mfma_f32_4x4x4_16b_f16 a[0:3], v[44:45], v[20:21], a[0:3] cbsz:4 abid:4
	v_cvt_pkrtz_f16_f32 v26, v74, v75
	v_cvt_pkrtz_f16_f32 v27, v76, v77
	v_cvt_pk_f32_fp8_e32 v[84:85], v39
	v_cvt_pk_f32_fp8_sdwa v[38:39], v39 src0_sel:WORD_1
	v_mfma_f32_4x4x4_16b_f16 a[0:3], v[42:43], v[26:27], a[0:3] cbsz:4 abid:5
	v_cvt_pkrtz_f16_f32 v28, v78, v79
	v_cvt_pkrtz_f16_f32 v29, v36, v37
	v_cvt_pk_f32_fp8_e32 v[86:87], v40
	v_cvt_pk_f32_fp8_sdwa v[88:89], v40 src0_sel:WORD_1
	v_mfma_f32_4x4x4_16b_f16 a[0:3], v[44:45], v[28:29], a[0:3] cbsz:4 abid:5
	v_cvt_pkrtz_f16_f32 v30, v80, v81
	v_cvt_pkrtz_f16_f32 v31, v82, v83
	v_cvt_pk_f32_fp8_e32 v[90:91], v41
	v_cvt_pk_f32_fp8_sdwa v[40:41], v41 src0_sel:WORD_1
	v_mfma_f32_4x4x4_16b_f16 a[0:3], v[42:43], v[30:31], a[0:3] cbsz:4 abid:6
	v_cvt_pkrtz_f16_f32 v20, v84, v85
	v_cvt_pkrtz_f16_f32 v21, v38, v39
	;; [unrolled: 1-line block ×4, first 2 shown]
	v_mfma_f32_4x4x4_16b_f16 a[0:3], v[44:45], v[20:21], a[0:3] cbsz:4 abid:6
	v_cvt_pkrtz_f16_f32 v20, v90, v91
	v_cvt_pkrtz_f16_f32 v21, v40, v41
	v_mfma_f32_4x4x4_16b_f16 a[0:3], v[42:43], v[26:27], a[0:3] cbsz:4 abid:7
	s_waitcnt lgkmcnt(0)
	v_mul_f32_e32 v26, s0, v19
	v_cndmask_b32_e64 v19, 0, 1.0, vcc
	v_mfma_f32_4x4x4_16b_f16 a[0:3], v[44:45], v[20:21], a[0:3] cbsz:4 abid:7
	v_cmp_eq_u32_e32 vcc, 1, v22
	s_nop 3
	v_accvgpr_read_b32 v29, a1
	v_accvgpr_read_b32 v28, a0
	v_pk_mul_f32 v[28:29], v[28:29], v[26:27] op_sel_hi:[1,0]
	v_accvgpr_read_b32 v21, a3
	v_accvgpr_read_b32 v20, a2
	v_pk_mul_f32 v[20:21], v[20:21], v[26:27] op_sel_hi:[1,0]
	v_mfma_f32_4x4x1_16b_f32 a[0:3], v28, v19, 0
	v_cndmask_b32_e64 v19, 0, 1.0, vcc
	v_cmp_eq_u32_e32 vcc, 2, v22
	s_nop 0
	v_mfma_f32_4x4x1_16b_f32 a[0:3], v29, v19, a[0:3]
	v_cndmask_b32_e64 v19, 0, 1.0, vcc
	v_cmp_eq_u32_e32 vcc, 3, v22
	s_nop 0
	v_mfma_f32_4x4x1_16b_f32 a[0:3], v20, v19, a[0:3]
	v_cndmask_b32_e64 v19, 0, 1.0, vcc
	v_lshlrev_b32_e32 v20, 2, v0
	v_and_or_b32 v20, v20, 48, v22
	v_mfma_f32_4x4x1_16b_f32 a[0:3], v21, v19, a[0:3]
	v_and_b32_e32 v19, -4, v18
	v_cmp_gt_i32_e32 vcc, s3, v19
	v_or_b32_e32 v18, 3, v18
	v_cmp_gt_i32_e64 s[10:11], s3, v18
	v_accvgpr_read_b32 v21, a0
	v_max_f32_e32 v23, v21, v21
	v_max_f32_e32 v23, 0xff7fffff, v23
	v_accvgpr_read_b32 v26, a1
	v_cndmask_b32_e32 v23, v25, v23, vcc
	v_or_b32_e32 v25, 1, v19
	v_max_f32_e32 v27, v26, v26
	v_max_f32_e32 v27, v23, v27
	v_cmp_gt_i32_e64 s[0:1], s3, v25
	v_or_b32_e32 v19, 2, v19
	v_cmp_gt_i32_e64 s[8:9], s3, v19
	v_cndmask_b32_e64 v23, v23, v27, s[0:1]
	v_accvgpr_read_b32 v27, a2
	v_max_f32_e32 v25, v27, v27
	v_max_f32_e32 v25, v23, v25
	v_cndmask_b32_e64 v19, v23, v25, s[8:9]
	v_accvgpr_read_b32 v23, a3
	v_max_f32_e32 v25, v23, v23
	v_max_f32_e32 v25, v19, v25
	v_cndmask_b32_e64 v18, v19, v25, s[10:11]
	;;#ASMSTART
	v_nop
 v_nop
 v_max_f32_dpp v18, v18, v18 row_ror:4
	;;#ASMEND
	v_lshlrev_b32_e32 v28, 2, v20
	;;#ASMSTART
	v_nop
 v_nop
 v_max_f32_dpp v18, v18, v18 row_ror:8
	;;#ASMEND
	ds_bpermute_b32 v18, v28, v18
	s_waitcnt lgkmcnt(0)
	;;#ASMSTART
	v_nop
 v_nop
 v_max_f32_dpp v18, v18, v18 row_ror:4
	;;#ASMEND
	s_nop 0
	;;#ASMSTART
	v_nop
 v_nop
 v_max_f32_dpp v25, v18, v18 row_ror:8
	;;#ASMEND
	s_nop 0
	v_sub_f32_e32 v18, v21, v25
	v_mul_f32_e32 v18, 0x3fb8aa3b, v18
	v_sub_f32_e32 v19, v26, v25
	v_exp_f32_e32 v18, v18
	v_mul_f32_e32 v19, 0x3fb8aa3b, v19
	v_sub_f32_e32 v21, v27, v25
	v_exp_f32_e32 v19, v19
	;; [unrolled: 3-line block ×3, first 2 shown]
	v_mul_f32_e32 v23, 0x3fb8aa3b, v23
	v_exp_f32_e32 v23, v23
	v_cndmask_b32_e32 v18, 0, v18, vcc
	v_add_f32_e32 v20, 0, v18
	v_cndmask_b32_e64 v19, 0, v19, s[0:1]
	v_add_f32_e32 v26, v20, v19
	v_cndmask_b32_e64 v20, 0, v21, s[8:9]
	;; [unrolled: 2-line block ×3, first 2 shown]
	v_add_f32_e32 v23, v26, v21
	;;#ASMSTART
	v_nop
 v_nop
 v_add_f32_dpp v23, v23, v23 row_ror:4
	;;#ASMEND
	v_cmp_gt_u32_e32 vcc, 4, v24
	;;#ASMSTART
	v_nop
 v_nop
 v_add_f32_dpp v23, v23, v23 row_ror:8
	;;#ASMEND
	ds_bpermute_b32 v23, v28, v23
	s_waitcnt lgkmcnt(0)
	;;#ASMSTART
	v_nop
 v_nop
 v_add_f32_dpp v23, v23, v23 row_ror:4
	;;#ASMEND
	s_nop 0
	;;#ASMSTART
	v_nop
 v_nop
 v_add_f32_dpp v23, v23, v23 row_ror:8
	;;#ASMEND
	s_and_saveexec_b64 s[0:1], vcc
	s_cbranch_execz .LBB871_12
; %bb.11:
	v_mul_u32_u24_e32 v26, 20, v1
	v_lshl_add_u32 v26, v22, 2, v26
	v_add_u32_e32 v26, 0x800, v26
	ds_write2_b32 v26, v25, v23 offset0:128 offset1:148
.LBB871_12:
	s_or_b64 exec, exec, s[0:1]
.LBB871_13:
	s_or_b64 exec, exec, s[30:31]
	v_lshlrev_b32_e32 v23, 2, v22
	v_add_u32_e32 v23, 0x800, v23
	s_waitcnt lgkmcnt(0)
	s_barrier
	s_load_dword s0, s[28:29], 0x8
	ds_read2_b32 v[28:29], v23 offset0:128 offset1:133
	ds_read2_b32 v[30:31], v23 offset0:138 offset1:143
	s_mov_b32 s8, 0xff7fffff
	s_mul_i32 s1, s2, s5
	s_lshl_b32 s4, s4, 2
	s_waitcnt lgkmcnt(0)
	v_max3_f32 v26, v28, s8, v29
	s_mul_i32 s1, s1, s0
	v_max3_f32 v26, v26, v30, v31
	s_lshl_b32 s0, s1, 2
	s_mov_b32 s1, 0
	v_sub_f32_e32 v27, v28, v26
	v_sub_f32_e32 v28, v29, v26
	s_lshl_b64 s[2:3], s[0:1], 2
	ds_read2_b32 v[32:33], v23 offset0:148 offset1:153
	v_mul_f32_e32 v27, 0x3fb8aa3b, v27
	v_mul_f32_e32 v28, 0x3fb8aa3b, v28
	s_mov_b32 s25, s1
	s_add_u32 s1, s16, s2
	v_exp_f32_e32 v27, v27
	v_exp_f32_e32 v34, v28
	ds_read2_b32 v[28:29], v23 offset0:158 offset1:163
	v_sub_f32_e32 v23, v30, v26
	s_addc_u32 s10, s17, s3
	v_mul_f32_e32 v23, 0x3fb8aa3b, v23
	v_sub_f32_e32 v30, v31, v26
	s_add_u32 s8, s18, s2
	v_exp_f32_e32 v23, v23
	v_mul_f32_e32 v30, 0x3fb8aa3b, v30
	s_addc_u32 s9, s19, s3
	s_lshl_b64 s[2:3], s[24:25], 2
	v_exp_f32_e32 v30, v30
	s_add_u32 s8, s8, s2
	s_waitcnt lgkmcnt(1)
	v_fma_f32 v27, v27, v32, 0
	s_addc_u32 s9, s9, s3
	v_fmac_f32_e32 v27, v34, v33
	v_or_b32_e32 v22, s4, v22
	s_waitcnt lgkmcnt(0)
	v_fmac_f32_e32 v27, v23, v28
	s_add_u32 s2, s1, s2
	v_mul_lo_u32 v22, s5, v22
	v_mov_b32_e32 v23, 0
	v_fmac_f32_e32 v27, v30, v29
	s_addc_u32 s3, s10, s3
	v_lshlrev_b64 v[28:29], 2, v[22:23]
	v_lshl_add_u64 v[30:31], s[8:9], 0, v[28:29]
	v_lshl_add_u64 v[28:29], s[2:3], 0, v[28:29]
	v_mov_b32_e32 v22, v23
	global_store_dword v[30:31], v26, off
	global_store_dword v[28:29], v27, off
	s_and_saveexec_b64 s[2:3], s[6:7]
	s_cbranch_execz .LBB871_15
; %bb.14:
	v_add_f32_e32 v22, 0x358637bd, v27
	v_div_scale_f32 v23, s[6:7], v22, v22, 1.0
	v_rcp_f32_e32 v27, v23
	v_div_scale_f32 v28, vcc, 1.0, v22, 1.0
	v_sub_f32_e32 v25, v25, v26
	v_fma_f32 v29, -v23, v27, 1.0
	v_fmac_f32_e32 v27, v29, v27
	v_mul_f32_e32 v29, v28, v27
	v_fma_f32 v30, -v23, v29, v28
	v_mul_f32_e32 v25, 0x3fb8aa3b, v25
	v_fmac_f32_e32 v29, v30, v27
	v_exp_f32_e32 v25, v25
	v_fma_f32 v23, -v23, v29, v28
	v_div_fmas_f32 v23, v23, v27, v29
	v_div_fixup_f32 v22, v23, v22, 1.0
	v_mul_f32_e32 v22, v25, v22
	v_pk_mul_f32 v[20:21], v[20:21], v[22:23] op_sel_hi:[1,0]
	v_pk_mul_f32 v[18:19], v[18:19], v[22:23] op_sel_hi:[1,0]
	v_cvt_f16_f32_e32 v22, v20
	v_cvt_f16_f32_e32 v18, v18
	;; [unrolled: 1-line block ×4, first 2 shown]
	s_waitcnt vmcnt(4)
	v_cvt_pk_f32_fp8_e32 v[20:21], v14
	v_cvt_pk_f32_fp8_e32 v[26:27], v15
	v_pack_b32_f16 v18, v18, v19
	v_pack_b32_f16 v19, v22, v23
	v_cvt_pk_f32_fp8_sdwa v[22:23], v14 src0_sel:WORD_1
	v_cvt_pkrtz_f16_f32 v14, v20, v21
	v_cvt_pk_f32_fp8_sdwa v[20:21], v15 src0_sel:WORD_1
	s_load_dword s6, s[14:15], 0x0
	v_cvt_pkrtz_f16_f32 v15, v22, v23
	v_cvt_pkrtz_f16_f32 v22, v26, v27
	;; [unrolled: 1-line block ×3, first 2 shown]
	v_mfma_f32_4x4x4_16b_f16 a[0:3], v[18:19], v[14:15], 0 cbsz:4
	v_cvt_pk_f32_fp8_e32 v[14:15], v16
	v_cvt_pk_f32_fp8_sdwa v[20:21], v16 src0_sel:WORD_1
	v_mfma_f32_4x4x4_16b_f16 a[0:3], v[18:19], v[22:23], a[0:3] cbsz:4 abid:1
	v_cvt_pk_f32_fp8_e32 v[22:23], v17
	v_cvt_pk_f32_fp8_sdwa v[16:17], v17 src0_sel:WORD_1
	v_cvt_pkrtz_f16_f32 v14, v14, v15
	v_cvt_pkrtz_f16_f32 v15, v20, v21
	;; [unrolled: 1-line block ×4, first 2 shown]
	v_mfma_f32_4x4x4_16b_f16 a[0:3], v[18:19], v[14:15], a[0:3] cbsz:4 abid:2
	v_cvt_pk_f32_fp8_e32 v[14:15], v10
	v_cvt_pk_f32_fp8_sdwa v[16:17], v10 src0_sel:WORD_1
	v_mfma_f32_4x4x4_16b_f16 a[0:3], v[18:19], v[20:21], a[0:3] cbsz:4 abid:3
	v_cvt_pk_f32_fp8_e32 v[20:21], v11
	v_cvt_pkrtz_f16_f32 v10, v14, v15
	v_cvt_pk_f32_fp8_sdwa v[14:15], v11 src0_sel:WORD_1
	v_cvt_pkrtz_f16_f32 v11, v16, v17
	v_cvt_pkrtz_f16_f32 v16, v20, v21
	s_mov_b32 s1, 0x5040100
	v_mfma_f32_4x4x4_16b_f16 a[0:3], v[18:19], v[10:11], a[0:3] cbsz:4 abid:4
	v_cvt_pkrtz_f16_f32 v17, v14, v15
	v_cvt_pk_f32_fp8_e32 v[10:11], v12
	v_cvt_pk_f32_fp8_sdwa v[14:15], v12 src0_sel:WORD_1
	v_mfma_f32_4x4x4_16b_f16 a[0:3], v[18:19], v[16:17], a[0:3] cbsz:4 abid:5
	v_cvt_pk_f32_fp8_e32 v[16:17], v13
	v_cvt_pk_f32_fp8_sdwa v[12:13], v13 src0_sel:WORD_1
	v_cvt_pkrtz_f16_f32 v10, v10, v11
	v_cvt_pkrtz_f16_f32 v11, v14, v15
	v_cvt_pkrtz_f16_f32 v14, v16, v17
	v_cvt_pkrtz_f16_f32 v15, v12, v13
	v_mfma_f32_4x4x4_16b_f16 a[0:3], v[18:19], v[10:11], a[0:3] cbsz:4 abid:6
	s_waitcnt vmcnt(2)
	v_cvt_pk_f32_fp8_e32 v[10:11], v6
	v_cvt_pk_f32_fp8_sdwa v[12:13], v6 src0_sel:WORD_1
	v_mfma_f32_4x4x4_16b_f16 a[0:3], v[18:19], v[14:15], a[0:3] cbsz:4 abid:7
	v_cvt_pk_f32_fp8_e32 v[14:15], v7
	v_cvt_pkrtz_f16_f32 v6, v10, v11
	v_cvt_pk_f32_fp8_sdwa v[10:11], v7 src0_sel:WORD_1
	v_cvt_pkrtz_f16_f32 v7, v12, v13
	v_cvt_pkrtz_f16_f32 v12, v14, v15
	;; [unrolled: 1-line block ×3, first 2 shown]
	v_mfma_f32_4x4x4_16b_f16 a[0:3], v[18:19], v[6:7], a[0:3] cbsz:4 abid:8
	v_cvt_pk_f32_fp8_e32 v[6:7], v8
	v_cvt_pk_f32_fp8_sdwa v[10:11], v8 src0_sel:WORD_1
	v_mfma_f32_4x4x4_16b_f16 a[0:3], v[18:19], v[12:13], a[0:3] cbsz:4 abid:9
	v_cvt_pk_f32_fp8_e32 v[12:13], v9
	v_cvt_pk_f32_fp8_sdwa v[8:9], v9 src0_sel:WORD_1
	v_cvt_pkrtz_f16_f32 v6, v6, v7
	v_cvt_pkrtz_f16_f32 v7, v10, v11
	;; [unrolled: 1-line block ×4, first 2 shown]
	v_mfma_f32_4x4x4_16b_f16 a[0:3], v[18:19], v[6:7], a[0:3] cbsz:4 abid:10
	v_cvt_pk_f32_fp8_e32 v[6:7], v2
	v_cvt_pk_f32_fp8_sdwa v[8:9], v2 src0_sel:WORD_1
	v_mfma_f32_4x4x4_16b_f16 a[0:3], v[18:19], v[10:11], a[0:3] cbsz:4 abid:11
	v_cvt_pk_f32_fp8_e32 v[10:11], v3
	v_cvt_pkrtz_f16_f32 v2, v6, v7
	v_cvt_pk_f32_fp8_sdwa v[6:7], v3 src0_sel:WORD_1
	v_cvt_pkrtz_f16_f32 v3, v8, v9
	v_cvt_pkrtz_f16_f32 v8, v10, v11
	;; [unrolled: 1-line block ×3, first 2 shown]
	v_mfma_f32_4x4x4_16b_f16 a[0:3], v[18:19], v[2:3], a[0:3] cbsz:4 abid:12
	v_cvt_pk_f32_fp8_e32 v[2:3], v4
	v_cvt_pk_f32_fp8_sdwa v[6:7], v4 src0_sel:WORD_1
	v_mfma_f32_4x4x4_16b_f16 a[0:3], v[18:19], v[8:9], a[0:3] cbsz:4 abid:13
	v_cvt_pk_f32_fp8_e32 v[8:9], v5
	v_cvt_pk_f32_fp8_sdwa v[4:5], v5 src0_sel:WORD_1
	v_cvt_pkrtz_f16_f32 v2, v2, v3
	v_cvt_pkrtz_f16_f32 v3, v6, v7
	;; [unrolled: 1-line block ×4, first 2 shown]
	v_mfma_f32_4x4x4_16b_f16 a[0:3], v[18:19], v[2:3], a[0:3] cbsz:4 abid:14
	s_nop 1
	v_mfma_f32_4x4x4_16b_f16 a[0:3], v[18:19], v[6:7], a[0:3] cbsz:4 abid:15
	s_nop 4
	v_accvgpr_read_b32 v5, a1
	v_accvgpr_read_b32 v3, a3
	;; [unrolled: 1-line block ×4, first 2 shown]
	s_waitcnt lgkmcnt(0)
	v_pk_mul_f32 v[2:3], v[2:3], s[6:7] op_sel_hi:[1,0]
	v_pk_mul_f32 v[4:5], v[4:5], s[6:7] op_sel_hi:[1,0]
	v_cvt_f16_f32_e32 v2, v2
	v_cvt_f16_f32_e32 v4, v4
	;; [unrolled: 1-line block ×4, first 2 shown]
	v_perm_b32 v22, v5, v4, s1
	v_perm_b32 v23, v3, v2, s1
.LBB871_15:
	s_or_b64 exec, exec, s[2:3]
	v_lshlrev_b32_e32 v1, 3, v1
	v_mad_u32_u24 v1, v24, 40, v1
	v_cmp_gt_u32_e32 vcc, 64, v0
	ds_write_b64 v1, v[22:23]
	s_waitcnt lgkmcnt(0)
	s_barrier
	s_and_saveexec_b64 s[2:3], vcc
	s_cbranch_execz .LBB871_17
; %bb.16:
	v_mul_u32_u24_e32 v1, 40, v24
	s_waitcnt vmcnt(3)
	ds_read2_b64 v[2:5], v1 offset1:1
	s_waitcnt vmcnt(2)
	ds_read2_b64 v[6:9], v1 offset0:2 offset1:3
	s_mov_b32 s1, 0
	s_lshl_b32 s0, s0, 6
	s_lshl_b64 s[2:3], s[0:1], 1
	s_add_u32 s2, s26, s2
	s_addc_u32 s3, s27, s3
	s_lshl_b32 s0, s24, 6
	s_lshl_b64 s[0:1], s[0:1], 1
	s_waitcnt lgkmcnt(1)
	v_pk_add_f16 v1, v2, 0
	v_pk_add_f16 v2, v3, 0
	s_add_u32 s0, s2, s0
	v_pk_add_f16 v2, v2, v5
	s_addc_u32 s1, s3, s1
	s_lshl_b32 s2, s5, 6
	v_pk_add_f16 v1, v1, v4
	s_waitcnt lgkmcnt(0)
	v_pk_add_f16 v2, v2, v7
	s_mul_i32 s3, s2, s4
	v_pk_add_f16 v1, v1, v6
	v_pk_add_f16 v6, v2, v9
	v_or_b32_e32 v2, s3, v0
	v_mov_b32_e32 v3, 0
	s_add_i32 s3, s3, s2
	v_pk_add_f16 v1, v1, v8
	v_lshl_add_u64 v[4:5], v[2:3], 1, s[0:1]
	v_or_b32_e32 v2, s3, v0
	s_add_i32 s3, s3, s2
	global_store_short v[4:5], v1, off
	v_lshl_add_u64 v[4:5], v[2:3], 1, s[0:1]
	v_or_b32_e32 v2, s3, v0
	s_add_i32 s3, s3, s2
	global_store_short_d16_hi v[4:5], v1, off
	v_lshl_add_u64 v[4:5], v[2:3], 1, s[0:1]
	v_or_b32_e32 v2, s3, v0
	v_lshl_add_u64 v[0:1], v[2:3], 1, s[0:1]
	global_store_short v[4:5], v6, off
	global_store_short_d16_hi v[0:1], v6, off
.LBB871_17:
	s_endpgm
.LBB871_18:
	s_mov_b64 s[12:13], 0
                                        ; implicit-def: $sgpr34_sgpr35
	s_branch .LBB871_2
	.section	.rodata,"a",@progbits
	.p2align	6, 0x0
	.amdhsa_kernel _Z38paged_attention_ll4mi_QKV_mfma4_kernelIDF16_hLN4vllm18Fp8KVCacheDataTypeE1EhLi32ELi64ELi256ELb0ELi4EEvPKT_PKT0_S7_ifPKiS9_S9_iPKfiiiPfSC_PS2_PT2_iSB_SB_
		.amdhsa_group_segment_fixed_size 2720
		.amdhsa_private_segment_fixed_size 0
		.amdhsa_kernarg_size 400
		.amdhsa_user_sgpr_count 2
		.amdhsa_user_sgpr_dispatch_ptr 0
		.amdhsa_user_sgpr_queue_ptr 0
		.amdhsa_user_sgpr_kernarg_segment_ptr 1
		.amdhsa_user_sgpr_dispatch_id 0
		.amdhsa_user_sgpr_kernarg_preload_length 0
		.amdhsa_user_sgpr_kernarg_preload_offset 0
		.amdhsa_user_sgpr_private_segment_size 0
		.amdhsa_uses_dynamic_stack 0
		.amdhsa_enable_private_segment 0
		.amdhsa_system_sgpr_workgroup_id_x 1
		.amdhsa_system_sgpr_workgroup_id_y 1
		.amdhsa_system_sgpr_workgroup_id_z 1
		.amdhsa_system_sgpr_workgroup_info 0
		.amdhsa_system_vgpr_workitem_id 0
		.amdhsa_next_free_vgpr 96
		.amdhsa_next_free_sgpr 42
		.amdhsa_accum_offset 92
		.amdhsa_reserve_vcc 1
		.amdhsa_float_round_mode_32 0
		.amdhsa_float_round_mode_16_64 0
		.amdhsa_float_denorm_mode_32 3
		.amdhsa_float_denorm_mode_16_64 3
		.amdhsa_dx10_clamp 1
		.amdhsa_ieee_mode 1
		.amdhsa_fp16_overflow 0
		.amdhsa_tg_split 0
		.amdhsa_exception_fp_ieee_invalid_op 0
		.amdhsa_exception_fp_denorm_src 0
		.amdhsa_exception_fp_ieee_div_zero 0
		.amdhsa_exception_fp_ieee_overflow 0
		.amdhsa_exception_fp_ieee_underflow 0
		.amdhsa_exception_fp_ieee_inexact 0
		.amdhsa_exception_int_div_zero 0
	.end_amdhsa_kernel
	.section	.text._Z38paged_attention_ll4mi_QKV_mfma4_kernelIDF16_hLN4vllm18Fp8KVCacheDataTypeE1EhLi32ELi64ELi256ELb0ELi4EEvPKT_PKT0_S7_ifPKiS9_S9_iPKfiiiPfSC_PS2_PT2_iSB_SB_,"axG",@progbits,_Z38paged_attention_ll4mi_QKV_mfma4_kernelIDF16_hLN4vllm18Fp8KVCacheDataTypeE1EhLi32ELi64ELi256ELb0ELi4EEvPKT_PKT0_S7_ifPKiS9_S9_iPKfiiiPfSC_PS2_PT2_iSB_SB_,comdat
.Lfunc_end871:
	.size	_Z38paged_attention_ll4mi_QKV_mfma4_kernelIDF16_hLN4vllm18Fp8KVCacheDataTypeE1EhLi32ELi64ELi256ELb0ELi4EEvPKT_PKT0_S7_ifPKiS9_S9_iPKfiiiPfSC_PS2_PT2_iSB_SB_, .Lfunc_end871-_Z38paged_attention_ll4mi_QKV_mfma4_kernelIDF16_hLN4vllm18Fp8KVCacheDataTypeE1EhLi32ELi64ELi256ELb0ELi4EEvPKT_PKT0_S7_ifPKiS9_S9_iPKfiiiPfSC_PS2_PT2_iSB_SB_
                                        ; -- End function
	.section	.AMDGPU.csdata,"",@progbits
; Kernel info:
; codeLenInByte = 3728
; NumSgprs: 48
; NumVgprs: 92
; NumAgprs: 4
; TotalNumVgprs: 96
; ScratchSize: 0
; MemoryBound: 0
; FloatMode: 240
; IeeeMode: 1
; LDSByteSize: 2720 bytes/workgroup (compile time only)
; SGPRBlocks: 5
; VGPRBlocks: 11
; NumSGPRsForWavesPerEU: 48
; NumVGPRsForWavesPerEU: 96
; AccumOffset: 92
; Occupancy: 5
; WaveLimiterHint : 1
; COMPUTE_PGM_RSRC2:SCRATCH_EN: 0
; COMPUTE_PGM_RSRC2:USER_SGPR: 2
; COMPUTE_PGM_RSRC2:TRAP_HANDLER: 0
; COMPUTE_PGM_RSRC2:TGID_X_EN: 1
; COMPUTE_PGM_RSRC2:TGID_Y_EN: 1
; COMPUTE_PGM_RSRC2:TGID_Z_EN: 1
; COMPUTE_PGM_RSRC2:TIDIG_COMP_CNT: 0
; COMPUTE_PGM_RSRC3_GFX90A:ACCUM_OFFSET: 22
; COMPUTE_PGM_RSRC3_GFX90A:TG_SPLIT: 0
	.section	.text._Z39paged_attention_ll4mi_QKV_mfma16_kernelIDF16_hLN4vllm18Fp8KVCacheDataTypeE1EhLi32ELi64ELi256ELb0ELi5EEvPKT_PKT0_S7_ifPKiS9_S9_iPKfiiiPfSC_PS2_PT2_iSB_SB_,"axG",@progbits,_Z39paged_attention_ll4mi_QKV_mfma16_kernelIDF16_hLN4vllm18Fp8KVCacheDataTypeE1EhLi32ELi64ELi256ELb0ELi5EEvPKT_PKT0_S7_ifPKiS9_S9_iPKfiiiPfSC_PS2_PT2_iSB_SB_,comdat
	.protected	_Z39paged_attention_ll4mi_QKV_mfma16_kernelIDF16_hLN4vllm18Fp8KVCacheDataTypeE1EhLi32ELi64ELi256ELb0ELi5EEvPKT_PKT0_S7_ifPKiS9_S9_iPKfiiiPfSC_PS2_PT2_iSB_SB_ ; -- Begin function _Z39paged_attention_ll4mi_QKV_mfma16_kernelIDF16_hLN4vllm18Fp8KVCacheDataTypeE1EhLi32ELi64ELi256ELb0ELi5EEvPKT_PKT0_S7_ifPKiS9_S9_iPKfiiiPfSC_PS2_PT2_iSB_SB_
	.globl	_Z39paged_attention_ll4mi_QKV_mfma16_kernelIDF16_hLN4vllm18Fp8KVCacheDataTypeE1EhLi32ELi64ELi256ELb0ELi5EEvPKT_PKT0_S7_ifPKiS9_S9_iPKfiiiPfSC_PS2_PT2_iSB_SB_
	.p2align	8
	.type	_Z39paged_attention_ll4mi_QKV_mfma16_kernelIDF16_hLN4vllm18Fp8KVCacheDataTypeE1EhLi32ELi64ELi256ELb0ELi5EEvPKT_PKT0_S7_ifPKiS9_S9_iPKfiiiPfSC_PS2_PT2_iSB_SB_,@function
_Z39paged_attention_ll4mi_QKV_mfma16_kernelIDF16_hLN4vllm18Fp8KVCacheDataTypeE1EhLi32ELi64ELi256ELb0ELi5EEvPKT_PKT0_S7_ifPKiS9_S9_iPKfiiiPfSC_PS2_PT2_iSB_SB_: ; @_Z39paged_attention_ll4mi_QKV_mfma16_kernelIDF16_hLN4vllm18Fp8KVCacheDataTypeE1EhLi32ELi64ELi256ELb0ELi5EEvPKT_PKT0_S7_ifPKiS9_S9_iPKfiiiPfSC_PS2_PT2_iSB_SB_
; %bb.0:
	s_load_dwordx2 s[12:13], s[0:1], 0x30
	s_mov_b32 s28, s3
	s_mov_b64 s[6:7], 0
	s_waitcnt lgkmcnt(0)
	s_cmp_lg_u64 s[12:13], 0
	s_cselect_b64 s[14:15], -1, 0
	s_and_b64 vcc, exec, s[14:15]
	s_cbranch_vccz .LBB872_7
; %bb.1:
	s_add_i32 s8, s2, 1
	s_mov_b32 s9, 0
	s_lshl_b64 s[10:11], s[8:9], 2
	s_add_u32 s10, s12, s10
	s_mov_b32 s3, s9
	s_addc_u32 s11, s13, s11
	s_lshl_b64 s[8:9], s[2:3], 2
	s_add_u32 s8, s12, s8
	s_addc_u32 s9, s13, s9
	s_load_dword s5, s[10:11], 0x0
	s_load_dword s16, s[8:9], 0x0
	s_waitcnt lgkmcnt(0)
	s_sub_i32 s5, s5, s16
	s_cmp_eq_u32 s5, 1
	s_cselect_b64 s[8:9], -1, 0
	s_andn2_b64 vcc, exec, s[6:7]
	s_cbranch_vccnz .LBB872_3
.LBB872_2:
	s_mov_b32 s3, 0
	s_mov_b64 s[8:9], -1
.LBB872_3:
	s_andn2_b64 vcc, exec, s[8:9]
	s_cbranch_vccnz .LBB872_18
; %bb.4:
	s_load_dwordx2 s[6:7], s[0:1], 0x28
	s_lshl_b64 s[16:17], s[2:3], 2
	s_waitcnt lgkmcnt(0)
	s_add_u32 s6, s6, s16
	s_addc_u32 s7, s7, s17
	s_load_dword s33, s[6:7], 0x0
	s_lshl_b32 s5, s28, 8
	s_waitcnt lgkmcnt(0)
	s_cmp_ge_i32 s5, s33
	s_cbranch_scc1 .LBB872_18
; %bb.5:
	s_add_i32 s9, s33, 31
	s_load_dwordx2 s[6:7], s[0:1], 0x20
	s_load_dword s8, s[0:1], 0x38
	s_ashr_i32 s10, s9, 31
	v_and_b32_e32 v1, 0xcf, v0
	s_lshr_b32 s10, s10, 27
	v_add_u32_e32 v1, s5, v1
	s_add_i32 s9, s9, s10
	v_ashrrev_i32_e32 v2, 31, v1
	s_ashr_i32 s18, s9, 5
	v_lshrrev_b32_e32 v6, 27, v2
	s_add_i32 s18, s18, -1
	v_add_u32_e32 v2, v1, v6
	v_or_b32_e32 v4, 16, v1
	s_waitcnt lgkmcnt(0)
	s_mul_i32 s8, s2, s8
	s_mov_b32 s9, 0
	v_ashrrev_i32_e32 v2, 5, v2
	v_mov_b32_e32 v7, s18
	v_cmp_gt_i32_e32 vcc, s33, v1
	v_add_u32_e32 v5, v4, v6
	s_lshl_b64 s[8:9], s[8:9], 2
	v_cndmask_b32_e32 v2, v7, v2, vcc
	v_ashrrev_i32_e32 v5, 5, v5
	v_cmp_gt_i32_e32 vcc, s33, v4
	s_add_u32 s6, s6, s8
	s_addc_u32 s7, s7, s9
	v_cndmask_b32_e32 v4, v7, v5, vcc
	v_ashrrev_i32_e32 v5, 31, v4
	v_lshl_add_u64 v[10:11], v[4:5], 2, s[6:7]
	v_or_b32_e32 v4, 32, v1
	v_add_u32_e32 v5, v4, v6
	v_ashrrev_i32_e32 v5, 5, v5
	v_cmp_gt_i32_e32 vcc, s33, v4
	v_or_b32_e32 v1, 48, v1
	v_ashrrev_i32_e32 v3, 31, v2
	v_cndmask_b32_e32 v4, v7, v5, vcc
	v_ashrrev_i32_e32 v5, 31, v4
	v_lshl_add_u64 v[12:13], v[4:5], 2, s[6:7]
	v_add_u32_e32 v4, v1, v6
	v_ashrrev_i32_e32 v4, 5, v4
	v_cmp_gt_i32_e32 vcc, s33, v1
	v_lshl_add_u64 v[2:3], v[2:3], 2, s[6:7]
	s_load_dwordx4 s[8:11], s[0:1], 0x8
	v_cndmask_b32_e32 v4, v7, v4, vcc
	v_ashrrev_i32_e32 v5, 31, v4
	v_lshl_add_u64 v[14:15], v[4:5], 2, s[6:7]
	global_load_dword v4, v[2:3], off
	global_load_dword v8, v[10:11], off
	;; [unrolled: 1-line block ×4, first 2 shown]
	s_andn2_b64 vcc, exec, s[14:15]
	s_cbranch_vccnz .LBB872_8
; %bb.6:
	s_add_u32 s12, s12, s16
	s_addc_u32 s13, s13, s17
	s_load_dword s14, s[12:13], 0x0
	s_branch .LBB872_9
.LBB872_7:
	s_mov_b64 s[8:9], 0
	s_branch .LBB872_2
.LBB872_8:
	s_mov_b32 s14, s2
.LBB872_9:
	s_load_dwordx4 s[44:47], s[0:1], 0x48
	v_lshrrev_b32_e32 v29, 6, v0
	v_bfe_u32 v42, v0, 4, 2
	v_lshl_or_b32 v2, v29, 2, v42
	v_and_b32_e32 v28, 15, v0
	v_lshlrev_b32_e32 v1, 3, v28
	v_cmp_gt_u32_e32 vcc, 5, v2
	v_cmp_gt_u32_e64 s[30:31], 8, v28
	v_and_b32_e32 v43, 63, v0
	s_mul_i32 s48, s4, 5
	s_and_b64 s[16:17], s[30:31], vcc
	v_lshlrev_b32_e32 v26, 1, v1
	v_lshlrev_b32_e32 v1, 4, v0
	s_and_saveexec_b64 s[12:13], s[16:17]
	s_cbranch_execz .LBB872_11
; %bb.10:
	s_load_dwordx2 s[16:17], s[0:1], 0x0
	s_waitcnt lgkmcnt(0)
	s_ashr_i32 s15, s44, 31
	s_mul_hi_u32 s19, s14, s44
	s_mul_i32 s15, s14, s15
	s_add_i32 s15, s19, s15
	s_mul_i32 s14, s14, s44
	s_lshl_b64 s[14:15], s[14:15], 1
	s_add_u32 s14, s16, s14
	v_add_lshl_u32 v10, v2, s48, 6
	s_addc_u32 s15, s17, s15
	v_ashrrev_i32_e32 v11, 31, v10
	v_lshl_add_u64 v[10:11], v[10:11], 1, s[14:15]
	v_mov_b32_e32 v27, 0
	v_lshl_add_u64 v[10:11], v[10:11], 0, v[26:27]
	global_load_dwordx4 v[10:13], v[10:11], off
	v_lshlrev_b32_e32 v5, 8, v28
	v_lshlrev_b32_e32 v2, 5, v2
	v_and_b32_e32 v3, 16, v1
	v_and_b32_e32 v5, 0xe00, v5
	v_or3_b32 v2, v5, v2, v3
	s_waitcnt vmcnt(0)
	ds_write_b128 v2, v[10:13]
.LBB872_11:
	s_or_b64 exec, exec, s[12:13]
	s_waitcnt lgkmcnt(0)
	s_mul_i32 s4, s4, s46
	s_add_u32 s8, s8, s4
	s_addc_u32 s9, s9, 0
	v_mov_b32_e32 v31, 0
	v_mov_b64_e32 v[2:3], s[8:9]
	v_and_b32_e32 v12, 48, v0
	s_waitcnt vmcnt(3)
	v_mad_i64_i32 v[10:11], s[8:9], v4, s45, v[2:3]
	v_lshlrev_b32_e32 v4, 4, v28
	v_mov_b32_e32 v5, v31
	v_lshlrev_b32_e32 v30, 5, v12
	v_lshl_add_u64 v[10:11], v[10:11], 0, v[4:5]
	v_lshl_add_u64 v[10:11], v[10:11], 0, v[30:31]
	s_load_dword s29, s[0:1], 0x98
	s_load_dwordx4 s[40:43], s[0:1], 0x80
	s_waitcnt lgkmcnt(0)
	s_barrier
	global_load_dwordx4 v[14:17], v[10:11], off
	s_waitcnt vmcnt(3)
	v_mad_i64_i32 v[8:9], s[8:9], v8, s45, v[2:3]
	s_ashr_i32 s8, s5, 31
	v_or_b32_e32 v12, s5, v12
	s_lshr_b32 s12, s8, 27
	v_add_u32_e32 v10, s12, v12
	v_ashrrev_i32_e32 v10, 5, v10
	v_mov_b32_e32 v33, s18
	v_cmp_gt_i32_e32 vcc, s33, v12
	v_or_b32_e32 v32, 64, v12
	v_or_b32_e32 v34, 0x80, v12
	v_cndmask_b32_e32 v10, v33, v10, vcc
	v_ashrrev_i32_e32 v11, 31, v10
	v_lshl_add_u64 v[10:11], v[10:11], 2, s[6:7]
	global_load_dword v50, v[10:11], off
	v_or_b32_e32 v10, 0x100, v4
	v_mov_b32_e32 v11, v31
	v_lshl_add_u64 v[8:9], v[8:9], 0, v[10:11]
	v_lshl_add_u64 v[8:9], v[8:9], 0, v[30:31]
	global_load_dwordx4 v[18:21], v[8:9], off
	v_mul_lo_u16_e32 v8, 52, v28
	v_mov_b32_e32 v9, 5
	v_mul_lo_u16_sdwa v8, v8, v9 dst_sel:DWORD dst_unused:UNUSED_PAD src0_sel:BYTE_1 src1_sel:DWORD
	v_sub_u16_e32 v8, v28, v8
	v_or_b32_e32 v35, 0xc0, v12
	v_lshlrev_b32_sdwa v12, v9, v8 dst_sel:DWORD dst_unused:UNUSED_PAD src0_sel:DWORD src1_sel:BYTE_0
	s_waitcnt vmcnt(4)
	v_mad_i64_i32 v[8:9], s[8:9], v7, s45, v[2:3]
	v_lshl_add_u64 v[4:5], v[8:9], 0, v[4:5]
	v_lshl_add_u64 v[4:5], v[4:5], 0, v[30:31]
	global_load_dwordx4 v[22:25], v[4:5], off
	v_lshl_add_u32 v4, v42, 9, v12
	s_waitcnt vmcnt(4)
	v_mad_i64_i32 v[12:13], s[8:9], v6, s45, v[2:3]
	v_add_u32_e32 v36, s12, v32
	v_add_u32_e32 v37, s12, v34
	v_lshl_add_u64 v[10:11], v[12:13], 0, v[10:11]
	v_ashrrev_i32_e32 v12, 5, v36
	v_cmp_gt_i32_e32 vcc, s33, v32
	v_ashrrev_i32_e32 v13, 5, v37
	v_lshl_add_u64 v[10:11], v[10:11], 0, v[30:31]
	v_cndmask_b32_e32 v32, v33, v12, vcc
	v_cmp_gt_i32_e32 vcc, s33, v34
	ds_read_b128 v[6:9], v4
	ds_read_b128 v[2:5], v4 offset:16
	v_cndmask_b32_e32 v34, v33, v13, vcc
	global_load_dwordx4 v[10:13], v[10:11], off
	v_add_u32_e32 v38, s12, v35
	s_add_u32 s8, s10, s4
	v_ashrrev_i32_e32 v36, 5, v38
	v_cmp_gt_i32_e32 vcc, s33, v35
	v_lshlrev_b32_e32 v27, 5, v28
	s_addc_u32 s9, s11, 0
	v_cndmask_b32_e32 v36, v33, v36, vcc
	v_and_b32_e32 v30, 16, v0
	v_ashrrev_i32_e32 v37, 31, v36
	v_lshl_add_u64 v[38:39], s[8:9], 0, v[30:31]
	v_lshl_or_b32 v30, v29, 9, v27
	v_lshl_add_u64 v[40:41], v[36:37], 2, s[6:7]
	v_lshl_add_u64 v[30:31], v[38:39], 0, v[30:31]
	v_ashrrev_i32_e32 v33, 31, v32
	v_ashrrev_i32_e32 v35, 31, v34
	v_lshl_add_u64 v[32:33], v[32:33], 2, s[6:7]
	v_lshl_add_u64 v[34:35], v[34:35], 2, s[6:7]
	s_load_dword s13, s[0:1], 0x1c
	s_mov_b32 s44, 0xff7fffff
	s_waitcnt vmcnt(4)
	v_cvt_pk_f32_fp8_e32 v[36:37], v14
	v_cvt_pk_f32_fp8_sdwa v[38:39], v14 src0_sel:WORD_1
	v_cvt_pk_f32_fp8_e32 v[44:45], v15
	v_cvt_pk_f32_fp8_sdwa v[14:15], v15 src0_sel:WORD_1
	v_cvt_pkrtz_f16_f32 v36, v36, v37
	v_cvt_pkrtz_f16_f32 v37, v38, v39
	;; [unrolled: 1-line block ×4, first 2 shown]
	v_cvt_pk_f32_fp8_e32 v[46:47], v16
	v_cvt_pk_f32_fp8_sdwa v[48:49], v16 src0_sel:WORD_1
	s_waitcnt lgkmcnt(0)
	v_mfma_f32_16x16x16_f16 v[36:39], v[36:37], v[6:7], 0
	global_load_dword v16, v[32:33], off
	s_nop 0
	global_load_dword v34, v[34:35], off
	s_nop 0
	global_load_dword v35, v[40:41], off
	v_cvt_pkrtz_f16_f32 v32, v46, v47
	v_cvt_pkrtz_f16_f32 v33, v48, v49
	v_mfma_f32_16x16x16_f16 v[36:39], v[44:45], v[8:9], v[36:39]
	v_cvt_pk_f32_fp8_e32 v[40:41], v17
	v_cvt_pk_f32_fp8_sdwa v[44:45], v17 src0_sel:WORD_1
	s_waitcnt vmcnt(6)
	v_mad_i64_i32 v[14:15], s[6:7], v50, s45, v[30:31]
	v_cvt_pkrtz_f16_f32 v40, v40, v41
	v_cvt_pkrtz_f16_f32 v41, v44, v45
	v_mfma_f32_16x16x16_f16 v[36:39], v[32:33], v[2:3], v[36:39]
	s_waitcnt vmcnt(5)
	v_cvt_pk_f32_fp8_e32 v[32:33], v18
	v_cvt_pk_f32_fp8_sdwa v[44:45], v18 src0_sel:WORD_1
	v_cvt_pk_f32_fp8_e32 v[48:49], v20
	v_mfma_f32_16x16x16_f16 v[36:39], v[40:41], v[4:5], v[36:39]
	v_cvt_pk_f32_fp8_e32 v[40:41], v19
	v_cvt_pkrtz_f16_f32 v32, v32, v33
	v_cvt_pkrtz_f16_f32 v33, v44, v45
	v_cvt_pk_f32_fp8_sdwa v[18:19], v19 src0_sel:WORD_1
	v_cvt_pkrtz_f16_f32 v40, v40, v41
	v_cvt_pk_f32_fp8_sdwa v[50:51], v20 src0_sel:WORD_1
	v_mfma_f32_16x16x16_f16 v[44:47], v[32:33], v[6:7], 0
	v_cvt_pkrtz_f16_f32 v41, v18, v19
	v_cvt_pkrtz_f16_f32 v32, v48, v49
	;; [unrolled: 1-line block ×3, first 2 shown]
	v_cvt_pk_f32_fp8_e32 v[48:49], v21
	v_cvt_pk_f32_fp8_sdwa v[50:51], v21 src0_sel:WORD_1
	v_mfma_f32_16x16x16_f16 v[18:21], v[40:41], v[8:9], v[44:47]
	s_load_dword s4, s[40:41], 0x0
	v_cvt_pkrtz_f16_f32 v40, v48, v49
	v_cvt_pkrtz_f16_f32 v41, v50, v51
	v_mfma_f32_16x16x16_f16 v[18:21], v[32:33], v[2:3], v[18:21]
	s_waitcnt vmcnt(4)
	v_cvt_pk_f32_fp8_e32 v[32:33], v22
	v_cvt_pk_f32_fp8_sdwa v[48:49], v22 src0_sel:WORD_1
	v_mov_b32_e32 v17, s13
	v_mfma_f32_16x16x16_f16 v[44:47], v[40:41], v[4:5], v[18:21]
	v_cvt_pk_f32_fp8_e32 v[40:41], v24
	s_waitcnt lgkmcnt(0)
	v_mul_f32_e32 v52, s4, v17
	v_cvt_pkrtz_f16_f32 v40, v40, v41
	v_cvt_pk_f32_fp8_e32 v[18:19], v23
	v_cvt_pkrtz_f16_f32 v20, v32, v33
	v_cvt_pkrtz_f16_f32 v21, v48, v49
	v_cvt_pk_f32_fp8_sdwa v[22:23], v23 src0_sel:WORD_1
	v_cvt_pkrtz_f16_f32 v32, v18, v19
	v_cvt_pk_f32_fp8_sdwa v[48:49], v24 src0_sel:WORD_1
	v_mfma_f32_16x16x16_f16 v[18:21], v[20:21], v[6:7], 0
	v_cvt_pkrtz_f16_f32 v33, v22, v23
	v_cvt_pkrtz_f16_f32 v41, v48, v49
	v_cvt_pk_f32_fp8_e32 v[48:49], v25
	v_cvt_pk_f32_fp8_sdwa v[24:25], v25 src0_sel:WORD_1
	v_mfma_f32_16x16x16_f16 v[18:21], v[32:33], v[8:9], v[18:21]
	v_cvt_pkrtz_f16_f32 v32, v48, v49
	v_cvt_pkrtz_f16_f32 v33, v24, v25
	v_pk_mul_f32 v[22:23], v[52:53], v[38:39] op_sel_hi:[0,1]
	v_mfma_f32_16x16x16_f16 v[38:41], v[40:41], v[2:3], v[18:21]
	s_waitcnt vmcnt(3)
	v_cvt_pk_f32_fp8_sdwa v[24:25], v10 src0_sel:WORD_1
	s_nop 0
	v_cvt_pk_f32_fp8_e32 v[18:19], v10
	v_mfma_f32_16x16x16_f16 v[48:51], v[32:33], v[4:5], v[38:41]
	v_cvt_pk_f32_fp8_e32 v[32:33], v11
	v_cvt_pk_f32_fp8_sdwa v[10:11], v11 src0_sel:WORD_1
	v_cvt_pkrtz_f16_f32 v18, v18, v19
	v_cvt_pkrtz_f16_f32 v19, v24, v25
	;; [unrolled: 1-line block ×3, first 2 shown]
	v_cvt_pk_f32_fp8_e32 v[32:33], v12
	v_cvt_pk_f32_fp8_sdwa v[40:41], v12 src0_sel:WORD_1
	v_cvt_pkrtz_f16_f32 v25, v10, v11
	v_pk_mul_f32 v[20:21], v[52:53], v[36:37] op_sel_hi:[0,1]
	v_mfma_f32_16x16x16_f16 v[36:39], v[18:19], v[6:7], 0
	v_cvt_pkrtz_f16_f32 v10, v32, v33
	v_cvt_pkrtz_f16_f32 v11, v40, v41
	v_cvt_pk_f32_fp8_e32 v[18:19], v13
	v_cvt_pk_f32_fp8_sdwa v[12:13], v13 src0_sel:WORD_1
	v_mfma_f32_16x16x16_f16 v[6:9], v[24:25], v[8:9], v[36:39]
	v_pk_mul_f32 v[40:41], v[52:53], v[44:45] op_sel_hi:[0,1]
	v_cvt_pkrtz_f16_f32 v18, v18, v19
	v_cvt_pkrtz_f16_f32 v19, v12, v13
	v_mfma_f32_16x16x16_f16 v[6:9], v[10:11], v[2:3], v[6:9]
	v_pk_mul_f32 v[36:37], v[52:53], v[46:47] op_sel_hi:[0,1]
	v_pk_mul_f32 v[38:39], v[52:53], v[48:49] op_sel_hi:[0,1]
	;; [unrolled: 1-line block ×3, first 2 shown]
	v_mfma_f32_16x16x16_f16 v[2:5], v[18:19], v[4:5], v[6:9]
	s_nop 6
	v_pk_mul_f32 v[24:25], v[52:53], v[2:3] op_sel_hi:[0,1]
	v_and_b32_e32 v2, 0xc0, v0
	v_add_u32_e32 v2, s5, v2
	v_lshl_or_b32 v2, v42, 2, v2
	v_pk_mul_f32 v[18:19], v[52:53], v[4:5] op_sel_hi:[0,1]
	v_or_b32_e32 v5, 1, v2
	v_mov_b32_e32 v3, 0xff7fffff
	v_cmp_gt_i32_e64 s[4:5], s33, v2
	v_cmp_gt_i32_e64 s[34:35], s33, v5
	v_or_b32_e32 v6, 3, v2
	v_cndmask_b32_e64 v4, v3, v20, s[4:5]
	v_cndmask_b32_e64 v5, v3, v21, s[34:35]
	v_max3_f32 v4, v4, s44, v5
	v_or_b32_e32 v5, 2, v2
	v_cmp_gt_i32_e64 s[36:37], s33, v5
	v_cmp_gt_i32_e64 s[38:39], s33, v6
	s_nop 0
	v_cndmask_b32_e64 v5, v3, v22, s[36:37]
	v_cndmask_b32_e64 v6, v3, v23, s[38:39]
	v_max3_f32 v4, v4, v5, v6
	v_or_b32_e32 v5, 16, v2
	v_or_b32_e32 v6, 17, v2
	v_cmp_gt_i32_e64 s[24:25], s33, v5
	v_cmp_gt_i32_e64 s[26:27], s33, v6
	s_nop 0
	v_cndmask_b32_e64 v5, v3, v40, s[24:25]
	v_cndmask_b32_e64 v6, v3, v41, s[26:27]
	v_max3_f32 v4, v4, v5, v6
	v_or_b32_e32 v5, 18, v2
	;; [unrolled: 8-line block ×6, first 2 shown]
	v_or_b32_e32 v2, 51, v2
	v_cmp_gt_i32_e32 vcc, s33, v5
	v_cmp_gt_i32_e64 s[6:7], s33, v2
	s_nop 0
	v_cndmask_b32_e32 v5, v3, v18, vcc
	v_cndmask_b32_e64 v2, v3, v19, s[6:7]
	v_max3_f32 v4, v4, v5, v2
	v_mbcnt_lo_u32_b32 v2, -1, 0
	v_mbcnt_hi_u32_b32 v5, -1, v2
	v_and_b32_e32 v2, 64, v5
	v_add_u32_e32 v6, 64, v2
	v_xor_b32_e32 v2, 32, v5
	v_cmp_lt_i32_e64 s[40:41], v2, v6
	s_nop 1
	v_cndmask_b32_e64 v2, v5, v2, s[40:41]
	v_lshlrev_b32_e32 v45, 2, v2
	ds_bpermute_b32 v7, v45, v4
	s_waitcnt vmcnt(2)
	v_mad_i64_i32 v[2:3], s[40:41], v16, s45, v[30:31]
	global_load_dwordx4 v[14:17], v[14:15], off
	s_nop 0
	global_load_dwordx4 v[10:13], v[2:3], off
	v_xor_b32_e32 v3, 16, v5
	v_cmp_lt_i32_e64 s[40:41], v3, v6
	s_waitcnt lgkmcnt(0)
	v_max_f32_e32 v2, v7, v7
	v_max_f32_e32 v2, v4, v2
	v_cndmask_b32_e64 v3, v5, v3, s[40:41]
	v_lshlrev_b32_e32 v48, 2, v3
	ds_bpermute_b32 v3, v48, v2
	s_waitcnt vmcnt(3)
	v_mad_i64_i32 v[46:47], s[40:41], v34, s45, v[30:31]
	s_waitcnt vmcnt(2)
	v_mad_i64_i32 v[30:31], s[40:41], v35, s45, v[30:31]
	s_waitcnt lgkmcnt(0)
	v_max_f32_e32 v3, v3, v3
	v_max_f32_e32 v44, v2, v3
	v_sub_f32_e32 v2, v20, v44
	v_mul_f32_e32 v2, 0x3fb8aa3b, v2
	v_exp_f32_e32 v20, v2
	v_sub_f32_e32 v2, v21, v44
	v_mul_f32_e32 v2, 0x3fb8aa3b, v2
	v_exp_f32_e32 v21, v2
	global_load_dwordx4 v[6:9], v[46:47], off
	global_load_dwordx4 v[2:5], v[30:31], off
	v_sub_f32_e32 v22, v22, v44
	v_mul_f32_e32 v22, 0x3fb8aa3b, v22
	v_sub_f32_e32 v23, v23, v44
	v_exp_f32_e32 v22, v22
	v_mul_f32_e32 v23, 0x3fb8aa3b, v23
	v_exp_f32_e32 v23, v23
	v_cndmask_b32_e64 v20, 0, v20, s[4:5]
	v_add_f32_e32 v30, 0, v20
	v_cndmask_b32_e64 v21, 0, v21, s[34:35]
	v_add_f32_e32 v30, v30, v21
	;; [unrolled: 2-line block ×3, first 2 shown]
	v_cndmask_b32_e64 v35, 0, v23, s[38:39]
	v_sub_f32_e32 v23, v40, v44
	v_sub_f32_e32 v30, v41, v44
	v_mul_f32_e32 v23, 0x3fb8aa3b, v23
	v_mul_f32_e32 v30, 0x3fb8aa3b, v30
	v_exp_f32_e32 v23, v23
	v_exp_f32_e32 v30, v30
	v_add_f32_e32 v31, v22, v35
	v_sub_f32_e32 v32, v32, v44
	v_cndmask_b32_e64 v22, 0, v23, s[24:25]
	v_cndmask_b32_e64 v23, 0, v30, s[26:27]
	v_sub_f32_e32 v30, v36, v44
	v_mul_f32_e32 v30, 0x3fb8aa3b, v30
	v_exp_f32_e32 v30, v30
	v_sub_f32_e32 v36, v37, v44
	v_add_f32_e32 v31, v31, v22
	v_mul_f32_e32 v36, 0x3fb8aa3b, v36
	v_exp_f32_e32 v37, v36
	v_add_f32_e32 v31, v31, v23
	v_cndmask_b32_e64 v36, 0, v30, s[20:21]
	v_add_f32_e32 v30, v31, v36
	v_sub_f32_e32 v31, v38, v44
	v_mul_f32_e32 v31, 0x3fb8aa3b, v31
	v_sub_f32_e32 v38, v39, v44
	v_exp_f32_e32 v31, v31
	v_mul_f32_e32 v38, 0x3fb8aa3b, v38
	v_exp_f32_e32 v38, v38
	v_mul_f32_e32 v32, 0x3fb8aa3b, v32
	v_sub_f32_e32 v33, v33, v44
	v_exp_f32_e32 v32, v32
	v_mul_f32_e32 v33, 0x3fb8aa3b, v33
	v_sub_f32_e32 v24, v24, v44
	v_cndmask_b32_e64 v37, 0, v37, s[22:23]
	v_exp_f32_e32 v33, v33
	v_mul_f32_e32 v24, 0x3fb8aa3b, v24
	v_sub_f32_e32 v25, v25, v44
	v_add_f32_e32 v39, v30, v37
	v_cndmask_b32_e64 v30, 0, v31, s[16:17]
	v_exp_f32_e32 v24, v24
	v_mul_f32_e32 v25, 0x3fb8aa3b, v25
	v_sub_f32_e32 v18, v18, v44
	v_add_f32_e32 v39, v39, v30
	;; [unrolled: 5-line block ×3, first 2 shown]
	v_cndmask_b32_e64 v32, 0, v32, s[12:13]
	v_exp_f32_e32 v18, v18
	v_mul_f32_e32 v19, 0x3fb8aa3b, v19
	v_add_f32_e32 v38, v38, v32
	v_cndmask_b32_e64 v33, 0, v33, s[14:15]
	v_exp_f32_e32 v19, v19
	v_add_f32_e32 v38, v38, v33
	v_cndmask_b32_e64 v24, 0, v24, s[8:9]
	v_add_f32_e32 v38, v38, v24
	v_cndmask_b32_e64 v25, 0, v25, s[10:11]
	v_add_f32_e32 v38, v38, v25
	v_cndmask_b32_e32 v18, 0, v18, vcc
	v_add_f32_e32 v38, v38, v18
	v_cndmask_b32_e64 v19, 0, v19, s[6:7]
	v_add_f32_e32 v38, v38, v19
	ds_bpermute_b32 v39, v45, v38
	v_cmp_gt_u32_e64 s[6:7], 16, v43
	s_waitcnt lgkmcnt(0)
	s_barrier
	v_add_f32_e32 v38, v38, v39
	ds_bpermute_b32 v40, v48, v38
	v_lshlrev_b32_e32 v39, 2, v28
	s_and_saveexec_b64 s[4:5], s[6:7]
	s_cbranch_execz .LBB872_13
; %bb.12:
	s_waitcnt lgkmcnt(0)
	v_add_f32_e32 v38, v38, v40
	v_lshl_or_b32 v40, v29, 6, v39
	ds_write2st64_b32 v40, v44, v38 offset1:1
.LBB872_13:
	s_or_b64 exec, exec, s[4:5]
	s_load_dword s8, s[0:1], 0x94
	s_waitcnt lgkmcnt(0)
	s_barrier
	ds_read2_b32 v[40:41], v39 offset1:16
	ds_read2_b32 v[44:45], v39 offset0:32 offset1:48
	ds_read2_b32 v[46:47], v39 offset0:64 offset1:80
	s_mul_i32 s9, s29, 5
	s_waitcnt lgkmcnt(2)
	v_max3_f32 v38, v40, s44, v41
	s_waitcnt lgkmcnt(1)
	v_max3_f32 v38, v38, v44, v45
	v_sub_f32_e32 v40, v40, v38
	v_mul_f32_e32 v40, 0x3fb8aa3b, v40
	v_exp_f32_e32 v43, v40
	v_sub_f32_e32 v40, v41, v38
	v_mul_f32_e32 v40, 0x3fb8aa3b, v40
	v_exp_f32_e32 v48, v40
	;; [unrolled: 3-line block ×3, first 2 shown]
	ds_read2_b32 v[40:41], v39 offset0:96 offset1:112
	v_sub_f32_e32 v39, v45, v38
	v_mul_f32_e32 v39, 0x3fb8aa3b, v39
	v_exp_f32_e32 v45, v39
	s_waitcnt lgkmcnt(1)
	v_fma_f32 v39, v43, v46, 0
	v_fmac_f32_e32 v39, v48, v47
	s_waitcnt lgkmcnt(0)
	v_fmac_f32_e32 v39, v44, v40
	v_fmac_f32_e32 v39, v45, v41
	v_add_f32_e32 v40, 0x358637bd, v39
	v_div_scale_f32 v41, s[4:5], v40, v40, 1.0
	v_rcp_f32_e32 v46, v41
	s_barrier
	v_fma_f32 v47, -v41, v46, 1.0
	v_fmac_f32_e32 v46, v47, v46
	v_div_scale_f32 v47, vcc, 1.0, v40, 1.0
	v_mul_f32_e32 v49, v47, v46
	v_fma_f32 v50, -v41, v49, v47
	v_fmac_f32_e32 v49, v50, v46
	v_fma_f32 v41, -v41, v49, v47
	v_div_fmas_f32 v41, v41, v46, v49
	v_cmp_eq_u32_e32 vcc, 1, v29
	v_div_fixup_f32 v40, v41, v40, 1.0
	s_nop 0
	v_cndmask_b32_e32 v41, v43, v48, vcc
	v_cmp_eq_u32_e32 vcc, 2, v29
	s_nop 1
	v_cndmask_b32_e32 v41, v41, v44, vcc
	v_cmp_eq_u32_e32 vcc, 3, v29
	s_nop 1
	v_cndmask_b32_e32 v41, v41, v45, vcc
	v_mul_f32_e32 v40, v41, v40
	v_pk_mul_f32 v[34:35], v[40:41], v[34:35] op_sel_hi:[0,1]
	v_pk_mul_f32 v[20:21], v[40:41], v[20:21] op_sel_hi:[0,1]
	v_cvt_f16_f32_e32 v41, v34
	v_cvt_f16_f32_e32 v35, v35
	;; [unrolled: 1-line block ×4, first 2 shown]
	v_cmp_gt_u32_e32 vcc, 5, v0
	v_pack_b32_f16 v35, v41, v35
	v_lshlrev_b32_e32 v41, 3, v42
	v_pack_b32_f16 v34, v20, v21
	v_pk_mul_f32 v[20:21], v[40:41], v[36:37] op_sel_hi:[0,1]
	v_pk_mul_f32 v[22:23], v[40:41], v[22:23] op_sel_hi:[0,1]
	v_cvt_f16_f32_e32 v22, v22
	v_cvt_f16_f32_e32 v23, v23
	;; [unrolled: 1-line block ×4, first 2 shown]
	v_lshlrev_b32_e32 v20, 11, v29
	v_or3_b32 v20, v20, v27, v41
	v_pack_b32_f16 v22, v22, v23
	v_pack_b32_f16 v23, v36, v21
	ds_write2st64_b64 v20, v[34:35], v[22:23] offset1:1
	v_pk_mul_f32 v[22:23], v[40:41], v[32:33] op_sel_hi:[0,1]
	v_pk_mul_f32 v[30:31], v[40:41], v[30:31] op_sel_hi:[0,1]
	v_cvt_f16_f32_e32 v21, v30
	v_cvt_f16_f32_e32 v29, v31
	;; [unrolled: 1-line block ×4, first 2 shown]
	v_pk_mul_f32 v[18:19], v[40:41], v[18:19] op_sel_hi:[0,1]
	v_pk_mul_f32 v[22:23], v[40:41], v[24:25] op_sel_hi:[0,1]
	v_cvt_f16_f32_e32 v22, v22
	v_cvt_f16_f32_e32 v23, v23
	;; [unrolled: 1-line block ×4, first 2 shown]
	v_pack_b32_f16 v18, v21, v29
	v_pack_b32_f16 v19, v30, v31
	;; [unrolled: 1-line block ×4, first 2 shown]
	ds_write2st64_b64 v20, v[18:19], v[22:23] offset0:2 offset1:3
	s_and_saveexec_b64 s[4:5], vcc
	s_cbranch_execz .LBB872_15
; %bb.14:
	s_mov_b32 s49, 0
	v_mov_b32_e32 v29, 0
	v_lshl_add_u64 v[18:19], s[48:49], 0, v[28:29]
	v_mov_b32_e32 v21, s9
	v_mad_u64_u32 v[18:19], s[10:11], s2, v21, v[18:19]
	s_mul_i32 s3, s3, s9
	v_mov_b32_e32 v28, s28
	s_load_dwordx4 s[12:15], s[0:1], 0x58
	v_add_u32_e32 v21, s3, v19
	v_mad_u64_u32 v[18:19], s[10:11], v18, s8, v[28:29]
	v_mov_b32_e32 v22, v19
	v_mad_u64_u32 v[22:23], s[10:11], v21, s8, v[22:23]
	v_mov_b32_e32 v19, v22
	v_lshlrev_b64 v[18:19], 2, v[18:19]
	s_waitcnt lgkmcnt(0)
	v_lshl_add_u64 v[22:23], s[14:15], 0, v[18:19]
	v_lshl_add_u64 v[18:19], s[12:13], 0, v[18:19]
	global_store_dword v[22:23], v38, off
	global_store_dword v[18:19], v39, off
.LBB872_15:
	s_or_b64 exec, exec, s[4:5]
	s_waitcnt vmcnt(3)
	v_cvt_pk_f32_fp8_e32 v[18:19], v14
	v_cvt_pk_f32_fp8_sdwa v[22:23], v14 src0_sel:WORD_1
	v_cvt_pk_f32_fp8_e32 v[24:25], v15
	v_lshl_or_b32 v14, v42, 9, v27
	s_waitcnt lgkmcnt(0)
	s_barrier
	v_cvt_pkrtz_f16_f32 v18, v18, v19
	v_cvt_pkrtz_f16_f32 v19, v22, v23
	v_cvt_pk_f32_fp8_sdwa v[28:29], v15 src0_sel:WORD_1
	v_cvt_pkrtz_f16_f32 v36, v24, v25
	ds_read_b128 v[22:25], v14
	v_cvt_pk_f32_fp8_e32 v[38:39], v16
	v_cvt_pkrtz_f16_f32 v37, v28, v29
	ds_read_b128 v[28:31], v14 offset:16
	v_cvt_pk_f32_fp8_sdwa v[40:41], v16 src0_sel:WORD_1
	s_waitcnt lgkmcnt(1)
	v_mfma_f32_16x16x16_f16 v[32:35], v[18:19], v[22:23], 0
	v_cvt_pkrtz_f16_f32 v18, v38, v39
	v_cvt_pk_f32_fp8_e32 v[38:39], v17
	v_cvt_pkrtz_f16_f32 v19, v40, v41
	v_mfma_f32_16x16x16_f16 v[22:25], v[36:37], v[24:25], v[32:35]
	s_waitcnt vmcnt(2)
	v_cvt_pk_f32_fp8_sdwa v[36:37], v12 src0_sel:WORD_1
	s_load_dword s4, s[42:43], 0x0
	v_cmp_gt_u32_e32 vcc, 64, v0
	v_cvt_pk_f32_fp8_sdwa v[32:33], v17 src0_sel:WORD_1
	v_cvt_pkrtz_f16_f32 v34, v38, v39
	s_waitcnt lgkmcnt(0)
	v_mfma_f32_16x16x16_f16 v[16:19], v[18:19], v[28:29], v[22:25]
	v_cvt_pk_f32_fp8_e32 v[28:29], v11
	v_cvt_pkrtz_f16_f32 v35, v32, v33
	s_mov_b32 s3, 0
	v_cvt_pk_f32_fp8_e32 v[22:23], v10
	v_cvt_pk_f32_fp8_sdwa v[24:25], v10 src0_sel:WORD_1
	v_mfma_f32_16x16x16_f16 v[16:19], v[34:35], v[30:31], v[16:19]
	v_cvt_pkrtz_f16_f32 v10, v22, v23
	v_cvt_pk_f32_fp8_sdwa v[30:31], v11 src0_sel:WORD_1
	v_cvt_pkrtz_f16_f32 v11, v24, v25
	ds_read_b128 v[22:25], v14 offset:2048
	v_cvt_pkrtz_f16_f32 v32, v28, v29
	v_cvt_pkrtz_f16_f32 v33, v30, v31
	ds_read_b128 v[28:31], v14 offset:2064
	v_cvt_pk_f32_fp8_e32 v[34:35], v12
	s_waitcnt lgkmcnt(1)
	v_mfma_f32_16x16x16_f16 v[16:19], v[10:11], v[22:23], v[16:19]
	v_cvt_pkrtz_f16_f32 v11, v36, v37
	v_cvt_pk_f32_fp8_e32 v[22:23], v13
	v_cvt_pkrtz_f16_f32 v10, v34, v35
	v_mfma_f32_16x16x16_f16 v[16:19], v[32:33], v[24:25], v[16:19]
	v_cvt_pk_f32_fp8_sdwa v[24:25], v13 src0_sel:WORD_1
	v_cvt_pkrtz_f16_f32 v22, v22, v23
	s_waitcnt vmcnt(1)
	v_cvt_pk_f32_fp8_sdwa v[32:33], v8 src0_sel:WORD_1
	s_waitcnt lgkmcnt(0)
	v_mfma_f32_16x16x16_f16 v[10:13], v[10:11], v[28:29], v[16:19]
	v_cvt_pkrtz_f16_f32 v23, v24, v25
	v_cvt_pk_f32_fp8_sdwa v[24:25], v7 src0_sel:WORD_1
	v_mov_b32_e32 v27, 0
	v_cvt_pk_f32_fp8_e32 v[16:17], v6
	v_cvt_pk_f32_fp8_sdwa v[18:19], v6 src0_sel:WORD_1
	v_mfma_f32_16x16x16_f16 v[10:13], v[22:23], v[30:31], v[10:13]
	v_cvt_pk_f32_fp8_e32 v[22:23], v7
	v_cvt_pkrtz_f16_f32 v6, v16, v17
	v_cvt_pkrtz_f16_f32 v7, v18, v19
	ds_read_b128 v[16:19], v14 offset:4096
	v_cvt_pkrtz_f16_f32 v28, v22, v23
	v_cvt_pkrtz_f16_f32 v29, v24, v25
	ds_read_b128 v[22:25], v14 offset:4112
	v_cvt_pk_f32_fp8_e32 v[30:31], v8
	s_waitcnt lgkmcnt(1)
	v_mfma_f32_16x16x16_f16 v[10:13], v[6:7], v[16:17], v[10:13]
	v_cvt_pkrtz_f16_f32 v7, v32, v33
	v_cvt_pk_f32_fp8_e32 v[16:17], v9
	v_cvt_pkrtz_f16_f32 v6, v30, v31
	v_mfma_f32_16x16x16_f16 v[10:13], v[28:29], v[18:19], v[10:13]
	v_cvt_pk_f32_fp8_sdwa v[18:19], v9 src0_sel:WORD_1
	v_cvt_pkrtz_f16_f32 v16, v16, v17
	v_cvt_pkrtz_f16_f32 v17, v18, v19
	s_waitcnt lgkmcnt(0)
	v_mfma_f32_16x16x16_f16 v[6:9], v[6:7], v[22:23], v[10:13]
	s_waitcnt vmcnt(0)
	v_cvt_pk_f32_fp8_sdwa v[18:19], v3 src0_sel:WORD_1
	s_nop 0
	v_cvt_pkrtz_f16_f32 v23, v18, v19
	v_cvt_pk_f32_fp8_e32 v[10:11], v2
	v_cvt_pk_f32_fp8_sdwa v[12:13], v2 src0_sel:WORD_1
	v_mfma_f32_16x16x16_f16 v[6:9], v[16:17], v[24:25], v[6:9]
	v_cvt_pk_f32_fp8_e32 v[16:17], v3
	v_cvt_pkrtz_f16_f32 v2, v10, v11
	v_cvt_pkrtz_f16_f32 v3, v12, v13
	ds_read_b128 v[10:13], v14 offset:6144
	v_cvt_pkrtz_f16_f32 v22, v16, v17
	v_cvt_pk_f32_fp8_e32 v[18:19], v4
	v_cvt_pk_f32_fp8_sdwa v[24:25], v4 src0_sel:WORD_1
	s_waitcnt lgkmcnt(0)
	v_mfma_f32_16x16x16_f16 v[6:9], v[2:3], v[10:11], v[6:9]
	ds_read_b128 v[14:17], v14 offset:6160
	v_cvt_pkrtz_f16_f32 v2, v18, v19
	v_cvt_pkrtz_f16_f32 v3, v24, v25
	v_cvt_pk_f32_fp8_e32 v[10:11], v5
	v_mfma_f32_16x16x16_f16 v[6:9], v[22:23], v[12:13], v[6:9]
	v_cvt_pk_f32_fp8_sdwa v[12:13], v5 src0_sel:WORD_1
	s_waitcnt lgkmcnt(0)
	v_cvt_pkrtz_f16_f32 v10, v10, v11
	v_mfma_f32_16x16x16_f16 v[2:5], v[2:3], v[14:15], v[6:9]
	v_cvt_pkrtz_f16_f32 v11, v12, v13
	s_barrier
	s_nop 0
	v_mfma_f32_16x16x16_f16 v[2:5], v[10:11], v[16:17], v[2:5]
	s_nop 6
	v_pk_mul_f32 v[4:5], v[4:5], s[4:5] op_sel_hi:[1,0]
	v_pk_mul_f32 v[2:3], v[2:3], s[4:5] op_sel_hi:[1,0]
	v_cvt_f16_f32_e32 v4, v4
	v_cvt_f16_f32_e32 v2, v2
	;; [unrolled: 1-line block ×4, first 2 shown]
	s_and_b64 s[4:5], vcc, s[30:31]
	v_pack_b32_f16 v2, v2, v3
	v_pack_b32_f16 v3, v4, v5
	ds_write_b64 v20, v[2:3]
	s_waitcnt lgkmcnt(0)
	s_barrier
	s_and_saveexec_b64 s[10:11], s[4:5]
	s_cbranch_execz .LBB872_18
; %bb.16:
	s_load_dwordx2 s[4:5], s[0:1], 0x68
	s_lshl_b32 s0, s8, 6
	s_mul_i32 s1, s9, s2
	s_mul_hi_u32 s9, s1, s0
	s_mul_i32 s8, s1, s0
	v_lshlrev_b32_e32 v0, 10, v0
	s_lshl_b64 s[8:9], s[8:9], 1
	v_and_b32_e32 v0, 0x1800, v0
	v_lshlrev_b32_e32 v2, 5, v42
	v_and_b32_e32 v1, 16, v1
	s_waitcnt lgkmcnt(0)
	s_add_u32 s1, s4, s8
	v_or3_b32 v2, v0, v2, v1
	s_addc_u32 s4, s5, s9
	s_lshl_b32 s2, s28, 6
	s_lshl_b64 s[2:3], s[2:3], 1
	ds_read_b128 v[4:7], v2
	s_add_u32 s2, s1, s2
	s_addc_u32 s3, s4, s3
	v_add_u32_e32 v3, s48, v42
	v_lshl_add_u64 v[0:1], s[2:3], 0, v[26:27]
	v_mad_u64_u32 v[8:9], s[2:3], v3, s0, 0
	v_lshl_add_u64 v[8:9], v[8:9], 1, v[0:1]
	s_waitcnt lgkmcnt(0)
	global_store_dwordx4 v[8:9], v[4:7], off
	s_and_b64 exec, exec, s[6:7]
	s_cbranch_execz .LBB872_18
; %bb.17:
	ds_read_b128 v[2:5], v2 offset:128
	v_add3_u32 v6, s48, v42, 4
	v_mad_u64_u32 v[6:7], s[0:1], v6, s0, 0
	v_lshl_add_u64 v[0:1], v[6:7], 1, v[0:1]
	s_waitcnt lgkmcnt(0)
	global_store_dwordx4 v[0:1], v[2:5], off
.LBB872_18:
	s_endpgm
	.section	.rodata,"a",@progbits
	.p2align	6, 0x0
	.amdhsa_kernel _Z39paged_attention_ll4mi_QKV_mfma16_kernelIDF16_hLN4vllm18Fp8KVCacheDataTypeE1EhLi32ELi64ELi256ELb0ELi5EEvPKT_PKT0_S7_ifPKiS9_S9_iPKfiiiPfSC_PS2_PT2_iSB_SB_
		.amdhsa_group_segment_fixed_size 8192
		.amdhsa_private_segment_fixed_size 0
		.amdhsa_kernarg_size 400
		.amdhsa_user_sgpr_count 2
		.amdhsa_user_sgpr_dispatch_ptr 0
		.amdhsa_user_sgpr_queue_ptr 0
		.amdhsa_user_sgpr_kernarg_segment_ptr 1
		.amdhsa_user_sgpr_dispatch_id 0
		.amdhsa_user_sgpr_kernarg_preload_length 0
		.amdhsa_user_sgpr_kernarg_preload_offset 0
		.amdhsa_user_sgpr_private_segment_size 0
		.amdhsa_uses_dynamic_stack 0
		.amdhsa_enable_private_segment 0
		.amdhsa_system_sgpr_workgroup_id_x 1
		.amdhsa_system_sgpr_workgroup_id_y 1
		.amdhsa_system_sgpr_workgroup_id_z 1
		.amdhsa_system_sgpr_workgroup_info 0
		.amdhsa_system_vgpr_workitem_id 0
		.amdhsa_next_free_vgpr 54
		.amdhsa_next_free_sgpr 50
		.amdhsa_accum_offset 56
		.amdhsa_reserve_vcc 1
		.amdhsa_float_round_mode_32 0
		.amdhsa_float_round_mode_16_64 0
		.amdhsa_float_denorm_mode_32 3
		.amdhsa_float_denorm_mode_16_64 3
		.amdhsa_dx10_clamp 1
		.amdhsa_ieee_mode 1
		.amdhsa_fp16_overflow 0
		.amdhsa_tg_split 0
		.amdhsa_exception_fp_ieee_invalid_op 0
		.amdhsa_exception_fp_denorm_src 0
		.amdhsa_exception_fp_ieee_div_zero 0
		.amdhsa_exception_fp_ieee_overflow 0
		.amdhsa_exception_fp_ieee_underflow 0
		.amdhsa_exception_fp_ieee_inexact 0
		.amdhsa_exception_int_div_zero 0
	.end_amdhsa_kernel
	.section	.text._Z39paged_attention_ll4mi_QKV_mfma16_kernelIDF16_hLN4vllm18Fp8KVCacheDataTypeE1EhLi32ELi64ELi256ELb0ELi5EEvPKT_PKT0_S7_ifPKiS9_S9_iPKfiiiPfSC_PS2_PT2_iSB_SB_,"axG",@progbits,_Z39paged_attention_ll4mi_QKV_mfma16_kernelIDF16_hLN4vllm18Fp8KVCacheDataTypeE1EhLi32ELi64ELi256ELb0ELi5EEvPKT_PKT0_S7_ifPKiS9_S9_iPKfiiiPfSC_PS2_PT2_iSB_SB_,comdat
.Lfunc_end872:
	.size	_Z39paged_attention_ll4mi_QKV_mfma16_kernelIDF16_hLN4vllm18Fp8KVCacheDataTypeE1EhLi32ELi64ELi256ELb0ELi5EEvPKT_PKT0_S7_ifPKiS9_S9_iPKfiiiPfSC_PS2_PT2_iSB_SB_, .Lfunc_end872-_Z39paged_attention_ll4mi_QKV_mfma16_kernelIDF16_hLN4vllm18Fp8KVCacheDataTypeE1EhLi32ELi64ELi256ELb0ELi5EEvPKT_PKT0_S7_ifPKiS9_S9_iPKfiiiPfSC_PS2_PT2_iSB_SB_
                                        ; -- End function
	.section	.AMDGPU.csdata,"",@progbits
; Kernel info:
; codeLenInByte = 4676
; NumSgprs: 56
; NumVgprs: 54
; NumAgprs: 0
; TotalNumVgprs: 54
; ScratchSize: 0
; MemoryBound: 0
; FloatMode: 240
; IeeeMode: 1
; LDSByteSize: 8192 bytes/workgroup (compile time only)
; SGPRBlocks: 6
; VGPRBlocks: 6
; NumSGPRsForWavesPerEU: 56
; NumVGPRsForWavesPerEU: 54
; AccumOffset: 56
; Occupancy: 8
; WaveLimiterHint : 1
; COMPUTE_PGM_RSRC2:SCRATCH_EN: 0
; COMPUTE_PGM_RSRC2:USER_SGPR: 2
; COMPUTE_PGM_RSRC2:TRAP_HANDLER: 0
; COMPUTE_PGM_RSRC2:TGID_X_EN: 1
; COMPUTE_PGM_RSRC2:TGID_Y_EN: 1
; COMPUTE_PGM_RSRC2:TGID_Z_EN: 1
; COMPUTE_PGM_RSRC2:TIDIG_COMP_CNT: 0
; COMPUTE_PGM_RSRC3_GFX90A:ACCUM_OFFSET: 13
; COMPUTE_PGM_RSRC3_GFX90A:TG_SPLIT: 0
	.section	.text._Z39paged_attention_ll4mi_QKV_mfma16_kernelIDF16_hLN4vllm18Fp8KVCacheDataTypeE1EhLi32ELi64ELi256ELb0ELi6EEvPKT_PKT0_S7_ifPKiS9_S9_iPKfiiiPfSC_PS2_PT2_iSB_SB_,"axG",@progbits,_Z39paged_attention_ll4mi_QKV_mfma16_kernelIDF16_hLN4vllm18Fp8KVCacheDataTypeE1EhLi32ELi64ELi256ELb0ELi6EEvPKT_PKT0_S7_ifPKiS9_S9_iPKfiiiPfSC_PS2_PT2_iSB_SB_,comdat
	.protected	_Z39paged_attention_ll4mi_QKV_mfma16_kernelIDF16_hLN4vllm18Fp8KVCacheDataTypeE1EhLi32ELi64ELi256ELb0ELi6EEvPKT_PKT0_S7_ifPKiS9_S9_iPKfiiiPfSC_PS2_PT2_iSB_SB_ ; -- Begin function _Z39paged_attention_ll4mi_QKV_mfma16_kernelIDF16_hLN4vllm18Fp8KVCacheDataTypeE1EhLi32ELi64ELi256ELb0ELi6EEvPKT_PKT0_S7_ifPKiS9_S9_iPKfiiiPfSC_PS2_PT2_iSB_SB_
	.globl	_Z39paged_attention_ll4mi_QKV_mfma16_kernelIDF16_hLN4vllm18Fp8KVCacheDataTypeE1EhLi32ELi64ELi256ELb0ELi6EEvPKT_PKT0_S7_ifPKiS9_S9_iPKfiiiPfSC_PS2_PT2_iSB_SB_
	.p2align	8
	.type	_Z39paged_attention_ll4mi_QKV_mfma16_kernelIDF16_hLN4vllm18Fp8KVCacheDataTypeE1EhLi32ELi64ELi256ELb0ELi6EEvPKT_PKT0_S7_ifPKiS9_S9_iPKfiiiPfSC_PS2_PT2_iSB_SB_,@function
_Z39paged_attention_ll4mi_QKV_mfma16_kernelIDF16_hLN4vllm18Fp8KVCacheDataTypeE1EhLi32ELi64ELi256ELb0ELi6EEvPKT_PKT0_S7_ifPKiS9_S9_iPKfiiiPfSC_PS2_PT2_iSB_SB_: ; @_Z39paged_attention_ll4mi_QKV_mfma16_kernelIDF16_hLN4vllm18Fp8KVCacheDataTypeE1EhLi32ELi64ELi256ELb0ELi6EEvPKT_PKT0_S7_ifPKiS9_S9_iPKfiiiPfSC_PS2_PT2_iSB_SB_
; %bb.0:
	s_load_dwordx2 s[12:13], s[0:1], 0x30
	s_mov_b32 s28, s3
	s_mov_b64 s[6:7], 0
	s_waitcnt lgkmcnt(0)
	s_cmp_lg_u64 s[12:13], 0
	s_cselect_b64 s[14:15], -1, 0
	s_and_b64 vcc, exec, s[14:15]
	s_cbranch_vccz .LBB873_7
; %bb.1:
	s_add_i32 s8, s2, 1
	s_mov_b32 s9, 0
	s_lshl_b64 s[10:11], s[8:9], 2
	s_add_u32 s10, s12, s10
	s_mov_b32 s3, s9
	s_addc_u32 s11, s13, s11
	s_lshl_b64 s[8:9], s[2:3], 2
	s_add_u32 s8, s12, s8
	s_addc_u32 s9, s13, s9
	s_load_dword s5, s[10:11], 0x0
	s_load_dword s16, s[8:9], 0x0
	s_waitcnt lgkmcnt(0)
	s_sub_i32 s5, s5, s16
	s_cmp_eq_u32 s5, 1
	s_cselect_b64 s[8:9], -1, 0
	s_andn2_b64 vcc, exec, s[6:7]
	s_cbranch_vccnz .LBB873_3
.LBB873_2:
	s_mov_b32 s3, 0
	s_mov_b64 s[8:9], -1
.LBB873_3:
	s_andn2_b64 vcc, exec, s[8:9]
	s_cbranch_vccnz .LBB873_18
; %bb.4:
	s_load_dwordx2 s[6:7], s[0:1], 0x28
	s_lshl_b64 s[16:17], s[2:3], 2
	s_waitcnt lgkmcnt(0)
	s_add_u32 s6, s6, s16
	s_addc_u32 s7, s7, s17
	s_load_dword s33, s[6:7], 0x0
	s_lshl_b32 s5, s28, 8
	s_waitcnt lgkmcnt(0)
	s_cmp_ge_i32 s5, s33
	s_cbranch_scc1 .LBB873_18
; %bb.5:
	s_add_i32 s9, s33, 31
	s_load_dwordx2 s[6:7], s[0:1], 0x20
	s_load_dword s8, s[0:1], 0x38
	s_ashr_i32 s10, s9, 31
	v_and_b32_e32 v1, 0xcf, v0
	s_lshr_b32 s10, s10, 27
	v_add_u32_e32 v1, s5, v1
	s_add_i32 s9, s9, s10
	v_ashrrev_i32_e32 v2, 31, v1
	s_ashr_i32 s18, s9, 5
	v_lshrrev_b32_e32 v6, 27, v2
	s_add_i32 s18, s18, -1
	v_add_u32_e32 v2, v1, v6
	v_or_b32_e32 v4, 16, v1
	s_waitcnt lgkmcnt(0)
	s_mul_i32 s8, s2, s8
	s_mov_b32 s9, 0
	v_ashrrev_i32_e32 v2, 5, v2
	v_mov_b32_e32 v7, s18
	v_cmp_gt_i32_e32 vcc, s33, v1
	v_add_u32_e32 v5, v4, v6
	s_lshl_b64 s[8:9], s[8:9], 2
	v_cndmask_b32_e32 v2, v7, v2, vcc
	v_ashrrev_i32_e32 v5, 5, v5
	v_cmp_gt_i32_e32 vcc, s33, v4
	s_add_u32 s6, s6, s8
	s_addc_u32 s7, s7, s9
	v_cndmask_b32_e32 v4, v7, v5, vcc
	v_ashrrev_i32_e32 v5, 31, v4
	v_lshl_add_u64 v[10:11], v[4:5], 2, s[6:7]
	v_or_b32_e32 v4, 32, v1
	v_add_u32_e32 v5, v4, v6
	v_ashrrev_i32_e32 v5, 5, v5
	v_cmp_gt_i32_e32 vcc, s33, v4
	v_or_b32_e32 v1, 48, v1
	v_ashrrev_i32_e32 v3, 31, v2
	v_cndmask_b32_e32 v4, v7, v5, vcc
	v_ashrrev_i32_e32 v5, 31, v4
	v_lshl_add_u64 v[12:13], v[4:5], 2, s[6:7]
	v_add_u32_e32 v4, v1, v6
	v_ashrrev_i32_e32 v4, 5, v4
	v_cmp_gt_i32_e32 vcc, s33, v1
	v_lshl_add_u64 v[2:3], v[2:3], 2, s[6:7]
	s_load_dwordx4 s[8:11], s[0:1], 0x8
	v_cndmask_b32_e32 v4, v7, v4, vcc
	v_ashrrev_i32_e32 v5, 31, v4
	v_lshl_add_u64 v[14:15], v[4:5], 2, s[6:7]
	global_load_dword v4, v[2:3], off
	global_load_dword v8, v[10:11], off
	;; [unrolled: 1-line block ×4, first 2 shown]
	s_andn2_b64 vcc, exec, s[14:15]
	s_cbranch_vccnz .LBB873_8
; %bb.6:
	s_add_u32 s12, s12, s16
	s_addc_u32 s13, s13, s17
	s_load_dword s14, s[12:13], 0x0
	s_branch .LBB873_9
.LBB873_7:
	s_mov_b64 s[8:9], 0
	s_branch .LBB873_2
.LBB873_8:
	s_mov_b32 s14, s2
.LBB873_9:
	s_load_dwordx4 s[44:47], s[0:1], 0x48
	v_lshrrev_b32_e32 v29, 6, v0
	v_bfe_u32 v42, v0, 4, 2
	v_lshl_or_b32 v2, v29, 2, v42
	v_and_b32_e32 v28, 15, v0
	v_lshlrev_b32_e32 v1, 3, v28
	v_cmp_gt_u32_e32 vcc, 6, v2
	v_cmp_gt_u32_e64 s[30:31], 8, v28
	v_and_b32_e32 v43, 63, v0
	s_mul_i32 s48, s4, 6
	s_and_b64 s[16:17], s[30:31], vcc
	v_lshlrev_b32_e32 v26, 1, v1
	v_lshlrev_b32_e32 v1, 4, v0
	s_and_saveexec_b64 s[12:13], s[16:17]
	s_cbranch_execz .LBB873_11
; %bb.10:
	s_load_dwordx2 s[16:17], s[0:1], 0x0
	s_waitcnt lgkmcnt(0)
	s_ashr_i32 s15, s44, 31
	s_mul_hi_u32 s19, s14, s44
	s_mul_i32 s15, s14, s15
	s_add_i32 s15, s19, s15
	s_mul_i32 s14, s14, s44
	s_lshl_b64 s[14:15], s[14:15], 1
	s_add_u32 s14, s16, s14
	v_add_lshl_u32 v10, v2, s48, 6
	s_addc_u32 s15, s17, s15
	v_ashrrev_i32_e32 v11, 31, v10
	v_lshl_add_u64 v[10:11], v[10:11], 1, s[14:15]
	v_mov_b32_e32 v27, 0
	v_lshl_add_u64 v[10:11], v[10:11], 0, v[26:27]
	global_load_dwordx4 v[10:13], v[10:11], off
	v_lshlrev_b32_e32 v5, 8, v28
	v_lshlrev_b32_e32 v2, 5, v2
	v_and_b32_e32 v3, 16, v1
	v_and_b32_e32 v5, 0xe00, v5
	v_or3_b32 v2, v5, v2, v3
	s_waitcnt vmcnt(0)
	ds_write_b128 v2, v[10:13]
.LBB873_11:
	s_or_b64 exec, exec, s[12:13]
	s_waitcnt lgkmcnt(0)
	s_mul_i32 s4, s4, s46
	s_add_u32 s8, s8, s4
	s_addc_u32 s9, s9, 0
	v_mov_b32_e32 v31, 0
	v_mov_b64_e32 v[2:3], s[8:9]
	v_and_b32_e32 v12, 48, v0
	s_waitcnt vmcnt(3)
	v_mad_i64_i32 v[10:11], s[8:9], v4, s45, v[2:3]
	v_lshlrev_b32_e32 v4, 4, v28
	v_mov_b32_e32 v5, v31
	v_lshlrev_b32_e32 v30, 5, v12
	v_lshl_add_u64 v[10:11], v[10:11], 0, v[4:5]
	v_lshl_add_u64 v[10:11], v[10:11], 0, v[30:31]
	s_load_dword s29, s[0:1], 0x98
	s_load_dwordx4 s[40:43], s[0:1], 0x80
	s_waitcnt lgkmcnt(0)
	s_barrier
	global_load_dwordx4 v[14:17], v[10:11], off
	s_waitcnt vmcnt(3)
	v_mad_i64_i32 v[8:9], s[8:9], v8, s45, v[2:3]
	s_ashr_i32 s8, s5, 31
	v_or_b32_e32 v12, s5, v12
	s_lshr_b32 s12, s8, 27
	v_add_u32_e32 v10, s12, v12
	v_ashrrev_i32_e32 v10, 5, v10
	v_mov_b32_e32 v33, s18
	v_cmp_gt_i32_e32 vcc, s33, v12
	v_mov_b32_e32 v13, 5
	v_or_b32_e32 v32, 64, v12
	v_cndmask_b32_e32 v10, v33, v10, vcc
	v_ashrrev_i32_e32 v11, 31, v10
	v_lshl_add_u64 v[10:11], v[10:11], 2, s[6:7]
	global_load_dword v50, v[10:11], off
	v_or_b32_e32 v10, 0x100, v4
	v_mov_b32_e32 v11, v31
	v_lshl_add_u64 v[8:9], v[8:9], 0, v[10:11]
	v_lshl_add_u64 v[8:9], v[8:9], 0, v[30:31]
	global_load_dwordx4 v[18:21], v[8:9], off
	v_mul_lo_u16_e32 v8, 43, v28
	v_mov_b32_e32 v9, 6
	v_mul_lo_u16_sdwa v8, v8, v9 dst_sel:DWORD dst_unused:UNUSED_PAD src0_sel:BYTE_1 src1_sel:DWORD
	v_sub_u16_e32 v8, v28, v8
	v_or_b32_e32 v34, 0x80, v12
	v_or_b32_e32 v35, 0xc0, v12
	v_lshlrev_b32_sdwa v12, v13, v8 dst_sel:DWORD dst_unused:UNUSED_PAD src0_sel:DWORD src1_sel:BYTE_0
	s_waitcnt vmcnt(4)
	v_mad_i64_i32 v[8:9], s[8:9], v7, s45, v[2:3]
	v_lshl_add_u64 v[4:5], v[8:9], 0, v[4:5]
	v_lshl_add_u64 v[4:5], v[4:5], 0, v[30:31]
	global_load_dwordx4 v[22:25], v[4:5], off
	v_lshl_add_u32 v4, v42, 9, v12
	s_waitcnt vmcnt(4)
	v_mad_i64_i32 v[12:13], s[8:9], v6, s45, v[2:3]
	v_add_u32_e32 v36, s12, v32
	v_add_u32_e32 v37, s12, v34
	v_lshl_add_u64 v[10:11], v[12:13], 0, v[10:11]
	v_ashrrev_i32_e32 v12, 5, v36
	v_cmp_gt_i32_e32 vcc, s33, v32
	v_ashrrev_i32_e32 v13, 5, v37
	v_lshl_add_u64 v[10:11], v[10:11], 0, v[30:31]
	v_cndmask_b32_e32 v32, v33, v12, vcc
	v_cmp_gt_i32_e32 vcc, s33, v34
	ds_read_b128 v[6:9], v4
	ds_read_b128 v[2:5], v4 offset:16
	v_cndmask_b32_e32 v34, v33, v13, vcc
	global_load_dwordx4 v[10:13], v[10:11], off
	v_add_u32_e32 v38, s12, v35
	s_add_u32 s8, s10, s4
	v_ashrrev_i32_e32 v36, 5, v38
	v_cmp_gt_i32_e32 vcc, s33, v35
	v_lshlrev_b32_e32 v27, 5, v28
	s_addc_u32 s9, s11, 0
	v_cndmask_b32_e32 v36, v33, v36, vcc
	v_and_b32_e32 v30, 16, v0
	v_ashrrev_i32_e32 v37, 31, v36
	v_lshl_add_u64 v[38:39], s[8:9], 0, v[30:31]
	v_lshl_or_b32 v30, v29, 9, v27
	v_lshl_add_u64 v[40:41], v[36:37], 2, s[6:7]
	v_lshl_add_u64 v[30:31], v[38:39], 0, v[30:31]
	v_ashrrev_i32_e32 v33, 31, v32
	v_ashrrev_i32_e32 v35, 31, v34
	v_lshl_add_u64 v[32:33], v[32:33], 2, s[6:7]
	v_lshl_add_u64 v[34:35], v[34:35], 2, s[6:7]
	s_load_dword s13, s[0:1], 0x1c
	s_mov_b32 s44, 0xff7fffff
	s_waitcnt vmcnt(4)
	v_cvt_pk_f32_fp8_e32 v[36:37], v14
	v_cvt_pk_f32_fp8_sdwa v[38:39], v14 src0_sel:WORD_1
	v_cvt_pk_f32_fp8_e32 v[44:45], v15
	v_cvt_pk_f32_fp8_sdwa v[14:15], v15 src0_sel:WORD_1
	v_cvt_pkrtz_f16_f32 v36, v36, v37
	v_cvt_pkrtz_f16_f32 v37, v38, v39
	;; [unrolled: 1-line block ×4, first 2 shown]
	v_cvt_pk_f32_fp8_e32 v[46:47], v16
	v_cvt_pk_f32_fp8_sdwa v[48:49], v16 src0_sel:WORD_1
	s_waitcnt lgkmcnt(0)
	v_mfma_f32_16x16x16_f16 v[36:39], v[36:37], v[6:7], 0
	global_load_dword v16, v[32:33], off
	s_nop 0
	global_load_dword v34, v[34:35], off
	s_nop 0
	global_load_dword v35, v[40:41], off
	v_cvt_pkrtz_f16_f32 v32, v46, v47
	v_cvt_pkrtz_f16_f32 v33, v48, v49
	v_mfma_f32_16x16x16_f16 v[36:39], v[44:45], v[8:9], v[36:39]
	v_cvt_pk_f32_fp8_e32 v[40:41], v17
	v_cvt_pk_f32_fp8_sdwa v[44:45], v17 src0_sel:WORD_1
	s_waitcnt vmcnt(6)
	v_mad_i64_i32 v[14:15], s[6:7], v50, s45, v[30:31]
	v_cvt_pkrtz_f16_f32 v40, v40, v41
	v_cvt_pkrtz_f16_f32 v41, v44, v45
	v_mfma_f32_16x16x16_f16 v[36:39], v[32:33], v[2:3], v[36:39]
	s_waitcnt vmcnt(5)
	v_cvt_pk_f32_fp8_e32 v[32:33], v18
	v_cvt_pk_f32_fp8_sdwa v[44:45], v18 src0_sel:WORD_1
	v_cvt_pk_f32_fp8_e32 v[48:49], v20
	v_mfma_f32_16x16x16_f16 v[36:39], v[40:41], v[4:5], v[36:39]
	v_cvt_pk_f32_fp8_e32 v[40:41], v19
	v_cvt_pkrtz_f16_f32 v32, v32, v33
	v_cvt_pkrtz_f16_f32 v33, v44, v45
	v_cvt_pk_f32_fp8_sdwa v[18:19], v19 src0_sel:WORD_1
	v_cvt_pkrtz_f16_f32 v40, v40, v41
	v_cvt_pk_f32_fp8_sdwa v[50:51], v20 src0_sel:WORD_1
	v_mfma_f32_16x16x16_f16 v[44:47], v[32:33], v[6:7], 0
	v_cvt_pkrtz_f16_f32 v41, v18, v19
	v_cvt_pkrtz_f16_f32 v32, v48, v49
	;; [unrolled: 1-line block ×3, first 2 shown]
	v_cvt_pk_f32_fp8_e32 v[48:49], v21
	v_cvt_pk_f32_fp8_sdwa v[50:51], v21 src0_sel:WORD_1
	v_mfma_f32_16x16x16_f16 v[18:21], v[40:41], v[8:9], v[44:47]
	s_load_dword s4, s[40:41], 0x0
	v_cvt_pkrtz_f16_f32 v40, v48, v49
	v_cvt_pkrtz_f16_f32 v41, v50, v51
	v_mfma_f32_16x16x16_f16 v[18:21], v[32:33], v[2:3], v[18:21]
	s_waitcnt vmcnt(4)
	v_cvt_pk_f32_fp8_e32 v[32:33], v22
	v_cvt_pk_f32_fp8_sdwa v[48:49], v22 src0_sel:WORD_1
	v_mov_b32_e32 v17, s13
	v_mfma_f32_16x16x16_f16 v[44:47], v[40:41], v[4:5], v[18:21]
	v_cvt_pk_f32_fp8_e32 v[40:41], v24
	s_waitcnt lgkmcnt(0)
	v_mul_f32_e32 v52, s4, v17
	v_cvt_pkrtz_f16_f32 v40, v40, v41
	v_cvt_pk_f32_fp8_e32 v[18:19], v23
	v_cvt_pkrtz_f16_f32 v20, v32, v33
	v_cvt_pkrtz_f16_f32 v21, v48, v49
	v_cvt_pk_f32_fp8_sdwa v[22:23], v23 src0_sel:WORD_1
	v_cvt_pkrtz_f16_f32 v32, v18, v19
	v_cvt_pk_f32_fp8_sdwa v[48:49], v24 src0_sel:WORD_1
	v_mfma_f32_16x16x16_f16 v[18:21], v[20:21], v[6:7], 0
	v_cvt_pkrtz_f16_f32 v33, v22, v23
	v_cvt_pkrtz_f16_f32 v41, v48, v49
	v_cvt_pk_f32_fp8_e32 v[48:49], v25
	v_cvt_pk_f32_fp8_sdwa v[24:25], v25 src0_sel:WORD_1
	v_mfma_f32_16x16x16_f16 v[18:21], v[32:33], v[8:9], v[18:21]
	v_cvt_pkrtz_f16_f32 v32, v48, v49
	v_cvt_pkrtz_f16_f32 v33, v24, v25
	v_pk_mul_f32 v[22:23], v[52:53], v[38:39] op_sel_hi:[0,1]
	v_mfma_f32_16x16x16_f16 v[38:41], v[40:41], v[2:3], v[18:21]
	s_waitcnt vmcnt(3)
	v_cvt_pk_f32_fp8_sdwa v[24:25], v10 src0_sel:WORD_1
	s_nop 0
	v_cvt_pk_f32_fp8_e32 v[18:19], v10
	v_mfma_f32_16x16x16_f16 v[48:51], v[32:33], v[4:5], v[38:41]
	v_cvt_pk_f32_fp8_e32 v[32:33], v11
	v_cvt_pk_f32_fp8_sdwa v[10:11], v11 src0_sel:WORD_1
	v_cvt_pkrtz_f16_f32 v18, v18, v19
	v_cvt_pkrtz_f16_f32 v19, v24, v25
	;; [unrolled: 1-line block ×3, first 2 shown]
	v_cvt_pk_f32_fp8_e32 v[32:33], v12
	v_cvt_pk_f32_fp8_sdwa v[40:41], v12 src0_sel:WORD_1
	v_cvt_pkrtz_f16_f32 v25, v10, v11
	v_pk_mul_f32 v[20:21], v[52:53], v[36:37] op_sel_hi:[0,1]
	v_mfma_f32_16x16x16_f16 v[36:39], v[18:19], v[6:7], 0
	v_cvt_pkrtz_f16_f32 v10, v32, v33
	v_cvt_pkrtz_f16_f32 v11, v40, v41
	v_cvt_pk_f32_fp8_e32 v[18:19], v13
	v_cvt_pk_f32_fp8_sdwa v[12:13], v13 src0_sel:WORD_1
	v_mfma_f32_16x16x16_f16 v[6:9], v[24:25], v[8:9], v[36:39]
	v_pk_mul_f32 v[40:41], v[52:53], v[44:45] op_sel_hi:[0,1]
	v_cvt_pkrtz_f16_f32 v18, v18, v19
	v_cvt_pkrtz_f16_f32 v19, v12, v13
	v_mfma_f32_16x16x16_f16 v[6:9], v[10:11], v[2:3], v[6:9]
	v_pk_mul_f32 v[36:37], v[52:53], v[46:47] op_sel_hi:[0,1]
	v_pk_mul_f32 v[38:39], v[52:53], v[48:49] op_sel_hi:[0,1]
	;; [unrolled: 1-line block ×3, first 2 shown]
	v_mfma_f32_16x16x16_f16 v[2:5], v[18:19], v[4:5], v[6:9]
	s_nop 6
	v_pk_mul_f32 v[24:25], v[52:53], v[2:3] op_sel_hi:[0,1]
	v_and_b32_e32 v2, 0xc0, v0
	v_add_u32_e32 v2, s5, v2
	v_lshl_or_b32 v2, v42, 2, v2
	v_pk_mul_f32 v[18:19], v[52:53], v[4:5] op_sel_hi:[0,1]
	v_or_b32_e32 v5, 1, v2
	v_mov_b32_e32 v3, 0xff7fffff
	v_cmp_gt_i32_e64 s[4:5], s33, v2
	v_cmp_gt_i32_e64 s[34:35], s33, v5
	v_or_b32_e32 v6, 3, v2
	v_cndmask_b32_e64 v4, v3, v20, s[4:5]
	v_cndmask_b32_e64 v5, v3, v21, s[34:35]
	v_max3_f32 v4, v4, s44, v5
	v_or_b32_e32 v5, 2, v2
	v_cmp_gt_i32_e64 s[36:37], s33, v5
	v_cmp_gt_i32_e64 s[38:39], s33, v6
	s_nop 0
	v_cndmask_b32_e64 v5, v3, v22, s[36:37]
	v_cndmask_b32_e64 v6, v3, v23, s[38:39]
	v_max3_f32 v4, v4, v5, v6
	v_or_b32_e32 v5, 16, v2
	v_or_b32_e32 v6, 17, v2
	v_cmp_gt_i32_e64 s[24:25], s33, v5
	v_cmp_gt_i32_e64 s[26:27], s33, v6
	s_nop 0
	v_cndmask_b32_e64 v5, v3, v40, s[24:25]
	v_cndmask_b32_e64 v6, v3, v41, s[26:27]
	v_max3_f32 v4, v4, v5, v6
	v_or_b32_e32 v5, 18, v2
	;; [unrolled: 8-line block ×6, first 2 shown]
	v_or_b32_e32 v2, 51, v2
	v_cmp_gt_i32_e32 vcc, s33, v5
	v_cmp_gt_i32_e64 s[6:7], s33, v2
	s_nop 0
	v_cndmask_b32_e32 v5, v3, v18, vcc
	v_cndmask_b32_e64 v2, v3, v19, s[6:7]
	v_max3_f32 v4, v4, v5, v2
	v_mbcnt_lo_u32_b32 v2, -1, 0
	v_mbcnt_hi_u32_b32 v5, -1, v2
	v_and_b32_e32 v2, 64, v5
	v_add_u32_e32 v6, 64, v2
	v_xor_b32_e32 v2, 32, v5
	v_cmp_lt_i32_e64 s[40:41], v2, v6
	s_nop 1
	v_cndmask_b32_e64 v2, v5, v2, s[40:41]
	v_lshlrev_b32_e32 v45, 2, v2
	ds_bpermute_b32 v7, v45, v4
	s_waitcnt vmcnt(2)
	v_mad_i64_i32 v[2:3], s[40:41], v16, s45, v[30:31]
	global_load_dwordx4 v[14:17], v[14:15], off
	s_nop 0
	global_load_dwordx4 v[10:13], v[2:3], off
	v_xor_b32_e32 v3, 16, v5
	v_cmp_lt_i32_e64 s[40:41], v3, v6
	s_waitcnt lgkmcnt(0)
	v_max_f32_e32 v2, v7, v7
	v_max_f32_e32 v2, v4, v2
	v_cndmask_b32_e64 v3, v5, v3, s[40:41]
	v_lshlrev_b32_e32 v48, 2, v3
	ds_bpermute_b32 v3, v48, v2
	s_waitcnt vmcnt(3)
	v_mad_i64_i32 v[46:47], s[40:41], v34, s45, v[30:31]
	s_waitcnt vmcnt(2)
	v_mad_i64_i32 v[30:31], s[40:41], v35, s45, v[30:31]
	s_waitcnt lgkmcnt(0)
	v_max_f32_e32 v3, v3, v3
	v_max_f32_e32 v44, v2, v3
	v_sub_f32_e32 v2, v20, v44
	v_mul_f32_e32 v2, 0x3fb8aa3b, v2
	v_exp_f32_e32 v20, v2
	v_sub_f32_e32 v2, v21, v44
	v_mul_f32_e32 v2, 0x3fb8aa3b, v2
	v_exp_f32_e32 v21, v2
	global_load_dwordx4 v[6:9], v[46:47], off
	global_load_dwordx4 v[2:5], v[30:31], off
	v_sub_f32_e32 v22, v22, v44
	v_mul_f32_e32 v22, 0x3fb8aa3b, v22
	v_sub_f32_e32 v23, v23, v44
	v_exp_f32_e32 v22, v22
	v_mul_f32_e32 v23, 0x3fb8aa3b, v23
	v_exp_f32_e32 v23, v23
	v_cndmask_b32_e64 v20, 0, v20, s[4:5]
	v_add_f32_e32 v30, 0, v20
	v_cndmask_b32_e64 v21, 0, v21, s[34:35]
	v_add_f32_e32 v30, v30, v21
	;; [unrolled: 2-line block ×3, first 2 shown]
	v_cndmask_b32_e64 v35, 0, v23, s[38:39]
	v_sub_f32_e32 v23, v40, v44
	v_sub_f32_e32 v30, v41, v44
	v_mul_f32_e32 v23, 0x3fb8aa3b, v23
	v_mul_f32_e32 v30, 0x3fb8aa3b, v30
	v_exp_f32_e32 v23, v23
	v_exp_f32_e32 v30, v30
	v_add_f32_e32 v31, v22, v35
	v_sub_f32_e32 v32, v32, v44
	v_cndmask_b32_e64 v22, 0, v23, s[24:25]
	v_cndmask_b32_e64 v23, 0, v30, s[26:27]
	v_sub_f32_e32 v30, v36, v44
	v_mul_f32_e32 v30, 0x3fb8aa3b, v30
	v_exp_f32_e32 v30, v30
	v_sub_f32_e32 v36, v37, v44
	v_add_f32_e32 v31, v31, v22
	v_mul_f32_e32 v36, 0x3fb8aa3b, v36
	v_exp_f32_e32 v37, v36
	v_add_f32_e32 v31, v31, v23
	v_cndmask_b32_e64 v36, 0, v30, s[20:21]
	v_add_f32_e32 v30, v31, v36
	v_sub_f32_e32 v31, v38, v44
	v_mul_f32_e32 v31, 0x3fb8aa3b, v31
	v_sub_f32_e32 v38, v39, v44
	v_exp_f32_e32 v31, v31
	v_mul_f32_e32 v38, 0x3fb8aa3b, v38
	v_exp_f32_e32 v38, v38
	v_mul_f32_e32 v32, 0x3fb8aa3b, v32
	v_sub_f32_e32 v33, v33, v44
	v_exp_f32_e32 v32, v32
	v_mul_f32_e32 v33, 0x3fb8aa3b, v33
	v_sub_f32_e32 v24, v24, v44
	v_cndmask_b32_e64 v37, 0, v37, s[22:23]
	v_exp_f32_e32 v33, v33
	v_mul_f32_e32 v24, 0x3fb8aa3b, v24
	v_sub_f32_e32 v25, v25, v44
	v_add_f32_e32 v39, v30, v37
	v_cndmask_b32_e64 v30, 0, v31, s[16:17]
	v_exp_f32_e32 v24, v24
	v_mul_f32_e32 v25, 0x3fb8aa3b, v25
	v_sub_f32_e32 v18, v18, v44
	v_add_f32_e32 v39, v39, v30
	;; [unrolled: 5-line block ×3, first 2 shown]
	v_cndmask_b32_e64 v32, 0, v32, s[12:13]
	v_exp_f32_e32 v18, v18
	v_mul_f32_e32 v19, 0x3fb8aa3b, v19
	v_add_f32_e32 v38, v38, v32
	v_cndmask_b32_e64 v33, 0, v33, s[14:15]
	v_exp_f32_e32 v19, v19
	v_add_f32_e32 v38, v38, v33
	v_cndmask_b32_e64 v24, 0, v24, s[8:9]
	v_add_f32_e32 v38, v38, v24
	v_cndmask_b32_e64 v25, 0, v25, s[10:11]
	v_add_f32_e32 v38, v38, v25
	v_cndmask_b32_e32 v18, 0, v18, vcc
	v_add_f32_e32 v38, v38, v18
	v_cndmask_b32_e64 v19, 0, v19, s[6:7]
	v_add_f32_e32 v38, v38, v19
	ds_bpermute_b32 v39, v45, v38
	v_cmp_gt_u32_e32 vcc, 16, v43
	s_waitcnt lgkmcnt(0)
	s_barrier
	v_add_f32_e32 v38, v38, v39
	ds_bpermute_b32 v40, v48, v38
	v_lshlrev_b32_e32 v39, 2, v28
	s_and_saveexec_b64 s[4:5], vcc
	s_cbranch_execz .LBB873_13
; %bb.12:
	s_waitcnt lgkmcnt(0)
	v_add_f32_e32 v38, v38, v40
	v_lshl_or_b32 v40, v29, 6, v39
	ds_write2st64_b32 v40, v44, v38 offset1:1
.LBB873_13:
	s_or_b64 exec, exec, s[4:5]
	s_load_dword s6, s[0:1], 0x94
	s_waitcnt lgkmcnt(0)
	s_barrier
	ds_read2_b32 v[40:41], v39 offset1:16
	ds_read2_b32 v[44:45], v39 offset0:32 offset1:48
	ds_read2_b32 v[46:47], v39 offset0:64 offset1:80
	s_mul_i32 s7, s29, 6
	s_waitcnt lgkmcnt(2)
	v_max3_f32 v38, v40, s44, v41
	s_waitcnt lgkmcnt(1)
	v_max3_f32 v38, v38, v44, v45
	v_sub_f32_e32 v40, v40, v38
	v_mul_f32_e32 v40, 0x3fb8aa3b, v40
	v_exp_f32_e32 v43, v40
	v_sub_f32_e32 v40, v41, v38
	v_mul_f32_e32 v40, 0x3fb8aa3b, v40
	v_exp_f32_e32 v48, v40
	;; [unrolled: 3-line block ×3, first 2 shown]
	ds_read2_b32 v[40:41], v39 offset0:96 offset1:112
	v_sub_f32_e32 v39, v45, v38
	v_mul_f32_e32 v39, 0x3fb8aa3b, v39
	v_exp_f32_e32 v45, v39
	s_waitcnt lgkmcnt(1)
	v_fma_f32 v39, v43, v46, 0
	v_fmac_f32_e32 v39, v48, v47
	s_waitcnt lgkmcnt(0)
	v_fmac_f32_e32 v39, v44, v40
	v_fmac_f32_e32 v39, v45, v41
	v_add_f32_e32 v40, 0x358637bd, v39
	v_div_scale_f32 v41, s[4:5], v40, v40, 1.0
	v_rcp_f32_e32 v46, v41
	s_barrier
	v_fma_f32 v47, -v41, v46, 1.0
	v_fmac_f32_e32 v46, v47, v46
	v_div_scale_f32 v47, vcc, 1.0, v40, 1.0
	v_mul_f32_e32 v49, v47, v46
	v_fma_f32 v50, -v41, v49, v47
	v_fmac_f32_e32 v49, v50, v46
	v_fma_f32 v41, -v41, v49, v47
	v_div_fmas_f32 v41, v41, v46, v49
	v_cmp_eq_u32_e32 vcc, 1, v29
	v_div_fixup_f32 v40, v41, v40, 1.0
	s_nop 0
	v_cndmask_b32_e32 v41, v43, v48, vcc
	v_cmp_eq_u32_e32 vcc, 2, v29
	s_nop 1
	v_cndmask_b32_e32 v41, v41, v44, vcc
	v_cmp_eq_u32_e32 vcc, 3, v29
	s_nop 1
	v_cndmask_b32_e32 v41, v41, v45, vcc
	v_mul_f32_e32 v40, v41, v40
	v_pk_mul_f32 v[34:35], v[40:41], v[34:35] op_sel_hi:[0,1]
	v_pk_mul_f32 v[20:21], v[40:41], v[20:21] op_sel_hi:[0,1]
	v_cvt_f16_f32_e32 v41, v34
	v_cvt_f16_f32_e32 v35, v35
	;; [unrolled: 1-line block ×4, first 2 shown]
	v_cmp_gt_u32_e32 vcc, 6, v0
	v_pack_b32_f16 v35, v41, v35
	v_lshlrev_b32_e32 v41, 3, v42
	v_pack_b32_f16 v34, v20, v21
	v_pk_mul_f32 v[20:21], v[40:41], v[36:37] op_sel_hi:[0,1]
	v_pk_mul_f32 v[22:23], v[40:41], v[22:23] op_sel_hi:[0,1]
	v_cvt_f16_f32_e32 v22, v22
	v_cvt_f16_f32_e32 v23, v23
	;; [unrolled: 1-line block ×4, first 2 shown]
	v_lshlrev_b32_e32 v20, 11, v29
	v_or3_b32 v20, v20, v27, v41
	v_pack_b32_f16 v22, v22, v23
	v_pack_b32_f16 v23, v36, v21
	ds_write2st64_b64 v20, v[34:35], v[22:23] offset1:1
	v_pk_mul_f32 v[22:23], v[40:41], v[32:33] op_sel_hi:[0,1]
	v_pk_mul_f32 v[30:31], v[40:41], v[30:31] op_sel_hi:[0,1]
	v_cvt_f16_f32_e32 v21, v30
	v_cvt_f16_f32_e32 v29, v31
	;; [unrolled: 1-line block ×4, first 2 shown]
	v_pk_mul_f32 v[18:19], v[40:41], v[18:19] op_sel_hi:[0,1]
	v_pk_mul_f32 v[22:23], v[40:41], v[24:25] op_sel_hi:[0,1]
	v_cvt_f16_f32_e32 v22, v22
	v_cvt_f16_f32_e32 v23, v23
	;; [unrolled: 1-line block ×4, first 2 shown]
	v_pack_b32_f16 v18, v21, v29
	v_pack_b32_f16 v19, v30, v31
	;; [unrolled: 1-line block ×4, first 2 shown]
	ds_write2st64_b64 v20, v[18:19], v[22:23] offset0:2 offset1:3
	s_and_saveexec_b64 s[4:5], vcc
	s_cbranch_execz .LBB873_15
; %bb.14:
	s_mov_b32 s49, 0
	v_mov_b32_e32 v29, 0
	v_lshl_add_u64 v[18:19], s[48:49], 0, v[28:29]
	v_mov_b32_e32 v21, s7
	v_mad_u64_u32 v[18:19], s[12:13], s2, v21, v[18:19]
	s_mul_i32 s3, s3, s7
	v_mov_b32_e32 v28, s28
	s_load_dwordx4 s[8:11], s[0:1], 0x58
	v_add_u32_e32 v21, s3, v19
	v_mad_u64_u32 v[18:19], s[12:13], v18, s6, v[28:29]
	v_mov_b32_e32 v22, v19
	v_mad_u64_u32 v[22:23], s[12:13], v21, s6, v[22:23]
	v_mov_b32_e32 v19, v22
	v_lshlrev_b64 v[18:19], 2, v[18:19]
	s_waitcnt lgkmcnt(0)
	v_lshl_add_u64 v[22:23], s[10:11], 0, v[18:19]
	v_lshl_add_u64 v[18:19], s[8:9], 0, v[18:19]
	global_store_dword v[22:23], v38, off
	global_store_dword v[18:19], v39, off
.LBB873_15:
	s_or_b64 exec, exec, s[4:5]
	s_waitcnt vmcnt(3)
	v_cvt_pk_f32_fp8_e32 v[18:19], v14
	v_cvt_pk_f32_fp8_sdwa v[22:23], v14 src0_sel:WORD_1
	v_cvt_pk_f32_fp8_e32 v[24:25], v15
	v_lshl_or_b32 v14, v42, 9, v27
	s_waitcnt lgkmcnt(0)
	s_barrier
	v_cvt_pkrtz_f16_f32 v18, v18, v19
	v_cvt_pkrtz_f16_f32 v19, v22, v23
	v_cvt_pk_f32_fp8_sdwa v[28:29], v15 src0_sel:WORD_1
	v_cvt_pkrtz_f16_f32 v36, v24, v25
	ds_read_b128 v[22:25], v14
	v_cvt_pk_f32_fp8_e32 v[38:39], v16
	v_cvt_pkrtz_f16_f32 v37, v28, v29
	ds_read_b128 v[28:31], v14 offset:16
	v_cvt_pk_f32_fp8_sdwa v[40:41], v16 src0_sel:WORD_1
	s_waitcnt lgkmcnt(1)
	v_mfma_f32_16x16x16_f16 v[32:35], v[18:19], v[22:23], 0
	v_cvt_pkrtz_f16_f32 v18, v38, v39
	v_cvt_pk_f32_fp8_e32 v[38:39], v17
	v_cvt_pkrtz_f16_f32 v19, v40, v41
	v_mfma_f32_16x16x16_f16 v[22:25], v[36:37], v[24:25], v[32:35]
	s_waitcnt vmcnt(2)
	v_cvt_pk_f32_fp8_sdwa v[36:37], v12 src0_sel:WORD_1
	s_load_dword s4, s[42:43], 0x0
	v_cmp_gt_u32_e32 vcc, 64, v0
	v_cvt_pk_f32_fp8_sdwa v[32:33], v17 src0_sel:WORD_1
	v_cvt_pkrtz_f16_f32 v34, v38, v39
	s_waitcnt lgkmcnt(0)
	v_mfma_f32_16x16x16_f16 v[16:19], v[18:19], v[28:29], v[22:25]
	v_cvt_pk_f32_fp8_e32 v[28:29], v11
	v_cvt_pkrtz_f16_f32 v35, v32, v33
	s_mov_b32 s3, 0
	v_cvt_pk_f32_fp8_e32 v[22:23], v10
	v_cvt_pk_f32_fp8_sdwa v[24:25], v10 src0_sel:WORD_1
	v_mfma_f32_16x16x16_f16 v[16:19], v[34:35], v[30:31], v[16:19]
	v_cvt_pkrtz_f16_f32 v10, v22, v23
	v_cvt_pk_f32_fp8_sdwa v[30:31], v11 src0_sel:WORD_1
	v_cvt_pkrtz_f16_f32 v11, v24, v25
	ds_read_b128 v[22:25], v14 offset:2048
	v_cvt_pkrtz_f16_f32 v32, v28, v29
	v_cvt_pkrtz_f16_f32 v33, v30, v31
	ds_read_b128 v[28:31], v14 offset:2064
	v_cvt_pk_f32_fp8_e32 v[34:35], v12
	s_waitcnt lgkmcnt(1)
	v_mfma_f32_16x16x16_f16 v[16:19], v[10:11], v[22:23], v[16:19]
	v_cvt_pkrtz_f16_f32 v11, v36, v37
	v_cvt_pk_f32_fp8_e32 v[22:23], v13
	v_cvt_pkrtz_f16_f32 v10, v34, v35
	v_mfma_f32_16x16x16_f16 v[16:19], v[32:33], v[24:25], v[16:19]
	v_cvt_pk_f32_fp8_sdwa v[24:25], v13 src0_sel:WORD_1
	v_cvt_pkrtz_f16_f32 v22, v22, v23
	s_waitcnt vmcnt(1)
	v_cvt_pk_f32_fp8_sdwa v[32:33], v8 src0_sel:WORD_1
	s_waitcnt lgkmcnt(0)
	v_mfma_f32_16x16x16_f16 v[10:13], v[10:11], v[28:29], v[16:19]
	v_cvt_pkrtz_f16_f32 v23, v24, v25
	v_cvt_pk_f32_fp8_sdwa v[24:25], v7 src0_sel:WORD_1
	v_mov_b32_e32 v27, 0
	v_cvt_pk_f32_fp8_e32 v[16:17], v6
	v_cvt_pk_f32_fp8_sdwa v[18:19], v6 src0_sel:WORD_1
	v_mfma_f32_16x16x16_f16 v[10:13], v[22:23], v[30:31], v[10:13]
	v_cvt_pk_f32_fp8_e32 v[22:23], v7
	v_cvt_pkrtz_f16_f32 v6, v16, v17
	v_cvt_pkrtz_f16_f32 v7, v18, v19
	ds_read_b128 v[16:19], v14 offset:4096
	v_cvt_pkrtz_f16_f32 v28, v22, v23
	v_cvt_pkrtz_f16_f32 v29, v24, v25
	ds_read_b128 v[22:25], v14 offset:4112
	v_cvt_pk_f32_fp8_e32 v[30:31], v8
	s_waitcnt lgkmcnt(1)
	v_mfma_f32_16x16x16_f16 v[10:13], v[6:7], v[16:17], v[10:13]
	v_cvt_pkrtz_f16_f32 v7, v32, v33
	v_cvt_pk_f32_fp8_e32 v[16:17], v9
	v_cvt_pkrtz_f16_f32 v6, v30, v31
	v_mfma_f32_16x16x16_f16 v[10:13], v[28:29], v[18:19], v[10:13]
	v_cvt_pk_f32_fp8_sdwa v[18:19], v9 src0_sel:WORD_1
	v_cvt_pkrtz_f16_f32 v16, v16, v17
	v_cvt_pkrtz_f16_f32 v17, v18, v19
	s_waitcnt lgkmcnt(0)
	v_mfma_f32_16x16x16_f16 v[6:9], v[6:7], v[22:23], v[10:13]
	s_waitcnt vmcnt(0)
	v_cvt_pk_f32_fp8_sdwa v[18:19], v3 src0_sel:WORD_1
	s_nop 0
	v_cvt_pkrtz_f16_f32 v23, v18, v19
	v_cvt_pk_f32_fp8_e32 v[10:11], v2
	v_cvt_pk_f32_fp8_sdwa v[12:13], v2 src0_sel:WORD_1
	v_mfma_f32_16x16x16_f16 v[6:9], v[16:17], v[24:25], v[6:9]
	v_cvt_pk_f32_fp8_e32 v[16:17], v3
	v_cvt_pkrtz_f16_f32 v2, v10, v11
	v_cvt_pkrtz_f16_f32 v3, v12, v13
	ds_read_b128 v[10:13], v14 offset:6144
	v_cvt_pkrtz_f16_f32 v22, v16, v17
	v_cvt_pk_f32_fp8_e32 v[18:19], v4
	v_cvt_pk_f32_fp8_sdwa v[24:25], v4 src0_sel:WORD_1
	s_waitcnt lgkmcnt(0)
	v_mfma_f32_16x16x16_f16 v[6:9], v[2:3], v[10:11], v[6:9]
	ds_read_b128 v[14:17], v14 offset:6160
	v_cvt_pkrtz_f16_f32 v2, v18, v19
	v_cvt_pkrtz_f16_f32 v3, v24, v25
	v_cvt_pk_f32_fp8_e32 v[10:11], v5
	v_mfma_f32_16x16x16_f16 v[6:9], v[22:23], v[12:13], v[6:9]
	v_cvt_pk_f32_fp8_sdwa v[12:13], v5 src0_sel:WORD_1
	s_waitcnt lgkmcnt(0)
	v_cvt_pkrtz_f16_f32 v10, v10, v11
	v_mfma_f32_16x16x16_f16 v[2:5], v[2:3], v[14:15], v[6:9]
	v_cvt_pkrtz_f16_f32 v11, v12, v13
	s_barrier
	s_nop 0
	v_mfma_f32_16x16x16_f16 v[2:5], v[10:11], v[16:17], v[2:5]
	s_nop 6
	v_pk_mul_f32 v[4:5], v[4:5], s[4:5] op_sel_hi:[1,0]
	v_pk_mul_f32 v[2:3], v[2:3], s[4:5] op_sel_hi:[1,0]
	v_cvt_f16_f32_e32 v4, v4
	v_cvt_f16_f32_e32 v2, v2
	;; [unrolled: 1-line block ×4, first 2 shown]
	s_and_b64 s[4:5], vcc, s[30:31]
	v_pack_b32_f16 v2, v2, v3
	v_pack_b32_f16 v3, v4, v5
	ds_write_b64 v20, v[2:3]
	s_waitcnt lgkmcnt(0)
	s_barrier
	s_and_saveexec_b64 s[8:9], s[4:5]
	s_cbranch_execz .LBB873_18
; %bb.16:
	s_load_dwordx2 s[4:5], s[0:1], 0x68
	s_lshl_b32 s0, s6, 6
	s_mul_i32 s1, s7, s2
	s_mul_hi_u32 s7, s1, s0
	s_mul_i32 s6, s1, s0
	v_lshlrev_b32_e32 v0, 10, v0
	s_lshl_b64 s[6:7], s[6:7], 1
	v_and_b32_e32 v0, 0x1800, v0
	v_lshlrev_b32_e32 v3, 5, v42
	v_and_b32_e32 v1, 16, v1
	s_waitcnt lgkmcnt(0)
	s_add_u32 s1, s4, s6
	v_or3_b32 v3, v0, v3, v1
	s_addc_u32 s4, s5, s7
	s_lshl_b32 s2, s28, 6
	s_lshl_b64 s[2:3], s[2:3], 1
	ds_read_b128 v[4:7], v3
	s_add_u32 s2, s1, s2
	s_addc_u32 s3, s4, s3
	v_add_u32_e32 v8, s48, v42
	v_or_b32_e32 v2, 4, v42
	v_lshl_add_u64 v[0:1], s[2:3], 0, v[26:27]
	v_mad_u64_u32 v[8:9], s[2:3], v8, s0, 0
	v_lshl_add_u64 v[8:9], v[8:9], 1, v[0:1]
	v_cmp_gt_u32_e32 vcc, 6, v2
	s_waitcnt lgkmcnt(0)
	global_store_dwordx4 v[8:9], v[4:7], off
	s_and_b64 exec, exec, vcc
	s_cbranch_execz .LBB873_18
; %bb.17:
	ds_read_b128 v[4:7], v3 offset:128
	v_add_u32_e32 v2, s48, v2
	v_mad_u64_u32 v[2:3], s[0:1], v2, s0, 0
	v_lshl_add_u64 v[0:1], v[2:3], 1, v[0:1]
	s_waitcnt lgkmcnt(0)
	global_store_dwordx4 v[0:1], v[4:7], off
.LBB873_18:
	s_endpgm
	.section	.rodata,"a",@progbits
	.p2align	6, 0x0
	.amdhsa_kernel _Z39paged_attention_ll4mi_QKV_mfma16_kernelIDF16_hLN4vllm18Fp8KVCacheDataTypeE1EhLi32ELi64ELi256ELb0ELi6EEvPKT_PKT0_S7_ifPKiS9_S9_iPKfiiiPfSC_PS2_PT2_iSB_SB_
		.amdhsa_group_segment_fixed_size 8192
		.amdhsa_private_segment_fixed_size 0
		.amdhsa_kernarg_size 400
		.amdhsa_user_sgpr_count 2
		.amdhsa_user_sgpr_dispatch_ptr 0
		.amdhsa_user_sgpr_queue_ptr 0
		.amdhsa_user_sgpr_kernarg_segment_ptr 1
		.amdhsa_user_sgpr_dispatch_id 0
		.amdhsa_user_sgpr_kernarg_preload_length 0
		.amdhsa_user_sgpr_kernarg_preload_offset 0
		.amdhsa_user_sgpr_private_segment_size 0
		.amdhsa_uses_dynamic_stack 0
		.amdhsa_enable_private_segment 0
		.amdhsa_system_sgpr_workgroup_id_x 1
		.amdhsa_system_sgpr_workgroup_id_y 1
		.amdhsa_system_sgpr_workgroup_id_z 1
		.amdhsa_system_sgpr_workgroup_info 0
		.amdhsa_system_vgpr_workitem_id 0
		.amdhsa_next_free_vgpr 54
		.amdhsa_next_free_sgpr 50
		.amdhsa_accum_offset 56
		.amdhsa_reserve_vcc 1
		.amdhsa_float_round_mode_32 0
		.amdhsa_float_round_mode_16_64 0
		.amdhsa_float_denorm_mode_32 3
		.amdhsa_float_denorm_mode_16_64 3
		.amdhsa_dx10_clamp 1
		.amdhsa_ieee_mode 1
		.amdhsa_fp16_overflow 0
		.amdhsa_tg_split 0
		.amdhsa_exception_fp_ieee_invalid_op 0
		.amdhsa_exception_fp_denorm_src 0
		.amdhsa_exception_fp_ieee_div_zero 0
		.amdhsa_exception_fp_ieee_overflow 0
		.amdhsa_exception_fp_ieee_underflow 0
		.amdhsa_exception_fp_ieee_inexact 0
		.amdhsa_exception_int_div_zero 0
	.end_amdhsa_kernel
	.section	.text._Z39paged_attention_ll4mi_QKV_mfma16_kernelIDF16_hLN4vllm18Fp8KVCacheDataTypeE1EhLi32ELi64ELi256ELb0ELi6EEvPKT_PKT0_S7_ifPKiS9_S9_iPKfiiiPfSC_PS2_PT2_iSB_SB_,"axG",@progbits,_Z39paged_attention_ll4mi_QKV_mfma16_kernelIDF16_hLN4vllm18Fp8KVCacheDataTypeE1EhLi32ELi64ELi256ELb0ELi6EEvPKT_PKT0_S7_ifPKiS9_S9_iPKfiiiPfSC_PS2_PT2_iSB_SB_,comdat
.Lfunc_end873:
	.size	_Z39paged_attention_ll4mi_QKV_mfma16_kernelIDF16_hLN4vllm18Fp8KVCacheDataTypeE1EhLi32ELi64ELi256ELb0ELi6EEvPKT_PKT0_S7_ifPKiS9_S9_iPKfiiiPfSC_PS2_PT2_iSB_SB_, .Lfunc_end873-_Z39paged_attention_ll4mi_QKV_mfma16_kernelIDF16_hLN4vllm18Fp8KVCacheDataTypeE1EhLi32ELi64ELi256ELb0ELi6EEvPKT_PKT0_S7_ifPKiS9_S9_iPKfiiiPfSC_PS2_PT2_iSB_SB_
                                        ; -- End function
	.section	.AMDGPU.csdata,"",@progbits
; Kernel info:
; codeLenInByte = 4680
; NumSgprs: 56
; NumVgprs: 54
; NumAgprs: 0
; TotalNumVgprs: 54
; ScratchSize: 0
; MemoryBound: 0
; FloatMode: 240
; IeeeMode: 1
; LDSByteSize: 8192 bytes/workgroup (compile time only)
; SGPRBlocks: 6
; VGPRBlocks: 6
; NumSGPRsForWavesPerEU: 56
; NumVGPRsForWavesPerEU: 54
; AccumOffset: 56
; Occupancy: 8
; WaveLimiterHint : 1
; COMPUTE_PGM_RSRC2:SCRATCH_EN: 0
; COMPUTE_PGM_RSRC2:USER_SGPR: 2
; COMPUTE_PGM_RSRC2:TRAP_HANDLER: 0
; COMPUTE_PGM_RSRC2:TGID_X_EN: 1
; COMPUTE_PGM_RSRC2:TGID_Y_EN: 1
; COMPUTE_PGM_RSRC2:TGID_Z_EN: 1
; COMPUTE_PGM_RSRC2:TIDIG_COMP_CNT: 0
; COMPUTE_PGM_RSRC3_GFX90A:ACCUM_OFFSET: 13
; COMPUTE_PGM_RSRC3_GFX90A:TG_SPLIT: 0
	.section	.text._Z39paged_attention_ll4mi_QKV_mfma16_kernelIDF16_hLN4vllm18Fp8KVCacheDataTypeE1EhLi32ELi64ELi256ELb0ELi7EEvPKT_PKT0_S7_ifPKiS9_S9_iPKfiiiPfSC_PS2_PT2_iSB_SB_,"axG",@progbits,_Z39paged_attention_ll4mi_QKV_mfma16_kernelIDF16_hLN4vllm18Fp8KVCacheDataTypeE1EhLi32ELi64ELi256ELb0ELi7EEvPKT_PKT0_S7_ifPKiS9_S9_iPKfiiiPfSC_PS2_PT2_iSB_SB_,comdat
	.protected	_Z39paged_attention_ll4mi_QKV_mfma16_kernelIDF16_hLN4vllm18Fp8KVCacheDataTypeE1EhLi32ELi64ELi256ELb0ELi7EEvPKT_PKT0_S7_ifPKiS9_S9_iPKfiiiPfSC_PS2_PT2_iSB_SB_ ; -- Begin function _Z39paged_attention_ll4mi_QKV_mfma16_kernelIDF16_hLN4vllm18Fp8KVCacheDataTypeE1EhLi32ELi64ELi256ELb0ELi7EEvPKT_PKT0_S7_ifPKiS9_S9_iPKfiiiPfSC_PS2_PT2_iSB_SB_
	.globl	_Z39paged_attention_ll4mi_QKV_mfma16_kernelIDF16_hLN4vllm18Fp8KVCacheDataTypeE1EhLi32ELi64ELi256ELb0ELi7EEvPKT_PKT0_S7_ifPKiS9_S9_iPKfiiiPfSC_PS2_PT2_iSB_SB_
	.p2align	8
	.type	_Z39paged_attention_ll4mi_QKV_mfma16_kernelIDF16_hLN4vllm18Fp8KVCacheDataTypeE1EhLi32ELi64ELi256ELb0ELi7EEvPKT_PKT0_S7_ifPKiS9_S9_iPKfiiiPfSC_PS2_PT2_iSB_SB_,@function
_Z39paged_attention_ll4mi_QKV_mfma16_kernelIDF16_hLN4vllm18Fp8KVCacheDataTypeE1EhLi32ELi64ELi256ELb0ELi7EEvPKT_PKT0_S7_ifPKiS9_S9_iPKfiiiPfSC_PS2_PT2_iSB_SB_: ; @_Z39paged_attention_ll4mi_QKV_mfma16_kernelIDF16_hLN4vllm18Fp8KVCacheDataTypeE1EhLi32ELi64ELi256ELb0ELi7EEvPKT_PKT0_S7_ifPKiS9_S9_iPKfiiiPfSC_PS2_PT2_iSB_SB_
; %bb.0:
	s_load_dwordx2 s[12:13], s[0:1], 0x30
	s_mov_b32 s28, s3
	s_mov_b64 s[6:7], 0
	s_waitcnt lgkmcnt(0)
	s_cmp_lg_u64 s[12:13], 0
	s_cselect_b64 s[14:15], -1, 0
	s_and_b64 vcc, exec, s[14:15]
	s_cbranch_vccz .LBB874_7
; %bb.1:
	s_add_i32 s8, s2, 1
	s_mov_b32 s9, 0
	s_lshl_b64 s[10:11], s[8:9], 2
	s_add_u32 s10, s12, s10
	s_mov_b32 s3, s9
	s_addc_u32 s11, s13, s11
	s_lshl_b64 s[8:9], s[2:3], 2
	s_add_u32 s8, s12, s8
	s_addc_u32 s9, s13, s9
	s_load_dword s5, s[10:11], 0x0
	s_load_dword s16, s[8:9], 0x0
	s_waitcnt lgkmcnt(0)
	s_sub_i32 s5, s5, s16
	s_cmp_eq_u32 s5, 1
	s_cselect_b64 s[8:9], -1, 0
	s_andn2_b64 vcc, exec, s[6:7]
	s_cbranch_vccnz .LBB874_3
.LBB874_2:
	s_mov_b32 s3, 0
	s_mov_b64 s[8:9], -1
.LBB874_3:
	s_andn2_b64 vcc, exec, s[8:9]
	s_cbranch_vccnz .LBB874_18
; %bb.4:
	s_load_dwordx2 s[6:7], s[0:1], 0x28
	s_lshl_b64 s[16:17], s[2:3], 2
	s_waitcnt lgkmcnt(0)
	s_add_u32 s6, s6, s16
	s_addc_u32 s7, s7, s17
	s_load_dword s33, s[6:7], 0x0
	s_lshl_b32 s5, s28, 8
	s_waitcnt lgkmcnt(0)
	s_cmp_ge_i32 s5, s33
	s_cbranch_scc1 .LBB874_18
; %bb.5:
	s_add_i32 s9, s33, 31
	s_load_dwordx2 s[6:7], s[0:1], 0x20
	s_load_dword s8, s[0:1], 0x38
	s_ashr_i32 s10, s9, 31
	v_and_b32_e32 v1, 0xcf, v0
	s_lshr_b32 s10, s10, 27
	v_add_u32_e32 v1, s5, v1
	s_add_i32 s9, s9, s10
	v_ashrrev_i32_e32 v2, 31, v1
	s_ashr_i32 s18, s9, 5
	v_lshrrev_b32_e32 v6, 27, v2
	s_add_i32 s18, s18, -1
	v_add_u32_e32 v2, v1, v6
	v_or_b32_e32 v4, 16, v1
	s_waitcnt lgkmcnt(0)
	s_mul_i32 s8, s2, s8
	s_mov_b32 s9, 0
	v_ashrrev_i32_e32 v2, 5, v2
	v_mov_b32_e32 v7, s18
	v_cmp_gt_i32_e32 vcc, s33, v1
	v_add_u32_e32 v5, v4, v6
	s_lshl_b64 s[8:9], s[8:9], 2
	v_cndmask_b32_e32 v2, v7, v2, vcc
	v_ashrrev_i32_e32 v5, 5, v5
	v_cmp_gt_i32_e32 vcc, s33, v4
	s_add_u32 s6, s6, s8
	s_addc_u32 s7, s7, s9
	v_cndmask_b32_e32 v4, v7, v5, vcc
	v_ashrrev_i32_e32 v5, 31, v4
	v_lshl_add_u64 v[10:11], v[4:5], 2, s[6:7]
	v_or_b32_e32 v4, 32, v1
	v_add_u32_e32 v5, v4, v6
	v_ashrrev_i32_e32 v5, 5, v5
	v_cmp_gt_i32_e32 vcc, s33, v4
	v_or_b32_e32 v1, 48, v1
	v_ashrrev_i32_e32 v3, 31, v2
	v_cndmask_b32_e32 v4, v7, v5, vcc
	v_ashrrev_i32_e32 v5, 31, v4
	v_lshl_add_u64 v[12:13], v[4:5], 2, s[6:7]
	v_add_u32_e32 v4, v1, v6
	v_ashrrev_i32_e32 v4, 5, v4
	v_cmp_gt_i32_e32 vcc, s33, v1
	v_lshl_add_u64 v[2:3], v[2:3], 2, s[6:7]
	s_load_dwordx4 s[8:11], s[0:1], 0x8
	v_cndmask_b32_e32 v4, v7, v4, vcc
	v_ashrrev_i32_e32 v5, 31, v4
	v_lshl_add_u64 v[14:15], v[4:5], 2, s[6:7]
	global_load_dword v4, v[2:3], off
	global_load_dword v8, v[10:11], off
	;; [unrolled: 1-line block ×4, first 2 shown]
	s_andn2_b64 vcc, exec, s[14:15]
	s_cbranch_vccnz .LBB874_8
; %bb.6:
	s_add_u32 s12, s12, s16
	s_addc_u32 s13, s13, s17
	s_load_dword s14, s[12:13], 0x0
	s_branch .LBB874_9
.LBB874_7:
	s_mov_b64 s[8:9], 0
	s_branch .LBB874_2
.LBB874_8:
	s_mov_b32 s14, s2
.LBB874_9:
	s_load_dwordx4 s[44:47], s[0:1], 0x48
	v_lshrrev_b32_e32 v29, 6, v0
	v_bfe_u32 v42, v0, 4, 2
	v_lshl_or_b32 v2, v29, 2, v42
	v_and_b32_e32 v28, 15, v0
	v_lshlrev_b32_e32 v1, 3, v28
	v_cmp_gt_u32_e32 vcc, 7, v2
	v_cmp_gt_u32_e64 s[30:31], 8, v28
	v_and_b32_e32 v43, 63, v0
	s_mul_i32 s48, s4, 7
	s_and_b64 s[16:17], s[30:31], vcc
	v_lshlrev_b32_e32 v26, 1, v1
	v_lshlrev_b32_e32 v1, 4, v0
	s_and_saveexec_b64 s[12:13], s[16:17]
	s_cbranch_execz .LBB874_11
; %bb.10:
	s_load_dwordx2 s[16:17], s[0:1], 0x0
	s_waitcnt lgkmcnt(0)
	s_ashr_i32 s15, s44, 31
	s_mul_hi_u32 s19, s14, s44
	s_mul_i32 s15, s14, s15
	s_add_i32 s15, s19, s15
	s_mul_i32 s14, s14, s44
	s_lshl_b64 s[14:15], s[14:15], 1
	s_add_u32 s14, s16, s14
	v_add_lshl_u32 v10, v2, s48, 6
	s_addc_u32 s15, s17, s15
	v_ashrrev_i32_e32 v11, 31, v10
	v_lshl_add_u64 v[10:11], v[10:11], 1, s[14:15]
	v_mov_b32_e32 v27, 0
	v_lshl_add_u64 v[10:11], v[10:11], 0, v[26:27]
	global_load_dwordx4 v[10:13], v[10:11], off
	v_lshlrev_b32_e32 v5, 8, v28
	v_lshlrev_b32_e32 v2, 5, v2
	v_and_b32_e32 v3, 16, v1
	v_and_b32_e32 v5, 0xe00, v5
	v_or3_b32 v2, v5, v2, v3
	s_waitcnt vmcnt(0)
	ds_write_b128 v2, v[10:13]
.LBB874_11:
	s_or_b64 exec, exec, s[12:13]
	s_waitcnt lgkmcnt(0)
	s_mul_i32 s4, s4, s46
	s_add_u32 s8, s8, s4
	s_addc_u32 s9, s9, 0
	v_mov_b32_e32 v31, 0
	v_mov_b64_e32 v[2:3], s[8:9]
	v_and_b32_e32 v12, 48, v0
	s_waitcnt vmcnt(3)
	v_mad_i64_i32 v[10:11], s[8:9], v4, s45, v[2:3]
	v_lshlrev_b32_e32 v4, 4, v28
	v_mov_b32_e32 v5, v31
	v_lshlrev_b32_e32 v30, 5, v12
	v_lshl_add_u64 v[10:11], v[10:11], 0, v[4:5]
	v_lshl_add_u64 v[10:11], v[10:11], 0, v[30:31]
	s_load_dword s29, s[0:1], 0x98
	s_load_dwordx4 s[40:43], s[0:1], 0x80
	s_waitcnt lgkmcnt(0)
	s_barrier
	global_load_dwordx4 v[14:17], v[10:11], off
	s_waitcnt vmcnt(3)
	v_mad_i64_i32 v[8:9], s[8:9], v8, s45, v[2:3]
	s_ashr_i32 s8, s5, 31
	v_or_b32_e32 v12, s5, v12
	s_lshr_b32 s12, s8, 27
	v_add_u32_e32 v10, s12, v12
	v_ashrrev_i32_e32 v10, 5, v10
	v_mov_b32_e32 v33, s18
	v_cmp_gt_i32_e32 vcc, s33, v12
	v_mov_b32_e32 v13, 5
	v_or_b32_e32 v32, 64, v12
	v_cndmask_b32_e32 v10, v33, v10, vcc
	v_ashrrev_i32_e32 v11, 31, v10
	v_lshl_add_u64 v[10:11], v[10:11], 2, s[6:7]
	global_load_dword v50, v[10:11], off
	v_or_b32_e32 v10, 0x100, v4
	v_mov_b32_e32 v11, v31
	v_lshl_add_u64 v[8:9], v[8:9], 0, v[10:11]
	v_lshl_add_u64 v[8:9], v[8:9], 0, v[30:31]
	global_load_dwordx4 v[18:21], v[8:9], off
	v_mul_lo_u16_e32 v8, 37, v28
	v_mov_b32_e32 v9, 7
	v_mul_lo_u16_sdwa v8, v8, v9 dst_sel:DWORD dst_unused:UNUSED_PAD src0_sel:BYTE_1 src1_sel:DWORD
	v_sub_u16_e32 v8, v28, v8
	v_or_b32_e32 v34, 0x80, v12
	v_or_b32_e32 v35, 0xc0, v12
	v_lshlrev_b32_sdwa v12, v13, v8 dst_sel:DWORD dst_unused:UNUSED_PAD src0_sel:DWORD src1_sel:BYTE_0
	s_waitcnt vmcnt(4)
	v_mad_i64_i32 v[8:9], s[8:9], v7, s45, v[2:3]
	v_lshl_add_u64 v[4:5], v[8:9], 0, v[4:5]
	v_lshl_add_u64 v[4:5], v[4:5], 0, v[30:31]
	global_load_dwordx4 v[22:25], v[4:5], off
	v_lshl_add_u32 v4, v42, 9, v12
	s_waitcnt vmcnt(4)
	v_mad_i64_i32 v[12:13], s[8:9], v6, s45, v[2:3]
	v_add_u32_e32 v36, s12, v32
	v_add_u32_e32 v37, s12, v34
	v_lshl_add_u64 v[10:11], v[12:13], 0, v[10:11]
	v_ashrrev_i32_e32 v12, 5, v36
	v_cmp_gt_i32_e32 vcc, s33, v32
	v_ashrrev_i32_e32 v13, 5, v37
	v_lshl_add_u64 v[10:11], v[10:11], 0, v[30:31]
	v_cndmask_b32_e32 v32, v33, v12, vcc
	v_cmp_gt_i32_e32 vcc, s33, v34
	ds_read_b128 v[6:9], v4
	ds_read_b128 v[2:5], v4 offset:16
	v_cndmask_b32_e32 v34, v33, v13, vcc
	global_load_dwordx4 v[10:13], v[10:11], off
	v_add_u32_e32 v38, s12, v35
	s_add_u32 s8, s10, s4
	v_ashrrev_i32_e32 v36, 5, v38
	v_cmp_gt_i32_e32 vcc, s33, v35
	v_lshlrev_b32_e32 v27, 5, v28
	s_addc_u32 s9, s11, 0
	v_cndmask_b32_e32 v36, v33, v36, vcc
	v_and_b32_e32 v30, 16, v0
	v_ashrrev_i32_e32 v37, 31, v36
	v_lshl_add_u64 v[38:39], s[8:9], 0, v[30:31]
	v_lshl_or_b32 v30, v29, 9, v27
	v_lshl_add_u64 v[40:41], v[36:37], 2, s[6:7]
	v_lshl_add_u64 v[30:31], v[38:39], 0, v[30:31]
	v_ashrrev_i32_e32 v33, 31, v32
	v_ashrrev_i32_e32 v35, 31, v34
	v_lshl_add_u64 v[32:33], v[32:33], 2, s[6:7]
	v_lshl_add_u64 v[34:35], v[34:35], 2, s[6:7]
	s_load_dword s13, s[0:1], 0x1c
	s_mov_b32 s44, 0xff7fffff
	s_waitcnt vmcnt(4)
	v_cvt_pk_f32_fp8_e32 v[36:37], v14
	v_cvt_pk_f32_fp8_sdwa v[38:39], v14 src0_sel:WORD_1
	v_cvt_pk_f32_fp8_e32 v[44:45], v15
	v_cvt_pk_f32_fp8_sdwa v[14:15], v15 src0_sel:WORD_1
	v_cvt_pkrtz_f16_f32 v36, v36, v37
	v_cvt_pkrtz_f16_f32 v37, v38, v39
	;; [unrolled: 1-line block ×4, first 2 shown]
	v_cvt_pk_f32_fp8_e32 v[46:47], v16
	v_cvt_pk_f32_fp8_sdwa v[48:49], v16 src0_sel:WORD_1
	s_waitcnt lgkmcnt(0)
	v_mfma_f32_16x16x16_f16 v[36:39], v[36:37], v[6:7], 0
	global_load_dword v16, v[32:33], off
	s_nop 0
	global_load_dword v34, v[34:35], off
	s_nop 0
	global_load_dword v35, v[40:41], off
	v_cvt_pkrtz_f16_f32 v32, v46, v47
	v_cvt_pkrtz_f16_f32 v33, v48, v49
	v_mfma_f32_16x16x16_f16 v[36:39], v[44:45], v[8:9], v[36:39]
	v_cvt_pk_f32_fp8_e32 v[40:41], v17
	v_cvt_pk_f32_fp8_sdwa v[44:45], v17 src0_sel:WORD_1
	s_waitcnt vmcnt(6)
	v_mad_i64_i32 v[14:15], s[6:7], v50, s45, v[30:31]
	v_cvt_pkrtz_f16_f32 v40, v40, v41
	v_cvt_pkrtz_f16_f32 v41, v44, v45
	v_mfma_f32_16x16x16_f16 v[36:39], v[32:33], v[2:3], v[36:39]
	s_waitcnt vmcnt(5)
	v_cvt_pk_f32_fp8_e32 v[32:33], v18
	v_cvt_pk_f32_fp8_sdwa v[44:45], v18 src0_sel:WORD_1
	v_cvt_pk_f32_fp8_e32 v[48:49], v20
	v_mfma_f32_16x16x16_f16 v[36:39], v[40:41], v[4:5], v[36:39]
	v_cvt_pk_f32_fp8_e32 v[40:41], v19
	v_cvt_pkrtz_f16_f32 v32, v32, v33
	v_cvt_pkrtz_f16_f32 v33, v44, v45
	v_cvt_pk_f32_fp8_sdwa v[18:19], v19 src0_sel:WORD_1
	v_cvt_pkrtz_f16_f32 v40, v40, v41
	v_cvt_pk_f32_fp8_sdwa v[50:51], v20 src0_sel:WORD_1
	v_mfma_f32_16x16x16_f16 v[44:47], v[32:33], v[6:7], 0
	v_cvt_pkrtz_f16_f32 v41, v18, v19
	v_cvt_pkrtz_f16_f32 v32, v48, v49
	;; [unrolled: 1-line block ×3, first 2 shown]
	v_cvt_pk_f32_fp8_e32 v[48:49], v21
	v_cvt_pk_f32_fp8_sdwa v[50:51], v21 src0_sel:WORD_1
	v_mfma_f32_16x16x16_f16 v[18:21], v[40:41], v[8:9], v[44:47]
	s_load_dword s4, s[40:41], 0x0
	v_cvt_pkrtz_f16_f32 v40, v48, v49
	v_cvt_pkrtz_f16_f32 v41, v50, v51
	v_mfma_f32_16x16x16_f16 v[18:21], v[32:33], v[2:3], v[18:21]
	s_waitcnt vmcnt(4)
	v_cvt_pk_f32_fp8_e32 v[32:33], v22
	v_cvt_pk_f32_fp8_sdwa v[48:49], v22 src0_sel:WORD_1
	v_mov_b32_e32 v17, s13
	v_mfma_f32_16x16x16_f16 v[44:47], v[40:41], v[4:5], v[18:21]
	v_cvt_pk_f32_fp8_e32 v[40:41], v24
	s_waitcnt lgkmcnt(0)
	v_mul_f32_e32 v52, s4, v17
	v_cvt_pkrtz_f16_f32 v40, v40, v41
	v_cvt_pk_f32_fp8_e32 v[18:19], v23
	v_cvt_pkrtz_f16_f32 v20, v32, v33
	v_cvt_pkrtz_f16_f32 v21, v48, v49
	v_cvt_pk_f32_fp8_sdwa v[22:23], v23 src0_sel:WORD_1
	v_cvt_pkrtz_f16_f32 v32, v18, v19
	v_cvt_pk_f32_fp8_sdwa v[48:49], v24 src0_sel:WORD_1
	v_mfma_f32_16x16x16_f16 v[18:21], v[20:21], v[6:7], 0
	v_cvt_pkrtz_f16_f32 v33, v22, v23
	v_cvt_pkrtz_f16_f32 v41, v48, v49
	v_cvt_pk_f32_fp8_e32 v[48:49], v25
	v_cvt_pk_f32_fp8_sdwa v[24:25], v25 src0_sel:WORD_1
	v_mfma_f32_16x16x16_f16 v[18:21], v[32:33], v[8:9], v[18:21]
	v_cvt_pkrtz_f16_f32 v32, v48, v49
	v_cvt_pkrtz_f16_f32 v33, v24, v25
	v_pk_mul_f32 v[22:23], v[52:53], v[38:39] op_sel_hi:[0,1]
	v_mfma_f32_16x16x16_f16 v[38:41], v[40:41], v[2:3], v[18:21]
	s_waitcnt vmcnt(3)
	v_cvt_pk_f32_fp8_sdwa v[24:25], v10 src0_sel:WORD_1
	s_nop 0
	v_cvt_pk_f32_fp8_e32 v[18:19], v10
	v_mfma_f32_16x16x16_f16 v[48:51], v[32:33], v[4:5], v[38:41]
	v_cvt_pk_f32_fp8_e32 v[32:33], v11
	v_cvt_pk_f32_fp8_sdwa v[10:11], v11 src0_sel:WORD_1
	v_cvt_pkrtz_f16_f32 v18, v18, v19
	v_cvt_pkrtz_f16_f32 v19, v24, v25
	;; [unrolled: 1-line block ×3, first 2 shown]
	v_cvt_pk_f32_fp8_e32 v[32:33], v12
	v_cvt_pk_f32_fp8_sdwa v[40:41], v12 src0_sel:WORD_1
	v_cvt_pkrtz_f16_f32 v25, v10, v11
	v_pk_mul_f32 v[20:21], v[52:53], v[36:37] op_sel_hi:[0,1]
	v_mfma_f32_16x16x16_f16 v[36:39], v[18:19], v[6:7], 0
	v_cvt_pkrtz_f16_f32 v10, v32, v33
	v_cvt_pkrtz_f16_f32 v11, v40, v41
	v_cvt_pk_f32_fp8_e32 v[18:19], v13
	v_cvt_pk_f32_fp8_sdwa v[12:13], v13 src0_sel:WORD_1
	v_mfma_f32_16x16x16_f16 v[6:9], v[24:25], v[8:9], v[36:39]
	v_pk_mul_f32 v[40:41], v[52:53], v[44:45] op_sel_hi:[0,1]
	v_cvt_pkrtz_f16_f32 v18, v18, v19
	v_cvt_pkrtz_f16_f32 v19, v12, v13
	v_mfma_f32_16x16x16_f16 v[6:9], v[10:11], v[2:3], v[6:9]
	v_pk_mul_f32 v[36:37], v[52:53], v[46:47] op_sel_hi:[0,1]
	v_pk_mul_f32 v[38:39], v[52:53], v[48:49] op_sel_hi:[0,1]
	;; [unrolled: 1-line block ×3, first 2 shown]
	v_mfma_f32_16x16x16_f16 v[2:5], v[18:19], v[4:5], v[6:9]
	s_nop 6
	v_pk_mul_f32 v[24:25], v[52:53], v[2:3] op_sel_hi:[0,1]
	v_and_b32_e32 v2, 0xc0, v0
	v_add_u32_e32 v2, s5, v2
	v_lshl_or_b32 v2, v42, 2, v2
	v_pk_mul_f32 v[18:19], v[52:53], v[4:5] op_sel_hi:[0,1]
	v_or_b32_e32 v5, 1, v2
	v_mov_b32_e32 v3, 0xff7fffff
	v_cmp_gt_i32_e64 s[4:5], s33, v2
	v_cmp_gt_i32_e64 s[34:35], s33, v5
	v_or_b32_e32 v6, 3, v2
	v_cndmask_b32_e64 v4, v3, v20, s[4:5]
	v_cndmask_b32_e64 v5, v3, v21, s[34:35]
	v_max3_f32 v4, v4, s44, v5
	v_or_b32_e32 v5, 2, v2
	v_cmp_gt_i32_e64 s[36:37], s33, v5
	v_cmp_gt_i32_e64 s[38:39], s33, v6
	s_nop 0
	v_cndmask_b32_e64 v5, v3, v22, s[36:37]
	v_cndmask_b32_e64 v6, v3, v23, s[38:39]
	v_max3_f32 v4, v4, v5, v6
	v_or_b32_e32 v5, 16, v2
	v_or_b32_e32 v6, 17, v2
	v_cmp_gt_i32_e64 s[24:25], s33, v5
	v_cmp_gt_i32_e64 s[26:27], s33, v6
	s_nop 0
	v_cndmask_b32_e64 v5, v3, v40, s[24:25]
	v_cndmask_b32_e64 v6, v3, v41, s[26:27]
	v_max3_f32 v4, v4, v5, v6
	v_or_b32_e32 v5, 18, v2
	;; [unrolled: 8-line block ×6, first 2 shown]
	v_or_b32_e32 v2, 51, v2
	v_cmp_gt_i32_e32 vcc, s33, v5
	v_cmp_gt_i32_e64 s[6:7], s33, v2
	s_nop 0
	v_cndmask_b32_e32 v5, v3, v18, vcc
	v_cndmask_b32_e64 v2, v3, v19, s[6:7]
	v_max3_f32 v4, v4, v5, v2
	v_mbcnt_lo_u32_b32 v2, -1, 0
	v_mbcnt_hi_u32_b32 v5, -1, v2
	v_and_b32_e32 v2, 64, v5
	v_add_u32_e32 v6, 64, v2
	v_xor_b32_e32 v2, 32, v5
	v_cmp_lt_i32_e64 s[40:41], v2, v6
	s_nop 1
	v_cndmask_b32_e64 v2, v5, v2, s[40:41]
	v_lshlrev_b32_e32 v45, 2, v2
	ds_bpermute_b32 v7, v45, v4
	s_waitcnt vmcnt(2)
	v_mad_i64_i32 v[2:3], s[40:41], v16, s45, v[30:31]
	global_load_dwordx4 v[14:17], v[14:15], off
	s_nop 0
	global_load_dwordx4 v[10:13], v[2:3], off
	v_xor_b32_e32 v3, 16, v5
	v_cmp_lt_i32_e64 s[40:41], v3, v6
	s_waitcnt lgkmcnt(0)
	v_max_f32_e32 v2, v7, v7
	v_max_f32_e32 v2, v4, v2
	v_cndmask_b32_e64 v3, v5, v3, s[40:41]
	v_lshlrev_b32_e32 v48, 2, v3
	ds_bpermute_b32 v3, v48, v2
	s_waitcnt vmcnt(3)
	v_mad_i64_i32 v[46:47], s[40:41], v34, s45, v[30:31]
	s_waitcnt vmcnt(2)
	v_mad_i64_i32 v[30:31], s[40:41], v35, s45, v[30:31]
	s_waitcnt lgkmcnt(0)
	v_max_f32_e32 v3, v3, v3
	v_max_f32_e32 v44, v2, v3
	v_sub_f32_e32 v2, v20, v44
	v_mul_f32_e32 v2, 0x3fb8aa3b, v2
	v_exp_f32_e32 v20, v2
	v_sub_f32_e32 v2, v21, v44
	v_mul_f32_e32 v2, 0x3fb8aa3b, v2
	v_exp_f32_e32 v21, v2
	global_load_dwordx4 v[6:9], v[46:47], off
	global_load_dwordx4 v[2:5], v[30:31], off
	v_sub_f32_e32 v22, v22, v44
	v_mul_f32_e32 v22, 0x3fb8aa3b, v22
	v_sub_f32_e32 v23, v23, v44
	v_exp_f32_e32 v22, v22
	v_mul_f32_e32 v23, 0x3fb8aa3b, v23
	v_exp_f32_e32 v23, v23
	v_cndmask_b32_e64 v20, 0, v20, s[4:5]
	v_add_f32_e32 v30, 0, v20
	v_cndmask_b32_e64 v21, 0, v21, s[34:35]
	v_add_f32_e32 v30, v30, v21
	;; [unrolled: 2-line block ×3, first 2 shown]
	v_cndmask_b32_e64 v35, 0, v23, s[38:39]
	v_sub_f32_e32 v23, v40, v44
	v_sub_f32_e32 v30, v41, v44
	v_mul_f32_e32 v23, 0x3fb8aa3b, v23
	v_mul_f32_e32 v30, 0x3fb8aa3b, v30
	v_exp_f32_e32 v23, v23
	v_exp_f32_e32 v30, v30
	v_add_f32_e32 v31, v22, v35
	v_sub_f32_e32 v32, v32, v44
	v_cndmask_b32_e64 v22, 0, v23, s[24:25]
	v_cndmask_b32_e64 v23, 0, v30, s[26:27]
	v_sub_f32_e32 v30, v36, v44
	v_mul_f32_e32 v30, 0x3fb8aa3b, v30
	v_exp_f32_e32 v30, v30
	v_sub_f32_e32 v36, v37, v44
	v_add_f32_e32 v31, v31, v22
	v_mul_f32_e32 v36, 0x3fb8aa3b, v36
	v_exp_f32_e32 v37, v36
	v_add_f32_e32 v31, v31, v23
	v_cndmask_b32_e64 v36, 0, v30, s[20:21]
	v_add_f32_e32 v30, v31, v36
	v_sub_f32_e32 v31, v38, v44
	v_mul_f32_e32 v31, 0x3fb8aa3b, v31
	v_sub_f32_e32 v38, v39, v44
	v_exp_f32_e32 v31, v31
	v_mul_f32_e32 v38, 0x3fb8aa3b, v38
	v_exp_f32_e32 v38, v38
	v_mul_f32_e32 v32, 0x3fb8aa3b, v32
	v_sub_f32_e32 v33, v33, v44
	v_exp_f32_e32 v32, v32
	v_mul_f32_e32 v33, 0x3fb8aa3b, v33
	v_sub_f32_e32 v24, v24, v44
	v_cndmask_b32_e64 v37, 0, v37, s[22:23]
	v_exp_f32_e32 v33, v33
	v_mul_f32_e32 v24, 0x3fb8aa3b, v24
	v_sub_f32_e32 v25, v25, v44
	v_add_f32_e32 v39, v30, v37
	v_cndmask_b32_e64 v30, 0, v31, s[16:17]
	v_exp_f32_e32 v24, v24
	v_mul_f32_e32 v25, 0x3fb8aa3b, v25
	v_sub_f32_e32 v18, v18, v44
	v_add_f32_e32 v39, v39, v30
	;; [unrolled: 5-line block ×3, first 2 shown]
	v_cndmask_b32_e64 v32, 0, v32, s[12:13]
	v_exp_f32_e32 v18, v18
	v_mul_f32_e32 v19, 0x3fb8aa3b, v19
	v_add_f32_e32 v38, v38, v32
	v_cndmask_b32_e64 v33, 0, v33, s[14:15]
	v_exp_f32_e32 v19, v19
	v_add_f32_e32 v38, v38, v33
	v_cndmask_b32_e64 v24, 0, v24, s[8:9]
	v_add_f32_e32 v38, v38, v24
	v_cndmask_b32_e64 v25, 0, v25, s[10:11]
	v_add_f32_e32 v38, v38, v25
	v_cndmask_b32_e32 v18, 0, v18, vcc
	v_add_f32_e32 v38, v38, v18
	v_cndmask_b32_e64 v19, 0, v19, s[6:7]
	v_add_f32_e32 v38, v38, v19
	ds_bpermute_b32 v39, v45, v38
	v_cmp_gt_u32_e32 vcc, 16, v43
	s_waitcnt lgkmcnt(0)
	s_barrier
	v_add_f32_e32 v38, v38, v39
	ds_bpermute_b32 v40, v48, v38
	v_lshlrev_b32_e32 v39, 2, v28
	s_and_saveexec_b64 s[4:5], vcc
	s_cbranch_execz .LBB874_13
; %bb.12:
	s_waitcnt lgkmcnt(0)
	v_add_f32_e32 v38, v38, v40
	v_lshl_or_b32 v40, v29, 6, v39
	ds_write2st64_b32 v40, v44, v38 offset1:1
.LBB874_13:
	s_or_b64 exec, exec, s[4:5]
	s_load_dword s6, s[0:1], 0x94
	s_waitcnt lgkmcnt(0)
	s_barrier
	ds_read2_b32 v[40:41], v39 offset1:16
	ds_read2_b32 v[44:45], v39 offset0:32 offset1:48
	ds_read2_b32 v[46:47], v39 offset0:64 offset1:80
	s_mul_i32 s7, s29, 7
	s_waitcnt lgkmcnt(2)
	v_max3_f32 v38, v40, s44, v41
	s_waitcnt lgkmcnt(1)
	v_max3_f32 v38, v38, v44, v45
	v_sub_f32_e32 v40, v40, v38
	v_mul_f32_e32 v40, 0x3fb8aa3b, v40
	v_exp_f32_e32 v43, v40
	v_sub_f32_e32 v40, v41, v38
	v_mul_f32_e32 v40, 0x3fb8aa3b, v40
	v_exp_f32_e32 v48, v40
	v_sub_f32_e32 v40, v44, v38
	v_mul_f32_e32 v40, 0x3fb8aa3b, v40
	v_exp_f32_e32 v44, v40
	ds_read2_b32 v[40:41], v39 offset0:96 offset1:112
	v_sub_f32_e32 v39, v45, v38
	v_mul_f32_e32 v39, 0x3fb8aa3b, v39
	v_exp_f32_e32 v45, v39
	s_waitcnt lgkmcnt(1)
	v_fma_f32 v39, v43, v46, 0
	v_fmac_f32_e32 v39, v48, v47
	s_waitcnt lgkmcnt(0)
	v_fmac_f32_e32 v39, v44, v40
	v_fmac_f32_e32 v39, v45, v41
	v_add_f32_e32 v40, 0x358637bd, v39
	v_div_scale_f32 v41, s[4:5], v40, v40, 1.0
	v_rcp_f32_e32 v46, v41
	s_barrier
	v_fma_f32 v47, -v41, v46, 1.0
	v_fmac_f32_e32 v46, v47, v46
	v_div_scale_f32 v47, vcc, 1.0, v40, 1.0
	v_mul_f32_e32 v49, v47, v46
	v_fma_f32 v50, -v41, v49, v47
	v_fmac_f32_e32 v49, v50, v46
	v_fma_f32 v41, -v41, v49, v47
	v_div_fmas_f32 v41, v41, v46, v49
	v_cmp_eq_u32_e32 vcc, 1, v29
	v_div_fixup_f32 v40, v41, v40, 1.0
	s_nop 0
	v_cndmask_b32_e32 v41, v43, v48, vcc
	v_cmp_eq_u32_e32 vcc, 2, v29
	s_nop 1
	v_cndmask_b32_e32 v41, v41, v44, vcc
	v_cmp_eq_u32_e32 vcc, 3, v29
	s_nop 1
	v_cndmask_b32_e32 v41, v41, v45, vcc
	v_mul_f32_e32 v40, v41, v40
	v_pk_mul_f32 v[34:35], v[40:41], v[34:35] op_sel_hi:[0,1]
	v_pk_mul_f32 v[20:21], v[40:41], v[20:21] op_sel_hi:[0,1]
	v_cvt_f16_f32_e32 v41, v34
	v_cvt_f16_f32_e32 v35, v35
	;; [unrolled: 1-line block ×4, first 2 shown]
	v_cmp_gt_u32_e32 vcc, 7, v0
	v_pack_b32_f16 v35, v41, v35
	v_lshlrev_b32_e32 v41, 3, v42
	v_pack_b32_f16 v34, v20, v21
	v_pk_mul_f32 v[20:21], v[40:41], v[36:37] op_sel_hi:[0,1]
	v_pk_mul_f32 v[22:23], v[40:41], v[22:23] op_sel_hi:[0,1]
	v_cvt_f16_f32_e32 v22, v22
	v_cvt_f16_f32_e32 v23, v23
	;; [unrolled: 1-line block ×4, first 2 shown]
	v_lshlrev_b32_e32 v20, 11, v29
	v_or3_b32 v20, v20, v27, v41
	v_pack_b32_f16 v22, v22, v23
	v_pack_b32_f16 v23, v36, v21
	ds_write2st64_b64 v20, v[34:35], v[22:23] offset1:1
	v_pk_mul_f32 v[22:23], v[40:41], v[32:33] op_sel_hi:[0,1]
	v_pk_mul_f32 v[30:31], v[40:41], v[30:31] op_sel_hi:[0,1]
	v_cvt_f16_f32_e32 v21, v30
	v_cvt_f16_f32_e32 v29, v31
	;; [unrolled: 1-line block ×4, first 2 shown]
	v_pk_mul_f32 v[18:19], v[40:41], v[18:19] op_sel_hi:[0,1]
	v_pk_mul_f32 v[22:23], v[40:41], v[24:25] op_sel_hi:[0,1]
	v_cvt_f16_f32_e32 v22, v22
	v_cvt_f16_f32_e32 v23, v23
	;; [unrolled: 1-line block ×4, first 2 shown]
	v_pack_b32_f16 v18, v21, v29
	v_pack_b32_f16 v19, v30, v31
	;; [unrolled: 1-line block ×4, first 2 shown]
	ds_write2st64_b64 v20, v[18:19], v[22:23] offset0:2 offset1:3
	s_and_saveexec_b64 s[4:5], vcc
	s_cbranch_execz .LBB874_15
; %bb.14:
	s_mov_b32 s49, 0
	v_mov_b32_e32 v29, 0
	v_lshl_add_u64 v[18:19], s[48:49], 0, v[28:29]
	v_mov_b32_e32 v21, s7
	v_mad_u64_u32 v[18:19], s[12:13], s2, v21, v[18:19]
	s_mul_i32 s3, s3, s7
	v_mov_b32_e32 v28, s28
	s_load_dwordx4 s[8:11], s[0:1], 0x58
	v_add_u32_e32 v21, s3, v19
	v_mad_u64_u32 v[18:19], s[12:13], v18, s6, v[28:29]
	v_mov_b32_e32 v22, v19
	v_mad_u64_u32 v[22:23], s[12:13], v21, s6, v[22:23]
	v_mov_b32_e32 v19, v22
	v_lshlrev_b64 v[18:19], 2, v[18:19]
	s_waitcnt lgkmcnt(0)
	v_lshl_add_u64 v[22:23], s[10:11], 0, v[18:19]
	v_lshl_add_u64 v[18:19], s[8:9], 0, v[18:19]
	global_store_dword v[22:23], v38, off
	global_store_dword v[18:19], v39, off
.LBB874_15:
	s_or_b64 exec, exec, s[4:5]
	s_waitcnt vmcnt(3)
	v_cvt_pk_f32_fp8_e32 v[18:19], v14
	v_cvt_pk_f32_fp8_sdwa v[22:23], v14 src0_sel:WORD_1
	v_cvt_pk_f32_fp8_e32 v[24:25], v15
	v_lshl_or_b32 v14, v42, 9, v27
	s_waitcnt lgkmcnt(0)
	s_barrier
	v_cvt_pkrtz_f16_f32 v18, v18, v19
	v_cvt_pkrtz_f16_f32 v19, v22, v23
	v_cvt_pk_f32_fp8_sdwa v[28:29], v15 src0_sel:WORD_1
	v_cvt_pkrtz_f16_f32 v36, v24, v25
	ds_read_b128 v[22:25], v14
	v_cvt_pk_f32_fp8_e32 v[38:39], v16
	v_cvt_pkrtz_f16_f32 v37, v28, v29
	ds_read_b128 v[28:31], v14 offset:16
	v_cvt_pk_f32_fp8_sdwa v[40:41], v16 src0_sel:WORD_1
	s_waitcnt lgkmcnt(1)
	v_mfma_f32_16x16x16_f16 v[32:35], v[18:19], v[22:23], 0
	v_cvt_pkrtz_f16_f32 v18, v38, v39
	v_cvt_pk_f32_fp8_e32 v[38:39], v17
	v_cvt_pkrtz_f16_f32 v19, v40, v41
	v_mfma_f32_16x16x16_f16 v[22:25], v[36:37], v[24:25], v[32:35]
	s_waitcnt vmcnt(2)
	v_cvt_pk_f32_fp8_sdwa v[36:37], v12 src0_sel:WORD_1
	s_load_dword s4, s[42:43], 0x0
	v_cmp_gt_u32_e32 vcc, 64, v0
	v_cvt_pk_f32_fp8_sdwa v[32:33], v17 src0_sel:WORD_1
	v_cvt_pkrtz_f16_f32 v34, v38, v39
	s_waitcnt lgkmcnt(0)
	v_mfma_f32_16x16x16_f16 v[16:19], v[18:19], v[28:29], v[22:25]
	v_cvt_pk_f32_fp8_e32 v[28:29], v11
	v_cvt_pkrtz_f16_f32 v35, v32, v33
	s_mov_b32 s3, 0
	v_cvt_pk_f32_fp8_e32 v[22:23], v10
	v_cvt_pk_f32_fp8_sdwa v[24:25], v10 src0_sel:WORD_1
	v_mfma_f32_16x16x16_f16 v[16:19], v[34:35], v[30:31], v[16:19]
	v_cvt_pkrtz_f16_f32 v10, v22, v23
	v_cvt_pk_f32_fp8_sdwa v[30:31], v11 src0_sel:WORD_1
	v_cvt_pkrtz_f16_f32 v11, v24, v25
	ds_read_b128 v[22:25], v14 offset:2048
	v_cvt_pkrtz_f16_f32 v32, v28, v29
	v_cvt_pkrtz_f16_f32 v33, v30, v31
	ds_read_b128 v[28:31], v14 offset:2064
	v_cvt_pk_f32_fp8_e32 v[34:35], v12
	s_waitcnt lgkmcnt(1)
	v_mfma_f32_16x16x16_f16 v[16:19], v[10:11], v[22:23], v[16:19]
	v_cvt_pkrtz_f16_f32 v11, v36, v37
	v_cvt_pk_f32_fp8_e32 v[22:23], v13
	v_cvt_pkrtz_f16_f32 v10, v34, v35
	v_mfma_f32_16x16x16_f16 v[16:19], v[32:33], v[24:25], v[16:19]
	v_cvt_pk_f32_fp8_sdwa v[24:25], v13 src0_sel:WORD_1
	v_cvt_pkrtz_f16_f32 v22, v22, v23
	s_waitcnt vmcnt(1)
	v_cvt_pk_f32_fp8_sdwa v[32:33], v8 src0_sel:WORD_1
	s_waitcnt lgkmcnt(0)
	v_mfma_f32_16x16x16_f16 v[10:13], v[10:11], v[28:29], v[16:19]
	v_cvt_pkrtz_f16_f32 v23, v24, v25
	v_cvt_pk_f32_fp8_sdwa v[24:25], v7 src0_sel:WORD_1
	v_mov_b32_e32 v27, 0
	v_cvt_pk_f32_fp8_e32 v[16:17], v6
	v_cvt_pk_f32_fp8_sdwa v[18:19], v6 src0_sel:WORD_1
	v_mfma_f32_16x16x16_f16 v[10:13], v[22:23], v[30:31], v[10:13]
	v_cvt_pk_f32_fp8_e32 v[22:23], v7
	v_cvt_pkrtz_f16_f32 v6, v16, v17
	v_cvt_pkrtz_f16_f32 v7, v18, v19
	ds_read_b128 v[16:19], v14 offset:4096
	v_cvt_pkrtz_f16_f32 v28, v22, v23
	v_cvt_pkrtz_f16_f32 v29, v24, v25
	ds_read_b128 v[22:25], v14 offset:4112
	v_cvt_pk_f32_fp8_e32 v[30:31], v8
	s_waitcnt lgkmcnt(1)
	v_mfma_f32_16x16x16_f16 v[10:13], v[6:7], v[16:17], v[10:13]
	v_cvt_pkrtz_f16_f32 v7, v32, v33
	v_cvt_pk_f32_fp8_e32 v[16:17], v9
	v_cvt_pkrtz_f16_f32 v6, v30, v31
	v_mfma_f32_16x16x16_f16 v[10:13], v[28:29], v[18:19], v[10:13]
	v_cvt_pk_f32_fp8_sdwa v[18:19], v9 src0_sel:WORD_1
	v_cvt_pkrtz_f16_f32 v16, v16, v17
	v_cvt_pkrtz_f16_f32 v17, v18, v19
	s_waitcnt lgkmcnt(0)
	v_mfma_f32_16x16x16_f16 v[6:9], v[6:7], v[22:23], v[10:13]
	s_waitcnt vmcnt(0)
	v_cvt_pk_f32_fp8_sdwa v[18:19], v3 src0_sel:WORD_1
	s_nop 0
	v_cvt_pkrtz_f16_f32 v23, v18, v19
	v_cvt_pk_f32_fp8_e32 v[10:11], v2
	v_cvt_pk_f32_fp8_sdwa v[12:13], v2 src0_sel:WORD_1
	v_mfma_f32_16x16x16_f16 v[6:9], v[16:17], v[24:25], v[6:9]
	v_cvt_pk_f32_fp8_e32 v[16:17], v3
	v_cvt_pkrtz_f16_f32 v2, v10, v11
	v_cvt_pkrtz_f16_f32 v3, v12, v13
	ds_read_b128 v[10:13], v14 offset:6144
	v_cvt_pkrtz_f16_f32 v22, v16, v17
	v_cvt_pk_f32_fp8_e32 v[18:19], v4
	v_cvt_pk_f32_fp8_sdwa v[24:25], v4 src0_sel:WORD_1
	s_waitcnt lgkmcnt(0)
	v_mfma_f32_16x16x16_f16 v[6:9], v[2:3], v[10:11], v[6:9]
	ds_read_b128 v[14:17], v14 offset:6160
	v_cvt_pkrtz_f16_f32 v2, v18, v19
	v_cvt_pkrtz_f16_f32 v3, v24, v25
	v_cvt_pk_f32_fp8_e32 v[10:11], v5
	v_mfma_f32_16x16x16_f16 v[6:9], v[22:23], v[12:13], v[6:9]
	v_cvt_pk_f32_fp8_sdwa v[12:13], v5 src0_sel:WORD_1
	s_waitcnt lgkmcnt(0)
	v_cvt_pkrtz_f16_f32 v10, v10, v11
	v_mfma_f32_16x16x16_f16 v[2:5], v[2:3], v[14:15], v[6:9]
	v_cvt_pkrtz_f16_f32 v11, v12, v13
	s_barrier
	s_nop 0
	v_mfma_f32_16x16x16_f16 v[2:5], v[10:11], v[16:17], v[2:5]
	s_nop 6
	v_pk_mul_f32 v[4:5], v[4:5], s[4:5] op_sel_hi:[1,0]
	v_pk_mul_f32 v[2:3], v[2:3], s[4:5] op_sel_hi:[1,0]
	v_cvt_f16_f32_e32 v4, v4
	v_cvt_f16_f32_e32 v2, v2
	;; [unrolled: 1-line block ×4, first 2 shown]
	s_and_b64 s[4:5], vcc, s[30:31]
	v_pack_b32_f16 v2, v2, v3
	v_pack_b32_f16 v3, v4, v5
	ds_write_b64 v20, v[2:3]
	s_waitcnt lgkmcnt(0)
	s_barrier
	s_and_saveexec_b64 s[8:9], s[4:5]
	s_cbranch_execz .LBB874_18
; %bb.16:
	s_load_dwordx2 s[4:5], s[0:1], 0x68
	s_lshl_b32 s0, s6, 6
	s_mul_i32 s1, s7, s2
	s_mul_hi_u32 s7, s1, s0
	s_mul_i32 s6, s1, s0
	v_lshlrev_b32_e32 v0, 10, v0
	s_lshl_b64 s[6:7], s[6:7], 1
	v_and_b32_e32 v0, 0x1800, v0
	v_lshlrev_b32_e32 v2, 5, v42
	v_and_b32_e32 v1, 16, v1
	s_waitcnt lgkmcnt(0)
	s_add_u32 s1, s4, s6
	v_or3_b32 v2, v0, v2, v1
	s_addc_u32 s4, s5, s7
	s_lshl_b32 s2, s28, 6
	s_lshl_b64 s[2:3], s[2:3], 1
	ds_read_b128 v[4:7], v2
	s_add_u32 s2, s1, s2
	s_addc_u32 s3, s4, s3
	v_add_u32_e32 v3, s48, v42
	v_lshl_add_u64 v[0:1], s[2:3], 0, v[26:27]
	v_mad_u64_u32 v[8:9], s[2:3], v3, s0, 0
	v_lshl_add_u64 v[8:9], v[8:9], 1, v[0:1]
	v_cmp_ne_u32_e32 vcc, 3, v42
	s_waitcnt lgkmcnt(0)
	global_store_dwordx4 v[8:9], v[4:7], off
	s_and_b64 exec, exec, vcc
	s_cbranch_execz .LBB874_18
; %bb.17:
	ds_read_b128 v[2:5], v2 offset:128
	v_add3_u32 v6, s48, v42, 4
	v_mad_u64_u32 v[6:7], s[0:1], v6, s0, 0
	v_lshl_add_u64 v[0:1], v[6:7], 1, v[0:1]
	s_waitcnt lgkmcnt(0)
	global_store_dwordx4 v[0:1], v[2:5], off
.LBB874_18:
	s_endpgm
	.section	.rodata,"a",@progbits
	.p2align	6, 0x0
	.amdhsa_kernel _Z39paged_attention_ll4mi_QKV_mfma16_kernelIDF16_hLN4vllm18Fp8KVCacheDataTypeE1EhLi32ELi64ELi256ELb0ELi7EEvPKT_PKT0_S7_ifPKiS9_S9_iPKfiiiPfSC_PS2_PT2_iSB_SB_
		.amdhsa_group_segment_fixed_size 8192
		.amdhsa_private_segment_fixed_size 0
		.amdhsa_kernarg_size 400
		.amdhsa_user_sgpr_count 2
		.amdhsa_user_sgpr_dispatch_ptr 0
		.amdhsa_user_sgpr_queue_ptr 0
		.amdhsa_user_sgpr_kernarg_segment_ptr 1
		.amdhsa_user_sgpr_dispatch_id 0
		.amdhsa_user_sgpr_kernarg_preload_length 0
		.amdhsa_user_sgpr_kernarg_preload_offset 0
		.amdhsa_user_sgpr_private_segment_size 0
		.amdhsa_uses_dynamic_stack 0
		.amdhsa_enable_private_segment 0
		.amdhsa_system_sgpr_workgroup_id_x 1
		.amdhsa_system_sgpr_workgroup_id_y 1
		.amdhsa_system_sgpr_workgroup_id_z 1
		.amdhsa_system_sgpr_workgroup_info 0
		.amdhsa_system_vgpr_workitem_id 0
		.amdhsa_next_free_vgpr 54
		.amdhsa_next_free_sgpr 50
		.amdhsa_accum_offset 56
		.amdhsa_reserve_vcc 1
		.amdhsa_float_round_mode_32 0
		.amdhsa_float_round_mode_16_64 0
		.amdhsa_float_denorm_mode_32 3
		.amdhsa_float_denorm_mode_16_64 3
		.amdhsa_dx10_clamp 1
		.amdhsa_ieee_mode 1
		.amdhsa_fp16_overflow 0
		.amdhsa_tg_split 0
		.amdhsa_exception_fp_ieee_invalid_op 0
		.amdhsa_exception_fp_denorm_src 0
		.amdhsa_exception_fp_ieee_div_zero 0
		.amdhsa_exception_fp_ieee_overflow 0
		.amdhsa_exception_fp_ieee_underflow 0
		.amdhsa_exception_fp_ieee_inexact 0
		.amdhsa_exception_int_div_zero 0
	.end_amdhsa_kernel
	.section	.text._Z39paged_attention_ll4mi_QKV_mfma16_kernelIDF16_hLN4vllm18Fp8KVCacheDataTypeE1EhLi32ELi64ELi256ELb0ELi7EEvPKT_PKT0_S7_ifPKiS9_S9_iPKfiiiPfSC_PS2_PT2_iSB_SB_,"axG",@progbits,_Z39paged_attention_ll4mi_QKV_mfma16_kernelIDF16_hLN4vllm18Fp8KVCacheDataTypeE1EhLi32ELi64ELi256ELb0ELi7EEvPKT_PKT0_S7_ifPKiS9_S9_iPKfiiiPfSC_PS2_PT2_iSB_SB_,comdat
.Lfunc_end874:
	.size	_Z39paged_attention_ll4mi_QKV_mfma16_kernelIDF16_hLN4vllm18Fp8KVCacheDataTypeE1EhLi32ELi64ELi256ELb0ELi7EEvPKT_PKT0_S7_ifPKiS9_S9_iPKfiiiPfSC_PS2_PT2_iSB_SB_, .Lfunc_end874-_Z39paged_attention_ll4mi_QKV_mfma16_kernelIDF16_hLN4vllm18Fp8KVCacheDataTypeE1EhLi32ELi64ELi256ELb0ELi7EEvPKT_PKT0_S7_ifPKiS9_S9_iPKfiiiPfSC_PS2_PT2_iSB_SB_
                                        ; -- End function
	.section	.AMDGPU.csdata,"",@progbits
; Kernel info:
; codeLenInByte = 4680
; NumSgprs: 56
; NumVgprs: 54
; NumAgprs: 0
; TotalNumVgprs: 54
; ScratchSize: 0
; MemoryBound: 0
; FloatMode: 240
; IeeeMode: 1
; LDSByteSize: 8192 bytes/workgroup (compile time only)
; SGPRBlocks: 6
; VGPRBlocks: 6
; NumSGPRsForWavesPerEU: 56
; NumVGPRsForWavesPerEU: 54
; AccumOffset: 56
; Occupancy: 8
; WaveLimiterHint : 1
; COMPUTE_PGM_RSRC2:SCRATCH_EN: 0
; COMPUTE_PGM_RSRC2:USER_SGPR: 2
; COMPUTE_PGM_RSRC2:TRAP_HANDLER: 0
; COMPUTE_PGM_RSRC2:TGID_X_EN: 1
; COMPUTE_PGM_RSRC2:TGID_Y_EN: 1
; COMPUTE_PGM_RSRC2:TGID_Z_EN: 1
; COMPUTE_PGM_RSRC2:TIDIG_COMP_CNT: 0
; COMPUTE_PGM_RSRC3_GFX90A:ACCUM_OFFSET: 13
; COMPUTE_PGM_RSRC3_GFX90A:TG_SPLIT: 0
	.section	.text._Z39paged_attention_ll4mi_QKV_mfma16_kernelIDF16_hLN4vllm18Fp8KVCacheDataTypeE1EhLi32ELi64ELi256ELb0ELi8EEvPKT_PKT0_S7_ifPKiS9_S9_iPKfiiiPfSC_PS2_PT2_iSB_SB_,"axG",@progbits,_Z39paged_attention_ll4mi_QKV_mfma16_kernelIDF16_hLN4vllm18Fp8KVCacheDataTypeE1EhLi32ELi64ELi256ELb0ELi8EEvPKT_PKT0_S7_ifPKiS9_S9_iPKfiiiPfSC_PS2_PT2_iSB_SB_,comdat
	.protected	_Z39paged_attention_ll4mi_QKV_mfma16_kernelIDF16_hLN4vllm18Fp8KVCacheDataTypeE1EhLi32ELi64ELi256ELb0ELi8EEvPKT_PKT0_S7_ifPKiS9_S9_iPKfiiiPfSC_PS2_PT2_iSB_SB_ ; -- Begin function _Z39paged_attention_ll4mi_QKV_mfma16_kernelIDF16_hLN4vllm18Fp8KVCacheDataTypeE1EhLi32ELi64ELi256ELb0ELi8EEvPKT_PKT0_S7_ifPKiS9_S9_iPKfiiiPfSC_PS2_PT2_iSB_SB_
	.globl	_Z39paged_attention_ll4mi_QKV_mfma16_kernelIDF16_hLN4vllm18Fp8KVCacheDataTypeE1EhLi32ELi64ELi256ELb0ELi8EEvPKT_PKT0_S7_ifPKiS9_S9_iPKfiiiPfSC_PS2_PT2_iSB_SB_
	.p2align	8
	.type	_Z39paged_attention_ll4mi_QKV_mfma16_kernelIDF16_hLN4vllm18Fp8KVCacheDataTypeE1EhLi32ELi64ELi256ELb0ELi8EEvPKT_PKT0_S7_ifPKiS9_S9_iPKfiiiPfSC_PS2_PT2_iSB_SB_,@function
_Z39paged_attention_ll4mi_QKV_mfma16_kernelIDF16_hLN4vllm18Fp8KVCacheDataTypeE1EhLi32ELi64ELi256ELb0ELi8EEvPKT_PKT0_S7_ifPKiS9_S9_iPKfiiiPfSC_PS2_PT2_iSB_SB_: ; @_Z39paged_attention_ll4mi_QKV_mfma16_kernelIDF16_hLN4vllm18Fp8KVCacheDataTypeE1EhLi32ELi64ELi256ELb0ELi8EEvPKT_PKT0_S7_ifPKiS9_S9_iPKfiiiPfSC_PS2_PT2_iSB_SB_
; %bb.0:
	s_load_dwordx2 s[12:13], s[0:1], 0x30
	s_mov_b32 s28, s3
	s_mov_b64 s[6:7], 0
	s_waitcnt lgkmcnt(0)
	s_cmp_lg_u64 s[12:13], 0
	s_cselect_b64 s[14:15], -1, 0
	s_and_b64 vcc, exec, s[14:15]
	s_cbranch_vccz .LBB875_7
; %bb.1:
	s_add_i32 s8, s2, 1
	s_mov_b32 s9, 0
	s_lshl_b64 s[10:11], s[8:9], 2
	s_add_u32 s10, s12, s10
	s_mov_b32 s3, s9
	s_addc_u32 s11, s13, s11
	s_lshl_b64 s[8:9], s[2:3], 2
	s_add_u32 s8, s12, s8
	s_addc_u32 s9, s13, s9
	s_load_dword s5, s[10:11], 0x0
	s_load_dword s16, s[8:9], 0x0
	s_waitcnt lgkmcnt(0)
	s_sub_i32 s5, s5, s16
	s_cmp_eq_u32 s5, 1
	s_cselect_b64 s[8:9], -1, 0
	s_andn2_b64 vcc, exec, s[6:7]
	s_cbranch_vccnz .LBB875_3
.LBB875_2:
	s_mov_b32 s3, 0
	s_mov_b64 s[8:9], -1
.LBB875_3:
	s_andn2_b64 vcc, exec, s[8:9]
	s_cbranch_vccnz .LBB875_17
; %bb.4:
	s_load_dwordx2 s[6:7], s[0:1], 0x28
	s_lshl_b64 s[16:17], s[2:3], 2
	s_waitcnt lgkmcnt(0)
	s_add_u32 s6, s6, s16
	s_addc_u32 s7, s7, s17
	s_load_dword s48, s[6:7], 0x0
	s_lshl_b32 s5, s28, 8
	s_waitcnt lgkmcnt(0)
	s_cmp_ge_i32 s5, s48
	s_cbranch_scc1 .LBB875_17
; %bb.5:
	s_load_dwordx2 s[6:7], s[0:1], 0x20
	s_load_dword s8, s[0:1], 0x38
	s_add_i32 s9, s48, 31
	s_ashr_i32 s10, s9, 31
	v_and_b32_e32 v1, 0xcf, v0
	s_lshr_b32 s10, s10, 27
	v_add_u32_e32 v1, s5, v1
	s_add_i32 s9, s9, s10
	v_ashrrev_i32_e32 v2, 31, v1
	s_ashr_i32 s18, s9, 5
	v_lshrrev_b32_e32 v4, 27, v2
	s_add_i32 s18, s18, -1
	s_waitcnt lgkmcnt(0)
	s_mul_i32 s8, s2, s8
	s_mov_b32 s9, 0
	v_add_u32_e32 v2, v1, v4
	s_lshl_b64 s[8:9], s[8:9], 2
	v_ashrrev_i32_e32 v2, 5, v2
	v_mov_b32_e32 v5, s18
	v_cmp_gt_i32_e32 vcc, s48, v1
	s_add_u32 s6, s6, s8
	s_addc_u32 s7, s7, s9
	v_cndmask_b32_e32 v2, v5, v2, vcc
	v_ashrrev_i32_e32 v3, 31, v2
	v_lshl_add_u64 v[6:7], v[2:3], 2, s[6:7]
	v_or_b32_e32 v2, 16, v1
	v_add_u32_e32 v3, v2, v4
	v_ashrrev_i32_e32 v3, 5, v3
	v_cmp_gt_i32_e32 vcc, s48, v2
	s_load_dwordx4 s[8:11], s[0:1], 0x8
	s_nop 0
	v_cndmask_b32_e32 v2, v5, v3, vcc
	v_ashrrev_i32_e32 v3, 31, v2
	v_lshl_add_u64 v[8:9], v[2:3], 2, s[6:7]
	v_or_b32_e32 v2, 32, v1
	v_add_u32_e32 v3, v2, v4
	v_ashrrev_i32_e32 v3, 5, v3
	v_cmp_gt_i32_e32 vcc, s48, v2
	v_or_b32_e32 v1, 48, v1
	s_nop 0
	v_cndmask_b32_e32 v2, v5, v3, vcc
	v_ashrrev_i32_e32 v3, 31, v2
	v_lshl_add_u64 v[10:11], v[2:3], 2, s[6:7]
	v_add_u32_e32 v2, v1, v4
	v_ashrrev_i32_e32 v2, 5, v2
	v_cmp_gt_i32_e32 vcc, s48, v1
	s_nop 1
	v_cndmask_b32_e32 v2, v5, v2, vcc
	v_ashrrev_i32_e32 v3, 31, v2
	v_lshl_add_u64 v[12:13], v[2:3], 2, s[6:7]
	global_load_dword v2, v[6:7], off
	global_load_dword v5, v[8:9], off
	global_load_dword v4, v[10:11], off
	global_load_dword v30, v[12:13], off
	s_andn2_b64 vcc, exec, s[14:15]
	s_cbranch_vccnz .LBB875_8
; %bb.6:
	s_add_u32 s12, s12, s16
	s_addc_u32 s13, s13, s17
	s_load_dword s14, s[12:13], 0x0
	s_branch .LBB875_9
.LBB875_7:
	s_mov_b64 s[8:9], 0
	s_branch .LBB875_2
.LBB875_8:
	s_mov_b32 s14, s2
.LBB875_9:
	s_load_dwordx4 s[44:47], s[0:1], 0x48
	v_and_b32_e32 v43, 15, v0
	s_movk_i32 s12, 0x80
	v_lshlrev_b32_e32 v3, 3, v43
	v_cmp_gt_u32_e32 vcc, s12, v0
	v_cmp_gt_u32_e64 s[30:31], 8, v43
	v_lshrrev_b32_e32 v41, 6, v0
	v_and_b32_e32 v42, 63, v0
	v_bfe_u32 v1, v0, 4, 2
	s_lshl_b32 s29, s4, 3
	s_and_b64 s[16:17], vcc, s[30:31]
	v_lshlrev_b32_e32 v26, 1, v3
	v_lshlrev_b32_e32 v40, 4, v0
	s_and_saveexec_b64 s[12:13], s[16:17]
	s_cbranch_execz .LBB875_11
; %bb.10:
	s_load_dwordx2 s[16:17], s[0:1], 0x0
	s_waitcnt lgkmcnt(0)
	s_ashr_i32 s15, s44, 31
	s_mul_hi_u32 s19, s14, s44
	s_mul_i32 s15, s14, s15
	s_add_i32 s15, s19, s15
	s_mul_i32 s14, s14, s44
	v_lshl_or_b32 v3, v41, 2, v1
	s_lshl_b64 s[14:15], s[14:15], 1
	s_add_u32 s14, s16, s14
	v_add_lshl_u32 v6, v3, s29, 6
	s_addc_u32 s15, s17, s15
	v_ashrrev_i32_e32 v7, 31, v6
	v_lshl_add_u64 v[6:7], v[6:7], 1, s[14:15]
	v_mov_b32_e32 v27, 0
	v_lshl_add_u64 v[6:7], v[6:7], 0, v[26:27]
	global_load_dwordx4 v[6:9], v[6:7], off
	v_lshlrev_b32_e32 v11, 8, v43
	v_lshlrev_b32_e32 v3, 5, v3
	v_and_b32_e32 v10, 16, v40
	v_and_b32_e32 v11, 0xe00, v11
	v_or3_b32 v3, v11, v3, v10
	s_waitcnt vmcnt(0)
	ds_write_b128 v3, v[6:9]
.LBB875_11:
	s_or_b64 exec, exec, s[12:13]
	s_waitcnt lgkmcnt(0)
	s_mul_i32 s4, s4, s46
	s_add_u32 s8, s8, s4
	s_addc_u32 s9, s9, 0
	v_mov_b32_e32 v29, 0
	v_mov_b64_e32 v[14:15], s[8:9]
	v_and_b32_e32 v8, 48, v0
	s_waitcnt vmcnt(3)
	v_mad_i64_i32 v[6:7], s[8:9], v2, s45, v[14:15]
	v_lshlrev_b32_e32 v2, 4, v43
	v_mov_b32_e32 v3, v29
	v_lshlrev_b32_e32 v28, 5, v8
	v_lshl_add_u64 v[6:7], v[6:7], 0, v[2:3]
	v_lshl_add_u64 v[6:7], v[6:7], 0, v[28:29]
	s_load_dword s33, s[0:1], 0x98
	s_load_dwordx4 s[40:43], s[0:1], 0x80
	s_waitcnt lgkmcnt(0)
	s_barrier
	global_load_dwordx4 v[18:21], v[6:7], off
	s_waitcnt vmcnt(3)
	v_mad_i64_i32 v[6:7], s[8:9], v5, s45, v[14:15]
	v_or_b32_e32 v16, 0x100, v2
	v_mov_b32_e32 v17, v29
	v_lshl_add_u64 v[6:7], v[6:7], 0, v[16:17]
	v_lshl_add_u64 v[6:7], v[6:7], 0, v[28:29]
	global_load_dwordx4 v[10:13], v[6:7], off
	s_ashr_i32 s8, s5, 31
	v_or_b32_e32 v8, s5, v8
	s_lshr_b32 s12, s8, 27
	v_add_u32_e32 v5, s12, v8
	v_ashrrev_i32_e32 v5, 5, v5
	v_mov_b32_e32 v31, s18
	v_cmp_gt_i32_e32 vcc, s48, v8
	v_or_b32_e32 v33, 64, v8
	v_or_b32_e32 v34, 0x80, v8
	v_cndmask_b32_e32 v6, v31, v5, vcc
	v_and_b32_e32 v5, 7, v0
	v_lshlrev_b32_e32 v5, 5, v5
	v_lshl_or_b32 v32, v1, 9, v5
	s_waitcnt vmcnt(3)
	v_mad_i64_i32 v[4:5], s[8:9], v4, s45, v[14:15]
	v_lshl_add_u64 v[2:3], v[4:5], 0, v[2:3]
	v_lshl_add_u64 v[2:3], v[2:3], 0, v[28:29]
	global_load_dwordx4 v[22:25], v[2:3], off
	v_ashrrev_i32_e32 v7, 31, v6
	v_lshl_add_u64 v[6:7], v[6:7], 2, s[6:7]
	s_waitcnt vmcnt(3)
	v_mad_i64_i32 v[14:15], s[8:9], v30, s45, v[14:15]
	v_add_u32_e32 v30, s12, v33
	global_load_dword v47, v[6:7], off
	v_or_b32_e32 v35, 0xc0, v8
	ds_read_b128 v[6:9], v32
	ds_read_b128 v[2:5], v32 offset:16
	v_add_u32_e32 v32, s12, v34
	v_lshl_add_u64 v[14:15], v[14:15], 0, v[16:17]
	v_ashrrev_i32_e32 v16, 5, v30
	v_cmp_gt_i32_e32 vcc, s48, v33
	v_ashrrev_i32_e32 v17, 5, v32
	v_lshl_add_u64 v[14:15], v[14:15], 0, v[28:29]
	v_cndmask_b32_e32 v30, v31, v16, vcc
	v_cmp_gt_i32_e32 vcc, s48, v34
	v_add_u32_e32 v36, s12, v35
	v_ashrrev_i32_e32 v36, 5, v36
	v_cndmask_b32_e32 v32, v31, v17, vcc
	global_load_dwordx4 v[14:17], v[14:15], off
	v_cmp_gt_i32_e32 vcc, s48, v35
	v_ashrrev_i32_e32 v33, 31, v32
	v_lshl_add_u64 v[32:33], v[32:33], 2, s[6:7]
	v_cndmask_b32_e32 v34, v31, v36, vcc
	v_ashrrev_i32_e32 v31, 31, v30
	v_ashrrev_i32_e32 v35, 31, v34
	v_lshl_add_u64 v[30:31], v[30:31], 2, s[6:7]
	s_add_u32 s8, s10, s4
	s_load_dword s4, s[40:41], 0x0
	v_lshl_add_u64 v[34:35], v[34:35], 2, s[6:7]
	global_load_dword v46, v[30:31], off
	global_load_dword v44, v[32:33], off
	;; [unrolled: 1-line block ×3, first 2 shown]
	v_lshlrev_b32_e32 v27, 5, v43
	s_addc_u32 s9, s11, 0
	v_and_b32_e32 v28, 16, v0
	v_lshl_add_u64 v[36:37], s[8:9], 0, v[28:29]
	v_lshl_or_b32 v28, v41, 9, v27
	v_lshl_add_u64 v[28:29], v[36:37], 0, v[28:29]
	s_load_dword s13, s[0:1], 0x1c
	s_mov_b32 s44, 0xff7fffff
	s_waitcnt vmcnt(7)
	v_cvt_pk_f32_fp8_e32 v[30:31], v18
	v_cvt_pk_f32_fp8_sdwa v[32:33], v18 src0_sel:WORD_1
	v_cvt_pk_f32_fp8_e32 v[34:35], v19
	v_cvt_pk_f32_fp8_sdwa v[18:19], v19 src0_sel:WORD_1
	v_cvt_pkrtz_f16_f32 v30, v30, v31
	v_cvt_pkrtz_f16_f32 v31, v32, v33
	v_cvt_pk_f32_fp8_e32 v[36:37], v20
	v_cvt_pk_f32_fp8_sdwa v[38:39], v20 src0_sel:WORD_1
	v_cvt_pkrtz_f16_f32 v34, v34, v35
	v_cvt_pkrtz_f16_f32 v35, v18, v19
	s_waitcnt lgkmcnt(0)
	v_mfma_f32_16x16x16_f16 v[30:33], v[30:31], v[6:7], 0
	v_cvt_pkrtz_f16_f32 v36, v36, v37
	v_cvt_pkrtz_f16_f32 v37, v38, v39
	v_cvt_pk_f32_fp8_e32 v[48:49], v21
	v_cvt_pk_f32_fp8_sdwa v[50:51], v21 src0_sel:WORD_1
	v_mfma_f32_16x16x16_f16 v[18:21], v[34:35], v[8:9], v[30:33]
	s_waitcnt vmcnt(6)
	v_cvt_pk_f32_fp8_e32 v[34:35], v10
	v_cvt_pkrtz_f16_f32 v38, v48, v49
	v_cvt_pkrtz_f16_f32 v39, v50, v51
	v_mfma_f32_16x16x16_f16 v[30:33], v[36:37], v[2:3], v[18:21]
	v_cvt_pk_f32_fp8_e32 v[36:37], v11
	v_cvt_pkrtz_f16_f32 v34, v34, v35
	v_cvt_pk_f32_fp8_sdwa v[48:49], v12 src0_sel:WORD_1
	v_cvt_pk_f32_fp8_sdwa v[20:21], v10 src0_sel:WORD_1
	;; [unrolled: 1-line block ×3, first 2 shown]
	v_mfma_f32_16x16x16_f16 v[30:33], v[38:39], v[4:5], v[30:33]
	v_cvt_pk_f32_fp8_e32 v[38:39], v12
	v_cvt_pkrtz_f16_f32 v35, v20, v21
	v_cvt_pkrtz_f16_f32 v20, v36, v37
	;; [unrolled: 1-line block ×3, first 2 shown]
	v_mfma_f32_16x16x16_f16 v[34:37], v[34:35], v[6:7], 0
	v_cvt_pkrtz_f16_f32 v38, v38, v39
	v_cvt_pkrtz_f16_f32 v39, v48, v49
	v_cvt_pk_f32_fp8_e32 v[48:49], v13
	v_cvt_pk_f32_fp8_sdwa v[50:51], v13 src0_sel:WORD_1
	v_mfma_f32_16x16x16_f16 v[10:13], v[20:21], v[8:9], v[34:37]
	s_waitcnt vmcnt(4)
	v_mad_i64_i32 v[18:19], s[6:7], v47, s45, v[28:29]
	v_cvt_pkrtz_f16_f32 v20, v48, v49
	v_mov_b32_e32 v34, s13
	v_cvt_pkrtz_f16_f32 v21, v50, v51
	v_mfma_f32_16x16x16_f16 v[10:13], v[38:39], v[2:3], v[10:13]
	v_mul_f32_e32 v52, s4, v34
	v_cvt_pk_f32_fp8_e32 v[34:35], v22
	v_cvt_pk_f32_fp8_sdwa v[36:37], v22 src0_sel:WORD_1
	v_mfma_f32_16x16x16_f16 v[10:13], v[20:21], v[4:5], v[10:13]
	v_cvt_pk_f32_fp8_e32 v[20:21], v23
	v_cvt_pkrtz_f16_f32 v34, v34, v35
	v_cvt_pkrtz_f16_f32 v35, v36, v37
	v_cvt_pk_f32_fp8_sdwa v[22:23], v23 src0_sel:WORD_1
	v_cvt_pkrtz_f16_f32 v36, v20, v21
	v_cvt_pk_f32_fp8_e32 v[38:39], v24
	v_cvt_pk_f32_fp8_sdwa v[48:49], v24 src0_sel:WORD_1
	v_cvt_pkrtz_f16_f32 v37, v22, v23
	v_mfma_f32_16x16x16_f16 v[20:23], v[34:35], v[6:7], 0
	v_cvt_pkrtz_f16_f32 v38, v38, v39
	v_cvt_pkrtz_f16_f32 v39, v48, v49
	v_cvt_pk_f32_fp8_e32 v[48:49], v25
	v_cvt_pk_f32_fp8_sdwa v[24:25], v25 src0_sel:WORD_1
	v_mfma_f32_16x16x16_f16 v[34:37], v[36:37], v[8:9], v[20:23]
	s_nop 2
	v_cvt_pkrtz_f16_f32 v20, v48, v49
	v_cvt_pkrtz_f16_f32 v21, v24, v25
	v_pk_mul_f32 v[22:23], v[52:53], v[32:33] op_sel_hi:[0,1]
	v_mfma_f32_16x16x16_f16 v[34:37], v[38:39], v[2:3], v[34:37]
	v_pk_mul_f32 v[32:33], v[52:53], v[30:31] op_sel_hi:[0,1]
	s_waitcnt vmcnt(3)
	v_cvt_pk_f32_fp8_e32 v[24:25], v14
	v_cvt_pk_f32_fp8_sdwa v[30:31], v14 src0_sel:WORD_1
	v_mfma_f32_16x16x16_f16 v[48:51], v[20:21], v[4:5], v[34:37]
	v_cvt_pk_f32_fp8_e32 v[20:21], v15
	v_cvt_pkrtz_f16_f32 v24, v24, v25
	v_cvt_pkrtz_f16_f32 v25, v30, v31
	v_cvt_pk_f32_fp8_sdwa v[14:15], v15 src0_sel:WORD_1
	v_cvt_pkrtz_f16_f32 v20, v20, v21
	v_cvt_pk_f32_fp8_e32 v[30:31], v16
	v_cvt_pk_f32_fp8_sdwa v[38:39], v16 src0_sel:WORD_1
	v_cvt_pkrtz_f16_f32 v21, v14, v15
	v_mfma_f32_16x16x16_f16 v[34:37], v[24:25], v[6:7], 0
	v_cvt_pkrtz_f16_f32 v14, v30, v31
	v_cvt_pkrtz_f16_f32 v15, v38, v39
	v_cvt_pk_f32_fp8_e32 v[24:25], v17
	v_cvt_pk_f32_fp8_sdwa v[16:17], v17 src0_sel:WORD_1
	v_mfma_f32_16x16x16_f16 v[6:9], v[20:21], v[8:9], v[34:37]
	v_pk_mul_f32 v[38:39], v[52:53], v[10:11] op_sel_hi:[0,1]
	v_pk_mul_f32 v[30:31], v[52:53], v[50:51] op_sel_hi:[0,1]
	s_nop 0
	v_pk_mul_f32 v[34:35], v[52:53], v[12:13] op_sel_hi:[0,1]
	v_cvt_pkrtz_f16_f32 v12, v24, v25
	v_cvt_pkrtz_f16_f32 v13, v16, v17
	v_mfma_f32_16x16x16_f16 v[6:9], v[14:15], v[2:3], v[6:9]
	v_pk_mul_f32 v[36:37], v[52:53], v[48:49] op_sel_hi:[0,1]
	v_mfma_f32_16x16x16_f16 v[2:5], v[12:13], v[4:5], v[6:9]
	s_nop 6
	v_pk_mul_f32 v[24:25], v[52:53], v[2:3] op_sel_hi:[0,1]
	v_and_b32_e32 v2, 0xc0, v0
	v_add_u32_e32 v2, s5, v2
	v_lshl_or_b32 v2, v1, 2, v2
	v_pk_mul_f32 v[20:21], v[52:53], v[4:5] op_sel_hi:[0,1]
	v_or_b32_e32 v5, 1, v2
	v_mov_b32_e32 v3, 0xff7fffff
	v_cmp_gt_i32_e64 s[4:5], s48, v2
	v_cmp_gt_i32_e64 s[34:35], s48, v5
	v_or_b32_e32 v6, 3, v2
	v_cndmask_b32_e64 v4, v3, v32, s[4:5]
	v_cndmask_b32_e64 v5, v3, v33, s[34:35]
	v_max3_f32 v4, v4, s44, v5
	v_or_b32_e32 v5, 2, v2
	v_cmp_gt_i32_e64 s[36:37], s48, v5
	v_cmp_gt_i32_e64 s[38:39], s48, v6
	s_nop 0
	v_cndmask_b32_e64 v5, v3, v22, s[36:37]
	v_cndmask_b32_e64 v6, v3, v23, s[38:39]
	v_max3_f32 v4, v4, v5, v6
	v_or_b32_e32 v5, 16, v2
	v_or_b32_e32 v6, 17, v2
	v_cmp_gt_i32_e64 s[24:25], s48, v5
	v_cmp_gt_i32_e64 s[26:27], s48, v6
	s_nop 0
	v_cndmask_b32_e64 v5, v3, v38, s[24:25]
	v_cndmask_b32_e64 v6, v3, v39, s[26:27]
	v_max3_f32 v4, v4, v5, v6
	v_or_b32_e32 v5, 18, v2
	;; [unrolled: 8-line block ×6, first 2 shown]
	v_or_b32_e32 v2, 51, v2
	v_cmp_gt_i32_e32 vcc, s48, v5
	v_cmp_gt_i32_e64 s[6:7], s48, v2
	s_nop 0
	v_cndmask_b32_e32 v5, v3, v20, vcc
	v_cndmask_b32_e64 v2, v3, v21, s[6:7]
	v_max3_f32 v4, v4, v5, v2
	v_mbcnt_lo_u32_b32 v2, -1, 0
	v_mbcnt_hi_u32_b32 v5, -1, v2
	v_and_b32_e32 v2, 64, v5
	v_add_u32_e32 v6, 64, v2
	v_xor_b32_e32 v2, 32, v5
	v_cmp_lt_i32_e64 s[40:41], v2, v6
	s_nop 1
	v_cndmask_b32_e64 v2, v5, v2, s[40:41]
	v_lshlrev_b32_e32 v47, 2, v2
	ds_bpermute_b32 v7, v47, v4
	s_waitcnt vmcnt(2)
	v_mad_i64_i32 v[2:3], s[40:41], v46, s45, v[28:29]
	global_load_dwordx4 v[14:17], v[18:19], off
	global_load_dwordx4 v[10:13], v[2:3], off
	v_xor_b32_e32 v3, 16, v5
	v_cmp_lt_i32_e64 s[40:41], v3, v6
	s_waitcnt lgkmcnt(0)
	v_max_f32_e32 v2, v7, v7
	v_max_f32_e32 v2, v4, v2
	v_cndmask_b32_e64 v3, v5, v3, s[40:41]
	v_lshlrev_b32_e32 v46, 2, v3
	ds_bpermute_b32 v3, v46, v2
	s_waitcnt vmcnt(3)
	v_mad_i64_i32 v[18:19], s[40:41], v44, s45, v[28:29]
	s_waitcnt vmcnt(2)
	v_mad_i64_i32 v[28:29], s[40:41], v45, s45, v[28:29]
	s_waitcnt lgkmcnt(0)
	v_max_f32_e32 v3, v3, v3
	v_max_f32_e32 v44, v2, v3
	v_sub_f32_e32 v2, v32, v44
	v_mul_f32_e32 v2, 0x3fb8aa3b, v2
	v_exp_f32_e32 v32, v2
	v_sub_f32_e32 v2, v33, v44
	v_mul_f32_e32 v2, 0x3fb8aa3b, v2
	v_exp_f32_e32 v33, v2
	global_load_dwordx4 v[6:9], v[18:19], off
	global_load_dwordx4 v[2:5], v[28:29], off
	v_sub_f32_e32 v22, v22, v44
	v_mul_f32_e32 v22, 0x3fb8aa3b, v22
	v_sub_f32_e32 v23, v23, v44
	v_exp_f32_e32 v22, v22
	v_mul_f32_e32 v23, 0x3fb8aa3b, v23
	v_exp_f32_e32 v23, v23
	v_cndmask_b32_e64 v18, 0, v32, s[4:5]
	v_add_f32_e32 v28, 0, v18
	v_cndmask_b32_e64 v19, 0, v33, s[34:35]
	v_add_f32_e32 v28, v28, v19
	;; [unrolled: 2-line block ×3, first 2 shown]
	v_cndmask_b32_e64 v33, 0, v23, s[38:39]
	v_sub_f32_e32 v23, v38, v44
	v_sub_f32_e32 v28, v39, v44
	v_mul_f32_e32 v23, 0x3fb8aa3b, v23
	v_mul_f32_e32 v28, 0x3fb8aa3b, v28
	v_exp_f32_e32 v23, v23
	v_exp_f32_e32 v28, v28
	v_add_f32_e32 v29, v22, v33
	v_sub_f32_e32 v30, v30, v44
	v_cndmask_b32_e64 v22, 0, v23, s[24:25]
	v_cndmask_b32_e64 v23, 0, v28, s[26:27]
	v_sub_f32_e32 v28, v34, v44
	v_mul_f32_e32 v28, 0x3fb8aa3b, v28
	v_exp_f32_e32 v28, v28
	v_sub_f32_e32 v34, v35, v44
	v_add_f32_e32 v29, v29, v22
	v_mul_f32_e32 v34, 0x3fb8aa3b, v34
	v_exp_f32_e32 v35, v34
	v_add_f32_e32 v29, v29, v23
	v_cndmask_b32_e64 v34, 0, v28, s[20:21]
	v_add_f32_e32 v28, v29, v34
	v_sub_f32_e32 v29, v36, v44
	v_mul_f32_e32 v29, 0x3fb8aa3b, v29
	v_sub_f32_e32 v36, v37, v44
	v_exp_f32_e32 v29, v29
	v_mul_f32_e32 v36, 0x3fb8aa3b, v36
	v_exp_f32_e32 v36, v36
	v_mul_f32_e32 v30, 0x3fb8aa3b, v30
	v_sub_f32_e32 v31, v31, v44
	v_exp_f32_e32 v30, v30
	v_mul_f32_e32 v31, 0x3fb8aa3b, v31
	v_sub_f32_e32 v24, v24, v44
	v_cndmask_b32_e64 v35, 0, v35, s[22:23]
	v_exp_f32_e32 v31, v31
	v_mul_f32_e32 v24, 0x3fb8aa3b, v24
	v_sub_f32_e32 v25, v25, v44
	v_add_f32_e32 v37, v28, v35
	v_cndmask_b32_e64 v28, 0, v29, s[16:17]
	v_exp_f32_e32 v24, v24
	v_mul_f32_e32 v25, 0x3fb8aa3b, v25
	v_sub_f32_e32 v20, v20, v44
	v_add_f32_e32 v37, v37, v28
	;; [unrolled: 5-line block ×3, first 2 shown]
	v_cndmask_b32_e64 v30, 0, v30, s[12:13]
	v_exp_f32_e32 v20, v20
	v_mul_f32_e32 v21, 0x3fb8aa3b, v21
	v_add_f32_e32 v36, v36, v30
	v_cndmask_b32_e64 v31, 0, v31, s[14:15]
	v_exp_f32_e32 v21, v21
	v_add_f32_e32 v36, v36, v31
	v_cndmask_b32_e64 v24, 0, v24, s[8:9]
	v_add_f32_e32 v36, v36, v24
	v_cndmask_b32_e64 v25, 0, v25, s[10:11]
	v_add_f32_e32 v36, v36, v25
	v_cndmask_b32_e32 v20, 0, v20, vcc
	v_add_f32_e32 v36, v36, v20
	v_cndmask_b32_e64 v21, 0, v21, s[6:7]
	v_add_f32_e32 v36, v36, v21
	ds_bpermute_b32 v37, v47, v36
	v_cmp_gt_u32_e32 vcc, 16, v42
	s_waitcnt lgkmcnt(0)
	s_barrier
	v_add_f32_e32 v36, v36, v37
	ds_bpermute_b32 v38, v46, v36
	v_lshlrev_b32_e32 v37, 2, v43
	s_and_saveexec_b64 s[4:5], vcc
	s_cbranch_execz .LBB875_13
; %bb.12:
	s_waitcnt lgkmcnt(0)
	v_add_f32_e32 v36, v36, v38
	v_lshl_or_b32 v38, v41, 6, v37
	ds_write2st64_b32 v38, v44, v36 offset1:1
.LBB875_13:
	s_or_b64 exec, exec, s[4:5]
	s_load_dword s6, s[0:1], 0x94
	s_waitcnt lgkmcnt(0)
	s_barrier
	ds_read2_b32 v[38:39], v37 offset1:16
	ds_read2_b32 v[42:43], v37 offset0:32 offset1:48
	ds_read2_b32 v[44:45], v37 offset0:64 offset1:80
	s_lshl_b32 s7, s33, 3
	s_waitcnt lgkmcnt(2)
	v_max3_f32 v36, v38, s44, v39
	s_waitcnt lgkmcnt(1)
	v_max3_f32 v36, v36, v42, v43
	v_sub_f32_e32 v38, v38, v36
	v_mul_f32_e32 v38, 0x3fb8aa3b, v38
	v_exp_f32_e32 v46, v38
	v_sub_f32_e32 v38, v39, v36
	v_mul_f32_e32 v38, 0x3fb8aa3b, v38
	v_exp_f32_e32 v47, v38
	;; [unrolled: 3-line block ×3, first 2 shown]
	ds_read2_b32 v[38:39], v37 offset0:96 offset1:112
	v_sub_f32_e32 v37, v43, v36
	v_mul_f32_e32 v37, 0x3fb8aa3b, v37
	v_exp_f32_e32 v43, v37
	s_waitcnt lgkmcnt(1)
	v_fma_f32 v37, v46, v44, 0
	v_fmac_f32_e32 v37, v47, v45
	s_waitcnt lgkmcnt(0)
	v_fmac_f32_e32 v37, v42, v38
	v_fmac_f32_e32 v37, v43, v39
	v_add_f32_e32 v38, 0x358637bd, v37
	v_div_scale_f32 v39, s[4:5], v38, v38, 1.0
	v_rcp_f32_e32 v44, v39
	s_barrier
	v_fma_f32 v45, -v39, v44, 1.0
	v_fmac_f32_e32 v44, v45, v44
	v_div_scale_f32 v45, vcc, 1.0, v38, 1.0
	v_mul_f32_e32 v48, v45, v44
	v_fma_f32 v49, -v39, v48, v45
	v_fmac_f32_e32 v48, v49, v44
	v_fma_f32 v39, -v39, v48, v45
	v_div_fmas_f32 v39, v39, v44, v48
	v_cmp_eq_u32_e32 vcc, 1, v41
	v_div_fixup_f32 v38, v39, v38, 1.0
	s_nop 0
	v_cndmask_b32_e32 v39, v46, v47, vcc
	v_cmp_eq_u32_e32 vcc, 2, v41
	s_nop 1
	v_cndmask_b32_e32 v39, v39, v42, vcc
	v_cmp_eq_u32_e32 vcc, 3, v41
	s_nop 1
	v_cndmask_b32_e32 v39, v39, v43, vcc
	v_mul_f32_e32 v38, v39, v38
	v_pk_mul_f32 v[32:33], v[38:39], v[32:33] op_sel_hi:[0,1]
	v_pk_mul_f32 v[18:19], v[38:39], v[18:19] op_sel_hi:[0,1]
	v_cvt_f16_f32_e32 v39, v32
	v_cvt_f16_f32_e32 v33, v33
	;; [unrolled: 1-line block ×4, first 2 shown]
	v_cmp_gt_u32_e32 vcc, 8, v0
	v_pack_b32_f16 v33, v39, v33
	v_lshlrev_b32_e32 v39, 3, v1
	v_pack_b32_f16 v32, v18, v19
	v_pk_mul_f32 v[18:19], v[38:39], v[34:35] op_sel_hi:[0,1]
	v_pk_mul_f32 v[22:23], v[38:39], v[22:23] op_sel_hi:[0,1]
	v_cvt_f16_f32_e32 v22, v22
	v_cvt_f16_f32_e32 v23, v23
	v_cvt_f16_f32_e32 v34, v18
	v_cvt_f16_f32_e32 v19, v19
	v_lshlrev_b32_e32 v18, 11, v41
	v_or3_b32 v18, v18, v27, v39
	v_pack_b32_f16 v22, v22, v23
	v_pack_b32_f16 v23, v34, v19
	ds_write2st64_b64 v18, v[32:33], v[22:23] offset1:1
	v_pk_mul_f32 v[22:23], v[38:39], v[30:31] op_sel_hi:[0,1]
	v_pk_mul_f32 v[28:29], v[38:39], v[28:29] op_sel_hi:[0,1]
	v_cvt_f16_f32_e32 v19, v28
	v_cvt_f16_f32_e32 v28, v29
	;; [unrolled: 1-line block ×4, first 2 shown]
	v_pk_mul_f32 v[20:21], v[38:39], v[20:21] op_sel_hi:[0,1]
	v_pk_mul_f32 v[22:23], v[38:39], v[24:25] op_sel_hi:[0,1]
	v_cvt_f16_f32_e32 v22, v22
	v_cvt_f16_f32_e32 v23, v23
	;; [unrolled: 1-line block ×4, first 2 shown]
	v_pack_b32_f16 v20, v19, v28
	v_pack_b32_f16 v21, v29, v30
	v_pack_b32_f16 v22, v22, v23
	v_pack_b32_f16 v23, v24, v25
	ds_write2st64_b64 v18, v[20:21], v[22:23] offset0:2 offset1:3
	s_and_saveexec_b64 s[4:5], vcc
	s_cbranch_execz .LBB875_15
; %bb.14:
	v_or_b32_e32 v20, s29, v0
	v_mov_b32_e32 v21, 0
	v_mov_b32_e32 v19, s7
	v_mad_u64_u32 v[22:23], s[12:13], s2, v19, v[20:21]
	v_mov_b32_e32 v20, s28
	s_load_dwordx4 s[8:11], s[0:1], 0x58
	s_mul_i32 s3, s3, s7
	v_mad_u64_u32 v[20:21], s[12:13], v22, s6, v[20:21]
	v_add_u32_e32 v19, s3, v23
	v_mov_b32_e32 v22, v21
	v_mad_u64_u32 v[22:23], s[12:13], v19, s6, v[22:23]
	v_mov_b32_e32 v21, v22
	v_lshlrev_b64 v[20:21], 2, v[20:21]
	s_waitcnt lgkmcnt(0)
	v_lshl_add_u64 v[22:23], s[10:11], 0, v[20:21]
	v_lshl_add_u64 v[20:21], s[8:9], 0, v[20:21]
	global_store_dword v[22:23], v36, off
	global_store_dword v[20:21], v37, off
.LBB875_15:
	s_or_b64 exec, exec, s[4:5]
	s_waitcnt vmcnt(3)
	v_cvt_pk_f32_fp8_e32 v[20:21], v14
	v_cvt_pk_f32_fp8_sdwa v[22:23], v14 src0_sel:WORD_1
	v_lshl_or_b32 v14, v1, 9, v27
	s_waitcnt lgkmcnt(0)
	s_barrier
	v_cvt_pk_f32_fp8_e32 v[24:25], v15
	v_cvt_pkrtz_f16_f32 v32, v20, v21
	v_cvt_pkrtz_f16_f32 v33, v22, v23
	v_cvt_pk_f32_fp8_sdwa v[28:29], v15 src0_sel:WORD_1
	ds_read_b128 v[20:23], v14
	v_cvt_pkrtz_f16_f32 v24, v24, v25
	v_cvt_pk_f32_fp8_e32 v[36:37], v16
	v_cvt_pkrtz_f16_f32 v25, v28, v29
	ds_read_b128 v[28:31], v14 offset:16
	v_cvt_pk_f32_fp8_sdwa v[38:39], v16 src0_sel:WORD_1
	s_waitcnt lgkmcnt(1)
	v_mfma_f32_16x16x16_f16 v[32:35], v[32:33], v[20:21], 0
	v_cvt_pkrtz_f16_f32 v36, v36, v37
	s_load_dword s4, s[42:43], 0x0
	v_cvt_pkrtz_f16_f32 v37, v38, v39
	v_cvt_pk_f32_fp8_e32 v[38:39], v17
	v_cvt_pk_f32_fp8_sdwa v[16:17], v17 src0_sel:WORD_1
	v_mfma_f32_16x16x16_f16 v[20:23], v[24:25], v[22:23], v[32:35]
	v_cmp_gt_u32_e32 vcc, 64, v0
	v_cvt_pkrtz_f16_f32 v24, v38, v39
	v_cvt_pkrtz_f16_f32 v25, v16, v17
	s_waitcnt lgkmcnt(0)
	v_mfma_f32_16x16x16_f16 v[20:23], v[36:37], v[28:29], v[20:23]
	s_waitcnt vmcnt(2)
	v_cvt_pk_f32_fp8_e32 v[16:17], v10
	v_cvt_pk_f32_fp8_e32 v[28:29], v11
	v_cvt_pk_f32_fp8_sdwa v[36:37], v12 src0_sel:WORD_1
	v_mfma_f32_16x16x16_f16 v[20:23], v[24:25], v[30:31], v[20:23]
	v_cvt_pk_f32_fp8_sdwa v[24:25], v10 src0_sel:WORD_1
	v_cvt_pkrtz_f16_f32 v10, v16, v17
	v_cvt_pk_f32_fp8_sdwa v[16:17], v11 src0_sel:WORD_1
	ds_read_b128 v[32:35], v14 offset:2064
	v_cvt_pkrtz_f16_f32 v11, v24, v25
	v_cvt_pkrtz_f16_f32 v24, v28, v29
	ds_read_b128 v[28:31], v14 offset:2048
	v_cvt_pkrtz_f16_f32 v25, v16, v17
	v_cvt_pk_f32_fp8_e32 v[16:17], v12
	s_waitcnt lgkmcnt(0)
	v_mfma_f32_16x16x16_f16 v[20:23], v[10:11], v[28:29], v[20:23]
	v_cvt_pkrtz_f16_f32 v10, v16, v17
	v_cvt_pkrtz_f16_f32 v11, v36, v37
	v_cvt_pk_f32_fp8_e32 v[16:17], v13
	v_mfma_f32_16x16x16_f16 v[20:23], v[24:25], v[30:31], v[20:23]
	v_cvt_pk_f32_fp8_sdwa v[24:25], v13 src0_sel:WORD_1
	ds_read_b128 v[28:31], v14 offset:4112
	v_cvt_pkrtz_f16_f32 v16, v16, v17
	v_mfma_f32_16x16x16_f16 v[10:13], v[10:11], v[32:33], v[20:23]
	v_cvt_pkrtz_f16_f32 v17, v24, v25
	s_waitcnt vmcnt(1)
	v_cvt_pk_f32_fp8_sdwa v[24:25], v7 src0_sel:WORD_1
	v_cvt_pk_f32_fp8_sdwa v[32:33], v8 src0_sel:WORD_1
	v_cvt_pk_f32_fp8_e32 v[20:21], v6
	v_mfma_f32_16x16x16_f16 v[10:13], v[16:17], v[34:35], v[10:13]
	v_cvt_pk_f32_fp8_sdwa v[16:17], v6 src0_sel:WORD_1
	v_cvt_pk_f32_fp8_e32 v[22:23], v7
	v_cvt_pkrtz_f16_f32 v6, v20, v21
	s_mov_b32 s3, 0
	v_cvt_pkrtz_f16_f32 v7, v16, v17
	v_cvt_pkrtz_f16_f32 v16, v22, v23
	ds_read_b128 v[20:23], v14 offset:4096
	v_cvt_pkrtz_f16_f32 v17, v24, v25
	v_cvt_pk_f32_fp8_e32 v[24:25], v8
	s_waitcnt lgkmcnt(0)
	v_mfma_f32_16x16x16_f16 v[10:13], v[6:7], v[20:21], v[10:13]
	v_cvt_pkrtz_f16_f32 v6, v24, v25
	v_cvt_pkrtz_f16_f32 v7, v32, v33
	v_cvt_pk_f32_fp8_e32 v[20:21], v9
	v_mfma_f32_16x16x16_f16 v[10:13], v[16:17], v[22:23], v[10:13]
	v_cvt_pk_f32_fp8_sdwa v[16:17], v9 src0_sel:WORD_1
	s_waitcnt vmcnt(0)
	v_cvt_pk_f32_fp8_sdwa v[24:25], v4 src0_sel:WORD_1
	v_cvt_pkrtz_f16_f32 v20, v20, v21
	v_mfma_f32_16x16x16_f16 v[6:9], v[6:7], v[28:29], v[10:13]
	v_cvt_pkrtz_f16_f32 v21, v16, v17
	v_cvt_pk_f32_fp8_e32 v[16:17], v3
	v_mov_b32_e32 v27, 0
	v_cvt_pk_f32_fp8_e32 v[10:11], v2
	v_cvt_pk_f32_fp8_sdwa v[12:13], v2 src0_sel:WORD_1
	v_mfma_f32_16x16x16_f16 v[6:9], v[20:21], v[30:31], v[6:9]
	v_cvt_pk_f32_fp8_sdwa v[20:21], v3 src0_sel:WORD_1
	v_cvt_pkrtz_f16_f32 v2, v10, v11
	v_cvt_pkrtz_f16_f32 v3, v12, v13
	ds_read_b128 v[10:13], v14 offset:6144
	v_cvt_pkrtz_f16_f32 v22, v16, v17
	v_cvt_pkrtz_f16_f32 v23, v20, v21
	v_cvt_pk_f32_fp8_e32 v[20:21], v4
	s_waitcnt lgkmcnt(0)
	v_mfma_f32_16x16x16_f16 v[6:9], v[2:3], v[10:11], v[6:9]
	ds_read_b128 v[14:17], v14 offset:6160
	v_cvt_pkrtz_f16_f32 v2, v20, v21
	v_cvt_pkrtz_f16_f32 v3, v24, v25
	v_cvt_pk_f32_fp8_e32 v[10:11], v5
	v_mfma_f32_16x16x16_f16 v[6:9], v[22:23], v[12:13], v[6:9]
	v_cvt_pk_f32_fp8_sdwa v[12:13], v5 src0_sel:WORD_1
	s_waitcnt lgkmcnt(0)
	v_cvt_pkrtz_f16_f32 v10, v10, v11
	v_mfma_f32_16x16x16_f16 v[2:5], v[2:3], v[14:15], v[6:9]
	v_cvt_pkrtz_f16_f32 v11, v12, v13
	s_barrier
	s_nop 0
	v_mfma_f32_16x16x16_f16 v[2:5], v[10:11], v[16:17], v[2:5]
	s_nop 6
	v_pk_mul_f32 v[4:5], v[4:5], s[4:5] op_sel_hi:[1,0]
	v_pk_mul_f32 v[2:3], v[2:3], s[4:5] op_sel_hi:[1,0]
	v_cvt_f16_f32_e32 v4, v4
	v_cvt_f16_f32_e32 v2, v2
	;; [unrolled: 1-line block ×4, first 2 shown]
	s_and_b64 s[4:5], vcc, s[30:31]
	v_pack_b32_f16 v2, v2, v3
	v_pack_b32_f16 v3, v4, v5
	ds_write_b64 v18, v[2:3]
	s_waitcnt lgkmcnt(0)
	s_barrier
	s_and_saveexec_b64 s[8:9], s[4:5]
	s_cbranch_execz .LBB875_17
; %bb.16:
	s_load_dwordx2 s[0:1], s[0:1], 0x68
	s_lshl_b32 s6, s6, 6
	s_mul_i32 s2, s7, s2
	s_mul_hi_u32 s5, s2, s6
	s_mul_i32 s4, s2, s6
	s_lshl_b64 s[4:5], s[4:5], 1
	v_lshlrev_b32_e32 v0, 10, v0
	s_waitcnt lgkmcnt(0)
	s_add_u32 s4, s0, s4
	v_and_b32_e32 v0, 0x1800, v0
	v_lshlrev_b32_e32 v2, 5, v1
	v_and_b32_e32 v3, 16, v40
	s_addc_u32 s5, s1, s5
	s_lshl_b32 s2, s28, 6
	v_or3_b32 v0, v0, v2, v3
	s_lshl_b64 s[0:1], s[2:3], 1
	ds_read_b128 v[2:5], v0
	ds_read_b128 v[6:9], v0 offset:128
	s_add_u32 s0, s4, s0
	s_addc_u32 s1, s5, s1
	v_or_b32_e32 v12, s29, v1
	v_lshl_add_u64 v[10:11], s[0:1], 0, v[26:27]
	v_mad_u64_u32 v[0:1], s[0:1], v12, s6, 0
	v_lshl_add_u64 v[0:1], v[0:1], 1, v[10:11]
	s_waitcnt lgkmcnt(1)
	global_store_dwordx4 v[0:1], v[2:5], off
	v_or_b32_e32 v0, 4, v12
	v_mad_u64_u32 v[0:1], s[0:1], v0, s6, 0
	v_lshl_add_u64 v[0:1], v[0:1], 1, v[10:11]
	s_waitcnt lgkmcnt(0)
	global_store_dwordx4 v[0:1], v[6:9], off
.LBB875_17:
	s_endpgm
	.section	.rodata,"a",@progbits
	.p2align	6, 0x0
	.amdhsa_kernel _Z39paged_attention_ll4mi_QKV_mfma16_kernelIDF16_hLN4vllm18Fp8KVCacheDataTypeE1EhLi32ELi64ELi256ELb0ELi8EEvPKT_PKT0_S7_ifPKiS9_S9_iPKfiiiPfSC_PS2_PT2_iSB_SB_
		.amdhsa_group_segment_fixed_size 8192
		.amdhsa_private_segment_fixed_size 0
		.amdhsa_kernarg_size 400
		.amdhsa_user_sgpr_count 2
		.amdhsa_user_sgpr_dispatch_ptr 0
		.amdhsa_user_sgpr_queue_ptr 0
		.amdhsa_user_sgpr_kernarg_segment_ptr 1
		.amdhsa_user_sgpr_dispatch_id 0
		.amdhsa_user_sgpr_kernarg_preload_length 0
		.amdhsa_user_sgpr_kernarg_preload_offset 0
		.amdhsa_user_sgpr_private_segment_size 0
		.amdhsa_uses_dynamic_stack 0
		.amdhsa_enable_private_segment 0
		.amdhsa_system_sgpr_workgroup_id_x 1
		.amdhsa_system_sgpr_workgroup_id_y 1
		.amdhsa_system_sgpr_workgroup_id_z 1
		.amdhsa_system_sgpr_workgroup_info 0
		.amdhsa_system_vgpr_workitem_id 0
		.amdhsa_next_free_vgpr 54
		.amdhsa_next_free_sgpr 49
		.amdhsa_accum_offset 56
		.amdhsa_reserve_vcc 1
		.amdhsa_float_round_mode_32 0
		.amdhsa_float_round_mode_16_64 0
		.amdhsa_float_denorm_mode_32 3
		.amdhsa_float_denorm_mode_16_64 3
		.amdhsa_dx10_clamp 1
		.amdhsa_ieee_mode 1
		.amdhsa_fp16_overflow 0
		.amdhsa_tg_split 0
		.amdhsa_exception_fp_ieee_invalid_op 0
		.amdhsa_exception_fp_denorm_src 0
		.amdhsa_exception_fp_ieee_div_zero 0
		.amdhsa_exception_fp_ieee_overflow 0
		.amdhsa_exception_fp_ieee_underflow 0
		.amdhsa_exception_fp_ieee_inexact 0
		.amdhsa_exception_int_div_zero 0
	.end_amdhsa_kernel
	.section	.text._Z39paged_attention_ll4mi_QKV_mfma16_kernelIDF16_hLN4vllm18Fp8KVCacheDataTypeE1EhLi32ELi64ELi256ELb0ELi8EEvPKT_PKT0_S7_ifPKiS9_S9_iPKfiiiPfSC_PS2_PT2_iSB_SB_,"axG",@progbits,_Z39paged_attention_ll4mi_QKV_mfma16_kernelIDF16_hLN4vllm18Fp8KVCacheDataTypeE1EhLi32ELi64ELi256ELb0ELi8EEvPKT_PKT0_S7_ifPKiS9_S9_iPKfiiiPfSC_PS2_PT2_iSB_SB_,comdat
.Lfunc_end875:
	.size	_Z39paged_attention_ll4mi_QKV_mfma16_kernelIDF16_hLN4vllm18Fp8KVCacheDataTypeE1EhLi32ELi64ELi256ELb0ELi8EEvPKT_PKT0_S7_ifPKiS9_S9_iPKfiiiPfSC_PS2_PT2_iSB_SB_, .Lfunc_end875-_Z39paged_attention_ll4mi_QKV_mfma16_kernelIDF16_hLN4vllm18Fp8KVCacheDataTypeE1EhLi32ELi64ELi256ELb0ELi8EEvPKT_PKT0_S7_ifPKiS9_S9_iPKfiiiPfSC_PS2_PT2_iSB_SB_
                                        ; -- End function
	.section	.AMDGPU.csdata,"",@progbits
; Kernel info:
; codeLenInByte = 4620
; NumSgprs: 55
; NumVgprs: 54
; NumAgprs: 0
; TotalNumVgprs: 54
; ScratchSize: 0
; MemoryBound: 0
; FloatMode: 240
; IeeeMode: 1
; LDSByteSize: 8192 bytes/workgroup (compile time only)
; SGPRBlocks: 6
; VGPRBlocks: 6
; NumSGPRsForWavesPerEU: 55
; NumVGPRsForWavesPerEU: 54
; AccumOffset: 56
; Occupancy: 8
; WaveLimiterHint : 1
; COMPUTE_PGM_RSRC2:SCRATCH_EN: 0
; COMPUTE_PGM_RSRC2:USER_SGPR: 2
; COMPUTE_PGM_RSRC2:TRAP_HANDLER: 0
; COMPUTE_PGM_RSRC2:TGID_X_EN: 1
; COMPUTE_PGM_RSRC2:TGID_Y_EN: 1
; COMPUTE_PGM_RSRC2:TGID_Z_EN: 1
; COMPUTE_PGM_RSRC2:TIDIG_COMP_CNT: 0
; COMPUTE_PGM_RSRC3_GFX90A:ACCUM_OFFSET: 13
; COMPUTE_PGM_RSRC3_GFX90A:TG_SPLIT: 0
	.section	.text._Z39paged_attention_ll4mi_QKV_mfma16_kernelIDF16_hLN4vllm18Fp8KVCacheDataTypeE1EhLi32ELi64ELi256ELb0ELi9EEvPKT_PKT0_S7_ifPKiS9_S9_iPKfiiiPfSC_PS2_PT2_iSB_SB_,"axG",@progbits,_Z39paged_attention_ll4mi_QKV_mfma16_kernelIDF16_hLN4vllm18Fp8KVCacheDataTypeE1EhLi32ELi64ELi256ELb0ELi9EEvPKT_PKT0_S7_ifPKiS9_S9_iPKfiiiPfSC_PS2_PT2_iSB_SB_,comdat
	.protected	_Z39paged_attention_ll4mi_QKV_mfma16_kernelIDF16_hLN4vllm18Fp8KVCacheDataTypeE1EhLi32ELi64ELi256ELb0ELi9EEvPKT_PKT0_S7_ifPKiS9_S9_iPKfiiiPfSC_PS2_PT2_iSB_SB_ ; -- Begin function _Z39paged_attention_ll4mi_QKV_mfma16_kernelIDF16_hLN4vllm18Fp8KVCacheDataTypeE1EhLi32ELi64ELi256ELb0ELi9EEvPKT_PKT0_S7_ifPKiS9_S9_iPKfiiiPfSC_PS2_PT2_iSB_SB_
	.globl	_Z39paged_attention_ll4mi_QKV_mfma16_kernelIDF16_hLN4vllm18Fp8KVCacheDataTypeE1EhLi32ELi64ELi256ELb0ELi9EEvPKT_PKT0_S7_ifPKiS9_S9_iPKfiiiPfSC_PS2_PT2_iSB_SB_
	.p2align	8
	.type	_Z39paged_attention_ll4mi_QKV_mfma16_kernelIDF16_hLN4vllm18Fp8KVCacheDataTypeE1EhLi32ELi64ELi256ELb0ELi9EEvPKT_PKT0_S7_ifPKiS9_S9_iPKfiiiPfSC_PS2_PT2_iSB_SB_,@function
_Z39paged_attention_ll4mi_QKV_mfma16_kernelIDF16_hLN4vllm18Fp8KVCacheDataTypeE1EhLi32ELi64ELi256ELb0ELi9EEvPKT_PKT0_S7_ifPKiS9_S9_iPKfiiiPfSC_PS2_PT2_iSB_SB_: ; @_Z39paged_attention_ll4mi_QKV_mfma16_kernelIDF16_hLN4vllm18Fp8KVCacheDataTypeE1EhLi32ELi64ELi256ELb0ELi9EEvPKT_PKT0_S7_ifPKiS9_S9_iPKfiiiPfSC_PS2_PT2_iSB_SB_
; %bb.0:
	s_load_dwordx2 s[12:13], s[0:1], 0x30
	s_mov_b32 s28, s3
	s_mov_b64 s[6:7], 0
	s_waitcnt lgkmcnt(0)
	s_cmp_lg_u64 s[12:13], 0
	s_cselect_b64 s[14:15], -1, 0
	s_and_b64 vcc, exec, s[14:15]
	s_cbranch_vccz .LBB876_7
; %bb.1:
	s_add_i32 s8, s2, 1
	s_mov_b32 s9, 0
	s_lshl_b64 s[10:11], s[8:9], 2
	s_add_u32 s10, s12, s10
	s_mov_b32 s3, s9
	s_addc_u32 s11, s13, s11
	s_lshl_b64 s[8:9], s[2:3], 2
	s_add_u32 s8, s12, s8
	s_addc_u32 s9, s13, s9
	s_load_dword s5, s[10:11], 0x0
	s_load_dword s16, s[8:9], 0x0
	s_waitcnt lgkmcnt(0)
	s_sub_i32 s5, s5, s16
	s_cmp_eq_u32 s5, 1
	s_cselect_b64 s[8:9], -1, 0
	s_andn2_b64 vcc, exec, s[6:7]
	s_cbranch_vccnz .LBB876_3
.LBB876_2:
	s_mov_b32 s3, 0
	s_mov_b64 s[8:9], -1
.LBB876_3:
	s_andn2_b64 vcc, exec, s[8:9]
	s_cbranch_vccnz .LBB876_18
; %bb.4:
	s_load_dwordx2 s[6:7], s[0:1], 0x28
	s_lshl_b64 s[16:17], s[2:3], 2
	s_waitcnt lgkmcnt(0)
	s_add_u32 s6, s6, s16
	s_addc_u32 s7, s7, s17
	s_load_dword s33, s[6:7], 0x0
	s_lshl_b32 s5, s28, 8
	s_waitcnt lgkmcnt(0)
	s_cmp_ge_i32 s5, s33
	s_cbranch_scc1 .LBB876_18
; %bb.5:
	s_load_dwordx2 s[6:7], s[0:1], 0x20
	s_load_dword s8, s[0:1], 0x38
	s_add_i32 s9, s33, 31
	s_ashr_i32 s10, s9, 31
	v_and_b32_e32 v1, 0xcf, v0
	s_lshr_b32 s10, s10, 27
	v_add_u32_e32 v1, s5, v1
	s_add_i32 s9, s9, s10
	v_ashrrev_i32_e32 v2, 31, v1
	s_ashr_i32 s18, s9, 5
	v_lshrrev_b32_e32 v4, 27, v2
	s_add_i32 s18, s18, -1
	s_waitcnt lgkmcnt(0)
	s_mul_i32 s8, s2, s8
	s_mov_b32 s9, 0
	v_add_u32_e32 v2, v1, v4
	s_lshl_b64 s[8:9], s[8:9], 2
	v_ashrrev_i32_e32 v2, 5, v2
	v_mov_b32_e32 v5, s18
	v_cmp_gt_i32_e32 vcc, s33, v1
	s_add_u32 s6, s6, s8
	s_addc_u32 s7, s7, s9
	v_cndmask_b32_e32 v2, v5, v2, vcc
	v_ashrrev_i32_e32 v3, 31, v2
	v_lshl_add_u64 v[6:7], v[2:3], 2, s[6:7]
	v_or_b32_e32 v2, 16, v1
	v_add_u32_e32 v3, v2, v4
	v_ashrrev_i32_e32 v3, 5, v3
	v_cmp_gt_i32_e32 vcc, s33, v2
	s_load_dwordx4 s[8:11], s[0:1], 0x8
	s_nop 0
	v_cndmask_b32_e32 v2, v5, v3, vcc
	v_ashrrev_i32_e32 v3, 31, v2
	v_lshl_add_u64 v[8:9], v[2:3], 2, s[6:7]
	v_or_b32_e32 v2, 32, v1
	v_add_u32_e32 v3, v2, v4
	v_ashrrev_i32_e32 v3, 5, v3
	v_cmp_gt_i32_e32 vcc, s33, v2
	v_or_b32_e32 v1, 48, v1
	s_nop 0
	v_cndmask_b32_e32 v2, v5, v3, vcc
	v_ashrrev_i32_e32 v3, 31, v2
	v_lshl_add_u64 v[10:11], v[2:3], 2, s[6:7]
	v_add_u32_e32 v2, v1, v4
	v_ashrrev_i32_e32 v2, 5, v2
	v_cmp_gt_i32_e32 vcc, s33, v1
	s_nop 1
	v_cndmask_b32_e32 v2, v5, v2, vcc
	v_ashrrev_i32_e32 v3, 31, v2
	v_lshl_add_u64 v[14:15], v[2:3], 2, s[6:7]
	global_load_dword v2, v[6:7], off
	global_load_dword v5, v[8:9], off
	;; [unrolled: 1-line block ×4, first 2 shown]
	s_andn2_b64 vcc, exec, s[14:15]
	s_cbranch_vccnz .LBB876_8
; %bb.6:
	s_add_u32 s12, s12, s16
	s_addc_u32 s13, s13, s17
	s_load_dword s14, s[12:13], 0x0
	s_branch .LBB876_9
.LBB876_7:
	s_mov_b64 s[8:9], 0
	s_branch .LBB876_2
.LBB876_8:
	s_mov_b32 s14, s2
.LBB876_9:
	s_load_dwordx4 s[44:47], s[0:1], 0x48
	v_lshrrev_b32_e32 v29, 6, v0
	v_bfe_u32 v42, v0, 4, 2
	v_lshl_or_b32 v3, v29, 2, v42
	v_and_b32_e32 v28, 15, v0
	v_lshlrev_b32_e32 v1, 3, v28
	v_cmp_gt_u32_e32 vcc, 9, v3
	v_cmp_gt_u32_e64 s[30:31], 8, v28
	v_and_b32_e32 v43, 63, v0
	s_mul_i32 s48, s4, 9
	s_and_b64 s[16:17], s[30:31], vcc
	v_lshlrev_b32_e32 v26, 1, v1
	v_lshlrev_b32_e32 v1, 4, v0
	s_and_saveexec_b64 s[12:13], s[16:17]
	s_cbranch_execz .LBB876_11
; %bb.10:
	s_load_dwordx2 s[16:17], s[0:1], 0x0
	s_waitcnt lgkmcnt(0)
	s_ashr_i32 s15, s44, 31
	s_mul_hi_u32 s19, s14, s44
	s_mul_i32 s15, s14, s15
	s_add_i32 s15, s19, s15
	s_mul_i32 s14, s14, s44
	s_lshl_b64 s[14:15], s[14:15], 1
	s_add_u32 s14, s16, s14
	v_add_lshl_u32 v6, v3, s48, 6
	s_addc_u32 s15, s17, s15
	v_ashrrev_i32_e32 v7, 31, v6
	v_lshl_add_u64 v[6:7], v[6:7], 1, s[14:15]
	v_mov_b32_e32 v27, 0
	v_lshl_add_u64 v[6:7], v[6:7], 0, v[26:27]
	global_load_dwordx4 v[6:9], v[6:7], off
	v_lshlrev_b32_e32 v11, 8, v28
	v_lshlrev_b32_e32 v3, 5, v3
	v_and_b32_e32 v10, 16, v1
	v_and_b32_e32 v11, 0xe00, v11
	v_or3_b32 v3, v11, v3, v10
	s_waitcnt vmcnt(0)
	ds_write_b128 v3, v[6:9]
.LBB876_11:
	s_or_b64 exec, exec, s[12:13]
	s_waitcnt lgkmcnt(0)
	s_mul_i32 s4, s4, s46
	s_add_u32 s8, s8, s4
	s_addc_u32 s9, s9, 0
	v_mov_b32_e32 v31, 0
	v_mov_b64_e32 v[10:11], s[8:9]
	v_and_b32_e32 v8, 48, v0
	s_waitcnt vmcnt(3)
	v_mad_i64_i32 v[6:7], s[8:9], v2, s45, v[10:11]
	v_lshlrev_b32_e32 v2, 4, v28
	v_mov_b32_e32 v3, v31
	v_lshlrev_b32_e32 v30, 5, v8
	v_lshl_add_u64 v[6:7], v[6:7], 0, v[2:3]
	v_lshl_add_u64 v[6:7], v[6:7], 0, v[30:31]
	s_load_dword s29, s[0:1], 0x98
	s_load_dwordx4 s[40:43], s[0:1], 0x80
	s_waitcnt lgkmcnt(0)
	s_barrier
	global_load_dwordx4 v[14:17], v[6:7], off
	s_waitcnt vmcnt(3)
	v_mad_i64_i32 v[6:7], s[8:9], v5, s45, v[10:11]
	v_or_b32_e32 v32, 0x100, v2
	v_mov_b32_e32 v33, v31
	v_lshl_add_u64 v[6:7], v[6:7], 0, v[32:33]
	v_lshl_add_u64 v[6:7], v[6:7], 0, v[30:31]
	global_load_dwordx4 v[18:21], v[6:7], off
	s_ashr_i32 s8, s5, 31
	v_or_b32_e32 v5, s5, v8
	s_lshr_b32 s12, s8, 27
	v_add_u32_e32 v8, s12, v5
	v_cmp_gt_i32_e32 vcc, s33, v5
	v_or_b32_e32 v34, 64, v5
	v_or_b32_e32 v35, 0x80, v5
	;; [unrolled: 1-line block ×3, first 2 shown]
	s_waitcnt vmcnt(3)
	v_mad_i64_i32 v[4:5], s[8:9], v4, s45, v[10:11]
	v_lshl_add_u64 v[2:3], v[4:5], 0, v[2:3]
	v_lshl_add_u64 v[2:3], v[2:3], 0, v[30:31]
	global_load_dwordx4 v[22:25], v[2:3], off
	v_ashrrev_i32_e32 v8, 5, v8
	v_mov_b32_e32 v13, s18
	v_cndmask_b32_e32 v8, v13, v8, vcc
	v_ashrrev_i32_e32 v9, 31, v8
	v_add_u32_e32 v6, -9, v28
	v_cmp_gt_u32_e32 vcc, 9, v28
	s_waitcnt vmcnt(3)
	v_mad_i64_i32 v[10:11], s[8:9], v12, s45, v[10:11]
	v_add_u32_e32 v12, s12, v34
	v_lshl_add_u64 v[8:9], v[8:9], 2, s[6:7]
	v_cndmask_b32_e32 v6, v6, v28, vcc
	v_add_u32_e32 v37, s12, v35
	v_ashrrev_i32_e32 v12, 5, v12
	v_cmp_gt_i32_e32 vcc, s33, v34
	global_load_dword v45, v[8:9], off
	v_lshlrev_b32_e32 v6, 5, v6
	v_add_u32_e32 v38, s12, v36
	v_lshl_add_u64 v[10:11], v[10:11], 0, v[32:33]
	v_ashrrev_i32_e32 v33, 5, v37
	v_cndmask_b32_e32 v32, v13, v12, vcc
	v_cmp_gt_i32_e32 vcc, s33, v35
	v_lshl_add_u32 v2, v42, 9, v6
	v_ashrrev_i32_e32 v37, 5, v38
	v_lshl_add_u64 v[10:11], v[10:11], 0, v[30:31]
	v_cndmask_b32_e32 v34, v13, v33, vcc
	v_cmp_gt_i32_e32 vcc, s33, v36
	ds_read_b128 v[6:9], v2
	ds_read_b128 v[2:5], v2 offset:16
	v_cndmask_b32_e32 v36, v13, v37, vcc
	global_load_dwordx4 v[10:13], v[10:11], off
	v_ashrrev_i32_e32 v33, 31, v32
	v_ashrrev_i32_e32 v37, 31, v36
	;; [unrolled: 1-line block ×3, first 2 shown]
	v_lshl_add_u64 v[32:33], v[32:33], 2, s[6:7]
	v_lshl_add_u64 v[36:37], v[36:37], 2, s[6:7]
	;; [unrolled: 1-line block ×3, first 2 shown]
	global_load_dword v44, v[32:33], off
	global_load_dword v34, v[40:41], off
	;; [unrolled: 1-line block ×3, first 2 shown]
	s_add_u32 s8, s10, s4
	v_lshlrev_b32_e32 v27, 5, v28
	s_addc_u32 s9, s11, 0
	v_and_b32_e32 v30, 16, v0
	v_lshl_add_u64 v[38:39], s[8:9], 0, v[30:31]
	v_lshl_or_b32 v30, v29, 9, v27
	v_lshl_add_u64 v[30:31], v[38:39], 0, v[30:31]
	s_load_dword s13, s[0:1], 0x1c
	s_load_dword s4, s[40:41], 0x0
	s_mov_b32 s44, 0xff7fffff
	s_waitcnt vmcnt(7)
	v_cvt_pk_f32_fp8_e32 v[32:33], v14
	v_cvt_pk_f32_fp8_sdwa v[36:37], v14 src0_sel:WORD_1
	v_cvt_pk_f32_fp8_e32 v[38:39], v15
	v_cvt_pk_f32_fp8_sdwa v[14:15], v15 src0_sel:WORD_1
	v_cvt_pkrtz_f16_f32 v32, v32, v33
	v_cvt_pkrtz_f16_f32 v33, v36, v37
	v_cvt_pk_f32_fp8_e32 v[40:41], v16
	v_cvt_pk_f32_fp8_sdwa v[46:47], v16 src0_sel:WORD_1
	v_cvt_pkrtz_f16_f32 v48, v38, v39
	v_cvt_pkrtz_f16_f32 v49, v14, v15
	s_waitcnt lgkmcnt(0)
	v_mfma_f32_16x16x16_f16 v[36:39], v[32:33], v[6:7], 0
	v_cvt_pk_f32_fp8_e32 v[32:33], v17
	v_cvt_pkrtz_f16_f32 v40, v40, v41
	v_cvt_pkrtz_f16_f32 v41, v46, v47
	v_cvt_pk_f32_fp8_sdwa v[16:17], v17 src0_sel:WORD_1
	v_mfma_f32_16x16x16_f16 v[36:39], v[48:49], v[8:9], v[36:39]
	v_cvt_pkrtz_f16_f32 v32, v32, v33
	s_waitcnt vmcnt(6)
	v_cvt_pk_f32_fp8_sdwa v[46:47], v20 src0_sel:WORD_1
	v_cvt_pkrtz_f16_f32 v33, v16, v17
	v_mfma_f32_16x16x16_f16 v[36:39], v[40:41], v[2:3], v[36:39]
	v_cvt_pk_f32_fp8_e32 v[16:17], v18
	v_cvt_pk_f32_fp8_sdwa v[40:41], v18 src0_sel:WORD_1
	s_waitcnt vmcnt(5)
	v_cvt_pk_f32_fp8_e32 v[52:53], v25
	v_mfma_f32_16x16x16_f16 v[36:39], v[32:33], v[4:5], v[36:39]
	v_cvt_pk_f32_fp8_e32 v[32:33], v19
	v_cvt_pkrtz_f16_f32 v16, v16, v17
	v_cvt_pkrtz_f16_f32 v17, v40, v41
	v_cvt_pk_f32_fp8_sdwa v[18:19], v19 src0_sel:WORD_1
	v_cvt_pkrtz_f16_f32 v32, v32, v33
	v_cvt_pk_f32_fp8_e32 v[40:41], v20
	v_cvt_pkrtz_f16_f32 v33, v18, v19
	v_mfma_f32_16x16x16_f16 v[16:19], v[16:17], v[6:7], 0
	v_cvt_pkrtz_f16_f32 v40, v40, v41
	v_cvt_pkrtz_f16_f32 v41, v46, v47
	v_cvt_pk_f32_fp8_e32 v[46:47], v21
	v_cvt_pk_f32_fp8_sdwa v[20:21], v21 src0_sel:WORD_1
	v_mfma_f32_16x16x16_f16 v[16:19], v[32:33], v[8:9], v[16:19]
	s_waitcnt vmcnt(4)
	v_mad_i64_i32 v[14:15], s[6:7], v45, s45, v[30:31]
	v_cvt_pkrtz_f16_f32 v32, v46, v47
	v_cvt_pkrtz_f16_f32 v33, v20, v21
	v_mfma_f32_16x16x16_f16 v[16:19], v[40:41], v[2:3], v[16:19]
	v_cvt_pk_f32_fp8_e32 v[20:21], v22
	v_cvt_pk_f32_fp8_sdwa v[40:41], v22 src0_sel:WORD_1
	v_cvt_pk_f32_fp8_sdwa v[46:47], v24 src0_sel:WORD_1
	v_mfma_f32_16x16x16_f16 v[16:19], v[32:33], v[4:5], v[16:19]
	v_cvt_pk_f32_fp8_e32 v[32:33], v23
	v_cvt_pkrtz_f16_f32 v20, v20, v21
	v_cvt_pkrtz_f16_f32 v21, v40, v41
	v_cvt_pk_f32_fp8_sdwa v[22:23], v23 src0_sel:WORD_1
	v_cvt_pkrtz_f16_f32 v32, v32, v33
	v_cvt_pk_f32_fp8_e32 v[40:41], v24
	v_cvt_pk_f32_fp8_sdwa v[24:25], v25 src0_sel:WORD_1
	v_cvt_pkrtz_f16_f32 v33, v22, v23
	v_mfma_f32_16x16x16_f16 v[20:23], v[20:21], v[6:7], 0
	v_cvt_pkrtz_f16_f32 v40, v40, v41
	v_cvt_pkrtz_f16_f32 v41, v46, v47
	v_mov_b32_e32 v45, s13
	v_mfma_f32_16x16x16_f16 v[46:49], v[32:33], v[8:9], v[20:23]
	v_mul_f32_e32 v50, s4, v45
	v_cvt_pkrtz_f16_f32 v32, v52, v53
	v_cvt_pkrtz_f16_f32 v33, v24, v25
	v_pk_mul_f32 v[22:23], v[50:51], v[38:39] op_sel_hi:[0,1]
	v_mfma_f32_16x16x16_f16 v[38:41], v[40:41], v[2:3], v[46:49]
	v_pk_mul_f32 v[20:21], v[50:51], v[36:37] op_sel_hi:[0,1]
	s_waitcnt vmcnt(3)
	v_cvt_pk_f32_fp8_e32 v[24:25], v10
	v_cvt_pk_f32_fp8_sdwa v[36:37], v10 src0_sel:WORD_1
	v_mfma_f32_16x16x16_f16 v[46:49], v[32:33], v[4:5], v[38:41]
	v_cvt_pk_f32_fp8_e32 v[32:33], v11
	v_cvt_pkrtz_f16_f32 v24, v24, v25
	v_cvt_pkrtz_f16_f32 v25, v36, v37
	v_cvt_pk_f32_fp8_sdwa v[10:11], v11 src0_sel:WORD_1
	v_cvt_pkrtz_f16_f32 v32, v32, v33
	v_cvt_pk_f32_fp8_e32 v[40:41], v12
	v_cvt_pk_f32_fp8_sdwa v[52:53], v12 src0_sel:WORD_1
	v_cvt_pkrtz_f16_f32 v33, v10, v11
	v_mfma_f32_16x16x16_f16 v[36:39], v[24:25], v[6:7], 0
	v_cvt_pkrtz_f16_f32 v10, v40, v41
	v_cvt_pkrtz_f16_f32 v11, v52, v53
	v_cvt_pk_f32_fp8_e32 v[24:25], v13
	v_cvt_pk_f32_fp8_sdwa v[12:13], v13 src0_sel:WORD_1
	v_mfma_f32_16x16x16_f16 v[6:9], v[32:33], v[8:9], v[36:39]
	v_pk_mul_f32 v[40:41], v[50:51], v[16:17] op_sel_hi:[0,1]
	v_pk_mul_f32 v[32:33], v[50:51], v[48:49] op_sel_hi:[0,1]
	s_nop 0
	v_pk_mul_f32 v[36:37], v[50:51], v[18:19] op_sel_hi:[0,1]
	v_cvt_pkrtz_f16_f32 v18, v24, v25
	v_cvt_pkrtz_f16_f32 v19, v12, v13
	v_mfma_f32_16x16x16_f16 v[6:9], v[10:11], v[2:3], v[6:9]
	v_pk_mul_f32 v[38:39], v[50:51], v[46:47] op_sel_hi:[0,1]
	v_mfma_f32_16x16x16_f16 v[2:5], v[18:19], v[4:5], v[6:9]
	s_nop 6
	v_pk_mul_f32 v[24:25], v[50:51], v[2:3] op_sel_hi:[0,1]
	v_and_b32_e32 v2, 0xc0, v0
	v_add_u32_e32 v2, s5, v2
	v_lshl_or_b32 v2, v42, 2, v2
	v_pk_mul_f32 v[18:19], v[50:51], v[4:5] op_sel_hi:[0,1]
	v_or_b32_e32 v5, 1, v2
	v_mov_b32_e32 v3, 0xff7fffff
	v_cmp_gt_i32_e64 s[4:5], s33, v2
	v_cmp_gt_i32_e64 s[34:35], s33, v5
	v_or_b32_e32 v6, 3, v2
	v_cndmask_b32_e64 v4, v3, v20, s[4:5]
	v_cndmask_b32_e64 v5, v3, v21, s[34:35]
	v_max3_f32 v4, v4, s44, v5
	v_or_b32_e32 v5, 2, v2
	v_cmp_gt_i32_e64 s[36:37], s33, v5
	v_cmp_gt_i32_e64 s[38:39], s33, v6
	s_nop 0
	v_cndmask_b32_e64 v5, v3, v22, s[36:37]
	v_cndmask_b32_e64 v6, v3, v23, s[38:39]
	v_max3_f32 v4, v4, v5, v6
	v_or_b32_e32 v5, 16, v2
	v_or_b32_e32 v6, 17, v2
	v_cmp_gt_i32_e64 s[24:25], s33, v5
	v_cmp_gt_i32_e64 s[26:27], s33, v6
	s_nop 0
	v_cndmask_b32_e64 v5, v3, v40, s[24:25]
	v_cndmask_b32_e64 v6, v3, v41, s[26:27]
	v_max3_f32 v4, v4, v5, v6
	v_or_b32_e32 v5, 18, v2
	;; [unrolled: 8-line block ×6, first 2 shown]
	v_or_b32_e32 v2, 51, v2
	v_cmp_gt_i32_e32 vcc, s33, v5
	v_cmp_gt_i32_e64 s[6:7], s33, v2
	s_nop 0
	v_cndmask_b32_e32 v5, v3, v18, vcc
	v_cndmask_b32_e64 v2, v3, v19, s[6:7]
	v_max3_f32 v4, v4, v5, v2
	v_mbcnt_lo_u32_b32 v2, -1, 0
	v_mbcnt_hi_u32_b32 v5, -1, v2
	v_and_b32_e32 v2, 64, v5
	v_add_u32_e32 v6, 64, v2
	v_xor_b32_e32 v2, 32, v5
	v_cmp_lt_i32_e64 s[40:41], v2, v6
	s_nop 1
	v_cndmask_b32_e64 v2, v5, v2, s[40:41]
	v_lshlrev_b32_e32 v45, 2, v2
	ds_bpermute_b32 v7, v45, v4
	s_waitcnt vmcnt(2)
	v_mad_i64_i32 v[2:3], s[40:41], v44, s45, v[30:31]
	global_load_dwordx4 v[14:17], v[14:15], off
	s_nop 0
	global_load_dwordx4 v[10:13], v[2:3], off
	v_xor_b32_e32 v3, 16, v5
	v_cmp_lt_i32_e64 s[40:41], v3, v6
	s_waitcnt lgkmcnt(0)
	v_max_f32_e32 v2, v7, v7
	v_max_f32_e32 v2, v4, v2
	v_cndmask_b32_e64 v3, v5, v3, s[40:41]
	v_lshlrev_b32_e32 v48, 2, v3
	ds_bpermute_b32 v3, v48, v2
	s_waitcnt vmcnt(3)
	v_mad_i64_i32 v[46:47], s[40:41], v34, s45, v[30:31]
	s_waitcnt vmcnt(2)
	v_mad_i64_i32 v[30:31], s[40:41], v35, s45, v[30:31]
	s_waitcnt lgkmcnt(0)
	v_max_f32_e32 v3, v3, v3
	v_max_f32_e32 v44, v2, v3
	v_sub_f32_e32 v2, v20, v44
	v_mul_f32_e32 v2, 0x3fb8aa3b, v2
	v_exp_f32_e32 v20, v2
	v_sub_f32_e32 v2, v21, v44
	v_mul_f32_e32 v2, 0x3fb8aa3b, v2
	v_exp_f32_e32 v21, v2
	global_load_dwordx4 v[6:9], v[46:47], off
	global_load_dwordx4 v[2:5], v[30:31], off
	v_sub_f32_e32 v22, v22, v44
	v_mul_f32_e32 v22, 0x3fb8aa3b, v22
	v_sub_f32_e32 v23, v23, v44
	v_exp_f32_e32 v22, v22
	v_mul_f32_e32 v23, 0x3fb8aa3b, v23
	v_exp_f32_e32 v23, v23
	v_cndmask_b32_e64 v20, 0, v20, s[4:5]
	v_add_f32_e32 v30, 0, v20
	v_cndmask_b32_e64 v21, 0, v21, s[34:35]
	v_add_f32_e32 v30, v30, v21
	v_cndmask_b32_e64 v34, 0, v22, s[36:37]
	v_add_f32_e32 v22, v30, v34
	v_cndmask_b32_e64 v35, 0, v23, s[38:39]
	v_sub_f32_e32 v23, v40, v44
	v_sub_f32_e32 v30, v41, v44
	v_mul_f32_e32 v23, 0x3fb8aa3b, v23
	v_mul_f32_e32 v30, 0x3fb8aa3b, v30
	v_exp_f32_e32 v23, v23
	v_exp_f32_e32 v30, v30
	v_add_f32_e32 v31, v22, v35
	v_sub_f32_e32 v32, v32, v44
	v_cndmask_b32_e64 v22, 0, v23, s[24:25]
	v_cndmask_b32_e64 v23, 0, v30, s[26:27]
	v_sub_f32_e32 v30, v36, v44
	v_mul_f32_e32 v30, 0x3fb8aa3b, v30
	v_exp_f32_e32 v30, v30
	v_sub_f32_e32 v36, v37, v44
	v_add_f32_e32 v31, v31, v22
	v_mul_f32_e32 v36, 0x3fb8aa3b, v36
	v_exp_f32_e32 v37, v36
	v_add_f32_e32 v31, v31, v23
	v_cndmask_b32_e64 v36, 0, v30, s[20:21]
	v_add_f32_e32 v30, v31, v36
	v_sub_f32_e32 v31, v38, v44
	v_mul_f32_e32 v31, 0x3fb8aa3b, v31
	v_sub_f32_e32 v38, v39, v44
	v_exp_f32_e32 v31, v31
	v_mul_f32_e32 v38, 0x3fb8aa3b, v38
	v_exp_f32_e32 v38, v38
	v_mul_f32_e32 v32, 0x3fb8aa3b, v32
	v_sub_f32_e32 v33, v33, v44
	v_exp_f32_e32 v32, v32
	v_mul_f32_e32 v33, 0x3fb8aa3b, v33
	v_sub_f32_e32 v24, v24, v44
	v_cndmask_b32_e64 v37, 0, v37, s[22:23]
	v_exp_f32_e32 v33, v33
	v_mul_f32_e32 v24, 0x3fb8aa3b, v24
	v_sub_f32_e32 v25, v25, v44
	v_add_f32_e32 v39, v30, v37
	v_cndmask_b32_e64 v30, 0, v31, s[16:17]
	v_exp_f32_e32 v24, v24
	v_mul_f32_e32 v25, 0x3fb8aa3b, v25
	v_sub_f32_e32 v18, v18, v44
	v_add_f32_e32 v39, v39, v30
	;; [unrolled: 5-line block ×3, first 2 shown]
	v_cndmask_b32_e64 v32, 0, v32, s[12:13]
	v_exp_f32_e32 v18, v18
	v_mul_f32_e32 v19, 0x3fb8aa3b, v19
	v_add_f32_e32 v38, v38, v32
	v_cndmask_b32_e64 v33, 0, v33, s[14:15]
	v_exp_f32_e32 v19, v19
	v_add_f32_e32 v38, v38, v33
	v_cndmask_b32_e64 v24, 0, v24, s[8:9]
	v_add_f32_e32 v38, v38, v24
	v_cndmask_b32_e64 v25, 0, v25, s[10:11]
	v_add_f32_e32 v38, v38, v25
	v_cndmask_b32_e32 v18, 0, v18, vcc
	v_add_f32_e32 v38, v38, v18
	v_cndmask_b32_e64 v19, 0, v19, s[6:7]
	v_add_f32_e32 v38, v38, v19
	ds_bpermute_b32 v39, v45, v38
	v_cmp_gt_u32_e64 s[6:7], 16, v43
	s_waitcnt lgkmcnt(0)
	s_barrier
	v_add_f32_e32 v38, v38, v39
	ds_bpermute_b32 v40, v48, v38
	v_lshlrev_b32_e32 v39, 2, v28
	s_and_saveexec_b64 s[4:5], s[6:7]
	s_cbranch_execz .LBB876_13
; %bb.12:
	s_waitcnt lgkmcnt(0)
	v_add_f32_e32 v38, v38, v40
	v_lshl_or_b32 v40, v29, 6, v39
	ds_write2st64_b32 v40, v44, v38 offset1:1
.LBB876_13:
	s_or_b64 exec, exec, s[4:5]
	s_load_dword s8, s[0:1], 0x94
	s_waitcnt lgkmcnt(0)
	s_barrier
	ds_read2_b32 v[40:41], v39 offset1:16
	ds_read2_b32 v[44:45], v39 offset0:32 offset1:48
	ds_read2_b32 v[46:47], v39 offset0:64 offset1:80
	s_mul_i32 s9, s29, 9
	s_waitcnt lgkmcnt(2)
	v_max3_f32 v38, v40, s44, v41
	s_waitcnt lgkmcnt(1)
	v_max3_f32 v38, v38, v44, v45
	v_sub_f32_e32 v40, v40, v38
	v_mul_f32_e32 v40, 0x3fb8aa3b, v40
	v_exp_f32_e32 v43, v40
	v_sub_f32_e32 v40, v41, v38
	v_mul_f32_e32 v40, 0x3fb8aa3b, v40
	v_exp_f32_e32 v48, v40
	;; [unrolled: 3-line block ×3, first 2 shown]
	ds_read2_b32 v[40:41], v39 offset0:96 offset1:112
	v_sub_f32_e32 v39, v45, v38
	v_mul_f32_e32 v39, 0x3fb8aa3b, v39
	v_exp_f32_e32 v45, v39
	s_waitcnt lgkmcnt(1)
	v_fma_f32 v39, v43, v46, 0
	v_fmac_f32_e32 v39, v48, v47
	s_waitcnt lgkmcnt(0)
	v_fmac_f32_e32 v39, v44, v40
	v_fmac_f32_e32 v39, v45, v41
	v_add_f32_e32 v40, 0x358637bd, v39
	v_div_scale_f32 v41, s[4:5], v40, v40, 1.0
	v_rcp_f32_e32 v46, v41
	s_barrier
	v_fma_f32 v47, -v41, v46, 1.0
	v_fmac_f32_e32 v46, v47, v46
	v_div_scale_f32 v47, vcc, 1.0, v40, 1.0
	v_mul_f32_e32 v49, v47, v46
	v_fma_f32 v50, -v41, v49, v47
	v_fmac_f32_e32 v49, v50, v46
	v_fma_f32 v41, -v41, v49, v47
	v_div_fmas_f32 v41, v41, v46, v49
	v_cmp_eq_u32_e32 vcc, 1, v29
	v_div_fixup_f32 v40, v41, v40, 1.0
	s_nop 0
	v_cndmask_b32_e32 v41, v43, v48, vcc
	v_cmp_eq_u32_e32 vcc, 2, v29
	s_nop 1
	v_cndmask_b32_e32 v41, v41, v44, vcc
	v_cmp_eq_u32_e32 vcc, 3, v29
	s_nop 1
	v_cndmask_b32_e32 v41, v41, v45, vcc
	v_mul_f32_e32 v40, v41, v40
	v_pk_mul_f32 v[34:35], v[40:41], v[34:35] op_sel_hi:[0,1]
	v_pk_mul_f32 v[20:21], v[40:41], v[20:21] op_sel_hi:[0,1]
	v_cvt_f16_f32_e32 v41, v34
	v_cvt_f16_f32_e32 v35, v35
	;; [unrolled: 1-line block ×4, first 2 shown]
	v_cmp_gt_u32_e32 vcc, 9, v0
	v_pack_b32_f16 v35, v41, v35
	v_lshlrev_b32_e32 v41, 3, v42
	v_pack_b32_f16 v34, v20, v21
	v_pk_mul_f32 v[20:21], v[40:41], v[36:37] op_sel_hi:[0,1]
	v_pk_mul_f32 v[22:23], v[40:41], v[22:23] op_sel_hi:[0,1]
	v_cvt_f16_f32_e32 v22, v22
	v_cvt_f16_f32_e32 v23, v23
	;; [unrolled: 1-line block ×4, first 2 shown]
	v_lshlrev_b32_e32 v20, 11, v29
	v_or3_b32 v20, v20, v27, v41
	v_pack_b32_f16 v22, v22, v23
	v_pack_b32_f16 v23, v36, v21
	ds_write2st64_b64 v20, v[34:35], v[22:23] offset1:1
	v_pk_mul_f32 v[22:23], v[40:41], v[32:33] op_sel_hi:[0,1]
	v_pk_mul_f32 v[30:31], v[40:41], v[30:31] op_sel_hi:[0,1]
	v_cvt_f16_f32_e32 v21, v30
	v_cvt_f16_f32_e32 v29, v31
	;; [unrolled: 1-line block ×4, first 2 shown]
	v_pk_mul_f32 v[18:19], v[40:41], v[18:19] op_sel_hi:[0,1]
	v_pk_mul_f32 v[22:23], v[40:41], v[24:25] op_sel_hi:[0,1]
	v_cvt_f16_f32_e32 v22, v22
	v_cvt_f16_f32_e32 v23, v23
	;; [unrolled: 1-line block ×4, first 2 shown]
	v_pack_b32_f16 v18, v21, v29
	v_pack_b32_f16 v19, v30, v31
	;; [unrolled: 1-line block ×4, first 2 shown]
	ds_write2st64_b64 v20, v[18:19], v[22:23] offset0:2 offset1:3
	s_and_saveexec_b64 s[4:5], vcc
	s_cbranch_execz .LBB876_15
; %bb.14:
	s_mov_b32 s49, 0
	v_mov_b32_e32 v29, 0
	v_lshl_add_u64 v[18:19], s[48:49], 0, v[28:29]
	v_mov_b32_e32 v21, s9
	v_mad_u64_u32 v[18:19], s[10:11], s2, v21, v[18:19]
	s_mul_i32 s3, s3, s9
	v_mov_b32_e32 v28, s28
	s_load_dwordx4 s[12:15], s[0:1], 0x58
	v_add_u32_e32 v21, s3, v19
	v_mad_u64_u32 v[18:19], s[10:11], v18, s8, v[28:29]
	v_mov_b32_e32 v22, v19
	v_mad_u64_u32 v[22:23], s[10:11], v21, s8, v[22:23]
	v_mov_b32_e32 v19, v22
	v_lshlrev_b64 v[18:19], 2, v[18:19]
	s_waitcnt lgkmcnt(0)
	v_lshl_add_u64 v[22:23], s[14:15], 0, v[18:19]
	v_lshl_add_u64 v[18:19], s[12:13], 0, v[18:19]
	global_store_dword v[22:23], v38, off
	global_store_dword v[18:19], v39, off
.LBB876_15:
	s_or_b64 exec, exec, s[4:5]
	s_waitcnt vmcnt(3)
	v_cvt_pk_f32_fp8_e32 v[18:19], v14
	v_cvt_pk_f32_fp8_sdwa v[22:23], v14 src0_sel:WORD_1
	v_cvt_pk_f32_fp8_e32 v[24:25], v15
	v_lshl_or_b32 v14, v42, 9, v27
	s_waitcnt lgkmcnt(0)
	s_barrier
	v_cvt_pkrtz_f16_f32 v18, v18, v19
	v_cvt_pkrtz_f16_f32 v19, v22, v23
	v_cvt_pk_f32_fp8_sdwa v[28:29], v15 src0_sel:WORD_1
	v_cvt_pkrtz_f16_f32 v36, v24, v25
	ds_read_b128 v[22:25], v14
	v_cvt_pk_f32_fp8_e32 v[38:39], v16
	v_cvt_pkrtz_f16_f32 v37, v28, v29
	ds_read_b128 v[28:31], v14 offset:16
	v_cvt_pk_f32_fp8_sdwa v[40:41], v16 src0_sel:WORD_1
	s_waitcnt lgkmcnt(1)
	v_mfma_f32_16x16x16_f16 v[32:35], v[18:19], v[22:23], 0
	v_cvt_pkrtz_f16_f32 v18, v38, v39
	v_cvt_pk_f32_fp8_e32 v[38:39], v17
	v_cvt_pkrtz_f16_f32 v19, v40, v41
	v_mfma_f32_16x16x16_f16 v[22:25], v[36:37], v[24:25], v[32:35]
	s_waitcnt vmcnt(2)
	v_cvt_pk_f32_fp8_sdwa v[36:37], v12 src0_sel:WORD_1
	s_load_dword s4, s[42:43], 0x0
	v_cmp_gt_u32_e32 vcc, 64, v0
	v_cvt_pk_f32_fp8_sdwa v[32:33], v17 src0_sel:WORD_1
	v_cvt_pkrtz_f16_f32 v34, v38, v39
	s_waitcnt lgkmcnt(0)
	v_mfma_f32_16x16x16_f16 v[16:19], v[18:19], v[28:29], v[22:25]
	v_cvt_pk_f32_fp8_e32 v[28:29], v11
	v_cvt_pkrtz_f16_f32 v35, v32, v33
	s_mov_b32 s3, 0
	v_cvt_pk_f32_fp8_e32 v[22:23], v10
	v_cvt_pk_f32_fp8_sdwa v[24:25], v10 src0_sel:WORD_1
	v_mfma_f32_16x16x16_f16 v[16:19], v[34:35], v[30:31], v[16:19]
	v_cvt_pkrtz_f16_f32 v10, v22, v23
	v_cvt_pk_f32_fp8_sdwa v[30:31], v11 src0_sel:WORD_1
	v_cvt_pkrtz_f16_f32 v11, v24, v25
	ds_read_b128 v[22:25], v14 offset:2048
	v_cvt_pkrtz_f16_f32 v32, v28, v29
	v_cvt_pkrtz_f16_f32 v33, v30, v31
	ds_read_b128 v[28:31], v14 offset:2064
	v_cvt_pk_f32_fp8_e32 v[34:35], v12
	s_waitcnt lgkmcnt(1)
	v_mfma_f32_16x16x16_f16 v[16:19], v[10:11], v[22:23], v[16:19]
	v_cvt_pkrtz_f16_f32 v11, v36, v37
	v_cvt_pk_f32_fp8_e32 v[22:23], v13
	v_cvt_pkrtz_f16_f32 v10, v34, v35
	v_mfma_f32_16x16x16_f16 v[16:19], v[32:33], v[24:25], v[16:19]
	v_cvt_pk_f32_fp8_sdwa v[24:25], v13 src0_sel:WORD_1
	v_cvt_pkrtz_f16_f32 v22, v22, v23
	s_waitcnt vmcnt(1)
	v_cvt_pk_f32_fp8_sdwa v[32:33], v8 src0_sel:WORD_1
	s_waitcnt lgkmcnt(0)
	v_mfma_f32_16x16x16_f16 v[10:13], v[10:11], v[28:29], v[16:19]
	v_cvt_pkrtz_f16_f32 v23, v24, v25
	v_cvt_pk_f32_fp8_sdwa v[24:25], v7 src0_sel:WORD_1
	v_mov_b32_e32 v27, 0
	v_cvt_pk_f32_fp8_e32 v[16:17], v6
	v_cvt_pk_f32_fp8_sdwa v[18:19], v6 src0_sel:WORD_1
	v_mfma_f32_16x16x16_f16 v[10:13], v[22:23], v[30:31], v[10:13]
	v_cvt_pk_f32_fp8_e32 v[22:23], v7
	v_cvt_pkrtz_f16_f32 v6, v16, v17
	v_cvt_pkrtz_f16_f32 v7, v18, v19
	ds_read_b128 v[16:19], v14 offset:4096
	v_cvt_pkrtz_f16_f32 v28, v22, v23
	v_cvt_pkrtz_f16_f32 v29, v24, v25
	ds_read_b128 v[22:25], v14 offset:4112
	v_cvt_pk_f32_fp8_e32 v[30:31], v8
	s_waitcnt lgkmcnt(1)
	v_mfma_f32_16x16x16_f16 v[10:13], v[6:7], v[16:17], v[10:13]
	v_cvt_pkrtz_f16_f32 v7, v32, v33
	v_cvt_pk_f32_fp8_e32 v[16:17], v9
	v_cvt_pkrtz_f16_f32 v6, v30, v31
	v_mfma_f32_16x16x16_f16 v[10:13], v[28:29], v[18:19], v[10:13]
	v_cvt_pk_f32_fp8_sdwa v[18:19], v9 src0_sel:WORD_1
	v_cvt_pkrtz_f16_f32 v16, v16, v17
	v_cvt_pkrtz_f16_f32 v17, v18, v19
	s_waitcnt lgkmcnt(0)
	v_mfma_f32_16x16x16_f16 v[6:9], v[6:7], v[22:23], v[10:13]
	s_waitcnt vmcnt(0)
	v_cvt_pk_f32_fp8_sdwa v[18:19], v3 src0_sel:WORD_1
	s_nop 0
	v_cvt_pkrtz_f16_f32 v23, v18, v19
	v_cvt_pk_f32_fp8_e32 v[10:11], v2
	v_cvt_pk_f32_fp8_sdwa v[12:13], v2 src0_sel:WORD_1
	v_mfma_f32_16x16x16_f16 v[6:9], v[16:17], v[24:25], v[6:9]
	v_cvt_pk_f32_fp8_e32 v[16:17], v3
	v_cvt_pkrtz_f16_f32 v2, v10, v11
	v_cvt_pkrtz_f16_f32 v3, v12, v13
	ds_read_b128 v[10:13], v14 offset:6144
	v_cvt_pkrtz_f16_f32 v22, v16, v17
	v_cvt_pk_f32_fp8_e32 v[18:19], v4
	v_cvt_pk_f32_fp8_sdwa v[24:25], v4 src0_sel:WORD_1
	s_waitcnt lgkmcnt(0)
	v_mfma_f32_16x16x16_f16 v[6:9], v[2:3], v[10:11], v[6:9]
	ds_read_b128 v[14:17], v14 offset:6160
	v_cvt_pkrtz_f16_f32 v2, v18, v19
	v_cvt_pkrtz_f16_f32 v3, v24, v25
	v_cvt_pk_f32_fp8_e32 v[10:11], v5
	v_mfma_f32_16x16x16_f16 v[6:9], v[22:23], v[12:13], v[6:9]
	v_cvt_pk_f32_fp8_sdwa v[12:13], v5 src0_sel:WORD_1
	s_waitcnt lgkmcnt(0)
	v_cvt_pkrtz_f16_f32 v10, v10, v11
	v_mfma_f32_16x16x16_f16 v[2:5], v[2:3], v[14:15], v[6:9]
	v_cvt_pkrtz_f16_f32 v11, v12, v13
	s_barrier
	s_nop 0
	v_mfma_f32_16x16x16_f16 v[2:5], v[10:11], v[16:17], v[2:5]
	s_nop 6
	v_pk_mul_f32 v[4:5], v[4:5], s[4:5] op_sel_hi:[1,0]
	v_pk_mul_f32 v[2:3], v[2:3], s[4:5] op_sel_hi:[1,0]
	v_cvt_f16_f32_e32 v4, v4
	v_cvt_f16_f32_e32 v2, v2
	;; [unrolled: 1-line block ×4, first 2 shown]
	s_and_b64 s[4:5], vcc, s[30:31]
	v_pack_b32_f16 v2, v2, v3
	v_pack_b32_f16 v3, v4, v5
	ds_write_b64 v20, v[2:3]
	s_waitcnt lgkmcnt(0)
	s_barrier
	s_and_saveexec_b64 s[10:11], s[4:5]
	s_cbranch_execz .LBB876_18
; %bb.16:
	s_load_dwordx2 s[4:5], s[0:1], 0x68
	s_lshl_b32 s0, s8, 6
	s_mul_i32 s1, s9, s2
	s_mul_hi_u32 s9, s1, s0
	s_mul_i32 s8, s1, s0
	v_lshlrev_b32_e32 v0, 10, v0
	s_lshl_b64 s[8:9], s[8:9], 1
	v_and_b32_e32 v0, 0x1800, v0
	v_lshlrev_b32_e32 v2, 5, v42
	v_and_b32_e32 v1, 16, v1
	s_waitcnt lgkmcnt(0)
	s_add_u32 s1, s4, s8
	v_or3_b32 v2, v0, v2, v1
	s_addc_u32 s4, s5, s9
	s_lshl_b32 s2, s28, 6
	s_lshl_b64 s[2:3], s[2:3], 1
	ds_read_b128 v[4:7], v2 offset:128
	ds_read_b128 v[8:11], v2
	s_add_u32 s2, s1, s2
	s_addc_u32 s3, s4, s3
	v_add_u32_e32 v3, s48, v42
	v_lshl_add_u64 v[0:1], s[2:3], 0, v[26:27]
	v_mad_u64_u32 v[12:13], s[2:3], v3, s0, 0
	v_lshl_add_u64 v[12:13], v[12:13], 1, v[0:1]
	v_add_u32_e32 v3, 4, v3
	s_waitcnt lgkmcnt(0)
	global_store_dwordx4 v[12:13], v[8:11], off
	s_nop 1
	v_mad_u64_u32 v[8:9], s[2:3], v3, s0, 0
	v_lshl_add_u64 v[8:9], v[8:9], 1, v[0:1]
	global_store_dwordx4 v[8:9], v[4:7], off
	s_and_b64 exec, exec, s[6:7]
	s_cbranch_execz .LBB876_18
; %bb.17:
	ds_read_b128 v[2:5], v2 offset:256
	v_add3_u32 v6, s48, v42, 8
	v_mad_u64_u32 v[6:7], s[0:1], v6, s0, 0
	v_lshl_add_u64 v[0:1], v[6:7], 1, v[0:1]
	s_waitcnt lgkmcnt(0)
	global_store_dwordx4 v[0:1], v[2:5], off
.LBB876_18:
	s_endpgm
	.section	.rodata,"a",@progbits
	.p2align	6, 0x0
	.amdhsa_kernel _Z39paged_attention_ll4mi_QKV_mfma16_kernelIDF16_hLN4vllm18Fp8KVCacheDataTypeE1EhLi32ELi64ELi256ELb0ELi9EEvPKT_PKT0_S7_ifPKiS9_S9_iPKfiiiPfSC_PS2_PT2_iSB_SB_
		.amdhsa_group_segment_fixed_size 8192
		.amdhsa_private_segment_fixed_size 0
		.amdhsa_kernarg_size 400
		.amdhsa_user_sgpr_count 2
		.amdhsa_user_sgpr_dispatch_ptr 0
		.amdhsa_user_sgpr_queue_ptr 0
		.amdhsa_user_sgpr_kernarg_segment_ptr 1
		.amdhsa_user_sgpr_dispatch_id 0
		.amdhsa_user_sgpr_kernarg_preload_length 0
		.amdhsa_user_sgpr_kernarg_preload_offset 0
		.amdhsa_user_sgpr_private_segment_size 0
		.amdhsa_uses_dynamic_stack 0
		.amdhsa_enable_private_segment 0
		.amdhsa_system_sgpr_workgroup_id_x 1
		.amdhsa_system_sgpr_workgroup_id_y 1
		.amdhsa_system_sgpr_workgroup_id_z 1
		.amdhsa_system_sgpr_workgroup_info 0
		.amdhsa_system_vgpr_workitem_id 0
		.amdhsa_next_free_vgpr 54
		.amdhsa_next_free_sgpr 50
		.amdhsa_accum_offset 56
		.amdhsa_reserve_vcc 1
		.amdhsa_float_round_mode_32 0
		.amdhsa_float_round_mode_16_64 0
		.amdhsa_float_denorm_mode_32 3
		.amdhsa_float_denorm_mode_16_64 3
		.amdhsa_dx10_clamp 1
		.amdhsa_ieee_mode 1
		.amdhsa_fp16_overflow 0
		.amdhsa_tg_split 0
		.amdhsa_exception_fp_ieee_invalid_op 0
		.amdhsa_exception_fp_denorm_src 0
		.amdhsa_exception_fp_ieee_div_zero 0
		.amdhsa_exception_fp_ieee_overflow 0
		.amdhsa_exception_fp_ieee_underflow 0
		.amdhsa_exception_fp_ieee_inexact 0
		.amdhsa_exception_int_div_zero 0
	.end_amdhsa_kernel
	.section	.text._Z39paged_attention_ll4mi_QKV_mfma16_kernelIDF16_hLN4vllm18Fp8KVCacheDataTypeE1EhLi32ELi64ELi256ELb0ELi9EEvPKT_PKT0_S7_ifPKiS9_S9_iPKfiiiPfSC_PS2_PT2_iSB_SB_,"axG",@progbits,_Z39paged_attention_ll4mi_QKV_mfma16_kernelIDF16_hLN4vllm18Fp8KVCacheDataTypeE1EhLi32ELi64ELi256ELb0ELi9EEvPKT_PKT0_S7_ifPKiS9_S9_iPKfiiiPfSC_PS2_PT2_iSB_SB_,comdat
.Lfunc_end876:
	.size	_Z39paged_attention_ll4mi_QKV_mfma16_kernelIDF16_hLN4vllm18Fp8KVCacheDataTypeE1EhLi32ELi64ELi256ELb0ELi9EEvPKT_PKT0_S7_ifPKiS9_S9_iPKfiiiPfSC_PS2_PT2_iSB_SB_, .Lfunc_end876-_Z39paged_attention_ll4mi_QKV_mfma16_kernelIDF16_hLN4vllm18Fp8KVCacheDataTypeE1EhLi32ELi64ELi256ELb0ELi9EEvPKT_PKT0_S7_ifPKiS9_S9_iPKfiiiPfSC_PS2_PT2_iSB_SB_
                                        ; -- End function
	.section	.AMDGPU.csdata,"",@progbits
; Kernel info:
; codeLenInByte = 4704
; NumSgprs: 56
; NumVgprs: 54
; NumAgprs: 0
; TotalNumVgprs: 54
; ScratchSize: 0
; MemoryBound: 0
; FloatMode: 240
; IeeeMode: 1
; LDSByteSize: 8192 bytes/workgroup (compile time only)
; SGPRBlocks: 6
; VGPRBlocks: 6
; NumSGPRsForWavesPerEU: 56
; NumVGPRsForWavesPerEU: 54
; AccumOffset: 56
; Occupancy: 8
; WaveLimiterHint : 1
; COMPUTE_PGM_RSRC2:SCRATCH_EN: 0
; COMPUTE_PGM_RSRC2:USER_SGPR: 2
; COMPUTE_PGM_RSRC2:TRAP_HANDLER: 0
; COMPUTE_PGM_RSRC2:TGID_X_EN: 1
; COMPUTE_PGM_RSRC2:TGID_Y_EN: 1
; COMPUTE_PGM_RSRC2:TGID_Z_EN: 1
; COMPUTE_PGM_RSRC2:TIDIG_COMP_CNT: 0
; COMPUTE_PGM_RSRC3_GFX90A:ACCUM_OFFSET: 13
; COMPUTE_PGM_RSRC3_GFX90A:TG_SPLIT: 0
	.section	.text._Z39paged_attention_ll4mi_QKV_mfma16_kernelIDF16_hLN4vllm18Fp8KVCacheDataTypeE1EhLi32ELi64ELi256ELb0ELi10EEvPKT_PKT0_S7_ifPKiS9_S9_iPKfiiiPfSC_PS2_PT2_iSB_SB_,"axG",@progbits,_Z39paged_attention_ll4mi_QKV_mfma16_kernelIDF16_hLN4vllm18Fp8KVCacheDataTypeE1EhLi32ELi64ELi256ELb0ELi10EEvPKT_PKT0_S7_ifPKiS9_S9_iPKfiiiPfSC_PS2_PT2_iSB_SB_,comdat
	.protected	_Z39paged_attention_ll4mi_QKV_mfma16_kernelIDF16_hLN4vllm18Fp8KVCacheDataTypeE1EhLi32ELi64ELi256ELb0ELi10EEvPKT_PKT0_S7_ifPKiS9_S9_iPKfiiiPfSC_PS2_PT2_iSB_SB_ ; -- Begin function _Z39paged_attention_ll4mi_QKV_mfma16_kernelIDF16_hLN4vllm18Fp8KVCacheDataTypeE1EhLi32ELi64ELi256ELb0ELi10EEvPKT_PKT0_S7_ifPKiS9_S9_iPKfiiiPfSC_PS2_PT2_iSB_SB_
	.globl	_Z39paged_attention_ll4mi_QKV_mfma16_kernelIDF16_hLN4vllm18Fp8KVCacheDataTypeE1EhLi32ELi64ELi256ELb0ELi10EEvPKT_PKT0_S7_ifPKiS9_S9_iPKfiiiPfSC_PS2_PT2_iSB_SB_
	.p2align	8
	.type	_Z39paged_attention_ll4mi_QKV_mfma16_kernelIDF16_hLN4vllm18Fp8KVCacheDataTypeE1EhLi32ELi64ELi256ELb0ELi10EEvPKT_PKT0_S7_ifPKiS9_S9_iPKfiiiPfSC_PS2_PT2_iSB_SB_,@function
_Z39paged_attention_ll4mi_QKV_mfma16_kernelIDF16_hLN4vllm18Fp8KVCacheDataTypeE1EhLi32ELi64ELi256ELb0ELi10EEvPKT_PKT0_S7_ifPKiS9_S9_iPKfiiiPfSC_PS2_PT2_iSB_SB_: ; @_Z39paged_attention_ll4mi_QKV_mfma16_kernelIDF16_hLN4vllm18Fp8KVCacheDataTypeE1EhLi32ELi64ELi256ELb0ELi10EEvPKT_PKT0_S7_ifPKiS9_S9_iPKfiiiPfSC_PS2_PT2_iSB_SB_
; %bb.0:
	s_load_dwordx2 s[12:13], s[0:1], 0x30
	s_mov_b32 s28, s3
	s_mov_b64 s[6:7], 0
	s_waitcnt lgkmcnt(0)
	s_cmp_lg_u64 s[12:13], 0
	s_cselect_b64 s[14:15], -1, 0
	s_and_b64 vcc, exec, s[14:15]
	s_cbranch_vccz .LBB877_7
; %bb.1:
	s_add_i32 s8, s2, 1
	s_mov_b32 s9, 0
	s_lshl_b64 s[10:11], s[8:9], 2
	s_add_u32 s10, s12, s10
	s_mov_b32 s3, s9
	s_addc_u32 s11, s13, s11
	s_lshl_b64 s[8:9], s[2:3], 2
	s_add_u32 s8, s12, s8
	s_addc_u32 s9, s13, s9
	s_load_dword s5, s[10:11], 0x0
	s_load_dword s16, s[8:9], 0x0
	s_waitcnt lgkmcnt(0)
	s_sub_i32 s5, s5, s16
	s_cmp_eq_u32 s5, 1
	s_cselect_b64 s[8:9], -1, 0
	s_andn2_b64 vcc, exec, s[6:7]
	s_cbranch_vccnz .LBB877_3
.LBB877_2:
	s_mov_b32 s3, 0
	s_mov_b64 s[8:9], -1
.LBB877_3:
	s_andn2_b64 vcc, exec, s[8:9]
	s_cbranch_vccnz .LBB877_18
; %bb.4:
	s_load_dwordx2 s[6:7], s[0:1], 0x28
	s_lshl_b64 s[16:17], s[2:3], 2
	s_waitcnt lgkmcnt(0)
	s_add_u32 s6, s6, s16
	s_addc_u32 s7, s7, s17
	s_load_dword s33, s[6:7], 0x0
	s_lshl_b32 s5, s28, 8
	s_waitcnt lgkmcnt(0)
	s_cmp_ge_i32 s5, s33
	s_cbranch_scc1 .LBB877_18
; %bb.5:
	s_load_dwordx2 s[6:7], s[0:1], 0x20
	s_load_dword s8, s[0:1], 0x38
	s_add_i32 s9, s33, 31
	s_ashr_i32 s10, s9, 31
	v_and_b32_e32 v1, 0xcf, v0
	s_lshr_b32 s10, s10, 27
	v_add_u32_e32 v1, s5, v1
	s_add_i32 s9, s9, s10
	v_ashrrev_i32_e32 v2, 31, v1
	s_ashr_i32 s18, s9, 5
	v_lshrrev_b32_e32 v4, 27, v2
	s_add_i32 s18, s18, -1
	s_waitcnt lgkmcnt(0)
	s_mul_i32 s8, s2, s8
	s_mov_b32 s9, 0
	v_add_u32_e32 v2, v1, v4
	s_lshl_b64 s[8:9], s[8:9], 2
	v_ashrrev_i32_e32 v2, 5, v2
	v_mov_b32_e32 v5, s18
	v_cmp_gt_i32_e32 vcc, s33, v1
	s_add_u32 s6, s6, s8
	s_addc_u32 s7, s7, s9
	v_cndmask_b32_e32 v2, v5, v2, vcc
	v_ashrrev_i32_e32 v3, 31, v2
	v_lshl_add_u64 v[6:7], v[2:3], 2, s[6:7]
	v_or_b32_e32 v2, 16, v1
	v_add_u32_e32 v3, v2, v4
	v_ashrrev_i32_e32 v3, 5, v3
	v_cmp_gt_i32_e32 vcc, s33, v2
	s_load_dwordx4 s[8:11], s[0:1], 0x8
	s_nop 0
	v_cndmask_b32_e32 v2, v5, v3, vcc
	v_ashrrev_i32_e32 v3, 31, v2
	v_lshl_add_u64 v[8:9], v[2:3], 2, s[6:7]
	v_or_b32_e32 v2, 32, v1
	v_add_u32_e32 v3, v2, v4
	v_ashrrev_i32_e32 v3, 5, v3
	v_cmp_gt_i32_e32 vcc, s33, v2
	v_or_b32_e32 v1, 48, v1
	s_nop 0
	v_cndmask_b32_e32 v2, v5, v3, vcc
	v_ashrrev_i32_e32 v3, 31, v2
	v_lshl_add_u64 v[10:11], v[2:3], 2, s[6:7]
	v_add_u32_e32 v2, v1, v4
	v_ashrrev_i32_e32 v2, 5, v2
	v_cmp_gt_i32_e32 vcc, s33, v1
	s_nop 1
	v_cndmask_b32_e32 v2, v5, v2, vcc
	v_ashrrev_i32_e32 v3, 31, v2
	v_lshl_add_u64 v[14:15], v[2:3], 2, s[6:7]
	global_load_dword v2, v[6:7], off
	global_load_dword v5, v[8:9], off
	;; [unrolled: 1-line block ×4, first 2 shown]
	s_andn2_b64 vcc, exec, s[14:15]
	s_cbranch_vccnz .LBB877_8
; %bb.6:
	s_add_u32 s12, s12, s16
	s_addc_u32 s13, s13, s17
	s_load_dword s14, s[12:13], 0x0
	s_branch .LBB877_9
.LBB877_7:
	s_mov_b64 s[8:9], 0
	s_branch .LBB877_2
.LBB877_8:
	s_mov_b32 s14, s2
.LBB877_9:
	s_load_dwordx4 s[44:47], s[0:1], 0x48
	v_lshrrev_b32_e32 v29, 6, v0
	v_bfe_u32 v42, v0, 4, 2
	v_lshl_or_b32 v3, v29, 2, v42
	v_and_b32_e32 v28, 15, v0
	v_lshlrev_b32_e32 v1, 3, v28
	v_cmp_gt_u32_e32 vcc, 10, v3
	v_cmp_gt_u32_e64 s[30:31], 8, v28
	v_and_b32_e32 v43, 63, v0
	s_mul_i32 s48, s4, 10
	s_and_b64 s[16:17], s[30:31], vcc
	v_lshlrev_b32_e32 v26, 1, v1
	v_lshlrev_b32_e32 v1, 4, v0
	s_and_saveexec_b64 s[12:13], s[16:17]
	s_cbranch_execz .LBB877_11
; %bb.10:
	s_load_dwordx2 s[16:17], s[0:1], 0x0
	s_waitcnt lgkmcnt(0)
	s_ashr_i32 s15, s44, 31
	s_mul_hi_u32 s19, s14, s44
	s_mul_i32 s15, s14, s15
	s_add_i32 s15, s19, s15
	s_mul_i32 s14, s14, s44
	s_lshl_b64 s[14:15], s[14:15], 1
	s_add_u32 s14, s16, s14
	v_add_lshl_u32 v6, v3, s48, 6
	s_addc_u32 s15, s17, s15
	v_ashrrev_i32_e32 v7, 31, v6
	v_lshl_add_u64 v[6:7], v[6:7], 1, s[14:15]
	v_mov_b32_e32 v27, 0
	v_lshl_add_u64 v[6:7], v[6:7], 0, v[26:27]
	global_load_dwordx4 v[6:9], v[6:7], off
	v_lshlrev_b32_e32 v11, 8, v28
	v_lshlrev_b32_e32 v3, 5, v3
	v_and_b32_e32 v10, 16, v1
	v_and_b32_e32 v11, 0xe00, v11
	v_or3_b32 v3, v11, v3, v10
	s_waitcnt vmcnt(0)
	ds_write_b128 v3, v[6:9]
.LBB877_11:
	s_or_b64 exec, exec, s[12:13]
	s_waitcnt lgkmcnt(0)
	s_mul_i32 s4, s4, s46
	s_add_u32 s8, s8, s4
	s_addc_u32 s9, s9, 0
	v_mov_b32_e32 v31, 0
	v_mov_b64_e32 v[10:11], s[8:9]
	v_and_b32_e32 v8, 48, v0
	s_waitcnt vmcnt(3)
	v_mad_i64_i32 v[6:7], s[8:9], v2, s45, v[10:11]
	v_lshlrev_b32_e32 v2, 4, v28
	v_mov_b32_e32 v3, v31
	v_lshlrev_b32_e32 v30, 5, v8
	v_lshl_add_u64 v[6:7], v[6:7], 0, v[2:3]
	v_lshl_add_u64 v[6:7], v[6:7], 0, v[30:31]
	s_load_dword s29, s[0:1], 0x98
	s_load_dwordx4 s[40:43], s[0:1], 0x80
	s_waitcnt lgkmcnt(0)
	s_barrier
	global_load_dwordx4 v[14:17], v[6:7], off
	s_waitcnt vmcnt(3)
	v_mad_i64_i32 v[6:7], s[8:9], v5, s45, v[10:11]
	v_or_b32_e32 v32, 0x100, v2
	v_mov_b32_e32 v33, v31
	v_lshl_add_u64 v[6:7], v[6:7], 0, v[32:33]
	v_lshl_add_u64 v[6:7], v[6:7], 0, v[30:31]
	global_load_dwordx4 v[18:21], v[6:7], off
	s_ashr_i32 s8, s5, 31
	v_or_b32_e32 v5, s5, v8
	s_lshr_b32 s12, s8, 27
	v_add_u32_e32 v8, s12, v5
	v_cmp_gt_i32_e32 vcc, s33, v5
	v_or_b32_e32 v34, 64, v5
	v_or_b32_e32 v35, 0x80, v5
	;; [unrolled: 1-line block ×3, first 2 shown]
	s_waitcnt vmcnt(3)
	v_mad_i64_i32 v[4:5], s[8:9], v4, s45, v[10:11]
	v_lshl_add_u64 v[2:3], v[4:5], 0, v[2:3]
	v_lshl_add_u64 v[2:3], v[2:3], 0, v[30:31]
	global_load_dwordx4 v[22:25], v[2:3], off
	v_ashrrev_i32_e32 v8, 5, v8
	v_mov_b32_e32 v13, s18
	v_cndmask_b32_e32 v8, v13, v8, vcc
	v_ashrrev_i32_e32 v9, 31, v8
	v_add_u32_e32 v6, -10, v28
	v_cmp_gt_u32_e32 vcc, 10, v28
	s_waitcnt vmcnt(3)
	v_mad_i64_i32 v[10:11], s[8:9], v12, s45, v[10:11]
	v_add_u32_e32 v12, s12, v34
	v_lshl_add_u64 v[8:9], v[8:9], 2, s[6:7]
	v_cndmask_b32_e32 v6, v6, v28, vcc
	v_add_u32_e32 v37, s12, v35
	v_ashrrev_i32_e32 v12, 5, v12
	v_cmp_gt_i32_e32 vcc, s33, v34
	global_load_dword v45, v[8:9], off
	v_lshlrev_b32_e32 v6, 5, v6
	v_add_u32_e32 v38, s12, v36
	v_lshl_add_u64 v[10:11], v[10:11], 0, v[32:33]
	v_ashrrev_i32_e32 v33, 5, v37
	v_cndmask_b32_e32 v32, v13, v12, vcc
	v_cmp_gt_i32_e32 vcc, s33, v35
	v_lshl_add_u32 v2, v42, 9, v6
	v_ashrrev_i32_e32 v37, 5, v38
	v_lshl_add_u64 v[10:11], v[10:11], 0, v[30:31]
	v_cndmask_b32_e32 v34, v13, v33, vcc
	v_cmp_gt_i32_e32 vcc, s33, v36
	ds_read_b128 v[6:9], v2
	ds_read_b128 v[2:5], v2 offset:16
	v_cndmask_b32_e32 v36, v13, v37, vcc
	global_load_dwordx4 v[10:13], v[10:11], off
	v_ashrrev_i32_e32 v33, 31, v32
	v_ashrrev_i32_e32 v37, 31, v36
	;; [unrolled: 1-line block ×3, first 2 shown]
	v_lshl_add_u64 v[32:33], v[32:33], 2, s[6:7]
	v_lshl_add_u64 v[36:37], v[36:37], 2, s[6:7]
	;; [unrolled: 1-line block ×3, first 2 shown]
	global_load_dword v44, v[32:33], off
	global_load_dword v34, v[40:41], off
	;; [unrolled: 1-line block ×3, first 2 shown]
	s_add_u32 s8, s10, s4
	v_lshlrev_b32_e32 v27, 5, v28
	s_addc_u32 s9, s11, 0
	v_and_b32_e32 v30, 16, v0
	v_lshl_add_u64 v[38:39], s[8:9], 0, v[30:31]
	v_lshl_or_b32 v30, v29, 9, v27
	v_lshl_add_u64 v[30:31], v[38:39], 0, v[30:31]
	s_load_dword s13, s[0:1], 0x1c
	s_load_dword s4, s[40:41], 0x0
	s_mov_b32 s44, 0xff7fffff
	s_waitcnt vmcnt(7)
	v_cvt_pk_f32_fp8_e32 v[32:33], v14
	v_cvt_pk_f32_fp8_sdwa v[36:37], v14 src0_sel:WORD_1
	v_cvt_pk_f32_fp8_e32 v[38:39], v15
	v_cvt_pk_f32_fp8_sdwa v[14:15], v15 src0_sel:WORD_1
	v_cvt_pkrtz_f16_f32 v32, v32, v33
	v_cvt_pkrtz_f16_f32 v33, v36, v37
	v_cvt_pk_f32_fp8_e32 v[40:41], v16
	v_cvt_pk_f32_fp8_sdwa v[46:47], v16 src0_sel:WORD_1
	v_cvt_pkrtz_f16_f32 v48, v38, v39
	v_cvt_pkrtz_f16_f32 v49, v14, v15
	s_waitcnt lgkmcnt(0)
	v_mfma_f32_16x16x16_f16 v[36:39], v[32:33], v[6:7], 0
	v_cvt_pk_f32_fp8_e32 v[32:33], v17
	v_cvt_pkrtz_f16_f32 v40, v40, v41
	v_cvt_pkrtz_f16_f32 v41, v46, v47
	v_cvt_pk_f32_fp8_sdwa v[16:17], v17 src0_sel:WORD_1
	v_mfma_f32_16x16x16_f16 v[36:39], v[48:49], v[8:9], v[36:39]
	v_cvt_pkrtz_f16_f32 v32, v32, v33
	s_waitcnt vmcnt(6)
	v_cvt_pk_f32_fp8_sdwa v[46:47], v20 src0_sel:WORD_1
	v_cvt_pkrtz_f16_f32 v33, v16, v17
	v_mfma_f32_16x16x16_f16 v[36:39], v[40:41], v[2:3], v[36:39]
	v_cvt_pk_f32_fp8_e32 v[16:17], v18
	v_cvt_pk_f32_fp8_sdwa v[40:41], v18 src0_sel:WORD_1
	s_waitcnt vmcnt(5)
	v_cvt_pk_f32_fp8_e32 v[52:53], v25
	v_mfma_f32_16x16x16_f16 v[36:39], v[32:33], v[4:5], v[36:39]
	v_cvt_pk_f32_fp8_e32 v[32:33], v19
	v_cvt_pkrtz_f16_f32 v16, v16, v17
	v_cvt_pkrtz_f16_f32 v17, v40, v41
	v_cvt_pk_f32_fp8_sdwa v[18:19], v19 src0_sel:WORD_1
	v_cvt_pkrtz_f16_f32 v32, v32, v33
	v_cvt_pk_f32_fp8_e32 v[40:41], v20
	v_cvt_pkrtz_f16_f32 v33, v18, v19
	v_mfma_f32_16x16x16_f16 v[16:19], v[16:17], v[6:7], 0
	v_cvt_pkrtz_f16_f32 v40, v40, v41
	v_cvt_pkrtz_f16_f32 v41, v46, v47
	v_cvt_pk_f32_fp8_e32 v[46:47], v21
	v_cvt_pk_f32_fp8_sdwa v[20:21], v21 src0_sel:WORD_1
	v_mfma_f32_16x16x16_f16 v[16:19], v[32:33], v[8:9], v[16:19]
	s_waitcnt vmcnt(4)
	v_mad_i64_i32 v[14:15], s[6:7], v45, s45, v[30:31]
	v_cvt_pkrtz_f16_f32 v32, v46, v47
	v_cvt_pkrtz_f16_f32 v33, v20, v21
	v_mfma_f32_16x16x16_f16 v[16:19], v[40:41], v[2:3], v[16:19]
	v_cvt_pk_f32_fp8_e32 v[20:21], v22
	v_cvt_pk_f32_fp8_sdwa v[40:41], v22 src0_sel:WORD_1
	v_cvt_pk_f32_fp8_sdwa v[46:47], v24 src0_sel:WORD_1
	v_mfma_f32_16x16x16_f16 v[16:19], v[32:33], v[4:5], v[16:19]
	v_cvt_pk_f32_fp8_e32 v[32:33], v23
	v_cvt_pkrtz_f16_f32 v20, v20, v21
	v_cvt_pkrtz_f16_f32 v21, v40, v41
	v_cvt_pk_f32_fp8_sdwa v[22:23], v23 src0_sel:WORD_1
	v_cvt_pkrtz_f16_f32 v32, v32, v33
	v_cvt_pk_f32_fp8_e32 v[40:41], v24
	v_cvt_pk_f32_fp8_sdwa v[24:25], v25 src0_sel:WORD_1
	v_cvt_pkrtz_f16_f32 v33, v22, v23
	v_mfma_f32_16x16x16_f16 v[20:23], v[20:21], v[6:7], 0
	v_cvt_pkrtz_f16_f32 v40, v40, v41
	v_cvt_pkrtz_f16_f32 v41, v46, v47
	v_mov_b32_e32 v45, s13
	v_mfma_f32_16x16x16_f16 v[46:49], v[32:33], v[8:9], v[20:23]
	v_mul_f32_e32 v50, s4, v45
	v_cvt_pkrtz_f16_f32 v32, v52, v53
	v_cvt_pkrtz_f16_f32 v33, v24, v25
	v_pk_mul_f32 v[22:23], v[50:51], v[38:39] op_sel_hi:[0,1]
	v_mfma_f32_16x16x16_f16 v[38:41], v[40:41], v[2:3], v[46:49]
	v_pk_mul_f32 v[20:21], v[50:51], v[36:37] op_sel_hi:[0,1]
	s_waitcnt vmcnt(3)
	v_cvt_pk_f32_fp8_e32 v[24:25], v10
	v_cvt_pk_f32_fp8_sdwa v[36:37], v10 src0_sel:WORD_1
	v_mfma_f32_16x16x16_f16 v[46:49], v[32:33], v[4:5], v[38:41]
	v_cvt_pk_f32_fp8_e32 v[32:33], v11
	v_cvt_pkrtz_f16_f32 v24, v24, v25
	v_cvt_pkrtz_f16_f32 v25, v36, v37
	v_cvt_pk_f32_fp8_sdwa v[10:11], v11 src0_sel:WORD_1
	v_cvt_pkrtz_f16_f32 v32, v32, v33
	v_cvt_pk_f32_fp8_e32 v[40:41], v12
	v_cvt_pk_f32_fp8_sdwa v[52:53], v12 src0_sel:WORD_1
	v_cvt_pkrtz_f16_f32 v33, v10, v11
	v_mfma_f32_16x16x16_f16 v[36:39], v[24:25], v[6:7], 0
	v_cvt_pkrtz_f16_f32 v10, v40, v41
	v_cvt_pkrtz_f16_f32 v11, v52, v53
	v_cvt_pk_f32_fp8_e32 v[24:25], v13
	v_cvt_pk_f32_fp8_sdwa v[12:13], v13 src0_sel:WORD_1
	v_mfma_f32_16x16x16_f16 v[6:9], v[32:33], v[8:9], v[36:39]
	v_pk_mul_f32 v[40:41], v[50:51], v[16:17] op_sel_hi:[0,1]
	v_pk_mul_f32 v[32:33], v[50:51], v[48:49] op_sel_hi:[0,1]
	s_nop 0
	v_pk_mul_f32 v[36:37], v[50:51], v[18:19] op_sel_hi:[0,1]
	v_cvt_pkrtz_f16_f32 v18, v24, v25
	v_cvt_pkrtz_f16_f32 v19, v12, v13
	v_mfma_f32_16x16x16_f16 v[6:9], v[10:11], v[2:3], v[6:9]
	v_pk_mul_f32 v[38:39], v[50:51], v[46:47] op_sel_hi:[0,1]
	v_mfma_f32_16x16x16_f16 v[2:5], v[18:19], v[4:5], v[6:9]
	s_nop 6
	v_pk_mul_f32 v[24:25], v[50:51], v[2:3] op_sel_hi:[0,1]
	v_and_b32_e32 v2, 0xc0, v0
	v_add_u32_e32 v2, s5, v2
	v_lshl_or_b32 v2, v42, 2, v2
	v_pk_mul_f32 v[18:19], v[50:51], v[4:5] op_sel_hi:[0,1]
	v_or_b32_e32 v5, 1, v2
	v_mov_b32_e32 v3, 0xff7fffff
	v_cmp_gt_i32_e64 s[4:5], s33, v2
	v_cmp_gt_i32_e64 s[34:35], s33, v5
	v_or_b32_e32 v6, 3, v2
	v_cndmask_b32_e64 v4, v3, v20, s[4:5]
	v_cndmask_b32_e64 v5, v3, v21, s[34:35]
	v_max3_f32 v4, v4, s44, v5
	v_or_b32_e32 v5, 2, v2
	v_cmp_gt_i32_e64 s[36:37], s33, v5
	v_cmp_gt_i32_e64 s[38:39], s33, v6
	s_nop 0
	v_cndmask_b32_e64 v5, v3, v22, s[36:37]
	v_cndmask_b32_e64 v6, v3, v23, s[38:39]
	v_max3_f32 v4, v4, v5, v6
	v_or_b32_e32 v5, 16, v2
	v_or_b32_e32 v6, 17, v2
	v_cmp_gt_i32_e64 s[24:25], s33, v5
	v_cmp_gt_i32_e64 s[26:27], s33, v6
	s_nop 0
	v_cndmask_b32_e64 v5, v3, v40, s[24:25]
	v_cndmask_b32_e64 v6, v3, v41, s[26:27]
	v_max3_f32 v4, v4, v5, v6
	v_or_b32_e32 v5, 18, v2
	;; [unrolled: 8-line block ×6, first 2 shown]
	v_or_b32_e32 v2, 51, v2
	v_cmp_gt_i32_e32 vcc, s33, v5
	v_cmp_gt_i32_e64 s[6:7], s33, v2
	s_nop 0
	v_cndmask_b32_e32 v5, v3, v18, vcc
	v_cndmask_b32_e64 v2, v3, v19, s[6:7]
	v_max3_f32 v4, v4, v5, v2
	v_mbcnt_lo_u32_b32 v2, -1, 0
	v_mbcnt_hi_u32_b32 v5, -1, v2
	v_and_b32_e32 v2, 64, v5
	v_add_u32_e32 v6, 64, v2
	v_xor_b32_e32 v2, 32, v5
	v_cmp_lt_i32_e64 s[40:41], v2, v6
	s_nop 1
	v_cndmask_b32_e64 v2, v5, v2, s[40:41]
	v_lshlrev_b32_e32 v45, 2, v2
	ds_bpermute_b32 v7, v45, v4
	s_waitcnt vmcnt(2)
	v_mad_i64_i32 v[2:3], s[40:41], v44, s45, v[30:31]
	global_load_dwordx4 v[14:17], v[14:15], off
	s_nop 0
	global_load_dwordx4 v[10:13], v[2:3], off
	v_xor_b32_e32 v3, 16, v5
	v_cmp_lt_i32_e64 s[40:41], v3, v6
	s_waitcnt lgkmcnt(0)
	v_max_f32_e32 v2, v7, v7
	v_max_f32_e32 v2, v4, v2
	v_cndmask_b32_e64 v3, v5, v3, s[40:41]
	v_lshlrev_b32_e32 v48, 2, v3
	ds_bpermute_b32 v3, v48, v2
	s_waitcnt vmcnt(3)
	v_mad_i64_i32 v[46:47], s[40:41], v34, s45, v[30:31]
	s_waitcnt vmcnt(2)
	v_mad_i64_i32 v[30:31], s[40:41], v35, s45, v[30:31]
	s_waitcnt lgkmcnt(0)
	v_max_f32_e32 v3, v3, v3
	v_max_f32_e32 v44, v2, v3
	v_sub_f32_e32 v2, v20, v44
	v_mul_f32_e32 v2, 0x3fb8aa3b, v2
	v_exp_f32_e32 v20, v2
	v_sub_f32_e32 v2, v21, v44
	v_mul_f32_e32 v2, 0x3fb8aa3b, v2
	v_exp_f32_e32 v21, v2
	global_load_dwordx4 v[6:9], v[46:47], off
	global_load_dwordx4 v[2:5], v[30:31], off
	v_sub_f32_e32 v22, v22, v44
	v_mul_f32_e32 v22, 0x3fb8aa3b, v22
	v_sub_f32_e32 v23, v23, v44
	v_exp_f32_e32 v22, v22
	v_mul_f32_e32 v23, 0x3fb8aa3b, v23
	v_exp_f32_e32 v23, v23
	v_cndmask_b32_e64 v20, 0, v20, s[4:5]
	v_add_f32_e32 v30, 0, v20
	v_cndmask_b32_e64 v21, 0, v21, s[34:35]
	v_add_f32_e32 v30, v30, v21
	;; [unrolled: 2-line block ×3, first 2 shown]
	v_cndmask_b32_e64 v35, 0, v23, s[38:39]
	v_sub_f32_e32 v23, v40, v44
	v_sub_f32_e32 v30, v41, v44
	v_mul_f32_e32 v23, 0x3fb8aa3b, v23
	v_mul_f32_e32 v30, 0x3fb8aa3b, v30
	v_exp_f32_e32 v23, v23
	v_exp_f32_e32 v30, v30
	v_add_f32_e32 v31, v22, v35
	v_sub_f32_e32 v32, v32, v44
	v_cndmask_b32_e64 v22, 0, v23, s[24:25]
	v_cndmask_b32_e64 v23, 0, v30, s[26:27]
	v_sub_f32_e32 v30, v36, v44
	v_mul_f32_e32 v30, 0x3fb8aa3b, v30
	v_exp_f32_e32 v30, v30
	v_sub_f32_e32 v36, v37, v44
	v_add_f32_e32 v31, v31, v22
	v_mul_f32_e32 v36, 0x3fb8aa3b, v36
	v_exp_f32_e32 v37, v36
	v_add_f32_e32 v31, v31, v23
	v_cndmask_b32_e64 v36, 0, v30, s[20:21]
	v_add_f32_e32 v30, v31, v36
	v_sub_f32_e32 v31, v38, v44
	v_mul_f32_e32 v31, 0x3fb8aa3b, v31
	v_sub_f32_e32 v38, v39, v44
	v_exp_f32_e32 v31, v31
	v_mul_f32_e32 v38, 0x3fb8aa3b, v38
	v_exp_f32_e32 v38, v38
	v_mul_f32_e32 v32, 0x3fb8aa3b, v32
	v_sub_f32_e32 v33, v33, v44
	v_exp_f32_e32 v32, v32
	v_mul_f32_e32 v33, 0x3fb8aa3b, v33
	v_sub_f32_e32 v24, v24, v44
	v_cndmask_b32_e64 v37, 0, v37, s[22:23]
	v_exp_f32_e32 v33, v33
	v_mul_f32_e32 v24, 0x3fb8aa3b, v24
	v_sub_f32_e32 v25, v25, v44
	v_add_f32_e32 v39, v30, v37
	v_cndmask_b32_e64 v30, 0, v31, s[16:17]
	v_exp_f32_e32 v24, v24
	v_mul_f32_e32 v25, 0x3fb8aa3b, v25
	v_sub_f32_e32 v18, v18, v44
	v_add_f32_e32 v39, v39, v30
	;; [unrolled: 5-line block ×3, first 2 shown]
	v_cndmask_b32_e64 v32, 0, v32, s[12:13]
	v_exp_f32_e32 v18, v18
	v_mul_f32_e32 v19, 0x3fb8aa3b, v19
	v_add_f32_e32 v38, v38, v32
	v_cndmask_b32_e64 v33, 0, v33, s[14:15]
	v_exp_f32_e32 v19, v19
	v_add_f32_e32 v38, v38, v33
	v_cndmask_b32_e64 v24, 0, v24, s[8:9]
	v_add_f32_e32 v38, v38, v24
	v_cndmask_b32_e64 v25, 0, v25, s[10:11]
	v_add_f32_e32 v38, v38, v25
	v_cndmask_b32_e32 v18, 0, v18, vcc
	v_add_f32_e32 v38, v38, v18
	v_cndmask_b32_e64 v19, 0, v19, s[6:7]
	v_add_f32_e32 v38, v38, v19
	ds_bpermute_b32 v39, v45, v38
	v_cmp_gt_u32_e32 vcc, 16, v43
	s_waitcnt lgkmcnt(0)
	s_barrier
	v_add_f32_e32 v38, v38, v39
	ds_bpermute_b32 v40, v48, v38
	v_lshlrev_b32_e32 v39, 2, v28
	s_and_saveexec_b64 s[4:5], vcc
	s_cbranch_execz .LBB877_13
; %bb.12:
	s_waitcnt lgkmcnt(0)
	v_add_f32_e32 v38, v38, v40
	v_lshl_or_b32 v40, v29, 6, v39
	ds_write2st64_b32 v40, v44, v38 offset1:1
.LBB877_13:
	s_or_b64 exec, exec, s[4:5]
	s_load_dword s6, s[0:1], 0x94
	s_waitcnt lgkmcnt(0)
	s_barrier
	ds_read2_b32 v[40:41], v39 offset1:16
	ds_read2_b32 v[44:45], v39 offset0:32 offset1:48
	ds_read2_b32 v[46:47], v39 offset0:64 offset1:80
	s_mul_i32 s7, s29, 10
	s_waitcnt lgkmcnt(2)
	v_max3_f32 v38, v40, s44, v41
	s_waitcnt lgkmcnt(1)
	v_max3_f32 v38, v38, v44, v45
	v_sub_f32_e32 v40, v40, v38
	v_mul_f32_e32 v40, 0x3fb8aa3b, v40
	v_exp_f32_e32 v43, v40
	v_sub_f32_e32 v40, v41, v38
	v_mul_f32_e32 v40, 0x3fb8aa3b, v40
	v_exp_f32_e32 v48, v40
	;; [unrolled: 3-line block ×3, first 2 shown]
	ds_read2_b32 v[40:41], v39 offset0:96 offset1:112
	v_sub_f32_e32 v39, v45, v38
	v_mul_f32_e32 v39, 0x3fb8aa3b, v39
	v_exp_f32_e32 v45, v39
	s_waitcnt lgkmcnt(1)
	v_fma_f32 v39, v43, v46, 0
	v_fmac_f32_e32 v39, v48, v47
	s_waitcnt lgkmcnt(0)
	v_fmac_f32_e32 v39, v44, v40
	v_fmac_f32_e32 v39, v45, v41
	v_add_f32_e32 v40, 0x358637bd, v39
	v_div_scale_f32 v41, s[4:5], v40, v40, 1.0
	v_rcp_f32_e32 v46, v41
	s_barrier
	v_fma_f32 v47, -v41, v46, 1.0
	v_fmac_f32_e32 v46, v47, v46
	v_div_scale_f32 v47, vcc, 1.0, v40, 1.0
	v_mul_f32_e32 v49, v47, v46
	v_fma_f32 v50, -v41, v49, v47
	v_fmac_f32_e32 v49, v50, v46
	v_fma_f32 v41, -v41, v49, v47
	v_div_fmas_f32 v41, v41, v46, v49
	v_cmp_eq_u32_e32 vcc, 1, v29
	v_div_fixup_f32 v40, v41, v40, 1.0
	s_nop 0
	v_cndmask_b32_e32 v41, v43, v48, vcc
	v_cmp_eq_u32_e32 vcc, 2, v29
	s_nop 1
	v_cndmask_b32_e32 v41, v41, v44, vcc
	v_cmp_eq_u32_e32 vcc, 3, v29
	s_nop 1
	v_cndmask_b32_e32 v41, v41, v45, vcc
	v_mul_f32_e32 v40, v41, v40
	v_pk_mul_f32 v[34:35], v[40:41], v[34:35] op_sel_hi:[0,1]
	v_pk_mul_f32 v[20:21], v[40:41], v[20:21] op_sel_hi:[0,1]
	v_cvt_f16_f32_e32 v41, v34
	v_cvt_f16_f32_e32 v35, v35
	;; [unrolled: 1-line block ×4, first 2 shown]
	v_cmp_gt_u32_e32 vcc, 10, v0
	v_pack_b32_f16 v35, v41, v35
	v_lshlrev_b32_e32 v41, 3, v42
	v_pack_b32_f16 v34, v20, v21
	v_pk_mul_f32 v[20:21], v[40:41], v[36:37] op_sel_hi:[0,1]
	v_pk_mul_f32 v[22:23], v[40:41], v[22:23] op_sel_hi:[0,1]
	v_cvt_f16_f32_e32 v22, v22
	v_cvt_f16_f32_e32 v23, v23
	;; [unrolled: 1-line block ×4, first 2 shown]
	v_lshlrev_b32_e32 v20, 11, v29
	v_or3_b32 v20, v20, v27, v41
	v_pack_b32_f16 v22, v22, v23
	v_pack_b32_f16 v23, v36, v21
	ds_write2st64_b64 v20, v[34:35], v[22:23] offset1:1
	v_pk_mul_f32 v[22:23], v[40:41], v[32:33] op_sel_hi:[0,1]
	v_pk_mul_f32 v[30:31], v[40:41], v[30:31] op_sel_hi:[0,1]
	v_cvt_f16_f32_e32 v21, v30
	v_cvt_f16_f32_e32 v29, v31
	;; [unrolled: 1-line block ×4, first 2 shown]
	v_pk_mul_f32 v[18:19], v[40:41], v[18:19] op_sel_hi:[0,1]
	v_pk_mul_f32 v[22:23], v[40:41], v[24:25] op_sel_hi:[0,1]
	v_cvt_f16_f32_e32 v22, v22
	v_cvt_f16_f32_e32 v23, v23
	;; [unrolled: 1-line block ×4, first 2 shown]
	v_pack_b32_f16 v18, v21, v29
	v_pack_b32_f16 v19, v30, v31
	;; [unrolled: 1-line block ×4, first 2 shown]
	ds_write2st64_b64 v20, v[18:19], v[22:23] offset0:2 offset1:3
	s_and_saveexec_b64 s[4:5], vcc
	s_cbranch_execz .LBB877_15
; %bb.14:
	s_mov_b32 s49, 0
	v_mov_b32_e32 v29, 0
	v_lshl_add_u64 v[18:19], s[48:49], 0, v[28:29]
	v_mov_b32_e32 v21, s7
	v_mad_u64_u32 v[18:19], s[12:13], s2, v21, v[18:19]
	s_mul_i32 s3, s3, s7
	v_mov_b32_e32 v28, s28
	s_load_dwordx4 s[8:11], s[0:1], 0x58
	v_add_u32_e32 v21, s3, v19
	v_mad_u64_u32 v[18:19], s[12:13], v18, s6, v[28:29]
	v_mov_b32_e32 v22, v19
	v_mad_u64_u32 v[22:23], s[12:13], v21, s6, v[22:23]
	v_mov_b32_e32 v19, v22
	v_lshlrev_b64 v[18:19], 2, v[18:19]
	s_waitcnt lgkmcnt(0)
	v_lshl_add_u64 v[22:23], s[10:11], 0, v[18:19]
	v_lshl_add_u64 v[18:19], s[8:9], 0, v[18:19]
	global_store_dword v[22:23], v38, off
	global_store_dword v[18:19], v39, off
.LBB877_15:
	s_or_b64 exec, exec, s[4:5]
	s_waitcnt vmcnt(3)
	v_cvt_pk_f32_fp8_e32 v[18:19], v14
	v_cvt_pk_f32_fp8_sdwa v[22:23], v14 src0_sel:WORD_1
	v_cvt_pk_f32_fp8_e32 v[24:25], v15
	v_lshl_or_b32 v14, v42, 9, v27
	s_waitcnt lgkmcnt(0)
	s_barrier
	v_cvt_pkrtz_f16_f32 v18, v18, v19
	v_cvt_pkrtz_f16_f32 v19, v22, v23
	v_cvt_pk_f32_fp8_sdwa v[28:29], v15 src0_sel:WORD_1
	v_cvt_pkrtz_f16_f32 v36, v24, v25
	ds_read_b128 v[22:25], v14
	v_cvt_pk_f32_fp8_e32 v[38:39], v16
	v_cvt_pkrtz_f16_f32 v37, v28, v29
	ds_read_b128 v[28:31], v14 offset:16
	v_cvt_pk_f32_fp8_sdwa v[40:41], v16 src0_sel:WORD_1
	s_waitcnt lgkmcnt(1)
	v_mfma_f32_16x16x16_f16 v[32:35], v[18:19], v[22:23], 0
	v_cvt_pkrtz_f16_f32 v18, v38, v39
	v_cvt_pk_f32_fp8_e32 v[38:39], v17
	v_cvt_pkrtz_f16_f32 v19, v40, v41
	v_mfma_f32_16x16x16_f16 v[22:25], v[36:37], v[24:25], v[32:35]
	s_waitcnt vmcnt(2)
	v_cvt_pk_f32_fp8_sdwa v[36:37], v12 src0_sel:WORD_1
	s_load_dword s4, s[42:43], 0x0
	v_cmp_gt_u32_e32 vcc, 64, v0
	v_cvt_pk_f32_fp8_sdwa v[32:33], v17 src0_sel:WORD_1
	v_cvt_pkrtz_f16_f32 v34, v38, v39
	s_waitcnt lgkmcnt(0)
	v_mfma_f32_16x16x16_f16 v[16:19], v[18:19], v[28:29], v[22:25]
	v_cvt_pk_f32_fp8_e32 v[28:29], v11
	v_cvt_pkrtz_f16_f32 v35, v32, v33
	s_mov_b32 s3, 0
	v_cvt_pk_f32_fp8_e32 v[22:23], v10
	v_cvt_pk_f32_fp8_sdwa v[24:25], v10 src0_sel:WORD_1
	v_mfma_f32_16x16x16_f16 v[16:19], v[34:35], v[30:31], v[16:19]
	v_cvt_pkrtz_f16_f32 v10, v22, v23
	v_cvt_pk_f32_fp8_sdwa v[30:31], v11 src0_sel:WORD_1
	v_cvt_pkrtz_f16_f32 v11, v24, v25
	ds_read_b128 v[22:25], v14 offset:2048
	v_cvt_pkrtz_f16_f32 v32, v28, v29
	v_cvt_pkrtz_f16_f32 v33, v30, v31
	ds_read_b128 v[28:31], v14 offset:2064
	v_cvt_pk_f32_fp8_e32 v[34:35], v12
	s_waitcnt lgkmcnt(1)
	v_mfma_f32_16x16x16_f16 v[16:19], v[10:11], v[22:23], v[16:19]
	v_cvt_pkrtz_f16_f32 v11, v36, v37
	v_cvt_pk_f32_fp8_e32 v[22:23], v13
	v_cvt_pkrtz_f16_f32 v10, v34, v35
	v_mfma_f32_16x16x16_f16 v[16:19], v[32:33], v[24:25], v[16:19]
	v_cvt_pk_f32_fp8_sdwa v[24:25], v13 src0_sel:WORD_1
	v_cvt_pkrtz_f16_f32 v22, v22, v23
	s_waitcnt vmcnt(1)
	v_cvt_pk_f32_fp8_sdwa v[32:33], v8 src0_sel:WORD_1
	s_waitcnt lgkmcnt(0)
	v_mfma_f32_16x16x16_f16 v[10:13], v[10:11], v[28:29], v[16:19]
	v_cvt_pkrtz_f16_f32 v23, v24, v25
	v_cvt_pk_f32_fp8_sdwa v[24:25], v7 src0_sel:WORD_1
	v_mov_b32_e32 v27, 0
	v_cvt_pk_f32_fp8_e32 v[16:17], v6
	v_cvt_pk_f32_fp8_sdwa v[18:19], v6 src0_sel:WORD_1
	v_mfma_f32_16x16x16_f16 v[10:13], v[22:23], v[30:31], v[10:13]
	v_cvt_pk_f32_fp8_e32 v[22:23], v7
	v_cvt_pkrtz_f16_f32 v6, v16, v17
	v_cvt_pkrtz_f16_f32 v7, v18, v19
	ds_read_b128 v[16:19], v14 offset:4096
	v_cvt_pkrtz_f16_f32 v28, v22, v23
	v_cvt_pkrtz_f16_f32 v29, v24, v25
	ds_read_b128 v[22:25], v14 offset:4112
	v_cvt_pk_f32_fp8_e32 v[30:31], v8
	s_waitcnt lgkmcnt(1)
	v_mfma_f32_16x16x16_f16 v[10:13], v[6:7], v[16:17], v[10:13]
	v_cvt_pkrtz_f16_f32 v7, v32, v33
	v_cvt_pk_f32_fp8_e32 v[16:17], v9
	v_cvt_pkrtz_f16_f32 v6, v30, v31
	v_mfma_f32_16x16x16_f16 v[10:13], v[28:29], v[18:19], v[10:13]
	v_cvt_pk_f32_fp8_sdwa v[18:19], v9 src0_sel:WORD_1
	v_cvt_pkrtz_f16_f32 v16, v16, v17
	v_cvt_pkrtz_f16_f32 v17, v18, v19
	s_waitcnt lgkmcnt(0)
	v_mfma_f32_16x16x16_f16 v[6:9], v[6:7], v[22:23], v[10:13]
	s_waitcnt vmcnt(0)
	v_cvt_pk_f32_fp8_sdwa v[18:19], v3 src0_sel:WORD_1
	s_nop 0
	v_cvt_pkrtz_f16_f32 v23, v18, v19
	v_cvt_pk_f32_fp8_e32 v[10:11], v2
	v_cvt_pk_f32_fp8_sdwa v[12:13], v2 src0_sel:WORD_1
	v_mfma_f32_16x16x16_f16 v[6:9], v[16:17], v[24:25], v[6:9]
	v_cvt_pk_f32_fp8_e32 v[16:17], v3
	v_cvt_pkrtz_f16_f32 v2, v10, v11
	v_cvt_pkrtz_f16_f32 v3, v12, v13
	ds_read_b128 v[10:13], v14 offset:6144
	v_cvt_pkrtz_f16_f32 v22, v16, v17
	v_cvt_pk_f32_fp8_e32 v[18:19], v4
	v_cvt_pk_f32_fp8_sdwa v[24:25], v4 src0_sel:WORD_1
	s_waitcnt lgkmcnt(0)
	v_mfma_f32_16x16x16_f16 v[6:9], v[2:3], v[10:11], v[6:9]
	ds_read_b128 v[14:17], v14 offset:6160
	v_cvt_pkrtz_f16_f32 v2, v18, v19
	v_cvt_pkrtz_f16_f32 v3, v24, v25
	v_cvt_pk_f32_fp8_e32 v[10:11], v5
	v_mfma_f32_16x16x16_f16 v[6:9], v[22:23], v[12:13], v[6:9]
	v_cvt_pk_f32_fp8_sdwa v[12:13], v5 src0_sel:WORD_1
	s_waitcnt lgkmcnt(0)
	v_cvt_pkrtz_f16_f32 v10, v10, v11
	v_mfma_f32_16x16x16_f16 v[2:5], v[2:3], v[14:15], v[6:9]
	v_cvt_pkrtz_f16_f32 v11, v12, v13
	s_barrier
	s_nop 0
	v_mfma_f32_16x16x16_f16 v[2:5], v[10:11], v[16:17], v[2:5]
	s_nop 6
	v_pk_mul_f32 v[4:5], v[4:5], s[4:5] op_sel_hi:[1,0]
	v_pk_mul_f32 v[2:3], v[2:3], s[4:5] op_sel_hi:[1,0]
	v_cvt_f16_f32_e32 v4, v4
	v_cvt_f16_f32_e32 v2, v2
	;; [unrolled: 1-line block ×4, first 2 shown]
	s_and_b64 s[4:5], vcc, s[30:31]
	v_pack_b32_f16 v2, v2, v3
	v_pack_b32_f16 v3, v4, v5
	ds_write_b64 v20, v[2:3]
	s_waitcnt lgkmcnt(0)
	s_barrier
	s_and_saveexec_b64 s[8:9], s[4:5]
	s_cbranch_execz .LBB877_18
; %bb.16:
	s_load_dwordx2 s[4:5], s[0:1], 0x68
	s_lshl_b32 s0, s6, 6
	s_mul_i32 s1, s7, s2
	s_mul_hi_u32 s7, s1, s0
	s_mul_i32 s6, s1, s0
	v_lshlrev_b32_e32 v0, 10, v0
	s_lshl_b64 s[6:7], s[6:7], 1
	v_and_b32_e32 v0, 0x1800, v0
	v_lshlrev_b32_e32 v2, 5, v42
	v_and_b32_e32 v1, 16, v1
	s_waitcnt lgkmcnt(0)
	s_add_u32 s1, s4, s6
	v_or3_b32 v2, v0, v2, v1
	s_addc_u32 s4, s5, s7
	s_lshl_b32 s2, s28, 6
	s_lshl_b64 s[2:3], s[2:3], 1
	ds_read_b128 v[4:7], v2 offset:128
	ds_read_b128 v[8:11], v2
	s_add_u32 s2, s1, s2
	s_addc_u32 s3, s4, s3
	v_add_u32_e32 v14, s48, v42
	v_lshl_add_u64 v[0:1], s[2:3], 0, v[26:27]
	v_mad_u64_u32 v[12:13], s[2:3], v14, s0, 0
	v_lshl_add_u64 v[12:13], v[12:13], 1, v[0:1]
	s_waitcnt lgkmcnt(0)
	global_store_dwordx4 v[12:13], v[8:11], off
	v_or_b32_e32 v3, 8, v42
	v_cmp_gt_u32_e32 vcc, 10, v3
	v_add_u32_e32 v8, 4, v14
	v_mad_u64_u32 v[8:9], s[2:3], v8, s0, 0
	v_lshl_add_u64 v[8:9], v[8:9], 1, v[0:1]
	global_store_dwordx4 v[8:9], v[4:7], off
	s_and_b64 exec, exec, vcc
	s_cbranch_execz .LBB877_18
; %bb.17:
	ds_read_b128 v[4:7], v2 offset:256
	v_add_u32_e32 v2, s48, v3
	v_mad_u64_u32 v[2:3], s[0:1], v2, s0, 0
	v_lshl_add_u64 v[0:1], v[2:3], 1, v[0:1]
	s_waitcnt lgkmcnt(0)
	global_store_dwordx4 v[0:1], v[4:7], off
.LBB877_18:
	s_endpgm
	.section	.rodata,"a",@progbits
	.p2align	6, 0x0
	.amdhsa_kernel _Z39paged_attention_ll4mi_QKV_mfma16_kernelIDF16_hLN4vllm18Fp8KVCacheDataTypeE1EhLi32ELi64ELi256ELb0ELi10EEvPKT_PKT0_S7_ifPKiS9_S9_iPKfiiiPfSC_PS2_PT2_iSB_SB_
		.amdhsa_group_segment_fixed_size 8192
		.amdhsa_private_segment_fixed_size 0
		.amdhsa_kernarg_size 400
		.amdhsa_user_sgpr_count 2
		.amdhsa_user_sgpr_dispatch_ptr 0
		.amdhsa_user_sgpr_queue_ptr 0
		.amdhsa_user_sgpr_kernarg_segment_ptr 1
		.amdhsa_user_sgpr_dispatch_id 0
		.amdhsa_user_sgpr_kernarg_preload_length 0
		.amdhsa_user_sgpr_kernarg_preload_offset 0
		.amdhsa_user_sgpr_private_segment_size 0
		.amdhsa_uses_dynamic_stack 0
		.amdhsa_enable_private_segment 0
		.amdhsa_system_sgpr_workgroup_id_x 1
		.amdhsa_system_sgpr_workgroup_id_y 1
		.amdhsa_system_sgpr_workgroup_id_z 1
		.amdhsa_system_sgpr_workgroup_info 0
		.amdhsa_system_vgpr_workitem_id 0
		.amdhsa_next_free_vgpr 54
		.amdhsa_next_free_sgpr 50
		.amdhsa_accum_offset 56
		.amdhsa_reserve_vcc 1
		.amdhsa_float_round_mode_32 0
		.amdhsa_float_round_mode_16_64 0
		.amdhsa_float_denorm_mode_32 3
		.amdhsa_float_denorm_mode_16_64 3
		.amdhsa_dx10_clamp 1
		.amdhsa_ieee_mode 1
		.amdhsa_fp16_overflow 0
		.amdhsa_tg_split 0
		.amdhsa_exception_fp_ieee_invalid_op 0
		.amdhsa_exception_fp_denorm_src 0
		.amdhsa_exception_fp_ieee_div_zero 0
		.amdhsa_exception_fp_ieee_overflow 0
		.amdhsa_exception_fp_ieee_underflow 0
		.amdhsa_exception_fp_ieee_inexact 0
		.amdhsa_exception_int_div_zero 0
	.end_amdhsa_kernel
	.section	.text._Z39paged_attention_ll4mi_QKV_mfma16_kernelIDF16_hLN4vllm18Fp8KVCacheDataTypeE1EhLi32ELi64ELi256ELb0ELi10EEvPKT_PKT0_S7_ifPKiS9_S9_iPKfiiiPfSC_PS2_PT2_iSB_SB_,"axG",@progbits,_Z39paged_attention_ll4mi_QKV_mfma16_kernelIDF16_hLN4vllm18Fp8KVCacheDataTypeE1EhLi32ELi64ELi256ELb0ELi10EEvPKT_PKT0_S7_ifPKiS9_S9_iPKfiiiPfSC_PS2_PT2_iSB_SB_,comdat
.Lfunc_end877:
	.size	_Z39paged_attention_ll4mi_QKV_mfma16_kernelIDF16_hLN4vllm18Fp8KVCacheDataTypeE1EhLi32ELi64ELi256ELb0ELi10EEvPKT_PKT0_S7_ifPKiS9_S9_iPKfiiiPfSC_PS2_PT2_iSB_SB_, .Lfunc_end877-_Z39paged_attention_ll4mi_QKV_mfma16_kernelIDF16_hLN4vllm18Fp8KVCacheDataTypeE1EhLi32ELi64ELi256ELb0ELi10EEvPKT_PKT0_S7_ifPKiS9_S9_iPKfiiiPfSC_PS2_PT2_iSB_SB_
                                        ; -- End function
	.section	.AMDGPU.csdata,"",@progbits
; Kernel info:
; codeLenInByte = 4700
; NumSgprs: 56
; NumVgprs: 54
; NumAgprs: 0
; TotalNumVgprs: 54
; ScratchSize: 0
; MemoryBound: 0
; FloatMode: 240
; IeeeMode: 1
; LDSByteSize: 8192 bytes/workgroup (compile time only)
; SGPRBlocks: 6
; VGPRBlocks: 6
; NumSGPRsForWavesPerEU: 56
; NumVGPRsForWavesPerEU: 54
; AccumOffset: 56
; Occupancy: 8
; WaveLimiterHint : 1
; COMPUTE_PGM_RSRC2:SCRATCH_EN: 0
; COMPUTE_PGM_RSRC2:USER_SGPR: 2
; COMPUTE_PGM_RSRC2:TRAP_HANDLER: 0
; COMPUTE_PGM_RSRC2:TGID_X_EN: 1
; COMPUTE_PGM_RSRC2:TGID_Y_EN: 1
; COMPUTE_PGM_RSRC2:TGID_Z_EN: 1
; COMPUTE_PGM_RSRC2:TIDIG_COMP_CNT: 0
; COMPUTE_PGM_RSRC3_GFX90A:ACCUM_OFFSET: 13
; COMPUTE_PGM_RSRC3_GFX90A:TG_SPLIT: 0
	.section	.text._Z39paged_attention_ll4mi_QKV_mfma16_kernelIDF16_hLN4vllm18Fp8KVCacheDataTypeE1EhLi32ELi64ELi256ELb0ELi11EEvPKT_PKT0_S7_ifPKiS9_S9_iPKfiiiPfSC_PS2_PT2_iSB_SB_,"axG",@progbits,_Z39paged_attention_ll4mi_QKV_mfma16_kernelIDF16_hLN4vllm18Fp8KVCacheDataTypeE1EhLi32ELi64ELi256ELb0ELi11EEvPKT_PKT0_S7_ifPKiS9_S9_iPKfiiiPfSC_PS2_PT2_iSB_SB_,comdat
	.protected	_Z39paged_attention_ll4mi_QKV_mfma16_kernelIDF16_hLN4vllm18Fp8KVCacheDataTypeE1EhLi32ELi64ELi256ELb0ELi11EEvPKT_PKT0_S7_ifPKiS9_S9_iPKfiiiPfSC_PS2_PT2_iSB_SB_ ; -- Begin function _Z39paged_attention_ll4mi_QKV_mfma16_kernelIDF16_hLN4vllm18Fp8KVCacheDataTypeE1EhLi32ELi64ELi256ELb0ELi11EEvPKT_PKT0_S7_ifPKiS9_S9_iPKfiiiPfSC_PS2_PT2_iSB_SB_
	.globl	_Z39paged_attention_ll4mi_QKV_mfma16_kernelIDF16_hLN4vllm18Fp8KVCacheDataTypeE1EhLi32ELi64ELi256ELb0ELi11EEvPKT_PKT0_S7_ifPKiS9_S9_iPKfiiiPfSC_PS2_PT2_iSB_SB_
	.p2align	8
	.type	_Z39paged_attention_ll4mi_QKV_mfma16_kernelIDF16_hLN4vllm18Fp8KVCacheDataTypeE1EhLi32ELi64ELi256ELb0ELi11EEvPKT_PKT0_S7_ifPKiS9_S9_iPKfiiiPfSC_PS2_PT2_iSB_SB_,@function
_Z39paged_attention_ll4mi_QKV_mfma16_kernelIDF16_hLN4vllm18Fp8KVCacheDataTypeE1EhLi32ELi64ELi256ELb0ELi11EEvPKT_PKT0_S7_ifPKiS9_S9_iPKfiiiPfSC_PS2_PT2_iSB_SB_: ; @_Z39paged_attention_ll4mi_QKV_mfma16_kernelIDF16_hLN4vllm18Fp8KVCacheDataTypeE1EhLi32ELi64ELi256ELb0ELi11EEvPKT_PKT0_S7_ifPKiS9_S9_iPKfiiiPfSC_PS2_PT2_iSB_SB_
; %bb.0:
	s_load_dwordx2 s[12:13], s[0:1], 0x30
	s_mov_b32 s28, s3
	s_mov_b64 s[6:7], 0
	s_waitcnt lgkmcnt(0)
	s_cmp_lg_u64 s[12:13], 0
	s_cselect_b64 s[14:15], -1, 0
	s_and_b64 vcc, exec, s[14:15]
	s_cbranch_vccz .LBB878_7
; %bb.1:
	s_add_i32 s8, s2, 1
	s_mov_b32 s9, 0
	s_lshl_b64 s[10:11], s[8:9], 2
	s_add_u32 s10, s12, s10
	s_mov_b32 s3, s9
	s_addc_u32 s11, s13, s11
	s_lshl_b64 s[8:9], s[2:3], 2
	s_add_u32 s8, s12, s8
	s_addc_u32 s9, s13, s9
	s_load_dword s5, s[10:11], 0x0
	s_load_dword s16, s[8:9], 0x0
	s_waitcnt lgkmcnt(0)
	s_sub_i32 s5, s5, s16
	s_cmp_eq_u32 s5, 1
	s_cselect_b64 s[8:9], -1, 0
	s_andn2_b64 vcc, exec, s[6:7]
	s_cbranch_vccnz .LBB878_3
.LBB878_2:
	s_mov_b32 s3, 0
	s_mov_b64 s[8:9], -1
.LBB878_3:
	s_andn2_b64 vcc, exec, s[8:9]
	s_cbranch_vccnz .LBB878_18
; %bb.4:
	s_load_dwordx2 s[6:7], s[0:1], 0x28
	s_lshl_b64 s[16:17], s[2:3], 2
	s_waitcnt lgkmcnt(0)
	s_add_u32 s6, s6, s16
	s_addc_u32 s7, s7, s17
	s_load_dword s33, s[6:7], 0x0
	s_lshl_b32 s5, s28, 8
	s_waitcnt lgkmcnt(0)
	s_cmp_ge_i32 s5, s33
	s_cbranch_scc1 .LBB878_18
; %bb.5:
	s_load_dwordx2 s[6:7], s[0:1], 0x20
	s_load_dword s8, s[0:1], 0x38
	s_add_i32 s9, s33, 31
	s_ashr_i32 s10, s9, 31
	v_and_b32_e32 v1, 0xcf, v0
	s_lshr_b32 s10, s10, 27
	v_add_u32_e32 v1, s5, v1
	s_add_i32 s9, s9, s10
	v_ashrrev_i32_e32 v2, 31, v1
	s_ashr_i32 s18, s9, 5
	v_lshrrev_b32_e32 v4, 27, v2
	s_add_i32 s18, s18, -1
	s_waitcnt lgkmcnt(0)
	s_mul_i32 s8, s2, s8
	s_mov_b32 s9, 0
	v_add_u32_e32 v2, v1, v4
	s_lshl_b64 s[8:9], s[8:9], 2
	v_ashrrev_i32_e32 v2, 5, v2
	v_mov_b32_e32 v5, s18
	v_cmp_gt_i32_e32 vcc, s33, v1
	s_add_u32 s6, s6, s8
	s_addc_u32 s7, s7, s9
	v_cndmask_b32_e32 v2, v5, v2, vcc
	v_ashrrev_i32_e32 v3, 31, v2
	v_lshl_add_u64 v[6:7], v[2:3], 2, s[6:7]
	v_or_b32_e32 v2, 16, v1
	v_add_u32_e32 v3, v2, v4
	v_ashrrev_i32_e32 v3, 5, v3
	v_cmp_gt_i32_e32 vcc, s33, v2
	s_load_dwordx4 s[8:11], s[0:1], 0x8
	s_nop 0
	v_cndmask_b32_e32 v2, v5, v3, vcc
	v_ashrrev_i32_e32 v3, 31, v2
	v_lshl_add_u64 v[8:9], v[2:3], 2, s[6:7]
	v_or_b32_e32 v2, 32, v1
	v_add_u32_e32 v3, v2, v4
	v_ashrrev_i32_e32 v3, 5, v3
	v_cmp_gt_i32_e32 vcc, s33, v2
	v_or_b32_e32 v1, 48, v1
	s_nop 0
	v_cndmask_b32_e32 v2, v5, v3, vcc
	v_ashrrev_i32_e32 v3, 31, v2
	v_lshl_add_u64 v[10:11], v[2:3], 2, s[6:7]
	v_add_u32_e32 v2, v1, v4
	v_ashrrev_i32_e32 v2, 5, v2
	v_cmp_gt_i32_e32 vcc, s33, v1
	s_nop 1
	v_cndmask_b32_e32 v2, v5, v2, vcc
	v_ashrrev_i32_e32 v3, 31, v2
	v_lshl_add_u64 v[14:15], v[2:3], 2, s[6:7]
	global_load_dword v2, v[6:7], off
	global_load_dword v5, v[8:9], off
	;; [unrolled: 1-line block ×4, first 2 shown]
	s_andn2_b64 vcc, exec, s[14:15]
	s_cbranch_vccnz .LBB878_8
; %bb.6:
	s_add_u32 s12, s12, s16
	s_addc_u32 s13, s13, s17
	s_load_dword s14, s[12:13], 0x0
	s_branch .LBB878_9
.LBB878_7:
	s_mov_b64 s[8:9], 0
	s_branch .LBB878_2
.LBB878_8:
	s_mov_b32 s14, s2
.LBB878_9:
	s_load_dwordx4 s[44:47], s[0:1], 0x48
	v_lshrrev_b32_e32 v29, 6, v0
	v_bfe_u32 v42, v0, 4, 2
	v_lshl_or_b32 v3, v29, 2, v42
	v_and_b32_e32 v28, 15, v0
	v_lshlrev_b32_e32 v1, 3, v28
	v_cmp_gt_u32_e32 vcc, 11, v3
	v_cmp_gt_u32_e64 s[30:31], 8, v28
	v_and_b32_e32 v43, 63, v0
	s_mul_i32 s48, s4, 11
	s_and_b64 s[16:17], s[30:31], vcc
	v_lshlrev_b32_e32 v26, 1, v1
	v_lshlrev_b32_e32 v1, 4, v0
	s_and_saveexec_b64 s[12:13], s[16:17]
	s_cbranch_execz .LBB878_11
; %bb.10:
	s_load_dwordx2 s[16:17], s[0:1], 0x0
	s_waitcnt lgkmcnt(0)
	s_ashr_i32 s15, s44, 31
	s_mul_hi_u32 s19, s14, s44
	s_mul_i32 s15, s14, s15
	s_add_i32 s15, s19, s15
	s_mul_i32 s14, s14, s44
	s_lshl_b64 s[14:15], s[14:15], 1
	s_add_u32 s14, s16, s14
	v_add_lshl_u32 v6, v3, s48, 6
	s_addc_u32 s15, s17, s15
	v_ashrrev_i32_e32 v7, 31, v6
	v_lshl_add_u64 v[6:7], v[6:7], 1, s[14:15]
	v_mov_b32_e32 v27, 0
	v_lshl_add_u64 v[6:7], v[6:7], 0, v[26:27]
	global_load_dwordx4 v[6:9], v[6:7], off
	v_lshlrev_b32_e32 v11, 8, v28
	v_lshlrev_b32_e32 v3, 5, v3
	v_and_b32_e32 v10, 16, v1
	v_and_b32_e32 v11, 0xe00, v11
	v_or3_b32 v3, v11, v3, v10
	s_waitcnt vmcnt(0)
	ds_write_b128 v3, v[6:9]
.LBB878_11:
	s_or_b64 exec, exec, s[12:13]
	s_waitcnt lgkmcnt(0)
	s_mul_i32 s4, s4, s46
	s_add_u32 s8, s8, s4
	s_addc_u32 s9, s9, 0
	v_mov_b32_e32 v31, 0
	v_mov_b64_e32 v[10:11], s[8:9]
	v_and_b32_e32 v8, 48, v0
	s_waitcnt vmcnt(3)
	v_mad_i64_i32 v[6:7], s[8:9], v2, s45, v[10:11]
	v_lshlrev_b32_e32 v2, 4, v28
	v_mov_b32_e32 v3, v31
	v_lshlrev_b32_e32 v30, 5, v8
	v_lshl_add_u64 v[6:7], v[6:7], 0, v[2:3]
	v_lshl_add_u64 v[6:7], v[6:7], 0, v[30:31]
	s_load_dword s29, s[0:1], 0x98
	s_load_dwordx4 s[40:43], s[0:1], 0x80
	s_waitcnt lgkmcnt(0)
	s_barrier
	global_load_dwordx4 v[14:17], v[6:7], off
	s_waitcnt vmcnt(3)
	v_mad_i64_i32 v[6:7], s[8:9], v5, s45, v[10:11]
	v_or_b32_e32 v32, 0x100, v2
	v_mov_b32_e32 v33, v31
	v_lshl_add_u64 v[6:7], v[6:7], 0, v[32:33]
	v_lshl_add_u64 v[6:7], v[6:7], 0, v[30:31]
	global_load_dwordx4 v[18:21], v[6:7], off
	s_ashr_i32 s8, s5, 31
	v_or_b32_e32 v5, s5, v8
	s_lshr_b32 s12, s8, 27
	v_add_u32_e32 v8, s12, v5
	v_cmp_gt_i32_e32 vcc, s33, v5
	v_or_b32_e32 v34, 64, v5
	v_or_b32_e32 v35, 0x80, v5
	;; [unrolled: 1-line block ×3, first 2 shown]
	s_waitcnt vmcnt(3)
	v_mad_i64_i32 v[4:5], s[8:9], v4, s45, v[10:11]
	v_lshl_add_u64 v[2:3], v[4:5], 0, v[2:3]
	v_lshl_add_u64 v[2:3], v[2:3], 0, v[30:31]
	global_load_dwordx4 v[22:25], v[2:3], off
	v_ashrrev_i32_e32 v8, 5, v8
	v_mov_b32_e32 v13, s18
	v_cndmask_b32_e32 v8, v13, v8, vcc
	v_ashrrev_i32_e32 v9, 31, v8
	v_add_u32_e32 v6, -11, v28
	v_cmp_gt_u32_e32 vcc, 11, v28
	s_waitcnt vmcnt(3)
	v_mad_i64_i32 v[10:11], s[8:9], v12, s45, v[10:11]
	v_add_u32_e32 v12, s12, v34
	v_lshl_add_u64 v[8:9], v[8:9], 2, s[6:7]
	v_cndmask_b32_e32 v6, v6, v28, vcc
	v_add_u32_e32 v37, s12, v35
	v_ashrrev_i32_e32 v12, 5, v12
	v_cmp_gt_i32_e32 vcc, s33, v34
	global_load_dword v45, v[8:9], off
	v_lshlrev_b32_e32 v6, 5, v6
	v_add_u32_e32 v38, s12, v36
	v_lshl_add_u64 v[10:11], v[10:11], 0, v[32:33]
	v_ashrrev_i32_e32 v33, 5, v37
	v_cndmask_b32_e32 v32, v13, v12, vcc
	v_cmp_gt_i32_e32 vcc, s33, v35
	v_lshl_add_u32 v2, v42, 9, v6
	v_ashrrev_i32_e32 v37, 5, v38
	v_lshl_add_u64 v[10:11], v[10:11], 0, v[30:31]
	v_cndmask_b32_e32 v34, v13, v33, vcc
	v_cmp_gt_i32_e32 vcc, s33, v36
	ds_read_b128 v[6:9], v2
	ds_read_b128 v[2:5], v2 offset:16
	v_cndmask_b32_e32 v36, v13, v37, vcc
	global_load_dwordx4 v[10:13], v[10:11], off
	v_ashrrev_i32_e32 v33, 31, v32
	v_ashrrev_i32_e32 v37, 31, v36
	;; [unrolled: 1-line block ×3, first 2 shown]
	v_lshl_add_u64 v[32:33], v[32:33], 2, s[6:7]
	v_lshl_add_u64 v[36:37], v[36:37], 2, s[6:7]
	;; [unrolled: 1-line block ×3, first 2 shown]
	global_load_dword v44, v[32:33], off
	global_load_dword v34, v[40:41], off
	;; [unrolled: 1-line block ×3, first 2 shown]
	s_add_u32 s8, s10, s4
	v_lshlrev_b32_e32 v27, 5, v28
	s_addc_u32 s9, s11, 0
	v_and_b32_e32 v30, 16, v0
	v_lshl_add_u64 v[38:39], s[8:9], 0, v[30:31]
	v_lshl_or_b32 v30, v29, 9, v27
	v_lshl_add_u64 v[30:31], v[38:39], 0, v[30:31]
	s_load_dword s13, s[0:1], 0x1c
	s_load_dword s4, s[40:41], 0x0
	s_mov_b32 s44, 0xff7fffff
	s_waitcnt vmcnt(7)
	v_cvt_pk_f32_fp8_e32 v[32:33], v14
	v_cvt_pk_f32_fp8_sdwa v[36:37], v14 src0_sel:WORD_1
	v_cvt_pk_f32_fp8_e32 v[38:39], v15
	v_cvt_pk_f32_fp8_sdwa v[14:15], v15 src0_sel:WORD_1
	v_cvt_pkrtz_f16_f32 v32, v32, v33
	v_cvt_pkrtz_f16_f32 v33, v36, v37
	v_cvt_pk_f32_fp8_e32 v[40:41], v16
	v_cvt_pk_f32_fp8_sdwa v[46:47], v16 src0_sel:WORD_1
	v_cvt_pkrtz_f16_f32 v48, v38, v39
	v_cvt_pkrtz_f16_f32 v49, v14, v15
	s_waitcnt lgkmcnt(0)
	v_mfma_f32_16x16x16_f16 v[36:39], v[32:33], v[6:7], 0
	v_cvt_pk_f32_fp8_e32 v[32:33], v17
	v_cvt_pkrtz_f16_f32 v40, v40, v41
	v_cvt_pkrtz_f16_f32 v41, v46, v47
	v_cvt_pk_f32_fp8_sdwa v[16:17], v17 src0_sel:WORD_1
	v_mfma_f32_16x16x16_f16 v[36:39], v[48:49], v[8:9], v[36:39]
	v_cvt_pkrtz_f16_f32 v32, v32, v33
	s_waitcnt vmcnt(6)
	v_cvt_pk_f32_fp8_sdwa v[46:47], v20 src0_sel:WORD_1
	v_cvt_pkrtz_f16_f32 v33, v16, v17
	v_mfma_f32_16x16x16_f16 v[36:39], v[40:41], v[2:3], v[36:39]
	v_cvt_pk_f32_fp8_e32 v[16:17], v18
	v_cvt_pk_f32_fp8_sdwa v[40:41], v18 src0_sel:WORD_1
	s_waitcnt vmcnt(5)
	v_cvt_pk_f32_fp8_e32 v[52:53], v25
	v_mfma_f32_16x16x16_f16 v[36:39], v[32:33], v[4:5], v[36:39]
	v_cvt_pk_f32_fp8_e32 v[32:33], v19
	v_cvt_pkrtz_f16_f32 v16, v16, v17
	v_cvt_pkrtz_f16_f32 v17, v40, v41
	v_cvt_pk_f32_fp8_sdwa v[18:19], v19 src0_sel:WORD_1
	v_cvt_pkrtz_f16_f32 v32, v32, v33
	v_cvt_pk_f32_fp8_e32 v[40:41], v20
	v_cvt_pkrtz_f16_f32 v33, v18, v19
	v_mfma_f32_16x16x16_f16 v[16:19], v[16:17], v[6:7], 0
	v_cvt_pkrtz_f16_f32 v40, v40, v41
	v_cvt_pkrtz_f16_f32 v41, v46, v47
	v_cvt_pk_f32_fp8_e32 v[46:47], v21
	v_cvt_pk_f32_fp8_sdwa v[20:21], v21 src0_sel:WORD_1
	v_mfma_f32_16x16x16_f16 v[16:19], v[32:33], v[8:9], v[16:19]
	s_waitcnt vmcnt(4)
	v_mad_i64_i32 v[14:15], s[6:7], v45, s45, v[30:31]
	v_cvt_pkrtz_f16_f32 v32, v46, v47
	v_cvt_pkrtz_f16_f32 v33, v20, v21
	v_mfma_f32_16x16x16_f16 v[16:19], v[40:41], v[2:3], v[16:19]
	v_cvt_pk_f32_fp8_e32 v[20:21], v22
	v_cvt_pk_f32_fp8_sdwa v[40:41], v22 src0_sel:WORD_1
	v_cvt_pk_f32_fp8_sdwa v[46:47], v24 src0_sel:WORD_1
	v_mfma_f32_16x16x16_f16 v[16:19], v[32:33], v[4:5], v[16:19]
	v_cvt_pk_f32_fp8_e32 v[32:33], v23
	v_cvt_pkrtz_f16_f32 v20, v20, v21
	v_cvt_pkrtz_f16_f32 v21, v40, v41
	v_cvt_pk_f32_fp8_sdwa v[22:23], v23 src0_sel:WORD_1
	v_cvt_pkrtz_f16_f32 v32, v32, v33
	v_cvt_pk_f32_fp8_e32 v[40:41], v24
	v_cvt_pk_f32_fp8_sdwa v[24:25], v25 src0_sel:WORD_1
	v_cvt_pkrtz_f16_f32 v33, v22, v23
	v_mfma_f32_16x16x16_f16 v[20:23], v[20:21], v[6:7], 0
	v_cvt_pkrtz_f16_f32 v40, v40, v41
	v_cvt_pkrtz_f16_f32 v41, v46, v47
	v_mov_b32_e32 v45, s13
	v_mfma_f32_16x16x16_f16 v[46:49], v[32:33], v[8:9], v[20:23]
	v_mul_f32_e32 v50, s4, v45
	v_cvt_pkrtz_f16_f32 v32, v52, v53
	v_cvt_pkrtz_f16_f32 v33, v24, v25
	v_pk_mul_f32 v[22:23], v[50:51], v[38:39] op_sel_hi:[0,1]
	v_mfma_f32_16x16x16_f16 v[38:41], v[40:41], v[2:3], v[46:49]
	v_pk_mul_f32 v[20:21], v[50:51], v[36:37] op_sel_hi:[0,1]
	s_waitcnt vmcnt(3)
	v_cvt_pk_f32_fp8_e32 v[24:25], v10
	v_cvt_pk_f32_fp8_sdwa v[36:37], v10 src0_sel:WORD_1
	v_mfma_f32_16x16x16_f16 v[46:49], v[32:33], v[4:5], v[38:41]
	v_cvt_pk_f32_fp8_e32 v[32:33], v11
	v_cvt_pkrtz_f16_f32 v24, v24, v25
	v_cvt_pkrtz_f16_f32 v25, v36, v37
	v_cvt_pk_f32_fp8_sdwa v[10:11], v11 src0_sel:WORD_1
	v_cvt_pkrtz_f16_f32 v32, v32, v33
	v_cvt_pk_f32_fp8_e32 v[40:41], v12
	v_cvt_pk_f32_fp8_sdwa v[52:53], v12 src0_sel:WORD_1
	v_cvt_pkrtz_f16_f32 v33, v10, v11
	v_mfma_f32_16x16x16_f16 v[36:39], v[24:25], v[6:7], 0
	v_cvt_pkrtz_f16_f32 v10, v40, v41
	v_cvt_pkrtz_f16_f32 v11, v52, v53
	v_cvt_pk_f32_fp8_e32 v[24:25], v13
	v_cvt_pk_f32_fp8_sdwa v[12:13], v13 src0_sel:WORD_1
	v_mfma_f32_16x16x16_f16 v[6:9], v[32:33], v[8:9], v[36:39]
	v_pk_mul_f32 v[40:41], v[50:51], v[16:17] op_sel_hi:[0,1]
	v_pk_mul_f32 v[32:33], v[50:51], v[48:49] op_sel_hi:[0,1]
	s_nop 0
	v_pk_mul_f32 v[36:37], v[50:51], v[18:19] op_sel_hi:[0,1]
	v_cvt_pkrtz_f16_f32 v18, v24, v25
	v_cvt_pkrtz_f16_f32 v19, v12, v13
	v_mfma_f32_16x16x16_f16 v[6:9], v[10:11], v[2:3], v[6:9]
	v_pk_mul_f32 v[38:39], v[50:51], v[46:47] op_sel_hi:[0,1]
	v_mfma_f32_16x16x16_f16 v[2:5], v[18:19], v[4:5], v[6:9]
	s_nop 6
	v_pk_mul_f32 v[24:25], v[50:51], v[2:3] op_sel_hi:[0,1]
	v_and_b32_e32 v2, 0xc0, v0
	v_add_u32_e32 v2, s5, v2
	v_lshl_or_b32 v2, v42, 2, v2
	v_pk_mul_f32 v[18:19], v[50:51], v[4:5] op_sel_hi:[0,1]
	v_or_b32_e32 v5, 1, v2
	v_mov_b32_e32 v3, 0xff7fffff
	v_cmp_gt_i32_e64 s[4:5], s33, v2
	v_cmp_gt_i32_e64 s[34:35], s33, v5
	v_or_b32_e32 v6, 3, v2
	v_cndmask_b32_e64 v4, v3, v20, s[4:5]
	v_cndmask_b32_e64 v5, v3, v21, s[34:35]
	v_max3_f32 v4, v4, s44, v5
	v_or_b32_e32 v5, 2, v2
	v_cmp_gt_i32_e64 s[36:37], s33, v5
	v_cmp_gt_i32_e64 s[38:39], s33, v6
	s_nop 0
	v_cndmask_b32_e64 v5, v3, v22, s[36:37]
	v_cndmask_b32_e64 v6, v3, v23, s[38:39]
	v_max3_f32 v4, v4, v5, v6
	v_or_b32_e32 v5, 16, v2
	v_or_b32_e32 v6, 17, v2
	v_cmp_gt_i32_e64 s[24:25], s33, v5
	v_cmp_gt_i32_e64 s[26:27], s33, v6
	s_nop 0
	v_cndmask_b32_e64 v5, v3, v40, s[24:25]
	v_cndmask_b32_e64 v6, v3, v41, s[26:27]
	v_max3_f32 v4, v4, v5, v6
	v_or_b32_e32 v5, 18, v2
	;; [unrolled: 8-line block ×6, first 2 shown]
	v_or_b32_e32 v2, 51, v2
	v_cmp_gt_i32_e32 vcc, s33, v5
	v_cmp_gt_i32_e64 s[6:7], s33, v2
	s_nop 0
	v_cndmask_b32_e32 v5, v3, v18, vcc
	v_cndmask_b32_e64 v2, v3, v19, s[6:7]
	v_max3_f32 v4, v4, v5, v2
	v_mbcnt_lo_u32_b32 v2, -1, 0
	v_mbcnt_hi_u32_b32 v5, -1, v2
	v_and_b32_e32 v2, 64, v5
	v_add_u32_e32 v6, 64, v2
	v_xor_b32_e32 v2, 32, v5
	v_cmp_lt_i32_e64 s[40:41], v2, v6
	s_nop 1
	v_cndmask_b32_e64 v2, v5, v2, s[40:41]
	v_lshlrev_b32_e32 v45, 2, v2
	ds_bpermute_b32 v7, v45, v4
	s_waitcnt vmcnt(2)
	v_mad_i64_i32 v[2:3], s[40:41], v44, s45, v[30:31]
	global_load_dwordx4 v[14:17], v[14:15], off
	s_nop 0
	global_load_dwordx4 v[10:13], v[2:3], off
	v_xor_b32_e32 v3, 16, v5
	v_cmp_lt_i32_e64 s[40:41], v3, v6
	s_waitcnt lgkmcnt(0)
	v_max_f32_e32 v2, v7, v7
	v_max_f32_e32 v2, v4, v2
	v_cndmask_b32_e64 v3, v5, v3, s[40:41]
	v_lshlrev_b32_e32 v48, 2, v3
	ds_bpermute_b32 v3, v48, v2
	s_waitcnt vmcnt(3)
	v_mad_i64_i32 v[46:47], s[40:41], v34, s45, v[30:31]
	s_waitcnt vmcnt(2)
	v_mad_i64_i32 v[30:31], s[40:41], v35, s45, v[30:31]
	s_waitcnt lgkmcnt(0)
	v_max_f32_e32 v3, v3, v3
	v_max_f32_e32 v44, v2, v3
	v_sub_f32_e32 v2, v20, v44
	v_mul_f32_e32 v2, 0x3fb8aa3b, v2
	v_exp_f32_e32 v20, v2
	v_sub_f32_e32 v2, v21, v44
	v_mul_f32_e32 v2, 0x3fb8aa3b, v2
	v_exp_f32_e32 v21, v2
	global_load_dwordx4 v[6:9], v[46:47], off
	global_load_dwordx4 v[2:5], v[30:31], off
	v_sub_f32_e32 v22, v22, v44
	v_mul_f32_e32 v22, 0x3fb8aa3b, v22
	v_sub_f32_e32 v23, v23, v44
	v_exp_f32_e32 v22, v22
	v_mul_f32_e32 v23, 0x3fb8aa3b, v23
	v_exp_f32_e32 v23, v23
	v_cndmask_b32_e64 v20, 0, v20, s[4:5]
	v_add_f32_e32 v30, 0, v20
	v_cndmask_b32_e64 v21, 0, v21, s[34:35]
	v_add_f32_e32 v30, v30, v21
	;; [unrolled: 2-line block ×3, first 2 shown]
	v_cndmask_b32_e64 v35, 0, v23, s[38:39]
	v_sub_f32_e32 v23, v40, v44
	v_sub_f32_e32 v30, v41, v44
	v_mul_f32_e32 v23, 0x3fb8aa3b, v23
	v_mul_f32_e32 v30, 0x3fb8aa3b, v30
	v_exp_f32_e32 v23, v23
	v_exp_f32_e32 v30, v30
	v_add_f32_e32 v31, v22, v35
	v_sub_f32_e32 v32, v32, v44
	v_cndmask_b32_e64 v22, 0, v23, s[24:25]
	v_cndmask_b32_e64 v23, 0, v30, s[26:27]
	v_sub_f32_e32 v30, v36, v44
	v_mul_f32_e32 v30, 0x3fb8aa3b, v30
	v_exp_f32_e32 v30, v30
	v_sub_f32_e32 v36, v37, v44
	v_add_f32_e32 v31, v31, v22
	v_mul_f32_e32 v36, 0x3fb8aa3b, v36
	v_exp_f32_e32 v37, v36
	v_add_f32_e32 v31, v31, v23
	v_cndmask_b32_e64 v36, 0, v30, s[20:21]
	v_add_f32_e32 v30, v31, v36
	v_sub_f32_e32 v31, v38, v44
	v_mul_f32_e32 v31, 0x3fb8aa3b, v31
	v_sub_f32_e32 v38, v39, v44
	v_exp_f32_e32 v31, v31
	v_mul_f32_e32 v38, 0x3fb8aa3b, v38
	v_exp_f32_e32 v38, v38
	v_mul_f32_e32 v32, 0x3fb8aa3b, v32
	v_sub_f32_e32 v33, v33, v44
	v_exp_f32_e32 v32, v32
	v_mul_f32_e32 v33, 0x3fb8aa3b, v33
	v_sub_f32_e32 v24, v24, v44
	v_cndmask_b32_e64 v37, 0, v37, s[22:23]
	v_exp_f32_e32 v33, v33
	v_mul_f32_e32 v24, 0x3fb8aa3b, v24
	v_sub_f32_e32 v25, v25, v44
	v_add_f32_e32 v39, v30, v37
	v_cndmask_b32_e64 v30, 0, v31, s[16:17]
	v_exp_f32_e32 v24, v24
	v_mul_f32_e32 v25, 0x3fb8aa3b, v25
	v_sub_f32_e32 v18, v18, v44
	v_add_f32_e32 v39, v39, v30
	v_cndmask_b32_e64 v31, 0, v38, s[18:19]
	v_exp_f32_e32 v25, v25
	v_mul_f32_e32 v18, 0x3fb8aa3b, v18
	v_sub_f32_e32 v19, v19, v44
	v_add_f32_e32 v38, v39, v31
	v_cndmask_b32_e64 v32, 0, v32, s[12:13]
	v_exp_f32_e32 v18, v18
	v_mul_f32_e32 v19, 0x3fb8aa3b, v19
	v_add_f32_e32 v38, v38, v32
	v_cndmask_b32_e64 v33, 0, v33, s[14:15]
	v_exp_f32_e32 v19, v19
	v_add_f32_e32 v38, v38, v33
	v_cndmask_b32_e64 v24, 0, v24, s[8:9]
	v_add_f32_e32 v38, v38, v24
	v_cndmask_b32_e64 v25, 0, v25, s[10:11]
	v_add_f32_e32 v38, v38, v25
	v_cndmask_b32_e32 v18, 0, v18, vcc
	v_add_f32_e32 v38, v38, v18
	v_cndmask_b32_e64 v19, 0, v19, s[6:7]
	v_add_f32_e32 v38, v38, v19
	ds_bpermute_b32 v39, v45, v38
	v_cmp_gt_u32_e32 vcc, 16, v43
	s_waitcnt lgkmcnt(0)
	s_barrier
	v_add_f32_e32 v38, v38, v39
	ds_bpermute_b32 v40, v48, v38
	v_lshlrev_b32_e32 v39, 2, v28
	s_and_saveexec_b64 s[4:5], vcc
	s_cbranch_execz .LBB878_13
; %bb.12:
	s_waitcnt lgkmcnt(0)
	v_add_f32_e32 v38, v38, v40
	v_lshl_or_b32 v40, v29, 6, v39
	ds_write2st64_b32 v40, v44, v38 offset1:1
.LBB878_13:
	s_or_b64 exec, exec, s[4:5]
	s_load_dword s6, s[0:1], 0x94
	s_waitcnt lgkmcnt(0)
	s_barrier
	ds_read2_b32 v[40:41], v39 offset1:16
	ds_read2_b32 v[44:45], v39 offset0:32 offset1:48
	ds_read2_b32 v[46:47], v39 offset0:64 offset1:80
	s_mul_i32 s7, s29, 11
	s_waitcnt lgkmcnt(2)
	v_max3_f32 v38, v40, s44, v41
	s_waitcnt lgkmcnt(1)
	v_max3_f32 v38, v38, v44, v45
	v_sub_f32_e32 v40, v40, v38
	v_mul_f32_e32 v40, 0x3fb8aa3b, v40
	v_exp_f32_e32 v43, v40
	v_sub_f32_e32 v40, v41, v38
	v_mul_f32_e32 v40, 0x3fb8aa3b, v40
	v_exp_f32_e32 v48, v40
	;; [unrolled: 3-line block ×3, first 2 shown]
	ds_read2_b32 v[40:41], v39 offset0:96 offset1:112
	v_sub_f32_e32 v39, v45, v38
	v_mul_f32_e32 v39, 0x3fb8aa3b, v39
	v_exp_f32_e32 v45, v39
	s_waitcnt lgkmcnt(1)
	v_fma_f32 v39, v43, v46, 0
	v_fmac_f32_e32 v39, v48, v47
	s_waitcnt lgkmcnt(0)
	v_fmac_f32_e32 v39, v44, v40
	v_fmac_f32_e32 v39, v45, v41
	v_add_f32_e32 v40, 0x358637bd, v39
	v_div_scale_f32 v41, s[4:5], v40, v40, 1.0
	v_rcp_f32_e32 v46, v41
	s_barrier
	v_fma_f32 v47, -v41, v46, 1.0
	v_fmac_f32_e32 v46, v47, v46
	v_div_scale_f32 v47, vcc, 1.0, v40, 1.0
	v_mul_f32_e32 v49, v47, v46
	v_fma_f32 v50, -v41, v49, v47
	v_fmac_f32_e32 v49, v50, v46
	v_fma_f32 v41, -v41, v49, v47
	v_div_fmas_f32 v41, v41, v46, v49
	v_cmp_eq_u32_e32 vcc, 1, v29
	v_div_fixup_f32 v40, v41, v40, 1.0
	s_nop 0
	v_cndmask_b32_e32 v41, v43, v48, vcc
	v_cmp_eq_u32_e32 vcc, 2, v29
	s_nop 1
	v_cndmask_b32_e32 v41, v41, v44, vcc
	v_cmp_eq_u32_e32 vcc, 3, v29
	s_nop 1
	v_cndmask_b32_e32 v41, v41, v45, vcc
	v_mul_f32_e32 v40, v41, v40
	v_pk_mul_f32 v[34:35], v[40:41], v[34:35] op_sel_hi:[0,1]
	v_pk_mul_f32 v[20:21], v[40:41], v[20:21] op_sel_hi:[0,1]
	v_cvt_f16_f32_e32 v41, v34
	v_cvt_f16_f32_e32 v35, v35
	;; [unrolled: 1-line block ×4, first 2 shown]
	v_cmp_gt_u32_e32 vcc, 11, v0
	v_pack_b32_f16 v35, v41, v35
	v_lshlrev_b32_e32 v41, 3, v42
	v_pack_b32_f16 v34, v20, v21
	v_pk_mul_f32 v[20:21], v[40:41], v[36:37] op_sel_hi:[0,1]
	v_pk_mul_f32 v[22:23], v[40:41], v[22:23] op_sel_hi:[0,1]
	v_cvt_f16_f32_e32 v22, v22
	v_cvt_f16_f32_e32 v23, v23
	;; [unrolled: 1-line block ×4, first 2 shown]
	v_lshlrev_b32_e32 v20, 11, v29
	v_or3_b32 v20, v20, v27, v41
	v_pack_b32_f16 v22, v22, v23
	v_pack_b32_f16 v23, v36, v21
	ds_write2st64_b64 v20, v[34:35], v[22:23] offset1:1
	v_pk_mul_f32 v[22:23], v[40:41], v[32:33] op_sel_hi:[0,1]
	v_pk_mul_f32 v[30:31], v[40:41], v[30:31] op_sel_hi:[0,1]
	v_cvt_f16_f32_e32 v21, v30
	v_cvt_f16_f32_e32 v29, v31
	;; [unrolled: 1-line block ×4, first 2 shown]
	v_pk_mul_f32 v[18:19], v[40:41], v[18:19] op_sel_hi:[0,1]
	v_pk_mul_f32 v[22:23], v[40:41], v[24:25] op_sel_hi:[0,1]
	v_cvt_f16_f32_e32 v22, v22
	v_cvt_f16_f32_e32 v23, v23
	;; [unrolled: 1-line block ×4, first 2 shown]
	v_pack_b32_f16 v18, v21, v29
	v_pack_b32_f16 v19, v30, v31
	;; [unrolled: 1-line block ×4, first 2 shown]
	ds_write2st64_b64 v20, v[18:19], v[22:23] offset0:2 offset1:3
	s_and_saveexec_b64 s[4:5], vcc
	s_cbranch_execz .LBB878_15
; %bb.14:
	s_mov_b32 s49, 0
	v_mov_b32_e32 v29, 0
	v_lshl_add_u64 v[18:19], s[48:49], 0, v[28:29]
	v_mov_b32_e32 v21, s7
	v_mad_u64_u32 v[18:19], s[12:13], s2, v21, v[18:19]
	s_mul_i32 s3, s3, s7
	v_mov_b32_e32 v28, s28
	s_load_dwordx4 s[8:11], s[0:1], 0x58
	v_add_u32_e32 v21, s3, v19
	v_mad_u64_u32 v[18:19], s[12:13], v18, s6, v[28:29]
	v_mov_b32_e32 v22, v19
	v_mad_u64_u32 v[22:23], s[12:13], v21, s6, v[22:23]
	v_mov_b32_e32 v19, v22
	v_lshlrev_b64 v[18:19], 2, v[18:19]
	s_waitcnt lgkmcnt(0)
	v_lshl_add_u64 v[22:23], s[10:11], 0, v[18:19]
	v_lshl_add_u64 v[18:19], s[8:9], 0, v[18:19]
	global_store_dword v[22:23], v38, off
	global_store_dword v[18:19], v39, off
.LBB878_15:
	s_or_b64 exec, exec, s[4:5]
	s_waitcnt vmcnt(3)
	v_cvt_pk_f32_fp8_e32 v[18:19], v14
	v_cvt_pk_f32_fp8_sdwa v[22:23], v14 src0_sel:WORD_1
	v_cvt_pk_f32_fp8_e32 v[24:25], v15
	v_lshl_or_b32 v14, v42, 9, v27
	s_waitcnt lgkmcnt(0)
	s_barrier
	v_cvt_pkrtz_f16_f32 v18, v18, v19
	v_cvt_pkrtz_f16_f32 v19, v22, v23
	v_cvt_pk_f32_fp8_sdwa v[28:29], v15 src0_sel:WORD_1
	v_cvt_pkrtz_f16_f32 v36, v24, v25
	ds_read_b128 v[22:25], v14
	v_cvt_pk_f32_fp8_e32 v[38:39], v16
	v_cvt_pkrtz_f16_f32 v37, v28, v29
	ds_read_b128 v[28:31], v14 offset:16
	v_cvt_pk_f32_fp8_sdwa v[40:41], v16 src0_sel:WORD_1
	s_waitcnt lgkmcnt(1)
	v_mfma_f32_16x16x16_f16 v[32:35], v[18:19], v[22:23], 0
	v_cvt_pkrtz_f16_f32 v18, v38, v39
	v_cvt_pk_f32_fp8_e32 v[38:39], v17
	v_cvt_pkrtz_f16_f32 v19, v40, v41
	v_mfma_f32_16x16x16_f16 v[22:25], v[36:37], v[24:25], v[32:35]
	s_waitcnt vmcnt(2)
	v_cvt_pk_f32_fp8_sdwa v[36:37], v12 src0_sel:WORD_1
	s_load_dword s4, s[42:43], 0x0
	v_cmp_gt_u32_e32 vcc, 64, v0
	v_cvt_pk_f32_fp8_sdwa v[32:33], v17 src0_sel:WORD_1
	v_cvt_pkrtz_f16_f32 v34, v38, v39
	s_waitcnt lgkmcnt(0)
	v_mfma_f32_16x16x16_f16 v[16:19], v[18:19], v[28:29], v[22:25]
	v_cvt_pk_f32_fp8_e32 v[28:29], v11
	v_cvt_pkrtz_f16_f32 v35, v32, v33
	s_mov_b32 s3, 0
	v_cvt_pk_f32_fp8_e32 v[22:23], v10
	v_cvt_pk_f32_fp8_sdwa v[24:25], v10 src0_sel:WORD_1
	v_mfma_f32_16x16x16_f16 v[16:19], v[34:35], v[30:31], v[16:19]
	v_cvt_pkrtz_f16_f32 v10, v22, v23
	v_cvt_pk_f32_fp8_sdwa v[30:31], v11 src0_sel:WORD_1
	v_cvt_pkrtz_f16_f32 v11, v24, v25
	ds_read_b128 v[22:25], v14 offset:2048
	v_cvt_pkrtz_f16_f32 v32, v28, v29
	v_cvt_pkrtz_f16_f32 v33, v30, v31
	ds_read_b128 v[28:31], v14 offset:2064
	v_cvt_pk_f32_fp8_e32 v[34:35], v12
	s_waitcnt lgkmcnt(1)
	v_mfma_f32_16x16x16_f16 v[16:19], v[10:11], v[22:23], v[16:19]
	v_cvt_pkrtz_f16_f32 v11, v36, v37
	v_cvt_pk_f32_fp8_e32 v[22:23], v13
	v_cvt_pkrtz_f16_f32 v10, v34, v35
	v_mfma_f32_16x16x16_f16 v[16:19], v[32:33], v[24:25], v[16:19]
	v_cvt_pk_f32_fp8_sdwa v[24:25], v13 src0_sel:WORD_1
	v_cvt_pkrtz_f16_f32 v22, v22, v23
	s_waitcnt vmcnt(1)
	v_cvt_pk_f32_fp8_sdwa v[32:33], v8 src0_sel:WORD_1
	s_waitcnt lgkmcnt(0)
	v_mfma_f32_16x16x16_f16 v[10:13], v[10:11], v[28:29], v[16:19]
	v_cvt_pkrtz_f16_f32 v23, v24, v25
	v_cvt_pk_f32_fp8_sdwa v[24:25], v7 src0_sel:WORD_1
	v_mov_b32_e32 v27, 0
	v_cvt_pk_f32_fp8_e32 v[16:17], v6
	v_cvt_pk_f32_fp8_sdwa v[18:19], v6 src0_sel:WORD_1
	v_mfma_f32_16x16x16_f16 v[10:13], v[22:23], v[30:31], v[10:13]
	v_cvt_pk_f32_fp8_e32 v[22:23], v7
	v_cvt_pkrtz_f16_f32 v6, v16, v17
	v_cvt_pkrtz_f16_f32 v7, v18, v19
	ds_read_b128 v[16:19], v14 offset:4096
	v_cvt_pkrtz_f16_f32 v28, v22, v23
	v_cvt_pkrtz_f16_f32 v29, v24, v25
	ds_read_b128 v[22:25], v14 offset:4112
	v_cvt_pk_f32_fp8_e32 v[30:31], v8
	s_waitcnt lgkmcnt(1)
	v_mfma_f32_16x16x16_f16 v[10:13], v[6:7], v[16:17], v[10:13]
	v_cvt_pkrtz_f16_f32 v7, v32, v33
	v_cvt_pk_f32_fp8_e32 v[16:17], v9
	v_cvt_pkrtz_f16_f32 v6, v30, v31
	v_mfma_f32_16x16x16_f16 v[10:13], v[28:29], v[18:19], v[10:13]
	v_cvt_pk_f32_fp8_sdwa v[18:19], v9 src0_sel:WORD_1
	v_cvt_pkrtz_f16_f32 v16, v16, v17
	v_cvt_pkrtz_f16_f32 v17, v18, v19
	s_waitcnt lgkmcnt(0)
	v_mfma_f32_16x16x16_f16 v[6:9], v[6:7], v[22:23], v[10:13]
	s_waitcnt vmcnt(0)
	v_cvt_pk_f32_fp8_sdwa v[18:19], v3 src0_sel:WORD_1
	s_nop 0
	v_cvt_pkrtz_f16_f32 v23, v18, v19
	v_cvt_pk_f32_fp8_e32 v[10:11], v2
	v_cvt_pk_f32_fp8_sdwa v[12:13], v2 src0_sel:WORD_1
	v_mfma_f32_16x16x16_f16 v[6:9], v[16:17], v[24:25], v[6:9]
	v_cvt_pk_f32_fp8_e32 v[16:17], v3
	v_cvt_pkrtz_f16_f32 v2, v10, v11
	v_cvt_pkrtz_f16_f32 v3, v12, v13
	ds_read_b128 v[10:13], v14 offset:6144
	v_cvt_pkrtz_f16_f32 v22, v16, v17
	v_cvt_pk_f32_fp8_e32 v[18:19], v4
	v_cvt_pk_f32_fp8_sdwa v[24:25], v4 src0_sel:WORD_1
	s_waitcnt lgkmcnt(0)
	v_mfma_f32_16x16x16_f16 v[6:9], v[2:3], v[10:11], v[6:9]
	ds_read_b128 v[14:17], v14 offset:6160
	v_cvt_pkrtz_f16_f32 v2, v18, v19
	v_cvt_pkrtz_f16_f32 v3, v24, v25
	v_cvt_pk_f32_fp8_e32 v[10:11], v5
	v_mfma_f32_16x16x16_f16 v[6:9], v[22:23], v[12:13], v[6:9]
	v_cvt_pk_f32_fp8_sdwa v[12:13], v5 src0_sel:WORD_1
	s_waitcnt lgkmcnt(0)
	v_cvt_pkrtz_f16_f32 v10, v10, v11
	v_mfma_f32_16x16x16_f16 v[2:5], v[2:3], v[14:15], v[6:9]
	v_cvt_pkrtz_f16_f32 v11, v12, v13
	s_barrier
	s_nop 0
	v_mfma_f32_16x16x16_f16 v[2:5], v[10:11], v[16:17], v[2:5]
	s_nop 6
	v_pk_mul_f32 v[4:5], v[4:5], s[4:5] op_sel_hi:[1,0]
	v_pk_mul_f32 v[2:3], v[2:3], s[4:5] op_sel_hi:[1,0]
	v_cvt_f16_f32_e32 v4, v4
	v_cvt_f16_f32_e32 v2, v2
	;; [unrolled: 1-line block ×4, first 2 shown]
	s_and_b64 s[4:5], vcc, s[30:31]
	v_pack_b32_f16 v2, v2, v3
	v_pack_b32_f16 v3, v4, v5
	ds_write_b64 v20, v[2:3]
	s_waitcnt lgkmcnt(0)
	s_barrier
	s_and_saveexec_b64 s[8:9], s[4:5]
	s_cbranch_execz .LBB878_18
; %bb.16:
	s_load_dwordx2 s[4:5], s[0:1], 0x68
	s_lshl_b32 s0, s6, 6
	s_mul_i32 s1, s7, s2
	s_mul_hi_u32 s7, s1, s0
	s_mul_i32 s6, s1, s0
	v_lshlrev_b32_e32 v0, 10, v0
	s_lshl_b64 s[6:7], s[6:7], 1
	v_and_b32_e32 v0, 0x1800, v0
	v_lshlrev_b32_e32 v2, 5, v42
	v_and_b32_e32 v1, 16, v1
	s_waitcnt lgkmcnt(0)
	s_add_u32 s1, s4, s6
	v_or3_b32 v2, v0, v2, v1
	s_addc_u32 s4, s5, s7
	s_lshl_b32 s2, s28, 6
	s_lshl_b64 s[2:3], s[2:3], 1
	ds_read_b128 v[4:7], v2 offset:128
	ds_read_b128 v[8:11], v2
	s_add_u32 s2, s1, s2
	s_addc_u32 s3, s4, s3
	v_add_u32_e32 v3, s48, v42
	v_lshl_add_u64 v[0:1], s[2:3], 0, v[26:27]
	v_mad_u64_u32 v[12:13], s[2:3], v3, s0, 0
	v_lshl_add_u64 v[12:13], v[12:13], 1, v[0:1]
	v_add_u32_e32 v3, 4, v3
	s_waitcnt lgkmcnt(0)
	global_store_dwordx4 v[12:13], v[8:11], off
	v_cmp_ne_u32_e32 vcc, 3, v42
	s_nop 0
	v_mad_u64_u32 v[8:9], s[2:3], v3, s0, 0
	v_lshl_add_u64 v[8:9], v[8:9], 1, v[0:1]
	global_store_dwordx4 v[8:9], v[4:7], off
	s_and_b64 exec, exec, vcc
	s_cbranch_execz .LBB878_18
; %bb.17:
	ds_read_b128 v[2:5], v2 offset:256
	v_add3_u32 v6, s48, v42, 8
	v_mad_u64_u32 v[6:7], s[0:1], v6, s0, 0
	v_lshl_add_u64 v[0:1], v[6:7], 1, v[0:1]
	s_waitcnt lgkmcnt(0)
	global_store_dwordx4 v[0:1], v[2:5], off
.LBB878_18:
	s_endpgm
	.section	.rodata,"a",@progbits
	.p2align	6, 0x0
	.amdhsa_kernel _Z39paged_attention_ll4mi_QKV_mfma16_kernelIDF16_hLN4vllm18Fp8KVCacheDataTypeE1EhLi32ELi64ELi256ELb0ELi11EEvPKT_PKT0_S7_ifPKiS9_S9_iPKfiiiPfSC_PS2_PT2_iSB_SB_
		.amdhsa_group_segment_fixed_size 8192
		.amdhsa_private_segment_fixed_size 0
		.amdhsa_kernarg_size 400
		.amdhsa_user_sgpr_count 2
		.amdhsa_user_sgpr_dispatch_ptr 0
		.amdhsa_user_sgpr_queue_ptr 0
		.amdhsa_user_sgpr_kernarg_segment_ptr 1
		.amdhsa_user_sgpr_dispatch_id 0
		.amdhsa_user_sgpr_kernarg_preload_length 0
		.amdhsa_user_sgpr_kernarg_preload_offset 0
		.amdhsa_user_sgpr_private_segment_size 0
		.amdhsa_uses_dynamic_stack 0
		.amdhsa_enable_private_segment 0
		.amdhsa_system_sgpr_workgroup_id_x 1
		.amdhsa_system_sgpr_workgroup_id_y 1
		.amdhsa_system_sgpr_workgroup_id_z 1
		.amdhsa_system_sgpr_workgroup_info 0
		.amdhsa_system_vgpr_workitem_id 0
		.amdhsa_next_free_vgpr 54
		.amdhsa_next_free_sgpr 50
		.amdhsa_accum_offset 56
		.amdhsa_reserve_vcc 1
		.amdhsa_float_round_mode_32 0
		.amdhsa_float_round_mode_16_64 0
		.amdhsa_float_denorm_mode_32 3
		.amdhsa_float_denorm_mode_16_64 3
		.amdhsa_dx10_clamp 1
		.amdhsa_ieee_mode 1
		.amdhsa_fp16_overflow 0
		.amdhsa_tg_split 0
		.amdhsa_exception_fp_ieee_invalid_op 0
		.amdhsa_exception_fp_denorm_src 0
		.amdhsa_exception_fp_ieee_div_zero 0
		.amdhsa_exception_fp_ieee_overflow 0
		.amdhsa_exception_fp_ieee_underflow 0
		.amdhsa_exception_fp_ieee_inexact 0
		.amdhsa_exception_int_div_zero 0
	.end_amdhsa_kernel
	.section	.text._Z39paged_attention_ll4mi_QKV_mfma16_kernelIDF16_hLN4vllm18Fp8KVCacheDataTypeE1EhLi32ELi64ELi256ELb0ELi11EEvPKT_PKT0_S7_ifPKiS9_S9_iPKfiiiPfSC_PS2_PT2_iSB_SB_,"axG",@progbits,_Z39paged_attention_ll4mi_QKV_mfma16_kernelIDF16_hLN4vllm18Fp8KVCacheDataTypeE1EhLi32ELi64ELi256ELb0ELi11EEvPKT_PKT0_S7_ifPKiS9_S9_iPKfiiiPfSC_PS2_PT2_iSB_SB_,comdat
.Lfunc_end878:
	.size	_Z39paged_attention_ll4mi_QKV_mfma16_kernelIDF16_hLN4vllm18Fp8KVCacheDataTypeE1EhLi32ELi64ELi256ELb0ELi11EEvPKT_PKT0_S7_ifPKiS9_S9_iPKfiiiPfSC_PS2_PT2_iSB_SB_, .Lfunc_end878-_Z39paged_attention_ll4mi_QKV_mfma16_kernelIDF16_hLN4vllm18Fp8KVCacheDataTypeE1EhLi32ELi64ELi256ELb0ELi11EEvPKT_PKT0_S7_ifPKiS9_S9_iPKfiiiPfSC_PS2_PT2_iSB_SB_
                                        ; -- End function
	.section	.AMDGPU.csdata,"",@progbits
; Kernel info:
; codeLenInByte = 4704
; NumSgprs: 56
; NumVgprs: 54
; NumAgprs: 0
; TotalNumVgprs: 54
; ScratchSize: 0
; MemoryBound: 0
; FloatMode: 240
; IeeeMode: 1
; LDSByteSize: 8192 bytes/workgroup (compile time only)
; SGPRBlocks: 6
; VGPRBlocks: 6
; NumSGPRsForWavesPerEU: 56
; NumVGPRsForWavesPerEU: 54
; AccumOffset: 56
; Occupancy: 8
; WaveLimiterHint : 1
; COMPUTE_PGM_RSRC2:SCRATCH_EN: 0
; COMPUTE_PGM_RSRC2:USER_SGPR: 2
; COMPUTE_PGM_RSRC2:TRAP_HANDLER: 0
; COMPUTE_PGM_RSRC2:TGID_X_EN: 1
; COMPUTE_PGM_RSRC2:TGID_Y_EN: 1
; COMPUTE_PGM_RSRC2:TGID_Z_EN: 1
; COMPUTE_PGM_RSRC2:TIDIG_COMP_CNT: 0
; COMPUTE_PGM_RSRC3_GFX90A:ACCUM_OFFSET: 13
; COMPUTE_PGM_RSRC3_GFX90A:TG_SPLIT: 0
	.section	.text._Z39paged_attention_ll4mi_QKV_mfma16_kernelIDF16_hLN4vllm18Fp8KVCacheDataTypeE1EhLi32ELi64ELi256ELb0ELi12EEvPKT_PKT0_S7_ifPKiS9_S9_iPKfiiiPfSC_PS2_PT2_iSB_SB_,"axG",@progbits,_Z39paged_attention_ll4mi_QKV_mfma16_kernelIDF16_hLN4vllm18Fp8KVCacheDataTypeE1EhLi32ELi64ELi256ELb0ELi12EEvPKT_PKT0_S7_ifPKiS9_S9_iPKfiiiPfSC_PS2_PT2_iSB_SB_,comdat
	.protected	_Z39paged_attention_ll4mi_QKV_mfma16_kernelIDF16_hLN4vllm18Fp8KVCacheDataTypeE1EhLi32ELi64ELi256ELb0ELi12EEvPKT_PKT0_S7_ifPKiS9_S9_iPKfiiiPfSC_PS2_PT2_iSB_SB_ ; -- Begin function _Z39paged_attention_ll4mi_QKV_mfma16_kernelIDF16_hLN4vllm18Fp8KVCacheDataTypeE1EhLi32ELi64ELi256ELb0ELi12EEvPKT_PKT0_S7_ifPKiS9_S9_iPKfiiiPfSC_PS2_PT2_iSB_SB_
	.globl	_Z39paged_attention_ll4mi_QKV_mfma16_kernelIDF16_hLN4vllm18Fp8KVCacheDataTypeE1EhLi32ELi64ELi256ELb0ELi12EEvPKT_PKT0_S7_ifPKiS9_S9_iPKfiiiPfSC_PS2_PT2_iSB_SB_
	.p2align	8
	.type	_Z39paged_attention_ll4mi_QKV_mfma16_kernelIDF16_hLN4vllm18Fp8KVCacheDataTypeE1EhLi32ELi64ELi256ELb0ELi12EEvPKT_PKT0_S7_ifPKiS9_S9_iPKfiiiPfSC_PS2_PT2_iSB_SB_,@function
_Z39paged_attention_ll4mi_QKV_mfma16_kernelIDF16_hLN4vllm18Fp8KVCacheDataTypeE1EhLi32ELi64ELi256ELb0ELi12EEvPKT_PKT0_S7_ifPKiS9_S9_iPKfiiiPfSC_PS2_PT2_iSB_SB_: ; @_Z39paged_attention_ll4mi_QKV_mfma16_kernelIDF16_hLN4vllm18Fp8KVCacheDataTypeE1EhLi32ELi64ELi256ELb0ELi12EEvPKT_PKT0_S7_ifPKiS9_S9_iPKfiiiPfSC_PS2_PT2_iSB_SB_
; %bb.0:
	s_load_dwordx2 s[12:13], s[0:1], 0x30
	s_mov_b32 s28, s3
	s_mov_b64 s[6:7], 0
	s_waitcnt lgkmcnt(0)
	s_cmp_lg_u64 s[12:13], 0
	s_cselect_b64 s[14:15], -1, 0
	s_and_b64 vcc, exec, s[14:15]
	s_cbranch_vccz .LBB879_7
; %bb.1:
	s_add_i32 s8, s2, 1
	s_mov_b32 s9, 0
	s_lshl_b64 s[10:11], s[8:9], 2
	s_add_u32 s10, s12, s10
	s_mov_b32 s3, s9
	s_addc_u32 s11, s13, s11
	s_lshl_b64 s[8:9], s[2:3], 2
	s_add_u32 s8, s12, s8
	s_addc_u32 s9, s13, s9
	s_load_dword s5, s[10:11], 0x0
	s_load_dword s16, s[8:9], 0x0
	s_waitcnt lgkmcnt(0)
	s_sub_i32 s5, s5, s16
	s_cmp_eq_u32 s5, 1
	s_cselect_b64 s[8:9], -1, 0
	s_andn2_b64 vcc, exec, s[6:7]
	s_cbranch_vccnz .LBB879_3
.LBB879_2:
	s_mov_b32 s3, 0
	s_mov_b64 s[8:9], -1
.LBB879_3:
	s_andn2_b64 vcc, exec, s[8:9]
	s_cbranch_vccnz .LBB879_17
; %bb.4:
	s_load_dwordx2 s[6:7], s[0:1], 0x28
	s_lshl_b64 s[16:17], s[2:3], 2
	s_waitcnt lgkmcnt(0)
	s_add_u32 s6, s6, s16
	s_addc_u32 s7, s7, s17
	s_load_dword s33, s[6:7], 0x0
	s_lshl_b32 s5, s28, 8
	s_waitcnt lgkmcnt(0)
	s_cmp_ge_i32 s5, s33
	s_cbranch_scc1 .LBB879_17
; %bb.5:
	s_load_dwordx2 s[6:7], s[0:1], 0x20
	s_load_dword s8, s[0:1], 0x38
	s_add_i32 s9, s33, 31
	s_ashr_i32 s10, s9, 31
	v_and_b32_e32 v1, 0xcf, v0
	s_lshr_b32 s10, s10, 27
	v_add_u32_e32 v1, s5, v1
	s_add_i32 s9, s9, s10
	v_ashrrev_i32_e32 v2, 31, v1
	s_ashr_i32 s18, s9, 5
	v_lshrrev_b32_e32 v4, 27, v2
	s_add_i32 s18, s18, -1
	s_waitcnt lgkmcnt(0)
	s_mul_i32 s8, s2, s8
	s_mov_b32 s9, 0
	v_add_u32_e32 v2, v1, v4
	s_lshl_b64 s[8:9], s[8:9], 2
	v_ashrrev_i32_e32 v2, 5, v2
	v_mov_b32_e32 v5, s18
	v_cmp_gt_i32_e32 vcc, s33, v1
	s_add_u32 s6, s6, s8
	s_addc_u32 s7, s7, s9
	v_cndmask_b32_e32 v2, v5, v2, vcc
	v_ashrrev_i32_e32 v3, 31, v2
	v_lshl_add_u64 v[6:7], v[2:3], 2, s[6:7]
	v_or_b32_e32 v2, 16, v1
	v_add_u32_e32 v3, v2, v4
	v_ashrrev_i32_e32 v3, 5, v3
	v_cmp_gt_i32_e32 vcc, s33, v2
	s_load_dwordx4 s[8:11], s[0:1], 0x8
	s_nop 0
	v_cndmask_b32_e32 v2, v5, v3, vcc
	v_ashrrev_i32_e32 v3, 31, v2
	v_lshl_add_u64 v[8:9], v[2:3], 2, s[6:7]
	v_or_b32_e32 v2, 32, v1
	v_add_u32_e32 v3, v2, v4
	v_ashrrev_i32_e32 v3, 5, v3
	v_cmp_gt_i32_e32 vcc, s33, v2
	v_or_b32_e32 v1, 48, v1
	s_nop 0
	v_cndmask_b32_e32 v2, v5, v3, vcc
	v_ashrrev_i32_e32 v3, 31, v2
	v_lshl_add_u64 v[10:11], v[2:3], 2, s[6:7]
	v_add_u32_e32 v2, v1, v4
	v_ashrrev_i32_e32 v2, 5, v2
	v_cmp_gt_i32_e32 vcc, s33, v1
	s_nop 1
	v_cndmask_b32_e32 v2, v5, v2, vcc
	v_ashrrev_i32_e32 v3, 31, v2
	v_lshl_add_u64 v[14:15], v[2:3], 2, s[6:7]
	global_load_dword v2, v[6:7], off
	global_load_dword v5, v[8:9], off
	;; [unrolled: 1-line block ×4, first 2 shown]
	s_andn2_b64 vcc, exec, s[14:15]
	s_cbranch_vccnz .LBB879_8
; %bb.6:
	s_add_u32 s12, s12, s16
	s_addc_u32 s13, s13, s17
	s_load_dword s14, s[12:13], 0x0
	s_branch .LBB879_9
.LBB879_7:
	s_mov_b64 s[8:9], 0
	s_branch .LBB879_2
.LBB879_8:
	s_mov_b32 s14, s2
.LBB879_9:
	s_load_dwordx4 s[44:47], s[0:1], 0x48
	v_and_b32_e32 v28, 15, v0
	s_movk_i32 s12, 0xc0
	v_lshlrev_b32_e32 v3, 3, v28
	v_cmp_gt_u32_e32 vcc, s12, v0
	v_cmp_gt_u32_e64 s[30:31], 8, v28
	v_lshrrev_b32_e32 v29, 6, v0
	v_and_b32_e32 v43, 63, v0
	v_bfe_u32 v1, v0, 4, 2
	s_mul_i32 s48, s4, 12
	s_and_b64 s[16:17], vcc, s[30:31]
	v_lshlrev_b32_e32 v26, 1, v3
	v_lshlrev_b32_e32 v42, 4, v0
	s_and_saveexec_b64 s[12:13], s[16:17]
	s_cbranch_execz .LBB879_11
; %bb.10:
	s_load_dwordx2 s[16:17], s[0:1], 0x0
	s_waitcnt lgkmcnt(0)
	s_ashr_i32 s15, s44, 31
	s_mul_hi_u32 s19, s14, s44
	s_mul_i32 s15, s14, s15
	s_add_i32 s15, s19, s15
	s_mul_i32 s14, s14, s44
	v_lshl_or_b32 v3, v29, 2, v1
	s_lshl_b64 s[14:15], s[14:15], 1
	s_add_u32 s14, s16, s14
	v_add_lshl_u32 v6, v3, s48, 6
	s_addc_u32 s15, s17, s15
	v_ashrrev_i32_e32 v7, 31, v6
	v_lshl_add_u64 v[6:7], v[6:7], 1, s[14:15]
	v_mov_b32_e32 v27, 0
	v_lshl_add_u64 v[6:7], v[6:7], 0, v[26:27]
	global_load_dwordx4 v[6:9], v[6:7], off
	v_lshlrev_b32_e32 v11, 8, v28
	v_lshlrev_b32_e32 v3, 5, v3
	v_and_b32_e32 v10, 16, v42
	v_and_b32_e32 v11, 0xe00, v11
	v_or3_b32 v3, v11, v3, v10
	s_waitcnt vmcnt(0)
	ds_write_b128 v3, v[6:9]
.LBB879_11:
	s_or_b64 exec, exec, s[12:13]
	s_waitcnt lgkmcnt(0)
	s_mul_i32 s4, s4, s46
	s_add_u32 s8, s8, s4
	s_addc_u32 s9, s9, 0
	v_mov_b32_e32 v31, 0
	v_mov_b64_e32 v[10:11], s[8:9]
	v_and_b32_e32 v8, 48, v0
	s_waitcnt vmcnt(3)
	v_mad_i64_i32 v[6:7], s[8:9], v2, s45, v[10:11]
	v_lshlrev_b32_e32 v2, 4, v28
	v_mov_b32_e32 v3, v31
	v_lshlrev_b32_e32 v30, 5, v8
	v_lshl_add_u64 v[6:7], v[6:7], 0, v[2:3]
	v_lshl_add_u64 v[6:7], v[6:7], 0, v[30:31]
	s_load_dword s29, s[0:1], 0x98
	s_load_dwordx4 s[40:43], s[0:1], 0x80
	s_waitcnt lgkmcnt(0)
	s_barrier
	global_load_dwordx4 v[14:17], v[6:7], off
	s_waitcnt vmcnt(3)
	v_mad_i64_i32 v[6:7], s[8:9], v5, s45, v[10:11]
	v_or_b32_e32 v32, 0x100, v2
	v_mov_b32_e32 v33, v31
	v_lshl_add_u64 v[6:7], v[6:7], 0, v[32:33]
	v_lshl_add_u64 v[6:7], v[6:7], 0, v[30:31]
	global_load_dwordx4 v[18:21], v[6:7], off
	s_ashr_i32 s8, s5, 31
	v_or_b32_e32 v5, s5, v8
	s_lshr_b32 s12, s8, 27
	v_add_u32_e32 v8, s12, v5
	v_cmp_gt_i32_e32 vcc, s33, v5
	v_or_b32_e32 v34, 64, v5
	v_or_b32_e32 v35, 0x80, v5
	;; [unrolled: 1-line block ×3, first 2 shown]
	s_waitcnt vmcnt(3)
	v_mad_i64_i32 v[4:5], s[8:9], v4, s45, v[10:11]
	v_lshl_add_u64 v[2:3], v[4:5], 0, v[2:3]
	v_lshl_add_u64 v[2:3], v[2:3], 0, v[30:31]
	global_load_dwordx4 v[22:25], v[2:3], off
	v_ashrrev_i32_e32 v8, 5, v8
	v_mov_b32_e32 v13, s18
	v_cndmask_b32_e32 v8, v13, v8, vcc
	v_ashrrev_i32_e32 v9, 31, v8
	v_add_u32_e32 v6, -12, v28
	v_cmp_gt_u32_e32 vcc, 12, v28
	s_waitcnt vmcnt(3)
	v_mad_i64_i32 v[10:11], s[8:9], v12, s45, v[10:11]
	v_add_u32_e32 v12, s12, v34
	v_lshl_add_u64 v[8:9], v[8:9], 2, s[6:7]
	v_cndmask_b32_e32 v6, v6, v28, vcc
	v_add_u32_e32 v37, s12, v35
	v_ashrrev_i32_e32 v12, 5, v12
	v_cmp_gt_i32_e32 vcc, s33, v34
	global_load_dword v45, v[8:9], off
	v_lshlrev_b32_e32 v6, 5, v6
	v_add_u32_e32 v38, s12, v36
	v_lshl_add_u64 v[10:11], v[10:11], 0, v[32:33]
	v_ashrrev_i32_e32 v33, 5, v37
	v_cndmask_b32_e32 v32, v13, v12, vcc
	v_cmp_gt_i32_e32 vcc, s33, v35
	v_lshl_add_u32 v2, v1, 9, v6
	v_ashrrev_i32_e32 v37, 5, v38
	v_lshl_add_u64 v[10:11], v[10:11], 0, v[30:31]
	v_cndmask_b32_e32 v34, v13, v33, vcc
	v_cmp_gt_i32_e32 vcc, s33, v36
	ds_read_b128 v[6:9], v2
	ds_read_b128 v[2:5], v2 offset:16
	v_cndmask_b32_e32 v36, v13, v37, vcc
	global_load_dwordx4 v[10:13], v[10:11], off
	v_ashrrev_i32_e32 v33, 31, v32
	v_ashrrev_i32_e32 v37, 31, v36
	;; [unrolled: 1-line block ×3, first 2 shown]
	v_lshl_add_u64 v[32:33], v[32:33], 2, s[6:7]
	v_lshl_add_u64 v[36:37], v[36:37], 2, s[6:7]
	;; [unrolled: 1-line block ×3, first 2 shown]
	global_load_dword v44, v[32:33], off
	global_load_dword v34, v[40:41], off
	global_load_dword v35, v[36:37], off
	s_add_u32 s8, s10, s4
	v_lshlrev_b32_e32 v27, 5, v28
	s_addc_u32 s9, s11, 0
	v_and_b32_e32 v30, 16, v0
	v_lshl_add_u64 v[38:39], s[8:9], 0, v[30:31]
	v_lshl_or_b32 v30, v29, 9, v27
	v_lshl_add_u64 v[30:31], v[38:39], 0, v[30:31]
	s_load_dword s13, s[0:1], 0x1c
	s_load_dword s4, s[40:41], 0x0
	s_mov_b32 s44, 0xff7fffff
	s_waitcnt vmcnt(7)
	v_cvt_pk_f32_fp8_e32 v[32:33], v14
	v_cvt_pk_f32_fp8_sdwa v[36:37], v14 src0_sel:WORD_1
	v_cvt_pk_f32_fp8_e32 v[38:39], v15
	v_cvt_pk_f32_fp8_sdwa v[14:15], v15 src0_sel:WORD_1
	v_cvt_pkrtz_f16_f32 v32, v32, v33
	v_cvt_pkrtz_f16_f32 v33, v36, v37
	v_cvt_pk_f32_fp8_e32 v[40:41], v16
	v_cvt_pk_f32_fp8_sdwa v[46:47], v16 src0_sel:WORD_1
	v_cvt_pkrtz_f16_f32 v48, v38, v39
	v_cvt_pkrtz_f16_f32 v49, v14, v15
	s_waitcnt lgkmcnt(0)
	v_mfma_f32_16x16x16_f16 v[36:39], v[32:33], v[6:7], 0
	v_cvt_pk_f32_fp8_e32 v[32:33], v17
	v_cvt_pkrtz_f16_f32 v40, v40, v41
	v_cvt_pkrtz_f16_f32 v41, v46, v47
	v_cvt_pk_f32_fp8_sdwa v[16:17], v17 src0_sel:WORD_1
	v_mfma_f32_16x16x16_f16 v[36:39], v[48:49], v[8:9], v[36:39]
	v_cvt_pkrtz_f16_f32 v32, v32, v33
	s_waitcnt vmcnt(6)
	v_cvt_pk_f32_fp8_sdwa v[46:47], v20 src0_sel:WORD_1
	v_cvt_pkrtz_f16_f32 v33, v16, v17
	v_mfma_f32_16x16x16_f16 v[36:39], v[40:41], v[2:3], v[36:39]
	v_cvt_pk_f32_fp8_e32 v[16:17], v18
	v_cvt_pk_f32_fp8_sdwa v[40:41], v18 src0_sel:WORD_1
	s_waitcnt vmcnt(5)
	v_cvt_pk_f32_fp8_e32 v[52:53], v25
	v_mfma_f32_16x16x16_f16 v[36:39], v[32:33], v[4:5], v[36:39]
	v_cvt_pk_f32_fp8_e32 v[32:33], v19
	v_cvt_pkrtz_f16_f32 v16, v16, v17
	v_cvt_pkrtz_f16_f32 v17, v40, v41
	v_cvt_pk_f32_fp8_sdwa v[18:19], v19 src0_sel:WORD_1
	v_cvt_pkrtz_f16_f32 v32, v32, v33
	v_cvt_pk_f32_fp8_e32 v[40:41], v20
	v_cvt_pkrtz_f16_f32 v33, v18, v19
	v_mfma_f32_16x16x16_f16 v[16:19], v[16:17], v[6:7], 0
	v_cvt_pkrtz_f16_f32 v40, v40, v41
	v_cvt_pkrtz_f16_f32 v41, v46, v47
	v_cvt_pk_f32_fp8_e32 v[46:47], v21
	v_cvt_pk_f32_fp8_sdwa v[20:21], v21 src0_sel:WORD_1
	v_mfma_f32_16x16x16_f16 v[16:19], v[32:33], v[8:9], v[16:19]
	s_waitcnt vmcnt(4)
	v_mad_i64_i32 v[14:15], s[6:7], v45, s45, v[30:31]
	v_cvt_pkrtz_f16_f32 v32, v46, v47
	v_cvt_pkrtz_f16_f32 v33, v20, v21
	v_mfma_f32_16x16x16_f16 v[16:19], v[40:41], v[2:3], v[16:19]
	v_cvt_pk_f32_fp8_e32 v[20:21], v22
	v_cvt_pk_f32_fp8_sdwa v[40:41], v22 src0_sel:WORD_1
	v_cvt_pk_f32_fp8_sdwa v[46:47], v24 src0_sel:WORD_1
	v_mfma_f32_16x16x16_f16 v[16:19], v[32:33], v[4:5], v[16:19]
	v_cvt_pk_f32_fp8_e32 v[32:33], v23
	v_cvt_pkrtz_f16_f32 v20, v20, v21
	v_cvt_pkrtz_f16_f32 v21, v40, v41
	v_cvt_pk_f32_fp8_sdwa v[22:23], v23 src0_sel:WORD_1
	v_cvt_pkrtz_f16_f32 v32, v32, v33
	v_cvt_pk_f32_fp8_e32 v[40:41], v24
	v_cvt_pk_f32_fp8_sdwa v[24:25], v25 src0_sel:WORD_1
	v_cvt_pkrtz_f16_f32 v33, v22, v23
	v_mfma_f32_16x16x16_f16 v[20:23], v[20:21], v[6:7], 0
	v_cvt_pkrtz_f16_f32 v40, v40, v41
	v_cvt_pkrtz_f16_f32 v41, v46, v47
	v_mov_b32_e32 v45, s13
	v_mfma_f32_16x16x16_f16 v[46:49], v[32:33], v[8:9], v[20:23]
	v_mul_f32_e32 v50, s4, v45
	v_cvt_pkrtz_f16_f32 v32, v52, v53
	v_cvt_pkrtz_f16_f32 v33, v24, v25
	v_pk_mul_f32 v[22:23], v[50:51], v[38:39] op_sel_hi:[0,1]
	v_mfma_f32_16x16x16_f16 v[38:41], v[40:41], v[2:3], v[46:49]
	v_pk_mul_f32 v[20:21], v[50:51], v[36:37] op_sel_hi:[0,1]
	s_waitcnt vmcnt(3)
	v_cvt_pk_f32_fp8_e32 v[24:25], v10
	v_cvt_pk_f32_fp8_sdwa v[36:37], v10 src0_sel:WORD_1
	v_mfma_f32_16x16x16_f16 v[46:49], v[32:33], v[4:5], v[38:41]
	v_cvt_pk_f32_fp8_e32 v[32:33], v11
	v_cvt_pkrtz_f16_f32 v24, v24, v25
	v_cvt_pkrtz_f16_f32 v25, v36, v37
	v_cvt_pk_f32_fp8_sdwa v[10:11], v11 src0_sel:WORD_1
	v_cvt_pkrtz_f16_f32 v32, v32, v33
	v_cvt_pk_f32_fp8_e32 v[40:41], v12
	v_cvt_pk_f32_fp8_sdwa v[52:53], v12 src0_sel:WORD_1
	v_cvt_pkrtz_f16_f32 v33, v10, v11
	v_mfma_f32_16x16x16_f16 v[36:39], v[24:25], v[6:7], 0
	v_cvt_pkrtz_f16_f32 v10, v40, v41
	v_cvt_pkrtz_f16_f32 v11, v52, v53
	v_cvt_pk_f32_fp8_e32 v[24:25], v13
	v_cvt_pk_f32_fp8_sdwa v[12:13], v13 src0_sel:WORD_1
	v_mfma_f32_16x16x16_f16 v[6:9], v[32:33], v[8:9], v[36:39]
	v_pk_mul_f32 v[40:41], v[50:51], v[16:17] op_sel_hi:[0,1]
	v_pk_mul_f32 v[32:33], v[50:51], v[48:49] op_sel_hi:[0,1]
	s_nop 0
	v_pk_mul_f32 v[36:37], v[50:51], v[18:19] op_sel_hi:[0,1]
	v_cvt_pkrtz_f16_f32 v18, v24, v25
	v_cvt_pkrtz_f16_f32 v19, v12, v13
	v_mfma_f32_16x16x16_f16 v[6:9], v[10:11], v[2:3], v[6:9]
	v_pk_mul_f32 v[38:39], v[50:51], v[46:47] op_sel_hi:[0,1]
	v_mfma_f32_16x16x16_f16 v[2:5], v[18:19], v[4:5], v[6:9]
	s_nop 6
	v_pk_mul_f32 v[24:25], v[50:51], v[2:3] op_sel_hi:[0,1]
	v_and_b32_e32 v2, 0xc0, v0
	v_add_u32_e32 v2, s5, v2
	v_lshl_or_b32 v2, v1, 2, v2
	v_pk_mul_f32 v[18:19], v[50:51], v[4:5] op_sel_hi:[0,1]
	v_or_b32_e32 v5, 1, v2
	v_mov_b32_e32 v3, 0xff7fffff
	v_cmp_gt_i32_e64 s[4:5], s33, v2
	v_cmp_gt_i32_e64 s[34:35], s33, v5
	v_or_b32_e32 v6, 3, v2
	v_cndmask_b32_e64 v4, v3, v20, s[4:5]
	v_cndmask_b32_e64 v5, v3, v21, s[34:35]
	v_max3_f32 v4, v4, s44, v5
	v_or_b32_e32 v5, 2, v2
	v_cmp_gt_i32_e64 s[36:37], s33, v5
	v_cmp_gt_i32_e64 s[38:39], s33, v6
	s_nop 0
	v_cndmask_b32_e64 v5, v3, v22, s[36:37]
	v_cndmask_b32_e64 v6, v3, v23, s[38:39]
	v_max3_f32 v4, v4, v5, v6
	v_or_b32_e32 v5, 16, v2
	v_or_b32_e32 v6, 17, v2
	v_cmp_gt_i32_e64 s[24:25], s33, v5
	v_cmp_gt_i32_e64 s[26:27], s33, v6
	s_nop 0
	v_cndmask_b32_e64 v5, v3, v40, s[24:25]
	v_cndmask_b32_e64 v6, v3, v41, s[26:27]
	v_max3_f32 v4, v4, v5, v6
	v_or_b32_e32 v5, 18, v2
	;; [unrolled: 8-line block ×6, first 2 shown]
	v_or_b32_e32 v2, 51, v2
	v_cmp_gt_i32_e32 vcc, s33, v5
	v_cmp_gt_i32_e64 s[6:7], s33, v2
	s_nop 0
	v_cndmask_b32_e32 v5, v3, v18, vcc
	v_cndmask_b32_e64 v2, v3, v19, s[6:7]
	v_max3_f32 v4, v4, v5, v2
	v_mbcnt_lo_u32_b32 v2, -1, 0
	v_mbcnt_hi_u32_b32 v5, -1, v2
	v_and_b32_e32 v2, 64, v5
	v_add_u32_e32 v6, 64, v2
	v_xor_b32_e32 v2, 32, v5
	v_cmp_lt_i32_e64 s[40:41], v2, v6
	s_nop 1
	v_cndmask_b32_e64 v2, v5, v2, s[40:41]
	v_lshlrev_b32_e32 v45, 2, v2
	ds_bpermute_b32 v7, v45, v4
	s_waitcnt vmcnt(2)
	v_mad_i64_i32 v[2:3], s[40:41], v44, s45, v[30:31]
	global_load_dwordx4 v[14:17], v[14:15], off
	s_nop 0
	global_load_dwordx4 v[10:13], v[2:3], off
	v_xor_b32_e32 v3, 16, v5
	v_cmp_lt_i32_e64 s[40:41], v3, v6
	s_waitcnt lgkmcnt(0)
	v_max_f32_e32 v2, v7, v7
	v_max_f32_e32 v2, v4, v2
	v_cndmask_b32_e64 v3, v5, v3, s[40:41]
	v_lshlrev_b32_e32 v48, 2, v3
	ds_bpermute_b32 v3, v48, v2
	s_waitcnt vmcnt(3)
	v_mad_i64_i32 v[46:47], s[40:41], v34, s45, v[30:31]
	s_waitcnt vmcnt(2)
	v_mad_i64_i32 v[30:31], s[40:41], v35, s45, v[30:31]
	s_waitcnt lgkmcnt(0)
	v_max_f32_e32 v3, v3, v3
	v_max_f32_e32 v44, v2, v3
	v_sub_f32_e32 v2, v20, v44
	v_mul_f32_e32 v2, 0x3fb8aa3b, v2
	v_exp_f32_e32 v20, v2
	v_sub_f32_e32 v2, v21, v44
	v_mul_f32_e32 v2, 0x3fb8aa3b, v2
	v_exp_f32_e32 v21, v2
	global_load_dwordx4 v[6:9], v[46:47], off
	global_load_dwordx4 v[2:5], v[30:31], off
	v_sub_f32_e32 v22, v22, v44
	v_mul_f32_e32 v22, 0x3fb8aa3b, v22
	v_sub_f32_e32 v23, v23, v44
	v_exp_f32_e32 v22, v22
	v_mul_f32_e32 v23, 0x3fb8aa3b, v23
	v_exp_f32_e32 v23, v23
	v_cndmask_b32_e64 v20, 0, v20, s[4:5]
	v_add_f32_e32 v30, 0, v20
	v_cndmask_b32_e64 v21, 0, v21, s[34:35]
	v_add_f32_e32 v30, v30, v21
	;; [unrolled: 2-line block ×3, first 2 shown]
	v_cndmask_b32_e64 v35, 0, v23, s[38:39]
	v_sub_f32_e32 v23, v40, v44
	v_sub_f32_e32 v30, v41, v44
	v_mul_f32_e32 v23, 0x3fb8aa3b, v23
	v_mul_f32_e32 v30, 0x3fb8aa3b, v30
	v_exp_f32_e32 v23, v23
	v_exp_f32_e32 v30, v30
	v_add_f32_e32 v31, v22, v35
	v_sub_f32_e32 v32, v32, v44
	v_cndmask_b32_e64 v22, 0, v23, s[24:25]
	v_cndmask_b32_e64 v23, 0, v30, s[26:27]
	v_sub_f32_e32 v30, v36, v44
	v_mul_f32_e32 v30, 0x3fb8aa3b, v30
	v_exp_f32_e32 v30, v30
	v_sub_f32_e32 v36, v37, v44
	v_add_f32_e32 v31, v31, v22
	v_mul_f32_e32 v36, 0x3fb8aa3b, v36
	v_exp_f32_e32 v37, v36
	v_add_f32_e32 v31, v31, v23
	v_cndmask_b32_e64 v36, 0, v30, s[20:21]
	v_add_f32_e32 v30, v31, v36
	v_sub_f32_e32 v31, v38, v44
	v_mul_f32_e32 v31, 0x3fb8aa3b, v31
	v_sub_f32_e32 v38, v39, v44
	v_exp_f32_e32 v31, v31
	v_mul_f32_e32 v38, 0x3fb8aa3b, v38
	v_exp_f32_e32 v38, v38
	v_mul_f32_e32 v32, 0x3fb8aa3b, v32
	v_sub_f32_e32 v33, v33, v44
	v_exp_f32_e32 v32, v32
	v_mul_f32_e32 v33, 0x3fb8aa3b, v33
	v_sub_f32_e32 v24, v24, v44
	v_cndmask_b32_e64 v37, 0, v37, s[22:23]
	v_exp_f32_e32 v33, v33
	v_mul_f32_e32 v24, 0x3fb8aa3b, v24
	v_sub_f32_e32 v25, v25, v44
	v_add_f32_e32 v39, v30, v37
	v_cndmask_b32_e64 v30, 0, v31, s[16:17]
	v_exp_f32_e32 v24, v24
	v_mul_f32_e32 v25, 0x3fb8aa3b, v25
	v_sub_f32_e32 v18, v18, v44
	v_add_f32_e32 v39, v39, v30
	;; [unrolled: 5-line block ×3, first 2 shown]
	v_cndmask_b32_e64 v32, 0, v32, s[12:13]
	v_exp_f32_e32 v18, v18
	v_mul_f32_e32 v19, 0x3fb8aa3b, v19
	v_add_f32_e32 v38, v38, v32
	v_cndmask_b32_e64 v33, 0, v33, s[14:15]
	v_exp_f32_e32 v19, v19
	v_add_f32_e32 v38, v38, v33
	v_cndmask_b32_e64 v24, 0, v24, s[8:9]
	v_add_f32_e32 v38, v38, v24
	v_cndmask_b32_e64 v25, 0, v25, s[10:11]
	v_add_f32_e32 v38, v38, v25
	v_cndmask_b32_e32 v18, 0, v18, vcc
	v_add_f32_e32 v38, v38, v18
	v_cndmask_b32_e64 v19, 0, v19, s[6:7]
	v_add_f32_e32 v38, v38, v19
	ds_bpermute_b32 v39, v45, v38
	v_cmp_gt_u32_e32 vcc, 16, v43
	s_waitcnt lgkmcnt(0)
	s_barrier
	v_add_f32_e32 v38, v38, v39
	ds_bpermute_b32 v40, v48, v38
	v_lshlrev_b32_e32 v39, 2, v28
	s_and_saveexec_b64 s[4:5], vcc
	s_cbranch_execz .LBB879_13
; %bb.12:
	s_waitcnt lgkmcnt(0)
	v_add_f32_e32 v38, v38, v40
	v_lshl_or_b32 v40, v29, 6, v39
	ds_write2st64_b32 v40, v44, v38 offset1:1
.LBB879_13:
	s_or_b64 exec, exec, s[4:5]
	s_load_dword s6, s[0:1], 0x94
	s_waitcnt lgkmcnt(0)
	s_barrier
	ds_read2_b32 v[40:41], v39 offset1:16
	ds_read2_b32 v[44:45], v39 offset0:32 offset1:48
	ds_read2_b32 v[46:47], v39 offset0:64 offset1:80
	s_mul_i32 s7, s29, 12
	s_waitcnt lgkmcnt(2)
	v_max3_f32 v38, v40, s44, v41
	s_waitcnt lgkmcnt(1)
	v_max3_f32 v38, v38, v44, v45
	v_sub_f32_e32 v40, v40, v38
	v_mul_f32_e32 v40, 0x3fb8aa3b, v40
	v_exp_f32_e32 v43, v40
	v_sub_f32_e32 v40, v41, v38
	v_mul_f32_e32 v40, 0x3fb8aa3b, v40
	v_exp_f32_e32 v48, v40
	;; [unrolled: 3-line block ×3, first 2 shown]
	ds_read2_b32 v[40:41], v39 offset0:96 offset1:112
	v_sub_f32_e32 v39, v45, v38
	v_mul_f32_e32 v39, 0x3fb8aa3b, v39
	v_exp_f32_e32 v45, v39
	s_waitcnt lgkmcnt(1)
	v_fma_f32 v39, v43, v46, 0
	v_fmac_f32_e32 v39, v48, v47
	s_waitcnt lgkmcnt(0)
	v_fmac_f32_e32 v39, v44, v40
	v_fmac_f32_e32 v39, v45, v41
	v_add_f32_e32 v40, 0x358637bd, v39
	v_div_scale_f32 v41, s[4:5], v40, v40, 1.0
	v_rcp_f32_e32 v46, v41
	s_barrier
	v_fma_f32 v47, -v41, v46, 1.0
	v_fmac_f32_e32 v46, v47, v46
	v_div_scale_f32 v47, vcc, 1.0, v40, 1.0
	v_mul_f32_e32 v49, v47, v46
	v_fma_f32 v50, -v41, v49, v47
	v_fmac_f32_e32 v49, v50, v46
	v_fma_f32 v41, -v41, v49, v47
	v_div_fmas_f32 v41, v41, v46, v49
	v_cmp_eq_u32_e32 vcc, 1, v29
	v_div_fixup_f32 v40, v41, v40, 1.0
	s_nop 0
	v_cndmask_b32_e32 v41, v43, v48, vcc
	v_cmp_eq_u32_e32 vcc, 2, v29
	s_nop 1
	v_cndmask_b32_e32 v41, v41, v44, vcc
	v_cmp_eq_u32_e32 vcc, 3, v29
	s_nop 1
	v_cndmask_b32_e32 v41, v41, v45, vcc
	v_mul_f32_e32 v40, v41, v40
	v_pk_mul_f32 v[34:35], v[40:41], v[34:35] op_sel_hi:[0,1]
	v_pk_mul_f32 v[20:21], v[40:41], v[20:21] op_sel_hi:[0,1]
	v_cvt_f16_f32_e32 v41, v34
	v_cvt_f16_f32_e32 v35, v35
	;; [unrolled: 1-line block ×4, first 2 shown]
	v_cmp_gt_u32_e32 vcc, 12, v0
	v_pack_b32_f16 v35, v41, v35
	v_lshlrev_b32_e32 v41, 3, v1
	v_pack_b32_f16 v34, v20, v21
	v_pk_mul_f32 v[20:21], v[40:41], v[36:37] op_sel_hi:[0,1]
	v_pk_mul_f32 v[22:23], v[40:41], v[22:23] op_sel_hi:[0,1]
	v_cvt_f16_f32_e32 v22, v22
	v_cvt_f16_f32_e32 v23, v23
	;; [unrolled: 1-line block ×4, first 2 shown]
	v_lshlrev_b32_e32 v20, 11, v29
	v_or3_b32 v20, v20, v27, v41
	v_pack_b32_f16 v22, v22, v23
	v_pack_b32_f16 v23, v36, v21
	ds_write2st64_b64 v20, v[34:35], v[22:23] offset1:1
	v_pk_mul_f32 v[22:23], v[40:41], v[32:33] op_sel_hi:[0,1]
	v_pk_mul_f32 v[30:31], v[40:41], v[30:31] op_sel_hi:[0,1]
	v_cvt_f16_f32_e32 v21, v30
	v_cvt_f16_f32_e32 v29, v31
	;; [unrolled: 1-line block ×4, first 2 shown]
	v_pk_mul_f32 v[18:19], v[40:41], v[18:19] op_sel_hi:[0,1]
	v_pk_mul_f32 v[22:23], v[40:41], v[24:25] op_sel_hi:[0,1]
	v_cvt_f16_f32_e32 v22, v22
	v_cvt_f16_f32_e32 v23, v23
	;; [unrolled: 1-line block ×4, first 2 shown]
	v_pack_b32_f16 v18, v21, v29
	v_pack_b32_f16 v19, v30, v31
	;; [unrolled: 1-line block ×4, first 2 shown]
	ds_write2st64_b64 v20, v[18:19], v[22:23] offset0:2 offset1:3
	s_and_saveexec_b64 s[4:5], vcc
	s_cbranch_execz .LBB879_15
; %bb.14:
	s_mov_b32 s49, 0
	v_mov_b32_e32 v29, 0
	v_lshl_add_u64 v[18:19], s[48:49], 0, v[28:29]
	v_mov_b32_e32 v21, s7
	v_mad_u64_u32 v[18:19], s[12:13], s2, v21, v[18:19]
	s_mul_i32 s3, s3, s7
	v_mov_b32_e32 v28, s28
	s_load_dwordx4 s[8:11], s[0:1], 0x58
	v_add_u32_e32 v21, s3, v19
	v_mad_u64_u32 v[18:19], s[12:13], v18, s6, v[28:29]
	v_mov_b32_e32 v22, v19
	v_mad_u64_u32 v[22:23], s[12:13], v21, s6, v[22:23]
	v_mov_b32_e32 v19, v22
	v_lshlrev_b64 v[18:19], 2, v[18:19]
	s_waitcnt lgkmcnt(0)
	v_lshl_add_u64 v[22:23], s[10:11], 0, v[18:19]
	v_lshl_add_u64 v[18:19], s[8:9], 0, v[18:19]
	global_store_dword v[22:23], v38, off
	global_store_dword v[18:19], v39, off
.LBB879_15:
	s_or_b64 exec, exec, s[4:5]
	s_waitcnt vmcnt(3)
	v_cvt_pk_f32_fp8_e32 v[18:19], v14
	v_cvt_pk_f32_fp8_sdwa v[22:23], v14 src0_sel:WORD_1
	v_cvt_pk_f32_fp8_e32 v[24:25], v15
	v_lshl_or_b32 v14, v1, 9, v27
	s_waitcnt lgkmcnt(0)
	s_barrier
	v_cvt_pkrtz_f16_f32 v18, v18, v19
	v_cvt_pkrtz_f16_f32 v19, v22, v23
	v_cvt_pk_f32_fp8_sdwa v[28:29], v15 src0_sel:WORD_1
	v_cvt_pkrtz_f16_f32 v36, v24, v25
	ds_read_b128 v[22:25], v14
	v_cvt_pk_f32_fp8_e32 v[38:39], v16
	v_cvt_pkrtz_f16_f32 v37, v28, v29
	ds_read_b128 v[28:31], v14 offset:16
	v_cvt_pk_f32_fp8_sdwa v[40:41], v16 src0_sel:WORD_1
	s_waitcnt lgkmcnt(1)
	v_mfma_f32_16x16x16_f16 v[32:35], v[18:19], v[22:23], 0
	v_cvt_pkrtz_f16_f32 v18, v38, v39
	v_cvt_pk_f32_fp8_e32 v[38:39], v17
	v_cvt_pkrtz_f16_f32 v19, v40, v41
	v_mfma_f32_16x16x16_f16 v[22:25], v[36:37], v[24:25], v[32:35]
	s_waitcnt vmcnt(2)
	v_cvt_pk_f32_fp8_sdwa v[36:37], v12 src0_sel:WORD_1
	s_load_dword s4, s[42:43], 0x0
	v_cmp_gt_u32_e32 vcc, 64, v0
	v_cvt_pk_f32_fp8_sdwa v[32:33], v17 src0_sel:WORD_1
	v_cvt_pkrtz_f16_f32 v34, v38, v39
	s_waitcnt lgkmcnt(0)
	v_mfma_f32_16x16x16_f16 v[16:19], v[18:19], v[28:29], v[22:25]
	v_cvt_pk_f32_fp8_e32 v[28:29], v11
	v_cvt_pkrtz_f16_f32 v35, v32, v33
	s_mov_b32 s3, 0
	v_cvt_pk_f32_fp8_e32 v[22:23], v10
	v_cvt_pk_f32_fp8_sdwa v[24:25], v10 src0_sel:WORD_1
	v_mfma_f32_16x16x16_f16 v[16:19], v[34:35], v[30:31], v[16:19]
	v_cvt_pkrtz_f16_f32 v10, v22, v23
	v_cvt_pk_f32_fp8_sdwa v[30:31], v11 src0_sel:WORD_1
	v_cvt_pkrtz_f16_f32 v11, v24, v25
	ds_read_b128 v[22:25], v14 offset:2048
	v_cvt_pkrtz_f16_f32 v32, v28, v29
	v_cvt_pkrtz_f16_f32 v33, v30, v31
	ds_read_b128 v[28:31], v14 offset:2064
	v_cvt_pk_f32_fp8_e32 v[34:35], v12
	s_waitcnt lgkmcnt(1)
	v_mfma_f32_16x16x16_f16 v[16:19], v[10:11], v[22:23], v[16:19]
	v_cvt_pkrtz_f16_f32 v11, v36, v37
	v_cvt_pk_f32_fp8_e32 v[22:23], v13
	v_cvt_pkrtz_f16_f32 v10, v34, v35
	v_mfma_f32_16x16x16_f16 v[16:19], v[32:33], v[24:25], v[16:19]
	v_cvt_pk_f32_fp8_sdwa v[24:25], v13 src0_sel:WORD_1
	v_cvt_pkrtz_f16_f32 v22, v22, v23
	s_waitcnt vmcnt(1)
	v_cvt_pk_f32_fp8_sdwa v[32:33], v8 src0_sel:WORD_1
	s_waitcnt lgkmcnt(0)
	v_mfma_f32_16x16x16_f16 v[10:13], v[10:11], v[28:29], v[16:19]
	v_cvt_pkrtz_f16_f32 v23, v24, v25
	v_cvt_pk_f32_fp8_sdwa v[24:25], v7 src0_sel:WORD_1
	v_mov_b32_e32 v27, 0
	v_cvt_pk_f32_fp8_e32 v[16:17], v6
	v_cvt_pk_f32_fp8_sdwa v[18:19], v6 src0_sel:WORD_1
	v_mfma_f32_16x16x16_f16 v[10:13], v[22:23], v[30:31], v[10:13]
	v_cvt_pk_f32_fp8_e32 v[22:23], v7
	v_cvt_pkrtz_f16_f32 v6, v16, v17
	v_cvt_pkrtz_f16_f32 v7, v18, v19
	ds_read_b128 v[16:19], v14 offset:4096
	v_cvt_pkrtz_f16_f32 v28, v22, v23
	v_cvt_pkrtz_f16_f32 v29, v24, v25
	ds_read_b128 v[22:25], v14 offset:4112
	v_cvt_pk_f32_fp8_e32 v[30:31], v8
	s_waitcnt lgkmcnt(1)
	v_mfma_f32_16x16x16_f16 v[10:13], v[6:7], v[16:17], v[10:13]
	v_cvt_pkrtz_f16_f32 v7, v32, v33
	v_cvt_pk_f32_fp8_e32 v[16:17], v9
	v_cvt_pkrtz_f16_f32 v6, v30, v31
	v_mfma_f32_16x16x16_f16 v[10:13], v[28:29], v[18:19], v[10:13]
	v_cvt_pk_f32_fp8_sdwa v[18:19], v9 src0_sel:WORD_1
	v_cvt_pkrtz_f16_f32 v16, v16, v17
	v_cvt_pkrtz_f16_f32 v17, v18, v19
	s_waitcnt lgkmcnt(0)
	v_mfma_f32_16x16x16_f16 v[6:9], v[6:7], v[22:23], v[10:13]
	s_waitcnt vmcnt(0)
	v_cvt_pk_f32_fp8_sdwa v[18:19], v3 src0_sel:WORD_1
	s_nop 0
	v_cvt_pkrtz_f16_f32 v23, v18, v19
	v_cvt_pk_f32_fp8_e32 v[10:11], v2
	v_cvt_pk_f32_fp8_sdwa v[12:13], v2 src0_sel:WORD_1
	v_mfma_f32_16x16x16_f16 v[6:9], v[16:17], v[24:25], v[6:9]
	v_cvt_pk_f32_fp8_e32 v[16:17], v3
	v_cvt_pkrtz_f16_f32 v2, v10, v11
	v_cvt_pkrtz_f16_f32 v3, v12, v13
	ds_read_b128 v[10:13], v14 offset:6144
	v_cvt_pkrtz_f16_f32 v22, v16, v17
	v_cvt_pk_f32_fp8_e32 v[18:19], v4
	v_cvt_pk_f32_fp8_sdwa v[24:25], v4 src0_sel:WORD_1
	s_waitcnt lgkmcnt(0)
	v_mfma_f32_16x16x16_f16 v[6:9], v[2:3], v[10:11], v[6:9]
	ds_read_b128 v[14:17], v14 offset:6160
	v_cvt_pkrtz_f16_f32 v2, v18, v19
	v_cvt_pkrtz_f16_f32 v3, v24, v25
	v_cvt_pk_f32_fp8_e32 v[10:11], v5
	v_mfma_f32_16x16x16_f16 v[6:9], v[22:23], v[12:13], v[6:9]
	v_cvt_pk_f32_fp8_sdwa v[12:13], v5 src0_sel:WORD_1
	s_waitcnt lgkmcnt(0)
	v_cvt_pkrtz_f16_f32 v10, v10, v11
	v_mfma_f32_16x16x16_f16 v[2:5], v[2:3], v[14:15], v[6:9]
	v_cvt_pkrtz_f16_f32 v11, v12, v13
	s_barrier
	s_nop 0
	v_mfma_f32_16x16x16_f16 v[2:5], v[10:11], v[16:17], v[2:5]
	s_nop 6
	v_pk_mul_f32 v[4:5], v[4:5], s[4:5] op_sel_hi:[1,0]
	v_pk_mul_f32 v[2:3], v[2:3], s[4:5] op_sel_hi:[1,0]
	v_cvt_f16_f32_e32 v4, v4
	v_cvt_f16_f32_e32 v2, v2
	;; [unrolled: 1-line block ×4, first 2 shown]
	s_and_b64 s[4:5], vcc, s[30:31]
	v_pack_b32_f16 v2, v2, v3
	v_pack_b32_f16 v3, v4, v5
	ds_write_b64 v20, v[2:3]
	s_waitcnt lgkmcnt(0)
	s_barrier
	s_and_saveexec_b64 s[8:9], s[4:5]
	s_cbranch_execz .LBB879_17
; %bb.16:
	s_load_dwordx2 s[0:1], s[0:1], 0x68
	s_lshl_b32 s6, s6, 6
	s_mul_i32 s2, s7, s2
	s_mul_hi_u32 s5, s2, s6
	s_mul_i32 s4, s2, s6
	s_lshl_b64 s[4:5], s[4:5], 1
	s_waitcnt lgkmcnt(0)
	s_add_u32 s4, s0, s4
	v_lshlrev_b32_e32 v0, 10, v0
	s_addc_u32 s5, s1, s5
	s_lshl_b32 s2, s28, 6
	v_and_b32_e32 v0, 0x1800, v0
	v_lshlrev_b32_e32 v2, 5, v1
	v_and_b32_e32 v3, 16, v42
	s_lshl_b64 s[0:1], s[2:3], 1
	v_or3_b32 v0, v0, v2, v3
	s_add_u32 s0, s4, s0
	ds_read_b128 v[2:5], v0
	ds_read_b128 v[6:9], v0 offset:128
	ds_read_b128 v[10:13], v0 offset:256
	s_addc_u32 s1, s5, s1
	v_or_b32_e32 v16, s48, v1
	v_lshl_add_u64 v[0:1], s[0:1], 0, v[26:27]
	v_mad_u64_u32 v[14:15], s[0:1], v16, s6, 0
	v_lshl_add_u64 v[14:15], v[14:15], 1, v[0:1]
	s_waitcnt lgkmcnt(2)
	global_store_dwordx4 v[14:15], v[2:5], off
	s_nop 1
	v_add_u32_e32 v2, 4, v16
	v_mad_u64_u32 v[2:3], s[0:1], v2, s6, 0
	v_lshl_add_u64 v[2:3], v[2:3], 1, v[0:1]
	s_waitcnt lgkmcnt(1)
	global_store_dwordx4 v[2:3], v[6:9], off
	v_add_u32_e32 v2, 8, v16
	v_mad_u64_u32 v[2:3], s[0:1], v2, s6, 0
	v_lshl_add_u64 v[0:1], v[2:3], 1, v[0:1]
	s_waitcnt lgkmcnt(0)
	global_store_dwordx4 v[0:1], v[10:13], off
.LBB879_17:
	s_endpgm
	.section	.rodata,"a",@progbits
	.p2align	6, 0x0
	.amdhsa_kernel _Z39paged_attention_ll4mi_QKV_mfma16_kernelIDF16_hLN4vllm18Fp8KVCacheDataTypeE1EhLi32ELi64ELi256ELb0ELi12EEvPKT_PKT0_S7_ifPKiS9_S9_iPKfiiiPfSC_PS2_PT2_iSB_SB_
		.amdhsa_group_segment_fixed_size 8192
		.amdhsa_private_segment_fixed_size 0
		.amdhsa_kernarg_size 400
		.amdhsa_user_sgpr_count 2
		.amdhsa_user_sgpr_dispatch_ptr 0
		.amdhsa_user_sgpr_queue_ptr 0
		.amdhsa_user_sgpr_kernarg_segment_ptr 1
		.amdhsa_user_sgpr_dispatch_id 0
		.amdhsa_user_sgpr_kernarg_preload_length 0
		.amdhsa_user_sgpr_kernarg_preload_offset 0
		.amdhsa_user_sgpr_private_segment_size 0
		.amdhsa_uses_dynamic_stack 0
		.amdhsa_enable_private_segment 0
		.amdhsa_system_sgpr_workgroup_id_x 1
		.amdhsa_system_sgpr_workgroup_id_y 1
		.amdhsa_system_sgpr_workgroup_id_z 1
		.amdhsa_system_sgpr_workgroup_info 0
		.amdhsa_system_vgpr_workitem_id 0
		.amdhsa_next_free_vgpr 54
		.amdhsa_next_free_sgpr 50
		.amdhsa_accum_offset 56
		.amdhsa_reserve_vcc 1
		.amdhsa_float_round_mode_32 0
		.amdhsa_float_round_mode_16_64 0
		.amdhsa_float_denorm_mode_32 3
		.amdhsa_float_denorm_mode_16_64 3
		.amdhsa_dx10_clamp 1
		.amdhsa_ieee_mode 1
		.amdhsa_fp16_overflow 0
		.amdhsa_tg_split 0
		.amdhsa_exception_fp_ieee_invalid_op 0
		.amdhsa_exception_fp_denorm_src 0
		.amdhsa_exception_fp_ieee_div_zero 0
		.amdhsa_exception_fp_ieee_overflow 0
		.amdhsa_exception_fp_ieee_underflow 0
		.amdhsa_exception_fp_ieee_inexact 0
		.amdhsa_exception_int_div_zero 0
	.end_amdhsa_kernel
	.section	.text._Z39paged_attention_ll4mi_QKV_mfma16_kernelIDF16_hLN4vllm18Fp8KVCacheDataTypeE1EhLi32ELi64ELi256ELb0ELi12EEvPKT_PKT0_S7_ifPKiS9_S9_iPKfiiiPfSC_PS2_PT2_iSB_SB_,"axG",@progbits,_Z39paged_attention_ll4mi_QKV_mfma16_kernelIDF16_hLN4vllm18Fp8KVCacheDataTypeE1EhLi32ELi64ELi256ELb0ELi12EEvPKT_PKT0_S7_ifPKiS9_S9_iPKfiiiPfSC_PS2_PT2_iSB_SB_,comdat
.Lfunc_end879:
	.size	_Z39paged_attention_ll4mi_QKV_mfma16_kernelIDF16_hLN4vllm18Fp8KVCacheDataTypeE1EhLi32ELi64ELi256ELb0ELi12EEvPKT_PKT0_S7_ifPKiS9_S9_iPKfiiiPfSC_PS2_PT2_iSB_SB_, .Lfunc_end879-_Z39paged_attention_ll4mi_QKV_mfma16_kernelIDF16_hLN4vllm18Fp8KVCacheDataTypeE1EhLi32ELi64ELi256ELb0ELi12EEvPKT_PKT0_S7_ifPKiS9_S9_iPKfiiiPfSC_PS2_PT2_iSB_SB_
                                        ; -- End function
	.section	.AMDGPU.csdata,"",@progbits
; Kernel info:
; codeLenInByte = 4696
; NumSgprs: 56
; NumVgprs: 54
; NumAgprs: 0
; TotalNumVgprs: 54
; ScratchSize: 0
; MemoryBound: 0
; FloatMode: 240
; IeeeMode: 1
; LDSByteSize: 8192 bytes/workgroup (compile time only)
; SGPRBlocks: 6
; VGPRBlocks: 6
; NumSGPRsForWavesPerEU: 56
; NumVGPRsForWavesPerEU: 54
; AccumOffset: 56
; Occupancy: 8
; WaveLimiterHint : 1
; COMPUTE_PGM_RSRC2:SCRATCH_EN: 0
; COMPUTE_PGM_RSRC2:USER_SGPR: 2
; COMPUTE_PGM_RSRC2:TRAP_HANDLER: 0
; COMPUTE_PGM_RSRC2:TGID_X_EN: 1
; COMPUTE_PGM_RSRC2:TGID_Y_EN: 1
; COMPUTE_PGM_RSRC2:TGID_Z_EN: 1
; COMPUTE_PGM_RSRC2:TIDIG_COMP_CNT: 0
; COMPUTE_PGM_RSRC3_GFX90A:ACCUM_OFFSET: 13
; COMPUTE_PGM_RSRC3_GFX90A:TG_SPLIT: 0
	.section	.text._Z39paged_attention_ll4mi_QKV_mfma16_kernelIDF16_hLN4vllm18Fp8KVCacheDataTypeE1EhLi32ELi64ELi256ELb0ELi13EEvPKT_PKT0_S7_ifPKiS9_S9_iPKfiiiPfSC_PS2_PT2_iSB_SB_,"axG",@progbits,_Z39paged_attention_ll4mi_QKV_mfma16_kernelIDF16_hLN4vllm18Fp8KVCacheDataTypeE1EhLi32ELi64ELi256ELb0ELi13EEvPKT_PKT0_S7_ifPKiS9_S9_iPKfiiiPfSC_PS2_PT2_iSB_SB_,comdat
	.protected	_Z39paged_attention_ll4mi_QKV_mfma16_kernelIDF16_hLN4vllm18Fp8KVCacheDataTypeE1EhLi32ELi64ELi256ELb0ELi13EEvPKT_PKT0_S7_ifPKiS9_S9_iPKfiiiPfSC_PS2_PT2_iSB_SB_ ; -- Begin function _Z39paged_attention_ll4mi_QKV_mfma16_kernelIDF16_hLN4vllm18Fp8KVCacheDataTypeE1EhLi32ELi64ELi256ELb0ELi13EEvPKT_PKT0_S7_ifPKiS9_S9_iPKfiiiPfSC_PS2_PT2_iSB_SB_
	.globl	_Z39paged_attention_ll4mi_QKV_mfma16_kernelIDF16_hLN4vllm18Fp8KVCacheDataTypeE1EhLi32ELi64ELi256ELb0ELi13EEvPKT_PKT0_S7_ifPKiS9_S9_iPKfiiiPfSC_PS2_PT2_iSB_SB_
	.p2align	8
	.type	_Z39paged_attention_ll4mi_QKV_mfma16_kernelIDF16_hLN4vllm18Fp8KVCacheDataTypeE1EhLi32ELi64ELi256ELb0ELi13EEvPKT_PKT0_S7_ifPKiS9_S9_iPKfiiiPfSC_PS2_PT2_iSB_SB_,@function
_Z39paged_attention_ll4mi_QKV_mfma16_kernelIDF16_hLN4vllm18Fp8KVCacheDataTypeE1EhLi32ELi64ELi256ELb0ELi13EEvPKT_PKT0_S7_ifPKiS9_S9_iPKfiiiPfSC_PS2_PT2_iSB_SB_: ; @_Z39paged_attention_ll4mi_QKV_mfma16_kernelIDF16_hLN4vllm18Fp8KVCacheDataTypeE1EhLi32ELi64ELi256ELb0ELi13EEvPKT_PKT0_S7_ifPKiS9_S9_iPKfiiiPfSC_PS2_PT2_iSB_SB_
; %bb.0:
	s_load_dwordx2 s[12:13], s[0:1], 0x30
	s_mov_b32 s28, s3
	s_mov_b64 s[6:7], 0
	s_waitcnt lgkmcnt(0)
	s_cmp_lg_u64 s[12:13], 0
	s_cselect_b64 s[14:15], -1, 0
	s_and_b64 vcc, exec, s[14:15]
	s_cbranch_vccz .LBB880_7
; %bb.1:
	s_add_i32 s8, s2, 1
	s_mov_b32 s9, 0
	s_lshl_b64 s[10:11], s[8:9], 2
	s_add_u32 s10, s12, s10
	s_mov_b32 s3, s9
	s_addc_u32 s11, s13, s11
	s_lshl_b64 s[8:9], s[2:3], 2
	s_add_u32 s8, s12, s8
	s_addc_u32 s9, s13, s9
	s_load_dword s5, s[10:11], 0x0
	s_load_dword s16, s[8:9], 0x0
	s_waitcnt lgkmcnt(0)
	s_sub_i32 s5, s5, s16
	s_cmp_eq_u32 s5, 1
	s_cselect_b64 s[8:9], -1, 0
	s_andn2_b64 vcc, exec, s[6:7]
	s_cbranch_vccnz .LBB880_3
.LBB880_2:
	s_mov_b32 s3, 0
	s_mov_b64 s[8:9], -1
.LBB880_3:
	s_andn2_b64 vcc, exec, s[8:9]
	s_cbranch_vccnz .LBB880_18
; %bb.4:
	s_load_dwordx2 s[6:7], s[0:1], 0x28
	s_lshl_b64 s[16:17], s[2:3], 2
	s_waitcnt lgkmcnt(0)
	s_add_u32 s6, s6, s16
	s_addc_u32 s7, s7, s17
	s_load_dword s33, s[6:7], 0x0
	s_lshl_b32 s5, s28, 8
	s_waitcnt lgkmcnt(0)
	s_cmp_ge_i32 s5, s33
	s_cbranch_scc1 .LBB880_18
; %bb.5:
	s_load_dwordx2 s[6:7], s[0:1], 0x20
	s_load_dword s8, s[0:1], 0x38
	s_add_i32 s9, s33, 31
	s_ashr_i32 s10, s9, 31
	v_and_b32_e32 v1, 0xcf, v0
	s_lshr_b32 s10, s10, 27
	v_add_u32_e32 v1, s5, v1
	s_add_i32 s9, s9, s10
	v_ashrrev_i32_e32 v2, 31, v1
	s_ashr_i32 s18, s9, 5
	v_lshrrev_b32_e32 v4, 27, v2
	s_add_i32 s18, s18, -1
	s_waitcnt lgkmcnt(0)
	s_mul_i32 s8, s2, s8
	s_mov_b32 s9, 0
	v_add_u32_e32 v2, v1, v4
	s_lshl_b64 s[8:9], s[8:9], 2
	v_ashrrev_i32_e32 v2, 5, v2
	v_mov_b32_e32 v5, s18
	v_cmp_gt_i32_e32 vcc, s33, v1
	s_add_u32 s6, s6, s8
	s_addc_u32 s7, s7, s9
	v_cndmask_b32_e32 v2, v5, v2, vcc
	v_ashrrev_i32_e32 v3, 31, v2
	v_lshl_add_u64 v[6:7], v[2:3], 2, s[6:7]
	v_or_b32_e32 v2, 16, v1
	v_add_u32_e32 v3, v2, v4
	v_ashrrev_i32_e32 v3, 5, v3
	v_cmp_gt_i32_e32 vcc, s33, v2
	s_load_dwordx4 s[8:11], s[0:1], 0x8
	s_nop 0
	v_cndmask_b32_e32 v2, v5, v3, vcc
	v_ashrrev_i32_e32 v3, 31, v2
	v_lshl_add_u64 v[8:9], v[2:3], 2, s[6:7]
	v_or_b32_e32 v2, 32, v1
	v_add_u32_e32 v3, v2, v4
	v_ashrrev_i32_e32 v3, 5, v3
	v_cmp_gt_i32_e32 vcc, s33, v2
	v_or_b32_e32 v1, 48, v1
	s_nop 0
	v_cndmask_b32_e32 v2, v5, v3, vcc
	v_ashrrev_i32_e32 v3, 31, v2
	v_lshl_add_u64 v[10:11], v[2:3], 2, s[6:7]
	v_add_u32_e32 v2, v1, v4
	v_ashrrev_i32_e32 v2, 5, v2
	v_cmp_gt_i32_e32 vcc, s33, v1
	s_nop 1
	v_cndmask_b32_e32 v2, v5, v2, vcc
	v_ashrrev_i32_e32 v3, 31, v2
	v_lshl_add_u64 v[14:15], v[2:3], 2, s[6:7]
	global_load_dword v2, v[6:7], off
	global_load_dword v5, v[8:9], off
	global_load_dword v4, v[10:11], off
	global_load_dword v12, v[14:15], off
	s_andn2_b64 vcc, exec, s[14:15]
	s_cbranch_vccnz .LBB880_8
; %bb.6:
	s_add_u32 s12, s12, s16
	s_addc_u32 s13, s13, s17
	s_load_dword s14, s[12:13], 0x0
	s_branch .LBB880_9
.LBB880_7:
	s_mov_b64 s[8:9], 0
	s_branch .LBB880_2
.LBB880_8:
	s_mov_b32 s14, s2
.LBB880_9:
	s_load_dwordx4 s[44:47], s[0:1], 0x48
	v_lshrrev_b32_e32 v29, 6, v0
	v_bfe_u32 v42, v0, 4, 2
	v_lshl_or_b32 v3, v29, 2, v42
	v_and_b32_e32 v28, 15, v0
	v_lshlrev_b32_e32 v1, 3, v28
	v_cmp_gt_u32_e32 vcc, 13, v3
	v_cmp_gt_u32_e64 s[30:31], 8, v28
	v_and_b32_e32 v43, 63, v0
	s_mul_i32 s48, s4, 13
	s_and_b64 s[16:17], s[30:31], vcc
	v_lshlrev_b32_e32 v26, 1, v1
	v_lshlrev_b32_e32 v1, 4, v0
	s_and_saveexec_b64 s[12:13], s[16:17]
	s_cbranch_execz .LBB880_11
; %bb.10:
	s_load_dwordx2 s[16:17], s[0:1], 0x0
	s_waitcnt lgkmcnt(0)
	s_ashr_i32 s15, s44, 31
	s_mul_hi_u32 s19, s14, s44
	s_mul_i32 s15, s14, s15
	s_add_i32 s15, s19, s15
	s_mul_i32 s14, s14, s44
	s_lshl_b64 s[14:15], s[14:15], 1
	s_add_u32 s14, s16, s14
	v_add_lshl_u32 v6, v3, s48, 6
	s_addc_u32 s15, s17, s15
	v_ashrrev_i32_e32 v7, 31, v6
	v_lshl_add_u64 v[6:7], v[6:7], 1, s[14:15]
	v_mov_b32_e32 v27, 0
	v_lshl_add_u64 v[6:7], v[6:7], 0, v[26:27]
	global_load_dwordx4 v[6:9], v[6:7], off
	v_lshlrev_b32_e32 v11, 8, v28
	v_lshlrev_b32_e32 v3, 5, v3
	v_and_b32_e32 v10, 16, v1
	v_and_b32_e32 v11, 0xe00, v11
	v_or3_b32 v3, v11, v3, v10
	s_waitcnt vmcnt(0)
	ds_write_b128 v3, v[6:9]
.LBB880_11:
	s_or_b64 exec, exec, s[12:13]
	s_waitcnt lgkmcnt(0)
	s_mul_i32 s4, s4, s46
	s_add_u32 s8, s8, s4
	s_addc_u32 s9, s9, 0
	v_mov_b32_e32 v31, 0
	v_mov_b64_e32 v[10:11], s[8:9]
	v_and_b32_e32 v8, 48, v0
	s_waitcnt vmcnt(3)
	v_mad_i64_i32 v[6:7], s[8:9], v2, s45, v[10:11]
	v_lshlrev_b32_e32 v2, 4, v28
	v_mov_b32_e32 v3, v31
	v_lshlrev_b32_e32 v30, 5, v8
	v_lshl_add_u64 v[6:7], v[6:7], 0, v[2:3]
	v_lshl_add_u64 v[6:7], v[6:7], 0, v[30:31]
	s_load_dword s29, s[0:1], 0x98
	s_load_dwordx4 s[40:43], s[0:1], 0x80
	s_waitcnt lgkmcnt(0)
	s_barrier
	global_load_dwordx4 v[14:17], v[6:7], off
	s_waitcnt vmcnt(3)
	v_mad_i64_i32 v[6:7], s[8:9], v5, s45, v[10:11]
	v_or_b32_e32 v32, 0x100, v2
	v_mov_b32_e32 v33, v31
	v_lshl_add_u64 v[6:7], v[6:7], 0, v[32:33]
	v_lshl_add_u64 v[6:7], v[6:7], 0, v[30:31]
	global_load_dwordx4 v[18:21], v[6:7], off
	s_ashr_i32 s8, s5, 31
	v_or_b32_e32 v5, s5, v8
	s_lshr_b32 s12, s8, 27
	v_add_u32_e32 v8, s12, v5
	v_cmp_gt_i32_e32 vcc, s33, v5
	v_or_b32_e32 v34, 64, v5
	v_or_b32_e32 v35, 0x80, v5
	;; [unrolled: 1-line block ×3, first 2 shown]
	s_waitcnt vmcnt(3)
	v_mad_i64_i32 v[4:5], s[8:9], v4, s45, v[10:11]
	v_lshl_add_u64 v[2:3], v[4:5], 0, v[2:3]
	v_lshl_add_u64 v[2:3], v[2:3], 0, v[30:31]
	global_load_dwordx4 v[22:25], v[2:3], off
	v_ashrrev_i32_e32 v8, 5, v8
	v_mov_b32_e32 v13, s18
	v_cndmask_b32_e32 v8, v13, v8, vcc
	v_ashrrev_i32_e32 v9, 31, v8
	v_add_u32_e32 v6, -13, v28
	v_cmp_gt_u32_e32 vcc, 13, v28
	s_waitcnt vmcnt(3)
	v_mad_i64_i32 v[10:11], s[8:9], v12, s45, v[10:11]
	v_add_u32_e32 v12, s12, v34
	v_lshl_add_u64 v[8:9], v[8:9], 2, s[6:7]
	v_cndmask_b32_e32 v6, v6, v28, vcc
	v_add_u32_e32 v37, s12, v35
	v_ashrrev_i32_e32 v12, 5, v12
	v_cmp_gt_i32_e32 vcc, s33, v34
	global_load_dword v45, v[8:9], off
	v_lshlrev_b32_e32 v6, 5, v6
	v_add_u32_e32 v38, s12, v36
	v_lshl_add_u64 v[10:11], v[10:11], 0, v[32:33]
	v_ashrrev_i32_e32 v33, 5, v37
	v_cndmask_b32_e32 v32, v13, v12, vcc
	v_cmp_gt_i32_e32 vcc, s33, v35
	v_lshl_add_u32 v2, v42, 9, v6
	v_ashrrev_i32_e32 v37, 5, v38
	v_lshl_add_u64 v[10:11], v[10:11], 0, v[30:31]
	v_cndmask_b32_e32 v34, v13, v33, vcc
	v_cmp_gt_i32_e32 vcc, s33, v36
	ds_read_b128 v[6:9], v2
	ds_read_b128 v[2:5], v2 offset:16
	v_cndmask_b32_e32 v36, v13, v37, vcc
	global_load_dwordx4 v[10:13], v[10:11], off
	v_ashrrev_i32_e32 v33, 31, v32
	v_ashrrev_i32_e32 v37, 31, v36
	;; [unrolled: 1-line block ×3, first 2 shown]
	v_lshl_add_u64 v[32:33], v[32:33], 2, s[6:7]
	v_lshl_add_u64 v[36:37], v[36:37], 2, s[6:7]
	;; [unrolled: 1-line block ×3, first 2 shown]
	global_load_dword v44, v[32:33], off
	global_load_dword v34, v[40:41], off
	;; [unrolled: 1-line block ×3, first 2 shown]
	s_add_u32 s8, s10, s4
	v_lshlrev_b32_e32 v27, 5, v28
	s_addc_u32 s9, s11, 0
	v_and_b32_e32 v30, 16, v0
	v_lshl_add_u64 v[38:39], s[8:9], 0, v[30:31]
	v_lshl_or_b32 v30, v29, 9, v27
	v_lshl_add_u64 v[30:31], v[38:39], 0, v[30:31]
	s_load_dword s13, s[0:1], 0x1c
	s_load_dword s4, s[40:41], 0x0
	s_mov_b32 s44, 0xff7fffff
	s_waitcnt vmcnt(7)
	v_cvt_pk_f32_fp8_e32 v[32:33], v14
	v_cvt_pk_f32_fp8_sdwa v[36:37], v14 src0_sel:WORD_1
	v_cvt_pk_f32_fp8_e32 v[38:39], v15
	v_cvt_pk_f32_fp8_sdwa v[14:15], v15 src0_sel:WORD_1
	v_cvt_pkrtz_f16_f32 v32, v32, v33
	v_cvt_pkrtz_f16_f32 v33, v36, v37
	v_cvt_pk_f32_fp8_e32 v[40:41], v16
	v_cvt_pk_f32_fp8_sdwa v[46:47], v16 src0_sel:WORD_1
	v_cvt_pkrtz_f16_f32 v48, v38, v39
	v_cvt_pkrtz_f16_f32 v49, v14, v15
	s_waitcnt lgkmcnt(0)
	v_mfma_f32_16x16x16_f16 v[36:39], v[32:33], v[6:7], 0
	v_cvt_pk_f32_fp8_e32 v[32:33], v17
	v_cvt_pkrtz_f16_f32 v40, v40, v41
	v_cvt_pkrtz_f16_f32 v41, v46, v47
	v_cvt_pk_f32_fp8_sdwa v[16:17], v17 src0_sel:WORD_1
	v_mfma_f32_16x16x16_f16 v[36:39], v[48:49], v[8:9], v[36:39]
	v_cvt_pkrtz_f16_f32 v32, v32, v33
	s_waitcnt vmcnt(6)
	v_cvt_pk_f32_fp8_sdwa v[46:47], v20 src0_sel:WORD_1
	v_cvt_pkrtz_f16_f32 v33, v16, v17
	v_mfma_f32_16x16x16_f16 v[36:39], v[40:41], v[2:3], v[36:39]
	v_cvt_pk_f32_fp8_e32 v[16:17], v18
	v_cvt_pk_f32_fp8_sdwa v[40:41], v18 src0_sel:WORD_1
	s_waitcnt vmcnt(5)
	v_cvt_pk_f32_fp8_e32 v[52:53], v25
	v_mfma_f32_16x16x16_f16 v[36:39], v[32:33], v[4:5], v[36:39]
	v_cvt_pk_f32_fp8_e32 v[32:33], v19
	v_cvt_pkrtz_f16_f32 v16, v16, v17
	v_cvt_pkrtz_f16_f32 v17, v40, v41
	v_cvt_pk_f32_fp8_sdwa v[18:19], v19 src0_sel:WORD_1
	v_cvt_pkrtz_f16_f32 v32, v32, v33
	v_cvt_pk_f32_fp8_e32 v[40:41], v20
	v_cvt_pkrtz_f16_f32 v33, v18, v19
	v_mfma_f32_16x16x16_f16 v[16:19], v[16:17], v[6:7], 0
	v_cvt_pkrtz_f16_f32 v40, v40, v41
	v_cvt_pkrtz_f16_f32 v41, v46, v47
	v_cvt_pk_f32_fp8_e32 v[46:47], v21
	v_cvt_pk_f32_fp8_sdwa v[20:21], v21 src0_sel:WORD_1
	v_mfma_f32_16x16x16_f16 v[16:19], v[32:33], v[8:9], v[16:19]
	s_waitcnt vmcnt(4)
	v_mad_i64_i32 v[14:15], s[6:7], v45, s45, v[30:31]
	v_cvt_pkrtz_f16_f32 v32, v46, v47
	v_cvt_pkrtz_f16_f32 v33, v20, v21
	v_mfma_f32_16x16x16_f16 v[16:19], v[40:41], v[2:3], v[16:19]
	v_cvt_pk_f32_fp8_e32 v[20:21], v22
	v_cvt_pk_f32_fp8_sdwa v[40:41], v22 src0_sel:WORD_1
	v_cvt_pk_f32_fp8_sdwa v[46:47], v24 src0_sel:WORD_1
	v_mfma_f32_16x16x16_f16 v[16:19], v[32:33], v[4:5], v[16:19]
	v_cvt_pk_f32_fp8_e32 v[32:33], v23
	v_cvt_pkrtz_f16_f32 v20, v20, v21
	v_cvt_pkrtz_f16_f32 v21, v40, v41
	v_cvt_pk_f32_fp8_sdwa v[22:23], v23 src0_sel:WORD_1
	v_cvt_pkrtz_f16_f32 v32, v32, v33
	v_cvt_pk_f32_fp8_e32 v[40:41], v24
	v_cvt_pk_f32_fp8_sdwa v[24:25], v25 src0_sel:WORD_1
	v_cvt_pkrtz_f16_f32 v33, v22, v23
	v_mfma_f32_16x16x16_f16 v[20:23], v[20:21], v[6:7], 0
	v_cvt_pkrtz_f16_f32 v40, v40, v41
	v_cvt_pkrtz_f16_f32 v41, v46, v47
	v_mov_b32_e32 v45, s13
	v_mfma_f32_16x16x16_f16 v[46:49], v[32:33], v[8:9], v[20:23]
	v_mul_f32_e32 v50, s4, v45
	v_cvt_pkrtz_f16_f32 v32, v52, v53
	v_cvt_pkrtz_f16_f32 v33, v24, v25
	v_pk_mul_f32 v[22:23], v[50:51], v[38:39] op_sel_hi:[0,1]
	v_mfma_f32_16x16x16_f16 v[38:41], v[40:41], v[2:3], v[46:49]
	v_pk_mul_f32 v[20:21], v[50:51], v[36:37] op_sel_hi:[0,1]
	s_waitcnt vmcnt(3)
	v_cvt_pk_f32_fp8_e32 v[24:25], v10
	v_cvt_pk_f32_fp8_sdwa v[36:37], v10 src0_sel:WORD_1
	v_mfma_f32_16x16x16_f16 v[46:49], v[32:33], v[4:5], v[38:41]
	v_cvt_pk_f32_fp8_e32 v[32:33], v11
	v_cvt_pkrtz_f16_f32 v24, v24, v25
	v_cvt_pkrtz_f16_f32 v25, v36, v37
	v_cvt_pk_f32_fp8_sdwa v[10:11], v11 src0_sel:WORD_1
	v_cvt_pkrtz_f16_f32 v32, v32, v33
	v_cvt_pk_f32_fp8_e32 v[40:41], v12
	v_cvt_pk_f32_fp8_sdwa v[52:53], v12 src0_sel:WORD_1
	v_cvt_pkrtz_f16_f32 v33, v10, v11
	v_mfma_f32_16x16x16_f16 v[36:39], v[24:25], v[6:7], 0
	v_cvt_pkrtz_f16_f32 v10, v40, v41
	v_cvt_pkrtz_f16_f32 v11, v52, v53
	v_cvt_pk_f32_fp8_e32 v[24:25], v13
	v_cvt_pk_f32_fp8_sdwa v[12:13], v13 src0_sel:WORD_1
	v_mfma_f32_16x16x16_f16 v[6:9], v[32:33], v[8:9], v[36:39]
	v_pk_mul_f32 v[40:41], v[50:51], v[16:17] op_sel_hi:[0,1]
	v_pk_mul_f32 v[32:33], v[50:51], v[48:49] op_sel_hi:[0,1]
	s_nop 0
	v_pk_mul_f32 v[36:37], v[50:51], v[18:19] op_sel_hi:[0,1]
	v_cvt_pkrtz_f16_f32 v18, v24, v25
	v_cvt_pkrtz_f16_f32 v19, v12, v13
	v_mfma_f32_16x16x16_f16 v[6:9], v[10:11], v[2:3], v[6:9]
	v_pk_mul_f32 v[38:39], v[50:51], v[46:47] op_sel_hi:[0,1]
	v_mfma_f32_16x16x16_f16 v[2:5], v[18:19], v[4:5], v[6:9]
	s_nop 6
	v_pk_mul_f32 v[24:25], v[50:51], v[2:3] op_sel_hi:[0,1]
	v_and_b32_e32 v2, 0xc0, v0
	v_add_u32_e32 v2, s5, v2
	v_lshl_or_b32 v2, v42, 2, v2
	v_pk_mul_f32 v[18:19], v[50:51], v[4:5] op_sel_hi:[0,1]
	v_or_b32_e32 v5, 1, v2
	v_mov_b32_e32 v3, 0xff7fffff
	v_cmp_gt_i32_e64 s[4:5], s33, v2
	v_cmp_gt_i32_e64 s[34:35], s33, v5
	v_or_b32_e32 v6, 3, v2
	v_cndmask_b32_e64 v4, v3, v20, s[4:5]
	v_cndmask_b32_e64 v5, v3, v21, s[34:35]
	v_max3_f32 v4, v4, s44, v5
	v_or_b32_e32 v5, 2, v2
	v_cmp_gt_i32_e64 s[36:37], s33, v5
	v_cmp_gt_i32_e64 s[38:39], s33, v6
	s_nop 0
	v_cndmask_b32_e64 v5, v3, v22, s[36:37]
	v_cndmask_b32_e64 v6, v3, v23, s[38:39]
	v_max3_f32 v4, v4, v5, v6
	v_or_b32_e32 v5, 16, v2
	v_or_b32_e32 v6, 17, v2
	v_cmp_gt_i32_e64 s[24:25], s33, v5
	v_cmp_gt_i32_e64 s[26:27], s33, v6
	s_nop 0
	v_cndmask_b32_e64 v5, v3, v40, s[24:25]
	v_cndmask_b32_e64 v6, v3, v41, s[26:27]
	v_max3_f32 v4, v4, v5, v6
	v_or_b32_e32 v5, 18, v2
	;; [unrolled: 8-line block ×6, first 2 shown]
	v_or_b32_e32 v2, 51, v2
	v_cmp_gt_i32_e32 vcc, s33, v5
	v_cmp_gt_i32_e64 s[6:7], s33, v2
	s_nop 0
	v_cndmask_b32_e32 v5, v3, v18, vcc
	v_cndmask_b32_e64 v2, v3, v19, s[6:7]
	v_max3_f32 v4, v4, v5, v2
	v_mbcnt_lo_u32_b32 v2, -1, 0
	v_mbcnt_hi_u32_b32 v5, -1, v2
	v_and_b32_e32 v2, 64, v5
	v_add_u32_e32 v6, 64, v2
	v_xor_b32_e32 v2, 32, v5
	v_cmp_lt_i32_e64 s[40:41], v2, v6
	s_nop 1
	v_cndmask_b32_e64 v2, v5, v2, s[40:41]
	v_lshlrev_b32_e32 v45, 2, v2
	ds_bpermute_b32 v7, v45, v4
	s_waitcnt vmcnt(2)
	v_mad_i64_i32 v[2:3], s[40:41], v44, s45, v[30:31]
	global_load_dwordx4 v[14:17], v[14:15], off
	s_nop 0
	global_load_dwordx4 v[10:13], v[2:3], off
	v_xor_b32_e32 v3, 16, v5
	v_cmp_lt_i32_e64 s[40:41], v3, v6
	s_waitcnt lgkmcnt(0)
	v_max_f32_e32 v2, v7, v7
	v_max_f32_e32 v2, v4, v2
	v_cndmask_b32_e64 v3, v5, v3, s[40:41]
	v_lshlrev_b32_e32 v48, 2, v3
	ds_bpermute_b32 v3, v48, v2
	s_waitcnt vmcnt(3)
	v_mad_i64_i32 v[46:47], s[40:41], v34, s45, v[30:31]
	s_waitcnt vmcnt(2)
	v_mad_i64_i32 v[30:31], s[40:41], v35, s45, v[30:31]
	s_waitcnt lgkmcnt(0)
	v_max_f32_e32 v3, v3, v3
	v_max_f32_e32 v44, v2, v3
	v_sub_f32_e32 v2, v20, v44
	v_mul_f32_e32 v2, 0x3fb8aa3b, v2
	v_exp_f32_e32 v20, v2
	v_sub_f32_e32 v2, v21, v44
	v_mul_f32_e32 v2, 0x3fb8aa3b, v2
	v_exp_f32_e32 v21, v2
	global_load_dwordx4 v[6:9], v[46:47], off
	global_load_dwordx4 v[2:5], v[30:31], off
	v_sub_f32_e32 v22, v22, v44
	v_mul_f32_e32 v22, 0x3fb8aa3b, v22
	v_sub_f32_e32 v23, v23, v44
	v_exp_f32_e32 v22, v22
	v_mul_f32_e32 v23, 0x3fb8aa3b, v23
	v_exp_f32_e32 v23, v23
	v_cndmask_b32_e64 v20, 0, v20, s[4:5]
	v_add_f32_e32 v30, 0, v20
	v_cndmask_b32_e64 v21, 0, v21, s[34:35]
	v_add_f32_e32 v30, v30, v21
	;; [unrolled: 2-line block ×3, first 2 shown]
	v_cndmask_b32_e64 v35, 0, v23, s[38:39]
	v_sub_f32_e32 v23, v40, v44
	v_sub_f32_e32 v30, v41, v44
	v_mul_f32_e32 v23, 0x3fb8aa3b, v23
	v_mul_f32_e32 v30, 0x3fb8aa3b, v30
	v_exp_f32_e32 v23, v23
	v_exp_f32_e32 v30, v30
	v_add_f32_e32 v31, v22, v35
	v_sub_f32_e32 v32, v32, v44
	v_cndmask_b32_e64 v22, 0, v23, s[24:25]
	v_cndmask_b32_e64 v23, 0, v30, s[26:27]
	v_sub_f32_e32 v30, v36, v44
	v_mul_f32_e32 v30, 0x3fb8aa3b, v30
	v_exp_f32_e32 v30, v30
	v_sub_f32_e32 v36, v37, v44
	v_add_f32_e32 v31, v31, v22
	v_mul_f32_e32 v36, 0x3fb8aa3b, v36
	v_exp_f32_e32 v37, v36
	v_add_f32_e32 v31, v31, v23
	v_cndmask_b32_e64 v36, 0, v30, s[20:21]
	v_add_f32_e32 v30, v31, v36
	v_sub_f32_e32 v31, v38, v44
	v_mul_f32_e32 v31, 0x3fb8aa3b, v31
	v_sub_f32_e32 v38, v39, v44
	v_exp_f32_e32 v31, v31
	v_mul_f32_e32 v38, 0x3fb8aa3b, v38
	v_exp_f32_e32 v38, v38
	v_mul_f32_e32 v32, 0x3fb8aa3b, v32
	v_sub_f32_e32 v33, v33, v44
	v_exp_f32_e32 v32, v32
	v_mul_f32_e32 v33, 0x3fb8aa3b, v33
	v_sub_f32_e32 v24, v24, v44
	v_cndmask_b32_e64 v37, 0, v37, s[22:23]
	v_exp_f32_e32 v33, v33
	v_mul_f32_e32 v24, 0x3fb8aa3b, v24
	v_sub_f32_e32 v25, v25, v44
	v_add_f32_e32 v39, v30, v37
	v_cndmask_b32_e64 v30, 0, v31, s[16:17]
	v_exp_f32_e32 v24, v24
	v_mul_f32_e32 v25, 0x3fb8aa3b, v25
	v_sub_f32_e32 v18, v18, v44
	v_add_f32_e32 v39, v39, v30
	v_cndmask_b32_e64 v31, 0, v38, s[18:19]
	v_exp_f32_e32 v25, v25
	v_mul_f32_e32 v18, 0x3fb8aa3b, v18
	v_sub_f32_e32 v19, v19, v44
	v_add_f32_e32 v38, v39, v31
	v_cndmask_b32_e64 v32, 0, v32, s[12:13]
	v_exp_f32_e32 v18, v18
	v_mul_f32_e32 v19, 0x3fb8aa3b, v19
	v_add_f32_e32 v38, v38, v32
	v_cndmask_b32_e64 v33, 0, v33, s[14:15]
	v_exp_f32_e32 v19, v19
	v_add_f32_e32 v38, v38, v33
	v_cndmask_b32_e64 v24, 0, v24, s[8:9]
	v_add_f32_e32 v38, v38, v24
	v_cndmask_b32_e64 v25, 0, v25, s[10:11]
	v_add_f32_e32 v38, v38, v25
	v_cndmask_b32_e32 v18, 0, v18, vcc
	v_add_f32_e32 v38, v38, v18
	v_cndmask_b32_e64 v19, 0, v19, s[6:7]
	v_add_f32_e32 v38, v38, v19
	ds_bpermute_b32 v39, v45, v38
	v_cmp_gt_u32_e64 s[6:7], 16, v43
	s_waitcnt lgkmcnt(0)
	s_barrier
	v_add_f32_e32 v38, v38, v39
	ds_bpermute_b32 v40, v48, v38
	v_lshlrev_b32_e32 v39, 2, v28
	s_and_saveexec_b64 s[4:5], s[6:7]
	s_cbranch_execz .LBB880_13
; %bb.12:
	s_waitcnt lgkmcnt(0)
	v_add_f32_e32 v38, v38, v40
	v_lshl_or_b32 v40, v29, 6, v39
	ds_write2st64_b32 v40, v44, v38 offset1:1
.LBB880_13:
	s_or_b64 exec, exec, s[4:5]
	s_load_dword s8, s[0:1], 0x94
	s_waitcnt lgkmcnt(0)
	s_barrier
	ds_read2_b32 v[40:41], v39 offset1:16
	ds_read2_b32 v[44:45], v39 offset0:32 offset1:48
	ds_read2_b32 v[46:47], v39 offset0:64 offset1:80
	s_mul_i32 s9, s29, 13
	s_waitcnt lgkmcnt(2)
	v_max3_f32 v38, v40, s44, v41
	s_waitcnt lgkmcnt(1)
	v_max3_f32 v38, v38, v44, v45
	v_sub_f32_e32 v40, v40, v38
	v_mul_f32_e32 v40, 0x3fb8aa3b, v40
	v_exp_f32_e32 v43, v40
	v_sub_f32_e32 v40, v41, v38
	v_mul_f32_e32 v40, 0x3fb8aa3b, v40
	v_exp_f32_e32 v48, v40
	;; [unrolled: 3-line block ×3, first 2 shown]
	ds_read2_b32 v[40:41], v39 offset0:96 offset1:112
	v_sub_f32_e32 v39, v45, v38
	v_mul_f32_e32 v39, 0x3fb8aa3b, v39
	v_exp_f32_e32 v45, v39
	s_waitcnt lgkmcnt(1)
	v_fma_f32 v39, v43, v46, 0
	v_fmac_f32_e32 v39, v48, v47
	s_waitcnt lgkmcnt(0)
	v_fmac_f32_e32 v39, v44, v40
	v_fmac_f32_e32 v39, v45, v41
	v_add_f32_e32 v40, 0x358637bd, v39
	v_div_scale_f32 v41, s[4:5], v40, v40, 1.0
	v_rcp_f32_e32 v46, v41
	s_barrier
	v_fma_f32 v47, -v41, v46, 1.0
	v_fmac_f32_e32 v46, v47, v46
	v_div_scale_f32 v47, vcc, 1.0, v40, 1.0
	v_mul_f32_e32 v49, v47, v46
	v_fma_f32 v50, -v41, v49, v47
	v_fmac_f32_e32 v49, v50, v46
	v_fma_f32 v41, -v41, v49, v47
	v_div_fmas_f32 v41, v41, v46, v49
	v_cmp_eq_u32_e32 vcc, 1, v29
	v_div_fixup_f32 v40, v41, v40, 1.0
	s_nop 0
	v_cndmask_b32_e32 v41, v43, v48, vcc
	v_cmp_eq_u32_e32 vcc, 2, v29
	s_nop 1
	v_cndmask_b32_e32 v41, v41, v44, vcc
	v_cmp_eq_u32_e32 vcc, 3, v29
	s_nop 1
	v_cndmask_b32_e32 v41, v41, v45, vcc
	v_mul_f32_e32 v40, v41, v40
	v_pk_mul_f32 v[34:35], v[40:41], v[34:35] op_sel_hi:[0,1]
	v_pk_mul_f32 v[20:21], v[40:41], v[20:21] op_sel_hi:[0,1]
	v_cvt_f16_f32_e32 v41, v34
	v_cvt_f16_f32_e32 v35, v35
	;; [unrolled: 1-line block ×4, first 2 shown]
	v_cmp_gt_u32_e32 vcc, 13, v0
	v_pack_b32_f16 v35, v41, v35
	v_lshlrev_b32_e32 v41, 3, v42
	v_pack_b32_f16 v34, v20, v21
	v_pk_mul_f32 v[20:21], v[40:41], v[36:37] op_sel_hi:[0,1]
	v_pk_mul_f32 v[22:23], v[40:41], v[22:23] op_sel_hi:[0,1]
	v_cvt_f16_f32_e32 v22, v22
	v_cvt_f16_f32_e32 v23, v23
	;; [unrolled: 1-line block ×4, first 2 shown]
	v_lshlrev_b32_e32 v20, 11, v29
	v_or3_b32 v20, v20, v27, v41
	v_pack_b32_f16 v22, v22, v23
	v_pack_b32_f16 v23, v36, v21
	ds_write2st64_b64 v20, v[34:35], v[22:23] offset1:1
	v_pk_mul_f32 v[22:23], v[40:41], v[32:33] op_sel_hi:[0,1]
	v_pk_mul_f32 v[30:31], v[40:41], v[30:31] op_sel_hi:[0,1]
	v_cvt_f16_f32_e32 v21, v30
	v_cvt_f16_f32_e32 v29, v31
	;; [unrolled: 1-line block ×4, first 2 shown]
	v_pk_mul_f32 v[18:19], v[40:41], v[18:19] op_sel_hi:[0,1]
	v_pk_mul_f32 v[22:23], v[40:41], v[24:25] op_sel_hi:[0,1]
	v_cvt_f16_f32_e32 v22, v22
	v_cvt_f16_f32_e32 v23, v23
	;; [unrolled: 1-line block ×4, first 2 shown]
	v_pack_b32_f16 v18, v21, v29
	v_pack_b32_f16 v19, v30, v31
	;; [unrolled: 1-line block ×4, first 2 shown]
	ds_write2st64_b64 v20, v[18:19], v[22:23] offset0:2 offset1:3
	s_and_saveexec_b64 s[4:5], vcc
	s_cbranch_execz .LBB880_15
; %bb.14:
	s_mov_b32 s49, 0
	v_mov_b32_e32 v29, 0
	v_lshl_add_u64 v[18:19], s[48:49], 0, v[28:29]
	v_mov_b32_e32 v21, s9
	v_mad_u64_u32 v[18:19], s[10:11], s2, v21, v[18:19]
	s_mul_i32 s3, s3, s9
	v_mov_b32_e32 v28, s28
	s_load_dwordx4 s[12:15], s[0:1], 0x58
	v_add_u32_e32 v21, s3, v19
	v_mad_u64_u32 v[18:19], s[10:11], v18, s8, v[28:29]
	v_mov_b32_e32 v22, v19
	v_mad_u64_u32 v[22:23], s[10:11], v21, s8, v[22:23]
	v_mov_b32_e32 v19, v22
	v_lshlrev_b64 v[18:19], 2, v[18:19]
	s_waitcnt lgkmcnt(0)
	v_lshl_add_u64 v[22:23], s[14:15], 0, v[18:19]
	v_lshl_add_u64 v[18:19], s[12:13], 0, v[18:19]
	global_store_dword v[22:23], v38, off
	global_store_dword v[18:19], v39, off
.LBB880_15:
	s_or_b64 exec, exec, s[4:5]
	s_waitcnt vmcnt(3)
	v_cvt_pk_f32_fp8_e32 v[18:19], v14
	v_cvt_pk_f32_fp8_sdwa v[22:23], v14 src0_sel:WORD_1
	v_cvt_pk_f32_fp8_e32 v[24:25], v15
	v_lshl_or_b32 v14, v42, 9, v27
	s_waitcnt lgkmcnt(0)
	s_barrier
	v_cvt_pkrtz_f16_f32 v18, v18, v19
	v_cvt_pkrtz_f16_f32 v19, v22, v23
	v_cvt_pk_f32_fp8_sdwa v[28:29], v15 src0_sel:WORD_1
	v_cvt_pkrtz_f16_f32 v36, v24, v25
	ds_read_b128 v[22:25], v14
	v_cvt_pk_f32_fp8_e32 v[38:39], v16
	v_cvt_pkrtz_f16_f32 v37, v28, v29
	ds_read_b128 v[28:31], v14 offset:16
	v_cvt_pk_f32_fp8_sdwa v[40:41], v16 src0_sel:WORD_1
	s_waitcnt lgkmcnt(1)
	v_mfma_f32_16x16x16_f16 v[32:35], v[18:19], v[22:23], 0
	v_cvt_pkrtz_f16_f32 v18, v38, v39
	v_cvt_pk_f32_fp8_e32 v[38:39], v17
	v_cvt_pkrtz_f16_f32 v19, v40, v41
	v_mfma_f32_16x16x16_f16 v[22:25], v[36:37], v[24:25], v[32:35]
	s_waitcnt vmcnt(2)
	v_cvt_pk_f32_fp8_sdwa v[36:37], v12 src0_sel:WORD_1
	s_load_dword s4, s[42:43], 0x0
	v_cmp_gt_u32_e32 vcc, 64, v0
	v_cvt_pk_f32_fp8_sdwa v[32:33], v17 src0_sel:WORD_1
	v_cvt_pkrtz_f16_f32 v34, v38, v39
	s_waitcnt lgkmcnt(0)
	v_mfma_f32_16x16x16_f16 v[16:19], v[18:19], v[28:29], v[22:25]
	v_cvt_pk_f32_fp8_e32 v[28:29], v11
	v_cvt_pkrtz_f16_f32 v35, v32, v33
	s_mov_b32 s3, 0
	v_cvt_pk_f32_fp8_e32 v[22:23], v10
	v_cvt_pk_f32_fp8_sdwa v[24:25], v10 src0_sel:WORD_1
	v_mfma_f32_16x16x16_f16 v[16:19], v[34:35], v[30:31], v[16:19]
	v_cvt_pkrtz_f16_f32 v10, v22, v23
	v_cvt_pk_f32_fp8_sdwa v[30:31], v11 src0_sel:WORD_1
	v_cvt_pkrtz_f16_f32 v11, v24, v25
	ds_read_b128 v[22:25], v14 offset:2048
	v_cvt_pkrtz_f16_f32 v32, v28, v29
	v_cvt_pkrtz_f16_f32 v33, v30, v31
	ds_read_b128 v[28:31], v14 offset:2064
	v_cvt_pk_f32_fp8_e32 v[34:35], v12
	s_waitcnt lgkmcnt(1)
	v_mfma_f32_16x16x16_f16 v[16:19], v[10:11], v[22:23], v[16:19]
	v_cvt_pkrtz_f16_f32 v11, v36, v37
	v_cvt_pk_f32_fp8_e32 v[22:23], v13
	v_cvt_pkrtz_f16_f32 v10, v34, v35
	v_mfma_f32_16x16x16_f16 v[16:19], v[32:33], v[24:25], v[16:19]
	v_cvt_pk_f32_fp8_sdwa v[24:25], v13 src0_sel:WORD_1
	v_cvt_pkrtz_f16_f32 v22, v22, v23
	s_waitcnt vmcnt(1)
	v_cvt_pk_f32_fp8_sdwa v[32:33], v8 src0_sel:WORD_1
	s_waitcnt lgkmcnt(0)
	v_mfma_f32_16x16x16_f16 v[10:13], v[10:11], v[28:29], v[16:19]
	v_cvt_pkrtz_f16_f32 v23, v24, v25
	v_cvt_pk_f32_fp8_sdwa v[24:25], v7 src0_sel:WORD_1
	v_mov_b32_e32 v27, 0
	v_cvt_pk_f32_fp8_e32 v[16:17], v6
	v_cvt_pk_f32_fp8_sdwa v[18:19], v6 src0_sel:WORD_1
	v_mfma_f32_16x16x16_f16 v[10:13], v[22:23], v[30:31], v[10:13]
	v_cvt_pk_f32_fp8_e32 v[22:23], v7
	v_cvt_pkrtz_f16_f32 v6, v16, v17
	v_cvt_pkrtz_f16_f32 v7, v18, v19
	ds_read_b128 v[16:19], v14 offset:4096
	v_cvt_pkrtz_f16_f32 v28, v22, v23
	v_cvt_pkrtz_f16_f32 v29, v24, v25
	ds_read_b128 v[22:25], v14 offset:4112
	v_cvt_pk_f32_fp8_e32 v[30:31], v8
	s_waitcnt lgkmcnt(1)
	v_mfma_f32_16x16x16_f16 v[10:13], v[6:7], v[16:17], v[10:13]
	v_cvt_pkrtz_f16_f32 v7, v32, v33
	v_cvt_pk_f32_fp8_e32 v[16:17], v9
	v_cvt_pkrtz_f16_f32 v6, v30, v31
	v_mfma_f32_16x16x16_f16 v[10:13], v[28:29], v[18:19], v[10:13]
	v_cvt_pk_f32_fp8_sdwa v[18:19], v9 src0_sel:WORD_1
	v_cvt_pkrtz_f16_f32 v16, v16, v17
	v_cvt_pkrtz_f16_f32 v17, v18, v19
	s_waitcnt lgkmcnt(0)
	v_mfma_f32_16x16x16_f16 v[6:9], v[6:7], v[22:23], v[10:13]
	s_waitcnt vmcnt(0)
	v_cvt_pk_f32_fp8_sdwa v[18:19], v3 src0_sel:WORD_1
	s_nop 0
	v_cvt_pkrtz_f16_f32 v23, v18, v19
	v_cvt_pk_f32_fp8_e32 v[10:11], v2
	v_cvt_pk_f32_fp8_sdwa v[12:13], v2 src0_sel:WORD_1
	v_mfma_f32_16x16x16_f16 v[6:9], v[16:17], v[24:25], v[6:9]
	v_cvt_pk_f32_fp8_e32 v[16:17], v3
	v_cvt_pkrtz_f16_f32 v2, v10, v11
	v_cvt_pkrtz_f16_f32 v3, v12, v13
	ds_read_b128 v[10:13], v14 offset:6144
	v_cvt_pkrtz_f16_f32 v22, v16, v17
	v_cvt_pk_f32_fp8_e32 v[18:19], v4
	v_cvt_pk_f32_fp8_sdwa v[24:25], v4 src0_sel:WORD_1
	s_waitcnt lgkmcnt(0)
	v_mfma_f32_16x16x16_f16 v[6:9], v[2:3], v[10:11], v[6:9]
	ds_read_b128 v[14:17], v14 offset:6160
	v_cvt_pkrtz_f16_f32 v2, v18, v19
	v_cvt_pkrtz_f16_f32 v3, v24, v25
	v_cvt_pk_f32_fp8_e32 v[10:11], v5
	v_mfma_f32_16x16x16_f16 v[6:9], v[22:23], v[12:13], v[6:9]
	v_cvt_pk_f32_fp8_sdwa v[12:13], v5 src0_sel:WORD_1
	s_waitcnt lgkmcnt(0)
	v_cvt_pkrtz_f16_f32 v10, v10, v11
	v_mfma_f32_16x16x16_f16 v[2:5], v[2:3], v[14:15], v[6:9]
	v_cvt_pkrtz_f16_f32 v11, v12, v13
	s_barrier
	s_nop 0
	v_mfma_f32_16x16x16_f16 v[2:5], v[10:11], v[16:17], v[2:5]
	s_nop 6
	v_pk_mul_f32 v[4:5], v[4:5], s[4:5] op_sel_hi:[1,0]
	v_pk_mul_f32 v[2:3], v[2:3], s[4:5] op_sel_hi:[1,0]
	v_cvt_f16_f32_e32 v4, v4
	v_cvt_f16_f32_e32 v2, v2
	;; [unrolled: 1-line block ×4, first 2 shown]
	s_and_b64 s[4:5], vcc, s[30:31]
	v_pack_b32_f16 v2, v2, v3
	v_pack_b32_f16 v3, v4, v5
	ds_write_b64 v20, v[2:3]
	s_waitcnt lgkmcnt(0)
	s_barrier
	s_and_saveexec_b64 s[10:11], s[4:5]
	s_cbranch_execz .LBB880_18
; %bb.16:
	s_load_dwordx2 s[4:5], s[0:1], 0x68
	s_lshl_b32 s0, s8, 6
	s_mul_i32 s1, s9, s2
	s_mul_hi_u32 s9, s1, s0
	s_mul_i32 s8, s1, s0
	v_lshlrev_b32_e32 v0, 10, v0
	s_lshl_b64 s[8:9], s[8:9], 1
	v_and_b32_e32 v0, 0x1800, v0
	v_lshlrev_b32_e32 v2, 5, v42
	v_and_b32_e32 v1, 16, v1
	s_waitcnt lgkmcnt(0)
	s_add_u32 s1, s4, s8
	v_or3_b32 v2, v0, v2, v1
	s_addc_u32 s4, s5, s9
	s_lshl_b32 s2, s28, 6
	ds_read_b128 v[4:7], v2 offset:256
	s_lshl_b64 s[2:3], s[2:3], 1
	ds_read_b128 v[8:11], v2 offset:128
	ds_read_b128 v[12:15], v2
	s_add_u32 s2, s1, s2
	s_addc_u32 s3, s4, s3
	v_add_u32_e32 v3, s48, v42
	v_lshl_add_u64 v[0:1], s[2:3], 0, v[26:27]
	v_mad_u64_u32 v[16:17], s[2:3], v3, s0, 0
	v_lshl_add_u64 v[16:17], v[16:17], 1, v[0:1]
	s_waitcnt lgkmcnt(0)
	global_store_dwordx4 v[16:17], v[12:15], off
	s_nop 1
	v_add_u32_e32 v12, 4, v3
	v_mad_u64_u32 v[12:13], s[2:3], v12, s0, 0
	v_lshl_add_u64 v[12:13], v[12:13], 1, v[0:1]
	v_add_u32_e32 v3, 8, v3
	global_store_dwordx4 v[12:13], v[8:11], off
	s_nop 1
	v_mad_u64_u32 v[8:9], s[2:3], v3, s0, 0
	v_lshl_add_u64 v[8:9], v[8:9], 1, v[0:1]
	global_store_dwordx4 v[8:9], v[4:7], off
	s_and_b64 exec, exec, s[6:7]
	s_cbranch_execz .LBB880_18
; %bb.17:
	ds_read_b128 v[2:5], v2 offset:384
	v_add3_u32 v6, s48, v42, 12
	v_mad_u64_u32 v[6:7], s[0:1], v6, s0, 0
	v_lshl_add_u64 v[0:1], v[6:7], 1, v[0:1]
	s_waitcnt lgkmcnt(0)
	global_store_dwordx4 v[0:1], v[2:5], off
.LBB880_18:
	s_endpgm
	.section	.rodata,"a",@progbits
	.p2align	6, 0x0
	.amdhsa_kernel _Z39paged_attention_ll4mi_QKV_mfma16_kernelIDF16_hLN4vllm18Fp8KVCacheDataTypeE1EhLi32ELi64ELi256ELb0ELi13EEvPKT_PKT0_S7_ifPKiS9_S9_iPKfiiiPfSC_PS2_PT2_iSB_SB_
		.amdhsa_group_segment_fixed_size 8192
		.amdhsa_private_segment_fixed_size 0
		.amdhsa_kernarg_size 400
		.amdhsa_user_sgpr_count 2
		.amdhsa_user_sgpr_dispatch_ptr 0
		.amdhsa_user_sgpr_queue_ptr 0
		.amdhsa_user_sgpr_kernarg_segment_ptr 1
		.amdhsa_user_sgpr_dispatch_id 0
		.amdhsa_user_sgpr_kernarg_preload_length 0
		.amdhsa_user_sgpr_kernarg_preload_offset 0
		.amdhsa_user_sgpr_private_segment_size 0
		.amdhsa_uses_dynamic_stack 0
		.amdhsa_enable_private_segment 0
		.amdhsa_system_sgpr_workgroup_id_x 1
		.amdhsa_system_sgpr_workgroup_id_y 1
		.amdhsa_system_sgpr_workgroup_id_z 1
		.amdhsa_system_sgpr_workgroup_info 0
		.amdhsa_system_vgpr_workitem_id 0
		.amdhsa_next_free_vgpr 54
		.amdhsa_next_free_sgpr 50
		.amdhsa_accum_offset 56
		.amdhsa_reserve_vcc 1
		.amdhsa_float_round_mode_32 0
		.amdhsa_float_round_mode_16_64 0
		.amdhsa_float_denorm_mode_32 3
		.amdhsa_float_denorm_mode_16_64 3
		.amdhsa_dx10_clamp 1
		.amdhsa_ieee_mode 1
		.amdhsa_fp16_overflow 0
		.amdhsa_tg_split 0
		.amdhsa_exception_fp_ieee_invalid_op 0
		.amdhsa_exception_fp_denorm_src 0
		.amdhsa_exception_fp_ieee_div_zero 0
		.amdhsa_exception_fp_ieee_overflow 0
		.amdhsa_exception_fp_ieee_underflow 0
		.amdhsa_exception_fp_ieee_inexact 0
		.amdhsa_exception_int_div_zero 0
	.end_amdhsa_kernel
	.section	.text._Z39paged_attention_ll4mi_QKV_mfma16_kernelIDF16_hLN4vllm18Fp8KVCacheDataTypeE1EhLi32ELi64ELi256ELb0ELi13EEvPKT_PKT0_S7_ifPKiS9_S9_iPKfiiiPfSC_PS2_PT2_iSB_SB_,"axG",@progbits,_Z39paged_attention_ll4mi_QKV_mfma16_kernelIDF16_hLN4vllm18Fp8KVCacheDataTypeE1EhLi32ELi64ELi256ELb0ELi13EEvPKT_PKT0_S7_ifPKiS9_S9_iPKfiiiPfSC_PS2_PT2_iSB_SB_,comdat
.Lfunc_end880:
	.size	_Z39paged_attention_ll4mi_QKV_mfma16_kernelIDF16_hLN4vllm18Fp8KVCacheDataTypeE1EhLi32ELi64ELi256ELb0ELi13EEvPKT_PKT0_S7_ifPKiS9_S9_iPKfiiiPfSC_PS2_PT2_iSB_SB_, .Lfunc_end880-_Z39paged_attention_ll4mi_QKV_mfma16_kernelIDF16_hLN4vllm18Fp8KVCacheDataTypeE1EhLi32ELi64ELi256ELb0ELi13EEvPKT_PKT0_S7_ifPKiS9_S9_iPKfiiiPfSC_PS2_PT2_iSB_SB_
                                        ; -- End function
	.section	.AMDGPU.csdata,"",@progbits
; Kernel info:
; codeLenInByte = 4744
; NumSgprs: 56
; NumVgprs: 54
; NumAgprs: 0
; TotalNumVgprs: 54
; ScratchSize: 0
; MemoryBound: 0
; FloatMode: 240
; IeeeMode: 1
; LDSByteSize: 8192 bytes/workgroup (compile time only)
; SGPRBlocks: 6
; VGPRBlocks: 6
; NumSGPRsForWavesPerEU: 56
; NumVGPRsForWavesPerEU: 54
; AccumOffset: 56
; Occupancy: 8
; WaveLimiterHint : 1
; COMPUTE_PGM_RSRC2:SCRATCH_EN: 0
; COMPUTE_PGM_RSRC2:USER_SGPR: 2
; COMPUTE_PGM_RSRC2:TRAP_HANDLER: 0
; COMPUTE_PGM_RSRC2:TGID_X_EN: 1
; COMPUTE_PGM_RSRC2:TGID_Y_EN: 1
; COMPUTE_PGM_RSRC2:TGID_Z_EN: 1
; COMPUTE_PGM_RSRC2:TIDIG_COMP_CNT: 0
; COMPUTE_PGM_RSRC3_GFX90A:ACCUM_OFFSET: 13
; COMPUTE_PGM_RSRC3_GFX90A:TG_SPLIT: 0
	.section	.text._Z39paged_attention_ll4mi_QKV_mfma16_kernelIDF16_hLN4vllm18Fp8KVCacheDataTypeE1EhLi32ELi64ELi256ELb0ELi14EEvPKT_PKT0_S7_ifPKiS9_S9_iPKfiiiPfSC_PS2_PT2_iSB_SB_,"axG",@progbits,_Z39paged_attention_ll4mi_QKV_mfma16_kernelIDF16_hLN4vllm18Fp8KVCacheDataTypeE1EhLi32ELi64ELi256ELb0ELi14EEvPKT_PKT0_S7_ifPKiS9_S9_iPKfiiiPfSC_PS2_PT2_iSB_SB_,comdat
	.protected	_Z39paged_attention_ll4mi_QKV_mfma16_kernelIDF16_hLN4vllm18Fp8KVCacheDataTypeE1EhLi32ELi64ELi256ELb0ELi14EEvPKT_PKT0_S7_ifPKiS9_S9_iPKfiiiPfSC_PS2_PT2_iSB_SB_ ; -- Begin function _Z39paged_attention_ll4mi_QKV_mfma16_kernelIDF16_hLN4vllm18Fp8KVCacheDataTypeE1EhLi32ELi64ELi256ELb0ELi14EEvPKT_PKT0_S7_ifPKiS9_S9_iPKfiiiPfSC_PS2_PT2_iSB_SB_
	.globl	_Z39paged_attention_ll4mi_QKV_mfma16_kernelIDF16_hLN4vllm18Fp8KVCacheDataTypeE1EhLi32ELi64ELi256ELb0ELi14EEvPKT_PKT0_S7_ifPKiS9_S9_iPKfiiiPfSC_PS2_PT2_iSB_SB_
	.p2align	8
	.type	_Z39paged_attention_ll4mi_QKV_mfma16_kernelIDF16_hLN4vllm18Fp8KVCacheDataTypeE1EhLi32ELi64ELi256ELb0ELi14EEvPKT_PKT0_S7_ifPKiS9_S9_iPKfiiiPfSC_PS2_PT2_iSB_SB_,@function
_Z39paged_attention_ll4mi_QKV_mfma16_kernelIDF16_hLN4vllm18Fp8KVCacheDataTypeE1EhLi32ELi64ELi256ELb0ELi14EEvPKT_PKT0_S7_ifPKiS9_S9_iPKfiiiPfSC_PS2_PT2_iSB_SB_: ; @_Z39paged_attention_ll4mi_QKV_mfma16_kernelIDF16_hLN4vllm18Fp8KVCacheDataTypeE1EhLi32ELi64ELi256ELb0ELi14EEvPKT_PKT0_S7_ifPKiS9_S9_iPKfiiiPfSC_PS2_PT2_iSB_SB_
; %bb.0:
	s_load_dwordx2 s[12:13], s[0:1], 0x30
	s_mov_b32 s28, s3
	s_mov_b64 s[6:7], 0
	s_waitcnt lgkmcnt(0)
	s_cmp_lg_u64 s[12:13], 0
	s_cselect_b64 s[14:15], -1, 0
	s_and_b64 vcc, exec, s[14:15]
	s_cbranch_vccz .LBB881_7
; %bb.1:
	s_add_i32 s8, s2, 1
	s_mov_b32 s9, 0
	s_lshl_b64 s[10:11], s[8:9], 2
	s_add_u32 s10, s12, s10
	s_mov_b32 s3, s9
	s_addc_u32 s11, s13, s11
	s_lshl_b64 s[8:9], s[2:3], 2
	s_add_u32 s8, s12, s8
	s_addc_u32 s9, s13, s9
	s_load_dword s5, s[10:11], 0x0
	s_load_dword s16, s[8:9], 0x0
	s_waitcnt lgkmcnt(0)
	s_sub_i32 s5, s5, s16
	s_cmp_eq_u32 s5, 1
	s_cselect_b64 s[8:9], -1, 0
	s_andn2_b64 vcc, exec, s[6:7]
	s_cbranch_vccnz .LBB881_3
.LBB881_2:
	s_mov_b32 s3, 0
	s_mov_b64 s[8:9], -1
.LBB881_3:
	s_andn2_b64 vcc, exec, s[8:9]
	s_cbranch_vccnz .LBB881_18
; %bb.4:
	s_load_dwordx2 s[6:7], s[0:1], 0x28
	s_lshl_b64 s[16:17], s[2:3], 2
	s_waitcnt lgkmcnt(0)
	s_add_u32 s6, s6, s16
	s_addc_u32 s7, s7, s17
	s_load_dword s33, s[6:7], 0x0
	s_lshl_b32 s5, s28, 8
	s_waitcnt lgkmcnt(0)
	s_cmp_ge_i32 s5, s33
	s_cbranch_scc1 .LBB881_18
; %bb.5:
	s_load_dwordx2 s[6:7], s[0:1], 0x20
	s_load_dword s8, s[0:1], 0x38
	s_add_i32 s9, s33, 31
	s_ashr_i32 s10, s9, 31
	v_and_b32_e32 v1, 0xcf, v0
	s_lshr_b32 s10, s10, 27
	v_add_u32_e32 v1, s5, v1
	s_add_i32 s9, s9, s10
	v_ashrrev_i32_e32 v2, 31, v1
	s_ashr_i32 s18, s9, 5
	v_lshrrev_b32_e32 v4, 27, v2
	s_add_i32 s18, s18, -1
	s_waitcnt lgkmcnt(0)
	s_mul_i32 s8, s2, s8
	s_mov_b32 s9, 0
	v_add_u32_e32 v2, v1, v4
	s_lshl_b64 s[8:9], s[8:9], 2
	v_ashrrev_i32_e32 v2, 5, v2
	v_mov_b32_e32 v5, s18
	v_cmp_gt_i32_e32 vcc, s33, v1
	s_add_u32 s6, s6, s8
	s_addc_u32 s7, s7, s9
	v_cndmask_b32_e32 v2, v5, v2, vcc
	v_ashrrev_i32_e32 v3, 31, v2
	v_lshl_add_u64 v[6:7], v[2:3], 2, s[6:7]
	v_or_b32_e32 v2, 16, v1
	v_add_u32_e32 v3, v2, v4
	v_ashrrev_i32_e32 v3, 5, v3
	v_cmp_gt_i32_e32 vcc, s33, v2
	s_load_dwordx4 s[8:11], s[0:1], 0x8
	s_nop 0
	v_cndmask_b32_e32 v2, v5, v3, vcc
	v_ashrrev_i32_e32 v3, 31, v2
	v_lshl_add_u64 v[8:9], v[2:3], 2, s[6:7]
	v_or_b32_e32 v2, 32, v1
	v_add_u32_e32 v3, v2, v4
	v_ashrrev_i32_e32 v3, 5, v3
	v_cmp_gt_i32_e32 vcc, s33, v2
	v_or_b32_e32 v1, 48, v1
	s_nop 0
	v_cndmask_b32_e32 v2, v5, v3, vcc
	v_ashrrev_i32_e32 v3, 31, v2
	v_lshl_add_u64 v[10:11], v[2:3], 2, s[6:7]
	v_add_u32_e32 v2, v1, v4
	v_ashrrev_i32_e32 v2, 5, v2
	v_cmp_gt_i32_e32 vcc, s33, v1
	s_nop 1
	v_cndmask_b32_e32 v2, v5, v2, vcc
	v_ashrrev_i32_e32 v3, 31, v2
	v_lshl_add_u64 v[14:15], v[2:3], 2, s[6:7]
	global_load_dword v2, v[6:7], off
	global_load_dword v5, v[8:9], off
	;; [unrolled: 1-line block ×4, first 2 shown]
	s_andn2_b64 vcc, exec, s[14:15]
	s_cbranch_vccnz .LBB881_8
; %bb.6:
	s_add_u32 s12, s12, s16
	s_addc_u32 s13, s13, s17
	s_load_dword s14, s[12:13], 0x0
	s_branch .LBB881_9
.LBB881_7:
	s_mov_b64 s[8:9], 0
	s_branch .LBB881_2
.LBB881_8:
	s_mov_b32 s14, s2
.LBB881_9:
	s_load_dwordx4 s[44:47], s[0:1], 0x48
	v_lshrrev_b32_e32 v29, 6, v0
	v_bfe_u32 v42, v0, 4, 2
	v_lshl_or_b32 v3, v29, 2, v42
	v_and_b32_e32 v28, 15, v0
	v_lshlrev_b32_e32 v1, 3, v28
	v_cmp_gt_u32_e32 vcc, 14, v3
	v_cmp_gt_u32_e64 s[30:31], 8, v28
	v_and_b32_e32 v43, 63, v0
	s_mul_i32 s48, s4, 14
	s_and_b64 s[16:17], s[30:31], vcc
	v_lshlrev_b32_e32 v26, 1, v1
	v_lshlrev_b32_e32 v1, 4, v0
	s_and_saveexec_b64 s[12:13], s[16:17]
	s_cbranch_execz .LBB881_11
; %bb.10:
	s_load_dwordx2 s[16:17], s[0:1], 0x0
	s_waitcnt lgkmcnt(0)
	s_ashr_i32 s15, s44, 31
	s_mul_hi_u32 s19, s14, s44
	s_mul_i32 s15, s14, s15
	s_add_i32 s15, s19, s15
	s_mul_i32 s14, s14, s44
	s_lshl_b64 s[14:15], s[14:15], 1
	s_add_u32 s14, s16, s14
	v_add_lshl_u32 v6, v3, s48, 6
	s_addc_u32 s15, s17, s15
	v_ashrrev_i32_e32 v7, 31, v6
	v_lshl_add_u64 v[6:7], v[6:7], 1, s[14:15]
	v_mov_b32_e32 v27, 0
	v_lshl_add_u64 v[6:7], v[6:7], 0, v[26:27]
	global_load_dwordx4 v[6:9], v[6:7], off
	v_lshlrev_b32_e32 v11, 8, v28
	v_lshlrev_b32_e32 v3, 5, v3
	v_and_b32_e32 v10, 16, v1
	v_and_b32_e32 v11, 0xe00, v11
	v_or3_b32 v3, v11, v3, v10
	s_waitcnt vmcnt(0)
	ds_write_b128 v3, v[6:9]
.LBB881_11:
	s_or_b64 exec, exec, s[12:13]
	s_waitcnt lgkmcnt(0)
	s_mul_i32 s4, s4, s46
	s_add_u32 s8, s8, s4
	s_addc_u32 s9, s9, 0
	v_mov_b32_e32 v31, 0
	v_mov_b64_e32 v[10:11], s[8:9]
	v_and_b32_e32 v8, 48, v0
	s_waitcnt vmcnt(3)
	v_mad_i64_i32 v[6:7], s[8:9], v2, s45, v[10:11]
	v_lshlrev_b32_e32 v2, 4, v28
	v_mov_b32_e32 v3, v31
	v_lshlrev_b32_e32 v30, 5, v8
	v_lshl_add_u64 v[6:7], v[6:7], 0, v[2:3]
	v_lshl_add_u64 v[6:7], v[6:7], 0, v[30:31]
	s_load_dword s29, s[0:1], 0x98
	s_load_dwordx4 s[40:43], s[0:1], 0x80
	s_waitcnt lgkmcnt(0)
	s_barrier
	global_load_dwordx4 v[14:17], v[6:7], off
	s_waitcnt vmcnt(3)
	v_mad_i64_i32 v[6:7], s[8:9], v5, s45, v[10:11]
	v_or_b32_e32 v32, 0x100, v2
	v_mov_b32_e32 v33, v31
	v_lshl_add_u64 v[6:7], v[6:7], 0, v[32:33]
	v_lshl_add_u64 v[6:7], v[6:7], 0, v[30:31]
	global_load_dwordx4 v[18:21], v[6:7], off
	s_ashr_i32 s8, s5, 31
	v_or_b32_e32 v5, s5, v8
	s_lshr_b32 s12, s8, 27
	v_add_u32_e32 v8, s12, v5
	v_cmp_gt_i32_e32 vcc, s33, v5
	v_or_b32_e32 v34, 64, v5
	v_or_b32_e32 v35, 0x80, v5
	;; [unrolled: 1-line block ×3, first 2 shown]
	s_waitcnt vmcnt(3)
	v_mad_i64_i32 v[4:5], s[8:9], v4, s45, v[10:11]
	v_lshl_add_u64 v[2:3], v[4:5], 0, v[2:3]
	v_lshl_add_u64 v[2:3], v[2:3], 0, v[30:31]
	global_load_dwordx4 v[22:25], v[2:3], off
	v_ashrrev_i32_e32 v8, 5, v8
	v_mov_b32_e32 v13, s18
	v_cndmask_b32_e32 v8, v13, v8, vcc
	v_ashrrev_i32_e32 v9, 31, v8
	v_add_u32_e32 v6, -14, v28
	v_cmp_gt_u32_e32 vcc, 14, v28
	s_waitcnt vmcnt(3)
	v_mad_i64_i32 v[10:11], s[8:9], v12, s45, v[10:11]
	v_add_u32_e32 v12, s12, v34
	v_lshl_add_u64 v[8:9], v[8:9], 2, s[6:7]
	v_cndmask_b32_e32 v6, v6, v28, vcc
	v_add_u32_e32 v37, s12, v35
	v_ashrrev_i32_e32 v12, 5, v12
	v_cmp_gt_i32_e32 vcc, s33, v34
	global_load_dword v45, v[8:9], off
	v_lshlrev_b32_e32 v6, 5, v6
	v_add_u32_e32 v38, s12, v36
	v_lshl_add_u64 v[10:11], v[10:11], 0, v[32:33]
	v_ashrrev_i32_e32 v33, 5, v37
	v_cndmask_b32_e32 v32, v13, v12, vcc
	v_cmp_gt_i32_e32 vcc, s33, v35
	v_lshl_add_u32 v2, v42, 9, v6
	v_ashrrev_i32_e32 v37, 5, v38
	v_lshl_add_u64 v[10:11], v[10:11], 0, v[30:31]
	v_cndmask_b32_e32 v34, v13, v33, vcc
	v_cmp_gt_i32_e32 vcc, s33, v36
	ds_read_b128 v[6:9], v2
	ds_read_b128 v[2:5], v2 offset:16
	v_cndmask_b32_e32 v36, v13, v37, vcc
	global_load_dwordx4 v[10:13], v[10:11], off
	v_ashrrev_i32_e32 v33, 31, v32
	v_ashrrev_i32_e32 v37, 31, v36
	v_ashrrev_i32_e32 v35, 31, v34
	v_lshl_add_u64 v[32:33], v[32:33], 2, s[6:7]
	v_lshl_add_u64 v[36:37], v[36:37], 2, s[6:7]
	;; [unrolled: 1-line block ×3, first 2 shown]
	global_load_dword v44, v[32:33], off
	global_load_dword v34, v[40:41], off
	;; [unrolled: 1-line block ×3, first 2 shown]
	s_add_u32 s8, s10, s4
	v_lshlrev_b32_e32 v27, 5, v28
	s_addc_u32 s9, s11, 0
	v_and_b32_e32 v30, 16, v0
	v_lshl_add_u64 v[38:39], s[8:9], 0, v[30:31]
	v_lshl_or_b32 v30, v29, 9, v27
	v_lshl_add_u64 v[30:31], v[38:39], 0, v[30:31]
	s_load_dword s13, s[0:1], 0x1c
	s_load_dword s4, s[40:41], 0x0
	s_mov_b32 s44, 0xff7fffff
	s_waitcnt vmcnt(7)
	v_cvt_pk_f32_fp8_e32 v[32:33], v14
	v_cvt_pk_f32_fp8_sdwa v[36:37], v14 src0_sel:WORD_1
	v_cvt_pk_f32_fp8_e32 v[38:39], v15
	v_cvt_pk_f32_fp8_sdwa v[14:15], v15 src0_sel:WORD_1
	v_cvt_pkrtz_f16_f32 v32, v32, v33
	v_cvt_pkrtz_f16_f32 v33, v36, v37
	v_cvt_pk_f32_fp8_e32 v[40:41], v16
	v_cvt_pk_f32_fp8_sdwa v[46:47], v16 src0_sel:WORD_1
	v_cvt_pkrtz_f16_f32 v48, v38, v39
	v_cvt_pkrtz_f16_f32 v49, v14, v15
	s_waitcnt lgkmcnt(0)
	v_mfma_f32_16x16x16_f16 v[36:39], v[32:33], v[6:7], 0
	v_cvt_pk_f32_fp8_e32 v[32:33], v17
	v_cvt_pkrtz_f16_f32 v40, v40, v41
	v_cvt_pkrtz_f16_f32 v41, v46, v47
	v_cvt_pk_f32_fp8_sdwa v[16:17], v17 src0_sel:WORD_1
	v_mfma_f32_16x16x16_f16 v[36:39], v[48:49], v[8:9], v[36:39]
	v_cvt_pkrtz_f16_f32 v32, v32, v33
	s_waitcnt vmcnt(6)
	v_cvt_pk_f32_fp8_sdwa v[46:47], v20 src0_sel:WORD_1
	v_cvt_pkrtz_f16_f32 v33, v16, v17
	v_mfma_f32_16x16x16_f16 v[36:39], v[40:41], v[2:3], v[36:39]
	v_cvt_pk_f32_fp8_e32 v[16:17], v18
	v_cvt_pk_f32_fp8_sdwa v[40:41], v18 src0_sel:WORD_1
	s_waitcnt vmcnt(5)
	v_cvt_pk_f32_fp8_e32 v[52:53], v25
	v_mfma_f32_16x16x16_f16 v[36:39], v[32:33], v[4:5], v[36:39]
	v_cvt_pk_f32_fp8_e32 v[32:33], v19
	v_cvt_pkrtz_f16_f32 v16, v16, v17
	v_cvt_pkrtz_f16_f32 v17, v40, v41
	v_cvt_pk_f32_fp8_sdwa v[18:19], v19 src0_sel:WORD_1
	v_cvt_pkrtz_f16_f32 v32, v32, v33
	v_cvt_pk_f32_fp8_e32 v[40:41], v20
	v_cvt_pkrtz_f16_f32 v33, v18, v19
	v_mfma_f32_16x16x16_f16 v[16:19], v[16:17], v[6:7], 0
	v_cvt_pkrtz_f16_f32 v40, v40, v41
	v_cvt_pkrtz_f16_f32 v41, v46, v47
	v_cvt_pk_f32_fp8_e32 v[46:47], v21
	v_cvt_pk_f32_fp8_sdwa v[20:21], v21 src0_sel:WORD_1
	v_mfma_f32_16x16x16_f16 v[16:19], v[32:33], v[8:9], v[16:19]
	s_waitcnt vmcnt(4)
	v_mad_i64_i32 v[14:15], s[6:7], v45, s45, v[30:31]
	v_cvt_pkrtz_f16_f32 v32, v46, v47
	v_cvt_pkrtz_f16_f32 v33, v20, v21
	v_mfma_f32_16x16x16_f16 v[16:19], v[40:41], v[2:3], v[16:19]
	v_cvt_pk_f32_fp8_e32 v[20:21], v22
	v_cvt_pk_f32_fp8_sdwa v[40:41], v22 src0_sel:WORD_1
	v_cvt_pk_f32_fp8_sdwa v[46:47], v24 src0_sel:WORD_1
	v_mfma_f32_16x16x16_f16 v[16:19], v[32:33], v[4:5], v[16:19]
	v_cvt_pk_f32_fp8_e32 v[32:33], v23
	v_cvt_pkrtz_f16_f32 v20, v20, v21
	v_cvt_pkrtz_f16_f32 v21, v40, v41
	v_cvt_pk_f32_fp8_sdwa v[22:23], v23 src0_sel:WORD_1
	v_cvt_pkrtz_f16_f32 v32, v32, v33
	v_cvt_pk_f32_fp8_e32 v[40:41], v24
	v_cvt_pk_f32_fp8_sdwa v[24:25], v25 src0_sel:WORD_1
	v_cvt_pkrtz_f16_f32 v33, v22, v23
	v_mfma_f32_16x16x16_f16 v[20:23], v[20:21], v[6:7], 0
	v_cvt_pkrtz_f16_f32 v40, v40, v41
	v_cvt_pkrtz_f16_f32 v41, v46, v47
	v_mov_b32_e32 v45, s13
	v_mfma_f32_16x16x16_f16 v[46:49], v[32:33], v[8:9], v[20:23]
	v_mul_f32_e32 v50, s4, v45
	v_cvt_pkrtz_f16_f32 v32, v52, v53
	v_cvt_pkrtz_f16_f32 v33, v24, v25
	v_pk_mul_f32 v[22:23], v[50:51], v[38:39] op_sel_hi:[0,1]
	v_mfma_f32_16x16x16_f16 v[38:41], v[40:41], v[2:3], v[46:49]
	v_pk_mul_f32 v[20:21], v[50:51], v[36:37] op_sel_hi:[0,1]
	s_waitcnt vmcnt(3)
	v_cvt_pk_f32_fp8_e32 v[24:25], v10
	v_cvt_pk_f32_fp8_sdwa v[36:37], v10 src0_sel:WORD_1
	v_mfma_f32_16x16x16_f16 v[46:49], v[32:33], v[4:5], v[38:41]
	v_cvt_pk_f32_fp8_e32 v[32:33], v11
	v_cvt_pkrtz_f16_f32 v24, v24, v25
	v_cvt_pkrtz_f16_f32 v25, v36, v37
	v_cvt_pk_f32_fp8_sdwa v[10:11], v11 src0_sel:WORD_1
	v_cvt_pkrtz_f16_f32 v32, v32, v33
	v_cvt_pk_f32_fp8_e32 v[40:41], v12
	v_cvt_pk_f32_fp8_sdwa v[52:53], v12 src0_sel:WORD_1
	v_cvt_pkrtz_f16_f32 v33, v10, v11
	v_mfma_f32_16x16x16_f16 v[36:39], v[24:25], v[6:7], 0
	v_cvt_pkrtz_f16_f32 v10, v40, v41
	v_cvt_pkrtz_f16_f32 v11, v52, v53
	v_cvt_pk_f32_fp8_e32 v[24:25], v13
	v_cvt_pk_f32_fp8_sdwa v[12:13], v13 src0_sel:WORD_1
	v_mfma_f32_16x16x16_f16 v[6:9], v[32:33], v[8:9], v[36:39]
	v_pk_mul_f32 v[40:41], v[50:51], v[16:17] op_sel_hi:[0,1]
	v_pk_mul_f32 v[32:33], v[50:51], v[48:49] op_sel_hi:[0,1]
	s_nop 0
	v_pk_mul_f32 v[36:37], v[50:51], v[18:19] op_sel_hi:[0,1]
	v_cvt_pkrtz_f16_f32 v18, v24, v25
	v_cvt_pkrtz_f16_f32 v19, v12, v13
	v_mfma_f32_16x16x16_f16 v[6:9], v[10:11], v[2:3], v[6:9]
	v_pk_mul_f32 v[38:39], v[50:51], v[46:47] op_sel_hi:[0,1]
	v_mfma_f32_16x16x16_f16 v[2:5], v[18:19], v[4:5], v[6:9]
	s_nop 6
	v_pk_mul_f32 v[24:25], v[50:51], v[2:3] op_sel_hi:[0,1]
	v_and_b32_e32 v2, 0xc0, v0
	v_add_u32_e32 v2, s5, v2
	v_lshl_or_b32 v2, v42, 2, v2
	v_pk_mul_f32 v[18:19], v[50:51], v[4:5] op_sel_hi:[0,1]
	v_or_b32_e32 v5, 1, v2
	v_mov_b32_e32 v3, 0xff7fffff
	v_cmp_gt_i32_e64 s[4:5], s33, v2
	v_cmp_gt_i32_e64 s[34:35], s33, v5
	v_or_b32_e32 v6, 3, v2
	v_cndmask_b32_e64 v4, v3, v20, s[4:5]
	v_cndmask_b32_e64 v5, v3, v21, s[34:35]
	v_max3_f32 v4, v4, s44, v5
	v_or_b32_e32 v5, 2, v2
	v_cmp_gt_i32_e64 s[36:37], s33, v5
	v_cmp_gt_i32_e64 s[38:39], s33, v6
	s_nop 0
	v_cndmask_b32_e64 v5, v3, v22, s[36:37]
	v_cndmask_b32_e64 v6, v3, v23, s[38:39]
	v_max3_f32 v4, v4, v5, v6
	v_or_b32_e32 v5, 16, v2
	v_or_b32_e32 v6, 17, v2
	v_cmp_gt_i32_e64 s[24:25], s33, v5
	v_cmp_gt_i32_e64 s[26:27], s33, v6
	s_nop 0
	v_cndmask_b32_e64 v5, v3, v40, s[24:25]
	v_cndmask_b32_e64 v6, v3, v41, s[26:27]
	v_max3_f32 v4, v4, v5, v6
	v_or_b32_e32 v5, 18, v2
	;; [unrolled: 8-line block ×6, first 2 shown]
	v_or_b32_e32 v2, 51, v2
	v_cmp_gt_i32_e32 vcc, s33, v5
	v_cmp_gt_i32_e64 s[6:7], s33, v2
	s_nop 0
	v_cndmask_b32_e32 v5, v3, v18, vcc
	v_cndmask_b32_e64 v2, v3, v19, s[6:7]
	v_max3_f32 v4, v4, v5, v2
	v_mbcnt_lo_u32_b32 v2, -1, 0
	v_mbcnt_hi_u32_b32 v5, -1, v2
	v_and_b32_e32 v2, 64, v5
	v_add_u32_e32 v6, 64, v2
	v_xor_b32_e32 v2, 32, v5
	v_cmp_lt_i32_e64 s[40:41], v2, v6
	s_nop 1
	v_cndmask_b32_e64 v2, v5, v2, s[40:41]
	v_lshlrev_b32_e32 v45, 2, v2
	ds_bpermute_b32 v7, v45, v4
	s_waitcnt vmcnt(2)
	v_mad_i64_i32 v[2:3], s[40:41], v44, s45, v[30:31]
	global_load_dwordx4 v[14:17], v[14:15], off
	s_nop 0
	global_load_dwordx4 v[10:13], v[2:3], off
	v_xor_b32_e32 v3, 16, v5
	v_cmp_lt_i32_e64 s[40:41], v3, v6
	s_waitcnt lgkmcnt(0)
	v_max_f32_e32 v2, v7, v7
	v_max_f32_e32 v2, v4, v2
	v_cndmask_b32_e64 v3, v5, v3, s[40:41]
	v_lshlrev_b32_e32 v48, 2, v3
	ds_bpermute_b32 v3, v48, v2
	s_waitcnt vmcnt(3)
	v_mad_i64_i32 v[46:47], s[40:41], v34, s45, v[30:31]
	s_waitcnt vmcnt(2)
	v_mad_i64_i32 v[30:31], s[40:41], v35, s45, v[30:31]
	s_waitcnt lgkmcnt(0)
	v_max_f32_e32 v3, v3, v3
	v_max_f32_e32 v44, v2, v3
	v_sub_f32_e32 v2, v20, v44
	v_mul_f32_e32 v2, 0x3fb8aa3b, v2
	v_exp_f32_e32 v20, v2
	v_sub_f32_e32 v2, v21, v44
	v_mul_f32_e32 v2, 0x3fb8aa3b, v2
	v_exp_f32_e32 v21, v2
	global_load_dwordx4 v[6:9], v[46:47], off
	global_load_dwordx4 v[2:5], v[30:31], off
	v_sub_f32_e32 v22, v22, v44
	v_mul_f32_e32 v22, 0x3fb8aa3b, v22
	v_sub_f32_e32 v23, v23, v44
	v_exp_f32_e32 v22, v22
	v_mul_f32_e32 v23, 0x3fb8aa3b, v23
	v_exp_f32_e32 v23, v23
	v_cndmask_b32_e64 v20, 0, v20, s[4:5]
	v_add_f32_e32 v30, 0, v20
	v_cndmask_b32_e64 v21, 0, v21, s[34:35]
	v_add_f32_e32 v30, v30, v21
	;; [unrolled: 2-line block ×3, first 2 shown]
	v_cndmask_b32_e64 v35, 0, v23, s[38:39]
	v_sub_f32_e32 v23, v40, v44
	v_sub_f32_e32 v30, v41, v44
	v_mul_f32_e32 v23, 0x3fb8aa3b, v23
	v_mul_f32_e32 v30, 0x3fb8aa3b, v30
	v_exp_f32_e32 v23, v23
	v_exp_f32_e32 v30, v30
	v_add_f32_e32 v31, v22, v35
	v_sub_f32_e32 v32, v32, v44
	v_cndmask_b32_e64 v22, 0, v23, s[24:25]
	v_cndmask_b32_e64 v23, 0, v30, s[26:27]
	v_sub_f32_e32 v30, v36, v44
	v_mul_f32_e32 v30, 0x3fb8aa3b, v30
	v_exp_f32_e32 v30, v30
	v_sub_f32_e32 v36, v37, v44
	v_add_f32_e32 v31, v31, v22
	v_mul_f32_e32 v36, 0x3fb8aa3b, v36
	v_exp_f32_e32 v37, v36
	v_add_f32_e32 v31, v31, v23
	v_cndmask_b32_e64 v36, 0, v30, s[20:21]
	v_add_f32_e32 v30, v31, v36
	v_sub_f32_e32 v31, v38, v44
	v_mul_f32_e32 v31, 0x3fb8aa3b, v31
	v_sub_f32_e32 v38, v39, v44
	v_exp_f32_e32 v31, v31
	v_mul_f32_e32 v38, 0x3fb8aa3b, v38
	v_exp_f32_e32 v38, v38
	v_mul_f32_e32 v32, 0x3fb8aa3b, v32
	v_sub_f32_e32 v33, v33, v44
	v_exp_f32_e32 v32, v32
	v_mul_f32_e32 v33, 0x3fb8aa3b, v33
	v_sub_f32_e32 v24, v24, v44
	v_cndmask_b32_e64 v37, 0, v37, s[22:23]
	v_exp_f32_e32 v33, v33
	v_mul_f32_e32 v24, 0x3fb8aa3b, v24
	v_sub_f32_e32 v25, v25, v44
	v_add_f32_e32 v39, v30, v37
	v_cndmask_b32_e64 v30, 0, v31, s[16:17]
	v_exp_f32_e32 v24, v24
	v_mul_f32_e32 v25, 0x3fb8aa3b, v25
	v_sub_f32_e32 v18, v18, v44
	v_add_f32_e32 v39, v39, v30
	;; [unrolled: 5-line block ×3, first 2 shown]
	v_cndmask_b32_e64 v32, 0, v32, s[12:13]
	v_exp_f32_e32 v18, v18
	v_mul_f32_e32 v19, 0x3fb8aa3b, v19
	v_add_f32_e32 v38, v38, v32
	v_cndmask_b32_e64 v33, 0, v33, s[14:15]
	v_exp_f32_e32 v19, v19
	v_add_f32_e32 v38, v38, v33
	v_cndmask_b32_e64 v24, 0, v24, s[8:9]
	v_add_f32_e32 v38, v38, v24
	v_cndmask_b32_e64 v25, 0, v25, s[10:11]
	v_add_f32_e32 v38, v38, v25
	v_cndmask_b32_e32 v18, 0, v18, vcc
	v_add_f32_e32 v38, v38, v18
	v_cndmask_b32_e64 v19, 0, v19, s[6:7]
	v_add_f32_e32 v38, v38, v19
	ds_bpermute_b32 v39, v45, v38
	v_cmp_gt_u32_e32 vcc, 16, v43
	s_waitcnt lgkmcnt(0)
	s_barrier
	v_add_f32_e32 v38, v38, v39
	ds_bpermute_b32 v40, v48, v38
	v_lshlrev_b32_e32 v39, 2, v28
	s_and_saveexec_b64 s[4:5], vcc
	s_cbranch_execz .LBB881_13
; %bb.12:
	s_waitcnt lgkmcnt(0)
	v_add_f32_e32 v38, v38, v40
	v_lshl_or_b32 v40, v29, 6, v39
	ds_write2st64_b32 v40, v44, v38 offset1:1
.LBB881_13:
	s_or_b64 exec, exec, s[4:5]
	s_load_dword s6, s[0:1], 0x94
	s_waitcnt lgkmcnt(0)
	s_barrier
	ds_read2_b32 v[40:41], v39 offset1:16
	ds_read2_b32 v[44:45], v39 offset0:32 offset1:48
	ds_read2_b32 v[46:47], v39 offset0:64 offset1:80
	s_mul_i32 s7, s29, 14
	s_waitcnt lgkmcnt(2)
	v_max3_f32 v38, v40, s44, v41
	s_waitcnt lgkmcnt(1)
	v_max3_f32 v38, v38, v44, v45
	v_sub_f32_e32 v40, v40, v38
	v_mul_f32_e32 v40, 0x3fb8aa3b, v40
	v_exp_f32_e32 v43, v40
	v_sub_f32_e32 v40, v41, v38
	v_mul_f32_e32 v40, 0x3fb8aa3b, v40
	v_exp_f32_e32 v48, v40
	;; [unrolled: 3-line block ×3, first 2 shown]
	ds_read2_b32 v[40:41], v39 offset0:96 offset1:112
	v_sub_f32_e32 v39, v45, v38
	v_mul_f32_e32 v39, 0x3fb8aa3b, v39
	v_exp_f32_e32 v45, v39
	s_waitcnt lgkmcnt(1)
	v_fma_f32 v39, v43, v46, 0
	v_fmac_f32_e32 v39, v48, v47
	s_waitcnt lgkmcnt(0)
	v_fmac_f32_e32 v39, v44, v40
	v_fmac_f32_e32 v39, v45, v41
	v_add_f32_e32 v40, 0x358637bd, v39
	v_div_scale_f32 v41, s[4:5], v40, v40, 1.0
	v_rcp_f32_e32 v46, v41
	s_barrier
	v_fma_f32 v47, -v41, v46, 1.0
	v_fmac_f32_e32 v46, v47, v46
	v_div_scale_f32 v47, vcc, 1.0, v40, 1.0
	v_mul_f32_e32 v49, v47, v46
	v_fma_f32 v50, -v41, v49, v47
	v_fmac_f32_e32 v49, v50, v46
	v_fma_f32 v41, -v41, v49, v47
	v_div_fmas_f32 v41, v41, v46, v49
	v_cmp_eq_u32_e32 vcc, 1, v29
	v_div_fixup_f32 v40, v41, v40, 1.0
	s_nop 0
	v_cndmask_b32_e32 v41, v43, v48, vcc
	v_cmp_eq_u32_e32 vcc, 2, v29
	s_nop 1
	v_cndmask_b32_e32 v41, v41, v44, vcc
	v_cmp_eq_u32_e32 vcc, 3, v29
	s_nop 1
	v_cndmask_b32_e32 v41, v41, v45, vcc
	v_mul_f32_e32 v40, v41, v40
	v_pk_mul_f32 v[34:35], v[40:41], v[34:35] op_sel_hi:[0,1]
	v_pk_mul_f32 v[20:21], v[40:41], v[20:21] op_sel_hi:[0,1]
	v_cvt_f16_f32_e32 v41, v34
	v_cvt_f16_f32_e32 v35, v35
	;; [unrolled: 1-line block ×4, first 2 shown]
	v_cmp_gt_u32_e32 vcc, 14, v0
	v_pack_b32_f16 v35, v41, v35
	v_lshlrev_b32_e32 v41, 3, v42
	v_pack_b32_f16 v34, v20, v21
	v_pk_mul_f32 v[20:21], v[40:41], v[36:37] op_sel_hi:[0,1]
	v_pk_mul_f32 v[22:23], v[40:41], v[22:23] op_sel_hi:[0,1]
	v_cvt_f16_f32_e32 v22, v22
	v_cvt_f16_f32_e32 v23, v23
	;; [unrolled: 1-line block ×4, first 2 shown]
	v_lshlrev_b32_e32 v20, 11, v29
	v_or3_b32 v20, v20, v27, v41
	v_pack_b32_f16 v22, v22, v23
	v_pack_b32_f16 v23, v36, v21
	ds_write2st64_b64 v20, v[34:35], v[22:23] offset1:1
	v_pk_mul_f32 v[22:23], v[40:41], v[32:33] op_sel_hi:[0,1]
	v_pk_mul_f32 v[30:31], v[40:41], v[30:31] op_sel_hi:[0,1]
	v_cvt_f16_f32_e32 v21, v30
	v_cvt_f16_f32_e32 v29, v31
	;; [unrolled: 1-line block ×4, first 2 shown]
	v_pk_mul_f32 v[18:19], v[40:41], v[18:19] op_sel_hi:[0,1]
	v_pk_mul_f32 v[22:23], v[40:41], v[24:25] op_sel_hi:[0,1]
	v_cvt_f16_f32_e32 v22, v22
	v_cvt_f16_f32_e32 v23, v23
	;; [unrolled: 1-line block ×4, first 2 shown]
	v_pack_b32_f16 v18, v21, v29
	v_pack_b32_f16 v19, v30, v31
	;; [unrolled: 1-line block ×4, first 2 shown]
	ds_write2st64_b64 v20, v[18:19], v[22:23] offset0:2 offset1:3
	s_and_saveexec_b64 s[4:5], vcc
	s_cbranch_execz .LBB881_15
; %bb.14:
	s_mov_b32 s49, 0
	v_mov_b32_e32 v29, 0
	v_lshl_add_u64 v[18:19], s[48:49], 0, v[28:29]
	v_mov_b32_e32 v21, s7
	v_mad_u64_u32 v[18:19], s[12:13], s2, v21, v[18:19]
	s_mul_i32 s3, s3, s7
	v_mov_b32_e32 v28, s28
	s_load_dwordx4 s[8:11], s[0:1], 0x58
	v_add_u32_e32 v21, s3, v19
	v_mad_u64_u32 v[18:19], s[12:13], v18, s6, v[28:29]
	v_mov_b32_e32 v22, v19
	v_mad_u64_u32 v[22:23], s[12:13], v21, s6, v[22:23]
	v_mov_b32_e32 v19, v22
	v_lshlrev_b64 v[18:19], 2, v[18:19]
	s_waitcnt lgkmcnt(0)
	v_lshl_add_u64 v[22:23], s[10:11], 0, v[18:19]
	v_lshl_add_u64 v[18:19], s[8:9], 0, v[18:19]
	global_store_dword v[22:23], v38, off
	global_store_dword v[18:19], v39, off
.LBB881_15:
	s_or_b64 exec, exec, s[4:5]
	s_waitcnt vmcnt(3)
	v_cvt_pk_f32_fp8_e32 v[18:19], v14
	v_cvt_pk_f32_fp8_sdwa v[22:23], v14 src0_sel:WORD_1
	v_cvt_pk_f32_fp8_e32 v[24:25], v15
	v_lshl_or_b32 v14, v42, 9, v27
	s_waitcnt lgkmcnt(0)
	s_barrier
	v_cvt_pkrtz_f16_f32 v18, v18, v19
	v_cvt_pkrtz_f16_f32 v19, v22, v23
	v_cvt_pk_f32_fp8_sdwa v[28:29], v15 src0_sel:WORD_1
	v_cvt_pkrtz_f16_f32 v36, v24, v25
	ds_read_b128 v[22:25], v14
	v_cvt_pk_f32_fp8_e32 v[38:39], v16
	v_cvt_pkrtz_f16_f32 v37, v28, v29
	ds_read_b128 v[28:31], v14 offset:16
	v_cvt_pk_f32_fp8_sdwa v[40:41], v16 src0_sel:WORD_1
	s_waitcnt lgkmcnt(1)
	v_mfma_f32_16x16x16_f16 v[32:35], v[18:19], v[22:23], 0
	v_cvt_pkrtz_f16_f32 v18, v38, v39
	v_cvt_pk_f32_fp8_e32 v[38:39], v17
	v_cvt_pkrtz_f16_f32 v19, v40, v41
	v_mfma_f32_16x16x16_f16 v[22:25], v[36:37], v[24:25], v[32:35]
	s_waitcnt vmcnt(2)
	v_cvt_pk_f32_fp8_sdwa v[36:37], v12 src0_sel:WORD_1
	s_load_dword s4, s[42:43], 0x0
	v_cmp_gt_u32_e32 vcc, 64, v0
	v_cvt_pk_f32_fp8_sdwa v[32:33], v17 src0_sel:WORD_1
	v_cvt_pkrtz_f16_f32 v34, v38, v39
	s_waitcnt lgkmcnt(0)
	v_mfma_f32_16x16x16_f16 v[16:19], v[18:19], v[28:29], v[22:25]
	v_cvt_pk_f32_fp8_e32 v[28:29], v11
	v_cvt_pkrtz_f16_f32 v35, v32, v33
	s_mov_b32 s3, 0
	v_cvt_pk_f32_fp8_e32 v[22:23], v10
	v_cvt_pk_f32_fp8_sdwa v[24:25], v10 src0_sel:WORD_1
	v_mfma_f32_16x16x16_f16 v[16:19], v[34:35], v[30:31], v[16:19]
	v_cvt_pkrtz_f16_f32 v10, v22, v23
	v_cvt_pk_f32_fp8_sdwa v[30:31], v11 src0_sel:WORD_1
	v_cvt_pkrtz_f16_f32 v11, v24, v25
	ds_read_b128 v[22:25], v14 offset:2048
	v_cvt_pkrtz_f16_f32 v32, v28, v29
	v_cvt_pkrtz_f16_f32 v33, v30, v31
	ds_read_b128 v[28:31], v14 offset:2064
	v_cvt_pk_f32_fp8_e32 v[34:35], v12
	s_waitcnt lgkmcnt(1)
	v_mfma_f32_16x16x16_f16 v[16:19], v[10:11], v[22:23], v[16:19]
	v_cvt_pkrtz_f16_f32 v11, v36, v37
	v_cvt_pk_f32_fp8_e32 v[22:23], v13
	v_cvt_pkrtz_f16_f32 v10, v34, v35
	v_mfma_f32_16x16x16_f16 v[16:19], v[32:33], v[24:25], v[16:19]
	v_cvt_pk_f32_fp8_sdwa v[24:25], v13 src0_sel:WORD_1
	v_cvt_pkrtz_f16_f32 v22, v22, v23
	s_waitcnt vmcnt(1)
	v_cvt_pk_f32_fp8_sdwa v[32:33], v8 src0_sel:WORD_1
	s_waitcnt lgkmcnt(0)
	v_mfma_f32_16x16x16_f16 v[10:13], v[10:11], v[28:29], v[16:19]
	v_cvt_pkrtz_f16_f32 v23, v24, v25
	v_cvt_pk_f32_fp8_sdwa v[24:25], v7 src0_sel:WORD_1
	v_mov_b32_e32 v27, 0
	v_cvt_pk_f32_fp8_e32 v[16:17], v6
	v_cvt_pk_f32_fp8_sdwa v[18:19], v6 src0_sel:WORD_1
	v_mfma_f32_16x16x16_f16 v[10:13], v[22:23], v[30:31], v[10:13]
	v_cvt_pk_f32_fp8_e32 v[22:23], v7
	v_cvt_pkrtz_f16_f32 v6, v16, v17
	v_cvt_pkrtz_f16_f32 v7, v18, v19
	ds_read_b128 v[16:19], v14 offset:4096
	v_cvt_pkrtz_f16_f32 v28, v22, v23
	v_cvt_pkrtz_f16_f32 v29, v24, v25
	ds_read_b128 v[22:25], v14 offset:4112
	v_cvt_pk_f32_fp8_e32 v[30:31], v8
	s_waitcnt lgkmcnt(1)
	v_mfma_f32_16x16x16_f16 v[10:13], v[6:7], v[16:17], v[10:13]
	v_cvt_pkrtz_f16_f32 v7, v32, v33
	v_cvt_pk_f32_fp8_e32 v[16:17], v9
	v_cvt_pkrtz_f16_f32 v6, v30, v31
	v_mfma_f32_16x16x16_f16 v[10:13], v[28:29], v[18:19], v[10:13]
	v_cvt_pk_f32_fp8_sdwa v[18:19], v9 src0_sel:WORD_1
	v_cvt_pkrtz_f16_f32 v16, v16, v17
	v_cvt_pkrtz_f16_f32 v17, v18, v19
	s_waitcnt lgkmcnt(0)
	v_mfma_f32_16x16x16_f16 v[6:9], v[6:7], v[22:23], v[10:13]
	s_waitcnt vmcnt(0)
	v_cvt_pk_f32_fp8_sdwa v[18:19], v3 src0_sel:WORD_1
	s_nop 0
	v_cvt_pkrtz_f16_f32 v23, v18, v19
	v_cvt_pk_f32_fp8_e32 v[10:11], v2
	v_cvt_pk_f32_fp8_sdwa v[12:13], v2 src0_sel:WORD_1
	v_mfma_f32_16x16x16_f16 v[6:9], v[16:17], v[24:25], v[6:9]
	v_cvt_pk_f32_fp8_e32 v[16:17], v3
	v_cvt_pkrtz_f16_f32 v2, v10, v11
	v_cvt_pkrtz_f16_f32 v3, v12, v13
	ds_read_b128 v[10:13], v14 offset:6144
	v_cvt_pkrtz_f16_f32 v22, v16, v17
	v_cvt_pk_f32_fp8_e32 v[18:19], v4
	v_cvt_pk_f32_fp8_sdwa v[24:25], v4 src0_sel:WORD_1
	s_waitcnt lgkmcnt(0)
	v_mfma_f32_16x16x16_f16 v[6:9], v[2:3], v[10:11], v[6:9]
	ds_read_b128 v[14:17], v14 offset:6160
	v_cvt_pkrtz_f16_f32 v2, v18, v19
	v_cvt_pkrtz_f16_f32 v3, v24, v25
	v_cvt_pk_f32_fp8_e32 v[10:11], v5
	v_mfma_f32_16x16x16_f16 v[6:9], v[22:23], v[12:13], v[6:9]
	v_cvt_pk_f32_fp8_sdwa v[12:13], v5 src0_sel:WORD_1
	s_waitcnt lgkmcnt(0)
	v_cvt_pkrtz_f16_f32 v10, v10, v11
	v_mfma_f32_16x16x16_f16 v[2:5], v[2:3], v[14:15], v[6:9]
	v_cvt_pkrtz_f16_f32 v11, v12, v13
	s_barrier
	s_nop 0
	v_mfma_f32_16x16x16_f16 v[2:5], v[10:11], v[16:17], v[2:5]
	s_nop 6
	v_pk_mul_f32 v[4:5], v[4:5], s[4:5] op_sel_hi:[1,0]
	v_pk_mul_f32 v[2:3], v[2:3], s[4:5] op_sel_hi:[1,0]
	v_cvt_f16_f32_e32 v4, v4
	v_cvt_f16_f32_e32 v2, v2
	;; [unrolled: 1-line block ×4, first 2 shown]
	s_and_b64 s[4:5], vcc, s[30:31]
	v_pack_b32_f16 v2, v2, v3
	v_pack_b32_f16 v3, v4, v5
	ds_write_b64 v20, v[2:3]
	s_waitcnt lgkmcnt(0)
	s_barrier
	s_and_saveexec_b64 s[8:9], s[4:5]
	s_cbranch_execz .LBB881_18
; %bb.16:
	s_load_dwordx2 s[4:5], s[0:1], 0x68
	s_lshl_b32 s0, s6, 6
	s_mul_i32 s1, s7, s2
	s_mul_hi_u32 s7, s1, s0
	s_mul_i32 s6, s1, s0
	v_lshlrev_b32_e32 v0, 10, v0
	s_lshl_b64 s[6:7], s[6:7], 1
	v_and_b32_e32 v0, 0x1800, v0
	v_lshlrev_b32_e32 v2, 5, v42
	v_and_b32_e32 v1, 16, v1
	s_waitcnt lgkmcnt(0)
	s_add_u32 s1, s4, s6
	v_or3_b32 v2, v0, v2, v1
	s_addc_u32 s4, s5, s7
	s_lshl_b32 s2, s28, 6
	ds_read_b128 v[4:7], v2 offset:256
	s_lshl_b64 s[2:3], s[2:3], 1
	ds_read_b128 v[8:11], v2 offset:128
	ds_read_b128 v[12:15], v2
	s_add_u32 s2, s1, s2
	s_addc_u32 s3, s4, s3
	v_add_u32_e32 v18, s48, v42
	v_lshl_add_u64 v[0:1], s[2:3], 0, v[26:27]
	v_mad_u64_u32 v[16:17], s[2:3], v18, s0, 0
	v_lshl_add_u64 v[16:17], v[16:17], 1, v[0:1]
	s_waitcnt lgkmcnt(0)
	global_store_dwordx4 v[16:17], v[12:15], off
	v_or_b32_e32 v3, 12, v42
	v_cmp_gt_u32_e32 vcc, 14, v3
	v_add_u32_e32 v12, 4, v18
	v_mad_u64_u32 v[12:13], s[2:3], v12, s0, 0
	v_lshl_add_u64 v[12:13], v[12:13], 1, v[0:1]
	global_store_dwordx4 v[12:13], v[8:11], off
	s_nop 1
	v_add_u32_e32 v8, 8, v18
	v_mad_u64_u32 v[8:9], s[2:3], v8, s0, 0
	v_lshl_add_u64 v[8:9], v[8:9], 1, v[0:1]
	global_store_dwordx4 v[8:9], v[4:7], off
	s_and_b64 exec, exec, vcc
	s_cbranch_execz .LBB881_18
; %bb.17:
	ds_read_b128 v[4:7], v2 offset:384
	v_add_u32_e32 v2, s48, v3
	v_mad_u64_u32 v[2:3], s[0:1], v2, s0, 0
	v_lshl_add_u64 v[0:1], v[2:3], 1, v[0:1]
	s_waitcnt lgkmcnt(0)
	global_store_dwordx4 v[0:1], v[4:7], off
.LBB881_18:
	s_endpgm
	.section	.rodata,"a",@progbits
	.p2align	6, 0x0
	.amdhsa_kernel _Z39paged_attention_ll4mi_QKV_mfma16_kernelIDF16_hLN4vllm18Fp8KVCacheDataTypeE1EhLi32ELi64ELi256ELb0ELi14EEvPKT_PKT0_S7_ifPKiS9_S9_iPKfiiiPfSC_PS2_PT2_iSB_SB_
		.amdhsa_group_segment_fixed_size 8192
		.amdhsa_private_segment_fixed_size 0
		.amdhsa_kernarg_size 400
		.amdhsa_user_sgpr_count 2
		.amdhsa_user_sgpr_dispatch_ptr 0
		.amdhsa_user_sgpr_queue_ptr 0
		.amdhsa_user_sgpr_kernarg_segment_ptr 1
		.amdhsa_user_sgpr_dispatch_id 0
		.amdhsa_user_sgpr_kernarg_preload_length 0
		.amdhsa_user_sgpr_kernarg_preload_offset 0
		.amdhsa_user_sgpr_private_segment_size 0
		.amdhsa_uses_dynamic_stack 0
		.amdhsa_enable_private_segment 0
		.amdhsa_system_sgpr_workgroup_id_x 1
		.amdhsa_system_sgpr_workgroup_id_y 1
		.amdhsa_system_sgpr_workgroup_id_z 1
		.amdhsa_system_sgpr_workgroup_info 0
		.amdhsa_system_vgpr_workitem_id 0
		.amdhsa_next_free_vgpr 54
		.amdhsa_next_free_sgpr 50
		.amdhsa_accum_offset 56
		.amdhsa_reserve_vcc 1
		.amdhsa_float_round_mode_32 0
		.amdhsa_float_round_mode_16_64 0
		.amdhsa_float_denorm_mode_32 3
		.amdhsa_float_denorm_mode_16_64 3
		.amdhsa_dx10_clamp 1
		.amdhsa_ieee_mode 1
		.amdhsa_fp16_overflow 0
		.amdhsa_tg_split 0
		.amdhsa_exception_fp_ieee_invalid_op 0
		.amdhsa_exception_fp_denorm_src 0
		.amdhsa_exception_fp_ieee_div_zero 0
		.amdhsa_exception_fp_ieee_overflow 0
		.amdhsa_exception_fp_ieee_underflow 0
		.amdhsa_exception_fp_ieee_inexact 0
		.amdhsa_exception_int_div_zero 0
	.end_amdhsa_kernel
	.section	.text._Z39paged_attention_ll4mi_QKV_mfma16_kernelIDF16_hLN4vllm18Fp8KVCacheDataTypeE1EhLi32ELi64ELi256ELb0ELi14EEvPKT_PKT0_S7_ifPKiS9_S9_iPKfiiiPfSC_PS2_PT2_iSB_SB_,"axG",@progbits,_Z39paged_attention_ll4mi_QKV_mfma16_kernelIDF16_hLN4vllm18Fp8KVCacheDataTypeE1EhLi32ELi64ELi256ELb0ELi14EEvPKT_PKT0_S7_ifPKiS9_S9_iPKfiiiPfSC_PS2_PT2_iSB_SB_,comdat
.Lfunc_end881:
	.size	_Z39paged_attention_ll4mi_QKV_mfma16_kernelIDF16_hLN4vllm18Fp8KVCacheDataTypeE1EhLi32ELi64ELi256ELb0ELi14EEvPKT_PKT0_S7_ifPKiS9_S9_iPKfiiiPfSC_PS2_PT2_iSB_SB_, .Lfunc_end881-_Z39paged_attention_ll4mi_QKV_mfma16_kernelIDF16_hLN4vllm18Fp8KVCacheDataTypeE1EhLi32ELi64ELi256ELb0ELi14EEvPKT_PKT0_S7_ifPKiS9_S9_iPKfiiiPfSC_PS2_PT2_iSB_SB_
                                        ; -- End function
	.section	.AMDGPU.csdata,"",@progbits
; Kernel info:
; codeLenInByte = 4740
; NumSgprs: 56
; NumVgprs: 54
; NumAgprs: 0
; TotalNumVgprs: 54
; ScratchSize: 0
; MemoryBound: 0
; FloatMode: 240
; IeeeMode: 1
; LDSByteSize: 8192 bytes/workgroup (compile time only)
; SGPRBlocks: 6
; VGPRBlocks: 6
; NumSGPRsForWavesPerEU: 56
; NumVGPRsForWavesPerEU: 54
; AccumOffset: 56
; Occupancy: 8
; WaveLimiterHint : 1
; COMPUTE_PGM_RSRC2:SCRATCH_EN: 0
; COMPUTE_PGM_RSRC2:USER_SGPR: 2
; COMPUTE_PGM_RSRC2:TRAP_HANDLER: 0
; COMPUTE_PGM_RSRC2:TGID_X_EN: 1
; COMPUTE_PGM_RSRC2:TGID_Y_EN: 1
; COMPUTE_PGM_RSRC2:TGID_Z_EN: 1
; COMPUTE_PGM_RSRC2:TIDIG_COMP_CNT: 0
; COMPUTE_PGM_RSRC3_GFX90A:ACCUM_OFFSET: 13
; COMPUTE_PGM_RSRC3_GFX90A:TG_SPLIT: 0
	.section	.text._Z39paged_attention_ll4mi_QKV_mfma16_kernelIDF16_hLN4vllm18Fp8KVCacheDataTypeE1EhLi32ELi64ELi256ELb0ELi15EEvPKT_PKT0_S7_ifPKiS9_S9_iPKfiiiPfSC_PS2_PT2_iSB_SB_,"axG",@progbits,_Z39paged_attention_ll4mi_QKV_mfma16_kernelIDF16_hLN4vllm18Fp8KVCacheDataTypeE1EhLi32ELi64ELi256ELb0ELi15EEvPKT_PKT0_S7_ifPKiS9_S9_iPKfiiiPfSC_PS2_PT2_iSB_SB_,comdat
	.protected	_Z39paged_attention_ll4mi_QKV_mfma16_kernelIDF16_hLN4vllm18Fp8KVCacheDataTypeE1EhLi32ELi64ELi256ELb0ELi15EEvPKT_PKT0_S7_ifPKiS9_S9_iPKfiiiPfSC_PS2_PT2_iSB_SB_ ; -- Begin function _Z39paged_attention_ll4mi_QKV_mfma16_kernelIDF16_hLN4vllm18Fp8KVCacheDataTypeE1EhLi32ELi64ELi256ELb0ELi15EEvPKT_PKT0_S7_ifPKiS9_S9_iPKfiiiPfSC_PS2_PT2_iSB_SB_
	.globl	_Z39paged_attention_ll4mi_QKV_mfma16_kernelIDF16_hLN4vllm18Fp8KVCacheDataTypeE1EhLi32ELi64ELi256ELb0ELi15EEvPKT_PKT0_S7_ifPKiS9_S9_iPKfiiiPfSC_PS2_PT2_iSB_SB_
	.p2align	8
	.type	_Z39paged_attention_ll4mi_QKV_mfma16_kernelIDF16_hLN4vllm18Fp8KVCacheDataTypeE1EhLi32ELi64ELi256ELb0ELi15EEvPKT_PKT0_S7_ifPKiS9_S9_iPKfiiiPfSC_PS2_PT2_iSB_SB_,@function
_Z39paged_attention_ll4mi_QKV_mfma16_kernelIDF16_hLN4vllm18Fp8KVCacheDataTypeE1EhLi32ELi64ELi256ELb0ELi15EEvPKT_PKT0_S7_ifPKiS9_S9_iPKfiiiPfSC_PS2_PT2_iSB_SB_: ; @_Z39paged_attention_ll4mi_QKV_mfma16_kernelIDF16_hLN4vllm18Fp8KVCacheDataTypeE1EhLi32ELi64ELi256ELb0ELi15EEvPKT_PKT0_S7_ifPKiS9_S9_iPKfiiiPfSC_PS2_PT2_iSB_SB_
; %bb.0:
	s_load_dwordx2 s[12:13], s[0:1], 0x30
	s_mov_b32 s28, s3
	s_mov_b64 s[6:7], 0
	s_waitcnt lgkmcnt(0)
	s_cmp_lg_u64 s[12:13], 0
	s_cselect_b64 s[14:15], -1, 0
	s_and_b64 vcc, exec, s[14:15]
	s_cbranch_vccz .LBB882_7
; %bb.1:
	s_add_i32 s8, s2, 1
	s_mov_b32 s9, 0
	s_lshl_b64 s[10:11], s[8:9], 2
	s_add_u32 s10, s12, s10
	s_mov_b32 s3, s9
	s_addc_u32 s11, s13, s11
	s_lshl_b64 s[8:9], s[2:3], 2
	s_add_u32 s8, s12, s8
	s_addc_u32 s9, s13, s9
	s_load_dword s5, s[10:11], 0x0
	s_load_dword s16, s[8:9], 0x0
	s_waitcnt lgkmcnt(0)
	s_sub_i32 s5, s5, s16
	s_cmp_eq_u32 s5, 1
	s_cselect_b64 s[8:9], -1, 0
	s_andn2_b64 vcc, exec, s[6:7]
	s_cbranch_vccnz .LBB882_3
.LBB882_2:
	s_mov_b32 s3, 0
	s_mov_b64 s[8:9], -1
.LBB882_3:
	s_andn2_b64 vcc, exec, s[8:9]
	s_cbranch_vccnz .LBB882_18
; %bb.4:
	s_load_dwordx2 s[6:7], s[0:1], 0x28
	s_lshl_b64 s[16:17], s[2:3], 2
	s_waitcnt lgkmcnt(0)
	s_add_u32 s6, s6, s16
	s_addc_u32 s7, s7, s17
	s_load_dword s33, s[6:7], 0x0
	s_lshl_b32 s5, s28, 8
	s_waitcnt lgkmcnt(0)
	s_cmp_ge_i32 s5, s33
	s_cbranch_scc1 .LBB882_18
; %bb.5:
	s_load_dwordx2 s[6:7], s[0:1], 0x20
	s_load_dword s8, s[0:1], 0x38
	s_add_i32 s9, s33, 31
	s_ashr_i32 s10, s9, 31
	v_and_b32_e32 v1, 0xcf, v0
	s_lshr_b32 s10, s10, 27
	v_add_u32_e32 v1, s5, v1
	s_add_i32 s9, s9, s10
	v_ashrrev_i32_e32 v2, 31, v1
	s_ashr_i32 s18, s9, 5
	v_lshrrev_b32_e32 v4, 27, v2
	s_add_i32 s18, s18, -1
	s_waitcnt lgkmcnt(0)
	s_mul_i32 s8, s2, s8
	s_mov_b32 s9, 0
	v_add_u32_e32 v2, v1, v4
	s_lshl_b64 s[8:9], s[8:9], 2
	v_ashrrev_i32_e32 v2, 5, v2
	v_mov_b32_e32 v5, s18
	v_cmp_gt_i32_e32 vcc, s33, v1
	s_add_u32 s6, s6, s8
	s_addc_u32 s7, s7, s9
	v_cndmask_b32_e32 v2, v5, v2, vcc
	v_ashrrev_i32_e32 v3, 31, v2
	v_lshl_add_u64 v[6:7], v[2:3], 2, s[6:7]
	v_or_b32_e32 v2, 16, v1
	v_add_u32_e32 v3, v2, v4
	v_ashrrev_i32_e32 v3, 5, v3
	v_cmp_gt_i32_e32 vcc, s33, v2
	s_load_dwordx4 s[8:11], s[0:1], 0x8
	s_nop 0
	v_cndmask_b32_e32 v2, v5, v3, vcc
	v_ashrrev_i32_e32 v3, 31, v2
	v_lshl_add_u64 v[8:9], v[2:3], 2, s[6:7]
	v_or_b32_e32 v2, 32, v1
	v_add_u32_e32 v3, v2, v4
	v_ashrrev_i32_e32 v3, 5, v3
	v_cmp_gt_i32_e32 vcc, s33, v2
	v_or_b32_e32 v1, 48, v1
	s_nop 0
	v_cndmask_b32_e32 v2, v5, v3, vcc
	v_ashrrev_i32_e32 v3, 31, v2
	v_lshl_add_u64 v[10:11], v[2:3], 2, s[6:7]
	v_add_u32_e32 v2, v1, v4
	v_ashrrev_i32_e32 v2, 5, v2
	v_cmp_gt_i32_e32 vcc, s33, v1
	s_nop 1
	v_cndmask_b32_e32 v2, v5, v2, vcc
	v_ashrrev_i32_e32 v3, 31, v2
	v_lshl_add_u64 v[14:15], v[2:3], 2, s[6:7]
	global_load_dword v2, v[6:7], off
	global_load_dword v5, v[8:9], off
	global_load_dword v4, v[10:11], off
	global_load_dword v12, v[14:15], off
	s_andn2_b64 vcc, exec, s[14:15]
	s_cbranch_vccnz .LBB882_8
; %bb.6:
	s_add_u32 s12, s12, s16
	s_addc_u32 s13, s13, s17
	s_load_dword s14, s[12:13], 0x0
	s_branch .LBB882_9
.LBB882_7:
	s_mov_b64 s[8:9], 0
	s_branch .LBB882_2
.LBB882_8:
	s_mov_b32 s14, s2
.LBB882_9:
	s_load_dwordx4 s[44:47], s[0:1], 0x48
	v_lshrrev_b32_e32 v29, 6, v0
	v_bfe_u32 v42, v0, 4, 2
	v_lshl_or_b32 v3, v29, 2, v42
	v_and_b32_e32 v28, 15, v0
	v_lshlrev_b32_e32 v1, 3, v28
	v_cmp_gt_u32_e32 vcc, 15, v3
	v_cmp_gt_u32_e64 s[30:31], 8, v28
	v_and_b32_e32 v43, 63, v0
	s_mul_i32 s48, s4, 15
	s_and_b64 s[16:17], s[30:31], vcc
	v_lshlrev_b32_e32 v26, 1, v1
	v_lshlrev_b32_e32 v1, 4, v0
	s_and_saveexec_b64 s[12:13], s[16:17]
	s_cbranch_execz .LBB882_11
; %bb.10:
	s_load_dwordx2 s[16:17], s[0:1], 0x0
	s_waitcnt lgkmcnt(0)
	s_ashr_i32 s15, s44, 31
	s_mul_hi_u32 s19, s14, s44
	s_mul_i32 s15, s14, s15
	s_add_i32 s15, s19, s15
	s_mul_i32 s14, s14, s44
	s_lshl_b64 s[14:15], s[14:15], 1
	s_add_u32 s14, s16, s14
	v_add_lshl_u32 v6, v3, s48, 6
	s_addc_u32 s15, s17, s15
	v_ashrrev_i32_e32 v7, 31, v6
	v_lshl_add_u64 v[6:7], v[6:7], 1, s[14:15]
	v_mov_b32_e32 v27, 0
	v_lshl_add_u64 v[6:7], v[6:7], 0, v[26:27]
	global_load_dwordx4 v[6:9], v[6:7], off
	v_lshlrev_b32_e32 v11, 8, v28
	v_lshlrev_b32_e32 v3, 5, v3
	v_and_b32_e32 v10, 16, v1
	v_and_b32_e32 v11, 0xe00, v11
	v_or3_b32 v3, v11, v3, v10
	s_waitcnt vmcnt(0)
	ds_write_b128 v3, v[6:9]
.LBB882_11:
	s_or_b64 exec, exec, s[12:13]
	s_waitcnt lgkmcnt(0)
	s_mul_i32 s4, s4, s46
	s_add_u32 s8, s8, s4
	s_addc_u32 s9, s9, 0
	v_mov_b32_e32 v31, 0
	v_mov_b64_e32 v[10:11], s[8:9]
	v_and_b32_e32 v8, 48, v0
	s_waitcnt vmcnt(3)
	v_mad_i64_i32 v[6:7], s[8:9], v2, s45, v[10:11]
	v_lshlrev_b32_e32 v2, 4, v28
	v_mov_b32_e32 v3, v31
	v_lshlrev_b32_e32 v30, 5, v8
	v_lshl_add_u64 v[6:7], v[6:7], 0, v[2:3]
	v_lshl_add_u64 v[6:7], v[6:7], 0, v[30:31]
	s_load_dword s29, s[0:1], 0x98
	s_load_dwordx4 s[40:43], s[0:1], 0x80
	s_waitcnt lgkmcnt(0)
	s_barrier
	global_load_dwordx4 v[14:17], v[6:7], off
	s_waitcnt vmcnt(3)
	v_mad_i64_i32 v[6:7], s[8:9], v5, s45, v[10:11]
	v_or_b32_e32 v32, 0x100, v2
	v_mov_b32_e32 v33, v31
	v_lshl_add_u64 v[6:7], v[6:7], 0, v[32:33]
	v_lshl_add_u64 v[6:7], v[6:7], 0, v[30:31]
	global_load_dwordx4 v[18:21], v[6:7], off
	s_ashr_i32 s8, s5, 31
	v_or_b32_e32 v13, s5, v8
	s_lshr_b32 s12, s8, 27
	v_add_u32_e32 v5, s12, v13
	v_ashrrev_i32_e32 v5, 5, v5
	v_mov_b32_e32 v35, s18
	v_cmp_gt_i32_e32 vcc, s33, v13
	v_or_b32_e32 v36, 64, v13
	v_or_b32_e32 v37, 0x80, v13
	v_cndmask_b32_e32 v8, v35, v5, vcc
	v_cmp_ne_u32_e32 vcc, 15, v28
	v_ashrrev_i32_e32 v9, 31, v8
	v_lshl_add_u64 v[8:9], v[8:9], 2, s[6:7]
	v_cndmask_b32_e32 v5, 0, v28, vcc
	v_lshlrev_b32_e32 v5, 5, v5
	v_lshl_or_b32 v34, v42, 9, v5
	s_waitcnt vmcnt(3)
	v_mad_i64_i32 v[4:5], s[8:9], v4, s45, v[10:11]
	v_lshl_add_u64 v[2:3], v[4:5], 0, v[2:3]
	v_lshl_add_u64 v[2:3], v[2:3], 0, v[30:31]
	global_load_dwordx4 v[22:25], v[2:3], off
	s_waitcnt vmcnt(3)
	v_mad_i64_i32 v[10:11], s[8:9], v12, s45, v[10:11]
	v_add_u32_e32 v12, s12, v36
	global_load_dword v45, v[8:9], off
	ds_read_b128 v[6:9], v34
	ds_read_b128 v[2:5], v34 offset:16
	v_add_u32_e32 v34, s12, v37
	v_lshl_add_u64 v[10:11], v[10:11], 0, v[32:33]
	v_ashrrev_i32_e32 v12, 5, v12
	v_cmp_gt_i32_e32 vcc, s33, v36
	v_or_b32_e32 v13, 0xc0, v13
	v_ashrrev_i32_e32 v33, 5, v34
	v_lshl_add_u64 v[10:11], v[10:11], 0, v[30:31]
	v_cndmask_b32_e32 v32, v35, v12, vcc
	v_cmp_gt_i32_e32 vcc, s33, v37
	v_add_u32_e32 v38, s12, v13
	v_ashrrev_i32_e32 v38, 5, v38
	v_cndmask_b32_e32 v34, v35, v33, vcc
	v_cmp_gt_i32_e32 vcc, s33, v13
	global_load_dwordx4 v[10:13], v[10:11], off
	v_ashrrev_i32_e32 v33, 31, v32
	v_cndmask_b32_e32 v36, v35, v38, vcc
	v_ashrrev_i32_e32 v37, 31, v36
	v_ashrrev_i32_e32 v35, 31, v34
	v_lshl_add_u64 v[32:33], v[32:33], 2, s[6:7]
	v_lshl_add_u64 v[36:37], v[36:37], 2, s[6:7]
	;; [unrolled: 1-line block ×3, first 2 shown]
	global_load_dword v44, v[32:33], off
	global_load_dword v34, v[40:41], off
	;; [unrolled: 1-line block ×3, first 2 shown]
	s_add_u32 s8, s10, s4
	v_lshlrev_b32_e32 v27, 5, v28
	s_addc_u32 s9, s11, 0
	v_and_b32_e32 v30, 16, v0
	v_lshl_add_u64 v[38:39], s[8:9], 0, v[30:31]
	v_lshl_or_b32 v30, v29, 9, v27
	v_lshl_add_u64 v[30:31], v[38:39], 0, v[30:31]
	s_load_dword s13, s[0:1], 0x1c
	s_load_dword s4, s[40:41], 0x0
	s_mov_b32 s44, 0xff7fffff
	s_waitcnt vmcnt(7)
	v_cvt_pk_f32_fp8_e32 v[32:33], v14
	v_cvt_pk_f32_fp8_sdwa v[36:37], v14 src0_sel:WORD_1
	v_cvt_pk_f32_fp8_e32 v[38:39], v15
	v_cvt_pk_f32_fp8_sdwa v[14:15], v15 src0_sel:WORD_1
	v_cvt_pkrtz_f16_f32 v32, v32, v33
	v_cvt_pkrtz_f16_f32 v33, v36, v37
	v_cvt_pk_f32_fp8_e32 v[40:41], v16
	v_cvt_pk_f32_fp8_sdwa v[46:47], v16 src0_sel:WORD_1
	v_cvt_pkrtz_f16_f32 v50, v38, v39
	v_cvt_pkrtz_f16_f32 v51, v14, v15
	s_waitcnt lgkmcnt(0)
	v_mfma_f32_16x16x16_f16 v[36:39], v[32:33], v[6:7], 0
	v_cvt_pk_f32_fp8_e32 v[48:49], v17
	v_cvt_pk_f32_fp8_sdwa v[16:17], v17 src0_sel:WORD_1
	v_cvt_pkrtz_f16_f32 v32, v40, v41
	v_cvt_pkrtz_f16_f32 v33, v46, v47
	v_mfma_f32_16x16x16_f16 v[36:39], v[50:51], v[8:9], v[36:39]
	v_cvt_pkrtz_f16_f32 v40, v48, v49
	v_cvt_pkrtz_f16_f32 v41, v16, v17
	s_waitcnt vmcnt(6)
	v_cvt_pk_f32_fp8_e32 v[16:17], v18
	v_mfma_f32_16x16x16_f16 v[36:39], v[32:33], v[2:3], v[36:39]
	v_cvt_pk_f32_fp8_sdwa v[32:33], v18 src0_sel:WORD_1
	v_cvt_pk_f32_fp8_sdwa v[46:47], v20 src0_sel:WORD_1
	v_cvt_pkrtz_f16_f32 v16, v16, v17
	v_mfma_f32_16x16x16_f16 v[36:39], v[40:41], v[4:5], v[36:39]
	v_cvt_pk_f32_fp8_e32 v[40:41], v19
	v_cvt_pkrtz_f16_f32 v17, v32, v33
	v_cvt_pk_f32_fp8_sdwa v[18:19], v19 src0_sel:WORD_1
	v_cvt_pkrtz_f16_f32 v32, v40, v41
	v_cvt_pk_f32_fp8_e32 v[40:41], v20
	v_cvt_pkrtz_f16_f32 v33, v18, v19
	v_mfma_f32_16x16x16_f16 v[16:19], v[16:17], v[6:7], 0
	s_waitcnt vmcnt(5)
	v_cvt_pk_f32_fp8_e32 v[52:53], v25
	v_cvt_pkrtz_f16_f32 v40, v40, v41
	v_cvt_pkrtz_f16_f32 v41, v46, v47
	v_cvt_pk_f32_fp8_e32 v[46:47], v21
	v_cvt_pk_f32_fp8_sdwa v[20:21], v21 src0_sel:WORD_1
	v_mfma_f32_16x16x16_f16 v[16:19], v[32:33], v[8:9], v[16:19]
	s_waitcnt vmcnt(4)
	v_mad_i64_i32 v[14:15], s[6:7], v45, s45, v[30:31]
	v_cvt_pkrtz_f16_f32 v32, v46, v47
	v_cvt_pkrtz_f16_f32 v33, v20, v21
	v_mfma_f32_16x16x16_f16 v[16:19], v[40:41], v[2:3], v[16:19]
	v_cvt_pk_f32_fp8_e32 v[20:21], v22
	v_cvt_pk_f32_fp8_sdwa v[40:41], v22 src0_sel:WORD_1
	v_cvt_pk_f32_fp8_sdwa v[46:47], v24 src0_sel:WORD_1
	v_mfma_f32_16x16x16_f16 v[16:19], v[32:33], v[4:5], v[16:19]
	v_cvt_pk_f32_fp8_e32 v[32:33], v23
	v_cvt_pkrtz_f16_f32 v20, v20, v21
	v_cvt_pkrtz_f16_f32 v21, v40, v41
	v_cvt_pk_f32_fp8_sdwa v[22:23], v23 src0_sel:WORD_1
	v_cvt_pkrtz_f16_f32 v32, v32, v33
	v_cvt_pk_f32_fp8_e32 v[40:41], v24
	v_cvt_pk_f32_fp8_sdwa v[24:25], v25 src0_sel:WORD_1
	v_cvt_pkrtz_f16_f32 v33, v22, v23
	v_mfma_f32_16x16x16_f16 v[20:23], v[20:21], v[6:7], 0
	v_cvt_pkrtz_f16_f32 v40, v40, v41
	v_cvt_pkrtz_f16_f32 v41, v46, v47
	v_mov_b32_e32 v45, s13
	v_mfma_f32_16x16x16_f16 v[46:49], v[32:33], v[8:9], v[20:23]
	v_mul_f32_e32 v50, s4, v45
	v_cvt_pkrtz_f16_f32 v32, v52, v53
	v_cvt_pkrtz_f16_f32 v33, v24, v25
	v_pk_mul_f32 v[22:23], v[50:51], v[38:39] op_sel_hi:[0,1]
	v_mfma_f32_16x16x16_f16 v[38:41], v[40:41], v[2:3], v[46:49]
	v_pk_mul_f32 v[20:21], v[50:51], v[36:37] op_sel_hi:[0,1]
	s_waitcnt vmcnt(3)
	v_cvt_pk_f32_fp8_e32 v[24:25], v10
	v_cvt_pk_f32_fp8_sdwa v[36:37], v10 src0_sel:WORD_1
	v_mfma_f32_16x16x16_f16 v[46:49], v[32:33], v[4:5], v[38:41]
	v_cvt_pk_f32_fp8_e32 v[32:33], v11
	v_cvt_pkrtz_f16_f32 v24, v24, v25
	v_cvt_pkrtz_f16_f32 v25, v36, v37
	v_cvt_pk_f32_fp8_sdwa v[10:11], v11 src0_sel:WORD_1
	v_cvt_pkrtz_f16_f32 v32, v32, v33
	v_cvt_pk_f32_fp8_e32 v[40:41], v12
	v_cvt_pk_f32_fp8_sdwa v[52:53], v12 src0_sel:WORD_1
	v_cvt_pkrtz_f16_f32 v33, v10, v11
	v_mfma_f32_16x16x16_f16 v[36:39], v[24:25], v[6:7], 0
	v_cvt_pkrtz_f16_f32 v10, v40, v41
	v_cvt_pkrtz_f16_f32 v11, v52, v53
	v_cvt_pk_f32_fp8_e32 v[24:25], v13
	v_cvt_pk_f32_fp8_sdwa v[12:13], v13 src0_sel:WORD_1
	v_mfma_f32_16x16x16_f16 v[6:9], v[32:33], v[8:9], v[36:39]
	v_pk_mul_f32 v[40:41], v[50:51], v[16:17] op_sel_hi:[0,1]
	v_pk_mul_f32 v[32:33], v[50:51], v[48:49] op_sel_hi:[0,1]
	s_nop 0
	v_pk_mul_f32 v[36:37], v[50:51], v[18:19] op_sel_hi:[0,1]
	v_cvt_pkrtz_f16_f32 v18, v24, v25
	v_cvt_pkrtz_f16_f32 v19, v12, v13
	v_mfma_f32_16x16x16_f16 v[6:9], v[10:11], v[2:3], v[6:9]
	v_pk_mul_f32 v[38:39], v[50:51], v[46:47] op_sel_hi:[0,1]
	v_mfma_f32_16x16x16_f16 v[2:5], v[18:19], v[4:5], v[6:9]
	s_nop 6
	v_pk_mul_f32 v[24:25], v[50:51], v[2:3] op_sel_hi:[0,1]
	v_and_b32_e32 v2, 0xc0, v0
	v_add_u32_e32 v2, s5, v2
	v_lshl_or_b32 v2, v42, 2, v2
	v_pk_mul_f32 v[18:19], v[50:51], v[4:5] op_sel_hi:[0,1]
	v_or_b32_e32 v5, 1, v2
	v_mov_b32_e32 v3, 0xff7fffff
	v_cmp_gt_i32_e64 s[4:5], s33, v2
	v_cmp_gt_i32_e64 s[34:35], s33, v5
	v_or_b32_e32 v6, 3, v2
	v_cndmask_b32_e64 v4, v3, v20, s[4:5]
	v_cndmask_b32_e64 v5, v3, v21, s[34:35]
	v_max3_f32 v4, v4, s44, v5
	v_or_b32_e32 v5, 2, v2
	v_cmp_gt_i32_e64 s[36:37], s33, v5
	v_cmp_gt_i32_e64 s[38:39], s33, v6
	s_nop 0
	v_cndmask_b32_e64 v5, v3, v22, s[36:37]
	v_cndmask_b32_e64 v6, v3, v23, s[38:39]
	v_max3_f32 v4, v4, v5, v6
	v_or_b32_e32 v5, 16, v2
	v_or_b32_e32 v6, 17, v2
	v_cmp_gt_i32_e64 s[24:25], s33, v5
	v_cmp_gt_i32_e64 s[26:27], s33, v6
	s_nop 0
	v_cndmask_b32_e64 v5, v3, v40, s[24:25]
	v_cndmask_b32_e64 v6, v3, v41, s[26:27]
	v_max3_f32 v4, v4, v5, v6
	v_or_b32_e32 v5, 18, v2
	;; [unrolled: 8-line block ×6, first 2 shown]
	v_or_b32_e32 v2, 51, v2
	v_cmp_gt_i32_e32 vcc, s33, v5
	v_cmp_gt_i32_e64 s[6:7], s33, v2
	s_nop 0
	v_cndmask_b32_e32 v5, v3, v18, vcc
	v_cndmask_b32_e64 v2, v3, v19, s[6:7]
	v_max3_f32 v4, v4, v5, v2
	v_mbcnt_lo_u32_b32 v2, -1, 0
	v_mbcnt_hi_u32_b32 v5, -1, v2
	v_and_b32_e32 v2, 64, v5
	v_add_u32_e32 v6, 64, v2
	v_xor_b32_e32 v2, 32, v5
	v_cmp_lt_i32_e64 s[40:41], v2, v6
	s_nop 1
	v_cndmask_b32_e64 v2, v5, v2, s[40:41]
	v_lshlrev_b32_e32 v45, 2, v2
	ds_bpermute_b32 v7, v45, v4
	s_waitcnt vmcnt(2)
	v_mad_i64_i32 v[2:3], s[40:41], v44, s45, v[30:31]
	global_load_dwordx4 v[14:17], v[14:15], off
	s_nop 0
	global_load_dwordx4 v[10:13], v[2:3], off
	v_xor_b32_e32 v3, 16, v5
	v_cmp_lt_i32_e64 s[40:41], v3, v6
	s_waitcnt lgkmcnt(0)
	v_max_f32_e32 v2, v7, v7
	v_max_f32_e32 v2, v4, v2
	v_cndmask_b32_e64 v3, v5, v3, s[40:41]
	v_lshlrev_b32_e32 v48, 2, v3
	ds_bpermute_b32 v3, v48, v2
	s_waitcnt vmcnt(3)
	v_mad_i64_i32 v[46:47], s[40:41], v34, s45, v[30:31]
	s_waitcnt vmcnt(2)
	v_mad_i64_i32 v[30:31], s[40:41], v35, s45, v[30:31]
	s_waitcnt lgkmcnt(0)
	v_max_f32_e32 v3, v3, v3
	v_max_f32_e32 v44, v2, v3
	v_sub_f32_e32 v2, v20, v44
	v_mul_f32_e32 v2, 0x3fb8aa3b, v2
	v_exp_f32_e32 v20, v2
	v_sub_f32_e32 v2, v21, v44
	v_mul_f32_e32 v2, 0x3fb8aa3b, v2
	v_exp_f32_e32 v21, v2
	global_load_dwordx4 v[6:9], v[46:47], off
	global_load_dwordx4 v[2:5], v[30:31], off
	v_sub_f32_e32 v22, v22, v44
	v_mul_f32_e32 v22, 0x3fb8aa3b, v22
	v_sub_f32_e32 v23, v23, v44
	v_exp_f32_e32 v22, v22
	v_mul_f32_e32 v23, 0x3fb8aa3b, v23
	v_exp_f32_e32 v23, v23
	v_cndmask_b32_e64 v20, 0, v20, s[4:5]
	v_add_f32_e32 v30, 0, v20
	v_cndmask_b32_e64 v21, 0, v21, s[34:35]
	v_add_f32_e32 v30, v30, v21
	v_cndmask_b32_e64 v34, 0, v22, s[36:37]
	v_add_f32_e32 v22, v30, v34
	v_cndmask_b32_e64 v35, 0, v23, s[38:39]
	v_sub_f32_e32 v23, v40, v44
	v_sub_f32_e32 v30, v41, v44
	v_mul_f32_e32 v23, 0x3fb8aa3b, v23
	v_mul_f32_e32 v30, 0x3fb8aa3b, v30
	v_exp_f32_e32 v23, v23
	v_exp_f32_e32 v30, v30
	v_add_f32_e32 v31, v22, v35
	v_sub_f32_e32 v32, v32, v44
	v_cndmask_b32_e64 v22, 0, v23, s[24:25]
	v_cndmask_b32_e64 v23, 0, v30, s[26:27]
	v_sub_f32_e32 v30, v36, v44
	v_mul_f32_e32 v30, 0x3fb8aa3b, v30
	v_exp_f32_e32 v30, v30
	v_sub_f32_e32 v36, v37, v44
	v_add_f32_e32 v31, v31, v22
	v_mul_f32_e32 v36, 0x3fb8aa3b, v36
	v_exp_f32_e32 v37, v36
	v_add_f32_e32 v31, v31, v23
	v_cndmask_b32_e64 v36, 0, v30, s[20:21]
	v_add_f32_e32 v30, v31, v36
	v_sub_f32_e32 v31, v38, v44
	v_mul_f32_e32 v31, 0x3fb8aa3b, v31
	v_sub_f32_e32 v38, v39, v44
	v_exp_f32_e32 v31, v31
	v_mul_f32_e32 v38, 0x3fb8aa3b, v38
	v_exp_f32_e32 v38, v38
	v_mul_f32_e32 v32, 0x3fb8aa3b, v32
	v_sub_f32_e32 v33, v33, v44
	v_exp_f32_e32 v32, v32
	v_mul_f32_e32 v33, 0x3fb8aa3b, v33
	v_sub_f32_e32 v24, v24, v44
	v_cndmask_b32_e64 v37, 0, v37, s[22:23]
	v_exp_f32_e32 v33, v33
	v_mul_f32_e32 v24, 0x3fb8aa3b, v24
	v_sub_f32_e32 v25, v25, v44
	v_add_f32_e32 v39, v30, v37
	v_cndmask_b32_e64 v30, 0, v31, s[16:17]
	v_exp_f32_e32 v24, v24
	v_mul_f32_e32 v25, 0x3fb8aa3b, v25
	v_sub_f32_e32 v18, v18, v44
	v_add_f32_e32 v39, v39, v30
	;; [unrolled: 5-line block ×3, first 2 shown]
	v_cndmask_b32_e64 v32, 0, v32, s[12:13]
	v_exp_f32_e32 v18, v18
	v_mul_f32_e32 v19, 0x3fb8aa3b, v19
	v_add_f32_e32 v38, v38, v32
	v_cndmask_b32_e64 v33, 0, v33, s[14:15]
	v_exp_f32_e32 v19, v19
	v_add_f32_e32 v38, v38, v33
	v_cndmask_b32_e64 v24, 0, v24, s[8:9]
	v_add_f32_e32 v38, v38, v24
	v_cndmask_b32_e64 v25, 0, v25, s[10:11]
	v_add_f32_e32 v38, v38, v25
	v_cndmask_b32_e32 v18, 0, v18, vcc
	v_add_f32_e32 v38, v38, v18
	v_cndmask_b32_e64 v19, 0, v19, s[6:7]
	v_add_f32_e32 v38, v38, v19
	ds_bpermute_b32 v39, v45, v38
	v_cmp_gt_u32_e32 vcc, 16, v43
	s_waitcnt lgkmcnt(0)
	s_barrier
	v_add_f32_e32 v38, v38, v39
	ds_bpermute_b32 v40, v48, v38
	v_lshlrev_b32_e32 v39, 2, v28
	s_and_saveexec_b64 s[4:5], vcc
	s_cbranch_execz .LBB882_13
; %bb.12:
	s_waitcnt lgkmcnt(0)
	v_add_f32_e32 v38, v38, v40
	v_lshl_or_b32 v40, v29, 6, v39
	ds_write2st64_b32 v40, v44, v38 offset1:1
.LBB882_13:
	s_or_b64 exec, exec, s[4:5]
	s_load_dword s6, s[0:1], 0x94
	s_waitcnt lgkmcnt(0)
	s_barrier
	ds_read2_b32 v[40:41], v39 offset1:16
	ds_read2_b32 v[44:45], v39 offset0:32 offset1:48
	ds_read2_b32 v[46:47], v39 offset0:64 offset1:80
	s_mul_i32 s7, s29, 15
	s_waitcnt lgkmcnt(2)
	v_max3_f32 v38, v40, s44, v41
	s_waitcnt lgkmcnt(1)
	v_max3_f32 v38, v38, v44, v45
	v_sub_f32_e32 v40, v40, v38
	v_mul_f32_e32 v40, 0x3fb8aa3b, v40
	v_exp_f32_e32 v43, v40
	v_sub_f32_e32 v40, v41, v38
	v_mul_f32_e32 v40, 0x3fb8aa3b, v40
	v_exp_f32_e32 v48, v40
	;; [unrolled: 3-line block ×3, first 2 shown]
	ds_read2_b32 v[40:41], v39 offset0:96 offset1:112
	v_sub_f32_e32 v39, v45, v38
	v_mul_f32_e32 v39, 0x3fb8aa3b, v39
	v_exp_f32_e32 v45, v39
	s_waitcnt lgkmcnt(1)
	v_fma_f32 v39, v43, v46, 0
	v_fmac_f32_e32 v39, v48, v47
	s_waitcnt lgkmcnt(0)
	v_fmac_f32_e32 v39, v44, v40
	v_fmac_f32_e32 v39, v45, v41
	v_add_f32_e32 v40, 0x358637bd, v39
	v_div_scale_f32 v41, s[4:5], v40, v40, 1.0
	v_rcp_f32_e32 v46, v41
	s_barrier
	v_fma_f32 v47, -v41, v46, 1.0
	v_fmac_f32_e32 v46, v47, v46
	v_div_scale_f32 v47, vcc, 1.0, v40, 1.0
	v_mul_f32_e32 v49, v47, v46
	v_fma_f32 v50, -v41, v49, v47
	v_fmac_f32_e32 v49, v50, v46
	v_fma_f32 v41, -v41, v49, v47
	v_div_fmas_f32 v41, v41, v46, v49
	v_cmp_eq_u32_e32 vcc, 1, v29
	v_div_fixup_f32 v40, v41, v40, 1.0
	s_nop 0
	v_cndmask_b32_e32 v41, v43, v48, vcc
	v_cmp_eq_u32_e32 vcc, 2, v29
	s_nop 1
	v_cndmask_b32_e32 v41, v41, v44, vcc
	v_cmp_eq_u32_e32 vcc, 3, v29
	s_nop 1
	v_cndmask_b32_e32 v41, v41, v45, vcc
	v_mul_f32_e32 v40, v41, v40
	v_pk_mul_f32 v[34:35], v[40:41], v[34:35] op_sel_hi:[0,1]
	v_pk_mul_f32 v[20:21], v[40:41], v[20:21] op_sel_hi:[0,1]
	v_cvt_f16_f32_e32 v41, v34
	v_cvt_f16_f32_e32 v35, v35
	;; [unrolled: 1-line block ×4, first 2 shown]
	v_cmp_gt_u32_e32 vcc, 15, v0
	v_pack_b32_f16 v35, v41, v35
	v_lshlrev_b32_e32 v41, 3, v42
	v_pack_b32_f16 v34, v20, v21
	v_pk_mul_f32 v[20:21], v[40:41], v[36:37] op_sel_hi:[0,1]
	v_pk_mul_f32 v[22:23], v[40:41], v[22:23] op_sel_hi:[0,1]
	v_cvt_f16_f32_e32 v22, v22
	v_cvt_f16_f32_e32 v23, v23
	;; [unrolled: 1-line block ×4, first 2 shown]
	v_lshlrev_b32_e32 v20, 11, v29
	v_or3_b32 v20, v20, v27, v41
	v_pack_b32_f16 v22, v22, v23
	v_pack_b32_f16 v23, v36, v21
	ds_write2st64_b64 v20, v[34:35], v[22:23] offset1:1
	v_pk_mul_f32 v[22:23], v[40:41], v[32:33] op_sel_hi:[0,1]
	v_pk_mul_f32 v[30:31], v[40:41], v[30:31] op_sel_hi:[0,1]
	v_cvt_f16_f32_e32 v21, v30
	v_cvt_f16_f32_e32 v29, v31
	;; [unrolled: 1-line block ×4, first 2 shown]
	v_pk_mul_f32 v[18:19], v[40:41], v[18:19] op_sel_hi:[0,1]
	v_pk_mul_f32 v[22:23], v[40:41], v[24:25] op_sel_hi:[0,1]
	v_cvt_f16_f32_e32 v22, v22
	v_cvt_f16_f32_e32 v23, v23
	;; [unrolled: 1-line block ×4, first 2 shown]
	v_pack_b32_f16 v18, v21, v29
	v_pack_b32_f16 v19, v30, v31
	;; [unrolled: 1-line block ×4, first 2 shown]
	ds_write2st64_b64 v20, v[18:19], v[22:23] offset0:2 offset1:3
	s_and_saveexec_b64 s[4:5], vcc
	s_cbranch_execz .LBB882_15
; %bb.14:
	s_mov_b32 s49, 0
	v_mov_b32_e32 v29, 0
	v_lshl_add_u64 v[18:19], s[48:49], 0, v[28:29]
	v_mov_b32_e32 v21, s7
	v_mad_u64_u32 v[18:19], s[12:13], s2, v21, v[18:19]
	s_mul_i32 s3, s3, s7
	v_mov_b32_e32 v28, s28
	s_load_dwordx4 s[8:11], s[0:1], 0x58
	v_add_u32_e32 v21, s3, v19
	v_mad_u64_u32 v[18:19], s[12:13], v18, s6, v[28:29]
	v_mov_b32_e32 v22, v19
	v_mad_u64_u32 v[22:23], s[12:13], v21, s6, v[22:23]
	v_mov_b32_e32 v19, v22
	v_lshlrev_b64 v[18:19], 2, v[18:19]
	s_waitcnt lgkmcnt(0)
	v_lshl_add_u64 v[22:23], s[10:11], 0, v[18:19]
	v_lshl_add_u64 v[18:19], s[8:9], 0, v[18:19]
	global_store_dword v[22:23], v38, off
	global_store_dword v[18:19], v39, off
.LBB882_15:
	s_or_b64 exec, exec, s[4:5]
	s_waitcnt vmcnt(3)
	v_cvt_pk_f32_fp8_e32 v[18:19], v14
	v_cvt_pk_f32_fp8_sdwa v[22:23], v14 src0_sel:WORD_1
	v_cvt_pk_f32_fp8_e32 v[24:25], v15
	v_lshl_or_b32 v14, v42, 9, v27
	s_waitcnt lgkmcnt(0)
	s_barrier
	v_cvt_pkrtz_f16_f32 v18, v18, v19
	v_cvt_pkrtz_f16_f32 v19, v22, v23
	v_cvt_pk_f32_fp8_sdwa v[28:29], v15 src0_sel:WORD_1
	v_cvt_pkrtz_f16_f32 v36, v24, v25
	ds_read_b128 v[22:25], v14
	v_cvt_pk_f32_fp8_e32 v[38:39], v16
	v_cvt_pkrtz_f16_f32 v37, v28, v29
	ds_read_b128 v[28:31], v14 offset:16
	v_cvt_pk_f32_fp8_sdwa v[40:41], v16 src0_sel:WORD_1
	s_waitcnt lgkmcnt(1)
	v_mfma_f32_16x16x16_f16 v[32:35], v[18:19], v[22:23], 0
	v_cvt_pkrtz_f16_f32 v18, v38, v39
	v_cvt_pk_f32_fp8_e32 v[38:39], v17
	v_cvt_pkrtz_f16_f32 v19, v40, v41
	v_mfma_f32_16x16x16_f16 v[22:25], v[36:37], v[24:25], v[32:35]
	s_waitcnt vmcnt(2)
	v_cvt_pk_f32_fp8_sdwa v[36:37], v12 src0_sel:WORD_1
	s_load_dword s4, s[42:43], 0x0
	v_cmp_gt_u32_e32 vcc, 64, v0
	v_cvt_pk_f32_fp8_sdwa v[32:33], v17 src0_sel:WORD_1
	v_cvt_pkrtz_f16_f32 v34, v38, v39
	s_waitcnt lgkmcnt(0)
	v_mfma_f32_16x16x16_f16 v[16:19], v[18:19], v[28:29], v[22:25]
	v_cvt_pk_f32_fp8_e32 v[28:29], v11
	v_cvt_pkrtz_f16_f32 v35, v32, v33
	s_mov_b32 s3, 0
	v_cvt_pk_f32_fp8_e32 v[22:23], v10
	v_cvt_pk_f32_fp8_sdwa v[24:25], v10 src0_sel:WORD_1
	v_mfma_f32_16x16x16_f16 v[16:19], v[34:35], v[30:31], v[16:19]
	v_cvt_pkrtz_f16_f32 v10, v22, v23
	v_cvt_pk_f32_fp8_sdwa v[30:31], v11 src0_sel:WORD_1
	v_cvt_pkrtz_f16_f32 v11, v24, v25
	ds_read_b128 v[22:25], v14 offset:2048
	v_cvt_pkrtz_f16_f32 v32, v28, v29
	v_cvt_pkrtz_f16_f32 v33, v30, v31
	ds_read_b128 v[28:31], v14 offset:2064
	v_cvt_pk_f32_fp8_e32 v[34:35], v12
	s_waitcnt lgkmcnt(1)
	v_mfma_f32_16x16x16_f16 v[16:19], v[10:11], v[22:23], v[16:19]
	v_cvt_pkrtz_f16_f32 v11, v36, v37
	v_cvt_pk_f32_fp8_e32 v[22:23], v13
	v_cvt_pkrtz_f16_f32 v10, v34, v35
	v_mfma_f32_16x16x16_f16 v[16:19], v[32:33], v[24:25], v[16:19]
	v_cvt_pk_f32_fp8_sdwa v[24:25], v13 src0_sel:WORD_1
	v_cvt_pkrtz_f16_f32 v22, v22, v23
	s_waitcnt vmcnt(1)
	v_cvt_pk_f32_fp8_sdwa v[32:33], v8 src0_sel:WORD_1
	s_waitcnt lgkmcnt(0)
	v_mfma_f32_16x16x16_f16 v[10:13], v[10:11], v[28:29], v[16:19]
	v_cvt_pkrtz_f16_f32 v23, v24, v25
	v_cvt_pk_f32_fp8_sdwa v[24:25], v7 src0_sel:WORD_1
	v_mov_b32_e32 v27, 0
	v_cvt_pk_f32_fp8_e32 v[16:17], v6
	v_cvt_pk_f32_fp8_sdwa v[18:19], v6 src0_sel:WORD_1
	v_mfma_f32_16x16x16_f16 v[10:13], v[22:23], v[30:31], v[10:13]
	v_cvt_pk_f32_fp8_e32 v[22:23], v7
	v_cvt_pkrtz_f16_f32 v6, v16, v17
	v_cvt_pkrtz_f16_f32 v7, v18, v19
	ds_read_b128 v[16:19], v14 offset:4096
	v_cvt_pkrtz_f16_f32 v28, v22, v23
	v_cvt_pkrtz_f16_f32 v29, v24, v25
	ds_read_b128 v[22:25], v14 offset:4112
	v_cvt_pk_f32_fp8_e32 v[30:31], v8
	s_waitcnt lgkmcnt(1)
	v_mfma_f32_16x16x16_f16 v[10:13], v[6:7], v[16:17], v[10:13]
	v_cvt_pkrtz_f16_f32 v7, v32, v33
	v_cvt_pk_f32_fp8_e32 v[16:17], v9
	v_cvt_pkrtz_f16_f32 v6, v30, v31
	v_mfma_f32_16x16x16_f16 v[10:13], v[28:29], v[18:19], v[10:13]
	v_cvt_pk_f32_fp8_sdwa v[18:19], v9 src0_sel:WORD_1
	v_cvt_pkrtz_f16_f32 v16, v16, v17
	v_cvt_pkrtz_f16_f32 v17, v18, v19
	s_waitcnt lgkmcnt(0)
	v_mfma_f32_16x16x16_f16 v[6:9], v[6:7], v[22:23], v[10:13]
	s_waitcnt vmcnt(0)
	v_cvt_pk_f32_fp8_sdwa v[18:19], v3 src0_sel:WORD_1
	s_nop 0
	v_cvt_pkrtz_f16_f32 v23, v18, v19
	v_cvt_pk_f32_fp8_e32 v[10:11], v2
	v_cvt_pk_f32_fp8_sdwa v[12:13], v2 src0_sel:WORD_1
	v_mfma_f32_16x16x16_f16 v[6:9], v[16:17], v[24:25], v[6:9]
	v_cvt_pk_f32_fp8_e32 v[16:17], v3
	v_cvt_pkrtz_f16_f32 v2, v10, v11
	v_cvt_pkrtz_f16_f32 v3, v12, v13
	ds_read_b128 v[10:13], v14 offset:6144
	v_cvt_pkrtz_f16_f32 v22, v16, v17
	v_cvt_pk_f32_fp8_e32 v[18:19], v4
	v_cvt_pk_f32_fp8_sdwa v[24:25], v4 src0_sel:WORD_1
	s_waitcnt lgkmcnt(0)
	v_mfma_f32_16x16x16_f16 v[6:9], v[2:3], v[10:11], v[6:9]
	ds_read_b128 v[14:17], v14 offset:6160
	v_cvt_pkrtz_f16_f32 v2, v18, v19
	v_cvt_pkrtz_f16_f32 v3, v24, v25
	v_cvt_pk_f32_fp8_e32 v[10:11], v5
	v_mfma_f32_16x16x16_f16 v[6:9], v[22:23], v[12:13], v[6:9]
	v_cvt_pk_f32_fp8_sdwa v[12:13], v5 src0_sel:WORD_1
	s_waitcnt lgkmcnt(0)
	v_cvt_pkrtz_f16_f32 v10, v10, v11
	v_mfma_f32_16x16x16_f16 v[2:5], v[2:3], v[14:15], v[6:9]
	v_cvt_pkrtz_f16_f32 v11, v12, v13
	s_barrier
	s_nop 0
	v_mfma_f32_16x16x16_f16 v[2:5], v[10:11], v[16:17], v[2:5]
	s_nop 6
	v_pk_mul_f32 v[4:5], v[4:5], s[4:5] op_sel_hi:[1,0]
	v_pk_mul_f32 v[2:3], v[2:3], s[4:5] op_sel_hi:[1,0]
	v_cvt_f16_f32_e32 v4, v4
	v_cvt_f16_f32_e32 v2, v2
	;; [unrolled: 1-line block ×4, first 2 shown]
	s_and_b64 s[4:5], vcc, s[30:31]
	v_pack_b32_f16 v2, v2, v3
	v_pack_b32_f16 v3, v4, v5
	ds_write_b64 v20, v[2:3]
	s_waitcnt lgkmcnt(0)
	s_barrier
	s_and_saveexec_b64 s[8:9], s[4:5]
	s_cbranch_execz .LBB882_18
; %bb.16:
	s_load_dwordx2 s[4:5], s[0:1], 0x68
	s_lshl_b32 s0, s6, 6
	s_mul_i32 s1, s7, s2
	s_mul_hi_u32 s7, s1, s0
	s_mul_i32 s6, s1, s0
	v_lshlrev_b32_e32 v0, 10, v0
	s_lshl_b64 s[6:7], s[6:7], 1
	v_and_b32_e32 v0, 0x1800, v0
	v_lshlrev_b32_e32 v2, 5, v42
	v_and_b32_e32 v1, 16, v1
	s_waitcnt lgkmcnt(0)
	s_add_u32 s1, s4, s6
	v_or3_b32 v2, v0, v2, v1
	s_addc_u32 s4, s5, s7
	s_lshl_b32 s2, s28, 6
	ds_read_b128 v[4:7], v2 offset:256
	s_lshl_b64 s[2:3], s[2:3], 1
	ds_read_b128 v[8:11], v2 offset:128
	ds_read_b128 v[12:15], v2
	s_add_u32 s2, s1, s2
	s_addc_u32 s3, s4, s3
	v_add_u32_e32 v3, s48, v42
	v_lshl_add_u64 v[0:1], s[2:3], 0, v[26:27]
	v_mad_u64_u32 v[16:17], s[2:3], v3, s0, 0
	v_lshl_add_u64 v[16:17], v[16:17], 1, v[0:1]
	s_waitcnt lgkmcnt(0)
	global_store_dwordx4 v[16:17], v[12:15], off
	v_cmp_ne_u32_e32 vcc, 3, v42
	s_nop 0
	v_add_u32_e32 v12, 4, v3
	v_mad_u64_u32 v[12:13], s[2:3], v12, s0, 0
	v_lshl_add_u64 v[12:13], v[12:13], 1, v[0:1]
	v_add_u32_e32 v3, 8, v3
	global_store_dwordx4 v[12:13], v[8:11], off
	s_nop 1
	v_mad_u64_u32 v[8:9], s[2:3], v3, s0, 0
	v_lshl_add_u64 v[8:9], v[8:9], 1, v[0:1]
	global_store_dwordx4 v[8:9], v[4:7], off
	s_and_b64 exec, exec, vcc
	s_cbranch_execz .LBB882_18
; %bb.17:
	ds_read_b128 v[2:5], v2 offset:384
	v_add3_u32 v6, s48, v42, 12
	v_mad_u64_u32 v[6:7], s[0:1], v6, s0, 0
	v_lshl_add_u64 v[0:1], v[6:7], 1, v[0:1]
	s_waitcnt lgkmcnt(0)
	global_store_dwordx4 v[0:1], v[2:5], off
.LBB882_18:
	s_endpgm
	.section	.rodata,"a",@progbits
	.p2align	6, 0x0
	.amdhsa_kernel _Z39paged_attention_ll4mi_QKV_mfma16_kernelIDF16_hLN4vllm18Fp8KVCacheDataTypeE1EhLi32ELi64ELi256ELb0ELi15EEvPKT_PKT0_S7_ifPKiS9_S9_iPKfiiiPfSC_PS2_PT2_iSB_SB_
		.amdhsa_group_segment_fixed_size 8192
		.amdhsa_private_segment_fixed_size 0
		.amdhsa_kernarg_size 400
		.amdhsa_user_sgpr_count 2
		.amdhsa_user_sgpr_dispatch_ptr 0
		.amdhsa_user_sgpr_queue_ptr 0
		.amdhsa_user_sgpr_kernarg_segment_ptr 1
		.amdhsa_user_sgpr_dispatch_id 0
		.amdhsa_user_sgpr_kernarg_preload_length 0
		.amdhsa_user_sgpr_kernarg_preload_offset 0
		.amdhsa_user_sgpr_private_segment_size 0
		.amdhsa_uses_dynamic_stack 0
		.amdhsa_enable_private_segment 0
		.amdhsa_system_sgpr_workgroup_id_x 1
		.amdhsa_system_sgpr_workgroup_id_y 1
		.amdhsa_system_sgpr_workgroup_id_z 1
		.amdhsa_system_sgpr_workgroup_info 0
		.amdhsa_system_vgpr_workitem_id 0
		.amdhsa_next_free_vgpr 54
		.amdhsa_next_free_sgpr 50
		.amdhsa_accum_offset 56
		.amdhsa_reserve_vcc 1
		.amdhsa_float_round_mode_32 0
		.amdhsa_float_round_mode_16_64 0
		.amdhsa_float_denorm_mode_32 3
		.amdhsa_float_denorm_mode_16_64 3
		.amdhsa_dx10_clamp 1
		.amdhsa_ieee_mode 1
		.amdhsa_fp16_overflow 0
		.amdhsa_tg_split 0
		.amdhsa_exception_fp_ieee_invalid_op 0
		.amdhsa_exception_fp_denorm_src 0
		.amdhsa_exception_fp_ieee_div_zero 0
		.amdhsa_exception_fp_ieee_overflow 0
		.amdhsa_exception_fp_ieee_underflow 0
		.amdhsa_exception_fp_ieee_inexact 0
		.amdhsa_exception_int_div_zero 0
	.end_amdhsa_kernel
	.section	.text._Z39paged_attention_ll4mi_QKV_mfma16_kernelIDF16_hLN4vllm18Fp8KVCacheDataTypeE1EhLi32ELi64ELi256ELb0ELi15EEvPKT_PKT0_S7_ifPKiS9_S9_iPKfiiiPfSC_PS2_PT2_iSB_SB_,"axG",@progbits,_Z39paged_attention_ll4mi_QKV_mfma16_kernelIDF16_hLN4vllm18Fp8KVCacheDataTypeE1EhLi32ELi64ELi256ELb0ELi15EEvPKT_PKT0_S7_ifPKiS9_S9_iPKfiiiPfSC_PS2_PT2_iSB_SB_,comdat
.Lfunc_end882:
	.size	_Z39paged_attention_ll4mi_QKV_mfma16_kernelIDF16_hLN4vllm18Fp8KVCacheDataTypeE1EhLi32ELi64ELi256ELb0ELi15EEvPKT_PKT0_S7_ifPKiS9_S9_iPKfiiiPfSC_PS2_PT2_iSB_SB_, .Lfunc_end882-_Z39paged_attention_ll4mi_QKV_mfma16_kernelIDF16_hLN4vllm18Fp8KVCacheDataTypeE1EhLi32ELi64ELi256ELb0ELi15EEvPKT_PKT0_S7_ifPKiS9_S9_iPKfiiiPfSC_PS2_PT2_iSB_SB_
                                        ; -- End function
	.section	.AMDGPU.csdata,"",@progbits
; Kernel info:
; codeLenInByte = 4740
; NumSgprs: 56
; NumVgprs: 54
; NumAgprs: 0
; TotalNumVgprs: 54
; ScratchSize: 0
; MemoryBound: 0
; FloatMode: 240
; IeeeMode: 1
; LDSByteSize: 8192 bytes/workgroup (compile time only)
; SGPRBlocks: 6
; VGPRBlocks: 6
; NumSGPRsForWavesPerEU: 56
; NumVGPRsForWavesPerEU: 54
; AccumOffset: 56
; Occupancy: 8
; WaveLimiterHint : 1
; COMPUTE_PGM_RSRC2:SCRATCH_EN: 0
; COMPUTE_PGM_RSRC2:USER_SGPR: 2
; COMPUTE_PGM_RSRC2:TRAP_HANDLER: 0
; COMPUTE_PGM_RSRC2:TGID_X_EN: 1
; COMPUTE_PGM_RSRC2:TGID_Y_EN: 1
; COMPUTE_PGM_RSRC2:TGID_Z_EN: 1
; COMPUTE_PGM_RSRC2:TIDIG_COMP_CNT: 0
; COMPUTE_PGM_RSRC3_GFX90A:ACCUM_OFFSET: 13
; COMPUTE_PGM_RSRC3_GFX90A:TG_SPLIT: 0
	.section	.text._Z39paged_attention_ll4mi_QKV_mfma16_kernelIDF16_hLN4vllm18Fp8KVCacheDataTypeE1EhLi32ELi64ELi256ELb0ELi16EEvPKT_PKT0_S7_ifPKiS9_S9_iPKfiiiPfSC_PS2_PT2_iSB_SB_,"axG",@progbits,_Z39paged_attention_ll4mi_QKV_mfma16_kernelIDF16_hLN4vllm18Fp8KVCacheDataTypeE1EhLi32ELi64ELi256ELb0ELi16EEvPKT_PKT0_S7_ifPKiS9_S9_iPKfiiiPfSC_PS2_PT2_iSB_SB_,comdat
	.protected	_Z39paged_attention_ll4mi_QKV_mfma16_kernelIDF16_hLN4vllm18Fp8KVCacheDataTypeE1EhLi32ELi64ELi256ELb0ELi16EEvPKT_PKT0_S7_ifPKiS9_S9_iPKfiiiPfSC_PS2_PT2_iSB_SB_ ; -- Begin function _Z39paged_attention_ll4mi_QKV_mfma16_kernelIDF16_hLN4vllm18Fp8KVCacheDataTypeE1EhLi32ELi64ELi256ELb0ELi16EEvPKT_PKT0_S7_ifPKiS9_S9_iPKfiiiPfSC_PS2_PT2_iSB_SB_
	.globl	_Z39paged_attention_ll4mi_QKV_mfma16_kernelIDF16_hLN4vllm18Fp8KVCacheDataTypeE1EhLi32ELi64ELi256ELb0ELi16EEvPKT_PKT0_S7_ifPKiS9_S9_iPKfiiiPfSC_PS2_PT2_iSB_SB_
	.p2align	8
	.type	_Z39paged_attention_ll4mi_QKV_mfma16_kernelIDF16_hLN4vllm18Fp8KVCacheDataTypeE1EhLi32ELi64ELi256ELb0ELi16EEvPKT_PKT0_S7_ifPKiS9_S9_iPKfiiiPfSC_PS2_PT2_iSB_SB_,@function
_Z39paged_attention_ll4mi_QKV_mfma16_kernelIDF16_hLN4vllm18Fp8KVCacheDataTypeE1EhLi32ELi64ELi256ELb0ELi16EEvPKT_PKT0_S7_ifPKiS9_S9_iPKfiiiPfSC_PS2_PT2_iSB_SB_: ; @_Z39paged_attention_ll4mi_QKV_mfma16_kernelIDF16_hLN4vllm18Fp8KVCacheDataTypeE1EhLi32ELi64ELi256ELb0ELi16EEvPKT_PKT0_S7_ifPKiS9_S9_iPKfiiiPfSC_PS2_PT2_iSB_SB_
; %bb.0:
	s_load_dwordx2 s[12:13], s[0:1], 0x30
	s_mov_b32 s28, s3
	s_mov_b64 s[6:7], 0
	s_waitcnt lgkmcnt(0)
	s_cmp_lg_u64 s[12:13], 0
	s_cselect_b64 s[14:15], -1, 0
	s_and_b64 vcc, exec, s[14:15]
	s_cbranch_vccz .LBB883_7
; %bb.1:
	s_add_i32 s8, s2, 1
	s_mov_b32 s9, 0
	s_lshl_b64 s[10:11], s[8:9], 2
	s_add_u32 s10, s12, s10
	s_mov_b32 s3, s9
	s_addc_u32 s11, s13, s11
	s_lshl_b64 s[8:9], s[2:3], 2
	s_add_u32 s8, s12, s8
	s_addc_u32 s9, s13, s9
	s_load_dword s5, s[10:11], 0x0
	s_load_dword s16, s[8:9], 0x0
	s_waitcnt lgkmcnt(0)
	s_sub_i32 s5, s5, s16
	s_cmp_eq_u32 s5, 1
	s_cselect_b64 s[8:9], -1, 0
	s_andn2_b64 vcc, exec, s[6:7]
	s_cbranch_vccnz .LBB883_3
.LBB883_2:
	s_mov_b32 s3, 0
	s_mov_b64 s[8:9], -1
.LBB883_3:
	s_andn2_b64 vcc, exec, s[8:9]
	s_cbranch_vccnz .LBB883_17
; %bb.4:
	s_load_dwordx2 s[6:7], s[0:1], 0x28
	s_lshl_b64 s[16:17], s[2:3], 2
	s_waitcnt lgkmcnt(0)
	s_add_u32 s6, s6, s16
	s_addc_u32 s7, s7, s17
	s_load_dword s48, s[6:7], 0x0
	s_lshl_b32 s5, s28, 8
	s_waitcnt lgkmcnt(0)
	s_cmp_ge_i32 s5, s48
	s_cbranch_scc1 .LBB883_17
; %bb.5:
	s_load_dwordx2 s[6:7], s[0:1], 0x20
	s_load_dword s8, s[0:1], 0x38
	s_add_i32 s9, s48, 31
	s_ashr_i32 s10, s9, 31
	v_and_b32_e32 v1, 0xcf, v0
	s_lshr_b32 s10, s10, 27
	v_add_u32_e32 v1, s5, v1
	s_add_i32 s9, s9, s10
	v_ashrrev_i32_e32 v2, 31, v1
	s_ashr_i32 s18, s9, 5
	v_lshrrev_b32_e32 v10, 27, v2
	s_add_i32 s18, s18, -1
	s_waitcnt lgkmcnt(0)
	s_mul_i32 s8, s2, s8
	s_mov_b32 s9, 0
	v_add_u32_e32 v2, v1, v10
	s_lshl_b64 s[8:9], s[8:9], 2
	v_ashrrev_i32_e32 v2, 5, v2
	v_mov_b32_e32 v11, s18
	v_cmp_gt_i32_e32 vcc, s48, v1
	s_add_u32 s6, s6, s8
	s_addc_u32 s7, s7, s9
	v_cndmask_b32_e32 v2, v11, v2, vcc
	v_ashrrev_i32_e32 v3, 31, v2
	v_lshl_add_u64 v[4:5], v[2:3], 2, s[6:7]
	v_or_b32_e32 v2, 16, v1
	v_add_u32_e32 v3, v2, v10
	v_ashrrev_i32_e32 v3, 5, v3
	v_cmp_gt_i32_e32 vcc, s48, v2
	s_load_dwordx4 s[8:11], s[0:1], 0x8
	s_nop 0
	v_cndmask_b32_e32 v2, v11, v3, vcc
	v_ashrrev_i32_e32 v3, 31, v2
	v_lshl_add_u64 v[6:7], v[2:3], 2, s[6:7]
	v_or_b32_e32 v2, 32, v1
	v_add_u32_e32 v3, v2, v10
	v_ashrrev_i32_e32 v3, 5, v3
	v_cmp_gt_i32_e32 vcc, s48, v2
	v_or_b32_e32 v1, 48, v1
	s_nop 0
	v_cndmask_b32_e32 v2, v11, v3, vcc
	v_ashrrev_i32_e32 v3, 31, v2
	v_lshl_add_u64 v[8:9], v[2:3], 2, s[6:7]
	v_add_u32_e32 v2, v1, v10
	v_ashrrev_i32_e32 v2, 5, v2
	v_cmp_gt_i32_e32 vcc, s48, v1
	s_nop 1
	v_cndmask_b32_e32 v2, v11, v2, vcc
	v_ashrrev_i32_e32 v3, 31, v2
	v_lshl_add_u64 v[10:11], v[2:3], 2, s[6:7]
	global_load_dword v3, v[4:5], off
	global_load_dword v2, v[6:7], off
	global_load_dword v14, v[8:9], off
	global_load_dword v18, v[10:11], off
	s_andn2_b64 vcc, exec, s[14:15]
	s_cbranch_vccnz .LBB883_8
; %bb.6:
	s_add_u32 s12, s12, s16
	s_addc_u32 s13, s13, s17
	s_load_dword s14, s[12:13], 0x0
	s_branch .LBB883_9
.LBB883_7:
	s_mov_b64 s[8:9], 0
	s_branch .LBB883_2
.LBB883_8:
	s_mov_b32 s14, s2
.LBB883_9:
	s_load_dwordx4 s[44:47], s[0:1], 0x48
	v_and_b32_e32 v45, 15, v0
	s_movk_i32 s12, 0x100
	v_lshlrev_b32_e32 v4, 3, v45
	v_cmp_gt_u32_e32 vcc, s12, v0
	v_cmp_gt_u32_e64 s[30:31], 8, v45
	v_lshrrev_b32_e32 v43, 6, v0
	v_and_b32_e32 v44, 63, v0
	v_bfe_u32 v1, v0, 4, 2
	s_lshl_b32 s29, s4, 4
	s_and_b64 s[16:17], vcc, s[30:31]
	v_lshlrev_b32_e32 v26, 1, v4
	v_lshlrev_b32_e32 v42, 4, v0
	s_and_saveexec_b64 s[12:13], s[16:17]
	s_cbranch_execz .LBB883_11
; %bb.10:
	s_load_dwordx2 s[16:17], s[0:1], 0x0
	s_waitcnt lgkmcnt(0)
	s_ashr_i32 s15, s44, 31
	s_mul_hi_u32 s19, s14, s44
	s_mul_i32 s15, s14, s15
	s_add_i32 s15, s19, s15
	s_mul_i32 s14, s14, s44
	v_lshl_or_b32 v8, v43, 2, v1
	s_lshl_b64 s[14:15], s[14:15], 1
	s_add_u32 s14, s16, s14
	v_add_lshl_u32 v4, v8, s29, 6
	s_addc_u32 s15, s17, s15
	v_ashrrev_i32_e32 v5, 31, v4
	v_lshl_add_u64 v[4:5], v[4:5], 1, s[14:15]
	v_mov_b32_e32 v27, 0
	v_lshl_add_u64 v[4:5], v[4:5], 0, v[26:27]
	global_load_dwordx4 v[4:7], v[4:5], off
	v_lshlrev_b32_e32 v10, 8, v45
	v_lshlrev_b32_e32 v8, 5, v8
	v_and_b32_e32 v9, 16, v42
	v_and_b32_e32 v10, 0xe00, v10
	v_or3_b32 v8, v10, v8, v9
	s_waitcnt vmcnt(0)
	ds_write_b128 v8, v[4:7]
.LBB883_11:
	s_or_b64 exec, exec, s[12:13]
	s_waitcnt lgkmcnt(0)
	s_mul_i32 s4, s4, s46
	s_add_u32 s8, s8, s4
	s_addc_u32 s9, s9, 0
	v_mov_b32_e32 v29, 0
	v_mov_b64_e32 v[20:21], s[8:9]
	v_and_b32_e32 v6, 48, v0
	s_waitcnt vmcnt(3)
	v_mad_i64_i32 v[4:5], s[8:9], v3, s45, v[20:21]
	v_lshlrev_b32_e32 v16, 4, v45
	v_mov_b32_e32 v17, v29
	v_lshlrev_b32_e32 v28, 5, v6
	v_lshl_add_u64 v[4:5], v[4:5], 0, v[16:17]
	v_lshl_add_u64 v[4:5], v[4:5], 0, v[28:29]
	s_load_dword s33, s[0:1], 0x98
	s_load_dwordx4 s[40:43], s[0:1], 0x80
	s_waitcnt lgkmcnt(0)
	s_barrier
	global_load_dwordx4 v[22:25], v[4:5], off
	s_waitcnt vmcnt(3)
	v_mad_i64_i32 v[2:3], s[8:9], v2, s45, v[20:21]
	v_or_b32_e32 v30, 0x100, v16
	v_mov_b32_e32 v31, v29
	v_lshl_add_u64 v[2:3], v[2:3], 0, v[30:31]
	v_lshl_add_u64 v[2:3], v[2:3], 0, v[28:29]
	global_load_dwordx4 v[10:13], v[2:3], off
	s_ashr_i32 s8, s5, 31
	v_or_b32_e32 v19, s5, v6
	s_lshr_b32 s12, s8, 27
	v_add_u32_e32 v2, s12, v19
	v_ashrrev_i32_e32 v2, 5, v2
	v_mov_b32_e32 v33, s18
	v_cmp_gt_i32_e32 vcc, s48, v19
	s_waitcnt vmcnt(3)
	v_mad_i64_i32 v[14:15], s[8:9], v14, s45, v[20:21]
	v_cndmask_b32_e32 v2, v33, v2, vcc
	v_ashrrev_i32_e32 v3, 31, v2
	v_lshlrev_b32_e32 v46, 5, v45
	v_lshl_add_u64 v[14:15], v[14:15], 0, v[16:17]
	v_lshl_add_u64 v[2:3], v[2:3], 2, s[6:7]
	v_lshl_or_b32 v27, v1, 9, v46
	v_lshl_add_u64 v[14:15], v[14:15], 0, v[28:29]
	global_load_dword v54, v[2:3], off
	ds_read_b128 v[6:9], v27
	ds_read_b128 v[2:5], v27 offset:16
	global_load_dwordx4 v[14:17], v[14:15], off
	v_or_b32_e32 v32, 64, v19
	v_or_b32_e32 v34, 0x80, v19
	;; [unrolled: 1-line block ×3, first 2 shown]
	s_waitcnt vmcnt(4)
	v_mad_i64_i32 v[18:19], s[8:9], v18, s45, v[20:21]
	v_add_u32_e32 v20, s12, v32
	v_add_u32_e32 v21, s12, v34
	v_lshl_add_u64 v[18:19], v[18:19], 0, v[30:31]
	v_ashrrev_i32_e32 v20, 5, v20
	v_cmp_gt_i32_e32 vcc, s48, v32
	v_ashrrev_i32_e32 v21, 5, v21
	v_lshl_add_u64 v[18:19], v[18:19], 0, v[28:29]
	v_cndmask_b32_e32 v30, v33, v20, vcc
	v_cmp_gt_i32_e32 vcc, s48, v34
	v_add_u32_e32 v36, s12, v35
	v_ashrrev_i32_e32 v31, 5, v36
	v_cndmask_b32_e32 v32, v33, v21, vcc
	global_load_dwordx4 v[18:21], v[18:19], off
	v_cmp_gt_i32_e32 vcc, s48, v35
	s_add_u32 s8, s10, s4
	s_load_dword s4, s[40:41], 0x0
	v_cndmask_b32_e32 v34, v33, v31, vcc
	v_ashrrev_i32_e32 v31, 31, v30
	v_ashrrev_i32_e32 v33, 31, v32
	;; [unrolled: 1-line block ×3, first 2 shown]
	v_lshl_add_u64 v[30:31], v[30:31], 2, s[6:7]
	v_lshl_add_u64 v[32:33], v[32:33], 2, s[6:7]
	;; [unrolled: 1-line block ×3, first 2 shown]
	global_load_dword v49, v[30:31], off
	global_load_dword v47, v[32:33], off
	;; [unrolled: 1-line block ×3, first 2 shown]
	s_addc_u32 s9, s11, 0
	v_and_b32_e32 v28, 16, v0
	v_lshl_add_u64 v[36:37], s[8:9], 0, v[28:29]
	v_lshl_or_b32 v28, v43, 9, v46
	v_lshl_add_u64 v[28:29], v[36:37], 0, v[28:29]
	s_load_dword s13, s[0:1], 0x1c
	s_mov_b32 s44, 0xff7fffff
	s_waitcnt vmcnt(7)
	v_cvt_pk_f32_fp8_e32 v[30:31], v22
	v_cvt_pk_f32_fp8_sdwa v[32:33], v22 src0_sel:WORD_1
	v_cvt_pk_f32_fp8_e32 v[34:35], v23
	v_cvt_pk_f32_fp8_sdwa v[22:23], v23 src0_sel:WORD_1
	v_cvt_pkrtz_f16_f32 v30, v30, v31
	v_cvt_pkrtz_f16_f32 v31, v32, v33
	v_cvt_pk_f32_fp8_e32 v[36:37], v24
	v_cvt_pk_f32_fp8_sdwa v[38:39], v24 src0_sel:WORD_1
	v_cvt_pkrtz_f16_f32 v34, v34, v35
	v_cvt_pkrtz_f16_f32 v35, v22, v23
	v_cvt_pk_f32_fp8_e32 v[40:41], v25
	v_cvt_pk_f32_fp8_sdwa v[32:33], v25 src0_sel:WORD_1
	s_waitcnt lgkmcnt(0)
	v_mfma_f32_16x16x16_f16 v[22:25], v[30:31], v[6:7], 0
	v_cvt_pkrtz_f16_f32 v30, v36, v37
	v_cvt_pkrtz_f16_f32 v31, v38, v39
	s_waitcnt vmcnt(6)
	v_cvt_pk_f32_fp8_e32 v[50:51], v10
	v_cvt_pk_f32_fp8_sdwa v[52:53], v10 src0_sel:WORD_1
	v_mfma_f32_16x16x16_f16 v[22:25], v[34:35], v[8:9], v[22:25]
	v_cvt_pk_f32_fp8_e32 v[34:35], v11
	v_cvt_pkrtz_f16_f32 v36, v40, v41
	v_cvt_pkrtz_f16_f32 v37, v32, v33
	v_mfma_f32_16x16x16_f16 v[30:33], v[30:31], v[2:3], v[22:25]
	v_cvt_pk_f32_fp8_sdwa v[10:11], v11 src0_sel:WORD_1
	v_cvt_pkrtz_f16_f32 v38, v34, v35
	v_cvt_pk_f32_fp8_e32 v[40:41], v12
	v_cvt_pkrtz_f16_f32 v24, v50, v51
	v_cvt_pkrtz_f16_f32 v25, v52, v53
	v_cvt_pk_f32_fp8_sdwa v[50:51], v12 src0_sel:WORD_1
	v_cvt_pkrtz_f16_f32 v39, v10, v11
	v_mfma_f32_16x16x16_f16 v[30:33], v[36:37], v[4:5], v[30:33]
	s_waitcnt vmcnt(4)
	v_cvt_pk_f32_fp8_sdwa v[52:53], v17 src0_sel:WORD_1
	v_mad_i64_i32 v[22:23], s[6:7], v54, s45, v[28:29]
	v_mfma_f32_16x16x16_f16 v[34:37], v[24:25], v[6:7], 0
	v_cvt_pkrtz_f16_f32 v24, v40, v41
	v_cvt_pkrtz_f16_f32 v25, v50, v51
	v_cvt_pk_f32_fp8_e32 v[40:41], v13
	v_cvt_pk_f32_fp8_sdwa v[50:51], v13 src0_sel:WORD_1
	v_mfma_f32_16x16x16_f16 v[10:13], v[38:39], v[8:9], v[34:37]
	v_cvt_pk_f32_fp8_sdwa v[38:39], v14 src0_sel:WORD_1
	s_nop 1
	v_mov_b32_e32 v36, s13
	v_cvt_pkrtz_f16_f32 v34, v40, v41
	v_cvt_pkrtz_f16_f32 v35, v50, v51
	v_mfma_f32_16x16x16_f16 v[10:13], v[24:25], v[2:3], v[10:13]
	v_mul_f32_e32 v24, s4, v36
	v_cvt_pk_f32_fp8_e32 v[36:37], v14
	v_cvt_pk_f32_fp8_e32 v[40:41], v16
	v_mfma_f32_16x16x16_f16 v[10:13], v[34:35], v[4:5], v[10:13]
	v_cvt_pk_f32_fp8_e32 v[34:35], v15
	v_cvt_pkrtz_f16_f32 v36, v36, v37
	v_cvt_pkrtz_f16_f32 v37, v38, v39
	v_cvt_pk_f32_fp8_sdwa v[14:15], v15 src0_sel:WORD_1
	v_cvt_pkrtz_f16_f32 v38, v34, v35
	v_cvt_pk_f32_fp8_sdwa v[50:51], v16 src0_sel:WORD_1
	v_mfma_f32_16x16x16_f16 v[34:37], v[36:37], v[6:7], 0
	v_cvt_pkrtz_f16_f32 v39, v14, v15
	v_cvt_pkrtz_f16_f32 v40, v40, v41
	;; [unrolled: 1-line block ×3, first 2 shown]
	v_cvt_pk_f32_fp8_e32 v[50:51], v17
	v_mfma_f32_16x16x16_f16 v[14:17], v[38:39], v[8:9], v[34:37]
	v_pk_mul_f32 v[38:39], v[24:25], v[30:31] op_sel_hi:[0,1]
	s_waitcnt vmcnt(3)
	v_cvt_pk_f32_fp8_e32 v[30:31], v18
	v_cvt_pkrtz_f16_f32 v34, v50, v51
	v_cvt_pkrtz_f16_f32 v35, v52, v53
	v_mfma_f32_16x16x16_f16 v[14:17], v[40:41], v[2:3], v[14:17]
	v_cvt_pk_f32_fp8_sdwa v[36:37], v18 src0_sel:WORD_1
	v_cvt_pkrtz_f16_f32 v30, v30, v31
	v_cvt_pk_f32_fp8_e32 v[50:51], v20
	v_mfma_f32_16x16x16_f16 v[14:17], v[34:35], v[4:5], v[14:17]
	v_cvt_pk_f32_fp8_e32 v[34:35], v19
	v_cvt_pkrtz_f16_f32 v31, v36, v37
	v_cvt_pk_f32_fp8_sdwa v[18:19], v19 src0_sel:WORD_1
	v_cvt_pk_f32_fp8_sdwa v[52:53], v20 src0_sel:WORD_1
	v_cvt_pkrtz_f16_f32 v40, v34, v35
	v_mfma_f32_16x16x16_f16 v[34:37], v[30:31], v[6:7], 0
	v_cvt_pkrtz_f16_f32 v41, v18, v19
	v_cvt_pkrtz_f16_f32 v18, v50, v51
	;; [unrolled: 1-line block ×3, first 2 shown]
	v_cvt_pk_f32_fp8_e32 v[30:31], v21
	v_cvt_pk_f32_fp8_sdwa v[20:21], v21 src0_sel:WORD_1
	v_mfma_f32_16x16x16_f16 v[6:9], v[40:41], v[8:9], v[34:37]
	v_pk_mul_f32 v[32:33], v[24:25], v[32:33] op_sel_hi:[0,1]
	v_pk_mul_f32 v[40:41], v[24:25], v[10:11] op_sel_hi:[0,1]
	s_nop 0
	v_pk_mul_f32 v[34:35], v[24:25], v[12:13] op_sel_hi:[0,1]
	v_cvt_pkrtz_f16_f32 v12, v30, v31
	v_cvt_pkrtz_f16_f32 v13, v20, v21
	v_mfma_f32_16x16x16_f16 v[6:9], v[18:19], v[2:3], v[6:9]
	v_pk_mul_f32 v[30:31], v[24:25], v[16:17] op_sel_hi:[0,1]
	v_pk_mul_f32 v[36:37], v[24:25], v[14:15] op_sel_hi:[0,1]
	v_mfma_f32_16x16x16_f16 v[2:5], v[12:13], v[4:5], v[6:9]
	s_nop 6
	v_pk_mul_f32 v[18:19], v[24:25], v[4:5] op_sel_hi:[0,1]
	v_pk_mul_f32 v[24:25], v[24:25], v[2:3] op_sel_hi:[0,1]
	v_and_b32_e32 v2, 0xc0, v0
	v_add_u32_e32 v2, s5, v2
	v_lshl_or_b32 v2, v1, 2, v2
	v_or_b32_e32 v5, 1, v2
	v_mov_b32_e32 v3, 0xff7fffff
	v_cmp_gt_i32_e64 s[4:5], s48, v2
	v_cmp_gt_i32_e64 s[34:35], s48, v5
	v_or_b32_e32 v6, 3, v2
	v_cndmask_b32_e64 v4, v3, v38, s[4:5]
	v_cndmask_b32_e64 v5, v3, v39, s[34:35]
	v_max3_f32 v4, v4, s44, v5
	v_or_b32_e32 v5, 2, v2
	v_cmp_gt_i32_e64 s[36:37], s48, v5
	v_cmp_gt_i32_e64 s[38:39], s48, v6
	s_nop 0
	v_cndmask_b32_e64 v5, v3, v32, s[36:37]
	v_cndmask_b32_e64 v6, v3, v33, s[38:39]
	v_max3_f32 v4, v4, v5, v6
	v_or_b32_e32 v5, 16, v2
	v_or_b32_e32 v6, 17, v2
	v_cmp_gt_i32_e64 s[24:25], s48, v5
	v_cmp_gt_i32_e64 s[26:27], s48, v6
	s_nop 0
	v_cndmask_b32_e64 v5, v3, v40, s[24:25]
	v_cndmask_b32_e64 v6, v3, v41, s[26:27]
	v_max3_f32 v4, v4, v5, v6
	v_or_b32_e32 v5, 18, v2
	;; [unrolled: 8-line block ×6, first 2 shown]
	v_or_b32_e32 v2, 51, v2
	v_cmp_gt_i32_e32 vcc, s48, v5
	v_cmp_gt_i32_e64 s[6:7], s48, v2
	s_nop 0
	v_cndmask_b32_e32 v5, v3, v18, vcc
	v_cndmask_b32_e64 v2, v3, v19, s[6:7]
	v_max3_f32 v4, v4, v5, v2
	v_mbcnt_lo_u32_b32 v2, -1, 0
	v_mbcnt_hi_u32_b32 v5, -1, v2
	v_and_b32_e32 v2, 64, v5
	v_add_u32_e32 v6, 64, v2
	v_xor_b32_e32 v2, 32, v5
	v_cmp_lt_i32_e64 s[40:41], v2, v6
	s_nop 1
	v_cndmask_b32_e64 v2, v5, v2, s[40:41]
	v_lshlrev_b32_e32 v50, 2, v2
	ds_bpermute_b32 v7, v50, v4
	s_waitcnt vmcnt(2)
	v_mad_i64_i32 v[2:3], s[40:41], v49, s45, v[28:29]
	global_load_dwordx4 v[14:17], v[22:23], off
	global_load_dwordx4 v[10:13], v[2:3], off
	v_xor_b32_e32 v3, 16, v5
	v_cmp_lt_i32_e64 s[40:41], v3, v6
	s_waitcnt lgkmcnt(0)
	v_max_f32_e32 v2, v7, v7
	v_max_f32_e32 v2, v4, v2
	v_cndmask_b32_e64 v3, v5, v3, s[40:41]
	v_lshlrev_b32_e32 v49, 2, v3
	ds_bpermute_b32 v3, v49, v2
	s_waitcnt vmcnt(3)
	v_mad_i64_i32 v[20:21], s[40:41], v47, s45, v[28:29]
	s_waitcnt vmcnt(2)
	v_mad_i64_i32 v[22:23], s[40:41], v48, s45, v[28:29]
	s_waitcnt lgkmcnt(0)
	v_max_f32_e32 v3, v3, v3
	v_max_f32_e32 v47, v2, v3
	v_sub_f32_e32 v2, v38, v47
	v_mul_f32_e32 v2, 0x3fb8aa3b, v2
	v_exp_f32_e32 v28, v2
	v_sub_f32_e32 v2, v39, v47
	v_mul_f32_e32 v2, 0x3fb8aa3b, v2
	v_exp_f32_e32 v29, v2
	global_load_dwordx4 v[6:9], v[20:21], off
	global_load_dwordx4 v[2:5], v[22:23], off
	v_cndmask_b32_e64 v20, 0, v28, s[4:5]
	v_sub_f32_e32 v23, v32, v47
	v_sub_f32_e32 v28, v33, v47
	v_mul_f32_e32 v23, 0x3fb8aa3b, v23
	v_mul_f32_e32 v28, 0x3fb8aa3b, v28
	v_exp_f32_e32 v23, v23
	v_exp_f32_e32 v28, v28
	v_add_f32_e32 v22, 0, v20
	v_cndmask_b32_e64 v21, 0, v29, s[34:35]
	v_cndmask_b32_e64 v32, 0, v23, s[36:37]
	;; [unrolled: 1-line block ×3, first 2 shown]
	v_sub_f32_e32 v23, v40, v47
	v_sub_f32_e32 v28, v41, v47
	v_mul_f32_e32 v23, 0x3fb8aa3b, v23
	v_mul_f32_e32 v28, 0x3fb8aa3b, v28
	v_exp_f32_e32 v23, v23
	v_exp_f32_e32 v28, v28
	v_add_f32_e32 v22, v22, v21
	v_add_f32_e32 v22, v22, v32
	;; [unrolled: 1-line block ×3, first 2 shown]
	v_cndmask_b32_e64 v22, 0, v23, s[24:25]
	v_cndmask_b32_e64 v23, 0, v28, s[26:27]
	v_sub_f32_e32 v28, v34, v47
	v_mul_f32_e32 v28, 0x3fb8aa3b, v28
	v_exp_f32_e32 v28, v28
	v_sub_f32_e32 v34, v35, v47
	v_add_f32_e32 v29, v29, v22
	v_mul_f32_e32 v34, 0x3fb8aa3b, v34
	v_exp_f32_e32 v35, v34
	v_add_f32_e32 v29, v29, v23
	v_cndmask_b32_e64 v34, 0, v28, s[20:21]
	v_add_f32_e32 v28, v29, v34
	v_sub_f32_e32 v29, v36, v47
	v_mul_f32_e32 v29, 0x3fb8aa3b, v29
	v_sub_f32_e32 v36, v37, v47
	v_exp_f32_e32 v29, v29
	v_mul_f32_e32 v36, 0x3fb8aa3b, v36
	v_sub_f32_e32 v30, v30, v47
	v_exp_f32_e32 v36, v36
	;; [unrolled: 3-line block ×3, first 2 shown]
	v_mul_f32_e32 v31, 0x3fb8aa3b, v31
	v_sub_f32_e32 v24, v24, v47
	v_cndmask_b32_e64 v35, 0, v35, s[22:23]
	v_exp_f32_e32 v31, v31
	v_mul_f32_e32 v24, 0x3fb8aa3b, v24
	v_sub_f32_e32 v25, v25, v47
	v_add_f32_e32 v37, v28, v35
	v_cndmask_b32_e64 v28, 0, v29, s[16:17]
	v_exp_f32_e32 v24, v24
	v_mul_f32_e32 v25, 0x3fb8aa3b, v25
	v_sub_f32_e32 v18, v18, v47
	v_add_f32_e32 v37, v37, v28
	;; [unrolled: 5-line block ×3, first 2 shown]
	v_cndmask_b32_e64 v30, 0, v30, s[12:13]
	v_exp_f32_e32 v18, v18
	v_mul_f32_e32 v19, 0x3fb8aa3b, v19
	v_add_f32_e32 v36, v36, v30
	v_cndmask_b32_e64 v31, 0, v31, s[14:15]
	v_exp_f32_e32 v19, v19
	v_add_f32_e32 v36, v36, v31
	v_cndmask_b32_e64 v24, 0, v24, s[8:9]
	v_add_f32_e32 v36, v36, v24
	v_cndmask_b32_e64 v25, 0, v25, s[10:11]
	v_add_f32_e32 v36, v36, v25
	v_cndmask_b32_e32 v18, 0, v18, vcc
	v_add_f32_e32 v36, v36, v18
	v_cndmask_b32_e64 v19, 0, v19, s[6:7]
	v_add_f32_e32 v36, v36, v19
	ds_bpermute_b32 v37, v50, v36
	v_cmp_gt_u32_e32 vcc, 16, v44
	s_waitcnt lgkmcnt(0)
	s_barrier
	v_add_f32_e32 v36, v36, v37
	ds_bpermute_b32 v38, v49, v36
	v_lshlrev_b32_e32 v37, 2, v45
	s_and_saveexec_b64 s[4:5], vcc
	s_cbranch_execz .LBB883_13
; %bb.12:
	s_waitcnt lgkmcnt(0)
	v_add_f32_e32 v36, v36, v38
	v_lshl_or_b32 v38, v43, 6, v37
	ds_write2st64_b32 v38, v47, v36 offset1:1
.LBB883_13:
	s_or_b64 exec, exec, s[4:5]
	s_load_dword s6, s[0:1], 0x94
	s_waitcnt lgkmcnt(0)
	s_barrier
	ds_read2_b32 v[38:39], v37 offset1:16
	ds_read2_b32 v[40:41], v37 offset0:32 offset1:48
	ds_read2_b32 v[44:45], v37 offset0:64 offset1:80
	s_lshl_b32 s7, s33, 4
	s_waitcnt lgkmcnt(2)
	v_max3_f32 v36, v38, s44, v39
	s_waitcnt lgkmcnt(1)
	v_max3_f32 v36, v36, v40, v41
	v_sub_f32_e32 v38, v38, v36
	v_mul_f32_e32 v38, 0x3fb8aa3b, v38
	v_exp_f32_e32 v47, v38
	v_sub_f32_e32 v38, v39, v36
	v_mul_f32_e32 v38, 0x3fb8aa3b, v38
	v_exp_f32_e32 v48, v38
	;; [unrolled: 3-line block ×3, first 2 shown]
	ds_read2_b32 v[38:39], v37 offset0:96 offset1:112
	v_sub_f32_e32 v37, v41, v36
	v_mul_f32_e32 v37, 0x3fb8aa3b, v37
	v_exp_f32_e32 v41, v37
	s_waitcnt lgkmcnt(1)
	v_fma_f32 v37, v47, v44, 0
	v_fmac_f32_e32 v37, v48, v45
	s_waitcnt lgkmcnt(0)
	v_fmac_f32_e32 v37, v40, v38
	v_fmac_f32_e32 v37, v41, v39
	v_add_f32_e32 v38, 0x358637bd, v37
	v_div_scale_f32 v39, s[4:5], v38, v38, 1.0
	v_rcp_f32_e32 v44, v39
	s_barrier
	v_fma_f32 v45, -v39, v44, 1.0
	v_fmac_f32_e32 v44, v45, v44
	v_div_scale_f32 v45, vcc, 1.0, v38, 1.0
	v_mul_f32_e32 v49, v45, v44
	v_fma_f32 v50, -v39, v49, v45
	v_fmac_f32_e32 v49, v50, v44
	v_fma_f32 v39, -v39, v49, v45
	v_div_fmas_f32 v39, v39, v44, v49
	v_cmp_eq_u32_e32 vcc, 1, v43
	v_div_fixup_f32 v38, v39, v38, 1.0
	s_nop 0
	v_cndmask_b32_e32 v39, v47, v48, vcc
	v_cmp_eq_u32_e32 vcc, 2, v43
	s_nop 1
	v_cndmask_b32_e32 v39, v39, v40, vcc
	v_cmp_eq_u32_e32 vcc, 3, v43
	s_nop 1
	v_cndmask_b32_e32 v39, v39, v41, vcc
	v_mul_f32_e32 v38, v39, v38
	v_pk_mul_f32 v[32:33], v[38:39], v[32:33] op_sel_hi:[0,1]
	v_pk_mul_f32 v[20:21], v[38:39], v[20:21] op_sel_hi:[0,1]
	v_cvt_f16_f32_e32 v39, v32
	v_cvt_f16_f32_e32 v33, v33
	;; [unrolled: 1-line block ×4, first 2 shown]
	v_cmp_gt_u32_e32 vcc, 16, v0
	v_pack_b32_f16 v33, v39, v33
	v_lshlrev_b32_e32 v39, 3, v1
	v_pack_b32_f16 v32, v20, v21
	v_pk_mul_f32 v[20:21], v[38:39], v[34:35] op_sel_hi:[0,1]
	v_pk_mul_f32 v[22:23], v[38:39], v[22:23] op_sel_hi:[0,1]
	v_cvt_f16_f32_e32 v22, v22
	v_cvt_f16_f32_e32 v23, v23
	;; [unrolled: 1-line block ×4, first 2 shown]
	v_lshlrev_b32_e32 v20, 11, v43
	v_or3_b32 v20, v20, v46, v39
	v_pack_b32_f16 v22, v22, v23
	v_pack_b32_f16 v23, v34, v21
	ds_write2st64_b64 v20, v[32:33], v[22:23] offset1:1
	v_pk_mul_f32 v[22:23], v[38:39], v[30:31] op_sel_hi:[0,1]
	v_pk_mul_f32 v[28:29], v[38:39], v[28:29] op_sel_hi:[0,1]
	v_cvt_f16_f32_e32 v21, v28
	v_cvt_f16_f32_e32 v28, v29
	;; [unrolled: 1-line block ×4, first 2 shown]
	v_pk_mul_f32 v[18:19], v[38:39], v[18:19] op_sel_hi:[0,1]
	v_pk_mul_f32 v[22:23], v[38:39], v[24:25] op_sel_hi:[0,1]
	v_cvt_f16_f32_e32 v22, v22
	v_cvt_f16_f32_e32 v23, v23
	;; [unrolled: 1-line block ×4, first 2 shown]
	v_pack_b32_f16 v18, v21, v28
	v_pack_b32_f16 v19, v29, v30
	;; [unrolled: 1-line block ×4, first 2 shown]
	ds_write2st64_b64 v20, v[18:19], v[22:23] offset0:2 offset1:3
	s_and_saveexec_b64 s[4:5], vcc
	s_cbranch_execz .LBB883_15
; %bb.14:
	v_or_b32_e32 v18, s29, v0
	v_mov_b32_e32 v19, 0
	v_mov_b32_e32 v21, s7
	v_mad_u64_u32 v[22:23], s[12:13], s2, v21, v[18:19]
	v_mov_b32_e32 v18, s28
	s_load_dwordx4 s[8:11], s[0:1], 0x58
	s_mul_i32 s3, s3, s7
	v_mad_u64_u32 v[18:19], s[12:13], v22, s6, v[18:19]
	v_add_u32_e32 v21, s3, v23
	v_mov_b32_e32 v22, v19
	v_mad_u64_u32 v[22:23], s[12:13], v21, s6, v[22:23]
	v_mov_b32_e32 v19, v22
	v_lshlrev_b64 v[18:19], 2, v[18:19]
	s_waitcnt lgkmcnt(0)
	v_lshl_add_u64 v[22:23], s[10:11], 0, v[18:19]
	v_lshl_add_u64 v[18:19], s[8:9], 0, v[18:19]
	global_store_dword v[22:23], v36, off
	global_store_dword v[18:19], v37, off
.LBB883_15:
	s_or_b64 exec, exec, s[4:5]
	s_waitcnt vmcnt(3)
	v_cvt_pk_f32_fp8_e32 v[18:19], v14
	v_cvt_pk_f32_fp8_sdwa v[22:23], v14 src0_sel:WORD_1
	v_cvt_pk_f32_fp8_e32 v[24:25], v15
	s_waitcnt lgkmcnt(0)
	s_barrier
	v_cvt_pkrtz_f16_f32 v14, v18, v19
	v_cvt_pk_f32_fp8_sdwa v[18:19], v15 src0_sel:WORD_1
	v_cvt_pkrtz_f16_f32 v15, v22, v23
	v_cvt_pkrtz_f16_f32 v36, v24, v25
	ds_read_b128 v[22:25], v27
	ds_read_b128 v[28:31], v27 offset:16
	v_cvt_pkrtz_f16_f32 v37, v18, v19
	v_cvt_pk_f32_fp8_e32 v[18:19], v16
	v_cvt_pk_f32_fp8_sdwa v[38:39], v16 src0_sel:WORD_1
	s_waitcnt lgkmcnt(1)
	v_mfma_f32_16x16x16_f16 v[32:35], v[14:15], v[22:23], 0
	s_load_dword s4, s[42:43], 0x0
	v_cvt_pkrtz_f16_f32 v14, v18, v19
	v_cvt_pkrtz_f16_f32 v15, v38, v39
	v_cvt_pk_f32_fp8_e32 v[18:19], v17
	v_mfma_f32_16x16x16_f16 v[22:25], v[36:37], v[24:25], v[32:35]
	v_cmp_gt_u32_e32 vcc, 64, v0
	s_mov_b32 s3, 0
	v_cvt_pkrtz_f16_f32 v18, v18, v19
	v_cvt_pk_f32_fp8_sdwa v[32:33], v17 src0_sel:WORD_1
	s_waitcnt lgkmcnt(0)
	v_mfma_f32_16x16x16_f16 v[14:17], v[14:15], v[28:29], v[22:25]
	s_waitcnt vmcnt(2)
	v_cvt_pk_f32_fp8_sdwa v[28:29], v11 src0_sel:WORD_1
	v_cvt_pk_f32_fp8_sdwa v[34:35], v12 src0_sel:WORD_1
	v_cvt_pkrtz_f16_f32 v19, v32, v33
	v_cvt_pk_f32_fp8_e32 v[22:23], v10
	v_cvt_pk_f32_fp8_e32 v[24:25], v11
	v_mfma_f32_16x16x16_f16 v[14:17], v[18:19], v[30:31], v[14:17]
	v_cvt_pk_f32_fp8_sdwa v[18:19], v10 src0_sel:WORD_1
	v_cvt_pkrtz_f16_f32 v10, v22, v23
	v_cvt_pk_f32_fp8_e32 v[32:33], v12
	v_cvt_pkrtz_f16_f32 v11, v18, v19
	v_cvt_pkrtz_f16_f32 v18, v24, v25
	ds_read_b128 v[22:25], v27 offset:2048
	v_cvt_pkrtz_f16_f32 v19, v28, v29
	ds_read_b128 v[28:31], v27 offset:2064
	s_waitcnt lgkmcnt(1)
	v_mfma_f32_16x16x16_f16 v[14:17], v[10:11], v[22:23], v[14:17]
	v_cvt_pkrtz_f16_f32 v10, v32, v33
	v_cvt_pkrtz_f16_f32 v11, v34, v35
	v_cvt_pk_f32_fp8_e32 v[22:23], v13
	v_mfma_f32_16x16x16_f16 v[14:17], v[18:19], v[24:25], v[14:17]
	v_cvt_pk_f32_fp8_sdwa v[18:19], v13 src0_sel:WORD_1
	v_cvt_pkrtz_f16_f32 v22, v22, v23
	s_waitcnt lgkmcnt(0)
	v_mfma_f32_16x16x16_f16 v[10:13], v[10:11], v[28:29], v[14:17]
	v_cvt_pkrtz_f16_f32 v23, v18, v19
	s_waitcnt vmcnt(1)
	v_cvt_pk_f32_fp8_e32 v[18:19], v7
	v_cvt_pk_f32_fp8_e32 v[28:29], v8
	;; [unrolled: 1-line block ×3, first 2 shown]
	v_cvt_pk_f32_fp8_sdwa v[16:17], v6 src0_sel:WORD_1
	v_mfma_f32_16x16x16_f16 v[10:13], v[22:23], v[30:31], v[10:13]
	v_cvt_pk_f32_fp8_sdwa v[22:23], v7 src0_sel:WORD_1
	v_cvt_pkrtz_f16_f32 v6, v14, v15
	v_cvt_pkrtz_f16_f32 v7, v16, v17
	ds_read_b128 v[14:17], v27 offset:4096
	v_cvt_pkrtz_f16_f32 v18, v18, v19
	v_cvt_pkrtz_f16_f32 v19, v22, v23
	ds_read_b128 v[22:25], v27 offset:4112
	v_cvt_pk_f32_fp8_sdwa v[30:31], v8 src0_sel:WORD_1
	s_waitcnt lgkmcnt(1)
	v_mfma_f32_16x16x16_f16 v[10:13], v[6:7], v[14:15], v[10:13]
	v_cvt_pkrtz_f16_f32 v6, v28, v29
	v_cvt_pk_f32_fp8_e32 v[14:15], v9
	v_cvt_pkrtz_f16_f32 v7, v30, v31
	v_mfma_f32_16x16x16_f16 v[10:13], v[18:19], v[16:17], v[10:13]
	v_cvt_pk_f32_fp8_sdwa v[16:17], v9 src0_sel:WORD_1
	v_cvt_pkrtz_f16_f32 v14, v14, v15
	v_cvt_pkrtz_f16_f32 v15, v16, v17
	s_waitcnt lgkmcnt(0)
	v_mfma_f32_16x16x16_f16 v[6:9], v[6:7], v[22:23], v[10:13]
	s_waitcnt vmcnt(0)
	v_cvt_pk_f32_fp8_sdwa v[16:17], v3 src0_sel:WORD_1
	v_cvt_pk_f32_fp8_e32 v[22:23], v4
	v_cvt_pkrtz_f16_f32 v19, v16, v17
	v_cvt_pk_f32_fp8_e32 v[10:11], v2
	v_cvt_pk_f32_fp8_sdwa v[12:13], v2 src0_sel:WORD_1
	v_mfma_f32_16x16x16_f16 v[6:9], v[14:15], v[24:25], v[6:9]
	v_cvt_pk_f32_fp8_e32 v[14:15], v3
	v_cvt_pkrtz_f16_f32 v2, v10, v11
	v_cvt_pkrtz_f16_f32 v3, v12, v13
	ds_read_b128 v[10:13], v27 offset:6144
	v_cvt_pkrtz_f16_f32 v18, v14, v15
	ds_read_b128 v[14:17], v27 offset:6160
	v_cvt_pk_f32_fp8_sdwa v[24:25], v4 src0_sel:WORD_1
	s_waitcnt lgkmcnt(1)
	v_mfma_f32_16x16x16_f16 v[6:9], v[2:3], v[10:11], v[6:9]
	v_cvt_pkrtz_f16_f32 v2, v22, v23
	v_cvt_pkrtz_f16_f32 v3, v24, v25
	v_cvt_pk_f32_fp8_e32 v[10:11], v5
	v_mfma_f32_16x16x16_f16 v[6:9], v[18:19], v[12:13], v[6:9]
	v_cvt_pk_f32_fp8_sdwa v[12:13], v5 src0_sel:WORD_1
	v_mov_b32_e32 v27, 0
	v_cvt_pkrtz_f16_f32 v10, v10, v11
	s_waitcnt lgkmcnt(0)
	v_mfma_f32_16x16x16_f16 v[2:5], v[2:3], v[14:15], v[6:9]
	v_cvt_pkrtz_f16_f32 v11, v12, v13
	s_barrier
	s_nop 0
	v_mfma_f32_16x16x16_f16 v[2:5], v[10:11], v[16:17], v[2:5]
	s_nop 6
	v_pk_mul_f32 v[4:5], v[4:5], s[4:5] op_sel_hi:[1,0]
	v_pk_mul_f32 v[2:3], v[2:3], s[4:5] op_sel_hi:[1,0]
	v_cvt_f16_f32_e32 v4, v4
	v_cvt_f16_f32_e32 v2, v2
	v_cvt_f16_f32_e32 v3, v3
	v_cvt_f16_f32_e32 v5, v5
	s_and_b64 s[4:5], vcc, s[30:31]
	v_pack_b32_f16 v2, v2, v3
	v_pack_b32_f16 v3, v4, v5
	ds_write_b64 v20, v[2:3]
	s_waitcnt lgkmcnt(0)
	s_barrier
	s_and_saveexec_b64 s[8:9], s[4:5]
	s_cbranch_execz .LBB883_17
; %bb.16:
	s_load_dwordx2 s[0:1], s[0:1], 0x68
	s_lshl_b32 s6, s6, 6
	s_mul_i32 s2, s7, s2
	s_mul_hi_u32 s5, s2, s6
	s_mul_i32 s4, s2, s6
	s_lshl_b64 s[4:5], s[4:5], 1
	s_waitcnt lgkmcnt(0)
	s_add_u32 s4, s0, s4
	s_addc_u32 s5, s1, s5
	s_lshl_b32 s2, s28, 6
	v_lshlrev_b32_e32 v0, 10, v0
	s_lshl_b64 s[0:1], s[2:3], 1
	v_and_b32_e32 v0, 0x1800, v0
	v_lshlrev_b32_e32 v2, 5, v1
	v_and_b32_e32 v3, 16, v42
	s_add_u32 s0, s4, s0
	v_or3_b32 v0, v0, v2, v3
	s_addc_u32 s1, s5, s1
	v_or_b32_e32 v20, s29, v1
	ds_read_b128 v[2:5], v0
	ds_read_b128 v[6:9], v0 offset:128
	ds_read_b128 v[10:13], v0 offset:256
	;; [unrolled: 1-line block ×3, first 2 shown]
	v_lshl_add_u64 v[18:19], s[0:1], 0, v[26:27]
	v_mad_u64_u32 v[0:1], s[0:1], v20, s6, 0
	v_lshl_add_u64 v[0:1], v[0:1], 1, v[18:19]
	s_waitcnt lgkmcnt(3)
	global_store_dwordx4 v[0:1], v[2:5], off
	v_or_b32_e32 v0, 4, v20
	v_mad_u64_u32 v[0:1], s[0:1], v0, s6, 0
	v_lshl_add_u64 v[0:1], v[0:1], 1, v[18:19]
	s_waitcnt lgkmcnt(2)
	global_store_dwordx4 v[0:1], v[6:9], off
	v_or_b32_e32 v0, 8, v20
	;; [unrolled: 5-line block ×3, first 2 shown]
	v_mad_u64_u32 v[0:1], s[0:1], v0, s6, 0
	v_lshl_add_u64 v[0:1], v[0:1], 1, v[18:19]
	s_waitcnt lgkmcnt(0)
	global_store_dwordx4 v[0:1], v[14:17], off
.LBB883_17:
	s_endpgm
	.section	.rodata,"a",@progbits
	.p2align	6, 0x0
	.amdhsa_kernel _Z39paged_attention_ll4mi_QKV_mfma16_kernelIDF16_hLN4vllm18Fp8KVCacheDataTypeE1EhLi32ELi64ELi256ELb0ELi16EEvPKT_PKT0_S7_ifPKiS9_S9_iPKfiiiPfSC_PS2_PT2_iSB_SB_
		.amdhsa_group_segment_fixed_size 8192
		.amdhsa_private_segment_fixed_size 0
		.amdhsa_kernarg_size 400
		.amdhsa_user_sgpr_count 2
		.amdhsa_user_sgpr_dispatch_ptr 0
		.amdhsa_user_sgpr_queue_ptr 0
		.amdhsa_user_sgpr_kernarg_segment_ptr 1
		.amdhsa_user_sgpr_dispatch_id 0
		.amdhsa_user_sgpr_kernarg_preload_length 0
		.amdhsa_user_sgpr_kernarg_preload_offset 0
		.amdhsa_user_sgpr_private_segment_size 0
		.amdhsa_uses_dynamic_stack 0
		.amdhsa_enable_private_segment 0
		.amdhsa_system_sgpr_workgroup_id_x 1
		.amdhsa_system_sgpr_workgroup_id_y 1
		.amdhsa_system_sgpr_workgroup_id_z 1
		.amdhsa_system_sgpr_workgroup_info 0
		.amdhsa_system_vgpr_workitem_id 0
		.amdhsa_next_free_vgpr 55
		.amdhsa_next_free_sgpr 49
		.amdhsa_accum_offset 56
		.amdhsa_reserve_vcc 1
		.amdhsa_float_round_mode_32 0
		.amdhsa_float_round_mode_16_64 0
		.amdhsa_float_denorm_mode_32 3
		.amdhsa_float_denorm_mode_16_64 3
		.amdhsa_dx10_clamp 1
		.amdhsa_ieee_mode 1
		.amdhsa_fp16_overflow 0
		.amdhsa_tg_split 0
		.amdhsa_exception_fp_ieee_invalid_op 0
		.amdhsa_exception_fp_denorm_src 0
		.amdhsa_exception_fp_ieee_div_zero 0
		.amdhsa_exception_fp_ieee_overflow 0
		.amdhsa_exception_fp_ieee_underflow 0
		.amdhsa_exception_fp_ieee_inexact 0
		.amdhsa_exception_int_div_zero 0
	.end_amdhsa_kernel
	.section	.text._Z39paged_attention_ll4mi_QKV_mfma16_kernelIDF16_hLN4vllm18Fp8KVCacheDataTypeE1EhLi32ELi64ELi256ELb0ELi16EEvPKT_PKT0_S7_ifPKiS9_S9_iPKfiiiPfSC_PS2_PT2_iSB_SB_,"axG",@progbits,_Z39paged_attention_ll4mi_QKV_mfma16_kernelIDF16_hLN4vllm18Fp8KVCacheDataTypeE1EhLi32ELi64ELi256ELb0ELi16EEvPKT_PKT0_S7_ifPKiS9_S9_iPKfiiiPfSC_PS2_PT2_iSB_SB_,comdat
.Lfunc_end883:
	.size	_Z39paged_attention_ll4mi_QKV_mfma16_kernelIDF16_hLN4vllm18Fp8KVCacheDataTypeE1EhLi32ELi64ELi256ELb0ELi16EEvPKT_PKT0_S7_ifPKiS9_S9_iPKfiiiPfSC_PS2_PT2_iSB_SB_, .Lfunc_end883-_Z39paged_attention_ll4mi_QKV_mfma16_kernelIDF16_hLN4vllm18Fp8KVCacheDataTypeE1EhLi32ELi64ELi256ELb0ELi16EEvPKT_PKT0_S7_ifPKiS9_S9_iPKfiiiPfSC_PS2_PT2_iSB_SB_
                                        ; -- End function
	.section	.AMDGPU.csdata,"",@progbits
; Kernel info:
; codeLenInByte = 4692
; NumSgprs: 55
; NumVgprs: 55
; NumAgprs: 0
; TotalNumVgprs: 55
; ScratchSize: 0
; MemoryBound: 0
; FloatMode: 240
; IeeeMode: 1
; LDSByteSize: 8192 bytes/workgroup (compile time only)
; SGPRBlocks: 6
; VGPRBlocks: 6
; NumSGPRsForWavesPerEU: 55
; NumVGPRsForWavesPerEU: 55
; AccumOffset: 56
; Occupancy: 8
; WaveLimiterHint : 1
; COMPUTE_PGM_RSRC2:SCRATCH_EN: 0
; COMPUTE_PGM_RSRC2:USER_SGPR: 2
; COMPUTE_PGM_RSRC2:TRAP_HANDLER: 0
; COMPUTE_PGM_RSRC2:TGID_X_EN: 1
; COMPUTE_PGM_RSRC2:TGID_Y_EN: 1
; COMPUTE_PGM_RSRC2:TGID_Z_EN: 1
; COMPUTE_PGM_RSRC2:TIDIG_COMP_CNT: 0
; COMPUTE_PGM_RSRC3_GFX90A:ACCUM_OFFSET: 13
; COMPUTE_PGM_RSRC3_GFX90A:TG_SPLIT: 0
	.section	.text._Z39paged_attention_ll4mi_QKV_mfma16_kernelIDF16_hLN4vllm18Fp8KVCacheDataTypeE1EhLi32ELi64ELi256ELb0ELi1EEvPKT_PKT0_S7_ifPKiS9_S9_iPKfiiiPfSC_PS2_PT2_iSB_SB_,"axG",@progbits,_Z39paged_attention_ll4mi_QKV_mfma16_kernelIDF16_hLN4vllm18Fp8KVCacheDataTypeE1EhLi32ELi64ELi256ELb0ELi1EEvPKT_PKT0_S7_ifPKiS9_S9_iPKfiiiPfSC_PS2_PT2_iSB_SB_,comdat
	.protected	_Z39paged_attention_ll4mi_QKV_mfma16_kernelIDF16_hLN4vllm18Fp8KVCacheDataTypeE1EhLi32ELi64ELi256ELb0ELi1EEvPKT_PKT0_S7_ifPKiS9_S9_iPKfiiiPfSC_PS2_PT2_iSB_SB_ ; -- Begin function _Z39paged_attention_ll4mi_QKV_mfma16_kernelIDF16_hLN4vllm18Fp8KVCacheDataTypeE1EhLi32ELi64ELi256ELb0ELi1EEvPKT_PKT0_S7_ifPKiS9_S9_iPKfiiiPfSC_PS2_PT2_iSB_SB_
	.globl	_Z39paged_attention_ll4mi_QKV_mfma16_kernelIDF16_hLN4vllm18Fp8KVCacheDataTypeE1EhLi32ELi64ELi256ELb0ELi1EEvPKT_PKT0_S7_ifPKiS9_S9_iPKfiiiPfSC_PS2_PT2_iSB_SB_
	.p2align	8
	.type	_Z39paged_attention_ll4mi_QKV_mfma16_kernelIDF16_hLN4vllm18Fp8KVCacheDataTypeE1EhLi32ELi64ELi256ELb0ELi1EEvPKT_PKT0_S7_ifPKiS9_S9_iPKfiiiPfSC_PS2_PT2_iSB_SB_,@function
_Z39paged_attention_ll4mi_QKV_mfma16_kernelIDF16_hLN4vllm18Fp8KVCacheDataTypeE1EhLi32ELi64ELi256ELb0ELi1EEvPKT_PKT0_S7_ifPKiS9_S9_iPKfiiiPfSC_PS2_PT2_iSB_SB_: ; @_Z39paged_attention_ll4mi_QKV_mfma16_kernelIDF16_hLN4vllm18Fp8KVCacheDataTypeE1EhLi32ELi64ELi256ELb0ELi1EEvPKT_PKT0_S7_ifPKiS9_S9_iPKfiiiPfSC_PS2_PT2_iSB_SB_
; %bb.0:
	s_load_dwordx2 s[12:13], s[0:1], 0x30
	s_mov_b32 s5, s3
	s_mov_b64 s[6:7], 0
	s_waitcnt lgkmcnt(0)
	s_cmp_lg_u64 s[12:13], 0
	s_cselect_b64 s[14:15], -1, 0
	s_and_b64 vcc, exec, s[14:15]
	s_cbranch_vccz .LBB884_7
; %bb.1:
	s_add_i32 s8, s2, 1
	s_mov_b32 s9, 0
	s_lshl_b64 s[10:11], s[8:9], 2
	s_add_u32 s10, s12, s10
	s_mov_b32 s3, s9
	s_addc_u32 s11, s13, s11
	s_lshl_b64 s[8:9], s[2:3], 2
	s_add_u32 s8, s12, s8
	s_addc_u32 s9, s13, s9
	s_load_dword s16, s[10:11], 0x0
	s_load_dword s17, s[8:9], 0x0
	s_waitcnt lgkmcnt(0)
	s_sub_i32 s8, s16, s17
	s_cmp_eq_u32 s8, 1
	s_cselect_b64 s[8:9], -1, 0
	s_andn2_b64 vcc, exec, s[6:7]
	s_cbranch_vccnz .LBB884_3
.LBB884_2:
	s_mov_b32 s3, 0
	s_mov_b64 s[8:9], -1
.LBB884_3:
	s_andn2_b64 vcc, exec, s[8:9]
	s_cbranch_vccnz .LBB884_17
; %bb.4:
	s_load_dwordx2 s[6:7], s[0:1], 0x28
	s_lshl_b64 s[16:17], s[2:3], 2
	s_waitcnt lgkmcnt(0)
	s_add_u32 s6, s6, s16
	s_addc_u32 s7, s7, s17
	s_load_dword s33, s[6:7], 0x0
	s_lshl_b32 s18, s5, 8
	s_waitcnt lgkmcnt(0)
	s_cmp_ge_i32 s18, s33
	s_cbranch_scc1 .LBB884_17
; %bb.5:
	s_load_dwordx2 s[6:7], s[0:1], 0x20
	s_load_dword s8, s[0:1], 0x38
	s_add_i32 s9, s33, 31
	s_ashr_i32 s10, s9, 31
	v_and_b32_e32 v1, 0xcf, v0
	s_lshr_b32 s10, s10, 27
	v_add_u32_e32 v1, s18, v1
	s_add_i32 s9, s9, s10
	v_ashrrev_i32_e32 v2, 31, v1
	s_ashr_i32 s19, s9, 5
	v_lshrrev_b32_e32 v10, 27, v2
	s_add_i32 s19, s19, -1
	s_waitcnt lgkmcnt(0)
	s_mul_i32 s8, s2, s8
	s_mov_b32 s9, 0
	v_add_u32_e32 v2, v1, v10
	s_lshl_b64 s[8:9], s[8:9], 2
	v_ashrrev_i32_e32 v2, 5, v2
	v_mov_b32_e32 v11, s19
	v_cmp_gt_i32_e32 vcc, s33, v1
	s_add_u32 s6, s6, s8
	s_addc_u32 s7, s7, s9
	v_cndmask_b32_e32 v2, v11, v2, vcc
	v_ashrrev_i32_e32 v3, 31, v2
	v_lshl_add_u64 v[4:5], v[2:3], 2, s[6:7]
	v_or_b32_e32 v2, 16, v1
	v_add_u32_e32 v3, v2, v10
	v_ashrrev_i32_e32 v3, 5, v3
	v_cmp_gt_i32_e32 vcc, s33, v2
	s_load_dwordx4 s[8:11], s[0:1], 0x8
	s_nop 0
	v_cndmask_b32_e32 v2, v11, v3, vcc
	v_ashrrev_i32_e32 v3, 31, v2
	v_lshl_add_u64 v[6:7], v[2:3], 2, s[6:7]
	v_or_b32_e32 v2, 32, v1
	v_add_u32_e32 v3, v2, v10
	v_ashrrev_i32_e32 v3, 5, v3
	v_cmp_gt_i32_e32 vcc, s33, v2
	v_or_b32_e32 v1, 48, v1
	s_nop 0
	v_cndmask_b32_e32 v2, v11, v3, vcc
	v_ashrrev_i32_e32 v3, 31, v2
	v_lshl_add_u64 v[8:9], v[2:3], 2, s[6:7]
	v_add_u32_e32 v2, v1, v10
	v_ashrrev_i32_e32 v2, 5, v2
	v_cmp_gt_i32_e32 vcc, s33, v1
	s_nop 1
	v_cndmask_b32_e32 v2, v11, v2, vcc
	v_ashrrev_i32_e32 v3, 31, v2
	v_lshl_add_u64 v[10:11], v[2:3], 2, s[6:7]
	global_load_dword v3, v[4:5], off
	global_load_dword v2, v[6:7], off
	;; [unrolled: 1-line block ×4, first 2 shown]
	s_andn2_b64 vcc, exec, s[14:15]
	s_cbranch_vccnz .LBB884_8
; %bb.6:
	s_add_u32 s12, s12, s16
	s_addc_u32 s13, s13, s17
	s_load_dword s14, s[12:13], 0x0
	s_branch .LBB884_9
.LBB884_7:
	s_mov_b64 s[8:9], 0
	s_branch .LBB884_2
.LBB884_8:
	s_mov_b32 s14, s2
.LBB884_9:
	s_load_dwordx4 s[44:47], s[0:1], 0x48
	v_lshrrev_b32_e32 v42, 6, v0
	v_bfe_u32 v40, v0, 4, 2
	v_lshl_or_b32 v1, v42, 2, v40
	v_and_b32_e32 v45, 15, v0
	v_lshlrev_b32_e32 v4, 3, v45
	v_cmp_eq_u32_e32 vcc, 0, v1
	v_cmp_gt_u32_e64 s[28:29], 8, v45
	v_and_b32_e32 v44, 63, v0
	s_and_b64 s[16:17], s[28:29], vcc
	v_lshlrev_b32_e32 v1, 1, v4
	v_lshlrev_b32_e32 v41, 4, v0
	s_and_saveexec_b64 s[12:13], s[16:17]
	s_cbranch_execz .LBB884_11
; %bb.10:
	s_load_dwordx2 s[16:17], s[0:1], 0x0
	s_waitcnt lgkmcnt(0)
	s_ashr_i32 s15, s44, 31
	s_mul_hi_u32 s20, s14, s44
	s_mul_i32 s15, s14, s15
	s_add_i32 s15, s20, s15
	s_mul_i32 s14, s14, s44
	s_lshl_b64 s[14:15], s[14:15], 1
	s_add_u32 s16, s16, s14
	s_addc_u32 s17, s17, s15
	s_lshl_b32 s14, s4, 6
	s_ashr_i32 s15, s14, 31
	s_lshl_b64 s[14:15], s[14:15], 1
	s_add_u32 s14, s16, s14
	s_addc_u32 s15, s17, s15
	global_load_dwordx4 v[4:7], v1, s[14:15]
	v_lshlrev_b32_e32 v8, 8, v45
	v_and_b32_e32 v9, 16, v41
	s_movk_i32 s14, 0xe00
	v_and_or_b32 v8, v8, s14, v9
	s_waitcnt vmcnt(0)
	ds_write_b128 v8, v[4:7]
.LBB884_11:
	s_or_b64 exec, exec, s[12:13]
	s_waitcnt lgkmcnt(0)
	s_mul_i32 s12, s4, s46
	s_add_u32 s8, s8, s12
	s_addc_u32 s9, s9, 0
	v_mov_b32_e32 v27, 0
	v_mov_b64_e32 v[14:15], s[8:9]
	v_and_b32_e32 v6, 48, v0
	s_waitcnt vmcnt(3)
	v_mad_i64_i32 v[4:5], s[8:9], v3, s45, v[14:15]
	v_lshlrev_b32_e32 v22, 4, v45
	v_mov_b32_e32 v23, v27
	v_lshlrev_b32_e32 v26, 5, v6
	v_lshl_add_u64 v[4:5], v[4:5], 0, v[22:23]
	v_lshl_add_u64 v[4:5], v[4:5], 0, v[26:27]
	s_barrier
	global_load_dwordx4 v[18:21], v[4:5], off
	s_waitcnt vmcnt(3)
	v_mad_i64_i32 v[2:3], s[8:9], v2, s45, v[14:15]
	v_or_b32_e32 v28, 0x100, v22
	v_mov_b32_e32 v29, v27
	v_lshl_add_u64 v[2:3], v[2:3], 0, v[28:29]
	v_lshl_add_u64 v[2:3], v[2:3], 0, v[26:27]
	global_load_dwordx4 v[10:13], v[2:3], off
	s_ashr_i32 s8, s18, 31
	v_or_b32_e32 v30, s18, v6
	s_lshr_b32 s13, s8, 27
	v_add_u32_e32 v2, s13, v30
	v_ashrrev_i32_e32 v2, 5, v2
	v_mov_b32_e32 v31, s19
	v_cmp_gt_i32_e32 vcc, s33, v30
	s_waitcnt vmcnt(3)
	v_mad_i64_i32 v[24:25], s[8:9], v17, s45, v[14:15]
	v_cndmask_b32_e32 v2, v31, v2, vcc
	v_ashrrev_i32_e32 v3, 31, v2
	v_lshl_add_u64 v[2:3], v[2:3], 2, s[6:7]
	v_lshl_add_u64 v[22:23], v[24:25], 0, v[22:23]
	global_load_dword v54, v[2:3], off
	v_lshlrev_b32_e32 v2, 9, v40
	v_lshl_add_u64 v[22:23], v[22:23], 0, v[26:27]
	s_load_dword s14, s[0:1], 0x1c
	s_load_dwordx4 s[40:43], s[0:1], 0x80
	ds_read_b128 v[6:9], v2
	ds_read_b128 v[2:5], v2 offset:16
	global_load_dwordx4 v[22:25], v[22:23], off
	v_or_b32_e32 v17, 64, v30
	s_waitcnt vmcnt(4)
	v_mad_i64_i32 v[14:15], s[8:9], v16, s45, v[14:15]
	v_add_u32_e32 v16, s13, v17
	v_lshl_add_u64 v[14:15], v[14:15], 0, v[28:29]
	v_ashrrev_i32_e32 v16, 5, v16
	v_lshl_add_u64 v[14:15], v[14:15], 0, v[26:27]
	v_cmp_gt_i32_e32 vcc, s33, v17
	v_or_b32_e32 v32, 0x80, v30
	v_or_b32_e32 v33, 0xc0, v30
	v_cndmask_b32_e32 v28, v31, v16, vcc
	global_load_dwordx4 v[14:17], v[14:15], off
	v_add_u32_e32 v30, s13, v32
	v_add_u32_e32 v34, s13, v33
	v_ashrrev_i32_e32 v29, 5, v30
	v_cmp_gt_i32_e32 vcc, s33, v32
	v_ashrrev_i32_e32 v34, 5, v34
	s_add_u32 s8, s10, s12
	v_cndmask_b32_e32 v30, v31, v29, vcc
	v_cmp_gt_i32_e32 vcc, s33, v33
	v_lshlrev_b32_e32 v43, 5, v45
	s_addc_u32 s9, s11, 0
	v_cndmask_b32_e32 v32, v31, v34, vcc
	v_and_b32_e32 v26, 16, v0
	v_ashrrev_i32_e32 v29, 31, v28
	v_ashrrev_i32_e32 v31, 31, v30
	;; [unrolled: 1-line block ×3, first 2 shown]
	v_lshl_add_u64 v[34:35], s[8:9], 0, v[26:27]
	v_lshl_or_b32 v26, v42, 9, v43
	v_lshl_add_u64 v[36:37], v[28:29], 2, s[6:7]
	v_lshl_add_u64 v[30:31], v[30:31], 2, s[6:7]
	v_lshl_add_u64 v[32:33], v[32:33], 2, s[6:7]
	s_waitcnt lgkmcnt(0)
	s_load_dword s10, s[40:41], 0x0
	v_lshl_add_u64 v[28:29], v[34:35], 0, v[26:27]
	global_load_dword v47, v[36:37], off
	global_load_dword v26, v[30:31], off
	;; [unrolled: 1-line block ×3, first 2 shown]
	s_mov_b32 s44, 0xff7fffff
	s_waitcnt vmcnt(7)
	v_cvt_pk_f32_fp8_e32 v[30:31], v18
	v_cvt_pk_f32_fp8_sdwa v[32:33], v18 src0_sel:WORD_1
	v_cvt_pk_f32_fp8_e32 v[34:35], v19
	v_cvt_pk_f32_fp8_sdwa v[18:19], v19 src0_sel:WORD_1
	v_cvt_pkrtz_f16_f32 v30, v30, v31
	v_cvt_pkrtz_f16_f32 v31, v32, v33
	v_cvt_pk_f32_fp8_e32 v[36:37], v20
	v_cvt_pk_f32_fp8_sdwa v[38:39], v20 src0_sel:WORD_1
	v_cvt_pkrtz_f16_f32 v34, v34, v35
	v_cvt_pkrtz_f16_f32 v35, v18, v19
	v_cvt_pk_f32_fp8_e32 v[48:49], v21
	v_cvt_pk_f32_fp8_sdwa v[32:33], v21 src0_sel:WORD_1
	v_mfma_f32_16x16x16_f16 v[18:21], v[30:31], v[6:7], 0
	v_cvt_pkrtz_f16_f32 v30, v36, v37
	v_cvt_pkrtz_f16_f32 v31, v38, v39
	s_waitcnt vmcnt(6)
	v_cvt_pk_f32_fp8_e32 v[50:51], v10
	v_cvt_pk_f32_fp8_sdwa v[52:53], v10 src0_sel:WORD_1
	v_mfma_f32_16x16x16_f16 v[18:21], v[34:35], v[8:9], v[18:21]
	v_cvt_pk_f32_fp8_e32 v[34:35], v11
	v_cvt_pkrtz_f16_f32 v36, v48, v49
	v_cvt_pkrtz_f16_f32 v37, v32, v33
	v_mfma_f32_16x16x16_f16 v[30:33], v[30:31], v[2:3], v[18:21]
	v_cvt_pk_f32_fp8_sdwa v[10:11], v11 src0_sel:WORD_1
	v_cvt_pkrtz_f16_f32 v38, v34, v35
	v_cvt_pk_f32_fp8_e32 v[48:49], v12
	v_cvt_pkrtz_f16_f32 v20, v50, v51
	v_cvt_pkrtz_f16_f32 v21, v52, v53
	v_cvt_pk_f32_fp8_sdwa v[50:51], v12 src0_sel:WORD_1
	v_cvt_pkrtz_f16_f32 v39, v10, v11
	v_mfma_f32_16x16x16_f16 v[30:33], v[36:37], v[4:5], v[30:33]
	s_waitcnt vmcnt(5)
	v_mad_i64_i32 v[18:19], s[6:7], v54, s45, v[28:29]
	v_mfma_f32_16x16x16_f16 v[34:37], v[20:21], v[6:7], 0
	v_cvt_pkrtz_f16_f32 v20, v48, v49
	v_cvt_pkrtz_f16_f32 v21, v50, v51
	v_cvt_pk_f32_fp8_e32 v[48:49], v13
	v_cvt_pk_f32_fp8_sdwa v[50:51], v13 src0_sel:WORD_1
	v_mfma_f32_16x16x16_f16 v[10:13], v[38:39], v[8:9], v[34:37]
	s_waitcnt vmcnt(4)
	v_cvt_pk_f32_fp8_sdwa v[38:39], v24 src0_sel:WORD_1
	s_nop 0
	v_mov_b32_e32 v36, s14
	v_cvt_pkrtz_f16_f32 v34, v48, v49
	v_cvt_pkrtz_f16_f32 v35, v50, v51
	v_mfma_f32_16x16x16_f16 v[10:13], v[20:21], v[2:3], v[10:13]
	s_waitcnt lgkmcnt(0)
	v_mul_f32_e32 v52, s10, v36
	v_cvt_pk_f32_fp8_e32 v[20:21], v22
	v_cvt_pk_f32_fp8_sdwa v[36:37], v22 src0_sel:WORD_1
	v_mfma_f32_16x16x16_f16 v[10:13], v[34:35], v[4:5], v[10:13]
	v_cvt_pk_f32_fp8_e32 v[34:35], v23
	v_cvt_pkrtz_f16_f32 v20, v20, v21
	v_cvt_pkrtz_f16_f32 v21, v36, v37
	v_cvt_pk_f32_fp8_sdwa v[22:23], v23 src0_sel:WORD_1
	v_cvt_pkrtz_f16_f32 v34, v34, v35
	v_cvt_pk_f32_fp8_e32 v[36:37], v24
	v_cvt_pkrtz_f16_f32 v49, v38, v39
	v_cvt_pkrtz_f16_f32 v35, v22, v23
	v_mfma_f32_16x16x16_f16 v[20:23], v[20:21], v[6:7], 0
	v_cvt_pkrtz_f16_f32 v48, v36, v37
	v_cvt_pk_f32_fp8_e32 v[38:39], v25
	v_cvt_pk_f32_fp8_sdwa v[24:25], v25 src0_sel:WORD_1
	v_mfma_f32_16x16x16_f16 v[34:37], v[34:35], v[8:9], v[20:23]
	s_nop 2
	v_cvt_pkrtz_f16_f32 v20, v38, v39
	v_cvt_pkrtz_f16_f32 v21, v24, v25
	v_pk_mul_f32 v[22:23], v[52:53], v[32:33] op_sel_hi:[0,1]
	v_mfma_f32_16x16x16_f16 v[34:37], v[48:49], v[2:3], v[34:37]
	v_pk_mul_f32 v[32:33], v[52:53], v[30:31] op_sel_hi:[0,1]
	s_waitcnt vmcnt(3)
	v_cvt_pk_f32_fp8_e32 v[24:25], v14
	v_cvt_pk_f32_fp8_sdwa v[30:31], v14 src0_sel:WORD_1
	v_mfma_f32_16x16x16_f16 v[48:51], v[20:21], v[4:5], v[34:37]
	v_cvt_pk_f32_fp8_e32 v[20:21], v15
	v_cvt_pkrtz_f16_f32 v24, v24, v25
	v_cvt_pkrtz_f16_f32 v25, v30, v31
	v_cvt_pk_f32_fp8_sdwa v[14:15], v15 src0_sel:WORD_1
	v_cvt_pkrtz_f16_f32 v20, v20, v21
	v_cvt_pk_f32_fp8_e32 v[30:31], v16
	v_cvt_pk_f32_fp8_sdwa v[38:39], v16 src0_sel:WORD_1
	v_cvt_pkrtz_f16_f32 v21, v14, v15
	v_mfma_f32_16x16x16_f16 v[34:37], v[24:25], v[6:7], 0
	v_cvt_pkrtz_f16_f32 v14, v30, v31
	v_cvt_pkrtz_f16_f32 v15, v38, v39
	v_cvt_pk_f32_fp8_e32 v[24:25], v17
	v_cvt_pk_f32_fp8_sdwa v[16:17], v17 src0_sel:WORD_1
	v_mfma_f32_16x16x16_f16 v[6:9], v[20:21], v[8:9], v[34:37]
	v_pk_mul_f32 v[38:39], v[52:53], v[10:11] op_sel_hi:[0,1]
	v_pk_mul_f32 v[30:31], v[52:53], v[50:51] op_sel_hi:[0,1]
	s_nop 0
	v_pk_mul_f32 v[34:35], v[52:53], v[12:13] op_sel_hi:[0,1]
	v_cvt_pkrtz_f16_f32 v12, v24, v25
	v_cvt_pkrtz_f16_f32 v13, v16, v17
	v_mfma_f32_16x16x16_f16 v[6:9], v[14:15], v[2:3], v[6:9]
	v_pk_mul_f32 v[36:37], v[52:53], v[48:49] op_sel_hi:[0,1]
	v_mfma_f32_16x16x16_f16 v[2:5], v[12:13], v[4:5], v[6:9]
	s_nop 6
	v_pk_mul_f32 v[24:25], v[52:53], v[2:3] op_sel_hi:[0,1]
	v_and_b32_e32 v2, 0xc0, v0
	v_add_u32_e32 v2, s18, v2
	v_lshl_or_b32 v2, v40, 2, v2
	v_pk_mul_f32 v[20:21], v[52:53], v[4:5] op_sel_hi:[0,1]
	v_or_b32_e32 v5, 1, v2
	v_mov_b32_e32 v3, 0xff7fffff
	v_cmp_gt_i32_e64 s[30:31], s33, v2
	v_cmp_gt_i32_e64 s[34:35], s33, v5
	v_or_b32_e32 v6, 3, v2
	v_cndmask_b32_e64 v4, v3, v32, s[30:31]
	v_cndmask_b32_e64 v5, v3, v33, s[34:35]
	v_max3_f32 v4, v4, s44, v5
	v_or_b32_e32 v5, 2, v2
	v_cmp_gt_i32_e64 s[36:37], s33, v5
	v_cmp_gt_i32_e64 s[38:39], s33, v6
	s_nop 0
	v_cndmask_b32_e64 v5, v3, v22, s[36:37]
	v_cndmask_b32_e64 v6, v3, v23, s[38:39]
	v_max3_f32 v4, v4, v5, v6
	v_or_b32_e32 v5, 16, v2
	v_or_b32_e32 v6, 17, v2
	v_cmp_gt_i32_e64 s[24:25], s33, v5
	v_cmp_gt_i32_e64 s[26:27], s33, v6
	s_nop 0
	v_cndmask_b32_e64 v5, v3, v38, s[24:25]
	v_cndmask_b32_e64 v6, v3, v39, s[26:27]
	v_max3_f32 v4, v4, v5, v6
	v_or_b32_e32 v5, 18, v2
	;; [unrolled: 8-line block ×6, first 2 shown]
	v_or_b32_e32 v2, 51, v2
	v_cmp_gt_i32_e32 vcc, s33, v5
	v_cmp_gt_i32_e64 s[6:7], s33, v2
	s_nop 0
	v_cndmask_b32_e32 v5, v3, v20, vcc
	v_cndmask_b32_e64 v2, v3, v21, s[6:7]
	v_max3_f32 v4, v4, v5, v2
	v_mbcnt_lo_u32_b32 v2, -1, 0
	v_mbcnt_hi_u32_b32 v5, -1, v2
	v_and_b32_e32 v2, 64, v5
	v_add_u32_e32 v6, 64, v2
	v_xor_b32_e32 v2, 32, v5
	v_cmp_lt_i32_e64 s[40:41], v2, v6
	s_nop 1
	v_cndmask_b32_e64 v2, v5, v2, s[40:41]
	v_lshlrev_b32_e32 v48, 2, v2
	ds_bpermute_b32 v7, v48, v4
	s_waitcnt vmcnt(2)
	v_mad_i64_i32 v[2:3], s[40:41], v47, s45, v[28:29]
	global_load_dwordx4 v[14:17], v[18:19], off
	global_load_dwordx4 v[10:13], v[2:3], off
	v_xor_b32_e32 v3, 16, v5
	v_cmp_lt_i32_e64 s[40:41], v3, v6
	s_waitcnt lgkmcnt(0)
	v_max_f32_e32 v2, v7, v7
	v_max_f32_e32 v2, v4, v2
	v_cndmask_b32_e64 v3, v5, v3, s[40:41]
	v_lshlrev_b32_e32 v47, 2, v3
	ds_bpermute_b32 v3, v47, v2
	s_waitcnt vmcnt(3)
	v_mad_i64_i32 v[18:19], s[40:41], v26, s45, v[28:29]
	s_waitcnt vmcnt(2)
	v_mad_i64_i32 v[28:29], s[40:41], v46, s45, v[28:29]
	s_waitcnt lgkmcnt(0)
	v_max_f32_e32 v3, v3, v3
	v_max_f32_e32 v26, v2, v3
	v_sub_f32_e32 v2, v32, v26
	v_mul_f32_e32 v2, 0x3fb8aa3b, v2
	v_exp_f32_e32 v32, v2
	v_sub_f32_e32 v2, v33, v26
	v_mul_f32_e32 v2, 0x3fb8aa3b, v2
	v_exp_f32_e32 v33, v2
	global_load_dwordx4 v[6:9], v[18:19], off
	global_load_dwordx4 v[2:5], v[28:29], off
	v_sub_f32_e32 v22, v22, v26
	v_mul_f32_e32 v22, 0x3fb8aa3b, v22
	v_sub_f32_e32 v23, v23, v26
	v_exp_f32_e32 v22, v22
	v_mul_f32_e32 v23, 0x3fb8aa3b, v23
	v_exp_f32_e32 v23, v23
	v_cndmask_b32_e64 v18, 0, v32, s[30:31]
	v_add_f32_e32 v28, 0, v18
	v_cndmask_b32_e64 v19, 0, v33, s[34:35]
	v_add_f32_e32 v28, v28, v19
	;; [unrolled: 2-line block ×3, first 2 shown]
	v_cndmask_b32_e64 v33, 0, v23, s[38:39]
	v_sub_f32_e32 v23, v38, v26
	v_sub_f32_e32 v28, v39, v26
	v_mul_f32_e32 v23, 0x3fb8aa3b, v23
	v_mul_f32_e32 v28, 0x3fb8aa3b, v28
	v_exp_f32_e32 v23, v23
	v_exp_f32_e32 v28, v28
	v_add_f32_e32 v29, v22, v33
	v_sub_f32_e32 v30, v30, v26
	v_cndmask_b32_e64 v22, 0, v23, s[24:25]
	v_cndmask_b32_e64 v23, 0, v28, s[26:27]
	v_sub_f32_e32 v28, v34, v26
	v_mul_f32_e32 v28, 0x3fb8aa3b, v28
	v_exp_f32_e32 v28, v28
	v_sub_f32_e32 v34, v35, v26
	v_add_f32_e32 v29, v29, v22
	v_mul_f32_e32 v34, 0x3fb8aa3b, v34
	v_exp_f32_e32 v35, v34
	v_add_f32_e32 v29, v29, v23
	v_cndmask_b32_e64 v34, 0, v28, s[20:21]
	v_add_f32_e32 v28, v29, v34
	v_sub_f32_e32 v29, v36, v26
	v_mul_f32_e32 v29, 0x3fb8aa3b, v29
	v_sub_f32_e32 v36, v37, v26
	v_exp_f32_e32 v29, v29
	v_mul_f32_e32 v36, 0x3fb8aa3b, v36
	v_exp_f32_e32 v36, v36
	v_mul_f32_e32 v30, 0x3fb8aa3b, v30
	v_sub_f32_e32 v31, v31, v26
	v_exp_f32_e32 v30, v30
	v_mul_f32_e32 v31, 0x3fb8aa3b, v31
	v_sub_f32_e32 v24, v24, v26
	v_cndmask_b32_e64 v35, 0, v35, s[22:23]
	v_exp_f32_e32 v31, v31
	v_mul_f32_e32 v24, 0x3fb8aa3b, v24
	v_sub_f32_e32 v25, v25, v26
	v_add_f32_e32 v37, v28, v35
	v_cndmask_b32_e64 v28, 0, v29, s[16:17]
	v_exp_f32_e32 v24, v24
	v_mul_f32_e32 v25, 0x3fb8aa3b, v25
	v_sub_f32_e32 v20, v20, v26
	v_add_f32_e32 v37, v37, v28
	;; [unrolled: 5-line block ×3, first 2 shown]
	v_cndmask_b32_e64 v30, 0, v30, s[12:13]
	v_exp_f32_e32 v20, v20
	v_mul_f32_e32 v21, 0x3fb8aa3b, v21
	v_add_f32_e32 v36, v36, v30
	v_cndmask_b32_e64 v31, 0, v31, s[14:15]
	v_exp_f32_e32 v21, v21
	v_add_f32_e32 v36, v36, v31
	v_cndmask_b32_e64 v24, 0, v24, s[8:9]
	v_add_f32_e32 v36, v36, v24
	v_cndmask_b32_e64 v25, 0, v25, s[10:11]
	v_add_f32_e32 v36, v36, v25
	v_cndmask_b32_e32 v20, 0, v20, vcc
	v_add_f32_e32 v36, v36, v20
	v_cndmask_b32_e64 v21, 0, v21, s[6:7]
	v_add_f32_e32 v36, v36, v21
	ds_bpermute_b32 v37, v48, v36
	v_cmp_gt_u32_e64 s[6:7], 16, v44
	s_waitcnt lgkmcnt(0)
	s_barrier
	v_add_f32_e32 v37, v36, v37
	ds_bpermute_b32 v38, v47, v37
	v_lshlrev_b32_e32 v36, 2, v45
	s_and_saveexec_b64 s[8:9], s[6:7]
	s_cbranch_execz .LBB884_13
; %bb.12:
	s_waitcnt lgkmcnt(0)
	v_add_f32_e32 v37, v37, v38
	v_lshl_or_b32 v38, v42, 6, v36
	ds_write2st64_b32 v38, v26, v37 offset1:1
.LBB884_13:
	s_or_b64 exec, exec, s[8:9]
	s_load_dwordx2 s[8:9], s[0:1], 0x94
	s_waitcnt lgkmcnt(0)
	s_barrier
	ds_read2_b32 v[38:39], v36 offset1:16
	ds_read2_b32 v[44:45], v36 offset0:32 offset1:48
	ds_read2_b32 v[46:47], v36 offset0:64 offset1:80
	s_waitcnt lgkmcnt(2)
	v_max3_f32 v26, v38, s44, v39
	s_waitcnt lgkmcnt(1)
	v_max3_f32 v26, v26, v44, v45
	v_sub_f32_e32 v37, v38, v26
	v_sub_f32_e32 v38, v39, v26
	v_mul_f32_e32 v38, 0x3fb8aa3b, v38
	v_mul_f32_e32 v37, 0x3fb8aa3b, v37
	v_exp_f32_e32 v48, v38
	v_sub_f32_e32 v38, v44, v26
	v_exp_f32_e32 v37, v37
	v_mul_f32_e32 v38, 0x3fb8aa3b, v38
	v_exp_f32_e32 v44, v38
	ds_read2_b32 v[38:39], v36 offset0:96 offset1:112
	v_sub_f32_e32 v36, v45, v26
	v_mul_f32_e32 v36, 0x3fb8aa3b, v36
	v_exp_f32_e32 v45, v36
	s_waitcnt lgkmcnt(1)
	v_fma_f32 v36, v37, v46, 0
	v_fmac_f32_e32 v36, v48, v47
	s_waitcnt lgkmcnt(0)
	v_fmac_f32_e32 v36, v44, v38
	v_fmac_f32_e32 v36, v45, v39
	v_add_f32_e32 v38, 0x358637bd, v36
	v_div_scale_f32 v39, s[10:11], v38, v38, 1.0
	v_rcp_f32_e32 v46, v39
	s_barrier
	v_fma_f32 v47, -v39, v46, 1.0
	v_fmac_f32_e32 v46, v47, v46
	v_div_scale_f32 v47, vcc, 1.0, v38, 1.0
	v_mul_f32_e32 v49, v47, v46
	v_fma_f32 v50, -v39, v49, v47
	v_fmac_f32_e32 v49, v50, v46
	v_fma_f32 v39, -v39, v49, v47
	v_div_fmas_f32 v39, v39, v46, v49
	v_cmp_eq_u32_e32 vcc, 1, v42
	v_div_fixup_f32 v38, v39, v38, 1.0
	s_nop 0
	v_cndmask_b32_e32 v37, v37, v48, vcc
	v_cmp_eq_u32_e32 vcc, 2, v42
	s_nop 1
	v_cndmask_b32_e32 v37, v37, v44, vcc
	v_cmp_eq_u32_e32 vcc, 3, v42
	s_nop 1
	v_cndmask_b32_e32 v37, v37, v45, vcc
	v_mul_f32_e32 v38, v37, v38
	v_pk_mul_f32 v[18:19], v[38:39], v[18:19] op_sel_hi:[0,1]
	v_cvt_f16_f32_e32 v18, v18
	v_cvt_f16_f32_e32 v19, v19
	v_pk_mul_f32 v[32:33], v[38:39], v[32:33] op_sel_hi:[0,1]
	v_cvt_f16_f32_e32 v37, v32
	v_cvt_f16_f32_e32 v33, v33
	v_pack_b32_f16 v32, v18, v19
	v_pk_mul_f32 v[18:19], v[38:39], v[34:35] op_sel_hi:[0,1]
	v_pk_mul_f32 v[22:23], v[38:39], v[22:23] op_sel_hi:[0,1]
	v_cvt_f16_f32_e32 v22, v22
	v_cvt_f16_f32_e32 v23, v23
	;; [unrolled: 1-line block ×4, first 2 shown]
	v_pack_b32_f16 v33, v37, v33
	v_lshlrev_b32_e32 v37, 3, v40
	v_lshlrev_b32_e32 v18, 11, v42
	v_or3_b32 v18, v18, v43, v37
	v_pack_b32_f16 v22, v22, v23
	v_pack_b32_f16 v23, v34, v19
	ds_write2st64_b64 v18, v[32:33], v[22:23] offset1:1
	v_pk_mul_f32 v[22:23], v[38:39], v[30:31] op_sel_hi:[0,1]
	v_pk_mul_f32 v[28:29], v[38:39], v[28:29] op_sel_hi:[0,1]
	v_cvt_f16_f32_e32 v19, v28
	v_cvt_f16_f32_e32 v28, v29
	;; [unrolled: 1-line block ×4, first 2 shown]
	v_pk_mul_f32 v[20:21], v[38:39], v[20:21] op_sel_hi:[0,1]
	v_pk_mul_f32 v[22:23], v[38:39], v[24:25] op_sel_hi:[0,1]
	v_cvt_f16_f32_e32 v22, v22
	v_cvt_f16_f32_e32 v23, v23
	;; [unrolled: 1-line block ×4, first 2 shown]
	v_pack_b32_f16 v20, v19, v28
	v_pack_b32_f16 v21, v29, v30
	;; [unrolled: 1-line block ×4, first 2 shown]
	v_cmp_eq_u32_e32 vcc, 0, v0
	ds_write2st64_b64 v18, v[20:21], v[22:23] offset0:2 offset1:3
	s_and_saveexec_b64 s[10:11], vcc
	s_cbranch_execz .LBB884_15
; %bb.14:
	s_mul_i32 s3, s3, s9
	s_mul_hi_u32 s16, s2, s9
	s_add_i32 s16, s16, s3
	s_mul_i32 s3, s2, s9
	s_add_u32 s3, s3, s4
	s_addc_u32 s16, s16, 0
	s_load_dwordx4 s[12:15], s[0:1], 0x58
	s_mul_i32 s16, s16, s8
	s_mul_hi_u32 s17, s3, s8
	s_add_i32 s17, s17, s16
	s_mul_i32 s3, s3, s8
	s_add_u32 s16, s3, s5
	s_addc_u32 s17, s17, 0
	s_lshl_b64 s[16:17], s[16:17], 2
	s_waitcnt lgkmcnt(0)
	s_add_u32 s14, s14, s16
	s_addc_u32 s15, s15, s17
	s_add_u32 s12, s12, s16
	s_addc_u32 s13, s13, s17
	global_store_dword v27, v26, s[14:15]
	global_store_dword v27, v36, s[12:13]
.LBB884_15:
	s_or_b64 exec, exec, s[10:11]
	s_waitcnt vmcnt(3)
	v_cvt_pk_f32_fp8_e32 v[20:21], v14
	v_cvt_pk_f32_fp8_sdwa v[22:23], v14 src0_sel:WORD_1
	v_lshl_or_b32 v14, v40, 9, v43
	s_waitcnt lgkmcnt(0)
	s_barrier
	v_cvt_pk_f32_fp8_e32 v[24:25], v15
	v_cvt_pkrtz_f16_f32 v28, v20, v21
	v_cvt_pkrtz_f16_f32 v29, v22, v23
	v_cvt_pk_f32_fp8_sdwa v[26:27], v15 src0_sel:WORD_1
	ds_read_b128 v[20:23], v14
	v_cvt_pkrtz_f16_f32 v32, v24, v25
	v_cvt_pk_f32_fp8_e32 v[34:35], v16
	v_cvt_pkrtz_f16_f32 v33, v26, v27
	ds_read_b128 v[24:27], v14 offset:16
	v_cvt_pk_f32_fp8_sdwa v[36:37], v16 src0_sel:WORD_1
	s_waitcnt lgkmcnt(1)
	v_mfma_f32_16x16x16_f16 v[28:31], v[28:29], v[20:21], 0
	v_cvt_pkrtz_f16_f32 v34, v34, v35
	s_load_dword s10, s[42:43], 0x0
	v_cvt_pkrtz_f16_f32 v35, v36, v37
	v_cvt_pk_f32_fp8_e32 v[36:37], v17
	v_cvt_pk_f32_fp8_sdwa v[16:17], v17 src0_sel:WORD_1
	v_mfma_f32_16x16x16_f16 v[20:23], v[32:33], v[22:23], v[28:31]
	v_cmp_gt_u32_e32 vcc, 64, v0
	s_mov_b32 s3, 0
	s_nop 0
	v_cvt_pkrtz_f16_f32 v28, v36, v37
	v_cvt_pkrtz_f16_f32 v29, v16, v17
	s_waitcnt lgkmcnt(0)
	v_mfma_f32_16x16x16_f16 v[20:23], v[34:35], v[24:25], v[20:23]
	s_waitcnt vmcnt(2)
	v_cvt_pk_f32_fp8_e32 v[16:17], v10
	v_cvt_pk_f32_fp8_sdwa v[24:25], v10 src0_sel:WORD_1
	v_cvt_pk_f32_fp8_sdwa v[34:35], v12 src0_sel:WORD_1
	v_mfma_f32_16x16x16_f16 v[20:23], v[28:29], v[26:27], v[20:23]
	v_cvt_pk_f32_fp8_e32 v[26:27], v11
	v_cvt_pkrtz_f16_f32 v10, v16, v17
	v_cvt_pk_f32_fp8_sdwa v[16:17], v11 src0_sel:WORD_1
	v_cvt_pkrtz_f16_f32 v11, v24, v25
	v_cvt_pkrtz_f16_f32 v32, v26, v27
	ds_read_b128 v[24:27], v14 offset:2048
	ds_read_b128 v[28:31], v14 offset:2064
	v_cvt_pkrtz_f16_f32 v33, v16, v17
	v_cvt_pk_f32_fp8_e32 v[16:17], v12
	s_waitcnt lgkmcnt(1)
	v_mfma_f32_16x16x16_f16 v[20:23], v[10:11], v[24:25], v[20:23]
	v_cvt_pkrtz_f16_f32 v11, v34, v35
	v_cvt_pkrtz_f16_f32 v10, v16, v17
	v_cvt_pk_f32_fp8_e32 v[16:17], v13
	v_cvt_pk_f32_fp8_sdwa v[24:25], v13 src0_sel:WORD_1
	v_mfma_f32_16x16x16_f16 v[20:23], v[32:33], v[26:27], v[20:23]
	v_cvt_pkrtz_f16_f32 v16, v16, v17
	v_cvt_pkrtz_f16_f32 v17, v24, v25
	s_waitcnt lgkmcnt(0)
	v_mfma_f32_16x16x16_f16 v[10:13], v[10:11], v[28:29], v[20:23]
	s_waitcnt vmcnt(1)
	v_cvt_pk_f32_fp8_sdwa v[24:25], v7 src0_sel:WORD_1
	v_cvt_pk_f32_fp8_e32 v[28:29], v8
	v_cvt_pk_f32_fp8_e32 v[20:21], v6
	v_mfma_f32_16x16x16_f16 v[10:13], v[16:17], v[30:31], v[10:13]
	v_cvt_pk_f32_fp8_sdwa v[16:17], v6 src0_sel:WORD_1
	v_cvt_pk_f32_fp8_e32 v[22:23], v7
	v_cvt_pkrtz_f16_f32 v6, v20, v21
	v_cvt_pk_f32_fp8_sdwa v[30:31], v8 src0_sel:WORD_1
	v_cvt_pkrtz_f16_f32 v7, v16, v17
	v_cvt_pkrtz_f16_f32 v16, v22, v23
	ds_read_b128 v[20:23], v14 offset:4096
	v_cvt_pkrtz_f16_f32 v17, v24, v25
	ds_read_b128 v[24:27], v14 offset:4112
	s_waitcnt lgkmcnt(1)
	v_mfma_f32_16x16x16_f16 v[10:13], v[6:7], v[20:21], v[10:13]
	v_cvt_pkrtz_f16_f32 v6, v28, v29
	v_cvt_pkrtz_f16_f32 v7, v30, v31
	v_cvt_pk_f32_fp8_e32 v[20:21], v9
	v_mfma_f32_16x16x16_f16 v[10:13], v[16:17], v[22:23], v[10:13]
	v_cvt_pk_f32_fp8_sdwa v[16:17], v9 src0_sel:WORD_1
	v_cvt_pkrtz_f16_f32 v20, v20, v21
	s_waitcnt lgkmcnt(0)
	v_mfma_f32_16x16x16_f16 v[6:9], v[6:7], v[24:25], v[10:13]
	v_cvt_pkrtz_f16_f32 v21, v16, v17
	s_waitcnt vmcnt(0)
	v_cvt_pk_f32_fp8_e32 v[16:17], v3
	v_cvt_pk_f32_fp8_sdwa v[24:25], v4 src0_sel:WORD_1
	v_cvt_pk_f32_fp8_e32 v[10:11], v2
	v_cvt_pk_f32_fp8_sdwa v[12:13], v2 src0_sel:WORD_1
	v_mfma_f32_16x16x16_f16 v[6:9], v[20:21], v[26:27], v[6:9]
	v_cvt_pk_f32_fp8_sdwa v[20:21], v3 src0_sel:WORD_1
	v_cvt_pkrtz_f16_f32 v2, v10, v11
	v_cvt_pkrtz_f16_f32 v3, v12, v13
	ds_read_b128 v[10:13], v14 offset:6144
	v_cvt_pkrtz_f16_f32 v22, v16, v17
	v_cvt_pkrtz_f16_f32 v23, v20, v21
	v_cvt_pk_f32_fp8_e32 v[20:21], v4
	s_waitcnt lgkmcnt(0)
	v_mfma_f32_16x16x16_f16 v[6:9], v[2:3], v[10:11], v[6:9]
	ds_read_b128 v[14:17], v14 offset:6160
	v_cvt_pkrtz_f16_f32 v2, v20, v21
	v_cvt_pkrtz_f16_f32 v3, v24, v25
	v_cvt_pk_f32_fp8_e32 v[10:11], v5
	v_mfma_f32_16x16x16_f16 v[6:9], v[22:23], v[12:13], v[6:9]
	v_cvt_pk_f32_fp8_sdwa v[12:13], v5 src0_sel:WORD_1
	s_waitcnt lgkmcnt(0)
	v_cvt_pkrtz_f16_f32 v10, v10, v11
	v_mfma_f32_16x16x16_f16 v[2:5], v[2:3], v[14:15], v[6:9]
	v_cvt_pkrtz_f16_f32 v11, v12, v13
	s_barrier
	s_nop 0
	v_mfma_f32_16x16x16_f16 v[2:5], v[10:11], v[16:17], v[2:5]
	s_nop 6
	v_pk_mul_f32 v[4:5], v[4:5], s[10:11] op_sel_hi:[1,0]
	v_pk_mul_f32 v[2:3], v[2:3], s[10:11] op_sel_hi:[1,0]
	v_cvt_f16_f32_e32 v4, v4
	v_cvt_f16_f32_e32 v2, v2
	;; [unrolled: 1-line block ×4, first 2 shown]
	s_and_b64 s[10:11], s[28:29], vcc
	s_and_b64 s[6:7], s[10:11], s[6:7]
	v_pack_b32_f16 v2, v2, v3
	v_pack_b32_f16 v3, v4, v5
	ds_write_b64 v18, v[2:3]
	s_waitcnt lgkmcnt(0)
	s_barrier
	s_and_saveexec_b64 s[10:11], s[6:7]
	s_cbranch_execz .LBB884_17
; %bb.16:
	s_load_dwordx2 s[0:1], s[0:1], 0x68
	s_mul_i32 s2, s9, s2
	s_lshl_b32 s8, s8, 6
	s_mul_hi_u32 s7, s2, s8
	s_mul_i32 s6, s2, s8
	s_lshl_b64 s[6:7], s[6:7], 1
	v_lshlrev_b32_e32 v0, 10, v0
	s_waitcnt lgkmcnt(0)
	s_add_u32 s6, s0, s6
	v_and_b32_e32 v0, 0x1800, v0
	v_lshlrev_b32_e32 v2, 5, v40
	v_and_b32_e32 v3, 16, v41
	s_addc_u32 s7, s1, s7
	s_lshl_b32 s2, s5, 6
	v_or3_b32 v0, v0, v2, v3
	s_lshl_b64 s[0:1], s[2:3], 1
	ds_read_b128 v[2:5], v0
	s_add_u32 s2, s6, s0
	s_addc_u32 s3, s7, s1
	s_mul_hi_u32 s1, s8, s4
	s_mul_i32 s0, s8, s4
	s_lshl_b64 s[0:1], s[0:1], 1
	s_add_u32 s0, s2, s0
	s_addc_u32 s1, s3, s1
	s_waitcnt lgkmcnt(0)
	global_store_dwordx4 v1, v[2:5], s[0:1]
.LBB884_17:
	s_endpgm
	.section	.rodata,"a",@progbits
	.p2align	6, 0x0
	.amdhsa_kernel _Z39paged_attention_ll4mi_QKV_mfma16_kernelIDF16_hLN4vllm18Fp8KVCacheDataTypeE1EhLi32ELi64ELi256ELb0ELi1EEvPKT_PKT0_S7_ifPKiS9_S9_iPKfiiiPfSC_PS2_PT2_iSB_SB_
		.amdhsa_group_segment_fixed_size 8192
		.amdhsa_private_segment_fixed_size 0
		.amdhsa_kernarg_size 400
		.amdhsa_user_sgpr_count 2
		.amdhsa_user_sgpr_dispatch_ptr 0
		.amdhsa_user_sgpr_queue_ptr 0
		.amdhsa_user_sgpr_kernarg_segment_ptr 1
		.amdhsa_user_sgpr_dispatch_id 0
		.amdhsa_user_sgpr_kernarg_preload_length 0
		.amdhsa_user_sgpr_kernarg_preload_offset 0
		.amdhsa_user_sgpr_private_segment_size 0
		.amdhsa_uses_dynamic_stack 0
		.amdhsa_enable_private_segment 0
		.amdhsa_system_sgpr_workgroup_id_x 1
		.amdhsa_system_sgpr_workgroup_id_y 1
		.amdhsa_system_sgpr_workgroup_id_z 1
		.amdhsa_system_sgpr_workgroup_info 0
		.amdhsa_system_vgpr_workitem_id 0
		.amdhsa_next_free_vgpr 55
		.amdhsa_next_free_sgpr 48
		.amdhsa_accum_offset 56
		.amdhsa_reserve_vcc 1
		.amdhsa_float_round_mode_32 0
		.amdhsa_float_round_mode_16_64 0
		.amdhsa_float_denorm_mode_32 3
		.amdhsa_float_denorm_mode_16_64 3
		.amdhsa_dx10_clamp 1
		.amdhsa_ieee_mode 1
		.amdhsa_fp16_overflow 0
		.amdhsa_tg_split 0
		.amdhsa_exception_fp_ieee_invalid_op 0
		.amdhsa_exception_fp_denorm_src 0
		.amdhsa_exception_fp_ieee_div_zero 0
		.amdhsa_exception_fp_ieee_overflow 0
		.amdhsa_exception_fp_ieee_underflow 0
		.amdhsa_exception_fp_ieee_inexact 0
		.amdhsa_exception_int_div_zero 0
	.end_amdhsa_kernel
	.section	.text._Z39paged_attention_ll4mi_QKV_mfma16_kernelIDF16_hLN4vllm18Fp8KVCacheDataTypeE1EhLi32ELi64ELi256ELb0ELi1EEvPKT_PKT0_S7_ifPKiS9_S9_iPKfiiiPfSC_PS2_PT2_iSB_SB_,"axG",@progbits,_Z39paged_attention_ll4mi_QKV_mfma16_kernelIDF16_hLN4vllm18Fp8KVCacheDataTypeE1EhLi32ELi64ELi256ELb0ELi1EEvPKT_PKT0_S7_ifPKiS9_S9_iPKfiiiPfSC_PS2_PT2_iSB_SB_,comdat
.Lfunc_end884:
	.size	_Z39paged_attention_ll4mi_QKV_mfma16_kernelIDF16_hLN4vllm18Fp8KVCacheDataTypeE1EhLi32ELi64ELi256ELb0ELi1EEvPKT_PKT0_S7_ifPKiS9_S9_iPKfiiiPfSC_PS2_PT2_iSB_SB_, .Lfunc_end884-_Z39paged_attention_ll4mi_QKV_mfma16_kernelIDF16_hLN4vllm18Fp8KVCacheDataTypeE1EhLi32ELi64ELi256ELb0ELi1EEvPKT_PKT0_S7_ifPKiS9_S9_iPKfiiiPfSC_PS2_PT2_iSB_SB_
                                        ; -- End function
	.section	.AMDGPU.csdata,"",@progbits
; Kernel info:
; codeLenInByte = 4532
; NumSgprs: 54
; NumVgprs: 55
; NumAgprs: 0
; TotalNumVgprs: 55
; ScratchSize: 0
; MemoryBound: 0
; FloatMode: 240
; IeeeMode: 1
; LDSByteSize: 8192 bytes/workgroup (compile time only)
; SGPRBlocks: 6
; VGPRBlocks: 6
; NumSGPRsForWavesPerEU: 54
; NumVGPRsForWavesPerEU: 55
; AccumOffset: 56
; Occupancy: 8
; WaveLimiterHint : 1
; COMPUTE_PGM_RSRC2:SCRATCH_EN: 0
; COMPUTE_PGM_RSRC2:USER_SGPR: 2
; COMPUTE_PGM_RSRC2:TRAP_HANDLER: 0
; COMPUTE_PGM_RSRC2:TGID_X_EN: 1
; COMPUTE_PGM_RSRC2:TGID_Y_EN: 1
; COMPUTE_PGM_RSRC2:TGID_Z_EN: 1
; COMPUTE_PGM_RSRC2:TIDIG_COMP_CNT: 0
; COMPUTE_PGM_RSRC3_GFX90A:ACCUM_OFFSET: 13
; COMPUTE_PGM_RSRC3_GFX90A:TG_SPLIT: 0
	.section	.text._Z39paged_attention_ll4mi_QKV_mfma16_kernelIDF16_hLN4vllm18Fp8KVCacheDataTypeE1EhLi32ELi64ELi256ELb0ELi2EEvPKT_PKT0_S7_ifPKiS9_S9_iPKfiiiPfSC_PS2_PT2_iSB_SB_,"axG",@progbits,_Z39paged_attention_ll4mi_QKV_mfma16_kernelIDF16_hLN4vllm18Fp8KVCacheDataTypeE1EhLi32ELi64ELi256ELb0ELi2EEvPKT_PKT0_S7_ifPKiS9_S9_iPKfiiiPfSC_PS2_PT2_iSB_SB_,comdat
	.protected	_Z39paged_attention_ll4mi_QKV_mfma16_kernelIDF16_hLN4vllm18Fp8KVCacheDataTypeE1EhLi32ELi64ELi256ELb0ELi2EEvPKT_PKT0_S7_ifPKiS9_S9_iPKfiiiPfSC_PS2_PT2_iSB_SB_ ; -- Begin function _Z39paged_attention_ll4mi_QKV_mfma16_kernelIDF16_hLN4vllm18Fp8KVCacheDataTypeE1EhLi32ELi64ELi256ELb0ELi2EEvPKT_PKT0_S7_ifPKiS9_S9_iPKfiiiPfSC_PS2_PT2_iSB_SB_
	.globl	_Z39paged_attention_ll4mi_QKV_mfma16_kernelIDF16_hLN4vllm18Fp8KVCacheDataTypeE1EhLi32ELi64ELi256ELb0ELi2EEvPKT_PKT0_S7_ifPKiS9_S9_iPKfiiiPfSC_PS2_PT2_iSB_SB_
	.p2align	8
	.type	_Z39paged_attention_ll4mi_QKV_mfma16_kernelIDF16_hLN4vllm18Fp8KVCacheDataTypeE1EhLi32ELi64ELi256ELb0ELi2EEvPKT_PKT0_S7_ifPKiS9_S9_iPKfiiiPfSC_PS2_PT2_iSB_SB_,@function
_Z39paged_attention_ll4mi_QKV_mfma16_kernelIDF16_hLN4vllm18Fp8KVCacheDataTypeE1EhLi32ELi64ELi256ELb0ELi2EEvPKT_PKT0_S7_ifPKiS9_S9_iPKfiiiPfSC_PS2_PT2_iSB_SB_: ; @_Z39paged_attention_ll4mi_QKV_mfma16_kernelIDF16_hLN4vllm18Fp8KVCacheDataTypeE1EhLi32ELi64ELi256ELb0ELi2EEvPKT_PKT0_S7_ifPKiS9_S9_iPKfiiiPfSC_PS2_PT2_iSB_SB_
; %bb.0:
	s_load_dwordx2 s[12:13], s[0:1], 0x30
	s_mov_b32 s28, s3
	s_mov_b64 s[6:7], 0
	s_waitcnt lgkmcnt(0)
	s_cmp_lg_u64 s[12:13], 0
	s_cselect_b64 s[14:15], -1, 0
	s_and_b64 vcc, exec, s[14:15]
	s_cbranch_vccz .LBB885_7
; %bb.1:
	s_add_i32 s8, s2, 1
	s_mov_b32 s9, 0
	s_lshl_b64 s[10:11], s[8:9], 2
	s_add_u32 s10, s12, s10
	s_mov_b32 s3, s9
	s_addc_u32 s11, s13, s11
	s_lshl_b64 s[8:9], s[2:3], 2
	s_add_u32 s8, s12, s8
	s_addc_u32 s9, s13, s9
	s_load_dword s5, s[10:11], 0x0
	s_load_dword s16, s[8:9], 0x0
	s_waitcnt lgkmcnt(0)
	s_sub_i32 s5, s5, s16
	s_cmp_eq_u32 s5, 1
	s_cselect_b64 s[8:9], -1, 0
	s_andn2_b64 vcc, exec, s[6:7]
	s_cbranch_vccnz .LBB885_3
.LBB885_2:
	s_mov_b32 s3, 0
	s_mov_b64 s[8:9], -1
.LBB885_3:
	s_andn2_b64 vcc, exec, s[8:9]
	s_cbranch_vccnz .LBB885_17
; %bb.4:
	s_load_dwordx2 s[6:7], s[0:1], 0x28
	s_lshl_b64 s[16:17], s[2:3], 2
	s_waitcnt lgkmcnt(0)
	s_add_u32 s6, s6, s16
	s_addc_u32 s7, s7, s17
	s_load_dword s48, s[6:7], 0x0
	s_lshl_b32 s5, s28, 8
	s_waitcnt lgkmcnt(0)
	s_cmp_ge_i32 s5, s48
	s_cbranch_scc1 .LBB885_17
; %bb.5:
	s_load_dwordx2 s[6:7], s[0:1], 0x20
	s_load_dword s8, s[0:1], 0x38
	s_add_i32 s9, s48, 31
	s_ashr_i32 s10, s9, 31
	v_and_b32_e32 v1, 0xcf, v0
	s_lshr_b32 s10, s10, 27
	v_add_u32_e32 v1, s5, v1
	s_add_i32 s9, s9, s10
	v_ashrrev_i32_e32 v2, 31, v1
	s_ashr_i32 s18, s9, 5
	v_lshrrev_b32_e32 v4, 27, v2
	s_add_i32 s18, s18, -1
	s_waitcnt lgkmcnt(0)
	s_mul_i32 s8, s2, s8
	s_mov_b32 s9, 0
	v_add_u32_e32 v2, v1, v4
	s_lshl_b64 s[8:9], s[8:9], 2
	v_ashrrev_i32_e32 v2, 5, v2
	v_mov_b32_e32 v5, s18
	v_cmp_gt_i32_e32 vcc, s48, v1
	s_add_u32 s6, s6, s8
	s_addc_u32 s7, s7, s9
	v_cndmask_b32_e32 v2, v5, v2, vcc
	v_ashrrev_i32_e32 v3, 31, v2
	v_lshl_add_u64 v[6:7], v[2:3], 2, s[6:7]
	v_or_b32_e32 v2, 16, v1
	v_add_u32_e32 v3, v2, v4
	v_ashrrev_i32_e32 v3, 5, v3
	v_cmp_gt_i32_e32 vcc, s48, v2
	s_load_dwordx4 s[8:11], s[0:1], 0x8
	s_nop 0
	v_cndmask_b32_e32 v2, v5, v3, vcc
	v_ashrrev_i32_e32 v3, 31, v2
	v_lshl_add_u64 v[8:9], v[2:3], 2, s[6:7]
	v_or_b32_e32 v2, 32, v1
	v_add_u32_e32 v3, v2, v4
	v_ashrrev_i32_e32 v3, 5, v3
	v_cmp_gt_i32_e32 vcc, s48, v2
	v_or_b32_e32 v1, 48, v1
	s_nop 0
	v_cndmask_b32_e32 v2, v5, v3, vcc
	v_ashrrev_i32_e32 v3, 31, v2
	v_lshl_add_u64 v[10:11], v[2:3], 2, s[6:7]
	v_add_u32_e32 v2, v1, v4
	v_ashrrev_i32_e32 v2, 5, v2
	v_cmp_gt_i32_e32 vcc, s48, v1
	s_nop 1
	v_cndmask_b32_e32 v2, v5, v2, vcc
	v_ashrrev_i32_e32 v3, 31, v2
	v_lshl_add_u64 v[12:13], v[2:3], 2, s[6:7]
	global_load_dword v2, v[6:7], off
	global_load_dword v5, v[8:9], off
	;; [unrolled: 1-line block ×4, first 2 shown]
	s_andn2_b64 vcc, exec, s[14:15]
	s_cbranch_vccnz .LBB885_8
; %bb.6:
	s_add_u32 s12, s12, s16
	s_addc_u32 s13, s13, s17
	s_load_dword s14, s[12:13], 0x0
	s_branch .LBB885_9
.LBB885_7:
	s_mov_b64 s[8:9], 0
	s_branch .LBB885_2
.LBB885_8:
	s_mov_b32 s14, s2
.LBB885_9:
	s_load_dwordx4 s[44:47], s[0:1], 0x48
	v_lshrrev_b32_e32 v42, 6, v0
	v_bfe_u32 v1, v0, 4, 2
	v_lshl_or_b32 v3, v42, 2, v1
	v_and_b32_e32 v43, 15, v0
	v_lshlrev_b32_e32 v6, 3, v43
	v_cmp_gt_u32_e32 vcc, 2, v3
	v_cmp_gt_u32_e64 s[30:31], 8, v43
	v_and_b32_e32 v41, 63, v0
	s_lshl_b32 s29, s4, 1
	s_and_b64 s[16:17], s[30:31], vcc
	v_lshlrev_b32_e32 v26, 1, v6
	v_lshlrev_b32_e32 v40, 4, v0
	s_and_saveexec_b64 s[12:13], s[16:17]
	s_cbranch_execz .LBB885_11
; %bb.10:
	s_load_dwordx2 s[16:17], s[0:1], 0x0
	s_waitcnt lgkmcnt(0)
	s_ashr_i32 s15, s44, 31
	s_mul_hi_u32 s19, s14, s44
	s_mul_i32 s15, s14, s15
	s_add_i32 s15, s19, s15
	s_mul_i32 s14, s14, s44
	s_lshl_b64 s[14:15], s[14:15], 1
	s_add_u32 s14, s16, s14
	v_add_lshl_u32 v6, v1, s29, 6
	s_addc_u32 s15, s17, s15
	v_ashrrev_i32_e32 v7, 31, v6
	v_lshl_add_u64 v[6:7], v[6:7], 1, s[14:15]
	v_mov_b32_e32 v27, 0
	v_lshl_add_u64 v[6:7], v[6:7], 0, v[26:27]
	global_load_dwordx4 v[6:9], v[6:7], off
	v_lshlrev_b32_e32 v11, 8, v43
	v_lshlrev_b32_e32 v3, 5, v3
	v_and_b32_e32 v10, 16, v40
	v_and_b32_e32 v11, 0xe00, v11
	v_or3_b32 v3, v11, v3, v10
	s_waitcnt vmcnt(0)
	ds_write_b128 v3, v[6:9]
.LBB885_11:
	s_or_b64 exec, exec, s[12:13]
	s_waitcnt lgkmcnt(0)
	s_mul_i32 s4, s4, s46
	s_add_u32 s8, s8, s4
	s_addc_u32 s9, s9, 0
	v_mov_b32_e32 v29, 0
	v_mov_b64_e32 v[14:15], s[8:9]
	v_and_b32_e32 v8, 48, v0
	s_waitcnt vmcnt(3)
	v_mad_i64_i32 v[6:7], s[8:9], v2, s45, v[14:15]
	v_lshlrev_b32_e32 v2, 4, v43
	v_mov_b32_e32 v3, v29
	v_lshlrev_b32_e32 v28, 5, v8
	v_lshl_add_u64 v[6:7], v[6:7], 0, v[2:3]
	v_lshl_add_u64 v[6:7], v[6:7], 0, v[28:29]
	s_load_dword s33, s[0:1], 0x98
	s_load_dwordx4 s[40:43], s[0:1], 0x80
	s_waitcnt lgkmcnt(0)
	s_barrier
	global_load_dwordx4 v[18:21], v[6:7], off
	s_waitcnt vmcnt(3)
	v_mad_i64_i32 v[6:7], s[8:9], v5, s45, v[14:15]
	v_or_b32_e32 v16, 0x100, v2
	v_mov_b32_e32 v17, v29
	v_lshl_add_u64 v[6:7], v[6:7], 0, v[16:17]
	v_lshl_add_u64 v[6:7], v[6:7], 0, v[28:29]
	global_load_dwordx4 v[10:13], v[6:7], off
	s_ashr_i32 s8, s5, 31
	v_or_b32_e32 v8, s5, v8
	s_lshr_b32 s12, s8, 27
	v_add_u32_e32 v5, s12, v8
	v_ashrrev_i32_e32 v5, 5, v5
	v_mov_b32_e32 v31, s18
	v_cmp_gt_i32_e32 vcc, s48, v8
	v_or_b32_e32 v33, 64, v8
	v_or_b32_e32 v34, 0x80, v8
	v_cndmask_b32_e32 v6, v31, v5, vcc
	v_and_b32_e32 v5, 1, v0
	v_lshlrev_b32_e32 v5, 5, v5
	v_lshl_or_b32 v32, v1, 9, v5
	s_waitcnt vmcnt(3)
	v_mad_i64_i32 v[4:5], s[8:9], v4, s45, v[14:15]
	v_lshl_add_u64 v[2:3], v[4:5], 0, v[2:3]
	v_lshl_add_u64 v[2:3], v[2:3], 0, v[28:29]
	global_load_dwordx4 v[22:25], v[2:3], off
	v_ashrrev_i32_e32 v7, 31, v6
	v_lshl_add_u64 v[6:7], v[6:7], 2, s[6:7]
	s_waitcnt vmcnt(3)
	v_mad_i64_i32 v[14:15], s[8:9], v30, s45, v[14:15]
	v_add_u32_e32 v30, s12, v33
	global_load_dword v47, v[6:7], off
	v_or_b32_e32 v35, 0xc0, v8
	ds_read_b128 v[6:9], v32
	ds_read_b128 v[2:5], v32 offset:16
	v_add_u32_e32 v32, s12, v34
	v_lshl_add_u64 v[14:15], v[14:15], 0, v[16:17]
	v_ashrrev_i32_e32 v16, 5, v30
	v_cmp_gt_i32_e32 vcc, s48, v33
	v_ashrrev_i32_e32 v17, 5, v32
	v_lshl_add_u64 v[14:15], v[14:15], 0, v[28:29]
	v_cndmask_b32_e32 v30, v31, v16, vcc
	v_cmp_gt_i32_e32 vcc, s48, v34
	v_add_u32_e32 v36, s12, v35
	v_ashrrev_i32_e32 v36, 5, v36
	v_cndmask_b32_e32 v32, v31, v17, vcc
	global_load_dwordx4 v[14:17], v[14:15], off
	v_cmp_gt_i32_e32 vcc, s48, v35
	v_ashrrev_i32_e32 v33, 31, v32
	v_lshl_add_u64 v[32:33], v[32:33], 2, s[6:7]
	v_cndmask_b32_e32 v34, v31, v36, vcc
	v_ashrrev_i32_e32 v31, 31, v30
	v_ashrrev_i32_e32 v35, 31, v34
	v_lshl_add_u64 v[30:31], v[30:31], 2, s[6:7]
	s_add_u32 s8, s10, s4
	s_load_dword s4, s[40:41], 0x0
	v_lshl_add_u64 v[34:35], v[34:35], 2, s[6:7]
	global_load_dword v46, v[30:31], off
	global_load_dword v44, v[32:33], off
	;; [unrolled: 1-line block ×3, first 2 shown]
	v_lshlrev_b32_e32 v27, 5, v43
	s_addc_u32 s9, s11, 0
	v_and_b32_e32 v28, 16, v0
	v_lshl_add_u64 v[36:37], s[8:9], 0, v[28:29]
	v_lshl_or_b32 v28, v42, 9, v27
	v_lshl_add_u64 v[28:29], v[36:37], 0, v[28:29]
	s_load_dword s13, s[0:1], 0x1c
	s_mov_b32 s44, 0xff7fffff
	s_waitcnt vmcnt(7)
	v_cvt_pk_f32_fp8_e32 v[30:31], v18
	v_cvt_pk_f32_fp8_sdwa v[32:33], v18 src0_sel:WORD_1
	v_cvt_pk_f32_fp8_e32 v[34:35], v19
	v_cvt_pk_f32_fp8_sdwa v[18:19], v19 src0_sel:WORD_1
	v_cvt_pkrtz_f16_f32 v30, v30, v31
	v_cvt_pkrtz_f16_f32 v31, v32, v33
	v_cvt_pk_f32_fp8_e32 v[36:37], v20
	v_cvt_pk_f32_fp8_sdwa v[38:39], v20 src0_sel:WORD_1
	v_cvt_pkrtz_f16_f32 v34, v34, v35
	v_cvt_pkrtz_f16_f32 v35, v18, v19
	s_waitcnt lgkmcnt(0)
	v_mfma_f32_16x16x16_f16 v[30:33], v[30:31], v[6:7], 0
	v_cvt_pkrtz_f16_f32 v36, v36, v37
	v_cvt_pkrtz_f16_f32 v37, v38, v39
	v_cvt_pk_f32_fp8_e32 v[48:49], v21
	v_cvt_pk_f32_fp8_sdwa v[50:51], v21 src0_sel:WORD_1
	v_mfma_f32_16x16x16_f16 v[18:21], v[34:35], v[8:9], v[30:33]
	s_waitcnt vmcnt(6)
	v_cvt_pk_f32_fp8_e32 v[34:35], v10
	v_cvt_pkrtz_f16_f32 v38, v48, v49
	v_cvt_pkrtz_f16_f32 v39, v50, v51
	v_mfma_f32_16x16x16_f16 v[30:33], v[36:37], v[2:3], v[18:21]
	v_cvt_pk_f32_fp8_e32 v[36:37], v11
	v_cvt_pkrtz_f16_f32 v34, v34, v35
	v_cvt_pk_f32_fp8_sdwa v[48:49], v12 src0_sel:WORD_1
	v_cvt_pk_f32_fp8_sdwa v[20:21], v10 src0_sel:WORD_1
	;; [unrolled: 1-line block ×3, first 2 shown]
	v_mfma_f32_16x16x16_f16 v[30:33], v[38:39], v[4:5], v[30:33]
	v_cvt_pk_f32_fp8_e32 v[38:39], v12
	v_cvt_pkrtz_f16_f32 v35, v20, v21
	v_cvt_pkrtz_f16_f32 v20, v36, v37
	;; [unrolled: 1-line block ×3, first 2 shown]
	v_mfma_f32_16x16x16_f16 v[34:37], v[34:35], v[6:7], 0
	v_cvt_pkrtz_f16_f32 v38, v38, v39
	v_cvt_pkrtz_f16_f32 v39, v48, v49
	v_cvt_pk_f32_fp8_e32 v[48:49], v13
	v_cvt_pk_f32_fp8_sdwa v[50:51], v13 src0_sel:WORD_1
	v_mfma_f32_16x16x16_f16 v[10:13], v[20:21], v[8:9], v[34:37]
	s_waitcnt vmcnt(4)
	v_mad_i64_i32 v[18:19], s[6:7], v47, s45, v[28:29]
	v_cvt_pkrtz_f16_f32 v20, v48, v49
	v_mov_b32_e32 v34, s13
	v_cvt_pkrtz_f16_f32 v21, v50, v51
	v_mfma_f32_16x16x16_f16 v[10:13], v[38:39], v[2:3], v[10:13]
	v_mul_f32_e32 v52, s4, v34
	v_cvt_pk_f32_fp8_e32 v[34:35], v22
	v_cvt_pk_f32_fp8_sdwa v[36:37], v22 src0_sel:WORD_1
	v_mfma_f32_16x16x16_f16 v[10:13], v[20:21], v[4:5], v[10:13]
	v_cvt_pk_f32_fp8_e32 v[20:21], v23
	v_cvt_pkrtz_f16_f32 v34, v34, v35
	v_cvt_pkrtz_f16_f32 v35, v36, v37
	v_cvt_pk_f32_fp8_sdwa v[22:23], v23 src0_sel:WORD_1
	v_cvt_pkrtz_f16_f32 v36, v20, v21
	v_cvt_pk_f32_fp8_e32 v[38:39], v24
	v_cvt_pk_f32_fp8_sdwa v[48:49], v24 src0_sel:WORD_1
	v_cvt_pkrtz_f16_f32 v37, v22, v23
	v_mfma_f32_16x16x16_f16 v[20:23], v[34:35], v[6:7], 0
	v_cvt_pkrtz_f16_f32 v38, v38, v39
	v_cvt_pkrtz_f16_f32 v39, v48, v49
	v_cvt_pk_f32_fp8_e32 v[48:49], v25
	v_cvt_pk_f32_fp8_sdwa v[24:25], v25 src0_sel:WORD_1
	v_mfma_f32_16x16x16_f16 v[34:37], v[36:37], v[8:9], v[20:23]
	s_nop 2
	v_cvt_pkrtz_f16_f32 v20, v48, v49
	v_cvt_pkrtz_f16_f32 v21, v24, v25
	v_pk_mul_f32 v[22:23], v[52:53], v[32:33] op_sel_hi:[0,1]
	v_mfma_f32_16x16x16_f16 v[34:37], v[38:39], v[2:3], v[34:37]
	v_pk_mul_f32 v[32:33], v[52:53], v[30:31] op_sel_hi:[0,1]
	s_waitcnt vmcnt(3)
	v_cvt_pk_f32_fp8_e32 v[24:25], v14
	v_cvt_pk_f32_fp8_sdwa v[30:31], v14 src0_sel:WORD_1
	v_mfma_f32_16x16x16_f16 v[48:51], v[20:21], v[4:5], v[34:37]
	v_cvt_pk_f32_fp8_e32 v[20:21], v15
	v_cvt_pkrtz_f16_f32 v24, v24, v25
	v_cvt_pkrtz_f16_f32 v25, v30, v31
	v_cvt_pk_f32_fp8_sdwa v[14:15], v15 src0_sel:WORD_1
	v_cvt_pkrtz_f16_f32 v20, v20, v21
	v_cvt_pk_f32_fp8_e32 v[30:31], v16
	v_cvt_pk_f32_fp8_sdwa v[38:39], v16 src0_sel:WORD_1
	v_cvt_pkrtz_f16_f32 v21, v14, v15
	v_mfma_f32_16x16x16_f16 v[34:37], v[24:25], v[6:7], 0
	v_cvt_pkrtz_f16_f32 v14, v30, v31
	v_cvt_pkrtz_f16_f32 v15, v38, v39
	v_cvt_pk_f32_fp8_e32 v[24:25], v17
	v_cvt_pk_f32_fp8_sdwa v[16:17], v17 src0_sel:WORD_1
	v_mfma_f32_16x16x16_f16 v[6:9], v[20:21], v[8:9], v[34:37]
	v_pk_mul_f32 v[38:39], v[52:53], v[10:11] op_sel_hi:[0,1]
	v_pk_mul_f32 v[30:31], v[52:53], v[50:51] op_sel_hi:[0,1]
	s_nop 0
	v_pk_mul_f32 v[34:35], v[52:53], v[12:13] op_sel_hi:[0,1]
	v_cvt_pkrtz_f16_f32 v12, v24, v25
	v_cvt_pkrtz_f16_f32 v13, v16, v17
	v_mfma_f32_16x16x16_f16 v[6:9], v[14:15], v[2:3], v[6:9]
	v_pk_mul_f32 v[36:37], v[52:53], v[48:49] op_sel_hi:[0,1]
	v_mfma_f32_16x16x16_f16 v[2:5], v[12:13], v[4:5], v[6:9]
	s_nop 6
	v_pk_mul_f32 v[24:25], v[52:53], v[2:3] op_sel_hi:[0,1]
	v_and_b32_e32 v2, 0xc0, v0
	v_add_u32_e32 v2, s5, v2
	v_lshl_or_b32 v2, v1, 2, v2
	v_pk_mul_f32 v[20:21], v[52:53], v[4:5] op_sel_hi:[0,1]
	v_or_b32_e32 v5, 1, v2
	v_mov_b32_e32 v3, 0xff7fffff
	v_cmp_gt_i32_e64 s[4:5], s48, v2
	v_cmp_gt_i32_e64 s[34:35], s48, v5
	v_or_b32_e32 v6, 3, v2
	v_cndmask_b32_e64 v4, v3, v32, s[4:5]
	v_cndmask_b32_e64 v5, v3, v33, s[34:35]
	v_max3_f32 v4, v4, s44, v5
	v_or_b32_e32 v5, 2, v2
	v_cmp_gt_i32_e64 s[36:37], s48, v5
	v_cmp_gt_i32_e64 s[38:39], s48, v6
	s_nop 0
	v_cndmask_b32_e64 v5, v3, v22, s[36:37]
	v_cndmask_b32_e64 v6, v3, v23, s[38:39]
	v_max3_f32 v4, v4, v5, v6
	v_or_b32_e32 v5, 16, v2
	v_or_b32_e32 v6, 17, v2
	v_cmp_gt_i32_e64 s[24:25], s48, v5
	v_cmp_gt_i32_e64 s[26:27], s48, v6
	s_nop 0
	v_cndmask_b32_e64 v5, v3, v38, s[24:25]
	v_cndmask_b32_e64 v6, v3, v39, s[26:27]
	v_max3_f32 v4, v4, v5, v6
	v_or_b32_e32 v5, 18, v2
	;; [unrolled: 8-line block ×6, first 2 shown]
	v_or_b32_e32 v2, 51, v2
	v_cmp_gt_i32_e32 vcc, s48, v5
	v_cmp_gt_i32_e64 s[6:7], s48, v2
	s_nop 0
	v_cndmask_b32_e32 v5, v3, v20, vcc
	v_cndmask_b32_e64 v2, v3, v21, s[6:7]
	v_max3_f32 v4, v4, v5, v2
	v_mbcnt_lo_u32_b32 v2, -1, 0
	v_mbcnt_hi_u32_b32 v5, -1, v2
	v_and_b32_e32 v2, 64, v5
	v_add_u32_e32 v6, 64, v2
	v_xor_b32_e32 v2, 32, v5
	v_cmp_lt_i32_e64 s[40:41], v2, v6
	s_nop 1
	v_cndmask_b32_e64 v2, v5, v2, s[40:41]
	v_lshlrev_b32_e32 v47, 2, v2
	ds_bpermute_b32 v7, v47, v4
	s_waitcnt vmcnt(2)
	v_mad_i64_i32 v[2:3], s[40:41], v46, s45, v[28:29]
	global_load_dwordx4 v[14:17], v[18:19], off
	global_load_dwordx4 v[10:13], v[2:3], off
	v_xor_b32_e32 v3, 16, v5
	v_cmp_lt_i32_e64 s[40:41], v3, v6
	s_waitcnt lgkmcnt(0)
	v_max_f32_e32 v2, v7, v7
	v_max_f32_e32 v2, v4, v2
	v_cndmask_b32_e64 v3, v5, v3, s[40:41]
	v_lshlrev_b32_e32 v46, 2, v3
	ds_bpermute_b32 v3, v46, v2
	s_waitcnt vmcnt(3)
	v_mad_i64_i32 v[18:19], s[40:41], v44, s45, v[28:29]
	s_waitcnt vmcnt(2)
	v_mad_i64_i32 v[28:29], s[40:41], v45, s45, v[28:29]
	s_waitcnt lgkmcnt(0)
	v_max_f32_e32 v3, v3, v3
	v_max_f32_e32 v44, v2, v3
	v_sub_f32_e32 v2, v32, v44
	v_mul_f32_e32 v2, 0x3fb8aa3b, v2
	v_exp_f32_e32 v32, v2
	v_sub_f32_e32 v2, v33, v44
	v_mul_f32_e32 v2, 0x3fb8aa3b, v2
	v_exp_f32_e32 v33, v2
	global_load_dwordx4 v[6:9], v[18:19], off
	global_load_dwordx4 v[2:5], v[28:29], off
	v_sub_f32_e32 v22, v22, v44
	v_mul_f32_e32 v22, 0x3fb8aa3b, v22
	v_sub_f32_e32 v23, v23, v44
	v_exp_f32_e32 v22, v22
	v_mul_f32_e32 v23, 0x3fb8aa3b, v23
	v_exp_f32_e32 v23, v23
	v_cndmask_b32_e64 v18, 0, v32, s[4:5]
	v_add_f32_e32 v28, 0, v18
	v_cndmask_b32_e64 v19, 0, v33, s[34:35]
	v_add_f32_e32 v28, v28, v19
	;; [unrolled: 2-line block ×3, first 2 shown]
	v_cndmask_b32_e64 v33, 0, v23, s[38:39]
	v_sub_f32_e32 v23, v38, v44
	v_sub_f32_e32 v28, v39, v44
	v_mul_f32_e32 v23, 0x3fb8aa3b, v23
	v_mul_f32_e32 v28, 0x3fb8aa3b, v28
	v_exp_f32_e32 v23, v23
	v_exp_f32_e32 v28, v28
	v_add_f32_e32 v29, v22, v33
	v_sub_f32_e32 v30, v30, v44
	v_cndmask_b32_e64 v22, 0, v23, s[24:25]
	v_cndmask_b32_e64 v23, 0, v28, s[26:27]
	v_sub_f32_e32 v28, v34, v44
	v_mul_f32_e32 v28, 0x3fb8aa3b, v28
	v_exp_f32_e32 v28, v28
	v_sub_f32_e32 v34, v35, v44
	v_add_f32_e32 v29, v29, v22
	v_mul_f32_e32 v34, 0x3fb8aa3b, v34
	v_exp_f32_e32 v35, v34
	v_add_f32_e32 v29, v29, v23
	v_cndmask_b32_e64 v34, 0, v28, s[20:21]
	v_add_f32_e32 v28, v29, v34
	v_sub_f32_e32 v29, v36, v44
	v_mul_f32_e32 v29, 0x3fb8aa3b, v29
	v_sub_f32_e32 v36, v37, v44
	v_exp_f32_e32 v29, v29
	v_mul_f32_e32 v36, 0x3fb8aa3b, v36
	v_exp_f32_e32 v36, v36
	v_mul_f32_e32 v30, 0x3fb8aa3b, v30
	v_sub_f32_e32 v31, v31, v44
	v_exp_f32_e32 v30, v30
	v_mul_f32_e32 v31, 0x3fb8aa3b, v31
	v_sub_f32_e32 v24, v24, v44
	v_cndmask_b32_e64 v35, 0, v35, s[22:23]
	v_exp_f32_e32 v31, v31
	v_mul_f32_e32 v24, 0x3fb8aa3b, v24
	v_sub_f32_e32 v25, v25, v44
	v_add_f32_e32 v37, v28, v35
	v_cndmask_b32_e64 v28, 0, v29, s[16:17]
	v_exp_f32_e32 v24, v24
	v_mul_f32_e32 v25, 0x3fb8aa3b, v25
	v_sub_f32_e32 v20, v20, v44
	v_add_f32_e32 v37, v37, v28
	;; [unrolled: 5-line block ×3, first 2 shown]
	v_cndmask_b32_e64 v30, 0, v30, s[12:13]
	v_exp_f32_e32 v20, v20
	v_mul_f32_e32 v21, 0x3fb8aa3b, v21
	v_add_f32_e32 v36, v36, v30
	v_cndmask_b32_e64 v31, 0, v31, s[14:15]
	v_exp_f32_e32 v21, v21
	v_add_f32_e32 v36, v36, v31
	v_cndmask_b32_e64 v24, 0, v24, s[8:9]
	v_add_f32_e32 v36, v36, v24
	v_cndmask_b32_e64 v25, 0, v25, s[10:11]
	v_add_f32_e32 v36, v36, v25
	v_cndmask_b32_e32 v20, 0, v20, vcc
	v_add_f32_e32 v36, v36, v20
	v_cndmask_b32_e64 v21, 0, v21, s[6:7]
	v_add_f32_e32 v36, v36, v21
	ds_bpermute_b32 v37, v47, v36
	v_cmp_gt_u32_e32 vcc, 16, v41
	s_waitcnt lgkmcnt(0)
	s_barrier
	v_add_f32_e32 v36, v36, v37
	ds_bpermute_b32 v38, v46, v36
	v_lshlrev_b32_e32 v37, 2, v43
	s_and_saveexec_b64 s[4:5], vcc
	s_cbranch_execz .LBB885_13
; %bb.12:
	s_waitcnt lgkmcnt(0)
	v_add_f32_e32 v36, v36, v38
	v_lshl_or_b32 v38, v42, 6, v37
	ds_write2st64_b32 v38, v44, v36 offset1:1
.LBB885_13:
	s_or_b64 exec, exec, s[4:5]
	s_load_dword s6, s[0:1], 0x94
	s_waitcnt lgkmcnt(0)
	s_barrier
	ds_read2_b32 v[38:39], v37 offset1:16
	ds_read2_b32 v[44:45], v37 offset0:32 offset1:48
	ds_read2_b32 v[46:47], v37 offset0:64 offset1:80
	s_lshl_b32 s7, s33, 1
	s_waitcnt lgkmcnt(2)
	v_max3_f32 v36, v38, s44, v39
	s_waitcnt lgkmcnt(1)
	v_max3_f32 v36, v36, v44, v45
	v_sub_f32_e32 v38, v38, v36
	v_mul_f32_e32 v38, 0x3fb8aa3b, v38
	v_exp_f32_e32 v43, v38
	v_sub_f32_e32 v38, v39, v36
	v_mul_f32_e32 v38, 0x3fb8aa3b, v38
	v_exp_f32_e32 v48, v38
	;; [unrolled: 3-line block ×3, first 2 shown]
	ds_read2_b32 v[38:39], v37 offset0:96 offset1:112
	v_sub_f32_e32 v37, v45, v36
	v_mul_f32_e32 v37, 0x3fb8aa3b, v37
	v_exp_f32_e32 v45, v37
	s_waitcnt lgkmcnt(1)
	v_fma_f32 v37, v43, v46, 0
	v_fmac_f32_e32 v37, v48, v47
	s_waitcnt lgkmcnt(0)
	v_fmac_f32_e32 v37, v44, v38
	v_fmac_f32_e32 v37, v45, v39
	v_add_f32_e32 v38, 0x358637bd, v37
	v_div_scale_f32 v39, s[4:5], v38, v38, 1.0
	v_rcp_f32_e32 v46, v39
	s_barrier
	v_fma_f32 v47, -v39, v46, 1.0
	v_fmac_f32_e32 v46, v47, v46
	v_div_scale_f32 v47, vcc, 1.0, v38, 1.0
	v_mul_f32_e32 v49, v47, v46
	v_fma_f32 v50, -v39, v49, v47
	v_fmac_f32_e32 v49, v50, v46
	v_fma_f32 v39, -v39, v49, v47
	v_div_fmas_f32 v39, v39, v46, v49
	v_cmp_eq_u32_e32 vcc, 1, v42
	v_div_fixup_f32 v38, v39, v38, 1.0
	s_nop 0
	v_cndmask_b32_e32 v39, v43, v48, vcc
	v_cmp_eq_u32_e32 vcc, 2, v42
	s_nop 1
	v_cndmask_b32_e32 v39, v39, v44, vcc
	v_cmp_eq_u32_e32 vcc, 3, v42
	s_nop 1
	v_cndmask_b32_e32 v39, v39, v45, vcc
	v_mul_f32_e32 v38, v39, v38
	v_pk_mul_f32 v[32:33], v[38:39], v[32:33] op_sel_hi:[0,1]
	v_pk_mul_f32 v[18:19], v[38:39], v[18:19] op_sel_hi:[0,1]
	v_cvt_f16_f32_e32 v39, v32
	v_cvt_f16_f32_e32 v33, v33
	;; [unrolled: 1-line block ×4, first 2 shown]
	v_cmp_gt_u32_e32 vcc, 2, v0
	v_pack_b32_f16 v33, v39, v33
	v_lshlrev_b32_e32 v39, 3, v1
	v_pack_b32_f16 v32, v18, v19
	v_pk_mul_f32 v[18:19], v[38:39], v[34:35] op_sel_hi:[0,1]
	v_pk_mul_f32 v[22:23], v[38:39], v[22:23] op_sel_hi:[0,1]
	v_cvt_f16_f32_e32 v22, v22
	v_cvt_f16_f32_e32 v23, v23
	;; [unrolled: 1-line block ×4, first 2 shown]
	v_lshlrev_b32_e32 v18, 11, v42
	v_or3_b32 v18, v18, v27, v39
	v_pack_b32_f16 v22, v22, v23
	v_pack_b32_f16 v23, v34, v19
	ds_write2st64_b64 v18, v[32:33], v[22:23] offset1:1
	v_pk_mul_f32 v[22:23], v[38:39], v[30:31] op_sel_hi:[0,1]
	v_pk_mul_f32 v[28:29], v[38:39], v[28:29] op_sel_hi:[0,1]
	v_cvt_f16_f32_e32 v19, v28
	v_cvt_f16_f32_e32 v28, v29
	v_cvt_f16_f32_e32 v29, v22
	v_cvt_f16_f32_e32 v30, v23
	v_pk_mul_f32 v[20:21], v[38:39], v[20:21] op_sel_hi:[0,1]
	v_pk_mul_f32 v[22:23], v[38:39], v[24:25] op_sel_hi:[0,1]
	v_cvt_f16_f32_e32 v22, v22
	v_cvt_f16_f32_e32 v23, v23
	;; [unrolled: 1-line block ×4, first 2 shown]
	v_pack_b32_f16 v20, v19, v28
	v_pack_b32_f16 v21, v29, v30
	v_pack_b32_f16 v22, v22, v23
	v_pack_b32_f16 v23, v24, v25
	ds_write2st64_b64 v18, v[20:21], v[22:23] offset0:2 offset1:3
	s_and_saveexec_b64 s[4:5], vcc
	s_cbranch_execz .LBB885_15
; %bb.14:
	v_or_b32_e32 v20, s29, v0
	v_mov_b32_e32 v21, 0
	v_mov_b32_e32 v19, s7
	v_mad_u64_u32 v[22:23], s[12:13], s2, v19, v[20:21]
	v_mov_b32_e32 v20, s28
	s_load_dwordx4 s[8:11], s[0:1], 0x58
	s_mul_i32 s3, s3, s7
	v_mad_u64_u32 v[20:21], s[12:13], v22, s6, v[20:21]
	v_add_u32_e32 v19, s3, v23
	v_mov_b32_e32 v22, v21
	v_mad_u64_u32 v[22:23], s[12:13], v19, s6, v[22:23]
	v_mov_b32_e32 v21, v22
	v_lshlrev_b64 v[20:21], 2, v[20:21]
	s_waitcnt lgkmcnt(0)
	v_lshl_add_u64 v[22:23], s[10:11], 0, v[20:21]
	v_lshl_add_u64 v[20:21], s[8:9], 0, v[20:21]
	global_store_dword v[22:23], v36, off
	global_store_dword v[20:21], v37, off
.LBB885_15:
	s_or_b64 exec, exec, s[4:5]
	s_waitcnt vmcnt(3)
	v_cvt_pk_f32_fp8_e32 v[20:21], v14
	v_cvt_pk_f32_fp8_sdwa v[22:23], v14 src0_sel:WORD_1
	v_lshl_or_b32 v14, v1, 9, v27
	s_waitcnt lgkmcnt(0)
	s_barrier
	v_cvt_pk_f32_fp8_e32 v[24:25], v15
	v_cvt_pkrtz_f16_f32 v32, v20, v21
	v_cvt_pkrtz_f16_f32 v33, v22, v23
	v_cvt_pk_f32_fp8_sdwa v[28:29], v15 src0_sel:WORD_1
	ds_read_b128 v[20:23], v14
	v_cvt_pkrtz_f16_f32 v24, v24, v25
	v_cvt_pk_f32_fp8_e32 v[36:37], v16
	v_cvt_pkrtz_f16_f32 v25, v28, v29
	ds_read_b128 v[28:31], v14 offset:16
	v_cvt_pk_f32_fp8_sdwa v[38:39], v16 src0_sel:WORD_1
	s_waitcnt lgkmcnt(1)
	v_mfma_f32_16x16x16_f16 v[32:35], v[32:33], v[20:21], 0
	v_cvt_pkrtz_f16_f32 v36, v36, v37
	s_load_dword s4, s[42:43], 0x0
	v_cvt_pkrtz_f16_f32 v37, v38, v39
	v_cvt_pk_f32_fp8_e32 v[38:39], v17
	v_cvt_pk_f32_fp8_sdwa v[16:17], v17 src0_sel:WORD_1
	v_mfma_f32_16x16x16_f16 v[20:23], v[24:25], v[22:23], v[32:35]
	v_cmp_gt_u32_e32 vcc, 64, v0
	v_cvt_pkrtz_f16_f32 v24, v38, v39
	v_cvt_pkrtz_f16_f32 v25, v16, v17
	s_waitcnt lgkmcnt(0)
	v_mfma_f32_16x16x16_f16 v[20:23], v[36:37], v[28:29], v[20:23]
	s_waitcnt vmcnt(2)
	v_cvt_pk_f32_fp8_e32 v[16:17], v10
	v_cvt_pk_f32_fp8_e32 v[28:29], v11
	v_cvt_pk_f32_fp8_sdwa v[36:37], v12 src0_sel:WORD_1
	v_mfma_f32_16x16x16_f16 v[20:23], v[24:25], v[30:31], v[20:23]
	v_cvt_pk_f32_fp8_sdwa v[24:25], v10 src0_sel:WORD_1
	v_cvt_pkrtz_f16_f32 v10, v16, v17
	v_cvt_pk_f32_fp8_sdwa v[16:17], v11 src0_sel:WORD_1
	ds_read_b128 v[32:35], v14 offset:2064
	v_cvt_pkrtz_f16_f32 v11, v24, v25
	v_cvt_pkrtz_f16_f32 v24, v28, v29
	ds_read_b128 v[28:31], v14 offset:2048
	v_cvt_pkrtz_f16_f32 v25, v16, v17
	v_cvt_pk_f32_fp8_e32 v[16:17], v12
	s_waitcnt lgkmcnt(0)
	v_mfma_f32_16x16x16_f16 v[20:23], v[10:11], v[28:29], v[20:23]
	v_cvt_pkrtz_f16_f32 v10, v16, v17
	v_cvt_pkrtz_f16_f32 v11, v36, v37
	v_cvt_pk_f32_fp8_e32 v[16:17], v13
	v_mfma_f32_16x16x16_f16 v[20:23], v[24:25], v[30:31], v[20:23]
	v_cvt_pk_f32_fp8_sdwa v[24:25], v13 src0_sel:WORD_1
	ds_read_b128 v[28:31], v14 offset:4112
	v_cvt_pkrtz_f16_f32 v16, v16, v17
	v_mfma_f32_16x16x16_f16 v[10:13], v[10:11], v[32:33], v[20:23]
	v_cvt_pkrtz_f16_f32 v17, v24, v25
	s_waitcnt vmcnt(1)
	v_cvt_pk_f32_fp8_sdwa v[24:25], v7 src0_sel:WORD_1
	v_cvt_pk_f32_fp8_sdwa v[32:33], v8 src0_sel:WORD_1
	v_cvt_pk_f32_fp8_e32 v[20:21], v6
	v_mfma_f32_16x16x16_f16 v[10:13], v[16:17], v[34:35], v[10:13]
	v_cvt_pk_f32_fp8_sdwa v[16:17], v6 src0_sel:WORD_1
	v_cvt_pk_f32_fp8_e32 v[22:23], v7
	v_cvt_pkrtz_f16_f32 v6, v20, v21
	s_mov_b32 s3, 0
	v_cvt_pkrtz_f16_f32 v7, v16, v17
	v_cvt_pkrtz_f16_f32 v16, v22, v23
	ds_read_b128 v[20:23], v14 offset:4096
	v_cvt_pkrtz_f16_f32 v17, v24, v25
	v_cvt_pk_f32_fp8_e32 v[24:25], v8
	s_waitcnt lgkmcnt(0)
	v_mfma_f32_16x16x16_f16 v[10:13], v[6:7], v[20:21], v[10:13]
	v_cvt_pkrtz_f16_f32 v6, v24, v25
	v_cvt_pkrtz_f16_f32 v7, v32, v33
	v_cvt_pk_f32_fp8_e32 v[20:21], v9
	v_mfma_f32_16x16x16_f16 v[10:13], v[16:17], v[22:23], v[10:13]
	v_cvt_pk_f32_fp8_sdwa v[16:17], v9 src0_sel:WORD_1
	s_waitcnt vmcnt(0)
	v_cvt_pk_f32_fp8_sdwa v[24:25], v4 src0_sel:WORD_1
	v_cvt_pkrtz_f16_f32 v20, v20, v21
	v_mfma_f32_16x16x16_f16 v[6:9], v[6:7], v[28:29], v[10:13]
	v_cvt_pkrtz_f16_f32 v21, v16, v17
	v_cvt_pk_f32_fp8_e32 v[16:17], v3
	v_mov_b32_e32 v27, 0
	v_cvt_pk_f32_fp8_e32 v[10:11], v2
	v_cvt_pk_f32_fp8_sdwa v[12:13], v2 src0_sel:WORD_1
	v_mfma_f32_16x16x16_f16 v[6:9], v[20:21], v[30:31], v[6:9]
	v_cvt_pk_f32_fp8_sdwa v[20:21], v3 src0_sel:WORD_1
	v_cvt_pkrtz_f16_f32 v2, v10, v11
	v_cvt_pkrtz_f16_f32 v3, v12, v13
	ds_read_b128 v[10:13], v14 offset:6144
	v_cvt_pkrtz_f16_f32 v22, v16, v17
	v_cvt_pkrtz_f16_f32 v23, v20, v21
	v_cvt_pk_f32_fp8_e32 v[20:21], v4
	s_waitcnt lgkmcnt(0)
	v_mfma_f32_16x16x16_f16 v[6:9], v[2:3], v[10:11], v[6:9]
	ds_read_b128 v[14:17], v14 offset:6160
	v_cvt_pkrtz_f16_f32 v2, v20, v21
	v_cvt_pkrtz_f16_f32 v3, v24, v25
	v_cvt_pk_f32_fp8_e32 v[10:11], v5
	v_mfma_f32_16x16x16_f16 v[6:9], v[22:23], v[12:13], v[6:9]
	v_cvt_pk_f32_fp8_sdwa v[12:13], v5 src0_sel:WORD_1
	s_waitcnt lgkmcnt(0)
	v_cvt_pkrtz_f16_f32 v10, v10, v11
	v_mfma_f32_16x16x16_f16 v[2:5], v[2:3], v[14:15], v[6:9]
	v_cvt_pkrtz_f16_f32 v11, v12, v13
	s_barrier
	s_nop 0
	v_mfma_f32_16x16x16_f16 v[2:5], v[10:11], v[16:17], v[2:5]
	s_nop 6
	v_pk_mul_f32 v[4:5], v[4:5], s[4:5] op_sel_hi:[1,0]
	v_pk_mul_f32 v[2:3], v[2:3], s[4:5] op_sel_hi:[1,0]
	v_cvt_f16_f32_e32 v4, v4
	v_cvt_f16_f32_e32 v2, v2
	;; [unrolled: 1-line block ×4, first 2 shown]
	v_cmp_gt_u32_e64 s[4:5], 32, v41
	s_and_b64 s[4:5], s[4:5], vcc
	v_pack_b32_f16 v2, v2, v3
	v_pack_b32_f16 v3, v4, v5
	s_and_b64 s[4:5], s[4:5], s[30:31]
	ds_write_b64 v18, v[2:3]
	s_waitcnt lgkmcnt(0)
	s_barrier
	s_and_saveexec_b64 s[8:9], s[4:5]
	s_cbranch_execz .LBB885_17
; %bb.16:
	s_load_dwordx2 s[0:1], s[0:1], 0x68
	s_mul_i32 s2, s7, s2
	s_lshl_b32 s6, s6, 6
	s_mul_hi_u32 s5, s2, s6
	s_mul_i32 s4, s2, s6
	v_lshlrev_b32_e32 v0, 10, v0
	s_lshl_b64 s[4:5], s[4:5], 1
	v_and_b32_e32 v0, 0x1800, v0
	v_lshlrev_b32_e32 v2, 5, v1
	v_and_b32_e32 v3, 16, v40
	s_waitcnt lgkmcnt(0)
	s_add_u32 s4, s0, s4
	v_or3_b32 v0, v0, v2, v3
	s_addc_u32 s5, s1, s5
	s_lshl_b32 s2, s28, 6
	ds_read_b128 v[2:5], v0
	s_lshl_b64 s[0:1], s[2:3], 1
	s_add_u32 s0, s4, s0
	v_or_b32_e32 v0, s29, v1
	s_addc_u32 s1, s5, s1
	v_mad_u64_u32 v[0:1], s[2:3], s6, v0, 0
	v_lshl_add_u64 v[0:1], v[0:1], 1, s[0:1]
	v_lshl_add_u64 v[0:1], v[0:1], 0, v[26:27]
	s_waitcnt lgkmcnt(0)
	global_store_dwordx4 v[0:1], v[2:5], off
.LBB885_17:
	s_endpgm
	.section	.rodata,"a",@progbits
	.p2align	6, 0x0
	.amdhsa_kernel _Z39paged_attention_ll4mi_QKV_mfma16_kernelIDF16_hLN4vllm18Fp8KVCacheDataTypeE1EhLi32ELi64ELi256ELb0ELi2EEvPKT_PKT0_S7_ifPKiS9_S9_iPKfiiiPfSC_PS2_PT2_iSB_SB_
		.amdhsa_group_segment_fixed_size 8192
		.amdhsa_private_segment_fixed_size 0
		.amdhsa_kernarg_size 400
		.amdhsa_user_sgpr_count 2
		.amdhsa_user_sgpr_dispatch_ptr 0
		.amdhsa_user_sgpr_queue_ptr 0
		.amdhsa_user_sgpr_kernarg_segment_ptr 1
		.amdhsa_user_sgpr_dispatch_id 0
		.amdhsa_user_sgpr_kernarg_preload_length 0
		.amdhsa_user_sgpr_kernarg_preload_offset 0
		.amdhsa_user_sgpr_private_segment_size 0
		.amdhsa_uses_dynamic_stack 0
		.amdhsa_enable_private_segment 0
		.amdhsa_system_sgpr_workgroup_id_x 1
		.amdhsa_system_sgpr_workgroup_id_y 1
		.amdhsa_system_sgpr_workgroup_id_z 1
		.amdhsa_system_sgpr_workgroup_info 0
		.amdhsa_system_vgpr_workitem_id 0
		.amdhsa_next_free_vgpr 54
		.amdhsa_next_free_sgpr 49
		.amdhsa_accum_offset 56
		.amdhsa_reserve_vcc 1
		.amdhsa_float_round_mode_32 0
		.amdhsa_float_round_mode_16_64 0
		.amdhsa_float_denorm_mode_32 3
		.amdhsa_float_denorm_mode_16_64 3
		.amdhsa_dx10_clamp 1
		.amdhsa_ieee_mode 1
		.amdhsa_fp16_overflow 0
		.amdhsa_tg_split 0
		.amdhsa_exception_fp_ieee_invalid_op 0
		.amdhsa_exception_fp_denorm_src 0
		.amdhsa_exception_fp_ieee_div_zero 0
		.amdhsa_exception_fp_ieee_overflow 0
		.amdhsa_exception_fp_ieee_underflow 0
		.amdhsa_exception_fp_ieee_inexact 0
		.amdhsa_exception_int_div_zero 0
	.end_amdhsa_kernel
	.section	.text._Z39paged_attention_ll4mi_QKV_mfma16_kernelIDF16_hLN4vllm18Fp8KVCacheDataTypeE1EhLi32ELi64ELi256ELb0ELi2EEvPKT_PKT0_S7_ifPKiS9_S9_iPKfiiiPfSC_PS2_PT2_iSB_SB_,"axG",@progbits,_Z39paged_attention_ll4mi_QKV_mfma16_kernelIDF16_hLN4vllm18Fp8KVCacheDataTypeE1EhLi32ELi64ELi256ELb0ELi2EEvPKT_PKT0_S7_ifPKiS9_S9_iPKfiiiPfSC_PS2_PT2_iSB_SB_,comdat
.Lfunc_end885:
	.size	_Z39paged_attention_ll4mi_QKV_mfma16_kernelIDF16_hLN4vllm18Fp8KVCacheDataTypeE1EhLi32ELi64ELi256ELb0ELi2EEvPKT_PKT0_S7_ifPKiS9_S9_iPKfiiiPfSC_PS2_PT2_iSB_SB_, .Lfunc_end885-_Z39paged_attention_ll4mi_QKV_mfma16_kernelIDF16_hLN4vllm18Fp8KVCacheDataTypeE1EhLi32ELi64ELi256ELb0ELi2EEvPKT_PKT0_S7_ifPKiS9_S9_iPKfiiiPfSC_PS2_PT2_iSB_SB_
                                        ; -- End function
	.section	.AMDGPU.csdata,"",@progbits
; Kernel info:
; codeLenInByte = 4588
; NumSgprs: 55
; NumVgprs: 54
; NumAgprs: 0
; TotalNumVgprs: 54
; ScratchSize: 0
; MemoryBound: 0
; FloatMode: 240
; IeeeMode: 1
; LDSByteSize: 8192 bytes/workgroup (compile time only)
; SGPRBlocks: 6
; VGPRBlocks: 6
; NumSGPRsForWavesPerEU: 55
; NumVGPRsForWavesPerEU: 54
; AccumOffset: 56
; Occupancy: 8
; WaveLimiterHint : 1
; COMPUTE_PGM_RSRC2:SCRATCH_EN: 0
; COMPUTE_PGM_RSRC2:USER_SGPR: 2
; COMPUTE_PGM_RSRC2:TRAP_HANDLER: 0
; COMPUTE_PGM_RSRC2:TGID_X_EN: 1
; COMPUTE_PGM_RSRC2:TGID_Y_EN: 1
; COMPUTE_PGM_RSRC2:TGID_Z_EN: 1
; COMPUTE_PGM_RSRC2:TIDIG_COMP_CNT: 0
; COMPUTE_PGM_RSRC3_GFX90A:ACCUM_OFFSET: 13
; COMPUTE_PGM_RSRC3_GFX90A:TG_SPLIT: 0
	.section	.text._Z39paged_attention_ll4mi_QKV_mfma16_kernelIDF16_hLN4vllm18Fp8KVCacheDataTypeE1EhLi32ELi64ELi256ELb0ELi3EEvPKT_PKT0_S7_ifPKiS9_S9_iPKfiiiPfSC_PS2_PT2_iSB_SB_,"axG",@progbits,_Z39paged_attention_ll4mi_QKV_mfma16_kernelIDF16_hLN4vllm18Fp8KVCacheDataTypeE1EhLi32ELi64ELi256ELb0ELi3EEvPKT_PKT0_S7_ifPKiS9_S9_iPKfiiiPfSC_PS2_PT2_iSB_SB_,comdat
	.protected	_Z39paged_attention_ll4mi_QKV_mfma16_kernelIDF16_hLN4vllm18Fp8KVCacheDataTypeE1EhLi32ELi64ELi256ELb0ELi3EEvPKT_PKT0_S7_ifPKiS9_S9_iPKfiiiPfSC_PS2_PT2_iSB_SB_ ; -- Begin function _Z39paged_attention_ll4mi_QKV_mfma16_kernelIDF16_hLN4vllm18Fp8KVCacheDataTypeE1EhLi32ELi64ELi256ELb0ELi3EEvPKT_PKT0_S7_ifPKiS9_S9_iPKfiiiPfSC_PS2_PT2_iSB_SB_
	.globl	_Z39paged_attention_ll4mi_QKV_mfma16_kernelIDF16_hLN4vllm18Fp8KVCacheDataTypeE1EhLi32ELi64ELi256ELb0ELi3EEvPKT_PKT0_S7_ifPKiS9_S9_iPKfiiiPfSC_PS2_PT2_iSB_SB_
	.p2align	8
	.type	_Z39paged_attention_ll4mi_QKV_mfma16_kernelIDF16_hLN4vllm18Fp8KVCacheDataTypeE1EhLi32ELi64ELi256ELb0ELi3EEvPKT_PKT0_S7_ifPKiS9_S9_iPKfiiiPfSC_PS2_PT2_iSB_SB_,@function
_Z39paged_attention_ll4mi_QKV_mfma16_kernelIDF16_hLN4vllm18Fp8KVCacheDataTypeE1EhLi32ELi64ELi256ELb0ELi3EEvPKT_PKT0_S7_ifPKiS9_S9_iPKfiiiPfSC_PS2_PT2_iSB_SB_: ; @_Z39paged_attention_ll4mi_QKV_mfma16_kernelIDF16_hLN4vllm18Fp8KVCacheDataTypeE1EhLi32ELi64ELi256ELb0ELi3EEvPKT_PKT0_S7_ifPKiS9_S9_iPKfiiiPfSC_PS2_PT2_iSB_SB_
; %bb.0:
	s_load_dwordx2 s[12:13], s[0:1], 0x30
	s_mov_b32 s28, s3
	s_mov_b64 s[6:7], 0
	s_waitcnt lgkmcnt(0)
	s_cmp_lg_u64 s[12:13], 0
	s_cselect_b64 s[14:15], -1, 0
	s_and_b64 vcc, exec, s[14:15]
	s_cbranch_vccz .LBB886_7
; %bb.1:
	s_add_i32 s8, s2, 1
	s_mov_b32 s9, 0
	s_lshl_b64 s[10:11], s[8:9], 2
	s_add_u32 s10, s12, s10
	s_mov_b32 s3, s9
	s_addc_u32 s11, s13, s11
	s_lshl_b64 s[8:9], s[2:3], 2
	s_add_u32 s8, s12, s8
	s_addc_u32 s9, s13, s9
	s_load_dword s5, s[10:11], 0x0
	s_load_dword s16, s[8:9], 0x0
	s_waitcnt lgkmcnt(0)
	s_sub_i32 s5, s5, s16
	s_cmp_eq_u32 s5, 1
	s_cselect_b64 s[8:9], -1, 0
	s_andn2_b64 vcc, exec, s[6:7]
	s_cbranch_vccnz .LBB886_3
.LBB886_2:
	s_mov_b32 s3, 0
	s_mov_b64 s[8:9], -1
.LBB886_3:
	s_andn2_b64 vcc, exec, s[8:9]
	s_cbranch_vccnz .LBB886_17
; %bb.4:
	s_load_dwordx2 s[6:7], s[0:1], 0x28
	s_lshl_b64 s[16:17], s[2:3], 2
	s_waitcnt lgkmcnt(0)
	s_add_u32 s6, s6, s16
	s_addc_u32 s7, s7, s17
	s_load_dword s33, s[6:7], 0x0
	s_lshl_b32 s5, s28, 8
	s_waitcnt lgkmcnt(0)
	s_cmp_ge_i32 s5, s33
	s_cbranch_scc1 .LBB886_17
; %bb.5:
	s_add_i32 s9, s33, 31
	s_load_dwordx2 s[6:7], s[0:1], 0x20
	s_load_dword s8, s[0:1], 0x38
	s_ashr_i32 s10, s9, 31
	v_and_b32_e32 v1, 0xcf, v0
	s_lshr_b32 s10, s10, 27
	v_add_u32_e32 v1, s5, v1
	s_add_i32 s9, s9, s10
	v_ashrrev_i32_e32 v2, 31, v1
	s_ashr_i32 s18, s9, 5
	v_lshrrev_b32_e32 v6, 27, v2
	s_add_i32 s18, s18, -1
	v_add_u32_e32 v2, v1, v6
	v_or_b32_e32 v4, 16, v1
	s_waitcnt lgkmcnt(0)
	s_mul_i32 s8, s2, s8
	s_mov_b32 s9, 0
	v_ashrrev_i32_e32 v2, 5, v2
	v_mov_b32_e32 v7, s18
	v_cmp_gt_i32_e32 vcc, s33, v1
	v_add_u32_e32 v5, v4, v6
	s_lshl_b64 s[8:9], s[8:9], 2
	v_cndmask_b32_e32 v2, v7, v2, vcc
	v_ashrrev_i32_e32 v5, 5, v5
	v_cmp_gt_i32_e32 vcc, s33, v4
	s_add_u32 s6, s6, s8
	s_addc_u32 s7, s7, s9
	v_cndmask_b32_e32 v4, v7, v5, vcc
	v_ashrrev_i32_e32 v5, 31, v4
	v_lshl_add_u64 v[10:11], v[4:5], 2, s[6:7]
	v_or_b32_e32 v4, 32, v1
	v_add_u32_e32 v5, v4, v6
	v_ashrrev_i32_e32 v5, 5, v5
	v_cmp_gt_i32_e32 vcc, s33, v4
	v_or_b32_e32 v1, 48, v1
	v_ashrrev_i32_e32 v3, 31, v2
	v_cndmask_b32_e32 v4, v7, v5, vcc
	v_ashrrev_i32_e32 v5, 31, v4
	v_lshl_add_u64 v[12:13], v[4:5], 2, s[6:7]
	v_add_u32_e32 v4, v1, v6
	v_ashrrev_i32_e32 v4, 5, v4
	v_cmp_gt_i32_e32 vcc, s33, v1
	v_lshl_add_u64 v[2:3], v[2:3], 2, s[6:7]
	s_load_dwordx4 s[8:11], s[0:1], 0x8
	v_cndmask_b32_e32 v4, v7, v4, vcc
	v_ashrrev_i32_e32 v5, 31, v4
	v_lshl_add_u64 v[14:15], v[4:5], 2, s[6:7]
	global_load_dword v4, v[2:3], off
	global_load_dword v8, v[10:11], off
	;; [unrolled: 1-line block ×4, first 2 shown]
	s_andn2_b64 vcc, exec, s[14:15]
	s_cbranch_vccnz .LBB886_8
; %bb.6:
	s_add_u32 s12, s12, s16
	s_addc_u32 s13, s13, s17
	s_load_dword s14, s[12:13], 0x0
	s_branch .LBB886_9
.LBB886_7:
	s_mov_b64 s[8:9], 0
	s_branch .LBB886_2
.LBB886_8:
	s_mov_b32 s14, s2
.LBB886_9:
	s_load_dwordx4 s[44:47], s[0:1], 0x48
	v_lshrrev_b32_e32 v29, 6, v0
	v_bfe_u32 v42, v0, 4, 2
	v_lshl_or_b32 v2, v29, 2, v42
	v_and_b32_e32 v28, 15, v0
	s_mul_i32 s48, s4, 3
	v_lshlrev_b32_e32 v3, 3, v28
	v_cmp_gt_u32_e32 vcc, 3, v2
	v_cmp_gt_u32_e64 s[30:31], 8, v28
	v_and_b32_e32 v44, 63, v0
	v_add_u32_e32 v1, s48, v42
	s_and_b64 s[16:17], s[30:31], vcc
	v_lshlrev_b32_e32 v26, 1, v3
	v_lshlrev_b32_e32 v43, 4, v0
	s_and_saveexec_b64 s[12:13], s[16:17]
	s_cbranch_execz .LBB886_11
; %bb.10:
	s_load_dwordx2 s[16:17], s[0:1], 0x0
	s_waitcnt lgkmcnt(0)
	s_ashr_i32 s15, s44, 31
	s_mul_hi_u32 s19, s14, s44
	s_mul_i32 s15, s14, s15
	s_add_i32 s15, s19, s15
	s_mul_i32 s14, s14, s44
	s_lshl_b64 s[14:15], s[14:15], 1
	s_add_u32 s14, s16, s14
	v_lshlrev_b32_e32 v10, 6, v1
	s_addc_u32 s15, s17, s15
	v_ashrrev_i32_e32 v11, 31, v10
	v_lshl_add_u64 v[10:11], v[10:11], 1, s[14:15]
	v_mov_b32_e32 v27, 0
	v_lshl_add_u64 v[10:11], v[10:11], 0, v[26:27]
	global_load_dwordx4 v[10:13], v[10:11], off
	v_lshlrev_b32_e32 v5, 8, v28
	v_lshlrev_b32_e32 v2, 5, v2
	v_and_b32_e32 v3, 16, v43
	v_and_b32_e32 v5, 0xe00, v5
	v_or3_b32 v2, v5, v2, v3
	s_waitcnt vmcnt(0)
	ds_write_b128 v2, v[10:13]
.LBB886_11:
	s_or_b64 exec, exec, s[12:13]
	s_waitcnt lgkmcnt(0)
	s_mul_i32 s4, s4, s46
	s_add_u32 s8, s8, s4
	s_addc_u32 s9, s9, 0
	v_mov_b32_e32 v31, 0
	v_mov_b64_e32 v[2:3], s[8:9]
	v_and_b32_e32 v12, 48, v0
	s_waitcnt vmcnt(3)
	v_mad_i64_i32 v[10:11], s[8:9], v4, s45, v[2:3]
	v_lshlrev_b32_e32 v4, 4, v28
	v_mov_b32_e32 v5, v31
	v_lshlrev_b32_e32 v30, 5, v12
	v_lshl_add_u64 v[10:11], v[10:11], 0, v[4:5]
	v_lshl_add_u64 v[10:11], v[10:11], 0, v[30:31]
	s_load_dword s29, s[0:1], 0x98
	s_load_dwordx4 s[40:43], s[0:1], 0x80
	s_waitcnt lgkmcnt(0)
	s_barrier
	global_load_dwordx4 v[14:17], v[10:11], off
	s_waitcnt vmcnt(3)
	v_mad_i64_i32 v[8:9], s[8:9], v8, s45, v[2:3]
	s_ashr_i32 s8, s5, 31
	v_or_b32_e32 v12, s5, v12
	s_lshr_b32 s12, s8, 27
	v_add_u32_e32 v10, s12, v12
	v_ashrrev_i32_e32 v10, 5, v10
	v_mov_b32_e32 v33, s18
	v_cmp_gt_i32_e32 vcc, s33, v12
	v_mov_b32_e32 v13, 5
	v_or_b32_e32 v32, 64, v12
	v_cndmask_b32_e32 v10, v33, v10, vcc
	v_ashrrev_i32_e32 v11, 31, v10
	v_lshl_add_u64 v[10:11], v[10:11], 2, s[6:7]
	global_load_dword v45, v[10:11], off
	v_or_b32_e32 v10, 0x100, v4
	v_mov_b32_e32 v11, v31
	v_lshl_add_u64 v[8:9], v[8:9], 0, v[10:11]
	v_lshl_add_u64 v[8:9], v[8:9], 0, v[30:31]
	global_load_dwordx4 v[18:21], v[8:9], off
	v_mul_lo_u16_e32 v8, 0x56, v28
	v_mov_b32_e32 v9, 3
	v_mul_lo_u16_sdwa v8, v8, v9 dst_sel:DWORD dst_unused:UNUSED_PAD src0_sel:BYTE_1 src1_sel:DWORD
	v_sub_u16_e32 v8, v28, v8
	v_or_b32_e32 v34, 0x80, v12
	v_or_b32_e32 v35, 0xc0, v12
	v_lshlrev_b32_sdwa v12, v13, v8 dst_sel:DWORD dst_unused:UNUSED_PAD src0_sel:DWORD src1_sel:BYTE_0
	s_waitcnt vmcnt(4)
	v_mad_i64_i32 v[8:9], s[8:9], v7, s45, v[2:3]
	v_lshl_add_u64 v[4:5], v[8:9], 0, v[4:5]
	v_lshl_add_u64 v[4:5], v[4:5], 0, v[30:31]
	global_load_dwordx4 v[22:25], v[4:5], off
	v_lshl_add_u32 v4, v42, 9, v12
	s_waitcnt vmcnt(4)
	v_mad_i64_i32 v[12:13], s[8:9], v6, s45, v[2:3]
	v_add_u32_e32 v36, s12, v32
	v_add_u32_e32 v37, s12, v34
	v_lshl_add_u64 v[10:11], v[12:13], 0, v[10:11]
	v_ashrrev_i32_e32 v12, 5, v36
	v_cmp_gt_i32_e32 vcc, s33, v32
	v_ashrrev_i32_e32 v13, 5, v37
	v_lshl_add_u64 v[10:11], v[10:11], 0, v[30:31]
	v_cndmask_b32_e32 v32, v33, v12, vcc
	v_cmp_gt_i32_e32 vcc, s33, v34
	ds_read_b128 v[6:9], v4
	ds_read_b128 v[2:5], v4 offset:16
	v_cndmask_b32_e32 v34, v33, v13, vcc
	global_load_dwordx4 v[10:13], v[10:11], off
	v_add_u32_e32 v38, s12, v35
	s_add_u32 s8, s10, s4
	v_ashrrev_i32_e32 v36, 5, v38
	v_cmp_gt_i32_e32 vcc, s33, v35
	v_lshlrev_b32_e32 v27, 5, v28
	s_addc_u32 s9, s11, 0
	v_cndmask_b32_e32 v36, v33, v36, vcc
	v_and_b32_e32 v30, 16, v0
	v_ashrrev_i32_e32 v37, 31, v36
	v_lshl_add_u64 v[38:39], s[8:9], 0, v[30:31]
	v_lshl_or_b32 v30, v29, 9, v27
	v_lshl_add_u64 v[40:41], v[36:37], 2, s[6:7]
	v_lshl_add_u64 v[30:31], v[38:39], 0, v[30:31]
	v_ashrrev_i32_e32 v33, 31, v32
	v_ashrrev_i32_e32 v35, 31, v34
	v_lshl_add_u64 v[32:33], v[32:33], 2, s[6:7]
	v_lshl_add_u64 v[34:35], v[34:35], 2, s[6:7]
	s_load_dword s13, s[0:1], 0x1c
	s_mov_b32 s44, 0xff7fffff
	s_waitcnt vmcnt(4)
	v_cvt_pk_f32_fp8_e32 v[36:37], v14
	v_cvt_pk_f32_fp8_sdwa v[38:39], v14 src0_sel:WORD_1
	v_cvt_pk_f32_fp8_e32 v[46:47], v15
	v_cvt_pk_f32_fp8_sdwa v[14:15], v15 src0_sel:WORD_1
	v_cvt_pkrtz_f16_f32 v36, v36, v37
	v_cvt_pkrtz_f16_f32 v37, v38, v39
	;; [unrolled: 1-line block ×4, first 2 shown]
	v_cvt_pk_f32_fp8_e32 v[48:49], v16
	v_cvt_pk_f32_fp8_sdwa v[50:51], v16 src0_sel:WORD_1
	s_waitcnt lgkmcnt(0)
	v_mfma_f32_16x16x16_f16 v[36:39], v[36:37], v[6:7], 0
	global_load_dword v16, v[32:33], off
	s_nop 0
	global_load_dword v34, v[34:35], off
	s_nop 0
	global_load_dword v35, v[40:41], off
	v_cvt_pkrtz_f16_f32 v32, v48, v49
	v_cvt_pkrtz_f16_f32 v33, v50, v51
	v_mfma_f32_16x16x16_f16 v[36:39], v[46:47], v[8:9], v[36:39]
	v_cvt_pk_f32_fp8_e32 v[40:41], v17
	v_cvt_pk_f32_fp8_sdwa v[46:47], v17 src0_sel:WORD_1
	s_load_dword s4, s[40:41], 0x0
	v_mfma_f32_16x16x16_f16 v[36:39], v[32:33], v[2:3], v[36:39]
	v_cvt_pkrtz_f16_f32 v40, v40, v41
	v_cvt_pkrtz_f16_f32 v41, v46, v47
	s_waitcnt vmcnt(5)
	v_cvt_pk_f32_fp8_e32 v[32:33], v18
	v_cvt_pk_f32_fp8_sdwa v[46:47], v18 src0_sel:WORD_1
	v_mfma_f32_16x16x16_f16 v[36:39], v[40:41], v[4:5], v[36:39]
	v_cvt_pk_f32_fp8_e32 v[40:41], v19
	v_cvt_pkrtz_f16_f32 v32, v32, v33
	v_cvt_pkrtz_f16_f32 v33, v46, v47
	v_cvt_pk_f32_fp8_sdwa v[18:19], v19 src0_sel:WORD_1
	v_cvt_pkrtz_f16_f32 v40, v40, v41
	v_cvt_pk_f32_fp8_e32 v[50:51], v20
	v_cvt_pk_f32_fp8_sdwa v[52:53], v20 src0_sel:WORD_1
	v_cvt_pkrtz_f16_f32 v41, v18, v19
	v_mfma_f32_16x16x16_f16 v[46:49], v[32:33], v[6:7], 0
	v_cvt_pkrtz_f16_f32 v32, v50, v51
	v_cvt_pkrtz_f16_f32 v33, v52, v53
	v_cvt_pk_f32_fp8_e32 v[50:51], v21
	v_cvt_pk_f32_fp8_sdwa v[52:53], v21 src0_sel:WORD_1
	v_mfma_f32_16x16x16_f16 v[18:21], v[40:41], v[8:9], v[46:49]
	v_mov_b32_e32 v17, s13
	v_cvt_pkrtz_f16_f32 v40, v50, v51
	v_cvt_pkrtz_f16_f32 v41, v52, v53
	v_mfma_f32_16x16x16_f16 v[18:21], v[32:33], v[2:3], v[18:21]
	s_waitcnt vmcnt(4)
	v_cvt_pk_f32_fp8_e32 v[32:33], v22
	v_cvt_pk_f32_fp8_sdwa v[50:51], v22 src0_sel:WORD_1
	s_waitcnt lgkmcnt(0)
	v_mul_f32_e32 v54, s4, v17
	v_mfma_f32_16x16x16_f16 v[46:49], v[40:41], v[4:5], v[18:21]
	v_cvt_pk_f32_fp8_e32 v[40:41], v24
	v_mad_i64_i32 v[14:15], s[6:7], v45, s45, v[30:31]
	s_nop 0
	v_cvt_pk_f32_fp8_e32 v[18:19], v23
	v_cvt_pkrtz_f16_f32 v20, v32, v33
	v_cvt_pkrtz_f16_f32 v21, v50, v51
	v_cvt_pk_f32_fp8_sdwa v[22:23], v23 src0_sel:WORD_1
	v_cvt_pkrtz_f16_f32 v32, v18, v19
	v_cvt_pk_f32_fp8_sdwa v[50:51], v24 src0_sel:WORD_1
	v_mfma_f32_16x16x16_f16 v[18:21], v[20:21], v[6:7], 0
	v_cvt_pkrtz_f16_f32 v33, v22, v23
	v_cvt_pkrtz_f16_f32 v40, v40, v41
	;; [unrolled: 1-line block ×3, first 2 shown]
	v_cvt_pk_f32_fp8_e32 v[50:51], v25
	v_cvt_pk_f32_fp8_sdwa v[24:25], v25 src0_sel:WORD_1
	v_mfma_f32_16x16x16_f16 v[18:21], v[32:33], v[8:9], v[18:21]
	v_pk_mul_f32 v[22:23], v[54:55], v[38:39] op_sel_hi:[0,1]
	v_cvt_pkrtz_f16_f32 v32, v50, v51
	v_cvt_pkrtz_f16_f32 v33, v24, v25
	v_mfma_f32_16x16x16_f16 v[38:41], v[40:41], v[2:3], v[18:21]
	s_waitcnt vmcnt(3)
	v_cvt_pk_f32_fp8_sdwa v[24:25], v10 src0_sel:WORD_1
	s_nop 0
	v_cvt_pk_f32_fp8_e32 v[18:19], v10
	v_mfma_f32_16x16x16_f16 v[50:53], v[32:33], v[4:5], v[38:41]
	v_cvt_pk_f32_fp8_e32 v[32:33], v11
	v_cvt_pk_f32_fp8_sdwa v[10:11], v11 src0_sel:WORD_1
	v_cvt_pkrtz_f16_f32 v18, v18, v19
	v_cvt_pkrtz_f16_f32 v19, v24, v25
	;; [unrolled: 1-line block ×3, first 2 shown]
	v_cvt_pk_f32_fp8_e32 v[32:33], v12
	v_cvt_pk_f32_fp8_sdwa v[40:41], v12 src0_sel:WORD_1
	v_cvt_pkrtz_f16_f32 v25, v10, v11
	v_pk_mul_f32 v[20:21], v[54:55], v[36:37] op_sel_hi:[0,1]
	v_mfma_f32_16x16x16_f16 v[36:39], v[18:19], v[6:7], 0
	v_cvt_pkrtz_f16_f32 v10, v32, v33
	v_cvt_pkrtz_f16_f32 v11, v40, v41
	v_cvt_pk_f32_fp8_e32 v[18:19], v13
	v_cvt_pk_f32_fp8_sdwa v[12:13], v13 src0_sel:WORD_1
	v_mfma_f32_16x16x16_f16 v[6:9], v[24:25], v[8:9], v[36:39]
	v_pk_mul_f32 v[40:41], v[54:55], v[46:47] op_sel_hi:[0,1]
	v_cvt_pkrtz_f16_f32 v18, v18, v19
	v_cvt_pkrtz_f16_f32 v19, v12, v13
	v_mfma_f32_16x16x16_f16 v[6:9], v[10:11], v[2:3], v[6:9]
	v_pk_mul_f32 v[36:37], v[54:55], v[48:49] op_sel_hi:[0,1]
	v_pk_mul_f32 v[38:39], v[54:55], v[50:51] op_sel_hi:[0,1]
	;; [unrolled: 1-line block ×3, first 2 shown]
	v_mfma_f32_16x16x16_f16 v[2:5], v[18:19], v[4:5], v[6:9]
	s_nop 6
	v_pk_mul_f32 v[24:25], v[54:55], v[2:3] op_sel_hi:[0,1]
	v_and_b32_e32 v2, 0xc0, v0
	v_add_u32_e32 v2, s5, v2
	v_lshl_or_b32 v2, v42, 2, v2
	v_pk_mul_f32 v[18:19], v[54:55], v[4:5] op_sel_hi:[0,1]
	v_or_b32_e32 v5, 1, v2
	v_mov_b32_e32 v3, 0xff7fffff
	v_cmp_gt_i32_e64 s[4:5], s33, v2
	v_cmp_gt_i32_e64 s[34:35], s33, v5
	v_or_b32_e32 v6, 3, v2
	v_cndmask_b32_e64 v4, v3, v20, s[4:5]
	v_cndmask_b32_e64 v5, v3, v21, s[34:35]
	v_max3_f32 v4, v4, s44, v5
	v_or_b32_e32 v5, 2, v2
	v_cmp_gt_i32_e64 s[36:37], s33, v5
	v_cmp_gt_i32_e64 s[38:39], s33, v6
	s_nop 0
	v_cndmask_b32_e64 v5, v3, v22, s[36:37]
	v_cndmask_b32_e64 v6, v3, v23, s[38:39]
	v_max3_f32 v4, v4, v5, v6
	v_or_b32_e32 v5, 16, v2
	v_or_b32_e32 v6, 17, v2
	v_cmp_gt_i32_e64 s[24:25], s33, v5
	v_cmp_gt_i32_e64 s[26:27], s33, v6
	s_nop 0
	v_cndmask_b32_e64 v5, v3, v40, s[24:25]
	v_cndmask_b32_e64 v6, v3, v41, s[26:27]
	v_max3_f32 v4, v4, v5, v6
	v_or_b32_e32 v5, 18, v2
	;; [unrolled: 8-line block ×6, first 2 shown]
	v_or_b32_e32 v2, 51, v2
	v_cmp_gt_i32_e32 vcc, s33, v5
	v_cmp_gt_i32_e64 s[6:7], s33, v2
	s_nop 0
	v_cndmask_b32_e32 v5, v3, v18, vcc
	v_cndmask_b32_e64 v2, v3, v19, s[6:7]
	v_max3_f32 v4, v4, v5, v2
	v_mbcnt_lo_u32_b32 v2, -1, 0
	v_mbcnt_hi_u32_b32 v5, -1, v2
	v_and_b32_e32 v2, 64, v5
	v_add_u32_e32 v6, 64, v2
	v_xor_b32_e32 v2, 32, v5
	v_cmp_lt_i32_e64 s[40:41], v2, v6
	s_nop 1
	v_cndmask_b32_e64 v2, v5, v2, s[40:41]
	v_lshlrev_b32_e32 v48, 2, v2
	ds_bpermute_b32 v7, v48, v4
	s_waitcnt vmcnt(2)
	v_mad_i64_i32 v[2:3], s[40:41], v16, s45, v[30:31]
	global_load_dwordx4 v[14:17], v[14:15], off
	s_nop 0
	global_load_dwordx4 v[10:13], v[2:3], off
	v_xor_b32_e32 v3, 16, v5
	v_cmp_lt_i32_e64 s[40:41], v3, v6
	s_waitcnt lgkmcnt(0)
	v_max_f32_e32 v2, v7, v7
	v_max_f32_e32 v2, v4, v2
	v_cndmask_b32_e64 v3, v5, v3, s[40:41]
	v_lshlrev_b32_e32 v49, 2, v3
	ds_bpermute_b32 v3, v49, v2
	s_waitcnt vmcnt(3)
	v_mad_i64_i32 v[46:47], s[40:41], v34, s45, v[30:31]
	s_waitcnt vmcnt(2)
	v_mad_i64_i32 v[30:31], s[40:41], v35, s45, v[30:31]
	s_waitcnt lgkmcnt(0)
	v_max_f32_e32 v3, v3, v3
	v_max_f32_e32 v45, v2, v3
	v_sub_f32_e32 v2, v20, v45
	v_mul_f32_e32 v2, 0x3fb8aa3b, v2
	v_exp_f32_e32 v20, v2
	v_sub_f32_e32 v2, v21, v45
	v_mul_f32_e32 v2, 0x3fb8aa3b, v2
	v_exp_f32_e32 v21, v2
	global_load_dwordx4 v[6:9], v[46:47], off
	global_load_dwordx4 v[2:5], v[30:31], off
	v_sub_f32_e32 v22, v22, v45
	v_mul_f32_e32 v22, 0x3fb8aa3b, v22
	v_sub_f32_e32 v23, v23, v45
	v_exp_f32_e32 v22, v22
	v_mul_f32_e32 v23, 0x3fb8aa3b, v23
	v_exp_f32_e32 v23, v23
	v_cndmask_b32_e64 v20, 0, v20, s[4:5]
	v_add_f32_e32 v30, 0, v20
	v_cndmask_b32_e64 v21, 0, v21, s[34:35]
	v_add_f32_e32 v30, v30, v21
	;; [unrolled: 2-line block ×3, first 2 shown]
	v_cndmask_b32_e64 v35, 0, v23, s[38:39]
	v_sub_f32_e32 v23, v40, v45
	v_sub_f32_e32 v30, v41, v45
	v_mul_f32_e32 v23, 0x3fb8aa3b, v23
	v_mul_f32_e32 v30, 0x3fb8aa3b, v30
	v_exp_f32_e32 v23, v23
	v_exp_f32_e32 v30, v30
	v_add_f32_e32 v31, v22, v35
	v_sub_f32_e32 v32, v32, v45
	v_cndmask_b32_e64 v22, 0, v23, s[24:25]
	v_cndmask_b32_e64 v23, 0, v30, s[26:27]
	v_sub_f32_e32 v30, v36, v45
	v_mul_f32_e32 v30, 0x3fb8aa3b, v30
	v_exp_f32_e32 v30, v30
	v_sub_f32_e32 v36, v37, v45
	v_add_f32_e32 v31, v31, v22
	v_mul_f32_e32 v36, 0x3fb8aa3b, v36
	v_exp_f32_e32 v37, v36
	v_add_f32_e32 v31, v31, v23
	v_cndmask_b32_e64 v36, 0, v30, s[20:21]
	v_add_f32_e32 v30, v31, v36
	v_sub_f32_e32 v31, v38, v45
	v_mul_f32_e32 v31, 0x3fb8aa3b, v31
	v_sub_f32_e32 v38, v39, v45
	v_exp_f32_e32 v31, v31
	v_mul_f32_e32 v38, 0x3fb8aa3b, v38
	v_exp_f32_e32 v38, v38
	v_mul_f32_e32 v32, 0x3fb8aa3b, v32
	v_sub_f32_e32 v33, v33, v45
	v_exp_f32_e32 v32, v32
	v_mul_f32_e32 v33, 0x3fb8aa3b, v33
	v_sub_f32_e32 v24, v24, v45
	v_cndmask_b32_e64 v37, 0, v37, s[22:23]
	v_exp_f32_e32 v33, v33
	v_mul_f32_e32 v24, 0x3fb8aa3b, v24
	v_sub_f32_e32 v25, v25, v45
	v_add_f32_e32 v39, v30, v37
	v_cndmask_b32_e64 v30, 0, v31, s[16:17]
	v_exp_f32_e32 v24, v24
	v_mul_f32_e32 v25, 0x3fb8aa3b, v25
	v_sub_f32_e32 v18, v18, v45
	v_add_f32_e32 v39, v39, v30
	;; [unrolled: 5-line block ×3, first 2 shown]
	v_cndmask_b32_e64 v32, 0, v32, s[12:13]
	v_exp_f32_e32 v18, v18
	v_mul_f32_e32 v19, 0x3fb8aa3b, v19
	v_add_f32_e32 v38, v38, v32
	v_cndmask_b32_e64 v33, 0, v33, s[14:15]
	v_exp_f32_e32 v19, v19
	v_add_f32_e32 v38, v38, v33
	v_cndmask_b32_e64 v24, 0, v24, s[8:9]
	v_add_f32_e32 v38, v38, v24
	v_cndmask_b32_e64 v25, 0, v25, s[10:11]
	v_add_f32_e32 v38, v38, v25
	v_cndmask_b32_e32 v18, 0, v18, vcc
	v_add_f32_e32 v38, v38, v18
	v_cndmask_b32_e64 v19, 0, v19, s[6:7]
	v_add_f32_e32 v38, v38, v19
	ds_bpermute_b32 v39, v48, v38
	v_cmp_gt_u32_e32 vcc, 16, v44
	s_waitcnt lgkmcnt(0)
	s_barrier
	v_add_f32_e32 v38, v38, v39
	ds_bpermute_b32 v40, v49, v38
	v_lshlrev_b32_e32 v39, 2, v28
	s_and_saveexec_b64 s[4:5], vcc
	s_cbranch_execz .LBB886_13
; %bb.12:
	s_waitcnt lgkmcnt(0)
	v_add_f32_e32 v38, v38, v40
	v_lshl_or_b32 v40, v29, 6, v39
	ds_write2st64_b32 v40, v45, v38 offset1:1
.LBB886_13:
	s_or_b64 exec, exec, s[4:5]
	s_load_dword s6, s[0:1], 0x94
	s_waitcnt lgkmcnt(0)
	s_barrier
	ds_read2_b32 v[40:41], v39 offset1:16
	ds_read2_b32 v[44:45], v39 offset0:32 offset1:48
	ds_read2_b32 v[46:47], v39 offset0:64 offset1:80
	s_mul_i32 s7, s29, 3
	s_waitcnt lgkmcnt(2)
	v_max3_f32 v38, v40, s44, v41
	s_waitcnt lgkmcnt(1)
	v_max3_f32 v38, v38, v44, v45
	v_sub_f32_e32 v40, v40, v38
	v_mul_f32_e32 v40, 0x3fb8aa3b, v40
	v_exp_f32_e32 v48, v40
	v_sub_f32_e32 v40, v41, v38
	v_mul_f32_e32 v40, 0x3fb8aa3b, v40
	v_exp_f32_e32 v49, v40
	;; [unrolled: 3-line block ×3, first 2 shown]
	ds_read2_b32 v[40:41], v39 offset0:96 offset1:112
	v_sub_f32_e32 v39, v45, v38
	v_mul_f32_e32 v39, 0x3fb8aa3b, v39
	v_exp_f32_e32 v45, v39
	s_waitcnt lgkmcnt(1)
	v_fma_f32 v39, v48, v46, 0
	v_fmac_f32_e32 v39, v49, v47
	s_waitcnt lgkmcnt(0)
	v_fmac_f32_e32 v39, v44, v40
	v_fmac_f32_e32 v39, v45, v41
	v_add_f32_e32 v40, 0x358637bd, v39
	v_div_scale_f32 v41, s[4:5], v40, v40, 1.0
	v_rcp_f32_e32 v46, v41
	s_barrier
	v_fma_f32 v47, -v41, v46, 1.0
	v_fmac_f32_e32 v46, v47, v46
	v_div_scale_f32 v47, vcc, 1.0, v40, 1.0
	v_mul_f32_e32 v50, v47, v46
	v_fma_f32 v51, -v41, v50, v47
	v_fmac_f32_e32 v50, v51, v46
	v_fma_f32 v41, -v41, v50, v47
	v_div_fmas_f32 v41, v41, v46, v50
	v_cmp_eq_u32_e32 vcc, 1, v29
	v_div_fixup_f32 v40, v41, v40, 1.0
	s_nop 0
	v_cndmask_b32_e32 v41, v48, v49, vcc
	v_cmp_eq_u32_e32 vcc, 2, v29
	s_nop 1
	v_cndmask_b32_e32 v41, v41, v44, vcc
	v_cmp_eq_u32_e32 vcc, 3, v29
	s_nop 1
	v_cndmask_b32_e32 v41, v41, v45, vcc
	v_mul_f32_e32 v40, v41, v40
	v_pk_mul_f32 v[34:35], v[40:41], v[34:35] op_sel_hi:[0,1]
	v_pk_mul_f32 v[20:21], v[40:41], v[20:21] op_sel_hi:[0,1]
	v_cvt_f16_f32_e32 v41, v34
	v_cvt_f16_f32_e32 v35, v35
	;; [unrolled: 1-line block ×4, first 2 shown]
	v_cmp_gt_u32_e32 vcc, 3, v0
	v_pack_b32_f16 v35, v41, v35
	v_lshlrev_b32_e32 v41, 3, v42
	v_pack_b32_f16 v34, v20, v21
	v_pk_mul_f32 v[20:21], v[40:41], v[36:37] op_sel_hi:[0,1]
	v_pk_mul_f32 v[22:23], v[40:41], v[22:23] op_sel_hi:[0,1]
	v_cvt_f16_f32_e32 v22, v22
	v_cvt_f16_f32_e32 v23, v23
	v_cvt_f16_f32_e32 v36, v20
	v_cvt_f16_f32_e32 v21, v21
	v_lshlrev_b32_e32 v20, 11, v29
	v_or3_b32 v20, v20, v27, v41
	v_pack_b32_f16 v22, v22, v23
	v_pack_b32_f16 v23, v36, v21
	ds_write2st64_b64 v20, v[34:35], v[22:23] offset1:1
	v_pk_mul_f32 v[22:23], v[40:41], v[32:33] op_sel_hi:[0,1]
	v_pk_mul_f32 v[30:31], v[40:41], v[30:31] op_sel_hi:[0,1]
	v_cvt_f16_f32_e32 v21, v30
	v_cvt_f16_f32_e32 v29, v31
	;; [unrolled: 1-line block ×4, first 2 shown]
	v_pk_mul_f32 v[18:19], v[40:41], v[18:19] op_sel_hi:[0,1]
	v_pk_mul_f32 v[22:23], v[40:41], v[24:25] op_sel_hi:[0,1]
	v_cvt_f16_f32_e32 v22, v22
	v_cvt_f16_f32_e32 v23, v23
	;; [unrolled: 1-line block ×4, first 2 shown]
	v_pack_b32_f16 v18, v21, v29
	v_pack_b32_f16 v19, v30, v31
	;; [unrolled: 1-line block ×4, first 2 shown]
	ds_write2st64_b64 v20, v[18:19], v[22:23] offset0:2 offset1:3
	s_and_saveexec_b64 s[4:5], vcc
	s_cbranch_execz .LBB886_15
; %bb.14:
	s_mov_b32 s49, 0
	v_mov_b32_e32 v29, 0
	v_lshl_add_u64 v[18:19], s[48:49], 0, v[28:29]
	v_mov_b32_e32 v21, s7
	v_mad_u64_u32 v[18:19], s[12:13], s2, v21, v[18:19]
	s_mul_i32 s3, s3, s7
	v_mov_b32_e32 v28, s28
	s_load_dwordx4 s[8:11], s[0:1], 0x58
	v_add_u32_e32 v21, s3, v19
	v_mad_u64_u32 v[18:19], s[12:13], v18, s6, v[28:29]
	v_mov_b32_e32 v22, v19
	v_mad_u64_u32 v[22:23], s[12:13], v21, s6, v[22:23]
	v_mov_b32_e32 v19, v22
	v_lshlrev_b64 v[18:19], 2, v[18:19]
	s_waitcnt lgkmcnt(0)
	v_lshl_add_u64 v[22:23], s[10:11], 0, v[18:19]
	v_lshl_add_u64 v[18:19], s[8:9], 0, v[18:19]
	global_store_dword v[22:23], v38, off
	global_store_dword v[18:19], v39, off
.LBB886_15:
	s_or_b64 exec, exec, s[4:5]
	s_waitcnt vmcnt(3)
	v_cvt_pk_f32_fp8_e32 v[18:19], v14
	v_cvt_pk_f32_fp8_sdwa v[22:23], v14 src0_sel:WORD_1
	v_cvt_pk_f32_fp8_e32 v[24:25], v15
	v_lshl_or_b32 v14, v42, 9, v27
	s_waitcnt lgkmcnt(0)
	s_barrier
	v_cvt_pkrtz_f16_f32 v18, v18, v19
	v_cvt_pkrtz_f16_f32 v19, v22, v23
	v_cvt_pk_f32_fp8_sdwa v[28:29], v15 src0_sel:WORD_1
	v_cvt_pkrtz_f16_f32 v36, v24, v25
	ds_read_b128 v[22:25], v14
	v_cvt_pk_f32_fp8_e32 v[38:39], v16
	v_cvt_pkrtz_f16_f32 v37, v28, v29
	ds_read_b128 v[28:31], v14 offset:16
	v_cvt_pk_f32_fp8_sdwa v[40:41], v16 src0_sel:WORD_1
	s_waitcnt lgkmcnt(1)
	v_mfma_f32_16x16x16_f16 v[32:35], v[18:19], v[22:23], 0
	v_cvt_pkrtz_f16_f32 v18, v38, v39
	v_cvt_pk_f32_fp8_e32 v[38:39], v17
	v_cvt_pkrtz_f16_f32 v19, v40, v41
	v_mfma_f32_16x16x16_f16 v[22:25], v[36:37], v[24:25], v[32:35]
	s_waitcnt vmcnt(2)
	v_cvt_pk_f32_fp8_sdwa v[36:37], v12 src0_sel:WORD_1
	s_load_dword s4, s[42:43], 0x0
	v_cmp_gt_u32_e32 vcc, 64, v0
	v_cvt_pk_f32_fp8_sdwa v[32:33], v17 src0_sel:WORD_1
	v_cvt_pkrtz_f16_f32 v34, v38, v39
	s_waitcnt lgkmcnt(0)
	v_mfma_f32_16x16x16_f16 v[16:19], v[18:19], v[28:29], v[22:25]
	v_cvt_pk_f32_fp8_e32 v[28:29], v11
	v_cvt_pkrtz_f16_f32 v35, v32, v33
	s_mov_b32 s3, 0
	v_cvt_pk_f32_fp8_e32 v[22:23], v10
	v_cvt_pk_f32_fp8_sdwa v[24:25], v10 src0_sel:WORD_1
	v_mfma_f32_16x16x16_f16 v[16:19], v[34:35], v[30:31], v[16:19]
	v_cvt_pkrtz_f16_f32 v10, v22, v23
	v_cvt_pk_f32_fp8_sdwa v[30:31], v11 src0_sel:WORD_1
	v_cvt_pkrtz_f16_f32 v11, v24, v25
	ds_read_b128 v[22:25], v14 offset:2048
	v_cvt_pkrtz_f16_f32 v32, v28, v29
	v_cvt_pkrtz_f16_f32 v33, v30, v31
	ds_read_b128 v[28:31], v14 offset:2064
	v_cvt_pk_f32_fp8_e32 v[34:35], v12
	s_waitcnt lgkmcnt(1)
	v_mfma_f32_16x16x16_f16 v[16:19], v[10:11], v[22:23], v[16:19]
	v_cvt_pkrtz_f16_f32 v11, v36, v37
	v_cvt_pk_f32_fp8_e32 v[22:23], v13
	v_cvt_pkrtz_f16_f32 v10, v34, v35
	v_mfma_f32_16x16x16_f16 v[16:19], v[32:33], v[24:25], v[16:19]
	v_cvt_pk_f32_fp8_sdwa v[24:25], v13 src0_sel:WORD_1
	v_cvt_pkrtz_f16_f32 v22, v22, v23
	s_waitcnt vmcnt(1)
	v_cvt_pk_f32_fp8_sdwa v[32:33], v8 src0_sel:WORD_1
	s_waitcnt lgkmcnt(0)
	v_mfma_f32_16x16x16_f16 v[10:13], v[10:11], v[28:29], v[16:19]
	v_cvt_pkrtz_f16_f32 v23, v24, v25
	v_cvt_pk_f32_fp8_sdwa v[24:25], v7 src0_sel:WORD_1
	v_mov_b32_e32 v27, 0
	v_cvt_pk_f32_fp8_e32 v[16:17], v6
	v_cvt_pk_f32_fp8_sdwa v[18:19], v6 src0_sel:WORD_1
	v_mfma_f32_16x16x16_f16 v[10:13], v[22:23], v[30:31], v[10:13]
	v_cvt_pk_f32_fp8_e32 v[22:23], v7
	v_cvt_pkrtz_f16_f32 v6, v16, v17
	v_cvt_pkrtz_f16_f32 v7, v18, v19
	ds_read_b128 v[16:19], v14 offset:4096
	v_cvt_pkrtz_f16_f32 v28, v22, v23
	v_cvt_pkrtz_f16_f32 v29, v24, v25
	ds_read_b128 v[22:25], v14 offset:4112
	v_cvt_pk_f32_fp8_e32 v[30:31], v8
	s_waitcnt lgkmcnt(1)
	v_mfma_f32_16x16x16_f16 v[10:13], v[6:7], v[16:17], v[10:13]
	v_cvt_pkrtz_f16_f32 v7, v32, v33
	v_cvt_pk_f32_fp8_e32 v[16:17], v9
	v_cvt_pkrtz_f16_f32 v6, v30, v31
	v_mfma_f32_16x16x16_f16 v[10:13], v[28:29], v[18:19], v[10:13]
	v_cvt_pk_f32_fp8_sdwa v[18:19], v9 src0_sel:WORD_1
	v_cvt_pkrtz_f16_f32 v16, v16, v17
	v_cvt_pkrtz_f16_f32 v17, v18, v19
	s_waitcnt lgkmcnt(0)
	v_mfma_f32_16x16x16_f16 v[6:9], v[6:7], v[22:23], v[10:13]
	s_waitcnt vmcnt(0)
	v_cvt_pk_f32_fp8_sdwa v[18:19], v3 src0_sel:WORD_1
	s_nop 0
	v_cvt_pkrtz_f16_f32 v23, v18, v19
	v_cvt_pk_f32_fp8_e32 v[10:11], v2
	v_cvt_pk_f32_fp8_sdwa v[12:13], v2 src0_sel:WORD_1
	v_mfma_f32_16x16x16_f16 v[6:9], v[16:17], v[24:25], v[6:9]
	v_cvt_pk_f32_fp8_e32 v[16:17], v3
	v_cvt_pkrtz_f16_f32 v2, v10, v11
	v_cvt_pkrtz_f16_f32 v3, v12, v13
	ds_read_b128 v[10:13], v14 offset:6144
	v_cvt_pkrtz_f16_f32 v22, v16, v17
	v_cvt_pk_f32_fp8_e32 v[18:19], v4
	v_cvt_pk_f32_fp8_sdwa v[24:25], v4 src0_sel:WORD_1
	s_waitcnt lgkmcnt(0)
	v_mfma_f32_16x16x16_f16 v[6:9], v[2:3], v[10:11], v[6:9]
	ds_read_b128 v[14:17], v14 offset:6160
	v_cvt_pkrtz_f16_f32 v2, v18, v19
	v_cvt_pkrtz_f16_f32 v3, v24, v25
	v_cvt_pk_f32_fp8_e32 v[10:11], v5
	v_mfma_f32_16x16x16_f16 v[6:9], v[22:23], v[12:13], v[6:9]
	v_cvt_pk_f32_fp8_sdwa v[12:13], v5 src0_sel:WORD_1
	s_waitcnt lgkmcnt(0)
	v_cvt_pkrtz_f16_f32 v10, v10, v11
	v_mfma_f32_16x16x16_f16 v[2:5], v[2:3], v[14:15], v[6:9]
	v_cvt_pkrtz_f16_f32 v11, v12, v13
	s_barrier
	s_nop 0
	v_mfma_f32_16x16x16_f16 v[2:5], v[10:11], v[16:17], v[2:5]
	s_nop 6
	v_pk_mul_f32 v[4:5], v[4:5], s[4:5] op_sel_hi:[1,0]
	v_pk_mul_f32 v[2:3], v[2:3], s[4:5] op_sel_hi:[1,0]
	v_cvt_f16_f32_e32 v4, v4
	v_cvt_f16_f32_e32 v2, v2
	;; [unrolled: 1-line block ×4, first 2 shown]
	v_cmp_ne_u32_e64 s[4:5], 3, v42
	s_and_b64 s[4:5], s[4:5], vcc
	v_pack_b32_f16 v2, v2, v3
	v_pack_b32_f16 v3, v4, v5
	s_and_b64 s[4:5], s[4:5], s[30:31]
	ds_write_b64 v20, v[2:3]
	s_waitcnt lgkmcnt(0)
	s_barrier
	s_and_saveexec_b64 s[8:9], s[4:5]
	s_cbranch_execz .LBB886_17
; %bb.16:
	s_load_dwordx2 s[0:1], s[0:1], 0x68
	s_mul_i32 s2, s7, s2
	s_lshl_b32 s6, s6, 6
	s_mul_hi_u32 s5, s2, s6
	s_mul_i32 s4, s2, s6
	v_lshlrev_b32_e32 v0, 10, v0
	s_lshl_b64 s[4:5], s[4:5], 1
	v_and_b32_e32 v0, 0x1800, v0
	v_lshlrev_b32_e32 v2, 5, v42
	v_and_b32_e32 v3, 16, v43
	s_waitcnt lgkmcnt(0)
	s_add_u32 s4, s0, s4
	v_or3_b32 v0, v0, v2, v3
	s_addc_u32 s5, s1, s5
	s_lshl_b32 s2, s28, 6
	ds_read_b128 v[2:5], v0
	s_lshl_b64 s[0:1], s[2:3], 1
	s_add_u32 s0, s4, s0
	s_addc_u32 s1, s5, s1
	v_mad_u64_u32 v[0:1], s[2:3], s6, v1, 0
	v_lshl_add_u64 v[0:1], v[0:1], 1, s[0:1]
	v_lshl_add_u64 v[0:1], v[0:1], 0, v[26:27]
	s_waitcnt lgkmcnt(0)
	global_store_dwordx4 v[0:1], v[2:5], off
.LBB886_17:
	s_endpgm
	.section	.rodata,"a",@progbits
	.p2align	6, 0x0
	.amdhsa_kernel _Z39paged_attention_ll4mi_QKV_mfma16_kernelIDF16_hLN4vllm18Fp8KVCacheDataTypeE1EhLi32ELi64ELi256ELb0ELi3EEvPKT_PKT0_S7_ifPKiS9_S9_iPKfiiiPfSC_PS2_PT2_iSB_SB_
		.amdhsa_group_segment_fixed_size 8192
		.amdhsa_private_segment_fixed_size 0
		.amdhsa_kernarg_size 400
		.amdhsa_user_sgpr_count 2
		.amdhsa_user_sgpr_dispatch_ptr 0
		.amdhsa_user_sgpr_queue_ptr 0
		.amdhsa_user_sgpr_kernarg_segment_ptr 1
		.amdhsa_user_sgpr_dispatch_id 0
		.amdhsa_user_sgpr_kernarg_preload_length 0
		.amdhsa_user_sgpr_kernarg_preload_offset 0
		.amdhsa_user_sgpr_private_segment_size 0
		.amdhsa_uses_dynamic_stack 0
		.amdhsa_enable_private_segment 0
		.amdhsa_system_sgpr_workgroup_id_x 1
		.amdhsa_system_sgpr_workgroup_id_y 1
		.amdhsa_system_sgpr_workgroup_id_z 1
		.amdhsa_system_sgpr_workgroup_info 0
		.amdhsa_system_vgpr_workitem_id 0
		.amdhsa_next_free_vgpr 56
		.amdhsa_next_free_sgpr 50
		.amdhsa_accum_offset 56
		.amdhsa_reserve_vcc 1
		.amdhsa_float_round_mode_32 0
		.amdhsa_float_round_mode_16_64 0
		.amdhsa_float_denorm_mode_32 3
		.amdhsa_float_denorm_mode_16_64 3
		.amdhsa_dx10_clamp 1
		.amdhsa_ieee_mode 1
		.amdhsa_fp16_overflow 0
		.amdhsa_tg_split 0
		.amdhsa_exception_fp_ieee_invalid_op 0
		.amdhsa_exception_fp_denorm_src 0
		.amdhsa_exception_fp_ieee_div_zero 0
		.amdhsa_exception_fp_ieee_overflow 0
		.amdhsa_exception_fp_ieee_underflow 0
		.amdhsa_exception_fp_ieee_inexact 0
		.amdhsa_exception_int_div_zero 0
	.end_amdhsa_kernel
	.section	.text._Z39paged_attention_ll4mi_QKV_mfma16_kernelIDF16_hLN4vllm18Fp8KVCacheDataTypeE1EhLi32ELi64ELi256ELb0ELi3EEvPKT_PKT0_S7_ifPKiS9_S9_iPKfiiiPfSC_PS2_PT2_iSB_SB_,"axG",@progbits,_Z39paged_attention_ll4mi_QKV_mfma16_kernelIDF16_hLN4vllm18Fp8KVCacheDataTypeE1EhLi32ELi64ELi256ELb0ELi3EEvPKT_PKT0_S7_ifPKiS9_S9_iPKfiiiPfSC_PS2_PT2_iSB_SB_,comdat
.Lfunc_end886:
	.size	_Z39paged_attention_ll4mi_QKV_mfma16_kernelIDF16_hLN4vllm18Fp8KVCacheDataTypeE1EhLi32ELi64ELi256ELb0ELi3EEvPKT_PKT0_S7_ifPKiS9_S9_iPKfiiiPfSC_PS2_PT2_iSB_SB_, .Lfunc_end886-_Z39paged_attention_ll4mi_QKV_mfma16_kernelIDF16_hLN4vllm18Fp8KVCacheDataTypeE1EhLi32ELi64ELi256ELb0ELi3EEvPKT_PKT0_S7_ifPKiS9_S9_iPKfiiiPfSC_PS2_PT2_iSB_SB_
                                        ; -- End function
	.section	.AMDGPU.csdata,"",@progbits
; Kernel info:
; codeLenInByte = 4636
; NumSgprs: 56
; NumVgprs: 56
; NumAgprs: 0
; TotalNumVgprs: 56
; ScratchSize: 0
; MemoryBound: 0
; FloatMode: 240
; IeeeMode: 1
; LDSByteSize: 8192 bytes/workgroup (compile time only)
; SGPRBlocks: 6
; VGPRBlocks: 6
; NumSGPRsForWavesPerEU: 56
; NumVGPRsForWavesPerEU: 56
; AccumOffset: 56
; Occupancy: 8
; WaveLimiterHint : 1
; COMPUTE_PGM_RSRC2:SCRATCH_EN: 0
; COMPUTE_PGM_RSRC2:USER_SGPR: 2
; COMPUTE_PGM_RSRC2:TRAP_HANDLER: 0
; COMPUTE_PGM_RSRC2:TGID_X_EN: 1
; COMPUTE_PGM_RSRC2:TGID_Y_EN: 1
; COMPUTE_PGM_RSRC2:TGID_Z_EN: 1
; COMPUTE_PGM_RSRC2:TIDIG_COMP_CNT: 0
; COMPUTE_PGM_RSRC3_GFX90A:ACCUM_OFFSET: 13
; COMPUTE_PGM_RSRC3_GFX90A:TG_SPLIT: 0
	.section	.text._Z39paged_attention_ll4mi_QKV_mfma16_kernelIDF16_hLN4vllm18Fp8KVCacheDataTypeE1EhLi32ELi64ELi256ELb0ELi4EEvPKT_PKT0_S7_ifPKiS9_S9_iPKfiiiPfSC_PS2_PT2_iSB_SB_,"axG",@progbits,_Z39paged_attention_ll4mi_QKV_mfma16_kernelIDF16_hLN4vllm18Fp8KVCacheDataTypeE1EhLi32ELi64ELi256ELb0ELi4EEvPKT_PKT0_S7_ifPKiS9_S9_iPKfiiiPfSC_PS2_PT2_iSB_SB_,comdat
	.protected	_Z39paged_attention_ll4mi_QKV_mfma16_kernelIDF16_hLN4vllm18Fp8KVCacheDataTypeE1EhLi32ELi64ELi256ELb0ELi4EEvPKT_PKT0_S7_ifPKiS9_S9_iPKfiiiPfSC_PS2_PT2_iSB_SB_ ; -- Begin function _Z39paged_attention_ll4mi_QKV_mfma16_kernelIDF16_hLN4vllm18Fp8KVCacheDataTypeE1EhLi32ELi64ELi256ELb0ELi4EEvPKT_PKT0_S7_ifPKiS9_S9_iPKfiiiPfSC_PS2_PT2_iSB_SB_
	.globl	_Z39paged_attention_ll4mi_QKV_mfma16_kernelIDF16_hLN4vllm18Fp8KVCacheDataTypeE1EhLi32ELi64ELi256ELb0ELi4EEvPKT_PKT0_S7_ifPKiS9_S9_iPKfiiiPfSC_PS2_PT2_iSB_SB_
	.p2align	8
	.type	_Z39paged_attention_ll4mi_QKV_mfma16_kernelIDF16_hLN4vllm18Fp8KVCacheDataTypeE1EhLi32ELi64ELi256ELb0ELi4EEvPKT_PKT0_S7_ifPKiS9_S9_iPKfiiiPfSC_PS2_PT2_iSB_SB_,@function
_Z39paged_attention_ll4mi_QKV_mfma16_kernelIDF16_hLN4vllm18Fp8KVCacheDataTypeE1EhLi32ELi64ELi256ELb0ELi4EEvPKT_PKT0_S7_ifPKiS9_S9_iPKfiiiPfSC_PS2_PT2_iSB_SB_: ; @_Z39paged_attention_ll4mi_QKV_mfma16_kernelIDF16_hLN4vllm18Fp8KVCacheDataTypeE1EhLi32ELi64ELi256ELb0ELi4EEvPKT_PKT0_S7_ifPKiS9_S9_iPKfiiiPfSC_PS2_PT2_iSB_SB_
; %bb.0:
	s_load_dwordx2 s[6:7], s[0:1], 0x30
	s_mov_b32 s22, s3
	s_mov_b64 s[8:9], 0
	s_waitcnt lgkmcnt(0)
	s_cmp_lg_u64 s[6:7], 0
	s_cselect_b64 s[14:15], -1, 0
	s_and_b64 vcc, exec, s[14:15]
	s_cbranch_vccz .LBB887_7
; %bb.1:
	s_add_i32 s10, s2, 1
	s_mov_b32 s11, 0
	s_lshl_b64 s[12:13], s[10:11], 2
	s_add_u32 s12, s6, s12
	s_mov_b32 s3, s11
	s_addc_u32 s13, s7, s13
	s_lshl_b64 s[10:11], s[2:3], 2
	s_add_u32 s10, s6, s10
	s_addc_u32 s11, s7, s11
	s_load_dword s5, s[12:13], 0x0
	s_load_dword s16, s[10:11], 0x0
	s_waitcnt lgkmcnt(0)
	s_sub_i32 s5, s5, s16
	s_cmp_eq_u32 s5, 1
	s_cselect_b64 s[10:11], -1, 0
	s_andn2_b64 vcc, exec, s[8:9]
	s_cbranch_vccnz .LBB887_3
.LBB887_2:
	s_mov_b32 s3, 0
	s_mov_b64 s[10:11], -1
.LBB887_3:
	s_andn2_b64 vcc, exec, s[10:11]
	s_cbranch_vccnz .LBB887_17
; %bb.4:
	s_load_dwordx2 s[8:9], s[0:1], 0x28
	s_lshl_b64 s[16:17], s[2:3], 2
	s_waitcnt lgkmcnt(0)
	s_add_u32 s8, s8, s16
	s_addc_u32 s9, s9, s17
	s_load_dword s5, s[8:9], 0x0
	s_lshl_b32 s18, s22, 8
	s_waitcnt lgkmcnt(0)
	s_cmp_ge_i32 s18, s5
	s_cbranch_scc1 .LBB887_17
; %bb.5:
	s_load_dwordx2 s[8:9], s[0:1], 0x20
	s_load_dword s10, s[0:1], 0x38
	s_add_i32 s11, s5, 31
	s_ashr_i32 s12, s11, 31
	v_and_b32_e32 v1, 0xcf, v0
	s_lshr_b32 s12, s12, 27
	v_add_u32_e32 v1, s18, v1
	s_add_i32 s11, s11, s12
	v_ashrrev_i32_e32 v2, 31, v1
	s_ashr_i32 s19, s11, 5
	v_lshrrev_b32_e32 v4, 27, v2
	s_add_i32 s19, s19, -1
	s_waitcnt lgkmcnt(0)
	s_mul_i32 s10, s2, s10
	s_mov_b32 s11, 0
	v_add_u32_e32 v2, v1, v4
	s_lshl_b64 s[10:11], s[10:11], 2
	v_ashrrev_i32_e32 v2, 5, v2
	v_mov_b32_e32 v5, s19
	v_cmp_gt_i32_e32 vcc, s5, v1
	s_add_u32 s12, s8, s10
	s_addc_u32 s13, s9, s11
	v_cndmask_b32_e32 v2, v5, v2, vcc
	v_ashrrev_i32_e32 v3, 31, v2
	v_lshl_add_u64 v[6:7], v[2:3], 2, s[12:13]
	v_or_b32_e32 v2, 16, v1
	v_add_u32_e32 v3, v2, v4
	v_ashrrev_i32_e32 v3, 5, v3
	v_cmp_gt_i32_e32 vcc, s5, v2
	s_load_dwordx4 s[8:11], s[0:1], 0x8
	s_nop 0
	v_cndmask_b32_e32 v2, v5, v3, vcc
	v_ashrrev_i32_e32 v3, 31, v2
	v_lshl_add_u64 v[8:9], v[2:3], 2, s[12:13]
	v_or_b32_e32 v2, 32, v1
	v_add_u32_e32 v3, v2, v4
	v_ashrrev_i32_e32 v3, 5, v3
	v_cmp_gt_i32_e32 vcc, s5, v2
	v_or_b32_e32 v1, 48, v1
	s_nop 0
	v_cndmask_b32_e32 v2, v5, v3, vcc
	v_ashrrev_i32_e32 v3, 31, v2
	v_lshl_add_u64 v[10:11], v[2:3], 2, s[12:13]
	v_add_u32_e32 v2, v1, v4
	v_ashrrev_i32_e32 v2, 5, v2
	v_cmp_gt_i32_e32 vcc, s5, v1
	s_nop 1
	v_cndmask_b32_e32 v2, v5, v2, vcc
	v_ashrrev_i32_e32 v3, 31, v2
	v_lshl_add_u64 v[12:13], v[2:3], 2, s[12:13]
	global_load_dword v2, v[6:7], off
	global_load_dword v5, v[8:9], off
	;; [unrolled: 1-line block ×4, first 2 shown]
	s_andn2_b64 vcc, exec, s[14:15]
	s_cbranch_vccnz .LBB887_8
; %bb.6:
	s_add_u32 s6, s6, s16
	s_addc_u32 s7, s7, s17
	s_load_dword s14, s[6:7], 0x0
	s_branch .LBB887_9
.LBB887_7:
	s_mov_b64 s[10:11], 0
	s_branch .LBB887_2
.LBB887_8:
	s_mov_b32 s14, s2
.LBB887_9:
	s_load_dwordx4 s[44:47], s[0:1], 0x48
	v_and_b32_e32 v45, 15, v0
	v_bfe_u32 v42, v0, 4, 2
	s_lshl_b32 s23, s4, 2
	v_lshlrev_b32_e32 v3, 3, v45
	v_cmp_gt_u32_e32 vcc, 64, v0
	v_cmp_gt_u32_e64 s[6:7], 8, v45
	v_lshrrev_b32_e32 v43, 6, v0
	v_and_b32_e32 v44, 63, v0
	v_or_b32_e32 v1, s23, v42
	s_and_b64 s[48:49], vcc, s[6:7]
	v_lshlrev_b32_e32 v26, 1, v3
	v_lshlrev_b32_e32 v40, 5, v42
	;; [unrolled: 1-line block ×3, first 2 shown]
	s_and_saveexec_b64 s[6:7], s[48:49]
	s_cbranch_execz .LBB887_11
; %bb.10:
	s_load_dwordx2 s[16:17], s[0:1], 0x0
	s_waitcnt lgkmcnt(0)
	s_ashr_i32 s15, s44, 31
	s_mul_hi_u32 s20, s14, s44
	s_mul_i32 s15, s14, s15
	s_add_i32 s15, s20, s15
	s_mul_i32 s14, s14, s44
	s_lshl_b64 s[14:15], s[14:15], 1
	s_add_u32 s14, s16, s14
	v_lshlrev_b32_e32 v6, 6, v1
	s_addc_u32 s15, s17, s15
	v_ashrrev_i32_e32 v7, 31, v6
	v_lshl_add_u64 v[6:7], v[6:7], 1, s[14:15]
	v_mov_b32_e32 v27, 0
	v_lshl_add_u64 v[6:7], v[6:7], 0, v[26:27]
	global_load_dwordx4 v[6:9], v[6:7], off
	v_lshlrev_b32_e32 v11, 8, v45
	v_lshl_or_b32 v3, v43, 7, v40
	v_and_b32_e32 v10, 16, v41
	v_and_b32_e32 v11, 0xe00, v11
	v_or3_b32 v3, v11, v3, v10
	s_waitcnt vmcnt(0)
	ds_write_b128 v3, v[6:9]
.LBB887_11:
	s_or_b64 exec, exec, s[6:7]
	s_waitcnt lgkmcnt(0)
	s_mul_i32 s4, s4, s46
	s_add_u32 s6, s8, s4
	s_addc_u32 s7, s9, 0
	v_mov_b32_e32 v29, 0
	v_mov_b64_e32 v[14:15], s[6:7]
	v_and_b32_e32 v8, 48, v0
	s_waitcnt vmcnt(3)
	v_mad_i64_i32 v[6:7], s[6:7], v2, s45, v[14:15]
	v_lshlrev_b32_e32 v2, 4, v45
	v_mov_b32_e32 v3, v29
	v_lshlrev_b32_e32 v28, 5, v8
	v_lshl_add_u64 v[6:7], v[6:7], 0, v[2:3]
	v_lshl_add_u64 v[6:7], v[6:7], 0, v[28:29]
	s_load_dword s33, s[0:1], 0x98
	s_load_dwordx4 s[40:43], s[0:1], 0x80
	s_waitcnt lgkmcnt(0)
	s_barrier
	global_load_dwordx4 v[18:21], v[6:7], off
	s_waitcnt vmcnt(3)
	v_mad_i64_i32 v[6:7], s[6:7], v5, s45, v[14:15]
	v_or_b32_e32 v16, 0x100, v2
	v_mov_b32_e32 v17, v29
	v_lshl_add_u64 v[6:7], v[6:7], 0, v[16:17]
	v_lshl_add_u64 v[6:7], v[6:7], 0, v[28:29]
	global_load_dwordx4 v[10:13], v[6:7], off
	s_ashr_i32 s6, s18, 31
	v_or_b32_e32 v8, s18, v8
	s_lshr_b32 s8, s6, 27
	v_add_u32_e32 v5, s8, v8
	v_ashrrev_i32_e32 v5, 5, v5
	v_mov_b32_e32 v31, s19
	v_cmp_gt_i32_e32 vcc, s5, v8
	v_or_b32_e32 v33, 64, v8
	v_or_b32_e32 v34, 0x80, v8
	v_cndmask_b32_e32 v6, v31, v5, vcc
	v_and_b32_e32 v5, 3, v0
	v_lshlrev_b32_e32 v5, 5, v5
	v_lshl_or_b32 v32, v42, 9, v5
	s_waitcnt vmcnt(3)
	v_mad_i64_i32 v[4:5], s[6:7], v4, s45, v[14:15]
	v_lshl_add_u64 v[2:3], v[4:5], 0, v[2:3]
	v_lshl_add_u64 v[2:3], v[2:3], 0, v[28:29]
	global_load_dwordx4 v[22:25], v[2:3], off
	v_ashrrev_i32_e32 v7, 31, v6
	v_lshl_add_u64 v[6:7], v[6:7], 2, s[12:13]
	s_waitcnt vmcnt(3)
	v_mad_i64_i32 v[14:15], s[6:7], v30, s45, v[14:15]
	v_add_u32_e32 v30, s8, v33
	global_load_dword v49, v[6:7], off
	v_or_b32_e32 v35, 0xc0, v8
	ds_read_b128 v[6:9], v32
	ds_read_b128 v[2:5], v32 offset:16
	v_add_u32_e32 v32, s8, v34
	v_lshl_add_u64 v[14:15], v[14:15], 0, v[16:17]
	v_ashrrev_i32_e32 v16, 5, v30
	v_cmp_gt_i32_e32 vcc, s5, v33
	v_ashrrev_i32_e32 v17, 5, v32
	v_lshl_add_u64 v[14:15], v[14:15], 0, v[28:29]
	v_cndmask_b32_e32 v30, v31, v16, vcc
	v_cmp_gt_i32_e32 vcc, s5, v34
	v_add_u32_e32 v36, s8, v35
	v_ashrrev_i32_e32 v36, 5, v36
	v_cndmask_b32_e32 v32, v31, v17, vcc
	global_load_dwordx4 v[14:17], v[14:15], off
	v_cmp_gt_i32_e32 vcc, s5, v35
	v_ashrrev_i32_e32 v33, 31, v32
	v_lshl_add_u64 v[32:33], v[32:33], 2, s[12:13]
	v_cndmask_b32_e32 v34, v31, v36, vcc
	v_ashrrev_i32_e32 v31, 31, v30
	v_ashrrev_i32_e32 v35, 31, v34
	v_lshl_add_u64 v[30:31], v[30:31], 2, s[12:13]
	s_add_u32 s6, s10, s4
	s_load_dword s4, s[40:41], 0x0
	v_lshl_add_u64 v[34:35], v[34:35], 2, s[12:13]
	global_load_dword v48, v[30:31], off
	global_load_dword v46, v[32:33], off
	;; [unrolled: 1-line block ×3, first 2 shown]
	v_lshlrev_b32_e32 v27, 5, v45
	s_addc_u32 s7, s11, 0
	v_and_b32_e32 v28, 16, v0
	v_lshl_add_u64 v[36:37], s[6:7], 0, v[28:29]
	v_lshl_or_b32 v28, v43, 9, v27
	v_lshl_add_u64 v[28:29], v[36:37], 0, v[28:29]
	s_load_dword s9, s[0:1], 0x1c
	s_mov_b32 s40, 0xff7fffff
	s_waitcnt vmcnt(7)
	v_cvt_pk_f32_fp8_e32 v[30:31], v18
	v_cvt_pk_f32_fp8_sdwa v[32:33], v18 src0_sel:WORD_1
	v_cvt_pk_f32_fp8_e32 v[34:35], v19
	v_cvt_pk_f32_fp8_sdwa v[18:19], v19 src0_sel:WORD_1
	v_cvt_pkrtz_f16_f32 v30, v30, v31
	v_cvt_pkrtz_f16_f32 v31, v32, v33
	v_cvt_pk_f32_fp8_e32 v[36:37], v20
	v_cvt_pk_f32_fp8_sdwa v[38:39], v20 src0_sel:WORD_1
	v_cvt_pkrtz_f16_f32 v34, v34, v35
	v_cvt_pkrtz_f16_f32 v35, v18, v19
	s_waitcnt lgkmcnt(0)
	v_mfma_f32_16x16x16_f16 v[30:33], v[30:31], v[6:7], 0
	v_cvt_pkrtz_f16_f32 v36, v36, v37
	v_cvt_pkrtz_f16_f32 v37, v38, v39
	v_cvt_pk_f32_fp8_e32 v[50:51], v21
	v_cvt_pk_f32_fp8_sdwa v[52:53], v21 src0_sel:WORD_1
	v_mfma_f32_16x16x16_f16 v[18:21], v[34:35], v[8:9], v[30:33]
	s_waitcnt vmcnt(6)
	v_cvt_pk_f32_fp8_e32 v[34:35], v10
	v_cvt_pkrtz_f16_f32 v38, v50, v51
	v_cvt_pkrtz_f16_f32 v39, v52, v53
	v_mfma_f32_16x16x16_f16 v[30:33], v[36:37], v[2:3], v[18:21]
	v_cvt_pk_f32_fp8_e32 v[36:37], v11
	v_cvt_pkrtz_f16_f32 v34, v34, v35
	v_cvt_pk_f32_fp8_sdwa v[50:51], v12 src0_sel:WORD_1
	v_cvt_pk_f32_fp8_sdwa v[20:21], v10 src0_sel:WORD_1
	;; [unrolled: 1-line block ×3, first 2 shown]
	v_mfma_f32_16x16x16_f16 v[30:33], v[38:39], v[4:5], v[30:33]
	v_cvt_pk_f32_fp8_e32 v[38:39], v12
	v_cvt_pkrtz_f16_f32 v35, v20, v21
	v_cvt_pkrtz_f16_f32 v20, v36, v37
	;; [unrolled: 1-line block ×3, first 2 shown]
	v_mfma_f32_16x16x16_f16 v[34:37], v[34:35], v[6:7], 0
	v_cvt_pkrtz_f16_f32 v38, v38, v39
	v_cvt_pkrtz_f16_f32 v39, v50, v51
	v_cvt_pk_f32_fp8_e32 v[50:51], v13
	v_cvt_pk_f32_fp8_sdwa v[52:53], v13 src0_sel:WORD_1
	v_mfma_f32_16x16x16_f16 v[10:13], v[20:21], v[8:9], v[34:37]
	s_waitcnt vmcnt(4)
	v_mad_i64_i32 v[18:19], s[6:7], v49, s45, v[28:29]
	v_cvt_pkrtz_f16_f32 v20, v50, v51
	v_mov_b32_e32 v34, s9
	v_cvt_pkrtz_f16_f32 v21, v52, v53
	v_mfma_f32_16x16x16_f16 v[10:13], v[38:39], v[2:3], v[10:13]
	v_mul_f32_e32 v54, s4, v34
	v_cvt_pk_f32_fp8_e32 v[34:35], v22
	v_cvt_pk_f32_fp8_sdwa v[36:37], v22 src0_sel:WORD_1
	v_mfma_f32_16x16x16_f16 v[10:13], v[20:21], v[4:5], v[10:13]
	v_cvt_pk_f32_fp8_e32 v[20:21], v23
	v_cvt_pkrtz_f16_f32 v34, v34, v35
	v_cvt_pkrtz_f16_f32 v35, v36, v37
	v_cvt_pk_f32_fp8_sdwa v[22:23], v23 src0_sel:WORD_1
	v_cvt_pkrtz_f16_f32 v36, v20, v21
	v_cvt_pk_f32_fp8_e32 v[38:39], v24
	v_cvt_pk_f32_fp8_sdwa v[50:51], v24 src0_sel:WORD_1
	v_cvt_pkrtz_f16_f32 v37, v22, v23
	v_mfma_f32_16x16x16_f16 v[20:23], v[34:35], v[6:7], 0
	v_cvt_pkrtz_f16_f32 v38, v38, v39
	v_cvt_pkrtz_f16_f32 v39, v50, v51
	v_cvt_pk_f32_fp8_e32 v[50:51], v25
	v_cvt_pk_f32_fp8_sdwa v[24:25], v25 src0_sel:WORD_1
	v_mfma_f32_16x16x16_f16 v[34:37], v[36:37], v[8:9], v[20:23]
	s_nop 2
	v_cvt_pkrtz_f16_f32 v20, v50, v51
	v_cvt_pkrtz_f16_f32 v21, v24, v25
	v_pk_mul_f32 v[22:23], v[54:55], v[32:33] op_sel_hi:[0,1]
	v_mfma_f32_16x16x16_f16 v[34:37], v[38:39], v[2:3], v[34:37]
	v_pk_mul_f32 v[32:33], v[54:55], v[30:31] op_sel_hi:[0,1]
	s_waitcnt vmcnt(3)
	v_cvt_pk_f32_fp8_e32 v[24:25], v14
	v_cvt_pk_f32_fp8_sdwa v[30:31], v14 src0_sel:WORD_1
	v_mfma_f32_16x16x16_f16 v[50:53], v[20:21], v[4:5], v[34:37]
	v_cvt_pk_f32_fp8_e32 v[20:21], v15
	v_cvt_pkrtz_f16_f32 v24, v24, v25
	v_cvt_pkrtz_f16_f32 v25, v30, v31
	v_cvt_pk_f32_fp8_sdwa v[14:15], v15 src0_sel:WORD_1
	v_cvt_pkrtz_f16_f32 v20, v20, v21
	v_cvt_pk_f32_fp8_e32 v[30:31], v16
	v_cvt_pk_f32_fp8_sdwa v[38:39], v16 src0_sel:WORD_1
	v_cvt_pkrtz_f16_f32 v21, v14, v15
	v_mfma_f32_16x16x16_f16 v[34:37], v[24:25], v[6:7], 0
	v_cvt_pkrtz_f16_f32 v14, v30, v31
	v_cvt_pkrtz_f16_f32 v15, v38, v39
	v_cvt_pk_f32_fp8_e32 v[24:25], v17
	v_cvt_pk_f32_fp8_sdwa v[16:17], v17 src0_sel:WORD_1
	v_mfma_f32_16x16x16_f16 v[6:9], v[20:21], v[8:9], v[34:37]
	v_pk_mul_f32 v[38:39], v[54:55], v[10:11] op_sel_hi:[0,1]
	v_pk_mul_f32 v[30:31], v[54:55], v[52:53] op_sel_hi:[0,1]
	s_nop 0
	v_pk_mul_f32 v[34:35], v[54:55], v[12:13] op_sel_hi:[0,1]
	v_cvt_pkrtz_f16_f32 v12, v24, v25
	v_cvt_pkrtz_f16_f32 v13, v16, v17
	v_mfma_f32_16x16x16_f16 v[6:9], v[14:15], v[2:3], v[6:9]
	v_pk_mul_f32 v[36:37], v[54:55], v[50:51] op_sel_hi:[0,1]
	v_mfma_f32_16x16x16_f16 v[2:5], v[12:13], v[4:5], v[6:9]
	s_nop 6
	v_pk_mul_f32 v[24:25], v[54:55], v[2:3] op_sel_hi:[0,1]
	v_and_b32_e32 v2, 0xc0, v0
	v_add_u32_e32 v2, s18, v2
	v_lshl_or_b32 v2, v42, 2, v2
	v_pk_mul_f32 v[20:21], v[54:55], v[4:5] op_sel_hi:[0,1]
	v_or_b32_e32 v5, 1, v2
	v_mov_b32_e32 v3, 0xff7fffff
	v_cmp_gt_i32_e64 s[24:25], s5, v2
	v_cmp_gt_i32_e64 s[26:27], s5, v5
	v_or_b32_e32 v6, 3, v2
	v_cndmask_b32_e64 v4, v3, v32, s[24:25]
	v_cndmask_b32_e64 v5, v3, v33, s[26:27]
	v_max3_f32 v4, v4, s40, v5
	v_or_b32_e32 v5, 2, v2
	v_cmp_gt_i32_e64 s[28:29], s5, v5
	v_cmp_gt_i32_e64 s[30:31], s5, v6
	s_nop 0
	v_cndmask_b32_e64 v5, v3, v22, s[28:29]
	v_cndmask_b32_e64 v6, v3, v23, s[30:31]
	v_max3_f32 v4, v4, v5, v6
	v_or_b32_e32 v5, 16, v2
	v_or_b32_e32 v6, 17, v2
	v_cmp_gt_i32_e64 s[34:35], s5, v5
	v_cmp_gt_i32_e64 s[36:37], s5, v6
	s_nop 0
	v_cndmask_b32_e64 v5, v3, v38, s[34:35]
	v_cndmask_b32_e64 v6, v3, v39, s[36:37]
	v_max3_f32 v4, v4, v5, v6
	v_or_b32_e32 v5, 18, v2
	;; [unrolled: 8-line block ×6, first 2 shown]
	v_or_b32_e32 v2, 51, v2
	v_cmp_gt_i32_e32 vcc, s5, v5
	v_cmp_gt_i32_e64 s[4:5], s5, v2
	s_nop 0
	v_cndmask_b32_e32 v5, v3, v20, vcc
	v_cndmask_b32_e64 v2, v3, v21, s[4:5]
	v_max3_f32 v4, v4, v5, v2
	v_mbcnt_lo_u32_b32 v2, -1, 0
	v_mbcnt_hi_u32_b32 v5, -1, v2
	v_and_b32_e32 v2, 64, v5
	v_add_u32_e32 v6, 64, v2
	v_xor_b32_e32 v2, 32, v5
	v_cmp_lt_i32_e64 s[38:39], v2, v6
	s_nop 1
	v_cndmask_b32_e64 v2, v5, v2, s[38:39]
	v_lshlrev_b32_e32 v49, 2, v2
	ds_bpermute_b32 v7, v49, v4
	s_waitcnt vmcnt(2)
	v_mad_i64_i32 v[2:3], s[38:39], v48, s45, v[28:29]
	global_load_dwordx4 v[14:17], v[18:19], off
	global_load_dwordx4 v[10:13], v[2:3], off
	s_waitcnt lgkmcnt(0)
	v_max_f32_e32 v2, v7, v7
	v_max_f32_e32 v7, v4, v2
	v_xor_b32_e32 v2, 16, v5
	v_cmp_lt_i32_e64 s[38:39], v2, v6
	s_nop 1
	v_cndmask_b32_e64 v2, v5, v2, s[38:39]
	v_lshlrev_b32_e32 v48, 2, v2
	ds_bpermute_b32 v6, v48, v7
	s_waitcnt vmcnt(3)
	v_mad_i64_i32 v[2:3], s[38:39], v46, s45, v[28:29]
	s_waitcnt vmcnt(2)
	v_mad_i64_i32 v[4:5], s[38:39], v47, s45, v[28:29]
	s_waitcnt lgkmcnt(0)
	v_max_f32_e32 v6, v6, v6
	v_max_f32_e32 v46, v7, v6
	v_sub_f32_e32 v6, v32, v46
	v_mul_f32_e32 v6, 0x3fb8aa3b, v6
	v_exp_f32_e32 v18, v6
	v_sub_f32_e32 v6, v33, v46
	v_mul_f32_e32 v6, 0x3fb8aa3b, v6
	v_exp_f32_e32 v19, v6
	global_load_dwordx4 v[6:9], v[2:3], off
	s_nop 0
	global_load_dwordx4 v[2:5], v[4:5], off
	v_sub_f32_e32 v22, v22, v46
	v_mul_f32_e32 v22, 0x3fb8aa3b, v22
	v_sub_f32_e32 v23, v23, v46
	v_exp_f32_e32 v22, v22
	v_mul_f32_e32 v23, 0x3fb8aa3b, v23
	v_exp_f32_e32 v23, v23
	v_cndmask_b32_e64 v18, 0, v18, s[24:25]
	v_add_f32_e32 v28, 0, v18
	v_cndmask_b32_e64 v19, 0, v19, s[26:27]
	v_add_f32_e32 v28, v28, v19
	;; [unrolled: 2-line block ×3, first 2 shown]
	v_cndmask_b32_e64 v33, 0, v23, s[30:31]
	v_sub_f32_e32 v23, v38, v46
	v_sub_f32_e32 v28, v39, v46
	v_mul_f32_e32 v23, 0x3fb8aa3b, v23
	v_mul_f32_e32 v28, 0x3fb8aa3b, v28
	v_exp_f32_e32 v23, v23
	v_exp_f32_e32 v28, v28
	v_add_f32_e32 v29, v22, v33
	v_sub_f32_e32 v30, v30, v46
	v_cndmask_b32_e64 v22, 0, v23, s[34:35]
	v_cndmask_b32_e64 v23, 0, v28, s[36:37]
	v_sub_f32_e32 v28, v34, v46
	v_mul_f32_e32 v28, 0x3fb8aa3b, v28
	v_exp_f32_e32 v28, v28
	v_sub_f32_e32 v34, v35, v46
	v_add_f32_e32 v29, v29, v22
	v_mul_f32_e32 v34, 0x3fb8aa3b, v34
	v_exp_f32_e32 v35, v34
	v_add_f32_e32 v29, v29, v23
	v_cndmask_b32_e64 v34, 0, v28, s[18:19]
	v_add_f32_e32 v28, v29, v34
	v_sub_f32_e32 v29, v36, v46
	v_mul_f32_e32 v29, 0x3fb8aa3b, v29
	v_sub_f32_e32 v36, v37, v46
	v_exp_f32_e32 v29, v29
	v_mul_f32_e32 v36, 0x3fb8aa3b, v36
	v_exp_f32_e32 v36, v36
	v_mul_f32_e32 v30, 0x3fb8aa3b, v30
	v_sub_f32_e32 v31, v31, v46
	v_exp_f32_e32 v30, v30
	v_mul_f32_e32 v31, 0x3fb8aa3b, v31
	v_sub_f32_e32 v24, v24, v46
	v_cndmask_b32_e64 v35, 0, v35, s[20:21]
	v_exp_f32_e32 v31, v31
	v_mul_f32_e32 v24, 0x3fb8aa3b, v24
	v_sub_f32_e32 v25, v25, v46
	v_add_f32_e32 v37, v28, v35
	v_cndmask_b32_e64 v28, 0, v29, s[14:15]
	v_exp_f32_e32 v24, v24
	v_mul_f32_e32 v25, 0x3fb8aa3b, v25
	v_sub_f32_e32 v20, v20, v46
	v_add_f32_e32 v37, v37, v28
	;; [unrolled: 5-line block ×3, first 2 shown]
	v_cndmask_b32_e64 v30, 0, v30, s[10:11]
	v_exp_f32_e32 v20, v20
	v_mul_f32_e32 v21, 0x3fb8aa3b, v21
	v_add_f32_e32 v36, v36, v30
	v_cndmask_b32_e64 v31, 0, v31, s[12:13]
	v_exp_f32_e32 v21, v21
	v_add_f32_e32 v36, v36, v31
	v_cndmask_b32_e64 v24, 0, v24, s[6:7]
	v_add_f32_e32 v36, v36, v24
	v_cndmask_b32_e64 v25, 0, v25, s[8:9]
	v_add_f32_e32 v36, v36, v25
	v_cndmask_b32_e32 v20, 0, v20, vcc
	v_add_f32_e32 v36, v36, v20
	v_cndmask_b32_e64 v21, 0, v21, s[4:5]
	v_add_f32_e32 v36, v36, v21
	ds_bpermute_b32 v37, v49, v36
	v_cmp_gt_u32_e32 vcc, 16, v44
	s_waitcnt lgkmcnt(0)
	s_barrier
	v_add_f32_e32 v36, v36, v37
	ds_bpermute_b32 v38, v48, v36
	v_lshlrev_b32_e32 v37, 2, v45
	s_and_saveexec_b64 s[4:5], vcc
	s_cbranch_execz .LBB887_13
; %bb.12:
	s_waitcnt lgkmcnt(0)
	v_add_f32_e32 v36, v36, v38
	v_lshl_or_b32 v38, v43, 6, v37
	ds_write2st64_b32 v38, v46, v36 offset1:1
.LBB887_13:
	s_or_b64 exec, exec, s[4:5]
	s_load_dword s6, s[0:1], 0x94
	s_waitcnt lgkmcnt(0)
	s_barrier
	ds_read2_b32 v[38:39], v37 offset1:16
	ds_read2_b32 v[44:45], v37 offset0:32 offset1:48
	ds_read2_b32 v[46:47], v37 offset0:64 offset1:80
	s_lshl_b32 s7, s33, 2
	s_waitcnt lgkmcnt(2)
	v_max3_f32 v36, v38, s40, v39
	s_waitcnt lgkmcnt(1)
	v_max3_f32 v36, v36, v44, v45
	v_sub_f32_e32 v38, v38, v36
	v_mul_f32_e32 v38, 0x3fb8aa3b, v38
	v_exp_f32_e32 v48, v38
	v_sub_f32_e32 v38, v39, v36
	v_mul_f32_e32 v38, 0x3fb8aa3b, v38
	v_exp_f32_e32 v49, v38
	;; [unrolled: 3-line block ×3, first 2 shown]
	ds_read2_b32 v[38:39], v37 offset0:96 offset1:112
	v_sub_f32_e32 v37, v45, v36
	v_mul_f32_e32 v37, 0x3fb8aa3b, v37
	v_exp_f32_e32 v45, v37
	s_waitcnt lgkmcnt(1)
	v_fma_f32 v37, v48, v46, 0
	v_fmac_f32_e32 v37, v49, v47
	s_waitcnt lgkmcnt(0)
	v_fmac_f32_e32 v37, v44, v38
	v_fmac_f32_e32 v37, v45, v39
	v_add_f32_e32 v38, 0x358637bd, v37
	v_div_scale_f32 v39, s[4:5], v38, v38, 1.0
	v_rcp_f32_e32 v46, v39
	s_barrier
	v_fma_f32 v47, -v39, v46, 1.0
	v_fmac_f32_e32 v46, v47, v46
	v_div_scale_f32 v47, vcc, 1.0, v38, 1.0
	v_mul_f32_e32 v50, v47, v46
	v_fma_f32 v51, -v39, v50, v47
	v_fmac_f32_e32 v50, v51, v46
	v_fma_f32 v39, -v39, v50, v47
	v_div_fmas_f32 v39, v39, v46, v50
	v_cmp_eq_u32_e32 vcc, 1, v43
	v_div_fixup_f32 v38, v39, v38, 1.0
	s_nop 0
	v_cndmask_b32_e32 v39, v48, v49, vcc
	v_cmp_eq_u32_e32 vcc, 2, v43
	s_nop 1
	v_cndmask_b32_e32 v39, v39, v44, vcc
	v_cmp_eq_u32_e32 vcc, 3, v43
	s_nop 1
	v_cndmask_b32_e32 v39, v39, v45, vcc
	v_mul_f32_e32 v38, v39, v38
	v_pk_mul_f32 v[32:33], v[38:39], v[32:33] op_sel_hi:[0,1]
	v_pk_mul_f32 v[18:19], v[38:39], v[18:19] op_sel_hi:[0,1]
	v_cvt_f16_f32_e32 v39, v32
	v_cvt_f16_f32_e32 v33, v33
	;; [unrolled: 1-line block ×4, first 2 shown]
	v_cmp_gt_u32_e32 vcc, 4, v0
	v_pack_b32_f16 v33, v39, v33
	v_lshlrev_b32_e32 v39, 3, v42
	v_pack_b32_f16 v32, v18, v19
	v_pk_mul_f32 v[18:19], v[38:39], v[34:35] op_sel_hi:[0,1]
	v_pk_mul_f32 v[22:23], v[38:39], v[22:23] op_sel_hi:[0,1]
	v_cvt_f16_f32_e32 v22, v22
	v_cvt_f16_f32_e32 v23, v23
	;; [unrolled: 1-line block ×4, first 2 shown]
	v_lshlrev_b32_e32 v18, 11, v43
	v_or3_b32 v18, v18, v27, v39
	v_pack_b32_f16 v22, v22, v23
	v_pack_b32_f16 v23, v34, v19
	ds_write2st64_b64 v18, v[32:33], v[22:23] offset1:1
	v_pk_mul_f32 v[22:23], v[38:39], v[30:31] op_sel_hi:[0,1]
	v_pk_mul_f32 v[28:29], v[38:39], v[28:29] op_sel_hi:[0,1]
	v_cvt_f16_f32_e32 v19, v28
	v_cvt_f16_f32_e32 v28, v29
	v_cvt_f16_f32_e32 v29, v22
	v_cvt_f16_f32_e32 v30, v23
	v_pk_mul_f32 v[20:21], v[38:39], v[20:21] op_sel_hi:[0,1]
	v_pk_mul_f32 v[22:23], v[38:39], v[24:25] op_sel_hi:[0,1]
	v_cvt_f16_f32_e32 v22, v22
	v_cvt_f16_f32_e32 v23, v23
	;; [unrolled: 1-line block ×4, first 2 shown]
	v_pack_b32_f16 v20, v19, v28
	v_pack_b32_f16 v21, v29, v30
	;; [unrolled: 1-line block ×4, first 2 shown]
	ds_write2st64_b64 v18, v[20:21], v[22:23] offset0:2 offset1:3
	s_and_saveexec_b64 s[4:5], vcc
	s_cbranch_execz .LBB887_15
; %bb.14:
	v_or_b32_e32 v20, s23, v0
	v_mov_b32_e32 v21, 0
	v_mov_b32_e32 v19, s7
	v_mad_u64_u32 v[22:23], s[12:13], s2, v19, v[20:21]
	v_mov_b32_e32 v20, s22
	s_load_dwordx4 s[8:11], s[0:1], 0x58
	s_mul_i32 s3, s3, s7
	v_mad_u64_u32 v[20:21], s[12:13], v22, s6, v[20:21]
	v_add_u32_e32 v19, s3, v23
	v_mov_b32_e32 v22, v21
	v_mad_u64_u32 v[22:23], s[12:13], v19, s6, v[22:23]
	v_mov_b32_e32 v21, v22
	v_lshlrev_b64 v[20:21], 2, v[20:21]
	s_waitcnt lgkmcnt(0)
	v_lshl_add_u64 v[22:23], s[10:11], 0, v[20:21]
	v_lshl_add_u64 v[20:21], s[8:9], 0, v[20:21]
	global_store_dword v[22:23], v36, off
	global_store_dword v[20:21], v37, off
.LBB887_15:
	s_or_b64 exec, exec, s[4:5]
	s_waitcnt vmcnt(3)
	v_cvt_pk_f32_fp8_e32 v[20:21], v14
	v_cvt_pk_f32_fp8_sdwa v[22:23], v14 src0_sel:WORD_1
	v_lshl_or_b32 v14, v42, 9, v27
	s_waitcnt lgkmcnt(0)
	s_barrier
	v_cvt_pk_f32_fp8_e32 v[24:25], v15
	v_cvt_pkrtz_f16_f32 v32, v20, v21
	v_cvt_pkrtz_f16_f32 v33, v22, v23
	v_cvt_pk_f32_fp8_sdwa v[28:29], v15 src0_sel:WORD_1
	ds_read_b128 v[20:23], v14
	v_cvt_pkrtz_f16_f32 v24, v24, v25
	v_cvt_pk_f32_fp8_e32 v[36:37], v16
	v_cvt_pkrtz_f16_f32 v25, v28, v29
	ds_read_b128 v[28:31], v14 offset:16
	v_cvt_pk_f32_fp8_sdwa v[38:39], v16 src0_sel:WORD_1
	s_waitcnt lgkmcnt(1)
	v_mfma_f32_16x16x16_f16 v[32:35], v[32:33], v[20:21], 0
	v_cvt_pkrtz_f16_f32 v36, v36, v37
	s_load_dword s4, s[42:43], 0x0
	v_cvt_pkrtz_f16_f32 v37, v38, v39
	v_cvt_pk_f32_fp8_e32 v[38:39], v17
	v_cvt_pk_f32_fp8_sdwa v[16:17], v17 src0_sel:WORD_1
	v_mfma_f32_16x16x16_f16 v[20:23], v[24:25], v[22:23], v[32:35]
	s_mov_b32 s3, 0
	v_cvt_pkrtz_f16_f32 v24, v38, v39
	v_cvt_pkrtz_f16_f32 v25, v16, v17
	s_waitcnt lgkmcnt(0)
	v_mfma_f32_16x16x16_f16 v[20:23], v[36:37], v[28:29], v[20:23]
	s_waitcnt vmcnt(2)
	v_cvt_pk_f32_fp8_e32 v[16:17], v10
	v_cvt_pk_f32_fp8_e32 v[28:29], v11
	v_cvt_pk_f32_fp8_sdwa v[36:37], v12 src0_sel:WORD_1
	v_mfma_f32_16x16x16_f16 v[20:23], v[24:25], v[30:31], v[20:23]
	v_cvt_pk_f32_fp8_sdwa v[24:25], v10 src0_sel:WORD_1
	v_cvt_pkrtz_f16_f32 v10, v16, v17
	v_cvt_pk_f32_fp8_sdwa v[16:17], v11 src0_sel:WORD_1
	ds_read_b128 v[32:35], v14 offset:2064
	v_cvt_pkrtz_f16_f32 v11, v24, v25
	v_cvt_pkrtz_f16_f32 v24, v28, v29
	ds_read_b128 v[28:31], v14 offset:2048
	v_cvt_pkrtz_f16_f32 v25, v16, v17
	v_cvt_pk_f32_fp8_e32 v[16:17], v12
	s_waitcnt lgkmcnt(0)
	v_mfma_f32_16x16x16_f16 v[20:23], v[10:11], v[28:29], v[20:23]
	v_cvt_pkrtz_f16_f32 v10, v16, v17
	v_cvt_pkrtz_f16_f32 v11, v36, v37
	v_cvt_pk_f32_fp8_e32 v[16:17], v13
	v_mfma_f32_16x16x16_f16 v[20:23], v[24:25], v[30:31], v[20:23]
	v_cvt_pk_f32_fp8_sdwa v[24:25], v13 src0_sel:WORD_1
	ds_read_b128 v[28:31], v14 offset:4112
	v_cvt_pkrtz_f16_f32 v16, v16, v17
	v_mfma_f32_16x16x16_f16 v[10:13], v[10:11], v[32:33], v[20:23]
	v_cvt_pkrtz_f16_f32 v17, v24, v25
	s_waitcnt vmcnt(1)
	v_cvt_pk_f32_fp8_sdwa v[24:25], v7 src0_sel:WORD_1
	v_cvt_pk_f32_fp8_sdwa v[32:33], v8 src0_sel:WORD_1
	v_cvt_pk_f32_fp8_e32 v[20:21], v6
	v_mfma_f32_16x16x16_f16 v[10:13], v[16:17], v[34:35], v[10:13]
	v_cvt_pk_f32_fp8_sdwa v[16:17], v6 src0_sel:WORD_1
	v_cvt_pk_f32_fp8_e32 v[22:23], v7
	v_cvt_pkrtz_f16_f32 v6, v20, v21
	v_mov_b32_e32 v27, 0
	v_cvt_pkrtz_f16_f32 v7, v16, v17
	v_cvt_pkrtz_f16_f32 v16, v22, v23
	ds_read_b128 v[20:23], v14 offset:4096
	v_cvt_pkrtz_f16_f32 v17, v24, v25
	v_cvt_pk_f32_fp8_e32 v[24:25], v8
	s_waitcnt lgkmcnt(0)
	v_mfma_f32_16x16x16_f16 v[10:13], v[6:7], v[20:21], v[10:13]
	v_cvt_pkrtz_f16_f32 v6, v24, v25
	v_cvt_pkrtz_f16_f32 v7, v32, v33
	v_cvt_pk_f32_fp8_e32 v[20:21], v9
	v_mfma_f32_16x16x16_f16 v[10:13], v[16:17], v[22:23], v[10:13]
	v_cvt_pk_f32_fp8_sdwa v[16:17], v9 src0_sel:WORD_1
	s_waitcnt vmcnt(0)
	v_cvt_pk_f32_fp8_sdwa v[24:25], v4 src0_sel:WORD_1
	v_cvt_pkrtz_f16_f32 v20, v20, v21
	v_mfma_f32_16x16x16_f16 v[6:9], v[6:7], v[28:29], v[10:13]
	v_cvt_pkrtz_f16_f32 v21, v16, v17
	v_cvt_pk_f32_fp8_e32 v[16:17], v3
	v_cvt_pkrtz_f16_f32 v22, v16, v17
	v_cvt_pk_f32_fp8_e32 v[10:11], v2
	v_cvt_pk_f32_fp8_sdwa v[12:13], v2 src0_sel:WORD_1
	v_mfma_f32_16x16x16_f16 v[6:9], v[20:21], v[30:31], v[6:9]
	v_cvt_pk_f32_fp8_sdwa v[20:21], v3 src0_sel:WORD_1
	v_cvt_pkrtz_f16_f32 v2, v10, v11
	v_cvt_pkrtz_f16_f32 v3, v12, v13
	ds_read_b128 v[10:13], v14 offset:6144
	v_cvt_pkrtz_f16_f32 v23, v20, v21
	v_cvt_pk_f32_fp8_e32 v[20:21], v4
	s_waitcnt lgkmcnt(0)
	v_mfma_f32_16x16x16_f16 v[6:9], v[2:3], v[10:11], v[6:9]
	ds_read_b128 v[14:17], v14 offset:6160
	v_cvt_pkrtz_f16_f32 v2, v20, v21
	v_cvt_pkrtz_f16_f32 v3, v24, v25
	v_cvt_pk_f32_fp8_e32 v[10:11], v5
	v_mfma_f32_16x16x16_f16 v[6:9], v[22:23], v[12:13], v[6:9]
	v_cvt_pk_f32_fp8_sdwa v[12:13], v5 src0_sel:WORD_1
	s_waitcnt lgkmcnt(0)
	v_cvt_pkrtz_f16_f32 v10, v10, v11
	v_mfma_f32_16x16x16_f16 v[2:5], v[2:3], v[14:15], v[6:9]
	v_cvt_pkrtz_f16_f32 v11, v12, v13
	s_barrier
	s_nop 0
	v_mfma_f32_16x16x16_f16 v[2:5], v[10:11], v[16:17], v[2:5]
	s_nop 6
	v_pk_mul_f32 v[4:5], v[4:5], s[4:5] op_sel_hi:[1,0]
	v_pk_mul_f32 v[2:3], v[2:3], s[4:5] op_sel_hi:[1,0]
	v_cvt_f16_f32_e32 v4, v4
	v_cvt_f16_f32_e32 v2, v2
	;; [unrolled: 1-line block ×4, first 2 shown]
	v_pack_b32_f16 v2, v2, v3
	v_pack_b32_f16 v3, v4, v5
	ds_write_b64 v18, v[2:3]
	s_waitcnt lgkmcnt(0)
	s_barrier
	s_and_saveexec_b64 s[4:5], s[48:49]
	s_cbranch_execz .LBB887_17
; %bb.16:
	s_load_dwordx2 s[0:1], s[0:1], 0x68
	s_lshl_b32 s6, s6, 6
	s_mul_i32 s2, s7, s2
	s_mul_hi_u32 s5, s2, s6
	s_mul_i32 s4, s2, s6
	v_lshlrev_b32_e32 v0, 10, v0
	s_lshl_b64 s[4:5], s[4:5], 1
	v_and_b32_e32 v0, 0x1800, v0
	v_and_b32_e32 v2, 16, v41
	s_waitcnt lgkmcnt(0)
	s_add_u32 s4, s0, s4
	v_or3_b32 v0, v0, v40, v2
	s_addc_u32 s5, s1, s5
	s_lshl_b32 s2, s22, 6
	ds_read_b128 v[2:5], v0
	s_lshl_b64 s[0:1], s[2:3], 1
	s_add_u32 s0, s4, s0
	s_addc_u32 s1, s5, s1
	v_mad_u64_u32 v[0:1], s[2:3], s6, v1, 0
	v_lshl_add_u64 v[0:1], v[0:1], 1, s[0:1]
	v_lshl_add_u64 v[0:1], v[0:1], 0, v[26:27]
	s_waitcnt lgkmcnt(0)
	global_store_dwordx4 v[0:1], v[2:5], off
.LBB887_17:
	s_endpgm
	.section	.rodata,"a",@progbits
	.p2align	6, 0x0
	.amdhsa_kernel _Z39paged_attention_ll4mi_QKV_mfma16_kernelIDF16_hLN4vllm18Fp8KVCacheDataTypeE1EhLi32ELi64ELi256ELb0ELi4EEvPKT_PKT0_S7_ifPKiS9_S9_iPKfiiiPfSC_PS2_PT2_iSB_SB_
		.amdhsa_group_segment_fixed_size 8192
		.amdhsa_private_segment_fixed_size 0
		.amdhsa_kernarg_size 400
		.amdhsa_user_sgpr_count 2
		.amdhsa_user_sgpr_dispatch_ptr 0
		.amdhsa_user_sgpr_queue_ptr 0
		.amdhsa_user_sgpr_kernarg_segment_ptr 1
		.amdhsa_user_sgpr_dispatch_id 0
		.amdhsa_user_sgpr_kernarg_preload_length 0
		.amdhsa_user_sgpr_kernarg_preload_offset 0
		.amdhsa_user_sgpr_private_segment_size 0
		.amdhsa_uses_dynamic_stack 0
		.amdhsa_enable_private_segment 0
		.amdhsa_system_sgpr_workgroup_id_x 1
		.amdhsa_system_sgpr_workgroup_id_y 1
		.amdhsa_system_sgpr_workgroup_id_z 1
		.amdhsa_system_sgpr_workgroup_info 0
		.amdhsa_system_vgpr_workitem_id 0
		.amdhsa_next_free_vgpr 56
		.amdhsa_next_free_sgpr 50
		.amdhsa_accum_offset 56
		.amdhsa_reserve_vcc 1
		.amdhsa_float_round_mode_32 0
		.amdhsa_float_round_mode_16_64 0
		.amdhsa_float_denorm_mode_32 3
		.amdhsa_float_denorm_mode_16_64 3
		.amdhsa_dx10_clamp 1
		.amdhsa_ieee_mode 1
		.amdhsa_fp16_overflow 0
		.amdhsa_tg_split 0
		.amdhsa_exception_fp_ieee_invalid_op 0
		.amdhsa_exception_fp_denorm_src 0
		.amdhsa_exception_fp_ieee_div_zero 0
		.amdhsa_exception_fp_ieee_overflow 0
		.amdhsa_exception_fp_ieee_underflow 0
		.amdhsa_exception_fp_ieee_inexact 0
		.amdhsa_exception_int_div_zero 0
	.end_amdhsa_kernel
	.section	.text._Z39paged_attention_ll4mi_QKV_mfma16_kernelIDF16_hLN4vllm18Fp8KVCacheDataTypeE1EhLi32ELi64ELi256ELb0ELi4EEvPKT_PKT0_S7_ifPKiS9_S9_iPKfiiiPfSC_PS2_PT2_iSB_SB_,"axG",@progbits,_Z39paged_attention_ll4mi_QKV_mfma16_kernelIDF16_hLN4vllm18Fp8KVCacheDataTypeE1EhLi32ELi64ELi256ELb0ELi4EEvPKT_PKT0_S7_ifPKiS9_S9_iPKfiiiPfSC_PS2_PT2_iSB_SB_,comdat
.Lfunc_end887:
	.size	_Z39paged_attention_ll4mi_QKV_mfma16_kernelIDF16_hLN4vllm18Fp8KVCacheDataTypeE1EhLi32ELi64ELi256ELb0ELi4EEvPKT_PKT0_S7_ifPKiS9_S9_iPKfiiiPfSC_PS2_PT2_iSB_SB_, .Lfunc_end887-_Z39paged_attention_ll4mi_QKV_mfma16_kernelIDF16_hLN4vllm18Fp8KVCacheDataTypeE1EhLi32ELi64ELi256ELb0ELi4EEvPKT_PKT0_S7_ifPKiS9_S9_iPKfiiiPfSC_PS2_PT2_iSB_SB_
                                        ; -- End function
	.section	.AMDGPU.csdata,"",@progbits
; Kernel info:
; codeLenInByte = 4568
; NumSgprs: 56
; NumVgprs: 56
; NumAgprs: 0
; TotalNumVgprs: 56
; ScratchSize: 0
; MemoryBound: 0
; FloatMode: 240
; IeeeMode: 1
; LDSByteSize: 8192 bytes/workgroup (compile time only)
; SGPRBlocks: 6
; VGPRBlocks: 6
; NumSGPRsForWavesPerEU: 56
; NumVGPRsForWavesPerEU: 56
; AccumOffset: 56
; Occupancy: 8
; WaveLimiterHint : 1
; COMPUTE_PGM_RSRC2:SCRATCH_EN: 0
; COMPUTE_PGM_RSRC2:USER_SGPR: 2
; COMPUTE_PGM_RSRC2:TRAP_HANDLER: 0
; COMPUTE_PGM_RSRC2:TGID_X_EN: 1
; COMPUTE_PGM_RSRC2:TGID_Y_EN: 1
; COMPUTE_PGM_RSRC2:TGID_Z_EN: 1
; COMPUTE_PGM_RSRC2:TIDIG_COMP_CNT: 0
; COMPUTE_PGM_RSRC3_GFX90A:ACCUM_OFFSET: 13
; COMPUTE_PGM_RSRC3_GFX90A:TG_SPLIT: 0
	.section	.text._Z38paged_attention_ll4mi_QKV_mfma4_kernelIDF16_hLN4vllm18Fp8KVCacheDataTypeE1EDF16_Li32ELi64ELi256ELb1ELi1EEvPKT_PKT0_S7_ifPKiS9_S9_iPKfiiiPfSC_PS2_PT2_iSB_SB_,"axG",@progbits,_Z38paged_attention_ll4mi_QKV_mfma4_kernelIDF16_hLN4vllm18Fp8KVCacheDataTypeE1EDF16_Li32ELi64ELi256ELb1ELi1EEvPKT_PKT0_S7_ifPKiS9_S9_iPKfiiiPfSC_PS2_PT2_iSB_SB_,comdat
	.protected	_Z38paged_attention_ll4mi_QKV_mfma4_kernelIDF16_hLN4vllm18Fp8KVCacheDataTypeE1EDF16_Li32ELi64ELi256ELb1ELi1EEvPKT_PKT0_S7_ifPKiS9_S9_iPKfiiiPfSC_PS2_PT2_iSB_SB_ ; -- Begin function _Z38paged_attention_ll4mi_QKV_mfma4_kernelIDF16_hLN4vllm18Fp8KVCacheDataTypeE1EDF16_Li32ELi64ELi256ELb1ELi1EEvPKT_PKT0_S7_ifPKiS9_S9_iPKfiiiPfSC_PS2_PT2_iSB_SB_
	.globl	_Z38paged_attention_ll4mi_QKV_mfma4_kernelIDF16_hLN4vllm18Fp8KVCacheDataTypeE1EDF16_Li32ELi64ELi256ELb1ELi1EEvPKT_PKT0_S7_ifPKiS9_S9_iPKfiiiPfSC_PS2_PT2_iSB_SB_
	.p2align	8
	.type	_Z38paged_attention_ll4mi_QKV_mfma4_kernelIDF16_hLN4vllm18Fp8KVCacheDataTypeE1EDF16_Li32ELi64ELi256ELb1ELi1EEvPKT_PKT0_S7_ifPKiS9_S9_iPKfiiiPfSC_PS2_PT2_iSB_SB_,@function
_Z38paged_attention_ll4mi_QKV_mfma4_kernelIDF16_hLN4vllm18Fp8KVCacheDataTypeE1EDF16_Li32ELi64ELi256ELb1ELi1EEvPKT_PKT0_S7_ifPKiS9_S9_iPKfiiiPfSC_PS2_PT2_iSB_SB_: ; @_Z38paged_attention_ll4mi_QKV_mfma4_kernelIDF16_hLN4vllm18Fp8KVCacheDataTypeE1EDF16_Li32ELi64ELi256ELb1ELi1EEvPKT_PKT0_S7_ifPKiS9_S9_iPKfiiiPfSC_PS2_PT2_iSB_SB_
; %bb.0:
	s_load_dwordx2 s[8:9], s[0:1], 0x30
	s_mov_b32 s20, s3
	s_mov_b64 s[6:7], 0
	s_waitcnt lgkmcnt(0)
	s_cmp_lg_u64 s[8:9], 0
	s_cselect_b64 s[10:11], -1, 0
	s_and_b64 vcc, exec, s[10:11]
	s_cbranch_vccz .LBB888_10
; %bb.1:
	s_add_i32 s12, s2, 1
	s_mov_b32 s13, 0
	s_lshl_b64 s[14:15], s[12:13], 2
	s_add_u32 s14, s8, s14
	s_mov_b32 s3, s13
	s_addc_u32 s15, s9, s15
	s_lshl_b64 s[12:13], s[2:3], 2
	s_add_u32 s12, s8, s12
	s_addc_u32 s13, s9, s13
	s_load_dword s5, s[14:15], 0x0
	s_load_dword s16, s[12:13], 0x0
	s_waitcnt lgkmcnt(0)
	s_sub_i32 s5, s5, s16
	s_cmp_eq_u32 s5, 1
	s_cselect_b64 s[12:13], -1, 0
	s_andn2_b64 vcc, exec, s[6:7]
	s_cbranch_vccnz .LBB888_3
.LBB888_2:
	s_mov_b32 s3, 0
	s_mov_b64 s[12:13], -1
.LBB888_3:
	s_andn2_b64 vcc, exec, s[12:13]
	s_cbranch_vccnz .LBB888_25
; %bb.4:
	s_load_dword s5, s[0:1], 0x9c
	s_load_dwordx2 s[6:7], s[0:1], 0x28
	s_add_u32 s24, s0, 0x90
	s_addc_u32 s25, s1, 0
	s_lshl_b64 s[28:29], s[2:3], 2
	s_waitcnt lgkmcnt(0)
	s_and_b32 s5, s5, 0xffff
	s_add_u32 s6, s6, s28
	s_addc_u32 s7, s7, s29
	s_load_dword s3, s[6:7], 0x0
	s_mul_i32 s5, s20, s5
	s_waitcnt lgkmcnt(0)
	s_cmp_ge_i32 s5, s3
	s_cbranch_scc1 .LBB888_25
; %bb.5:
	v_and_b32_e32 v2, 0xc0, v0
	v_add_u32_e32 v4, s5, v2
	v_lshrrev_b32_e32 v1, 6, v0
	v_cmp_gt_i32_e64 s[6:7], s3, v4
	v_cmp_le_i32_e32 vcc, s3, v4
                                        ; implicit-def: $sgpr30
                                        ; implicit-def: $sgpr21
	s_and_saveexec_b64 s[12:13], vcc
	s_xor_b64 s[12:13], exec, s[12:13]
	s_cbranch_execz .LBB888_7
; %bb.6:
	v_mul_u32_u24_e32 v2, 20, v1
	v_or_b32_e32 v2, 0xa00, v2
	v_mov_b32_e32 v3, 0xa50
	v_mov_b32_e32 v4, 0xff7fffff
	v_mad_u32_u24 v3, v1, 20, v3
	ds_write2_b32 v2, v4, v4 offset1:1
	v_mov_b32_e32 v2, 0
	ds_write2_b32 v3, v2, v2 offset1:1
	v_mov_b32_e32 v3, 0xa08
	s_mov_b32 s21, 0xff7fffff
	s_mov_b32 s30, 0
	v_mad_u32_u24 v3, v1, 20, v3
	v_mov_b32_e32 v5, 0xa58
	v_mad_u32_u24 v5, v1, 20, v5
	ds_write2_b32 v3, v4, v4 offset1:1
	ds_write2_b32 v5, v2, v2 offset1:1
                                        ; implicit-def: $vgpr4
.LBB888_7:
	s_or_saveexec_b64 s[26:27], s[12:13]
	s_load_dwordx2 s[22:23], s[0:1], 0x68
	s_load_dwordx4 s[16:19], s[0:1], 0x58
	s_load_dword s33, s[24:25], 0x4
	s_load_dwordx4 s[12:15], s[0:1], 0x80
	v_and_b32_e32 v32, 63, v0
	v_and_b32_e32 v33, 3, v0
	v_mov_b32_e32 v21, s30
	v_mov_b32_e32 v24, s21
	;; [unrolled: 1-line block ×5, first 2 shown]
                                        ; implicit-def: $vgpr6_vgpr7
                                        ; implicit-def: $vgpr2_vgpr3
                                        ; implicit-def: $vgpr14_vgpr15
                                        ; implicit-def: $vgpr10_vgpr11
	s_xor_b64 exec, exec, s[26:27]
	s_cbranch_execz .LBB888_19
; %bb.8:
	s_load_dwordx2 s[30:31], s[0:1], 0x20
	s_load_dword s21, s[0:1], 0x38
	s_add_i32 s34, s3, 31
	s_ashr_i32 s35, s34, 31
	s_lshr_b32 s35, s35, 27
	v_add_u32_e32 v34, s5, v0
	s_add_i32 s34, s34, s35
	v_ashrrev_i32_e32 v2, 31, v34
	s_ashr_i32 s34, s34, 5
	v_lshrrev_b32_e32 v2, 27, v2
	s_add_i32 s36, s34, -1
	s_waitcnt lgkmcnt(0)
	s_mul_i32 s34, s2, s21
	s_mov_b32 s35, 0
	v_add_u32_e32 v2, v34, v2
	s_lshl_b64 s[34:35], s[34:35], 2
	v_ashrrev_i32_e32 v2, 5, v2
	v_mov_b32_e32 v3, s36
	v_cmp_gt_i32_e32 vcc, s3, v34
	s_add_u32 s30, s30, s34
	s_addc_u32 s31, s31, s35
	v_cndmask_b32_e32 v2, v3, v2, vcc
	v_ashrrev_i32_e32 v3, 31, v2
	v_lshl_add_u64 v[6:7], v[2:3], 2, s[30:31]
	v_ashrrev_i32_e32 v2, 31, v4
	v_lshrrev_b32_e32 v2, 27, v2
	v_add_u32_e32 v2, v4, v2
	v_ashrrev_i32_e32 v8, 5, v2
	v_min_i32_e32 v2, s36, v8
	v_ashrrev_i32_e32 v3, 31, v2
	v_lshl_add_u64 v[4:5], v[2:3], 2, s[30:31]
	v_add_u32_e32 v2, 1, v8
	v_min_i32_e32 v2, s36, v2
	v_ashrrev_i32_e32 v3, 31, v2
	v_lshl_add_u64 v[8:9], v[2:3], 2, s[30:31]
	global_load_dword v3, v[6:7], off
	global_load_dword v2, v[4:5], off
	;; [unrolled: 1-line block ×3, first 2 shown]
	s_load_dwordx2 s[34:35], s[0:1], 0x8
	s_andn2_b64 vcc, exec, s[10:11]
	s_cbranch_vccnz .LBB888_11
; %bb.9:
	s_add_u32 s8, s8, s28
	s_addc_u32 s9, s9, s29
	s_load_dword s5, s[8:9], 0x0
	s_branch .LBB888_12
.LBB888_10:
	s_mov_b64 s[12:13], 0
	s_branch .LBB888_2
.LBB888_11:
	s_mov_b32 s5, s2
.LBB888_12:
	s_load_dwordx2 s[28:29], s[0:1], 0x10
	s_load_dwordx4 s[8:11], s[0:1], 0x48
	v_cmp_eq_u32_e32 vcc, 0, v33
	s_mov_b32 s31, 0
	v_mov_b32_e32 v31, 0
	v_mov_b32_e32 v10, 0
	;; [unrolled: 1-line block ×5, first 2 shown]
	s_and_saveexec_b64 s[36:37], vcc
	s_cbranch_execz .LBB888_14
; %bb.13:
	s_load_dwordx2 s[38:39], s[0:1], 0x0
	s_waitcnt lgkmcnt(0)
	s_ashr_i32 s11, s8, 31
	s_mul_hi_u32 s21, s5, s8
	s_mul_i32 s11, s5, s11
	s_add_i32 s41, s21, s11
	s_mul_i32 s40, s5, s8
	s_lshl_b64 s[40:41], s[40:41], 1
	s_add_u32 s5, s38, s40
	s_addc_u32 s8, s39, s41
	s_lshl_b32 s30, s4, 6
	s_lshl_b64 s[38:39], s[30:31], 1
	s_add_u32 s38, s5, s38
	s_addc_u32 s39, s8, s39
	v_lshlrev_b32_e32 v4, 2, v32
	global_load_dwordx4 v[10:13], v4, s[38:39]
.LBB888_14:
	s_or_b64 exec, exec, s[36:37]
	s_waitcnt lgkmcnt(0)
	s_mul_i32 s8, s4, s10
	s_add_u32 s10, s8, s34
	s_addc_u32 s11, 0, s35
	v_mov_b64_e32 v[4:5], s[10:11]
	s_waitcnt vmcnt(2)
	v_mad_i64_i32 v[4:5], s[10:11], v3, s9, v[4:5]
	v_lshlrev_b32_e32 v3, 4, v0
	v_and_b32_e32 v30, 0x1f0, v3
	v_lshl_add_u64 v[4:5], v[4:5], 0, v[30:31]
	global_load_dwordx4 v[26:29], v[4:5], off
	global_load_dwordx4 v[22:25], v[4:5], off offset:512
	global_load_dwordx4 v[18:21], v[4:5], off offset:1024
	;; [unrolled: 1-line block ×3, first 2 shown]
	v_mov_b32_e32 v30, 0
	s_and_saveexec_b64 s[10:11], vcc
	s_cbranch_execz .LBB888_16
; %bb.15:
	s_load_dwordx2 s[34:35], s[0:1], 0x40
	s_mov_b32 s5, s31
	s_lshl_b64 s[30:31], s[4:5], 2
	v_mov_b32_e32 v31, 1.0
	s_waitcnt lgkmcnt(0)
	s_add_u32 s30, s34, s30
	s_addc_u32 s31, s35, s31
	s_load_dword s5, s[30:31], 0x0
	s_waitcnt lgkmcnt(0)
	v_mov_b32_e32 v30, s5
.LBB888_16:
	s_or_b64 exec, exec, s[10:11]
	s_load_dword s5, s[0:1], 0x1c
	s_add_u32 s0, s28, s8
	s_waitcnt vmcnt(5)
	v_mul_hi_i32 v3, v2, s9
	s_addc_u32 s1, s29, 0
	v_lshlrev_b32_e32 v36, 5, v32
	v_mov_b32_e32 v37, 0
	v_ashrrev_i32_e32 v3, 31, v3
	v_lshl_add_u64 v[38:39], s[0:1], 0, v[36:37]
	v_lshrrev_b32_e32 v36, 29, v3
	v_mad_i64_i32 v[2:3], s[0:1], v2, s9, v[36:37]
	s_waitcnt vmcnt(4)
	v_mul_hi_i32 v36, v35, s9
	v_ashrrev_i32_e32 v36, 31, v36
	v_lshrrev_b32_e32 v36, 29, v36
	v_and_b32_e32 v2, -8, v2
	v_mad_i64_i32 v[36:37], s[0:1], v35, s9, v[36:37]
	v_lshl_add_u64 v[40:41], v[38:39], 0, v[2:3]
	v_and_b32_e32 v36, -8, v36
	global_load_dwordx4 v[2:5], v[40:41], off offset:16
	global_load_dwordx4 v[6:9], v[40:41], off
	v_lshl_add_u64 v[36:37], v[38:39], 0, v[36:37]
	s_waitcnt vmcnt(5)
	v_cvt_pk_f32_fp8_e32 v[38:39], v26
	v_cvt_pk_f32_fp8_sdwa v[40:41], v26 src0_sel:WORD_1
	v_cvt_pk_f32_fp8_e32 v[42:43], v27
	v_cvt_pk_f32_fp8_sdwa v[26:27], v27 src0_sel:WORD_1
	v_cvt_pkrtz_f16_f32 v38, v38, v39
	v_cvt_pkrtz_f16_f32 v39, v40, v41
	;; [unrolled: 1-line block ×4, first 2 shown]
	v_mfma_f32_4x4x4_16b_f16 a[0:3], v[10:11], v[38:39], 0 cbsz:4
	v_cvt_pk_f32_fp8_e32 v[26:27], v28
	v_cvt_pk_f32_fp8_sdwa v[38:39], v28 src0_sel:WORD_1
	v_mfma_f32_4x4x4_16b_f16 a[0:3], v[12:13], v[40:41], a[0:3] cbsz:4
	v_cvt_pk_f32_fp8_e32 v[40:41], v29
	v_cvt_pk_f32_fp8_sdwa v[28:29], v29 src0_sel:WORD_1
	v_cvt_pkrtz_f16_f32 v26, v26, v27
	v_cvt_pkrtz_f16_f32 v27, v38, v39
	v_cvt_pkrtz_f16_f32 v38, v40, v41
	v_cvt_pkrtz_f16_f32 v39, v28, v29
	v_mfma_f32_4x4x4_16b_f16 a[0:3], v[10:11], v[26:27], a[0:3] cbsz:4 abid:1
	s_waitcnt vmcnt(4)
	v_cvt_pk_f32_fp8_e32 v[26:27], v22
	v_cvt_pk_f32_fp8_sdwa v[28:29], v22 src0_sel:WORD_1
	v_mfma_f32_4x4x4_16b_f16 a[0:3], v[12:13], v[38:39], a[0:3] cbsz:4 abid:1
	v_cvt_pk_f32_fp8_e32 v[38:39], v23
	v_cvt_pk_f32_fp8_sdwa v[22:23], v23 src0_sel:WORD_1
	v_cvt_pkrtz_f16_f32 v26, v26, v27
	v_cvt_pkrtz_f16_f32 v27, v28, v29
	v_cvt_pkrtz_f16_f32 v28, v38, v39
	v_cvt_pkrtz_f16_f32 v29, v22, v23
	v_mfma_f32_4x4x4_16b_f16 a[0:3], v[10:11], v[26:27], a[0:3] cbsz:4 abid:2
	v_cvt_pk_f32_fp8_e32 v[22:23], v24
	v_cvt_pk_f32_fp8_sdwa v[26:27], v24 src0_sel:WORD_1
	v_mfma_f32_4x4x4_16b_f16 a[0:3], v[12:13], v[28:29], a[0:3] cbsz:4 abid:2
	v_cvt_pk_f32_fp8_e32 v[28:29], v25
	v_cvt_pk_f32_fp8_sdwa v[24:25], v25 src0_sel:WORD_1
	v_cvt_pkrtz_f16_f32 v22, v22, v23
	v_cvt_pkrtz_f16_f32 v23, v26, v27
	v_cvt_pkrtz_f16_f32 v26, v28, v29
	v_cvt_pkrtz_f16_f32 v27, v24, v25
	v_mfma_f32_4x4x4_16b_f16 a[0:3], v[10:11], v[22:23], a[0:3] cbsz:4 abid:3
	s_waitcnt vmcnt(3)
	v_cvt_pk_f32_fp8_e32 v[22:23], v18
	v_cvt_pk_f32_fp8_sdwa v[24:25], v18 src0_sel:WORD_1
	v_mfma_f32_4x4x4_16b_f16 a[0:3], v[12:13], v[26:27], a[0:3] cbsz:4 abid:3
	v_cvt_pk_f32_fp8_e32 v[26:27], v19
	v_cvt_pk_f32_fp8_sdwa v[18:19], v19 src0_sel:WORD_1
	v_cvt_pkrtz_f16_f32 v22, v22, v23
	v_cvt_pkrtz_f16_f32 v23, v24, v25
	v_cvt_pkrtz_f16_f32 v24, v26, v27
	v_cvt_pkrtz_f16_f32 v25, v18, v19
	v_mfma_f32_4x4x4_16b_f16 a[0:3], v[10:11], v[22:23], a[0:3] cbsz:4 abid:4
	v_cvt_pk_f32_fp8_e32 v[18:19], v20
	v_cvt_pk_f32_fp8_sdwa v[22:23], v20 src0_sel:WORD_1
	v_mfma_f32_4x4x4_16b_f16 a[0:3], v[12:13], v[24:25], a[0:3] cbsz:4 abid:4
	;; [unrolled: 21-line block ×3, first 2 shown]
	v_cvt_pk_f32_fp8_e32 v[20:21], v17
	v_cvt_pk_f32_fp8_sdwa v[16:17], v17 src0_sel:WORD_1
	v_cvt_pkrtz_f16_f32 v14, v14, v15
	v_cvt_pkrtz_f16_f32 v15, v18, v19
	s_load_dword s0, s[12:13], 0x0
	v_cvt_pkrtz_f16_f32 v18, v20, v21
	v_mfma_f32_4x4x4_16b_f16 a[0:3], v[10:11], v[14:15], a[0:3] cbsz:4 abid:7
	v_cvt_pkrtz_f16_f32 v19, v16, v17
	s_waitcnt lgkmcnt(0)
	v_mov_b32_e32 v10, s5
	v_cmp_eq_u32_e32 vcc, 1, v33
	v_mfma_f32_4x4x4_16b_f16 a[0:3], v[12:13], v[18:19], a[0:3] cbsz:4 abid:7
	v_mul_f32_e32 v18, s0, v10
	v_mov_b32_e32 v25, 0xff7fffff
	s_nop 2
	v_accvgpr_read_b32 v11, a1
	v_accvgpr_read_b32 v10, a0
	v_pk_mul_f32 v[20:21], v[10:11], v[18:19] op_sel_hi:[1,0]
	global_load_dwordx4 v[10:13], v[36:37], off offset:16
	global_load_dwordx4 v[14:17], v[36:37], off
	v_accvgpr_read_b32 v23, a3
	v_accvgpr_read_b32 v22, a2
	v_pk_mul_f32 v[18:19], v[22:23], v[18:19] op_sel_hi:[1,0]
	v_mfma_f32_4x4x1_16b_f32 a[0:3], v20, v31, 0
	v_cndmask_b32_e64 v20, 0, 1.0, vcc
	v_cmp_eq_u32_e32 vcc, 2, v33
	s_nop 0
	v_mfma_f32_4x4x1_16b_f32 a[0:3], v21, v20, a[0:3]
	v_cndmask_b32_e64 v20, 0, 1.0, vcc
	v_cmp_eq_u32_e32 vcc, 3, v33
	s_nop 0
	v_mfma_f32_4x4x1_16b_f32 a[0:3], v18, v20, a[0:3]
	v_cndmask_b32_e64 v18, 0, 1.0, vcc
	s_nop 1
	v_mfma_f32_4x4x1_16b_f32 a[0:3], v19, v18, a[0:3]
	v_and_b32_e32 v18, -4, v34
	v_subrev_u32_e32 v19, s3, v18
	v_add_u32_e32 v20, 1, v19
	v_cvt_f32_i32_e32 v20, v20
	v_add_u32_e32 v21, 2, v19
	v_cvt_f32_i32_e32 v21, v21
	v_accvgpr_read_b32 v22, a0
	v_fma_f32 v20, v30, v20, v22
	v_accvgpr_read_b32 v22, a1
	v_fma_f32 v21, v30, v21, v22
	v_add_u32_e32 v22, 3, v19
	v_cvt_f32_i32_e32 v22, v22
	v_add_u32_e32 v19, 4, v19
	v_max_f32_e32 v24, 0xff7fffff, v20
	v_cmp_gt_i32_e32 vcc, s3, v18
	v_cvt_f32_i32_e32 v19, v19
	v_accvgpr_read_b32 v23, a2
	v_cndmask_b32_e32 v24, v25, v24, vcc
	v_or_b32_e32 v25, 1, v18
	v_max_f32_e32 v26, v24, v21
	v_cmp_gt_i32_e64 s[0:1], s3, v25
	v_fma_f32 v22, v30, v22, v23
	v_or_b32_e32 v18, 2, v18
	v_cndmask_b32_e64 v24, v24, v26, s[0:1]
	v_accvgpr_read_b32 v23, a3
	v_max_f32_e32 v25, v24, v22
	v_cmp_gt_i32_e64 s[8:9], s3, v18
	v_fmac_f32_e32 v23, v30, v19
	v_lshlrev_b32_e32 v19, 2, v0
	v_cndmask_b32_e64 v18, v24, v25, s[8:9]
	v_or_b32_e32 v24, 3, v34
	v_max_f32_e32 v25, v18, v23
	v_cmp_gt_i32_e64 s[10:11], s3, v24
	v_and_or_b32 v19, v19, 48, v33
	s_nop 0
	v_cndmask_b32_e64 v18, v18, v25, s[10:11]
	;;#ASMSTART
	v_nop
 v_nop
 v_max_f32_dpp v18, v18, v18 row_ror:4
	;;#ASMEND
	v_lshlrev_b32_e32 v25, 2, v19
	;;#ASMSTART
	v_nop
 v_nop
 v_max_f32_dpp v18, v18, v18 row_ror:8
	;;#ASMEND
	ds_bpermute_b32 v18, v25, v18
	s_waitcnt lgkmcnt(0)
	;;#ASMSTART
	v_nop
 v_nop
 v_max_f32_dpp v18, v18, v18 row_ror:4
	;;#ASMEND
	s_nop 0
	;;#ASMSTART
	v_nop
 v_nop
 v_max_f32_dpp v24, v18, v18 row_ror:8
	;;#ASMEND
	s_nop 0
	v_sub_f32_e32 v18, v20, v24
	v_mul_f32_e32 v18, 0x3fb8aa3b, v18
	v_sub_f32_e32 v19, v21, v24
	v_exp_f32_e32 v18, v18
	v_mul_f32_e32 v19, 0x3fb8aa3b, v19
	v_sub_f32_e32 v21, v22, v24
	v_exp_f32_e32 v19, v19
	;; [unrolled: 3-line block ×3, first 2 shown]
	v_mul_f32_e32 v22, 0x3fb8aa3b, v22
	v_exp_f32_e32 v22, v22
	v_cndmask_b32_e32 v18, 0, v18, vcc
	v_add_f32_e32 v20, 0, v18
	v_cndmask_b32_e64 v19, 0, v19, s[0:1]
	v_add_f32_e32 v23, v20, v19
	v_cndmask_b32_e64 v20, 0, v21, s[8:9]
	;; [unrolled: 2-line block ×3, first 2 shown]
	v_add_f32_e32 v22, v23, v21
	;;#ASMSTART
	v_nop
 v_nop
 v_add_f32_dpp v22, v22, v22 row_ror:4
	;;#ASMEND
	v_cmp_gt_u32_e32 vcc, 4, v32
	;;#ASMSTART
	v_nop
 v_nop
 v_add_f32_dpp v22, v22, v22 row_ror:8
	;;#ASMEND
	ds_bpermute_b32 v22, v25, v22
	s_waitcnt lgkmcnt(0)
	;;#ASMSTART
	v_nop
 v_nop
 v_add_f32_dpp v22, v22, v22 row_ror:4
	;;#ASMEND
	s_nop 0
	;;#ASMSTART
	v_nop
 v_nop
 v_add_f32_dpp v22, v22, v22 row_ror:8
	;;#ASMEND
	s_and_saveexec_b64 s[0:1], vcc
	s_cbranch_execz .LBB888_18
; %bb.17:
	v_mul_u32_u24_e32 v23, 20, v1
	v_lshl_add_u32 v23, v33, 2, v23
	v_add_u32_e32 v23, 0x800, v23
	ds_write2_b32 v23, v24, v22 offset0:128 offset1:148
.LBB888_18:
	s_or_b64 exec, exec, s[0:1]
.LBB888_19:
	s_or_b64 exec, exec, s[26:27]
	s_waitcnt lgkmcnt(0)
	s_barrier
	s_load_dword s0, s[24:25], 0x8
	v_lshlrev_b32_e32 v22, 2, v33
	v_add_u32_e32 v30, 0x800, v22
	ds_read2_b32 v[22:23], v30 offset0:128 offset1:133
	ds_read2_b32 v[26:27], v30 offset0:138 offset1:143
	s_mul_i32 s1, s33, s2
	s_waitcnt lgkmcnt(0)
	s_mul_i32 s0, s1, s0
	s_mov_b32 s1, 0xff7fffff
	v_max3_f32 v25, v22, s1, v23
	v_max3_f32 v25, v25, v26, v27
	v_sub_f32_e32 v22, v22, v25
	ds_read2_b32 v[28:29], v30 offset0:148 offset1:153
	v_mul_f32_e32 v22, 0x3fb8aa3b, v22
	v_sub_f32_e32 v23, v23, v25
	v_sub_f32_e32 v26, v26, v25
	v_exp_f32_e32 v34, v22
	v_mul_f32_e32 v23, 0x3fb8aa3b, v23
	v_mul_f32_e32 v26, 0x3fb8aa3b, v26
	v_exp_f32_e32 v23, v23
	ds_read2_b32 v[30:31], v30 offset0:158 offset1:163
	v_exp_f32_e32 v35, v26
	v_sub_f32_e32 v26, v27, v25
	v_mul_f32_e32 v26, 0x3fb8aa3b, v26
	v_exp_f32_e32 v27, v26
	s_waitcnt lgkmcnt(1)
	v_fma_f32 v26, v34, v28, 0
	v_fmac_f32_e32 v26, v23, v29
	s_waitcnt lgkmcnt(0)
	v_fmac_f32_e32 v26, v35, v30
	v_mov_b32_e32 v22, 0
	v_fmac_f32_e32 v26, v27, v31
	s_mov_b32 s1, 0
	v_cmp_eq_u32_e32 vcc, 0, v33
	s_and_saveexec_b64 s[2:3], vcc
	s_cbranch_execz .LBB888_21
; %bb.20:
	s_lshl_b64 s[8:9], s[0:1], 2
	s_add_u32 s5, s16, s8
	s_mov_b32 s21, s1
	s_addc_u32 s12, s17, s9
	s_lshl_b64 s[10:11], s[20:21], 2
	s_add_u32 s5, s5, s10
	s_addc_u32 s12, s12, s11
	s_add_u32 s8, s18, s8
	s_addc_u32 s9, s19, s9
	;; [unrolled: 2-line block ×3, first 2 shown]
	s_mul_i32 s8, s33, s4
	s_mov_b32 s9, s1
	s_lshl_b64 s[8:9], s[8:9], 2
	s_add_u32 s10, s5, s8
	s_addc_u32 s11, s12, s9
	s_add_u32 s8, s13, s8
	s_addc_u32 s9, s16, s9
	global_store_dword v22, v25, s[8:9]
	global_store_dword v22, v26, s[10:11]
.LBB888_21:
	s_or_b64 exec, exec, s[2:3]
	v_mov_b32_e32 v23, 0
	s_and_saveexec_b64 s[2:3], s[6:7]
	s_cbranch_execz .LBB888_23
; %bb.22:
	v_add_f32_e32 v22, 0x358637bd, v26
	v_div_scale_f32 v23, s[6:7], v22, v22, 1.0
	v_rcp_f32_e32 v26, v23
	v_div_scale_f32 v27, vcc, 1.0, v22, 1.0
	v_sub_f32_e32 v24, v24, v25
	v_fma_f32 v28, -v23, v26, 1.0
	v_fmac_f32_e32 v26, v28, v26
	v_mul_f32_e32 v28, v27, v26
	v_fma_f32 v29, -v23, v28, v27
	v_mul_f32_e32 v24, 0x3fb8aa3b, v24
	v_fmac_f32_e32 v28, v29, v26
	v_exp_f32_e32 v24, v24
	v_fma_f32 v23, -v23, v28, v27
	v_div_fmas_f32 v23, v23, v26, v28
	v_div_fixup_f32 v22, v23, v22, 1.0
	v_mul_f32_e32 v22, v24, v22
	v_pk_mul_f32 v[20:21], v[20:21], v[22:23] op_sel_hi:[1,0]
	v_pk_mul_f32 v[18:19], v[18:19], v[22:23] op_sel_hi:[1,0]
	v_cvt_f16_f32_e32 v22, v20
	v_cvt_f16_f32_e32 v18, v18
	;; [unrolled: 1-line block ×4, first 2 shown]
	s_waitcnt vmcnt(2)
	v_cvt_pk_f32_fp8_e32 v[20:21], v6
	v_cvt_pk_f32_fp8_e32 v[24:25], v7
	v_pack_b32_f16 v18, v18, v19
	v_pack_b32_f16 v19, v22, v23
	v_cvt_pk_f32_fp8_sdwa v[22:23], v6 src0_sel:WORD_1
	v_cvt_pkrtz_f16_f32 v6, v20, v21
	v_cvt_pk_f32_fp8_sdwa v[20:21], v7 src0_sel:WORD_1
	s_load_dword s6, s[14:15], 0x0
	v_cvt_pkrtz_f16_f32 v7, v22, v23
	v_cvt_pkrtz_f16_f32 v22, v24, v25
	v_cvt_pkrtz_f16_f32 v23, v20, v21
	v_mfma_f32_4x4x4_16b_f16 a[0:3], v[18:19], v[6:7], 0 cbsz:4
	v_cvt_pk_f32_fp8_e32 v[6:7], v8
	v_cvt_pk_f32_fp8_sdwa v[20:21], v8 src0_sel:WORD_1
	v_mfma_f32_4x4x4_16b_f16 a[0:3], v[18:19], v[22:23], a[0:3] cbsz:4 abid:1
	v_cvt_pk_f32_fp8_e32 v[22:23], v9
	v_cvt_pk_f32_fp8_sdwa v[8:9], v9 src0_sel:WORD_1
	v_cvt_pkrtz_f16_f32 v6, v6, v7
	v_cvt_pkrtz_f16_f32 v7, v20, v21
	v_cvt_pkrtz_f16_f32 v20, v22, v23
	v_cvt_pkrtz_f16_f32 v21, v8, v9
	v_mfma_f32_4x4x4_16b_f16 a[0:3], v[18:19], v[6:7], a[0:3] cbsz:4 abid:2
	v_cvt_pk_f32_fp8_e32 v[6:7], v2
	v_cvt_pk_f32_fp8_sdwa v[8:9], v2 src0_sel:WORD_1
	v_mfma_f32_4x4x4_16b_f16 a[0:3], v[18:19], v[20:21], a[0:3] cbsz:4 abid:3
	v_cvt_pk_f32_fp8_e32 v[20:21], v3
	v_cvt_pkrtz_f16_f32 v2, v6, v7
	v_cvt_pk_f32_fp8_sdwa v[6:7], v3 src0_sel:WORD_1
	v_cvt_pkrtz_f16_f32 v3, v8, v9
	v_cvt_pkrtz_f16_f32 v8, v20, v21
	s_mov_b32 s1, 0x5040100
	v_mfma_f32_4x4x4_16b_f16 a[0:3], v[18:19], v[2:3], a[0:3] cbsz:4 abid:4
	v_cvt_pkrtz_f16_f32 v9, v6, v7
	v_cvt_pk_f32_fp8_e32 v[2:3], v4
	v_cvt_pk_f32_fp8_sdwa v[6:7], v4 src0_sel:WORD_1
	v_mfma_f32_4x4x4_16b_f16 a[0:3], v[18:19], v[8:9], a[0:3] cbsz:4 abid:5
	v_cvt_pk_f32_fp8_e32 v[8:9], v5
	v_cvt_pk_f32_fp8_sdwa v[4:5], v5 src0_sel:WORD_1
	v_cvt_pkrtz_f16_f32 v2, v2, v3
	v_cvt_pkrtz_f16_f32 v3, v6, v7
	;; [unrolled: 1-line block ×4, first 2 shown]
	v_mfma_f32_4x4x4_16b_f16 a[0:3], v[18:19], v[2:3], a[0:3] cbsz:4 abid:6
	s_waitcnt vmcnt(0)
	v_cvt_pk_f32_fp8_e32 v[2:3], v14
	v_cvt_pk_f32_fp8_sdwa v[4:5], v14 src0_sel:WORD_1
	v_mfma_f32_4x4x4_16b_f16 a[0:3], v[18:19], v[6:7], a[0:3] cbsz:4 abid:7
	v_cvt_pk_f32_fp8_e32 v[6:7], v15
	v_cvt_pk_f32_fp8_sdwa v[8:9], v15 src0_sel:WORD_1
	v_cvt_pkrtz_f16_f32 v2, v2, v3
	v_cvt_pkrtz_f16_f32 v3, v4, v5
	;; [unrolled: 1-line block ×4, first 2 shown]
	v_mfma_f32_4x4x4_16b_f16 a[0:3], v[18:19], v[2:3], a[0:3] cbsz:4 abid:8
	v_cvt_pk_f32_fp8_e32 v[2:3], v16
	v_cvt_pk_f32_fp8_e32 v[6:7], v17
	v_mfma_f32_4x4x4_16b_f16 a[0:3], v[18:19], v[4:5], a[0:3] cbsz:4 abid:9
	v_cvt_pk_f32_fp8_sdwa v[4:5], v16 src0_sel:WORD_1
	v_cvt_pk_f32_fp8_sdwa v[8:9], v17 src0_sel:WORD_1
	v_cvt_pkrtz_f16_f32 v2, v2, v3
	v_cvt_pkrtz_f16_f32 v3, v4, v5
	v_cvt_pkrtz_f16_f32 v4, v6, v7
	s_nop 0
	v_mfma_f32_4x4x4_16b_f16 a[0:3], v[18:19], v[2:3], a[0:3] cbsz:4 abid:10
	v_cvt_pkrtz_f16_f32 v5, v8, v9
	v_cvt_pk_f32_fp8_e32 v[2:3], v10
	v_cvt_pk_f32_fp8_e32 v[6:7], v11
	v_mfma_f32_4x4x4_16b_f16 a[0:3], v[18:19], v[4:5], a[0:3] cbsz:4 abid:11
	v_cvt_pk_f32_fp8_sdwa v[4:5], v10 src0_sel:WORD_1
	v_cvt_pk_f32_fp8_sdwa v[8:9], v11 src0_sel:WORD_1
	v_cvt_pkrtz_f16_f32 v2, v2, v3
	v_cvt_pkrtz_f16_f32 v3, v4, v5
	v_cvt_pkrtz_f16_f32 v4, v6, v7
	s_nop 0
	v_mfma_f32_4x4x4_16b_f16 a[0:3], v[18:19], v[2:3], a[0:3] cbsz:4 abid:12
	v_cvt_pkrtz_f16_f32 v5, v8, v9
	;; [unrolled: 11-line block ×3, first 2 shown]
	s_nop 1
	v_mfma_f32_4x4x4_16b_f16 a[0:3], v[18:19], v[4:5], a[0:3] cbsz:4 abid:15
	s_nop 4
	v_accvgpr_read_b32 v5, a1
	v_accvgpr_read_b32 v3, a3
	;; [unrolled: 1-line block ×4, first 2 shown]
	s_waitcnt lgkmcnt(0)
	v_pk_mul_f32 v[2:3], v[2:3], s[6:7] op_sel_hi:[1,0]
	v_pk_mul_f32 v[4:5], v[4:5], s[6:7] op_sel_hi:[1,0]
	v_cvt_f16_f32_e32 v2, v2
	v_cvt_f16_f32_e32 v4, v4
	;; [unrolled: 1-line block ×4, first 2 shown]
	v_perm_b32 v22, v5, v4, s1
	v_perm_b32 v23, v3, v2, s1
.LBB888_23:
	s_or_b64 exec, exec, s[2:3]
	v_lshlrev_b32_e32 v1, 3, v1
	v_mad_u32_u24 v1, v32, 40, v1
	v_cmp_gt_u32_e32 vcc, 64, v0
	ds_write_b64 v1, v[22:23]
	s_waitcnt lgkmcnt(0)
	s_barrier
	s_and_saveexec_b64 s[2:3], vcc
	s_cbranch_execz .LBB888_25
; %bb.24:
	v_mul_u32_u24_e32 v1, 40, v32
	s_waitcnt vmcnt(3)
	ds_read2_b64 v[2:5], v1 offset1:1
	s_waitcnt vmcnt(2)
	ds_read2_b64 v[6:9], v1 offset0:2 offset1:3
	s_lshl_b32 s0, s0, 6
	s_mov_b32 s1, 0
	s_lshl_b64 s[2:3], s[0:1], 1
	s_add_u32 s2, s22, s2
	s_addc_u32 s3, s23, s3
	s_lshl_b32 s0, s20, 6
	s_lshl_b64 s[0:1], s[0:1], 1
	s_waitcnt lgkmcnt(1)
	v_pk_add_f16 v2, v2, 0
	s_add_u32 s0, s2, s0
	s_mul_i32 s2, s4, s33
	v_pk_add_f16 v2, v2, v4
	s_addc_u32 s1, s3, s1
	v_lshl_or_b32 v0, s2, 6, v0
	v_mov_b32_e32 v1, 0
	s_waitcnt lgkmcnt(0)
	v_pk_add_f16 v2, v2, v6
	v_lshl_add_u64 v[0:1], v[0:1], 1, s[0:1]
	v_pk_add_f16 v2, v2, v8
	global_store_short v[0:1], v2, off
.LBB888_25:
	s_endpgm
	.section	.rodata,"a",@progbits
	.p2align	6, 0x0
	.amdhsa_kernel _Z38paged_attention_ll4mi_QKV_mfma4_kernelIDF16_hLN4vllm18Fp8KVCacheDataTypeE1EDF16_Li32ELi64ELi256ELb1ELi1EEvPKT_PKT0_S7_ifPKiS9_S9_iPKfiiiPfSC_PS2_PT2_iSB_SB_
		.amdhsa_group_segment_fixed_size 2720
		.amdhsa_private_segment_fixed_size 0
		.amdhsa_kernarg_size 400
		.amdhsa_user_sgpr_count 2
		.amdhsa_user_sgpr_dispatch_ptr 0
		.amdhsa_user_sgpr_queue_ptr 0
		.amdhsa_user_sgpr_kernarg_segment_ptr 1
		.amdhsa_user_sgpr_dispatch_id 0
		.amdhsa_user_sgpr_kernarg_preload_length 0
		.amdhsa_user_sgpr_kernarg_preload_offset 0
		.amdhsa_user_sgpr_private_segment_size 0
		.amdhsa_uses_dynamic_stack 0
		.amdhsa_enable_private_segment 0
		.amdhsa_system_sgpr_workgroup_id_x 1
		.amdhsa_system_sgpr_workgroup_id_y 1
		.amdhsa_system_sgpr_workgroup_id_z 1
		.amdhsa_system_sgpr_workgroup_info 0
		.amdhsa_system_vgpr_workitem_id 0
		.amdhsa_next_free_vgpr 48
		.amdhsa_next_free_sgpr 42
		.amdhsa_accum_offset 44
		.amdhsa_reserve_vcc 1
		.amdhsa_float_round_mode_32 0
		.amdhsa_float_round_mode_16_64 0
		.amdhsa_float_denorm_mode_32 3
		.amdhsa_float_denorm_mode_16_64 3
		.amdhsa_dx10_clamp 1
		.amdhsa_ieee_mode 1
		.amdhsa_fp16_overflow 0
		.amdhsa_tg_split 0
		.amdhsa_exception_fp_ieee_invalid_op 0
		.amdhsa_exception_fp_denorm_src 0
		.amdhsa_exception_fp_ieee_div_zero 0
		.amdhsa_exception_fp_ieee_overflow 0
		.amdhsa_exception_fp_ieee_underflow 0
		.amdhsa_exception_fp_ieee_inexact 0
		.amdhsa_exception_int_div_zero 0
	.end_amdhsa_kernel
	.section	.text._Z38paged_attention_ll4mi_QKV_mfma4_kernelIDF16_hLN4vllm18Fp8KVCacheDataTypeE1EDF16_Li32ELi64ELi256ELb1ELi1EEvPKT_PKT0_S7_ifPKiS9_S9_iPKfiiiPfSC_PS2_PT2_iSB_SB_,"axG",@progbits,_Z38paged_attention_ll4mi_QKV_mfma4_kernelIDF16_hLN4vllm18Fp8KVCacheDataTypeE1EDF16_Li32ELi64ELi256ELb1ELi1EEvPKT_PKT0_S7_ifPKiS9_S9_iPKfiiiPfSC_PS2_PT2_iSB_SB_,comdat
.Lfunc_end888:
	.size	_Z38paged_attention_ll4mi_QKV_mfma4_kernelIDF16_hLN4vllm18Fp8KVCacheDataTypeE1EDF16_Li32ELi64ELi256ELb1ELi1EEvPKT_PKT0_S7_ifPKiS9_S9_iPKfiiiPfSC_PS2_PT2_iSB_SB_, .Lfunc_end888-_Z38paged_attention_ll4mi_QKV_mfma4_kernelIDF16_hLN4vllm18Fp8KVCacheDataTypeE1EDF16_Li32ELi64ELi256ELb1ELi1EEvPKT_PKT0_S7_ifPKiS9_S9_iPKfiiiPfSC_PS2_PT2_iSB_SB_
                                        ; -- End function
	.section	.AMDGPU.csdata,"",@progbits
; Kernel info:
; codeLenInByte = 3776
; NumSgprs: 48
; NumVgprs: 44
; NumAgprs: 4
; TotalNumVgprs: 48
; ScratchSize: 0
; MemoryBound: 0
; FloatMode: 240
; IeeeMode: 1
; LDSByteSize: 2720 bytes/workgroup (compile time only)
; SGPRBlocks: 5
; VGPRBlocks: 5
; NumSGPRsForWavesPerEU: 48
; NumVGPRsForWavesPerEU: 48
; AccumOffset: 44
; Occupancy: 8
; WaveLimiterHint : 1
; COMPUTE_PGM_RSRC2:SCRATCH_EN: 0
; COMPUTE_PGM_RSRC2:USER_SGPR: 2
; COMPUTE_PGM_RSRC2:TRAP_HANDLER: 0
; COMPUTE_PGM_RSRC2:TGID_X_EN: 1
; COMPUTE_PGM_RSRC2:TGID_Y_EN: 1
; COMPUTE_PGM_RSRC2:TGID_Z_EN: 1
; COMPUTE_PGM_RSRC2:TIDIG_COMP_CNT: 0
; COMPUTE_PGM_RSRC3_GFX90A:ACCUM_OFFSET: 10
; COMPUTE_PGM_RSRC3_GFX90A:TG_SPLIT: 0
	.section	.text._Z38paged_attention_ll4mi_QKV_mfma4_kernelIDF16_hLN4vllm18Fp8KVCacheDataTypeE1EDF16_Li32ELi64ELi256ELb1ELi2EEvPKT_PKT0_S7_ifPKiS9_S9_iPKfiiiPfSC_PS2_PT2_iSB_SB_,"axG",@progbits,_Z38paged_attention_ll4mi_QKV_mfma4_kernelIDF16_hLN4vllm18Fp8KVCacheDataTypeE1EDF16_Li32ELi64ELi256ELb1ELi2EEvPKT_PKT0_S7_ifPKiS9_S9_iPKfiiiPfSC_PS2_PT2_iSB_SB_,comdat
	.protected	_Z38paged_attention_ll4mi_QKV_mfma4_kernelIDF16_hLN4vllm18Fp8KVCacheDataTypeE1EDF16_Li32ELi64ELi256ELb1ELi2EEvPKT_PKT0_S7_ifPKiS9_S9_iPKfiiiPfSC_PS2_PT2_iSB_SB_ ; -- Begin function _Z38paged_attention_ll4mi_QKV_mfma4_kernelIDF16_hLN4vllm18Fp8KVCacheDataTypeE1EDF16_Li32ELi64ELi256ELb1ELi2EEvPKT_PKT0_S7_ifPKiS9_S9_iPKfiiiPfSC_PS2_PT2_iSB_SB_
	.globl	_Z38paged_attention_ll4mi_QKV_mfma4_kernelIDF16_hLN4vllm18Fp8KVCacheDataTypeE1EDF16_Li32ELi64ELi256ELb1ELi2EEvPKT_PKT0_S7_ifPKiS9_S9_iPKfiiiPfSC_PS2_PT2_iSB_SB_
	.p2align	8
	.type	_Z38paged_attention_ll4mi_QKV_mfma4_kernelIDF16_hLN4vllm18Fp8KVCacheDataTypeE1EDF16_Li32ELi64ELi256ELb1ELi2EEvPKT_PKT0_S7_ifPKiS9_S9_iPKfiiiPfSC_PS2_PT2_iSB_SB_,@function
_Z38paged_attention_ll4mi_QKV_mfma4_kernelIDF16_hLN4vllm18Fp8KVCacheDataTypeE1EDF16_Li32ELi64ELi256ELb1ELi2EEvPKT_PKT0_S7_ifPKiS9_S9_iPKfiiiPfSC_PS2_PT2_iSB_SB_: ; @_Z38paged_attention_ll4mi_QKV_mfma4_kernelIDF16_hLN4vllm18Fp8KVCacheDataTypeE1EDF16_Li32ELi64ELi256ELb1ELi2EEvPKT_PKT0_S7_ifPKiS9_S9_iPKfiiiPfSC_PS2_PT2_iSB_SB_
; %bb.0:
	s_load_dwordx2 s[16:17], s[0:1], 0x30
	s_mov_b32 s20, s3
	s_mov_b64 s[6:7], 0
	s_waitcnt lgkmcnt(0)
	s_cmp_lg_u64 s[16:17], 0
	s_cselect_b64 s[18:19], -1, 0
	s_and_b64 vcc, exec, s[18:19]
	s_cbranch_vccz .LBB889_10
; %bb.1:
	s_add_i32 s8, s2, 1
	s_mov_b32 s9, 0
	s_lshl_b64 s[10:11], s[8:9], 2
	s_add_u32 s10, s16, s10
	s_mov_b32 s3, s9
	s_addc_u32 s11, s17, s11
	s_lshl_b64 s[8:9], s[2:3], 2
	s_add_u32 s8, s16, s8
	s_addc_u32 s9, s17, s9
	s_load_dword s5, s[10:11], 0x0
	s_load_dword s12, s[8:9], 0x0
	s_waitcnt lgkmcnt(0)
	s_sub_i32 s5, s5, s12
	s_cmp_eq_u32 s5, 1
	s_cselect_b64 s[8:9], -1, 0
	s_andn2_b64 vcc, exec, s[6:7]
	s_cbranch_vccnz .LBB889_3
.LBB889_2:
	s_mov_b32 s3, 0
	s_mov_b64 s[8:9], -1
.LBB889_3:
	s_andn2_b64 vcc, exec, s[8:9]
	s_cbranch_vccnz .LBB889_25
; %bb.4:
	s_load_dword s5, s[0:1], 0x9c
	s_load_dwordx2 s[6:7], s[0:1], 0x28
	s_add_u32 s24, s0, 0x90
	s_addc_u32 s25, s1, 0
	s_lshl_b64 s[28:29], s[2:3], 2
	s_waitcnt lgkmcnt(0)
	s_and_b32 s5, s5, 0xffff
	s_add_u32 s6, s6, s28
	s_addc_u32 s7, s7, s29
	s_load_dword s3, s[6:7], 0x0
	s_mul_i32 s5, s20, s5
	s_waitcnt lgkmcnt(0)
	s_cmp_ge_i32 s5, s3
	s_cbranch_scc1 .LBB889_25
; %bb.5:
	v_and_b32_e32 v2, 0xc0, v0
	v_add_u32_e32 v4, s5, v2
	v_lshrrev_b32_e32 v1, 6, v0
	v_cmp_gt_i32_e64 s[6:7], s3, v4
	v_cmp_le_i32_e32 vcc, s3, v4
                                        ; implicit-def: $sgpr30
                                        ; implicit-def: $sgpr21
	s_and_saveexec_b64 s[8:9], vcc
	s_xor_b64 s[8:9], exec, s[8:9]
	s_cbranch_execz .LBB889_7
; %bb.6:
	v_mul_u32_u24_e32 v2, 20, v1
	v_or_b32_e32 v2, 0xa00, v2
	v_mov_b32_e32 v3, 0xa50
	v_mov_b32_e32 v4, 0xff7fffff
	v_mad_u32_u24 v3, v1, 20, v3
	ds_write2_b32 v2, v4, v4 offset1:1
	v_mov_b32_e32 v2, 0
	ds_write2_b32 v3, v2, v2 offset1:1
	v_mov_b32_e32 v3, 0xa08
	s_mov_b32 s21, 0xff7fffff
	s_mov_b32 s30, 0
	v_mad_u32_u24 v3, v1, 20, v3
	v_mov_b32_e32 v5, 0xa58
	v_mad_u32_u24 v5, v1, 20, v5
	ds_write2_b32 v3, v4, v4 offset1:1
	ds_write2_b32 v5, v2, v2 offset1:1
                                        ; implicit-def: $vgpr4
.LBB889_7:
	s_or_saveexec_b64 s[26:27], s[8:9]
	s_load_dwordx2 s[22:23], s[0:1], 0x68
	s_load_dwordx4 s[12:15], s[0:1], 0x58
	s_load_dword s33, s[24:25], 0x4
	s_load_dwordx4 s[8:11], s[0:1], 0x80
	v_and_b32_e32 v38, 63, v0
	v_and_b32_e32 v39, 3, v0
	s_lshl_b32 s38, s4, 1
	v_mov_b32_e32 v21, s30
	v_mov_b32_e32 v24, s21
	;; [unrolled: 1-line block ×5, first 2 shown]
                                        ; implicit-def: $vgpr14_vgpr15
                                        ; implicit-def: $vgpr10_vgpr11
                                        ; implicit-def: $vgpr6_vgpr7
                                        ; implicit-def: $vgpr2_vgpr3
	s_xor_b64 exec, exec, s[26:27]
	s_cbranch_execz .LBB889_19
; %bb.8:
	s_load_dwordx2 s[30:31], s[0:1], 0x20
	s_load_dword s21, s[0:1], 0x38
	s_add_i32 s34, s3, 31
	s_ashr_i32 s35, s34, 31
	s_lshr_b32 s35, s35, 27
	v_add_u32_e32 v40, s5, v0
	s_add_i32 s34, s34, s35
	v_ashrrev_i32_e32 v2, 31, v40
	s_ashr_i32 s34, s34, 5
	v_lshrrev_b32_e32 v2, 27, v2
	s_add_i32 s36, s34, -1
	s_waitcnt lgkmcnt(0)
	s_mul_i32 s34, s2, s21
	s_mov_b32 s35, 0
	v_add_u32_e32 v2, v40, v2
	s_lshl_b64 s[34:35], s[34:35], 2
	v_ashrrev_i32_e32 v2, 5, v2
	v_mov_b32_e32 v3, s36
	v_cmp_gt_i32_e32 vcc, s3, v40
	s_add_u32 s30, s30, s34
	s_addc_u32 s31, s31, s35
	v_cndmask_b32_e32 v2, v3, v2, vcc
	v_ashrrev_i32_e32 v3, 31, v2
	v_lshl_add_u64 v[6:7], v[2:3], 2, s[30:31]
	v_ashrrev_i32_e32 v2, 31, v4
	v_lshrrev_b32_e32 v2, 27, v2
	v_add_u32_e32 v2, v4, v2
	v_ashrrev_i32_e32 v4, 5, v2
	v_min_i32_e32 v2, s36, v4
	v_ashrrev_i32_e32 v3, 31, v2
	v_lshl_add_u64 v[8:9], v[2:3], 2, s[30:31]
	v_add_u32_e32 v2, 1, v4
	v_min_i32_e32 v2, s36, v2
	v_ashrrev_i32_e32 v3, 31, v2
	v_lshl_add_u64 v[10:11], v[2:3], 2, s[30:31]
	global_load_dword v2, v[6:7], off
	global_load_dword v5, v[8:9], off
	;; [unrolled: 1-line block ×3, first 2 shown]
	s_load_dwordx2 s[30:31], s[0:1], 0x8
	s_andn2_b64 vcc, exec, s[18:19]
	s_cbranch_vccnz .LBB889_11
; %bb.9:
	s_add_u32 s16, s16, s28
	s_addc_u32 s17, s17, s29
	s_load_dword s5, s[16:17], 0x0
	s_branch .LBB889_12
.LBB889_10:
	s_mov_b64 s[8:9], 0
	s_branch .LBB889_2
.LBB889_11:
	s_mov_b32 s5, s2
.LBB889_12:
	s_load_dwordx2 s[28:29], s[0:1], 0x10
	s_load_dwordx4 s[16:19], s[0:1], 0x48
	v_cmp_gt_u32_e32 vcc, 2, v39
	s_mov_b32 s37, 0
	v_mov_b32_e32 v3, 0
	v_mov_b32_e32 v18, 0
	;; [unrolled: 1-line block ×5, first 2 shown]
	s_and_saveexec_b64 s[34:35], vcc
	s_cbranch_execz .LBB889_14
; %bb.13:
	s_load_dwordx2 s[40:41], s[0:1], 0x0
	s_waitcnt lgkmcnt(0)
	s_ashr_i32 s19, s16, 31
	s_mul_hi_u32 s21, s5, s16
	s_mul_i32 s19, s5, s19
	s_add_i32 s43, s21, s19
	s_mul_i32 s42, s5, s16
	s_lshl_b64 s[42:43], s[42:43], 1
	s_add_u32 s5, s40, s42
	s_addc_u32 s16, s41, s43
	s_lshl_b32 s36, s4, 7
	s_lshl_b64 s[36:37], s[36:37], 1
	s_add_u32 s36, s5, s36
	v_lshlrev_b32_e32 v6, 3, v39
	v_lshrrev_b32_e32 v7, 2, v38
	s_addc_u32 s37, s16, s37
	v_add_lshl_u32 v6, v6, v7, 4
	global_load_dwordx4 v[18:21], v6, s[36:37]
.LBB889_14:
	s_or_b64 exec, exec, s[34:35]
	s_waitcnt lgkmcnt(0)
	s_mul_i32 s16, s4, s18
	s_add_u32 s4, s16, s30
	s_addc_u32 s5, 0, s31
	v_mov_b64_e32 v[6:7], s[4:5]
	s_waitcnt vmcnt(2)
	v_mad_i64_i32 v[6:7], s[4:5], v2, s17, v[6:7]
	v_lshlrev_b32_e32 v2, 4, v0
	v_and_b32_e32 v2, 0x1f0, v2
	v_lshl_add_u64 v[6:7], v[6:7], 0, v[2:3]
	global_load_dwordx4 v[34:37], v[6:7], off
	global_load_dwordx4 v[30:33], v[6:7], off offset:512
	global_load_dwordx4 v[26:29], v[6:7], off offset:1024
	;; [unrolled: 1-line block ×3, first 2 shown]
	v_mov_b32_e32 v41, 0
	s_and_saveexec_b64 s[4:5], vcc
	s_cbranch_execz .LBB889_16
; %bb.15:
	s_load_dwordx2 s[18:19], s[0:1], 0x40
	v_or_b32_e32 v6, s38, v39
	v_mov_b32_e32 v7, 0
	s_waitcnt lgkmcnt(0)
	v_lshl_add_u64 v[6:7], v[6:7], 2, s[18:19]
	global_load_dword v41, v[6:7], off
.LBB889_16:
	s_or_b64 exec, exec, s[4:5]
	s_waitcnt vmcnt(5)
	v_mul_hi_i32 v6, v5, s17
	s_load_dword s4, s[0:1], 0x1c
	s_add_u32 s0, s28, s16
	v_ashrrev_i32_e32 v6, 31, v6
	s_addc_u32 s1, s29, 0
	v_lshlrev_b32_e32 v2, 5, v38
	v_lshrrev_b32_e32 v6, 29, v6
	v_mov_b32_e32 v7, 0
	v_lshl_add_u64 v[2:3], s[0:1], 0, v[2:3]
	v_mad_i64_i32 v[8:9], s[0:1], v5, s17, v[6:7]
	s_waitcnt vmcnt(4)
	v_mul_hi_i32 v5, v4, s17
	v_ashrrev_i32_e32 v5, 31, v5
	v_lshrrev_b32_e32 v6, 29, v5
	v_mad_i64_i32 v[4:5], s[0:1], v4, s17, v[6:7]
	v_and_b32_e32 v8, -8, v8
	v_and_b32_e32 v4, -8, v4
	s_waitcnt vmcnt(3)
	v_cvt_pk_f32_fp8_e32 v[44:45], v34
	v_lshl_add_u64 v[8:9], v[2:3], 0, v[8:9]
	v_lshl_add_u64 v[42:43], v[2:3], 0, v[4:5]
	global_load_dwordx4 v[10:13], v[8:9], off offset:16
	global_load_dwordx4 v[14:17], v[8:9], off
	global_load_dwordx4 v[2:5], v[42:43], off offset:16
	s_nop 0
	global_load_dwordx4 v[6:9], v[42:43], off
	v_cvt_pk_f32_fp8_sdwa v[42:43], v34 src0_sel:WORD_1
	v_cvt_pk_f32_fp8_e32 v[46:47], v35
	v_cvt_pkrtz_f16_f32 v34, v44, v45
	v_cvt_pk_f32_fp8_sdwa v[44:45], v35 src0_sel:WORD_1
	v_cvt_pkrtz_f16_f32 v35, v42, v43
	v_cvt_pkrtz_f16_f32 v42, v46, v47
	s_load_dword s0, s[8:9], 0x0
	v_mfma_f32_4x4x4_16b_f16 a[0:3], v[18:19], v[34:35], 0 cbsz:4
	v_cvt_pkrtz_f16_f32 v43, v44, v45
	v_cvt_pk_f32_fp8_e32 v[34:35], v36
	v_cvt_pk_f32_fp8_e32 v[44:45], v37
	v_mfma_f32_4x4x4_16b_f16 a[0:3], v[20:21], v[42:43], a[0:3] cbsz:4
	v_cvt_pk_f32_fp8_sdwa v[42:43], v36 src0_sel:WORD_1
	v_cvt_pk_f32_fp8_sdwa v[36:37], v37 src0_sel:WORD_1
	v_cvt_pkrtz_f16_f32 v34, v34, v35
	v_cmp_eq_u32_e32 vcc, 0, v39
	v_cvt_pkrtz_f16_f32 v35, v42, v43
	v_cvt_pkrtz_f16_f32 v43, v36, v37
	s_waitcnt vmcnt(6)
	v_cvt_pk_f32_fp8_sdwa v[36:37], v30 src0_sel:WORD_1
	v_mfma_f32_4x4x4_16b_f16 a[0:3], v[18:19], v[34:35], a[0:3] cbsz:4 abid:1
	v_cvt_pk_f32_fp8_e32 v[34:35], v30
	v_cvt_pkrtz_f16_f32 v42, v44, v45
	v_cvt_pkrtz_f16_f32 v30, v34, v35
	v_cvt_pk_f32_fp8_sdwa v[34:35], v31 src0_sel:WORD_1
	v_mfma_f32_4x4x4_16b_f16 a[0:3], v[20:21], v[42:43], a[0:3] cbsz:4 abid:1
	v_cvt_pk_f32_fp8_e32 v[42:43], v31
	v_cvt_pkrtz_f16_f32 v31, v36, v37
	v_cvt_pkrtz_f16_f32 v37, v34, v35
	;; [unrolled: 5-line block ×3, first 2 shown]
	s_nop 0
	v_mfma_f32_4x4x4_16b_f16 a[0:3], v[20:21], v[36:37], a[0:3] cbsz:4 abid:2
	v_cvt_pk_f32_fp8_e32 v[36:37], v33
	v_cvt_pk_f32_fp8_sdwa v[32:33], v33 src0_sel:WORD_1
	v_cvt_pkrtz_f16_f32 v31, v34, v35
	v_cvt_pkrtz_f16_f32 v34, v36, v37
	s_nop 0
	v_mfma_f32_4x4x4_16b_f16 a[0:3], v[18:19], v[30:31], a[0:3] cbsz:4 abid:3
	s_waitcnt vmcnt(5)
	v_cvt_pk_f32_fp8_e32 v[30:31], v26
	v_cvt_pkrtz_f16_f32 v35, v32, v33
	v_cvt_pk_f32_fp8_sdwa v[32:33], v26 src0_sel:WORD_1
	v_cvt_pkrtz_f16_f32 v26, v30, v31
	v_cvt_pk_f32_fp8_sdwa v[30:31], v27 src0_sel:WORD_1
	v_mfma_f32_4x4x4_16b_f16 a[0:3], v[20:21], v[34:35], a[0:3] cbsz:4 abid:3
	v_cvt_pk_f32_fp8_e32 v[34:35], v27
	v_cvt_pkrtz_f16_f32 v27, v32, v33
	v_cvt_pkrtz_f16_f32 v33, v30, v31
	v_cvt_pk_f32_fp8_sdwa v[30:31], v28 src0_sel:WORD_1
	v_mfma_f32_4x4x4_16b_f16 a[0:3], v[18:19], v[26:27], a[0:3] cbsz:4 abid:4
	v_cvt_pk_f32_fp8_e32 v[26:27], v28
	v_cvt_pkrtz_f16_f32 v32, v34, v35
	v_cvt_pkrtz_f16_f32 v26, v26, v27
	s_nop 0
	v_mfma_f32_4x4x4_16b_f16 a[0:3], v[20:21], v[32:33], a[0:3] cbsz:4 abid:4
	v_cvt_pk_f32_fp8_e32 v[32:33], v29
	v_cvt_pk_f32_fp8_sdwa v[28:29], v29 src0_sel:WORD_1
	v_cvt_pkrtz_f16_f32 v27, v30, v31
	v_cvt_pkrtz_f16_f32 v30, v32, v33
	s_nop 0
	v_mfma_f32_4x4x4_16b_f16 a[0:3], v[18:19], v[26:27], a[0:3] cbsz:4 abid:5
	s_waitcnt vmcnt(4)
	v_cvt_pk_f32_fp8_e32 v[26:27], v22
	v_cvt_pkrtz_f16_f32 v31, v28, v29
	v_cvt_pk_f32_fp8_sdwa v[28:29], v22 src0_sel:WORD_1
	v_cvt_pkrtz_f16_f32 v22, v26, v27
	v_cvt_pk_f32_fp8_sdwa v[26:27], v23 src0_sel:WORD_1
	v_mfma_f32_4x4x4_16b_f16 a[0:3], v[20:21], v[30:31], a[0:3] cbsz:4 abid:5
	v_cvt_pk_f32_fp8_e32 v[30:31], v23
	v_cvt_pkrtz_f16_f32 v23, v28, v29
	v_cvt_pkrtz_f16_f32 v29, v26, v27
	v_cvt_pk_f32_fp8_sdwa v[26:27], v24 src0_sel:WORD_1
	v_mfma_f32_4x4x4_16b_f16 a[0:3], v[18:19], v[22:23], a[0:3] cbsz:4 abid:6
	v_cvt_pk_f32_fp8_e32 v[22:23], v24
	v_cvt_pkrtz_f16_f32 v28, v30, v31
	v_cvt_pkrtz_f16_f32 v22, v22, v23
	s_nop 0
	v_mfma_f32_4x4x4_16b_f16 a[0:3], v[20:21], v[28:29], a[0:3] cbsz:4 abid:6
	v_cvt_pk_f32_fp8_e32 v[28:29], v25
	v_cvt_pk_f32_fp8_sdwa v[24:25], v25 src0_sel:WORD_1
	v_cvt_pkrtz_f16_f32 v23, v26, v27
	v_cvt_pkrtz_f16_f32 v26, v28, v29
	s_nop 0
	v_mfma_f32_4x4x4_16b_f16 a[0:3], v[18:19], v[22:23], a[0:3] cbsz:4 abid:7
	v_cvt_pkrtz_f16_f32 v27, v24, v25
	s_waitcnt lgkmcnt(0)
	v_mov_b32_e32 v18, s4
	v_mov_b32_e32 v25, 0xff7fffff
	v_mfma_f32_4x4x4_16b_f16 a[0:3], v[20:21], v[26:27], a[0:3] cbsz:4 abid:7
	v_mul_f32_e32 v20, s0, v18
	s_nop 3
	v_accvgpr_read_b32 v23, a1
	v_accvgpr_read_b32 v22, a0
	v_pk_mul_f32 v[22:23], v[22:23], v[20:21] op_sel_hi:[1,0]
	v_accvgpr_read_b32 v19, a3
	v_accvgpr_read_b32 v18, a2
	v_pk_mul_f32 v[18:19], v[18:19], v[20:21] op_sel_hi:[1,0]
	v_cndmask_b32_e64 v20, 0, 1.0, vcc
	v_cmp_eq_u32_e32 vcc, 1, v39
	s_nop 0
	v_mfma_f32_4x4x1_16b_f32 a[0:3], v22, v20, 0
	v_cndmask_b32_e64 v20, 0, 1.0, vcc
	v_cmp_eq_u32_e32 vcc, 2, v39
	s_nop 0
	v_mfma_f32_4x4x1_16b_f32 a[0:3], v23, v20, a[0:3]
	;; [unrolled: 4-line block ×3, first 2 shown]
	v_cndmask_b32_e64 v18, 0, 1.0, vcc
	s_nop 1
	v_mfma_f32_4x4x1_16b_f32 a[0:3], v19, v18, a[0:3]
	v_and_b32_e32 v18, -4, v40
	v_subrev_u32_e32 v19, s3, v18
	v_add_u32_e32 v20, 1, v19
	v_cvt_f32_i32_e32 v20, v20
	v_add_u32_e32 v21, 2, v19
	v_cvt_f32_i32_e32 v21, v21
	v_accvgpr_read_b32 v22, a0
	v_fma_f32 v20, v41, v20, v22
	v_accvgpr_read_b32 v22, a1
	v_fma_f32 v21, v41, v21, v22
	v_add_u32_e32 v22, 3, v19
	v_cvt_f32_i32_e32 v22, v22
	v_add_u32_e32 v19, 4, v19
	v_max_f32_e32 v24, 0xff7fffff, v20
	v_cmp_gt_i32_e32 vcc, s3, v18
	v_cvt_f32_i32_e32 v19, v19
	v_accvgpr_read_b32 v23, a2
	v_cndmask_b32_e32 v24, v25, v24, vcc
	v_or_b32_e32 v25, 1, v18
	v_max_f32_e32 v26, v24, v21
	v_cmp_gt_i32_e64 s[0:1], s3, v25
	v_fma_f32 v22, v41, v22, v23
	v_or_b32_e32 v18, 2, v18
	v_cndmask_b32_e64 v24, v24, v26, s[0:1]
	v_accvgpr_read_b32 v23, a3
	v_max_f32_e32 v25, v24, v22
	v_cmp_gt_i32_e64 s[4:5], s3, v18
	v_fmac_f32_e32 v23, v41, v19
	v_lshlrev_b32_e32 v19, 2, v0
	v_cndmask_b32_e64 v18, v24, v25, s[4:5]
	v_or_b32_e32 v24, 3, v40
	v_max_f32_e32 v25, v18, v23
	v_cmp_gt_i32_e64 s[8:9], s3, v24
	v_and_or_b32 v19, v19, 48, v39
	s_nop 0
	v_cndmask_b32_e64 v18, v18, v25, s[8:9]
	;;#ASMSTART
	v_nop
 v_nop
 v_max_f32_dpp v18, v18, v18 row_ror:4
	;;#ASMEND
	v_lshlrev_b32_e32 v25, 2, v19
	;;#ASMSTART
	v_nop
 v_nop
 v_max_f32_dpp v18, v18, v18 row_ror:8
	;;#ASMEND
	ds_bpermute_b32 v18, v25, v18
	s_waitcnt lgkmcnt(0)
	;;#ASMSTART
	v_nop
 v_nop
 v_max_f32_dpp v18, v18, v18 row_ror:4
	;;#ASMEND
	s_nop 0
	;;#ASMSTART
	v_nop
 v_nop
 v_max_f32_dpp v24, v18, v18 row_ror:8
	;;#ASMEND
	s_nop 0
	v_sub_f32_e32 v18, v20, v24
	v_mul_f32_e32 v18, 0x3fb8aa3b, v18
	v_sub_f32_e32 v19, v21, v24
	v_exp_f32_e32 v18, v18
	v_mul_f32_e32 v19, 0x3fb8aa3b, v19
	v_sub_f32_e32 v21, v22, v24
	v_exp_f32_e32 v19, v19
	;; [unrolled: 3-line block ×3, first 2 shown]
	v_mul_f32_e32 v22, 0x3fb8aa3b, v22
	v_exp_f32_e32 v22, v22
	v_cndmask_b32_e32 v18, 0, v18, vcc
	v_add_f32_e32 v20, 0, v18
	v_cndmask_b32_e64 v19, 0, v19, s[0:1]
	v_add_f32_e32 v23, v20, v19
	v_cndmask_b32_e64 v20, 0, v21, s[4:5]
	;; [unrolled: 2-line block ×3, first 2 shown]
	v_add_f32_e32 v22, v23, v21
	;;#ASMSTART
	v_nop
 v_nop
 v_add_f32_dpp v22, v22, v22 row_ror:4
	;;#ASMEND
	v_cmp_gt_u32_e32 vcc, 4, v38
	;;#ASMSTART
	v_nop
 v_nop
 v_add_f32_dpp v22, v22, v22 row_ror:8
	;;#ASMEND
	ds_bpermute_b32 v22, v25, v22
	s_waitcnt lgkmcnt(0)
	;;#ASMSTART
	v_nop
 v_nop
 v_add_f32_dpp v22, v22, v22 row_ror:4
	;;#ASMEND
	s_nop 0
	;;#ASMSTART
	v_nop
 v_nop
 v_add_f32_dpp v22, v22, v22 row_ror:8
	;;#ASMEND
	s_and_saveexec_b64 s[0:1], vcc
	s_cbranch_execz .LBB889_18
; %bb.17:
	v_mul_u32_u24_e32 v23, 20, v1
	v_lshl_add_u32 v23, v39, 2, v23
	v_add_u32_e32 v23, 0x800, v23
	ds_write2_b32 v23, v24, v22 offset0:128 offset1:148
.LBB889_18:
	s_or_b64 exec, exec, s[0:1]
.LBB889_19:
	s_or_b64 exec, exec, s[26:27]
	s_waitcnt lgkmcnt(0)
	s_barrier
	s_load_dword s0, s[24:25], 0x8
	v_lshlrev_b32_e32 v22, 2, v39
	v_add_u32_e32 v30, 0x800, v22
	ds_read2_b32 v[22:23], v30 offset0:128 offset1:133
	ds_read2_b32 v[26:27], v30 offset0:138 offset1:143
	s_mul_i32 s1, s2, s33
	s_waitcnt lgkmcnt(0)
	s_mul_i32 s1, s1, s0
	s_lshl_b32 s0, s1, 1
	s_mov_b32 s1, 0xff7fffff
	v_max3_f32 v25, v22, s1, v23
	v_max3_f32 v25, v25, v26, v27
	v_sub_f32_e32 v22, v22, v25
	v_mul_f32_e32 v22, 0x3fb8aa3b, v22
	ds_read2_b32 v[28:29], v30 offset0:148 offset1:153
	v_exp_f32_e32 v31, v22
	v_sub_f32_e32 v22, v23, v25
	v_sub_f32_e32 v26, v26, v25
	v_mul_f32_e32 v22, 0x3fb8aa3b, v22
	v_mul_f32_e32 v26, 0x3fb8aa3b, v26
	v_exp_f32_e32 v32, v22
	ds_read2_b32 v[22:23], v30 offset0:158 offset1:163
	v_exp_f32_e32 v30, v26
	v_sub_f32_e32 v26, v27, v25
	v_mul_f32_e32 v26, 0x3fb8aa3b, v26
	v_exp_f32_e32 v27, v26
	s_waitcnt lgkmcnt(1)
	v_fma_f32 v26, v31, v28, 0
	v_fmac_f32_e32 v26, v32, v29
	s_waitcnt lgkmcnt(0)
	v_fmac_f32_e32 v26, v30, v22
	v_fmac_f32_e32 v26, v27, v23
	v_cmp_gt_u32_e32 vcc, 2, v39
	s_and_saveexec_b64 s[2:3], vcc
	s_cbranch_execz .LBB889_21
; %bb.20:
	s_mov_b32 s1, 0
	s_lshl_b64 s[4:5], s[0:1], 2
	s_add_u32 s12, s12, s4
	s_mov_b32 s21, s1
	s_addc_u32 s13, s13, s5
	s_lshl_b64 s[8:9], s[20:21], 2
	s_add_u32 s12, s12, s8
	s_addc_u32 s13, s13, s9
	s_add_u32 s1, s14, s4
	s_addc_u32 s5, s15, s5
	v_or_b32_e32 v22, s38, v39
	s_add_u32 s4, s1, s8
	v_mul_lo_u32 v22, s33, v22
	v_mov_b32_e32 v23, 0
	s_addc_u32 s5, s5, s9
	v_lshlrev_b64 v[22:23], 2, v[22:23]
	v_lshl_add_u64 v[28:29], s[12:13], 0, v[22:23]
	v_lshl_add_u64 v[22:23], s[4:5], 0, v[22:23]
	global_store_dword v[22:23], v25, off
	global_store_dword v[28:29], v26, off
.LBB889_21:
	s_or_b64 exec, exec, s[2:3]
	v_mov_b32_e32 v22, 0
	v_mov_b32_e32 v23, 0
	s_and_saveexec_b64 s[2:3], s[6:7]
	s_cbranch_execz .LBB889_23
; %bb.22:
	v_add_f32_e32 v22, 0x358637bd, v26
	v_div_scale_f32 v23, s[4:5], v22, v22, 1.0
	v_rcp_f32_e32 v26, v23
	v_div_scale_f32 v27, vcc, 1.0, v22, 1.0
	v_sub_f32_e32 v24, v24, v25
	v_fma_f32 v28, -v23, v26, 1.0
	v_fmac_f32_e32 v26, v28, v26
	v_mul_f32_e32 v28, v27, v26
	v_fma_f32 v29, -v23, v28, v27
	v_mul_f32_e32 v24, 0x3fb8aa3b, v24
	v_fmac_f32_e32 v28, v29, v26
	v_exp_f32_e32 v24, v24
	v_fma_f32 v23, -v23, v28, v27
	v_div_fmas_f32 v23, v23, v26, v28
	v_div_fixup_f32 v22, v23, v22, 1.0
	v_mul_f32_e32 v22, v24, v22
	v_pk_mul_f32 v[20:21], v[20:21], v[22:23] op_sel_hi:[1,0]
	v_pk_mul_f32 v[18:19], v[18:19], v[22:23] op_sel_hi:[1,0]
	v_cvt_f16_f32_e32 v22, v20
	v_cvt_f16_f32_e32 v18, v18
	;; [unrolled: 1-line block ×4, first 2 shown]
	s_waitcnt vmcnt(2)
	v_cvt_pk_f32_fp8_e32 v[20:21], v14
	v_cvt_pk_f32_fp8_e32 v[24:25], v15
	v_pack_b32_f16 v18, v18, v19
	v_pack_b32_f16 v19, v22, v23
	v_cvt_pk_f32_fp8_sdwa v[22:23], v14 src0_sel:WORD_1
	v_cvt_pkrtz_f16_f32 v14, v20, v21
	v_cvt_pk_f32_fp8_sdwa v[20:21], v15 src0_sel:WORD_1
	s_load_dword s4, s[10:11], 0x0
	v_cvt_pkrtz_f16_f32 v15, v22, v23
	v_cvt_pkrtz_f16_f32 v22, v24, v25
	v_cvt_pkrtz_f16_f32 v23, v20, v21
	v_mfma_f32_4x4x4_16b_f16 a[0:3], v[18:19], v[14:15], 0 cbsz:4
	v_cvt_pk_f32_fp8_e32 v[14:15], v16
	v_cvt_pk_f32_fp8_sdwa v[20:21], v16 src0_sel:WORD_1
	v_mfma_f32_4x4x4_16b_f16 a[0:3], v[18:19], v[22:23], a[0:3] cbsz:4 abid:1
	v_cvt_pk_f32_fp8_e32 v[22:23], v17
	v_cvt_pk_f32_fp8_sdwa v[16:17], v17 src0_sel:WORD_1
	v_cvt_pkrtz_f16_f32 v14, v14, v15
	v_cvt_pkrtz_f16_f32 v15, v20, v21
	;; [unrolled: 1-line block ×4, first 2 shown]
	v_mfma_f32_4x4x4_16b_f16 a[0:3], v[18:19], v[14:15], a[0:3] cbsz:4 abid:2
	v_cvt_pk_f32_fp8_e32 v[14:15], v10
	v_cvt_pk_f32_fp8_sdwa v[16:17], v10 src0_sel:WORD_1
	v_mfma_f32_4x4x4_16b_f16 a[0:3], v[18:19], v[20:21], a[0:3] cbsz:4 abid:3
	v_cvt_pk_f32_fp8_e32 v[20:21], v11
	v_cvt_pkrtz_f16_f32 v10, v14, v15
	v_cvt_pk_f32_fp8_sdwa v[14:15], v11 src0_sel:WORD_1
	v_cvt_pkrtz_f16_f32 v11, v16, v17
	v_cvt_pkrtz_f16_f32 v16, v20, v21
	s_mov_b32 s1, 0x5040100
	v_mfma_f32_4x4x4_16b_f16 a[0:3], v[18:19], v[10:11], a[0:3] cbsz:4 abid:4
	v_cvt_pkrtz_f16_f32 v17, v14, v15
	v_cvt_pk_f32_fp8_e32 v[10:11], v12
	v_cvt_pk_f32_fp8_sdwa v[14:15], v12 src0_sel:WORD_1
	v_mfma_f32_4x4x4_16b_f16 a[0:3], v[18:19], v[16:17], a[0:3] cbsz:4 abid:5
	v_cvt_pk_f32_fp8_e32 v[16:17], v13
	v_cvt_pk_f32_fp8_sdwa v[12:13], v13 src0_sel:WORD_1
	v_cvt_pkrtz_f16_f32 v10, v10, v11
	v_cvt_pkrtz_f16_f32 v11, v14, v15
	;; [unrolled: 1-line block ×4, first 2 shown]
	v_mfma_f32_4x4x4_16b_f16 a[0:3], v[18:19], v[10:11], a[0:3] cbsz:4 abid:6
	s_waitcnt vmcnt(0)
	v_cvt_pk_f32_fp8_e32 v[10:11], v6
	v_cvt_pk_f32_fp8_sdwa v[12:13], v6 src0_sel:WORD_1
	v_mfma_f32_4x4x4_16b_f16 a[0:3], v[18:19], v[14:15], a[0:3] cbsz:4 abid:7
	v_cvt_pk_f32_fp8_e32 v[14:15], v7
	v_cvt_pkrtz_f16_f32 v6, v10, v11
	v_cvt_pk_f32_fp8_sdwa v[10:11], v7 src0_sel:WORD_1
	v_cvt_pkrtz_f16_f32 v7, v12, v13
	v_cvt_pkrtz_f16_f32 v12, v14, v15
	v_cvt_pkrtz_f16_f32 v13, v10, v11
	v_mfma_f32_4x4x4_16b_f16 a[0:3], v[18:19], v[6:7], a[0:3] cbsz:4 abid:8
	v_cvt_pk_f32_fp8_e32 v[6:7], v8
	v_cvt_pk_f32_fp8_sdwa v[10:11], v8 src0_sel:WORD_1
	v_mfma_f32_4x4x4_16b_f16 a[0:3], v[18:19], v[12:13], a[0:3] cbsz:4 abid:9
	v_cvt_pk_f32_fp8_e32 v[12:13], v9
	v_cvt_pk_f32_fp8_sdwa v[8:9], v9 src0_sel:WORD_1
	v_cvt_pkrtz_f16_f32 v6, v6, v7
	v_cvt_pkrtz_f16_f32 v7, v10, v11
	;; [unrolled: 1-line block ×4, first 2 shown]
	v_mfma_f32_4x4x4_16b_f16 a[0:3], v[18:19], v[6:7], a[0:3] cbsz:4 abid:10
	v_cvt_pk_f32_fp8_e32 v[6:7], v2
	v_cvt_pk_f32_fp8_sdwa v[8:9], v2 src0_sel:WORD_1
	v_mfma_f32_4x4x4_16b_f16 a[0:3], v[18:19], v[10:11], a[0:3] cbsz:4 abid:11
	v_cvt_pk_f32_fp8_e32 v[10:11], v3
	v_cvt_pkrtz_f16_f32 v2, v6, v7
	v_cvt_pk_f32_fp8_sdwa v[6:7], v3 src0_sel:WORD_1
	v_cvt_pkrtz_f16_f32 v3, v8, v9
	v_cvt_pkrtz_f16_f32 v8, v10, v11
	;; [unrolled: 1-line block ×3, first 2 shown]
	v_mfma_f32_4x4x4_16b_f16 a[0:3], v[18:19], v[2:3], a[0:3] cbsz:4 abid:12
	v_cvt_pk_f32_fp8_e32 v[2:3], v4
	v_cvt_pk_f32_fp8_sdwa v[6:7], v4 src0_sel:WORD_1
	v_mfma_f32_4x4x4_16b_f16 a[0:3], v[18:19], v[8:9], a[0:3] cbsz:4 abid:13
	v_cvt_pk_f32_fp8_e32 v[8:9], v5
	v_cvt_pk_f32_fp8_sdwa v[4:5], v5 src0_sel:WORD_1
	v_cvt_pkrtz_f16_f32 v2, v2, v3
	v_cvt_pkrtz_f16_f32 v3, v6, v7
	;; [unrolled: 1-line block ×4, first 2 shown]
	v_mfma_f32_4x4x4_16b_f16 a[0:3], v[18:19], v[2:3], a[0:3] cbsz:4 abid:14
	s_nop 1
	v_mfma_f32_4x4x4_16b_f16 a[0:3], v[18:19], v[6:7], a[0:3] cbsz:4 abid:15
	s_nop 4
	v_accvgpr_read_b32 v5, a1
	v_accvgpr_read_b32 v3, a3
	;; [unrolled: 1-line block ×4, first 2 shown]
	s_waitcnt lgkmcnt(0)
	v_pk_mul_f32 v[2:3], v[2:3], s[4:5] op_sel_hi:[1,0]
	v_pk_mul_f32 v[4:5], v[4:5], s[4:5] op_sel_hi:[1,0]
	v_cvt_f16_f32_e32 v2, v2
	v_cvt_f16_f32_e32 v4, v4
	v_cvt_f16_f32_e32 v5, v5
	v_cvt_f16_f32_e32 v3, v3
	v_perm_b32 v22, v5, v4, s1
	v_perm_b32 v23, v3, v2, s1
.LBB889_23:
	s_or_b64 exec, exec, s[2:3]
	v_lshlrev_b32_e32 v1, 3, v1
	v_mad_u32_u24 v1, v38, 40, v1
	v_cmp_gt_u32_e32 vcc, 64, v0
	ds_write_b64 v1, v[22:23]
	s_waitcnt lgkmcnt(0)
	s_barrier
	s_and_saveexec_b64 s[2:3], vcc
	s_cbranch_execz .LBB889_25
; %bb.24:
	s_mov_b32 s1, 0
	s_lshl_b32 s0, s0, 6
	v_mul_u32_u24_e32 v1, 40, v38
	s_lshl_b64 s[2:3], s[0:1], 1
	s_waitcnt vmcnt(1)
	ds_read2_b64 v[2:5], v1 offset1:1
	s_waitcnt vmcnt(0)
	ds_read2_b64 v[6:9], v1 offset0:2 offset1:3
	s_add_u32 s2, s22, s2
	s_addc_u32 s3, s23, s3
	s_lshl_b32 s0, s20, 6
	s_lshl_b64 s[0:1], s[0:1], 1
	s_add_u32 s0, s2, s0
	s_addc_u32 s1, s3, s1
	s_lshl_b32 s2, s33, 6
	s_waitcnt lgkmcnt(1)
	v_pk_add_f16 v1, v2, 0
	s_mul_i32 s3, s2, s38
	v_pk_add_f16 v1, v1, v4
	v_or_b32_e32 v2, s3, v0
	v_mov_b32_e32 v3, 0
	s_add_i32 s3, s3, s2
	s_waitcnt lgkmcnt(0)
	v_pk_add_f16 v1, v1, v6
	v_lshl_add_u64 v[4:5], v[2:3], 1, s[0:1]
	v_or_b32_e32 v2, s3, v0
	v_pk_add_f16 v6, v1, v8
	v_lshl_add_u64 v[0:1], v[2:3], 1, s[0:1]
	global_store_short v[4:5], v6, off
	global_store_short_d16_hi v[0:1], v6, off
.LBB889_25:
	s_endpgm
	.section	.rodata,"a",@progbits
	.p2align	6, 0x0
	.amdhsa_kernel _Z38paged_attention_ll4mi_QKV_mfma4_kernelIDF16_hLN4vllm18Fp8KVCacheDataTypeE1EDF16_Li32ELi64ELi256ELb1ELi2EEvPKT_PKT0_S7_ifPKiS9_S9_iPKfiiiPfSC_PS2_PT2_iSB_SB_
		.amdhsa_group_segment_fixed_size 2720
		.amdhsa_private_segment_fixed_size 0
		.amdhsa_kernarg_size 400
		.amdhsa_user_sgpr_count 2
		.amdhsa_user_sgpr_dispatch_ptr 0
		.amdhsa_user_sgpr_queue_ptr 0
		.amdhsa_user_sgpr_kernarg_segment_ptr 1
		.amdhsa_user_sgpr_dispatch_id 0
		.amdhsa_user_sgpr_kernarg_preload_length 0
		.amdhsa_user_sgpr_kernarg_preload_offset 0
		.amdhsa_user_sgpr_private_segment_size 0
		.amdhsa_uses_dynamic_stack 0
		.amdhsa_enable_private_segment 0
		.amdhsa_system_sgpr_workgroup_id_x 1
		.amdhsa_system_sgpr_workgroup_id_y 1
		.amdhsa_system_sgpr_workgroup_id_z 1
		.amdhsa_system_sgpr_workgroup_info 0
		.amdhsa_system_vgpr_workitem_id 0
		.amdhsa_next_free_vgpr 52
		.amdhsa_next_free_sgpr 44
		.amdhsa_accum_offset 48
		.amdhsa_reserve_vcc 1
		.amdhsa_float_round_mode_32 0
		.amdhsa_float_round_mode_16_64 0
		.amdhsa_float_denorm_mode_32 3
		.amdhsa_float_denorm_mode_16_64 3
		.amdhsa_dx10_clamp 1
		.amdhsa_ieee_mode 1
		.amdhsa_fp16_overflow 0
		.amdhsa_tg_split 0
		.amdhsa_exception_fp_ieee_invalid_op 0
		.amdhsa_exception_fp_denorm_src 0
		.amdhsa_exception_fp_ieee_div_zero 0
		.amdhsa_exception_fp_ieee_overflow 0
		.amdhsa_exception_fp_ieee_underflow 0
		.amdhsa_exception_fp_ieee_inexact 0
		.amdhsa_exception_int_div_zero 0
	.end_amdhsa_kernel
	.section	.text._Z38paged_attention_ll4mi_QKV_mfma4_kernelIDF16_hLN4vllm18Fp8KVCacheDataTypeE1EDF16_Li32ELi64ELi256ELb1ELi2EEvPKT_PKT0_S7_ifPKiS9_S9_iPKfiiiPfSC_PS2_PT2_iSB_SB_,"axG",@progbits,_Z38paged_attention_ll4mi_QKV_mfma4_kernelIDF16_hLN4vllm18Fp8KVCacheDataTypeE1EDF16_Li32ELi64ELi256ELb1ELi2EEvPKT_PKT0_S7_ifPKiS9_S9_iPKfiiiPfSC_PS2_PT2_iSB_SB_,comdat
.Lfunc_end889:
	.size	_Z38paged_attention_ll4mi_QKV_mfma4_kernelIDF16_hLN4vllm18Fp8KVCacheDataTypeE1EDF16_Li32ELi64ELi256ELb1ELi2EEvPKT_PKT0_S7_ifPKiS9_S9_iPKfiiiPfSC_PS2_PT2_iSB_SB_, .Lfunc_end889-_Z38paged_attention_ll4mi_QKV_mfma4_kernelIDF16_hLN4vllm18Fp8KVCacheDataTypeE1EDF16_Li32ELi64ELi256ELb1ELi2EEvPKT_PKT0_S7_ifPKiS9_S9_iPKfiiiPfSC_PS2_PT2_iSB_SB_
                                        ; -- End function
	.section	.AMDGPU.csdata,"",@progbits
; Kernel info:
; codeLenInByte = 3852
; NumSgprs: 50
; NumVgprs: 48
; NumAgprs: 4
; TotalNumVgprs: 52
; ScratchSize: 0
; MemoryBound: 0
; FloatMode: 240
; IeeeMode: 1
; LDSByteSize: 2720 bytes/workgroup (compile time only)
; SGPRBlocks: 6
; VGPRBlocks: 6
; NumSGPRsForWavesPerEU: 50
; NumVGPRsForWavesPerEU: 52
; AccumOffset: 48
; Occupancy: 8
; WaveLimiterHint : 1
; COMPUTE_PGM_RSRC2:SCRATCH_EN: 0
; COMPUTE_PGM_RSRC2:USER_SGPR: 2
; COMPUTE_PGM_RSRC2:TRAP_HANDLER: 0
; COMPUTE_PGM_RSRC2:TGID_X_EN: 1
; COMPUTE_PGM_RSRC2:TGID_Y_EN: 1
; COMPUTE_PGM_RSRC2:TGID_Z_EN: 1
; COMPUTE_PGM_RSRC2:TIDIG_COMP_CNT: 0
; COMPUTE_PGM_RSRC3_GFX90A:ACCUM_OFFSET: 11
; COMPUTE_PGM_RSRC3_GFX90A:TG_SPLIT: 0
	.section	.text._Z38paged_attention_ll4mi_QKV_mfma4_kernelIDF16_hLN4vllm18Fp8KVCacheDataTypeE1EDF16_Li32ELi64ELi256ELb1ELi3EEvPKT_PKT0_S7_ifPKiS9_S9_iPKfiiiPfSC_PS2_PT2_iSB_SB_,"axG",@progbits,_Z38paged_attention_ll4mi_QKV_mfma4_kernelIDF16_hLN4vllm18Fp8KVCacheDataTypeE1EDF16_Li32ELi64ELi256ELb1ELi3EEvPKT_PKT0_S7_ifPKiS9_S9_iPKfiiiPfSC_PS2_PT2_iSB_SB_,comdat
	.protected	_Z38paged_attention_ll4mi_QKV_mfma4_kernelIDF16_hLN4vllm18Fp8KVCacheDataTypeE1EDF16_Li32ELi64ELi256ELb1ELi3EEvPKT_PKT0_S7_ifPKiS9_S9_iPKfiiiPfSC_PS2_PT2_iSB_SB_ ; -- Begin function _Z38paged_attention_ll4mi_QKV_mfma4_kernelIDF16_hLN4vllm18Fp8KVCacheDataTypeE1EDF16_Li32ELi64ELi256ELb1ELi3EEvPKT_PKT0_S7_ifPKiS9_S9_iPKfiiiPfSC_PS2_PT2_iSB_SB_
	.globl	_Z38paged_attention_ll4mi_QKV_mfma4_kernelIDF16_hLN4vllm18Fp8KVCacheDataTypeE1EDF16_Li32ELi64ELi256ELb1ELi3EEvPKT_PKT0_S7_ifPKiS9_S9_iPKfiiiPfSC_PS2_PT2_iSB_SB_
	.p2align	8
	.type	_Z38paged_attention_ll4mi_QKV_mfma4_kernelIDF16_hLN4vllm18Fp8KVCacheDataTypeE1EDF16_Li32ELi64ELi256ELb1ELi3EEvPKT_PKT0_S7_ifPKiS9_S9_iPKfiiiPfSC_PS2_PT2_iSB_SB_,@function
_Z38paged_attention_ll4mi_QKV_mfma4_kernelIDF16_hLN4vllm18Fp8KVCacheDataTypeE1EDF16_Li32ELi64ELi256ELb1ELi3EEvPKT_PKT0_S7_ifPKiS9_S9_iPKfiiiPfSC_PS2_PT2_iSB_SB_: ; @_Z38paged_attention_ll4mi_QKV_mfma4_kernelIDF16_hLN4vllm18Fp8KVCacheDataTypeE1EDF16_Li32ELi64ELi256ELb1ELi3EEvPKT_PKT0_S7_ifPKiS9_S9_iPKfiiiPfSC_PS2_PT2_iSB_SB_
; %bb.0:
	s_load_dwordx2 s[16:17], s[0:1], 0x30
	s_mov_b32 s20, s3
	s_mov_b64 s[6:7], 0
	s_waitcnt lgkmcnt(0)
	s_cmp_lg_u64 s[16:17], 0
	s_cselect_b64 s[18:19], -1, 0
	s_and_b64 vcc, exec, s[18:19]
	s_cbranch_vccz .LBB890_10
; %bb.1:
	s_add_i32 s8, s2, 1
	s_mov_b32 s9, 0
	s_lshl_b64 s[10:11], s[8:9], 2
	s_add_u32 s10, s16, s10
	s_mov_b32 s3, s9
	s_addc_u32 s11, s17, s11
	s_lshl_b64 s[8:9], s[2:3], 2
	s_add_u32 s8, s16, s8
	s_addc_u32 s9, s17, s9
	s_load_dword s5, s[10:11], 0x0
	s_load_dword s12, s[8:9], 0x0
	s_waitcnt lgkmcnt(0)
	s_sub_i32 s5, s5, s12
	s_cmp_eq_u32 s5, 1
	s_cselect_b64 s[8:9], -1, 0
	s_andn2_b64 vcc, exec, s[6:7]
	s_cbranch_vccnz .LBB890_3
.LBB890_2:
	s_mov_b32 s3, 0
	s_mov_b64 s[8:9], -1
.LBB890_3:
	s_andn2_b64 vcc, exec, s[8:9]
	s_cbranch_vccnz .LBB890_25
; %bb.4:
	s_load_dword s5, s[0:1], 0x9c
	s_load_dwordx2 s[6:7], s[0:1], 0x28
	s_add_u32 s24, s0, 0x90
	s_addc_u32 s25, s1, 0
	s_lshl_b64 s[28:29], s[2:3], 2
	s_waitcnt lgkmcnt(0)
	s_and_b32 s5, s5, 0xffff
	s_add_u32 s6, s6, s28
	s_addc_u32 s7, s7, s29
	s_load_dword s3, s[6:7], 0x0
	s_mul_i32 s5, s20, s5
	s_waitcnt lgkmcnt(0)
	s_cmp_ge_i32 s5, s3
	s_cbranch_scc1 .LBB890_25
; %bb.5:
	v_and_b32_e32 v2, 0xc0, v0
	v_add_u32_e32 v4, s5, v2
	v_lshrrev_b32_e32 v1, 6, v0
	v_cmp_gt_i32_e64 s[6:7], s3, v4
	v_cmp_le_i32_e32 vcc, s3, v4
                                        ; implicit-def: $sgpr30
                                        ; implicit-def: $sgpr21
	s_and_saveexec_b64 s[8:9], vcc
	s_xor_b64 s[8:9], exec, s[8:9]
	s_cbranch_execz .LBB890_7
; %bb.6:
	v_mul_u32_u24_e32 v2, 20, v1
	v_or_b32_e32 v2, 0xa00, v2
	v_mov_b32_e32 v3, 0xa50
	v_mov_b32_e32 v4, 0xff7fffff
	v_mad_u32_u24 v3, v1, 20, v3
	ds_write2_b32 v2, v4, v4 offset1:1
	v_mov_b32_e32 v2, 0
	ds_write2_b32 v3, v2, v2 offset1:1
	v_mov_b32_e32 v3, 0xa08
	s_mov_b32 s21, 0xff7fffff
	s_mov_b32 s30, 0
	v_mad_u32_u24 v3, v1, 20, v3
	v_mov_b32_e32 v5, 0xa58
	v_mad_u32_u24 v5, v1, 20, v5
	ds_write2_b32 v3, v4, v4 offset1:1
	ds_write2_b32 v5, v2, v2 offset1:1
                                        ; implicit-def: $vgpr4
.LBB890_7:
	s_or_saveexec_b64 s[26:27], s[8:9]
	s_load_dwordx2 s[22:23], s[0:1], 0x68
	s_load_dwordx4 s[12:15], s[0:1], 0x58
	s_load_dword s33, s[24:25], 0x4
	s_load_dwordx4 s[8:11], s[0:1], 0x80
	v_and_b32_e32 v32, 63, v0
	v_and_b32_e32 v33, 3, v0
	s_mul_i32 s38, s4, 3
	v_mov_b32_e32 v21, s30
	v_mov_b32_e32 v24, s21
	;; [unrolled: 1-line block ×5, first 2 shown]
                                        ; implicit-def: $vgpr6_vgpr7
                                        ; implicit-def: $vgpr2_vgpr3
                                        ; implicit-def: $vgpr14_vgpr15
                                        ; implicit-def: $vgpr10_vgpr11
	s_xor_b64 exec, exec, s[26:27]
	s_cbranch_execz .LBB890_19
; %bb.8:
	s_load_dwordx2 s[30:31], s[0:1], 0x20
	s_load_dword s21, s[0:1], 0x38
	s_add_i32 s34, s3, 31
	s_ashr_i32 s35, s34, 31
	s_lshr_b32 s35, s35, 27
	v_add_u32_e32 v34, s5, v0
	s_add_i32 s34, s34, s35
	v_ashrrev_i32_e32 v2, 31, v34
	s_ashr_i32 s34, s34, 5
	v_lshrrev_b32_e32 v2, 27, v2
	s_add_i32 s36, s34, -1
	s_waitcnt lgkmcnt(0)
	s_mul_i32 s34, s2, s21
	s_mov_b32 s35, 0
	v_add_u32_e32 v2, v34, v2
	s_lshl_b64 s[34:35], s[34:35], 2
	v_ashrrev_i32_e32 v2, 5, v2
	v_mov_b32_e32 v3, s36
	v_cmp_gt_i32_e32 vcc, s3, v34
	s_add_u32 s30, s30, s34
	s_addc_u32 s31, s31, s35
	v_cndmask_b32_e32 v2, v3, v2, vcc
	v_ashrrev_i32_e32 v3, 31, v2
	v_lshl_add_u64 v[6:7], v[2:3], 2, s[30:31]
	v_ashrrev_i32_e32 v2, 31, v4
	v_lshrrev_b32_e32 v2, 27, v2
	v_add_u32_e32 v2, v4, v2
	v_ashrrev_i32_e32 v4, 5, v2
	v_min_i32_e32 v2, s36, v4
	v_ashrrev_i32_e32 v3, 31, v2
	v_lshl_add_u64 v[8:9], v[2:3], 2, s[30:31]
	v_add_u32_e32 v2, 1, v4
	v_min_i32_e32 v2, s36, v2
	v_ashrrev_i32_e32 v3, 31, v2
	v_lshl_add_u64 v[10:11], v[2:3], 2, s[30:31]
	global_load_dword v2, v[6:7], off
	global_load_dword v4, v[8:9], off
	;; [unrolled: 1-line block ×3, first 2 shown]
	s_load_dwordx2 s[30:31], s[0:1], 0x8
	s_andn2_b64 vcc, exec, s[18:19]
	s_cbranch_vccnz .LBB890_11
; %bb.9:
	s_add_u32 s16, s16, s28
	s_addc_u32 s17, s17, s29
	s_load_dword s5, s[16:17], 0x0
	s_branch .LBB890_12
.LBB890_10:
	s_mov_b64 s[8:9], 0
	s_branch .LBB890_2
.LBB890_11:
	s_mov_b32 s5, s2
.LBB890_12:
	s_load_dwordx2 s[28:29], s[0:1], 0x10
	s_load_dwordx4 s[16:19], s[0:1], 0x48
	v_cmp_ne_u32_e32 vcc, 3, v33
	s_mov_b32 s37, 0
	v_mov_b32_e32 v3, 0
	v_mov_b32_e32 v10, 0
	;; [unrolled: 1-line block ×5, first 2 shown]
	s_and_saveexec_b64 s[34:35], vcc
	s_cbranch_execz .LBB890_14
; %bb.13:
	s_load_dwordx2 s[40:41], s[0:1], 0x0
	s_waitcnt lgkmcnt(0)
	s_ashr_i32 s19, s16, 31
	s_mul_hi_u32 s21, s5, s16
	s_mul_i32 s19, s5, s19
	s_add_i32 s43, s21, s19
	s_mul_i32 s42, s5, s16
	s_lshl_b64 s[42:43], s[42:43], 1
	s_add_u32 s5, s40, s42
	s_mul_i32 s36, s4, 0xc0
	s_addc_u32 s16, s41, s43
	s_lshl_b64 s[36:37], s[36:37], 1
	s_add_u32 s36, s5, s36
	v_lshlrev_b32_e32 v5, 3, v33
	v_lshrrev_b32_e32 v6, 2, v32
	s_addc_u32 s37, s16, s37
	v_add_lshl_u32 v5, v5, v6, 4
	global_load_dwordx4 v[10:13], v5, s[36:37]
.LBB890_14:
	s_or_b64 exec, exec, s[34:35]
	s_waitcnt lgkmcnt(0)
	s_mul_i32 s16, s4, s18
	s_add_u32 s4, s16, s30
	s_addc_u32 s5, 0, s31
	v_mov_b64_e32 v[6:7], s[4:5]
	s_waitcnt vmcnt(2)
	v_mad_i64_i32 v[6:7], s[4:5], v2, s17, v[6:7]
	v_lshlrev_b32_e32 v2, 4, v0
	v_and_b32_e32 v2, 0x1f0, v2
	v_lshl_add_u64 v[6:7], v[6:7], 0, v[2:3]
	global_load_dwordx4 v[26:29], v[6:7], off
	global_load_dwordx4 v[22:25], v[6:7], off offset:512
	global_load_dwordx4 v[18:21], v[6:7], off offset:1024
	;; [unrolled: 1-line block ×3, first 2 shown]
	v_mov_b32_e32 v31, 1.0
	v_mov_b32_e32 v30, 0
	s_and_saveexec_b64 s[4:5], vcc
	s_cbranch_execz .LBB890_16
; %bb.15:
	s_load_dwordx2 s[18:19], s[0:1], 0x40
	v_add_u32_e32 v30, s38, v33
	v_mov_b32_e32 v31, 0
	s_waitcnt lgkmcnt(0)
	v_lshl_add_u64 v[6:7], v[30:31], 2, s[18:19]
	global_load_dword v30, v[6:7], off
.LBB890_16:
	s_or_b64 exec, exec, s[4:5]
	s_load_dword s4, s[0:1], 0x1c
	s_add_u32 s0, s28, s16
	s_addc_u32 s1, s29, 0
	v_lshlrev_b32_e32 v2, 5, v32
	v_lshl_add_u64 v[36:37], s[0:1], 0, v[2:3]
	s_waitcnt vmcnt(5)
	v_mul_hi_i32 v2, v4, s17
	v_ashrrev_i32_e32 v2, 31, v2
	v_lshrrev_b32_e32 v38, 29, v2
	v_mov_b32_e32 v39, 0
	v_mad_i64_i32 v[2:3], s[0:1], v4, s17, v[38:39]
	s_waitcnt vmcnt(4)
	v_mul_hi_i32 v38, v35, s17
	v_and_b32_e32 v2, -8, v2
	v_ashrrev_i32_e32 v38, 31, v38
	v_lshl_add_u64 v[40:41], v[36:37], 0, v[2:3]
	v_lshrrev_b32_e32 v38, 29, v38
	global_load_dwordx4 v[2:5], v[40:41], off offset:16
	global_load_dwordx4 v[6:9], v[40:41], off
	v_mad_i64_i32 v[38:39], s[0:1], v35, s17, v[38:39]
	s_waitcnt vmcnt(5)
	v_cvt_pk_f32_fp8_e32 v[40:41], v26
	v_and_b32_e32 v38, -8, v38
	v_lshl_add_u64 v[36:37], v[36:37], 0, v[38:39]
	v_cvt_pk_f32_fp8_sdwa v[38:39], v26 src0_sel:WORD_1
	v_cvt_pk_f32_fp8_e32 v[42:43], v27
	v_cvt_pkrtz_f16_f32 v26, v40, v41
	v_cvt_pk_f32_fp8_sdwa v[40:41], v27 src0_sel:WORD_1
	v_cvt_pkrtz_f16_f32 v27, v38, v39
	v_cvt_pkrtz_f16_f32 v38, v42, v43
	s_load_dword s0, s[8:9], 0x0
	v_mfma_f32_4x4x4_16b_f16 a[0:3], v[10:11], v[26:27], 0 cbsz:4
	v_cvt_pkrtz_f16_f32 v39, v40, v41
	v_cvt_pk_f32_fp8_e32 v[26:27], v28
	v_cvt_pk_f32_fp8_e32 v[40:41], v29
	v_mfma_f32_4x4x4_16b_f16 a[0:3], v[12:13], v[38:39], a[0:3] cbsz:4
	v_cvt_pk_f32_fp8_sdwa v[38:39], v28 src0_sel:WORD_1
	v_cvt_pk_f32_fp8_sdwa v[28:29], v29 src0_sel:WORD_1
	v_cvt_pkrtz_f16_f32 v26, v26, v27
	v_cmp_eq_u32_e32 vcc, 0, v33
	v_cvt_pkrtz_f16_f32 v27, v38, v39
	v_cvt_pkrtz_f16_f32 v39, v28, v29
	s_waitcnt vmcnt(4)
	v_cvt_pk_f32_fp8_sdwa v[28:29], v22 src0_sel:WORD_1
	v_mfma_f32_4x4x4_16b_f16 a[0:3], v[10:11], v[26:27], a[0:3] cbsz:4 abid:1
	v_cvt_pk_f32_fp8_e32 v[26:27], v22
	v_cvt_pkrtz_f16_f32 v38, v40, v41
	v_cvt_pkrtz_f16_f32 v22, v26, v27
	v_cvt_pk_f32_fp8_sdwa v[26:27], v23 src0_sel:WORD_1
	v_mfma_f32_4x4x4_16b_f16 a[0:3], v[12:13], v[38:39], a[0:3] cbsz:4 abid:1
	v_cvt_pk_f32_fp8_e32 v[38:39], v23
	v_cvt_pkrtz_f16_f32 v23, v28, v29
	v_cvt_pkrtz_f16_f32 v29, v26, v27
	;; [unrolled: 5-line block ×3, first 2 shown]
	s_nop 0
	v_mfma_f32_4x4x4_16b_f16 a[0:3], v[12:13], v[28:29], a[0:3] cbsz:4 abid:2
	v_cvt_pk_f32_fp8_e32 v[28:29], v25
	v_cvt_pk_f32_fp8_sdwa v[24:25], v25 src0_sel:WORD_1
	v_cvt_pkrtz_f16_f32 v23, v26, v27
	v_cvt_pkrtz_f16_f32 v26, v28, v29
	s_nop 0
	v_mfma_f32_4x4x4_16b_f16 a[0:3], v[10:11], v[22:23], a[0:3] cbsz:4 abid:3
	s_waitcnt vmcnt(3)
	v_cvt_pk_f32_fp8_e32 v[22:23], v18
	v_cvt_pkrtz_f16_f32 v27, v24, v25
	v_cvt_pk_f32_fp8_sdwa v[24:25], v18 src0_sel:WORD_1
	v_cvt_pkrtz_f16_f32 v18, v22, v23
	v_cvt_pk_f32_fp8_sdwa v[22:23], v19 src0_sel:WORD_1
	v_mfma_f32_4x4x4_16b_f16 a[0:3], v[12:13], v[26:27], a[0:3] cbsz:4 abid:3
	v_cvt_pk_f32_fp8_e32 v[26:27], v19
	v_cvt_pkrtz_f16_f32 v19, v24, v25
	v_cvt_pkrtz_f16_f32 v25, v22, v23
	v_cvt_pk_f32_fp8_sdwa v[22:23], v20 src0_sel:WORD_1
	v_mfma_f32_4x4x4_16b_f16 a[0:3], v[10:11], v[18:19], a[0:3] cbsz:4 abid:4
	v_cvt_pk_f32_fp8_e32 v[18:19], v20
	v_cvt_pkrtz_f16_f32 v24, v26, v27
	v_cvt_pkrtz_f16_f32 v18, v18, v19
	s_nop 0
	v_mfma_f32_4x4x4_16b_f16 a[0:3], v[12:13], v[24:25], a[0:3] cbsz:4 abid:4
	v_cvt_pk_f32_fp8_e32 v[24:25], v21
	v_cvt_pk_f32_fp8_sdwa v[20:21], v21 src0_sel:WORD_1
	v_cvt_pkrtz_f16_f32 v19, v22, v23
	v_cvt_pkrtz_f16_f32 v22, v24, v25
	s_nop 0
	v_mfma_f32_4x4x4_16b_f16 a[0:3], v[10:11], v[18:19], a[0:3] cbsz:4 abid:5
	s_waitcnt vmcnt(2)
	v_cvt_pk_f32_fp8_e32 v[18:19], v14
	v_cvt_pkrtz_f16_f32 v23, v20, v21
	v_cvt_pk_f32_fp8_sdwa v[20:21], v14 src0_sel:WORD_1
	v_mov_b32_e32 v25, 0xff7fffff
	v_cvt_pkrtz_f16_f32 v14, v18, v19
	v_cvt_pk_f32_fp8_sdwa v[18:19], v15 src0_sel:WORD_1
	v_mfma_f32_4x4x4_16b_f16 a[0:3], v[12:13], v[22:23], a[0:3] cbsz:4 abid:5
	v_cvt_pk_f32_fp8_e32 v[22:23], v15
	v_cvt_pkrtz_f16_f32 v15, v20, v21
	v_cvt_pkrtz_f16_f32 v21, v18, v19
	v_cvt_pk_f32_fp8_sdwa v[18:19], v16 src0_sel:WORD_1
	v_mfma_f32_4x4x4_16b_f16 a[0:3], v[10:11], v[14:15], a[0:3] cbsz:4 abid:6
	v_cvt_pk_f32_fp8_e32 v[14:15], v16
	v_cvt_pkrtz_f16_f32 v20, v22, v23
	v_cvt_pkrtz_f16_f32 v14, v14, v15
	s_nop 0
	v_mfma_f32_4x4x4_16b_f16 a[0:3], v[12:13], v[20:21], a[0:3] cbsz:4 abid:6
	v_cvt_pk_f32_fp8_e32 v[20:21], v17
	v_cvt_pk_f32_fp8_sdwa v[16:17], v17 src0_sel:WORD_1
	v_cvt_pkrtz_f16_f32 v15, v18, v19
	v_cvt_pkrtz_f16_f32 v18, v20, v21
	s_nop 0
	v_mfma_f32_4x4x4_16b_f16 a[0:3], v[10:11], v[14:15], a[0:3] cbsz:4 abid:7
	v_cvt_pkrtz_f16_f32 v19, v16, v17
	s_waitcnt lgkmcnt(0)
	v_mov_b32_e32 v10, s4
	v_mfma_f32_4x4x4_16b_f16 a[0:3], v[12:13], v[18:19], a[0:3] cbsz:4 abid:7
	v_mul_f32_e32 v12, s0, v10
	s_nop 3
	v_accvgpr_read_b32 v15, a1
	v_accvgpr_read_b32 v14, a0
	v_pk_mul_f32 v[14:15], v[14:15], v[12:13] op_sel_hi:[1,0]
	v_accvgpr_read_b32 v11, a3
	v_accvgpr_read_b32 v10, a2
	v_pk_mul_f32 v[18:19], v[10:11], v[12:13] op_sel_hi:[1,0]
	v_cndmask_b32_e64 v10, 0, 1.0, vcc
	v_cmp_eq_u32_e32 vcc, 1, v33
	s_nop 0
	v_mfma_f32_4x4x1_16b_f32 a[0:3], v14, v10, 0
	v_cndmask_b32_e64 v10, 0, 1.0, vcc
	v_cmp_eq_u32_e32 vcc, 2, v33
	s_nop 0
	v_mfma_f32_4x4x1_16b_f32 a[0:3], v15, v10, a[0:3]
	v_cndmask_b32_e64 v10, 0, 1.0, vcc
	s_nop 1
	v_mfma_f32_4x4x1_16b_f32 a[0:3], v18, v10, a[0:3]
	global_load_dwordx4 v[10:13], v[36:37], off offset:16
	global_load_dwordx4 v[14:17], v[36:37], off
	v_and_b32_e32 v18, -4, v34
	v_mfma_f32_4x4x1_16b_f32 a[0:3], v19, v31, a[0:3]
	v_subrev_u32_e32 v19, s3, v18
	v_add_u32_e32 v20, 1, v19
	v_cvt_f32_i32_e32 v20, v20
	v_add_u32_e32 v21, 2, v19
	v_cvt_f32_i32_e32 v21, v21
	v_accvgpr_read_b32 v22, a0
	v_fma_f32 v20, v30, v20, v22
	v_accvgpr_read_b32 v22, a1
	v_fma_f32 v21, v30, v21, v22
	v_add_u32_e32 v22, 3, v19
	v_cvt_f32_i32_e32 v22, v22
	v_add_u32_e32 v19, 4, v19
	v_max_f32_e32 v24, 0xff7fffff, v20
	v_cmp_gt_i32_e32 vcc, s3, v18
	v_cvt_f32_i32_e32 v19, v19
	v_accvgpr_read_b32 v23, a2
	v_cndmask_b32_e32 v24, v25, v24, vcc
	v_or_b32_e32 v25, 1, v18
	v_max_f32_e32 v26, v24, v21
	v_cmp_gt_i32_e64 s[0:1], s3, v25
	v_fma_f32 v22, v30, v22, v23
	v_or_b32_e32 v18, 2, v18
	v_cndmask_b32_e64 v24, v24, v26, s[0:1]
	v_accvgpr_read_b32 v23, a3
	v_max_f32_e32 v25, v24, v22
	v_cmp_gt_i32_e64 s[4:5], s3, v18
	v_fmac_f32_e32 v23, v30, v19
	v_lshlrev_b32_e32 v19, 2, v0
	v_cndmask_b32_e64 v18, v24, v25, s[4:5]
	v_or_b32_e32 v24, 3, v34
	v_max_f32_e32 v25, v18, v23
	v_cmp_gt_i32_e64 s[8:9], s3, v24
	v_and_or_b32 v19, v19, 48, v33
	s_nop 0
	v_cndmask_b32_e64 v18, v18, v25, s[8:9]
	;;#ASMSTART
	v_nop
 v_nop
 v_max_f32_dpp v18, v18, v18 row_ror:4
	;;#ASMEND
	v_lshlrev_b32_e32 v25, 2, v19
	;;#ASMSTART
	v_nop
 v_nop
 v_max_f32_dpp v18, v18, v18 row_ror:8
	;;#ASMEND
	ds_bpermute_b32 v18, v25, v18
	s_waitcnt lgkmcnt(0)
	;;#ASMSTART
	v_nop
 v_nop
 v_max_f32_dpp v18, v18, v18 row_ror:4
	;;#ASMEND
	s_nop 0
	;;#ASMSTART
	v_nop
 v_nop
 v_max_f32_dpp v24, v18, v18 row_ror:8
	;;#ASMEND
	s_nop 0
	v_sub_f32_e32 v18, v20, v24
	v_mul_f32_e32 v18, 0x3fb8aa3b, v18
	v_sub_f32_e32 v19, v21, v24
	v_exp_f32_e32 v18, v18
	v_mul_f32_e32 v19, 0x3fb8aa3b, v19
	v_sub_f32_e32 v21, v22, v24
	v_exp_f32_e32 v19, v19
	;; [unrolled: 3-line block ×3, first 2 shown]
	v_mul_f32_e32 v22, 0x3fb8aa3b, v22
	v_exp_f32_e32 v22, v22
	v_cndmask_b32_e32 v18, 0, v18, vcc
	v_add_f32_e32 v20, 0, v18
	v_cndmask_b32_e64 v19, 0, v19, s[0:1]
	v_add_f32_e32 v23, v20, v19
	v_cndmask_b32_e64 v20, 0, v21, s[4:5]
	;; [unrolled: 2-line block ×3, first 2 shown]
	v_add_f32_e32 v22, v23, v21
	;;#ASMSTART
	v_nop
 v_nop
 v_add_f32_dpp v22, v22, v22 row_ror:4
	;;#ASMEND
	v_cmp_gt_u32_e32 vcc, 4, v32
	;;#ASMSTART
	v_nop
 v_nop
 v_add_f32_dpp v22, v22, v22 row_ror:8
	;;#ASMEND
	ds_bpermute_b32 v22, v25, v22
	s_waitcnt lgkmcnt(0)
	;;#ASMSTART
	v_nop
 v_nop
 v_add_f32_dpp v22, v22, v22 row_ror:4
	;;#ASMEND
	s_nop 0
	;;#ASMSTART
	v_nop
 v_nop
 v_add_f32_dpp v22, v22, v22 row_ror:8
	;;#ASMEND
	s_and_saveexec_b64 s[0:1], vcc
	s_cbranch_execz .LBB890_18
; %bb.17:
	v_mul_u32_u24_e32 v23, 20, v1
	v_lshl_add_u32 v23, v33, 2, v23
	v_add_u32_e32 v23, 0x800, v23
	ds_write2_b32 v23, v24, v22 offset0:128 offset1:148
.LBB890_18:
	s_or_b64 exec, exec, s[0:1]
.LBB890_19:
	s_or_b64 exec, exec, s[26:27]
	s_waitcnt lgkmcnt(0)
	s_barrier
	s_load_dword s0, s[24:25], 0x8
	v_lshlrev_b32_e32 v22, 2, v33
	v_add_u32_e32 v30, 0x800, v22
	ds_read2_b32 v[22:23], v30 offset0:128 offset1:133
	ds_read2_b32 v[26:27], v30 offset0:138 offset1:143
	s_mul_i32 s1, s2, s33
	s_waitcnt lgkmcnt(0)
	s_mul_i32 s0, s1, s0
	s_mov_b32 s1, 0xff7fffff
	v_max3_f32 v25, v22, s1, v23
	v_max3_f32 v25, v25, v26, v27
	v_sub_f32_e32 v22, v22, v25
	v_mul_f32_e32 v22, 0x3fb8aa3b, v22
	ds_read2_b32 v[28:29], v30 offset0:148 offset1:153
	v_exp_f32_e32 v31, v22
	v_sub_f32_e32 v22, v23, v25
	v_sub_f32_e32 v26, v26, v25
	v_mul_f32_e32 v22, 0x3fb8aa3b, v22
	v_mul_f32_e32 v26, 0x3fb8aa3b, v26
	v_exp_f32_e32 v34, v22
	ds_read2_b32 v[22:23], v30 offset0:158 offset1:163
	v_exp_f32_e32 v30, v26
	v_sub_f32_e32 v26, v27, v25
	v_mul_f32_e32 v26, 0x3fb8aa3b, v26
	v_exp_f32_e32 v27, v26
	s_waitcnt lgkmcnt(1)
	v_fma_f32 v26, v31, v28, 0
	v_fmac_f32_e32 v26, v34, v29
	s_waitcnt lgkmcnt(0)
	v_fmac_f32_e32 v26, v30, v22
	s_mul_i32 s0, s0, 3
	v_fmac_f32_e32 v26, v27, v23
	v_cmp_ne_u32_e32 vcc, 3, v33
	s_and_saveexec_b64 s[2:3], vcc
	s_cbranch_execz .LBB890_21
; %bb.20:
	s_mov_b32 s1, 0
	s_lshl_b64 s[4:5], s[0:1], 2
	s_add_u32 s12, s12, s4
	s_mov_b32 s21, s1
	s_addc_u32 s13, s13, s5
	s_lshl_b64 s[8:9], s[20:21], 2
	s_add_u32 s12, s12, s8
	s_addc_u32 s13, s13, s9
	s_add_u32 s1, s14, s4
	s_addc_u32 s5, s15, s5
	v_add_u32_e32 v22, s38, v33
	s_add_u32 s4, s1, s8
	v_mul_lo_u32 v22, s33, v22
	v_mov_b32_e32 v23, 0
	s_addc_u32 s5, s5, s9
	v_lshlrev_b64 v[22:23], 2, v[22:23]
	v_lshl_add_u64 v[28:29], s[12:13], 0, v[22:23]
	v_lshl_add_u64 v[22:23], s[4:5], 0, v[22:23]
	global_store_dword v[22:23], v25, off
	global_store_dword v[28:29], v26, off
.LBB890_21:
	s_or_b64 exec, exec, s[2:3]
	v_mov_b32_e32 v22, 0
	v_mov_b32_e32 v23, 0
	s_and_saveexec_b64 s[2:3], s[6:7]
	s_cbranch_execz .LBB890_23
; %bb.22:
	v_add_f32_e32 v22, 0x358637bd, v26
	v_div_scale_f32 v23, s[4:5], v22, v22, 1.0
	v_rcp_f32_e32 v26, v23
	v_div_scale_f32 v27, vcc, 1.0, v22, 1.0
	v_sub_f32_e32 v24, v24, v25
	v_fma_f32 v28, -v23, v26, 1.0
	v_fmac_f32_e32 v26, v28, v26
	v_mul_f32_e32 v28, v27, v26
	v_fma_f32 v29, -v23, v28, v27
	v_mul_f32_e32 v24, 0x3fb8aa3b, v24
	v_fmac_f32_e32 v28, v29, v26
	v_exp_f32_e32 v24, v24
	v_fma_f32 v23, -v23, v28, v27
	v_div_fmas_f32 v23, v23, v26, v28
	v_div_fixup_f32 v22, v23, v22, 1.0
	v_mul_f32_e32 v22, v24, v22
	v_pk_mul_f32 v[20:21], v[20:21], v[22:23] op_sel_hi:[1,0]
	v_pk_mul_f32 v[18:19], v[18:19], v[22:23] op_sel_hi:[1,0]
	v_cvt_f16_f32_e32 v22, v20
	v_cvt_f16_f32_e32 v18, v18
	;; [unrolled: 1-line block ×4, first 2 shown]
	s_waitcnt vmcnt(2)
	v_cvt_pk_f32_fp8_e32 v[20:21], v6
	v_cvt_pk_f32_fp8_e32 v[24:25], v7
	v_pack_b32_f16 v18, v18, v19
	v_pack_b32_f16 v19, v22, v23
	v_cvt_pk_f32_fp8_sdwa v[22:23], v6 src0_sel:WORD_1
	v_cvt_pkrtz_f16_f32 v6, v20, v21
	v_cvt_pk_f32_fp8_sdwa v[20:21], v7 src0_sel:WORD_1
	s_load_dword s4, s[10:11], 0x0
	v_cvt_pkrtz_f16_f32 v7, v22, v23
	v_cvt_pkrtz_f16_f32 v22, v24, v25
	;; [unrolled: 1-line block ×3, first 2 shown]
	v_mfma_f32_4x4x4_16b_f16 a[0:3], v[18:19], v[6:7], 0 cbsz:4
	v_cvt_pk_f32_fp8_e32 v[6:7], v8
	v_cvt_pk_f32_fp8_sdwa v[20:21], v8 src0_sel:WORD_1
	v_mfma_f32_4x4x4_16b_f16 a[0:3], v[18:19], v[22:23], a[0:3] cbsz:4 abid:1
	v_cvt_pk_f32_fp8_e32 v[22:23], v9
	v_cvt_pk_f32_fp8_sdwa v[8:9], v9 src0_sel:WORD_1
	v_cvt_pkrtz_f16_f32 v6, v6, v7
	v_cvt_pkrtz_f16_f32 v7, v20, v21
	;; [unrolled: 1-line block ×4, first 2 shown]
	v_mfma_f32_4x4x4_16b_f16 a[0:3], v[18:19], v[6:7], a[0:3] cbsz:4 abid:2
	v_cvt_pk_f32_fp8_e32 v[6:7], v2
	v_cvt_pk_f32_fp8_sdwa v[8:9], v2 src0_sel:WORD_1
	v_mfma_f32_4x4x4_16b_f16 a[0:3], v[18:19], v[20:21], a[0:3] cbsz:4 abid:3
	v_cvt_pk_f32_fp8_e32 v[20:21], v3
	v_cvt_pkrtz_f16_f32 v2, v6, v7
	v_cvt_pk_f32_fp8_sdwa v[6:7], v3 src0_sel:WORD_1
	v_cvt_pkrtz_f16_f32 v3, v8, v9
	v_cvt_pkrtz_f16_f32 v8, v20, v21
	s_mov_b32 s1, 0x5040100
	v_mfma_f32_4x4x4_16b_f16 a[0:3], v[18:19], v[2:3], a[0:3] cbsz:4 abid:4
	v_cvt_pkrtz_f16_f32 v9, v6, v7
	v_cvt_pk_f32_fp8_e32 v[2:3], v4
	v_cvt_pk_f32_fp8_sdwa v[6:7], v4 src0_sel:WORD_1
	v_mfma_f32_4x4x4_16b_f16 a[0:3], v[18:19], v[8:9], a[0:3] cbsz:4 abid:5
	v_cvt_pk_f32_fp8_e32 v[8:9], v5
	v_cvt_pk_f32_fp8_sdwa v[4:5], v5 src0_sel:WORD_1
	v_cvt_pkrtz_f16_f32 v2, v2, v3
	v_cvt_pkrtz_f16_f32 v3, v6, v7
	;; [unrolled: 1-line block ×4, first 2 shown]
	v_mfma_f32_4x4x4_16b_f16 a[0:3], v[18:19], v[2:3], a[0:3] cbsz:4 abid:6
	s_waitcnt vmcnt(0)
	v_cvt_pk_f32_fp8_e32 v[2:3], v14
	v_cvt_pk_f32_fp8_sdwa v[4:5], v14 src0_sel:WORD_1
	v_mfma_f32_4x4x4_16b_f16 a[0:3], v[18:19], v[6:7], a[0:3] cbsz:4 abid:7
	v_cvt_pk_f32_fp8_e32 v[6:7], v15
	v_cvt_pk_f32_fp8_sdwa v[8:9], v15 src0_sel:WORD_1
	v_cvt_pkrtz_f16_f32 v2, v2, v3
	v_cvt_pkrtz_f16_f32 v3, v4, v5
	;; [unrolled: 1-line block ×4, first 2 shown]
	v_mfma_f32_4x4x4_16b_f16 a[0:3], v[18:19], v[2:3], a[0:3] cbsz:4 abid:8
	v_cvt_pk_f32_fp8_e32 v[2:3], v16
	v_cvt_pk_f32_fp8_e32 v[6:7], v17
	v_mfma_f32_4x4x4_16b_f16 a[0:3], v[18:19], v[4:5], a[0:3] cbsz:4 abid:9
	v_cvt_pk_f32_fp8_sdwa v[4:5], v16 src0_sel:WORD_1
	v_cvt_pk_f32_fp8_sdwa v[8:9], v17 src0_sel:WORD_1
	v_cvt_pkrtz_f16_f32 v2, v2, v3
	v_cvt_pkrtz_f16_f32 v3, v4, v5
	v_cvt_pkrtz_f16_f32 v4, v6, v7
	s_nop 0
	v_mfma_f32_4x4x4_16b_f16 a[0:3], v[18:19], v[2:3], a[0:3] cbsz:4 abid:10
	v_cvt_pkrtz_f16_f32 v5, v8, v9
	v_cvt_pk_f32_fp8_e32 v[2:3], v10
	v_cvt_pk_f32_fp8_e32 v[6:7], v11
	v_mfma_f32_4x4x4_16b_f16 a[0:3], v[18:19], v[4:5], a[0:3] cbsz:4 abid:11
	v_cvt_pk_f32_fp8_sdwa v[4:5], v10 src0_sel:WORD_1
	v_cvt_pk_f32_fp8_sdwa v[8:9], v11 src0_sel:WORD_1
	v_cvt_pkrtz_f16_f32 v2, v2, v3
	v_cvt_pkrtz_f16_f32 v3, v4, v5
	v_cvt_pkrtz_f16_f32 v4, v6, v7
	s_nop 0
	v_mfma_f32_4x4x4_16b_f16 a[0:3], v[18:19], v[2:3], a[0:3] cbsz:4 abid:12
	v_cvt_pkrtz_f16_f32 v5, v8, v9
	;; [unrolled: 11-line block ×3, first 2 shown]
	s_nop 1
	v_mfma_f32_4x4x4_16b_f16 a[0:3], v[18:19], v[4:5], a[0:3] cbsz:4 abid:15
	s_nop 4
	v_accvgpr_read_b32 v5, a1
	v_accvgpr_read_b32 v3, a3
	;; [unrolled: 1-line block ×4, first 2 shown]
	s_waitcnt lgkmcnt(0)
	v_pk_mul_f32 v[2:3], v[2:3], s[4:5] op_sel_hi:[1,0]
	v_pk_mul_f32 v[4:5], v[4:5], s[4:5] op_sel_hi:[1,0]
	v_cvt_f16_f32_e32 v2, v2
	v_cvt_f16_f32_e32 v4, v4
	;; [unrolled: 1-line block ×4, first 2 shown]
	v_perm_b32 v22, v5, v4, s1
	v_perm_b32 v23, v3, v2, s1
.LBB890_23:
	s_or_b64 exec, exec, s[2:3]
	v_lshlrev_b32_e32 v1, 3, v1
	v_mad_u32_u24 v1, v32, 40, v1
	v_cmp_gt_u32_e32 vcc, 64, v0
	ds_write_b64 v1, v[22:23]
	s_waitcnt lgkmcnt(0)
	s_barrier
	s_and_saveexec_b64 s[2:3], vcc
	s_cbranch_execz .LBB890_25
; %bb.24:
	v_mul_u32_u24_e32 v1, 40, v32
	s_waitcnt vmcnt(3)
	ds_read2_b64 v[2:5], v1 offset1:1
	s_waitcnt vmcnt(2)
	ds_read2_b64 v[6:9], v1 offset0:2 offset1:3
	s_mov_b32 s1, 0
	s_lshl_b32 s0, s0, 6
	s_lshl_b64 s[2:3], s[0:1], 1
	s_add_u32 s2, s22, s2
	s_addc_u32 s3, s23, s3
	s_lshl_b32 s0, s20, 6
	s_lshl_b64 s[0:1], s[0:1], 1
	s_waitcnt lgkmcnt(1)
	v_pk_add_f16 v1, v2, 0
	v_pk_add_f16 v2, v3, 0
	s_add_u32 s0, s2, s0
	v_pk_add_f16 v2, v2, v5
	s_addc_u32 s1, s3, s1
	s_lshl_b32 s2, s33, 6
	v_pk_add_f16 v1, v1, v4
	s_waitcnt lgkmcnt(0)
	v_pk_add_f16 v2, v2, v7
	s_mul_i32 s3, s2, s38
	v_pk_add_f16 v1, v1, v6
	v_pk_add_f16 v6, v2, v9
	v_or_b32_e32 v2, s3, v0
	v_mov_b32_e32 v3, 0
	s_add_i32 s3, s3, s2
	v_pk_add_f16 v1, v1, v8
	v_lshl_add_u64 v[4:5], v[2:3], 1, s[0:1]
	v_or_b32_e32 v2, s3, v0
	s_add_i32 s3, s3, s2
	global_store_short v[4:5], v1, off
	v_lshl_add_u64 v[4:5], v[2:3], 1, s[0:1]
	v_or_b32_e32 v2, s3, v0
	global_store_short_d16_hi v[4:5], v1, off
	v_lshl_add_u64 v[0:1], v[2:3], 1, s[0:1]
	global_store_short v[0:1], v6, off
.LBB890_25:
	s_endpgm
	.section	.rodata,"a",@progbits
	.p2align	6, 0x0
	.amdhsa_kernel _Z38paged_attention_ll4mi_QKV_mfma4_kernelIDF16_hLN4vllm18Fp8KVCacheDataTypeE1EDF16_Li32ELi64ELi256ELb1ELi3EEvPKT_PKT0_S7_ifPKiS9_S9_iPKfiiiPfSC_PS2_PT2_iSB_SB_
		.amdhsa_group_segment_fixed_size 2720
		.amdhsa_private_segment_fixed_size 0
		.amdhsa_kernarg_size 400
		.amdhsa_user_sgpr_count 2
		.amdhsa_user_sgpr_dispatch_ptr 0
		.amdhsa_user_sgpr_queue_ptr 0
		.amdhsa_user_sgpr_kernarg_segment_ptr 1
		.amdhsa_user_sgpr_dispatch_id 0
		.amdhsa_user_sgpr_kernarg_preload_length 0
		.amdhsa_user_sgpr_kernarg_preload_offset 0
		.amdhsa_user_sgpr_private_segment_size 0
		.amdhsa_uses_dynamic_stack 0
		.amdhsa_enable_private_segment 0
		.amdhsa_system_sgpr_workgroup_id_x 1
		.amdhsa_system_sgpr_workgroup_id_y 1
		.amdhsa_system_sgpr_workgroup_id_z 1
		.amdhsa_system_sgpr_workgroup_info 0
		.amdhsa_system_vgpr_workitem_id 0
		.amdhsa_next_free_vgpr 48
		.amdhsa_next_free_sgpr 44
		.amdhsa_accum_offset 44
		.amdhsa_reserve_vcc 1
		.amdhsa_float_round_mode_32 0
		.amdhsa_float_round_mode_16_64 0
		.amdhsa_float_denorm_mode_32 3
		.amdhsa_float_denorm_mode_16_64 3
		.amdhsa_dx10_clamp 1
		.amdhsa_ieee_mode 1
		.amdhsa_fp16_overflow 0
		.amdhsa_tg_split 0
		.amdhsa_exception_fp_ieee_invalid_op 0
		.amdhsa_exception_fp_denorm_src 0
		.amdhsa_exception_fp_ieee_div_zero 0
		.amdhsa_exception_fp_ieee_overflow 0
		.amdhsa_exception_fp_ieee_underflow 0
		.amdhsa_exception_fp_ieee_inexact 0
		.amdhsa_exception_int_div_zero 0
	.end_amdhsa_kernel
	.section	.text._Z38paged_attention_ll4mi_QKV_mfma4_kernelIDF16_hLN4vllm18Fp8KVCacheDataTypeE1EDF16_Li32ELi64ELi256ELb1ELi3EEvPKT_PKT0_S7_ifPKiS9_S9_iPKfiiiPfSC_PS2_PT2_iSB_SB_,"axG",@progbits,_Z38paged_attention_ll4mi_QKV_mfma4_kernelIDF16_hLN4vllm18Fp8KVCacheDataTypeE1EDF16_Li32ELi64ELi256ELb1ELi3EEvPKT_PKT0_S7_ifPKiS9_S9_iPKfiiiPfSC_PS2_PT2_iSB_SB_,comdat
.Lfunc_end890:
	.size	_Z38paged_attention_ll4mi_QKV_mfma4_kernelIDF16_hLN4vllm18Fp8KVCacheDataTypeE1EDF16_Li32ELi64ELi256ELb1ELi3EEvPKT_PKT0_S7_ifPKiS9_S9_iPKfiiiPfSC_PS2_PT2_iSB_SB_, .Lfunc_end890-_Z38paged_attention_ll4mi_QKV_mfma4_kernelIDF16_hLN4vllm18Fp8KVCacheDataTypeE1EDF16_Li32ELi64ELi256ELb1ELi3EEvPKT_PKT0_S7_ifPKiS9_S9_iPKfiiiPfSC_PS2_PT2_iSB_SB_
                                        ; -- End function
	.section	.AMDGPU.csdata,"",@progbits
; Kernel info:
; codeLenInByte = 3908
; NumSgprs: 50
; NumVgprs: 44
; NumAgprs: 4
; TotalNumVgprs: 48
; ScratchSize: 0
; MemoryBound: 0
; FloatMode: 240
; IeeeMode: 1
; LDSByteSize: 2720 bytes/workgroup (compile time only)
; SGPRBlocks: 6
; VGPRBlocks: 5
; NumSGPRsForWavesPerEU: 50
; NumVGPRsForWavesPerEU: 48
; AccumOffset: 44
; Occupancy: 8
; WaveLimiterHint : 1
; COMPUTE_PGM_RSRC2:SCRATCH_EN: 0
; COMPUTE_PGM_RSRC2:USER_SGPR: 2
; COMPUTE_PGM_RSRC2:TRAP_HANDLER: 0
; COMPUTE_PGM_RSRC2:TGID_X_EN: 1
; COMPUTE_PGM_RSRC2:TGID_Y_EN: 1
; COMPUTE_PGM_RSRC2:TGID_Z_EN: 1
; COMPUTE_PGM_RSRC2:TIDIG_COMP_CNT: 0
; COMPUTE_PGM_RSRC3_GFX90A:ACCUM_OFFSET: 10
; COMPUTE_PGM_RSRC3_GFX90A:TG_SPLIT: 0
	.section	.text._Z38paged_attention_ll4mi_QKV_mfma4_kernelIDF16_hLN4vllm18Fp8KVCacheDataTypeE1EDF16_Li32ELi64ELi256ELb1ELi4EEvPKT_PKT0_S7_ifPKiS9_S9_iPKfiiiPfSC_PS2_PT2_iSB_SB_,"axG",@progbits,_Z38paged_attention_ll4mi_QKV_mfma4_kernelIDF16_hLN4vllm18Fp8KVCacheDataTypeE1EDF16_Li32ELi64ELi256ELb1ELi4EEvPKT_PKT0_S7_ifPKiS9_S9_iPKfiiiPfSC_PS2_PT2_iSB_SB_,comdat
	.protected	_Z38paged_attention_ll4mi_QKV_mfma4_kernelIDF16_hLN4vllm18Fp8KVCacheDataTypeE1EDF16_Li32ELi64ELi256ELb1ELi4EEvPKT_PKT0_S7_ifPKiS9_S9_iPKfiiiPfSC_PS2_PT2_iSB_SB_ ; -- Begin function _Z38paged_attention_ll4mi_QKV_mfma4_kernelIDF16_hLN4vllm18Fp8KVCacheDataTypeE1EDF16_Li32ELi64ELi256ELb1ELi4EEvPKT_PKT0_S7_ifPKiS9_S9_iPKfiiiPfSC_PS2_PT2_iSB_SB_
	.globl	_Z38paged_attention_ll4mi_QKV_mfma4_kernelIDF16_hLN4vllm18Fp8KVCacheDataTypeE1EDF16_Li32ELi64ELi256ELb1ELi4EEvPKT_PKT0_S7_ifPKiS9_S9_iPKfiiiPfSC_PS2_PT2_iSB_SB_
	.p2align	8
	.type	_Z38paged_attention_ll4mi_QKV_mfma4_kernelIDF16_hLN4vllm18Fp8KVCacheDataTypeE1EDF16_Li32ELi64ELi256ELb1ELi4EEvPKT_PKT0_S7_ifPKiS9_S9_iPKfiiiPfSC_PS2_PT2_iSB_SB_,@function
_Z38paged_attention_ll4mi_QKV_mfma4_kernelIDF16_hLN4vllm18Fp8KVCacheDataTypeE1EDF16_Li32ELi64ELi256ELb1ELi4EEvPKT_PKT0_S7_ifPKiS9_S9_iPKfiiiPfSC_PS2_PT2_iSB_SB_: ; @_Z38paged_attention_ll4mi_QKV_mfma4_kernelIDF16_hLN4vllm18Fp8KVCacheDataTypeE1EDF16_Li32ELi64ELi256ELb1ELi4EEvPKT_PKT0_S7_ifPKiS9_S9_iPKfiiiPfSC_PS2_PT2_iSB_SB_
; %bb.0:
	s_load_dwordx2 s[16:17], s[0:1], 0x30
	s_mov_b32 s24, s3
	s_mov_b64 s[6:7], 0
	s_waitcnt lgkmcnt(0)
	s_cmp_lg_u64 s[16:17], 0
	s_cselect_b64 s[18:19], -1, 0
	s_and_b64 vcc, exec, s[18:19]
	s_cbranch_vccz .LBB891_18
; %bb.1:
	s_add_i32 s8, s2, 1
	s_mov_b32 s9, 0
	s_lshl_b64 s[10:11], s[8:9], 2
	s_add_u32 s10, s16, s10
	s_mov_b32 s3, s9
	s_addc_u32 s11, s17, s11
	s_lshl_b64 s[8:9], s[2:3], 2
	s_add_u32 s8, s16, s8
	s_addc_u32 s9, s17, s9
	s_load_dword s5, s[10:11], 0x0
	s_load_dword s12, s[8:9], 0x0
	s_mov_b64 s[34:35], s[2:3]
	s_waitcnt lgkmcnt(0)
	s_sub_i32 s5, s5, s12
	s_cmp_eq_u32 s5, 1
	s_cselect_b64 s[8:9], -1, 0
	s_andn2_b64 vcc, exec, s[6:7]
	s_cbranch_vccnz .LBB891_3
.LBB891_2:
	s_mov_b32 s3, 0
	s_mov_b64 s[8:9], -1
	s_mov_b64 s[34:35], s[2:3]
.LBB891_3:
	s_andn2_b64 vcc, exec, s[8:9]
	s_cbranch_vccnz .LBB891_17
; %bb.4:
	s_load_dword s3, s[0:1], 0x9c
	s_load_dwordx2 s[6:7], s[0:1], 0x28
	s_add_u32 s28, s0, 0x90
	s_addc_u32 s29, s1, 0
	s_lshl_b64 s[42:43], s[34:35], 2
	s_waitcnt lgkmcnt(0)
	s_and_b32 s5, s3, 0xffff
	s_add_u32 s6, s6, s42
	s_addc_u32 s7, s7, s43
	s_load_dword s3, s[6:7], 0x0
	s_mul_i32 s5, s24, s5
	s_waitcnt lgkmcnt(0)
	s_cmp_ge_i32 s5, s3
	s_cbranch_scc1 .LBB891_17
; %bb.5:
	v_and_b32_e32 v2, 0xc0, v0
	v_and_b32_e32 v25, 3, v0
	s_lshl_b32 s33, s4, 2
	v_add_u32_e32 v4, s5, v2
	v_lshrrev_b32_e32 v1, 6, v0
	v_cmp_gt_i32_e64 s[6:7], s3, v4
	v_cmp_le_i32_e32 vcc, s3, v4
	v_or_b32_e32 v18, s33, v25
                                        ; implicit-def: $sgpr21
                                        ; implicit-def: $sgpr20
	s_and_saveexec_b64 s[8:9], vcc
	s_xor_b64 s[8:9], exec, s[8:9]
	s_cbranch_execz .LBB891_7
; %bb.6:
	v_mul_u32_u24_e32 v2, 20, v1
	v_or_b32_e32 v2, 0xa00, v2
	v_mov_b32_e32 v3, 0xa50
	v_mov_b32_e32 v4, 0xff7fffff
	v_mad_u32_u24 v3, v1, 20, v3
	ds_write2_b32 v2, v4, v4 offset1:1
	v_mov_b32_e32 v2, 0
	ds_write2_b32 v3, v2, v2 offset1:1
	v_mov_b32_e32 v3, 0xa08
	s_mov_b32 s20, 0xff7fffff
	s_mov_b32 s21, 0
	v_mad_u32_u24 v3, v1, 20, v3
	v_mov_b32_e32 v5, 0xa58
	v_or_b32_e32 v18, s33, v25
	v_mad_u32_u24 v5, v1, 20, v5
	ds_write2_b32 v3, v4, v4 offset1:1
	ds_write2_b32 v5, v2, v2 offset1:1
                                        ; implicit-def: $vgpr4
.LBB891_7:
	s_or_saveexec_b64 s[30:31], s[8:9]
	s_load_dwordx2 s[26:27], s[0:1], 0x68
	s_load_dwordx4 s[12:15], s[0:1], 0x58
	s_load_dword s44, s[28:29], 0x4
	s_load_dwordx4 s[8:11], s[0:1], 0x80
	v_and_b32_e32 v24, 63, v0
	v_mov_b32_e32 v23, s21
	v_mov_b32_e32 v26, s20
	;; [unrolled: 1-line block ×5, first 2 shown]
                                        ; implicit-def: $vgpr14_vgpr15
                                        ; implicit-def: $vgpr6_vgpr7
                                        ; implicit-def: $vgpr10_vgpr11
                                        ; implicit-def: $vgpr2_vgpr3
	s_xor_b64 exec, exec, s[30:31]
	s_cbranch_execz .LBB891_13
; %bb.8:
	s_load_dwordx2 s[20:21], s[0:1], 0x20
	s_load_dword s22, s[0:1], 0x38
	s_add_i32 s23, s3, 31
	s_ashr_i32 s25, s23, 31
	s_lshr_b32 s25, s25, 27
	v_add_u32_e32 v20, s5, v0
	s_add_i32 s23, s23, s25
	v_ashrrev_i32_e32 v2, 31, v20
	s_ashr_i32 s23, s23, 5
	v_lshrrev_b32_e32 v2, 27, v2
	s_add_i32 s25, s23, -1
	s_waitcnt lgkmcnt(0)
	s_mul_i32 s36, s2, s22
	s_mov_b32 s37, 0
	v_add_u32_e32 v2, v20, v2
	s_lshl_b64 s[22:23], s[36:37], 2
	v_ashrrev_i32_e32 v2, 5, v2
	v_mov_b32_e32 v3, s25
	v_cmp_gt_i32_e32 vcc, s3, v20
	s_add_u32 s20, s20, s22
	s_addc_u32 s21, s21, s23
	v_cndmask_b32_e32 v2, v3, v2, vcc
	v_ashrrev_i32_e32 v3, 31, v2
	v_lshl_add_u64 v[6:7], v[2:3], 2, s[20:21]
	v_ashrrev_i32_e32 v2, 31, v4
	v_lshrrev_b32_e32 v2, 27, v2
	v_add_u32_e32 v2, v4, v2
	v_ashrrev_i32_e32 v4, 5, v2
	v_min_i32_e32 v2, s25, v4
	v_ashrrev_i32_e32 v3, 31, v2
	v_lshl_add_u64 v[8:9], v[2:3], 2, s[20:21]
	v_add_u32_e32 v2, 1, v4
	v_min_i32_e32 v2, s25, v2
	v_ashrrev_i32_e32 v3, 31, v2
	v_lshl_add_u64 v[10:11], v[2:3], 2, s[20:21]
	global_load_dword v4, v[6:7], off
	global_load_dword v3, v[8:9], off
	;; [unrolled: 1-line block ×3, first 2 shown]
	s_load_dwordx2 s[40:41], s[0:1], 0x40
	s_load_dwordx4 s[20:23], s[0:1], 0x0
	s_load_dwordx2 s[38:39], s[0:1], 0x10
	s_andn2_b64 vcc, exec, s[18:19]
	s_cbranch_vccnz .LBB891_10
; %bb.9:
	s_add_u32 s16, s16, s42
	s_addc_u32 s17, s17, s43
	s_load_dword s36, s[16:17], 0x0
	s_waitcnt lgkmcnt(0)
	s_mov_b64 s[34:35], s[36:37]
.LBB891_10:
	s_load_dwordx4 s[16:19], s[0:1], 0x48
	s_waitcnt lgkmcnt(0)
	s_load_dword s19, s[0:1], 0x1c
                                        ; kill: killed $sgpr0 killed $sgpr1
	v_cmp_eq_u32_e32 vcc, 0, v25
	s_ashr_i32 s1, s16, 31
	s_mul_hi_u32 s5, s34, s16
	s_mul_i32 s1, s34, s1
	s_mul_i32 s25, s35, s16
	s_add_i32 s1, s5, s1
	s_mul_i32 s0, s34, s16
	s_add_i32 s1, s1, s25
	s_lshl_b64 s[0:1], s[0:1], 1
	s_add_u32 s5, s20, s0
	s_addc_u32 s16, s21, s1
	s_lshl_b32 s36, s4, 8
	s_lshl_b64 s[0:1], s[36:37], 1
	s_add_u32 s0, s5, s0
	s_addc_u32 s1, s16, s1
	s_mul_i32 s16, s4, s18
	s_add_u32 s4, s16, s22
	s_addc_u32 s5, 0, s23
	v_mov_b64_e32 v[6:7], s[4:5]
	s_waitcnt vmcnt(2)
	v_mad_i64_i32 v[4:5], s[4:5], v4, s17, v[6:7]
	v_lshlrev_b32_e32 v6, 4, v0
	v_and_b32_e32 v6, 0x1f0, v6
	v_mov_b32_e32 v7, 0
	v_lshl_add_u64 v[4:5], v[4:5], 0, v[6:7]
	global_load_dwordx4 v[10:13], v[4:5], off
	global_load_dwordx4 v[26:29], v[4:5], off offset:512
	global_load_dwordx4 v[30:33], v[4:5], off offset:1024
	;; [unrolled: 1-line block ×3, first 2 shown]
	v_lshrrev_b32_e32 v4, 2, v24
	v_lshlrev_b32_e32 v5, 3, v25
	v_add_lshl_u32 v4, v5, v4, 4
	global_load_dwordx4 v[38:41], v4, s[0:1]
	v_mov_b32_e32 v19, v7
	v_lshl_add_u64 v[4:5], v[18:19], 2, s[40:41]
	global_load_dword v19, v[4:5], off
	s_waitcnt vmcnt(7)
	v_mul_hi_i32 v4, v3, s17
	s_add_u32 s0, s38, s16
	s_waitcnt vmcnt(6)
	v_mul_hi_i32 v5, v2, s17
	v_ashrrev_i32_e32 v8, 31, v4
	s_addc_u32 s1, s39, 0
	v_lshlrev_b32_e32 v6, 5, v24
	v_ashrrev_i32_e32 v14, 31, v5
	v_lshl_add_u64 v[4:5], s[0:1], 0, v[6:7]
	v_lshrrev_b32_e32 v6, 29, v8
	v_mad_i64_i32 v[8:9], s[0:1], v3, s17, v[6:7]
	v_and_b32_e32 v8, -8, v8
	v_lshrrev_b32_e32 v6, 29, v14
	v_lshl_add_u64 v[22:23], v[4:5], 0, v[8:9]
	v_mad_i64_i32 v[2:3], s[0:1], v2, s17, v[6:7]
	global_load_dwordx4 v[6:9], v[22:23], off offset:16
	global_load_dwordx4 v[14:17], v[22:23], off
	v_and_b32_e32 v2, -8, v2
	v_lshl_add_u64 v[42:43], v[4:5], 0, v[2:3]
	s_waitcnt lgkmcnt(0)
	v_mov_b32_e32 v21, s19
	s_waitcnt vmcnt(7)
	v_cvt_pk_f32_fp8_e32 v[22:23], v10
	v_cvt_pk_f32_fp8_sdwa v[44:45], v10 src0_sel:WORD_1
	v_cvt_pk_f32_fp8_e32 v[46:47], v11
	v_cvt_pk_f32_fp8_sdwa v[48:49], v11 src0_sel:WORD_1
	;; [unrolled: 2-line block ×3, first 2 shown]
	v_cvt_pkrtz_f16_f32 v22, v22, v23
	v_cvt_pkrtz_f16_f32 v23, v44, v45
	v_cvt_pk_f32_fp8_e32 v[54:55], v13
	v_cvt_pk_f32_fp8_sdwa v[56:57], v13 src0_sel:WORD_1
	s_waitcnt vmcnt(3)
	v_mfma_f32_4x4x4_16b_f16 a[0:3], v[38:39], v[22:23], 0 cbsz:4
	v_cvt_pkrtz_f16_f32 v44, v46, v47
	v_cvt_pkrtz_f16_f32 v45, v48, v49
	v_cvt_pk_f32_fp8_e32 v[58:59], v26
	v_cvt_pk_f32_fp8_sdwa v[60:61], v26 src0_sel:WORD_1
	v_mfma_f32_4x4x4_16b_f16 a[0:3], v[40:41], v[44:45], a[0:3] cbsz:4
	v_cvt_pkrtz_f16_f32 v48, v50, v51
	v_cvt_pkrtz_f16_f32 v49, v52, v53
	global_load_dwordx4 v[2:5], v[42:43], off offset:16
	global_load_dwordx4 v[10:13], v[42:43], off
	v_mfma_f32_4x4x4_16b_f16 a[0:3], v[38:39], v[48:49], a[0:3] cbsz:4 abid:1
	v_cvt_pk_f32_fp8_e32 v[62:63], v27
	v_cvt_pk_f32_fp8_sdwa v[26:27], v27 src0_sel:WORD_1
	v_cvt_pkrtz_f16_f32 v52, v54, v55
	v_cvt_pkrtz_f16_f32 v53, v56, v57
	v_cvt_pk_f32_fp8_e32 v[64:65], v28
	v_cvt_pk_f32_fp8_sdwa v[66:67], v28 src0_sel:WORD_1
	v_mfma_f32_4x4x4_16b_f16 a[0:3], v[40:41], v[52:53], a[0:3] cbsz:4 abid:1
	v_cvt_pkrtz_f16_f32 v54, v58, v59
	v_cvt_pkrtz_f16_f32 v55, v60, v61
	v_cvt_pk_f32_fp8_e32 v[68:69], v29
	v_cvt_pk_f32_fp8_sdwa v[28:29], v29 src0_sel:WORD_1
	v_mfma_f32_4x4x4_16b_f16 a[0:3], v[38:39], v[54:55], a[0:3] cbsz:4 abid:2
	;; [unrolled: 5-line block ×9, first 2 shown]
	v_cvt_pkrtz_f16_f32 v22, v42, v43
	v_cvt_pkrtz_f16_f32 v23, v46, v47
	v_cvt_pk_f32_fp8_e32 v[62:63], v37
	v_cvt_pkrtz_f16_f32 v28, v50, v51
	v_mfma_f32_4x4x4_16b_f16 a[0:3], v[38:39], v[22:23], a[0:3] cbsz:4 abid:6
	v_cvt_pkrtz_f16_f32 v29, v34, v35
	v_cvt_pk_f32_fp8_sdwa v[22:23], v37 src0_sel:WORD_1
	s_load_dword s0, s[8:9], 0x0
	v_mfma_f32_4x4x4_16b_f16 a[0:3], v[40:41], v[28:29], a[0:3] cbsz:4 abid:6
	v_cvt_pkrtz_f16_f32 v28, v56, v57
	v_cvt_pkrtz_f16_f32 v29, v26, v27
	;; [unrolled: 1-line block ×4, first 2 shown]
	v_mfma_f32_4x4x4_16b_f16 a[0:3], v[38:39], v[28:29], a[0:3] cbsz:4 abid:7
	s_nop 1
	v_mfma_f32_4x4x4_16b_f16 a[0:3], v[40:41], v[26:27], a[0:3] cbsz:4 abid:7
	s_waitcnt lgkmcnt(0)
	v_mul_f32_e32 v26, s0, v21
	v_cndmask_b32_e64 v21, 0, 1.0, vcc
	v_cmp_eq_u32_e32 vcc, 1, v25
	s_nop 0
	v_accvgpr_read_b32 v29, a1
	v_accvgpr_read_b32 v28, a0
	v_pk_mul_f32 v[28:29], v[28:29], v[26:27] op_sel_hi:[1,0]
	v_accvgpr_read_b32 v23, a3
	v_accvgpr_read_b32 v22, a2
	v_pk_mul_f32 v[22:23], v[22:23], v[26:27] op_sel_hi:[1,0]
	v_mfma_f32_4x4x1_16b_f32 a[0:3], v28, v21, 0
	v_cndmask_b32_e64 v21, 0, 1.0, vcc
	v_cmp_eq_u32_e32 vcc, 2, v25
	s_nop 0
	v_mfma_f32_4x4x1_16b_f32 a[0:3], v29, v21, a[0:3]
	v_cndmask_b32_e64 v21, 0, 1.0, vcc
	v_cmp_eq_u32_e32 vcc, 3, v25
	s_nop 0
	v_mfma_f32_4x4x1_16b_f32 a[0:3], v22, v21, a[0:3]
	v_cndmask_b32_e64 v21, 0, 1.0, vcc
	s_nop 1
	v_mfma_f32_4x4x1_16b_f32 a[0:3], v23, v21, a[0:3]
	v_and_b32_e32 v21, -4, v20
	v_subrev_u32_e32 v22, s3, v21
	v_add_u32_e32 v23, 1, v22
	v_cvt_f32_i32_e32 v23, v23
	v_add_u32_e32 v26, 2, v22
	v_cvt_f32_i32_e32 v26, v26
	v_accvgpr_read_b32 v27, a0
	s_waitcnt vmcnt(4)
	v_fma_f32 v23, v19, v23, v27
	v_accvgpr_read_b32 v27, a1
	v_fma_f32 v27, v19, v26, v27
	v_add_u32_e32 v26, 3, v22
	v_add_u32_e32 v22, 4, v22
	v_cvt_f32_i32_e32 v26, v26
	v_cvt_f32_i32_e32 v22, v22
	v_accvgpr_read_b32 v28, a2
	v_accvgpr_read_b32 v29, a3
	v_fma_f32 v28, v19, v26, v28
	v_fmac_f32_e32 v29, v19, v22
	v_max_f32_e32 v22, 0xff7fffff, v23
	v_mov_b32_e32 v26, 0xff7fffff
	v_cmp_gt_i32_e32 vcc, s3, v21
	v_or_b32_e32 v20, 3, v20
	v_cmp_gt_i32_e64 s[8:9], s3, v20
	v_cndmask_b32_e32 v22, v26, v22, vcc
	v_or_b32_e32 v26, 1, v21
	v_max_f32_e32 v30, v22, v27
	v_cmp_gt_i32_e64 s[0:1], s3, v26
	v_or_b32_e32 v21, 2, v21
	v_cmp_gt_i32_e64 s[4:5], s3, v21
	v_cndmask_b32_e64 v22, v22, v30, s[0:1]
	v_max_f32_e32 v26, v22, v28
	v_cndmask_b32_e64 v21, v22, v26, s[4:5]
	v_max_f32_e32 v22, v21, v29
	v_lshlrev_b32_e32 v19, 2, v0
	v_cndmask_b32_e64 v20, v21, v22, s[8:9]
	v_and_or_b32 v19, v19, 48, v25
	;;#ASMSTART
	v_nop
 v_nop
 v_max_f32_dpp v20, v20, v20 row_ror:4
	;;#ASMEND
	v_lshlrev_b32_e32 v19, 2, v19
	;;#ASMSTART
	v_nop
 v_nop
 v_max_f32_dpp v20, v20, v20 row_ror:8
	;;#ASMEND
	ds_bpermute_b32 v20, v19, v20
	s_waitcnt lgkmcnt(0)
	;;#ASMSTART
	v_nop
 v_nop
 v_max_f32_dpp v20, v20, v20 row_ror:4
	;;#ASMEND
	s_nop 0
	;;#ASMSTART
	v_nop
 v_nop
 v_max_f32_dpp v26, v20, v20 row_ror:8
	;;#ASMEND
	s_nop 0
	v_sub_f32_e32 v20, v23, v26
	v_mul_f32_e32 v20, 0x3fb8aa3b, v20
	v_sub_f32_e32 v21, v27, v26
	v_exp_f32_e32 v20, v20
	v_mul_f32_e32 v21, 0x3fb8aa3b, v21
	v_sub_f32_e32 v23, v28, v26
	v_exp_f32_e32 v21, v21
	v_mul_f32_e32 v23, 0x3fb8aa3b, v23
	v_sub_f32_e32 v27, v29, v26
	v_exp_f32_e32 v23, v23
	v_mul_f32_e32 v27, 0x3fb8aa3b, v27
	v_exp_f32_e32 v27, v27
	v_cndmask_b32_e32 v20, 0, v20, vcc
	v_add_f32_e32 v22, 0, v20
	v_cndmask_b32_e64 v21, 0, v21, s[0:1]
	v_add_f32_e32 v28, v22, v21
	v_cndmask_b32_e64 v22, 0, v23, s[4:5]
	;; [unrolled: 2-line block ×3, first 2 shown]
	v_add_f32_e32 v27, v28, v23
	;;#ASMSTART
	v_nop
 v_nop
 v_add_f32_dpp v27, v27, v27 row_ror:4
	;;#ASMEND
	v_cmp_gt_u32_e32 vcc, 4, v24
	;;#ASMSTART
	v_nop
 v_nop
 v_add_f32_dpp v27, v27, v27 row_ror:8
	;;#ASMEND
	ds_bpermute_b32 v19, v19, v27
	s_waitcnt lgkmcnt(0)
	;;#ASMSTART
	v_nop
 v_nop
 v_add_f32_dpp v19, v19, v19 row_ror:4
	;;#ASMEND
	s_nop 0
	;;#ASMSTART
	v_nop
 v_nop
 v_add_f32_dpp v19, v19, v19 row_ror:8
	;;#ASMEND
	s_and_saveexec_b64 s[0:1], vcc
	s_cbranch_execz .LBB891_12
; %bb.11:
	v_mul_u32_u24_e32 v27, 20, v1
	v_lshl_add_u32 v27, v25, 2, v27
	v_add_u32_e32 v27, 0x800, v27
	ds_write2_b32 v27, v26, v19 offset0:128 offset1:148
.LBB891_12:
	s_or_b64 exec, exec, s[0:1]
.LBB891_13:
	s_or_b64 exec, exec, s[30:31]
	v_lshlrev_b32_e32 v19, 2, v25
	v_add_u32_e32 v19, 0x800, v19
	s_waitcnt lgkmcnt(0)
	s_barrier
	s_load_dword s0, s[28:29], 0x8
	ds_read2_b32 v[28:29], v19 offset0:128 offset1:133
	ds_read2_b32 v[30:31], v19 offset0:138 offset1:143
	s_mov_b32 s4, 0xff7fffff
	s_mul_i32 s1, s2, s44
	ds_read2_b32 v[32:33], v19 offset0:148 offset1:153
	s_waitcnt lgkmcnt(0)
	v_max3_f32 v25, v28, s4, v29
	s_mul_i32 s1, s1, s0
	v_max3_f32 v25, v25, v30, v31
	s_lshl_b32 s0, s1, 2
	s_mov_b32 s1, 0
	v_sub_f32_e32 v27, v28, v25
	v_sub_f32_e32 v28, v29, v25
	s_lshl_b64 s[2:3], s[0:1], 2
	v_mul_f32_e32 v27, 0x3fb8aa3b, v27
	v_mul_f32_e32 v28, 0x3fb8aa3b, v28
	s_mov_b32 s25, s1
	s_add_u32 s1, s12, s2
	v_exp_f32_e32 v27, v27
	v_exp_f32_e32 v34, v28
	ds_read2_b32 v[28:29], v19 offset0:158 offset1:163
	v_sub_f32_e32 v19, v30, v25
	s_addc_u32 s8, s13, s3
	v_mul_f32_e32 v19, 0x3fb8aa3b, v19
	v_sub_f32_e32 v30, v31, v25
	s_add_u32 s4, s14, s2
	v_exp_f32_e32 v19, v19
	v_mul_f32_e32 v30, 0x3fb8aa3b, v30
	s_addc_u32 s5, s15, s3
	s_lshl_b64 s[2:3], s[24:25], 2
	v_exp_f32_e32 v30, v30
	s_add_u32 s4, s4, s2
	v_fma_f32 v27, v27, v32, 0
	s_addc_u32 s5, s5, s3
	v_fmac_f32_e32 v27, v34, v33
	s_waitcnt lgkmcnt(0)
	v_fmac_f32_e32 v27, v19, v28
	s_add_u32 s2, s1, s2
	v_mul_lo_u32 v18, s44, v18
	v_mov_b32_e32 v19, 0
	v_fmac_f32_e32 v27, v30, v29
	s_addc_u32 s3, s8, s3
	v_lshlrev_b64 v[28:29], 2, v[18:19]
	v_lshl_add_u64 v[30:31], s[4:5], 0, v[28:29]
	v_lshl_add_u64 v[28:29], s[2:3], 0, v[28:29]
	v_mov_b32_e32 v18, v19
	global_store_dword v[30:31], v25, off
	global_store_dword v[28:29], v27, off
	s_and_saveexec_b64 s[2:3], s[6:7]
	s_cbranch_execz .LBB891_15
; %bb.14:
	v_add_f32_e32 v18, 0x358637bd, v27
	v_div_scale_f32 v19, s[4:5], v18, v18, 1.0
	v_rcp_f32_e32 v27, v19
	v_div_scale_f32 v28, vcc, 1.0, v18, 1.0
	v_sub_f32_e32 v25, v26, v25
	v_fma_f32 v29, -v19, v27, 1.0
	v_fmac_f32_e32 v27, v29, v27
	v_mul_f32_e32 v29, v28, v27
	v_fma_f32 v30, -v19, v29, v28
	v_mul_f32_e32 v25, 0x3fb8aa3b, v25
	v_fmac_f32_e32 v29, v30, v27
	v_exp_f32_e32 v25, v25
	v_fma_f32 v19, -v19, v29, v28
	v_div_fmas_f32 v19, v19, v27, v29
	v_div_fixup_f32 v18, v19, v18, 1.0
	v_mul_f32_e32 v18, v25, v18
	v_pk_mul_f32 v[22:23], v[22:23], v[18:19] op_sel_hi:[1,0]
	v_pk_mul_f32 v[18:19], v[20:21], v[18:19] op_sel_hi:[1,0]
	v_cvt_f16_f32_e32 v22, v22
	v_cvt_f16_f32_e32 v18, v18
	;; [unrolled: 1-line block ×4, first 2 shown]
	s_waitcnt vmcnt(4)
	v_cvt_pk_f32_fp8_e32 v[20:21], v14
	v_cvt_pk_f32_fp8_e32 v[26:27], v15
	v_pack_b32_f16 v18, v18, v19
	v_pack_b32_f16 v19, v22, v23
	v_cvt_pk_f32_fp8_sdwa v[22:23], v14 src0_sel:WORD_1
	v_cvt_pkrtz_f16_f32 v14, v20, v21
	v_cvt_pk_f32_fp8_sdwa v[20:21], v15 src0_sel:WORD_1
	s_load_dword s4, s[10:11], 0x0
	v_cvt_pkrtz_f16_f32 v15, v22, v23
	v_cvt_pkrtz_f16_f32 v22, v26, v27
	;; [unrolled: 1-line block ×3, first 2 shown]
	v_mfma_f32_4x4x4_16b_f16 a[0:3], v[18:19], v[14:15], 0 cbsz:4
	v_cvt_pk_f32_fp8_e32 v[14:15], v16
	v_cvt_pk_f32_fp8_sdwa v[20:21], v16 src0_sel:WORD_1
	v_mfma_f32_4x4x4_16b_f16 a[0:3], v[18:19], v[22:23], a[0:3] cbsz:4 abid:1
	v_cvt_pk_f32_fp8_e32 v[22:23], v17
	v_cvt_pk_f32_fp8_sdwa v[16:17], v17 src0_sel:WORD_1
	v_cvt_pkrtz_f16_f32 v14, v14, v15
	v_cvt_pkrtz_f16_f32 v15, v20, v21
	;; [unrolled: 1-line block ×4, first 2 shown]
	v_mfma_f32_4x4x4_16b_f16 a[0:3], v[18:19], v[14:15], a[0:3] cbsz:4 abid:2
	v_cvt_pk_f32_fp8_e32 v[14:15], v6
	v_cvt_pk_f32_fp8_sdwa v[16:17], v6 src0_sel:WORD_1
	v_mfma_f32_4x4x4_16b_f16 a[0:3], v[18:19], v[20:21], a[0:3] cbsz:4 abid:3
	v_cvt_pk_f32_fp8_e32 v[20:21], v7
	v_cvt_pkrtz_f16_f32 v6, v14, v15
	v_cvt_pk_f32_fp8_sdwa v[14:15], v7 src0_sel:WORD_1
	v_cvt_pkrtz_f16_f32 v7, v16, v17
	v_cvt_pkrtz_f16_f32 v16, v20, v21
	s_mov_b32 s1, 0x5040100
	v_mfma_f32_4x4x4_16b_f16 a[0:3], v[18:19], v[6:7], a[0:3] cbsz:4 abid:4
	v_cvt_pkrtz_f16_f32 v17, v14, v15
	v_cvt_pk_f32_fp8_e32 v[6:7], v8
	v_cvt_pk_f32_fp8_sdwa v[14:15], v8 src0_sel:WORD_1
	v_mfma_f32_4x4x4_16b_f16 a[0:3], v[18:19], v[16:17], a[0:3] cbsz:4 abid:5
	v_cvt_pk_f32_fp8_e32 v[16:17], v9
	v_cvt_pk_f32_fp8_sdwa v[8:9], v9 src0_sel:WORD_1
	v_cvt_pkrtz_f16_f32 v6, v6, v7
	v_cvt_pkrtz_f16_f32 v7, v14, v15
	v_cvt_pkrtz_f16_f32 v14, v16, v17
	v_cvt_pkrtz_f16_f32 v15, v8, v9
	v_mfma_f32_4x4x4_16b_f16 a[0:3], v[18:19], v[6:7], a[0:3] cbsz:4 abid:6
	s_waitcnt vmcnt(2)
	v_cvt_pk_f32_fp8_e32 v[6:7], v10
	v_cvt_pk_f32_fp8_sdwa v[8:9], v10 src0_sel:WORD_1
	v_mfma_f32_4x4x4_16b_f16 a[0:3], v[18:19], v[14:15], a[0:3] cbsz:4 abid:7
	v_cvt_pk_f32_fp8_e32 v[14:15], v11
	v_cvt_pk_f32_fp8_sdwa v[10:11], v11 src0_sel:WORD_1
	v_cvt_pkrtz_f16_f32 v6, v6, v7
	v_cvt_pkrtz_f16_f32 v7, v8, v9
	;; [unrolled: 1-line block ×4, first 2 shown]
	v_mfma_f32_4x4x4_16b_f16 a[0:3], v[18:19], v[6:7], a[0:3] cbsz:4 abid:8
	v_cvt_pk_f32_fp8_e32 v[6:7], v12
	v_cvt_pk_f32_fp8_e32 v[10:11], v13
	v_mfma_f32_4x4x4_16b_f16 a[0:3], v[18:19], v[8:9], a[0:3] cbsz:4 abid:9
	v_cvt_pk_f32_fp8_sdwa v[8:9], v12 src0_sel:WORD_1
	v_cvt_pk_f32_fp8_sdwa v[12:13], v13 src0_sel:WORD_1
	v_cvt_pkrtz_f16_f32 v6, v6, v7
	v_cvt_pkrtz_f16_f32 v7, v8, v9
	v_cvt_pkrtz_f16_f32 v8, v10, v11
	s_nop 0
	v_mfma_f32_4x4x4_16b_f16 a[0:3], v[18:19], v[6:7], a[0:3] cbsz:4 abid:10
	v_cvt_pk_f32_fp8_e32 v[6:7], v2
	v_cvt_pkrtz_f16_f32 v9, v12, v13
	v_cvt_pk_f32_fp8_e32 v[10:11], v3
	s_nop 0
	v_mfma_f32_4x4x4_16b_f16 a[0:3], v[18:19], v[8:9], a[0:3] cbsz:4 abid:11
	v_cvt_pk_f32_fp8_sdwa v[8:9], v2 src0_sel:WORD_1
	v_cvt_pkrtz_f16_f32 v2, v6, v7
	v_cvt_pk_f32_fp8_sdwa v[6:7], v3 src0_sel:WORD_1
	v_cvt_pkrtz_f16_f32 v3, v8, v9
	v_cvt_pkrtz_f16_f32 v8, v10, v11
	s_nop 0
	v_mfma_f32_4x4x4_16b_f16 a[0:3], v[18:19], v[2:3], a[0:3] cbsz:4 abid:12
	v_cvt_pkrtz_f16_f32 v9, v6, v7
	v_cvt_pk_f32_fp8_e32 v[2:3], v4
	v_cvt_pk_f32_fp8_sdwa v[6:7], v4 src0_sel:WORD_1
	v_mfma_f32_4x4x4_16b_f16 a[0:3], v[18:19], v[8:9], a[0:3] cbsz:4 abid:13
	v_cvt_pk_f32_fp8_e32 v[8:9], v5
	v_cvt_pk_f32_fp8_sdwa v[4:5], v5 src0_sel:WORD_1
	v_cvt_pkrtz_f16_f32 v2, v2, v3
	v_cvt_pkrtz_f16_f32 v3, v6, v7
	v_cvt_pkrtz_f16_f32 v6, v8, v9
	v_cvt_pkrtz_f16_f32 v7, v4, v5
	v_mfma_f32_4x4x4_16b_f16 a[0:3], v[18:19], v[2:3], a[0:3] cbsz:4 abid:14
	s_nop 1
	v_mfma_f32_4x4x4_16b_f16 a[0:3], v[18:19], v[6:7], a[0:3] cbsz:4 abid:15
	s_nop 4
	v_accvgpr_read_b32 v5, a1
	v_accvgpr_read_b32 v3, a3
	;; [unrolled: 1-line block ×4, first 2 shown]
	s_waitcnt lgkmcnt(0)
	v_pk_mul_f32 v[2:3], v[2:3], s[4:5] op_sel_hi:[1,0]
	v_pk_mul_f32 v[4:5], v[4:5], s[4:5] op_sel_hi:[1,0]
	v_cvt_f16_f32_e32 v2, v2
	v_cvt_f16_f32_e32 v4, v4
	;; [unrolled: 1-line block ×4, first 2 shown]
	v_perm_b32 v18, v5, v4, s1
	v_perm_b32 v19, v3, v2, s1
.LBB891_15:
	s_or_b64 exec, exec, s[2:3]
	v_lshlrev_b32_e32 v1, 3, v1
	v_mad_u32_u24 v1, v24, 40, v1
	v_cmp_gt_u32_e32 vcc, 64, v0
	ds_write_b64 v1, v[18:19]
	s_waitcnt lgkmcnt(0)
	s_barrier
	s_and_saveexec_b64 s[2:3], vcc
	s_cbranch_execz .LBB891_17
; %bb.16:
	v_mul_u32_u24_e32 v1, 40, v24
	s_waitcnt vmcnt(3)
	ds_read2_b64 v[2:5], v1 offset1:1
	ds_read2_b64 v[6:9], v1 offset0:2 offset1:3
	s_mov_b32 s1, 0
	s_lshl_b32 s0, s0, 6
	s_lshl_b64 s[2:3], s[0:1], 1
	s_add_u32 s2, s26, s2
	s_addc_u32 s3, s27, s3
	s_lshl_b32 s0, s24, 6
	s_lshl_b64 s[0:1], s[0:1], 1
	s_waitcnt lgkmcnt(1)
	v_pk_add_f16 v1, v2, 0
	v_pk_add_f16 v2, v3, 0
	s_add_u32 s0, s2, s0
	v_pk_add_f16 v2, v2, v5
	s_addc_u32 s1, s3, s1
	s_lshl_b32 s2, s44, 6
	v_pk_add_f16 v1, v1, v4
	s_waitcnt lgkmcnt(0)
	v_pk_add_f16 v2, v2, v7
	s_mul_i32 s3, s2, s33
	v_pk_add_f16 v1, v1, v6
	v_pk_add_f16 v6, v2, v9
	v_or_b32_e32 v2, s3, v0
	v_mov_b32_e32 v3, 0
	s_add_i32 s3, s3, s2
	v_pk_add_f16 v1, v1, v8
	v_lshl_add_u64 v[4:5], v[2:3], 1, s[0:1]
	v_or_b32_e32 v2, s3, v0
	s_add_i32 s3, s3, s2
	global_store_short v[4:5], v1, off
	v_lshl_add_u64 v[4:5], v[2:3], 1, s[0:1]
	v_or_b32_e32 v2, s3, v0
	s_add_i32 s3, s3, s2
	global_store_short_d16_hi v[4:5], v1, off
	v_lshl_add_u64 v[4:5], v[2:3], 1, s[0:1]
	v_or_b32_e32 v2, s3, v0
	v_lshl_add_u64 v[0:1], v[2:3], 1, s[0:1]
	global_store_short v[4:5], v6, off
	global_store_short_d16_hi v[0:1], v6, off
.LBB891_17:
	s_endpgm
.LBB891_18:
	s_mov_b64 s[8:9], 0
                                        ; implicit-def: $sgpr34_sgpr35
	s_branch .LBB891_2
	.section	.rodata,"a",@progbits
	.p2align	6, 0x0
	.amdhsa_kernel _Z38paged_attention_ll4mi_QKV_mfma4_kernelIDF16_hLN4vllm18Fp8KVCacheDataTypeE1EDF16_Li32ELi64ELi256ELb1ELi4EEvPKT_PKT0_S7_ifPKiS9_S9_iPKfiiiPfSC_PS2_PT2_iSB_SB_
		.amdhsa_group_segment_fixed_size 2720
		.amdhsa_private_segment_fixed_size 0
		.amdhsa_kernarg_size 400
		.amdhsa_user_sgpr_count 2
		.amdhsa_user_sgpr_dispatch_ptr 0
		.amdhsa_user_sgpr_queue_ptr 0
		.amdhsa_user_sgpr_kernarg_segment_ptr 1
		.amdhsa_user_sgpr_dispatch_id 0
		.amdhsa_user_sgpr_kernarg_preload_length 0
		.amdhsa_user_sgpr_kernarg_preload_offset 0
		.amdhsa_user_sgpr_private_segment_size 0
		.amdhsa_uses_dynamic_stack 0
		.amdhsa_enable_private_segment 0
		.amdhsa_system_sgpr_workgroup_id_x 1
		.amdhsa_system_sgpr_workgroup_id_y 1
		.amdhsa_system_sgpr_workgroup_id_z 1
		.amdhsa_system_sgpr_workgroup_info 0
		.amdhsa_system_vgpr_workitem_id 0
		.amdhsa_next_free_vgpr 88
		.amdhsa_next_free_sgpr 45
		.amdhsa_accum_offset 84
		.amdhsa_reserve_vcc 1
		.amdhsa_float_round_mode_32 0
		.amdhsa_float_round_mode_16_64 0
		.amdhsa_float_denorm_mode_32 3
		.amdhsa_float_denorm_mode_16_64 3
		.amdhsa_dx10_clamp 1
		.amdhsa_ieee_mode 1
		.amdhsa_fp16_overflow 0
		.amdhsa_tg_split 0
		.amdhsa_exception_fp_ieee_invalid_op 0
		.amdhsa_exception_fp_denorm_src 0
		.amdhsa_exception_fp_ieee_div_zero 0
		.amdhsa_exception_fp_ieee_overflow 0
		.amdhsa_exception_fp_ieee_underflow 0
		.amdhsa_exception_fp_ieee_inexact 0
		.amdhsa_exception_int_div_zero 0
	.end_amdhsa_kernel
	.section	.text._Z38paged_attention_ll4mi_QKV_mfma4_kernelIDF16_hLN4vllm18Fp8KVCacheDataTypeE1EDF16_Li32ELi64ELi256ELb1ELi4EEvPKT_PKT0_S7_ifPKiS9_S9_iPKfiiiPfSC_PS2_PT2_iSB_SB_,"axG",@progbits,_Z38paged_attention_ll4mi_QKV_mfma4_kernelIDF16_hLN4vllm18Fp8KVCacheDataTypeE1EDF16_Li32ELi64ELi256ELb1ELi4EEvPKT_PKT0_S7_ifPKiS9_S9_iPKfiiiPfSC_PS2_PT2_iSB_SB_,comdat
.Lfunc_end891:
	.size	_Z38paged_attention_ll4mi_QKV_mfma4_kernelIDF16_hLN4vllm18Fp8KVCacheDataTypeE1EDF16_Li32ELi64ELi256ELb1ELi4EEvPKT_PKT0_S7_ifPKiS9_S9_iPKfiiiPfSC_PS2_PT2_iSB_SB_, .Lfunc_end891-_Z38paged_attention_ll4mi_QKV_mfma4_kernelIDF16_hLN4vllm18Fp8KVCacheDataTypeE1EDF16_Li32ELi64ELi256ELb1ELi4EEvPKT_PKT0_S7_ifPKiS9_S9_iPKfiiiPfSC_PS2_PT2_iSB_SB_
                                        ; -- End function
	.section	.AMDGPU.csdata,"",@progbits
; Kernel info:
; codeLenInByte = 3828
; NumSgprs: 51
; NumVgprs: 82
; NumAgprs: 4
; TotalNumVgprs: 88
; ScratchSize: 0
; MemoryBound: 0
; FloatMode: 240
; IeeeMode: 1
; LDSByteSize: 2720 bytes/workgroup (compile time only)
; SGPRBlocks: 6
; VGPRBlocks: 10
; NumSGPRsForWavesPerEU: 51
; NumVGPRsForWavesPerEU: 88
; AccumOffset: 84
; Occupancy: 5
; WaveLimiterHint : 1
; COMPUTE_PGM_RSRC2:SCRATCH_EN: 0
; COMPUTE_PGM_RSRC2:USER_SGPR: 2
; COMPUTE_PGM_RSRC2:TRAP_HANDLER: 0
; COMPUTE_PGM_RSRC2:TGID_X_EN: 1
; COMPUTE_PGM_RSRC2:TGID_Y_EN: 1
; COMPUTE_PGM_RSRC2:TGID_Z_EN: 1
; COMPUTE_PGM_RSRC2:TIDIG_COMP_CNT: 0
; COMPUTE_PGM_RSRC3_GFX90A:ACCUM_OFFSET: 20
; COMPUTE_PGM_RSRC3_GFX90A:TG_SPLIT: 0
	.section	.text._Z39paged_attention_ll4mi_QKV_mfma16_kernelIDF16_hLN4vllm18Fp8KVCacheDataTypeE1EDF16_Li32ELi64ELi256ELb1ELi5EEvPKT_PKT0_S7_ifPKiS9_S9_iPKfiiiPfSC_PS2_PT2_iSB_SB_,"axG",@progbits,_Z39paged_attention_ll4mi_QKV_mfma16_kernelIDF16_hLN4vllm18Fp8KVCacheDataTypeE1EDF16_Li32ELi64ELi256ELb1ELi5EEvPKT_PKT0_S7_ifPKiS9_S9_iPKfiiiPfSC_PS2_PT2_iSB_SB_,comdat
	.protected	_Z39paged_attention_ll4mi_QKV_mfma16_kernelIDF16_hLN4vllm18Fp8KVCacheDataTypeE1EDF16_Li32ELi64ELi256ELb1ELi5EEvPKT_PKT0_S7_ifPKiS9_S9_iPKfiiiPfSC_PS2_PT2_iSB_SB_ ; -- Begin function _Z39paged_attention_ll4mi_QKV_mfma16_kernelIDF16_hLN4vllm18Fp8KVCacheDataTypeE1EDF16_Li32ELi64ELi256ELb1ELi5EEvPKT_PKT0_S7_ifPKiS9_S9_iPKfiiiPfSC_PS2_PT2_iSB_SB_
	.globl	_Z39paged_attention_ll4mi_QKV_mfma16_kernelIDF16_hLN4vllm18Fp8KVCacheDataTypeE1EDF16_Li32ELi64ELi256ELb1ELi5EEvPKT_PKT0_S7_ifPKiS9_S9_iPKfiiiPfSC_PS2_PT2_iSB_SB_
	.p2align	8
	.type	_Z39paged_attention_ll4mi_QKV_mfma16_kernelIDF16_hLN4vllm18Fp8KVCacheDataTypeE1EDF16_Li32ELi64ELi256ELb1ELi5EEvPKT_PKT0_S7_ifPKiS9_S9_iPKfiiiPfSC_PS2_PT2_iSB_SB_,@function
_Z39paged_attention_ll4mi_QKV_mfma16_kernelIDF16_hLN4vllm18Fp8KVCacheDataTypeE1EDF16_Li32ELi64ELi256ELb1ELi5EEvPKT_PKT0_S7_ifPKiS9_S9_iPKfiiiPfSC_PS2_PT2_iSB_SB_: ; @_Z39paged_attention_ll4mi_QKV_mfma16_kernelIDF16_hLN4vllm18Fp8KVCacheDataTypeE1EDF16_Li32ELi64ELi256ELb1ELi5EEvPKT_PKT0_S7_ifPKiS9_S9_iPKfiiiPfSC_PS2_PT2_iSB_SB_
; %bb.0:
	s_load_dwordx2 s[6:7], s[0:1], 0x30
	s_mov_b32 s28, s3
	s_mov_b64 s[8:9], 0
	s_waitcnt lgkmcnt(0)
	s_cmp_lg_u64 s[6:7], 0
	s_cselect_b64 s[10:11], -1, 0
	s_and_b64 vcc, exec, s[10:11]
	s_cbranch_vccz .LBB892_7
; %bb.1:
	s_add_i32 s12, s2, 1
	s_mov_b32 s13, 0
	s_lshl_b64 s[14:15], s[12:13], 2
	s_add_u32 s14, s6, s14
	s_mov_b32 s3, s13
	s_addc_u32 s15, s7, s15
	s_lshl_b64 s[12:13], s[2:3], 2
	s_add_u32 s12, s6, s12
	s_addc_u32 s13, s7, s13
	s_load_dword s5, s[14:15], 0x0
	s_load_dword s16, s[12:13], 0x0
	s_waitcnt lgkmcnt(0)
	s_sub_i32 s5, s5, s16
	s_cmp_eq_u32 s5, 1
	s_cselect_b64 s[12:13], -1, 0
	s_andn2_b64 vcc, exec, s[8:9]
	s_cbranch_vccnz .LBB892_3
.LBB892_2:
	s_mov_b32 s3, 0
	s_mov_b64 s[12:13], -1
.LBB892_3:
	s_andn2_b64 vcc, exec, s[12:13]
	s_cbranch_vccnz .LBB892_20
; %bb.4:
	s_load_dwordx2 s[8:9], s[0:1], 0x28
	s_lshl_b64 s[12:13], s[2:3], 2
	s_waitcnt lgkmcnt(0)
	s_add_u32 s8, s8, s12
	s_addc_u32 s9, s9, s13
	s_load_dword s29, s[8:9], 0x0
	s_lshl_b32 s16, s28, 8
	s_waitcnt lgkmcnt(0)
	s_cmp_ge_i32 s16, s29
	s_cbranch_scc1 .LBB892_20
; %bb.5:
	s_load_dwordx2 s[8:9], s[0:1], 0x20
	s_load_dword s5, s[0:1], 0x38
	s_add_i32 s14, s29, 31
	s_ashr_i32 s15, s14, 31
	v_and_b32_e32 v1, 0xcf, v0
	s_lshr_b32 s15, s15, 27
	v_add_u32_e32 v1, s16, v1
	s_add_i32 s14, s14, s15
	v_ashrrev_i32_e32 v2, 31, v1
	s_ashr_i32 s17, s14, 5
	v_lshrrev_b32_e32 v4, 27, v2
	s_add_i32 s17, s17, -1
	s_waitcnt lgkmcnt(0)
	s_mul_i32 s14, s2, s5
	s_mov_b32 s15, 0
	v_add_u32_e32 v2, v1, v4
	s_lshl_b64 s[14:15], s[14:15], 2
	v_ashrrev_i32_e32 v2, 5, v2
	v_mov_b32_e32 v5, s17
	v_cmp_gt_i32_e32 vcc, s29, v1
	s_add_u32 s8, s8, s14
	s_addc_u32 s9, s9, s15
	v_cndmask_b32_e32 v2, v5, v2, vcc
	v_ashrrev_i32_e32 v3, 31, v2
	v_lshl_add_u64 v[6:7], v[2:3], 2, s[8:9]
	v_or_b32_e32 v2, 16, v1
	v_add_u32_e32 v3, v2, v4
	v_ashrrev_i32_e32 v3, 5, v3
	v_cmp_gt_i32_e32 vcc, s29, v2
	s_load_dwordx2 s[14:15], s[0:1], 0x8
	s_nop 0
	v_cndmask_b32_e32 v2, v5, v3, vcc
	v_ashrrev_i32_e32 v3, 31, v2
	v_lshl_add_u64 v[8:9], v[2:3], 2, s[8:9]
	v_or_b32_e32 v2, 32, v1
	v_add_u32_e32 v3, v2, v4
	v_ashrrev_i32_e32 v3, 5, v3
	v_cmp_gt_i32_e32 vcc, s29, v2
	v_or_b32_e32 v1, 48, v1
	s_nop 0
	v_cndmask_b32_e32 v2, v5, v3, vcc
	v_ashrrev_i32_e32 v3, 31, v2
	v_lshl_add_u64 v[10:11], v[2:3], 2, s[8:9]
	v_add_u32_e32 v2, v1, v4
	v_ashrrev_i32_e32 v2, 5, v2
	v_cmp_gt_i32_e32 vcc, s29, v1
	s_nop 1
	v_cndmask_b32_e32 v2, v5, v2, vcc
	v_ashrrev_i32_e32 v3, 31, v2
	v_lshl_add_u64 v[12:13], v[2:3], 2, s[8:9]
	global_load_dword v5, v[6:7], off
	global_load_dword v4, v[8:9], off
	;; [unrolled: 1-line block ×4, first 2 shown]
	s_andn2_b64 vcc, exec, s[10:11]
	s_cbranch_vccnz .LBB892_8
; %bb.6:
	s_add_u32 s6, s6, s12
	s_addc_u32 s7, s7, s13
	s_load_dword s5, s[6:7], 0x0
	s_branch .LBB892_9
.LBB892_7:
	s_mov_b64 s[12:13], 0
	s_branch .LBB892_2
.LBB892_8:
	s_mov_b32 s5, s2
.LBB892_9:
	s_load_dwordx2 s[10:11], s[0:1], 0x10
	s_load_dwordx4 s[44:47], s[0:1], 0x48
	v_lshrrev_b32_e32 v29, 6, v0
	v_bfe_u32 v42, v0, 4, 2
	v_lshl_or_b32 v6, v29, 2, v42
	v_and_b32_e32 v28, 15, v0
	v_lshlrev_b32_e32 v1, 3, v28
	v_cmp_gt_u32_e32 vcc, 5, v6
	v_cmp_gt_u32_e64 s[30:31], 8, v28
	s_mul_i32 s48, s4, 5
	s_and_b64 s[12:13], s[30:31], vcc
	v_lshlrev_b32_e32 v26, 1, v1
	v_lshlrev_b32_e32 v1, 4, v0
	s_and_saveexec_b64 s[6:7], s[12:13]
	s_cbranch_execz .LBB892_11
; %bb.10:
	s_load_dwordx2 s[12:13], s[0:1], 0x0
	s_waitcnt lgkmcnt(0)
	s_ashr_i32 s18, s44, 31
	s_mul_hi_u32 s19, s5, s44
	s_mul_i32 s18, s5, s18
	s_add_i32 s19, s19, s18
	s_mul_i32 s18, s5, s44
	s_lshl_b64 s[18:19], s[18:19], 1
	s_add_u32 s12, s12, s18
	v_add_lshl_u32 v8, v6, s48, 6
	s_addc_u32 s13, s13, s19
	v_ashrrev_i32_e32 v9, 31, v8
	v_lshl_add_u64 v[8:9], v[8:9], 1, s[12:13]
	v_mov_b32_e32 v27, 0
	v_lshl_add_u64 v[8:9], v[8:9], 0, v[26:27]
	global_load_dwordx4 v[8:11], v[8:9], off
	v_lshlrev_b32_e32 v12, 8, v28
	v_lshlrev_b32_e32 v6, 5, v6
	v_and_b32_e32 v7, 16, v1
	v_and_b32_e32 v12, 0xe00, v12
	v_or3_b32 v6, v12, v6, v7
	s_waitcnt vmcnt(0)
	ds_write_b128 v6, v[8:11]
.LBB892_11:
	s_or_b64 exec, exec, s[6:7]
	s_waitcnt lgkmcnt(0)
	s_mul_i32 s12, s4, s46
	s_add_u32 s4, s14, s12
	s_addc_u32 s5, s15, 0
	v_mov_b32_e32 v31, 0
	v_mov_b64_e32 v[6:7], s[4:5]
	v_lshlrev_b32_e32 v10, 4, v28
	v_and_b32_e32 v27, 48, v0
	s_waitcnt vmcnt(3)
	v_mad_i64_i32 v[8:9], s[4:5], v5, s45, v[6:7]
	v_mov_b32_e32 v11, v31
	s_waitcnt vmcnt(2)
	v_mad_i64_i32 v[4:5], s[4:5], v4, s45, v[6:7]
	v_or_b32_e32 v12, 0x100, v10
	v_mov_b32_e32 v13, v31
	v_lshlrev_b32_e32 v30, 5, v27
	v_lshl_add_u64 v[8:9], v[8:9], 0, v[10:11]
	v_lshl_add_u64 v[4:5], v[4:5], 0, v[12:13]
	;; [unrolled: 1-line block ×4, first 2 shown]
	s_barrier
	global_load_dwordx4 v[22:25], v[8:9], off
	global_load_dwordx4 v[18:21], v[4:5], off
	s_waitcnt vmcnt(3)
	v_mad_i64_i32 v[4:5], s[4:5], v3, s45, v[6:7]
	v_lshl_add_u64 v[4:5], v[4:5], 0, v[10:11]
	s_waitcnt vmcnt(2)
	v_mad_i64_i32 v[2:3], s[4:5], v2, s45, v[6:7]
	v_lshl_add_u64 v[4:5], v[4:5], 0, v[30:31]
	v_lshl_add_u64 v[2:3], v[2:3], 0, v[12:13]
	;; [unrolled: 1-line block ×3, first 2 shown]
	global_load_dwordx4 v[14:17], v[4:5], off
	global_load_dwordx4 v[6:9], v[2:3], off
	v_mul_lo_u16_e32 v2, 52, v28
	v_mov_b32_e32 v3, 5
	v_mul_lo_u16_sdwa v2, v2, v3 dst_sel:DWORD dst_unused:UNUSED_PAD src0_sel:BYTE_1 src1_sel:DWORD
	v_sub_u16_e32 v2, v28, v2
	v_lshlrev_b32_sdwa v2, v3, v2 dst_sel:DWORD dst_unused:UNUSED_PAD src0_sel:DWORD src1_sel:BYTE_0
	v_lshl_add_u32 v2, v42, 9, v2
	ds_read_b128 v[10:13], v2
	ds_read_b128 v[2:5], v2 offset:16
	v_and_b32_e32 v43, 63, v0
	v_cmp_gt_u32_e32 vcc, 5, v28
	v_mov_b32_e32 v44, 0
	s_and_saveexec_b64 s[4:5], vcc
	s_cbranch_execz .LBB892_13
; %bb.12:
	s_load_dwordx2 s[6:7], s[0:1], 0x40
	v_add_u32_e32 v32, s48, v28
	v_ashrrev_i32_e32 v33, 31, v32
	s_waitcnt lgkmcnt(0)
	v_lshl_add_u64 v[32:33], v[32:33], 2, s[6:7]
	global_load_dword v44, v[32:33], off
.LBB892_13:
	s_or_b64 exec, exec, s[4:5]
	s_ashr_i32 s4, s16, 31
	v_or_b32_e32 v45, s16, v27
	s_lshr_b32 s13, s4, 27
	v_add_u32_e32 v27, s13, v45
	v_ashrrev_i32_e32 v27, 5, v27
	s_waitcnt vmcnt(3)
	v_cvt_pk_f32_fp8_e32 v[32:33], v22
	v_cvt_pk_f32_fp8_sdwa v[34:35], v22 src0_sel:WORD_1
	s_waitcnt vmcnt(2)
	v_cvt_pk_f32_fp8_e32 v[56:57], v20
	v_cvt_pk_f32_fp8_sdwa v[58:59], v20 src0_sel:WORD_1
	v_mov_b32_e32 v20, s17
	v_cmp_gt_i32_e32 vcc, s29, v45
	v_cvt_pk_f32_fp8_e32 v[48:49], v18
	v_cvt_pk_f32_fp8_sdwa v[50:51], v18 src0_sel:WORD_1
	v_cndmask_b32_e32 v18, v20, v27, vcc
	v_cvt_pk_f32_fp8_e32 v[52:53], v19
	v_cvt_pk_f32_fp8_sdwa v[54:55], v19 src0_sel:WORD_1
	v_ashrrev_i32_e32 v19, 31, v18
	v_lshl_add_u64 v[18:19], v[18:19], 2, s[8:9]
	v_cvt_pk_f32_fp8_e32 v[36:37], v23
	v_cvt_pk_f32_fp8_sdwa v[22:23], v23 src0_sel:WORD_1
	global_load_dword v70, v[18:19], off
	v_cvt_pkrtz_f16_f32 v18, v32, v33
	v_cvt_pkrtz_f16_f32 v19, v34, v35
	v_cvt_pk_f32_fp8_e32 v[60:61], v21
	v_cvt_pk_f32_fp8_sdwa v[62:63], v21 src0_sel:WORD_1
	v_or_b32_e32 v21, 64, v45
	v_or_b32_e32 v32, 0x80, v45
	v_or_b32_e32 v33, 0xc0, v45
	v_cmp_gt_i32_e32 vcc, s29, v21
	v_add_u32_e32 v21, s13, v21
	v_cmp_gt_i32_e64 s[4:5], s29, v32
	v_add_u32_e32 v32, s13, v32
	v_cmp_gt_i32_e64 s[6:7], s29, v33
	v_add_u32_e32 v33, s13, v33
	v_cvt_pk_f32_fp8_e32 v[38:39], v24
	v_cvt_pk_f32_fp8_sdwa v[40:41], v24 src0_sel:WORD_1
	v_ashrrev_i32_e32 v21, 5, v21
	v_ashrrev_i32_e32 v34, 5, v32
	;; [unrolled: 1-line block ×3, first 2 shown]
	v_cvt_pkrtz_f16_f32 v32, v36, v37
	v_cvt_pkrtz_f16_f32 v33, v22, v23
	v_cndmask_b32_e32 v36, v20, v21, vcc
	v_cndmask_b32_e64 v64, v20, v34, s[4:5]
	v_cndmask_b32_e64 v66, v20, v35, s[6:7]
	s_waitcnt lgkmcnt(1)
	v_mfma_f32_16x16x16_f16 v[18:21], v[18:19], v[10:11], 0
	v_cvt_pk_f32_fp8_e32 v[46:47], v25
	v_cvt_pkrtz_f16_f32 v22, v48, v49
	v_cvt_pkrtz_f16_f32 v23, v50, v51
	v_cvt_pk_f32_fp8_sdwa v[24:25], v25 src0_sel:WORD_1
	v_cvt_pkrtz_f16_f32 v38, v38, v39
	v_cvt_pkrtz_f16_f32 v39, v40, v41
	v_mfma_f32_16x16x16_f16 v[32:35], v[32:33], v[12:13], v[18:21]
	s_add_u32 s10, s10, s12
	v_and_b32_e32 v30, 16, v0
	v_lshlrev_b32_e32 v27, 5, v28
	s_addc_u32 s11, s11, 0
	v_cvt_pkrtz_f16_f32 v68, v46, v47
	v_cvt_pkrtz_f16_f32 v46, v52, v53
	;; [unrolled: 1-line block ×3, first 2 shown]
	s_load_dword s14, s[0:1], 0x1c
	s_load_dwordx4 s[40:43], s[0:1], 0x80
	v_lshl_add_u64 v[40:41], s[10:11], 0, v[30:31]
	v_lshl_or_b32 v30, v29, 9, v27
	v_cvt_pkrtz_f16_f32 v69, v24, v25
	v_mfma_f32_16x16x16_f16 v[22:25], v[22:23], v[10:11], 0
	v_lshl_add_u64 v[18:19], v[40:41], 0, v[30:31]
	v_ashrrev_i32_e32 v37, 31, v36
	v_ashrrev_i32_e32 v65, 31, v64
	s_waitcnt lgkmcnt(0)
	v_mfma_f32_16x16x16_f16 v[30:33], v[38:39], v[2:3], v[32:35]
	v_ashrrev_i32_e32 v67, 31, v66
	v_cvt_pkrtz_f16_f32 v48, v56, v57
	v_cvt_pkrtz_f16_f32 v49, v58, v59
	v_mfma_f32_16x16x16_f16 v[20:23], v[46:47], v[12:13], v[22:25]
	v_lshl_add_u64 v[34:35], v[64:65], 2, s[8:9]
	s_load_dword s4, s[40:41], 0x0
	v_cvt_pkrtz_f16_f32 v50, v60, v61
	v_lshl_add_u64 v[24:25], v[36:37], 2, s[8:9]
	v_lshl_add_u64 v[36:37], v[66:67], 2, s[8:9]
	global_load_dword v47, v[24:25], off
	global_load_dword v45, v[34:35], off
	;; [unrolled: 1-line block ×3, first 2 shown]
	v_mfma_f32_16x16x16_f16 v[34:37], v[68:69], v[4:5], v[30:33]
	s_waitcnt vmcnt(5)
	v_cvt_pk_f32_fp8_e32 v[24:25], v14
	v_cvt_pkrtz_f16_f32 v51, v62, v63
	v_cvt_pk_f32_fp8_e32 v[38:39], v15
	v_cvt_pk_f32_fp8_sdwa v[32:33], v14 src0_sel:WORD_1
	v_mfma_f32_16x16x16_f16 v[20:23], v[48:49], v[2:3], v[20:23]
	v_cvt_pkrtz_f16_f32 v24, v24, v25
	v_cvt_pk_f32_fp8_sdwa v[14:15], v15 src0_sel:WORD_1
	v_cvt_pkrtz_f16_f32 v25, v32, v33
	v_mov_b32_e32 v40, s14
	v_mfma_f32_16x16x16_f16 v[20:23], v[50:51], v[4:5], v[20:23]
	v_cvt_pkrtz_f16_f32 v32, v38, v39
	v_cvt_pk_f32_fp8_e32 v[50:51], v16
	v_cvt_pk_f32_fp8_sdwa v[52:53], v16 src0_sel:WORD_1
	v_cvt_pkrtz_f16_f32 v33, v14, v15
	s_waitcnt lgkmcnt(0)
	v_mul_f32_e32 v48, s4, v40
	v_mfma_f32_16x16x16_f16 v[38:41], v[24:25], v[10:11], 0
	v_cvt_pkrtz_f16_f32 v24, v50, v51
	v_cvt_pkrtz_f16_f32 v25, v52, v53
	v_cvt_pk_f32_fp8_e32 v[50:51], v17
	v_cvt_pk_f32_fp8_sdwa v[52:53], v17 src0_sel:WORD_1
	v_mfma_f32_16x16x16_f16 v[14:17], v[32:33], v[12:13], v[38:41]
	v_pk_mul_f32 v[32:33], v[48:49], v[36:37] op_sel_hi:[0,1]
	v_cvt_pkrtz_f16_f32 v36, v50, v51
	v_cvt_pkrtz_f16_f32 v37, v52, v53
	v_mfma_f32_16x16x16_f16 v[14:17], v[24:25], v[2:3], v[14:17]
	v_pk_mul_f32 v[38:39], v[48:49], v[34:35] op_sel_hi:[0,1]
	s_waitcnt vmcnt(4)
	v_cvt_pk_f32_fp8_e32 v[24:25], v6
	v_cvt_pk_f32_fp8_sdwa v[34:35], v6 src0_sel:WORD_1
	v_mfma_f32_16x16x16_f16 v[14:17], v[36:37], v[4:5], v[14:17]
	v_cvt_pk_f32_fp8_e32 v[36:37], v7
	v_cvt_pkrtz_f16_f32 v24, v24, v25
	v_cvt_pkrtz_f16_f32 v25, v34, v35
	v_cvt_pk_f32_fp8_sdwa v[6:7], v7 src0_sel:WORD_1
	v_cvt_pkrtz_f16_f32 v40, v36, v37
	v_cvt_pk_f32_fp8_e32 v[50:51], v8
	v_cvt_pk_f32_fp8_sdwa v[52:53], v8 src0_sel:WORD_1
	v_cvt_pkrtz_f16_f32 v41, v6, v7
	v_mfma_f32_16x16x16_f16 v[34:37], v[24:25], v[10:11], 0
	v_cvt_pkrtz_f16_f32 v10, v50, v51
	v_cvt_pkrtz_f16_f32 v11, v52, v53
	v_cvt_pk_f32_fp8_e32 v[24:25], v9
	v_cvt_pk_f32_fp8_sdwa v[50:51], v9 src0_sel:WORD_1
	v_mfma_f32_16x16x16_f16 v[6:9], v[40:41], v[12:13], v[34:37]
	v_pk_mul_f32 v[40:41], v[48:49], v[20:21] op_sel_hi:[0,1]
	v_cvt_pkrtz_f16_f32 v12, v24, v25
	v_cvt_pkrtz_f16_f32 v13, v50, v51
	v_mfma_f32_16x16x16_f16 v[6:9], v[10:11], v[2:3], v[6:9]
	v_pk_mul_f32 v[36:37], v[48:49], v[22:23] op_sel_hi:[0,1]
	v_pk_mul_f32 v[24:25], v[48:49], v[16:17] op_sel_hi:[0,1]
	;; [unrolled: 1-line block ×3, first 2 shown]
	v_mfma_f32_16x16x16_f16 v[2:5], v[12:13], v[4:5], v[6:9]
	s_waitcnt vmcnt(3)
	v_mad_i64_i32 v[30:31], s[4:5], v70, s45, v[18:19]
	s_mov_b32 s33, 0xff7fffff
	s_nop 3
	v_pk_mul_f32 v[22:23], v[48:49], v[2:3] op_sel_hi:[0,1]
	v_and_b32_e32 v2, 0xc0, v0
	v_add_u32_e32 v2, s16, v2
	v_lshl_or_b32 v2, v42, 2, v2
	v_or_b32_e32 v3, 1, v2
	v_pk_mul_f32 v[20:21], v[48:49], v[4:5] op_sel_hi:[0,1]
	v_subrev_u32_e32 v4, s29, v3
	v_add_u32_e32 v6, 1, v4
	v_add_u32_e32 v7, 2, v4
	;; [unrolled: 1-line block ×3, first 2 shown]
	v_cvt_f32_i32_e32 v6, v6
	v_cvt_f32_i32_e32 v7, v7
	;; [unrolled: 1-line block ×3, first 2 shown]
	v_add_u32_e32 v9, 19, v4
	v_fmac_f32_e32 v39, v44, v6
	v_fma_f32 v32, v44, v7, v32
	v_fmac_f32_e32 v33, v44, v8
	v_add_u32_e32 v6, 16, v4
	v_add_u32_e32 v7, 17, v4
	;; [unrolled: 1-line block ×3, first 2 shown]
	v_cvt_f32_i32_e32 v6, v6
	v_cvt_f32_i32_e32 v7, v7
	v_cvt_f32_i32_e32 v8, v8
	v_cvt_f32_i32_e32 v9, v9
	v_fma_f32 v40, v44, v6, v40
	v_fmac_f32_e32 v41, v44, v7
	v_fma_f32 v36, v44, v8, v36
	v_add_u32_e32 v6, 32, v4
	v_add_u32_e32 v7, 33, v4
	;; [unrolled: 1-line block ×3, first 2 shown]
	v_cvt_f32_i32_e32 v6, v6
	v_cvt_f32_i32_e32 v7, v7
	;; [unrolled: 1-line block ×4, first 2 shown]
	v_fmac_f32_e32 v37, v44, v9
	v_add_u32_e32 v9, 35, v4
	v_fma_f32 v48, v44, v6, v34
	v_fmac_f32_e32 v35, v44, v7
	v_fma_f32 v24, v44, v8, v24
	v_add_u32_e32 v6, 48, v4
	v_add_u32_e32 v7, 49, v4
	v_add_u32_e32 v8, 50, v4
	v_add_u32_e32 v4, 51, v4
	v_cvt_f32_i32_e32 v4, v4
	v_cvt_f32_i32_e32 v6, v6
	;; [unrolled: 1-line block ×3, first 2 shown]
	v_fma_f32 v5, v44, v5, v38
	v_fmac_f32_e32 v21, v44, v4
	v_mov_b32_e32 v4, 0xff7fffff
	v_cmp_gt_i32_e64 s[4:5], s29, v2
	v_cmp_gt_i32_e64 s[34:35], s29, v3
	v_fma_f32 v22, v44, v6, v22
	v_cndmask_b32_e64 v6, v4, v5, s[4:5]
	v_cndmask_b32_e64 v3, v4, v39, s[34:35]
	v_fmac_f32_e32 v23, v44, v7
	v_max3_f32 v3, v6, s33, v3
	v_or_b32_e32 v6, 2, v2
	v_or_b32_e32 v7, 3, v2
	v_cmp_gt_i32_e64 s[36:37], s29, v6
	v_cmp_gt_i32_e64 s[38:39], s29, v7
	v_cvt_f32_i32_e32 v9, v9
	v_cndmask_b32_e64 v6, v4, v32, s[36:37]
	v_cndmask_b32_e64 v7, v4, v33, s[38:39]
	v_max3_f32 v3, v3, v6, v7
	v_or_b32_e32 v6, 16, v2
	v_or_b32_e32 v7, 17, v2
	v_cmp_gt_i32_e64 s[24:25], s29, v6
	v_cmp_gt_i32_e64 s[26:27], s29, v7
	v_fmac_f32_e32 v25, v44, v9
	v_cndmask_b32_e64 v6, v4, v40, s[24:25]
	v_cndmask_b32_e64 v7, v4, v41, s[26:27]
	v_max3_f32 v3, v3, v6, v7
	v_or_b32_e32 v6, 18, v2
	v_or_b32_e32 v7, 19, v2
	v_cmp_gt_i32_e64 s[20:21], s29, v6
	v_cmp_gt_i32_e64 s[22:23], s29, v7
	v_cvt_f32_i32_e32 v8, v8
	v_cndmask_b32_e64 v6, v4, v36, s[20:21]
	v_cndmask_b32_e64 v7, v4, v37, s[22:23]
	v_max3_f32 v3, v3, v6, v7
	v_or_b32_e32 v6, 32, v2
	v_or_b32_e32 v7, 33, v2
	v_cmp_gt_i32_e64 s[16:17], s29, v6
	v_cmp_gt_i32_e64 s[18:19], s29, v7
	v_fma_f32 v20, v44, v8, v20
	v_cndmask_b32_e64 v6, v4, v48, s[16:17]
	v_cndmask_b32_e64 v7, v4, v35, s[18:19]
	v_max3_f32 v3, v3, v6, v7
	v_or_b32_e32 v6, 34, v2
	v_or_b32_e32 v7, 35, v2
	v_cmp_gt_i32_e64 s[12:13], s29, v6
	v_cmp_gt_i32_e64 s[14:15], s29, v7
	s_nop 0
	v_cndmask_b32_e64 v6, v4, v24, s[12:13]
	v_cndmask_b32_e64 v7, v4, v25, s[14:15]
	v_max3_f32 v3, v3, v6, v7
	v_or_b32_e32 v6, 48, v2
	v_or_b32_e32 v7, 49, v2
	v_cmp_gt_i32_e64 s[8:9], s29, v6
	v_cmp_gt_i32_e64 s[10:11], s29, v7
	s_nop 0
	v_cndmask_b32_e64 v6, v4, v22, s[8:9]
	v_cndmask_b32_e64 v7, v4, v23, s[10:11]
	v_max3_f32 v3, v3, v6, v7
	v_or_b32_e32 v6, 50, v2
	v_or_b32_e32 v2, 51, v2
	v_cmp_gt_i32_e32 vcc, s29, v6
	v_cmp_gt_i32_e64 s[6:7], s29, v2
	s_nop 0
	v_cndmask_b32_e32 v6, v4, v20, vcc
	v_cndmask_b32_e64 v2, v4, v21, s[6:7]
	v_max3_f32 v4, v3, v6, v2
	v_mbcnt_lo_u32_b32 v2, -1, 0
	v_mbcnt_hi_u32_b32 v6, -1, v2
	v_and_b32_e32 v2, 64, v6
	v_add_u32_e32 v7, 64, v2
	v_xor_b32_e32 v2, 32, v6
	v_cmp_lt_i32_e64 s[40:41], v2, v7
	s_nop 1
	v_cndmask_b32_e64 v2, v6, v2, s[40:41]
	v_lshlrev_b32_e32 v44, 2, v2
	ds_bpermute_b32 v8, v44, v4
	s_waitcnt vmcnt(2)
	v_mad_i64_i32 v[2:3], s[40:41], v47, s45, v[18:19]
	global_load_dwordx4 v[14:17], v[30:31], off
	global_load_dwordx4 v[10:13], v[2:3], off
	v_xor_b32_e32 v3, 16, v6
	v_cmp_lt_i32_e64 s[40:41], v3, v7
	s_waitcnt lgkmcnt(0)
	v_max_f32_e32 v2, v8, v8
	v_max_f32_e32 v2, v4, v2
	v_cndmask_b32_e64 v3, v6, v3, s[40:41]
	v_lshlrev_b32_e32 v47, 2, v3
	ds_bpermute_b32 v3, v47, v2
	s_waitcnt vmcnt(3)
	v_mad_i64_i32 v[30:31], s[40:41], v45, s45, v[18:19]
	s_waitcnt vmcnt(2)
	v_mad_i64_i32 v[18:19], s[40:41], v46, s45, v[18:19]
	s_waitcnt lgkmcnt(0)
	v_max_f32_e32 v3, v3, v3
	v_max_f32_e32 v34, v2, v3
	v_sub_f32_e32 v2, v5, v34
	v_mul_f32_e32 v2, 0x3fb8aa3b, v2
	v_exp_f32_e32 v38, v2
	v_sub_f32_e32 v2, v39, v34
	v_mul_f32_e32 v2, 0x3fb8aa3b, v2
	v_exp_f32_e32 v39, v2
	global_load_dwordx4 v[6:9], v[30:31], off
	global_load_dwordx4 v[2:5], v[18:19], off
	v_sub_f32_e32 v31, v32, v34
	v_sub_f32_e32 v32, v33, v34
	v_mul_f32_e32 v31, 0x3fb8aa3b, v31
	v_mul_f32_e32 v32, 0x3fb8aa3b, v32
	v_exp_f32_e32 v31, v31
	v_exp_f32_e32 v32, v32
	v_cndmask_b32_e64 v18, 0, v38, s[4:5]
	v_cndmask_b32_e64 v19, 0, v39, s[34:35]
	;; [unrolled: 1-line block ×4, first 2 shown]
	v_sub_f32_e32 v31, v40, v34
	v_sub_f32_e32 v32, v41, v34
	v_mul_f32_e32 v31, 0x3fb8aa3b, v31
	v_mul_f32_e32 v32, 0x3fb8aa3b, v32
	v_exp_f32_e32 v31, v31
	v_exp_f32_e32 v32, v32
	v_add_f32_e32 v30, 0, v18
	v_add_f32_e32 v30, v30, v19
	;; [unrolled: 1-line block ×4, first 2 shown]
	v_cndmask_b32_e64 v30, 0, v31, s[24:25]
	v_cndmask_b32_e64 v31, 0, v32, s[26:27]
	v_sub_f32_e32 v32, v36, v34
	v_mul_f32_e32 v32, 0x3fb8aa3b, v32
	v_exp_f32_e32 v32, v32
	v_sub_f32_e32 v36, v37, v34
	v_add_f32_e32 v33, v33, v30
	v_mul_f32_e32 v36, 0x3fb8aa3b, v36
	v_exp_f32_e32 v37, v36
	v_add_f32_e32 v33, v33, v31
	v_cndmask_b32_e64 v36, 0, v32, s[20:21]
	v_add_f32_e32 v32, v33, v36
	v_sub_f32_e32 v33, v48, v34
	v_mul_f32_e32 v33, 0x3fb8aa3b, v33
	v_sub_f32_e32 v35, v35, v34
	v_exp_f32_e32 v33, v33
	v_mul_f32_e32 v35, 0x3fb8aa3b, v35
	v_sub_f32_e32 v24, v24, v34
	v_exp_f32_e32 v35, v35
	;; [unrolled: 3-line block ×3, first 2 shown]
	v_mul_f32_e32 v25, 0x3fb8aa3b, v25
	v_sub_f32_e32 v22, v22, v34
	v_cndmask_b32_e64 v37, 0, v37, s[22:23]
	v_exp_f32_e32 v25, v25
	v_mul_f32_e32 v22, 0x3fb8aa3b, v22
	v_sub_f32_e32 v23, v23, v34
	v_add_f32_e32 v40, v32, v37
	v_cndmask_b32_e64 v32, 0, v33, s[16:17]
	v_exp_f32_e32 v22, v22
	v_mul_f32_e32 v23, 0x3fb8aa3b, v23
	v_sub_f32_e32 v20, v20, v34
	v_add_f32_e32 v40, v40, v32
	;; [unrolled: 5-line block ×3, first 2 shown]
	v_cndmask_b32_e64 v24, 0, v24, s[12:13]
	v_exp_f32_e32 v20, v20
	v_mul_f32_e32 v21, 0x3fb8aa3b, v21
	v_add_f32_e32 v35, v35, v24
	v_cndmask_b32_e64 v25, 0, v25, s[14:15]
	v_exp_f32_e32 v21, v21
	v_add_f32_e32 v35, v35, v25
	v_cndmask_b32_e64 v22, 0, v22, s[8:9]
	v_add_f32_e32 v35, v35, v22
	v_cndmask_b32_e64 v23, 0, v23, s[10:11]
	v_add_f32_e32 v35, v35, v23
	v_cndmask_b32_e32 v20, 0, v20, vcc
	v_add_f32_e32 v35, v35, v20
	v_cndmask_b32_e64 v21, 0, v21, s[6:7]
	v_add_f32_e32 v35, v35, v21
	ds_bpermute_b32 v40, v44, v35
	s_load_dword s9, s[0:1], 0x98
	v_cmp_gt_u32_e64 s[6:7], 16, v43
	s_waitcnt lgkmcnt(0)
	s_barrier
	v_add_f32_e32 v40, v35, v40
	ds_bpermute_b32 v41, v47, v40
	v_lshlrev_b32_e32 v35, 2, v28
	s_waitcnt lgkmcnt(0)
	s_and_saveexec_b64 s[4:5], s[6:7]
	s_cbranch_execz .LBB892_15
; %bb.14:
	v_add_f32_e32 v40, v40, v41
	v_lshl_or_b32 v41, v29, 6, v35
	ds_write2st64_b32 v41, v34, v40 offset1:1
.LBB892_15:
	s_or_b64 exec, exec, s[4:5]
	s_load_dword s8, s[0:1], 0x94
	s_waitcnt lgkmcnt(0)
	s_barrier
	ds_read2_b32 v[40:41], v35 offset1:16
	ds_read2_b32 v[44:45], v35 offset0:32 offset1:48
	ds_read2_b32 v[46:47], v35 offset0:64 offset1:80
	s_mul_i32 s9, s9, 5
	s_waitcnt lgkmcnt(2)
	v_max3_f32 v34, v40, s33, v41
	s_waitcnt lgkmcnt(1)
	v_max3_f32 v34, v34, v44, v45
	v_sub_f32_e32 v40, v40, v34
	v_mul_f32_e32 v40, 0x3fb8aa3b, v40
	v_exp_f32_e32 v43, v40
	v_sub_f32_e32 v40, v41, v34
	v_mul_f32_e32 v40, 0x3fb8aa3b, v40
	v_exp_f32_e32 v48, v40
	v_sub_f32_e32 v40, v44, v34
	v_mul_f32_e32 v40, 0x3fb8aa3b, v40
	v_exp_f32_e32 v44, v40
	ds_read2_b32 v[40:41], v35 offset0:96 offset1:112
	v_sub_f32_e32 v35, v45, v34
	v_mul_f32_e32 v35, 0x3fb8aa3b, v35
	v_exp_f32_e32 v45, v35
	s_waitcnt lgkmcnt(1)
	v_fma_f32 v35, v43, v46, 0
	v_fmac_f32_e32 v35, v48, v47
	s_waitcnt lgkmcnt(0)
	v_fmac_f32_e32 v35, v44, v40
	v_fmac_f32_e32 v35, v45, v41
	v_add_f32_e32 v40, 0x358637bd, v35
	v_div_scale_f32 v41, s[4:5], v40, v40, 1.0
	v_rcp_f32_e32 v46, v41
	s_barrier
	v_fma_f32 v47, -v41, v46, 1.0
	v_fmac_f32_e32 v46, v47, v46
	v_div_scale_f32 v47, vcc, 1.0, v40, 1.0
	v_mul_f32_e32 v49, v47, v46
	v_fma_f32 v50, -v41, v49, v47
	v_fmac_f32_e32 v49, v50, v46
	v_fma_f32 v41, -v41, v49, v47
	v_div_fmas_f32 v41, v41, v46, v49
	v_cmp_eq_u32_e32 vcc, 1, v29
	v_div_fixup_f32 v40, v41, v40, 1.0
	s_nop 0
	v_cndmask_b32_e32 v41, v43, v48, vcc
	v_cmp_eq_u32_e32 vcc, 2, v29
	s_nop 1
	v_cndmask_b32_e32 v41, v41, v44, vcc
	v_cmp_eq_u32_e32 vcc, 3, v29
	s_nop 1
	v_cndmask_b32_e32 v41, v41, v45, vcc
	v_mul_f32_e32 v40, v41, v40
	v_pk_mul_f32 v[38:39], v[40:41], v[38:39] op_sel_hi:[0,1]
	v_pk_mul_f32 v[18:19], v[40:41], v[18:19] op_sel_hi:[0,1]
	v_cvt_f16_f32_e32 v41, v38
	v_cvt_f16_f32_e32 v39, v39
	;; [unrolled: 1-line block ×4, first 2 shown]
	v_cmp_gt_u32_e32 vcc, 5, v0
	v_pack_b32_f16 v39, v41, v39
	v_lshlrev_b32_e32 v41, 3, v42
	v_pack_b32_f16 v38, v18, v19
	v_pk_mul_f32 v[18:19], v[40:41], v[36:37] op_sel_hi:[0,1]
	v_pk_mul_f32 v[30:31], v[40:41], v[30:31] op_sel_hi:[0,1]
	v_cvt_f16_f32_e32 v30, v30
	v_cvt_f16_f32_e32 v31, v31
	;; [unrolled: 1-line block ×4, first 2 shown]
	v_lshlrev_b32_e32 v18, 11, v29
	v_or3_b32 v18, v18, v27, v41
	v_pack_b32_f16 v30, v30, v31
	v_pack_b32_f16 v31, v36, v19
	ds_write2st64_b64 v18, v[38:39], v[30:31] offset1:1
	v_pk_mul_f32 v[24:25], v[40:41], v[24:25] op_sel_hi:[0,1]
	v_pk_mul_f32 v[30:31], v[40:41], v[32:33] op_sel_hi:[0,1]
	;; [unrolled: 1-line block ×4, first 2 shown]
	v_cvt_f16_f32_e32 v19, v30
	v_cvt_f16_f32_e32 v29, v31
	;; [unrolled: 1-line block ×8, first 2 shown]
	v_pack_b32_f16 v20, v19, v29
	v_pack_b32_f16 v21, v24, v25
	;; [unrolled: 1-line block ×4, first 2 shown]
	ds_write2st64_b64 v18, v[20:21], v[22:23] offset0:2 offset1:3
	s_and_saveexec_b64 s[4:5], vcc
	s_cbranch_execz .LBB892_17
; %bb.16:
	s_mov_b32 s49, 0
	v_mov_b32_e32 v29, 0
	v_lshl_add_u64 v[20:21], s[48:49], 0, v[28:29]
	v_mov_b32_e32 v19, s9
	v_mad_u64_u32 v[20:21], s[10:11], s2, v19, v[20:21]
	s_mul_i32 s3, s3, s9
	v_mov_b32_e32 v28, s28
	s_load_dwordx4 s[12:15], s[0:1], 0x58
	v_add_u32_e32 v19, s3, v21
	v_mad_u64_u32 v[20:21], s[10:11], v20, s8, v[28:29]
	v_mov_b32_e32 v22, v21
	v_mad_u64_u32 v[22:23], s[10:11], v19, s8, v[22:23]
	v_mov_b32_e32 v21, v22
	v_lshlrev_b64 v[20:21], 2, v[20:21]
	s_waitcnt lgkmcnt(0)
	v_lshl_add_u64 v[22:23], s[14:15], 0, v[20:21]
	v_lshl_add_u64 v[20:21], s[12:13], 0, v[20:21]
	global_store_dword v[22:23], v34, off
	global_store_dword v[20:21], v35, off
.LBB892_17:
	s_or_b64 exec, exec, s[4:5]
	s_waitcnt vmcnt(3)
	v_cvt_pk_f32_fp8_e32 v[20:21], v14
	v_cvt_pk_f32_fp8_sdwa v[22:23], v14 src0_sel:WORD_1
	v_lshl_or_b32 v14, v42, 9, v27
	s_waitcnt lgkmcnt(0)
	s_barrier
	v_cvt_pk_f32_fp8_e32 v[24:25], v15
	v_cvt_pkrtz_f16_f32 v32, v20, v21
	v_cvt_pkrtz_f16_f32 v33, v22, v23
	v_cvt_pk_f32_fp8_sdwa v[28:29], v15 src0_sel:WORD_1
	ds_read_b128 v[20:23], v14
	v_cvt_pkrtz_f16_f32 v24, v24, v25
	v_cvt_pk_f32_fp8_e32 v[36:37], v16
	v_cvt_pkrtz_f16_f32 v25, v28, v29
	ds_read_b128 v[28:31], v14 offset:16
	v_cvt_pk_f32_fp8_sdwa v[38:39], v16 src0_sel:WORD_1
	s_waitcnt lgkmcnt(1)
	v_mfma_f32_16x16x16_f16 v[32:35], v[32:33], v[20:21], 0
	v_cvt_pkrtz_f16_f32 v36, v36, v37
	s_load_dword s4, s[42:43], 0x0
	v_cvt_pkrtz_f16_f32 v37, v38, v39
	v_cvt_pk_f32_fp8_e32 v[38:39], v17
	v_cvt_pk_f32_fp8_sdwa v[16:17], v17 src0_sel:WORD_1
	v_mfma_f32_16x16x16_f16 v[20:23], v[24:25], v[22:23], v[32:35]
	v_cmp_gt_u32_e32 vcc, 64, v0
	v_cvt_pkrtz_f16_f32 v24, v38, v39
	v_cvt_pkrtz_f16_f32 v25, v16, v17
	s_waitcnt lgkmcnt(0)
	v_mfma_f32_16x16x16_f16 v[20:23], v[36:37], v[28:29], v[20:23]
	s_waitcnt vmcnt(2)
	v_cvt_pk_f32_fp8_e32 v[16:17], v10
	v_cvt_pk_f32_fp8_e32 v[28:29], v11
	v_cvt_pk_f32_fp8_sdwa v[36:37], v12 src0_sel:WORD_1
	v_mfma_f32_16x16x16_f16 v[20:23], v[24:25], v[30:31], v[20:23]
	v_cvt_pk_f32_fp8_sdwa v[24:25], v10 src0_sel:WORD_1
	v_cvt_pkrtz_f16_f32 v10, v16, v17
	v_cvt_pk_f32_fp8_sdwa v[16:17], v11 src0_sel:WORD_1
	ds_read_b128 v[32:35], v14 offset:2064
	v_cvt_pkrtz_f16_f32 v11, v24, v25
	v_cvt_pkrtz_f16_f32 v24, v28, v29
	ds_read_b128 v[28:31], v14 offset:2048
	v_cvt_pkrtz_f16_f32 v25, v16, v17
	v_cvt_pk_f32_fp8_e32 v[16:17], v12
	s_waitcnt lgkmcnt(0)
	v_mfma_f32_16x16x16_f16 v[20:23], v[10:11], v[28:29], v[20:23]
	v_cvt_pkrtz_f16_f32 v10, v16, v17
	v_cvt_pkrtz_f16_f32 v11, v36, v37
	v_cvt_pk_f32_fp8_e32 v[16:17], v13
	v_mfma_f32_16x16x16_f16 v[20:23], v[24:25], v[30:31], v[20:23]
	v_cvt_pk_f32_fp8_sdwa v[24:25], v13 src0_sel:WORD_1
	ds_read_b128 v[28:31], v14 offset:4112
	v_cvt_pkrtz_f16_f32 v16, v16, v17
	v_mfma_f32_16x16x16_f16 v[10:13], v[10:11], v[32:33], v[20:23]
	v_cvt_pkrtz_f16_f32 v17, v24, v25
	s_waitcnt vmcnt(1)
	v_cvt_pk_f32_fp8_sdwa v[24:25], v7 src0_sel:WORD_1
	v_cvt_pk_f32_fp8_sdwa v[32:33], v8 src0_sel:WORD_1
	v_cvt_pk_f32_fp8_e32 v[20:21], v6
	v_mfma_f32_16x16x16_f16 v[10:13], v[16:17], v[34:35], v[10:13]
	v_cvt_pk_f32_fp8_sdwa v[16:17], v6 src0_sel:WORD_1
	v_cvt_pk_f32_fp8_e32 v[22:23], v7
	v_cvt_pkrtz_f16_f32 v6, v20, v21
	s_mov_b32 s3, 0
	v_cvt_pkrtz_f16_f32 v7, v16, v17
	v_cvt_pkrtz_f16_f32 v16, v22, v23
	ds_read_b128 v[20:23], v14 offset:4096
	v_cvt_pkrtz_f16_f32 v17, v24, v25
	v_cvt_pk_f32_fp8_e32 v[24:25], v8
	s_waitcnt lgkmcnt(0)
	v_mfma_f32_16x16x16_f16 v[10:13], v[6:7], v[20:21], v[10:13]
	v_cvt_pkrtz_f16_f32 v6, v24, v25
	v_cvt_pkrtz_f16_f32 v7, v32, v33
	v_cvt_pk_f32_fp8_e32 v[20:21], v9
	v_mfma_f32_16x16x16_f16 v[10:13], v[16:17], v[22:23], v[10:13]
	v_cvt_pk_f32_fp8_sdwa v[16:17], v9 src0_sel:WORD_1
	s_waitcnt vmcnt(0)
	v_cvt_pk_f32_fp8_sdwa v[24:25], v4 src0_sel:WORD_1
	v_cvt_pkrtz_f16_f32 v20, v20, v21
	v_mfma_f32_16x16x16_f16 v[6:9], v[6:7], v[28:29], v[10:13]
	v_cvt_pkrtz_f16_f32 v21, v16, v17
	v_cvt_pk_f32_fp8_e32 v[16:17], v3
	v_mov_b32_e32 v27, 0
	v_cvt_pk_f32_fp8_e32 v[10:11], v2
	v_cvt_pk_f32_fp8_sdwa v[12:13], v2 src0_sel:WORD_1
	v_mfma_f32_16x16x16_f16 v[6:9], v[20:21], v[30:31], v[6:9]
	v_cvt_pk_f32_fp8_sdwa v[20:21], v3 src0_sel:WORD_1
	v_cvt_pkrtz_f16_f32 v2, v10, v11
	v_cvt_pkrtz_f16_f32 v3, v12, v13
	ds_read_b128 v[10:13], v14 offset:6144
	v_cvt_pkrtz_f16_f32 v22, v16, v17
	v_cvt_pkrtz_f16_f32 v23, v20, v21
	v_cvt_pk_f32_fp8_e32 v[20:21], v4
	s_waitcnt lgkmcnt(0)
	v_mfma_f32_16x16x16_f16 v[6:9], v[2:3], v[10:11], v[6:9]
	ds_read_b128 v[14:17], v14 offset:6160
	v_cvt_pkrtz_f16_f32 v2, v20, v21
	v_cvt_pkrtz_f16_f32 v3, v24, v25
	v_cvt_pk_f32_fp8_e32 v[10:11], v5
	v_mfma_f32_16x16x16_f16 v[6:9], v[22:23], v[12:13], v[6:9]
	v_cvt_pk_f32_fp8_sdwa v[12:13], v5 src0_sel:WORD_1
	s_waitcnt lgkmcnt(0)
	v_cvt_pkrtz_f16_f32 v10, v10, v11
	v_mfma_f32_16x16x16_f16 v[2:5], v[2:3], v[14:15], v[6:9]
	v_cvt_pkrtz_f16_f32 v11, v12, v13
	s_barrier
	s_nop 0
	v_mfma_f32_16x16x16_f16 v[2:5], v[10:11], v[16:17], v[2:5]
	s_nop 6
	v_pk_mul_f32 v[4:5], v[4:5], s[4:5] op_sel_hi:[1,0]
	v_pk_mul_f32 v[2:3], v[2:3], s[4:5] op_sel_hi:[1,0]
	v_cvt_f16_f32_e32 v4, v4
	v_cvt_f16_f32_e32 v2, v2
	;; [unrolled: 1-line block ×4, first 2 shown]
	s_and_b64 s[4:5], vcc, s[30:31]
	v_pack_b32_f16 v2, v2, v3
	v_pack_b32_f16 v3, v4, v5
	ds_write_b64 v18, v[2:3]
	s_waitcnt lgkmcnt(0)
	s_barrier
	s_and_saveexec_b64 s[10:11], s[4:5]
	s_cbranch_execz .LBB892_20
; %bb.18:
	s_load_dwordx2 s[4:5], s[0:1], 0x68
	s_lshl_b32 s0, s8, 6
	s_mul_i32 s1, s9, s2
	s_mul_hi_u32 s9, s1, s0
	s_mul_i32 s8, s1, s0
	v_lshlrev_b32_e32 v0, 10, v0
	s_lshl_b64 s[8:9], s[8:9], 1
	v_and_b32_e32 v0, 0x1800, v0
	v_lshlrev_b32_e32 v2, 5, v42
	v_and_b32_e32 v1, 16, v1
	s_waitcnt lgkmcnt(0)
	s_add_u32 s1, s4, s8
	v_or3_b32 v2, v0, v2, v1
	s_addc_u32 s4, s5, s9
	s_lshl_b32 s2, s28, 6
	s_lshl_b64 s[2:3], s[2:3], 1
	ds_read_b128 v[4:7], v2
	s_add_u32 s2, s1, s2
	s_addc_u32 s3, s4, s3
	v_add_u32_e32 v3, s48, v42
	v_lshl_add_u64 v[0:1], s[2:3], 0, v[26:27]
	v_mad_u64_u32 v[8:9], s[2:3], v3, s0, 0
	v_lshl_add_u64 v[8:9], v[8:9], 1, v[0:1]
	s_waitcnt lgkmcnt(0)
	global_store_dwordx4 v[8:9], v[4:7], off
	s_and_b64 exec, exec, s[6:7]
	s_cbranch_execz .LBB892_20
; %bb.19:
	ds_read_b128 v[2:5], v2 offset:128
	v_add3_u32 v6, s48, v42, 4
	v_mad_u64_u32 v[6:7], s[0:1], v6, s0, 0
	v_lshl_add_u64 v[0:1], v[6:7], 1, v[0:1]
	s_waitcnt lgkmcnt(0)
	global_store_dwordx4 v[0:1], v[2:5], off
.LBB892_20:
	s_endpgm
	.section	.rodata,"a",@progbits
	.p2align	6, 0x0
	.amdhsa_kernel _Z39paged_attention_ll4mi_QKV_mfma16_kernelIDF16_hLN4vllm18Fp8KVCacheDataTypeE1EDF16_Li32ELi64ELi256ELb1ELi5EEvPKT_PKT0_S7_ifPKiS9_S9_iPKfiiiPfSC_PS2_PT2_iSB_SB_
		.amdhsa_group_segment_fixed_size 8192
		.amdhsa_private_segment_fixed_size 0
		.amdhsa_kernarg_size 400
		.amdhsa_user_sgpr_count 2
		.amdhsa_user_sgpr_dispatch_ptr 0
		.amdhsa_user_sgpr_queue_ptr 0
		.amdhsa_user_sgpr_kernarg_segment_ptr 1
		.amdhsa_user_sgpr_dispatch_id 0
		.amdhsa_user_sgpr_kernarg_preload_length 0
		.amdhsa_user_sgpr_kernarg_preload_offset 0
		.amdhsa_user_sgpr_private_segment_size 0
		.amdhsa_uses_dynamic_stack 0
		.amdhsa_enable_private_segment 0
		.amdhsa_system_sgpr_workgroup_id_x 1
		.amdhsa_system_sgpr_workgroup_id_y 1
		.amdhsa_system_sgpr_workgroup_id_z 1
		.amdhsa_system_sgpr_workgroup_info 0
		.amdhsa_system_vgpr_workitem_id 0
		.amdhsa_next_free_vgpr 71
		.amdhsa_next_free_sgpr 50
		.amdhsa_accum_offset 72
		.amdhsa_reserve_vcc 1
		.amdhsa_float_round_mode_32 0
		.amdhsa_float_round_mode_16_64 0
		.amdhsa_float_denorm_mode_32 3
		.amdhsa_float_denorm_mode_16_64 3
		.amdhsa_dx10_clamp 1
		.amdhsa_ieee_mode 1
		.amdhsa_fp16_overflow 0
		.amdhsa_tg_split 0
		.amdhsa_exception_fp_ieee_invalid_op 0
		.amdhsa_exception_fp_denorm_src 0
		.amdhsa_exception_fp_ieee_div_zero 0
		.amdhsa_exception_fp_ieee_overflow 0
		.amdhsa_exception_fp_ieee_underflow 0
		.amdhsa_exception_fp_ieee_inexact 0
		.amdhsa_exception_int_div_zero 0
	.end_amdhsa_kernel
	.section	.text._Z39paged_attention_ll4mi_QKV_mfma16_kernelIDF16_hLN4vllm18Fp8KVCacheDataTypeE1EDF16_Li32ELi64ELi256ELb1ELi5EEvPKT_PKT0_S7_ifPKiS9_S9_iPKfiiiPfSC_PS2_PT2_iSB_SB_,"axG",@progbits,_Z39paged_attention_ll4mi_QKV_mfma16_kernelIDF16_hLN4vllm18Fp8KVCacheDataTypeE1EDF16_Li32ELi64ELi256ELb1ELi5EEvPKT_PKT0_S7_ifPKiS9_S9_iPKfiiiPfSC_PS2_PT2_iSB_SB_,comdat
.Lfunc_end892:
	.size	_Z39paged_attention_ll4mi_QKV_mfma16_kernelIDF16_hLN4vllm18Fp8KVCacheDataTypeE1EDF16_Li32ELi64ELi256ELb1ELi5EEvPKT_PKT0_S7_ifPKiS9_S9_iPKfiiiPfSC_PS2_PT2_iSB_SB_, .Lfunc_end892-_Z39paged_attention_ll4mi_QKV_mfma16_kernelIDF16_hLN4vllm18Fp8KVCacheDataTypeE1EDF16_Li32ELi64ELi256ELb1ELi5EEvPKT_PKT0_S7_ifPKiS9_S9_iPKfiiiPfSC_PS2_PT2_iSB_SB_
                                        ; -- End function
	.section	.AMDGPU.csdata,"",@progbits
; Kernel info:
; codeLenInByte = 4948
; NumSgprs: 56
; NumVgprs: 71
; NumAgprs: 0
; TotalNumVgprs: 71
; ScratchSize: 0
; MemoryBound: 0
; FloatMode: 240
; IeeeMode: 1
; LDSByteSize: 8192 bytes/workgroup (compile time only)
; SGPRBlocks: 6
; VGPRBlocks: 8
; NumSGPRsForWavesPerEU: 56
; NumVGPRsForWavesPerEU: 71
; AccumOffset: 72
; Occupancy: 7
; WaveLimiterHint : 1
; COMPUTE_PGM_RSRC2:SCRATCH_EN: 0
; COMPUTE_PGM_RSRC2:USER_SGPR: 2
; COMPUTE_PGM_RSRC2:TRAP_HANDLER: 0
; COMPUTE_PGM_RSRC2:TGID_X_EN: 1
; COMPUTE_PGM_RSRC2:TGID_Y_EN: 1
; COMPUTE_PGM_RSRC2:TGID_Z_EN: 1
; COMPUTE_PGM_RSRC2:TIDIG_COMP_CNT: 0
; COMPUTE_PGM_RSRC3_GFX90A:ACCUM_OFFSET: 17
; COMPUTE_PGM_RSRC3_GFX90A:TG_SPLIT: 0
	.section	.text._Z39paged_attention_ll4mi_QKV_mfma16_kernelIDF16_hLN4vllm18Fp8KVCacheDataTypeE1EDF16_Li32ELi64ELi256ELb1ELi6EEvPKT_PKT0_S7_ifPKiS9_S9_iPKfiiiPfSC_PS2_PT2_iSB_SB_,"axG",@progbits,_Z39paged_attention_ll4mi_QKV_mfma16_kernelIDF16_hLN4vllm18Fp8KVCacheDataTypeE1EDF16_Li32ELi64ELi256ELb1ELi6EEvPKT_PKT0_S7_ifPKiS9_S9_iPKfiiiPfSC_PS2_PT2_iSB_SB_,comdat
	.protected	_Z39paged_attention_ll4mi_QKV_mfma16_kernelIDF16_hLN4vllm18Fp8KVCacheDataTypeE1EDF16_Li32ELi64ELi256ELb1ELi6EEvPKT_PKT0_S7_ifPKiS9_S9_iPKfiiiPfSC_PS2_PT2_iSB_SB_ ; -- Begin function _Z39paged_attention_ll4mi_QKV_mfma16_kernelIDF16_hLN4vllm18Fp8KVCacheDataTypeE1EDF16_Li32ELi64ELi256ELb1ELi6EEvPKT_PKT0_S7_ifPKiS9_S9_iPKfiiiPfSC_PS2_PT2_iSB_SB_
	.globl	_Z39paged_attention_ll4mi_QKV_mfma16_kernelIDF16_hLN4vllm18Fp8KVCacheDataTypeE1EDF16_Li32ELi64ELi256ELb1ELi6EEvPKT_PKT0_S7_ifPKiS9_S9_iPKfiiiPfSC_PS2_PT2_iSB_SB_
	.p2align	8
	.type	_Z39paged_attention_ll4mi_QKV_mfma16_kernelIDF16_hLN4vllm18Fp8KVCacheDataTypeE1EDF16_Li32ELi64ELi256ELb1ELi6EEvPKT_PKT0_S7_ifPKiS9_S9_iPKfiiiPfSC_PS2_PT2_iSB_SB_,@function
_Z39paged_attention_ll4mi_QKV_mfma16_kernelIDF16_hLN4vllm18Fp8KVCacheDataTypeE1EDF16_Li32ELi64ELi256ELb1ELi6EEvPKT_PKT0_S7_ifPKiS9_S9_iPKfiiiPfSC_PS2_PT2_iSB_SB_: ; @_Z39paged_attention_ll4mi_QKV_mfma16_kernelIDF16_hLN4vllm18Fp8KVCacheDataTypeE1EDF16_Li32ELi64ELi256ELb1ELi6EEvPKT_PKT0_S7_ifPKiS9_S9_iPKfiiiPfSC_PS2_PT2_iSB_SB_
; %bb.0:
	s_load_dwordx2 s[6:7], s[0:1], 0x30
	s_mov_b32 s28, s3
	s_mov_b64 s[8:9], 0
	s_waitcnt lgkmcnt(0)
	s_cmp_lg_u64 s[6:7], 0
	s_cselect_b64 s[10:11], -1, 0
	s_and_b64 vcc, exec, s[10:11]
	s_cbranch_vccz .LBB893_7
; %bb.1:
	s_add_i32 s12, s2, 1
	s_mov_b32 s13, 0
	s_lshl_b64 s[14:15], s[12:13], 2
	s_add_u32 s14, s6, s14
	s_mov_b32 s3, s13
	s_addc_u32 s15, s7, s15
	s_lshl_b64 s[12:13], s[2:3], 2
	s_add_u32 s12, s6, s12
	s_addc_u32 s13, s7, s13
	s_load_dword s5, s[14:15], 0x0
	s_load_dword s16, s[12:13], 0x0
	s_waitcnt lgkmcnt(0)
	s_sub_i32 s5, s5, s16
	s_cmp_eq_u32 s5, 1
	s_cselect_b64 s[12:13], -1, 0
	s_andn2_b64 vcc, exec, s[8:9]
	s_cbranch_vccnz .LBB893_3
.LBB893_2:
	s_mov_b32 s3, 0
	s_mov_b64 s[12:13], -1
.LBB893_3:
	s_andn2_b64 vcc, exec, s[12:13]
	s_cbranch_vccnz .LBB893_20
; %bb.4:
	s_load_dwordx2 s[8:9], s[0:1], 0x28
	s_lshl_b64 s[12:13], s[2:3], 2
	s_waitcnt lgkmcnt(0)
	s_add_u32 s8, s8, s12
	s_addc_u32 s9, s9, s13
	s_load_dword s29, s[8:9], 0x0
	s_lshl_b32 s16, s28, 8
	s_waitcnt lgkmcnt(0)
	s_cmp_ge_i32 s16, s29
	s_cbranch_scc1 .LBB893_20
; %bb.5:
	s_load_dwordx2 s[8:9], s[0:1], 0x20
	s_load_dword s5, s[0:1], 0x38
	s_add_i32 s14, s29, 31
	s_ashr_i32 s15, s14, 31
	v_and_b32_e32 v1, 0xcf, v0
	s_lshr_b32 s15, s15, 27
	v_add_u32_e32 v1, s16, v1
	s_add_i32 s14, s14, s15
	v_ashrrev_i32_e32 v2, 31, v1
	s_ashr_i32 s17, s14, 5
	v_lshrrev_b32_e32 v4, 27, v2
	s_add_i32 s17, s17, -1
	s_waitcnt lgkmcnt(0)
	s_mul_i32 s14, s2, s5
	s_mov_b32 s15, 0
	v_add_u32_e32 v2, v1, v4
	s_lshl_b64 s[14:15], s[14:15], 2
	v_ashrrev_i32_e32 v2, 5, v2
	v_mov_b32_e32 v5, s17
	v_cmp_gt_i32_e32 vcc, s29, v1
	s_add_u32 s8, s8, s14
	s_addc_u32 s9, s9, s15
	v_cndmask_b32_e32 v2, v5, v2, vcc
	v_ashrrev_i32_e32 v3, 31, v2
	v_lshl_add_u64 v[6:7], v[2:3], 2, s[8:9]
	v_or_b32_e32 v2, 16, v1
	v_add_u32_e32 v3, v2, v4
	v_ashrrev_i32_e32 v3, 5, v3
	v_cmp_gt_i32_e32 vcc, s29, v2
	s_load_dwordx2 s[14:15], s[0:1], 0x8
	s_nop 0
	v_cndmask_b32_e32 v2, v5, v3, vcc
	v_ashrrev_i32_e32 v3, 31, v2
	v_lshl_add_u64 v[8:9], v[2:3], 2, s[8:9]
	v_or_b32_e32 v2, 32, v1
	v_add_u32_e32 v3, v2, v4
	v_ashrrev_i32_e32 v3, 5, v3
	v_cmp_gt_i32_e32 vcc, s29, v2
	v_or_b32_e32 v1, 48, v1
	s_nop 0
	v_cndmask_b32_e32 v2, v5, v3, vcc
	v_ashrrev_i32_e32 v3, 31, v2
	v_lshl_add_u64 v[10:11], v[2:3], 2, s[8:9]
	v_add_u32_e32 v2, v1, v4
	v_ashrrev_i32_e32 v2, 5, v2
	v_cmp_gt_i32_e32 vcc, s29, v1
	s_nop 1
	v_cndmask_b32_e32 v2, v5, v2, vcc
	v_ashrrev_i32_e32 v3, 31, v2
	v_lshl_add_u64 v[12:13], v[2:3], 2, s[8:9]
	global_load_dword v5, v[6:7], off
	global_load_dword v4, v[8:9], off
	;; [unrolled: 1-line block ×4, first 2 shown]
	s_andn2_b64 vcc, exec, s[10:11]
	s_cbranch_vccnz .LBB893_8
; %bb.6:
	s_add_u32 s6, s6, s12
	s_addc_u32 s7, s7, s13
	s_load_dword s5, s[6:7], 0x0
	s_branch .LBB893_9
.LBB893_7:
	s_mov_b64 s[12:13], 0
	s_branch .LBB893_2
.LBB893_8:
	s_mov_b32 s5, s2
.LBB893_9:
	s_load_dwordx2 s[10:11], s[0:1], 0x10
	s_load_dwordx4 s[44:47], s[0:1], 0x48
	v_lshrrev_b32_e32 v29, 6, v0
	v_bfe_u32 v42, v0, 4, 2
	v_lshl_or_b32 v6, v29, 2, v42
	v_and_b32_e32 v28, 15, v0
	v_lshlrev_b32_e32 v1, 3, v28
	v_cmp_gt_u32_e32 vcc, 6, v6
	v_cmp_gt_u32_e64 s[30:31], 8, v28
	s_mul_i32 s48, s4, 6
	s_and_b64 s[12:13], s[30:31], vcc
	v_lshlrev_b32_e32 v26, 1, v1
	v_lshlrev_b32_e32 v1, 4, v0
	s_and_saveexec_b64 s[6:7], s[12:13]
	s_cbranch_execz .LBB893_11
; %bb.10:
	s_load_dwordx2 s[12:13], s[0:1], 0x0
	s_waitcnt lgkmcnt(0)
	s_ashr_i32 s18, s44, 31
	s_mul_hi_u32 s19, s5, s44
	s_mul_i32 s18, s5, s18
	s_add_i32 s19, s19, s18
	s_mul_i32 s18, s5, s44
	s_lshl_b64 s[18:19], s[18:19], 1
	s_add_u32 s12, s12, s18
	v_add_lshl_u32 v8, v6, s48, 6
	s_addc_u32 s13, s13, s19
	v_ashrrev_i32_e32 v9, 31, v8
	v_lshl_add_u64 v[8:9], v[8:9], 1, s[12:13]
	v_mov_b32_e32 v27, 0
	v_lshl_add_u64 v[8:9], v[8:9], 0, v[26:27]
	global_load_dwordx4 v[8:11], v[8:9], off
	v_lshlrev_b32_e32 v12, 8, v28
	v_lshlrev_b32_e32 v6, 5, v6
	v_and_b32_e32 v7, 16, v1
	v_and_b32_e32 v12, 0xe00, v12
	v_or3_b32 v6, v12, v6, v7
	s_waitcnt vmcnt(0)
	ds_write_b128 v6, v[8:11]
.LBB893_11:
	s_or_b64 exec, exec, s[6:7]
	s_waitcnt lgkmcnt(0)
	s_mul_i32 s12, s4, s46
	s_add_u32 s4, s14, s12
	s_addc_u32 s5, s15, 0
	v_mov_b32_e32 v31, 0
	v_mov_b64_e32 v[6:7], s[4:5]
	v_lshlrev_b32_e32 v10, 4, v28
	v_and_b32_e32 v27, 48, v0
	s_waitcnt vmcnt(3)
	v_mad_i64_i32 v[8:9], s[4:5], v5, s45, v[6:7]
	v_mov_b32_e32 v11, v31
	s_waitcnt vmcnt(2)
	v_mad_i64_i32 v[4:5], s[4:5], v4, s45, v[6:7]
	v_or_b32_e32 v12, 0x100, v10
	v_mov_b32_e32 v13, v31
	v_lshlrev_b32_e32 v30, 5, v27
	v_lshl_add_u64 v[8:9], v[8:9], 0, v[10:11]
	v_lshl_add_u64 v[4:5], v[4:5], 0, v[12:13]
	;; [unrolled: 1-line block ×4, first 2 shown]
	s_barrier
	global_load_dwordx4 v[22:25], v[8:9], off
	global_load_dwordx4 v[18:21], v[4:5], off
	s_waitcnt vmcnt(3)
	v_mad_i64_i32 v[4:5], s[4:5], v3, s45, v[6:7]
	v_lshl_add_u64 v[4:5], v[4:5], 0, v[10:11]
	s_waitcnt vmcnt(2)
	v_mad_i64_i32 v[2:3], s[4:5], v2, s45, v[6:7]
	v_lshl_add_u64 v[4:5], v[4:5], 0, v[30:31]
	v_lshl_add_u64 v[2:3], v[2:3], 0, v[12:13]
	;; [unrolled: 1-line block ×3, first 2 shown]
	global_load_dwordx4 v[14:17], v[4:5], off
	global_load_dwordx4 v[6:9], v[2:3], off
	v_mul_lo_u16_e32 v2, 43, v28
	v_mov_b32_e32 v3, 6
	v_mul_lo_u16_sdwa v2, v2, v3 dst_sel:DWORD dst_unused:UNUSED_PAD src0_sel:BYTE_1 src1_sel:DWORD
	v_sub_u16_e32 v2, v28, v2
	v_mov_b32_e32 v3, 5
	v_lshlrev_b32_sdwa v2, v3, v2 dst_sel:DWORD dst_unused:UNUSED_PAD src0_sel:DWORD src1_sel:BYTE_0
	v_lshl_add_u32 v2, v42, 9, v2
	ds_read_b128 v[10:13], v2
	ds_read_b128 v[2:5], v2 offset:16
	v_and_b32_e32 v43, 63, v0
	v_cmp_gt_u32_e32 vcc, 6, v28
	v_mov_b32_e32 v44, 0
	s_and_saveexec_b64 s[4:5], vcc
	s_cbranch_execz .LBB893_13
; %bb.12:
	s_load_dwordx2 s[6:7], s[0:1], 0x40
	v_add_u32_e32 v32, s48, v28
	v_ashrrev_i32_e32 v33, 31, v32
	s_waitcnt lgkmcnt(0)
	v_lshl_add_u64 v[32:33], v[32:33], 2, s[6:7]
	global_load_dword v44, v[32:33], off
.LBB893_13:
	s_or_b64 exec, exec, s[4:5]
	s_ashr_i32 s4, s16, 31
	v_or_b32_e32 v45, s16, v27
	s_lshr_b32 s13, s4, 27
	v_add_u32_e32 v27, s13, v45
	v_ashrrev_i32_e32 v27, 5, v27
	s_waitcnt vmcnt(3)
	v_cvt_pk_f32_fp8_e32 v[32:33], v22
	v_cvt_pk_f32_fp8_sdwa v[34:35], v22 src0_sel:WORD_1
	s_waitcnt vmcnt(2)
	v_cvt_pk_f32_fp8_e32 v[56:57], v20
	v_cvt_pk_f32_fp8_sdwa v[58:59], v20 src0_sel:WORD_1
	v_mov_b32_e32 v20, s17
	v_cmp_gt_i32_e32 vcc, s29, v45
	v_cvt_pk_f32_fp8_e32 v[48:49], v18
	v_cvt_pk_f32_fp8_sdwa v[50:51], v18 src0_sel:WORD_1
	v_cndmask_b32_e32 v18, v20, v27, vcc
	v_cvt_pk_f32_fp8_e32 v[52:53], v19
	v_cvt_pk_f32_fp8_sdwa v[54:55], v19 src0_sel:WORD_1
	v_ashrrev_i32_e32 v19, 31, v18
	v_lshl_add_u64 v[18:19], v[18:19], 2, s[8:9]
	v_cvt_pk_f32_fp8_e32 v[36:37], v23
	v_cvt_pk_f32_fp8_sdwa v[22:23], v23 src0_sel:WORD_1
	global_load_dword v70, v[18:19], off
	v_cvt_pkrtz_f16_f32 v18, v32, v33
	v_cvt_pkrtz_f16_f32 v19, v34, v35
	v_cvt_pk_f32_fp8_e32 v[60:61], v21
	v_cvt_pk_f32_fp8_sdwa v[62:63], v21 src0_sel:WORD_1
	v_or_b32_e32 v21, 64, v45
	v_or_b32_e32 v32, 0x80, v45
	;; [unrolled: 1-line block ×3, first 2 shown]
	v_cmp_gt_i32_e32 vcc, s29, v21
	v_add_u32_e32 v21, s13, v21
	v_cmp_gt_i32_e64 s[4:5], s29, v32
	v_add_u32_e32 v32, s13, v32
	v_cmp_gt_i32_e64 s[6:7], s29, v33
	v_add_u32_e32 v33, s13, v33
	v_cvt_pk_f32_fp8_e32 v[38:39], v24
	v_cvt_pk_f32_fp8_sdwa v[40:41], v24 src0_sel:WORD_1
	v_ashrrev_i32_e32 v21, 5, v21
	v_ashrrev_i32_e32 v34, 5, v32
	;; [unrolled: 1-line block ×3, first 2 shown]
	v_cvt_pkrtz_f16_f32 v32, v36, v37
	v_cvt_pkrtz_f16_f32 v33, v22, v23
	v_cndmask_b32_e32 v36, v20, v21, vcc
	v_cndmask_b32_e64 v64, v20, v34, s[4:5]
	v_cndmask_b32_e64 v66, v20, v35, s[6:7]
	s_waitcnt lgkmcnt(1)
	v_mfma_f32_16x16x16_f16 v[18:21], v[18:19], v[10:11], 0
	v_cvt_pk_f32_fp8_e32 v[46:47], v25
	v_cvt_pkrtz_f16_f32 v22, v48, v49
	v_cvt_pkrtz_f16_f32 v23, v50, v51
	v_cvt_pk_f32_fp8_sdwa v[24:25], v25 src0_sel:WORD_1
	v_cvt_pkrtz_f16_f32 v38, v38, v39
	v_cvt_pkrtz_f16_f32 v39, v40, v41
	v_mfma_f32_16x16x16_f16 v[32:35], v[32:33], v[12:13], v[18:21]
	s_add_u32 s10, s10, s12
	v_and_b32_e32 v30, 16, v0
	v_lshlrev_b32_e32 v27, 5, v28
	s_addc_u32 s11, s11, 0
	v_cvt_pkrtz_f16_f32 v68, v46, v47
	v_cvt_pkrtz_f16_f32 v46, v52, v53
	;; [unrolled: 1-line block ×3, first 2 shown]
	s_load_dword s14, s[0:1], 0x1c
	s_load_dwordx4 s[40:43], s[0:1], 0x80
	v_lshl_add_u64 v[40:41], s[10:11], 0, v[30:31]
	v_lshl_or_b32 v30, v29, 9, v27
	v_cvt_pkrtz_f16_f32 v69, v24, v25
	v_mfma_f32_16x16x16_f16 v[22:25], v[22:23], v[10:11], 0
	v_lshl_add_u64 v[18:19], v[40:41], 0, v[30:31]
	v_ashrrev_i32_e32 v37, 31, v36
	v_ashrrev_i32_e32 v65, 31, v64
	s_waitcnt lgkmcnt(0)
	v_mfma_f32_16x16x16_f16 v[30:33], v[38:39], v[2:3], v[32:35]
	v_ashrrev_i32_e32 v67, 31, v66
	v_cvt_pkrtz_f16_f32 v48, v56, v57
	v_cvt_pkrtz_f16_f32 v49, v58, v59
	v_mfma_f32_16x16x16_f16 v[20:23], v[46:47], v[12:13], v[22:25]
	v_lshl_add_u64 v[34:35], v[64:65], 2, s[8:9]
	s_load_dword s4, s[40:41], 0x0
	v_cvt_pkrtz_f16_f32 v50, v60, v61
	v_lshl_add_u64 v[24:25], v[36:37], 2, s[8:9]
	v_lshl_add_u64 v[36:37], v[66:67], 2, s[8:9]
	global_load_dword v47, v[24:25], off
	global_load_dword v45, v[34:35], off
	;; [unrolled: 1-line block ×3, first 2 shown]
	v_mfma_f32_16x16x16_f16 v[34:37], v[68:69], v[4:5], v[30:33]
	s_waitcnt vmcnt(5)
	v_cvt_pk_f32_fp8_e32 v[24:25], v14
	v_cvt_pkrtz_f16_f32 v51, v62, v63
	v_cvt_pk_f32_fp8_e32 v[38:39], v15
	v_cvt_pk_f32_fp8_sdwa v[32:33], v14 src0_sel:WORD_1
	v_mfma_f32_16x16x16_f16 v[20:23], v[48:49], v[2:3], v[20:23]
	v_cvt_pkrtz_f16_f32 v24, v24, v25
	v_cvt_pk_f32_fp8_sdwa v[14:15], v15 src0_sel:WORD_1
	v_cvt_pkrtz_f16_f32 v25, v32, v33
	v_mov_b32_e32 v40, s14
	v_mfma_f32_16x16x16_f16 v[20:23], v[50:51], v[4:5], v[20:23]
	v_cvt_pkrtz_f16_f32 v32, v38, v39
	v_cvt_pk_f32_fp8_e32 v[50:51], v16
	v_cvt_pk_f32_fp8_sdwa v[52:53], v16 src0_sel:WORD_1
	v_cvt_pkrtz_f16_f32 v33, v14, v15
	s_waitcnt lgkmcnt(0)
	v_mul_f32_e32 v48, s4, v40
	v_mfma_f32_16x16x16_f16 v[38:41], v[24:25], v[10:11], 0
	v_cvt_pkrtz_f16_f32 v24, v50, v51
	v_cvt_pkrtz_f16_f32 v25, v52, v53
	v_cvt_pk_f32_fp8_e32 v[50:51], v17
	v_cvt_pk_f32_fp8_sdwa v[52:53], v17 src0_sel:WORD_1
	v_mfma_f32_16x16x16_f16 v[14:17], v[32:33], v[12:13], v[38:41]
	v_pk_mul_f32 v[32:33], v[48:49], v[36:37] op_sel_hi:[0,1]
	v_cvt_pkrtz_f16_f32 v36, v50, v51
	v_cvt_pkrtz_f16_f32 v37, v52, v53
	v_mfma_f32_16x16x16_f16 v[14:17], v[24:25], v[2:3], v[14:17]
	v_pk_mul_f32 v[38:39], v[48:49], v[34:35] op_sel_hi:[0,1]
	s_waitcnt vmcnt(4)
	v_cvt_pk_f32_fp8_e32 v[24:25], v6
	v_cvt_pk_f32_fp8_sdwa v[34:35], v6 src0_sel:WORD_1
	v_mfma_f32_16x16x16_f16 v[14:17], v[36:37], v[4:5], v[14:17]
	v_cvt_pk_f32_fp8_e32 v[36:37], v7
	v_cvt_pkrtz_f16_f32 v24, v24, v25
	v_cvt_pkrtz_f16_f32 v25, v34, v35
	v_cvt_pk_f32_fp8_sdwa v[6:7], v7 src0_sel:WORD_1
	v_cvt_pkrtz_f16_f32 v40, v36, v37
	v_cvt_pk_f32_fp8_e32 v[50:51], v8
	v_cvt_pk_f32_fp8_sdwa v[52:53], v8 src0_sel:WORD_1
	v_cvt_pkrtz_f16_f32 v41, v6, v7
	v_mfma_f32_16x16x16_f16 v[34:37], v[24:25], v[10:11], 0
	v_cvt_pkrtz_f16_f32 v10, v50, v51
	v_cvt_pkrtz_f16_f32 v11, v52, v53
	v_cvt_pk_f32_fp8_e32 v[24:25], v9
	v_cvt_pk_f32_fp8_sdwa v[50:51], v9 src0_sel:WORD_1
	v_mfma_f32_16x16x16_f16 v[6:9], v[40:41], v[12:13], v[34:37]
	v_pk_mul_f32 v[40:41], v[48:49], v[20:21] op_sel_hi:[0,1]
	v_cvt_pkrtz_f16_f32 v12, v24, v25
	v_cvt_pkrtz_f16_f32 v13, v50, v51
	v_mfma_f32_16x16x16_f16 v[6:9], v[10:11], v[2:3], v[6:9]
	v_pk_mul_f32 v[36:37], v[48:49], v[22:23] op_sel_hi:[0,1]
	v_pk_mul_f32 v[24:25], v[48:49], v[16:17] op_sel_hi:[0,1]
	;; [unrolled: 1-line block ×3, first 2 shown]
	v_mfma_f32_16x16x16_f16 v[2:5], v[12:13], v[4:5], v[6:9]
	s_waitcnt vmcnt(3)
	v_mad_i64_i32 v[30:31], s[4:5], v70, s45, v[18:19]
	s_mov_b32 s33, 0xff7fffff
	s_nop 3
	v_pk_mul_f32 v[22:23], v[48:49], v[2:3] op_sel_hi:[0,1]
	v_and_b32_e32 v2, 0xc0, v0
	v_add_u32_e32 v2, s16, v2
	v_lshl_or_b32 v2, v42, 2, v2
	v_or_b32_e32 v3, 1, v2
	v_pk_mul_f32 v[20:21], v[48:49], v[4:5] op_sel_hi:[0,1]
	v_subrev_u32_e32 v4, s29, v3
	v_add_u32_e32 v6, 1, v4
	v_add_u32_e32 v7, 2, v4
	;; [unrolled: 1-line block ×3, first 2 shown]
	v_cvt_f32_i32_e32 v6, v6
	v_cvt_f32_i32_e32 v7, v7
	;; [unrolled: 1-line block ×3, first 2 shown]
	v_add_u32_e32 v9, 19, v4
	v_fmac_f32_e32 v39, v44, v6
	v_fma_f32 v32, v44, v7, v32
	v_fmac_f32_e32 v33, v44, v8
	v_add_u32_e32 v6, 16, v4
	v_add_u32_e32 v7, 17, v4
	;; [unrolled: 1-line block ×3, first 2 shown]
	v_cvt_f32_i32_e32 v6, v6
	v_cvt_f32_i32_e32 v7, v7
	v_cvt_f32_i32_e32 v8, v8
	v_cvt_f32_i32_e32 v9, v9
	v_fma_f32 v40, v44, v6, v40
	v_fmac_f32_e32 v41, v44, v7
	v_fma_f32 v36, v44, v8, v36
	v_add_u32_e32 v6, 32, v4
	v_add_u32_e32 v7, 33, v4
	v_add_u32_e32 v8, 34, v4
	v_cvt_f32_i32_e32 v6, v6
	v_cvt_f32_i32_e32 v7, v7
	v_cvt_f32_i32_e32 v8, v8
	v_cvt_f32_i32_e32 v5, v4
	v_fmac_f32_e32 v37, v44, v9
	v_add_u32_e32 v9, 35, v4
	v_fma_f32 v48, v44, v6, v34
	v_fmac_f32_e32 v35, v44, v7
	v_fma_f32 v24, v44, v8, v24
	v_add_u32_e32 v6, 48, v4
	v_add_u32_e32 v7, 49, v4
	;; [unrolled: 1-line block ×4, first 2 shown]
	v_cvt_f32_i32_e32 v4, v4
	v_cvt_f32_i32_e32 v6, v6
	;; [unrolled: 1-line block ×3, first 2 shown]
	v_fma_f32 v5, v44, v5, v38
	v_fmac_f32_e32 v21, v44, v4
	v_mov_b32_e32 v4, 0xff7fffff
	v_cmp_gt_i32_e64 s[4:5], s29, v2
	v_cmp_gt_i32_e64 s[34:35], s29, v3
	v_fma_f32 v22, v44, v6, v22
	v_cndmask_b32_e64 v6, v4, v5, s[4:5]
	v_cndmask_b32_e64 v3, v4, v39, s[34:35]
	v_fmac_f32_e32 v23, v44, v7
	v_max3_f32 v3, v6, s33, v3
	v_or_b32_e32 v6, 2, v2
	v_or_b32_e32 v7, 3, v2
	v_cmp_gt_i32_e64 s[36:37], s29, v6
	v_cmp_gt_i32_e64 s[38:39], s29, v7
	v_cvt_f32_i32_e32 v9, v9
	v_cndmask_b32_e64 v6, v4, v32, s[36:37]
	v_cndmask_b32_e64 v7, v4, v33, s[38:39]
	v_max3_f32 v3, v3, v6, v7
	v_or_b32_e32 v6, 16, v2
	v_or_b32_e32 v7, 17, v2
	v_cmp_gt_i32_e64 s[24:25], s29, v6
	v_cmp_gt_i32_e64 s[26:27], s29, v7
	v_fmac_f32_e32 v25, v44, v9
	v_cndmask_b32_e64 v6, v4, v40, s[24:25]
	v_cndmask_b32_e64 v7, v4, v41, s[26:27]
	v_max3_f32 v3, v3, v6, v7
	v_or_b32_e32 v6, 18, v2
	v_or_b32_e32 v7, 19, v2
	v_cmp_gt_i32_e64 s[20:21], s29, v6
	v_cmp_gt_i32_e64 s[22:23], s29, v7
	v_cvt_f32_i32_e32 v8, v8
	v_cndmask_b32_e64 v6, v4, v36, s[20:21]
	v_cndmask_b32_e64 v7, v4, v37, s[22:23]
	v_max3_f32 v3, v3, v6, v7
	v_or_b32_e32 v6, 32, v2
	v_or_b32_e32 v7, 33, v2
	v_cmp_gt_i32_e64 s[16:17], s29, v6
	v_cmp_gt_i32_e64 s[18:19], s29, v7
	v_fma_f32 v20, v44, v8, v20
	v_cndmask_b32_e64 v6, v4, v48, s[16:17]
	v_cndmask_b32_e64 v7, v4, v35, s[18:19]
	v_max3_f32 v3, v3, v6, v7
	v_or_b32_e32 v6, 34, v2
	v_or_b32_e32 v7, 35, v2
	v_cmp_gt_i32_e64 s[12:13], s29, v6
	v_cmp_gt_i32_e64 s[14:15], s29, v7
	s_nop 0
	v_cndmask_b32_e64 v6, v4, v24, s[12:13]
	v_cndmask_b32_e64 v7, v4, v25, s[14:15]
	v_max3_f32 v3, v3, v6, v7
	v_or_b32_e32 v6, 48, v2
	v_or_b32_e32 v7, 49, v2
	v_cmp_gt_i32_e64 s[8:9], s29, v6
	v_cmp_gt_i32_e64 s[10:11], s29, v7
	s_nop 0
	v_cndmask_b32_e64 v6, v4, v22, s[8:9]
	v_cndmask_b32_e64 v7, v4, v23, s[10:11]
	v_max3_f32 v3, v3, v6, v7
	v_or_b32_e32 v6, 50, v2
	v_or_b32_e32 v2, 51, v2
	v_cmp_gt_i32_e32 vcc, s29, v6
	v_cmp_gt_i32_e64 s[6:7], s29, v2
	s_nop 0
	v_cndmask_b32_e32 v6, v4, v20, vcc
	v_cndmask_b32_e64 v2, v4, v21, s[6:7]
	v_max3_f32 v4, v3, v6, v2
	v_mbcnt_lo_u32_b32 v2, -1, 0
	v_mbcnt_hi_u32_b32 v6, -1, v2
	v_and_b32_e32 v2, 64, v6
	v_add_u32_e32 v7, 64, v2
	v_xor_b32_e32 v2, 32, v6
	v_cmp_lt_i32_e64 s[40:41], v2, v7
	s_nop 1
	v_cndmask_b32_e64 v2, v6, v2, s[40:41]
	v_lshlrev_b32_e32 v44, 2, v2
	ds_bpermute_b32 v8, v44, v4
	s_waitcnt vmcnt(2)
	v_mad_i64_i32 v[2:3], s[40:41], v47, s45, v[18:19]
	global_load_dwordx4 v[14:17], v[30:31], off
	global_load_dwordx4 v[10:13], v[2:3], off
	v_xor_b32_e32 v3, 16, v6
	v_cmp_lt_i32_e64 s[40:41], v3, v7
	s_waitcnt lgkmcnt(0)
	v_max_f32_e32 v2, v8, v8
	v_max_f32_e32 v2, v4, v2
	v_cndmask_b32_e64 v3, v6, v3, s[40:41]
	v_lshlrev_b32_e32 v47, 2, v3
	ds_bpermute_b32 v3, v47, v2
	s_waitcnt vmcnt(3)
	v_mad_i64_i32 v[30:31], s[40:41], v45, s45, v[18:19]
	s_waitcnt vmcnt(2)
	v_mad_i64_i32 v[18:19], s[40:41], v46, s45, v[18:19]
	s_waitcnt lgkmcnt(0)
	v_max_f32_e32 v3, v3, v3
	v_max_f32_e32 v34, v2, v3
	v_sub_f32_e32 v2, v5, v34
	v_mul_f32_e32 v2, 0x3fb8aa3b, v2
	v_exp_f32_e32 v38, v2
	v_sub_f32_e32 v2, v39, v34
	v_mul_f32_e32 v2, 0x3fb8aa3b, v2
	v_exp_f32_e32 v39, v2
	global_load_dwordx4 v[6:9], v[30:31], off
	global_load_dwordx4 v[2:5], v[18:19], off
	v_sub_f32_e32 v31, v32, v34
	v_sub_f32_e32 v32, v33, v34
	v_mul_f32_e32 v31, 0x3fb8aa3b, v31
	v_mul_f32_e32 v32, 0x3fb8aa3b, v32
	v_exp_f32_e32 v31, v31
	v_exp_f32_e32 v32, v32
	v_cndmask_b32_e64 v18, 0, v38, s[4:5]
	v_cndmask_b32_e64 v19, 0, v39, s[34:35]
	;; [unrolled: 1-line block ×4, first 2 shown]
	v_sub_f32_e32 v31, v40, v34
	v_sub_f32_e32 v32, v41, v34
	v_mul_f32_e32 v31, 0x3fb8aa3b, v31
	v_mul_f32_e32 v32, 0x3fb8aa3b, v32
	v_exp_f32_e32 v31, v31
	v_exp_f32_e32 v32, v32
	v_add_f32_e32 v30, 0, v18
	v_add_f32_e32 v30, v30, v19
	;; [unrolled: 1-line block ×4, first 2 shown]
	v_cndmask_b32_e64 v30, 0, v31, s[24:25]
	v_cndmask_b32_e64 v31, 0, v32, s[26:27]
	v_sub_f32_e32 v32, v36, v34
	v_mul_f32_e32 v32, 0x3fb8aa3b, v32
	v_exp_f32_e32 v32, v32
	v_sub_f32_e32 v36, v37, v34
	v_add_f32_e32 v33, v33, v30
	v_mul_f32_e32 v36, 0x3fb8aa3b, v36
	v_exp_f32_e32 v37, v36
	v_add_f32_e32 v33, v33, v31
	v_cndmask_b32_e64 v36, 0, v32, s[20:21]
	v_add_f32_e32 v32, v33, v36
	v_sub_f32_e32 v33, v48, v34
	v_mul_f32_e32 v33, 0x3fb8aa3b, v33
	v_sub_f32_e32 v35, v35, v34
	v_exp_f32_e32 v33, v33
	v_mul_f32_e32 v35, 0x3fb8aa3b, v35
	v_sub_f32_e32 v24, v24, v34
	v_exp_f32_e32 v35, v35
	;; [unrolled: 3-line block ×3, first 2 shown]
	v_mul_f32_e32 v25, 0x3fb8aa3b, v25
	v_sub_f32_e32 v22, v22, v34
	v_cndmask_b32_e64 v37, 0, v37, s[22:23]
	v_exp_f32_e32 v25, v25
	v_mul_f32_e32 v22, 0x3fb8aa3b, v22
	v_sub_f32_e32 v23, v23, v34
	v_add_f32_e32 v40, v32, v37
	v_cndmask_b32_e64 v32, 0, v33, s[16:17]
	v_exp_f32_e32 v22, v22
	v_mul_f32_e32 v23, 0x3fb8aa3b, v23
	v_sub_f32_e32 v20, v20, v34
	v_add_f32_e32 v40, v40, v32
	;; [unrolled: 5-line block ×3, first 2 shown]
	v_cndmask_b32_e64 v24, 0, v24, s[12:13]
	v_exp_f32_e32 v20, v20
	v_mul_f32_e32 v21, 0x3fb8aa3b, v21
	v_add_f32_e32 v35, v35, v24
	v_cndmask_b32_e64 v25, 0, v25, s[14:15]
	v_exp_f32_e32 v21, v21
	v_add_f32_e32 v35, v35, v25
	v_cndmask_b32_e64 v22, 0, v22, s[8:9]
	v_add_f32_e32 v35, v35, v22
	v_cndmask_b32_e64 v23, 0, v23, s[10:11]
	v_add_f32_e32 v35, v35, v23
	v_cndmask_b32_e32 v20, 0, v20, vcc
	v_add_f32_e32 v35, v35, v20
	v_cndmask_b32_e64 v21, 0, v21, s[6:7]
	v_add_f32_e32 v35, v35, v21
	ds_bpermute_b32 v40, v44, v35
	s_load_dword s7, s[0:1], 0x98
	v_cmp_gt_u32_e32 vcc, 16, v43
	s_waitcnt lgkmcnt(0)
	s_barrier
	v_add_f32_e32 v40, v35, v40
	ds_bpermute_b32 v41, v47, v40
	v_lshlrev_b32_e32 v35, 2, v28
	s_waitcnt lgkmcnt(0)
	s_and_saveexec_b64 s[4:5], vcc
	s_cbranch_execz .LBB893_15
; %bb.14:
	v_add_f32_e32 v40, v40, v41
	v_lshl_or_b32 v41, v29, 6, v35
	ds_write2st64_b32 v41, v34, v40 offset1:1
.LBB893_15:
	s_or_b64 exec, exec, s[4:5]
	s_load_dword s6, s[0:1], 0x94
	s_waitcnt lgkmcnt(0)
	s_barrier
	ds_read2_b32 v[40:41], v35 offset1:16
	ds_read2_b32 v[44:45], v35 offset0:32 offset1:48
	ds_read2_b32 v[46:47], v35 offset0:64 offset1:80
	s_mul_i32 s7, s7, 6
	s_waitcnt lgkmcnt(2)
	v_max3_f32 v34, v40, s33, v41
	s_waitcnt lgkmcnt(1)
	v_max3_f32 v34, v34, v44, v45
	v_sub_f32_e32 v40, v40, v34
	v_mul_f32_e32 v40, 0x3fb8aa3b, v40
	v_exp_f32_e32 v43, v40
	v_sub_f32_e32 v40, v41, v34
	v_mul_f32_e32 v40, 0x3fb8aa3b, v40
	v_exp_f32_e32 v48, v40
	;; [unrolled: 3-line block ×3, first 2 shown]
	ds_read2_b32 v[40:41], v35 offset0:96 offset1:112
	v_sub_f32_e32 v35, v45, v34
	v_mul_f32_e32 v35, 0x3fb8aa3b, v35
	v_exp_f32_e32 v45, v35
	s_waitcnt lgkmcnt(1)
	v_fma_f32 v35, v43, v46, 0
	v_fmac_f32_e32 v35, v48, v47
	s_waitcnt lgkmcnt(0)
	v_fmac_f32_e32 v35, v44, v40
	v_fmac_f32_e32 v35, v45, v41
	v_add_f32_e32 v40, 0x358637bd, v35
	v_div_scale_f32 v41, s[4:5], v40, v40, 1.0
	v_rcp_f32_e32 v46, v41
	s_barrier
	v_fma_f32 v47, -v41, v46, 1.0
	v_fmac_f32_e32 v46, v47, v46
	v_div_scale_f32 v47, vcc, 1.0, v40, 1.0
	v_mul_f32_e32 v49, v47, v46
	v_fma_f32 v50, -v41, v49, v47
	v_fmac_f32_e32 v49, v50, v46
	v_fma_f32 v41, -v41, v49, v47
	v_div_fmas_f32 v41, v41, v46, v49
	v_cmp_eq_u32_e32 vcc, 1, v29
	v_div_fixup_f32 v40, v41, v40, 1.0
	s_nop 0
	v_cndmask_b32_e32 v41, v43, v48, vcc
	v_cmp_eq_u32_e32 vcc, 2, v29
	s_nop 1
	v_cndmask_b32_e32 v41, v41, v44, vcc
	v_cmp_eq_u32_e32 vcc, 3, v29
	s_nop 1
	v_cndmask_b32_e32 v41, v41, v45, vcc
	v_mul_f32_e32 v40, v41, v40
	v_pk_mul_f32 v[38:39], v[40:41], v[38:39] op_sel_hi:[0,1]
	v_pk_mul_f32 v[18:19], v[40:41], v[18:19] op_sel_hi:[0,1]
	v_cvt_f16_f32_e32 v41, v38
	v_cvt_f16_f32_e32 v39, v39
	;; [unrolled: 1-line block ×4, first 2 shown]
	v_cmp_gt_u32_e32 vcc, 6, v0
	v_pack_b32_f16 v39, v41, v39
	v_lshlrev_b32_e32 v41, 3, v42
	v_pack_b32_f16 v38, v18, v19
	v_pk_mul_f32 v[18:19], v[40:41], v[36:37] op_sel_hi:[0,1]
	v_pk_mul_f32 v[30:31], v[40:41], v[30:31] op_sel_hi:[0,1]
	v_cvt_f16_f32_e32 v30, v30
	v_cvt_f16_f32_e32 v31, v31
	;; [unrolled: 1-line block ×4, first 2 shown]
	v_lshlrev_b32_e32 v18, 11, v29
	v_or3_b32 v18, v18, v27, v41
	v_pack_b32_f16 v30, v30, v31
	v_pack_b32_f16 v31, v36, v19
	ds_write2st64_b64 v18, v[38:39], v[30:31] offset1:1
	v_pk_mul_f32 v[24:25], v[40:41], v[24:25] op_sel_hi:[0,1]
	v_pk_mul_f32 v[30:31], v[40:41], v[32:33] op_sel_hi:[0,1]
	;; [unrolled: 1-line block ×4, first 2 shown]
	v_cvt_f16_f32_e32 v19, v30
	v_cvt_f16_f32_e32 v29, v31
	;; [unrolled: 1-line block ×8, first 2 shown]
	v_pack_b32_f16 v20, v19, v29
	v_pack_b32_f16 v21, v24, v25
	v_pack_b32_f16 v22, v22, v23
	v_pack_b32_f16 v23, v30, v31
	ds_write2st64_b64 v18, v[20:21], v[22:23] offset0:2 offset1:3
	s_and_saveexec_b64 s[4:5], vcc
	s_cbranch_execz .LBB893_17
; %bb.16:
	s_mov_b32 s49, 0
	v_mov_b32_e32 v29, 0
	v_lshl_add_u64 v[20:21], s[48:49], 0, v[28:29]
	v_mov_b32_e32 v19, s7
	v_mad_u64_u32 v[20:21], s[12:13], s2, v19, v[20:21]
	s_mul_i32 s3, s3, s7
	v_mov_b32_e32 v28, s28
	s_load_dwordx4 s[8:11], s[0:1], 0x58
	v_add_u32_e32 v19, s3, v21
	v_mad_u64_u32 v[20:21], s[12:13], v20, s6, v[28:29]
	v_mov_b32_e32 v22, v21
	v_mad_u64_u32 v[22:23], s[12:13], v19, s6, v[22:23]
	v_mov_b32_e32 v21, v22
	v_lshlrev_b64 v[20:21], 2, v[20:21]
	s_waitcnt lgkmcnt(0)
	v_lshl_add_u64 v[22:23], s[10:11], 0, v[20:21]
	v_lshl_add_u64 v[20:21], s[8:9], 0, v[20:21]
	global_store_dword v[22:23], v34, off
	global_store_dword v[20:21], v35, off
.LBB893_17:
	s_or_b64 exec, exec, s[4:5]
	s_waitcnt vmcnt(3)
	v_cvt_pk_f32_fp8_e32 v[20:21], v14
	v_cvt_pk_f32_fp8_sdwa v[22:23], v14 src0_sel:WORD_1
	v_lshl_or_b32 v14, v42, 9, v27
	s_waitcnt lgkmcnt(0)
	s_barrier
	v_cvt_pk_f32_fp8_e32 v[24:25], v15
	v_cvt_pkrtz_f16_f32 v32, v20, v21
	v_cvt_pkrtz_f16_f32 v33, v22, v23
	v_cvt_pk_f32_fp8_sdwa v[28:29], v15 src0_sel:WORD_1
	ds_read_b128 v[20:23], v14
	v_cvt_pkrtz_f16_f32 v24, v24, v25
	v_cvt_pk_f32_fp8_e32 v[36:37], v16
	v_cvt_pkrtz_f16_f32 v25, v28, v29
	ds_read_b128 v[28:31], v14 offset:16
	v_cvt_pk_f32_fp8_sdwa v[38:39], v16 src0_sel:WORD_1
	s_waitcnt lgkmcnt(1)
	v_mfma_f32_16x16x16_f16 v[32:35], v[32:33], v[20:21], 0
	v_cvt_pkrtz_f16_f32 v36, v36, v37
	s_load_dword s4, s[42:43], 0x0
	v_cvt_pkrtz_f16_f32 v37, v38, v39
	v_cvt_pk_f32_fp8_e32 v[38:39], v17
	v_cvt_pk_f32_fp8_sdwa v[16:17], v17 src0_sel:WORD_1
	v_mfma_f32_16x16x16_f16 v[20:23], v[24:25], v[22:23], v[32:35]
	v_cmp_gt_u32_e32 vcc, 64, v0
	v_cvt_pkrtz_f16_f32 v24, v38, v39
	v_cvt_pkrtz_f16_f32 v25, v16, v17
	s_waitcnt lgkmcnt(0)
	v_mfma_f32_16x16x16_f16 v[20:23], v[36:37], v[28:29], v[20:23]
	s_waitcnt vmcnt(2)
	v_cvt_pk_f32_fp8_e32 v[16:17], v10
	v_cvt_pk_f32_fp8_e32 v[28:29], v11
	v_cvt_pk_f32_fp8_sdwa v[36:37], v12 src0_sel:WORD_1
	v_mfma_f32_16x16x16_f16 v[20:23], v[24:25], v[30:31], v[20:23]
	v_cvt_pk_f32_fp8_sdwa v[24:25], v10 src0_sel:WORD_1
	v_cvt_pkrtz_f16_f32 v10, v16, v17
	v_cvt_pk_f32_fp8_sdwa v[16:17], v11 src0_sel:WORD_1
	ds_read_b128 v[32:35], v14 offset:2064
	v_cvt_pkrtz_f16_f32 v11, v24, v25
	v_cvt_pkrtz_f16_f32 v24, v28, v29
	ds_read_b128 v[28:31], v14 offset:2048
	v_cvt_pkrtz_f16_f32 v25, v16, v17
	v_cvt_pk_f32_fp8_e32 v[16:17], v12
	s_waitcnt lgkmcnt(0)
	v_mfma_f32_16x16x16_f16 v[20:23], v[10:11], v[28:29], v[20:23]
	v_cvt_pkrtz_f16_f32 v10, v16, v17
	v_cvt_pkrtz_f16_f32 v11, v36, v37
	v_cvt_pk_f32_fp8_e32 v[16:17], v13
	v_mfma_f32_16x16x16_f16 v[20:23], v[24:25], v[30:31], v[20:23]
	v_cvt_pk_f32_fp8_sdwa v[24:25], v13 src0_sel:WORD_1
	ds_read_b128 v[28:31], v14 offset:4112
	v_cvt_pkrtz_f16_f32 v16, v16, v17
	v_mfma_f32_16x16x16_f16 v[10:13], v[10:11], v[32:33], v[20:23]
	v_cvt_pkrtz_f16_f32 v17, v24, v25
	s_waitcnt vmcnt(1)
	v_cvt_pk_f32_fp8_sdwa v[24:25], v7 src0_sel:WORD_1
	v_cvt_pk_f32_fp8_sdwa v[32:33], v8 src0_sel:WORD_1
	v_cvt_pk_f32_fp8_e32 v[20:21], v6
	v_mfma_f32_16x16x16_f16 v[10:13], v[16:17], v[34:35], v[10:13]
	v_cvt_pk_f32_fp8_sdwa v[16:17], v6 src0_sel:WORD_1
	v_cvt_pk_f32_fp8_e32 v[22:23], v7
	v_cvt_pkrtz_f16_f32 v6, v20, v21
	s_mov_b32 s3, 0
	v_cvt_pkrtz_f16_f32 v7, v16, v17
	v_cvt_pkrtz_f16_f32 v16, v22, v23
	ds_read_b128 v[20:23], v14 offset:4096
	v_cvt_pkrtz_f16_f32 v17, v24, v25
	v_cvt_pk_f32_fp8_e32 v[24:25], v8
	s_waitcnt lgkmcnt(0)
	v_mfma_f32_16x16x16_f16 v[10:13], v[6:7], v[20:21], v[10:13]
	v_cvt_pkrtz_f16_f32 v6, v24, v25
	v_cvt_pkrtz_f16_f32 v7, v32, v33
	v_cvt_pk_f32_fp8_e32 v[20:21], v9
	v_mfma_f32_16x16x16_f16 v[10:13], v[16:17], v[22:23], v[10:13]
	v_cvt_pk_f32_fp8_sdwa v[16:17], v9 src0_sel:WORD_1
	s_waitcnt vmcnt(0)
	v_cvt_pk_f32_fp8_sdwa v[24:25], v4 src0_sel:WORD_1
	v_cvt_pkrtz_f16_f32 v20, v20, v21
	v_mfma_f32_16x16x16_f16 v[6:9], v[6:7], v[28:29], v[10:13]
	v_cvt_pkrtz_f16_f32 v21, v16, v17
	v_cvt_pk_f32_fp8_e32 v[16:17], v3
	v_mov_b32_e32 v27, 0
	v_cvt_pk_f32_fp8_e32 v[10:11], v2
	v_cvt_pk_f32_fp8_sdwa v[12:13], v2 src0_sel:WORD_1
	v_mfma_f32_16x16x16_f16 v[6:9], v[20:21], v[30:31], v[6:9]
	v_cvt_pk_f32_fp8_sdwa v[20:21], v3 src0_sel:WORD_1
	v_cvt_pkrtz_f16_f32 v2, v10, v11
	v_cvt_pkrtz_f16_f32 v3, v12, v13
	ds_read_b128 v[10:13], v14 offset:6144
	v_cvt_pkrtz_f16_f32 v22, v16, v17
	v_cvt_pkrtz_f16_f32 v23, v20, v21
	v_cvt_pk_f32_fp8_e32 v[20:21], v4
	s_waitcnt lgkmcnt(0)
	v_mfma_f32_16x16x16_f16 v[6:9], v[2:3], v[10:11], v[6:9]
	ds_read_b128 v[14:17], v14 offset:6160
	v_cvt_pkrtz_f16_f32 v2, v20, v21
	v_cvt_pkrtz_f16_f32 v3, v24, v25
	v_cvt_pk_f32_fp8_e32 v[10:11], v5
	v_mfma_f32_16x16x16_f16 v[6:9], v[22:23], v[12:13], v[6:9]
	v_cvt_pk_f32_fp8_sdwa v[12:13], v5 src0_sel:WORD_1
	s_waitcnt lgkmcnt(0)
	v_cvt_pkrtz_f16_f32 v10, v10, v11
	v_mfma_f32_16x16x16_f16 v[2:5], v[2:3], v[14:15], v[6:9]
	v_cvt_pkrtz_f16_f32 v11, v12, v13
	s_barrier
	s_nop 0
	v_mfma_f32_16x16x16_f16 v[2:5], v[10:11], v[16:17], v[2:5]
	s_nop 6
	v_pk_mul_f32 v[4:5], v[4:5], s[4:5] op_sel_hi:[1,0]
	v_pk_mul_f32 v[2:3], v[2:3], s[4:5] op_sel_hi:[1,0]
	v_cvt_f16_f32_e32 v4, v4
	v_cvt_f16_f32_e32 v2, v2
	v_cvt_f16_f32_e32 v3, v3
	v_cvt_f16_f32_e32 v5, v5
	s_and_b64 s[4:5], vcc, s[30:31]
	v_pack_b32_f16 v2, v2, v3
	v_pack_b32_f16 v3, v4, v5
	ds_write_b64 v18, v[2:3]
	s_waitcnt lgkmcnt(0)
	s_barrier
	s_and_saveexec_b64 s[8:9], s[4:5]
	s_cbranch_execz .LBB893_20
; %bb.18:
	s_load_dwordx2 s[4:5], s[0:1], 0x68
	s_lshl_b32 s0, s6, 6
	s_mul_i32 s1, s7, s2
	s_mul_hi_u32 s7, s1, s0
	s_mul_i32 s6, s1, s0
	v_lshlrev_b32_e32 v0, 10, v0
	s_lshl_b64 s[6:7], s[6:7], 1
	v_and_b32_e32 v0, 0x1800, v0
	v_lshlrev_b32_e32 v3, 5, v42
	v_and_b32_e32 v1, 16, v1
	s_waitcnt lgkmcnt(0)
	s_add_u32 s1, s4, s6
	v_or3_b32 v3, v0, v3, v1
	s_addc_u32 s4, s5, s7
	s_lshl_b32 s2, s28, 6
	s_lshl_b64 s[2:3], s[2:3], 1
	ds_read_b128 v[4:7], v3
	s_add_u32 s2, s1, s2
	s_addc_u32 s3, s4, s3
	v_add_u32_e32 v8, s48, v42
	v_or_b32_e32 v2, 4, v42
	v_lshl_add_u64 v[0:1], s[2:3], 0, v[26:27]
	v_mad_u64_u32 v[8:9], s[2:3], v8, s0, 0
	v_lshl_add_u64 v[8:9], v[8:9], 1, v[0:1]
	v_cmp_gt_u32_e32 vcc, 6, v2
	s_waitcnt lgkmcnt(0)
	global_store_dwordx4 v[8:9], v[4:7], off
	s_and_b64 exec, exec, vcc
	s_cbranch_execz .LBB893_20
; %bb.19:
	ds_read_b128 v[4:7], v3 offset:128
	v_add_u32_e32 v2, s48, v2
	v_mad_u64_u32 v[2:3], s[0:1], v2, s0, 0
	v_lshl_add_u64 v[0:1], v[2:3], 1, v[0:1]
	s_waitcnt lgkmcnt(0)
	global_store_dwordx4 v[0:1], v[4:7], off
.LBB893_20:
	s_endpgm
	.section	.rodata,"a",@progbits
	.p2align	6, 0x0
	.amdhsa_kernel _Z39paged_attention_ll4mi_QKV_mfma16_kernelIDF16_hLN4vllm18Fp8KVCacheDataTypeE1EDF16_Li32ELi64ELi256ELb1ELi6EEvPKT_PKT0_S7_ifPKiS9_S9_iPKfiiiPfSC_PS2_PT2_iSB_SB_
		.amdhsa_group_segment_fixed_size 8192
		.amdhsa_private_segment_fixed_size 0
		.amdhsa_kernarg_size 400
		.amdhsa_user_sgpr_count 2
		.amdhsa_user_sgpr_dispatch_ptr 0
		.amdhsa_user_sgpr_queue_ptr 0
		.amdhsa_user_sgpr_kernarg_segment_ptr 1
		.amdhsa_user_sgpr_dispatch_id 0
		.amdhsa_user_sgpr_kernarg_preload_length 0
		.amdhsa_user_sgpr_kernarg_preload_offset 0
		.amdhsa_user_sgpr_private_segment_size 0
		.amdhsa_uses_dynamic_stack 0
		.amdhsa_enable_private_segment 0
		.amdhsa_system_sgpr_workgroup_id_x 1
		.amdhsa_system_sgpr_workgroup_id_y 1
		.amdhsa_system_sgpr_workgroup_id_z 1
		.amdhsa_system_sgpr_workgroup_info 0
		.amdhsa_system_vgpr_workitem_id 0
		.amdhsa_next_free_vgpr 71
		.amdhsa_next_free_sgpr 50
		.amdhsa_accum_offset 72
		.amdhsa_reserve_vcc 1
		.amdhsa_float_round_mode_32 0
		.amdhsa_float_round_mode_16_64 0
		.amdhsa_float_denorm_mode_32 3
		.amdhsa_float_denorm_mode_16_64 3
		.amdhsa_dx10_clamp 1
		.amdhsa_ieee_mode 1
		.amdhsa_fp16_overflow 0
		.amdhsa_tg_split 0
		.amdhsa_exception_fp_ieee_invalid_op 0
		.amdhsa_exception_fp_denorm_src 0
		.amdhsa_exception_fp_ieee_div_zero 0
		.amdhsa_exception_fp_ieee_overflow 0
		.amdhsa_exception_fp_ieee_underflow 0
		.amdhsa_exception_fp_ieee_inexact 0
		.amdhsa_exception_int_div_zero 0
	.end_amdhsa_kernel
	.section	.text._Z39paged_attention_ll4mi_QKV_mfma16_kernelIDF16_hLN4vllm18Fp8KVCacheDataTypeE1EDF16_Li32ELi64ELi256ELb1ELi6EEvPKT_PKT0_S7_ifPKiS9_S9_iPKfiiiPfSC_PS2_PT2_iSB_SB_,"axG",@progbits,_Z39paged_attention_ll4mi_QKV_mfma16_kernelIDF16_hLN4vllm18Fp8KVCacheDataTypeE1EDF16_Li32ELi64ELi256ELb1ELi6EEvPKT_PKT0_S7_ifPKiS9_S9_iPKfiiiPfSC_PS2_PT2_iSB_SB_,comdat
.Lfunc_end893:
	.size	_Z39paged_attention_ll4mi_QKV_mfma16_kernelIDF16_hLN4vllm18Fp8KVCacheDataTypeE1EDF16_Li32ELi64ELi256ELb1ELi6EEvPKT_PKT0_S7_ifPKiS9_S9_iPKfiiiPfSC_PS2_PT2_iSB_SB_, .Lfunc_end893-_Z39paged_attention_ll4mi_QKV_mfma16_kernelIDF16_hLN4vllm18Fp8KVCacheDataTypeE1EDF16_Li32ELi64ELi256ELb1ELi6EEvPKT_PKT0_S7_ifPKiS9_S9_iPKfiiiPfSC_PS2_PT2_iSB_SB_
                                        ; -- End function
	.section	.AMDGPU.csdata,"",@progbits
; Kernel info:
; codeLenInByte = 4952
; NumSgprs: 56
; NumVgprs: 71
; NumAgprs: 0
; TotalNumVgprs: 71
; ScratchSize: 0
; MemoryBound: 0
; FloatMode: 240
; IeeeMode: 1
; LDSByteSize: 8192 bytes/workgroup (compile time only)
; SGPRBlocks: 6
; VGPRBlocks: 8
; NumSGPRsForWavesPerEU: 56
; NumVGPRsForWavesPerEU: 71
; AccumOffset: 72
; Occupancy: 7
; WaveLimiterHint : 1
; COMPUTE_PGM_RSRC2:SCRATCH_EN: 0
; COMPUTE_PGM_RSRC2:USER_SGPR: 2
; COMPUTE_PGM_RSRC2:TRAP_HANDLER: 0
; COMPUTE_PGM_RSRC2:TGID_X_EN: 1
; COMPUTE_PGM_RSRC2:TGID_Y_EN: 1
; COMPUTE_PGM_RSRC2:TGID_Z_EN: 1
; COMPUTE_PGM_RSRC2:TIDIG_COMP_CNT: 0
; COMPUTE_PGM_RSRC3_GFX90A:ACCUM_OFFSET: 17
; COMPUTE_PGM_RSRC3_GFX90A:TG_SPLIT: 0
	.section	.text._Z39paged_attention_ll4mi_QKV_mfma16_kernelIDF16_hLN4vllm18Fp8KVCacheDataTypeE1EDF16_Li32ELi64ELi256ELb1ELi7EEvPKT_PKT0_S7_ifPKiS9_S9_iPKfiiiPfSC_PS2_PT2_iSB_SB_,"axG",@progbits,_Z39paged_attention_ll4mi_QKV_mfma16_kernelIDF16_hLN4vllm18Fp8KVCacheDataTypeE1EDF16_Li32ELi64ELi256ELb1ELi7EEvPKT_PKT0_S7_ifPKiS9_S9_iPKfiiiPfSC_PS2_PT2_iSB_SB_,comdat
	.protected	_Z39paged_attention_ll4mi_QKV_mfma16_kernelIDF16_hLN4vllm18Fp8KVCacheDataTypeE1EDF16_Li32ELi64ELi256ELb1ELi7EEvPKT_PKT0_S7_ifPKiS9_S9_iPKfiiiPfSC_PS2_PT2_iSB_SB_ ; -- Begin function _Z39paged_attention_ll4mi_QKV_mfma16_kernelIDF16_hLN4vllm18Fp8KVCacheDataTypeE1EDF16_Li32ELi64ELi256ELb1ELi7EEvPKT_PKT0_S7_ifPKiS9_S9_iPKfiiiPfSC_PS2_PT2_iSB_SB_
	.globl	_Z39paged_attention_ll4mi_QKV_mfma16_kernelIDF16_hLN4vllm18Fp8KVCacheDataTypeE1EDF16_Li32ELi64ELi256ELb1ELi7EEvPKT_PKT0_S7_ifPKiS9_S9_iPKfiiiPfSC_PS2_PT2_iSB_SB_
	.p2align	8
	.type	_Z39paged_attention_ll4mi_QKV_mfma16_kernelIDF16_hLN4vllm18Fp8KVCacheDataTypeE1EDF16_Li32ELi64ELi256ELb1ELi7EEvPKT_PKT0_S7_ifPKiS9_S9_iPKfiiiPfSC_PS2_PT2_iSB_SB_,@function
_Z39paged_attention_ll4mi_QKV_mfma16_kernelIDF16_hLN4vllm18Fp8KVCacheDataTypeE1EDF16_Li32ELi64ELi256ELb1ELi7EEvPKT_PKT0_S7_ifPKiS9_S9_iPKfiiiPfSC_PS2_PT2_iSB_SB_: ; @_Z39paged_attention_ll4mi_QKV_mfma16_kernelIDF16_hLN4vllm18Fp8KVCacheDataTypeE1EDF16_Li32ELi64ELi256ELb1ELi7EEvPKT_PKT0_S7_ifPKiS9_S9_iPKfiiiPfSC_PS2_PT2_iSB_SB_
; %bb.0:
	s_load_dwordx2 s[6:7], s[0:1], 0x30
	s_mov_b32 s28, s3
	s_mov_b64 s[8:9], 0
	s_waitcnt lgkmcnt(0)
	s_cmp_lg_u64 s[6:7], 0
	s_cselect_b64 s[10:11], -1, 0
	s_and_b64 vcc, exec, s[10:11]
	s_cbranch_vccz .LBB894_7
; %bb.1:
	s_add_i32 s12, s2, 1
	s_mov_b32 s13, 0
	s_lshl_b64 s[14:15], s[12:13], 2
	s_add_u32 s14, s6, s14
	s_mov_b32 s3, s13
	s_addc_u32 s15, s7, s15
	s_lshl_b64 s[12:13], s[2:3], 2
	s_add_u32 s12, s6, s12
	s_addc_u32 s13, s7, s13
	s_load_dword s5, s[14:15], 0x0
	s_load_dword s16, s[12:13], 0x0
	s_waitcnt lgkmcnt(0)
	s_sub_i32 s5, s5, s16
	s_cmp_eq_u32 s5, 1
	s_cselect_b64 s[12:13], -1, 0
	s_andn2_b64 vcc, exec, s[8:9]
	s_cbranch_vccnz .LBB894_3
.LBB894_2:
	s_mov_b32 s3, 0
	s_mov_b64 s[12:13], -1
.LBB894_3:
	s_andn2_b64 vcc, exec, s[12:13]
	s_cbranch_vccnz .LBB894_20
; %bb.4:
	s_load_dwordx2 s[8:9], s[0:1], 0x28
	s_lshl_b64 s[12:13], s[2:3], 2
	s_waitcnt lgkmcnt(0)
	s_add_u32 s8, s8, s12
	s_addc_u32 s9, s9, s13
	s_load_dword s29, s[8:9], 0x0
	s_lshl_b32 s16, s28, 8
	s_waitcnt lgkmcnt(0)
	s_cmp_ge_i32 s16, s29
	s_cbranch_scc1 .LBB894_20
; %bb.5:
	s_load_dwordx2 s[8:9], s[0:1], 0x20
	s_load_dword s5, s[0:1], 0x38
	s_add_i32 s14, s29, 31
	s_ashr_i32 s15, s14, 31
	v_and_b32_e32 v1, 0xcf, v0
	s_lshr_b32 s15, s15, 27
	v_add_u32_e32 v1, s16, v1
	s_add_i32 s14, s14, s15
	v_ashrrev_i32_e32 v2, 31, v1
	s_ashr_i32 s17, s14, 5
	v_lshrrev_b32_e32 v4, 27, v2
	s_add_i32 s17, s17, -1
	s_waitcnt lgkmcnt(0)
	s_mul_i32 s14, s2, s5
	s_mov_b32 s15, 0
	v_add_u32_e32 v2, v1, v4
	s_lshl_b64 s[14:15], s[14:15], 2
	v_ashrrev_i32_e32 v2, 5, v2
	v_mov_b32_e32 v5, s17
	v_cmp_gt_i32_e32 vcc, s29, v1
	s_add_u32 s8, s8, s14
	s_addc_u32 s9, s9, s15
	v_cndmask_b32_e32 v2, v5, v2, vcc
	v_ashrrev_i32_e32 v3, 31, v2
	v_lshl_add_u64 v[6:7], v[2:3], 2, s[8:9]
	v_or_b32_e32 v2, 16, v1
	v_add_u32_e32 v3, v2, v4
	v_ashrrev_i32_e32 v3, 5, v3
	v_cmp_gt_i32_e32 vcc, s29, v2
	s_load_dwordx2 s[14:15], s[0:1], 0x8
	s_nop 0
	v_cndmask_b32_e32 v2, v5, v3, vcc
	v_ashrrev_i32_e32 v3, 31, v2
	v_lshl_add_u64 v[8:9], v[2:3], 2, s[8:9]
	v_or_b32_e32 v2, 32, v1
	v_add_u32_e32 v3, v2, v4
	v_ashrrev_i32_e32 v3, 5, v3
	v_cmp_gt_i32_e32 vcc, s29, v2
	v_or_b32_e32 v1, 48, v1
	s_nop 0
	v_cndmask_b32_e32 v2, v5, v3, vcc
	v_ashrrev_i32_e32 v3, 31, v2
	v_lshl_add_u64 v[10:11], v[2:3], 2, s[8:9]
	v_add_u32_e32 v2, v1, v4
	v_ashrrev_i32_e32 v2, 5, v2
	v_cmp_gt_i32_e32 vcc, s29, v1
	s_nop 1
	v_cndmask_b32_e32 v2, v5, v2, vcc
	v_ashrrev_i32_e32 v3, 31, v2
	v_lshl_add_u64 v[12:13], v[2:3], 2, s[8:9]
	global_load_dword v5, v[6:7], off
	global_load_dword v4, v[8:9], off
	;; [unrolled: 1-line block ×4, first 2 shown]
	s_andn2_b64 vcc, exec, s[10:11]
	s_cbranch_vccnz .LBB894_8
; %bb.6:
	s_add_u32 s6, s6, s12
	s_addc_u32 s7, s7, s13
	s_load_dword s5, s[6:7], 0x0
	s_branch .LBB894_9
.LBB894_7:
	s_mov_b64 s[12:13], 0
	s_branch .LBB894_2
.LBB894_8:
	s_mov_b32 s5, s2
.LBB894_9:
	s_load_dwordx2 s[10:11], s[0:1], 0x10
	s_load_dwordx4 s[44:47], s[0:1], 0x48
	v_lshrrev_b32_e32 v29, 6, v0
	v_bfe_u32 v42, v0, 4, 2
	v_lshl_or_b32 v6, v29, 2, v42
	v_and_b32_e32 v28, 15, v0
	v_lshlrev_b32_e32 v1, 3, v28
	v_cmp_gt_u32_e32 vcc, 7, v6
	v_cmp_gt_u32_e64 s[30:31], 8, v28
	s_mul_i32 s48, s4, 7
	s_and_b64 s[12:13], s[30:31], vcc
	v_lshlrev_b32_e32 v26, 1, v1
	v_lshlrev_b32_e32 v1, 4, v0
	s_and_saveexec_b64 s[6:7], s[12:13]
	s_cbranch_execz .LBB894_11
; %bb.10:
	s_load_dwordx2 s[12:13], s[0:1], 0x0
	s_waitcnt lgkmcnt(0)
	s_ashr_i32 s18, s44, 31
	s_mul_hi_u32 s19, s5, s44
	s_mul_i32 s18, s5, s18
	s_add_i32 s19, s19, s18
	s_mul_i32 s18, s5, s44
	s_lshl_b64 s[18:19], s[18:19], 1
	s_add_u32 s12, s12, s18
	v_add_lshl_u32 v8, v6, s48, 6
	s_addc_u32 s13, s13, s19
	v_ashrrev_i32_e32 v9, 31, v8
	v_lshl_add_u64 v[8:9], v[8:9], 1, s[12:13]
	v_mov_b32_e32 v27, 0
	v_lshl_add_u64 v[8:9], v[8:9], 0, v[26:27]
	global_load_dwordx4 v[8:11], v[8:9], off
	v_lshlrev_b32_e32 v12, 8, v28
	v_lshlrev_b32_e32 v6, 5, v6
	v_and_b32_e32 v7, 16, v1
	v_and_b32_e32 v12, 0xe00, v12
	v_or3_b32 v6, v12, v6, v7
	s_waitcnt vmcnt(0)
	ds_write_b128 v6, v[8:11]
.LBB894_11:
	s_or_b64 exec, exec, s[6:7]
	s_waitcnt lgkmcnt(0)
	s_mul_i32 s12, s4, s46
	s_add_u32 s4, s14, s12
	s_addc_u32 s5, s15, 0
	v_mov_b32_e32 v31, 0
	v_mov_b64_e32 v[6:7], s[4:5]
	v_lshlrev_b32_e32 v10, 4, v28
	v_and_b32_e32 v27, 48, v0
	s_waitcnt vmcnt(3)
	v_mad_i64_i32 v[8:9], s[4:5], v5, s45, v[6:7]
	v_mov_b32_e32 v11, v31
	s_waitcnt vmcnt(2)
	v_mad_i64_i32 v[4:5], s[4:5], v4, s45, v[6:7]
	v_or_b32_e32 v12, 0x100, v10
	v_mov_b32_e32 v13, v31
	v_lshlrev_b32_e32 v30, 5, v27
	v_lshl_add_u64 v[8:9], v[8:9], 0, v[10:11]
	v_lshl_add_u64 v[4:5], v[4:5], 0, v[12:13]
	;; [unrolled: 1-line block ×4, first 2 shown]
	s_barrier
	global_load_dwordx4 v[22:25], v[8:9], off
	global_load_dwordx4 v[18:21], v[4:5], off
	s_waitcnt vmcnt(3)
	v_mad_i64_i32 v[4:5], s[4:5], v3, s45, v[6:7]
	v_lshl_add_u64 v[4:5], v[4:5], 0, v[10:11]
	s_waitcnt vmcnt(2)
	v_mad_i64_i32 v[2:3], s[4:5], v2, s45, v[6:7]
	v_lshl_add_u64 v[4:5], v[4:5], 0, v[30:31]
	v_lshl_add_u64 v[2:3], v[2:3], 0, v[12:13]
	;; [unrolled: 1-line block ×3, first 2 shown]
	global_load_dwordx4 v[14:17], v[4:5], off
	global_load_dwordx4 v[6:9], v[2:3], off
	v_mul_lo_u16_e32 v2, 37, v28
	v_mov_b32_e32 v3, 7
	v_mul_lo_u16_sdwa v2, v2, v3 dst_sel:DWORD dst_unused:UNUSED_PAD src0_sel:BYTE_1 src1_sel:DWORD
	v_sub_u16_e32 v2, v28, v2
	v_mov_b32_e32 v3, 5
	v_lshlrev_b32_sdwa v2, v3, v2 dst_sel:DWORD dst_unused:UNUSED_PAD src0_sel:DWORD src1_sel:BYTE_0
	v_lshl_add_u32 v2, v42, 9, v2
	ds_read_b128 v[10:13], v2
	ds_read_b128 v[2:5], v2 offset:16
	v_and_b32_e32 v43, 63, v0
	v_cmp_gt_u32_e32 vcc, 7, v28
	v_mov_b32_e32 v44, 0
	s_and_saveexec_b64 s[4:5], vcc
	s_cbranch_execz .LBB894_13
; %bb.12:
	s_load_dwordx2 s[6:7], s[0:1], 0x40
	v_add_u32_e32 v32, s48, v28
	v_ashrrev_i32_e32 v33, 31, v32
	s_waitcnt lgkmcnt(0)
	v_lshl_add_u64 v[32:33], v[32:33], 2, s[6:7]
	global_load_dword v44, v[32:33], off
.LBB894_13:
	s_or_b64 exec, exec, s[4:5]
	s_ashr_i32 s4, s16, 31
	v_or_b32_e32 v45, s16, v27
	s_lshr_b32 s13, s4, 27
	v_add_u32_e32 v27, s13, v45
	v_ashrrev_i32_e32 v27, 5, v27
	s_waitcnt vmcnt(3)
	v_cvt_pk_f32_fp8_e32 v[32:33], v22
	v_cvt_pk_f32_fp8_sdwa v[34:35], v22 src0_sel:WORD_1
	s_waitcnt vmcnt(2)
	v_cvt_pk_f32_fp8_e32 v[56:57], v20
	v_cvt_pk_f32_fp8_sdwa v[58:59], v20 src0_sel:WORD_1
	v_mov_b32_e32 v20, s17
	v_cmp_gt_i32_e32 vcc, s29, v45
	v_cvt_pk_f32_fp8_e32 v[48:49], v18
	v_cvt_pk_f32_fp8_sdwa v[50:51], v18 src0_sel:WORD_1
	v_cndmask_b32_e32 v18, v20, v27, vcc
	v_cvt_pk_f32_fp8_e32 v[52:53], v19
	v_cvt_pk_f32_fp8_sdwa v[54:55], v19 src0_sel:WORD_1
	v_ashrrev_i32_e32 v19, 31, v18
	v_lshl_add_u64 v[18:19], v[18:19], 2, s[8:9]
	v_cvt_pk_f32_fp8_e32 v[36:37], v23
	v_cvt_pk_f32_fp8_sdwa v[22:23], v23 src0_sel:WORD_1
	global_load_dword v70, v[18:19], off
	v_cvt_pkrtz_f16_f32 v18, v32, v33
	v_cvt_pkrtz_f16_f32 v19, v34, v35
	v_cvt_pk_f32_fp8_e32 v[60:61], v21
	v_cvt_pk_f32_fp8_sdwa v[62:63], v21 src0_sel:WORD_1
	v_or_b32_e32 v21, 64, v45
	v_or_b32_e32 v32, 0x80, v45
	;; [unrolled: 1-line block ×3, first 2 shown]
	v_cmp_gt_i32_e32 vcc, s29, v21
	v_add_u32_e32 v21, s13, v21
	v_cmp_gt_i32_e64 s[4:5], s29, v32
	v_add_u32_e32 v32, s13, v32
	v_cmp_gt_i32_e64 s[6:7], s29, v33
	v_add_u32_e32 v33, s13, v33
	v_cvt_pk_f32_fp8_e32 v[38:39], v24
	v_cvt_pk_f32_fp8_sdwa v[40:41], v24 src0_sel:WORD_1
	v_ashrrev_i32_e32 v21, 5, v21
	v_ashrrev_i32_e32 v34, 5, v32
	;; [unrolled: 1-line block ×3, first 2 shown]
	v_cvt_pkrtz_f16_f32 v32, v36, v37
	v_cvt_pkrtz_f16_f32 v33, v22, v23
	v_cndmask_b32_e32 v36, v20, v21, vcc
	v_cndmask_b32_e64 v64, v20, v34, s[4:5]
	v_cndmask_b32_e64 v66, v20, v35, s[6:7]
	s_waitcnt lgkmcnt(1)
	v_mfma_f32_16x16x16_f16 v[18:21], v[18:19], v[10:11], 0
	v_cvt_pk_f32_fp8_e32 v[46:47], v25
	v_cvt_pkrtz_f16_f32 v22, v48, v49
	v_cvt_pkrtz_f16_f32 v23, v50, v51
	v_cvt_pk_f32_fp8_sdwa v[24:25], v25 src0_sel:WORD_1
	v_cvt_pkrtz_f16_f32 v38, v38, v39
	v_cvt_pkrtz_f16_f32 v39, v40, v41
	v_mfma_f32_16x16x16_f16 v[32:35], v[32:33], v[12:13], v[18:21]
	s_add_u32 s10, s10, s12
	v_and_b32_e32 v30, 16, v0
	v_lshlrev_b32_e32 v27, 5, v28
	s_addc_u32 s11, s11, 0
	v_cvt_pkrtz_f16_f32 v68, v46, v47
	v_cvt_pkrtz_f16_f32 v46, v52, v53
	;; [unrolled: 1-line block ×3, first 2 shown]
	s_load_dword s14, s[0:1], 0x1c
	s_load_dwordx4 s[40:43], s[0:1], 0x80
	v_lshl_add_u64 v[40:41], s[10:11], 0, v[30:31]
	v_lshl_or_b32 v30, v29, 9, v27
	v_cvt_pkrtz_f16_f32 v69, v24, v25
	v_mfma_f32_16x16x16_f16 v[22:25], v[22:23], v[10:11], 0
	v_lshl_add_u64 v[18:19], v[40:41], 0, v[30:31]
	v_ashrrev_i32_e32 v37, 31, v36
	v_ashrrev_i32_e32 v65, 31, v64
	s_waitcnt lgkmcnt(0)
	v_mfma_f32_16x16x16_f16 v[30:33], v[38:39], v[2:3], v[32:35]
	v_ashrrev_i32_e32 v67, 31, v66
	v_cvt_pkrtz_f16_f32 v48, v56, v57
	v_cvt_pkrtz_f16_f32 v49, v58, v59
	v_mfma_f32_16x16x16_f16 v[20:23], v[46:47], v[12:13], v[22:25]
	v_lshl_add_u64 v[34:35], v[64:65], 2, s[8:9]
	s_load_dword s4, s[40:41], 0x0
	v_cvt_pkrtz_f16_f32 v50, v60, v61
	v_lshl_add_u64 v[24:25], v[36:37], 2, s[8:9]
	v_lshl_add_u64 v[36:37], v[66:67], 2, s[8:9]
	global_load_dword v47, v[24:25], off
	global_load_dword v45, v[34:35], off
	;; [unrolled: 1-line block ×3, first 2 shown]
	v_mfma_f32_16x16x16_f16 v[34:37], v[68:69], v[4:5], v[30:33]
	s_waitcnt vmcnt(5)
	v_cvt_pk_f32_fp8_e32 v[24:25], v14
	v_cvt_pkrtz_f16_f32 v51, v62, v63
	v_cvt_pk_f32_fp8_e32 v[38:39], v15
	v_cvt_pk_f32_fp8_sdwa v[32:33], v14 src0_sel:WORD_1
	v_mfma_f32_16x16x16_f16 v[20:23], v[48:49], v[2:3], v[20:23]
	v_cvt_pkrtz_f16_f32 v24, v24, v25
	v_cvt_pk_f32_fp8_sdwa v[14:15], v15 src0_sel:WORD_1
	v_cvt_pkrtz_f16_f32 v25, v32, v33
	v_mov_b32_e32 v40, s14
	v_mfma_f32_16x16x16_f16 v[20:23], v[50:51], v[4:5], v[20:23]
	v_cvt_pkrtz_f16_f32 v32, v38, v39
	v_cvt_pk_f32_fp8_e32 v[50:51], v16
	v_cvt_pk_f32_fp8_sdwa v[52:53], v16 src0_sel:WORD_1
	v_cvt_pkrtz_f16_f32 v33, v14, v15
	s_waitcnt lgkmcnt(0)
	v_mul_f32_e32 v48, s4, v40
	v_mfma_f32_16x16x16_f16 v[38:41], v[24:25], v[10:11], 0
	v_cvt_pkrtz_f16_f32 v24, v50, v51
	v_cvt_pkrtz_f16_f32 v25, v52, v53
	v_cvt_pk_f32_fp8_e32 v[50:51], v17
	v_cvt_pk_f32_fp8_sdwa v[52:53], v17 src0_sel:WORD_1
	v_mfma_f32_16x16x16_f16 v[14:17], v[32:33], v[12:13], v[38:41]
	v_pk_mul_f32 v[32:33], v[48:49], v[36:37] op_sel_hi:[0,1]
	v_cvt_pkrtz_f16_f32 v36, v50, v51
	v_cvt_pkrtz_f16_f32 v37, v52, v53
	v_mfma_f32_16x16x16_f16 v[14:17], v[24:25], v[2:3], v[14:17]
	v_pk_mul_f32 v[38:39], v[48:49], v[34:35] op_sel_hi:[0,1]
	s_waitcnt vmcnt(4)
	v_cvt_pk_f32_fp8_e32 v[24:25], v6
	v_cvt_pk_f32_fp8_sdwa v[34:35], v6 src0_sel:WORD_1
	v_mfma_f32_16x16x16_f16 v[14:17], v[36:37], v[4:5], v[14:17]
	v_cvt_pk_f32_fp8_e32 v[36:37], v7
	v_cvt_pkrtz_f16_f32 v24, v24, v25
	v_cvt_pkrtz_f16_f32 v25, v34, v35
	v_cvt_pk_f32_fp8_sdwa v[6:7], v7 src0_sel:WORD_1
	v_cvt_pkrtz_f16_f32 v40, v36, v37
	v_cvt_pk_f32_fp8_e32 v[50:51], v8
	v_cvt_pk_f32_fp8_sdwa v[52:53], v8 src0_sel:WORD_1
	v_cvt_pkrtz_f16_f32 v41, v6, v7
	v_mfma_f32_16x16x16_f16 v[34:37], v[24:25], v[10:11], 0
	v_cvt_pkrtz_f16_f32 v10, v50, v51
	v_cvt_pkrtz_f16_f32 v11, v52, v53
	v_cvt_pk_f32_fp8_e32 v[24:25], v9
	v_cvt_pk_f32_fp8_sdwa v[50:51], v9 src0_sel:WORD_1
	v_mfma_f32_16x16x16_f16 v[6:9], v[40:41], v[12:13], v[34:37]
	v_pk_mul_f32 v[40:41], v[48:49], v[20:21] op_sel_hi:[0,1]
	v_cvt_pkrtz_f16_f32 v12, v24, v25
	v_cvt_pkrtz_f16_f32 v13, v50, v51
	v_mfma_f32_16x16x16_f16 v[6:9], v[10:11], v[2:3], v[6:9]
	v_pk_mul_f32 v[36:37], v[48:49], v[22:23] op_sel_hi:[0,1]
	v_pk_mul_f32 v[24:25], v[48:49], v[16:17] op_sel_hi:[0,1]
	;; [unrolled: 1-line block ×3, first 2 shown]
	v_mfma_f32_16x16x16_f16 v[2:5], v[12:13], v[4:5], v[6:9]
	s_waitcnt vmcnt(3)
	v_mad_i64_i32 v[30:31], s[4:5], v70, s45, v[18:19]
	s_mov_b32 s33, 0xff7fffff
	s_nop 3
	v_pk_mul_f32 v[22:23], v[48:49], v[2:3] op_sel_hi:[0,1]
	v_and_b32_e32 v2, 0xc0, v0
	v_add_u32_e32 v2, s16, v2
	v_lshl_or_b32 v2, v42, 2, v2
	v_or_b32_e32 v3, 1, v2
	v_pk_mul_f32 v[20:21], v[48:49], v[4:5] op_sel_hi:[0,1]
	v_subrev_u32_e32 v4, s29, v3
	v_add_u32_e32 v6, 1, v4
	v_add_u32_e32 v7, 2, v4
	;; [unrolled: 1-line block ×3, first 2 shown]
	v_cvt_f32_i32_e32 v6, v6
	v_cvt_f32_i32_e32 v7, v7
	v_cvt_f32_i32_e32 v8, v8
	v_add_u32_e32 v9, 19, v4
	v_fmac_f32_e32 v39, v44, v6
	v_fma_f32 v32, v44, v7, v32
	v_fmac_f32_e32 v33, v44, v8
	v_add_u32_e32 v6, 16, v4
	v_add_u32_e32 v7, 17, v4
	;; [unrolled: 1-line block ×3, first 2 shown]
	v_cvt_f32_i32_e32 v6, v6
	v_cvt_f32_i32_e32 v7, v7
	;; [unrolled: 1-line block ×4, first 2 shown]
	v_fma_f32 v40, v44, v6, v40
	v_fmac_f32_e32 v41, v44, v7
	v_fma_f32 v36, v44, v8, v36
	v_add_u32_e32 v6, 32, v4
	v_add_u32_e32 v7, 33, v4
	v_add_u32_e32 v8, 34, v4
	v_cvt_f32_i32_e32 v6, v6
	v_cvt_f32_i32_e32 v7, v7
	;; [unrolled: 1-line block ×4, first 2 shown]
	v_fmac_f32_e32 v37, v44, v9
	v_add_u32_e32 v9, 35, v4
	v_fma_f32 v48, v44, v6, v34
	v_fmac_f32_e32 v35, v44, v7
	v_fma_f32 v24, v44, v8, v24
	v_add_u32_e32 v6, 48, v4
	v_add_u32_e32 v7, 49, v4
	;; [unrolled: 1-line block ×4, first 2 shown]
	v_cvt_f32_i32_e32 v4, v4
	v_cvt_f32_i32_e32 v6, v6
	;; [unrolled: 1-line block ×3, first 2 shown]
	v_fma_f32 v5, v44, v5, v38
	v_fmac_f32_e32 v21, v44, v4
	v_mov_b32_e32 v4, 0xff7fffff
	v_cmp_gt_i32_e64 s[4:5], s29, v2
	v_cmp_gt_i32_e64 s[34:35], s29, v3
	v_fma_f32 v22, v44, v6, v22
	v_cndmask_b32_e64 v6, v4, v5, s[4:5]
	v_cndmask_b32_e64 v3, v4, v39, s[34:35]
	v_fmac_f32_e32 v23, v44, v7
	v_max3_f32 v3, v6, s33, v3
	v_or_b32_e32 v6, 2, v2
	v_or_b32_e32 v7, 3, v2
	v_cmp_gt_i32_e64 s[36:37], s29, v6
	v_cmp_gt_i32_e64 s[38:39], s29, v7
	v_cvt_f32_i32_e32 v9, v9
	v_cndmask_b32_e64 v6, v4, v32, s[36:37]
	v_cndmask_b32_e64 v7, v4, v33, s[38:39]
	v_max3_f32 v3, v3, v6, v7
	v_or_b32_e32 v6, 16, v2
	v_or_b32_e32 v7, 17, v2
	v_cmp_gt_i32_e64 s[24:25], s29, v6
	v_cmp_gt_i32_e64 s[26:27], s29, v7
	v_fmac_f32_e32 v25, v44, v9
	v_cndmask_b32_e64 v6, v4, v40, s[24:25]
	v_cndmask_b32_e64 v7, v4, v41, s[26:27]
	v_max3_f32 v3, v3, v6, v7
	v_or_b32_e32 v6, 18, v2
	v_or_b32_e32 v7, 19, v2
	v_cmp_gt_i32_e64 s[20:21], s29, v6
	v_cmp_gt_i32_e64 s[22:23], s29, v7
	v_cvt_f32_i32_e32 v8, v8
	v_cndmask_b32_e64 v6, v4, v36, s[20:21]
	v_cndmask_b32_e64 v7, v4, v37, s[22:23]
	v_max3_f32 v3, v3, v6, v7
	v_or_b32_e32 v6, 32, v2
	v_or_b32_e32 v7, 33, v2
	v_cmp_gt_i32_e64 s[16:17], s29, v6
	v_cmp_gt_i32_e64 s[18:19], s29, v7
	v_fma_f32 v20, v44, v8, v20
	v_cndmask_b32_e64 v6, v4, v48, s[16:17]
	v_cndmask_b32_e64 v7, v4, v35, s[18:19]
	v_max3_f32 v3, v3, v6, v7
	v_or_b32_e32 v6, 34, v2
	v_or_b32_e32 v7, 35, v2
	v_cmp_gt_i32_e64 s[12:13], s29, v6
	v_cmp_gt_i32_e64 s[14:15], s29, v7
	s_nop 0
	v_cndmask_b32_e64 v6, v4, v24, s[12:13]
	v_cndmask_b32_e64 v7, v4, v25, s[14:15]
	v_max3_f32 v3, v3, v6, v7
	v_or_b32_e32 v6, 48, v2
	v_or_b32_e32 v7, 49, v2
	v_cmp_gt_i32_e64 s[8:9], s29, v6
	v_cmp_gt_i32_e64 s[10:11], s29, v7
	s_nop 0
	v_cndmask_b32_e64 v6, v4, v22, s[8:9]
	v_cndmask_b32_e64 v7, v4, v23, s[10:11]
	v_max3_f32 v3, v3, v6, v7
	v_or_b32_e32 v6, 50, v2
	v_or_b32_e32 v2, 51, v2
	v_cmp_gt_i32_e32 vcc, s29, v6
	v_cmp_gt_i32_e64 s[6:7], s29, v2
	s_nop 0
	v_cndmask_b32_e32 v6, v4, v20, vcc
	v_cndmask_b32_e64 v2, v4, v21, s[6:7]
	v_max3_f32 v4, v3, v6, v2
	v_mbcnt_lo_u32_b32 v2, -1, 0
	v_mbcnt_hi_u32_b32 v6, -1, v2
	v_and_b32_e32 v2, 64, v6
	v_add_u32_e32 v7, 64, v2
	v_xor_b32_e32 v2, 32, v6
	v_cmp_lt_i32_e64 s[40:41], v2, v7
	s_nop 1
	v_cndmask_b32_e64 v2, v6, v2, s[40:41]
	v_lshlrev_b32_e32 v44, 2, v2
	ds_bpermute_b32 v8, v44, v4
	s_waitcnt vmcnt(2)
	v_mad_i64_i32 v[2:3], s[40:41], v47, s45, v[18:19]
	global_load_dwordx4 v[14:17], v[30:31], off
	global_load_dwordx4 v[10:13], v[2:3], off
	v_xor_b32_e32 v3, 16, v6
	v_cmp_lt_i32_e64 s[40:41], v3, v7
	s_waitcnt lgkmcnt(0)
	v_max_f32_e32 v2, v8, v8
	v_max_f32_e32 v2, v4, v2
	v_cndmask_b32_e64 v3, v6, v3, s[40:41]
	v_lshlrev_b32_e32 v47, 2, v3
	ds_bpermute_b32 v3, v47, v2
	s_waitcnt vmcnt(3)
	v_mad_i64_i32 v[30:31], s[40:41], v45, s45, v[18:19]
	s_waitcnt vmcnt(2)
	v_mad_i64_i32 v[18:19], s[40:41], v46, s45, v[18:19]
	s_waitcnt lgkmcnt(0)
	v_max_f32_e32 v3, v3, v3
	v_max_f32_e32 v34, v2, v3
	v_sub_f32_e32 v2, v5, v34
	v_mul_f32_e32 v2, 0x3fb8aa3b, v2
	v_exp_f32_e32 v38, v2
	v_sub_f32_e32 v2, v39, v34
	v_mul_f32_e32 v2, 0x3fb8aa3b, v2
	v_exp_f32_e32 v39, v2
	global_load_dwordx4 v[6:9], v[30:31], off
	global_load_dwordx4 v[2:5], v[18:19], off
	v_sub_f32_e32 v31, v32, v34
	v_sub_f32_e32 v32, v33, v34
	v_mul_f32_e32 v31, 0x3fb8aa3b, v31
	v_mul_f32_e32 v32, 0x3fb8aa3b, v32
	v_exp_f32_e32 v31, v31
	v_exp_f32_e32 v32, v32
	v_cndmask_b32_e64 v18, 0, v38, s[4:5]
	v_cndmask_b32_e64 v19, 0, v39, s[34:35]
	;; [unrolled: 1-line block ×4, first 2 shown]
	v_sub_f32_e32 v31, v40, v34
	v_sub_f32_e32 v32, v41, v34
	v_mul_f32_e32 v31, 0x3fb8aa3b, v31
	v_mul_f32_e32 v32, 0x3fb8aa3b, v32
	v_exp_f32_e32 v31, v31
	v_exp_f32_e32 v32, v32
	v_add_f32_e32 v30, 0, v18
	v_add_f32_e32 v30, v30, v19
	;; [unrolled: 1-line block ×4, first 2 shown]
	v_cndmask_b32_e64 v30, 0, v31, s[24:25]
	v_cndmask_b32_e64 v31, 0, v32, s[26:27]
	v_sub_f32_e32 v32, v36, v34
	v_mul_f32_e32 v32, 0x3fb8aa3b, v32
	v_exp_f32_e32 v32, v32
	v_sub_f32_e32 v36, v37, v34
	v_add_f32_e32 v33, v33, v30
	v_mul_f32_e32 v36, 0x3fb8aa3b, v36
	v_exp_f32_e32 v37, v36
	v_add_f32_e32 v33, v33, v31
	v_cndmask_b32_e64 v36, 0, v32, s[20:21]
	v_add_f32_e32 v32, v33, v36
	v_sub_f32_e32 v33, v48, v34
	v_mul_f32_e32 v33, 0x3fb8aa3b, v33
	v_sub_f32_e32 v35, v35, v34
	v_exp_f32_e32 v33, v33
	v_mul_f32_e32 v35, 0x3fb8aa3b, v35
	v_sub_f32_e32 v24, v24, v34
	v_exp_f32_e32 v35, v35
	;; [unrolled: 3-line block ×3, first 2 shown]
	v_mul_f32_e32 v25, 0x3fb8aa3b, v25
	v_sub_f32_e32 v22, v22, v34
	v_cndmask_b32_e64 v37, 0, v37, s[22:23]
	v_exp_f32_e32 v25, v25
	v_mul_f32_e32 v22, 0x3fb8aa3b, v22
	v_sub_f32_e32 v23, v23, v34
	v_add_f32_e32 v40, v32, v37
	v_cndmask_b32_e64 v32, 0, v33, s[16:17]
	v_exp_f32_e32 v22, v22
	v_mul_f32_e32 v23, 0x3fb8aa3b, v23
	v_sub_f32_e32 v20, v20, v34
	v_add_f32_e32 v40, v40, v32
	;; [unrolled: 5-line block ×3, first 2 shown]
	v_cndmask_b32_e64 v24, 0, v24, s[12:13]
	v_exp_f32_e32 v20, v20
	v_mul_f32_e32 v21, 0x3fb8aa3b, v21
	v_add_f32_e32 v35, v35, v24
	v_cndmask_b32_e64 v25, 0, v25, s[14:15]
	v_exp_f32_e32 v21, v21
	v_add_f32_e32 v35, v35, v25
	v_cndmask_b32_e64 v22, 0, v22, s[8:9]
	v_add_f32_e32 v35, v35, v22
	v_cndmask_b32_e64 v23, 0, v23, s[10:11]
	v_add_f32_e32 v35, v35, v23
	v_cndmask_b32_e32 v20, 0, v20, vcc
	v_add_f32_e32 v35, v35, v20
	v_cndmask_b32_e64 v21, 0, v21, s[6:7]
	v_add_f32_e32 v35, v35, v21
	ds_bpermute_b32 v40, v44, v35
	s_load_dword s7, s[0:1], 0x98
	v_cmp_gt_u32_e32 vcc, 16, v43
	s_waitcnt lgkmcnt(0)
	s_barrier
	v_add_f32_e32 v40, v35, v40
	ds_bpermute_b32 v41, v47, v40
	v_lshlrev_b32_e32 v35, 2, v28
	s_waitcnt lgkmcnt(0)
	s_and_saveexec_b64 s[4:5], vcc
	s_cbranch_execz .LBB894_15
; %bb.14:
	v_add_f32_e32 v40, v40, v41
	v_lshl_or_b32 v41, v29, 6, v35
	ds_write2st64_b32 v41, v34, v40 offset1:1
.LBB894_15:
	s_or_b64 exec, exec, s[4:5]
	s_load_dword s6, s[0:1], 0x94
	s_waitcnt lgkmcnt(0)
	s_barrier
	ds_read2_b32 v[40:41], v35 offset1:16
	ds_read2_b32 v[44:45], v35 offset0:32 offset1:48
	ds_read2_b32 v[46:47], v35 offset0:64 offset1:80
	s_mul_i32 s7, s7, 7
	s_waitcnt lgkmcnt(2)
	v_max3_f32 v34, v40, s33, v41
	s_waitcnt lgkmcnt(1)
	v_max3_f32 v34, v34, v44, v45
	v_sub_f32_e32 v40, v40, v34
	v_mul_f32_e32 v40, 0x3fb8aa3b, v40
	v_exp_f32_e32 v43, v40
	v_sub_f32_e32 v40, v41, v34
	v_mul_f32_e32 v40, 0x3fb8aa3b, v40
	v_exp_f32_e32 v48, v40
	;; [unrolled: 3-line block ×3, first 2 shown]
	ds_read2_b32 v[40:41], v35 offset0:96 offset1:112
	v_sub_f32_e32 v35, v45, v34
	v_mul_f32_e32 v35, 0x3fb8aa3b, v35
	v_exp_f32_e32 v45, v35
	s_waitcnt lgkmcnt(1)
	v_fma_f32 v35, v43, v46, 0
	v_fmac_f32_e32 v35, v48, v47
	s_waitcnt lgkmcnt(0)
	v_fmac_f32_e32 v35, v44, v40
	v_fmac_f32_e32 v35, v45, v41
	v_add_f32_e32 v40, 0x358637bd, v35
	v_div_scale_f32 v41, s[4:5], v40, v40, 1.0
	v_rcp_f32_e32 v46, v41
	s_barrier
	v_fma_f32 v47, -v41, v46, 1.0
	v_fmac_f32_e32 v46, v47, v46
	v_div_scale_f32 v47, vcc, 1.0, v40, 1.0
	v_mul_f32_e32 v49, v47, v46
	v_fma_f32 v50, -v41, v49, v47
	v_fmac_f32_e32 v49, v50, v46
	v_fma_f32 v41, -v41, v49, v47
	v_div_fmas_f32 v41, v41, v46, v49
	v_cmp_eq_u32_e32 vcc, 1, v29
	v_div_fixup_f32 v40, v41, v40, 1.0
	s_nop 0
	v_cndmask_b32_e32 v41, v43, v48, vcc
	v_cmp_eq_u32_e32 vcc, 2, v29
	s_nop 1
	v_cndmask_b32_e32 v41, v41, v44, vcc
	v_cmp_eq_u32_e32 vcc, 3, v29
	s_nop 1
	v_cndmask_b32_e32 v41, v41, v45, vcc
	v_mul_f32_e32 v40, v41, v40
	v_pk_mul_f32 v[38:39], v[40:41], v[38:39] op_sel_hi:[0,1]
	v_pk_mul_f32 v[18:19], v[40:41], v[18:19] op_sel_hi:[0,1]
	v_cvt_f16_f32_e32 v41, v38
	v_cvt_f16_f32_e32 v39, v39
	;; [unrolled: 1-line block ×4, first 2 shown]
	v_cmp_gt_u32_e32 vcc, 7, v0
	v_pack_b32_f16 v39, v41, v39
	v_lshlrev_b32_e32 v41, 3, v42
	v_pack_b32_f16 v38, v18, v19
	v_pk_mul_f32 v[18:19], v[40:41], v[36:37] op_sel_hi:[0,1]
	v_pk_mul_f32 v[30:31], v[40:41], v[30:31] op_sel_hi:[0,1]
	v_cvt_f16_f32_e32 v30, v30
	v_cvt_f16_f32_e32 v31, v31
	;; [unrolled: 1-line block ×4, first 2 shown]
	v_lshlrev_b32_e32 v18, 11, v29
	v_or3_b32 v18, v18, v27, v41
	v_pack_b32_f16 v30, v30, v31
	v_pack_b32_f16 v31, v36, v19
	ds_write2st64_b64 v18, v[38:39], v[30:31] offset1:1
	v_pk_mul_f32 v[24:25], v[40:41], v[24:25] op_sel_hi:[0,1]
	v_pk_mul_f32 v[30:31], v[40:41], v[32:33] op_sel_hi:[0,1]
	;; [unrolled: 1-line block ×4, first 2 shown]
	v_cvt_f16_f32_e32 v19, v30
	v_cvt_f16_f32_e32 v29, v31
	;; [unrolled: 1-line block ×8, first 2 shown]
	v_pack_b32_f16 v20, v19, v29
	v_pack_b32_f16 v21, v24, v25
	;; [unrolled: 1-line block ×4, first 2 shown]
	ds_write2st64_b64 v18, v[20:21], v[22:23] offset0:2 offset1:3
	s_and_saveexec_b64 s[4:5], vcc
	s_cbranch_execz .LBB894_17
; %bb.16:
	s_mov_b32 s49, 0
	v_mov_b32_e32 v29, 0
	v_lshl_add_u64 v[20:21], s[48:49], 0, v[28:29]
	v_mov_b32_e32 v19, s7
	v_mad_u64_u32 v[20:21], s[12:13], s2, v19, v[20:21]
	s_mul_i32 s3, s3, s7
	v_mov_b32_e32 v28, s28
	s_load_dwordx4 s[8:11], s[0:1], 0x58
	v_add_u32_e32 v19, s3, v21
	v_mad_u64_u32 v[20:21], s[12:13], v20, s6, v[28:29]
	v_mov_b32_e32 v22, v21
	v_mad_u64_u32 v[22:23], s[12:13], v19, s6, v[22:23]
	v_mov_b32_e32 v21, v22
	v_lshlrev_b64 v[20:21], 2, v[20:21]
	s_waitcnt lgkmcnt(0)
	v_lshl_add_u64 v[22:23], s[10:11], 0, v[20:21]
	v_lshl_add_u64 v[20:21], s[8:9], 0, v[20:21]
	global_store_dword v[22:23], v34, off
	global_store_dword v[20:21], v35, off
.LBB894_17:
	s_or_b64 exec, exec, s[4:5]
	s_waitcnt vmcnt(3)
	v_cvt_pk_f32_fp8_e32 v[20:21], v14
	v_cvt_pk_f32_fp8_sdwa v[22:23], v14 src0_sel:WORD_1
	v_lshl_or_b32 v14, v42, 9, v27
	s_waitcnt lgkmcnt(0)
	s_barrier
	v_cvt_pk_f32_fp8_e32 v[24:25], v15
	v_cvt_pkrtz_f16_f32 v32, v20, v21
	v_cvt_pkrtz_f16_f32 v33, v22, v23
	v_cvt_pk_f32_fp8_sdwa v[28:29], v15 src0_sel:WORD_1
	ds_read_b128 v[20:23], v14
	v_cvt_pkrtz_f16_f32 v24, v24, v25
	v_cvt_pk_f32_fp8_e32 v[36:37], v16
	v_cvt_pkrtz_f16_f32 v25, v28, v29
	ds_read_b128 v[28:31], v14 offset:16
	v_cvt_pk_f32_fp8_sdwa v[38:39], v16 src0_sel:WORD_1
	s_waitcnt lgkmcnt(1)
	v_mfma_f32_16x16x16_f16 v[32:35], v[32:33], v[20:21], 0
	v_cvt_pkrtz_f16_f32 v36, v36, v37
	s_load_dword s4, s[42:43], 0x0
	v_cvt_pkrtz_f16_f32 v37, v38, v39
	v_cvt_pk_f32_fp8_e32 v[38:39], v17
	v_cvt_pk_f32_fp8_sdwa v[16:17], v17 src0_sel:WORD_1
	v_mfma_f32_16x16x16_f16 v[20:23], v[24:25], v[22:23], v[32:35]
	v_cmp_gt_u32_e32 vcc, 64, v0
	v_cvt_pkrtz_f16_f32 v24, v38, v39
	v_cvt_pkrtz_f16_f32 v25, v16, v17
	s_waitcnt lgkmcnt(0)
	v_mfma_f32_16x16x16_f16 v[20:23], v[36:37], v[28:29], v[20:23]
	s_waitcnt vmcnt(2)
	v_cvt_pk_f32_fp8_e32 v[16:17], v10
	v_cvt_pk_f32_fp8_e32 v[28:29], v11
	v_cvt_pk_f32_fp8_sdwa v[36:37], v12 src0_sel:WORD_1
	v_mfma_f32_16x16x16_f16 v[20:23], v[24:25], v[30:31], v[20:23]
	v_cvt_pk_f32_fp8_sdwa v[24:25], v10 src0_sel:WORD_1
	v_cvt_pkrtz_f16_f32 v10, v16, v17
	v_cvt_pk_f32_fp8_sdwa v[16:17], v11 src0_sel:WORD_1
	ds_read_b128 v[32:35], v14 offset:2064
	v_cvt_pkrtz_f16_f32 v11, v24, v25
	v_cvt_pkrtz_f16_f32 v24, v28, v29
	ds_read_b128 v[28:31], v14 offset:2048
	v_cvt_pkrtz_f16_f32 v25, v16, v17
	v_cvt_pk_f32_fp8_e32 v[16:17], v12
	s_waitcnt lgkmcnt(0)
	v_mfma_f32_16x16x16_f16 v[20:23], v[10:11], v[28:29], v[20:23]
	v_cvt_pkrtz_f16_f32 v10, v16, v17
	v_cvt_pkrtz_f16_f32 v11, v36, v37
	v_cvt_pk_f32_fp8_e32 v[16:17], v13
	v_mfma_f32_16x16x16_f16 v[20:23], v[24:25], v[30:31], v[20:23]
	v_cvt_pk_f32_fp8_sdwa v[24:25], v13 src0_sel:WORD_1
	ds_read_b128 v[28:31], v14 offset:4112
	v_cvt_pkrtz_f16_f32 v16, v16, v17
	v_mfma_f32_16x16x16_f16 v[10:13], v[10:11], v[32:33], v[20:23]
	v_cvt_pkrtz_f16_f32 v17, v24, v25
	s_waitcnt vmcnt(1)
	v_cvt_pk_f32_fp8_sdwa v[24:25], v7 src0_sel:WORD_1
	v_cvt_pk_f32_fp8_sdwa v[32:33], v8 src0_sel:WORD_1
	v_cvt_pk_f32_fp8_e32 v[20:21], v6
	v_mfma_f32_16x16x16_f16 v[10:13], v[16:17], v[34:35], v[10:13]
	v_cvt_pk_f32_fp8_sdwa v[16:17], v6 src0_sel:WORD_1
	v_cvt_pk_f32_fp8_e32 v[22:23], v7
	v_cvt_pkrtz_f16_f32 v6, v20, v21
	s_mov_b32 s3, 0
	v_cvt_pkrtz_f16_f32 v7, v16, v17
	v_cvt_pkrtz_f16_f32 v16, v22, v23
	ds_read_b128 v[20:23], v14 offset:4096
	v_cvt_pkrtz_f16_f32 v17, v24, v25
	v_cvt_pk_f32_fp8_e32 v[24:25], v8
	s_waitcnt lgkmcnt(0)
	v_mfma_f32_16x16x16_f16 v[10:13], v[6:7], v[20:21], v[10:13]
	v_cvt_pkrtz_f16_f32 v6, v24, v25
	v_cvt_pkrtz_f16_f32 v7, v32, v33
	v_cvt_pk_f32_fp8_e32 v[20:21], v9
	v_mfma_f32_16x16x16_f16 v[10:13], v[16:17], v[22:23], v[10:13]
	v_cvt_pk_f32_fp8_sdwa v[16:17], v9 src0_sel:WORD_1
	s_waitcnt vmcnt(0)
	v_cvt_pk_f32_fp8_sdwa v[24:25], v4 src0_sel:WORD_1
	v_cvt_pkrtz_f16_f32 v20, v20, v21
	v_mfma_f32_16x16x16_f16 v[6:9], v[6:7], v[28:29], v[10:13]
	v_cvt_pkrtz_f16_f32 v21, v16, v17
	v_cvt_pk_f32_fp8_e32 v[16:17], v3
	v_mov_b32_e32 v27, 0
	v_cvt_pk_f32_fp8_e32 v[10:11], v2
	v_cvt_pk_f32_fp8_sdwa v[12:13], v2 src0_sel:WORD_1
	v_mfma_f32_16x16x16_f16 v[6:9], v[20:21], v[30:31], v[6:9]
	v_cvt_pk_f32_fp8_sdwa v[20:21], v3 src0_sel:WORD_1
	v_cvt_pkrtz_f16_f32 v2, v10, v11
	v_cvt_pkrtz_f16_f32 v3, v12, v13
	ds_read_b128 v[10:13], v14 offset:6144
	v_cvt_pkrtz_f16_f32 v22, v16, v17
	v_cvt_pkrtz_f16_f32 v23, v20, v21
	v_cvt_pk_f32_fp8_e32 v[20:21], v4
	s_waitcnt lgkmcnt(0)
	v_mfma_f32_16x16x16_f16 v[6:9], v[2:3], v[10:11], v[6:9]
	ds_read_b128 v[14:17], v14 offset:6160
	v_cvt_pkrtz_f16_f32 v2, v20, v21
	v_cvt_pkrtz_f16_f32 v3, v24, v25
	v_cvt_pk_f32_fp8_e32 v[10:11], v5
	v_mfma_f32_16x16x16_f16 v[6:9], v[22:23], v[12:13], v[6:9]
	v_cvt_pk_f32_fp8_sdwa v[12:13], v5 src0_sel:WORD_1
	s_waitcnt lgkmcnt(0)
	v_cvt_pkrtz_f16_f32 v10, v10, v11
	v_mfma_f32_16x16x16_f16 v[2:5], v[2:3], v[14:15], v[6:9]
	v_cvt_pkrtz_f16_f32 v11, v12, v13
	s_barrier
	s_nop 0
	v_mfma_f32_16x16x16_f16 v[2:5], v[10:11], v[16:17], v[2:5]
	s_nop 6
	v_pk_mul_f32 v[4:5], v[4:5], s[4:5] op_sel_hi:[1,0]
	v_pk_mul_f32 v[2:3], v[2:3], s[4:5] op_sel_hi:[1,0]
	v_cvt_f16_f32_e32 v4, v4
	v_cvt_f16_f32_e32 v2, v2
	;; [unrolled: 1-line block ×4, first 2 shown]
	s_and_b64 s[4:5], vcc, s[30:31]
	v_pack_b32_f16 v2, v2, v3
	v_pack_b32_f16 v3, v4, v5
	ds_write_b64 v18, v[2:3]
	s_waitcnt lgkmcnt(0)
	s_barrier
	s_and_saveexec_b64 s[8:9], s[4:5]
	s_cbranch_execz .LBB894_20
; %bb.18:
	s_load_dwordx2 s[4:5], s[0:1], 0x68
	s_lshl_b32 s0, s6, 6
	s_mul_i32 s1, s7, s2
	s_mul_hi_u32 s7, s1, s0
	s_mul_i32 s6, s1, s0
	v_lshlrev_b32_e32 v0, 10, v0
	s_lshl_b64 s[6:7], s[6:7], 1
	v_and_b32_e32 v0, 0x1800, v0
	v_lshlrev_b32_e32 v2, 5, v42
	v_and_b32_e32 v1, 16, v1
	s_waitcnt lgkmcnt(0)
	s_add_u32 s1, s4, s6
	v_or3_b32 v2, v0, v2, v1
	s_addc_u32 s4, s5, s7
	s_lshl_b32 s2, s28, 6
	s_lshl_b64 s[2:3], s[2:3], 1
	ds_read_b128 v[4:7], v2
	s_add_u32 s2, s1, s2
	s_addc_u32 s3, s4, s3
	v_add_u32_e32 v3, s48, v42
	v_lshl_add_u64 v[0:1], s[2:3], 0, v[26:27]
	v_mad_u64_u32 v[8:9], s[2:3], v3, s0, 0
	v_lshl_add_u64 v[8:9], v[8:9], 1, v[0:1]
	v_cmp_ne_u32_e32 vcc, 3, v42
	s_waitcnt lgkmcnt(0)
	global_store_dwordx4 v[8:9], v[4:7], off
	s_and_b64 exec, exec, vcc
	s_cbranch_execz .LBB894_20
; %bb.19:
	ds_read_b128 v[2:5], v2 offset:128
	v_add3_u32 v6, s48, v42, 4
	v_mad_u64_u32 v[6:7], s[0:1], v6, s0, 0
	v_lshl_add_u64 v[0:1], v[6:7], 1, v[0:1]
	s_waitcnt lgkmcnt(0)
	global_store_dwordx4 v[0:1], v[2:5], off
.LBB894_20:
	s_endpgm
	.section	.rodata,"a",@progbits
	.p2align	6, 0x0
	.amdhsa_kernel _Z39paged_attention_ll4mi_QKV_mfma16_kernelIDF16_hLN4vllm18Fp8KVCacheDataTypeE1EDF16_Li32ELi64ELi256ELb1ELi7EEvPKT_PKT0_S7_ifPKiS9_S9_iPKfiiiPfSC_PS2_PT2_iSB_SB_
		.amdhsa_group_segment_fixed_size 8192
		.amdhsa_private_segment_fixed_size 0
		.amdhsa_kernarg_size 400
		.amdhsa_user_sgpr_count 2
		.amdhsa_user_sgpr_dispatch_ptr 0
		.amdhsa_user_sgpr_queue_ptr 0
		.amdhsa_user_sgpr_kernarg_segment_ptr 1
		.amdhsa_user_sgpr_dispatch_id 0
		.amdhsa_user_sgpr_kernarg_preload_length 0
		.amdhsa_user_sgpr_kernarg_preload_offset 0
		.amdhsa_user_sgpr_private_segment_size 0
		.amdhsa_uses_dynamic_stack 0
		.amdhsa_enable_private_segment 0
		.amdhsa_system_sgpr_workgroup_id_x 1
		.amdhsa_system_sgpr_workgroup_id_y 1
		.amdhsa_system_sgpr_workgroup_id_z 1
		.amdhsa_system_sgpr_workgroup_info 0
		.amdhsa_system_vgpr_workitem_id 0
		.amdhsa_next_free_vgpr 71
		.amdhsa_next_free_sgpr 50
		.amdhsa_accum_offset 72
		.amdhsa_reserve_vcc 1
		.amdhsa_float_round_mode_32 0
		.amdhsa_float_round_mode_16_64 0
		.amdhsa_float_denorm_mode_32 3
		.amdhsa_float_denorm_mode_16_64 3
		.amdhsa_dx10_clamp 1
		.amdhsa_ieee_mode 1
		.amdhsa_fp16_overflow 0
		.amdhsa_tg_split 0
		.amdhsa_exception_fp_ieee_invalid_op 0
		.amdhsa_exception_fp_denorm_src 0
		.amdhsa_exception_fp_ieee_div_zero 0
		.amdhsa_exception_fp_ieee_overflow 0
		.amdhsa_exception_fp_ieee_underflow 0
		.amdhsa_exception_fp_ieee_inexact 0
		.amdhsa_exception_int_div_zero 0
	.end_amdhsa_kernel
	.section	.text._Z39paged_attention_ll4mi_QKV_mfma16_kernelIDF16_hLN4vllm18Fp8KVCacheDataTypeE1EDF16_Li32ELi64ELi256ELb1ELi7EEvPKT_PKT0_S7_ifPKiS9_S9_iPKfiiiPfSC_PS2_PT2_iSB_SB_,"axG",@progbits,_Z39paged_attention_ll4mi_QKV_mfma16_kernelIDF16_hLN4vllm18Fp8KVCacheDataTypeE1EDF16_Li32ELi64ELi256ELb1ELi7EEvPKT_PKT0_S7_ifPKiS9_S9_iPKfiiiPfSC_PS2_PT2_iSB_SB_,comdat
.Lfunc_end894:
	.size	_Z39paged_attention_ll4mi_QKV_mfma16_kernelIDF16_hLN4vllm18Fp8KVCacheDataTypeE1EDF16_Li32ELi64ELi256ELb1ELi7EEvPKT_PKT0_S7_ifPKiS9_S9_iPKfiiiPfSC_PS2_PT2_iSB_SB_, .Lfunc_end894-_Z39paged_attention_ll4mi_QKV_mfma16_kernelIDF16_hLN4vllm18Fp8KVCacheDataTypeE1EDF16_Li32ELi64ELi256ELb1ELi7EEvPKT_PKT0_S7_ifPKiS9_S9_iPKfiiiPfSC_PS2_PT2_iSB_SB_
                                        ; -- End function
	.section	.AMDGPU.csdata,"",@progbits
; Kernel info:
; codeLenInByte = 4952
; NumSgprs: 56
; NumVgprs: 71
; NumAgprs: 0
; TotalNumVgprs: 71
; ScratchSize: 0
; MemoryBound: 0
; FloatMode: 240
; IeeeMode: 1
; LDSByteSize: 8192 bytes/workgroup (compile time only)
; SGPRBlocks: 6
; VGPRBlocks: 8
; NumSGPRsForWavesPerEU: 56
; NumVGPRsForWavesPerEU: 71
; AccumOffset: 72
; Occupancy: 7
; WaveLimiterHint : 1
; COMPUTE_PGM_RSRC2:SCRATCH_EN: 0
; COMPUTE_PGM_RSRC2:USER_SGPR: 2
; COMPUTE_PGM_RSRC2:TRAP_HANDLER: 0
; COMPUTE_PGM_RSRC2:TGID_X_EN: 1
; COMPUTE_PGM_RSRC2:TGID_Y_EN: 1
; COMPUTE_PGM_RSRC2:TGID_Z_EN: 1
; COMPUTE_PGM_RSRC2:TIDIG_COMP_CNT: 0
; COMPUTE_PGM_RSRC3_GFX90A:ACCUM_OFFSET: 17
; COMPUTE_PGM_RSRC3_GFX90A:TG_SPLIT: 0
	.section	.text._Z39paged_attention_ll4mi_QKV_mfma16_kernelIDF16_hLN4vllm18Fp8KVCacheDataTypeE1EDF16_Li32ELi64ELi256ELb1ELi8EEvPKT_PKT0_S7_ifPKiS9_S9_iPKfiiiPfSC_PS2_PT2_iSB_SB_,"axG",@progbits,_Z39paged_attention_ll4mi_QKV_mfma16_kernelIDF16_hLN4vllm18Fp8KVCacheDataTypeE1EDF16_Li32ELi64ELi256ELb1ELi8EEvPKT_PKT0_S7_ifPKiS9_S9_iPKfiiiPfSC_PS2_PT2_iSB_SB_,comdat
	.protected	_Z39paged_attention_ll4mi_QKV_mfma16_kernelIDF16_hLN4vllm18Fp8KVCacheDataTypeE1EDF16_Li32ELi64ELi256ELb1ELi8EEvPKT_PKT0_S7_ifPKiS9_S9_iPKfiiiPfSC_PS2_PT2_iSB_SB_ ; -- Begin function _Z39paged_attention_ll4mi_QKV_mfma16_kernelIDF16_hLN4vllm18Fp8KVCacheDataTypeE1EDF16_Li32ELi64ELi256ELb1ELi8EEvPKT_PKT0_S7_ifPKiS9_S9_iPKfiiiPfSC_PS2_PT2_iSB_SB_
	.globl	_Z39paged_attention_ll4mi_QKV_mfma16_kernelIDF16_hLN4vllm18Fp8KVCacheDataTypeE1EDF16_Li32ELi64ELi256ELb1ELi8EEvPKT_PKT0_S7_ifPKiS9_S9_iPKfiiiPfSC_PS2_PT2_iSB_SB_
	.p2align	8
	.type	_Z39paged_attention_ll4mi_QKV_mfma16_kernelIDF16_hLN4vllm18Fp8KVCacheDataTypeE1EDF16_Li32ELi64ELi256ELb1ELi8EEvPKT_PKT0_S7_ifPKiS9_S9_iPKfiiiPfSC_PS2_PT2_iSB_SB_,@function
_Z39paged_attention_ll4mi_QKV_mfma16_kernelIDF16_hLN4vllm18Fp8KVCacheDataTypeE1EDF16_Li32ELi64ELi256ELb1ELi8EEvPKT_PKT0_S7_ifPKiS9_S9_iPKfiiiPfSC_PS2_PT2_iSB_SB_: ; @_Z39paged_attention_ll4mi_QKV_mfma16_kernelIDF16_hLN4vllm18Fp8KVCacheDataTypeE1EDF16_Li32ELi64ELi256ELb1ELi8EEvPKT_PKT0_S7_ifPKiS9_S9_iPKfiiiPfSC_PS2_PT2_iSB_SB_
; %bb.0:
	s_load_dwordx2 s[8:9], s[0:1], 0x30
	s_mov_b32 s28, s3
	s_mov_b64 s[6:7], 0
	s_waitcnt lgkmcnt(0)
	s_cmp_lg_u64 s[8:9], 0
	s_cselect_b64 s[10:11], -1, 0
	s_and_b64 vcc, exec, s[10:11]
	s_cbranch_vccz .LBB895_7
; %bb.1:
	s_add_i32 s12, s2, 1
	s_mov_b32 s13, 0
	s_lshl_b64 s[14:15], s[12:13], 2
	s_add_u32 s14, s8, s14
	s_mov_b32 s3, s13
	s_addc_u32 s15, s9, s15
	s_lshl_b64 s[12:13], s[2:3], 2
	s_add_u32 s12, s8, s12
	s_addc_u32 s13, s9, s13
	s_load_dword s5, s[14:15], 0x0
	s_load_dword s16, s[12:13], 0x0
	s_waitcnt lgkmcnt(0)
	s_sub_i32 s5, s5, s16
	s_cmp_eq_u32 s5, 1
	s_cselect_b64 s[12:13], -1, 0
	s_andn2_b64 vcc, exec, s[6:7]
	s_cbranch_vccnz .LBB895_3
.LBB895_2:
	s_mov_b32 s3, 0
	s_mov_b64 s[12:13], -1
.LBB895_3:
	s_andn2_b64 vcc, exec, s[12:13]
	s_cbranch_vccnz .LBB895_19
; %bb.4:
	s_load_dwordx2 s[6:7], s[0:1], 0x28
	s_lshl_b64 s[12:13], s[2:3], 2
	s_waitcnt lgkmcnt(0)
	s_add_u32 s6, s6, s12
	s_addc_u32 s7, s7, s13
	s_load_dword s33, s[6:7], 0x0
	s_lshl_b32 s16, s28, 8
	s_waitcnt lgkmcnt(0)
	s_cmp_ge_i32 s16, s33
	s_cbranch_scc1 .LBB895_19
; %bb.5:
	s_load_dwordx2 s[6:7], s[0:1], 0x20
	s_load_dword s5, s[0:1], 0x38
	s_add_i32 s14, s33, 31
	s_ashr_i32 s15, s14, 31
	v_and_b32_e32 v1, 0xcf, v0
	s_lshr_b32 s15, s15, 27
	v_add_u32_e32 v1, s16, v1
	s_add_i32 s14, s14, s15
	v_ashrrev_i32_e32 v2, 31, v1
	s_ashr_i32 s17, s14, 5
	v_lshrrev_b32_e32 v4, 27, v2
	s_add_i32 s17, s17, -1
	s_waitcnt lgkmcnt(0)
	s_mul_i32 s14, s2, s5
	s_mov_b32 s15, 0
	v_add_u32_e32 v2, v1, v4
	s_lshl_b64 s[14:15], s[14:15], 2
	v_ashrrev_i32_e32 v2, 5, v2
	v_mov_b32_e32 v5, s17
	v_cmp_gt_i32_e32 vcc, s33, v1
	s_add_u32 s6, s6, s14
	s_addc_u32 s7, s7, s15
	v_cndmask_b32_e32 v2, v5, v2, vcc
	v_ashrrev_i32_e32 v3, 31, v2
	v_lshl_add_u64 v[6:7], v[2:3], 2, s[6:7]
	v_or_b32_e32 v2, 16, v1
	v_add_u32_e32 v3, v2, v4
	v_ashrrev_i32_e32 v3, 5, v3
	v_cmp_gt_i32_e32 vcc, s33, v2
	s_load_dwordx2 s[14:15], s[0:1], 0x8
	s_nop 0
	v_cndmask_b32_e32 v2, v5, v3, vcc
	v_ashrrev_i32_e32 v3, 31, v2
	v_lshl_add_u64 v[8:9], v[2:3], 2, s[6:7]
	v_or_b32_e32 v2, 32, v1
	v_add_u32_e32 v3, v2, v4
	v_ashrrev_i32_e32 v3, 5, v3
	v_cmp_gt_i32_e32 vcc, s33, v2
	v_or_b32_e32 v1, 48, v1
	s_nop 0
	v_cndmask_b32_e32 v2, v5, v3, vcc
	v_ashrrev_i32_e32 v3, 31, v2
	v_lshl_add_u64 v[10:11], v[2:3], 2, s[6:7]
	v_add_u32_e32 v2, v1, v4
	v_ashrrev_i32_e32 v2, 5, v2
	v_cmp_gt_i32_e32 vcc, s33, v1
	s_nop 1
	v_cndmask_b32_e32 v2, v5, v2, vcc
	v_ashrrev_i32_e32 v3, 31, v2
	v_lshl_add_u64 v[12:13], v[2:3], 2, s[6:7]
	global_load_dword v5, v[6:7], off
	global_load_dword v4, v[8:9], off
	;; [unrolled: 1-line block ×4, first 2 shown]
	s_andn2_b64 vcc, exec, s[10:11]
	s_cbranch_vccnz .LBB895_8
; %bb.6:
	s_add_u32 s8, s8, s12
	s_addc_u32 s9, s9, s13
	s_load_dword s5, s[8:9], 0x0
	s_branch .LBB895_9
.LBB895_7:
	s_mov_b64 s[12:13], 0
	s_branch .LBB895_2
.LBB895_8:
	s_mov_b32 s5, s2
.LBB895_9:
	s_load_dwordx2 s[8:9], s[0:1], 0x10
	s_load_dwordx4 s[44:47], s[0:1], 0x48
	v_and_b32_e32 v42, 15, v0
	s_movk_i32 s10, 0x80
	v_lshlrev_b32_e32 v6, 3, v42
	v_cmp_gt_u32_e32 vcc, s10, v0
	v_cmp_gt_u32_e64 s[30:31], 8, v42
	v_lshrrev_b32_e32 v41, 6, v0
	v_bfe_u32 v1, v0, 4, 2
	s_lshl_b32 s29, s4, 3
	s_and_b64 s[12:13], vcc, s[30:31]
	v_lshlrev_b32_e32 v26, 1, v6
	v_lshlrev_b32_e32 v40, 4, v0
	s_and_saveexec_b64 s[10:11], s[12:13]
	s_cbranch_execz .LBB895_11
; %bb.10:
	s_load_dwordx2 s[12:13], s[0:1], 0x0
	s_waitcnt lgkmcnt(0)
	s_ashr_i32 s18, s44, 31
	s_mul_hi_u32 s19, s5, s44
	s_mul_i32 s18, s5, s18
	s_add_i32 s19, s19, s18
	s_mul_i32 s18, s5, s44
	v_lshl_or_b32 v10, v41, 2, v1
	s_lshl_b64 s[18:19], s[18:19], 1
	s_add_u32 s12, s12, s18
	v_add_lshl_u32 v6, v10, s29, 6
	s_addc_u32 s13, s13, s19
	v_ashrrev_i32_e32 v7, 31, v6
	v_lshl_add_u64 v[6:7], v[6:7], 1, s[12:13]
	v_mov_b32_e32 v27, 0
	v_lshl_add_u64 v[6:7], v[6:7], 0, v[26:27]
	global_load_dwordx4 v[6:9], v[6:7], off
	v_lshlrev_b32_e32 v12, 8, v42
	v_lshlrev_b32_e32 v10, 5, v10
	v_and_b32_e32 v11, 16, v40
	v_and_b32_e32 v12, 0xe00, v12
	v_or3_b32 v10, v12, v10, v11
	s_waitcnt vmcnt(0)
	ds_write_b128 v10, v[6:9]
.LBB895_11:
	s_or_b64 exec, exec, s[10:11]
	s_waitcnt lgkmcnt(0)
	s_mul_i32 s10, s4, s46
	s_add_u32 s4, s14, s10
	s_addc_u32 s5, s15, 0
	v_mov_b32_e32 v29, 0
	v_mov_b64_e32 v[6:7], s[4:5]
	v_lshlrev_b32_e32 v10, 4, v42
	v_and_b32_e32 v27, 48, v0
	s_waitcnt vmcnt(3)
	v_mad_i64_i32 v[8:9], s[4:5], v5, s45, v[6:7]
	v_mov_b32_e32 v11, v29
	s_waitcnt vmcnt(2)
	v_mad_i64_i32 v[4:5], s[4:5], v4, s45, v[6:7]
	v_or_b32_e32 v12, 0x100, v10
	v_mov_b32_e32 v13, v29
	v_lshlrev_b32_e32 v28, 5, v27
	v_lshl_add_u64 v[8:9], v[8:9], 0, v[10:11]
	v_lshl_add_u64 v[4:5], v[4:5], 0, v[12:13]
	;; [unrolled: 1-line block ×4, first 2 shown]
	s_barrier
	global_load_dwordx4 v[22:25], v[8:9], off
	global_load_dwordx4 v[18:21], v[4:5], off
	s_waitcnt vmcnt(3)
	v_mad_i64_i32 v[4:5], s[4:5], v3, s45, v[6:7]
	v_lshl_add_u64 v[4:5], v[4:5], 0, v[10:11]
	s_waitcnt vmcnt(2)
	v_mad_i64_i32 v[2:3], s[4:5], v2, s45, v[6:7]
	v_lshl_add_u64 v[4:5], v[4:5], 0, v[28:29]
	v_lshl_add_u64 v[2:3], v[2:3], 0, v[12:13]
	;; [unrolled: 1-line block ×3, first 2 shown]
	global_load_dwordx4 v[14:17], v[4:5], off
	global_load_dwordx4 v[6:9], v[2:3], off
	v_and_b32_e32 v2, 7, v0
	v_lshlrev_b32_e32 v2, 5, v2
	v_lshl_or_b32 v2, v1, 9, v2
	ds_read_b128 v[10:13], v2
	ds_read_b128 v[2:5], v2 offset:16
	v_and_b32_e32 v43, 63, v0
	v_mov_b32_e32 v44, 0
	s_and_saveexec_b64 s[4:5], s[30:31]
	s_cbranch_execz .LBB895_13
; %bb.12:
	s_load_dwordx2 s[12:13], s[0:1], 0x40
	v_or_b32_e32 v30, s29, v42
	v_ashrrev_i32_e32 v31, 31, v30
	s_waitcnt lgkmcnt(0)
	v_lshl_add_u64 v[30:31], v[30:31], 2, s[12:13]
	global_load_dword v44, v[30:31], off
.LBB895_13:
	s_or_b64 exec, exec, s[4:5]
	s_ashr_i32 s4, s16, 31
	v_or_b32_e32 v45, s16, v27
	s_lshr_b32 s4, s4, 27
	v_add_u32_e32 v27, s4, v45
	v_ashrrev_i32_e32 v27, 5, v27
	v_mov_b32_e32 v65, s17
	v_cmp_gt_i32_e32 vcc, s33, v45
	s_waitcnt vmcnt(3)
	v_cvt_pk_f32_fp8_sdwa v[32:33], v22 src0_sel:WORD_1
	s_waitcnt vmcnt(2)
	v_cvt_pk_f32_fp8_e32 v[48:49], v18
	v_cndmask_b32_e32 v30, v65, v27, vcc
	v_ashrrev_i32_e32 v31, 31, v30
	v_lshl_add_u64 v[30:31], v[30:31], 2, s[6:7]
	global_load_dword v72, v[30:31], off
	v_cvt_pk_f32_fp8_e32 v[30:31], v22
	v_cvt_pk_f32_fp8_sdwa v[50:51], v18 src0_sel:WORD_1
	v_or_b32_e32 v18, 64, v45
	v_cvt_pk_f32_fp8_e32 v[56:57], v20
	v_cvt_pk_f32_fp8_sdwa v[58:59], v20 src0_sel:WORD_1
	v_cvt_pk_f32_fp8_e32 v[60:61], v21
	v_cvt_pk_f32_fp8_sdwa v[62:63], v21 src0_sel:WORD_1
	v_or_b32_e32 v20, 0xc0, v45
	v_add_u32_e32 v21, s4, v18
	v_cvt_pk_f32_fp8_e32 v[52:53], v19
	v_cvt_pk_f32_fp8_sdwa v[54:55], v19 src0_sel:WORD_1
	v_or_b32_e32 v19, 0x80, v45
	v_add_u32_e32 v64, s4, v20
	v_ashrrev_i32_e32 v21, 5, v21
	v_cmp_gt_i32_e32 vcc, s33, v18
	v_cvt_pk_f32_fp8_e32 v[34:35], v23
	v_cvt_pk_f32_fp8_sdwa v[22:23], v23 src0_sel:WORD_1
	v_add_u32_e32 v45, s4, v19
	v_ashrrev_i32_e32 v67, 5, v64
	v_cndmask_b32_e32 v64, v65, v21, vcc
	v_cmp_gt_i32_e32 vcc, s33, v19
	v_cvt_pkrtz_f16_f32 v18, v30, v31
	v_cvt_pkrtz_f16_f32 v19, v32, v33
	v_cvt_pk_f32_fp8_e32 v[36:37], v24
	v_cvt_pk_f32_fp8_sdwa v[38:39], v24 src0_sel:WORD_1
	v_ashrrev_i32_e32 v45, 5, v45
	v_cvt_pkrtz_f16_f32 v30, v34, v35
	v_cvt_pkrtz_f16_f32 v31, v22, v23
	;; [unrolled: 1-line block ×4, first 2 shown]
	v_cvt_pk_f32_fp8_e32 v[46:47], v25
	v_cvt_pk_f32_fp8_sdwa v[24:25], v25 src0_sel:WORD_1
	v_cndmask_b32_e32 v66, v65, v45, vcc
	v_cmp_gt_i32_e32 vcc, s33, v20
	s_waitcnt lgkmcnt(1)
	v_mfma_f32_16x16x16_f16 v[18:21], v[18:19], v[10:11], 0
	v_cvt_pkrtz_f16_f32 v34, v36, v37
	v_cvt_pkrtz_f16_f32 v35, v38, v39
	;; [unrolled: 1-line block ×5, first 2 shown]
	v_mfma_f32_16x16x16_f16 v[22:25], v[22:23], v[10:11], 0
	s_add_u32 s4, s8, s10
	v_and_b32_e32 v28, 16, v0
	v_lshlrev_b32_e32 v27, 5, v42
	v_mfma_f32_16x16x16_f16 v[30:33], v[30:31], v[12:13], v[18:21]
	s_addc_u32 s5, s9, 0
	s_load_dword s11, s[0:1], 0x1c
	s_load_dwordx4 s[40:43], s[0:1], 0x80
	v_lshl_add_u64 v[70:71], s[4:5], 0, v[28:29]
	v_lshl_or_b32 v28, v41, 9, v27
	v_cvt_pkrtz_f16_f32 v36, v46, v47
	v_cvt_pkrtz_f16_f32 v46, v56, v57
	;; [unrolled: 1-line block ×3, first 2 shown]
	v_mfma_f32_16x16x16_f16 v[20:23], v[38:39], v[12:13], v[22:25]
	v_lshl_add_u64 v[18:19], v[70:71], 0, v[28:29]
	v_cndmask_b32_e32 v68, v65, v67, vcc
	v_ashrrev_i32_e32 v65, 31, v64
	s_waitcnt lgkmcnt(0)
	v_mfma_f32_16x16x16_f16 v[28:31], v[34:35], v[2:3], v[30:33]
	v_ashrrev_i32_e32 v67, 31, v66
	v_ashrrev_i32_e32 v69, 31, v68
	v_lshl_add_u64 v[24:25], v[64:65], 2, s[6:7]
	v_lshl_add_u64 v[32:33], v[66:67], 2, s[6:7]
	;; [unrolled: 1-line block ×3, first 2 shown]
	s_load_dword s4, s[40:41], 0x0
	v_mfma_f32_16x16x16_f16 v[20:23], v[46:47], v[2:3], v[20:23]
	global_load_dword v47, v[24:25], off
	global_load_dword v45, v[32:33], off
	;; [unrolled: 1-line block ×3, first 2 shown]
	s_waitcnt vmcnt(5)
	v_cvt_pk_f32_fp8_e32 v[24:25], v14
	v_cvt_pkrtz_f16_f32 v48, v60, v61
	v_mfma_f32_16x16x16_f16 v[32:35], v[36:37], v[4:5], v[28:31]
	v_cvt_pkrtz_f16_f32 v49, v62, v63
	v_cvt_pk_f32_fp8_e32 v[36:37], v15
	v_cvt_pkrtz_f16_f32 v24, v24, v25
	v_cvt_pk_f32_fp8_sdwa v[30:31], v14 src0_sel:WORD_1
	v_cvt_pk_f32_fp8_sdwa v[14:15], v15 src0_sel:WORD_1
	v_mov_b32_e32 v38, s11
	v_mfma_f32_16x16x16_f16 v[20:23], v[48:49], v[4:5], v[20:23]
	v_cvt_pkrtz_f16_f32 v25, v30, v31
	v_cvt_pkrtz_f16_f32 v30, v36, v37
	v_cvt_pk_f32_fp8_e32 v[48:49], v16
	v_cvt_pk_f32_fp8_sdwa v[52:53], v16 src0_sel:WORD_1
	v_cvt_pkrtz_f16_f32 v31, v14, v15
	s_waitcnt lgkmcnt(0)
	v_mul_f32_e32 v50, s4, v38
	v_mfma_f32_16x16x16_f16 v[36:39], v[24:25], v[10:11], 0
	v_cvt_pkrtz_f16_f32 v24, v48, v49
	v_cvt_pkrtz_f16_f32 v25, v52, v53
	v_cvt_pk_f32_fp8_e32 v[48:49], v17
	v_cvt_pk_f32_fp8_sdwa v[52:53], v17 src0_sel:WORD_1
	v_mfma_f32_16x16x16_f16 v[14:17], v[30:31], v[12:13], v[36:39]
	v_pk_mul_f32 v[30:31], v[50:51], v[34:35] op_sel_hi:[0,1]
	v_cvt_pkrtz_f16_f32 v34, v48, v49
	v_cvt_pkrtz_f16_f32 v35, v52, v53
	v_mfma_f32_16x16x16_f16 v[14:17], v[24:25], v[2:3], v[14:17]
	v_pk_mul_f32 v[36:37], v[50:51], v[32:33] op_sel_hi:[0,1]
	s_waitcnt vmcnt(4)
	v_cvt_pk_f32_fp8_e32 v[24:25], v6
	v_cvt_pk_f32_fp8_sdwa v[32:33], v6 src0_sel:WORD_1
	v_mfma_f32_16x16x16_f16 v[14:17], v[34:35], v[4:5], v[14:17]
	v_cvt_pk_f32_fp8_e32 v[34:35], v7
	v_cvt_pkrtz_f16_f32 v24, v24, v25
	v_cvt_pkrtz_f16_f32 v25, v32, v33
	v_cvt_pk_f32_fp8_sdwa v[6:7], v7 src0_sel:WORD_1
	v_cvt_pkrtz_f16_f32 v38, v34, v35
	v_cvt_pk_f32_fp8_e32 v[48:49], v8
	v_cvt_pk_f32_fp8_sdwa v[52:53], v8 src0_sel:WORD_1
	v_cvt_pkrtz_f16_f32 v39, v6, v7
	v_mfma_f32_16x16x16_f16 v[32:35], v[24:25], v[10:11], 0
	v_cvt_pkrtz_f16_f32 v10, v48, v49
	v_cvt_pkrtz_f16_f32 v11, v52, v53
	v_cvt_pk_f32_fp8_e32 v[24:25], v9
	v_cvt_pk_f32_fp8_sdwa v[48:49], v9 src0_sel:WORD_1
	v_mfma_f32_16x16x16_f16 v[6:9], v[38:39], v[12:13], v[32:35]
	v_pk_mul_f32 v[38:39], v[50:51], v[20:21] op_sel_hi:[0,1]
	v_cvt_pkrtz_f16_f32 v12, v24, v25
	v_cvt_pkrtz_f16_f32 v13, v48, v49
	v_mfma_f32_16x16x16_f16 v[6:9], v[10:11], v[2:3], v[6:9]
	v_pk_mul_f32 v[34:35], v[50:51], v[22:23] op_sel_hi:[0,1]
	v_pk_mul_f32 v[24:25], v[50:51], v[16:17] op_sel_hi:[0,1]
	;; [unrolled: 1-line block ×3, first 2 shown]
	v_mfma_f32_16x16x16_f16 v[2:5], v[12:13], v[4:5], v[6:9]
	s_waitcnt vmcnt(3)
	v_mad_i64_i32 v[28:29], s[4:5], v72, s45, v[18:19]
	s_mov_b32 s44, 0xff7fffff
	s_nop 3
	v_pk_mul_f32 v[22:23], v[50:51], v[2:3] op_sel_hi:[0,1]
	v_and_b32_e32 v2, 0xc0, v0
	v_add_u32_e32 v2, s16, v2
	v_lshl_or_b32 v2, v1, 2, v2
	v_or_b32_e32 v3, 1, v2
	v_pk_mul_f32 v[20:21], v[50:51], v[4:5] op_sel_hi:[0,1]
	v_subrev_u32_e32 v4, s33, v3
	v_add_u32_e32 v6, 1, v4
	v_add_u32_e32 v7, 2, v4
	;; [unrolled: 1-line block ×3, first 2 shown]
	v_cvt_f32_i32_e32 v6, v6
	v_cvt_f32_i32_e32 v7, v7
	;; [unrolled: 1-line block ×3, first 2 shown]
	v_add_u32_e32 v9, 19, v4
	v_fmac_f32_e32 v37, v44, v6
	v_fma_f32 v30, v44, v7, v30
	v_fmac_f32_e32 v31, v44, v8
	v_add_u32_e32 v6, 16, v4
	v_add_u32_e32 v7, 17, v4
	;; [unrolled: 1-line block ×3, first 2 shown]
	v_cvt_f32_i32_e32 v6, v6
	v_cvt_f32_i32_e32 v7, v7
	;; [unrolled: 1-line block ×4, first 2 shown]
	v_fma_f32 v38, v44, v6, v38
	v_fmac_f32_e32 v39, v44, v7
	v_fma_f32 v34, v44, v8, v34
	v_add_u32_e32 v6, 32, v4
	v_add_u32_e32 v7, 33, v4
	;; [unrolled: 1-line block ×3, first 2 shown]
	v_cvt_f32_i32_e32 v6, v6
	v_cvt_f32_i32_e32 v7, v7
	;; [unrolled: 1-line block ×4, first 2 shown]
	v_fmac_f32_e32 v35, v44, v9
	v_add_u32_e32 v9, 35, v4
	v_fma_f32 v48, v44, v6, v32
	v_fmac_f32_e32 v33, v44, v7
	v_fma_f32 v24, v44, v8, v24
	v_add_u32_e32 v6, 48, v4
	v_add_u32_e32 v7, 49, v4
	;; [unrolled: 1-line block ×4, first 2 shown]
	v_cvt_f32_i32_e32 v4, v4
	v_cvt_f32_i32_e32 v6, v6
	;; [unrolled: 1-line block ×3, first 2 shown]
	v_fma_f32 v5, v44, v5, v36
	v_fmac_f32_e32 v21, v44, v4
	v_mov_b32_e32 v4, 0xff7fffff
	v_cmp_gt_i32_e64 s[4:5], s33, v2
	v_cmp_gt_i32_e64 s[34:35], s33, v3
	v_fma_f32 v22, v44, v6, v22
	v_cndmask_b32_e64 v6, v4, v5, s[4:5]
	v_cndmask_b32_e64 v3, v4, v37, s[34:35]
	v_fmac_f32_e32 v23, v44, v7
	v_max3_f32 v3, v6, s44, v3
	v_or_b32_e32 v6, 2, v2
	v_or_b32_e32 v7, 3, v2
	v_cmp_gt_i32_e64 s[36:37], s33, v6
	v_cmp_gt_i32_e64 s[38:39], s33, v7
	v_cvt_f32_i32_e32 v9, v9
	v_cndmask_b32_e64 v6, v4, v30, s[36:37]
	v_cndmask_b32_e64 v7, v4, v31, s[38:39]
	v_max3_f32 v3, v3, v6, v7
	v_or_b32_e32 v6, 16, v2
	v_or_b32_e32 v7, 17, v2
	v_cmp_gt_i32_e64 s[24:25], s33, v6
	v_cmp_gt_i32_e64 s[26:27], s33, v7
	v_fmac_f32_e32 v25, v44, v9
	v_cndmask_b32_e64 v6, v4, v38, s[24:25]
	v_cndmask_b32_e64 v7, v4, v39, s[26:27]
	v_max3_f32 v3, v3, v6, v7
	v_or_b32_e32 v6, 18, v2
	v_or_b32_e32 v7, 19, v2
	v_cmp_gt_i32_e64 s[20:21], s33, v6
	v_cmp_gt_i32_e64 s[22:23], s33, v7
	v_cvt_f32_i32_e32 v8, v8
	v_cndmask_b32_e64 v6, v4, v34, s[20:21]
	v_cndmask_b32_e64 v7, v4, v35, s[22:23]
	v_max3_f32 v3, v3, v6, v7
	v_or_b32_e32 v6, 32, v2
	v_or_b32_e32 v7, 33, v2
	v_cmp_gt_i32_e64 s[16:17], s33, v6
	v_cmp_gt_i32_e64 s[18:19], s33, v7
	v_fma_f32 v20, v44, v8, v20
	v_cndmask_b32_e64 v6, v4, v48, s[16:17]
	v_cndmask_b32_e64 v7, v4, v33, s[18:19]
	v_max3_f32 v3, v3, v6, v7
	v_or_b32_e32 v6, 34, v2
	v_or_b32_e32 v7, 35, v2
	v_cmp_gt_i32_e64 s[12:13], s33, v6
	v_cmp_gt_i32_e64 s[14:15], s33, v7
	s_nop 0
	v_cndmask_b32_e64 v6, v4, v24, s[12:13]
	v_cndmask_b32_e64 v7, v4, v25, s[14:15]
	v_max3_f32 v3, v3, v6, v7
	v_or_b32_e32 v6, 48, v2
	v_or_b32_e32 v7, 49, v2
	v_cmp_gt_i32_e64 s[8:9], s33, v6
	v_cmp_gt_i32_e64 s[10:11], s33, v7
	s_nop 0
	v_cndmask_b32_e64 v6, v4, v22, s[8:9]
	v_cndmask_b32_e64 v7, v4, v23, s[10:11]
	v_max3_f32 v3, v3, v6, v7
	v_or_b32_e32 v6, 50, v2
	v_or_b32_e32 v2, 51, v2
	v_cmp_gt_i32_e32 vcc, s33, v6
	v_cmp_gt_i32_e64 s[6:7], s33, v2
	s_nop 0
	v_cndmask_b32_e32 v6, v4, v20, vcc
	v_cndmask_b32_e64 v2, v4, v21, s[6:7]
	v_max3_f32 v4, v3, v6, v2
	v_mbcnt_lo_u32_b32 v2, -1, 0
	v_mbcnt_hi_u32_b32 v6, -1, v2
	v_and_b32_e32 v2, 64, v6
	v_add_u32_e32 v7, 64, v2
	v_xor_b32_e32 v2, 32, v6
	v_cmp_lt_i32_e64 s[40:41], v2, v7
	s_nop 1
	v_cndmask_b32_e64 v2, v6, v2, s[40:41]
	v_lshlrev_b32_e32 v44, 2, v2
	ds_bpermute_b32 v8, v44, v4
	s_waitcnt vmcnt(2)
	v_mad_i64_i32 v[2:3], s[40:41], v47, s45, v[18:19]
	global_load_dwordx4 v[14:17], v[28:29], off
	global_load_dwordx4 v[10:13], v[2:3], off
	v_xor_b32_e32 v3, 16, v6
	v_cmp_lt_i32_e64 s[40:41], v3, v7
	s_waitcnt lgkmcnt(0)
	v_max_f32_e32 v2, v8, v8
	v_max_f32_e32 v2, v4, v2
	v_cndmask_b32_e64 v3, v6, v3, s[40:41]
	v_lshlrev_b32_e32 v47, 2, v3
	ds_bpermute_b32 v3, v47, v2
	s_waitcnt vmcnt(3)
	v_mad_i64_i32 v[28:29], s[40:41], v45, s45, v[18:19]
	s_waitcnt vmcnt(2)
	v_mad_i64_i32 v[18:19], s[40:41], v46, s45, v[18:19]
	s_waitcnt lgkmcnt(0)
	v_max_f32_e32 v3, v3, v3
	v_max_f32_e32 v32, v2, v3
	v_sub_f32_e32 v2, v5, v32
	v_mul_f32_e32 v2, 0x3fb8aa3b, v2
	v_exp_f32_e32 v36, v2
	v_sub_f32_e32 v2, v37, v32
	v_mul_f32_e32 v2, 0x3fb8aa3b, v2
	v_exp_f32_e32 v37, v2
	global_load_dwordx4 v[6:9], v[28:29], off
	global_load_dwordx4 v[2:5], v[18:19], off
	v_sub_f32_e32 v29, v30, v32
	v_sub_f32_e32 v30, v31, v32
	v_mul_f32_e32 v29, 0x3fb8aa3b, v29
	v_mul_f32_e32 v30, 0x3fb8aa3b, v30
	v_exp_f32_e32 v29, v29
	v_exp_f32_e32 v30, v30
	v_cndmask_b32_e64 v18, 0, v36, s[4:5]
	v_cndmask_b32_e64 v19, 0, v37, s[34:35]
	;; [unrolled: 1-line block ×4, first 2 shown]
	v_sub_f32_e32 v29, v38, v32
	v_sub_f32_e32 v30, v39, v32
	v_mul_f32_e32 v29, 0x3fb8aa3b, v29
	v_mul_f32_e32 v30, 0x3fb8aa3b, v30
	v_exp_f32_e32 v29, v29
	v_exp_f32_e32 v30, v30
	v_add_f32_e32 v28, 0, v18
	v_add_f32_e32 v28, v28, v19
	;; [unrolled: 1-line block ×4, first 2 shown]
	v_cndmask_b32_e64 v28, 0, v29, s[24:25]
	v_cndmask_b32_e64 v29, 0, v30, s[26:27]
	v_sub_f32_e32 v30, v34, v32
	v_mul_f32_e32 v30, 0x3fb8aa3b, v30
	v_exp_f32_e32 v30, v30
	v_sub_f32_e32 v34, v35, v32
	v_add_f32_e32 v31, v31, v28
	v_mul_f32_e32 v34, 0x3fb8aa3b, v34
	v_exp_f32_e32 v35, v34
	v_add_f32_e32 v31, v31, v29
	v_cndmask_b32_e64 v34, 0, v30, s[20:21]
	v_add_f32_e32 v30, v31, v34
	v_sub_f32_e32 v31, v48, v32
	v_mul_f32_e32 v31, 0x3fb8aa3b, v31
	v_sub_f32_e32 v33, v33, v32
	v_exp_f32_e32 v31, v31
	v_mul_f32_e32 v33, 0x3fb8aa3b, v33
	v_sub_f32_e32 v24, v24, v32
	v_exp_f32_e32 v33, v33
	;; [unrolled: 3-line block ×3, first 2 shown]
	v_mul_f32_e32 v25, 0x3fb8aa3b, v25
	v_sub_f32_e32 v22, v22, v32
	v_cndmask_b32_e64 v35, 0, v35, s[22:23]
	v_exp_f32_e32 v25, v25
	v_mul_f32_e32 v22, 0x3fb8aa3b, v22
	v_sub_f32_e32 v23, v23, v32
	v_add_f32_e32 v38, v30, v35
	v_cndmask_b32_e64 v30, 0, v31, s[16:17]
	v_exp_f32_e32 v22, v22
	v_mul_f32_e32 v23, 0x3fb8aa3b, v23
	v_sub_f32_e32 v20, v20, v32
	v_add_f32_e32 v38, v38, v30
	;; [unrolled: 5-line block ×3, first 2 shown]
	v_cndmask_b32_e64 v24, 0, v24, s[12:13]
	v_exp_f32_e32 v20, v20
	v_mul_f32_e32 v21, 0x3fb8aa3b, v21
	v_add_f32_e32 v33, v33, v24
	v_cndmask_b32_e64 v25, 0, v25, s[14:15]
	v_exp_f32_e32 v21, v21
	v_add_f32_e32 v33, v33, v25
	v_cndmask_b32_e64 v22, 0, v22, s[8:9]
	v_add_f32_e32 v33, v33, v22
	v_cndmask_b32_e64 v23, 0, v23, s[10:11]
	v_add_f32_e32 v33, v33, v23
	v_cndmask_b32_e32 v20, 0, v20, vcc
	v_add_f32_e32 v33, v33, v20
	v_cndmask_b32_e64 v21, 0, v21, s[6:7]
	v_add_f32_e32 v33, v33, v21
	ds_bpermute_b32 v38, v44, v33
	s_load_dword s7, s[0:1], 0x98
	v_cmp_gt_u32_e32 vcc, 16, v43
	s_waitcnt lgkmcnt(0)
	s_barrier
	v_add_f32_e32 v38, v33, v38
	ds_bpermute_b32 v39, v47, v38
	v_lshlrev_b32_e32 v33, 2, v42
	s_waitcnt lgkmcnt(0)
	s_and_saveexec_b64 s[4:5], vcc
	s_cbranch_execz .LBB895_15
; %bb.14:
	v_add_f32_e32 v38, v38, v39
	v_lshl_or_b32 v39, v41, 6, v33
	ds_write2st64_b32 v39, v32, v38 offset1:1
.LBB895_15:
	s_or_b64 exec, exec, s[4:5]
	s_load_dword s6, s[0:1], 0x94
	s_waitcnt lgkmcnt(0)
	s_barrier
	ds_read2_b32 v[38:39], v33 offset1:16
	ds_read2_b32 v[42:43], v33 offset0:32 offset1:48
	ds_read2_b32 v[44:45], v33 offset0:64 offset1:80
	s_lshl_b32 s7, s7, 3
	s_waitcnt lgkmcnt(2)
	v_max3_f32 v32, v38, s44, v39
	s_waitcnt lgkmcnt(1)
	v_max3_f32 v32, v32, v42, v43
	v_sub_f32_e32 v38, v38, v32
	v_mul_f32_e32 v38, 0x3fb8aa3b, v38
	v_exp_f32_e32 v46, v38
	v_sub_f32_e32 v38, v39, v32
	v_mul_f32_e32 v38, 0x3fb8aa3b, v38
	v_exp_f32_e32 v47, v38
	;; [unrolled: 3-line block ×3, first 2 shown]
	ds_read2_b32 v[38:39], v33 offset0:96 offset1:112
	v_sub_f32_e32 v33, v43, v32
	v_mul_f32_e32 v33, 0x3fb8aa3b, v33
	v_exp_f32_e32 v43, v33
	s_waitcnt lgkmcnt(1)
	v_fma_f32 v33, v46, v44, 0
	v_fmac_f32_e32 v33, v47, v45
	s_waitcnt lgkmcnt(0)
	v_fmac_f32_e32 v33, v42, v38
	v_fmac_f32_e32 v33, v43, v39
	v_add_f32_e32 v38, 0x358637bd, v33
	v_div_scale_f32 v39, s[4:5], v38, v38, 1.0
	v_rcp_f32_e32 v44, v39
	s_barrier
	v_fma_f32 v45, -v39, v44, 1.0
	v_fmac_f32_e32 v44, v45, v44
	v_div_scale_f32 v45, vcc, 1.0, v38, 1.0
	v_mul_f32_e32 v48, v45, v44
	v_fma_f32 v49, -v39, v48, v45
	v_fmac_f32_e32 v48, v49, v44
	v_fma_f32 v39, -v39, v48, v45
	v_div_fmas_f32 v39, v39, v44, v48
	v_cmp_eq_u32_e32 vcc, 1, v41
	v_div_fixup_f32 v38, v39, v38, 1.0
	s_nop 0
	v_cndmask_b32_e32 v39, v46, v47, vcc
	v_cmp_eq_u32_e32 vcc, 2, v41
	s_nop 1
	v_cndmask_b32_e32 v39, v39, v42, vcc
	v_cmp_eq_u32_e32 vcc, 3, v41
	s_nop 1
	v_cndmask_b32_e32 v39, v39, v43, vcc
	v_mul_f32_e32 v38, v39, v38
	v_pk_mul_f32 v[36:37], v[38:39], v[36:37] op_sel_hi:[0,1]
	v_pk_mul_f32 v[18:19], v[38:39], v[18:19] op_sel_hi:[0,1]
	v_cvt_f16_f32_e32 v39, v36
	v_cvt_f16_f32_e32 v37, v37
	;; [unrolled: 1-line block ×4, first 2 shown]
	v_cmp_gt_u32_e32 vcc, 8, v0
	v_pack_b32_f16 v37, v39, v37
	v_lshlrev_b32_e32 v39, 3, v1
	v_pack_b32_f16 v36, v18, v19
	v_pk_mul_f32 v[18:19], v[38:39], v[34:35] op_sel_hi:[0,1]
	v_pk_mul_f32 v[28:29], v[38:39], v[28:29] op_sel_hi:[0,1]
	v_cvt_f16_f32_e32 v28, v28
	v_cvt_f16_f32_e32 v29, v29
	;; [unrolled: 1-line block ×4, first 2 shown]
	v_lshlrev_b32_e32 v18, 11, v41
	v_or3_b32 v18, v18, v27, v39
	v_pack_b32_f16 v28, v28, v29
	v_pack_b32_f16 v29, v34, v19
	ds_write2st64_b64 v18, v[36:37], v[28:29] offset1:1
	v_pk_mul_f32 v[24:25], v[38:39], v[24:25] op_sel_hi:[0,1]
	v_pk_mul_f32 v[28:29], v[38:39], v[30:31] op_sel_hi:[0,1]
	;; [unrolled: 1-line block ×4, first 2 shown]
	v_cvt_f16_f32_e32 v19, v28
	v_cvt_f16_f32_e32 v28, v29
	;; [unrolled: 1-line block ×8, first 2 shown]
	v_pack_b32_f16 v20, v19, v28
	v_pack_b32_f16 v21, v24, v25
	;; [unrolled: 1-line block ×4, first 2 shown]
	ds_write2st64_b64 v18, v[20:21], v[22:23] offset0:2 offset1:3
	s_and_saveexec_b64 s[4:5], vcc
	s_cbranch_execz .LBB895_17
; %bb.16:
	v_or_b32_e32 v20, s29, v0
	v_mov_b32_e32 v21, 0
	v_mov_b32_e32 v19, s7
	v_mad_u64_u32 v[22:23], s[12:13], s2, v19, v[20:21]
	v_mov_b32_e32 v20, s28
	s_load_dwordx4 s[8:11], s[0:1], 0x58
	s_mul_i32 s3, s3, s7
	v_mad_u64_u32 v[20:21], s[12:13], v22, s6, v[20:21]
	v_add_u32_e32 v19, s3, v23
	v_mov_b32_e32 v22, v21
	v_mad_u64_u32 v[22:23], s[12:13], v19, s6, v[22:23]
	v_mov_b32_e32 v21, v22
	v_lshlrev_b64 v[20:21], 2, v[20:21]
	s_waitcnt lgkmcnt(0)
	v_lshl_add_u64 v[22:23], s[10:11], 0, v[20:21]
	v_lshl_add_u64 v[20:21], s[8:9], 0, v[20:21]
	global_store_dword v[22:23], v32, off
	global_store_dword v[20:21], v33, off
.LBB895_17:
	s_or_b64 exec, exec, s[4:5]
	s_waitcnt vmcnt(3)
	v_cvt_pk_f32_fp8_e32 v[20:21], v14
	v_cvt_pk_f32_fp8_sdwa v[22:23], v14 src0_sel:WORD_1
	v_lshl_or_b32 v14, v1, 9, v27
	s_waitcnt lgkmcnt(0)
	s_barrier
	v_cvt_pk_f32_fp8_e32 v[24:25], v15
	v_cvt_pkrtz_f16_f32 v32, v20, v21
	v_cvt_pkrtz_f16_f32 v33, v22, v23
	v_cvt_pk_f32_fp8_sdwa v[28:29], v15 src0_sel:WORD_1
	ds_read_b128 v[20:23], v14
	v_cvt_pkrtz_f16_f32 v24, v24, v25
	v_cvt_pk_f32_fp8_e32 v[36:37], v16
	v_cvt_pkrtz_f16_f32 v25, v28, v29
	ds_read_b128 v[28:31], v14 offset:16
	v_cvt_pk_f32_fp8_sdwa v[38:39], v16 src0_sel:WORD_1
	s_waitcnt lgkmcnt(1)
	v_mfma_f32_16x16x16_f16 v[32:35], v[32:33], v[20:21], 0
	v_cvt_pkrtz_f16_f32 v36, v36, v37
	s_load_dword s4, s[42:43], 0x0
	v_cvt_pkrtz_f16_f32 v37, v38, v39
	v_cvt_pk_f32_fp8_e32 v[38:39], v17
	v_cvt_pk_f32_fp8_sdwa v[16:17], v17 src0_sel:WORD_1
	v_mfma_f32_16x16x16_f16 v[20:23], v[24:25], v[22:23], v[32:35]
	v_cmp_gt_u32_e32 vcc, 64, v0
	v_cvt_pkrtz_f16_f32 v24, v38, v39
	v_cvt_pkrtz_f16_f32 v25, v16, v17
	s_waitcnt lgkmcnt(0)
	v_mfma_f32_16x16x16_f16 v[20:23], v[36:37], v[28:29], v[20:23]
	s_waitcnt vmcnt(2)
	v_cvt_pk_f32_fp8_e32 v[16:17], v10
	v_cvt_pk_f32_fp8_e32 v[28:29], v11
	v_cvt_pk_f32_fp8_sdwa v[36:37], v12 src0_sel:WORD_1
	v_mfma_f32_16x16x16_f16 v[20:23], v[24:25], v[30:31], v[20:23]
	v_cvt_pk_f32_fp8_sdwa v[24:25], v10 src0_sel:WORD_1
	v_cvt_pkrtz_f16_f32 v10, v16, v17
	v_cvt_pk_f32_fp8_sdwa v[16:17], v11 src0_sel:WORD_1
	ds_read_b128 v[32:35], v14 offset:2064
	v_cvt_pkrtz_f16_f32 v11, v24, v25
	v_cvt_pkrtz_f16_f32 v24, v28, v29
	ds_read_b128 v[28:31], v14 offset:2048
	v_cvt_pkrtz_f16_f32 v25, v16, v17
	v_cvt_pk_f32_fp8_e32 v[16:17], v12
	s_waitcnt lgkmcnt(0)
	v_mfma_f32_16x16x16_f16 v[20:23], v[10:11], v[28:29], v[20:23]
	v_cvt_pkrtz_f16_f32 v10, v16, v17
	v_cvt_pkrtz_f16_f32 v11, v36, v37
	v_cvt_pk_f32_fp8_e32 v[16:17], v13
	v_mfma_f32_16x16x16_f16 v[20:23], v[24:25], v[30:31], v[20:23]
	v_cvt_pk_f32_fp8_sdwa v[24:25], v13 src0_sel:WORD_1
	ds_read_b128 v[28:31], v14 offset:4112
	v_cvt_pkrtz_f16_f32 v16, v16, v17
	v_mfma_f32_16x16x16_f16 v[10:13], v[10:11], v[32:33], v[20:23]
	v_cvt_pkrtz_f16_f32 v17, v24, v25
	s_waitcnt vmcnt(1)
	v_cvt_pk_f32_fp8_sdwa v[24:25], v7 src0_sel:WORD_1
	v_cvt_pk_f32_fp8_sdwa v[32:33], v8 src0_sel:WORD_1
	v_cvt_pk_f32_fp8_e32 v[20:21], v6
	v_mfma_f32_16x16x16_f16 v[10:13], v[16:17], v[34:35], v[10:13]
	v_cvt_pk_f32_fp8_sdwa v[16:17], v6 src0_sel:WORD_1
	v_cvt_pk_f32_fp8_e32 v[22:23], v7
	v_cvt_pkrtz_f16_f32 v6, v20, v21
	s_mov_b32 s3, 0
	v_cvt_pkrtz_f16_f32 v7, v16, v17
	v_cvt_pkrtz_f16_f32 v16, v22, v23
	ds_read_b128 v[20:23], v14 offset:4096
	v_cvt_pkrtz_f16_f32 v17, v24, v25
	v_cvt_pk_f32_fp8_e32 v[24:25], v8
	s_waitcnt lgkmcnt(0)
	v_mfma_f32_16x16x16_f16 v[10:13], v[6:7], v[20:21], v[10:13]
	v_cvt_pkrtz_f16_f32 v6, v24, v25
	v_cvt_pkrtz_f16_f32 v7, v32, v33
	v_cvt_pk_f32_fp8_e32 v[20:21], v9
	v_mfma_f32_16x16x16_f16 v[10:13], v[16:17], v[22:23], v[10:13]
	v_cvt_pk_f32_fp8_sdwa v[16:17], v9 src0_sel:WORD_1
	s_waitcnt vmcnt(0)
	v_cvt_pk_f32_fp8_sdwa v[24:25], v4 src0_sel:WORD_1
	v_cvt_pkrtz_f16_f32 v20, v20, v21
	v_mfma_f32_16x16x16_f16 v[6:9], v[6:7], v[28:29], v[10:13]
	v_cvt_pkrtz_f16_f32 v21, v16, v17
	v_cvt_pk_f32_fp8_e32 v[16:17], v3
	v_mov_b32_e32 v27, 0
	v_cvt_pk_f32_fp8_e32 v[10:11], v2
	v_cvt_pk_f32_fp8_sdwa v[12:13], v2 src0_sel:WORD_1
	v_mfma_f32_16x16x16_f16 v[6:9], v[20:21], v[30:31], v[6:9]
	v_cvt_pk_f32_fp8_sdwa v[20:21], v3 src0_sel:WORD_1
	v_cvt_pkrtz_f16_f32 v2, v10, v11
	v_cvt_pkrtz_f16_f32 v3, v12, v13
	ds_read_b128 v[10:13], v14 offset:6144
	v_cvt_pkrtz_f16_f32 v22, v16, v17
	v_cvt_pkrtz_f16_f32 v23, v20, v21
	v_cvt_pk_f32_fp8_e32 v[20:21], v4
	s_waitcnt lgkmcnt(0)
	v_mfma_f32_16x16x16_f16 v[6:9], v[2:3], v[10:11], v[6:9]
	ds_read_b128 v[14:17], v14 offset:6160
	v_cvt_pkrtz_f16_f32 v2, v20, v21
	v_cvt_pkrtz_f16_f32 v3, v24, v25
	v_cvt_pk_f32_fp8_e32 v[10:11], v5
	v_mfma_f32_16x16x16_f16 v[6:9], v[22:23], v[12:13], v[6:9]
	v_cvt_pk_f32_fp8_sdwa v[12:13], v5 src0_sel:WORD_1
	s_waitcnt lgkmcnt(0)
	v_cvt_pkrtz_f16_f32 v10, v10, v11
	v_mfma_f32_16x16x16_f16 v[2:5], v[2:3], v[14:15], v[6:9]
	v_cvt_pkrtz_f16_f32 v11, v12, v13
	s_barrier
	s_nop 0
	v_mfma_f32_16x16x16_f16 v[2:5], v[10:11], v[16:17], v[2:5]
	s_nop 6
	v_pk_mul_f32 v[4:5], v[4:5], s[4:5] op_sel_hi:[1,0]
	v_pk_mul_f32 v[2:3], v[2:3], s[4:5] op_sel_hi:[1,0]
	v_cvt_f16_f32_e32 v4, v4
	v_cvt_f16_f32_e32 v2, v2
	;; [unrolled: 1-line block ×4, first 2 shown]
	s_and_b64 s[4:5], vcc, s[30:31]
	v_pack_b32_f16 v2, v2, v3
	v_pack_b32_f16 v3, v4, v5
	ds_write_b64 v18, v[2:3]
	s_waitcnt lgkmcnt(0)
	s_barrier
	s_and_saveexec_b64 s[8:9], s[4:5]
	s_cbranch_execz .LBB895_19
; %bb.18:
	s_load_dwordx2 s[0:1], s[0:1], 0x68
	s_lshl_b32 s6, s6, 6
	s_mul_i32 s2, s7, s2
	s_mul_hi_u32 s5, s2, s6
	s_mul_i32 s4, s2, s6
	s_lshl_b64 s[4:5], s[4:5], 1
	v_lshlrev_b32_e32 v0, 10, v0
	s_waitcnt lgkmcnt(0)
	s_add_u32 s4, s0, s4
	v_and_b32_e32 v0, 0x1800, v0
	v_lshlrev_b32_e32 v2, 5, v1
	v_and_b32_e32 v3, 16, v40
	s_addc_u32 s5, s1, s5
	s_lshl_b32 s2, s28, 6
	v_or3_b32 v0, v0, v2, v3
	s_lshl_b64 s[0:1], s[2:3], 1
	ds_read_b128 v[2:5], v0
	ds_read_b128 v[6:9], v0 offset:128
	s_add_u32 s0, s4, s0
	s_addc_u32 s1, s5, s1
	v_or_b32_e32 v12, s29, v1
	v_lshl_add_u64 v[10:11], s[0:1], 0, v[26:27]
	v_mad_u64_u32 v[0:1], s[0:1], v12, s6, 0
	v_lshl_add_u64 v[0:1], v[0:1], 1, v[10:11]
	s_waitcnt lgkmcnt(1)
	global_store_dwordx4 v[0:1], v[2:5], off
	v_or_b32_e32 v0, 4, v12
	v_mad_u64_u32 v[0:1], s[0:1], v0, s6, 0
	v_lshl_add_u64 v[0:1], v[0:1], 1, v[10:11]
	s_waitcnt lgkmcnt(0)
	global_store_dwordx4 v[0:1], v[6:9], off
.LBB895_19:
	s_endpgm
	.section	.rodata,"a",@progbits
	.p2align	6, 0x0
	.amdhsa_kernel _Z39paged_attention_ll4mi_QKV_mfma16_kernelIDF16_hLN4vllm18Fp8KVCacheDataTypeE1EDF16_Li32ELi64ELi256ELb1ELi8EEvPKT_PKT0_S7_ifPKiS9_S9_iPKfiiiPfSC_PS2_PT2_iSB_SB_
		.amdhsa_group_segment_fixed_size 8192
		.amdhsa_private_segment_fixed_size 0
		.amdhsa_kernarg_size 400
		.amdhsa_user_sgpr_count 2
		.amdhsa_user_sgpr_dispatch_ptr 0
		.amdhsa_user_sgpr_queue_ptr 0
		.amdhsa_user_sgpr_kernarg_segment_ptr 1
		.amdhsa_user_sgpr_dispatch_id 0
		.amdhsa_user_sgpr_kernarg_preload_length 0
		.amdhsa_user_sgpr_kernarg_preload_offset 0
		.amdhsa_user_sgpr_private_segment_size 0
		.amdhsa_uses_dynamic_stack 0
		.amdhsa_enable_private_segment 0
		.amdhsa_system_sgpr_workgroup_id_x 1
		.amdhsa_system_sgpr_workgroup_id_y 1
		.amdhsa_system_sgpr_workgroup_id_z 1
		.amdhsa_system_sgpr_workgroup_info 0
		.amdhsa_system_vgpr_workitem_id 0
		.amdhsa_next_free_vgpr 73
		.amdhsa_next_free_sgpr 48
		.amdhsa_accum_offset 76
		.amdhsa_reserve_vcc 1
		.amdhsa_float_round_mode_32 0
		.amdhsa_float_round_mode_16_64 0
		.amdhsa_float_denorm_mode_32 3
		.amdhsa_float_denorm_mode_16_64 3
		.amdhsa_dx10_clamp 1
		.amdhsa_ieee_mode 1
		.amdhsa_fp16_overflow 0
		.amdhsa_tg_split 0
		.amdhsa_exception_fp_ieee_invalid_op 0
		.amdhsa_exception_fp_denorm_src 0
		.amdhsa_exception_fp_ieee_div_zero 0
		.amdhsa_exception_fp_ieee_overflow 0
		.amdhsa_exception_fp_ieee_underflow 0
		.amdhsa_exception_fp_ieee_inexact 0
		.amdhsa_exception_int_div_zero 0
	.end_amdhsa_kernel
	.section	.text._Z39paged_attention_ll4mi_QKV_mfma16_kernelIDF16_hLN4vllm18Fp8KVCacheDataTypeE1EDF16_Li32ELi64ELi256ELb1ELi8EEvPKT_PKT0_S7_ifPKiS9_S9_iPKfiiiPfSC_PS2_PT2_iSB_SB_,"axG",@progbits,_Z39paged_attention_ll4mi_QKV_mfma16_kernelIDF16_hLN4vllm18Fp8KVCacheDataTypeE1EDF16_Li32ELi64ELi256ELb1ELi8EEvPKT_PKT0_S7_ifPKiS9_S9_iPKfiiiPfSC_PS2_PT2_iSB_SB_,comdat
.Lfunc_end895:
	.size	_Z39paged_attention_ll4mi_QKV_mfma16_kernelIDF16_hLN4vllm18Fp8KVCacheDataTypeE1EDF16_Li32ELi64ELi256ELb1ELi8EEvPKT_PKT0_S7_ifPKiS9_S9_iPKfiiiPfSC_PS2_PT2_iSB_SB_, .Lfunc_end895-_Z39paged_attention_ll4mi_QKV_mfma16_kernelIDF16_hLN4vllm18Fp8KVCacheDataTypeE1EDF16_Li32ELi64ELi256ELb1ELi8EEvPKT_PKT0_S7_ifPKiS9_S9_iPKfiiiPfSC_PS2_PT2_iSB_SB_
                                        ; -- End function
	.section	.AMDGPU.csdata,"",@progbits
; Kernel info:
; codeLenInByte = 4888
; NumSgprs: 54
; NumVgprs: 73
; NumAgprs: 0
; TotalNumVgprs: 73
; ScratchSize: 0
; MemoryBound: 0
; FloatMode: 240
; IeeeMode: 1
; LDSByteSize: 8192 bytes/workgroup (compile time only)
; SGPRBlocks: 6
; VGPRBlocks: 9
; NumSGPRsForWavesPerEU: 54
; NumVGPRsForWavesPerEU: 73
; AccumOffset: 76
; Occupancy: 6
; WaveLimiterHint : 1
; COMPUTE_PGM_RSRC2:SCRATCH_EN: 0
; COMPUTE_PGM_RSRC2:USER_SGPR: 2
; COMPUTE_PGM_RSRC2:TRAP_HANDLER: 0
; COMPUTE_PGM_RSRC2:TGID_X_EN: 1
; COMPUTE_PGM_RSRC2:TGID_Y_EN: 1
; COMPUTE_PGM_RSRC2:TGID_Z_EN: 1
; COMPUTE_PGM_RSRC2:TIDIG_COMP_CNT: 0
; COMPUTE_PGM_RSRC3_GFX90A:ACCUM_OFFSET: 18
; COMPUTE_PGM_RSRC3_GFX90A:TG_SPLIT: 0
	.section	.text._Z39paged_attention_ll4mi_QKV_mfma16_kernelIDF16_hLN4vllm18Fp8KVCacheDataTypeE1EDF16_Li32ELi64ELi256ELb1ELi9EEvPKT_PKT0_S7_ifPKiS9_S9_iPKfiiiPfSC_PS2_PT2_iSB_SB_,"axG",@progbits,_Z39paged_attention_ll4mi_QKV_mfma16_kernelIDF16_hLN4vllm18Fp8KVCacheDataTypeE1EDF16_Li32ELi64ELi256ELb1ELi9EEvPKT_PKT0_S7_ifPKiS9_S9_iPKfiiiPfSC_PS2_PT2_iSB_SB_,comdat
	.protected	_Z39paged_attention_ll4mi_QKV_mfma16_kernelIDF16_hLN4vllm18Fp8KVCacheDataTypeE1EDF16_Li32ELi64ELi256ELb1ELi9EEvPKT_PKT0_S7_ifPKiS9_S9_iPKfiiiPfSC_PS2_PT2_iSB_SB_ ; -- Begin function _Z39paged_attention_ll4mi_QKV_mfma16_kernelIDF16_hLN4vllm18Fp8KVCacheDataTypeE1EDF16_Li32ELi64ELi256ELb1ELi9EEvPKT_PKT0_S7_ifPKiS9_S9_iPKfiiiPfSC_PS2_PT2_iSB_SB_
	.globl	_Z39paged_attention_ll4mi_QKV_mfma16_kernelIDF16_hLN4vllm18Fp8KVCacheDataTypeE1EDF16_Li32ELi64ELi256ELb1ELi9EEvPKT_PKT0_S7_ifPKiS9_S9_iPKfiiiPfSC_PS2_PT2_iSB_SB_
	.p2align	8
	.type	_Z39paged_attention_ll4mi_QKV_mfma16_kernelIDF16_hLN4vllm18Fp8KVCacheDataTypeE1EDF16_Li32ELi64ELi256ELb1ELi9EEvPKT_PKT0_S7_ifPKiS9_S9_iPKfiiiPfSC_PS2_PT2_iSB_SB_,@function
_Z39paged_attention_ll4mi_QKV_mfma16_kernelIDF16_hLN4vllm18Fp8KVCacheDataTypeE1EDF16_Li32ELi64ELi256ELb1ELi9EEvPKT_PKT0_S7_ifPKiS9_S9_iPKfiiiPfSC_PS2_PT2_iSB_SB_: ; @_Z39paged_attention_ll4mi_QKV_mfma16_kernelIDF16_hLN4vllm18Fp8KVCacheDataTypeE1EDF16_Li32ELi64ELi256ELb1ELi9EEvPKT_PKT0_S7_ifPKiS9_S9_iPKfiiiPfSC_PS2_PT2_iSB_SB_
; %bb.0:
	s_load_dwordx2 s[6:7], s[0:1], 0x30
	s_mov_b32 s28, s3
	s_mov_b64 s[8:9], 0
	s_waitcnt lgkmcnt(0)
	s_cmp_lg_u64 s[6:7], 0
	s_cselect_b64 s[10:11], -1, 0
	s_and_b64 vcc, exec, s[10:11]
	s_cbranch_vccz .LBB896_7
; %bb.1:
	s_add_i32 s12, s2, 1
	s_mov_b32 s13, 0
	s_lshl_b64 s[14:15], s[12:13], 2
	s_add_u32 s14, s6, s14
	s_mov_b32 s3, s13
	s_addc_u32 s15, s7, s15
	s_lshl_b64 s[12:13], s[2:3], 2
	s_add_u32 s12, s6, s12
	s_addc_u32 s13, s7, s13
	s_load_dword s5, s[14:15], 0x0
	s_load_dword s16, s[12:13], 0x0
	s_waitcnt lgkmcnt(0)
	s_sub_i32 s5, s5, s16
	s_cmp_eq_u32 s5, 1
	s_cselect_b64 s[12:13], -1, 0
	s_andn2_b64 vcc, exec, s[8:9]
	s_cbranch_vccnz .LBB896_3
.LBB896_2:
	s_mov_b32 s3, 0
	s_mov_b64 s[12:13], -1
.LBB896_3:
	s_andn2_b64 vcc, exec, s[12:13]
	s_cbranch_vccnz .LBB896_20
; %bb.4:
	s_load_dwordx2 s[8:9], s[0:1], 0x28
	s_lshl_b64 s[12:13], s[2:3], 2
	s_waitcnt lgkmcnt(0)
	s_add_u32 s8, s8, s12
	s_addc_u32 s9, s9, s13
	s_load_dword s29, s[8:9], 0x0
	s_lshl_b32 s16, s28, 8
	s_waitcnt lgkmcnt(0)
	s_cmp_ge_i32 s16, s29
	s_cbranch_scc1 .LBB896_20
; %bb.5:
	s_load_dwordx2 s[8:9], s[0:1], 0x20
	s_load_dword s5, s[0:1], 0x38
	s_add_i32 s14, s29, 31
	s_ashr_i32 s15, s14, 31
	v_and_b32_e32 v1, 0xcf, v0
	s_lshr_b32 s15, s15, 27
	v_add_u32_e32 v1, s16, v1
	s_add_i32 s14, s14, s15
	v_ashrrev_i32_e32 v2, 31, v1
	s_ashr_i32 s17, s14, 5
	v_lshrrev_b32_e32 v4, 27, v2
	s_add_i32 s17, s17, -1
	s_waitcnt lgkmcnt(0)
	s_mul_i32 s14, s2, s5
	s_mov_b32 s15, 0
	v_add_u32_e32 v2, v1, v4
	s_lshl_b64 s[14:15], s[14:15], 2
	v_ashrrev_i32_e32 v2, 5, v2
	v_mov_b32_e32 v5, s17
	v_cmp_gt_i32_e32 vcc, s29, v1
	s_add_u32 s8, s8, s14
	s_addc_u32 s9, s9, s15
	v_cndmask_b32_e32 v2, v5, v2, vcc
	v_ashrrev_i32_e32 v3, 31, v2
	v_lshl_add_u64 v[6:7], v[2:3], 2, s[8:9]
	v_or_b32_e32 v2, 16, v1
	v_add_u32_e32 v3, v2, v4
	v_ashrrev_i32_e32 v3, 5, v3
	v_cmp_gt_i32_e32 vcc, s29, v2
	s_load_dwordx2 s[14:15], s[0:1], 0x8
	s_nop 0
	v_cndmask_b32_e32 v2, v5, v3, vcc
	v_ashrrev_i32_e32 v3, 31, v2
	v_lshl_add_u64 v[8:9], v[2:3], 2, s[8:9]
	v_or_b32_e32 v2, 32, v1
	v_add_u32_e32 v3, v2, v4
	v_ashrrev_i32_e32 v3, 5, v3
	v_cmp_gt_i32_e32 vcc, s29, v2
	v_or_b32_e32 v1, 48, v1
	s_nop 0
	v_cndmask_b32_e32 v2, v5, v3, vcc
	v_ashrrev_i32_e32 v3, 31, v2
	v_lshl_add_u64 v[10:11], v[2:3], 2, s[8:9]
	v_add_u32_e32 v2, v1, v4
	v_ashrrev_i32_e32 v2, 5, v2
	v_cmp_gt_i32_e32 vcc, s29, v1
	s_nop 1
	v_cndmask_b32_e32 v2, v5, v2, vcc
	v_ashrrev_i32_e32 v3, 31, v2
	v_lshl_add_u64 v[12:13], v[2:3], 2, s[8:9]
	global_load_dword v5, v[6:7], off
	global_load_dword v4, v[8:9], off
	;; [unrolled: 1-line block ×4, first 2 shown]
	s_andn2_b64 vcc, exec, s[10:11]
	s_cbranch_vccnz .LBB896_8
; %bb.6:
	s_add_u32 s6, s6, s12
	s_addc_u32 s7, s7, s13
	s_load_dword s5, s[6:7], 0x0
	s_branch .LBB896_9
.LBB896_7:
	s_mov_b64 s[12:13], 0
	s_branch .LBB896_2
.LBB896_8:
	s_mov_b32 s5, s2
.LBB896_9:
	s_load_dwordx2 s[10:11], s[0:1], 0x10
	s_load_dwordx4 s[44:47], s[0:1], 0x48
	v_lshrrev_b32_e32 v29, 6, v0
	v_bfe_u32 v42, v0, 4, 2
	v_lshl_or_b32 v6, v29, 2, v42
	v_and_b32_e32 v28, 15, v0
	v_lshlrev_b32_e32 v1, 3, v28
	v_cmp_gt_u32_e32 vcc, 9, v6
	v_cmp_gt_u32_e64 s[30:31], 8, v28
	s_mul_i32 s48, s4, 9
	s_and_b64 s[12:13], s[30:31], vcc
	v_lshlrev_b32_e32 v26, 1, v1
	v_lshlrev_b32_e32 v1, 4, v0
	s_and_saveexec_b64 s[6:7], s[12:13]
	s_cbranch_execz .LBB896_11
; %bb.10:
	s_load_dwordx2 s[12:13], s[0:1], 0x0
	s_waitcnt lgkmcnt(0)
	s_ashr_i32 s18, s44, 31
	s_mul_hi_u32 s19, s5, s44
	s_mul_i32 s18, s5, s18
	s_add_i32 s19, s19, s18
	s_mul_i32 s18, s5, s44
	s_lshl_b64 s[18:19], s[18:19], 1
	s_add_u32 s12, s12, s18
	v_add_lshl_u32 v8, v6, s48, 6
	s_addc_u32 s13, s13, s19
	v_ashrrev_i32_e32 v9, 31, v8
	v_lshl_add_u64 v[8:9], v[8:9], 1, s[12:13]
	v_mov_b32_e32 v27, 0
	v_lshl_add_u64 v[8:9], v[8:9], 0, v[26:27]
	global_load_dwordx4 v[8:11], v[8:9], off
	v_lshlrev_b32_e32 v12, 8, v28
	v_lshlrev_b32_e32 v6, 5, v6
	v_and_b32_e32 v7, 16, v1
	v_and_b32_e32 v12, 0xe00, v12
	v_or3_b32 v6, v12, v6, v7
	s_waitcnt vmcnt(0)
	ds_write_b128 v6, v[8:11]
.LBB896_11:
	s_or_b64 exec, exec, s[6:7]
	s_waitcnt lgkmcnt(0)
	s_mul_i32 s12, s4, s46
	s_add_u32 s4, s14, s12
	s_addc_u32 s5, s15, 0
	v_mov_b32_e32 v31, 0
	v_mov_b64_e32 v[6:7], s[4:5]
	v_lshlrev_b32_e32 v10, 4, v28
	v_and_b32_e32 v27, 48, v0
	s_waitcnt vmcnt(3)
	v_mad_i64_i32 v[8:9], s[4:5], v5, s45, v[6:7]
	v_mov_b32_e32 v11, v31
	s_waitcnt vmcnt(2)
	v_mad_i64_i32 v[4:5], s[4:5], v4, s45, v[6:7]
	v_or_b32_e32 v12, 0x100, v10
	v_mov_b32_e32 v13, v31
	v_lshlrev_b32_e32 v30, 5, v27
	v_lshl_add_u64 v[8:9], v[8:9], 0, v[10:11]
	v_lshl_add_u64 v[4:5], v[4:5], 0, v[12:13]
	;; [unrolled: 1-line block ×4, first 2 shown]
	s_barrier
	global_load_dwordx4 v[22:25], v[8:9], off
	global_load_dwordx4 v[18:21], v[4:5], off
	s_waitcnt vmcnt(3)
	v_mad_i64_i32 v[4:5], s[4:5], v3, s45, v[6:7]
	v_lshl_add_u64 v[4:5], v[4:5], 0, v[10:11]
	s_waitcnt vmcnt(2)
	v_mad_i64_i32 v[2:3], s[4:5], v2, s45, v[6:7]
	v_lshl_add_u64 v[4:5], v[4:5], 0, v[30:31]
	v_lshl_add_u64 v[2:3], v[2:3], 0, v[12:13]
	;; [unrolled: 1-line block ×3, first 2 shown]
	global_load_dwordx4 v[14:17], v[4:5], off
	global_load_dwordx4 v[6:9], v[2:3], off
	v_add_u32_e32 v2, -9, v28
	v_cmp_gt_u32_e32 vcc, 9, v28
	v_and_b32_e32 v43, 63, v0
	v_mov_b32_e32 v44, 0
	v_cndmask_b32_e32 v2, v2, v28, vcc
	v_lshlrev_b32_e32 v2, 5, v2
	v_lshl_add_u32 v2, v42, 9, v2
	ds_read_b128 v[10:13], v2
	ds_read_b128 v[2:5], v2 offset:16
	s_and_saveexec_b64 s[4:5], vcc
	s_cbranch_execz .LBB896_13
; %bb.12:
	s_load_dwordx2 s[6:7], s[0:1], 0x40
	v_add_u32_e32 v32, s48, v28
	v_ashrrev_i32_e32 v33, 31, v32
	s_waitcnt lgkmcnt(0)
	v_lshl_add_u64 v[32:33], v[32:33], 2, s[6:7]
	global_load_dword v44, v[32:33], off
.LBB896_13:
	s_or_b64 exec, exec, s[4:5]
	s_ashr_i32 s4, s16, 31
	v_or_b32_e32 v45, s16, v27
	s_lshr_b32 s13, s4, 27
	v_add_u32_e32 v27, s13, v45
	v_ashrrev_i32_e32 v27, 5, v27
	s_waitcnt vmcnt(3)
	v_cvt_pk_f32_fp8_e32 v[32:33], v22
	v_cvt_pk_f32_fp8_sdwa v[34:35], v22 src0_sel:WORD_1
	s_waitcnt vmcnt(2)
	v_cvt_pk_f32_fp8_e32 v[56:57], v20
	v_cvt_pk_f32_fp8_sdwa v[58:59], v20 src0_sel:WORD_1
	v_mov_b32_e32 v20, s17
	v_cmp_gt_i32_e32 vcc, s29, v45
	v_cvt_pk_f32_fp8_e32 v[48:49], v18
	v_cvt_pk_f32_fp8_sdwa v[50:51], v18 src0_sel:WORD_1
	v_cndmask_b32_e32 v18, v20, v27, vcc
	v_cvt_pk_f32_fp8_e32 v[52:53], v19
	v_cvt_pk_f32_fp8_sdwa v[54:55], v19 src0_sel:WORD_1
	v_ashrrev_i32_e32 v19, 31, v18
	v_lshl_add_u64 v[18:19], v[18:19], 2, s[8:9]
	v_cvt_pk_f32_fp8_e32 v[36:37], v23
	v_cvt_pk_f32_fp8_sdwa v[22:23], v23 src0_sel:WORD_1
	global_load_dword v70, v[18:19], off
	v_cvt_pkrtz_f16_f32 v18, v32, v33
	v_cvt_pkrtz_f16_f32 v19, v34, v35
	v_cvt_pk_f32_fp8_e32 v[60:61], v21
	v_cvt_pk_f32_fp8_sdwa v[62:63], v21 src0_sel:WORD_1
	v_or_b32_e32 v21, 64, v45
	v_or_b32_e32 v32, 0x80, v45
	v_or_b32_e32 v33, 0xc0, v45
	v_cmp_gt_i32_e32 vcc, s29, v21
	v_add_u32_e32 v21, s13, v21
	v_cmp_gt_i32_e64 s[4:5], s29, v32
	v_add_u32_e32 v32, s13, v32
	v_cmp_gt_i32_e64 s[6:7], s29, v33
	v_add_u32_e32 v33, s13, v33
	v_cvt_pk_f32_fp8_e32 v[38:39], v24
	v_cvt_pk_f32_fp8_sdwa v[40:41], v24 src0_sel:WORD_1
	v_ashrrev_i32_e32 v21, 5, v21
	v_ashrrev_i32_e32 v34, 5, v32
	;; [unrolled: 1-line block ×3, first 2 shown]
	v_cvt_pkrtz_f16_f32 v32, v36, v37
	v_cvt_pkrtz_f16_f32 v33, v22, v23
	v_cndmask_b32_e32 v36, v20, v21, vcc
	v_cndmask_b32_e64 v64, v20, v34, s[4:5]
	v_cndmask_b32_e64 v66, v20, v35, s[6:7]
	s_waitcnt lgkmcnt(1)
	v_mfma_f32_16x16x16_f16 v[18:21], v[18:19], v[10:11], 0
	v_cvt_pk_f32_fp8_e32 v[46:47], v25
	v_cvt_pkrtz_f16_f32 v22, v48, v49
	v_cvt_pkrtz_f16_f32 v23, v50, v51
	v_cvt_pk_f32_fp8_sdwa v[24:25], v25 src0_sel:WORD_1
	v_cvt_pkrtz_f16_f32 v38, v38, v39
	v_cvt_pkrtz_f16_f32 v39, v40, v41
	v_mfma_f32_16x16x16_f16 v[32:35], v[32:33], v[12:13], v[18:21]
	s_add_u32 s10, s10, s12
	v_and_b32_e32 v30, 16, v0
	v_lshlrev_b32_e32 v27, 5, v28
	s_addc_u32 s11, s11, 0
	v_cvt_pkrtz_f16_f32 v68, v46, v47
	v_cvt_pkrtz_f16_f32 v46, v52, v53
	;; [unrolled: 1-line block ×3, first 2 shown]
	s_load_dword s14, s[0:1], 0x1c
	s_load_dwordx4 s[40:43], s[0:1], 0x80
	v_lshl_add_u64 v[40:41], s[10:11], 0, v[30:31]
	v_lshl_or_b32 v30, v29, 9, v27
	v_cvt_pkrtz_f16_f32 v69, v24, v25
	v_mfma_f32_16x16x16_f16 v[22:25], v[22:23], v[10:11], 0
	v_lshl_add_u64 v[18:19], v[40:41], 0, v[30:31]
	v_ashrrev_i32_e32 v37, 31, v36
	v_ashrrev_i32_e32 v65, 31, v64
	s_waitcnt lgkmcnt(0)
	v_mfma_f32_16x16x16_f16 v[30:33], v[38:39], v[2:3], v[32:35]
	v_ashrrev_i32_e32 v67, 31, v66
	v_cvt_pkrtz_f16_f32 v48, v56, v57
	v_cvt_pkrtz_f16_f32 v49, v58, v59
	v_mfma_f32_16x16x16_f16 v[20:23], v[46:47], v[12:13], v[22:25]
	v_lshl_add_u64 v[34:35], v[64:65], 2, s[8:9]
	s_load_dword s4, s[40:41], 0x0
	v_cvt_pkrtz_f16_f32 v50, v60, v61
	v_lshl_add_u64 v[24:25], v[36:37], 2, s[8:9]
	v_lshl_add_u64 v[36:37], v[66:67], 2, s[8:9]
	global_load_dword v47, v[24:25], off
	global_load_dword v45, v[34:35], off
	;; [unrolled: 1-line block ×3, first 2 shown]
	v_mfma_f32_16x16x16_f16 v[34:37], v[68:69], v[4:5], v[30:33]
	s_waitcnt vmcnt(5)
	v_cvt_pk_f32_fp8_e32 v[24:25], v14
	v_cvt_pkrtz_f16_f32 v51, v62, v63
	v_cvt_pk_f32_fp8_e32 v[38:39], v15
	v_cvt_pk_f32_fp8_sdwa v[32:33], v14 src0_sel:WORD_1
	v_mfma_f32_16x16x16_f16 v[20:23], v[48:49], v[2:3], v[20:23]
	v_cvt_pkrtz_f16_f32 v24, v24, v25
	v_cvt_pk_f32_fp8_sdwa v[14:15], v15 src0_sel:WORD_1
	v_cvt_pkrtz_f16_f32 v25, v32, v33
	v_mov_b32_e32 v40, s14
	v_mfma_f32_16x16x16_f16 v[20:23], v[50:51], v[4:5], v[20:23]
	v_cvt_pkrtz_f16_f32 v32, v38, v39
	v_cvt_pk_f32_fp8_e32 v[50:51], v16
	v_cvt_pk_f32_fp8_sdwa v[52:53], v16 src0_sel:WORD_1
	v_cvt_pkrtz_f16_f32 v33, v14, v15
	s_waitcnt lgkmcnt(0)
	v_mul_f32_e32 v48, s4, v40
	v_mfma_f32_16x16x16_f16 v[38:41], v[24:25], v[10:11], 0
	v_cvt_pkrtz_f16_f32 v24, v50, v51
	v_cvt_pkrtz_f16_f32 v25, v52, v53
	v_cvt_pk_f32_fp8_e32 v[50:51], v17
	v_cvt_pk_f32_fp8_sdwa v[52:53], v17 src0_sel:WORD_1
	v_mfma_f32_16x16x16_f16 v[14:17], v[32:33], v[12:13], v[38:41]
	v_pk_mul_f32 v[32:33], v[48:49], v[36:37] op_sel_hi:[0,1]
	v_cvt_pkrtz_f16_f32 v36, v50, v51
	v_cvt_pkrtz_f16_f32 v37, v52, v53
	v_mfma_f32_16x16x16_f16 v[14:17], v[24:25], v[2:3], v[14:17]
	v_pk_mul_f32 v[38:39], v[48:49], v[34:35] op_sel_hi:[0,1]
	s_waitcnt vmcnt(4)
	v_cvt_pk_f32_fp8_e32 v[24:25], v6
	v_cvt_pk_f32_fp8_sdwa v[34:35], v6 src0_sel:WORD_1
	v_mfma_f32_16x16x16_f16 v[14:17], v[36:37], v[4:5], v[14:17]
	v_cvt_pk_f32_fp8_e32 v[36:37], v7
	v_cvt_pkrtz_f16_f32 v24, v24, v25
	v_cvt_pkrtz_f16_f32 v25, v34, v35
	v_cvt_pk_f32_fp8_sdwa v[6:7], v7 src0_sel:WORD_1
	v_cvt_pkrtz_f16_f32 v40, v36, v37
	v_cvt_pk_f32_fp8_e32 v[50:51], v8
	v_cvt_pk_f32_fp8_sdwa v[52:53], v8 src0_sel:WORD_1
	v_cvt_pkrtz_f16_f32 v41, v6, v7
	v_mfma_f32_16x16x16_f16 v[34:37], v[24:25], v[10:11], 0
	v_cvt_pkrtz_f16_f32 v10, v50, v51
	v_cvt_pkrtz_f16_f32 v11, v52, v53
	v_cvt_pk_f32_fp8_e32 v[24:25], v9
	v_cvt_pk_f32_fp8_sdwa v[50:51], v9 src0_sel:WORD_1
	v_mfma_f32_16x16x16_f16 v[6:9], v[40:41], v[12:13], v[34:37]
	v_pk_mul_f32 v[40:41], v[48:49], v[20:21] op_sel_hi:[0,1]
	v_cvt_pkrtz_f16_f32 v12, v24, v25
	v_cvt_pkrtz_f16_f32 v13, v50, v51
	v_mfma_f32_16x16x16_f16 v[6:9], v[10:11], v[2:3], v[6:9]
	v_pk_mul_f32 v[36:37], v[48:49], v[22:23] op_sel_hi:[0,1]
	v_pk_mul_f32 v[24:25], v[48:49], v[16:17] op_sel_hi:[0,1]
	;; [unrolled: 1-line block ×3, first 2 shown]
	v_mfma_f32_16x16x16_f16 v[2:5], v[12:13], v[4:5], v[6:9]
	s_waitcnt vmcnt(3)
	v_mad_i64_i32 v[30:31], s[4:5], v70, s45, v[18:19]
	s_mov_b32 s33, 0xff7fffff
	s_nop 3
	v_pk_mul_f32 v[22:23], v[48:49], v[2:3] op_sel_hi:[0,1]
	v_and_b32_e32 v2, 0xc0, v0
	v_add_u32_e32 v2, s16, v2
	v_lshl_or_b32 v2, v42, 2, v2
	v_or_b32_e32 v3, 1, v2
	v_pk_mul_f32 v[20:21], v[48:49], v[4:5] op_sel_hi:[0,1]
	v_subrev_u32_e32 v4, s29, v3
	v_add_u32_e32 v6, 1, v4
	v_add_u32_e32 v7, 2, v4
	;; [unrolled: 1-line block ×3, first 2 shown]
	v_cvt_f32_i32_e32 v6, v6
	v_cvt_f32_i32_e32 v7, v7
	;; [unrolled: 1-line block ×3, first 2 shown]
	v_add_u32_e32 v9, 19, v4
	v_fmac_f32_e32 v39, v44, v6
	v_fma_f32 v32, v44, v7, v32
	v_fmac_f32_e32 v33, v44, v8
	v_add_u32_e32 v6, 16, v4
	v_add_u32_e32 v7, 17, v4
	;; [unrolled: 1-line block ×3, first 2 shown]
	v_cvt_f32_i32_e32 v6, v6
	v_cvt_f32_i32_e32 v7, v7
	;; [unrolled: 1-line block ×4, first 2 shown]
	v_fma_f32 v40, v44, v6, v40
	v_fmac_f32_e32 v41, v44, v7
	v_fma_f32 v36, v44, v8, v36
	v_add_u32_e32 v6, 32, v4
	v_add_u32_e32 v7, 33, v4
	;; [unrolled: 1-line block ×3, first 2 shown]
	v_cvt_f32_i32_e32 v6, v6
	v_cvt_f32_i32_e32 v7, v7
	;; [unrolled: 1-line block ×4, first 2 shown]
	v_fmac_f32_e32 v37, v44, v9
	v_add_u32_e32 v9, 35, v4
	v_fma_f32 v48, v44, v6, v34
	v_fmac_f32_e32 v35, v44, v7
	v_fma_f32 v24, v44, v8, v24
	v_add_u32_e32 v6, 48, v4
	v_add_u32_e32 v7, 49, v4
	;; [unrolled: 1-line block ×4, first 2 shown]
	v_cvt_f32_i32_e32 v4, v4
	v_cvt_f32_i32_e32 v6, v6
	;; [unrolled: 1-line block ×3, first 2 shown]
	v_fma_f32 v5, v44, v5, v38
	v_fmac_f32_e32 v21, v44, v4
	v_mov_b32_e32 v4, 0xff7fffff
	v_cmp_gt_i32_e64 s[4:5], s29, v2
	v_cmp_gt_i32_e64 s[34:35], s29, v3
	v_fma_f32 v22, v44, v6, v22
	v_cndmask_b32_e64 v6, v4, v5, s[4:5]
	v_cndmask_b32_e64 v3, v4, v39, s[34:35]
	v_fmac_f32_e32 v23, v44, v7
	v_max3_f32 v3, v6, s33, v3
	v_or_b32_e32 v6, 2, v2
	v_or_b32_e32 v7, 3, v2
	v_cmp_gt_i32_e64 s[36:37], s29, v6
	v_cmp_gt_i32_e64 s[38:39], s29, v7
	v_cvt_f32_i32_e32 v9, v9
	v_cndmask_b32_e64 v6, v4, v32, s[36:37]
	v_cndmask_b32_e64 v7, v4, v33, s[38:39]
	v_max3_f32 v3, v3, v6, v7
	v_or_b32_e32 v6, 16, v2
	v_or_b32_e32 v7, 17, v2
	v_cmp_gt_i32_e64 s[24:25], s29, v6
	v_cmp_gt_i32_e64 s[26:27], s29, v7
	v_fmac_f32_e32 v25, v44, v9
	v_cndmask_b32_e64 v6, v4, v40, s[24:25]
	v_cndmask_b32_e64 v7, v4, v41, s[26:27]
	v_max3_f32 v3, v3, v6, v7
	v_or_b32_e32 v6, 18, v2
	v_or_b32_e32 v7, 19, v2
	v_cmp_gt_i32_e64 s[20:21], s29, v6
	v_cmp_gt_i32_e64 s[22:23], s29, v7
	v_cvt_f32_i32_e32 v8, v8
	v_cndmask_b32_e64 v6, v4, v36, s[20:21]
	v_cndmask_b32_e64 v7, v4, v37, s[22:23]
	v_max3_f32 v3, v3, v6, v7
	v_or_b32_e32 v6, 32, v2
	v_or_b32_e32 v7, 33, v2
	v_cmp_gt_i32_e64 s[16:17], s29, v6
	v_cmp_gt_i32_e64 s[18:19], s29, v7
	v_fma_f32 v20, v44, v8, v20
	v_cndmask_b32_e64 v6, v4, v48, s[16:17]
	v_cndmask_b32_e64 v7, v4, v35, s[18:19]
	v_max3_f32 v3, v3, v6, v7
	v_or_b32_e32 v6, 34, v2
	v_or_b32_e32 v7, 35, v2
	v_cmp_gt_i32_e64 s[12:13], s29, v6
	v_cmp_gt_i32_e64 s[14:15], s29, v7
	s_nop 0
	v_cndmask_b32_e64 v6, v4, v24, s[12:13]
	v_cndmask_b32_e64 v7, v4, v25, s[14:15]
	v_max3_f32 v3, v3, v6, v7
	v_or_b32_e32 v6, 48, v2
	v_or_b32_e32 v7, 49, v2
	v_cmp_gt_i32_e64 s[8:9], s29, v6
	v_cmp_gt_i32_e64 s[10:11], s29, v7
	s_nop 0
	v_cndmask_b32_e64 v6, v4, v22, s[8:9]
	v_cndmask_b32_e64 v7, v4, v23, s[10:11]
	v_max3_f32 v3, v3, v6, v7
	v_or_b32_e32 v6, 50, v2
	v_or_b32_e32 v2, 51, v2
	v_cmp_gt_i32_e32 vcc, s29, v6
	v_cmp_gt_i32_e64 s[6:7], s29, v2
	s_nop 0
	v_cndmask_b32_e32 v6, v4, v20, vcc
	v_cndmask_b32_e64 v2, v4, v21, s[6:7]
	v_max3_f32 v4, v3, v6, v2
	v_mbcnt_lo_u32_b32 v2, -1, 0
	v_mbcnt_hi_u32_b32 v6, -1, v2
	v_and_b32_e32 v2, 64, v6
	v_add_u32_e32 v7, 64, v2
	v_xor_b32_e32 v2, 32, v6
	v_cmp_lt_i32_e64 s[40:41], v2, v7
	s_nop 1
	v_cndmask_b32_e64 v2, v6, v2, s[40:41]
	v_lshlrev_b32_e32 v44, 2, v2
	ds_bpermute_b32 v8, v44, v4
	s_waitcnt vmcnt(2)
	v_mad_i64_i32 v[2:3], s[40:41], v47, s45, v[18:19]
	global_load_dwordx4 v[14:17], v[30:31], off
	global_load_dwordx4 v[10:13], v[2:3], off
	v_xor_b32_e32 v3, 16, v6
	v_cmp_lt_i32_e64 s[40:41], v3, v7
	s_waitcnt lgkmcnt(0)
	v_max_f32_e32 v2, v8, v8
	v_max_f32_e32 v2, v4, v2
	v_cndmask_b32_e64 v3, v6, v3, s[40:41]
	v_lshlrev_b32_e32 v47, 2, v3
	ds_bpermute_b32 v3, v47, v2
	s_waitcnt vmcnt(3)
	v_mad_i64_i32 v[30:31], s[40:41], v45, s45, v[18:19]
	s_waitcnt vmcnt(2)
	v_mad_i64_i32 v[18:19], s[40:41], v46, s45, v[18:19]
	s_waitcnt lgkmcnt(0)
	v_max_f32_e32 v3, v3, v3
	v_max_f32_e32 v34, v2, v3
	v_sub_f32_e32 v2, v5, v34
	v_mul_f32_e32 v2, 0x3fb8aa3b, v2
	v_exp_f32_e32 v38, v2
	v_sub_f32_e32 v2, v39, v34
	v_mul_f32_e32 v2, 0x3fb8aa3b, v2
	v_exp_f32_e32 v39, v2
	global_load_dwordx4 v[6:9], v[30:31], off
	global_load_dwordx4 v[2:5], v[18:19], off
	v_sub_f32_e32 v31, v32, v34
	v_sub_f32_e32 v32, v33, v34
	v_mul_f32_e32 v31, 0x3fb8aa3b, v31
	v_mul_f32_e32 v32, 0x3fb8aa3b, v32
	v_exp_f32_e32 v31, v31
	v_exp_f32_e32 v32, v32
	v_cndmask_b32_e64 v18, 0, v38, s[4:5]
	v_cndmask_b32_e64 v19, 0, v39, s[34:35]
	;; [unrolled: 1-line block ×4, first 2 shown]
	v_sub_f32_e32 v31, v40, v34
	v_sub_f32_e32 v32, v41, v34
	v_mul_f32_e32 v31, 0x3fb8aa3b, v31
	v_mul_f32_e32 v32, 0x3fb8aa3b, v32
	v_exp_f32_e32 v31, v31
	v_exp_f32_e32 v32, v32
	v_add_f32_e32 v30, 0, v18
	v_add_f32_e32 v30, v30, v19
	;; [unrolled: 1-line block ×4, first 2 shown]
	v_cndmask_b32_e64 v30, 0, v31, s[24:25]
	v_cndmask_b32_e64 v31, 0, v32, s[26:27]
	v_sub_f32_e32 v32, v36, v34
	v_mul_f32_e32 v32, 0x3fb8aa3b, v32
	v_exp_f32_e32 v32, v32
	v_sub_f32_e32 v36, v37, v34
	v_add_f32_e32 v33, v33, v30
	v_mul_f32_e32 v36, 0x3fb8aa3b, v36
	v_exp_f32_e32 v37, v36
	v_add_f32_e32 v33, v33, v31
	v_cndmask_b32_e64 v36, 0, v32, s[20:21]
	v_add_f32_e32 v32, v33, v36
	v_sub_f32_e32 v33, v48, v34
	v_mul_f32_e32 v33, 0x3fb8aa3b, v33
	v_sub_f32_e32 v35, v35, v34
	v_exp_f32_e32 v33, v33
	v_mul_f32_e32 v35, 0x3fb8aa3b, v35
	v_sub_f32_e32 v24, v24, v34
	v_exp_f32_e32 v35, v35
	;; [unrolled: 3-line block ×3, first 2 shown]
	v_mul_f32_e32 v25, 0x3fb8aa3b, v25
	v_sub_f32_e32 v22, v22, v34
	v_cndmask_b32_e64 v37, 0, v37, s[22:23]
	v_exp_f32_e32 v25, v25
	v_mul_f32_e32 v22, 0x3fb8aa3b, v22
	v_sub_f32_e32 v23, v23, v34
	v_add_f32_e32 v40, v32, v37
	v_cndmask_b32_e64 v32, 0, v33, s[16:17]
	v_exp_f32_e32 v22, v22
	v_mul_f32_e32 v23, 0x3fb8aa3b, v23
	v_sub_f32_e32 v20, v20, v34
	v_add_f32_e32 v40, v40, v32
	;; [unrolled: 5-line block ×3, first 2 shown]
	v_cndmask_b32_e64 v24, 0, v24, s[12:13]
	v_exp_f32_e32 v20, v20
	v_mul_f32_e32 v21, 0x3fb8aa3b, v21
	v_add_f32_e32 v35, v35, v24
	v_cndmask_b32_e64 v25, 0, v25, s[14:15]
	v_exp_f32_e32 v21, v21
	v_add_f32_e32 v35, v35, v25
	v_cndmask_b32_e64 v22, 0, v22, s[8:9]
	v_add_f32_e32 v35, v35, v22
	v_cndmask_b32_e64 v23, 0, v23, s[10:11]
	v_add_f32_e32 v35, v35, v23
	v_cndmask_b32_e32 v20, 0, v20, vcc
	v_add_f32_e32 v35, v35, v20
	v_cndmask_b32_e64 v21, 0, v21, s[6:7]
	v_add_f32_e32 v35, v35, v21
	ds_bpermute_b32 v40, v44, v35
	s_load_dword s9, s[0:1], 0x98
	v_cmp_gt_u32_e64 s[6:7], 16, v43
	s_waitcnt lgkmcnt(0)
	s_barrier
	v_add_f32_e32 v40, v35, v40
	ds_bpermute_b32 v41, v47, v40
	v_lshlrev_b32_e32 v35, 2, v28
	s_waitcnt lgkmcnt(0)
	s_and_saveexec_b64 s[4:5], s[6:7]
	s_cbranch_execz .LBB896_15
; %bb.14:
	v_add_f32_e32 v40, v40, v41
	v_lshl_or_b32 v41, v29, 6, v35
	ds_write2st64_b32 v41, v34, v40 offset1:1
.LBB896_15:
	s_or_b64 exec, exec, s[4:5]
	s_load_dword s8, s[0:1], 0x94
	s_waitcnt lgkmcnt(0)
	s_barrier
	ds_read2_b32 v[40:41], v35 offset1:16
	ds_read2_b32 v[44:45], v35 offset0:32 offset1:48
	ds_read2_b32 v[46:47], v35 offset0:64 offset1:80
	s_mul_i32 s9, s9, 9
	s_waitcnt lgkmcnt(2)
	v_max3_f32 v34, v40, s33, v41
	s_waitcnt lgkmcnt(1)
	v_max3_f32 v34, v34, v44, v45
	v_sub_f32_e32 v40, v40, v34
	v_mul_f32_e32 v40, 0x3fb8aa3b, v40
	v_exp_f32_e32 v43, v40
	v_sub_f32_e32 v40, v41, v34
	v_mul_f32_e32 v40, 0x3fb8aa3b, v40
	v_exp_f32_e32 v48, v40
	;; [unrolled: 3-line block ×3, first 2 shown]
	ds_read2_b32 v[40:41], v35 offset0:96 offset1:112
	v_sub_f32_e32 v35, v45, v34
	v_mul_f32_e32 v35, 0x3fb8aa3b, v35
	v_exp_f32_e32 v45, v35
	s_waitcnt lgkmcnt(1)
	v_fma_f32 v35, v43, v46, 0
	v_fmac_f32_e32 v35, v48, v47
	s_waitcnt lgkmcnt(0)
	v_fmac_f32_e32 v35, v44, v40
	v_fmac_f32_e32 v35, v45, v41
	v_add_f32_e32 v40, 0x358637bd, v35
	v_div_scale_f32 v41, s[4:5], v40, v40, 1.0
	v_rcp_f32_e32 v46, v41
	s_barrier
	v_fma_f32 v47, -v41, v46, 1.0
	v_fmac_f32_e32 v46, v47, v46
	v_div_scale_f32 v47, vcc, 1.0, v40, 1.0
	v_mul_f32_e32 v49, v47, v46
	v_fma_f32 v50, -v41, v49, v47
	v_fmac_f32_e32 v49, v50, v46
	v_fma_f32 v41, -v41, v49, v47
	v_div_fmas_f32 v41, v41, v46, v49
	v_cmp_eq_u32_e32 vcc, 1, v29
	v_div_fixup_f32 v40, v41, v40, 1.0
	s_nop 0
	v_cndmask_b32_e32 v41, v43, v48, vcc
	v_cmp_eq_u32_e32 vcc, 2, v29
	s_nop 1
	v_cndmask_b32_e32 v41, v41, v44, vcc
	v_cmp_eq_u32_e32 vcc, 3, v29
	s_nop 1
	v_cndmask_b32_e32 v41, v41, v45, vcc
	v_mul_f32_e32 v40, v41, v40
	v_pk_mul_f32 v[38:39], v[40:41], v[38:39] op_sel_hi:[0,1]
	v_pk_mul_f32 v[18:19], v[40:41], v[18:19] op_sel_hi:[0,1]
	v_cvt_f16_f32_e32 v41, v38
	v_cvt_f16_f32_e32 v39, v39
	;; [unrolled: 1-line block ×4, first 2 shown]
	v_cmp_gt_u32_e32 vcc, 9, v0
	v_pack_b32_f16 v39, v41, v39
	v_lshlrev_b32_e32 v41, 3, v42
	v_pack_b32_f16 v38, v18, v19
	v_pk_mul_f32 v[18:19], v[40:41], v[36:37] op_sel_hi:[0,1]
	v_pk_mul_f32 v[30:31], v[40:41], v[30:31] op_sel_hi:[0,1]
	v_cvt_f16_f32_e32 v30, v30
	v_cvt_f16_f32_e32 v31, v31
	v_cvt_f16_f32_e32 v36, v18
	v_cvt_f16_f32_e32 v19, v19
	v_lshlrev_b32_e32 v18, 11, v29
	v_or3_b32 v18, v18, v27, v41
	v_pack_b32_f16 v30, v30, v31
	v_pack_b32_f16 v31, v36, v19
	ds_write2st64_b64 v18, v[38:39], v[30:31] offset1:1
	v_pk_mul_f32 v[24:25], v[40:41], v[24:25] op_sel_hi:[0,1]
	v_pk_mul_f32 v[30:31], v[40:41], v[32:33] op_sel_hi:[0,1]
	;; [unrolled: 1-line block ×4, first 2 shown]
	v_cvt_f16_f32_e32 v19, v30
	v_cvt_f16_f32_e32 v29, v31
	;; [unrolled: 1-line block ×8, first 2 shown]
	v_pack_b32_f16 v20, v19, v29
	v_pack_b32_f16 v21, v24, v25
	;; [unrolled: 1-line block ×4, first 2 shown]
	ds_write2st64_b64 v18, v[20:21], v[22:23] offset0:2 offset1:3
	s_and_saveexec_b64 s[4:5], vcc
	s_cbranch_execz .LBB896_17
; %bb.16:
	s_mov_b32 s49, 0
	v_mov_b32_e32 v29, 0
	v_lshl_add_u64 v[20:21], s[48:49], 0, v[28:29]
	v_mov_b32_e32 v19, s9
	v_mad_u64_u32 v[20:21], s[10:11], s2, v19, v[20:21]
	s_mul_i32 s3, s3, s9
	v_mov_b32_e32 v28, s28
	s_load_dwordx4 s[12:15], s[0:1], 0x58
	v_add_u32_e32 v19, s3, v21
	v_mad_u64_u32 v[20:21], s[10:11], v20, s8, v[28:29]
	v_mov_b32_e32 v22, v21
	v_mad_u64_u32 v[22:23], s[10:11], v19, s8, v[22:23]
	v_mov_b32_e32 v21, v22
	v_lshlrev_b64 v[20:21], 2, v[20:21]
	s_waitcnt lgkmcnt(0)
	v_lshl_add_u64 v[22:23], s[14:15], 0, v[20:21]
	v_lshl_add_u64 v[20:21], s[12:13], 0, v[20:21]
	global_store_dword v[22:23], v34, off
	global_store_dword v[20:21], v35, off
.LBB896_17:
	s_or_b64 exec, exec, s[4:5]
	s_waitcnt vmcnt(3)
	v_cvt_pk_f32_fp8_e32 v[20:21], v14
	v_cvt_pk_f32_fp8_sdwa v[22:23], v14 src0_sel:WORD_1
	v_lshl_or_b32 v14, v42, 9, v27
	s_waitcnt lgkmcnt(0)
	s_barrier
	v_cvt_pk_f32_fp8_e32 v[24:25], v15
	v_cvt_pkrtz_f16_f32 v32, v20, v21
	v_cvt_pkrtz_f16_f32 v33, v22, v23
	v_cvt_pk_f32_fp8_sdwa v[28:29], v15 src0_sel:WORD_1
	ds_read_b128 v[20:23], v14
	v_cvt_pkrtz_f16_f32 v24, v24, v25
	v_cvt_pk_f32_fp8_e32 v[36:37], v16
	v_cvt_pkrtz_f16_f32 v25, v28, v29
	ds_read_b128 v[28:31], v14 offset:16
	v_cvt_pk_f32_fp8_sdwa v[38:39], v16 src0_sel:WORD_1
	s_waitcnt lgkmcnt(1)
	v_mfma_f32_16x16x16_f16 v[32:35], v[32:33], v[20:21], 0
	v_cvt_pkrtz_f16_f32 v36, v36, v37
	s_load_dword s4, s[42:43], 0x0
	v_cvt_pkrtz_f16_f32 v37, v38, v39
	v_cvt_pk_f32_fp8_e32 v[38:39], v17
	v_cvt_pk_f32_fp8_sdwa v[16:17], v17 src0_sel:WORD_1
	v_mfma_f32_16x16x16_f16 v[20:23], v[24:25], v[22:23], v[32:35]
	v_cmp_gt_u32_e32 vcc, 64, v0
	v_cvt_pkrtz_f16_f32 v24, v38, v39
	v_cvt_pkrtz_f16_f32 v25, v16, v17
	s_waitcnt lgkmcnt(0)
	v_mfma_f32_16x16x16_f16 v[20:23], v[36:37], v[28:29], v[20:23]
	s_waitcnt vmcnt(2)
	v_cvt_pk_f32_fp8_e32 v[16:17], v10
	v_cvt_pk_f32_fp8_e32 v[28:29], v11
	v_cvt_pk_f32_fp8_sdwa v[36:37], v12 src0_sel:WORD_1
	v_mfma_f32_16x16x16_f16 v[20:23], v[24:25], v[30:31], v[20:23]
	v_cvt_pk_f32_fp8_sdwa v[24:25], v10 src0_sel:WORD_1
	v_cvt_pkrtz_f16_f32 v10, v16, v17
	v_cvt_pk_f32_fp8_sdwa v[16:17], v11 src0_sel:WORD_1
	ds_read_b128 v[32:35], v14 offset:2064
	v_cvt_pkrtz_f16_f32 v11, v24, v25
	v_cvt_pkrtz_f16_f32 v24, v28, v29
	ds_read_b128 v[28:31], v14 offset:2048
	v_cvt_pkrtz_f16_f32 v25, v16, v17
	v_cvt_pk_f32_fp8_e32 v[16:17], v12
	s_waitcnt lgkmcnt(0)
	v_mfma_f32_16x16x16_f16 v[20:23], v[10:11], v[28:29], v[20:23]
	v_cvt_pkrtz_f16_f32 v10, v16, v17
	v_cvt_pkrtz_f16_f32 v11, v36, v37
	v_cvt_pk_f32_fp8_e32 v[16:17], v13
	v_mfma_f32_16x16x16_f16 v[20:23], v[24:25], v[30:31], v[20:23]
	v_cvt_pk_f32_fp8_sdwa v[24:25], v13 src0_sel:WORD_1
	ds_read_b128 v[28:31], v14 offset:4112
	v_cvt_pkrtz_f16_f32 v16, v16, v17
	v_mfma_f32_16x16x16_f16 v[10:13], v[10:11], v[32:33], v[20:23]
	v_cvt_pkrtz_f16_f32 v17, v24, v25
	s_waitcnt vmcnt(1)
	v_cvt_pk_f32_fp8_sdwa v[24:25], v7 src0_sel:WORD_1
	v_cvt_pk_f32_fp8_sdwa v[32:33], v8 src0_sel:WORD_1
	v_cvt_pk_f32_fp8_e32 v[20:21], v6
	v_mfma_f32_16x16x16_f16 v[10:13], v[16:17], v[34:35], v[10:13]
	v_cvt_pk_f32_fp8_sdwa v[16:17], v6 src0_sel:WORD_1
	v_cvt_pk_f32_fp8_e32 v[22:23], v7
	v_cvt_pkrtz_f16_f32 v6, v20, v21
	s_mov_b32 s3, 0
	v_cvt_pkrtz_f16_f32 v7, v16, v17
	v_cvt_pkrtz_f16_f32 v16, v22, v23
	ds_read_b128 v[20:23], v14 offset:4096
	v_cvt_pkrtz_f16_f32 v17, v24, v25
	v_cvt_pk_f32_fp8_e32 v[24:25], v8
	s_waitcnt lgkmcnt(0)
	v_mfma_f32_16x16x16_f16 v[10:13], v[6:7], v[20:21], v[10:13]
	v_cvt_pkrtz_f16_f32 v6, v24, v25
	v_cvt_pkrtz_f16_f32 v7, v32, v33
	v_cvt_pk_f32_fp8_e32 v[20:21], v9
	v_mfma_f32_16x16x16_f16 v[10:13], v[16:17], v[22:23], v[10:13]
	v_cvt_pk_f32_fp8_sdwa v[16:17], v9 src0_sel:WORD_1
	s_waitcnt vmcnt(0)
	v_cvt_pk_f32_fp8_sdwa v[24:25], v4 src0_sel:WORD_1
	v_cvt_pkrtz_f16_f32 v20, v20, v21
	v_mfma_f32_16x16x16_f16 v[6:9], v[6:7], v[28:29], v[10:13]
	v_cvt_pkrtz_f16_f32 v21, v16, v17
	v_cvt_pk_f32_fp8_e32 v[16:17], v3
	v_mov_b32_e32 v27, 0
	v_cvt_pk_f32_fp8_e32 v[10:11], v2
	v_cvt_pk_f32_fp8_sdwa v[12:13], v2 src0_sel:WORD_1
	v_mfma_f32_16x16x16_f16 v[6:9], v[20:21], v[30:31], v[6:9]
	v_cvt_pk_f32_fp8_sdwa v[20:21], v3 src0_sel:WORD_1
	v_cvt_pkrtz_f16_f32 v2, v10, v11
	v_cvt_pkrtz_f16_f32 v3, v12, v13
	ds_read_b128 v[10:13], v14 offset:6144
	v_cvt_pkrtz_f16_f32 v22, v16, v17
	v_cvt_pkrtz_f16_f32 v23, v20, v21
	v_cvt_pk_f32_fp8_e32 v[20:21], v4
	s_waitcnt lgkmcnt(0)
	v_mfma_f32_16x16x16_f16 v[6:9], v[2:3], v[10:11], v[6:9]
	ds_read_b128 v[14:17], v14 offset:6160
	v_cvt_pkrtz_f16_f32 v2, v20, v21
	v_cvt_pkrtz_f16_f32 v3, v24, v25
	v_cvt_pk_f32_fp8_e32 v[10:11], v5
	v_mfma_f32_16x16x16_f16 v[6:9], v[22:23], v[12:13], v[6:9]
	v_cvt_pk_f32_fp8_sdwa v[12:13], v5 src0_sel:WORD_1
	s_waitcnt lgkmcnt(0)
	v_cvt_pkrtz_f16_f32 v10, v10, v11
	v_mfma_f32_16x16x16_f16 v[2:5], v[2:3], v[14:15], v[6:9]
	v_cvt_pkrtz_f16_f32 v11, v12, v13
	s_barrier
	s_nop 0
	v_mfma_f32_16x16x16_f16 v[2:5], v[10:11], v[16:17], v[2:5]
	s_nop 6
	v_pk_mul_f32 v[4:5], v[4:5], s[4:5] op_sel_hi:[1,0]
	v_pk_mul_f32 v[2:3], v[2:3], s[4:5] op_sel_hi:[1,0]
	v_cvt_f16_f32_e32 v4, v4
	v_cvt_f16_f32_e32 v2, v2
	;; [unrolled: 1-line block ×4, first 2 shown]
	s_and_b64 s[4:5], vcc, s[30:31]
	v_pack_b32_f16 v2, v2, v3
	v_pack_b32_f16 v3, v4, v5
	ds_write_b64 v18, v[2:3]
	s_waitcnt lgkmcnt(0)
	s_barrier
	s_and_saveexec_b64 s[10:11], s[4:5]
	s_cbranch_execz .LBB896_20
; %bb.18:
	s_load_dwordx2 s[4:5], s[0:1], 0x68
	s_lshl_b32 s0, s8, 6
	s_mul_i32 s1, s9, s2
	s_mul_hi_u32 s9, s1, s0
	s_mul_i32 s8, s1, s0
	v_lshlrev_b32_e32 v0, 10, v0
	s_lshl_b64 s[8:9], s[8:9], 1
	v_and_b32_e32 v0, 0x1800, v0
	v_lshlrev_b32_e32 v2, 5, v42
	v_and_b32_e32 v1, 16, v1
	s_waitcnt lgkmcnt(0)
	s_add_u32 s1, s4, s8
	v_or3_b32 v2, v0, v2, v1
	s_addc_u32 s4, s5, s9
	s_lshl_b32 s2, s28, 6
	s_lshl_b64 s[2:3], s[2:3], 1
	ds_read_b128 v[4:7], v2 offset:128
	ds_read_b128 v[8:11], v2
	s_add_u32 s2, s1, s2
	s_addc_u32 s3, s4, s3
	v_add_u32_e32 v3, s48, v42
	v_lshl_add_u64 v[0:1], s[2:3], 0, v[26:27]
	v_mad_u64_u32 v[12:13], s[2:3], v3, s0, 0
	v_lshl_add_u64 v[12:13], v[12:13], 1, v[0:1]
	v_add_u32_e32 v3, 4, v3
	s_waitcnt lgkmcnt(0)
	global_store_dwordx4 v[12:13], v[8:11], off
	s_nop 1
	v_mad_u64_u32 v[8:9], s[2:3], v3, s0, 0
	v_lshl_add_u64 v[8:9], v[8:9], 1, v[0:1]
	global_store_dwordx4 v[8:9], v[4:7], off
	s_and_b64 exec, exec, s[6:7]
	s_cbranch_execz .LBB896_20
; %bb.19:
	ds_read_b128 v[2:5], v2 offset:256
	v_add3_u32 v6, s48, v42, 8
	v_mad_u64_u32 v[6:7], s[0:1], v6, s0, 0
	v_lshl_add_u64 v[0:1], v[6:7], 1, v[0:1]
	s_waitcnt lgkmcnt(0)
	global_store_dwordx4 v[0:1], v[2:5], off
.LBB896_20:
	s_endpgm
	.section	.rodata,"a",@progbits
	.p2align	6, 0x0
	.amdhsa_kernel _Z39paged_attention_ll4mi_QKV_mfma16_kernelIDF16_hLN4vllm18Fp8KVCacheDataTypeE1EDF16_Li32ELi64ELi256ELb1ELi9EEvPKT_PKT0_S7_ifPKiS9_S9_iPKfiiiPfSC_PS2_PT2_iSB_SB_
		.amdhsa_group_segment_fixed_size 8192
		.amdhsa_private_segment_fixed_size 0
		.amdhsa_kernarg_size 400
		.amdhsa_user_sgpr_count 2
		.amdhsa_user_sgpr_dispatch_ptr 0
		.amdhsa_user_sgpr_queue_ptr 0
		.amdhsa_user_sgpr_kernarg_segment_ptr 1
		.amdhsa_user_sgpr_dispatch_id 0
		.amdhsa_user_sgpr_kernarg_preload_length 0
		.amdhsa_user_sgpr_kernarg_preload_offset 0
		.amdhsa_user_sgpr_private_segment_size 0
		.amdhsa_uses_dynamic_stack 0
		.amdhsa_enable_private_segment 0
		.amdhsa_system_sgpr_workgroup_id_x 1
		.amdhsa_system_sgpr_workgroup_id_y 1
		.amdhsa_system_sgpr_workgroup_id_z 1
		.amdhsa_system_sgpr_workgroup_info 0
		.amdhsa_system_vgpr_workitem_id 0
		.amdhsa_next_free_vgpr 71
		.amdhsa_next_free_sgpr 50
		.amdhsa_accum_offset 72
		.amdhsa_reserve_vcc 1
		.amdhsa_float_round_mode_32 0
		.amdhsa_float_round_mode_16_64 0
		.amdhsa_float_denorm_mode_32 3
		.amdhsa_float_denorm_mode_16_64 3
		.amdhsa_dx10_clamp 1
		.amdhsa_ieee_mode 1
		.amdhsa_fp16_overflow 0
		.amdhsa_tg_split 0
		.amdhsa_exception_fp_ieee_invalid_op 0
		.amdhsa_exception_fp_denorm_src 0
		.amdhsa_exception_fp_ieee_div_zero 0
		.amdhsa_exception_fp_ieee_overflow 0
		.amdhsa_exception_fp_ieee_underflow 0
		.amdhsa_exception_fp_ieee_inexact 0
		.amdhsa_exception_int_div_zero 0
	.end_amdhsa_kernel
	.section	.text._Z39paged_attention_ll4mi_QKV_mfma16_kernelIDF16_hLN4vllm18Fp8KVCacheDataTypeE1EDF16_Li32ELi64ELi256ELb1ELi9EEvPKT_PKT0_S7_ifPKiS9_S9_iPKfiiiPfSC_PS2_PT2_iSB_SB_,"axG",@progbits,_Z39paged_attention_ll4mi_QKV_mfma16_kernelIDF16_hLN4vllm18Fp8KVCacheDataTypeE1EDF16_Li32ELi64ELi256ELb1ELi9EEvPKT_PKT0_S7_ifPKiS9_S9_iPKfiiiPfSC_PS2_PT2_iSB_SB_,comdat
.Lfunc_end896:
	.size	_Z39paged_attention_ll4mi_QKV_mfma16_kernelIDF16_hLN4vllm18Fp8KVCacheDataTypeE1EDF16_Li32ELi64ELi256ELb1ELi9EEvPKT_PKT0_S7_ifPKiS9_S9_iPKfiiiPfSC_PS2_PT2_iSB_SB_, .Lfunc_end896-_Z39paged_attention_ll4mi_QKV_mfma16_kernelIDF16_hLN4vllm18Fp8KVCacheDataTypeE1EDF16_Li32ELi64ELi256ELb1ELi9EEvPKT_PKT0_S7_ifPKiS9_S9_iPKfiiiPfSC_PS2_PT2_iSB_SB_
                                        ; -- End function
	.section	.AMDGPU.csdata,"",@progbits
; Kernel info:
; codeLenInByte = 4972
; NumSgprs: 56
; NumVgprs: 71
; NumAgprs: 0
; TotalNumVgprs: 71
; ScratchSize: 0
; MemoryBound: 0
; FloatMode: 240
; IeeeMode: 1
; LDSByteSize: 8192 bytes/workgroup (compile time only)
; SGPRBlocks: 6
; VGPRBlocks: 8
; NumSGPRsForWavesPerEU: 56
; NumVGPRsForWavesPerEU: 71
; AccumOffset: 72
; Occupancy: 7
; WaveLimiterHint : 1
; COMPUTE_PGM_RSRC2:SCRATCH_EN: 0
; COMPUTE_PGM_RSRC2:USER_SGPR: 2
; COMPUTE_PGM_RSRC2:TRAP_HANDLER: 0
; COMPUTE_PGM_RSRC2:TGID_X_EN: 1
; COMPUTE_PGM_RSRC2:TGID_Y_EN: 1
; COMPUTE_PGM_RSRC2:TGID_Z_EN: 1
; COMPUTE_PGM_RSRC2:TIDIG_COMP_CNT: 0
; COMPUTE_PGM_RSRC3_GFX90A:ACCUM_OFFSET: 17
; COMPUTE_PGM_RSRC3_GFX90A:TG_SPLIT: 0
	.section	.text._Z39paged_attention_ll4mi_QKV_mfma16_kernelIDF16_hLN4vllm18Fp8KVCacheDataTypeE1EDF16_Li32ELi64ELi256ELb1ELi10EEvPKT_PKT0_S7_ifPKiS9_S9_iPKfiiiPfSC_PS2_PT2_iSB_SB_,"axG",@progbits,_Z39paged_attention_ll4mi_QKV_mfma16_kernelIDF16_hLN4vllm18Fp8KVCacheDataTypeE1EDF16_Li32ELi64ELi256ELb1ELi10EEvPKT_PKT0_S7_ifPKiS9_S9_iPKfiiiPfSC_PS2_PT2_iSB_SB_,comdat
	.protected	_Z39paged_attention_ll4mi_QKV_mfma16_kernelIDF16_hLN4vllm18Fp8KVCacheDataTypeE1EDF16_Li32ELi64ELi256ELb1ELi10EEvPKT_PKT0_S7_ifPKiS9_S9_iPKfiiiPfSC_PS2_PT2_iSB_SB_ ; -- Begin function _Z39paged_attention_ll4mi_QKV_mfma16_kernelIDF16_hLN4vllm18Fp8KVCacheDataTypeE1EDF16_Li32ELi64ELi256ELb1ELi10EEvPKT_PKT0_S7_ifPKiS9_S9_iPKfiiiPfSC_PS2_PT2_iSB_SB_
	.globl	_Z39paged_attention_ll4mi_QKV_mfma16_kernelIDF16_hLN4vllm18Fp8KVCacheDataTypeE1EDF16_Li32ELi64ELi256ELb1ELi10EEvPKT_PKT0_S7_ifPKiS9_S9_iPKfiiiPfSC_PS2_PT2_iSB_SB_
	.p2align	8
	.type	_Z39paged_attention_ll4mi_QKV_mfma16_kernelIDF16_hLN4vllm18Fp8KVCacheDataTypeE1EDF16_Li32ELi64ELi256ELb1ELi10EEvPKT_PKT0_S7_ifPKiS9_S9_iPKfiiiPfSC_PS2_PT2_iSB_SB_,@function
_Z39paged_attention_ll4mi_QKV_mfma16_kernelIDF16_hLN4vllm18Fp8KVCacheDataTypeE1EDF16_Li32ELi64ELi256ELb1ELi10EEvPKT_PKT0_S7_ifPKiS9_S9_iPKfiiiPfSC_PS2_PT2_iSB_SB_: ; @_Z39paged_attention_ll4mi_QKV_mfma16_kernelIDF16_hLN4vllm18Fp8KVCacheDataTypeE1EDF16_Li32ELi64ELi256ELb1ELi10EEvPKT_PKT0_S7_ifPKiS9_S9_iPKfiiiPfSC_PS2_PT2_iSB_SB_
; %bb.0:
	s_load_dwordx2 s[6:7], s[0:1], 0x30
	s_mov_b32 s28, s3
	s_mov_b64 s[8:9], 0
	s_waitcnt lgkmcnt(0)
	s_cmp_lg_u64 s[6:7], 0
	s_cselect_b64 s[10:11], -1, 0
	s_and_b64 vcc, exec, s[10:11]
	s_cbranch_vccz .LBB897_7
; %bb.1:
	s_add_i32 s12, s2, 1
	s_mov_b32 s13, 0
	s_lshl_b64 s[14:15], s[12:13], 2
	s_add_u32 s14, s6, s14
	s_mov_b32 s3, s13
	s_addc_u32 s15, s7, s15
	s_lshl_b64 s[12:13], s[2:3], 2
	s_add_u32 s12, s6, s12
	s_addc_u32 s13, s7, s13
	s_load_dword s5, s[14:15], 0x0
	s_load_dword s16, s[12:13], 0x0
	s_waitcnt lgkmcnt(0)
	s_sub_i32 s5, s5, s16
	s_cmp_eq_u32 s5, 1
	s_cselect_b64 s[12:13], -1, 0
	s_andn2_b64 vcc, exec, s[8:9]
	s_cbranch_vccnz .LBB897_3
.LBB897_2:
	s_mov_b32 s3, 0
	s_mov_b64 s[12:13], -1
.LBB897_3:
	s_andn2_b64 vcc, exec, s[12:13]
	s_cbranch_vccnz .LBB897_20
; %bb.4:
	s_load_dwordx2 s[8:9], s[0:1], 0x28
	s_lshl_b64 s[12:13], s[2:3], 2
	s_waitcnt lgkmcnt(0)
	s_add_u32 s8, s8, s12
	s_addc_u32 s9, s9, s13
	s_load_dword s29, s[8:9], 0x0
	s_lshl_b32 s16, s28, 8
	s_waitcnt lgkmcnt(0)
	s_cmp_ge_i32 s16, s29
	s_cbranch_scc1 .LBB897_20
; %bb.5:
	s_load_dwordx2 s[8:9], s[0:1], 0x20
	s_load_dword s5, s[0:1], 0x38
	s_add_i32 s14, s29, 31
	s_ashr_i32 s15, s14, 31
	v_and_b32_e32 v1, 0xcf, v0
	s_lshr_b32 s15, s15, 27
	v_add_u32_e32 v1, s16, v1
	s_add_i32 s14, s14, s15
	v_ashrrev_i32_e32 v2, 31, v1
	s_ashr_i32 s17, s14, 5
	v_lshrrev_b32_e32 v4, 27, v2
	s_add_i32 s17, s17, -1
	s_waitcnt lgkmcnt(0)
	s_mul_i32 s14, s2, s5
	s_mov_b32 s15, 0
	v_add_u32_e32 v2, v1, v4
	s_lshl_b64 s[14:15], s[14:15], 2
	v_ashrrev_i32_e32 v2, 5, v2
	v_mov_b32_e32 v5, s17
	v_cmp_gt_i32_e32 vcc, s29, v1
	s_add_u32 s8, s8, s14
	s_addc_u32 s9, s9, s15
	v_cndmask_b32_e32 v2, v5, v2, vcc
	v_ashrrev_i32_e32 v3, 31, v2
	v_lshl_add_u64 v[6:7], v[2:3], 2, s[8:9]
	v_or_b32_e32 v2, 16, v1
	v_add_u32_e32 v3, v2, v4
	v_ashrrev_i32_e32 v3, 5, v3
	v_cmp_gt_i32_e32 vcc, s29, v2
	s_load_dwordx2 s[14:15], s[0:1], 0x8
	s_nop 0
	v_cndmask_b32_e32 v2, v5, v3, vcc
	v_ashrrev_i32_e32 v3, 31, v2
	v_lshl_add_u64 v[8:9], v[2:3], 2, s[8:9]
	v_or_b32_e32 v2, 32, v1
	v_add_u32_e32 v3, v2, v4
	v_ashrrev_i32_e32 v3, 5, v3
	v_cmp_gt_i32_e32 vcc, s29, v2
	v_or_b32_e32 v1, 48, v1
	s_nop 0
	v_cndmask_b32_e32 v2, v5, v3, vcc
	v_ashrrev_i32_e32 v3, 31, v2
	v_lshl_add_u64 v[10:11], v[2:3], 2, s[8:9]
	v_add_u32_e32 v2, v1, v4
	v_ashrrev_i32_e32 v2, 5, v2
	v_cmp_gt_i32_e32 vcc, s29, v1
	s_nop 1
	v_cndmask_b32_e32 v2, v5, v2, vcc
	v_ashrrev_i32_e32 v3, 31, v2
	v_lshl_add_u64 v[12:13], v[2:3], 2, s[8:9]
	global_load_dword v5, v[6:7], off
	global_load_dword v4, v[8:9], off
	;; [unrolled: 1-line block ×4, first 2 shown]
	s_andn2_b64 vcc, exec, s[10:11]
	s_cbranch_vccnz .LBB897_8
; %bb.6:
	s_add_u32 s6, s6, s12
	s_addc_u32 s7, s7, s13
	s_load_dword s5, s[6:7], 0x0
	s_branch .LBB897_9
.LBB897_7:
	s_mov_b64 s[12:13], 0
	s_branch .LBB897_2
.LBB897_8:
	s_mov_b32 s5, s2
.LBB897_9:
	s_load_dwordx2 s[10:11], s[0:1], 0x10
	s_load_dwordx4 s[44:47], s[0:1], 0x48
	v_lshrrev_b32_e32 v29, 6, v0
	v_bfe_u32 v42, v0, 4, 2
	v_lshl_or_b32 v6, v29, 2, v42
	v_and_b32_e32 v28, 15, v0
	v_lshlrev_b32_e32 v1, 3, v28
	v_cmp_gt_u32_e32 vcc, 10, v6
	v_cmp_gt_u32_e64 s[30:31], 8, v28
	s_mul_i32 s48, s4, 10
	s_and_b64 s[12:13], s[30:31], vcc
	v_lshlrev_b32_e32 v26, 1, v1
	v_lshlrev_b32_e32 v1, 4, v0
	s_and_saveexec_b64 s[6:7], s[12:13]
	s_cbranch_execz .LBB897_11
; %bb.10:
	s_load_dwordx2 s[12:13], s[0:1], 0x0
	s_waitcnt lgkmcnt(0)
	s_ashr_i32 s18, s44, 31
	s_mul_hi_u32 s19, s5, s44
	s_mul_i32 s18, s5, s18
	s_add_i32 s19, s19, s18
	s_mul_i32 s18, s5, s44
	s_lshl_b64 s[18:19], s[18:19], 1
	s_add_u32 s12, s12, s18
	v_add_lshl_u32 v8, v6, s48, 6
	s_addc_u32 s13, s13, s19
	v_ashrrev_i32_e32 v9, 31, v8
	v_lshl_add_u64 v[8:9], v[8:9], 1, s[12:13]
	v_mov_b32_e32 v27, 0
	v_lshl_add_u64 v[8:9], v[8:9], 0, v[26:27]
	global_load_dwordx4 v[8:11], v[8:9], off
	v_lshlrev_b32_e32 v12, 8, v28
	v_lshlrev_b32_e32 v6, 5, v6
	v_and_b32_e32 v7, 16, v1
	v_and_b32_e32 v12, 0xe00, v12
	v_or3_b32 v6, v12, v6, v7
	s_waitcnt vmcnt(0)
	ds_write_b128 v6, v[8:11]
.LBB897_11:
	s_or_b64 exec, exec, s[6:7]
	s_waitcnt lgkmcnt(0)
	s_mul_i32 s12, s4, s46
	s_add_u32 s4, s14, s12
	s_addc_u32 s5, s15, 0
	v_mov_b32_e32 v31, 0
	v_mov_b64_e32 v[6:7], s[4:5]
	v_lshlrev_b32_e32 v10, 4, v28
	v_and_b32_e32 v27, 48, v0
	s_waitcnt vmcnt(3)
	v_mad_i64_i32 v[8:9], s[4:5], v5, s45, v[6:7]
	v_mov_b32_e32 v11, v31
	s_waitcnt vmcnt(2)
	v_mad_i64_i32 v[4:5], s[4:5], v4, s45, v[6:7]
	v_or_b32_e32 v12, 0x100, v10
	v_mov_b32_e32 v13, v31
	v_lshlrev_b32_e32 v30, 5, v27
	v_lshl_add_u64 v[8:9], v[8:9], 0, v[10:11]
	v_lshl_add_u64 v[4:5], v[4:5], 0, v[12:13]
	;; [unrolled: 1-line block ×4, first 2 shown]
	s_barrier
	global_load_dwordx4 v[22:25], v[8:9], off
	global_load_dwordx4 v[18:21], v[4:5], off
	s_waitcnt vmcnt(3)
	v_mad_i64_i32 v[4:5], s[4:5], v3, s45, v[6:7]
	v_lshl_add_u64 v[4:5], v[4:5], 0, v[10:11]
	s_waitcnt vmcnt(2)
	v_mad_i64_i32 v[2:3], s[4:5], v2, s45, v[6:7]
	v_lshl_add_u64 v[4:5], v[4:5], 0, v[30:31]
	v_lshl_add_u64 v[2:3], v[2:3], 0, v[12:13]
	;; [unrolled: 1-line block ×3, first 2 shown]
	global_load_dwordx4 v[14:17], v[4:5], off
	global_load_dwordx4 v[6:9], v[2:3], off
	v_add_u32_e32 v2, -10, v28
	v_cmp_gt_u32_e32 vcc, 10, v28
	v_and_b32_e32 v43, 63, v0
	v_mov_b32_e32 v44, 0
	v_cndmask_b32_e32 v2, v2, v28, vcc
	v_lshlrev_b32_e32 v2, 5, v2
	v_lshl_add_u32 v2, v42, 9, v2
	ds_read_b128 v[10:13], v2
	ds_read_b128 v[2:5], v2 offset:16
	s_and_saveexec_b64 s[4:5], vcc
	s_cbranch_execz .LBB897_13
; %bb.12:
	s_load_dwordx2 s[6:7], s[0:1], 0x40
	v_add_u32_e32 v32, s48, v28
	v_ashrrev_i32_e32 v33, 31, v32
	s_waitcnt lgkmcnt(0)
	v_lshl_add_u64 v[32:33], v[32:33], 2, s[6:7]
	global_load_dword v44, v[32:33], off
.LBB897_13:
	s_or_b64 exec, exec, s[4:5]
	s_ashr_i32 s4, s16, 31
	v_or_b32_e32 v45, s16, v27
	s_lshr_b32 s13, s4, 27
	v_add_u32_e32 v27, s13, v45
	v_ashrrev_i32_e32 v27, 5, v27
	s_waitcnt vmcnt(3)
	v_cvt_pk_f32_fp8_e32 v[32:33], v22
	v_cvt_pk_f32_fp8_sdwa v[34:35], v22 src0_sel:WORD_1
	s_waitcnt vmcnt(2)
	v_cvt_pk_f32_fp8_e32 v[56:57], v20
	v_cvt_pk_f32_fp8_sdwa v[58:59], v20 src0_sel:WORD_1
	v_mov_b32_e32 v20, s17
	v_cmp_gt_i32_e32 vcc, s29, v45
	v_cvt_pk_f32_fp8_e32 v[48:49], v18
	v_cvt_pk_f32_fp8_sdwa v[50:51], v18 src0_sel:WORD_1
	v_cndmask_b32_e32 v18, v20, v27, vcc
	v_cvt_pk_f32_fp8_e32 v[52:53], v19
	v_cvt_pk_f32_fp8_sdwa v[54:55], v19 src0_sel:WORD_1
	v_ashrrev_i32_e32 v19, 31, v18
	v_lshl_add_u64 v[18:19], v[18:19], 2, s[8:9]
	v_cvt_pk_f32_fp8_e32 v[36:37], v23
	v_cvt_pk_f32_fp8_sdwa v[22:23], v23 src0_sel:WORD_1
	global_load_dword v70, v[18:19], off
	v_cvt_pkrtz_f16_f32 v18, v32, v33
	v_cvt_pkrtz_f16_f32 v19, v34, v35
	v_cvt_pk_f32_fp8_e32 v[60:61], v21
	v_cvt_pk_f32_fp8_sdwa v[62:63], v21 src0_sel:WORD_1
	v_or_b32_e32 v21, 64, v45
	v_or_b32_e32 v32, 0x80, v45
	;; [unrolled: 1-line block ×3, first 2 shown]
	v_cmp_gt_i32_e32 vcc, s29, v21
	v_add_u32_e32 v21, s13, v21
	v_cmp_gt_i32_e64 s[4:5], s29, v32
	v_add_u32_e32 v32, s13, v32
	v_cmp_gt_i32_e64 s[6:7], s29, v33
	v_add_u32_e32 v33, s13, v33
	v_cvt_pk_f32_fp8_e32 v[38:39], v24
	v_cvt_pk_f32_fp8_sdwa v[40:41], v24 src0_sel:WORD_1
	v_ashrrev_i32_e32 v21, 5, v21
	v_ashrrev_i32_e32 v34, 5, v32
	;; [unrolled: 1-line block ×3, first 2 shown]
	v_cvt_pkrtz_f16_f32 v32, v36, v37
	v_cvt_pkrtz_f16_f32 v33, v22, v23
	v_cndmask_b32_e32 v36, v20, v21, vcc
	v_cndmask_b32_e64 v64, v20, v34, s[4:5]
	v_cndmask_b32_e64 v66, v20, v35, s[6:7]
	s_waitcnt lgkmcnt(1)
	v_mfma_f32_16x16x16_f16 v[18:21], v[18:19], v[10:11], 0
	v_cvt_pk_f32_fp8_e32 v[46:47], v25
	v_cvt_pkrtz_f16_f32 v22, v48, v49
	v_cvt_pkrtz_f16_f32 v23, v50, v51
	v_cvt_pk_f32_fp8_sdwa v[24:25], v25 src0_sel:WORD_1
	v_cvt_pkrtz_f16_f32 v38, v38, v39
	v_cvt_pkrtz_f16_f32 v39, v40, v41
	v_mfma_f32_16x16x16_f16 v[32:35], v[32:33], v[12:13], v[18:21]
	s_add_u32 s10, s10, s12
	v_and_b32_e32 v30, 16, v0
	v_lshlrev_b32_e32 v27, 5, v28
	s_addc_u32 s11, s11, 0
	v_cvt_pkrtz_f16_f32 v68, v46, v47
	v_cvt_pkrtz_f16_f32 v46, v52, v53
	;; [unrolled: 1-line block ×3, first 2 shown]
	s_load_dword s14, s[0:1], 0x1c
	s_load_dwordx4 s[40:43], s[0:1], 0x80
	v_lshl_add_u64 v[40:41], s[10:11], 0, v[30:31]
	v_lshl_or_b32 v30, v29, 9, v27
	v_cvt_pkrtz_f16_f32 v69, v24, v25
	v_mfma_f32_16x16x16_f16 v[22:25], v[22:23], v[10:11], 0
	v_lshl_add_u64 v[18:19], v[40:41], 0, v[30:31]
	v_ashrrev_i32_e32 v37, 31, v36
	v_ashrrev_i32_e32 v65, 31, v64
	s_waitcnt lgkmcnt(0)
	v_mfma_f32_16x16x16_f16 v[30:33], v[38:39], v[2:3], v[32:35]
	v_ashrrev_i32_e32 v67, 31, v66
	v_cvt_pkrtz_f16_f32 v48, v56, v57
	v_cvt_pkrtz_f16_f32 v49, v58, v59
	v_mfma_f32_16x16x16_f16 v[20:23], v[46:47], v[12:13], v[22:25]
	v_lshl_add_u64 v[34:35], v[64:65], 2, s[8:9]
	s_load_dword s4, s[40:41], 0x0
	v_cvt_pkrtz_f16_f32 v50, v60, v61
	v_lshl_add_u64 v[24:25], v[36:37], 2, s[8:9]
	v_lshl_add_u64 v[36:37], v[66:67], 2, s[8:9]
	global_load_dword v47, v[24:25], off
	global_load_dword v45, v[34:35], off
	;; [unrolled: 1-line block ×3, first 2 shown]
	v_mfma_f32_16x16x16_f16 v[34:37], v[68:69], v[4:5], v[30:33]
	s_waitcnt vmcnt(5)
	v_cvt_pk_f32_fp8_e32 v[24:25], v14
	v_cvt_pkrtz_f16_f32 v51, v62, v63
	v_cvt_pk_f32_fp8_e32 v[38:39], v15
	v_cvt_pk_f32_fp8_sdwa v[32:33], v14 src0_sel:WORD_1
	v_mfma_f32_16x16x16_f16 v[20:23], v[48:49], v[2:3], v[20:23]
	v_cvt_pkrtz_f16_f32 v24, v24, v25
	v_cvt_pk_f32_fp8_sdwa v[14:15], v15 src0_sel:WORD_1
	v_cvt_pkrtz_f16_f32 v25, v32, v33
	v_mov_b32_e32 v40, s14
	v_mfma_f32_16x16x16_f16 v[20:23], v[50:51], v[4:5], v[20:23]
	v_cvt_pkrtz_f16_f32 v32, v38, v39
	v_cvt_pk_f32_fp8_e32 v[50:51], v16
	v_cvt_pk_f32_fp8_sdwa v[52:53], v16 src0_sel:WORD_1
	v_cvt_pkrtz_f16_f32 v33, v14, v15
	s_waitcnt lgkmcnt(0)
	v_mul_f32_e32 v48, s4, v40
	v_mfma_f32_16x16x16_f16 v[38:41], v[24:25], v[10:11], 0
	v_cvt_pkrtz_f16_f32 v24, v50, v51
	v_cvt_pkrtz_f16_f32 v25, v52, v53
	v_cvt_pk_f32_fp8_e32 v[50:51], v17
	v_cvt_pk_f32_fp8_sdwa v[52:53], v17 src0_sel:WORD_1
	v_mfma_f32_16x16x16_f16 v[14:17], v[32:33], v[12:13], v[38:41]
	v_pk_mul_f32 v[32:33], v[48:49], v[36:37] op_sel_hi:[0,1]
	v_cvt_pkrtz_f16_f32 v36, v50, v51
	v_cvt_pkrtz_f16_f32 v37, v52, v53
	v_mfma_f32_16x16x16_f16 v[14:17], v[24:25], v[2:3], v[14:17]
	v_pk_mul_f32 v[38:39], v[48:49], v[34:35] op_sel_hi:[0,1]
	s_waitcnt vmcnt(4)
	v_cvt_pk_f32_fp8_e32 v[24:25], v6
	v_cvt_pk_f32_fp8_sdwa v[34:35], v6 src0_sel:WORD_1
	v_mfma_f32_16x16x16_f16 v[14:17], v[36:37], v[4:5], v[14:17]
	v_cvt_pk_f32_fp8_e32 v[36:37], v7
	v_cvt_pkrtz_f16_f32 v24, v24, v25
	v_cvt_pkrtz_f16_f32 v25, v34, v35
	v_cvt_pk_f32_fp8_sdwa v[6:7], v7 src0_sel:WORD_1
	v_cvt_pkrtz_f16_f32 v40, v36, v37
	v_cvt_pk_f32_fp8_e32 v[50:51], v8
	v_cvt_pk_f32_fp8_sdwa v[52:53], v8 src0_sel:WORD_1
	v_cvt_pkrtz_f16_f32 v41, v6, v7
	v_mfma_f32_16x16x16_f16 v[34:37], v[24:25], v[10:11], 0
	v_cvt_pkrtz_f16_f32 v10, v50, v51
	v_cvt_pkrtz_f16_f32 v11, v52, v53
	v_cvt_pk_f32_fp8_e32 v[24:25], v9
	v_cvt_pk_f32_fp8_sdwa v[50:51], v9 src0_sel:WORD_1
	v_mfma_f32_16x16x16_f16 v[6:9], v[40:41], v[12:13], v[34:37]
	v_pk_mul_f32 v[40:41], v[48:49], v[20:21] op_sel_hi:[0,1]
	v_cvt_pkrtz_f16_f32 v12, v24, v25
	v_cvt_pkrtz_f16_f32 v13, v50, v51
	v_mfma_f32_16x16x16_f16 v[6:9], v[10:11], v[2:3], v[6:9]
	v_pk_mul_f32 v[36:37], v[48:49], v[22:23] op_sel_hi:[0,1]
	v_pk_mul_f32 v[24:25], v[48:49], v[16:17] op_sel_hi:[0,1]
	;; [unrolled: 1-line block ×3, first 2 shown]
	v_mfma_f32_16x16x16_f16 v[2:5], v[12:13], v[4:5], v[6:9]
	s_waitcnt vmcnt(3)
	v_mad_i64_i32 v[30:31], s[4:5], v70, s45, v[18:19]
	s_mov_b32 s33, 0xff7fffff
	s_nop 3
	v_pk_mul_f32 v[22:23], v[48:49], v[2:3] op_sel_hi:[0,1]
	v_and_b32_e32 v2, 0xc0, v0
	v_add_u32_e32 v2, s16, v2
	v_lshl_or_b32 v2, v42, 2, v2
	v_or_b32_e32 v3, 1, v2
	v_pk_mul_f32 v[20:21], v[48:49], v[4:5] op_sel_hi:[0,1]
	v_subrev_u32_e32 v4, s29, v3
	v_add_u32_e32 v6, 1, v4
	v_add_u32_e32 v7, 2, v4
	;; [unrolled: 1-line block ×3, first 2 shown]
	v_cvt_f32_i32_e32 v6, v6
	v_cvt_f32_i32_e32 v7, v7
	;; [unrolled: 1-line block ×3, first 2 shown]
	v_add_u32_e32 v9, 19, v4
	v_fmac_f32_e32 v39, v44, v6
	v_fma_f32 v32, v44, v7, v32
	v_fmac_f32_e32 v33, v44, v8
	v_add_u32_e32 v6, 16, v4
	v_add_u32_e32 v7, 17, v4
	v_add_u32_e32 v8, 18, v4
	v_cvt_f32_i32_e32 v6, v6
	v_cvt_f32_i32_e32 v7, v7
	;; [unrolled: 1-line block ×4, first 2 shown]
	v_fma_f32 v40, v44, v6, v40
	v_fmac_f32_e32 v41, v44, v7
	v_fma_f32 v36, v44, v8, v36
	v_add_u32_e32 v6, 32, v4
	v_add_u32_e32 v7, 33, v4
	;; [unrolled: 1-line block ×3, first 2 shown]
	v_cvt_f32_i32_e32 v6, v6
	v_cvt_f32_i32_e32 v7, v7
	;; [unrolled: 1-line block ×4, first 2 shown]
	v_fmac_f32_e32 v37, v44, v9
	v_add_u32_e32 v9, 35, v4
	v_fma_f32 v48, v44, v6, v34
	v_fmac_f32_e32 v35, v44, v7
	v_fma_f32 v24, v44, v8, v24
	v_add_u32_e32 v6, 48, v4
	v_add_u32_e32 v7, 49, v4
	v_add_u32_e32 v8, 50, v4
	v_add_u32_e32 v4, 51, v4
	v_cvt_f32_i32_e32 v4, v4
	v_cvt_f32_i32_e32 v6, v6
	;; [unrolled: 1-line block ×3, first 2 shown]
	v_fma_f32 v5, v44, v5, v38
	v_fmac_f32_e32 v21, v44, v4
	v_mov_b32_e32 v4, 0xff7fffff
	v_cmp_gt_i32_e64 s[4:5], s29, v2
	v_cmp_gt_i32_e64 s[34:35], s29, v3
	v_fma_f32 v22, v44, v6, v22
	v_cndmask_b32_e64 v6, v4, v5, s[4:5]
	v_cndmask_b32_e64 v3, v4, v39, s[34:35]
	v_fmac_f32_e32 v23, v44, v7
	v_max3_f32 v3, v6, s33, v3
	v_or_b32_e32 v6, 2, v2
	v_or_b32_e32 v7, 3, v2
	v_cmp_gt_i32_e64 s[36:37], s29, v6
	v_cmp_gt_i32_e64 s[38:39], s29, v7
	v_cvt_f32_i32_e32 v9, v9
	v_cndmask_b32_e64 v6, v4, v32, s[36:37]
	v_cndmask_b32_e64 v7, v4, v33, s[38:39]
	v_max3_f32 v3, v3, v6, v7
	v_or_b32_e32 v6, 16, v2
	v_or_b32_e32 v7, 17, v2
	v_cmp_gt_i32_e64 s[24:25], s29, v6
	v_cmp_gt_i32_e64 s[26:27], s29, v7
	v_fmac_f32_e32 v25, v44, v9
	v_cndmask_b32_e64 v6, v4, v40, s[24:25]
	v_cndmask_b32_e64 v7, v4, v41, s[26:27]
	v_max3_f32 v3, v3, v6, v7
	v_or_b32_e32 v6, 18, v2
	v_or_b32_e32 v7, 19, v2
	v_cmp_gt_i32_e64 s[20:21], s29, v6
	v_cmp_gt_i32_e64 s[22:23], s29, v7
	v_cvt_f32_i32_e32 v8, v8
	v_cndmask_b32_e64 v6, v4, v36, s[20:21]
	v_cndmask_b32_e64 v7, v4, v37, s[22:23]
	v_max3_f32 v3, v3, v6, v7
	v_or_b32_e32 v6, 32, v2
	v_or_b32_e32 v7, 33, v2
	v_cmp_gt_i32_e64 s[16:17], s29, v6
	v_cmp_gt_i32_e64 s[18:19], s29, v7
	v_fma_f32 v20, v44, v8, v20
	v_cndmask_b32_e64 v6, v4, v48, s[16:17]
	v_cndmask_b32_e64 v7, v4, v35, s[18:19]
	v_max3_f32 v3, v3, v6, v7
	v_or_b32_e32 v6, 34, v2
	v_or_b32_e32 v7, 35, v2
	v_cmp_gt_i32_e64 s[12:13], s29, v6
	v_cmp_gt_i32_e64 s[14:15], s29, v7
	s_nop 0
	v_cndmask_b32_e64 v6, v4, v24, s[12:13]
	v_cndmask_b32_e64 v7, v4, v25, s[14:15]
	v_max3_f32 v3, v3, v6, v7
	v_or_b32_e32 v6, 48, v2
	v_or_b32_e32 v7, 49, v2
	v_cmp_gt_i32_e64 s[8:9], s29, v6
	v_cmp_gt_i32_e64 s[10:11], s29, v7
	s_nop 0
	v_cndmask_b32_e64 v6, v4, v22, s[8:9]
	v_cndmask_b32_e64 v7, v4, v23, s[10:11]
	v_max3_f32 v3, v3, v6, v7
	v_or_b32_e32 v6, 50, v2
	v_or_b32_e32 v2, 51, v2
	v_cmp_gt_i32_e32 vcc, s29, v6
	v_cmp_gt_i32_e64 s[6:7], s29, v2
	s_nop 0
	v_cndmask_b32_e32 v6, v4, v20, vcc
	v_cndmask_b32_e64 v2, v4, v21, s[6:7]
	v_max3_f32 v4, v3, v6, v2
	v_mbcnt_lo_u32_b32 v2, -1, 0
	v_mbcnt_hi_u32_b32 v6, -1, v2
	v_and_b32_e32 v2, 64, v6
	v_add_u32_e32 v7, 64, v2
	v_xor_b32_e32 v2, 32, v6
	v_cmp_lt_i32_e64 s[40:41], v2, v7
	s_nop 1
	v_cndmask_b32_e64 v2, v6, v2, s[40:41]
	v_lshlrev_b32_e32 v44, 2, v2
	ds_bpermute_b32 v8, v44, v4
	s_waitcnt vmcnt(2)
	v_mad_i64_i32 v[2:3], s[40:41], v47, s45, v[18:19]
	global_load_dwordx4 v[14:17], v[30:31], off
	global_load_dwordx4 v[10:13], v[2:3], off
	v_xor_b32_e32 v3, 16, v6
	v_cmp_lt_i32_e64 s[40:41], v3, v7
	s_waitcnt lgkmcnt(0)
	v_max_f32_e32 v2, v8, v8
	v_max_f32_e32 v2, v4, v2
	v_cndmask_b32_e64 v3, v6, v3, s[40:41]
	v_lshlrev_b32_e32 v47, 2, v3
	ds_bpermute_b32 v3, v47, v2
	s_waitcnt vmcnt(3)
	v_mad_i64_i32 v[30:31], s[40:41], v45, s45, v[18:19]
	s_waitcnt vmcnt(2)
	v_mad_i64_i32 v[18:19], s[40:41], v46, s45, v[18:19]
	s_waitcnt lgkmcnt(0)
	v_max_f32_e32 v3, v3, v3
	v_max_f32_e32 v34, v2, v3
	v_sub_f32_e32 v2, v5, v34
	v_mul_f32_e32 v2, 0x3fb8aa3b, v2
	v_exp_f32_e32 v38, v2
	v_sub_f32_e32 v2, v39, v34
	v_mul_f32_e32 v2, 0x3fb8aa3b, v2
	v_exp_f32_e32 v39, v2
	global_load_dwordx4 v[6:9], v[30:31], off
	global_load_dwordx4 v[2:5], v[18:19], off
	v_sub_f32_e32 v31, v32, v34
	v_sub_f32_e32 v32, v33, v34
	v_mul_f32_e32 v31, 0x3fb8aa3b, v31
	v_mul_f32_e32 v32, 0x3fb8aa3b, v32
	v_exp_f32_e32 v31, v31
	v_exp_f32_e32 v32, v32
	v_cndmask_b32_e64 v18, 0, v38, s[4:5]
	v_cndmask_b32_e64 v19, 0, v39, s[34:35]
	;; [unrolled: 1-line block ×4, first 2 shown]
	v_sub_f32_e32 v31, v40, v34
	v_sub_f32_e32 v32, v41, v34
	v_mul_f32_e32 v31, 0x3fb8aa3b, v31
	v_mul_f32_e32 v32, 0x3fb8aa3b, v32
	v_exp_f32_e32 v31, v31
	v_exp_f32_e32 v32, v32
	v_add_f32_e32 v30, 0, v18
	v_add_f32_e32 v30, v30, v19
	;; [unrolled: 1-line block ×4, first 2 shown]
	v_cndmask_b32_e64 v30, 0, v31, s[24:25]
	v_cndmask_b32_e64 v31, 0, v32, s[26:27]
	v_sub_f32_e32 v32, v36, v34
	v_mul_f32_e32 v32, 0x3fb8aa3b, v32
	v_exp_f32_e32 v32, v32
	v_sub_f32_e32 v36, v37, v34
	v_add_f32_e32 v33, v33, v30
	v_mul_f32_e32 v36, 0x3fb8aa3b, v36
	v_exp_f32_e32 v37, v36
	v_add_f32_e32 v33, v33, v31
	v_cndmask_b32_e64 v36, 0, v32, s[20:21]
	v_add_f32_e32 v32, v33, v36
	v_sub_f32_e32 v33, v48, v34
	v_mul_f32_e32 v33, 0x3fb8aa3b, v33
	v_sub_f32_e32 v35, v35, v34
	v_exp_f32_e32 v33, v33
	v_mul_f32_e32 v35, 0x3fb8aa3b, v35
	v_sub_f32_e32 v24, v24, v34
	v_exp_f32_e32 v35, v35
	;; [unrolled: 3-line block ×3, first 2 shown]
	v_mul_f32_e32 v25, 0x3fb8aa3b, v25
	v_sub_f32_e32 v22, v22, v34
	v_cndmask_b32_e64 v37, 0, v37, s[22:23]
	v_exp_f32_e32 v25, v25
	v_mul_f32_e32 v22, 0x3fb8aa3b, v22
	v_sub_f32_e32 v23, v23, v34
	v_add_f32_e32 v40, v32, v37
	v_cndmask_b32_e64 v32, 0, v33, s[16:17]
	v_exp_f32_e32 v22, v22
	v_mul_f32_e32 v23, 0x3fb8aa3b, v23
	v_sub_f32_e32 v20, v20, v34
	v_add_f32_e32 v40, v40, v32
	v_cndmask_b32_e64 v33, 0, v35, s[18:19]
	v_exp_f32_e32 v23, v23
	v_mul_f32_e32 v20, 0x3fb8aa3b, v20
	v_sub_f32_e32 v21, v21, v34
	v_add_f32_e32 v35, v40, v33
	v_cndmask_b32_e64 v24, 0, v24, s[12:13]
	v_exp_f32_e32 v20, v20
	v_mul_f32_e32 v21, 0x3fb8aa3b, v21
	v_add_f32_e32 v35, v35, v24
	v_cndmask_b32_e64 v25, 0, v25, s[14:15]
	v_exp_f32_e32 v21, v21
	v_add_f32_e32 v35, v35, v25
	v_cndmask_b32_e64 v22, 0, v22, s[8:9]
	v_add_f32_e32 v35, v35, v22
	v_cndmask_b32_e64 v23, 0, v23, s[10:11]
	v_add_f32_e32 v35, v35, v23
	v_cndmask_b32_e32 v20, 0, v20, vcc
	v_add_f32_e32 v35, v35, v20
	v_cndmask_b32_e64 v21, 0, v21, s[6:7]
	v_add_f32_e32 v35, v35, v21
	ds_bpermute_b32 v40, v44, v35
	s_load_dword s7, s[0:1], 0x98
	v_cmp_gt_u32_e32 vcc, 16, v43
	s_waitcnt lgkmcnt(0)
	s_barrier
	v_add_f32_e32 v40, v35, v40
	ds_bpermute_b32 v41, v47, v40
	v_lshlrev_b32_e32 v35, 2, v28
	s_waitcnt lgkmcnt(0)
	s_and_saveexec_b64 s[4:5], vcc
	s_cbranch_execz .LBB897_15
; %bb.14:
	v_add_f32_e32 v40, v40, v41
	v_lshl_or_b32 v41, v29, 6, v35
	ds_write2st64_b32 v41, v34, v40 offset1:1
.LBB897_15:
	s_or_b64 exec, exec, s[4:5]
	s_load_dword s6, s[0:1], 0x94
	s_waitcnt lgkmcnt(0)
	s_barrier
	ds_read2_b32 v[40:41], v35 offset1:16
	ds_read2_b32 v[44:45], v35 offset0:32 offset1:48
	ds_read2_b32 v[46:47], v35 offset0:64 offset1:80
	s_mul_i32 s7, s7, 10
	s_waitcnt lgkmcnt(2)
	v_max3_f32 v34, v40, s33, v41
	s_waitcnt lgkmcnt(1)
	v_max3_f32 v34, v34, v44, v45
	v_sub_f32_e32 v40, v40, v34
	v_mul_f32_e32 v40, 0x3fb8aa3b, v40
	v_exp_f32_e32 v43, v40
	v_sub_f32_e32 v40, v41, v34
	v_mul_f32_e32 v40, 0x3fb8aa3b, v40
	v_exp_f32_e32 v48, v40
	;; [unrolled: 3-line block ×3, first 2 shown]
	ds_read2_b32 v[40:41], v35 offset0:96 offset1:112
	v_sub_f32_e32 v35, v45, v34
	v_mul_f32_e32 v35, 0x3fb8aa3b, v35
	v_exp_f32_e32 v45, v35
	s_waitcnt lgkmcnt(1)
	v_fma_f32 v35, v43, v46, 0
	v_fmac_f32_e32 v35, v48, v47
	s_waitcnt lgkmcnt(0)
	v_fmac_f32_e32 v35, v44, v40
	v_fmac_f32_e32 v35, v45, v41
	v_add_f32_e32 v40, 0x358637bd, v35
	v_div_scale_f32 v41, s[4:5], v40, v40, 1.0
	v_rcp_f32_e32 v46, v41
	s_barrier
	v_fma_f32 v47, -v41, v46, 1.0
	v_fmac_f32_e32 v46, v47, v46
	v_div_scale_f32 v47, vcc, 1.0, v40, 1.0
	v_mul_f32_e32 v49, v47, v46
	v_fma_f32 v50, -v41, v49, v47
	v_fmac_f32_e32 v49, v50, v46
	v_fma_f32 v41, -v41, v49, v47
	v_div_fmas_f32 v41, v41, v46, v49
	v_cmp_eq_u32_e32 vcc, 1, v29
	v_div_fixup_f32 v40, v41, v40, 1.0
	s_nop 0
	v_cndmask_b32_e32 v41, v43, v48, vcc
	v_cmp_eq_u32_e32 vcc, 2, v29
	s_nop 1
	v_cndmask_b32_e32 v41, v41, v44, vcc
	v_cmp_eq_u32_e32 vcc, 3, v29
	s_nop 1
	v_cndmask_b32_e32 v41, v41, v45, vcc
	v_mul_f32_e32 v40, v41, v40
	v_pk_mul_f32 v[38:39], v[40:41], v[38:39] op_sel_hi:[0,1]
	v_pk_mul_f32 v[18:19], v[40:41], v[18:19] op_sel_hi:[0,1]
	v_cvt_f16_f32_e32 v41, v38
	v_cvt_f16_f32_e32 v39, v39
	v_cvt_f16_f32_e32 v18, v18
	v_cvt_f16_f32_e32 v19, v19
	v_cmp_gt_u32_e32 vcc, 10, v0
	v_pack_b32_f16 v39, v41, v39
	v_lshlrev_b32_e32 v41, 3, v42
	v_pack_b32_f16 v38, v18, v19
	v_pk_mul_f32 v[18:19], v[40:41], v[36:37] op_sel_hi:[0,1]
	v_pk_mul_f32 v[30:31], v[40:41], v[30:31] op_sel_hi:[0,1]
	v_cvt_f16_f32_e32 v30, v30
	v_cvt_f16_f32_e32 v31, v31
	;; [unrolled: 1-line block ×4, first 2 shown]
	v_lshlrev_b32_e32 v18, 11, v29
	v_or3_b32 v18, v18, v27, v41
	v_pack_b32_f16 v30, v30, v31
	v_pack_b32_f16 v31, v36, v19
	ds_write2st64_b64 v18, v[38:39], v[30:31] offset1:1
	v_pk_mul_f32 v[24:25], v[40:41], v[24:25] op_sel_hi:[0,1]
	v_pk_mul_f32 v[30:31], v[40:41], v[32:33] op_sel_hi:[0,1]
	v_pk_mul_f32 v[20:21], v[40:41], v[20:21] op_sel_hi:[0,1]
	v_pk_mul_f32 v[22:23], v[40:41], v[22:23] op_sel_hi:[0,1]
	v_cvt_f16_f32_e32 v19, v30
	v_cvt_f16_f32_e32 v29, v31
	;; [unrolled: 1-line block ×8, first 2 shown]
	v_pack_b32_f16 v20, v19, v29
	v_pack_b32_f16 v21, v24, v25
	v_pack_b32_f16 v22, v22, v23
	v_pack_b32_f16 v23, v30, v31
	ds_write2st64_b64 v18, v[20:21], v[22:23] offset0:2 offset1:3
	s_and_saveexec_b64 s[4:5], vcc
	s_cbranch_execz .LBB897_17
; %bb.16:
	s_mov_b32 s49, 0
	v_mov_b32_e32 v29, 0
	v_lshl_add_u64 v[20:21], s[48:49], 0, v[28:29]
	v_mov_b32_e32 v19, s7
	v_mad_u64_u32 v[20:21], s[12:13], s2, v19, v[20:21]
	s_mul_i32 s3, s3, s7
	v_mov_b32_e32 v28, s28
	s_load_dwordx4 s[8:11], s[0:1], 0x58
	v_add_u32_e32 v19, s3, v21
	v_mad_u64_u32 v[20:21], s[12:13], v20, s6, v[28:29]
	v_mov_b32_e32 v22, v21
	v_mad_u64_u32 v[22:23], s[12:13], v19, s6, v[22:23]
	v_mov_b32_e32 v21, v22
	v_lshlrev_b64 v[20:21], 2, v[20:21]
	s_waitcnt lgkmcnt(0)
	v_lshl_add_u64 v[22:23], s[10:11], 0, v[20:21]
	v_lshl_add_u64 v[20:21], s[8:9], 0, v[20:21]
	global_store_dword v[22:23], v34, off
	global_store_dword v[20:21], v35, off
.LBB897_17:
	s_or_b64 exec, exec, s[4:5]
	s_waitcnt vmcnt(3)
	v_cvt_pk_f32_fp8_e32 v[20:21], v14
	v_cvt_pk_f32_fp8_sdwa v[22:23], v14 src0_sel:WORD_1
	v_lshl_or_b32 v14, v42, 9, v27
	s_waitcnt lgkmcnt(0)
	s_barrier
	v_cvt_pk_f32_fp8_e32 v[24:25], v15
	v_cvt_pkrtz_f16_f32 v32, v20, v21
	v_cvt_pkrtz_f16_f32 v33, v22, v23
	v_cvt_pk_f32_fp8_sdwa v[28:29], v15 src0_sel:WORD_1
	ds_read_b128 v[20:23], v14
	v_cvt_pkrtz_f16_f32 v24, v24, v25
	v_cvt_pk_f32_fp8_e32 v[36:37], v16
	v_cvt_pkrtz_f16_f32 v25, v28, v29
	ds_read_b128 v[28:31], v14 offset:16
	v_cvt_pk_f32_fp8_sdwa v[38:39], v16 src0_sel:WORD_1
	s_waitcnt lgkmcnt(1)
	v_mfma_f32_16x16x16_f16 v[32:35], v[32:33], v[20:21], 0
	v_cvt_pkrtz_f16_f32 v36, v36, v37
	s_load_dword s4, s[42:43], 0x0
	v_cvt_pkrtz_f16_f32 v37, v38, v39
	v_cvt_pk_f32_fp8_e32 v[38:39], v17
	v_cvt_pk_f32_fp8_sdwa v[16:17], v17 src0_sel:WORD_1
	v_mfma_f32_16x16x16_f16 v[20:23], v[24:25], v[22:23], v[32:35]
	v_cmp_gt_u32_e32 vcc, 64, v0
	v_cvt_pkrtz_f16_f32 v24, v38, v39
	v_cvt_pkrtz_f16_f32 v25, v16, v17
	s_waitcnt lgkmcnt(0)
	v_mfma_f32_16x16x16_f16 v[20:23], v[36:37], v[28:29], v[20:23]
	s_waitcnt vmcnt(2)
	v_cvt_pk_f32_fp8_e32 v[16:17], v10
	v_cvt_pk_f32_fp8_e32 v[28:29], v11
	v_cvt_pk_f32_fp8_sdwa v[36:37], v12 src0_sel:WORD_1
	v_mfma_f32_16x16x16_f16 v[20:23], v[24:25], v[30:31], v[20:23]
	v_cvt_pk_f32_fp8_sdwa v[24:25], v10 src0_sel:WORD_1
	v_cvt_pkrtz_f16_f32 v10, v16, v17
	v_cvt_pk_f32_fp8_sdwa v[16:17], v11 src0_sel:WORD_1
	ds_read_b128 v[32:35], v14 offset:2064
	v_cvt_pkrtz_f16_f32 v11, v24, v25
	v_cvt_pkrtz_f16_f32 v24, v28, v29
	ds_read_b128 v[28:31], v14 offset:2048
	v_cvt_pkrtz_f16_f32 v25, v16, v17
	v_cvt_pk_f32_fp8_e32 v[16:17], v12
	s_waitcnt lgkmcnt(0)
	v_mfma_f32_16x16x16_f16 v[20:23], v[10:11], v[28:29], v[20:23]
	v_cvt_pkrtz_f16_f32 v10, v16, v17
	v_cvt_pkrtz_f16_f32 v11, v36, v37
	v_cvt_pk_f32_fp8_e32 v[16:17], v13
	v_mfma_f32_16x16x16_f16 v[20:23], v[24:25], v[30:31], v[20:23]
	v_cvt_pk_f32_fp8_sdwa v[24:25], v13 src0_sel:WORD_1
	ds_read_b128 v[28:31], v14 offset:4112
	v_cvt_pkrtz_f16_f32 v16, v16, v17
	v_mfma_f32_16x16x16_f16 v[10:13], v[10:11], v[32:33], v[20:23]
	v_cvt_pkrtz_f16_f32 v17, v24, v25
	s_waitcnt vmcnt(1)
	v_cvt_pk_f32_fp8_sdwa v[24:25], v7 src0_sel:WORD_1
	v_cvt_pk_f32_fp8_sdwa v[32:33], v8 src0_sel:WORD_1
	v_cvt_pk_f32_fp8_e32 v[20:21], v6
	v_mfma_f32_16x16x16_f16 v[10:13], v[16:17], v[34:35], v[10:13]
	v_cvt_pk_f32_fp8_sdwa v[16:17], v6 src0_sel:WORD_1
	v_cvt_pk_f32_fp8_e32 v[22:23], v7
	v_cvt_pkrtz_f16_f32 v6, v20, v21
	s_mov_b32 s3, 0
	v_cvt_pkrtz_f16_f32 v7, v16, v17
	v_cvt_pkrtz_f16_f32 v16, v22, v23
	ds_read_b128 v[20:23], v14 offset:4096
	v_cvt_pkrtz_f16_f32 v17, v24, v25
	v_cvt_pk_f32_fp8_e32 v[24:25], v8
	s_waitcnt lgkmcnt(0)
	v_mfma_f32_16x16x16_f16 v[10:13], v[6:7], v[20:21], v[10:13]
	v_cvt_pkrtz_f16_f32 v6, v24, v25
	v_cvt_pkrtz_f16_f32 v7, v32, v33
	v_cvt_pk_f32_fp8_e32 v[20:21], v9
	v_mfma_f32_16x16x16_f16 v[10:13], v[16:17], v[22:23], v[10:13]
	v_cvt_pk_f32_fp8_sdwa v[16:17], v9 src0_sel:WORD_1
	s_waitcnt vmcnt(0)
	v_cvt_pk_f32_fp8_sdwa v[24:25], v4 src0_sel:WORD_1
	v_cvt_pkrtz_f16_f32 v20, v20, v21
	v_mfma_f32_16x16x16_f16 v[6:9], v[6:7], v[28:29], v[10:13]
	v_cvt_pkrtz_f16_f32 v21, v16, v17
	v_cvt_pk_f32_fp8_e32 v[16:17], v3
	v_mov_b32_e32 v27, 0
	v_cvt_pk_f32_fp8_e32 v[10:11], v2
	v_cvt_pk_f32_fp8_sdwa v[12:13], v2 src0_sel:WORD_1
	v_mfma_f32_16x16x16_f16 v[6:9], v[20:21], v[30:31], v[6:9]
	v_cvt_pk_f32_fp8_sdwa v[20:21], v3 src0_sel:WORD_1
	v_cvt_pkrtz_f16_f32 v2, v10, v11
	v_cvt_pkrtz_f16_f32 v3, v12, v13
	ds_read_b128 v[10:13], v14 offset:6144
	v_cvt_pkrtz_f16_f32 v22, v16, v17
	v_cvt_pkrtz_f16_f32 v23, v20, v21
	v_cvt_pk_f32_fp8_e32 v[20:21], v4
	s_waitcnt lgkmcnt(0)
	v_mfma_f32_16x16x16_f16 v[6:9], v[2:3], v[10:11], v[6:9]
	ds_read_b128 v[14:17], v14 offset:6160
	v_cvt_pkrtz_f16_f32 v2, v20, v21
	v_cvt_pkrtz_f16_f32 v3, v24, v25
	v_cvt_pk_f32_fp8_e32 v[10:11], v5
	v_mfma_f32_16x16x16_f16 v[6:9], v[22:23], v[12:13], v[6:9]
	v_cvt_pk_f32_fp8_sdwa v[12:13], v5 src0_sel:WORD_1
	s_waitcnt lgkmcnt(0)
	v_cvt_pkrtz_f16_f32 v10, v10, v11
	v_mfma_f32_16x16x16_f16 v[2:5], v[2:3], v[14:15], v[6:9]
	v_cvt_pkrtz_f16_f32 v11, v12, v13
	s_barrier
	s_nop 0
	v_mfma_f32_16x16x16_f16 v[2:5], v[10:11], v[16:17], v[2:5]
	s_nop 6
	v_pk_mul_f32 v[4:5], v[4:5], s[4:5] op_sel_hi:[1,0]
	v_pk_mul_f32 v[2:3], v[2:3], s[4:5] op_sel_hi:[1,0]
	v_cvt_f16_f32_e32 v4, v4
	v_cvt_f16_f32_e32 v2, v2
	v_cvt_f16_f32_e32 v3, v3
	v_cvt_f16_f32_e32 v5, v5
	s_and_b64 s[4:5], vcc, s[30:31]
	v_pack_b32_f16 v2, v2, v3
	v_pack_b32_f16 v3, v4, v5
	ds_write_b64 v18, v[2:3]
	s_waitcnt lgkmcnt(0)
	s_barrier
	s_and_saveexec_b64 s[8:9], s[4:5]
	s_cbranch_execz .LBB897_20
; %bb.18:
	s_load_dwordx2 s[4:5], s[0:1], 0x68
	s_lshl_b32 s0, s6, 6
	s_mul_i32 s1, s7, s2
	s_mul_hi_u32 s7, s1, s0
	s_mul_i32 s6, s1, s0
	v_lshlrev_b32_e32 v0, 10, v0
	s_lshl_b64 s[6:7], s[6:7], 1
	v_and_b32_e32 v0, 0x1800, v0
	v_lshlrev_b32_e32 v2, 5, v42
	v_and_b32_e32 v1, 16, v1
	s_waitcnt lgkmcnt(0)
	s_add_u32 s1, s4, s6
	v_or3_b32 v2, v0, v2, v1
	s_addc_u32 s4, s5, s7
	s_lshl_b32 s2, s28, 6
	s_lshl_b64 s[2:3], s[2:3], 1
	ds_read_b128 v[4:7], v2 offset:128
	ds_read_b128 v[8:11], v2
	s_add_u32 s2, s1, s2
	s_addc_u32 s3, s4, s3
	v_add_u32_e32 v14, s48, v42
	v_lshl_add_u64 v[0:1], s[2:3], 0, v[26:27]
	v_mad_u64_u32 v[12:13], s[2:3], v14, s0, 0
	v_lshl_add_u64 v[12:13], v[12:13], 1, v[0:1]
	s_waitcnt lgkmcnt(0)
	global_store_dwordx4 v[12:13], v[8:11], off
	v_or_b32_e32 v3, 8, v42
	v_cmp_gt_u32_e32 vcc, 10, v3
	v_add_u32_e32 v8, 4, v14
	v_mad_u64_u32 v[8:9], s[2:3], v8, s0, 0
	v_lshl_add_u64 v[8:9], v[8:9], 1, v[0:1]
	global_store_dwordx4 v[8:9], v[4:7], off
	s_and_b64 exec, exec, vcc
	s_cbranch_execz .LBB897_20
; %bb.19:
	ds_read_b128 v[4:7], v2 offset:256
	v_add_u32_e32 v2, s48, v3
	v_mad_u64_u32 v[2:3], s[0:1], v2, s0, 0
	v_lshl_add_u64 v[0:1], v[2:3], 1, v[0:1]
	s_waitcnt lgkmcnt(0)
	global_store_dwordx4 v[0:1], v[4:7], off
.LBB897_20:
	s_endpgm
	.section	.rodata,"a",@progbits
	.p2align	6, 0x0
	.amdhsa_kernel _Z39paged_attention_ll4mi_QKV_mfma16_kernelIDF16_hLN4vllm18Fp8KVCacheDataTypeE1EDF16_Li32ELi64ELi256ELb1ELi10EEvPKT_PKT0_S7_ifPKiS9_S9_iPKfiiiPfSC_PS2_PT2_iSB_SB_
		.amdhsa_group_segment_fixed_size 8192
		.amdhsa_private_segment_fixed_size 0
		.amdhsa_kernarg_size 400
		.amdhsa_user_sgpr_count 2
		.amdhsa_user_sgpr_dispatch_ptr 0
		.amdhsa_user_sgpr_queue_ptr 0
		.amdhsa_user_sgpr_kernarg_segment_ptr 1
		.amdhsa_user_sgpr_dispatch_id 0
		.amdhsa_user_sgpr_kernarg_preload_length 0
		.amdhsa_user_sgpr_kernarg_preload_offset 0
		.amdhsa_user_sgpr_private_segment_size 0
		.amdhsa_uses_dynamic_stack 0
		.amdhsa_enable_private_segment 0
		.amdhsa_system_sgpr_workgroup_id_x 1
		.amdhsa_system_sgpr_workgroup_id_y 1
		.amdhsa_system_sgpr_workgroup_id_z 1
		.amdhsa_system_sgpr_workgroup_info 0
		.amdhsa_system_vgpr_workitem_id 0
		.amdhsa_next_free_vgpr 71
		.amdhsa_next_free_sgpr 50
		.amdhsa_accum_offset 72
		.amdhsa_reserve_vcc 1
		.amdhsa_float_round_mode_32 0
		.amdhsa_float_round_mode_16_64 0
		.amdhsa_float_denorm_mode_32 3
		.amdhsa_float_denorm_mode_16_64 3
		.amdhsa_dx10_clamp 1
		.amdhsa_ieee_mode 1
		.amdhsa_fp16_overflow 0
		.amdhsa_tg_split 0
		.amdhsa_exception_fp_ieee_invalid_op 0
		.amdhsa_exception_fp_denorm_src 0
		.amdhsa_exception_fp_ieee_div_zero 0
		.amdhsa_exception_fp_ieee_overflow 0
		.amdhsa_exception_fp_ieee_underflow 0
		.amdhsa_exception_fp_ieee_inexact 0
		.amdhsa_exception_int_div_zero 0
	.end_amdhsa_kernel
	.section	.text._Z39paged_attention_ll4mi_QKV_mfma16_kernelIDF16_hLN4vllm18Fp8KVCacheDataTypeE1EDF16_Li32ELi64ELi256ELb1ELi10EEvPKT_PKT0_S7_ifPKiS9_S9_iPKfiiiPfSC_PS2_PT2_iSB_SB_,"axG",@progbits,_Z39paged_attention_ll4mi_QKV_mfma16_kernelIDF16_hLN4vllm18Fp8KVCacheDataTypeE1EDF16_Li32ELi64ELi256ELb1ELi10EEvPKT_PKT0_S7_ifPKiS9_S9_iPKfiiiPfSC_PS2_PT2_iSB_SB_,comdat
.Lfunc_end897:
	.size	_Z39paged_attention_ll4mi_QKV_mfma16_kernelIDF16_hLN4vllm18Fp8KVCacheDataTypeE1EDF16_Li32ELi64ELi256ELb1ELi10EEvPKT_PKT0_S7_ifPKiS9_S9_iPKfiiiPfSC_PS2_PT2_iSB_SB_, .Lfunc_end897-_Z39paged_attention_ll4mi_QKV_mfma16_kernelIDF16_hLN4vllm18Fp8KVCacheDataTypeE1EDF16_Li32ELi64ELi256ELb1ELi10EEvPKT_PKT0_S7_ifPKiS9_S9_iPKfiiiPfSC_PS2_PT2_iSB_SB_
                                        ; -- End function
	.section	.AMDGPU.csdata,"",@progbits
; Kernel info:
; codeLenInByte = 4968
; NumSgprs: 56
; NumVgprs: 71
; NumAgprs: 0
; TotalNumVgprs: 71
; ScratchSize: 0
; MemoryBound: 0
; FloatMode: 240
; IeeeMode: 1
; LDSByteSize: 8192 bytes/workgroup (compile time only)
; SGPRBlocks: 6
; VGPRBlocks: 8
; NumSGPRsForWavesPerEU: 56
; NumVGPRsForWavesPerEU: 71
; AccumOffset: 72
; Occupancy: 7
; WaveLimiterHint : 1
; COMPUTE_PGM_RSRC2:SCRATCH_EN: 0
; COMPUTE_PGM_RSRC2:USER_SGPR: 2
; COMPUTE_PGM_RSRC2:TRAP_HANDLER: 0
; COMPUTE_PGM_RSRC2:TGID_X_EN: 1
; COMPUTE_PGM_RSRC2:TGID_Y_EN: 1
; COMPUTE_PGM_RSRC2:TGID_Z_EN: 1
; COMPUTE_PGM_RSRC2:TIDIG_COMP_CNT: 0
; COMPUTE_PGM_RSRC3_GFX90A:ACCUM_OFFSET: 17
; COMPUTE_PGM_RSRC3_GFX90A:TG_SPLIT: 0
	.section	.text._Z39paged_attention_ll4mi_QKV_mfma16_kernelIDF16_hLN4vllm18Fp8KVCacheDataTypeE1EDF16_Li32ELi64ELi256ELb1ELi11EEvPKT_PKT0_S7_ifPKiS9_S9_iPKfiiiPfSC_PS2_PT2_iSB_SB_,"axG",@progbits,_Z39paged_attention_ll4mi_QKV_mfma16_kernelIDF16_hLN4vllm18Fp8KVCacheDataTypeE1EDF16_Li32ELi64ELi256ELb1ELi11EEvPKT_PKT0_S7_ifPKiS9_S9_iPKfiiiPfSC_PS2_PT2_iSB_SB_,comdat
	.protected	_Z39paged_attention_ll4mi_QKV_mfma16_kernelIDF16_hLN4vllm18Fp8KVCacheDataTypeE1EDF16_Li32ELi64ELi256ELb1ELi11EEvPKT_PKT0_S7_ifPKiS9_S9_iPKfiiiPfSC_PS2_PT2_iSB_SB_ ; -- Begin function _Z39paged_attention_ll4mi_QKV_mfma16_kernelIDF16_hLN4vllm18Fp8KVCacheDataTypeE1EDF16_Li32ELi64ELi256ELb1ELi11EEvPKT_PKT0_S7_ifPKiS9_S9_iPKfiiiPfSC_PS2_PT2_iSB_SB_
	.globl	_Z39paged_attention_ll4mi_QKV_mfma16_kernelIDF16_hLN4vllm18Fp8KVCacheDataTypeE1EDF16_Li32ELi64ELi256ELb1ELi11EEvPKT_PKT0_S7_ifPKiS9_S9_iPKfiiiPfSC_PS2_PT2_iSB_SB_
	.p2align	8
	.type	_Z39paged_attention_ll4mi_QKV_mfma16_kernelIDF16_hLN4vllm18Fp8KVCacheDataTypeE1EDF16_Li32ELi64ELi256ELb1ELi11EEvPKT_PKT0_S7_ifPKiS9_S9_iPKfiiiPfSC_PS2_PT2_iSB_SB_,@function
_Z39paged_attention_ll4mi_QKV_mfma16_kernelIDF16_hLN4vllm18Fp8KVCacheDataTypeE1EDF16_Li32ELi64ELi256ELb1ELi11EEvPKT_PKT0_S7_ifPKiS9_S9_iPKfiiiPfSC_PS2_PT2_iSB_SB_: ; @_Z39paged_attention_ll4mi_QKV_mfma16_kernelIDF16_hLN4vllm18Fp8KVCacheDataTypeE1EDF16_Li32ELi64ELi256ELb1ELi11EEvPKT_PKT0_S7_ifPKiS9_S9_iPKfiiiPfSC_PS2_PT2_iSB_SB_
; %bb.0:
	s_load_dwordx2 s[6:7], s[0:1], 0x30
	s_mov_b32 s28, s3
	s_mov_b64 s[8:9], 0
	s_waitcnt lgkmcnt(0)
	s_cmp_lg_u64 s[6:7], 0
	s_cselect_b64 s[10:11], -1, 0
	s_and_b64 vcc, exec, s[10:11]
	s_cbranch_vccz .LBB898_7
; %bb.1:
	s_add_i32 s12, s2, 1
	s_mov_b32 s13, 0
	s_lshl_b64 s[14:15], s[12:13], 2
	s_add_u32 s14, s6, s14
	s_mov_b32 s3, s13
	s_addc_u32 s15, s7, s15
	s_lshl_b64 s[12:13], s[2:3], 2
	s_add_u32 s12, s6, s12
	s_addc_u32 s13, s7, s13
	s_load_dword s5, s[14:15], 0x0
	s_load_dword s16, s[12:13], 0x0
	s_waitcnt lgkmcnt(0)
	s_sub_i32 s5, s5, s16
	s_cmp_eq_u32 s5, 1
	s_cselect_b64 s[12:13], -1, 0
	s_andn2_b64 vcc, exec, s[8:9]
	s_cbranch_vccnz .LBB898_3
.LBB898_2:
	s_mov_b32 s3, 0
	s_mov_b64 s[12:13], -1
.LBB898_3:
	s_andn2_b64 vcc, exec, s[12:13]
	s_cbranch_vccnz .LBB898_20
; %bb.4:
	s_load_dwordx2 s[8:9], s[0:1], 0x28
	s_lshl_b64 s[12:13], s[2:3], 2
	s_waitcnt lgkmcnt(0)
	s_add_u32 s8, s8, s12
	s_addc_u32 s9, s9, s13
	s_load_dword s29, s[8:9], 0x0
	s_lshl_b32 s16, s28, 8
	s_waitcnt lgkmcnt(0)
	s_cmp_ge_i32 s16, s29
	s_cbranch_scc1 .LBB898_20
; %bb.5:
	s_load_dwordx2 s[8:9], s[0:1], 0x20
	s_load_dword s5, s[0:1], 0x38
	s_add_i32 s14, s29, 31
	s_ashr_i32 s15, s14, 31
	v_and_b32_e32 v1, 0xcf, v0
	s_lshr_b32 s15, s15, 27
	v_add_u32_e32 v1, s16, v1
	s_add_i32 s14, s14, s15
	v_ashrrev_i32_e32 v2, 31, v1
	s_ashr_i32 s17, s14, 5
	v_lshrrev_b32_e32 v4, 27, v2
	s_add_i32 s17, s17, -1
	s_waitcnt lgkmcnt(0)
	s_mul_i32 s14, s2, s5
	s_mov_b32 s15, 0
	v_add_u32_e32 v2, v1, v4
	s_lshl_b64 s[14:15], s[14:15], 2
	v_ashrrev_i32_e32 v2, 5, v2
	v_mov_b32_e32 v5, s17
	v_cmp_gt_i32_e32 vcc, s29, v1
	s_add_u32 s8, s8, s14
	s_addc_u32 s9, s9, s15
	v_cndmask_b32_e32 v2, v5, v2, vcc
	v_ashrrev_i32_e32 v3, 31, v2
	v_lshl_add_u64 v[6:7], v[2:3], 2, s[8:9]
	v_or_b32_e32 v2, 16, v1
	v_add_u32_e32 v3, v2, v4
	v_ashrrev_i32_e32 v3, 5, v3
	v_cmp_gt_i32_e32 vcc, s29, v2
	s_load_dwordx2 s[14:15], s[0:1], 0x8
	s_nop 0
	v_cndmask_b32_e32 v2, v5, v3, vcc
	v_ashrrev_i32_e32 v3, 31, v2
	v_lshl_add_u64 v[8:9], v[2:3], 2, s[8:9]
	v_or_b32_e32 v2, 32, v1
	v_add_u32_e32 v3, v2, v4
	v_ashrrev_i32_e32 v3, 5, v3
	v_cmp_gt_i32_e32 vcc, s29, v2
	v_or_b32_e32 v1, 48, v1
	s_nop 0
	v_cndmask_b32_e32 v2, v5, v3, vcc
	v_ashrrev_i32_e32 v3, 31, v2
	v_lshl_add_u64 v[10:11], v[2:3], 2, s[8:9]
	v_add_u32_e32 v2, v1, v4
	v_ashrrev_i32_e32 v2, 5, v2
	v_cmp_gt_i32_e32 vcc, s29, v1
	s_nop 1
	v_cndmask_b32_e32 v2, v5, v2, vcc
	v_ashrrev_i32_e32 v3, 31, v2
	v_lshl_add_u64 v[12:13], v[2:3], 2, s[8:9]
	global_load_dword v5, v[6:7], off
	global_load_dword v4, v[8:9], off
	;; [unrolled: 1-line block ×4, first 2 shown]
	s_andn2_b64 vcc, exec, s[10:11]
	s_cbranch_vccnz .LBB898_8
; %bb.6:
	s_add_u32 s6, s6, s12
	s_addc_u32 s7, s7, s13
	s_load_dword s5, s[6:7], 0x0
	s_branch .LBB898_9
.LBB898_7:
	s_mov_b64 s[12:13], 0
	s_branch .LBB898_2
.LBB898_8:
	s_mov_b32 s5, s2
.LBB898_9:
	s_load_dwordx2 s[10:11], s[0:1], 0x10
	s_load_dwordx4 s[44:47], s[0:1], 0x48
	v_lshrrev_b32_e32 v29, 6, v0
	v_bfe_u32 v42, v0, 4, 2
	v_lshl_or_b32 v6, v29, 2, v42
	v_and_b32_e32 v28, 15, v0
	v_lshlrev_b32_e32 v1, 3, v28
	v_cmp_gt_u32_e32 vcc, 11, v6
	v_cmp_gt_u32_e64 s[30:31], 8, v28
	s_mul_i32 s48, s4, 11
	s_and_b64 s[12:13], s[30:31], vcc
	v_lshlrev_b32_e32 v26, 1, v1
	v_lshlrev_b32_e32 v1, 4, v0
	s_and_saveexec_b64 s[6:7], s[12:13]
	s_cbranch_execz .LBB898_11
; %bb.10:
	s_load_dwordx2 s[12:13], s[0:1], 0x0
	s_waitcnt lgkmcnt(0)
	s_ashr_i32 s18, s44, 31
	s_mul_hi_u32 s19, s5, s44
	s_mul_i32 s18, s5, s18
	s_add_i32 s19, s19, s18
	s_mul_i32 s18, s5, s44
	s_lshl_b64 s[18:19], s[18:19], 1
	s_add_u32 s12, s12, s18
	v_add_lshl_u32 v8, v6, s48, 6
	s_addc_u32 s13, s13, s19
	v_ashrrev_i32_e32 v9, 31, v8
	v_lshl_add_u64 v[8:9], v[8:9], 1, s[12:13]
	v_mov_b32_e32 v27, 0
	v_lshl_add_u64 v[8:9], v[8:9], 0, v[26:27]
	global_load_dwordx4 v[8:11], v[8:9], off
	v_lshlrev_b32_e32 v12, 8, v28
	v_lshlrev_b32_e32 v6, 5, v6
	v_and_b32_e32 v7, 16, v1
	v_and_b32_e32 v12, 0xe00, v12
	v_or3_b32 v6, v12, v6, v7
	s_waitcnt vmcnt(0)
	ds_write_b128 v6, v[8:11]
.LBB898_11:
	s_or_b64 exec, exec, s[6:7]
	s_waitcnt lgkmcnt(0)
	s_mul_i32 s12, s4, s46
	s_add_u32 s4, s14, s12
	s_addc_u32 s5, s15, 0
	v_mov_b32_e32 v31, 0
	v_mov_b64_e32 v[6:7], s[4:5]
	v_lshlrev_b32_e32 v10, 4, v28
	v_and_b32_e32 v27, 48, v0
	s_waitcnt vmcnt(3)
	v_mad_i64_i32 v[8:9], s[4:5], v5, s45, v[6:7]
	v_mov_b32_e32 v11, v31
	s_waitcnt vmcnt(2)
	v_mad_i64_i32 v[4:5], s[4:5], v4, s45, v[6:7]
	v_or_b32_e32 v12, 0x100, v10
	v_mov_b32_e32 v13, v31
	v_lshlrev_b32_e32 v30, 5, v27
	v_lshl_add_u64 v[8:9], v[8:9], 0, v[10:11]
	v_lshl_add_u64 v[4:5], v[4:5], 0, v[12:13]
	;; [unrolled: 1-line block ×4, first 2 shown]
	s_barrier
	global_load_dwordx4 v[22:25], v[8:9], off
	global_load_dwordx4 v[18:21], v[4:5], off
	s_waitcnt vmcnt(3)
	v_mad_i64_i32 v[4:5], s[4:5], v3, s45, v[6:7]
	v_lshl_add_u64 v[4:5], v[4:5], 0, v[10:11]
	s_waitcnt vmcnt(2)
	v_mad_i64_i32 v[2:3], s[4:5], v2, s45, v[6:7]
	v_lshl_add_u64 v[4:5], v[4:5], 0, v[30:31]
	v_lshl_add_u64 v[2:3], v[2:3], 0, v[12:13]
	;; [unrolled: 1-line block ×3, first 2 shown]
	global_load_dwordx4 v[14:17], v[4:5], off
	global_load_dwordx4 v[6:9], v[2:3], off
	v_add_u32_e32 v2, -11, v28
	v_cmp_gt_u32_e32 vcc, 11, v28
	v_and_b32_e32 v43, 63, v0
	v_mov_b32_e32 v44, 0
	v_cndmask_b32_e32 v2, v2, v28, vcc
	v_lshlrev_b32_e32 v2, 5, v2
	v_lshl_add_u32 v2, v42, 9, v2
	ds_read_b128 v[10:13], v2
	ds_read_b128 v[2:5], v2 offset:16
	s_and_saveexec_b64 s[4:5], vcc
	s_cbranch_execz .LBB898_13
; %bb.12:
	s_load_dwordx2 s[6:7], s[0:1], 0x40
	v_add_u32_e32 v32, s48, v28
	v_ashrrev_i32_e32 v33, 31, v32
	s_waitcnt lgkmcnt(0)
	v_lshl_add_u64 v[32:33], v[32:33], 2, s[6:7]
	global_load_dword v44, v[32:33], off
.LBB898_13:
	s_or_b64 exec, exec, s[4:5]
	s_ashr_i32 s4, s16, 31
	v_or_b32_e32 v45, s16, v27
	s_lshr_b32 s13, s4, 27
	v_add_u32_e32 v27, s13, v45
	v_ashrrev_i32_e32 v27, 5, v27
	s_waitcnt vmcnt(3)
	v_cvt_pk_f32_fp8_e32 v[32:33], v22
	v_cvt_pk_f32_fp8_sdwa v[34:35], v22 src0_sel:WORD_1
	s_waitcnt vmcnt(2)
	v_cvt_pk_f32_fp8_e32 v[56:57], v20
	v_cvt_pk_f32_fp8_sdwa v[58:59], v20 src0_sel:WORD_1
	v_mov_b32_e32 v20, s17
	v_cmp_gt_i32_e32 vcc, s29, v45
	v_cvt_pk_f32_fp8_e32 v[48:49], v18
	v_cvt_pk_f32_fp8_sdwa v[50:51], v18 src0_sel:WORD_1
	v_cndmask_b32_e32 v18, v20, v27, vcc
	v_cvt_pk_f32_fp8_e32 v[52:53], v19
	v_cvt_pk_f32_fp8_sdwa v[54:55], v19 src0_sel:WORD_1
	v_ashrrev_i32_e32 v19, 31, v18
	v_lshl_add_u64 v[18:19], v[18:19], 2, s[8:9]
	v_cvt_pk_f32_fp8_e32 v[36:37], v23
	v_cvt_pk_f32_fp8_sdwa v[22:23], v23 src0_sel:WORD_1
	global_load_dword v70, v[18:19], off
	v_cvt_pkrtz_f16_f32 v18, v32, v33
	v_cvt_pkrtz_f16_f32 v19, v34, v35
	v_cvt_pk_f32_fp8_e32 v[60:61], v21
	v_cvt_pk_f32_fp8_sdwa v[62:63], v21 src0_sel:WORD_1
	v_or_b32_e32 v21, 64, v45
	v_or_b32_e32 v32, 0x80, v45
	;; [unrolled: 1-line block ×3, first 2 shown]
	v_cmp_gt_i32_e32 vcc, s29, v21
	v_add_u32_e32 v21, s13, v21
	v_cmp_gt_i32_e64 s[4:5], s29, v32
	v_add_u32_e32 v32, s13, v32
	v_cmp_gt_i32_e64 s[6:7], s29, v33
	v_add_u32_e32 v33, s13, v33
	v_cvt_pk_f32_fp8_e32 v[38:39], v24
	v_cvt_pk_f32_fp8_sdwa v[40:41], v24 src0_sel:WORD_1
	v_ashrrev_i32_e32 v21, 5, v21
	v_ashrrev_i32_e32 v34, 5, v32
	;; [unrolled: 1-line block ×3, first 2 shown]
	v_cvt_pkrtz_f16_f32 v32, v36, v37
	v_cvt_pkrtz_f16_f32 v33, v22, v23
	v_cndmask_b32_e32 v36, v20, v21, vcc
	v_cndmask_b32_e64 v64, v20, v34, s[4:5]
	v_cndmask_b32_e64 v66, v20, v35, s[6:7]
	s_waitcnt lgkmcnt(1)
	v_mfma_f32_16x16x16_f16 v[18:21], v[18:19], v[10:11], 0
	v_cvt_pk_f32_fp8_e32 v[46:47], v25
	v_cvt_pkrtz_f16_f32 v22, v48, v49
	v_cvt_pkrtz_f16_f32 v23, v50, v51
	v_cvt_pk_f32_fp8_sdwa v[24:25], v25 src0_sel:WORD_1
	v_cvt_pkrtz_f16_f32 v38, v38, v39
	v_cvt_pkrtz_f16_f32 v39, v40, v41
	v_mfma_f32_16x16x16_f16 v[32:35], v[32:33], v[12:13], v[18:21]
	s_add_u32 s10, s10, s12
	v_and_b32_e32 v30, 16, v0
	v_lshlrev_b32_e32 v27, 5, v28
	s_addc_u32 s11, s11, 0
	v_cvt_pkrtz_f16_f32 v68, v46, v47
	v_cvt_pkrtz_f16_f32 v46, v52, v53
	;; [unrolled: 1-line block ×3, first 2 shown]
	s_load_dword s14, s[0:1], 0x1c
	s_load_dwordx4 s[40:43], s[0:1], 0x80
	v_lshl_add_u64 v[40:41], s[10:11], 0, v[30:31]
	v_lshl_or_b32 v30, v29, 9, v27
	v_cvt_pkrtz_f16_f32 v69, v24, v25
	v_mfma_f32_16x16x16_f16 v[22:25], v[22:23], v[10:11], 0
	v_lshl_add_u64 v[18:19], v[40:41], 0, v[30:31]
	v_ashrrev_i32_e32 v37, 31, v36
	v_ashrrev_i32_e32 v65, 31, v64
	s_waitcnt lgkmcnt(0)
	v_mfma_f32_16x16x16_f16 v[30:33], v[38:39], v[2:3], v[32:35]
	v_ashrrev_i32_e32 v67, 31, v66
	v_cvt_pkrtz_f16_f32 v48, v56, v57
	v_cvt_pkrtz_f16_f32 v49, v58, v59
	v_mfma_f32_16x16x16_f16 v[20:23], v[46:47], v[12:13], v[22:25]
	v_lshl_add_u64 v[34:35], v[64:65], 2, s[8:9]
	s_load_dword s4, s[40:41], 0x0
	v_cvt_pkrtz_f16_f32 v50, v60, v61
	v_lshl_add_u64 v[24:25], v[36:37], 2, s[8:9]
	v_lshl_add_u64 v[36:37], v[66:67], 2, s[8:9]
	global_load_dword v47, v[24:25], off
	global_load_dword v45, v[34:35], off
	;; [unrolled: 1-line block ×3, first 2 shown]
	v_mfma_f32_16x16x16_f16 v[34:37], v[68:69], v[4:5], v[30:33]
	s_waitcnt vmcnt(5)
	v_cvt_pk_f32_fp8_e32 v[24:25], v14
	v_cvt_pkrtz_f16_f32 v51, v62, v63
	v_cvt_pk_f32_fp8_e32 v[38:39], v15
	v_cvt_pk_f32_fp8_sdwa v[32:33], v14 src0_sel:WORD_1
	v_mfma_f32_16x16x16_f16 v[20:23], v[48:49], v[2:3], v[20:23]
	v_cvt_pkrtz_f16_f32 v24, v24, v25
	v_cvt_pk_f32_fp8_sdwa v[14:15], v15 src0_sel:WORD_1
	v_cvt_pkrtz_f16_f32 v25, v32, v33
	v_mov_b32_e32 v40, s14
	v_mfma_f32_16x16x16_f16 v[20:23], v[50:51], v[4:5], v[20:23]
	v_cvt_pkrtz_f16_f32 v32, v38, v39
	v_cvt_pk_f32_fp8_e32 v[50:51], v16
	v_cvt_pk_f32_fp8_sdwa v[52:53], v16 src0_sel:WORD_1
	v_cvt_pkrtz_f16_f32 v33, v14, v15
	s_waitcnt lgkmcnt(0)
	v_mul_f32_e32 v48, s4, v40
	v_mfma_f32_16x16x16_f16 v[38:41], v[24:25], v[10:11], 0
	v_cvt_pkrtz_f16_f32 v24, v50, v51
	v_cvt_pkrtz_f16_f32 v25, v52, v53
	v_cvt_pk_f32_fp8_e32 v[50:51], v17
	v_cvt_pk_f32_fp8_sdwa v[52:53], v17 src0_sel:WORD_1
	v_mfma_f32_16x16x16_f16 v[14:17], v[32:33], v[12:13], v[38:41]
	v_pk_mul_f32 v[32:33], v[48:49], v[36:37] op_sel_hi:[0,1]
	v_cvt_pkrtz_f16_f32 v36, v50, v51
	v_cvt_pkrtz_f16_f32 v37, v52, v53
	v_mfma_f32_16x16x16_f16 v[14:17], v[24:25], v[2:3], v[14:17]
	v_pk_mul_f32 v[38:39], v[48:49], v[34:35] op_sel_hi:[0,1]
	s_waitcnt vmcnt(4)
	v_cvt_pk_f32_fp8_e32 v[24:25], v6
	v_cvt_pk_f32_fp8_sdwa v[34:35], v6 src0_sel:WORD_1
	v_mfma_f32_16x16x16_f16 v[14:17], v[36:37], v[4:5], v[14:17]
	v_cvt_pk_f32_fp8_e32 v[36:37], v7
	v_cvt_pkrtz_f16_f32 v24, v24, v25
	v_cvt_pkrtz_f16_f32 v25, v34, v35
	v_cvt_pk_f32_fp8_sdwa v[6:7], v7 src0_sel:WORD_1
	v_cvt_pkrtz_f16_f32 v40, v36, v37
	v_cvt_pk_f32_fp8_e32 v[50:51], v8
	v_cvt_pk_f32_fp8_sdwa v[52:53], v8 src0_sel:WORD_1
	v_cvt_pkrtz_f16_f32 v41, v6, v7
	v_mfma_f32_16x16x16_f16 v[34:37], v[24:25], v[10:11], 0
	v_cvt_pkrtz_f16_f32 v10, v50, v51
	v_cvt_pkrtz_f16_f32 v11, v52, v53
	v_cvt_pk_f32_fp8_e32 v[24:25], v9
	v_cvt_pk_f32_fp8_sdwa v[50:51], v9 src0_sel:WORD_1
	v_mfma_f32_16x16x16_f16 v[6:9], v[40:41], v[12:13], v[34:37]
	v_pk_mul_f32 v[40:41], v[48:49], v[20:21] op_sel_hi:[0,1]
	v_cvt_pkrtz_f16_f32 v12, v24, v25
	v_cvt_pkrtz_f16_f32 v13, v50, v51
	v_mfma_f32_16x16x16_f16 v[6:9], v[10:11], v[2:3], v[6:9]
	v_pk_mul_f32 v[36:37], v[48:49], v[22:23] op_sel_hi:[0,1]
	v_pk_mul_f32 v[24:25], v[48:49], v[16:17] op_sel_hi:[0,1]
	;; [unrolled: 1-line block ×3, first 2 shown]
	v_mfma_f32_16x16x16_f16 v[2:5], v[12:13], v[4:5], v[6:9]
	s_waitcnt vmcnt(3)
	v_mad_i64_i32 v[30:31], s[4:5], v70, s45, v[18:19]
	s_mov_b32 s33, 0xff7fffff
	s_nop 3
	v_pk_mul_f32 v[22:23], v[48:49], v[2:3] op_sel_hi:[0,1]
	v_and_b32_e32 v2, 0xc0, v0
	v_add_u32_e32 v2, s16, v2
	v_lshl_or_b32 v2, v42, 2, v2
	v_or_b32_e32 v3, 1, v2
	v_pk_mul_f32 v[20:21], v[48:49], v[4:5] op_sel_hi:[0,1]
	v_subrev_u32_e32 v4, s29, v3
	v_add_u32_e32 v6, 1, v4
	v_add_u32_e32 v7, 2, v4
	;; [unrolled: 1-line block ×3, first 2 shown]
	v_cvt_f32_i32_e32 v6, v6
	v_cvt_f32_i32_e32 v7, v7
	;; [unrolled: 1-line block ×3, first 2 shown]
	v_add_u32_e32 v9, 19, v4
	v_fmac_f32_e32 v39, v44, v6
	v_fma_f32 v32, v44, v7, v32
	v_fmac_f32_e32 v33, v44, v8
	v_add_u32_e32 v6, 16, v4
	v_add_u32_e32 v7, 17, v4
	;; [unrolled: 1-line block ×3, first 2 shown]
	v_cvt_f32_i32_e32 v6, v6
	v_cvt_f32_i32_e32 v7, v7
	;; [unrolled: 1-line block ×4, first 2 shown]
	v_fma_f32 v40, v44, v6, v40
	v_fmac_f32_e32 v41, v44, v7
	v_fma_f32 v36, v44, v8, v36
	v_add_u32_e32 v6, 32, v4
	v_add_u32_e32 v7, 33, v4
	;; [unrolled: 1-line block ×3, first 2 shown]
	v_cvt_f32_i32_e32 v6, v6
	v_cvt_f32_i32_e32 v7, v7
	;; [unrolled: 1-line block ×4, first 2 shown]
	v_fmac_f32_e32 v37, v44, v9
	v_add_u32_e32 v9, 35, v4
	v_fma_f32 v48, v44, v6, v34
	v_fmac_f32_e32 v35, v44, v7
	v_fma_f32 v24, v44, v8, v24
	v_add_u32_e32 v6, 48, v4
	v_add_u32_e32 v7, 49, v4
	;; [unrolled: 1-line block ×4, first 2 shown]
	v_cvt_f32_i32_e32 v4, v4
	v_cvt_f32_i32_e32 v6, v6
	;; [unrolled: 1-line block ×3, first 2 shown]
	v_fma_f32 v5, v44, v5, v38
	v_fmac_f32_e32 v21, v44, v4
	v_mov_b32_e32 v4, 0xff7fffff
	v_cmp_gt_i32_e64 s[4:5], s29, v2
	v_cmp_gt_i32_e64 s[34:35], s29, v3
	v_fma_f32 v22, v44, v6, v22
	v_cndmask_b32_e64 v6, v4, v5, s[4:5]
	v_cndmask_b32_e64 v3, v4, v39, s[34:35]
	v_fmac_f32_e32 v23, v44, v7
	v_max3_f32 v3, v6, s33, v3
	v_or_b32_e32 v6, 2, v2
	v_or_b32_e32 v7, 3, v2
	v_cmp_gt_i32_e64 s[36:37], s29, v6
	v_cmp_gt_i32_e64 s[38:39], s29, v7
	v_cvt_f32_i32_e32 v9, v9
	v_cndmask_b32_e64 v6, v4, v32, s[36:37]
	v_cndmask_b32_e64 v7, v4, v33, s[38:39]
	v_max3_f32 v3, v3, v6, v7
	v_or_b32_e32 v6, 16, v2
	v_or_b32_e32 v7, 17, v2
	v_cmp_gt_i32_e64 s[24:25], s29, v6
	v_cmp_gt_i32_e64 s[26:27], s29, v7
	v_fmac_f32_e32 v25, v44, v9
	v_cndmask_b32_e64 v6, v4, v40, s[24:25]
	v_cndmask_b32_e64 v7, v4, v41, s[26:27]
	v_max3_f32 v3, v3, v6, v7
	v_or_b32_e32 v6, 18, v2
	v_or_b32_e32 v7, 19, v2
	v_cmp_gt_i32_e64 s[20:21], s29, v6
	v_cmp_gt_i32_e64 s[22:23], s29, v7
	v_cvt_f32_i32_e32 v8, v8
	v_cndmask_b32_e64 v6, v4, v36, s[20:21]
	v_cndmask_b32_e64 v7, v4, v37, s[22:23]
	v_max3_f32 v3, v3, v6, v7
	v_or_b32_e32 v6, 32, v2
	v_or_b32_e32 v7, 33, v2
	v_cmp_gt_i32_e64 s[16:17], s29, v6
	v_cmp_gt_i32_e64 s[18:19], s29, v7
	v_fma_f32 v20, v44, v8, v20
	v_cndmask_b32_e64 v6, v4, v48, s[16:17]
	v_cndmask_b32_e64 v7, v4, v35, s[18:19]
	v_max3_f32 v3, v3, v6, v7
	v_or_b32_e32 v6, 34, v2
	v_or_b32_e32 v7, 35, v2
	v_cmp_gt_i32_e64 s[12:13], s29, v6
	v_cmp_gt_i32_e64 s[14:15], s29, v7
	s_nop 0
	v_cndmask_b32_e64 v6, v4, v24, s[12:13]
	v_cndmask_b32_e64 v7, v4, v25, s[14:15]
	v_max3_f32 v3, v3, v6, v7
	v_or_b32_e32 v6, 48, v2
	v_or_b32_e32 v7, 49, v2
	v_cmp_gt_i32_e64 s[8:9], s29, v6
	v_cmp_gt_i32_e64 s[10:11], s29, v7
	s_nop 0
	v_cndmask_b32_e64 v6, v4, v22, s[8:9]
	v_cndmask_b32_e64 v7, v4, v23, s[10:11]
	v_max3_f32 v3, v3, v6, v7
	v_or_b32_e32 v6, 50, v2
	v_or_b32_e32 v2, 51, v2
	v_cmp_gt_i32_e32 vcc, s29, v6
	v_cmp_gt_i32_e64 s[6:7], s29, v2
	s_nop 0
	v_cndmask_b32_e32 v6, v4, v20, vcc
	v_cndmask_b32_e64 v2, v4, v21, s[6:7]
	v_max3_f32 v4, v3, v6, v2
	v_mbcnt_lo_u32_b32 v2, -1, 0
	v_mbcnt_hi_u32_b32 v6, -1, v2
	v_and_b32_e32 v2, 64, v6
	v_add_u32_e32 v7, 64, v2
	v_xor_b32_e32 v2, 32, v6
	v_cmp_lt_i32_e64 s[40:41], v2, v7
	s_nop 1
	v_cndmask_b32_e64 v2, v6, v2, s[40:41]
	v_lshlrev_b32_e32 v44, 2, v2
	ds_bpermute_b32 v8, v44, v4
	s_waitcnt vmcnt(2)
	v_mad_i64_i32 v[2:3], s[40:41], v47, s45, v[18:19]
	global_load_dwordx4 v[14:17], v[30:31], off
	global_load_dwordx4 v[10:13], v[2:3], off
	v_xor_b32_e32 v3, 16, v6
	v_cmp_lt_i32_e64 s[40:41], v3, v7
	s_waitcnt lgkmcnt(0)
	v_max_f32_e32 v2, v8, v8
	v_max_f32_e32 v2, v4, v2
	v_cndmask_b32_e64 v3, v6, v3, s[40:41]
	v_lshlrev_b32_e32 v47, 2, v3
	ds_bpermute_b32 v3, v47, v2
	s_waitcnt vmcnt(3)
	v_mad_i64_i32 v[30:31], s[40:41], v45, s45, v[18:19]
	s_waitcnt vmcnt(2)
	v_mad_i64_i32 v[18:19], s[40:41], v46, s45, v[18:19]
	s_waitcnt lgkmcnt(0)
	v_max_f32_e32 v3, v3, v3
	v_max_f32_e32 v34, v2, v3
	v_sub_f32_e32 v2, v5, v34
	v_mul_f32_e32 v2, 0x3fb8aa3b, v2
	v_exp_f32_e32 v38, v2
	v_sub_f32_e32 v2, v39, v34
	v_mul_f32_e32 v2, 0x3fb8aa3b, v2
	v_exp_f32_e32 v39, v2
	global_load_dwordx4 v[6:9], v[30:31], off
	global_load_dwordx4 v[2:5], v[18:19], off
	v_sub_f32_e32 v31, v32, v34
	v_sub_f32_e32 v32, v33, v34
	v_mul_f32_e32 v31, 0x3fb8aa3b, v31
	v_mul_f32_e32 v32, 0x3fb8aa3b, v32
	v_exp_f32_e32 v31, v31
	v_exp_f32_e32 v32, v32
	v_cndmask_b32_e64 v18, 0, v38, s[4:5]
	v_cndmask_b32_e64 v19, 0, v39, s[34:35]
	;; [unrolled: 1-line block ×4, first 2 shown]
	v_sub_f32_e32 v31, v40, v34
	v_sub_f32_e32 v32, v41, v34
	v_mul_f32_e32 v31, 0x3fb8aa3b, v31
	v_mul_f32_e32 v32, 0x3fb8aa3b, v32
	v_exp_f32_e32 v31, v31
	v_exp_f32_e32 v32, v32
	v_add_f32_e32 v30, 0, v18
	v_add_f32_e32 v30, v30, v19
	;; [unrolled: 1-line block ×4, first 2 shown]
	v_cndmask_b32_e64 v30, 0, v31, s[24:25]
	v_cndmask_b32_e64 v31, 0, v32, s[26:27]
	v_sub_f32_e32 v32, v36, v34
	v_mul_f32_e32 v32, 0x3fb8aa3b, v32
	v_exp_f32_e32 v32, v32
	v_sub_f32_e32 v36, v37, v34
	v_add_f32_e32 v33, v33, v30
	v_mul_f32_e32 v36, 0x3fb8aa3b, v36
	v_exp_f32_e32 v37, v36
	v_add_f32_e32 v33, v33, v31
	v_cndmask_b32_e64 v36, 0, v32, s[20:21]
	v_add_f32_e32 v32, v33, v36
	v_sub_f32_e32 v33, v48, v34
	v_mul_f32_e32 v33, 0x3fb8aa3b, v33
	v_sub_f32_e32 v35, v35, v34
	v_exp_f32_e32 v33, v33
	v_mul_f32_e32 v35, 0x3fb8aa3b, v35
	v_sub_f32_e32 v24, v24, v34
	v_exp_f32_e32 v35, v35
	;; [unrolled: 3-line block ×3, first 2 shown]
	v_mul_f32_e32 v25, 0x3fb8aa3b, v25
	v_sub_f32_e32 v22, v22, v34
	v_cndmask_b32_e64 v37, 0, v37, s[22:23]
	v_exp_f32_e32 v25, v25
	v_mul_f32_e32 v22, 0x3fb8aa3b, v22
	v_sub_f32_e32 v23, v23, v34
	v_add_f32_e32 v40, v32, v37
	v_cndmask_b32_e64 v32, 0, v33, s[16:17]
	v_exp_f32_e32 v22, v22
	v_mul_f32_e32 v23, 0x3fb8aa3b, v23
	v_sub_f32_e32 v20, v20, v34
	v_add_f32_e32 v40, v40, v32
	;; [unrolled: 5-line block ×3, first 2 shown]
	v_cndmask_b32_e64 v24, 0, v24, s[12:13]
	v_exp_f32_e32 v20, v20
	v_mul_f32_e32 v21, 0x3fb8aa3b, v21
	v_add_f32_e32 v35, v35, v24
	v_cndmask_b32_e64 v25, 0, v25, s[14:15]
	v_exp_f32_e32 v21, v21
	v_add_f32_e32 v35, v35, v25
	v_cndmask_b32_e64 v22, 0, v22, s[8:9]
	v_add_f32_e32 v35, v35, v22
	v_cndmask_b32_e64 v23, 0, v23, s[10:11]
	v_add_f32_e32 v35, v35, v23
	v_cndmask_b32_e32 v20, 0, v20, vcc
	v_add_f32_e32 v35, v35, v20
	v_cndmask_b32_e64 v21, 0, v21, s[6:7]
	v_add_f32_e32 v35, v35, v21
	ds_bpermute_b32 v40, v44, v35
	s_load_dword s7, s[0:1], 0x98
	v_cmp_gt_u32_e32 vcc, 16, v43
	s_waitcnt lgkmcnt(0)
	s_barrier
	v_add_f32_e32 v40, v35, v40
	ds_bpermute_b32 v41, v47, v40
	v_lshlrev_b32_e32 v35, 2, v28
	s_waitcnt lgkmcnt(0)
	s_and_saveexec_b64 s[4:5], vcc
	s_cbranch_execz .LBB898_15
; %bb.14:
	v_add_f32_e32 v40, v40, v41
	v_lshl_or_b32 v41, v29, 6, v35
	ds_write2st64_b32 v41, v34, v40 offset1:1
.LBB898_15:
	s_or_b64 exec, exec, s[4:5]
	s_load_dword s6, s[0:1], 0x94
	s_waitcnt lgkmcnt(0)
	s_barrier
	ds_read2_b32 v[40:41], v35 offset1:16
	ds_read2_b32 v[44:45], v35 offset0:32 offset1:48
	ds_read2_b32 v[46:47], v35 offset0:64 offset1:80
	s_mul_i32 s7, s7, 11
	s_waitcnt lgkmcnt(2)
	v_max3_f32 v34, v40, s33, v41
	s_waitcnt lgkmcnt(1)
	v_max3_f32 v34, v34, v44, v45
	v_sub_f32_e32 v40, v40, v34
	v_mul_f32_e32 v40, 0x3fb8aa3b, v40
	v_exp_f32_e32 v43, v40
	v_sub_f32_e32 v40, v41, v34
	v_mul_f32_e32 v40, 0x3fb8aa3b, v40
	v_exp_f32_e32 v48, v40
	;; [unrolled: 3-line block ×3, first 2 shown]
	ds_read2_b32 v[40:41], v35 offset0:96 offset1:112
	v_sub_f32_e32 v35, v45, v34
	v_mul_f32_e32 v35, 0x3fb8aa3b, v35
	v_exp_f32_e32 v45, v35
	s_waitcnt lgkmcnt(1)
	v_fma_f32 v35, v43, v46, 0
	v_fmac_f32_e32 v35, v48, v47
	s_waitcnt lgkmcnt(0)
	v_fmac_f32_e32 v35, v44, v40
	v_fmac_f32_e32 v35, v45, v41
	v_add_f32_e32 v40, 0x358637bd, v35
	v_div_scale_f32 v41, s[4:5], v40, v40, 1.0
	v_rcp_f32_e32 v46, v41
	s_barrier
	v_fma_f32 v47, -v41, v46, 1.0
	v_fmac_f32_e32 v46, v47, v46
	v_div_scale_f32 v47, vcc, 1.0, v40, 1.0
	v_mul_f32_e32 v49, v47, v46
	v_fma_f32 v50, -v41, v49, v47
	v_fmac_f32_e32 v49, v50, v46
	v_fma_f32 v41, -v41, v49, v47
	v_div_fmas_f32 v41, v41, v46, v49
	v_cmp_eq_u32_e32 vcc, 1, v29
	v_div_fixup_f32 v40, v41, v40, 1.0
	s_nop 0
	v_cndmask_b32_e32 v41, v43, v48, vcc
	v_cmp_eq_u32_e32 vcc, 2, v29
	s_nop 1
	v_cndmask_b32_e32 v41, v41, v44, vcc
	v_cmp_eq_u32_e32 vcc, 3, v29
	s_nop 1
	v_cndmask_b32_e32 v41, v41, v45, vcc
	v_mul_f32_e32 v40, v41, v40
	v_pk_mul_f32 v[38:39], v[40:41], v[38:39] op_sel_hi:[0,1]
	v_pk_mul_f32 v[18:19], v[40:41], v[18:19] op_sel_hi:[0,1]
	v_cvt_f16_f32_e32 v41, v38
	v_cvt_f16_f32_e32 v39, v39
	;; [unrolled: 1-line block ×4, first 2 shown]
	v_cmp_gt_u32_e32 vcc, 11, v0
	v_pack_b32_f16 v39, v41, v39
	v_lshlrev_b32_e32 v41, 3, v42
	v_pack_b32_f16 v38, v18, v19
	v_pk_mul_f32 v[18:19], v[40:41], v[36:37] op_sel_hi:[0,1]
	v_pk_mul_f32 v[30:31], v[40:41], v[30:31] op_sel_hi:[0,1]
	v_cvt_f16_f32_e32 v30, v30
	v_cvt_f16_f32_e32 v31, v31
	;; [unrolled: 1-line block ×4, first 2 shown]
	v_lshlrev_b32_e32 v18, 11, v29
	v_or3_b32 v18, v18, v27, v41
	v_pack_b32_f16 v30, v30, v31
	v_pack_b32_f16 v31, v36, v19
	ds_write2st64_b64 v18, v[38:39], v[30:31] offset1:1
	v_pk_mul_f32 v[24:25], v[40:41], v[24:25] op_sel_hi:[0,1]
	v_pk_mul_f32 v[30:31], v[40:41], v[32:33] op_sel_hi:[0,1]
	;; [unrolled: 1-line block ×4, first 2 shown]
	v_cvt_f16_f32_e32 v19, v30
	v_cvt_f16_f32_e32 v29, v31
	v_cvt_f16_f32_e32 v24, v24
	v_cvt_f16_f32_e32 v25, v25
	v_cvt_f16_f32_e32 v22, v22
	v_cvt_f16_f32_e32 v23, v23
	v_cvt_f16_f32_e32 v30, v20
	v_cvt_f16_f32_e32 v31, v21
	v_pack_b32_f16 v20, v19, v29
	v_pack_b32_f16 v21, v24, v25
	;; [unrolled: 1-line block ×4, first 2 shown]
	ds_write2st64_b64 v18, v[20:21], v[22:23] offset0:2 offset1:3
	s_and_saveexec_b64 s[4:5], vcc
	s_cbranch_execz .LBB898_17
; %bb.16:
	s_mov_b32 s49, 0
	v_mov_b32_e32 v29, 0
	v_lshl_add_u64 v[20:21], s[48:49], 0, v[28:29]
	v_mov_b32_e32 v19, s7
	v_mad_u64_u32 v[20:21], s[12:13], s2, v19, v[20:21]
	s_mul_i32 s3, s3, s7
	v_mov_b32_e32 v28, s28
	s_load_dwordx4 s[8:11], s[0:1], 0x58
	v_add_u32_e32 v19, s3, v21
	v_mad_u64_u32 v[20:21], s[12:13], v20, s6, v[28:29]
	v_mov_b32_e32 v22, v21
	v_mad_u64_u32 v[22:23], s[12:13], v19, s6, v[22:23]
	v_mov_b32_e32 v21, v22
	v_lshlrev_b64 v[20:21], 2, v[20:21]
	s_waitcnt lgkmcnt(0)
	v_lshl_add_u64 v[22:23], s[10:11], 0, v[20:21]
	v_lshl_add_u64 v[20:21], s[8:9], 0, v[20:21]
	global_store_dword v[22:23], v34, off
	global_store_dword v[20:21], v35, off
.LBB898_17:
	s_or_b64 exec, exec, s[4:5]
	s_waitcnt vmcnt(3)
	v_cvt_pk_f32_fp8_e32 v[20:21], v14
	v_cvt_pk_f32_fp8_sdwa v[22:23], v14 src0_sel:WORD_1
	v_lshl_or_b32 v14, v42, 9, v27
	s_waitcnt lgkmcnt(0)
	s_barrier
	v_cvt_pk_f32_fp8_e32 v[24:25], v15
	v_cvt_pkrtz_f16_f32 v32, v20, v21
	v_cvt_pkrtz_f16_f32 v33, v22, v23
	v_cvt_pk_f32_fp8_sdwa v[28:29], v15 src0_sel:WORD_1
	ds_read_b128 v[20:23], v14
	v_cvt_pkrtz_f16_f32 v24, v24, v25
	v_cvt_pk_f32_fp8_e32 v[36:37], v16
	v_cvt_pkrtz_f16_f32 v25, v28, v29
	ds_read_b128 v[28:31], v14 offset:16
	v_cvt_pk_f32_fp8_sdwa v[38:39], v16 src0_sel:WORD_1
	s_waitcnt lgkmcnt(1)
	v_mfma_f32_16x16x16_f16 v[32:35], v[32:33], v[20:21], 0
	v_cvt_pkrtz_f16_f32 v36, v36, v37
	s_load_dword s4, s[42:43], 0x0
	v_cvt_pkrtz_f16_f32 v37, v38, v39
	v_cvt_pk_f32_fp8_e32 v[38:39], v17
	v_cvt_pk_f32_fp8_sdwa v[16:17], v17 src0_sel:WORD_1
	v_mfma_f32_16x16x16_f16 v[20:23], v[24:25], v[22:23], v[32:35]
	v_cmp_gt_u32_e32 vcc, 64, v0
	v_cvt_pkrtz_f16_f32 v24, v38, v39
	v_cvt_pkrtz_f16_f32 v25, v16, v17
	s_waitcnt lgkmcnt(0)
	v_mfma_f32_16x16x16_f16 v[20:23], v[36:37], v[28:29], v[20:23]
	s_waitcnt vmcnt(2)
	v_cvt_pk_f32_fp8_e32 v[16:17], v10
	v_cvt_pk_f32_fp8_e32 v[28:29], v11
	v_cvt_pk_f32_fp8_sdwa v[36:37], v12 src0_sel:WORD_1
	v_mfma_f32_16x16x16_f16 v[20:23], v[24:25], v[30:31], v[20:23]
	v_cvt_pk_f32_fp8_sdwa v[24:25], v10 src0_sel:WORD_1
	v_cvt_pkrtz_f16_f32 v10, v16, v17
	v_cvt_pk_f32_fp8_sdwa v[16:17], v11 src0_sel:WORD_1
	ds_read_b128 v[32:35], v14 offset:2064
	v_cvt_pkrtz_f16_f32 v11, v24, v25
	v_cvt_pkrtz_f16_f32 v24, v28, v29
	ds_read_b128 v[28:31], v14 offset:2048
	v_cvt_pkrtz_f16_f32 v25, v16, v17
	v_cvt_pk_f32_fp8_e32 v[16:17], v12
	s_waitcnt lgkmcnt(0)
	v_mfma_f32_16x16x16_f16 v[20:23], v[10:11], v[28:29], v[20:23]
	v_cvt_pkrtz_f16_f32 v10, v16, v17
	v_cvt_pkrtz_f16_f32 v11, v36, v37
	v_cvt_pk_f32_fp8_e32 v[16:17], v13
	v_mfma_f32_16x16x16_f16 v[20:23], v[24:25], v[30:31], v[20:23]
	v_cvt_pk_f32_fp8_sdwa v[24:25], v13 src0_sel:WORD_1
	ds_read_b128 v[28:31], v14 offset:4112
	v_cvt_pkrtz_f16_f32 v16, v16, v17
	v_mfma_f32_16x16x16_f16 v[10:13], v[10:11], v[32:33], v[20:23]
	v_cvt_pkrtz_f16_f32 v17, v24, v25
	s_waitcnt vmcnt(1)
	v_cvt_pk_f32_fp8_sdwa v[24:25], v7 src0_sel:WORD_1
	v_cvt_pk_f32_fp8_sdwa v[32:33], v8 src0_sel:WORD_1
	v_cvt_pk_f32_fp8_e32 v[20:21], v6
	v_mfma_f32_16x16x16_f16 v[10:13], v[16:17], v[34:35], v[10:13]
	v_cvt_pk_f32_fp8_sdwa v[16:17], v6 src0_sel:WORD_1
	v_cvt_pk_f32_fp8_e32 v[22:23], v7
	v_cvt_pkrtz_f16_f32 v6, v20, v21
	s_mov_b32 s3, 0
	v_cvt_pkrtz_f16_f32 v7, v16, v17
	v_cvt_pkrtz_f16_f32 v16, v22, v23
	ds_read_b128 v[20:23], v14 offset:4096
	v_cvt_pkrtz_f16_f32 v17, v24, v25
	v_cvt_pk_f32_fp8_e32 v[24:25], v8
	s_waitcnt lgkmcnt(0)
	v_mfma_f32_16x16x16_f16 v[10:13], v[6:7], v[20:21], v[10:13]
	v_cvt_pkrtz_f16_f32 v6, v24, v25
	v_cvt_pkrtz_f16_f32 v7, v32, v33
	v_cvt_pk_f32_fp8_e32 v[20:21], v9
	v_mfma_f32_16x16x16_f16 v[10:13], v[16:17], v[22:23], v[10:13]
	v_cvt_pk_f32_fp8_sdwa v[16:17], v9 src0_sel:WORD_1
	s_waitcnt vmcnt(0)
	v_cvt_pk_f32_fp8_sdwa v[24:25], v4 src0_sel:WORD_1
	v_cvt_pkrtz_f16_f32 v20, v20, v21
	v_mfma_f32_16x16x16_f16 v[6:9], v[6:7], v[28:29], v[10:13]
	v_cvt_pkrtz_f16_f32 v21, v16, v17
	v_cvt_pk_f32_fp8_e32 v[16:17], v3
	v_mov_b32_e32 v27, 0
	v_cvt_pk_f32_fp8_e32 v[10:11], v2
	v_cvt_pk_f32_fp8_sdwa v[12:13], v2 src0_sel:WORD_1
	v_mfma_f32_16x16x16_f16 v[6:9], v[20:21], v[30:31], v[6:9]
	v_cvt_pk_f32_fp8_sdwa v[20:21], v3 src0_sel:WORD_1
	v_cvt_pkrtz_f16_f32 v2, v10, v11
	v_cvt_pkrtz_f16_f32 v3, v12, v13
	ds_read_b128 v[10:13], v14 offset:6144
	v_cvt_pkrtz_f16_f32 v22, v16, v17
	v_cvt_pkrtz_f16_f32 v23, v20, v21
	v_cvt_pk_f32_fp8_e32 v[20:21], v4
	s_waitcnt lgkmcnt(0)
	v_mfma_f32_16x16x16_f16 v[6:9], v[2:3], v[10:11], v[6:9]
	ds_read_b128 v[14:17], v14 offset:6160
	v_cvt_pkrtz_f16_f32 v2, v20, v21
	v_cvt_pkrtz_f16_f32 v3, v24, v25
	v_cvt_pk_f32_fp8_e32 v[10:11], v5
	v_mfma_f32_16x16x16_f16 v[6:9], v[22:23], v[12:13], v[6:9]
	v_cvt_pk_f32_fp8_sdwa v[12:13], v5 src0_sel:WORD_1
	s_waitcnt lgkmcnt(0)
	v_cvt_pkrtz_f16_f32 v10, v10, v11
	v_mfma_f32_16x16x16_f16 v[2:5], v[2:3], v[14:15], v[6:9]
	v_cvt_pkrtz_f16_f32 v11, v12, v13
	s_barrier
	s_nop 0
	v_mfma_f32_16x16x16_f16 v[2:5], v[10:11], v[16:17], v[2:5]
	s_nop 6
	v_pk_mul_f32 v[4:5], v[4:5], s[4:5] op_sel_hi:[1,0]
	v_pk_mul_f32 v[2:3], v[2:3], s[4:5] op_sel_hi:[1,0]
	v_cvt_f16_f32_e32 v4, v4
	v_cvt_f16_f32_e32 v2, v2
	v_cvt_f16_f32_e32 v3, v3
	v_cvt_f16_f32_e32 v5, v5
	s_and_b64 s[4:5], vcc, s[30:31]
	v_pack_b32_f16 v2, v2, v3
	v_pack_b32_f16 v3, v4, v5
	ds_write_b64 v18, v[2:3]
	s_waitcnt lgkmcnt(0)
	s_barrier
	s_and_saveexec_b64 s[8:9], s[4:5]
	s_cbranch_execz .LBB898_20
; %bb.18:
	s_load_dwordx2 s[4:5], s[0:1], 0x68
	s_lshl_b32 s0, s6, 6
	s_mul_i32 s1, s7, s2
	s_mul_hi_u32 s7, s1, s0
	s_mul_i32 s6, s1, s0
	v_lshlrev_b32_e32 v0, 10, v0
	s_lshl_b64 s[6:7], s[6:7], 1
	v_and_b32_e32 v0, 0x1800, v0
	v_lshlrev_b32_e32 v2, 5, v42
	v_and_b32_e32 v1, 16, v1
	s_waitcnt lgkmcnt(0)
	s_add_u32 s1, s4, s6
	v_or3_b32 v2, v0, v2, v1
	s_addc_u32 s4, s5, s7
	s_lshl_b32 s2, s28, 6
	s_lshl_b64 s[2:3], s[2:3], 1
	ds_read_b128 v[4:7], v2 offset:128
	ds_read_b128 v[8:11], v2
	s_add_u32 s2, s1, s2
	s_addc_u32 s3, s4, s3
	v_add_u32_e32 v3, s48, v42
	v_lshl_add_u64 v[0:1], s[2:3], 0, v[26:27]
	v_mad_u64_u32 v[12:13], s[2:3], v3, s0, 0
	v_lshl_add_u64 v[12:13], v[12:13], 1, v[0:1]
	v_add_u32_e32 v3, 4, v3
	s_waitcnt lgkmcnt(0)
	global_store_dwordx4 v[12:13], v[8:11], off
	v_cmp_ne_u32_e32 vcc, 3, v42
	s_nop 0
	v_mad_u64_u32 v[8:9], s[2:3], v3, s0, 0
	v_lshl_add_u64 v[8:9], v[8:9], 1, v[0:1]
	global_store_dwordx4 v[8:9], v[4:7], off
	s_and_b64 exec, exec, vcc
	s_cbranch_execz .LBB898_20
; %bb.19:
	ds_read_b128 v[2:5], v2 offset:256
	v_add3_u32 v6, s48, v42, 8
	v_mad_u64_u32 v[6:7], s[0:1], v6, s0, 0
	v_lshl_add_u64 v[0:1], v[6:7], 1, v[0:1]
	s_waitcnt lgkmcnt(0)
	global_store_dwordx4 v[0:1], v[2:5], off
.LBB898_20:
	s_endpgm
	.section	.rodata,"a",@progbits
	.p2align	6, 0x0
	.amdhsa_kernel _Z39paged_attention_ll4mi_QKV_mfma16_kernelIDF16_hLN4vllm18Fp8KVCacheDataTypeE1EDF16_Li32ELi64ELi256ELb1ELi11EEvPKT_PKT0_S7_ifPKiS9_S9_iPKfiiiPfSC_PS2_PT2_iSB_SB_
		.amdhsa_group_segment_fixed_size 8192
		.amdhsa_private_segment_fixed_size 0
		.amdhsa_kernarg_size 400
		.amdhsa_user_sgpr_count 2
		.amdhsa_user_sgpr_dispatch_ptr 0
		.amdhsa_user_sgpr_queue_ptr 0
		.amdhsa_user_sgpr_kernarg_segment_ptr 1
		.amdhsa_user_sgpr_dispatch_id 0
		.amdhsa_user_sgpr_kernarg_preload_length 0
		.amdhsa_user_sgpr_kernarg_preload_offset 0
		.amdhsa_user_sgpr_private_segment_size 0
		.amdhsa_uses_dynamic_stack 0
		.amdhsa_enable_private_segment 0
		.amdhsa_system_sgpr_workgroup_id_x 1
		.amdhsa_system_sgpr_workgroup_id_y 1
		.amdhsa_system_sgpr_workgroup_id_z 1
		.amdhsa_system_sgpr_workgroup_info 0
		.amdhsa_system_vgpr_workitem_id 0
		.amdhsa_next_free_vgpr 71
		.amdhsa_next_free_sgpr 50
		.amdhsa_accum_offset 72
		.amdhsa_reserve_vcc 1
		.amdhsa_float_round_mode_32 0
		.amdhsa_float_round_mode_16_64 0
		.amdhsa_float_denorm_mode_32 3
		.amdhsa_float_denorm_mode_16_64 3
		.amdhsa_dx10_clamp 1
		.amdhsa_ieee_mode 1
		.amdhsa_fp16_overflow 0
		.amdhsa_tg_split 0
		.amdhsa_exception_fp_ieee_invalid_op 0
		.amdhsa_exception_fp_denorm_src 0
		.amdhsa_exception_fp_ieee_div_zero 0
		.amdhsa_exception_fp_ieee_overflow 0
		.amdhsa_exception_fp_ieee_underflow 0
		.amdhsa_exception_fp_ieee_inexact 0
		.amdhsa_exception_int_div_zero 0
	.end_amdhsa_kernel
	.section	.text._Z39paged_attention_ll4mi_QKV_mfma16_kernelIDF16_hLN4vllm18Fp8KVCacheDataTypeE1EDF16_Li32ELi64ELi256ELb1ELi11EEvPKT_PKT0_S7_ifPKiS9_S9_iPKfiiiPfSC_PS2_PT2_iSB_SB_,"axG",@progbits,_Z39paged_attention_ll4mi_QKV_mfma16_kernelIDF16_hLN4vllm18Fp8KVCacheDataTypeE1EDF16_Li32ELi64ELi256ELb1ELi11EEvPKT_PKT0_S7_ifPKiS9_S9_iPKfiiiPfSC_PS2_PT2_iSB_SB_,comdat
.Lfunc_end898:
	.size	_Z39paged_attention_ll4mi_QKV_mfma16_kernelIDF16_hLN4vllm18Fp8KVCacheDataTypeE1EDF16_Li32ELi64ELi256ELb1ELi11EEvPKT_PKT0_S7_ifPKiS9_S9_iPKfiiiPfSC_PS2_PT2_iSB_SB_, .Lfunc_end898-_Z39paged_attention_ll4mi_QKV_mfma16_kernelIDF16_hLN4vllm18Fp8KVCacheDataTypeE1EDF16_Li32ELi64ELi256ELb1ELi11EEvPKT_PKT0_S7_ifPKiS9_S9_iPKfiiiPfSC_PS2_PT2_iSB_SB_
                                        ; -- End function
	.section	.AMDGPU.csdata,"",@progbits
; Kernel info:
; codeLenInByte = 4972
; NumSgprs: 56
; NumVgprs: 71
; NumAgprs: 0
; TotalNumVgprs: 71
; ScratchSize: 0
; MemoryBound: 0
; FloatMode: 240
; IeeeMode: 1
; LDSByteSize: 8192 bytes/workgroup (compile time only)
; SGPRBlocks: 6
; VGPRBlocks: 8
; NumSGPRsForWavesPerEU: 56
; NumVGPRsForWavesPerEU: 71
; AccumOffset: 72
; Occupancy: 7
; WaveLimiterHint : 1
; COMPUTE_PGM_RSRC2:SCRATCH_EN: 0
; COMPUTE_PGM_RSRC2:USER_SGPR: 2
; COMPUTE_PGM_RSRC2:TRAP_HANDLER: 0
; COMPUTE_PGM_RSRC2:TGID_X_EN: 1
; COMPUTE_PGM_RSRC2:TGID_Y_EN: 1
; COMPUTE_PGM_RSRC2:TGID_Z_EN: 1
; COMPUTE_PGM_RSRC2:TIDIG_COMP_CNT: 0
; COMPUTE_PGM_RSRC3_GFX90A:ACCUM_OFFSET: 17
; COMPUTE_PGM_RSRC3_GFX90A:TG_SPLIT: 0
	.section	.text._Z39paged_attention_ll4mi_QKV_mfma16_kernelIDF16_hLN4vllm18Fp8KVCacheDataTypeE1EDF16_Li32ELi64ELi256ELb1ELi12EEvPKT_PKT0_S7_ifPKiS9_S9_iPKfiiiPfSC_PS2_PT2_iSB_SB_,"axG",@progbits,_Z39paged_attention_ll4mi_QKV_mfma16_kernelIDF16_hLN4vllm18Fp8KVCacheDataTypeE1EDF16_Li32ELi64ELi256ELb1ELi12EEvPKT_PKT0_S7_ifPKiS9_S9_iPKfiiiPfSC_PS2_PT2_iSB_SB_,comdat
	.protected	_Z39paged_attention_ll4mi_QKV_mfma16_kernelIDF16_hLN4vllm18Fp8KVCacheDataTypeE1EDF16_Li32ELi64ELi256ELb1ELi12EEvPKT_PKT0_S7_ifPKiS9_S9_iPKfiiiPfSC_PS2_PT2_iSB_SB_ ; -- Begin function _Z39paged_attention_ll4mi_QKV_mfma16_kernelIDF16_hLN4vllm18Fp8KVCacheDataTypeE1EDF16_Li32ELi64ELi256ELb1ELi12EEvPKT_PKT0_S7_ifPKiS9_S9_iPKfiiiPfSC_PS2_PT2_iSB_SB_
	.globl	_Z39paged_attention_ll4mi_QKV_mfma16_kernelIDF16_hLN4vllm18Fp8KVCacheDataTypeE1EDF16_Li32ELi64ELi256ELb1ELi12EEvPKT_PKT0_S7_ifPKiS9_S9_iPKfiiiPfSC_PS2_PT2_iSB_SB_
	.p2align	8
	.type	_Z39paged_attention_ll4mi_QKV_mfma16_kernelIDF16_hLN4vllm18Fp8KVCacheDataTypeE1EDF16_Li32ELi64ELi256ELb1ELi12EEvPKT_PKT0_S7_ifPKiS9_S9_iPKfiiiPfSC_PS2_PT2_iSB_SB_,@function
_Z39paged_attention_ll4mi_QKV_mfma16_kernelIDF16_hLN4vllm18Fp8KVCacheDataTypeE1EDF16_Li32ELi64ELi256ELb1ELi12EEvPKT_PKT0_S7_ifPKiS9_S9_iPKfiiiPfSC_PS2_PT2_iSB_SB_: ; @_Z39paged_attention_ll4mi_QKV_mfma16_kernelIDF16_hLN4vllm18Fp8KVCacheDataTypeE1EDF16_Li32ELi64ELi256ELb1ELi12EEvPKT_PKT0_S7_ifPKiS9_S9_iPKfiiiPfSC_PS2_PT2_iSB_SB_
; %bb.0:
	s_load_dwordx2 s[6:7], s[0:1], 0x30
	s_mov_b32 s28, s3
	s_mov_b64 s[8:9], 0
	s_waitcnt lgkmcnt(0)
	s_cmp_lg_u64 s[6:7], 0
	s_cselect_b64 s[10:11], -1, 0
	s_and_b64 vcc, exec, s[10:11]
	s_cbranch_vccz .LBB899_7
; %bb.1:
	s_add_i32 s12, s2, 1
	s_mov_b32 s13, 0
	s_lshl_b64 s[14:15], s[12:13], 2
	s_add_u32 s14, s6, s14
	s_mov_b32 s3, s13
	s_addc_u32 s15, s7, s15
	s_lshl_b64 s[12:13], s[2:3], 2
	s_add_u32 s12, s6, s12
	s_addc_u32 s13, s7, s13
	s_load_dword s5, s[14:15], 0x0
	s_load_dword s16, s[12:13], 0x0
	s_waitcnt lgkmcnt(0)
	s_sub_i32 s5, s5, s16
	s_cmp_eq_u32 s5, 1
	s_cselect_b64 s[12:13], -1, 0
	s_andn2_b64 vcc, exec, s[8:9]
	s_cbranch_vccnz .LBB899_3
.LBB899_2:
	s_mov_b32 s3, 0
	s_mov_b64 s[12:13], -1
.LBB899_3:
	s_andn2_b64 vcc, exec, s[12:13]
	s_cbranch_vccnz .LBB899_19
; %bb.4:
	s_load_dwordx2 s[8:9], s[0:1], 0x28
	s_lshl_b64 s[12:13], s[2:3], 2
	s_waitcnt lgkmcnt(0)
	s_add_u32 s8, s8, s12
	s_addc_u32 s9, s9, s13
	s_load_dword s29, s[8:9], 0x0
	s_lshl_b32 s16, s28, 8
	s_waitcnt lgkmcnt(0)
	s_cmp_ge_i32 s16, s29
	s_cbranch_scc1 .LBB899_19
; %bb.5:
	s_load_dwordx2 s[8:9], s[0:1], 0x20
	s_load_dword s5, s[0:1], 0x38
	s_add_i32 s14, s29, 31
	s_ashr_i32 s15, s14, 31
	v_and_b32_e32 v1, 0xcf, v0
	s_lshr_b32 s15, s15, 27
	v_add_u32_e32 v1, s16, v1
	s_add_i32 s14, s14, s15
	v_ashrrev_i32_e32 v2, 31, v1
	s_ashr_i32 s17, s14, 5
	v_lshrrev_b32_e32 v4, 27, v2
	s_add_i32 s17, s17, -1
	s_waitcnt lgkmcnt(0)
	s_mul_i32 s14, s2, s5
	s_mov_b32 s15, 0
	v_add_u32_e32 v2, v1, v4
	s_lshl_b64 s[14:15], s[14:15], 2
	v_ashrrev_i32_e32 v2, 5, v2
	v_mov_b32_e32 v5, s17
	v_cmp_gt_i32_e32 vcc, s29, v1
	s_add_u32 s8, s8, s14
	s_addc_u32 s9, s9, s15
	v_cndmask_b32_e32 v2, v5, v2, vcc
	v_ashrrev_i32_e32 v3, 31, v2
	v_lshl_add_u64 v[6:7], v[2:3], 2, s[8:9]
	v_or_b32_e32 v2, 16, v1
	v_add_u32_e32 v3, v2, v4
	v_ashrrev_i32_e32 v3, 5, v3
	v_cmp_gt_i32_e32 vcc, s29, v2
	s_load_dwordx2 s[14:15], s[0:1], 0x8
	s_nop 0
	v_cndmask_b32_e32 v2, v5, v3, vcc
	v_ashrrev_i32_e32 v3, 31, v2
	v_lshl_add_u64 v[8:9], v[2:3], 2, s[8:9]
	v_or_b32_e32 v2, 32, v1
	v_add_u32_e32 v3, v2, v4
	v_ashrrev_i32_e32 v3, 5, v3
	v_cmp_gt_i32_e32 vcc, s29, v2
	v_or_b32_e32 v1, 48, v1
	s_nop 0
	v_cndmask_b32_e32 v2, v5, v3, vcc
	v_ashrrev_i32_e32 v3, 31, v2
	v_lshl_add_u64 v[10:11], v[2:3], 2, s[8:9]
	v_add_u32_e32 v2, v1, v4
	v_ashrrev_i32_e32 v2, 5, v2
	v_cmp_gt_i32_e32 vcc, s29, v1
	s_nop 1
	v_cndmask_b32_e32 v2, v5, v2, vcc
	v_ashrrev_i32_e32 v3, 31, v2
	v_lshl_add_u64 v[12:13], v[2:3], 2, s[8:9]
	global_load_dword v5, v[6:7], off
	global_load_dword v4, v[8:9], off
	;; [unrolled: 1-line block ×4, first 2 shown]
	s_andn2_b64 vcc, exec, s[10:11]
	s_cbranch_vccnz .LBB899_8
; %bb.6:
	s_add_u32 s6, s6, s12
	s_addc_u32 s7, s7, s13
	s_load_dword s5, s[6:7], 0x0
	s_branch .LBB899_9
.LBB899_7:
	s_mov_b64 s[12:13], 0
	s_branch .LBB899_2
.LBB899_8:
	s_mov_b32 s5, s2
.LBB899_9:
	s_load_dwordx2 s[10:11], s[0:1], 0x10
	s_load_dwordx4 s[44:47], s[0:1], 0x48
	v_and_b32_e32 v28, 15, v0
	s_movk_i32 s6, 0xc0
	v_lshlrev_b32_e32 v6, 3, v28
	v_cmp_gt_u32_e32 vcc, s6, v0
	v_cmp_gt_u32_e64 s[30:31], 8, v28
	v_lshrrev_b32_e32 v29, 6, v0
	v_bfe_u32 v1, v0, 4, 2
	s_mul_i32 s48, s4, 12
	s_and_b64 s[12:13], vcc, s[30:31]
	v_lshlrev_b32_e32 v26, 1, v6
	v_lshlrev_b32_e32 v42, 4, v0
	s_and_saveexec_b64 s[6:7], s[12:13]
	s_cbranch_execz .LBB899_11
; %bb.10:
	s_load_dwordx2 s[12:13], s[0:1], 0x0
	s_waitcnt lgkmcnt(0)
	s_ashr_i32 s18, s44, 31
	s_mul_hi_u32 s19, s5, s44
	s_mul_i32 s18, s5, s18
	s_add_i32 s19, s19, s18
	s_mul_i32 s18, s5, s44
	v_lshl_or_b32 v10, v29, 2, v1
	s_lshl_b64 s[18:19], s[18:19], 1
	s_add_u32 s12, s12, s18
	v_add_lshl_u32 v6, v10, s48, 6
	s_addc_u32 s13, s13, s19
	v_ashrrev_i32_e32 v7, 31, v6
	v_lshl_add_u64 v[6:7], v[6:7], 1, s[12:13]
	v_mov_b32_e32 v27, 0
	v_lshl_add_u64 v[6:7], v[6:7], 0, v[26:27]
	global_load_dwordx4 v[6:9], v[6:7], off
	v_lshlrev_b32_e32 v12, 8, v28
	v_lshlrev_b32_e32 v10, 5, v10
	v_and_b32_e32 v11, 16, v42
	v_and_b32_e32 v12, 0xe00, v12
	v_or3_b32 v10, v12, v10, v11
	s_waitcnt vmcnt(0)
	ds_write_b128 v10, v[6:9]
.LBB899_11:
	s_or_b64 exec, exec, s[6:7]
	s_waitcnt lgkmcnt(0)
	s_mul_i32 s12, s4, s46
	s_add_u32 s4, s14, s12
	s_addc_u32 s5, s15, 0
	v_mov_b32_e32 v31, 0
	v_mov_b64_e32 v[6:7], s[4:5]
	v_lshlrev_b32_e32 v10, 4, v28
	v_and_b32_e32 v27, 48, v0
	s_waitcnt vmcnt(3)
	v_mad_i64_i32 v[8:9], s[4:5], v5, s45, v[6:7]
	v_mov_b32_e32 v11, v31
	s_waitcnt vmcnt(2)
	v_mad_i64_i32 v[4:5], s[4:5], v4, s45, v[6:7]
	v_or_b32_e32 v12, 0x100, v10
	v_mov_b32_e32 v13, v31
	v_lshlrev_b32_e32 v30, 5, v27
	v_lshl_add_u64 v[8:9], v[8:9], 0, v[10:11]
	v_lshl_add_u64 v[4:5], v[4:5], 0, v[12:13]
	;; [unrolled: 1-line block ×4, first 2 shown]
	s_barrier
	global_load_dwordx4 v[22:25], v[8:9], off
	global_load_dwordx4 v[18:21], v[4:5], off
	s_waitcnt vmcnt(3)
	v_mad_i64_i32 v[4:5], s[4:5], v3, s45, v[6:7]
	v_lshl_add_u64 v[4:5], v[4:5], 0, v[10:11]
	s_waitcnt vmcnt(2)
	v_mad_i64_i32 v[2:3], s[4:5], v2, s45, v[6:7]
	v_lshl_add_u64 v[4:5], v[4:5], 0, v[30:31]
	v_lshl_add_u64 v[2:3], v[2:3], 0, v[12:13]
	;; [unrolled: 1-line block ×3, first 2 shown]
	global_load_dwordx4 v[14:17], v[4:5], off
	global_load_dwordx4 v[6:9], v[2:3], off
	v_add_u32_e32 v2, -12, v28
	v_cmp_gt_u32_e32 vcc, 12, v28
	v_and_b32_e32 v43, 63, v0
	v_mov_b32_e32 v44, 0
	v_cndmask_b32_e32 v2, v2, v28, vcc
	v_lshlrev_b32_e32 v2, 5, v2
	v_lshl_add_u32 v2, v1, 9, v2
	ds_read_b128 v[10:13], v2
	ds_read_b128 v[2:5], v2 offset:16
	s_and_saveexec_b64 s[4:5], vcc
	s_cbranch_execz .LBB899_13
; %bb.12:
	s_load_dwordx2 s[6:7], s[0:1], 0x40
	v_add_u32_e32 v32, s48, v28
	v_ashrrev_i32_e32 v33, 31, v32
	s_waitcnt lgkmcnt(0)
	v_lshl_add_u64 v[32:33], v[32:33], 2, s[6:7]
	global_load_dword v44, v[32:33], off
.LBB899_13:
	s_or_b64 exec, exec, s[4:5]
	s_ashr_i32 s4, s16, 31
	v_or_b32_e32 v45, s16, v27
	s_lshr_b32 s13, s4, 27
	v_add_u32_e32 v27, s13, v45
	v_ashrrev_i32_e32 v27, 5, v27
	s_waitcnt vmcnt(3)
	v_cvt_pk_f32_fp8_e32 v[32:33], v22
	v_cvt_pk_f32_fp8_sdwa v[34:35], v22 src0_sel:WORD_1
	s_waitcnt vmcnt(2)
	v_cvt_pk_f32_fp8_e32 v[56:57], v20
	v_cvt_pk_f32_fp8_sdwa v[58:59], v20 src0_sel:WORD_1
	v_mov_b32_e32 v20, s17
	v_cmp_gt_i32_e32 vcc, s29, v45
	v_cvt_pk_f32_fp8_e32 v[48:49], v18
	v_cvt_pk_f32_fp8_sdwa v[50:51], v18 src0_sel:WORD_1
	v_cndmask_b32_e32 v18, v20, v27, vcc
	v_cvt_pk_f32_fp8_e32 v[52:53], v19
	v_cvt_pk_f32_fp8_sdwa v[54:55], v19 src0_sel:WORD_1
	v_ashrrev_i32_e32 v19, 31, v18
	v_lshl_add_u64 v[18:19], v[18:19], 2, s[8:9]
	v_cvt_pk_f32_fp8_e32 v[36:37], v23
	v_cvt_pk_f32_fp8_sdwa v[22:23], v23 src0_sel:WORD_1
	global_load_dword v70, v[18:19], off
	v_cvt_pkrtz_f16_f32 v18, v32, v33
	v_cvt_pkrtz_f16_f32 v19, v34, v35
	v_cvt_pk_f32_fp8_e32 v[60:61], v21
	v_cvt_pk_f32_fp8_sdwa v[62:63], v21 src0_sel:WORD_1
	v_or_b32_e32 v21, 64, v45
	v_or_b32_e32 v32, 0x80, v45
	;; [unrolled: 1-line block ×3, first 2 shown]
	v_cmp_gt_i32_e32 vcc, s29, v21
	v_add_u32_e32 v21, s13, v21
	v_cmp_gt_i32_e64 s[4:5], s29, v32
	v_add_u32_e32 v32, s13, v32
	v_cmp_gt_i32_e64 s[6:7], s29, v33
	v_add_u32_e32 v33, s13, v33
	v_cvt_pk_f32_fp8_e32 v[38:39], v24
	v_cvt_pk_f32_fp8_sdwa v[40:41], v24 src0_sel:WORD_1
	v_ashrrev_i32_e32 v21, 5, v21
	v_ashrrev_i32_e32 v34, 5, v32
	;; [unrolled: 1-line block ×3, first 2 shown]
	v_cvt_pkrtz_f16_f32 v32, v36, v37
	v_cvt_pkrtz_f16_f32 v33, v22, v23
	v_cndmask_b32_e32 v36, v20, v21, vcc
	v_cndmask_b32_e64 v64, v20, v34, s[4:5]
	v_cndmask_b32_e64 v66, v20, v35, s[6:7]
	s_waitcnt lgkmcnt(1)
	v_mfma_f32_16x16x16_f16 v[18:21], v[18:19], v[10:11], 0
	v_cvt_pk_f32_fp8_e32 v[46:47], v25
	v_cvt_pkrtz_f16_f32 v22, v48, v49
	v_cvt_pkrtz_f16_f32 v23, v50, v51
	v_cvt_pk_f32_fp8_sdwa v[24:25], v25 src0_sel:WORD_1
	v_cvt_pkrtz_f16_f32 v38, v38, v39
	v_cvt_pkrtz_f16_f32 v39, v40, v41
	v_mfma_f32_16x16x16_f16 v[32:35], v[32:33], v[12:13], v[18:21]
	s_add_u32 s10, s10, s12
	v_and_b32_e32 v30, 16, v0
	v_lshlrev_b32_e32 v27, 5, v28
	s_addc_u32 s11, s11, 0
	v_cvt_pkrtz_f16_f32 v68, v46, v47
	v_cvt_pkrtz_f16_f32 v46, v52, v53
	;; [unrolled: 1-line block ×3, first 2 shown]
	s_load_dword s14, s[0:1], 0x1c
	s_load_dwordx4 s[40:43], s[0:1], 0x80
	v_lshl_add_u64 v[40:41], s[10:11], 0, v[30:31]
	v_lshl_or_b32 v30, v29, 9, v27
	v_cvt_pkrtz_f16_f32 v69, v24, v25
	v_mfma_f32_16x16x16_f16 v[22:25], v[22:23], v[10:11], 0
	v_lshl_add_u64 v[18:19], v[40:41], 0, v[30:31]
	v_ashrrev_i32_e32 v37, 31, v36
	v_ashrrev_i32_e32 v65, 31, v64
	s_waitcnt lgkmcnt(0)
	v_mfma_f32_16x16x16_f16 v[30:33], v[38:39], v[2:3], v[32:35]
	v_ashrrev_i32_e32 v67, 31, v66
	v_cvt_pkrtz_f16_f32 v48, v56, v57
	v_cvt_pkrtz_f16_f32 v49, v58, v59
	v_mfma_f32_16x16x16_f16 v[20:23], v[46:47], v[12:13], v[22:25]
	v_lshl_add_u64 v[34:35], v[64:65], 2, s[8:9]
	s_load_dword s4, s[40:41], 0x0
	v_cvt_pkrtz_f16_f32 v50, v60, v61
	v_lshl_add_u64 v[24:25], v[36:37], 2, s[8:9]
	v_lshl_add_u64 v[36:37], v[66:67], 2, s[8:9]
	global_load_dword v47, v[24:25], off
	global_load_dword v45, v[34:35], off
	;; [unrolled: 1-line block ×3, first 2 shown]
	v_mfma_f32_16x16x16_f16 v[34:37], v[68:69], v[4:5], v[30:33]
	s_waitcnt vmcnt(5)
	v_cvt_pk_f32_fp8_e32 v[24:25], v14
	v_cvt_pkrtz_f16_f32 v51, v62, v63
	v_cvt_pk_f32_fp8_e32 v[38:39], v15
	v_cvt_pk_f32_fp8_sdwa v[32:33], v14 src0_sel:WORD_1
	v_mfma_f32_16x16x16_f16 v[20:23], v[48:49], v[2:3], v[20:23]
	v_cvt_pkrtz_f16_f32 v24, v24, v25
	v_cvt_pk_f32_fp8_sdwa v[14:15], v15 src0_sel:WORD_1
	v_cvt_pkrtz_f16_f32 v25, v32, v33
	v_mov_b32_e32 v40, s14
	v_mfma_f32_16x16x16_f16 v[20:23], v[50:51], v[4:5], v[20:23]
	v_cvt_pkrtz_f16_f32 v32, v38, v39
	v_cvt_pk_f32_fp8_e32 v[50:51], v16
	v_cvt_pk_f32_fp8_sdwa v[52:53], v16 src0_sel:WORD_1
	v_cvt_pkrtz_f16_f32 v33, v14, v15
	s_waitcnt lgkmcnt(0)
	v_mul_f32_e32 v48, s4, v40
	v_mfma_f32_16x16x16_f16 v[38:41], v[24:25], v[10:11], 0
	v_cvt_pkrtz_f16_f32 v24, v50, v51
	v_cvt_pkrtz_f16_f32 v25, v52, v53
	v_cvt_pk_f32_fp8_e32 v[50:51], v17
	v_cvt_pk_f32_fp8_sdwa v[52:53], v17 src0_sel:WORD_1
	v_mfma_f32_16x16x16_f16 v[14:17], v[32:33], v[12:13], v[38:41]
	v_pk_mul_f32 v[32:33], v[48:49], v[36:37] op_sel_hi:[0,1]
	v_cvt_pkrtz_f16_f32 v36, v50, v51
	v_cvt_pkrtz_f16_f32 v37, v52, v53
	v_mfma_f32_16x16x16_f16 v[14:17], v[24:25], v[2:3], v[14:17]
	v_pk_mul_f32 v[38:39], v[48:49], v[34:35] op_sel_hi:[0,1]
	s_waitcnt vmcnt(4)
	v_cvt_pk_f32_fp8_e32 v[24:25], v6
	v_cvt_pk_f32_fp8_sdwa v[34:35], v6 src0_sel:WORD_1
	v_mfma_f32_16x16x16_f16 v[14:17], v[36:37], v[4:5], v[14:17]
	v_cvt_pk_f32_fp8_e32 v[36:37], v7
	v_cvt_pkrtz_f16_f32 v24, v24, v25
	v_cvt_pkrtz_f16_f32 v25, v34, v35
	v_cvt_pk_f32_fp8_sdwa v[6:7], v7 src0_sel:WORD_1
	v_cvt_pkrtz_f16_f32 v40, v36, v37
	v_cvt_pk_f32_fp8_e32 v[50:51], v8
	v_cvt_pk_f32_fp8_sdwa v[52:53], v8 src0_sel:WORD_1
	v_cvt_pkrtz_f16_f32 v41, v6, v7
	v_mfma_f32_16x16x16_f16 v[34:37], v[24:25], v[10:11], 0
	v_cvt_pkrtz_f16_f32 v10, v50, v51
	v_cvt_pkrtz_f16_f32 v11, v52, v53
	v_cvt_pk_f32_fp8_e32 v[24:25], v9
	v_cvt_pk_f32_fp8_sdwa v[50:51], v9 src0_sel:WORD_1
	v_mfma_f32_16x16x16_f16 v[6:9], v[40:41], v[12:13], v[34:37]
	v_pk_mul_f32 v[40:41], v[48:49], v[20:21] op_sel_hi:[0,1]
	v_cvt_pkrtz_f16_f32 v12, v24, v25
	v_cvt_pkrtz_f16_f32 v13, v50, v51
	v_mfma_f32_16x16x16_f16 v[6:9], v[10:11], v[2:3], v[6:9]
	v_pk_mul_f32 v[36:37], v[48:49], v[22:23] op_sel_hi:[0,1]
	v_pk_mul_f32 v[24:25], v[48:49], v[16:17] op_sel_hi:[0,1]
	;; [unrolled: 1-line block ×3, first 2 shown]
	v_mfma_f32_16x16x16_f16 v[2:5], v[12:13], v[4:5], v[6:9]
	s_waitcnt vmcnt(3)
	v_mad_i64_i32 v[30:31], s[4:5], v70, s45, v[18:19]
	s_mov_b32 s33, 0xff7fffff
	s_nop 3
	v_pk_mul_f32 v[22:23], v[48:49], v[2:3] op_sel_hi:[0,1]
	v_and_b32_e32 v2, 0xc0, v0
	v_add_u32_e32 v2, s16, v2
	v_lshl_or_b32 v2, v1, 2, v2
	v_or_b32_e32 v3, 1, v2
	v_pk_mul_f32 v[20:21], v[48:49], v[4:5] op_sel_hi:[0,1]
	v_subrev_u32_e32 v4, s29, v3
	v_add_u32_e32 v6, 1, v4
	v_add_u32_e32 v7, 2, v4
	;; [unrolled: 1-line block ×3, first 2 shown]
	v_cvt_f32_i32_e32 v6, v6
	v_cvt_f32_i32_e32 v7, v7
	;; [unrolled: 1-line block ×3, first 2 shown]
	v_add_u32_e32 v9, 19, v4
	v_fmac_f32_e32 v39, v44, v6
	v_fma_f32 v32, v44, v7, v32
	v_fmac_f32_e32 v33, v44, v8
	v_add_u32_e32 v6, 16, v4
	v_add_u32_e32 v7, 17, v4
	;; [unrolled: 1-line block ×3, first 2 shown]
	v_cvt_f32_i32_e32 v6, v6
	v_cvt_f32_i32_e32 v7, v7
	v_cvt_f32_i32_e32 v8, v8
	v_cvt_f32_i32_e32 v9, v9
	v_fma_f32 v40, v44, v6, v40
	v_fmac_f32_e32 v41, v44, v7
	v_fma_f32 v36, v44, v8, v36
	v_add_u32_e32 v6, 32, v4
	v_add_u32_e32 v7, 33, v4
	;; [unrolled: 1-line block ×3, first 2 shown]
	v_cvt_f32_i32_e32 v6, v6
	v_cvt_f32_i32_e32 v7, v7
	;; [unrolled: 1-line block ×4, first 2 shown]
	v_fmac_f32_e32 v37, v44, v9
	v_add_u32_e32 v9, 35, v4
	v_fma_f32 v48, v44, v6, v34
	v_fmac_f32_e32 v35, v44, v7
	v_fma_f32 v24, v44, v8, v24
	v_add_u32_e32 v6, 48, v4
	v_add_u32_e32 v7, 49, v4
	;; [unrolled: 1-line block ×4, first 2 shown]
	v_cvt_f32_i32_e32 v4, v4
	v_cvt_f32_i32_e32 v6, v6
	;; [unrolled: 1-line block ×3, first 2 shown]
	v_fma_f32 v5, v44, v5, v38
	v_fmac_f32_e32 v21, v44, v4
	v_mov_b32_e32 v4, 0xff7fffff
	v_cmp_gt_i32_e64 s[4:5], s29, v2
	v_cmp_gt_i32_e64 s[34:35], s29, v3
	v_fma_f32 v22, v44, v6, v22
	v_cndmask_b32_e64 v6, v4, v5, s[4:5]
	v_cndmask_b32_e64 v3, v4, v39, s[34:35]
	v_fmac_f32_e32 v23, v44, v7
	v_max3_f32 v3, v6, s33, v3
	v_or_b32_e32 v6, 2, v2
	v_or_b32_e32 v7, 3, v2
	v_cmp_gt_i32_e64 s[36:37], s29, v6
	v_cmp_gt_i32_e64 s[38:39], s29, v7
	v_cvt_f32_i32_e32 v9, v9
	v_cndmask_b32_e64 v6, v4, v32, s[36:37]
	v_cndmask_b32_e64 v7, v4, v33, s[38:39]
	v_max3_f32 v3, v3, v6, v7
	v_or_b32_e32 v6, 16, v2
	v_or_b32_e32 v7, 17, v2
	v_cmp_gt_i32_e64 s[24:25], s29, v6
	v_cmp_gt_i32_e64 s[26:27], s29, v7
	v_fmac_f32_e32 v25, v44, v9
	v_cndmask_b32_e64 v6, v4, v40, s[24:25]
	v_cndmask_b32_e64 v7, v4, v41, s[26:27]
	v_max3_f32 v3, v3, v6, v7
	v_or_b32_e32 v6, 18, v2
	v_or_b32_e32 v7, 19, v2
	v_cmp_gt_i32_e64 s[20:21], s29, v6
	v_cmp_gt_i32_e64 s[22:23], s29, v7
	v_cvt_f32_i32_e32 v8, v8
	v_cndmask_b32_e64 v6, v4, v36, s[20:21]
	v_cndmask_b32_e64 v7, v4, v37, s[22:23]
	v_max3_f32 v3, v3, v6, v7
	v_or_b32_e32 v6, 32, v2
	v_or_b32_e32 v7, 33, v2
	v_cmp_gt_i32_e64 s[16:17], s29, v6
	v_cmp_gt_i32_e64 s[18:19], s29, v7
	v_fma_f32 v20, v44, v8, v20
	v_cndmask_b32_e64 v6, v4, v48, s[16:17]
	v_cndmask_b32_e64 v7, v4, v35, s[18:19]
	v_max3_f32 v3, v3, v6, v7
	v_or_b32_e32 v6, 34, v2
	v_or_b32_e32 v7, 35, v2
	v_cmp_gt_i32_e64 s[12:13], s29, v6
	v_cmp_gt_i32_e64 s[14:15], s29, v7
	s_nop 0
	v_cndmask_b32_e64 v6, v4, v24, s[12:13]
	v_cndmask_b32_e64 v7, v4, v25, s[14:15]
	v_max3_f32 v3, v3, v6, v7
	v_or_b32_e32 v6, 48, v2
	v_or_b32_e32 v7, 49, v2
	v_cmp_gt_i32_e64 s[8:9], s29, v6
	v_cmp_gt_i32_e64 s[10:11], s29, v7
	s_nop 0
	v_cndmask_b32_e64 v6, v4, v22, s[8:9]
	v_cndmask_b32_e64 v7, v4, v23, s[10:11]
	v_max3_f32 v3, v3, v6, v7
	v_or_b32_e32 v6, 50, v2
	v_or_b32_e32 v2, 51, v2
	v_cmp_gt_i32_e32 vcc, s29, v6
	v_cmp_gt_i32_e64 s[6:7], s29, v2
	s_nop 0
	v_cndmask_b32_e32 v6, v4, v20, vcc
	v_cndmask_b32_e64 v2, v4, v21, s[6:7]
	v_max3_f32 v4, v3, v6, v2
	v_mbcnt_lo_u32_b32 v2, -1, 0
	v_mbcnt_hi_u32_b32 v6, -1, v2
	v_and_b32_e32 v2, 64, v6
	v_add_u32_e32 v7, 64, v2
	v_xor_b32_e32 v2, 32, v6
	v_cmp_lt_i32_e64 s[40:41], v2, v7
	s_nop 1
	v_cndmask_b32_e64 v2, v6, v2, s[40:41]
	v_lshlrev_b32_e32 v44, 2, v2
	ds_bpermute_b32 v8, v44, v4
	s_waitcnt vmcnt(2)
	v_mad_i64_i32 v[2:3], s[40:41], v47, s45, v[18:19]
	global_load_dwordx4 v[14:17], v[30:31], off
	global_load_dwordx4 v[10:13], v[2:3], off
	v_xor_b32_e32 v3, 16, v6
	v_cmp_lt_i32_e64 s[40:41], v3, v7
	s_waitcnt lgkmcnt(0)
	v_max_f32_e32 v2, v8, v8
	v_max_f32_e32 v2, v4, v2
	v_cndmask_b32_e64 v3, v6, v3, s[40:41]
	v_lshlrev_b32_e32 v47, 2, v3
	ds_bpermute_b32 v3, v47, v2
	s_waitcnt vmcnt(3)
	v_mad_i64_i32 v[30:31], s[40:41], v45, s45, v[18:19]
	s_waitcnt vmcnt(2)
	v_mad_i64_i32 v[18:19], s[40:41], v46, s45, v[18:19]
	s_waitcnt lgkmcnt(0)
	v_max_f32_e32 v3, v3, v3
	v_max_f32_e32 v34, v2, v3
	v_sub_f32_e32 v2, v5, v34
	v_mul_f32_e32 v2, 0x3fb8aa3b, v2
	v_exp_f32_e32 v38, v2
	v_sub_f32_e32 v2, v39, v34
	v_mul_f32_e32 v2, 0x3fb8aa3b, v2
	v_exp_f32_e32 v39, v2
	global_load_dwordx4 v[6:9], v[30:31], off
	global_load_dwordx4 v[2:5], v[18:19], off
	v_sub_f32_e32 v31, v32, v34
	v_sub_f32_e32 v32, v33, v34
	v_mul_f32_e32 v31, 0x3fb8aa3b, v31
	v_mul_f32_e32 v32, 0x3fb8aa3b, v32
	v_exp_f32_e32 v31, v31
	v_exp_f32_e32 v32, v32
	v_cndmask_b32_e64 v18, 0, v38, s[4:5]
	v_cndmask_b32_e64 v19, 0, v39, s[34:35]
	v_cndmask_b32_e64 v38, 0, v31, s[36:37]
	v_cndmask_b32_e64 v39, 0, v32, s[38:39]
	v_sub_f32_e32 v31, v40, v34
	v_sub_f32_e32 v32, v41, v34
	v_mul_f32_e32 v31, 0x3fb8aa3b, v31
	v_mul_f32_e32 v32, 0x3fb8aa3b, v32
	v_exp_f32_e32 v31, v31
	v_exp_f32_e32 v32, v32
	v_add_f32_e32 v30, 0, v18
	v_add_f32_e32 v30, v30, v19
	;; [unrolled: 1-line block ×4, first 2 shown]
	v_cndmask_b32_e64 v30, 0, v31, s[24:25]
	v_cndmask_b32_e64 v31, 0, v32, s[26:27]
	v_sub_f32_e32 v32, v36, v34
	v_mul_f32_e32 v32, 0x3fb8aa3b, v32
	v_exp_f32_e32 v32, v32
	v_sub_f32_e32 v36, v37, v34
	v_add_f32_e32 v33, v33, v30
	v_mul_f32_e32 v36, 0x3fb8aa3b, v36
	v_exp_f32_e32 v37, v36
	v_add_f32_e32 v33, v33, v31
	v_cndmask_b32_e64 v36, 0, v32, s[20:21]
	v_add_f32_e32 v32, v33, v36
	v_sub_f32_e32 v33, v48, v34
	v_mul_f32_e32 v33, 0x3fb8aa3b, v33
	v_sub_f32_e32 v35, v35, v34
	v_exp_f32_e32 v33, v33
	v_mul_f32_e32 v35, 0x3fb8aa3b, v35
	v_sub_f32_e32 v24, v24, v34
	v_exp_f32_e32 v35, v35
	v_mul_f32_e32 v24, 0x3fb8aa3b, v24
	v_sub_f32_e32 v25, v25, v34
	v_exp_f32_e32 v24, v24
	v_mul_f32_e32 v25, 0x3fb8aa3b, v25
	v_sub_f32_e32 v22, v22, v34
	v_cndmask_b32_e64 v37, 0, v37, s[22:23]
	v_exp_f32_e32 v25, v25
	v_mul_f32_e32 v22, 0x3fb8aa3b, v22
	v_sub_f32_e32 v23, v23, v34
	v_add_f32_e32 v40, v32, v37
	v_cndmask_b32_e64 v32, 0, v33, s[16:17]
	v_exp_f32_e32 v22, v22
	v_mul_f32_e32 v23, 0x3fb8aa3b, v23
	v_sub_f32_e32 v20, v20, v34
	v_add_f32_e32 v40, v40, v32
	;; [unrolled: 5-line block ×3, first 2 shown]
	v_cndmask_b32_e64 v24, 0, v24, s[12:13]
	v_exp_f32_e32 v20, v20
	v_mul_f32_e32 v21, 0x3fb8aa3b, v21
	v_add_f32_e32 v35, v35, v24
	v_cndmask_b32_e64 v25, 0, v25, s[14:15]
	v_exp_f32_e32 v21, v21
	v_add_f32_e32 v35, v35, v25
	v_cndmask_b32_e64 v22, 0, v22, s[8:9]
	v_add_f32_e32 v35, v35, v22
	v_cndmask_b32_e64 v23, 0, v23, s[10:11]
	v_add_f32_e32 v35, v35, v23
	v_cndmask_b32_e32 v20, 0, v20, vcc
	v_add_f32_e32 v35, v35, v20
	v_cndmask_b32_e64 v21, 0, v21, s[6:7]
	v_add_f32_e32 v35, v35, v21
	ds_bpermute_b32 v40, v44, v35
	s_load_dword s7, s[0:1], 0x98
	v_cmp_gt_u32_e32 vcc, 16, v43
	s_waitcnt lgkmcnt(0)
	s_barrier
	v_add_f32_e32 v40, v35, v40
	ds_bpermute_b32 v41, v47, v40
	v_lshlrev_b32_e32 v35, 2, v28
	s_waitcnt lgkmcnt(0)
	s_and_saveexec_b64 s[4:5], vcc
	s_cbranch_execz .LBB899_15
; %bb.14:
	v_add_f32_e32 v40, v40, v41
	v_lshl_or_b32 v41, v29, 6, v35
	ds_write2st64_b32 v41, v34, v40 offset1:1
.LBB899_15:
	s_or_b64 exec, exec, s[4:5]
	s_load_dword s6, s[0:1], 0x94
	s_waitcnt lgkmcnt(0)
	s_barrier
	ds_read2_b32 v[40:41], v35 offset1:16
	ds_read2_b32 v[44:45], v35 offset0:32 offset1:48
	ds_read2_b32 v[46:47], v35 offset0:64 offset1:80
	s_mul_i32 s7, s7, 12
	s_waitcnt lgkmcnt(2)
	v_max3_f32 v34, v40, s33, v41
	s_waitcnt lgkmcnt(1)
	v_max3_f32 v34, v34, v44, v45
	v_sub_f32_e32 v40, v40, v34
	v_mul_f32_e32 v40, 0x3fb8aa3b, v40
	v_exp_f32_e32 v43, v40
	v_sub_f32_e32 v40, v41, v34
	v_mul_f32_e32 v40, 0x3fb8aa3b, v40
	v_exp_f32_e32 v48, v40
	;; [unrolled: 3-line block ×3, first 2 shown]
	ds_read2_b32 v[40:41], v35 offset0:96 offset1:112
	v_sub_f32_e32 v35, v45, v34
	v_mul_f32_e32 v35, 0x3fb8aa3b, v35
	v_exp_f32_e32 v45, v35
	s_waitcnt lgkmcnt(1)
	v_fma_f32 v35, v43, v46, 0
	v_fmac_f32_e32 v35, v48, v47
	s_waitcnt lgkmcnt(0)
	v_fmac_f32_e32 v35, v44, v40
	v_fmac_f32_e32 v35, v45, v41
	v_add_f32_e32 v40, 0x358637bd, v35
	v_div_scale_f32 v41, s[4:5], v40, v40, 1.0
	v_rcp_f32_e32 v46, v41
	s_barrier
	v_fma_f32 v47, -v41, v46, 1.0
	v_fmac_f32_e32 v46, v47, v46
	v_div_scale_f32 v47, vcc, 1.0, v40, 1.0
	v_mul_f32_e32 v49, v47, v46
	v_fma_f32 v50, -v41, v49, v47
	v_fmac_f32_e32 v49, v50, v46
	v_fma_f32 v41, -v41, v49, v47
	v_div_fmas_f32 v41, v41, v46, v49
	v_cmp_eq_u32_e32 vcc, 1, v29
	v_div_fixup_f32 v40, v41, v40, 1.0
	s_nop 0
	v_cndmask_b32_e32 v41, v43, v48, vcc
	v_cmp_eq_u32_e32 vcc, 2, v29
	s_nop 1
	v_cndmask_b32_e32 v41, v41, v44, vcc
	v_cmp_eq_u32_e32 vcc, 3, v29
	s_nop 1
	v_cndmask_b32_e32 v41, v41, v45, vcc
	v_mul_f32_e32 v40, v41, v40
	v_pk_mul_f32 v[38:39], v[40:41], v[38:39] op_sel_hi:[0,1]
	v_pk_mul_f32 v[18:19], v[40:41], v[18:19] op_sel_hi:[0,1]
	v_cvt_f16_f32_e32 v41, v38
	v_cvt_f16_f32_e32 v39, v39
	v_cvt_f16_f32_e32 v18, v18
	v_cvt_f16_f32_e32 v19, v19
	v_cmp_gt_u32_e32 vcc, 12, v0
	v_pack_b32_f16 v39, v41, v39
	v_lshlrev_b32_e32 v41, 3, v1
	v_pack_b32_f16 v38, v18, v19
	v_pk_mul_f32 v[18:19], v[40:41], v[36:37] op_sel_hi:[0,1]
	v_pk_mul_f32 v[30:31], v[40:41], v[30:31] op_sel_hi:[0,1]
	v_cvt_f16_f32_e32 v30, v30
	v_cvt_f16_f32_e32 v31, v31
	v_cvt_f16_f32_e32 v36, v18
	v_cvt_f16_f32_e32 v19, v19
	v_lshlrev_b32_e32 v18, 11, v29
	v_or3_b32 v18, v18, v27, v41
	v_pack_b32_f16 v30, v30, v31
	v_pack_b32_f16 v31, v36, v19
	ds_write2st64_b64 v18, v[38:39], v[30:31] offset1:1
	v_pk_mul_f32 v[24:25], v[40:41], v[24:25] op_sel_hi:[0,1]
	v_pk_mul_f32 v[30:31], v[40:41], v[32:33] op_sel_hi:[0,1]
	;; [unrolled: 1-line block ×4, first 2 shown]
	v_cvt_f16_f32_e32 v19, v30
	v_cvt_f16_f32_e32 v29, v31
	;; [unrolled: 1-line block ×8, first 2 shown]
	v_pack_b32_f16 v20, v19, v29
	v_pack_b32_f16 v21, v24, v25
	;; [unrolled: 1-line block ×4, first 2 shown]
	ds_write2st64_b64 v18, v[20:21], v[22:23] offset0:2 offset1:3
	s_and_saveexec_b64 s[4:5], vcc
	s_cbranch_execz .LBB899_17
; %bb.16:
	s_mov_b32 s49, 0
	v_mov_b32_e32 v29, 0
	v_lshl_add_u64 v[20:21], s[48:49], 0, v[28:29]
	v_mov_b32_e32 v19, s7
	v_mad_u64_u32 v[20:21], s[12:13], s2, v19, v[20:21]
	s_mul_i32 s3, s3, s7
	v_mov_b32_e32 v28, s28
	s_load_dwordx4 s[8:11], s[0:1], 0x58
	v_add_u32_e32 v19, s3, v21
	v_mad_u64_u32 v[20:21], s[12:13], v20, s6, v[28:29]
	v_mov_b32_e32 v22, v21
	v_mad_u64_u32 v[22:23], s[12:13], v19, s6, v[22:23]
	v_mov_b32_e32 v21, v22
	v_lshlrev_b64 v[20:21], 2, v[20:21]
	s_waitcnt lgkmcnt(0)
	v_lshl_add_u64 v[22:23], s[10:11], 0, v[20:21]
	v_lshl_add_u64 v[20:21], s[8:9], 0, v[20:21]
	global_store_dword v[22:23], v34, off
	global_store_dword v[20:21], v35, off
.LBB899_17:
	s_or_b64 exec, exec, s[4:5]
	s_waitcnt vmcnt(3)
	v_cvt_pk_f32_fp8_e32 v[20:21], v14
	v_cvt_pk_f32_fp8_sdwa v[22:23], v14 src0_sel:WORD_1
	v_lshl_or_b32 v14, v1, 9, v27
	s_waitcnt lgkmcnt(0)
	s_barrier
	v_cvt_pk_f32_fp8_e32 v[24:25], v15
	v_cvt_pkrtz_f16_f32 v32, v20, v21
	v_cvt_pkrtz_f16_f32 v33, v22, v23
	v_cvt_pk_f32_fp8_sdwa v[28:29], v15 src0_sel:WORD_1
	ds_read_b128 v[20:23], v14
	v_cvt_pkrtz_f16_f32 v24, v24, v25
	v_cvt_pk_f32_fp8_e32 v[36:37], v16
	v_cvt_pkrtz_f16_f32 v25, v28, v29
	ds_read_b128 v[28:31], v14 offset:16
	v_cvt_pk_f32_fp8_sdwa v[38:39], v16 src0_sel:WORD_1
	s_waitcnt lgkmcnt(1)
	v_mfma_f32_16x16x16_f16 v[32:35], v[32:33], v[20:21], 0
	v_cvt_pkrtz_f16_f32 v36, v36, v37
	s_load_dword s4, s[42:43], 0x0
	v_cvt_pkrtz_f16_f32 v37, v38, v39
	v_cvt_pk_f32_fp8_e32 v[38:39], v17
	v_cvt_pk_f32_fp8_sdwa v[16:17], v17 src0_sel:WORD_1
	v_mfma_f32_16x16x16_f16 v[20:23], v[24:25], v[22:23], v[32:35]
	v_cmp_gt_u32_e32 vcc, 64, v0
	v_cvt_pkrtz_f16_f32 v24, v38, v39
	v_cvt_pkrtz_f16_f32 v25, v16, v17
	s_waitcnt lgkmcnt(0)
	v_mfma_f32_16x16x16_f16 v[20:23], v[36:37], v[28:29], v[20:23]
	s_waitcnt vmcnt(2)
	v_cvt_pk_f32_fp8_e32 v[16:17], v10
	v_cvt_pk_f32_fp8_e32 v[28:29], v11
	v_cvt_pk_f32_fp8_sdwa v[36:37], v12 src0_sel:WORD_1
	v_mfma_f32_16x16x16_f16 v[20:23], v[24:25], v[30:31], v[20:23]
	v_cvt_pk_f32_fp8_sdwa v[24:25], v10 src0_sel:WORD_1
	v_cvt_pkrtz_f16_f32 v10, v16, v17
	v_cvt_pk_f32_fp8_sdwa v[16:17], v11 src0_sel:WORD_1
	ds_read_b128 v[32:35], v14 offset:2064
	v_cvt_pkrtz_f16_f32 v11, v24, v25
	v_cvt_pkrtz_f16_f32 v24, v28, v29
	ds_read_b128 v[28:31], v14 offset:2048
	v_cvt_pkrtz_f16_f32 v25, v16, v17
	v_cvt_pk_f32_fp8_e32 v[16:17], v12
	s_waitcnt lgkmcnt(0)
	v_mfma_f32_16x16x16_f16 v[20:23], v[10:11], v[28:29], v[20:23]
	v_cvt_pkrtz_f16_f32 v10, v16, v17
	v_cvt_pkrtz_f16_f32 v11, v36, v37
	v_cvt_pk_f32_fp8_e32 v[16:17], v13
	v_mfma_f32_16x16x16_f16 v[20:23], v[24:25], v[30:31], v[20:23]
	v_cvt_pk_f32_fp8_sdwa v[24:25], v13 src0_sel:WORD_1
	ds_read_b128 v[28:31], v14 offset:4112
	v_cvt_pkrtz_f16_f32 v16, v16, v17
	v_mfma_f32_16x16x16_f16 v[10:13], v[10:11], v[32:33], v[20:23]
	v_cvt_pkrtz_f16_f32 v17, v24, v25
	s_waitcnt vmcnt(1)
	v_cvt_pk_f32_fp8_sdwa v[24:25], v7 src0_sel:WORD_1
	v_cvt_pk_f32_fp8_sdwa v[32:33], v8 src0_sel:WORD_1
	v_cvt_pk_f32_fp8_e32 v[20:21], v6
	v_mfma_f32_16x16x16_f16 v[10:13], v[16:17], v[34:35], v[10:13]
	v_cvt_pk_f32_fp8_sdwa v[16:17], v6 src0_sel:WORD_1
	v_cvt_pk_f32_fp8_e32 v[22:23], v7
	v_cvt_pkrtz_f16_f32 v6, v20, v21
	s_mov_b32 s3, 0
	v_cvt_pkrtz_f16_f32 v7, v16, v17
	v_cvt_pkrtz_f16_f32 v16, v22, v23
	ds_read_b128 v[20:23], v14 offset:4096
	v_cvt_pkrtz_f16_f32 v17, v24, v25
	v_cvt_pk_f32_fp8_e32 v[24:25], v8
	s_waitcnt lgkmcnt(0)
	v_mfma_f32_16x16x16_f16 v[10:13], v[6:7], v[20:21], v[10:13]
	v_cvt_pkrtz_f16_f32 v6, v24, v25
	v_cvt_pkrtz_f16_f32 v7, v32, v33
	v_cvt_pk_f32_fp8_e32 v[20:21], v9
	v_mfma_f32_16x16x16_f16 v[10:13], v[16:17], v[22:23], v[10:13]
	v_cvt_pk_f32_fp8_sdwa v[16:17], v9 src0_sel:WORD_1
	s_waitcnt vmcnt(0)
	v_cvt_pk_f32_fp8_sdwa v[24:25], v4 src0_sel:WORD_1
	v_cvt_pkrtz_f16_f32 v20, v20, v21
	v_mfma_f32_16x16x16_f16 v[6:9], v[6:7], v[28:29], v[10:13]
	v_cvt_pkrtz_f16_f32 v21, v16, v17
	v_cvt_pk_f32_fp8_e32 v[16:17], v3
	v_mov_b32_e32 v27, 0
	v_cvt_pk_f32_fp8_e32 v[10:11], v2
	v_cvt_pk_f32_fp8_sdwa v[12:13], v2 src0_sel:WORD_1
	v_mfma_f32_16x16x16_f16 v[6:9], v[20:21], v[30:31], v[6:9]
	v_cvt_pk_f32_fp8_sdwa v[20:21], v3 src0_sel:WORD_1
	v_cvt_pkrtz_f16_f32 v2, v10, v11
	v_cvt_pkrtz_f16_f32 v3, v12, v13
	ds_read_b128 v[10:13], v14 offset:6144
	v_cvt_pkrtz_f16_f32 v22, v16, v17
	v_cvt_pkrtz_f16_f32 v23, v20, v21
	v_cvt_pk_f32_fp8_e32 v[20:21], v4
	s_waitcnt lgkmcnt(0)
	v_mfma_f32_16x16x16_f16 v[6:9], v[2:3], v[10:11], v[6:9]
	ds_read_b128 v[14:17], v14 offset:6160
	v_cvt_pkrtz_f16_f32 v2, v20, v21
	v_cvt_pkrtz_f16_f32 v3, v24, v25
	v_cvt_pk_f32_fp8_e32 v[10:11], v5
	v_mfma_f32_16x16x16_f16 v[6:9], v[22:23], v[12:13], v[6:9]
	v_cvt_pk_f32_fp8_sdwa v[12:13], v5 src0_sel:WORD_1
	s_waitcnt lgkmcnt(0)
	v_cvt_pkrtz_f16_f32 v10, v10, v11
	v_mfma_f32_16x16x16_f16 v[2:5], v[2:3], v[14:15], v[6:9]
	v_cvt_pkrtz_f16_f32 v11, v12, v13
	s_barrier
	s_nop 0
	v_mfma_f32_16x16x16_f16 v[2:5], v[10:11], v[16:17], v[2:5]
	s_nop 6
	v_pk_mul_f32 v[4:5], v[4:5], s[4:5] op_sel_hi:[1,0]
	v_pk_mul_f32 v[2:3], v[2:3], s[4:5] op_sel_hi:[1,0]
	v_cvt_f16_f32_e32 v4, v4
	v_cvt_f16_f32_e32 v2, v2
	;; [unrolled: 1-line block ×4, first 2 shown]
	s_and_b64 s[4:5], vcc, s[30:31]
	v_pack_b32_f16 v2, v2, v3
	v_pack_b32_f16 v3, v4, v5
	ds_write_b64 v18, v[2:3]
	s_waitcnt lgkmcnt(0)
	s_barrier
	s_and_saveexec_b64 s[8:9], s[4:5]
	s_cbranch_execz .LBB899_19
; %bb.18:
	s_load_dwordx2 s[0:1], s[0:1], 0x68
	s_lshl_b32 s6, s6, 6
	s_mul_i32 s2, s7, s2
	s_mul_hi_u32 s5, s2, s6
	s_mul_i32 s4, s2, s6
	s_lshl_b64 s[4:5], s[4:5], 1
	s_waitcnt lgkmcnt(0)
	s_add_u32 s4, s0, s4
	v_lshlrev_b32_e32 v0, 10, v0
	s_addc_u32 s5, s1, s5
	s_lshl_b32 s2, s28, 6
	v_and_b32_e32 v0, 0x1800, v0
	v_lshlrev_b32_e32 v2, 5, v1
	v_and_b32_e32 v3, 16, v42
	s_lshl_b64 s[0:1], s[2:3], 1
	v_or3_b32 v0, v0, v2, v3
	s_add_u32 s0, s4, s0
	ds_read_b128 v[2:5], v0
	ds_read_b128 v[6:9], v0 offset:128
	ds_read_b128 v[10:13], v0 offset:256
	s_addc_u32 s1, s5, s1
	v_or_b32_e32 v16, s48, v1
	v_lshl_add_u64 v[0:1], s[0:1], 0, v[26:27]
	v_mad_u64_u32 v[14:15], s[0:1], v16, s6, 0
	v_lshl_add_u64 v[14:15], v[14:15], 1, v[0:1]
	s_waitcnt lgkmcnt(2)
	global_store_dwordx4 v[14:15], v[2:5], off
	s_nop 1
	v_add_u32_e32 v2, 4, v16
	v_mad_u64_u32 v[2:3], s[0:1], v2, s6, 0
	v_lshl_add_u64 v[2:3], v[2:3], 1, v[0:1]
	s_waitcnt lgkmcnt(1)
	global_store_dwordx4 v[2:3], v[6:9], off
	v_add_u32_e32 v2, 8, v16
	v_mad_u64_u32 v[2:3], s[0:1], v2, s6, 0
	v_lshl_add_u64 v[0:1], v[2:3], 1, v[0:1]
	s_waitcnt lgkmcnt(0)
	global_store_dwordx4 v[0:1], v[10:13], off
.LBB899_19:
	s_endpgm
	.section	.rodata,"a",@progbits
	.p2align	6, 0x0
	.amdhsa_kernel _Z39paged_attention_ll4mi_QKV_mfma16_kernelIDF16_hLN4vllm18Fp8KVCacheDataTypeE1EDF16_Li32ELi64ELi256ELb1ELi12EEvPKT_PKT0_S7_ifPKiS9_S9_iPKfiiiPfSC_PS2_PT2_iSB_SB_
		.amdhsa_group_segment_fixed_size 8192
		.amdhsa_private_segment_fixed_size 0
		.amdhsa_kernarg_size 400
		.amdhsa_user_sgpr_count 2
		.amdhsa_user_sgpr_dispatch_ptr 0
		.amdhsa_user_sgpr_queue_ptr 0
		.amdhsa_user_sgpr_kernarg_segment_ptr 1
		.amdhsa_user_sgpr_dispatch_id 0
		.amdhsa_user_sgpr_kernarg_preload_length 0
		.amdhsa_user_sgpr_kernarg_preload_offset 0
		.amdhsa_user_sgpr_private_segment_size 0
		.amdhsa_uses_dynamic_stack 0
		.amdhsa_enable_private_segment 0
		.amdhsa_system_sgpr_workgroup_id_x 1
		.amdhsa_system_sgpr_workgroup_id_y 1
		.amdhsa_system_sgpr_workgroup_id_z 1
		.amdhsa_system_sgpr_workgroup_info 0
		.amdhsa_system_vgpr_workitem_id 0
		.amdhsa_next_free_vgpr 71
		.amdhsa_next_free_sgpr 50
		.amdhsa_accum_offset 72
		.amdhsa_reserve_vcc 1
		.amdhsa_float_round_mode_32 0
		.amdhsa_float_round_mode_16_64 0
		.amdhsa_float_denorm_mode_32 3
		.amdhsa_float_denorm_mode_16_64 3
		.amdhsa_dx10_clamp 1
		.amdhsa_ieee_mode 1
		.amdhsa_fp16_overflow 0
		.amdhsa_tg_split 0
		.amdhsa_exception_fp_ieee_invalid_op 0
		.amdhsa_exception_fp_denorm_src 0
		.amdhsa_exception_fp_ieee_div_zero 0
		.amdhsa_exception_fp_ieee_overflow 0
		.amdhsa_exception_fp_ieee_underflow 0
		.amdhsa_exception_fp_ieee_inexact 0
		.amdhsa_exception_int_div_zero 0
	.end_amdhsa_kernel
	.section	.text._Z39paged_attention_ll4mi_QKV_mfma16_kernelIDF16_hLN4vllm18Fp8KVCacheDataTypeE1EDF16_Li32ELi64ELi256ELb1ELi12EEvPKT_PKT0_S7_ifPKiS9_S9_iPKfiiiPfSC_PS2_PT2_iSB_SB_,"axG",@progbits,_Z39paged_attention_ll4mi_QKV_mfma16_kernelIDF16_hLN4vllm18Fp8KVCacheDataTypeE1EDF16_Li32ELi64ELi256ELb1ELi12EEvPKT_PKT0_S7_ifPKiS9_S9_iPKfiiiPfSC_PS2_PT2_iSB_SB_,comdat
.Lfunc_end899:
	.size	_Z39paged_attention_ll4mi_QKV_mfma16_kernelIDF16_hLN4vllm18Fp8KVCacheDataTypeE1EDF16_Li32ELi64ELi256ELb1ELi12EEvPKT_PKT0_S7_ifPKiS9_S9_iPKfiiiPfSC_PS2_PT2_iSB_SB_, .Lfunc_end899-_Z39paged_attention_ll4mi_QKV_mfma16_kernelIDF16_hLN4vllm18Fp8KVCacheDataTypeE1EDF16_Li32ELi64ELi256ELb1ELi12EEvPKT_PKT0_S7_ifPKiS9_S9_iPKfiiiPfSC_PS2_PT2_iSB_SB_
                                        ; -- End function
	.section	.AMDGPU.csdata,"",@progbits
; Kernel info:
; codeLenInByte = 4964
; NumSgprs: 56
; NumVgprs: 71
; NumAgprs: 0
; TotalNumVgprs: 71
; ScratchSize: 0
; MemoryBound: 0
; FloatMode: 240
; IeeeMode: 1
; LDSByteSize: 8192 bytes/workgroup (compile time only)
; SGPRBlocks: 6
; VGPRBlocks: 8
; NumSGPRsForWavesPerEU: 56
; NumVGPRsForWavesPerEU: 71
; AccumOffset: 72
; Occupancy: 7
; WaveLimiterHint : 1
; COMPUTE_PGM_RSRC2:SCRATCH_EN: 0
; COMPUTE_PGM_RSRC2:USER_SGPR: 2
; COMPUTE_PGM_RSRC2:TRAP_HANDLER: 0
; COMPUTE_PGM_RSRC2:TGID_X_EN: 1
; COMPUTE_PGM_RSRC2:TGID_Y_EN: 1
; COMPUTE_PGM_RSRC2:TGID_Z_EN: 1
; COMPUTE_PGM_RSRC2:TIDIG_COMP_CNT: 0
; COMPUTE_PGM_RSRC3_GFX90A:ACCUM_OFFSET: 17
; COMPUTE_PGM_RSRC3_GFX90A:TG_SPLIT: 0
	.section	.text._Z39paged_attention_ll4mi_QKV_mfma16_kernelIDF16_hLN4vllm18Fp8KVCacheDataTypeE1EDF16_Li32ELi64ELi256ELb1ELi13EEvPKT_PKT0_S7_ifPKiS9_S9_iPKfiiiPfSC_PS2_PT2_iSB_SB_,"axG",@progbits,_Z39paged_attention_ll4mi_QKV_mfma16_kernelIDF16_hLN4vllm18Fp8KVCacheDataTypeE1EDF16_Li32ELi64ELi256ELb1ELi13EEvPKT_PKT0_S7_ifPKiS9_S9_iPKfiiiPfSC_PS2_PT2_iSB_SB_,comdat
	.protected	_Z39paged_attention_ll4mi_QKV_mfma16_kernelIDF16_hLN4vllm18Fp8KVCacheDataTypeE1EDF16_Li32ELi64ELi256ELb1ELi13EEvPKT_PKT0_S7_ifPKiS9_S9_iPKfiiiPfSC_PS2_PT2_iSB_SB_ ; -- Begin function _Z39paged_attention_ll4mi_QKV_mfma16_kernelIDF16_hLN4vllm18Fp8KVCacheDataTypeE1EDF16_Li32ELi64ELi256ELb1ELi13EEvPKT_PKT0_S7_ifPKiS9_S9_iPKfiiiPfSC_PS2_PT2_iSB_SB_
	.globl	_Z39paged_attention_ll4mi_QKV_mfma16_kernelIDF16_hLN4vllm18Fp8KVCacheDataTypeE1EDF16_Li32ELi64ELi256ELb1ELi13EEvPKT_PKT0_S7_ifPKiS9_S9_iPKfiiiPfSC_PS2_PT2_iSB_SB_
	.p2align	8
	.type	_Z39paged_attention_ll4mi_QKV_mfma16_kernelIDF16_hLN4vllm18Fp8KVCacheDataTypeE1EDF16_Li32ELi64ELi256ELb1ELi13EEvPKT_PKT0_S7_ifPKiS9_S9_iPKfiiiPfSC_PS2_PT2_iSB_SB_,@function
_Z39paged_attention_ll4mi_QKV_mfma16_kernelIDF16_hLN4vllm18Fp8KVCacheDataTypeE1EDF16_Li32ELi64ELi256ELb1ELi13EEvPKT_PKT0_S7_ifPKiS9_S9_iPKfiiiPfSC_PS2_PT2_iSB_SB_: ; @_Z39paged_attention_ll4mi_QKV_mfma16_kernelIDF16_hLN4vllm18Fp8KVCacheDataTypeE1EDF16_Li32ELi64ELi256ELb1ELi13EEvPKT_PKT0_S7_ifPKiS9_S9_iPKfiiiPfSC_PS2_PT2_iSB_SB_
; %bb.0:
	s_load_dwordx2 s[6:7], s[0:1], 0x30
	s_mov_b32 s28, s3
	s_mov_b64 s[8:9], 0
	s_waitcnt lgkmcnt(0)
	s_cmp_lg_u64 s[6:7], 0
	s_cselect_b64 s[10:11], -1, 0
	s_and_b64 vcc, exec, s[10:11]
	s_cbranch_vccz .LBB900_7
; %bb.1:
	s_add_i32 s12, s2, 1
	s_mov_b32 s13, 0
	s_lshl_b64 s[14:15], s[12:13], 2
	s_add_u32 s14, s6, s14
	s_mov_b32 s3, s13
	s_addc_u32 s15, s7, s15
	s_lshl_b64 s[12:13], s[2:3], 2
	s_add_u32 s12, s6, s12
	s_addc_u32 s13, s7, s13
	s_load_dword s5, s[14:15], 0x0
	s_load_dword s16, s[12:13], 0x0
	s_waitcnt lgkmcnt(0)
	s_sub_i32 s5, s5, s16
	s_cmp_eq_u32 s5, 1
	s_cselect_b64 s[12:13], -1, 0
	s_andn2_b64 vcc, exec, s[8:9]
	s_cbranch_vccnz .LBB900_3
.LBB900_2:
	s_mov_b32 s3, 0
	s_mov_b64 s[12:13], -1
.LBB900_3:
	s_andn2_b64 vcc, exec, s[12:13]
	s_cbranch_vccnz .LBB900_20
; %bb.4:
	s_load_dwordx2 s[8:9], s[0:1], 0x28
	s_lshl_b64 s[12:13], s[2:3], 2
	s_waitcnt lgkmcnt(0)
	s_add_u32 s8, s8, s12
	s_addc_u32 s9, s9, s13
	s_load_dword s29, s[8:9], 0x0
	s_lshl_b32 s16, s28, 8
	s_waitcnt lgkmcnt(0)
	s_cmp_ge_i32 s16, s29
	s_cbranch_scc1 .LBB900_20
; %bb.5:
	s_load_dwordx2 s[8:9], s[0:1], 0x20
	s_load_dword s5, s[0:1], 0x38
	s_add_i32 s14, s29, 31
	s_ashr_i32 s15, s14, 31
	v_and_b32_e32 v1, 0xcf, v0
	s_lshr_b32 s15, s15, 27
	v_add_u32_e32 v1, s16, v1
	s_add_i32 s14, s14, s15
	v_ashrrev_i32_e32 v2, 31, v1
	s_ashr_i32 s17, s14, 5
	v_lshrrev_b32_e32 v4, 27, v2
	s_add_i32 s17, s17, -1
	s_waitcnt lgkmcnt(0)
	s_mul_i32 s14, s2, s5
	s_mov_b32 s15, 0
	v_add_u32_e32 v2, v1, v4
	s_lshl_b64 s[14:15], s[14:15], 2
	v_ashrrev_i32_e32 v2, 5, v2
	v_mov_b32_e32 v5, s17
	v_cmp_gt_i32_e32 vcc, s29, v1
	s_add_u32 s8, s8, s14
	s_addc_u32 s9, s9, s15
	v_cndmask_b32_e32 v2, v5, v2, vcc
	v_ashrrev_i32_e32 v3, 31, v2
	v_lshl_add_u64 v[6:7], v[2:3], 2, s[8:9]
	v_or_b32_e32 v2, 16, v1
	v_add_u32_e32 v3, v2, v4
	v_ashrrev_i32_e32 v3, 5, v3
	v_cmp_gt_i32_e32 vcc, s29, v2
	s_load_dwordx2 s[14:15], s[0:1], 0x8
	s_nop 0
	v_cndmask_b32_e32 v2, v5, v3, vcc
	v_ashrrev_i32_e32 v3, 31, v2
	v_lshl_add_u64 v[8:9], v[2:3], 2, s[8:9]
	v_or_b32_e32 v2, 32, v1
	v_add_u32_e32 v3, v2, v4
	v_ashrrev_i32_e32 v3, 5, v3
	v_cmp_gt_i32_e32 vcc, s29, v2
	v_or_b32_e32 v1, 48, v1
	s_nop 0
	v_cndmask_b32_e32 v2, v5, v3, vcc
	v_ashrrev_i32_e32 v3, 31, v2
	v_lshl_add_u64 v[10:11], v[2:3], 2, s[8:9]
	v_add_u32_e32 v2, v1, v4
	v_ashrrev_i32_e32 v2, 5, v2
	v_cmp_gt_i32_e32 vcc, s29, v1
	s_nop 1
	v_cndmask_b32_e32 v2, v5, v2, vcc
	v_ashrrev_i32_e32 v3, 31, v2
	v_lshl_add_u64 v[12:13], v[2:3], 2, s[8:9]
	global_load_dword v5, v[6:7], off
	global_load_dword v4, v[8:9], off
	;; [unrolled: 1-line block ×4, first 2 shown]
	s_andn2_b64 vcc, exec, s[10:11]
	s_cbranch_vccnz .LBB900_8
; %bb.6:
	s_add_u32 s6, s6, s12
	s_addc_u32 s7, s7, s13
	s_load_dword s5, s[6:7], 0x0
	s_branch .LBB900_9
.LBB900_7:
	s_mov_b64 s[12:13], 0
	s_branch .LBB900_2
.LBB900_8:
	s_mov_b32 s5, s2
.LBB900_9:
	s_load_dwordx2 s[10:11], s[0:1], 0x10
	s_load_dwordx4 s[44:47], s[0:1], 0x48
	v_lshrrev_b32_e32 v29, 6, v0
	v_bfe_u32 v42, v0, 4, 2
	v_lshl_or_b32 v6, v29, 2, v42
	v_and_b32_e32 v28, 15, v0
	v_lshlrev_b32_e32 v1, 3, v28
	v_cmp_gt_u32_e32 vcc, 13, v6
	v_cmp_gt_u32_e64 s[30:31], 8, v28
	s_mul_i32 s48, s4, 13
	s_and_b64 s[12:13], s[30:31], vcc
	v_lshlrev_b32_e32 v26, 1, v1
	v_lshlrev_b32_e32 v1, 4, v0
	s_and_saveexec_b64 s[6:7], s[12:13]
	s_cbranch_execz .LBB900_11
; %bb.10:
	s_load_dwordx2 s[12:13], s[0:1], 0x0
	s_waitcnt lgkmcnt(0)
	s_ashr_i32 s18, s44, 31
	s_mul_hi_u32 s19, s5, s44
	s_mul_i32 s18, s5, s18
	s_add_i32 s19, s19, s18
	s_mul_i32 s18, s5, s44
	s_lshl_b64 s[18:19], s[18:19], 1
	s_add_u32 s12, s12, s18
	v_add_lshl_u32 v8, v6, s48, 6
	s_addc_u32 s13, s13, s19
	v_ashrrev_i32_e32 v9, 31, v8
	v_lshl_add_u64 v[8:9], v[8:9], 1, s[12:13]
	v_mov_b32_e32 v27, 0
	v_lshl_add_u64 v[8:9], v[8:9], 0, v[26:27]
	global_load_dwordx4 v[8:11], v[8:9], off
	v_lshlrev_b32_e32 v12, 8, v28
	v_lshlrev_b32_e32 v6, 5, v6
	v_and_b32_e32 v7, 16, v1
	v_and_b32_e32 v12, 0xe00, v12
	v_or3_b32 v6, v12, v6, v7
	s_waitcnt vmcnt(0)
	ds_write_b128 v6, v[8:11]
.LBB900_11:
	s_or_b64 exec, exec, s[6:7]
	s_waitcnt lgkmcnt(0)
	s_mul_i32 s12, s4, s46
	s_add_u32 s4, s14, s12
	s_addc_u32 s5, s15, 0
	v_mov_b32_e32 v31, 0
	v_mov_b64_e32 v[6:7], s[4:5]
	v_lshlrev_b32_e32 v10, 4, v28
	v_and_b32_e32 v27, 48, v0
	s_waitcnt vmcnt(3)
	v_mad_i64_i32 v[8:9], s[4:5], v5, s45, v[6:7]
	v_mov_b32_e32 v11, v31
	s_waitcnt vmcnt(2)
	v_mad_i64_i32 v[4:5], s[4:5], v4, s45, v[6:7]
	v_or_b32_e32 v12, 0x100, v10
	v_mov_b32_e32 v13, v31
	v_lshlrev_b32_e32 v30, 5, v27
	v_lshl_add_u64 v[8:9], v[8:9], 0, v[10:11]
	v_lshl_add_u64 v[4:5], v[4:5], 0, v[12:13]
	;; [unrolled: 1-line block ×4, first 2 shown]
	s_barrier
	global_load_dwordx4 v[22:25], v[8:9], off
	global_load_dwordx4 v[18:21], v[4:5], off
	s_waitcnt vmcnt(3)
	v_mad_i64_i32 v[4:5], s[4:5], v3, s45, v[6:7]
	v_lshl_add_u64 v[4:5], v[4:5], 0, v[10:11]
	s_waitcnt vmcnt(2)
	v_mad_i64_i32 v[2:3], s[4:5], v2, s45, v[6:7]
	v_lshl_add_u64 v[4:5], v[4:5], 0, v[30:31]
	v_lshl_add_u64 v[2:3], v[2:3], 0, v[12:13]
	;; [unrolled: 1-line block ×3, first 2 shown]
	global_load_dwordx4 v[14:17], v[4:5], off
	global_load_dwordx4 v[6:9], v[2:3], off
	v_add_u32_e32 v2, -13, v28
	v_cmp_gt_u32_e32 vcc, 13, v28
	v_and_b32_e32 v43, 63, v0
	v_mov_b32_e32 v44, 0
	v_cndmask_b32_e32 v2, v2, v28, vcc
	v_lshlrev_b32_e32 v2, 5, v2
	v_lshl_add_u32 v2, v42, 9, v2
	ds_read_b128 v[10:13], v2
	ds_read_b128 v[2:5], v2 offset:16
	s_and_saveexec_b64 s[4:5], vcc
	s_cbranch_execz .LBB900_13
; %bb.12:
	s_load_dwordx2 s[6:7], s[0:1], 0x40
	v_add_u32_e32 v32, s48, v28
	v_ashrrev_i32_e32 v33, 31, v32
	s_waitcnt lgkmcnt(0)
	v_lshl_add_u64 v[32:33], v[32:33], 2, s[6:7]
	global_load_dword v44, v[32:33], off
.LBB900_13:
	s_or_b64 exec, exec, s[4:5]
	s_ashr_i32 s4, s16, 31
	v_or_b32_e32 v45, s16, v27
	s_lshr_b32 s13, s4, 27
	v_add_u32_e32 v27, s13, v45
	v_ashrrev_i32_e32 v27, 5, v27
	s_waitcnt vmcnt(3)
	v_cvt_pk_f32_fp8_e32 v[32:33], v22
	v_cvt_pk_f32_fp8_sdwa v[34:35], v22 src0_sel:WORD_1
	s_waitcnt vmcnt(2)
	v_cvt_pk_f32_fp8_e32 v[56:57], v20
	v_cvt_pk_f32_fp8_sdwa v[58:59], v20 src0_sel:WORD_1
	v_mov_b32_e32 v20, s17
	v_cmp_gt_i32_e32 vcc, s29, v45
	v_cvt_pk_f32_fp8_e32 v[48:49], v18
	v_cvt_pk_f32_fp8_sdwa v[50:51], v18 src0_sel:WORD_1
	v_cndmask_b32_e32 v18, v20, v27, vcc
	v_cvt_pk_f32_fp8_e32 v[52:53], v19
	v_cvt_pk_f32_fp8_sdwa v[54:55], v19 src0_sel:WORD_1
	v_ashrrev_i32_e32 v19, 31, v18
	v_lshl_add_u64 v[18:19], v[18:19], 2, s[8:9]
	v_cvt_pk_f32_fp8_e32 v[36:37], v23
	v_cvt_pk_f32_fp8_sdwa v[22:23], v23 src0_sel:WORD_1
	global_load_dword v70, v[18:19], off
	v_cvt_pkrtz_f16_f32 v18, v32, v33
	v_cvt_pkrtz_f16_f32 v19, v34, v35
	v_cvt_pk_f32_fp8_e32 v[60:61], v21
	v_cvt_pk_f32_fp8_sdwa v[62:63], v21 src0_sel:WORD_1
	v_or_b32_e32 v21, 64, v45
	v_or_b32_e32 v32, 0x80, v45
	;; [unrolled: 1-line block ×3, first 2 shown]
	v_cmp_gt_i32_e32 vcc, s29, v21
	v_add_u32_e32 v21, s13, v21
	v_cmp_gt_i32_e64 s[4:5], s29, v32
	v_add_u32_e32 v32, s13, v32
	v_cmp_gt_i32_e64 s[6:7], s29, v33
	v_add_u32_e32 v33, s13, v33
	v_cvt_pk_f32_fp8_e32 v[38:39], v24
	v_cvt_pk_f32_fp8_sdwa v[40:41], v24 src0_sel:WORD_1
	v_ashrrev_i32_e32 v21, 5, v21
	v_ashrrev_i32_e32 v34, 5, v32
	;; [unrolled: 1-line block ×3, first 2 shown]
	v_cvt_pkrtz_f16_f32 v32, v36, v37
	v_cvt_pkrtz_f16_f32 v33, v22, v23
	v_cndmask_b32_e32 v36, v20, v21, vcc
	v_cndmask_b32_e64 v64, v20, v34, s[4:5]
	v_cndmask_b32_e64 v66, v20, v35, s[6:7]
	s_waitcnt lgkmcnt(1)
	v_mfma_f32_16x16x16_f16 v[18:21], v[18:19], v[10:11], 0
	v_cvt_pk_f32_fp8_e32 v[46:47], v25
	v_cvt_pkrtz_f16_f32 v22, v48, v49
	v_cvt_pkrtz_f16_f32 v23, v50, v51
	v_cvt_pk_f32_fp8_sdwa v[24:25], v25 src0_sel:WORD_1
	v_cvt_pkrtz_f16_f32 v38, v38, v39
	v_cvt_pkrtz_f16_f32 v39, v40, v41
	v_mfma_f32_16x16x16_f16 v[32:35], v[32:33], v[12:13], v[18:21]
	s_add_u32 s10, s10, s12
	v_and_b32_e32 v30, 16, v0
	v_lshlrev_b32_e32 v27, 5, v28
	s_addc_u32 s11, s11, 0
	v_cvt_pkrtz_f16_f32 v68, v46, v47
	v_cvt_pkrtz_f16_f32 v46, v52, v53
	;; [unrolled: 1-line block ×3, first 2 shown]
	s_load_dword s14, s[0:1], 0x1c
	s_load_dwordx4 s[40:43], s[0:1], 0x80
	v_lshl_add_u64 v[40:41], s[10:11], 0, v[30:31]
	v_lshl_or_b32 v30, v29, 9, v27
	v_cvt_pkrtz_f16_f32 v69, v24, v25
	v_mfma_f32_16x16x16_f16 v[22:25], v[22:23], v[10:11], 0
	v_lshl_add_u64 v[18:19], v[40:41], 0, v[30:31]
	v_ashrrev_i32_e32 v37, 31, v36
	v_ashrrev_i32_e32 v65, 31, v64
	s_waitcnt lgkmcnt(0)
	v_mfma_f32_16x16x16_f16 v[30:33], v[38:39], v[2:3], v[32:35]
	v_ashrrev_i32_e32 v67, 31, v66
	v_cvt_pkrtz_f16_f32 v48, v56, v57
	v_cvt_pkrtz_f16_f32 v49, v58, v59
	v_mfma_f32_16x16x16_f16 v[20:23], v[46:47], v[12:13], v[22:25]
	v_lshl_add_u64 v[34:35], v[64:65], 2, s[8:9]
	s_load_dword s4, s[40:41], 0x0
	v_cvt_pkrtz_f16_f32 v50, v60, v61
	v_lshl_add_u64 v[24:25], v[36:37], 2, s[8:9]
	v_lshl_add_u64 v[36:37], v[66:67], 2, s[8:9]
	global_load_dword v47, v[24:25], off
	global_load_dword v45, v[34:35], off
	global_load_dword v46, v[36:37], off
	v_mfma_f32_16x16x16_f16 v[34:37], v[68:69], v[4:5], v[30:33]
	s_waitcnt vmcnt(5)
	v_cvt_pk_f32_fp8_e32 v[24:25], v14
	v_cvt_pkrtz_f16_f32 v51, v62, v63
	v_cvt_pk_f32_fp8_e32 v[38:39], v15
	v_cvt_pk_f32_fp8_sdwa v[32:33], v14 src0_sel:WORD_1
	v_mfma_f32_16x16x16_f16 v[20:23], v[48:49], v[2:3], v[20:23]
	v_cvt_pkrtz_f16_f32 v24, v24, v25
	v_cvt_pk_f32_fp8_sdwa v[14:15], v15 src0_sel:WORD_1
	v_cvt_pkrtz_f16_f32 v25, v32, v33
	v_mov_b32_e32 v40, s14
	v_mfma_f32_16x16x16_f16 v[20:23], v[50:51], v[4:5], v[20:23]
	v_cvt_pkrtz_f16_f32 v32, v38, v39
	v_cvt_pk_f32_fp8_e32 v[50:51], v16
	v_cvt_pk_f32_fp8_sdwa v[52:53], v16 src0_sel:WORD_1
	v_cvt_pkrtz_f16_f32 v33, v14, v15
	s_waitcnt lgkmcnt(0)
	v_mul_f32_e32 v48, s4, v40
	v_mfma_f32_16x16x16_f16 v[38:41], v[24:25], v[10:11], 0
	v_cvt_pkrtz_f16_f32 v24, v50, v51
	v_cvt_pkrtz_f16_f32 v25, v52, v53
	v_cvt_pk_f32_fp8_e32 v[50:51], v17
	v_cvt_pk_f32_fp8_sdwa v[52:53], v17 src0_sel:WORD_1
	v_mfma_f32_16x16x16_f16 v[14:17], v[32:33], v[12:13], v[38:41]
	v_pk_mul_f32 v[32:33], v[48:49], v[36:37] op_sel_hi:[0,1]
	v_cvt_pkrtz_f16_f32 v36, v50, v51
	v_cvt_pkrtz_f16_f32 v37, v52, v53
	v_mfma_f32_16x16x16_f16 v[14:17], v[24:25], v[2:3], v[14:17]
	v_pk_mul_f32 v[38:39], v[48:49], v[34:35] op_sel_hi:[0,1]
	s_waitcnt vmcnt(4)
	v_cvt_pk_f32_fp8_e32 v[24:25], v6
	v_cvt_pk_f32_fp8_sdwa v[34:35], v6 src0_sel:WORD_1
	v_mfma_f32_16x16x16_f16 v[14:17], v[36:37], v[4:5], v[14:17]
	v_cvt_pk_f32_fp8_e32 v[36:37], v7
	v_cvt_pkrtz_f16_f32 v24, v24, v25
	v_cvt_pkrtz_f16_f32 v25, v34, v35
	v_cvt_pk_f32_fp8_sdwa v[6:7], v7 src0_sel:WORD_1
	v_cvt_pkrtz_f16_f32 v40, v36, v37
	v_cvt_pk_f32_fp8_e32 v[50:51], v8
	v_cvt_pk_f32_fp8_sdwa v[52:53], v8 src0_sel:WORD_1
	v_cvt_pkrtz_f16_f32 v41, v6, v7
	v_mfma_f32_16x16x16_f16 v[34:37], v[24:25], v[10:11], 0
	v_cvt_pkrtz_f16_f32 v10, v50, v51
	v_cvt_pkrtz_f16_f32 v11, v52, v53
	v_cvt_pk_f32_fp8_e32 v[24:25], v9
	v_cvt_pk_f32_fp8_sdwa v[50:51], v9 src0_sel:WORD_1
	v_mfma_f32_16x16x16_f16 v[6:9], v[40:41], v[12:13], v[34:37]
	v_pk_mul_f32 v[40:41], v[48:49], v[20:21] op_sel_hi:[0,1]
	v_cvt_pkrtz_f16_f32 v12, v24, v25
	v_cvt_pkrtz_f16_f32 v13, v50, v51
	v_mfma_f32_16x16x16_f16 v[6:9], v[10:11], v[2:3], v[6:9]
	v_pk_mul_f32 v[36:37], v[48:49], v[22:23] op_sel_hi:[0,1]
	v_pk_mul_f32 v[24:25], v[48:49], v[16:17] op_sel_hi:[0,1]
	;; [unrolled: 1-line block ×3, first 2 shown]
	v_mfma_f32_16x16x16_f16 v[2:5], v[12:13], v[4:5], v[6:9]
	s_waitcnt vmcnt(3)
	v_mad_i64_i32 v[30:31], s[4:5], v70, s45, v[18:19]
	s_mov_b32 s33, 0xff7fffff
	s_nop 3
	v_pk_mul_f32 v[22:23], v[48:49], v[2:3] op_sel_hi:[0,1]
	v_and_b32_e32 v2, 0xc0, v0
	v_add_u32_e32 v2, s16, v2
	v_lshl_or_b32 v2, v42, 2, v2
	v_or_b32_e32 v3, 1, v2
	v_pk_mul_f32 v[20:21], v[48:49], v[4:5] op_sel_hi:[0,1]
	v_subrev_u32_e32 v4, s29, v3
	v_add_u32_e32 v6, 1, v4
	v_add_u32_e32 v7, 2, v4
	;; [unrolled: 1-line block ×3, first 2 shown]
	v_cvt_f32_i32_e32 v6, v6
	v_cvt_f32_i32_e32 v7, v7
	;; [unrolled: 1-line block ×3, first 2 shown]
	v_add_u32_e32 v9, 19, v4
	v_fmac_f32_e32 v39, v44, v6
	v_fma_f32 v32, v44, v7, v32
	v_fmac_f32_e32 v33, v44, v8
	v_add_u32_e32 v6, 16, v4
	v_add_u32_e32 v7, 17, v4
	;; [unrolled: 1-line block ×3, first 2 shown]
	v_cvt_f32_i32_e32 v6, v6
	v_cvt_f32_i32_e32 v7, v7
	;; [unrolled: 1-line block ×4, first 2 shown]
	v_fma_f32 v40, v44, v6, v40
	v_fmac_f32_e32 v41, v44, v7
	v_fma_f32 v36, v44, v8, v36
	v_add_u32_e32 v6, 32, v4
	v_add_u32_e32 v7, 33, v4
	;; [unrolled: 1-line block ×3, first 2 shown]
	v_cvt_f32_i32_e32 v6, v6
	v_cvt_f32_i32_e32 v7, v7
	;; [unrolled: 1-line block ×4, first 2 shown]
	v_fmac_f32_e32 v37, v44, v9
	v_add_u32_e32 v9, 35, v4
	v_fma_f32 v48, v44, v6, v34
	v_fmac_f32_e32 v35, v44, v7
	v_fma_f32 v24, v44, v8, v24
	v_add_u32_e32 v6, 48, v4
	v_add_u32_e32 v7, 49, v4
	;; [unrolled: 1-line block ×4, first 2 shown]
	v_cvt_f32_i32_e32 v4, v4
	v_cvt_f32_i32_e32 v6, v6
	v_cvt_f32_i32_e32 v7, v7
	v_fma_f32 v5, v44, v5, v38
	v_fmac_f32_e32 v21, v44, v4
	v_mov_b32_e32 v4, 0xff7fffff
	v_cmp_gt_i32_e64 s[4:5], s29, v2
	v_cmp_gt_i32_e64 s[34:35], s29, v3
	v_fma_f32 v22, v44, v6, v22
	v_cndmask_b32_e64 v6, v4, v5, s[4:5]
	v_cndmask_b32_e64 v3, v4, v39, s[34:35]
	v_fmac_f32_e32 v23, v44, v7
	v_max3_f32 v3, v6, s33, v3
	v_or_b32_e32 v6, 2, v2
	v_or_b32_e32 v7, 3, v2
	v_cmp_gt_i32_e64 s[36:37], s29, v6
	v_cmp_gt_i32_e64 s[38:39], s29, v7
	v_cvt_f32_i32_e32 v9, v9
	v_cndmask_b32_e64 v6, v4, v32, s[36:37]
	v_cndmask_b32_e64 v7, v4, v33, s[38:39]
	v_max3_f32 v3, v3, v6, v7
	v_or_b32_e32 v6, 16, v2
	v_or_b32_e32 v7, 17, v2
	v_cmp_gt_i32_e64 s[24:25], s29, v6
	v_cmp_gt_i32_e64 s[26:27], s29, v7
	v_fmac_f32_e32 v25, v44, v9
	v_cndmask_b32_e64 v6, v4, v40, s[24:25]
	v_cndmask_b32_e64 v7, v4, v41, s[26:27]
	v_max3_f32 v3, v3, v6, v7
	v_or_b32_e32 v6, 18, v2
	v_or_b32_e32 v7, 19, v2
	v_cmp_gt_i32_e64 s[20:21], s29, v6
	v_cmp_gt_i32_e64 s[22:23], s29, v7
	v_cvt_f32_i32_e32 v8, v8
	v_cndmask_b32_e64 v6, v4, v36, s[20:21]
	v_cndmask_b32_e64 v7, v4, v37, s[22:23]
	v_max3_f32 v3, v3, v6, v7
	v_or_b32_e32 v6, 32, v2
	v_or_b32_e32 v7, 33, v2
	v_cmp_gt_i32_e64 s[16:17], s29, v6
	v_cmp_gt_i32_e64 s[18:19], s29, v7
	v_fma_f32 v20, v44, v8, v20
	v_cndmask_b32_e64 v6, v4, v48, s[16:17]
	v_cndmask_b32_e64 v7, v4, v35, s[18:19]
	v_max3_f32 v3, v3, v6, v7
	v_or_b32_e32 v6, 34, v2
	v_or_b32_e32 v7, 35, v2
	v_cmp_gt_i32_e64 s[12:13], s29, v6
	v_cmp_gt_i32_e64 s[14:15], s29, v7
	s_nop 0
	v_cndmask_b32_e64 v6, v4, v24, s[12:13]
	v_cndmask_b32_e64 v7, v4, v25, s[14:15]
	v_max3_f32 v3, v3, v6, v7
	v_or_b32_e32 v6, 48, v2
	v_or_b32_e32 v7, 49, v2
	v_cmp_gt_i32_e64 s[8:9], s29, v6
	v_cmp_gt_i32_e64 s[10:11], s29, v7
	s_nop 0
	v_cndmask_b32_e64 v6, v4, v22, s[8:9]
	v_cndmask_b32_e64 v7, v4, v23, s[10:11]
	v_max3_f32 v3, v3, v6, v7
	v_or_b32_e32 v6, 50, v2
	v_or_b32_e32 v2, 51, v2
	v_cmp_gt_i32_e32 vcc, s29, v6
	v_cmp_gt_i32_e64 s[6:7], s29, v2
	s_nop 0
	v_cndmask_b32_e32 v6, v4, v20, vcc
	v_cndmask_b32_e64 v2, v4, v21, s[6:7]
	v_max3_f32 v4, v3, v6, v2
	v_mbcnt_lo_u32_b32 v2, -1, 0
	v_mbcnt_hi_u32_b32 v6, -1, v2
	v_and_b32_e32 v2, 64, v6
	v_add_u32_e32 v7, 64, v2
	v_xor_b32_e32 v2, 32, v6
	v_cmp_lt_i32_e64 s[40:41], v2, v7
	s_nop 1
	v_cndmask_b32_e64 v2, v6, v2, s[40:41]
	v_lshlrev_b32_e32 v44, 2, v2
	ds_bpermute_b32 v8, v44, v4
	s_waitcnt vmcnt(2)
	v_mad_i64_i32 v[2:3], s[40:41], v47, s45, v[18:19]
	global_load_dwordx4 v[14:17], v[30:31], off
	global_load_dwordx4 v[10:13], v[2:3], off
	v_xor_b32_e32 v3, 16, v6
	v_cmp_lt_i32_e64 s[40:41], v3, v7
	s_waitcnt lgkmcnt(0)
	v_max_f32_e32 v2, v8, v8
	v_max_f32_e32 v2, v4, v2
	v_cndmask_b32_e64 v3, v6, v3, s[40:41]
	v_lshlrev_b32_e32 v47, 2, v3
	ds_bpermute_b32 v3, v47, v2
	s_waitcnt vmcnt(3)
	v_mad_i64_i32 v[30:31], s[40:41], v45, s45, v[18:19]
	s_waitcnt vmcnt(2)
	v_mad_i64_i32 v[18:19], s[40:41], v46, s45, v[18:19]
	s_waitcnt lgkmcnt(0)
	v_max_f32_e32 v3, v3, v3
	v_max_f32_e32 v34, v2, v3
	v_sub_f32_e32 v2, v5, v34
	v_mul_f32_e32 v2, 0x3fb8aa3b, v2
	v_exp_f32_e32 v38, v2
	v_sub_f32_e32 v2, v39, v34
	v_mul_f32_e32 v2, 0x3fb8aa3b, v2
	v_exp_f32_e32 v39, v2
	global_load_dwordx4 v[6:9], v[30:31], off
	global_load_dwordx4 v[2:5], v[18:19], off
	v_sub_f32_e32 v31, v32, v34
	v_sub_f32_e32 v32, v33, v34
	v_mul_f32_e32 v31, 0x3fb8aa3b, v31
	v_mul_f32_e32 v32, 0x3fb8aa3b, v32
	v_exp_f32_e32 v31, v31
	v_exp_f32_e32 v32, v32
	v_cndmask_b32_e64 v18, 0, v38, s[4:5]
	v_cndmask_b32_e64 v19, 0, v39, s[34:35]
	;; [unrolled: 1-line block ×4, first 2 shown]
	v_sub_f32_e32 v31, v40, v34
	v_sub_f32_e32 v32, v41, v34
	v_mul_f32_e32 v31, 0x3fb8aa3b, v31
	v_mul_f32_e32 v32, 0x3fb8aa3b, v32
	v_exp_f32_e32 v31, v31
	v_exp_f32_e32 v32, v32
	v_add_f32_e32 v30, 0, v18
	v_add_f32_e32 v30, v30, v19
	;; [unrolled: 1-line block ×4, first 2 shown]
	v_cndmask_b32_e64 v30, 0, v31, s[24:25]
	v_cndmask_b32_e64 v31, 0, v32, s[26:27]
	v_sub_f32_e32 v32, v36, v34
	v_mul_f32_e32 v32, 0x3fb8aa3b, v32
	v_exp_f32_e32 v32, v32
	v_sub_f32_e32 v36, v37, v34
	v_add_f32_e32 v33, v33, v30
	v_mul_f32_e32 v36, 0x3fb8aa3b, v36
	v_exp_f32_e32 v37, v36
	v_add_f32_e32 v33, v33, v31
	v_cndmask_b32_e64 v36, 0, v32, s[20:21]
	v_add_f32_e32 v32, v33, v36
	v_sub_f32_e32 v33, v48, v34
	v_mul_f32_e32 v33, 0x3fb8aa3b, v33
	v_sub_f32_e32 v35, v35, v34
	v_exp_f32_e32 v33, v33
	v_mul_f32_e32 v35, 0x3fb8aa3b, v35
	v_sub_f32_e32 v24, v24, v34
	v_exp_f32_e32 v35, v35
	v_mul_f32_e32 v24, 0x3fb8aa3b, v24
	v_sub_f32_e32 v25, v25, v34
	v_exp_f32_e32 v24, v24
	v_mul_f32_e32 v25, 0x3fb8aa3b, v25
	v_sub_f32_e32 v22, v22, v34
	v_cndmask_b32_e64 v37, 0, v37, s[22:23]
	v_exp_f32_e32 v25, v25
	v_mul_f32_e32 v22, 0x3fb8aa3b, v22
	v_sub_f32_e32 v23, v23, v34
	v_add_f32_e32 v40, v32, v37
	v_cndmask_b32_e64 v32, 0, v33, s[16:17]
	v_exp_f32_e32 v22, v22
	v_mul_f32_e32 v23, 0x3fb8aa3b, v23
	v_sub_f32_e32 v20, v20, v34
	v_add_f32_e32 v40, v40, v32
	;; [unrolled: 5-line block ×3, first 2 shown]
	v_cndmask_b32_e64 v24, 0, v24, s[12:13]
	v_exp_f32_e32 v20, v20
	v_mul_f32_e32 v21, 0x3fb8aa3b, v21
	v_add_f32_e32 v35, v35, v24
	v_cndmask_b32_e64 v25, 0, v25, s[14:15]
	v_exp_f32_e32 v21, v21
	v_add_f32_e32 v35, v35, v25
	v_cndmask_b32_e64 v22, 0, v22, s[8:9]
	v_add_f32_e32 v35, v35, v22
	v_cndmask_b32_e64 v23, 0, v23, s[10:11]
	v_add_f32_e32 v35, v35, v23
	v_cndmask_b32_e32 v20, 0, v20, vcc
	v_add_f32_e32 v35, v35, v20
	v_cndmask_b32_e64 v21, 0, v21, s[6:7]
	v_add_f32_e32 v35, v35, v21
	ds_bpermute_b32 v40, v44, v35
	s_load_dword s9, s[0:1], 0x98
	v_cmp_gt_u32_e64 s[6:7], 16, v43
	s_waitcnt lgkmcnt(0)
	s_barrier
	v_add_f32_e32 v40, v35, v40
	ds_bpermute_b32 v41, v47, v40
	v_lshlrev_b32_e32 v35, 2, v28
	s_waitcnt lgkmcnt(0)
	s_and_saveexec_b64 s[4:5], s[6:7]
	s_cbranch_execz .LBB900_15
; %bb.14:
	v_add_f32_e32 v40, v40, v41
	v_lshl_or_b32 v41, v29, 6, v35
	ds_write2st64_b32 v41, v34, v40 offset1:1
.LBB900_15:
	s_or_b64 exec, exec, s[4:5]
	s_load_dword s8, s[0:1], 0x94
	s_waitcnt lgkmcnt(0)
	s_barrier
	ds_read2_b32 v[40:41], v35 offset1:16
	ds_read2_b32 v[44:45], v35 offset0:32 offset1:48
	ds_read2_b32 v[46:47], v35 offset0:64 offset1:80
	s_mul_i32 s9, s9, 13
	s_waitcnt lgkmcnt(2)
	v_max3_f32 v34, v40, s33, v41
	s_waitcnt lgkmcnt(1)
	v_max3_f32 v34, v34, v44, v45
	v_sub_f32_e32 v40, v40, v34
	v_mul_f32_e32 v40, 0x3fb8aa3b, v40
	v_exp_f32_e32 v43, v40
	v_sub_f32_e32 v40, v41, v34
	v_mul_f32_e32 v40, 0x3fb8aa3b, v40
	v_exp_f32_e32 v48, v40
	;; [unrolled: 3-line block ×3, first 2 shown]
	ds_read2_b32 v[40:41], v35 offset0:96 offset1:112
	v_sub_f32_e32 v35, v45, v34
	v_mul_f32_e32 v35, 0x3fb8aa3b, v35
	v_exp_f32_e32 v45, v35
	s_waitcnt lgkmcnt(1)
	v_fma_f32 v35, v43, v46, 0
	v_fmac_f32_e32 v35, v48, v47
	s_waitcnt lgkmcnt(0)
	v_fmac_f32_e32 v35, v44, v40
	v_fmac_f32_e32 v35, v45, v41
	v_add_f32_e32 v40, 0x358637bd, v35
	v_div_scale_f32 v41, s[4:5], v40, v40, 1.0
	v_rcp_f32_e32 v46, v41
	s_barrier
	v_fma_f32 v47, -v41, v46, 1.0
	v_fmac_f32_e32 v46, v47, v46
	v_div_scale_f32 v47, vcc, 1.0, v40, 1.0
	v_mul_f32_e32 v49, v47, v46
	v_fma_f32 v50, -v41, v49, v47
	v_fmac_f32_e32 v49, v50, v46
	v_fma_f32 v41, -v41, v49, v47
	v_div_fmas_f32 v41, v41, v46, v49
	v_cmp_eq_u32_e32 vcc, 1, v29
	v_div_fixup_f32 v40, v41, v40, 1.0
	s_nop 0
	v_cndmask_b32_e32 v41, v43, v48, vcc
	v_cmp_eq_u32_e32 vcc, 2, v29
	s_nop 1
	v_cndmask_b32_e32 v41, v41, v44, vcc
	v_cmp_eq_u32_e32 vcc, 3, v29
	s_nop 1
	v_cndmask_b32_e32 v41, v41, v45, vcc
	v_mul_f32_e32 v40, v41, v40
	v_pk_mul_f32 v[38:39], v[40:41], v[38:39] op_sel_hi:[0,1]
	v_pk_mul_f32 v[18:19], v[40:41], v[18:19] op_sel_hi:[0,1]
	v_cvt_f16_f32_e32 v41, v38
	v_cvt_f16_f32_e32 v39, v39
	v_cvt_f16_f32_e32 v18, v18
	v_cvt_f16_f32_e32 v19, v19
	v_cmp_gt_u32_e32 vcc, 13, v0
	v_pack_b32_f16 v39, v41, v39
	v_lshlrev_b32_e32 v41, 3, v42
	v_pack_b32_f16 v38, v18, v19
	v_pk_mul_f32 v[18:19], v[40:41], v[36:37] op_sel_hi:[0,1]
	v_pk_mul_f32 v[30:31], v[40:41], v[30:31] op_sel_hi:[0,1]
	v_cvt_f16_f32_e32 v30, v30
	v_cvt_f16_f32_e32 v31, v31
	;; [unrolled: 1-line block ×4, first 2 shown]
	v_lshlrev_b32_e32 v18, 11, v29
	v_or3_b32 v18, v18, v27, v41
	v_pack_b32_f16 v30, v30, v31
	v_pack_b32_f16 v31, v36, v19
	ds_write2st64_b64 v18, v[38:39], v[30:31] offset1:1
	v_pk_mul_f32 v[24:25], v[40:41], v[24:25] op_sel_hi:[0,1]
	v_pk_mul_f32 v[30:31], v[40:41], v[32:33] op_sel_hi:[0,1]
	;; [unrolled: 1-line block ×4, first 2 shown]
	v_cvt_f16_f32_e32 v19, v30
	v_cvt_f16_f32_e32 v29, v31
	;; [unrolled: 1-line block ×8, first 2 shown]
	v_pack_b32_f16 v20, v19, v29
	v_pack_b32_f16 v21, v24, v25
	;; [unrolled: 1-line block ×4, first 2 shown]
	ds_write2st64_b64 v18, v[20:21], v[22:23] offset0:2 offset1:3
	s_and_saveexec_b64 s[4:5], vcc
	s_cbranch_execz .LBB900_17
; %bb.16:
	s_mov_b32 s49, 0
	v_mov_b32_e32 v29, 0
	v_lshl_add_u64 v[20:21], s[48:49], 0, v[28:29]
	v_mov_b32_e32 v19, s9
	v_mad_u64_u32 v[20:21], s[10:11], s2, v19, v[20:21]
	s_mul_i32 s3, s3, s9
	v_mov_b32_e32 v28, s28
	s_load_dwordx4 s[12:15], s[0:1], 0x58
	v_add_u32_e32 v19, s3, v21
	v_mad_u64_u32 v[20:21], s[10:11], v20, s8, v[28:29]
	v_mov_b32_e32 v22, v21
	v_mad_u64_u32 v[22:23], s[10:11], v19, s8, v[22:23]
	v_mov_b32_e32 v21, v22
	v_lshlrev_b64 v[20:21], 2, v[20:21]
	s_waitcnt lgkmcnt(0)
	v_lshl_add_u64 v[22:23], s[14:15], 0, v[20:21]
	v_lshl_add_u64 v[20:21], s[12:13], 0, v[20:21]
	global_store_dword v[22:23], v34, off
	global_store_dword v[20:21], v35, off
.LBB900_17:
	s_or_b64 exec, exec, s[4:5]
	s_waitcnt vmcnt(3)
	v_cvt_pk_f32_fp8_e32 v[20:21], v14
	v_cvt_pk_f32_fp8_sdwa v[22:23], v14 src0_sel:WORD_1
	v_lshl_or_b32 v14, v42, 9, v27
	s_waitcnt lgkmcnt(0)
	s_barrier
	v_cvt_pk_f32_fp8_e32 v[24:25], v15
	v_cvt_pkrtz_f16_f32 v32, v20, v21
	v_cvt_pkrtz_f16_f32 v33, v22, v23
	v_cvt_pk_f32_fp8_sdwa v[28:29], v15 src0_sel:WORD_1
	ds_read_b128 v[20:23], v14
	v_cvt_pkrtz_f16_f32 v24, v24, v25
	v_cvt_pk_f32_fp8_e32 v[36:37], v16
	v_cvt_pkrtz_f16_f32 v25, v28, v29
	ds_read_b128 v[28:31], v14 offset:16
	v_cvt_pk_f32_fp8_sdwa v[38:39], v16 src0_sel:WORD_1
	s_waitcnt lgkmcnt(1)
	v_mfma_f32_16x16x16_f16 v[32:35], v[32:33], v[20:21], 0
	v_cvt_pkrtz_f16_f32 v36, v36, v37
	s_load_dword s4, s[42:43], 0x0
	v_cvt_pkrtz_f16_f32 v37, v38, v39
	v_cvt_pk_f32_fp8_e32 v[38:39], v17
	v_cvt_pk_f32_fp8_sdwa v[16:17], v17 src0_sel:WORD_1
	v_mfma_f32_16x16x16_f16 v[20:23], v[24:25], v[22:23], v[32:35]
	v_cmp_gt_u32_e32 vcc, 64, v0
	v_cvt_pkrtz_f16_f32 v24, v38, v39
	v_cvt_pkrtz_f16_f32 v25, v16, v17
	s_waitcnt lgkmcnt(0)
	v_mfma_f32_16x16x16_f16 v[20:23], v[36:37], v[28:29], v[20:23]
	s_waitcnt vmcnt(2)
	v_cvt_pk_f32_fp8_e32 v[16:17], v10
	v_cvt_pk_f32_fp8_e32 v[28:29], v11
	v_cvt_pk_f32_fp8_sdwa v[36:37], v12 src0_sel:WORD_1
	v_mfma_f32_16x16x16_f16 v[20:23], v[24:25], v[30:31], v[20:23]
	v_cvt_pk_f32_fp8_sdwa v[24:25], v10 src0_sel:WORD_1
	v_cvt_pkrtz_f16_f32 v10, v16, v17
	v_cvt_pk_f32_fp8_sdwa v[16:17], v11 src0_sel:WORD_1
	ds_read_b128 v[32:35], v14 offset:2064
	v_cvt_pkrtz_f16_f32 v11, v24, v25
	v_cvt_pkrtz_f16_f32 v24, v28, v29
	ds_read_b128 v[28:31], v14 offset:2048
	v_cvt_pkrtz_f16_f32 v25, v16, v17
	v_cvt_pk_f32_fp8_e32 v[16:17], v12
	s_waitcnt lgkmcnt(0)
	v_mfma_f32_16x16x16_f16 v[20:23], v[10:11], v[28:29], v[20:23]
	v_cvt_pkrtz_f16_f32 v10, v16, v17
	v_cvt_pkrtz_f16_f32 v11, v36, v37
	v_cvt_pk_f32_fp8_e32 v[16:17], v13
	v_mfma_f32_16x16x16_f16 v[20:23], v[24:25], v[30:31], v[20:23]
	v_cvt_pk_f32_fp8_sdwa v[24:25], v13 src0_sel:WORD_1
	ds_read_b128 v[28:31], v14 offset:4112
	v_cvt_pkrtz_f16_f32 v16, v16, v17
	v_mfma_f32_16x16x16_f16 v[10:13], v[10:11], v[32:33], v[20:23]
	v_cvt_pkrtz_f16_f32 v17, v24, v25
	s_waitcnt vmcnt(1)
	v_cvt_pk_f32_fp8_sdwa v[24:25], v7 src0_sel:WORD_1
	v_cvt_pk_f32_fp8_sdwa v[32:33], v8 src0_sel:WORD_1
	v_cvt_pk_f32_fp8_e32 v[20:21], v6
	v_mfma_f32_16x16x16_f16 v[10:13], v[16:17], v[34:35], v[10:13]
	v_cvt_pk_f32_fp8_sdwa v[16:17], v6 src0_sel:WORD_1
	v_cvt_pk_f32_fp8_e32 v[22:23], v7
	v_cvt_pkrtz_f16_f32 v6, v20, v21
	s_mov_b32 s3, 0
	v_cvt_pkrtz_f16_f32 v7, v16, v17
	v_cvt_pkrtz_f16_f32 v16, v22, v23
	ds_read_b128 v[20:23], v14 offset:4096
	v_cvt_pkrtz_f16_f32 v17, v24, v25
	v_cvt_pk_f32_fp8_e32 v[24:25], v8
	s_waitcnt lgkmcnt(0)
	v_mfma_f32_16x16x16_f16 v[10:13], v[6:7], v[20:21], v[10:13]
	v_cvt_pkrtz_f16_f32 v6, v24, v25
	v_cvt_pkrtz_f16_f32 v7, v32, v33
	v_cvt_pk_f32_fp8_e32 v[20:21], v9
	v_mfma_f32_16x16x16_f16 v[10:13], v[16:17], v[22:23], v[10:13]
	v_cvt_pk_f32_fp8_sdwa v[16:17], v9 src0_sel:WORD_1
	s_waitcnt vmcnt(0)
	v_cvt_pk_f32_fp8_sdwa v[24:25], v4 src0_sel:WORD_1
	v_cvt_pkrtz_f16_f32 v20, v20, v21
	v_mfma_f32_16x16x16_f16 v[6:9], v[6:7], v[28:29], v[10:13]
	v_cvt_pkrtz_f16_f32 v21, v16, v17
	v_cvt_pk_f32_fp8_e32 v[16:17], v3
	v_mov_b32_e32 v27, 0
	v_cvt_pk_f32_fp8_e32 v[10:11], v2
	v_cvt_pk_f32_fp8_sdwa v[12:13], v2 src0_sel:WORD_1
	v_mfma_f32_16x16x16_f16 v[6:9], v[20:21], v[30:31], v[6:9]
	v_cvt_pk_f32_fp8_sdwa v[20:21], v3 src0_sel:WORD_1
	v_cvt_pkrtz_f16_f32 v2, v10, v11
	v_cvt_pkrtz_f16_f32 v3, v12, v13
	ds_read_b128 v[10:13], v14 offset:6144
	v_cvt_pkrtz_f16_f32 v22, v16, v17
	v_cvt_pkrtz_f16_f32 v23, v20, v21
	v_cvt_pk_f32_fp8_e32 v[20:21], v4
	s_waitcnt lgkmcnt(0)
	v_mfma_f32_16x16x16_f16 v[6:9], v[2:3], v[10:11], v[6:9]
	ds_read_b128 v[14:17], v14 offset:6160
	v_cvt_pkrtz_f16_f32 v2, v20, v21
	v_cvt_pkrtz_f16_f32 v3, v24, v25
	v_cvt_pk_f32_fp8_e32 v[10:11], v5
	v_mfma_f32_16x16x16_f16 v[6:9], v[22:23], v[12:13], v[6:9]
	v_cvt_pk_f32_fp8_sdwa v[12:13], v5 src0_sel:WORD_1
	s_waitcnt lgkmcnt(0)
	v_cvt_pkrtz_f16_f32 v10, v10, v11
	v_mfma_f32_16x16x16_f16 v[2:5], v[2:3], v[14:15], v[6:9]
	v_cvt_pkrtz_f16_f32 v11, v12, v13
	s_barrier
	s_nop 0
	v_mfma_f32_16x16x16_f16 v[2:5], v[10:11], v[16:17], v[2:5]
	s_nop 6
	v_pk_mul_f32 v[4:5], v[4:5], s[4:5] op_sel_hi:[1,0]
	v_pk_mul_f32 v[2:3], v[2:3], s[4:5] op_sel_hi:[1,0]
	v_cvt_f16_f32_e32 v4, v4
	v_cvt_f16_f32_e32 v2, v2
	;; [unrolled: 1-line block ×4, first 2 shown]
	s_and_b64 s[4:5], vcc, s[30:31]
	v_pack_b32_f16 v2, v2, v3
	v_pack_b32_f16 v3, v4, v5
	ds_write_b64 v18, v[2:3]
	s_waitcnt lgkmcnt(0)
	s_barrier
	s_and_saveexec_b64 s[10:11], s[4:5]
	s_cbranch_execz .LBB900_20
; %bb.18:
	s_load_dwordx2 s[4:5], s[0:1], 0x68
	s_lshl_b32 s0, s8, 6
	s_mul_i32 s1, s9, s2
	s_mul_hi_u32 s9, s1, s0
	s_mul_i32 s8, s1, s0
	v_lshlrev_b32_e32 v0, 10, v0
	s_lshl_b64 s[8:9], s[8:9], 1
	v_and_b32_e32 v0, 0x1800, v0
	v_lshlrev_b32_e32 v2, 5, v42
	v_and_b32_e32 v1, 16, v1
	s_waitcnt lgkmcnt(0)
	s_add_u32 s1, s4, s8
	v_or3_b32 v2, v0, v2, v1
	s_addc_u32 s4, s5, s9
	s_lshl_b32 s2, s28, 6
	ds_read_b128 v[4:7], v2 offset:256
	s_lshl_b64 s[2:3], s[2:3], 1
	ds_read_b128 v[8:11], v2 offset:128
	ds_read_b128 v[12:15], v2
	s_add_u32 s2, s1, s2
	s_addc_u32 s3, s4, s3
	v_add_u32_e32 v3, s48, v42
	v_lshl_add_u64 v[0:1], s[2:3], 0, v[26:27]
	v_mad_u64_u32 v[16:17], s[2:3], v3, s0, 0
	v_lshl_add_u64 v[16:17], v[16:17], 1, v[0:1]
	s_waitcnt lgkmcnt(0)
	global_store_dwordx4 v[16:17], v[12:15], off
	s_nop 1
	v_add_u32_e32 v12, 4, v3
	v_mad_u64_u32 v[12:13], s[2:3], v12, s0, 0
	v_lshl_add_u64 v[12:13], v[12:13], 1, v[0:1]
	v_add_u32_e32 v3, 8, v3
	global_store_dwordx4 v[12:13], v[8:11], off
	s_nop 1
	v_mad_u64_u32 v[8:9], s[2:3], v3, s0, 0
	v_lshl_add_u64 v[8:9], v[8:9], 1, v[0:1]
	global_store_dwordx4 v[8:9], v[4:7], off
	s_and_b64 exec, exec, s[6:7]
	s_cbranch_execz .LBB900_20
; %bb.19:
	ds_read_b128 v[2:5], v2 offset:384
	v_add3_u32 v6, s48, v42, 12
	v_mad_u64_u32 v[6:7], s[0:1], v6, s0, 0
	v_lshl_add_u64 v[0:1], v[6:7], 1, v[0:1]
	s_waitcnt lgkmcnt(0)
	global_store_dwordx4 v[0:1], v[2:5], off
.LBB900_20:
	s_endpgm
	.section	.rodata,"a",@progbits
	.p2align	6, 0x0
	.amdhsa_kernel _Z39paged_attention_ll4mi_QKV_mfma16_kernelIDF16_hLN4vllm18Fp8KVCacheDataTypeE1EDF16_Li32ELi64ELi256ELb1ELi13EEvPKT_PKT0_S7_ifPKiS9_S9_iPKfiiiPfSC_PS2_PT2_iSB_SB_
		.amdhsa_group_segment_fixed_size 8192
		.amdhsa_private_segment_fixed_size 0
		.amdhsa_kernarg_size 400
		.amdhsa_user_sgpr_count 2
		.amdhsa_user_sgpr_dispatch_ptr 0
		.amdhsa_user_sgpr_queue_ptr 0
		.amdhsa_user_sgpr_kernarg_segment_ptr 1
		.amdhsa_user_sgpr_dispatch_id 0
		.amdhsa_user_sgpr_kernarg_preload_length 0
		.amdhsa_user_sgpr_kernarg_preload_offset 0
		.amdhsa_user_sgpr_private_segment_size 0
		.amdhsa_uses_dynamic_stack 0
		.amdhsa_enable_private_segment 0
		.amdhsa_system_sgpr_workgroup_id_x 1
		.amdhsa_system_sgpr_workgroup_id_y 1
		.amdhsa_system_sgpr_workgroup_id_z 1
		.amdhsa_system_sgpr_workgroup_info 0
		.amdhsa_system_vgpr_workitem_id 0
		.amdhsa_next_free_vgpr 71
		.amdhsa_next_free_sgpr 50
		.amdhsa_accum_offset 72
		.amdhsa_reserve_vcc 1
		.amdhsa_float_round_mode_32 0
		.amdhsa_float_round_mode_16_64 0
		.amdhsa_float_denorm_mode_32 3
		.amdhsa_float_denorm_mode_16_64 3
		.amdhsa_dx10_clamp 1
		.amdhsa_ieee_mode 1
		.amdhsa_fp16_overflow 0
		.amdhsa_tg_split 0
		.amdhsa_exception_fp_ieee_invalid_op 0
		.amdhsa_exception_fp_denorm_src 0
		.amdhsa_exception_fp_ieee_div_zero 0
		.amdhsa_exception_fp_ieee_overflow 0
		.amdhsa_exception_fp_ieee_underflow 0
		.amdhsa_exception_fp_ieee_inexact 0
		.amdhsa_exception_int_div_zero 0
	.end_amdhsa_kernel
	.section	.text._Z39paged_attention_ll4mi_QKV_mfma16_kernelIDF16_hLN4vllm18Fp8KVCacheDataTypeE1EDF16_Li32ELi64ELi256ELb1ELi13EEvPKT_PKT0_S7_ifPKiS9_S9_iPKfiiiPfSC_PS2_PT2_iSB_SB_,"axG",@progbits,_Z39paged_attention_ll4mi_QKV_mfma16_kernelIDF16_hLN4vllm18Fp8KVCacheDataTypeE1EDF16_Li32ELi64ELi256ELb1ELi13EEvPKT_PKT0_S7_ifPKiS9_S9_iPKfiiiPfSC_PS2_PT2_iSB_SB_,comdat
.Lfunc_end900:
	.size	_Z39paged_attention_ll4mi_QKV_mfma16_kernelIDF16_hLN4vllm18Fp8KVCacheDataTypeE1EDF16_Li32ELi64ELi256ELb1ELi13EEvPKT_PKT0_S7_ifPKiS9_S9_iPKfiiiPfSC_PS2_PT2_iSB_SB_, .Lfunc_end900-_Z39paged_attention_ll4mi_QKV_mfma16_kernelIDF16_hLN4vllm18Fp8KVCacheDataTypeE1EDF16_Li32ELi64ELi256ELb1ELi13EEvPKT_PKT0_S7_ifPKiS9_S9_iPKfiiiPfSC_PS2_PT2_iSB_SB_
                                        ; -- End function
	.section	.AMDGPU.csdata,"",@progbits
; Kernel info:
; codeLenInByte = 5012
; NumSgprs: 56
; NumVgprs: 71
; NumAgprs: 0
; TotalNumVgprs: 71
; ScratchSize: 0
; MemoryBound: 0
; FloatMode: 240
; IeeeMode: 1
; LDSByteSize: 8192 bytes/workgroup (compile time only)
; SGPRBlocks: 6
; VGPRBlocks: 8
; NumSGPRsForWavesPerEU: 56
; NumVGPRsForWavesPerEU: 71
; AccumOffset: 72
; Occupancy: 7
; WaveLimiterHint : 1
; COMPUTE_PGM_RSRC2:SCRATCH_EN: 0
; COMPUTE_PGM_RSRC2:USER_SGPR: 2
; COMPUTE_PGM_RSRC2:TRAP_HANDLER: 0
; COMPUTE_PGM_RSRC2:TGID_X_EN: 1
; COMPUTE_PGM_RSRC2:TGID_Y_EN: 1
; COMPUTE_PGM_RSRC2:TGID_Z_EN: 1
; COMPUTE_PGM_RSRC2:TIDIG_COMP_CNT: 0
; COMPUTE_PGM_RSRC3_GFX90A:ACCUM_OFFSET: 17
; COMPUTE_PGM_RSRC3_GFX90A:TG_SPLIT: 0
	.section	.text._Z39paged_attention_ll4mi_QKV_mfma16_kernelIDF16_hLN4vllm18Fp8KVCacheDataTypeE1EDF16_Li32ELi64ELi256ELb1ELi14EEvPKT_PKT0_S7_ifPKiS9_S9_iPKfiiiPfSC_PS2_PT2_iSB_SB_,"axG",@progbits,_Z39paged_attention_ll4mi_QKV_mfma16_kernelIDF16_hLN4vllm18Fp8KVCacheDataTypeE1EDF16_Li32ELi64ELi256ELb1ELi14EEvPKT_PKT0_S7_ifPKiS9_S9_iPKfiiiPfSC_PS2_PT2_iSB_SB_,comdat
	.protected	_Z39paged_attention_ll4mi_QKV_mfma16_kernelIDF16_hLN4vllm18Fp8KVCacheDataTypeE1EDF16_Li32ELi64ELi256ELb1ELi14EEvPKT_PKT0_S7_ifPKiS9_S9_iPKfiiiPfSC_PS2_PT2_iSB_SB_ ; -- Begin function _Z39paged_attention_ll4mi_QKV_mfma16_kernelIDF16_hLN4vllm18Fp8KVCacheDataTypeE1EDF16_Li32ELi64ELi256ELb1ELi14EEvPKT_PKT0_S7_ifPKiS9_S9_iPKfiiiPfSC_PS2_PT2_iSB_SB_
	.globl	_Z39paged_attention_ll4mi_QKV_mfma16_kernelIDF16_hLN4vllm18Fp8KVCacheDataTypeE1EDF16_Li32ELi64ELi256ELb1ELi14EEvPKT_PKT0_S7_ifPKiS9_S9_iPKfiiiPfSC_PS2_PT2_iSB_SB_
	.p2align	8
	.type	_Z39paged_attention_ll4mi_QKV_mfma16_kernelIDF16_hLN4vllm18Fp8KVCacheDataTypeE1EDF16_Li32ELi64ELi256ELb1ELi14EEvPKT_PKT0_S7_ifPKiS9_S9_iPKfiiiPfSC_PS2_PT2_iSB_SB_,@function
_Z39paged_attention_ll4mi_QKV_mfma16_kernelIDF16_hLN4vllm18Fp8KVCacheDataTypeE1EDF16_Li32ELi64ELi256ELb1ELi14EEvPKT_PKT0_S7_ifPKiS9_S9_iPKfiiiPfSC_PS2_PT2_iSB_SB_: ; @_Z39paged_attention_ll4mi_QKV_mfma16_kernelIDF16_hLN4vllm18Fp8KVCacheDataTypeE1EDF16_Li32ELi64ELi256ELb1ELi14EEvPKT_PKT0_S7_ifPKiS9_S9_iPKfiiiPfSC_PS2_PT2_iSB_SB_
; %bb.0:
	s_load_dwordx2 s[6:7], s[0:1], 0x30
	s_mov_b32 s28, s3
	s_mov_b64 s[8:9], 0
	s_waitcnt lgkmcnt(0)
	s_cmp_lg_u64 s[6:7], 0
	s_cselect_b64 s[10:11], -1, 0
	s_and_b64 vcc, exec, s[10:11]
	s_cbranch_vccz .LBB901_7
; %bb.1:
	s_add_i32 s12, s2, 1
	s_mov_b32 s13, 0
	s_lshl_b64 s[14:15], s[12:13], 2
	s_add_u32 s14, s6, s14
	s_mov_b32 s3, s13
	s_addc_u32 s15, s7, s15
	s_lshl_b64 s[12:13], s[2:3], 2
	s_add_u32 s12, s6, s12
	s_addc_u32 s13, s7, s13
	s_load_dword s5, s[14:15], 0x0
	s_load_dword s16, s[12:13], 0x0
	s_waitcnt lgkmcnt(0)
	s_sub_i32 s5, s5, s16
	s_cmp_eq_u32 s5, 1
	s_cselect_b64 s[12:13], -1, 0
	s_andn2_b64 vcc, exec, s[8:9]
	s_cbranch_vccnz .LBB901_3
.LBB901_2:
	s_mov_b32 s3, 0
	s_mov_b64 s[12:13], -1
.LBB901_3:
	s_andn2_b64 vcc, exec, s[12:13]
	s_cbranch_vccnz .LBB901_20
; %bb.4:
	s_load_dwordx2 s[8:9], s[0:1], 0x28
	s_lshl_b64 s[12:13], s[2:3], 2
	s_waitcnt lgkmcnt(0)
	s_add_u32 s8, s8, s12
	s_addc_u32 s9, s9, s13
	s_load_dword s29, s[8:9], 0x0
	s_lshl_b32 s16, s28, 8
	s_waitcnt lgkmcnt(0)
	s_cmp_ge_i32 s16, s29
	s_cbranch_scc1 .LBB901_20
; %bb.5:
	s_load_dwordx2 s[8:9], s[0:1], 0x20
	s_load_dword s5, s[0:1], 0x38
	s_add_i32 s14, s29, 31
	s_ashr_i32 s15, s14, 31
	v_and_b32_e32 v1, 0xcf, v0
	s_lshr_b32 s15, s15, 27
	v_add_u32_e32 v1, s16, v1
	s_add_i32 s14, s14, s15
	v_ashrrev_i32_e32 v2, 31, v1
	s_ashr_i32 s17, s14, 5
	v_lshrrev_b32_e32 v4, 27, v2
	s_add_i32 s17, s17, -1
	s_waitcnt lgkmcnt(0)
	s_mul_i32 s14, s2, s5
	s_mov_b32 s15, 0
	v_add_u32_e32 v2, v1, v4
	s_lshl_b64 s[14:15], s[14:15], 2
	v_ashrrev_i32_e32 v2, 5, v2
	v_mov_b32_e32 v5, s17
	v_cmp_gt_i32_e32 vcc, s29, v1
	s_add_u32 s8, s8, s14
	s_addc_u32 s9, s9, s15
	v_cndmask_b32_e32 v2, v5, v2, vcc
	v_ashrrev_i32_e32 v3, 31, v2
	v_lshl_add_u64 v[6:7], v[2:3], 2, s[8:9]
	v_or_b32_e32 v2, 16, v1
	v_add_u32_e32 v3, v2, v4
	v_ashrrev_i32_e32 v3, 5, v3
	v_cmp_gt_i32_e32 vcc, s29, v2
	s_load_dwordx2 s[14:15], s[0:1], 0x8
	s_nop 0
	v_cndmask_b32_e32 v2, v5, v3, vcc
	v_ashrrev_i32_e32 v3, 31, v2
	v_lshl_add_u64 v[8:9], v[2:3], 2, s[8:9]
	v_or_b32_e32 v2, 32, v1
	v_add_u32_e32 v3, v2, v4
	v_ashrrev_i32_e32 v3, 5, v3
	v_cmp_gt_i32_e32 vcc, s29, v2
	v_or_b32_e32 v1, 48, v1
	s_nop 0
	v_cndmask_b32_e32 v2, v5, v3, vcc
	v_ashrrev_i32_e32 v3, 31, v2
	v_lshl_add_u64 v[10:11], v[2:3], 2, s[8:9]
	v_add_u32_e32 v2, v1, v4
	v_ashrrev_i32_e32 v2, 5, v2
	v_cmp_gt_i32_e32 vcc, s29, v1
	s_nop 1
	v_cndmask_b32_e32 v2, v5, v2, vcc
	v_ashrrev_i32_e32 v3, 31, v2
	v_lshl_add_u64 v[12:13], v[2:3], 2, s[8:9]
	global_load_dword v5, v[6:7], off
	global_load_dword v4, v[8:9], off
	;; [unrolled: 1-line block ×4, first 2 shown]
	s_andn2_b64 vcc, exec, s[10:11]
	s_cbranch_vccnz .LBB901_8
; %bb.6:
	s_add_u32 s6, s6, s12
	s_addc_u32 s7, s7, s13
	s_load_dword s5, s[6:7], 0x0
	s_branch .LBB901_9
.LBB901_7:
	s_mov_b64 s[12:13], 0
	s_branch .LBB901_2
.LBB901_8:
	s_mov_b32 s5, s2
.LBB901_9:
	s_load_dwordx2 s[10:11], s[0:1], 0x10
	s_load_dwordx4 s[44:47], s[0:1], 0x48
	v_lshrrev_b32_e32 v29, 6, v0
	v_bfe_u32 v42, v0, 4, 2
	v_lshl_or_b32 v6, v29, 2, v42
	v_and_b32_e32 v28, 15, v0
	v_lshlrev_b32_e32 v1, 3, v28
	v_cmp_gt_u32_e32 vcc, 14, v6
	v_cmp_gt_u32_e64 s[30:31], 8, v28
	s_mul_i32 s48, s4, 14
	s_and_b64 s[12:13], s[30:31], vcc
	v_lshlrev_b32_e32 v26, 1, v1
	v_lshlrev_b32_e32 v1, 4, v0
	s_and_saveexec_b64 s[6:7], s[12:13]
	s_cbranch_execz .LBB901_11
; %bb.10:
	s_load_dwordx2 s[12:13], s[0:1], 0x0
	s_waitcnt lgkmcnt(0)
	s_ashr_i32 s18, s44, 31
	s_mul_hi_u32 s19, s5, s44
	s_mul_i32 s18, s5, s18
	s_add_i32 s19, s19, s18
	s_mul_i32 s18, s5, s44
	s_lshl_b64 s[18:19], s[18:19], 1
	s_add_u32 s12, s12, s18
	v_add_lshl_u32 v8, v6, s48, 6
	s_addc_u32 s13, s13, s19
	v_ashrrev_i32_e32 v9, 31, v8
	v_lshl_add_u64 v[8:9], v[8:9], 1, s[12:13]
	v_mov_b32_e32 v27, 0
	v_lshl_add_u64 v[8:9], v[8:9], 0, v[26:27]
	global_load_dwordx4 v[8:11], v[8:9], off
	v_lshlrev_b32_e32 v12, 8, v28
	v_lshlrev_b32_e32 v6, 5, v6
	v_and_b32_e32 v7, 16, v1
	v_and_b32_e32 v12, 0xe00, v12
	v_or3_b32 v6, v12, v6, v7
	s_waitcnt vmcnt(0)
	ds_write_b128 v6, v[8:11]
.LBB901_11:
	s_or_b64 exec, exec, s[6:7]
	s_waitcnt lgkmcnt(0)
	s_mul_i32 s12, s4, s46
	s_add_u32 s4, s14, s12
	s_addc_u32 s5, s15, 0
	v_mov_b32_e32 v31, 0
	v_mov_b64_e32 v[6:7], s[4:5]
	v_lshlrev_b32_e32 v10, 4, v28
	v_and_b32_e32 v27, 48, v0
	s_waitcnt vmcnt(3)
	v_mad_i64_i32 v[8:9], s[4:5], v5, s45, v[6:7]
	v_mov_b32_e32 v11, v31
	s_waitcnt vmcnt(2)
	v_mad_i64_i32 v[4:5], s[4:5], v4, s45, v[6:7]
	v_or_b32_e32 v12, 0x100, v10
	v_mov_b32_e32 v13, v31
	v_lshlrev_b32_e32 v30, 5, v27
	v_lshl_add_u64 v[8:9], v[8:9], 0, v[10:11]
	v_lshl_add_u64 v[4:5], v[4:5], 0, v[12:13]
	;; [unrolled: 1-line block ×4, first 2 shown]
	s_barrier
	global_load_dwordx4 v[22:25], v[8:9], off
	global_load_dwordx4 v[18:21], v[4:5], off
	s_waitcnt vmcnt(3)
	v_mad_i64_i32 v[4:5], s[4:5], v3, s45, v[6:7]
	v_lshl_add_u64 v[4:5], v[4:5], 0, v[10:11]
	s_waitcnt vmcnt(2)
	v_mad_i64_i32 v[2:3], s[4:5], v2, s45, v[6:7]
	v_lshl_add_u64 v[4:5], v[4:5], 0, v[30:31]
	v_lshl_add_u64 v[2:3], v[2:3], 0, v[12:13]
	;; [unrolled: 1-line block ×3, first 2 shown]
	global_load_dwordx4 v[14:17], v[4:5], off
	global_load_dwordx4 v[6:9], v[2:3], off
	v_add_u32_e32 v2, -14, v28
	v_cmp_gt_u32_e32 vcc, 14, v28
	v_and_b32_e32 v43, 63, v0
	v_mov_b32_e32 v44, 0
	v_cndmask_b32_e32 v2, v2, v28, vcc
	v_lshlrev_b32_e32 v2, 5, v2
	v_lshl_add_u32 v2, v42, 9, v2
	ds_read_b128 v[10:13], v2
	ds_read_b128 v[2:5], v2 offset:16
	s_and_saveexec_b64 s[4:5], vcc
	s_cbranch_execz .LBB901_13
; %bb.12:
	s_load_dwordx2 s[6:7], s[0:1], 0x40
	v_add_u32_e32 v32, s48, v28
	v_ashrrev_i32_e32 v33, 31, v32
	s_waitcnt lgkmcnt(0)
	v_lshl_add_u64 v[32:33], v[32:33], 2, s[6:7]
	global_load_dword v44, v[32:33], off
.LBB901_13:
	s_or_b64 exec, exec, s[4:5]
	s_ashr_i32 s4, s16, 31
	v_or_b32_e32 v45, s16, v27
	s_lshr_b32 s13, s4, 27
	v_add_u32_e32 v27, s13, v45
	v_ashrrev_i32_e32 v27, 5, v27
	s_waitcnt vmcnt(3)
	v_cvt_pk_f32_fp8_e32 v[32:33], v22
	v_cvt_pk_f32_fp8_sdwa v[34:35], v22 src0_sel:WORD_1
	s_waitcnt vmcnt(2)
	v_cvt_pk_f32_fp8_e32 v[56:57], v20
	v_cvt_pk_f32_fp8_sdwa v[58:59], v20 src0_sel:WORD_1
	v_mov_b32_e32 v20, s17
	v_cmp_gt_i32_e32 vcc, s29, v45
	v_cvt_pk_f32_fp8_e32 v[48:49], v18
	v_cvt_pk_f32_fp8_sdwa v[50:51], v18 src0_sel:WORD_1
	v_cndmask_b32_e32 v18, v20, v27, vcc
	v_cvt_pk_f32_fp8_e32 v[52:53], v19
	v_cvt_pk_f32_fp8_sdwa v[54:55], v19 src0_sel:WORD_1
	v_ashrrev_i32_e32 v19, 31, v18
	v_lshl_add_u64 v[18:19], v[18:19], 2, s[8:9]
	v_cvt_pk_f32_fp8_e32 v[36:37], v23
	v_cvt_pk_f32_fp8_sdwa v[22:23], v23 src0_sel:WORD_1
	global_load_dword v70, v[18:19], off
	v_cvt_pkrtz_f16_f32 v18, v32, v33
	v_cvt_pkrtz_f16_f32 v19, v34, v35
	v_cvt_pk_f32_fp8_e32 v[60:61], v21
	v_cvt_pk_f32_fp8_sdwa v[62:63], v21 src0_sel:WORD_1
	v_or_b32_e32 v21, 64, v45
	v_or_b32_e32 v32, 0x80, v45
	;; [unrolled: 1-line block ×3, first 2 shown]
	v_cmp_gt_i32_e32 vcc, s29, v21
	v_add_u32_e32 v21, s13, v21
	v_cmp_gt_i32_e64 s[4:5], s29, v32
	v_add_u32_e32 v32, s13, v32
	v_cmp_gt_i32_e64 s[6:7], s29, v33
	v_add_u32_e32 v33, s13, v33
	v_cvt_pk_f32_fp8_e32 v[38:39], v24
	v_cvt_pk_f32_fp8_sdwa v[40:41], v24 src0_sel:WORD_1
	v_ashrrev_i32_e32 v21, 5, v21
	v_ashrrev_i32_e32 v34, 5, v32
	;; [unrolled: 1-line block ×3, first 2 shown]
	v_cvt_pkrtz_f16_f32 v32, v36, v37
	v_cvt_pkrtz_f16_f32 v33, v22, v23
	v_cndmask_b32_e32 v36, v20, v21, vcc
	v_cndmask_b32_e64 v64, v20, v34, s[4:5]
	v_cndmask_b32_e64 v66, v20, v35, s[6:7]
	s_waitcnt lgkmcnt(1)
	v_mfma_f32_16x16x16_f16 v[18:21], v[18:19], v[10:11], 0
	v_cvt_pk_f32_fp8_e32 v[46:47], v25
	v_cvt_pkrtz_f16_f32 v22, v48, v49
	v_cvt_pkrtz_f16_f32 v23, v50, v51
	v_cvt_pk_f32_fp8_sdwa v[24:25], v25 src0_sel:WORD_1
	v_cvt_pkrtz_f16_f32 v38, v38, v39
	v_cvt_pkrtz_f16_f32 v39, v40, v41
	v_mfma_f32_16x16x16_f16 v[32:35], v[32:33], v[12:13], v[18:21]
	s_add_u32 s10, s10, s12
	v_and_b32_e32 v30, 16, v0
	v_lshlrev_b32_e32 v27, 5, v28
	s_addc_u32 s11, s11, 0
	v_cvt_pkrtz_f16_f32 v68, v46, v47
	v_cvt_pkrtz_f16_f32 v46, v52, v53
	;; [unrolled: 1-line block ×3, first 2 shown]
	s_load_dword s14, s[0:1], 0x1c
	s_load_dwordx4 s[40:43], s[0:1], 0x80
	v_lshl_add_u64 v[40:41], s[10:11], 0, v[30:31]
	v_lshl_or_b32 v30, v29, 9, v27
	v_cvt_pkrtz_f16_f32 v69, v24, v25
	v_mfma_f32_16x16x16_f16 v[22:25], v[22:23], v[10:11], 0
	v_lshl_add_u64 v[18:19], v[40:41], 0, v[30:31]
	v_ashrrev_i32_e32 v37, 31, v36
	v_ashrrev_i32_e32 v65, 31, v64
	s_waitcnt lgkmcnt(0)
	v_mfma_f32_16x16x16_f16 v[30:33], v[38:39], v[2:3], v[32:35]
	v_ashrrev_i32_e32 v67, 31, v66
	v_cvt_pkrtz_f16_f32 v48, v56, v57
	v_cvt_pkrtz_f16_f32 v49, v58, v59
	v_mfma_f32_16x16x16_f16 v[20:23], v[46:47], v[12:13], v[22:25]
	v_lshl_add_u64 v[34:35], v[64:65], 2, s[8:9]
	s_load_dword s4, s[40:41], 0x0
	v_cvt_pkrtz_f16_f32 v50, v60, v61
	v_lshl_add_u64 v[24:25], v[36:37], 2, s[8:9]
	v_lshl_add_u64 v[36:37], v[66:67], 2, s[8:9]
	global_load_dword v47, v[24:25], off
	global_load_dword v45, v[34:35], off
	;; [unrolled: 1-line block ×3, first 2 shown]
	v_mfma_f32_16x16x16_f16 v[34:37], v[68:69], v[4:5], v[30:33]
	s_waitcnt vmcnt(5)
	v_cvt_pk_f32_fp8_e32 v[24:25], v14
	v_cvt_pkrtz_f16_f32 v51, v62, v63
	v_cvt_pk_f32_fp8_e32 v[38:39], v15
	v_cvt_pk_f32_fp8_sdwa v[32:33], v14 src0_sel:WORD_1
	v_mfma_f32_16x16x16_f16 v[20:23], v[48:49], v[2:3], v[20:23]
	v_cvt_pkrtz_f16_f32 v24, v24, v25
	v_cvt_pk_f32_fp8_sdwa v[14:15], v15 src0_sel:WORD_1
	v_cvt_pkrtz_f16_f32 v25, v32, v33
	v_mov_b32_e32 v40, s14
	v_mfma_f32_16x16x16_f16 v[20:23], v[50:51], v[4:5], v[20:23]
	v_cvt_pkrtz_f16_f32 v32, v38, v39
	v_cvt_pk_f32_fp8_e32 v[50:51], v16
	v_cvt_pk_f32_fp8_sdwa v[52:53], v16 src0_sel:WORD_1
	v_cvt_pkrtz_f16_f32 v33, v14, v15
	s_waitcnt lgkmcnt(0)
	v_mul_f32_e32 v48, s4, v40
	v_mfma_f32_16x16x16_f16 v[38:41], v[24:25], v[10:11], 0
	v_cvt_pkrtz_f16_f32 v24, v50, v51
	v_cvt_pkrtz_f16_f32 v25, v52, v53
	v_cvt_pk_f32_fp8_e32 v[50:51], v17
	v_cvt_pk_f32_fp8_sdwa v[52:53], v17 src0_sel:WORD_1
	v_mfma_f32_16x16x16_f16 v[14:17], v[32:33], v[12:13], v[38:41]
	v_pk_mul_f32 v[32:33], v[48:49], v[36:37] op_sel_hi:[0,1]
	v_cvt_pkrtz_f16_f32 v36, v50, v51
	v_cvt_pkrtz_f16_f32 v37, v52, v53
	v_mfma_f32_16x16x16_f16 v[14:17], v[24:25], v[2:3], v[14:17]
	v_pk_mul_f32 v[38:39], v[48:49], v[34:35] op_sel_hi:[0,1]
	s_waitcnt vmcnt(4)
	v_cvt_pk_f32_fp8_e32 v[24:25], v6
	v_cvt_pk_f32_fp8_sdwa v[34:35], v6 src0_sel:WORD_1
	v_mfma_f32_16x16x16_f16 v[14:17], v[36:37], v[4:5], v[14:17]
	v_cvt_pk_f32_fp8_e32 v[36:37], v7
	v_cvt_pkrtz_f16_f32 v24, v24, v25
	v_cvt_pkrtz_f16_f32 v25, v34, v35
	v_cvt_pk_f32_fp8_sdwa v[6:7], v7 src0_sel:WORD_1
	v_cvt_pkrtz_f16_f32 v40, v36, v37
	v_cvt_pk_f32_fp8_e32 v[50:51], v8
	v_cvt_pk_f32_fp8_sdwa v[52:53], v8 src0_sel:WORD_1
	v_cvt_pkrtz_f16_f32 v41, v6, v7
	v_mfma_f32_16x16x16_f16 v[34:37], v[24:25], v[10:11], 0
	v_cvt_pkrtz_f16_f32 v10, v50, v51
	v_cvt_pkrtz_f16_f32 v11, v52, v53
	v_cvt_pk_f32_fp8_e32 v[24:25], v9
	v_cvt_pk_f32_fp8_sdwa v[50:51], v9 src0_sel:WORD_1
	v_mfma_f32_16x16x16_f16 v[6:9], v[40:41], v[12:13], v[34:37]
	v_pk_mul_f32 v[40:41], v[48:49], v[20:21] op_sel_hi:[0,1]
	v_cvt_pkrtz_f16_f32 v12, v24, v25
	v_cvt_pkrtz_f16_f32 v13, v50, v51
	v_mfma_f32_16x16x16_f16 v[6:9], v[10:11], v[2:3], v[6:9]
	v_pk_mul_f32 v[36:37], v[48:49], v[22:23] op_sel_hi:[0,1]
	v_pk_mul_f32 v[24:25], v[48:49], v[16:17] op_sel_hi:[0,1]
	;; [unrolled: 1-line block ×3, first 2 shown]
	v_mfma_f32_16x16x16_f16 v[2:5], v[12:13], v[4:5], v[6:9]
	s_waitcnt vmcnt(3)
	v_mad_i64_i32 v[30:31], s[4:5], v70, s45, v[18:19]
	s_mov_b32 s33, 0xff7fffff
	s_nop 3
	v_pk_mul_f32 v[22:23], v[48:49], v[2:3] op_sel_hi:[0,1]
	v_and_b32_e32 v2, 0xc0, v0
	v_add_u32_e32 v2, s16, v2
	v_lshl_or_b32 v2, v42, 2, v2
	v_or_b32_e32 v3, 1, v2
	v_pk_mul_f32 v[20:21], v[48:49], v[4:5] op_sel_hi:[0,1]
	v_subrev_u32_e32 v4, s29, v3
	v_add_u32_e32 v6, 1, v4
	v_add_u32_e32 v7, 2, v4
	;; [unrolled: 1-line block ×3, first 2 shown]
	v_cvt_f32_i32_e32 v6, v6
	v_cvt_f32_i32_e32 v7, v7
	;; [unrolled: 1-line block ×3, first 2 shown]
	v_add_u32_e32 v9, 19, v4
	v_fmac_f32_e32 v39, v44, v6
	v_fma_f32 v32, v44, v7, v32
	v_fmac_f32_e32 v33, v44, v8
	v_add_u32_e32 v6, 16, v4
	v_add_u32_e32 v7, 17, v4
	;; [unrolled: 1-line block ×3, first 2 shown]
	v_cvt_f32_i32_e32 v6, v6
	v_cvt_f32_i32_e32 v7, v7
	;; [unrolled: 1-line block ×4, first 2 shown]
	v_fma_f32 v40, v44, v6, v40
	v_fmac_f32_e32 v41, v44, v7
	v_fma_f32 v36, v44, v8, v36
	v_add_u32_e32 v6, 32, v4
	v_add_u32_e32 v7, 33, v4
	v_add_u32_e32 v8, 34, v4
	v_cvt_f32_i32_e32 v6, v6
	v_cvt_f32_i32_e32 v7, v7
	;; [unrolled: 1-line block ×4, first 2 shown]
	v_fmac_f32_e32 v37, v44, v9
	v_add_u32_e32 v9, 35, v4
	v_fma_f32 v48, v44, v6, v34
	v_fmac_f32_e32 v35, v44, v7
	v_fma_f32 v24, v44, v8, v24
	v_add_u32_e32 v6, 48, v4
	v_add_u32_e32 v7, 49, v4
	;; [unrolled: 1-line block ×4, first 2 shown]
	v_cvt_f32_i32_e32 v4, v4
	v_cvt_f32_i32_e32 v6, v6
	;; [unrolled: 1-line block ×3, first 2 shown]
	v_fma_f32 v5, v44, v5, v38
	v_fmac_f32_e32 v21, v44, v4
	v_mov_b32_e32 v4, 0xff7fffff
	v_cmp_gt_i32_e64 s[4:5], s29, v2
	v_cmp_gt_i32_e64 s[34:35], s29, v3
	v_fma_f32 v22, v44, v6, v22
	v_cndmask_b32_e64 v6, v4, v5, s[4:5]
	v_cndmask_b32_e64 v3, v4, v39, s[34:35]
	v_fmac_f32_e32 v23, v44, v7
	v_max3_f32 v3, v6, s33, v3
	v_or_b32_e32 v6, 2, v2
	v_or_b32_e32 v7, 3, v2
	v_cmp_gt_i32_e64 s[36:37], s29, v6
	v_cmp_gt_i32_e64 s[38:39], s29, v7
	v_cvt_f32_i32_e32 v9, v9
	v_cndmask_b32_e64 v6, v4, v32, s[36:37]
	v_cndmask_b32_e64 v7, v4, v33, s[38:39]
	v_max3_f32 v3, v3, v6, v7
	v_or_b32_e32 v6, 16, v2
	v_or_b32_e32 v7, 17, v2
	v_cmp_gt_i32_e64 s[24:25], s29, v6
	v_cmp_gt_i32_e64 s[26:27], s29, v7
	v_fmac_f32_e32 v25, v44, v9
	v_cndmask_b32_e64 v6, v4, v40, s[24:25]
	v_cndmask_b32_e64 v7, v4, v41, s[26:27]
	v_max3_f32 v3, v3, v6, v7
	v_or_b32_e32 v6, 18, v2
	v_or_b32_e32 v7, 19, v2
	v_cmp_gt_i32_e64 s[20:21], s29, v6
	v_cmp_gt_i32_e64 s[22:23], s29, v7
	v_cvt_f32_i32_e32 v8, v8
	v_cndmask_b32_e64 v6, v4, v36, s[20:21]
	v_cndmask_b32_e64 v7, v4, v37, s[22:23]
	v_max3_f32 v3, v3, v6, v7
	v_or_b32_e32 v6, 32, v2
	v_or_b32_e32 v7, 33, v2
	v_cmp_gt_i32_e64 s[16:17], s29, v6
	v_cmp_gt_i32_e64 s[18:19], s29, v7
	v_fma_f32 v20, v44, v8, v20
	v_cndmask_b32_e64 v6, v4, v48, s[16:17]
	v_cndmask_b32_e64 v7, v4, v35, s[18:19]
	v_max3_f32 v3, v3, v6, v7
	v_or_b32_e32 v6, 34, v2
	v_or_b32_e32 v7, 35, v2
	v_cmp_gt_i32_e64 s[12:13], s29, v6
	v_cmp_gt_i32_e64 s[14:15], s29, v7
	s_nop 0
	v_cndmask_b32_e64 v6, v4, v24, s[12:13]
	v_cndmask_b32_e64 v7, v4, v25, s[14:15]
	v_max3_f32 v3, v3, v6, v7
	v_or_b32_e32 v6, 48, v2
	v_or_b32_e32 v7, 49, v2
	v_cmp_gt_i32_e64 s[8:9], s29, v6
	v_cmp_gt_i32_e64 s[10:11], s29, v7
	s_nop 0
	v_cndmask_b32_e64 v6, v4, v22, s[8:9]
	v_cndmask_b32_e64 v7, v4, v23, s[10:11]
	v_max3_f32 v3, v3, v6, v7
	v_or_b32_e32 v6, 50, v2
	v_or_b32_e32 v2, 51, v2
	v_cmp_gt_i32_e32 vcc, s29, v6
	v_cmp_gt_i32_e64 s[6:7], s29, v2
	s_nop 0
	v_cndmask_b32_e32 v6, v4, v20, vcc
	v_cndmask_b32_e64 v2, v4, v21, s[6:7]
	v_max3_f32 v4, v3, v6, v2
	v_mbcnt_lo_u32_b32 v2, -1, 0
	v_mbcnt_hi_u32_b32 v6, -1, v2
	v_and_b32_e32 v2, 64, v6
	v_add_u32_e32 v7, 64, v2
	v_xor_b32_e32 v2, 32, v6
	v_cmp_lt_i32_e64 s[40:41], v2, v7
	s_nop 1
	v_cndmask_b32_e64 v2, v6, v2, s[40:41]
	v_lshlrev_b32_e32 v44, 2, v2
	ds_bpermute_b32 v8, v44, v4
	s_waitcnt vmcnt(2)
	v_mad_i64_i32 v[2:3], s[40:41], v47, s45, v[18:19]
	global_load_dwordx4 v[14:17], v[30:31], off
	global_load_dwordx4 v[10:13], v[2:3], off
	v_xor_b32_e32 v3, 16, v6
	v_cmp_lt_i32_e64 s[40:41], v3, v7
	s_waitcnt lgkmcnt(0)
	v_max_f32_e32 v2, v8, v8
	v_max_f32_e32 v2, v4, v2
	v_cndmask_b32_e64 v3, v6, v3, s[40:41]
	v_lshlrev_b32_e32 v47, 2, v3
	ds_bpermute_b32 v3, v47, v2
	s_waitcnt vmcnt(3)
	v_mad_i64_i32 v[30:31], s[40:41], v45, s45, v[18:19]
	s_waitcnt vmcnt(2)
	v_mad_i64_i32 v[18:19], s[40:41], v46, s45, v[18:19]
	s_waitcnt lgkmcnt(0)
	v_max_f32_e32 v3, v3, v3
	v_max_f32_e32 v34, v2, v3
	v_sub_f32_e32 v2, v5, v34
	v_mul_f32_e32 v2, 0x3fb8aa3b, v2
	v_exp_f32_e32 v38, v2
	v_sub_f32_e32 v2, v39, v34
	v_mul_f32_e32 v2, 0x3fb8aa3b, v2
	v_exp_f32_e32 v39, v2
	global_load_dwordx4 v[6:9], v[30:31], off
	global_load_dwordx4 v[2:5], v[18:19], off
	v_sub_f32_e32 v31, v32, v34
	v_sub_f32_e32 v32, v33, v34
	v_mul_f32_e32 v31, 0x3fb8aa3b, v31
	v_mul_f32_e32 v32, 0x3fb8aa3b, v32
	v_exp_f32_e32 v31, v31
	v_exp_f32_e32 v32, v32
	v_cndmask_b32_e64 v18, 0, v38, s[4:5]
	v_cndmask_b32_e64 v19, 0, v39, s[34:35]
	;; [unrolled: 1-line block ×4, first 2 shown]
	v_sub_f32_e32 v31, v40, v34
	v_sub_f32_e32 v32, v41, v34
	v_mul_f32_e32 v31, 0x3fb8aa3b, v31
	v_mul_f32_e32 v32, 0x3fb8aa3b, v32
	v_exp_f32_e32 v31, v31
	v_exp_f32_e32 v32, v32
	v_add_f32_e32 v30, 0, v18
	v_add_f32_e32 v30, v30, v19
	;; [unrolled: 1-line block ×4, first 2 shown]
	v_cndmask_b32_e64 v30, 0, v31, s[24:25]
	v_cndmask_b32_e64 v31, 0, v32, s[26:27]
	v_sub_f32_e32 v32, v36, v34
	v_mul_f32_e32 v32, 0x3fb8aa3b, v32
	v_exp_f32_e32 v32, v32
	v_sub_f32_e32 v36, v37, v34
	v_add_f32_e32 v33, v33, v30
	v_mul_f32_e32 v36, 0x3fb8aa3b, v36
	v_exp_f32_e32 v37, v36
	v_add_f32_e32 v33, v33, v31
	v_cndmask_b32_e64 v36, 0, v32, s[20:21]
	v_add_f32_e32 v32, v33, v36
	v_sub_f32_e32 v33, v48, v34
	v_mul_f32_e32 v33, 0x3fb8aa3b, v33
	v_sub_f32_e32 v35, v35, v34
	v_exp_f32_e32 v33, v33
	v_mul_f32_e32 v35, 0x3fb8aa3b, v35
	v_sub_f32_e32 v24, v24, v34
	v_exp_f32_e32 v35, v35
	v_mul_f32_e32 v24, 0x3fb8aa3b, v24
	v_sub_f32_e32 v25, v25, v34
	v_exp_f32_e32 v24, v24
	v_mul_f32_e32 v25, 0x3fb8aa3b, v25
	v_sub_f32_e32 v22, v22, v34
	v_cndmask_b32_e64 v37, 0, v37, s[22:23]
	v_exp_f32_e32 v25, v25
	v_mul_f32_e32 v22, 0x3fb8aa3b, v22
	v_sub_f32_e32 v23, v23, v34
	v_add_f32_e32 v40, v32, v37
	v_cndmask_b32_e64 v32, 0, v33, s[16:17]
	v_exp_f32_e32 v22, v22
	v_mul_f32_e32 v23, 0x3fb8aa3b, v23
	v_sub_f32_e32 v20, v20, v34
	v_add_f32_e32 v40, v40, v32
	;; [unrolled: 5-line block ×3, first 2 shown]
	v_cndmask_b32_e64 v24, 0, v24, s[12:13]
	v_exp_f32_e32 v20, v20
	v_mul_f32_e32 v21, 0x3fb8aa3b, v21
	v_add_f32_e32 v35, v35, v24
	v_cndmask_b32_e64 v25, 0, v25, s[14:15]
	v_exp_f32_e32 v21, v21
	v_add_f32_e32 v35, v35, v25
	v_cndmask_b32_e64 v22, 0, v22, s[8:9]
	v_add_f32_e32 v35, v35, v22
	v_cndmask_b32_e64 v23, 0, v23, s[10:11]
	v_add_f32_e32 v35, v35, v23
	v_cndmask_b32_e32 v20, 0, v20, vcc
	v_add_f32_e32 v35, v35, v20
	v_cndmask_b32_e64 v21, 0, v21, s[6:7]
	v_add_f32_e32 v35, v35, v21
	ds_bpermute_b32 v40, v44, v35
	s_load_dword s7, s[0:1], 0x98
	v_cmp_gt_u32_e32 vcc, 16, v43
	s_waitcnt lgkmcnt(0)
	s_barrier
	v_add_f32_e32 v40, v35, v40
	ds_bpermute_b32 v41, v47, v40
	v_lshlrev_b32_e32 v35, 2, v28
	s_waitcnt lgkmcnt(0)
	s_and_saveexec_b64 s[4:5], vcc
	s_cbranch_execz .LBB901_15
; %bb.14:
	v_add_f32_e32 v40, v40, v41
	v_lshl_or_b32 v41, v29, 6, v35
	ds_write2st64_b32 v41, v34, v40 offset1:1
.LBB901_15:
	s_or_b64 exec, exec, s[4:5]
	s_load_dword s6, s[0:1], 0x94
	s_waitcnt lgkmcnt(0)
	s_barrier
	ds_read2_b32 v[40:41], v35 offset1:16
	ds_read2_b32 v[44:45], v35 offset0:32 offset1:48
	ds_read2_b32 v[46:47], v35 offset0:64 offset1:80
	s_mul_i32 s7, s7, 14
	s_waitcnt lgkmcnt(2)
	v_max3_f32 v34, v40, s33, v41
	s_waitcnt lgkmcnt(1)
	v_max3_f32 v34, v34, v44, v45
	v_sub_f32_e32 v40, v40, v34
	v_mul_f32_e32 v40, 0x3fb8aa3b, v40
	v_exp_f32_e32 v43, v40
	v_sub_f32_e32 v40, v41, v34
	v_mul_f32_e32 v40, 0x3fb8aa3b, v40
	v_exp_f32_e32 v48, v40
	;; [unrolled: 3-line block ×3, first 2 shown]
	ds_read2_b32 v[40:41], v35 offset0:96 offset1:112
	v_sub_f32_e32 v35, v45, v34
	v_mul_f32_e32 v35, 0x3fb8aa3b, v35
	v_exp_f32_e32 v45, v35
	s_waitcnt lgkmcnt(1)
	v_fma_f32 v35, v43, v46, 0
	v_fmac_f32_e32 v35, v48, v47
	s_waitcnt lgkmcnt(0)
	v_fmac_f32_e32 v35, v44, v40
	v_fmac_f32_e32 v35, v45, v41
	v_add_f32_e32 v40, 0x358637bd, v35
	v_div_scale_f32 v41, s[4:5], v40, v40, 1.0
	v_rcp_f32_e32 v46, v41
	s_barrier
	v_fma_f32 v47, -v41, v46, 1.0
	v_fmac_f32_e32 v46, v47, v46
	v_div_scale_f32 v47, vcc, 1.0, v40, 1.0
	v_mul_f32_e32 v49, v47, v46
	v_fma_f32 v50, -v41, v49, v47
	v_fmac_f32_e32 v49, v50, v46
	v_fma_f32 v41, -v41, v49, v47
	v_div_fmas_f32 v41, v41, v46, v49
	v_cmp_eq_u32_e32 vcc, 1, v29
	v_div_fixup_f32 v40, v41, v40, 1.0
	s_nop 0
	v_cndmask_b32_e32 v41, v43, v48, vcc
	v_cmp_eq_u32_e32 vcc, 2, v29
	s_nop 1
	v_cndmask_b32_e32 v41, v41, v44, vcc
	v_cmp_eq_u32_e32 vcc, 3, v29
	s_nop 1
	v_cndmask_b32_e32 v41, v41, v45, vcc
	v_mul_f32_e32 v40, v41, v40
	v_pk_mul_f32 v[38:39], v[40:41], v[38:39] op_sel_hi:[0,1]
	v_pk_mul_f32 v[18:19], v[40:41], v[18:19] op_sel_hi:[0,1]
	v_cvt_f16_f32_e32 v41, v38
	v_cvt_f16_f32_e32 v39, v39
	;; [unrolled: 1-line block ×4, first 2 shown]
	v_cmp_gt_u32_e32 vcc, 14, v0
	v_pack_b32_f16 v39, v41, v39
	v_lshlrev_b32_e32 v41, 3, v42
	v_pack_b32_f16 v38, v18, v19
	v_pk_mul_f32 v[18:19], v[40:41], v[36:37] op_sel_hi:[0,1]
	v_pk_mul_f32 v[30:31], v[40:41], v[30:31] op_sel_hi:[0,1]
	v_cvt_f16_f32_e32 v30, v30
	v_cvt_f16_f32_e32 v31, v31
	;; [unrolled: 1-line block ×4, first 2 shown]
	v_lshlrev_b32_e32 v18, 11, v29
	v_or3_b32 v18, v18, v27, v41
	v_pack_b32_f16 v30, v30, v31
	v_pack_b32_f16 v31, v36, v19
	ds_write2st64_b64 v18, v[38:39], v[30:31] offset1:1
	v_pk_mul_f32 v[24:25], v[40:41], v[24:25] op_sel_hi:[0,1]
	v_pk_mul_f32 v[30:31], v[40:41], v[32:33] op_sel_hi:[0,1]
	v_pk_mul_f32 v[20:21], v[40:41], v[20:21] op_sel_hi:[0,1]
	v_pk_mul_f32 v[22:23], v[40:41], v[22:23] op_sel_hi:[0,1]
	v_cvt_f16_f32_e32 v19, v30
	v_cvt_f16_f32_e32 v29, v31
	v_cvt_f16_f32_e32 v24, v24
	v_cvt_f16_f32_e32 v25, v25
	v_cvt_f16_f32_e32 v22, v22
	v_cvt_f16_f32_e32 v23, v23
	v_cvt_f16_f32_e32 v30, v20
	v_cvt_f16_f32_e32 v31, v21
	v_pack_b32_f16 v20, v19, v29
	v_pack_b32_f16 v21, v24, v25
	;; [unrolled: 1-line block ×4, first 2 shown]
	ds_write2st64_b64 v18, v[20:21], v[22:23] offset0:2 offset1:3
	s_and_saveexec_b64 s[4:5], vcc
	s_cbranch_execz .LBB901_17
; %bb.16:
	s_mov_b32 s49, 0
	v_mov_b32_e32 v29, 0
	v_lshl_add_u64 v[20:21], s[48:49], 0, v[28:29]
	v_mov_b32_e32 v19, s7
	v_mad_u64_u32 v[20:21], s[12:13], s2, v19, v[20:21]
	s_mul_i32 s3, s3, s7
	v_mov_b32_e32 v28, s28
	s_load_dwordx4 s[8:11], s[0:1], 0x58
	v_add_u32_e32 v19, s3, v21
	v_mad_u64_u32 v[20:21], s[12:13], v20, s6, v[28:29]
	v_mov_b32_e32 v22, v21
	v_mad_u64_u32 v[22:23], s[12:13], v19, s6, v[22:23]
	v_mov_b32_e32 v21, v22
	v_lshlrev_b64 v[20:21], 2, v[20:21]
	s_waitcnt lgkmcnt(0)
	v_lshl_add_u64 v[22:23], s[10:11], 0, v[20:21]
	v_lshl_add_u64 v[20:21], s[8:9], 0, v[20:21]
	global_store_dword v[22:23], v34, off
	global_store_dword v[20:21], v35, off
.LBB901_17:
	s_or_b64 exec, exec, s[4:5]
	s_waitcnt vmcnt(3)
	v_cvt_pk_f32_fp8_e32 v[20:21], v14
	v_cvt_pk_f32_fp8_sdwa v[22:23], v14 src0_sel:WORD_1
	v_lshl_or_b32 v14, v42, 9, v27
	s_waitcnt lgkmcnt(0)
	s_barrier
	v_cvt_pk_f32_fp8_e32 v[24:25], v15
	v_cvt_pkrtz_f16_f32 v32, v20, v21
	v_cvt_pkrtz_f16_f32 v33, v22, v23
	v_cvt_pk_f32_fp8_sdwa v[28:29], v15 src0_sel:WORD_1
	ds_read_b128 v[20:23], v14
	v_cvt_pkrtz_f16_f32 v24, v24, v25
	v_cvt_pk_f32_fp8_e32 v[36:37], v16
	v_cvt_pkrtz_f16_f32 v25, v28, v29
	ds_read_b128 v[28:31], v14 offset:16
	v_cvt_pk_f32_fp8_sdwa v[38:39], v16 src0_sel:WORD_1
	s_waitcnt lgkmcnt(1)
	v_mfma_f32_16x16x16_f16 v[32:35], v[32:33], v[20:21], 0
	v_cvt_pkrtz_f16_f32 v36, v36, v37
	s_load_dword s4, s[42:43], 0x0
	v_cvt_pkrtz_f16_f32 v37, v38, v39
	v_cvt_pk_f32_fp8_e32 v[38:39], v17
	v_cvt_pk_f32_fp8_sdwa v[16:17], v17 src0_sel:WORD_1
	v_mfma_f32_16x16x16_f16 v[20:23], v[24:25], v[22:23], v[32:35]
	v_cmp_gt_u32_e32 vcc, 64, v0
	v_cvt_pkrtz_f16_f32 v24, v38, v39
	v_cvt_pkrtz_f16_f32 v25, v16, v17
	s_waitcnt lgkmcnt(0)
	v_mfma_f32_16x16x16_f16 v[20:23], v[36:37], v[28:29], v[20:23]
	s_waitcnt vmcnt(2)
	v_cvt_pk_f32_fp8_e32 v[16:17], v10
	v_cvt_pk_f32_fp8_e32 v[28:29], v11
	v_cvt_pk_f32_fp8_sdwa v[36:37], v12 src0_sel:WORD_1
	v_mfma_f32_16x16x16_f16 v[20:23], v[24:25], v[30:31], v[20:23]
	v_cvt_pk_f32_fp8_sdwa v[24:25], v10 src0_sel:WORD_1
	v_cvt_pkrtz_f16_f32 v10, v16, v17
	v_cvt_pk_f32_fp8_sdwa v[16:17], v11 src0_sel:WORD_1
	ds_read_b128 v[32:35], v14 offset:2064
	v_cvt_pkrtz_f16_f32 v11, v24, v25
	v_cvt_pkrtz_f16_f32 v24, v28, v29
	ds_read_b128 v[28:31], v14 offset:2048
	v_cvt_pkrtz_f16_f32 v25, v16, v17
	v_cvt_pk_f32_fp8_e32 v[16:17], v12
	s_waitcnt lgkmcnt(0)
	v_mfma_f32_16x16x16_f16 v[20:23], v[10:11], v[28:29], v[20:23]
	v_cvt_pkrtz_f16_f32 v10, v16, v17
	v_cvt_pkrtz_f16_f32 v11, v36, v37
	v_cvt_pk_f32_fp8_e32 v[16:17], v13
	v_mfma_f32_16x16x16_f16 v[20:23], v[24:25], v[30:31], v[20:23]
	v_cvt_pk_f32_fp8_sdwa v[24:25], v13 src0_sel:WORD_1
	ds_read_b128 v[28:31], v14 offset:4112
	v_cvt_pkrtz_f16_f32 v16, v16, v17
	v_mfma_f32_16x16x16_f16 v[10:13], v[10:11], v[32:33], v[20:23]
	v_cvt_pkrtz_f16_f32 v17, v24, v25
	s_waitcnt vmcnt(1)
	v_cvt_pk_f32_fp8_sdwa v[24:25], v7 src0_sel:WORD_1
	v_cvt_pk_f32_fp8_sdwa v[32:33], v8 src0_sel:WORD_1
	v_cvt_pk_f32_fp8_e32 v[20:21], v6
	v_mfma_f32_16x16x16_f16 v[10:13], v[16:17], v[34:35], v[10:13]
	v_cvt_pk_f32_fp8_sdwa v[16:17], v6 src0_sel:WORD_1
	v_cvt_pk_f32_fp8_e32 v[22:23], v7
	v_cvt_pkrtz_f16_f32 v6, v20, v21
	s_mov_b32 s3, 0
	v_cvt_pkrtz_f16_f32 v7, v16, v17
	v_cvt_pkrtz_f16_f32 v16, v22, v23
	ds_read_b128 v[20:23], v14 offset:4096
	v_cvt_pkrtz_f16_f32 v17, v24, v25
	v_cvt_pk_f32_fp8_e32 v[24:25], v8
	s_waitcnt lgkmcnt(0)
	v_mfma_f32_16x16x16_f16 v[10:13], v[6:7], v[20:21], v[10:13]
	v_cvt_pkrtz_f16_f32 v6, v24, v25
	v_cvt_pkrtz_f16_f32 v7, v32, v33
	v_cvt_pk_f32_fp8_e32 v[20:21], v9
	v_mfma_f32_16x16x16_f16 v[10:13], v[16:17], v[22:23], v[10:13]
	v_cvt_pk_f32_fp8_sdwa v[16:17], v9 src0_sel:WORD_1
	s_waitcnt vmcnt(0)
	v_cvt_pk_f32_fp8_sdwa v[24:25], v4 src0_sel:WORD_1
	v_cvt_pkrtz_f16_f32 v20, v20, v21
	v_mfma_f32_16x16x16_f16 v[6:9], v[6:7], v[28:29], v[10:13]
	v_cvt_pkrtz_f16_f32 v21, v16, v17
	v_cvt_pk_f32_fp8_e32 v[16:17], v3
	v_mov_b32_e32 v27, 0
	v_cvt_pk_f32_fp8_e32 v[10:11], v2
	v_cvt_pk_f32_fp8_sdwa v[12:13], v2 src0_sel:WORD_1
	v_mfma_f32_16x16x16_f16 v[6:9], v[20:21], v[30:31], v[6:9]
	v_cvt_pk_f32_fp8_sdwa v[20:21], v3 src0_sel:WORD_1
	v_cvt_pkrtz_f16_f32 v2, v10, v11
	v_cvt_pkrtz_f16_f32 v3, v12, v13
	ds_read_b128 v[10:13], v14 offset:6144
	v_cvt_pkrtz_f16_f32 v22, v16, v17
	v_cvt_pkrtz_f16_f32 v23, v20, v21
	v_cvt_pk_f32_fp8_e32 v[20:21], v4
	s_waitcnt lgkmcnt(0)
	v_mfma_f32_16x16x16_f16 v[6:9], v[2:3], v[10:11], v[6:9]
	ds_read_b128 v[14:17], v14 offset:6160
	v_cvt_pkrtz_f16_f32 v2, v20, v21
	v_cvt_pkrtz_f16_f32 v3, v24, v25
	v_cvt_pk_f32_fp8_e32 v[10:11], v5
	v_mfma_f32_16x16x16_f16 v[6:9], v[22:23], v[12:13], v[6:9]
	v_cvt_pk_f32_fp8_sdwa v[12:13], v5 src0_sel:WORD_1
	s_waitcnt lgkmcnt(0)
	v_cvt_pkrtz_f16_f32 v10, v10, v11
	v_mfma_f32_16x16x16_f16 v[2:5], v[2:3], v[14:15], v[6:9]
	v_cvt_pkrtz_f16_f32 v11, v12, v13
	s_barrier
	s_nop 0
	v_mfma_f32_16x16x16_f16 v[2:5], v[10:11], v[16:17], v[2:5]
	s_nop 6
	v_pk_mul_f32 v[4:5], v[4:5], s[4:5] op_sel_hi:[1,0]
	v_pk_mul_f32 v[2:3], v[2:3], s[4:5] op_sel_hi:[1,0]
	v_cvt_f16_f32_e32 v4, v4
	v_cvt_f16_f32_e32 v2, v2
	;; [unrolled: 1-line block ×4, first 2 shown]
	s_and_b64 s[4:5], vcc, s[30:31]
	v_pack_b32_f16 v2, v2, v3
	v_pack_b32_f16 v3, v4, v5
	ds_write_b64 v18, v[2:3]
	s_waitcnt lgkmcnt(0)
	s_barrier
	s_and_saveexec_b64 s[8:9], s[4:5]
	s_cbranch_execz .LBB901_20
; %bb.18:
	s_load_dwordx2 s[4:5], s[0:1], 0x68
	s_lshl_b32 s0, s6, 6
	s_mul_i32 s1, s7, s2
	s_mul_hi_u32 s7, s1, s0
	s_mul_i32 s6, s1, s0
	v_lshlrev_b32_e32 v0, 10, v0
	s_lshl_b64 s[6:7], s[6:7], 1
	v_and_b32_e32 v0, 0x1800, v0
	v_lshlrev_b32_e32 v2, 5, v42
	v_and_b32_e32 v1, 16, v1
	s_waitcnt lgkmcnt(0)
	s_add_u32 s1, s4, s6
	v_or3_b32 v2, v0, v2, v1
	s_addc_u32 s4, s5, s7
	s_lshl_b32 s2, s28, 6
	ds_read_b128 v[4:7], v2 offset:256
	s_lshl_b64 s[2:3], s[2:3], 1
	ds_read_b128 v[8:11], v2 offset:128
	ds_read_b128 v[12:15], v2
	s_add_u32 s2, s1, s2
	s_addc_u32 s3, s4, s3
	v_add_u32_e32 v18, s48, v42
	v_lshl_add_u64 v[0:1], s[2:3], 0, v[26:27]
	v_mad_u64_u32 v[16:17], s[2:3], v18, s0, 0
	v_lshl_add_u64 v[16:17], v[16:17], 1, v[0:1]
	s_waitcnt lgkmcnt(0)
	global_store_dwordx4 v[16:17], v[12:15], off
	v_or_b32_e32 v3, 12, v42
	v_cmp_gt_u32_e32 vcc, 14, v3
	v_add_u32_e32 v12, 4, v18
	v_mad_u64_u32 v[12:13], s[2:3], v12, s0, 0
	v_lshl_add_u64 v[12:13], v[12:13], 1, v[0:1]
	global_store_dwordx4 v[12:13], v[8:11], off
	s_nop 1
	v_add_u32_e32 v8, 8, v18
	v_mad_u64_u32 v[8:9], s[2:3], v8, s0, 0
	v_lshl_add_u64 v[8:9], v[8:9], 1, v[0:1]
	global_store_dwordx4 v[8:9], v[4:7], off
	s_and_b64 exec, exec, vcc
	s_cbranch_execz .LBB901_20
; %bb.19:
	ds_read_b128 v[4:7], v2 offset:384
	v_add_u32_e32 v2, s48, v3
	v_mad_u64_u32 v[2:3], s[0:1], v2, s0, 0
	v_lshl_add_u64 v[0:1], v[2:3], 1, v[0:1]
	s_waitcnt lgkmcnt(0)
	global_store_dwordx4 v[0:1], v[4:7], off
.LBB901_20:
	s_endpgm
	.section	.rodata,"a",@progbits
	.p2align	6, 0x0
	.amdhsa_kernel _Z39paged_attention_ll4mi_QKV_mfma16_kernelIDF16_hLN4vllm18Fp8KVCacheDataTypeE1EDF16_Li32ELi64ELi256ELb1ELi14EEvPKT_PKT0_S7_ifPKiS9_S9_iPKfiiiPfSC_PS2_PT2_iSB_SB_
		.amdhsa_group_segment_fixed_size 8192
		.amdhsa_private_segment_fixed_size 0
		.amdhsa_kernarg_size 400
		.amdhsa_user_sgpr_count 2
		.amdhsa_user_sgpr_dispatch_ptr 0
		.amdhsa_user_sgpr_queue_ptr 0
		.amdhsa_user_sgpr_kernarg_segment_ptr 1
		.amdhsa_user_sgpr_dispatch_id 0
		.amdhsa_user_sgpr_kernarg_preload_length 0
		.amdhsa_user_sgpr_kernarg_preload_offset 0
		.amdhsa_user_sgpr_private_segment_size 0
		.amdhsa_uses_dynamic_stack 0
		.amdhsa_enable_private_segment 0
		.amdhsa_system_sgpr_workgroup_id_x 1
		.amdhsa_system_sgpr_workgroup_id_y 1
		.amdhsa_system_sgpr_workgroup_id_z 1
		.amdhsa_system_sgpr_workgroup_info 0
		.amdhsa_system_vgpr_workitem_id 0
		.amdhsa_next_free_vgpr 71
		.amdhsa_next_free_sgpr 50
		.amdhsa_accum_offset 72
		.amdhsa_reserve_vcc 1
		.amdhsa_float_round_mode_32 0
		.amdhsa_float_round_mode_16_64 0
		.amdhsa_float_denorm_mode_32 3
		.amdhsa_float_denorm_mode_16_64 3
		.amdhsa_dx10_clamp 1
		.amdhsa_ieee_mode 1
		.amdhsa_fp16_overflow 0
		.amdhsa_tg_split 0
		.amdhsa_exception_fp_ieee_invalid_op 0
		.amdhsa_exception_fp_denorm_src 0
		.amdhsa_exception_fp_ieee_div_zero 0
		.amdhsa_exception_fp_ieee_overflow 0
		.amdhsa_exception_fp_ieee_underflow 0
		.amdhsa_exception_fp_ieee_inexact 0
		.amdhsa_exception_int_div_zero 0
	.end_amdhsa_kernel
	.section	.text._Z39paged_attention_ll4mi_QKV_mfma16_kernelIDF16_hLN4vllm18Fp8KVCacheDataTypeE1EDF16_Li32ELi64ELi256ELb1ELi14EEvPKT_PKT0_S7_ifPKiS9_S9_iPKfiiiPfSC_PS2_PT2_iSB_SB_,"axG",@progbits,_Z39paged_attention_ll4mi_QKV_mfma16_kernelIDF16_hLN4vllm18Fp8KVCacheDataTypeE1EDF16_Li32ELi64ELi256ELb1ELi14EEvPKT_PKT0_S7_ifPKiS9_S9_iPKfiiiPfSC_PS2_PT2_iSB_SB_,comdat
.Lfunc_end901:
	.size	_Z39paged_attention_ll4mi_QKV_mfma16_kernelIDF16_hLN4vllm18Fp8KVCacheDataTypeE1EDF16_Li32ELi64ELi256ELb1ELi14EEvPKT_PKT0_S7_ifPKiS9_S9_iPKfiiiPfSC_PS2_PT2_iSB_SB_, .Lfunc_end901-_Z39paged_attention_ll4mi_QKV_mfma16_kernelIDF16_hLN4vllm18Fp8KVCacheDataTypeE1EDF16_Li32ELi64ELi256ELb1ELi14EEvPKT_PKT0_S7_ifPKiS9_S9_iPKfiiiPfSC_PS2_PT2_iSB_SB_
                                        ; -- End function
	.section	.AMDGPU.csdata,"",@progbits
; Kernel info:
; codeLenInByte = 5008
; NumSgprs: 56
; NumVgprs: 71
; NumAgprs: 0
; TotalNumVgprs: 71
; ScratchSize: 0
; MemoryBound: 0
; FloatMode: 240
; IeeeMode: 1
; LDSByteSize: 8192 bytes/workgroup (compile time only)
; SGPRBlocks: 6
; VGPRBlocks: 8
; NumSGPRsForWavesPerEU: 56
; NumVGPRsForWavesPerEU: 71
; AccumOffset: 72
; Occupancy: 7
; WaveLimiterHint : 1
; COMPUTE_PGM_RSRC2:SCRATCH_EN: 0
; COMPUTE_PGM_RSRC2:USER_SGPR: 2
; COMPUTE_PGM_RSRC2:TRAP_HANDLER: 0
; COMPUTE_PGM_RSRC2:TGID_X_EN: 1
; COMPUTE_PGM_RSRC2:TGID_Y_EN: 1
; COMPUTE_PGM_RSRC2:TGID_Z_EN: 1
; COMPUTE_PGM_RSRC2:TIDIG_COMP_CNT: 0
; COMPUTE_PGM_RSRC3_GFX90A:ACCUM_OFFSET: 17
; COMPUTE_PGM_RSRC3_GFX90A:TG_SPLIT: 0
	.section	.text._Z39paged_attention_ll4mi_QKV_mfma16_kernelIDF16_hLN4vllm18Fp8KVCacheDataTypeE1EDF16_Li32ELi64ELi256ELb1ELi15EEvPKT_PKT0_S7_ifPKiS9_S9_iPKfiiiPfSC_PS2_PT2_iSB_SB_,"axG",@progbits,_Z39paged_attention_ll4mi_QKV_mfma16_kernelIDF16_hLN4vllm18Fp8KVCacheDataTypeE1EDF16_Li32ELi64ELi256ELb1ELi15EEvPKT_PKT0_S7_ifPKiS9_S9_iPKfiiiPfSC_PS2_PT2_iSB_SB_,comdat
	.protected	_Z39paged_attention_ll4mi_QKV_mfma16_kernelIDF16_hLN4vllm18Fp8KVCacheDataTypeE1EDF16_Li32ELi64ELi256ELb1ELi15EEvPKT_PKT0_S7_ifPKiS9_S9_iPKfiiiPfSC_PS2_PT2_iSB_SB_ ; -- Begin function _Z39paged_attention_ll4mi_QKV_mfma16_kernelIDF16_hLN4vllm18Fp8KVCacheDataTypeE1EDF16_Li32ELi64ELi256ELb1ELi15EEvPKT_PKT0_S7_ifPKiS9_S9_iPKfiiiPfSC_PS2_PT2_iSB_SB_
	.globl	_Z39paged_attention_ll4mi_QKV_mfma16_kernelIDF16_hLN4vllm18Fp8KVCacheDataTypeE1EDF16_Li32ELi64ELi256ELb1ELi15EEvPKT_PKT0_S7_ifPKiS9_S9_iPKfiiiPfSC_PS2_PT2_iSB_SB_
	.p2align	8
	.type	_Z39paged_attention_ll4mi_QKV_mfma16_kernelIDF16_hLN4vllm18Fp8KVCacheDataTypeE1EDF16_Li32ELi64ELi256ELb1ELi15EEvPKT_PKT0_S7_ifPKiS9_S9_iPKfiiiPfSC_PS2_PT2_iSB_SB_,@function
_Z39paged_attention_ll4mi_QKV_mfma16_kernelIDF16_hLN4vllm18Fp8KVCacheDataTypeE1EDF16_Li32ELi64ELi256ELb1ELi15EEvPKT_PKT0_S7_ifPKiS9_S9_iPKfiiiPfSC_PS2_PT2_iSB_SB_: ; @_Z39paged_attention_ll4mi_QKV_mfma16_kernelIDF16_hLN4vllm18Fp8KVCacheDataTypeE1EDF16_Li32ELi64ELi256ELb1ELi15EEvPKT_PKT0_S7_ifPKiS9_S9_iPKfiiiPfSC_PS2_PT2_iSB_SB_
; %bb.0:
	s_load_dwordx2 s[6:7], s[0:1], 0x30
	s_mov_b32 s28, s3
	s_mov_b64 s[8:9], 0
	s_waitcnt lgkmcnt(0)
	s_cmp_lg_u64 s[6:7], 0
	s_cselect_b64 s[10:11], -1, 0
	s_and_b64 vcc, exec, s[10:11]
	s_cbranch_vccz .LBB902_7
; %bb.1:
	s_add_i32 s12, s2, 1
	s_mov_b32 s13, 0
	s_lshl_b64 s[14:15], s[12:13], 2
	s_add_u32 s14, s6, s14
	s_mov_b32 s3, s13
	s_addc_u32 s15, s7, s15
	s_lshl_b64 s[12:13], s[2:3], 2
	s_add_u32 s12, s6, s12
	s_addc_u32 s13, s7, s13
	s_load_dword s5, s[14:15], 0x0
	s_load_dword s16, s[12:13], 0x0
	s_waitcnt lgkmcnt(0)
	s_sub_i32 s5, s5, s16
	s_cmp_eq_u32 s5, 1
	s_cselect_b64 s[12:13], -1, 0
	s_andn2_b64 vcc, exec, s[8:9]
	s_cbranch_vccnz .LBB902_3
.LBB902_2:
	s_mov_b32 s3, 0
	s_mov_b64 s[12:13], -1
.LBB902_3:
	s_andn2_b64 vcc, exec, s[12:13]
	s_cbranch_vccnz .LBB902_20
; %bb.4:
	s_load_dwordx2 s[8:9], s[0:1], 0x28
	s_lshl_b64 s[12:13], s[2:3], 2
	s_waitcnt lgkmcnt(0)
	s_add_u32 s8, s8, s12
	s_addc_u32 s9, s9, s13
	s_load_dword s29, s[8:9], 0x0
	s_lshl_b32 s16, s28, 8
	s_waitcnt lgkmcnt(0)
	s_cmp_ge_i32 s16, s29
	s_cbranch_scc1 .LBB902_20
; %bb.5:
	s_load_dwordx2 s[8:9], s[0:1], 0x20
	s_load_dword s5, s[0:1], 0x38
	s_add_i32 s14, s29, 31
	s_ashr_i32 s15, s14, 31
	v_and_b32_e32 v1, 0xcf, v0
	s_lshr_b32 s15, s15, 27
	v_add_u32_e32 v1, s16, v1
	s_add_i32 s14, s14, s15
	v_ashrrev_i32_e32 v2, 31, v1
	s_ashr_i32 s17, s14, 5
	v_lshrrev_b32_e32 v4, 27, v2
	s_add_i32 s17, s17, -1
	s_waitcnt lgkmcnt(0)
	s_mul_i32 s14, s2, s5
	s_mov_b32 s15, 0
	v_add_u32_e32 v2, v1, v4
	s_lshl_b64 s[14:15], s[14:15], 2
	v_ashrrev_i32_e32 v2, 5, v2
	v_mov_b32_e32 v5, s17
	v_cmp_gt_i32_e32 vcc, s29, v1
	s_add_u32 s8, s8, s14
	s_addc_u32 s9, s9, s15
	v_cndmask_b32_e32 v2, v5, v2, vcc
	v_ashrrev_i32_e32 v3, 31, v2
	v_lshl_add_u64 v[6:7], v[2:3], 2, s[8:9]
	v_or_b32_e32 v2, 16, v1
	v_add_u32_e32 v3, v2, v4
	v_ashrrev_i32_e32 v3, 5, v3
	v_cmp_gt_i32_e32 vcc, s29, v2
	s_load_dwordx2 s[14:15], s[0:1], 0x8
	s_nop 0
	v_cndmask_b32_e32 v2, v5, v3, vcc
	v_ashrrev_i32_e32 v3, 31, v2
	v_lshl_add_u64 v[8:9], v[2:3], 2, s[8:9]
	v_or_b32_e32 v2, 32, v1
	v_add_u32_e32 v3, v2, v4
	v_ashrrev_i32_e32 v3, 5, v3
	v_cmp_gt_i32_e32 vcc, s29, v2
	v_or_b32_e32 v1, 48, v1
	s_nop 0
	v_cndmask_b32_e32 v2, v5, v3, vcc
	v_ashrrev_i32_e32 v3, 31, v2
	v_lshl_add_u64 v[10:11], v[2:3], 2, s[8:9]
	v_add_u32_e32 v2, v1, v4
	v_ashrrev_i32_e32 v2, 5, v2
	v_cmp_gt_i32_e32 vcc, s29, v1
	s_nop 1
	v_cndmask_b32_e32 v2, v5, v2, vcc
	v_ashrrev_i32_e32 v3, 31, v2
	v_lshl_add_u64 v[12:13], v[2:3], 2, s[8:9]
	global_load_dword v5, v[6:7], off
	global_load_dword v4, v[8:9], off
	;; [unrolled: 1-line block ×4, first 2 shown]
	s_andn2_b64 vcc, exec, s[10:11]
	s_cbranch_vccnz .LBB902_8
; %bb.6:
	s_add_u32 s6, s6, s12
	s_addc_u32 s7, s7, s13
	s_load_dword s5, s[6:7], 0x0
	s_branch .LBB902_9
.LBB902_7:
	s_mov_b64 s[12:13], 0
	s_branch .LBB902_2
.LBB902_8:
	s_mov_b32 s5, s2
.LBB902_9:
	s_load_dwordx2 s[10:11], s[0:1], 0x10
	s_load_dwordx4 s[44:47], s[0:1], 0x48
	v_lshrrev_b32_e32 v29, 6, v0
	v_bfe_u32 v42, v0, 4, 2
	v_lshl_or_b32 v6, v29, 2, v42
	v_and_b32_e32 v28, 15, v0
	v_lshlrev_b32_e32 v1, 3, v28
	v_cmp_gt_u32_e32 vcc, 15, v6
	v_cmp_gt_u32_e64 s[30:31], 8, v28
	s_mul_i32 s48, s4, 15
	s_and_b64 s[12:13], s[30:31], vcc
	v_lshlrev_b32_e32 v26, 1, v1
	v_lshlrev_b32_e32 v1, 4, v0
	s_and_saveexec_b64 s[6:7], s[12:13]
	s_cbranch_execz .LBB902_11
; %bb.10:
	s_load_dwordx2 s[12:13], s[0:1], 0x0
	s_waitcnt lgkmcnt(0)
	s_ashr_i32 s18, s44, 31
	s_mul_hi_u32 s19, s5, s44
	s_mul_i32 s18, s5, s18
	s_add_i32 s19, s19, s18
	s_mul_i32 s18, s5, s44
	s_lshl_b64 s[18:19], s[18:19], 1
	s_add_u32 s12, s12, s18
	v_add_lshl_u32 v8, v6, s48, 6
	s_addc_u32 s13, s13, s19
	v_ashrrev_i32_e32 v9, 31, v8
	v_lshl_add_u64 v[8:9], v[8:9], 1, s[12:13]
	v_mov_b32_e32 v27, 0
	v_lshl_add_u64 v[8:9], v[8:9], 0, v[26:27]
	global_load_dwordx4 v[8:11], v[8:9], off
	v_lshlrev_b32_e32 v12, 8, v28
	v_lshlrev_b32_e32 v6, 5, v6
	v_and_b32_e32 v7, 16, v1
	v_and_b32_e32 v12, 0xe00, v12
	v_or3_b32 v6, v12, v6, v7
	s_waitcnt vmcnt(0)
	ds_write_b128 v6, v[8:11]
.LBB902_11:
	s_or_b64 exec, exec, s[6:7]
	s_waitcnt lgkmcnt(0)
	s_mul_i32 s12, s4, s46
	s_add_u32 s4, s14, s12
	s_addc_u32 s5, s15, 0
	v_mov_b32_e32 v31, 0
	v_mov_b64_e32 v[6:7], s[4:5]
	v_lshlrev_b32_e32 v10, 4, v28
	v_and_b32_e32 v27, 48, v0
	s_waitcnt vmcnt(3)
	v_mad_i64_i32 v[8:9], s[4:5], v5, s45, v[6:7]
	v_mov_b32_e32 v11, v31
	s_waitcnt vmcnt(2)
	v_mad_i64_i32 v[4:5], s[4:5], v4, s45, v[6:7]
	v_or_b32_e32 v12, 0x100, v10
	v_mov_b32_e32 v13, v31
	v_lshlrev_b32_e32 v30, 5, v27
	v_lshl_add_u64 v[8:9], v[8:9], 0, v[10:11]
	v_lshl_add_u64 v[4:5], v[4:5], 0, v[12:13]
	;; [unrolled: 1-line block ×4, first 2 shown]
	s_barrier
	global_load_dwordx4 v[22:25], v[8:9], off
	global_load_dwordx4 v[18:21], v[4:5], off
	s_waitcnt vmcnt(3)
	v_mad_i64_i32 v[4:5], s[4:5], v3, s45, v[6:7]
	v_lshl_add_u64 v[4:5], v[4:5], 0, v[10:11]
	s_waitcnt vmcnt(2)
	v_mad_i64_i32 v[2:3], s[4:5], v2, s45, v[6:7]
	v_lshl_add_u64 v[4:5], v[4:5], 0, v[30:31]
	v_lshl_add_u64 v[2:3], v[2:3], 0, v[12:13]
	v_lshl_add_u64 v[2:3], v[2:3], 0, v[30:31]
	global_load_dwordx4 v[14:17], v[4:5], off
	global_load_dwordx4 v[6:9], v[2:3], off
	v_cmp_ne_u32_e32 vcc, 15, v28
	v_and_b32_e32 v43, 63, v0
	v_mov_b32_e32 v44, 0
	v_cndmask_b32_e32 v2, 0, v28, vcc
	v_lshlrev_b32_e32 v2, 5, v2
	v_lshl_or_b32 v2, v42, 9, v2
	ds_read_b128 v[10:13], v2
	ds_read_b128 v[2:5], v2 offset:16
	s_and_saveexec_b64 s[4:5], vcc
	s_cbranch_execz .LBB902_13
; %bb.12:
	s_load_dwordx2 s[6:7], s[0:1], 0x40
	v_add_u32_e32 v32, s48, v28
	v_ashrrev_i32_e32 v33, 31, v32
	s_waitcnt lgkmcnt(0)
	v_lshl_add_u64 v[32:33], v[32:33], 2, s[6:7]
	global_load_dword v44, v[32:33], off
.LBB902_13:
	s_or_b64 exec, exec, s[4:5]
	s_ashr_i32 s4, s16, 31
	v_or_b32_e32 v45, s16, v27
	s_lshr_b32 s13, s4, 27
	v_add_u32_e32 v27, s13, v45
	v_ashrrev_i32_e32 v27, 5, v27
	s_waitcnt vmcnt(3)
	v_cvt_pk_f32_fp8_e32 v[32:33], v22
	v_cvt_pk_f32_fp8_sdwa v[34:35], v22 src0_sel:WORD_1
	s_waitcnt vmcnt(2)
	v_cvt_pk_f32_fp8_e32 v[56:57], v20
	v_cvt_pk_f32_fp8_sdwa v[58:59], v20 src0_sel:WORD_1
	v_mov_b32_e32 v20, s17
	v_cmp_gt_i32_e32 vcc, s29, v45
	v_cvt_pk_f32_fp8_e32 v[48:49], v18
	v_cvt_pk_f32_fp8_sdwa v[50:51], v18 src0_sel:WORD_1
	v_cndmask_b32_e32 v18, v20, v27, vcc
	v_cvt_pk_f32_fp8_e32 v[52:53], v19
	v_cvt_pk_f32_fp8_sdwa v[54:55], v19 src0_sel:WORD_1
	v_ashrrev_i32_e32 v19, 31, v18
	v_lshl_add_u64 v[18:19], v[18:19], 2, s[8:9]
	v_cvt_pk_f32_fp8_e32 v[36:37], v23
	v_cvt_pk_f32_fp8_sdwa v[22:23], v23 src0_sel:WORD_1
	global_load_dword v70, v[18:19], off
	v_cvt_pkrtz_f16_f32 v18, v32, v33
	v_cvt_pkrtz_f16_f32 v19, v34, v35
	v_cvt_pk_f32_fp8_e32 v[60:61], v21
	v_cvt_pk_f32_fp8_sdwa v[62:63], v21 src0_sel:WORD_1
	v_or_b32_e32 v21, 64, v45
	v_or_b32_e32 v32, 0x80, v45
	v_or_b32_e32 v33, 0xc0, v45
	v_cmp_gt_i32_e32 vcc, s29, v21
	v_add_u32_e32 v21, s13, v21
	v_cmp_gt_i32_e64 s[4:5], s29, v32
	v_add_u32_e32 v32, s13, v32
	v_cmp_gt_i32_e64 s[6:7], s29, v33
	v_add_u32_e32 v33, s13, v33
	v_cvt_pk_f32_fp8_e32 v[38:39], v24
	v_cvt_pk_f32_fp8_sdwa v[40:41], v24 src0_sel:WORD_1
	v_ashrrev_i32_e32 v21, 5, v21
	v_ashrrev_i32_e32 v34, 5, v32
	;; [unrolled: 1-line block ×3, first 2 shown]
	v_cvt_pkrtz_f16_f32 v32, v36, v37
	v_cvt_pkrtz_f16_f32 v33, v22, v23
	v_cndmask_b32_e32 v36, v20, v21, vcc
	v_cndmask_b32_e64 v64, v20, v34, s[4:5]
	v_cndmask_b32_e64 v66, v20, v35, s[6:7]
	s_waitcnt lgkmcnt(1)
	v_mfma_f32_16x16x16_f16 v[18:21], v[18:19], v[10:11], 0
	v_cvt_pk_f32_fp8_e32 v[46:47], v25
	v_cvt_pkrtz_f16_f32 v22, v48, v49
	v_cvt_pkrtz_f16_f32 v23, v50, v51
	v_cvt_pk_f32_fp8_sdwa v[24:25], v25 src0_sel:WORD_1
	v_cvt_pkrtz_f16_f32 v38, v38, v39
	v_cvt_pkrtz_f16_f32 v39, v40, v41
	v_mfma_f32_16x16x16_f16 v[32:35], v[32:33], v[12:13], v[18:21]
	s_add_u32 s10, s10, s12
	v_and_b32_e32 v30, 16, v0
	v_lshlrev_b32_e32 v27, 5, v28
	s_addc_u32 s11, s11, 0
	v_cvt_pkrtz_f16_f32 v68, v46, v47
	v_cvt_pkrtz_f16_f32 v46, v52, v53
	;; [unrolled: 1-line block ×3, first 2 shown]
	s_load_dword s14, s[0:1], 0x1c
	s_load_dwordx4 s[40:43], s[0:1], 0x80
	v_lshl_add_u64 v[40:41], s[10:11], 0, v[30:31]
	v_lshl_or_b32 v30, v29, 9, v27
	v_cvt_pkrtz_f16_f32 v69, v24, v25
	v_mfma_f32_16x16x16_f16 v[22:25], v[22:23], v[10:11], 0
	v_lshl_add_u64 v[18:19], v[40:41], 0, v[30:31]
	v_ashrrev_i32_e32 v37, 31, v36
	v_ashrrev_i32_e32 v65, 31, v64
	s_waitcnt lgkmcnt(0)
	v_mfma_f32_16x16x16_f16 v[30:33], v[38:39], v[2:3], v[32:35]
	v_ashrrev_i32_e32 v67, 31, v66
	v_cvt_pkrtz_f16_f32 v48, v56, v57
	v_cvt_pkrtz_f16_f32 v49, v58, v59
	v_mfma_f32_16x16x16_f16 v[20:23], v[46:47], v[12:13], v[22:25]
	v_lshl_add_u64 v[34:35], v[64:65], 2, s[8:9]
	s_load_dword s4, s[40:41], 0x0
	v_cvt_pkrtz_f16_f32 v50, v60, v61
	v_lshl_add_u64 v[24:25], v[36:37], 2, s[8:9]
	v_lshl_add_u64 v[36:37], v[66:67], 2, s[8:9]
	global_load_dword v47, v[24:25], off
	global_load_dword v45, v[34:35], off
	;; [unrolled: 1-line block ×3, first 2 shown]
	v_mfma_f32_16x16x16_f16 v[34:37], v[68:69], v[4:5], v[30:33]
	s_waitcnt vmcnt(5)
	v_cvt_pk_f32_fp8_e32 v[24:25], v14
	v_cvt_pkrtz_f16_f32 v51, v62, v63
	v_cvt_pk_f32_fp8_e32 v[38:39], v15
	v_cvt_pk_f32_fp8_sdwa v[32:33], v14 src0_sel:WORD_1
	v_mfma_f32_16x16x16_f16 v[20:23], v[48:49], v[2:3], v[20:23]
	v_cvt_pkrtz_f16_f32 v24, v24, v25
	v_cvt_pk_f32_fp8_sdwa v[14:15], v15 src0_sel:WORD_1
	v_cvt_pkrtz_f16_f32 v25, v32, v33
	v_mov_b32_e32 v40, s14
	v_mfma_f32_16x16x16_f16 v[20:23], v[50:51], v[4:5], v[20:23]
	v_cvt_pkrtz_f16_f32 v32, v38, v39
	v_cvt_pk_f32_fp8_e32 v[50:51], v16
	v_cvt_pk_f32_fp8_sdwa v[52:53], v16 src0_sel:WORD_1
	v_cvt_pkrtz_f16_f32 v33, v14, v15
	s_waitcnt lgkmcnt(0)
	v_mul_f32_e32 v48, s4, v40
	v_mfma_f32_16x16x16_f16 v[38:41], v[24:25], v[10:11], 0
	v_cvt_pkrtz_f16_f32 v24, v50, v51
	v_cvt_pkrtz_f16_f32 v25, v52, v53
	v_cvt_pk_f32_fp8_e32 v[50:51], v17
	v_cvt_pk_f32_fp8_sdwa v[52:53], v17 src0_sel:WORD_1
	v_mfma_f32_16x16x16_f16 v[14:17], v[32:33], v[12:13], v[38:41]
	v_pk_mul_f32 v[32:33], v[48:49], v[36:37] op_sel_hi:[0,1]
	v_cvt_pkrtz_f16_f32 v36, v50, v51
	v_cvt_pkrtz_f16_f32 v37, v52, v53
	v_mfma_f32_16x16x16_f16 v[14:17], v[24:25], v[2:3], v[14:17]
	v_pk_mul_f32 v[38:39], v[48:49], v[34:35] op_sel_hi:[0,1]
	s_waitcnt vmcnt(4)
	v_cvt_pk_f32_fp8_e32 v[24:25], v6
	v_cvt_pk_f32_fp8_sdwa v[34:35], v6 src0_sel:WORD_1
	v_mfma_f32_16x16x16_f16 v[14:17], v[36:37], v[4:5], v[14:17]
	v_cvt_pk_f32_fp8_e32 v[36:37], v7
	v_cvt_pkrtz_f16_f32 v24, v24, v25
	v_cvt_pkrtz_f16_f32 v25, v34, v35
	v_cvt_pk_f32_fp8_sdwa v[6:7], v7 src0_sel:WORD_1
	v_cvt_pkrtz_f16_f32 v40, v36, v37
	v_cvt_pk_f32_fp8_e32 v[50:51], v8
	v_cvt_pk_f32_fp8_sdwa v[52:53], v8 src0_sel:WORD_1
	v_cvt_pkrtz_f16_f32 v41, v6, v7
	v_mfma_f32_16x16x16_f16 v[34:37], v[24:25], v[10:11], 0
	v_cvt_pkrtz_f16_f32 v10, v50, v51
	v_cvt_pkrtz_f16_f32 v11, v52, v53
	v_cvt_pk_f32_fp8_e32 v[24:25], v9
	v_cvt_pk_f32_fp8_sdwa v[50:51], v9 src0_sel:WORD_1
	v_mfma_f32_16x16x16_f16 v[6:9], v[40:41], v[12:13], v[34:37]
	v_pk_mul_f32 v[40:41], v[48:49], v[20:21] op_sel_hi:[0,1]
	v_cvt_pkrtz_f16_f32 v12, v24, v25
	v_cvt_pkrtz_f16_f32 v13, v50, v51
	v_mfma_f32_16x16x16_f16 v[6:9], v[10:11], v[2:3], v[6:9]
	v_pk_mul_f32 v[36:37], v[48:49], v[22:23] op_sel_hi:[0,1]
	v_pk_mul_f32 v[24:25], v[48:49], v[16:17] op_sel_hi:[0,1]
	;; [unrolled: 1-line block ×3, first 2 shown]
	v_mfma_f32_16x16x16_f16 v[2:5], v[12:13], v[4:5], v[6:9]
	s_waitcnt vmcnt(3)
	v_mad_i64_i32 v[30:31], s[4:5], v70, s45, v[18:19]
	s_mov_b32 s33, 0xff7fffff
	s_nop 3
	v_pk_mul_f32 v[22:23], v[48:49], v[2:3] op_sel_hi:[0,1]
	v_and_b32_e32 v2, 0xc0, v0
	v_add_u32_e32 v2, s16, v2
	v_lshl_or_b32 v2, v42, 2, v2
	v_or_b32_e32 v3, 1, v2
	v_pk_mul_f32 v[20:21], v[48:49], v[4:5] op_sel_hi:[0,1]
	v_subrev_u32_e32 v4, s29, v3
	v_add_u32_e32 v6, 1, v4
	v_add_u32_e32 v7, 2, v4
	;; [unrolled: 1-line block ×3, first 2 shown]
	v_cvt_f32_i32_e32 v6, v6
	v_cvt_f32_i32_e32 v7, v7
	;; [unrolled: 1-line block ×3, first 2 shown]
	v_add_u32_e32 v9, 19, v4
	v_fmac_f32_e32 v39, v44, v6
	v_fma_f32 v32, v44, v7, v32
	v_fmac_f32_e32 v33, v44, v8
	v_add_u32_e32 v6, 16, v4
	v_add_u32_e32 v7, 17, v4
	;; [unrolled: 1-line block ×3, first 2 shown]
	v_cvt_f32_i32_e32 v6, v6
	v_cvt_f32_i32_e32 v7, v7
	;; [unrolled: 1-line block ×4, first 2 shown]
	v_fma_f32 v40, v44, v6, v40
	v_fmac_f32_e32 v41, v44, v7
	v_fma_f32 v36, v44, v8, v36
	v_add_u32_e32 v6, 32, v4
	v_add_u32_e32 v7, 33, v4
	v_add_u32_e32 v8, 34, v4
	v_cvt_f32_i32_e32 v6, v6
	v_cvt_f32_i32_e32 v7, v7
	;; [unrolled: 1-line block ×4, first 2 shown]
	v_fmac_f32_e32 v37, v44, v9
	v_add_u32_e32 v9, 35, v4
	v_fma_f32 v48, v44, v6, v34
	v_fmac_f32_e32 v35, v44, v7
	v_fma_f32 v24, v44, v8, v24
	v_add_u32_e32 v6, 48, v4
	v_add_u32_e32 v7, 49, v4
	;; [unrolled: 1-line block ×4, first 2 shown]
	v_cvt_f32_i32_e32 v4, v4
	v_cvt_f32_i32_e32 v6, v6
	;; [unrolled: 1-line block ×3, first 2 shown]
	v_fma_f32 v5, v44, v5, v38
	v_fmac_f32_e32 v21, v44, v4
	v_mov_b32_e32 v4, 0xff7fffff
	v_cmp_gt_i32_e64 s[4:5], s29, v2
	v_cmp_gt_i32_e64 s[34:35], s29, v3
	v_fma_f32 v22, v44, v6, v22
	v_cndmask_b32_e64 v6, v4, v5, s[4:5]
	v_cndmask_b32_e64 v3, v4, v39, s[34:35]
	v_fmac_f32_e32 v23, v44, v7
	v_max3_f32 v3, v6, s33, v3
	v_or_b32_e32 v6, 2, v2
	v_or_b32_e32 v7, 3, v2
	v_cmp_gt_i32_e64 s[36:37], s29, v6
	v_cmp_gt_i32_e64 s[38:39], s29, v7
	v_cvt_f32_i32_e32 v9, v9
	v_cndmask_b32_e64 v6, v4, v32, s[36:37]
	v_cndmask_b32_e64 v7, v4, v33, s[38:39]
	v_max3_f32 v3, v3, v6, v7
	v_or_b32_e32 v6, 16, v2
	v_or_b32_e32 v7, 17, v2
	v_cmp_gt_i32_e64 s[24:25], s29, v6
	v_cmp_gt_i32_e64 s[26:27], s29, v7
	v_fmac_f32_e32 v25, v44, v9
	v_cndmask_b32_e64 v6, v4, v40, s[24:25]
	v_cndmask_b32_e64 v7, v4, v41, s[26:27]
	v_max3_f32 v3, v3, v6, v7
	v_or_b32_e32 v6, 18, v2
	v_or_b32_e32 v7, 19, v2
	v_cmp_gt_i32_e64 s[20:21], s29, v6
	v_cmp_gt_i32_e64 s[22:23], s29, v7
	v_cvt_f32_i32_e32 v8, v8
	v_cndmask_b32_e64 v6, v4, v36, s[20:21]
	v_cndmask_b32_e64 v7, v4, v37, s[22:23]
	v_max3_f32 v3, v3, v6, v7
	v_or_b32_e32 v6, 32, v2
	v_or_b32_e32 v7, 33, v2
	v_cmp_gt_i32_e64 s[16:17], s29, v6
	v_cmp_gt_i32_e64 s[18:19], s29, v7
	v_fma_f32 v20, v44, v8, v20
	v_cndmask_b32_e64 v6, v4, v48, s[16:17]
	v_cndmask_b32_e64 v7, v4, v35, s[18:19]
	v_max3_f32 v3, v3, v6, v7
	v_or_b32_e32 v6, 34, v2
	v_or_b32_e32 v7, 35, v2
	v_cmp_gt_i32_e64 s[12:13], s29, v6
	v_cmp_gt_i32_e64 s[14:15], s29, v7
	s_nop 0
	v_cndmask_b32_e64 v6, v4, v24, s[12:13]
	v_cndmask_b32_e64 v7, v4, v25, s[14:15]
	v_max3_f32 v3, v3, v6, v7
	v_or_b32_e32 v6, 48, v2
	v_or_b32_e32 v7, 49, v2
	v_cmp_gt_i32_e64 s[8:9], s29, v6
	v_cmp_gt_i32_e64 s[10:11], s29, v7
	s_nop 0
	v_cndmask_b32_e64 v6, v4, v22, s[8:9]
	v_cndmask_b32_e64 v7, v4, v23, s[10:11]
	v_max3_f32 v3, v3, v6, v7
	v_or_b32_e32 v6, 50, v2
	v_or_b32_e32 v2, 51, v2
	v_cmp_gt_i32_e32 vcc, s29, v6
	v_cmp_gt_i32_e64 s[6:7], s29, v2
	s_nop 0
	v_cndmask_b32_e32 v6, v4, v20, vcc
	v_cndmask_b32_e64 v2, v4, v21, s[6:7]
	v_max3_f32 v4, v3, v6, v2
	v_mbcnt_lo_u32_b32 v2, -1, 0
	v_mbcnt_hi_u32_b32 v6, -1, v2
	v_and_b32_e32 v2, 64, v6
	v_add_u32_e32 v7, 64, v2
	v_xor_b32_e32 v2, 32, v6
	v_cmp_lt_i32_e64 s[40:41], v2, v7
	s_nop 1
	v_cndmask_b32_e64 v2, v6, v2, s[40:41]
	v_lshlrev_b32_e32 v44, 2, v2
	ds_bpermute_b32 v8, v44, v4
	s_waitcnt vmcnt(2)
	v_mad_i64_i32 v[2:3], s[40:41], v47, s45, v[18:19]
	global_load_dwordx4 v[14:17], v[30:31], off
	global_load_dwordx4 v[10:13], v[2:3], off
	v_xor_b32_e32 v3, 16, v6
	v_cmp_lt_i32_e64 s[40:41], v3, v7
	s_waitcnt lgkmcnt(0)
	v_max_f32_e32 v2, v8, v8
	v_max_f32_e32 v2, v4, v2
	v_cndmask_b32_e64 v3, v6, v3, s[40:41]
	v_lshlrev_b32_e32 v47, 2, v3
	ds_bpermute_b32 v3, v47, v2
	s_waitcnt vmcnt(3)
	v_mad_i64_i32 v[30:31], s[40:41], v45, s45, v[18:19]
	s_waitcnt vmcnt(2)
	v_mad_i64_i32 v[18:19], s[40:41], v46, s45, v[18:19]
	s_waitcnt lgkmcnt(0)
	v_max_f32_e32 v3, v3, v3
	v_max_f32_e32 v34, v2, v3
	v_sub_f32_e32 v2, v5, v34
	v_mul_f32_e32 v2, 0x3fb8aa3b, v2
	v_exp_f32_e32 v38, v2
	v_sub_f32_e32 v2, v39, v34
	v_mul_f32_e32 v2, 0x3fb8aa3b, v2
	v_exp_f32_e32 v39, v2
	global_load_dwordx4 v[6:9], v[30:31], off
	global_load_dwordx4 v[2:5], v[18:19], off
	v_sub_f32_e32 v31, v32, v34
	v_sub_f32_e32 v32, v33, v34
	v_mul_f32_e32 v31, 0x3fb8aa3b, v31
	v_mul_f32_e32 v32, 0x3fb8aa3b, v32
	v_exp_f32_e32 v31, v31
	v_exp_f32_e32 v32, v32
	v_cndmask_b32_e64 v18, 0, v38, s[4:5]
	v_cndmask_b32_e64 v19, 0, v39, s[34:35]
	;; [unrolled: 1-line block ×4, first 2 shown]
	v_sub_f32_e32 v31, v40, v34
	v_sub_f32_e32 v32, v41, v34
	v_mul_f32_e32 v31, 0x3fb8aa3b, v31
	v_mul_f32_e32 v32, 0x3fb8aa3b, v32
	v_exp_f32_e32 v31, v31
	v_exp_f32_e32 v32, v32
	v_add_f32_e32 v30, 0, v18
	v_add_f32_e32 v30, v30, v19
	;; [unrolled: 1-line block ×4, first 2 shown]
	v_cndmask_b32_e64 v30, 0, v31, s[24:25]
	v_cndmask_b32_e64 v31, 0, v32, s[26:27]
	v_sub_f32_e32 v32, v36, v34
	v_mul_f32_e32 v32, 0x3fb8aa3b, v32
	v_exp_f32_e32 v32, v32
	v_sub_f32_e32 v36, v37, v34
	v_add_f32_e32 v33, v33, v30
	v_mul_f32_e32 v36, 0x3fb8aa3b, v36
	v_exp_f32_e32 v37, v36
	v_add_f32_e32 v33, v33, v31
	v_cndmask_b32_e64 v36, 0, v32, s[20:21]
	v_add_f32_e32 v32, v33, v36
	v_sub_f32_e32 v33, v48, v34
	v_mul_f32_e32 v33, 0x3fb8aa3b, v33
	v_sub_f32_e32 v35, v35, v34
	v_exp_f32_e32 v33, v33
	v_mul_f32_e32 v35, 0x3fb8aa3b, v35
	v_sub_f32_e32 v24, v24, v34
	v_exp_f32_e32 v35, v35
	;; [unrolled: 3-line block ×3, first 2 shown]
	v_mul_f32_e32 v25, 0x3fb8aa3b, v25
	v_sub_f32_e32 v22, v22, v34
	v_cndmask_b32_e64 v37, 0, v37, s[22:23]
	v_exp_f32_e32 v25, v25
	v_mul_f32_e32 v22, 0x3fb8aa3b, v22
	v_sub_f32_e32 v23, v23, v34
	v_add_f32_e32 v40, v32, v37
	v_cndmask_b32_e64 v32, 0, v33, s[16:17]
	v_exp_f32_e32 v22, v22
	v_mul_f32_e32 v23, 0x3fb8aa3b, v23
	v_sub_f32_e32 v20, v20, v34
	v_add_f32_e32 v40, v40, v32
	;; [unrolled: 5-line block ×3, first 2 shown]
	v_cndmask_b32_e64 v24, 0, v24, s[12:13]
	v_exp_f32_e32 v20, v20
	v_mul_f32_e32 v21, 0x3fb8aa3b, v21
	v_add_f32_e32 v35, v35, v24
	v_cndmask_b32_e64 v25, 0, v25, s[14:15]
	v_exp_f32_e32 v21, v21
	v_add_f32_e32 v35, v35, v25
	v_cndmask_b32_e64 v22, 0, v22, s[8:9]
	v_add_f32_e32 v35, v35, v22
	v_cndmask_b32_e64 v23, 0, v23, s[10:11]
	v_add_f32_e32 v35, v35, v23
	v_cndmask_b32_e32 v20, 0, v20, vcc
	v_add_f32_e32 v35, v35, v20
	v_cndmask_b32_e64 v21, 0, v21, s[6:7]
	v_add_f32_e32 v35, v35, v21
	ds_bpermute_b32 v40, v44, v35
	s_load_dword s7, s[0:1], 0x98
	v_cmp_gt_u32_e32 vcc, 16, v43
	s_waitcnt lgkmcnt(0)
	s_barrier
	v_add_f32_e32 v40, v35, v40
	ds_bpermute_b32 v41, v47, v40
	v_lshlrev_b32_e32 v35, 2, v28
	s_waitcnt lgkmcnt(0)
	s_and_saveexec_b64 s[4:5], vcc
	s_cbranch_execz .LBB902_15
; %bb.14:
	v_add_f32_e32 v40, v40, v41
	v_lshl_or_b32 v41, v29, 6, v35
	ds_write2st64_b32 v41, v34, v40 offset1:1
.LBB902_15:
	s_or_b64 exec, exec, s[4:5]
	s_load_dword s6, s[0:1], 0x94
	s_waitcnt lgkmcnt(0)
	s_barrier
	ds_read2_b32 v[40:41], v35 offset1:16
	ds_read2_b32 v[44:45], v35 offset0:32 offset1:48
	ds_read2_b32 v[46:47], v35 offset0:64 offset1:80
	s_mul_i32 s7, s7, 15
	s_waitcnt lgkmcnt(2)
	v_max3_f32 v34, v40, s33, v41
	s_waitcnt lgkmcnt(1)
	v_max3_f32 v34, v34, v44, v45
	v_sub_f32_e32 v40, v40, v34
	v_mul_f32_e32 v40, 0x3fb8aa3b, v40
	v_exp_f32_e32 v43, v40
	v_sub_f32_e32 v40, v41, v34
	v_mul_f32_e32 v40, 0x3fb8aa3b, v40
	v_exp_f32_e32 v48, v40
	;; [unrolled: 3-line block ×3, first 2 shown]
	ds_read2_b32 v[40:41], v35 offset0:96 offset1:112
	v_sub_f32_e32 v35, v45, v34
	v_mul_f32_e32 v35, 0x3fb8aa3b, v35
	v_exp_f32_e32 v45, v35
	s_waitcnt lgkmcnt(1)
	v_fma_f32 v35, v43, v46, 0
	v_fmac_f32_e32 v35, v48, v47
	s_waitcnt lgkmcnt(0)
	v_fmac_f32_e32 v35, v44, v40
	v_fmac_f32_e32 v35, v45, v41
	v_add_f32_e32 v40, 0x358637bd, v35
	v_div_scale_f32 v41, s[4:5], v40, v40, 1.0
	v_rcp_f32_e32 v46, v41
	s_barrier
	v_fma_f32 v47, -v41, v46, 1.0
	v_fmac_f32_e32 v46, v47, v46
	v_div_scale_f32 v47, vcc, 1.0, v40, 1.0
	v_mul_f32_e32 v49, v47, v46
	v_fma_f32 v50, -v41, v49, v47
	v_fmac_f32_e32 v49, v50, v46
	v_fma_f32 v41, -v41, v49, v47
	v_div_fmas_f32 v41, v41, v46, v49
	v_cmp_eq_u32_e32 vcc, 1, v29
	v_div_fixup_f32 v40, v41, v40, 1.0
	s_nop 0
	v_cndmask_b32_e32 v41, v43, v48, vcc
	v_cmp_eq_u32_e32 vcc, 2, v29
	s_nop 1
	v_cndmask_b32_e32 v41, v41, v44, vcc
	v_cmp_eq_u32_e32 vcc, 3, v29
	s_nop 1
	v_cndmask_b32_e32 v41, v41, v45, vcc
	v_mul_f32_e32 v40, v41, v40
	v_pk_mul_f32 v[38:39], v[40:41], v[38:39] op_sel_hi:[0,1]
	v_pk_mul_f32 v[18:19], v[40:41], v[18:19] op_sel_hi:[0,1]
	v_cvt_f16_f32_e32 v41, v38
	v_cvt_f16_f32_e32 v39, v39
	;; [unrolled: 1-line block ×4, first 2 shown]
	v_cmp_gt_u32_e32 vcc, 15, v0
	v_pack_b32_f16 v39, v41, v39
	v_lshlrev_b32_e32 v41, 3, v42
	v_pack_b32_f16 v38, v18, v19
	v_pk_mul_f32 v[18:19], v[40:41], v[36:37] op_sel_hi:[0,1]
	v_pk_mul_f32 v[30:31], v[40:41], v[30:31] op_sel_hi:[0,1]
	v_cvt_f16_f32_e32 v30, v30
	v_cvt_f16_f32_e32 v31, v31
	;; [unrolled: 1-line block ×4, first 2 shown]
	v_lshlrev_b32_e32 v18, 11, v29
	v_or3_b32 v18, v18, v27, v41
	v_pack_b32_f16 v30, v30, v31
	v_pack_b32_f16 v31, v36, v19
	ds_write2st64_b64 v18, v[38:39], v[30:31] offset1:1
	v_pk_mul_f32 v[24:25], v[40:41], v[24:25] op_sel_hi:[0,1]
	v_pk_mul_f32 v[30:31], v[40:41], v[32:33] op_sel_hi:[0,1]
	;; [unrolled: 1-line block ×4, first 2 shown]
	v_cvt_f16_f32_e32 v19, v30
	v_cvt_f16_f32_e32 v29, v31
	;; [unrolled: 1-line block ×8, first 2 shown]
	v_pack_b32_f16 v20, v19, v29
	v_pack_b32_f16 v21, v24, v25
	;; [unrolled: 1-line block ×4, first 2 shown]
	ds_write2st64_b64 v18, v[20:21], v[22:23] offset0:2 offset1:3
	s_and_saveexec_b64 s[4:5], vcc
	s_cbranch_execz .LBB902_17
; %bb.16:
	s_mov_b32 s49, 0
	v_mov_b32_e32 v29, 0
	v_lshl_add_u64 v[20:21], s[48:49], 0, v[28:29]
	v_mov_b32_e32 v19, s7
	v_mad_u64_u32 v[20:21], s[12:13], s2, v19, v[20:21]
	s_mul_i32 s3, s3, s7
	v_mov_b32_e32 v28, s28
	s_load_dwordx4 s[8:11], s[0:1], 0x58
	v_add_u32_e32 v19, s3, v21
	v_mad_u64_u32 v[20:21], s[12:13], v20, s6, v[28:29]
	v_mov_b32_e32 v22, v21
	v_mad_u64_u32 v[22:23], s[12:13], v19, s6, v[22:23]
	v_mov_b32_e32 v21, v22
	v_lshlrev_b64 v[20:21], 2, v[20:21]
	s_waitcnt lgkmcnt(0)
	v_lshl_add_u64 v[22:23], s[10:11], 0, v[20:21]
	v_lshl_add_u64 v[20:21], s[8:9], 0, v[20:21]
	global_store_dword v[22:23], v34, off
	global_store_dword v[20:21], v35, off
.LBB902_17:
	s_or_b64 exec, exec, s[4:5]
	s_waitcnt vmcnt(3)
	v_cvt_pk_f32_fp8_e32 v[20:21], v14
	v_cvt_pk_f32_fp8_sdwa v[22:23], v14 src0_sel:WORD_1
	v_lshl_or_b32 v14, v42, 9, v27
	s_waitcnt lgkmcnt(0)
	s_barrier
	v_cvt_pk_f32_fp8_e32 v[24:25], v15
	v_cvt_pkrtz_f16_f32 v32, v20, v21
	v_cvt_pkrtz_f16_f32 v33, v22, v23
	v_cvt_pk_f32_fp8_sdwa v[28:29], v15 src0_sel:WORD_1
	ds_read_b128 v[20:23], v14
	v_cvt_pkrtz_f16_f32 v24, v24, v25
	v_cvt_pk_f32_fp8_e32 v[36:37], v16
	v_cvt_pkrtz_f16_f32 v25, v28, v29
	ds_read_b128 v[28:31], v14 offset:16
	v_cvt_pk_f32_fp8_sdwa v[38:39], v16 src0_sel:WORD_1
	s_waitcnt lgkmcnt(1)
	v_mfma_f32_16x16x16_f16 v[32:35], v[32:33], v[20:21], 0
	v_cvt_pkrtz_f16_f32 v36, v36, v37
	s_load_dword s4, s[42:43], 0x0
	v_cvt_pkrtz_f16_f32 v37, v38, v39
	v_cvt_pk_f32_fp8_e32 v[38:39], v17
	v_cvt_pk_f32_fp8_sdwa v[16:17], v17 src0_sel:WORD_1
	v_mfma_f32_16x16x16_f16 v[20:23], v[24:25], v[22:23], v[32:35]
	v_cmp_gt_u32_e32 vcc, 64, v0
	v_cvt_pkrtz_f16_f32 v24, v38, v39
	v_cvt_pkrtz_f16_f32 v25, v16, v17
	s_waitcnt lgkmcnt(0)
	v_mfma_f32_16x16x16_f16 v[20:23], v[36:37], v[28:29], v[20:23]
	s_waitcnt vmcnt(2)
	v_cvt_pk_f32_fp8_e32 v[16:17], v10
	v_cvt_pk_f32_fp8_e32 v[28:29], v11
	v_cvt_pk_f32_fp8_sdwa v[36:37], v12 src0_sel:WORD_1
	v_mfma_f32_16x16x16_f16 v[20:23], v[24:25], v[30:31], v[20:23]
	v_cvt_pk_f32_fp8_sdwa v[24:25], v10 src0_sel:WORD_1
	v_cvt_pkrtz_f16_f32 v10, v16, v17
	v_cvt_pk_f32_fp8_sdwa v[16:17], v11 src0_sel:WORD_1
	ds_read_b128 v[32:35], v14 offset:2064
	v_cvt_pkrtz_f16_f32 v11, v24, v25
	v_cvt_pkrtz_f16_f32 v24, v28, v29
	ds_read_b128 v[28:31], v14 offset:2048
	v_cvt_pkrtz_f16_f32 v25, v16, v17
	v_cvt_pk_f32_fp8_e32 v[16:17], v12
	s_waitcnt lgkmcnt(0)
	v_mfma_f32_16x16x16_f16 v[20:23], v[10:11], v[28:29], v[20:23]
	v_cvt_pkrtz_f16_f32 v10, v16, v17
	v_cvt_pkrtz_f16_f32 v11, v36, v37
	v_cvt_pk_f32_fp8_e32 v[16:17], v13
	v_mfma_f32_16x16x16_f16 v[20:23], v[24:25], v[30:31], v[20:23]
	v_cvt_pk_f32_fp8_sdwa v[24:25], v13 src0_sel:WORD_1
	ds_read_b128 v[28:31], v14 offset:4112
	v_cvt_pkrtz_f16_f32 v16, v16, v17
	v_mfma_f32_16x16x16_f16 v[10:13], v[10:11], v[32:33], v[20:23]
	v_cvt_pkrtz_f16_f32 v17, v24, v25
	s_waitcnt vmcnt(1)
	v_cvt_pk_f32_fp8_sdwa v[24:25], v7 src0_sel:WORD_1
	v_cvt_pk_f32_fp8_sdwa v[32:33], v8 src0_sel:WORD_1
	v_cvt_pk_f32_fp8_e32 v[20:21], v6
	v_mfma_f32_16x16x16_f16 v[10:13], v[16:17], v[34:35], v[10:13]
	v_cvt_pk_f32_fp8_sdwa v[16:17], v6 src0_sel:WORD_1
	v_cvt_pk_f32_fp8_e32 v[22:23], v7
	v_cvt_pkrtz_f16_f32 v6, v20, v21
	s_mov_b32 s3, 0
	v_cvt_pkrtz_f16_f32 v7, v16, v17
	v_cvt_pkrtz_f16_f32 v16, v22, v23
	ds_read_b128 v[20:23], v14 offset:4096
	v_cvt_pkrtz_f16_f32 v17, v24, v25
	v_cvt_pk_f32_fp8_e32 v[24:25], v8
	s_waitcnt lgkmcnt(0)
	v_mfma_f32_16x16x16_f16 v[10:13], v[6:7], v[20:21], v[10:13]
	v_cvt_pkrtz_f16_f32 v6, v24, v25
	v_cvt_pkrtz_f16_f32 v7, v32, v33
	v_cvt_pk_f32_fp8_e32 v[20:21], v9
	v_mfma_f32_16x16x16_f16 v[10:13], v[16:17], v[22:23], v[10:13]
	v_cvt_pk_f32_fp8_sdwa v[16:17], v9 src0_sel:WORD_1
	s_waitcnt vmcnt(0)
	v_cvt_pk_f32_fp8_sdwa v[24:25], v4 src0_sel:WORD_1
	v_cvt_pkrtz_f16_f32 v20, v20, v21
	v_mfma_f32_16x16x16_f16 v[6:9], v[6:7], v[28:29], v[10:13]
	v_cvt_pkrtz_f16_f32 v21, v16, v17
	v_cvt_pk_f32_fp8_e32 v[16:17], v3
	v_mov_b32_e32 v27, 0
	v_cvt_pk_f32_fp8_e32 v[10:11], v2
	v_cvt_pk_f32_fp8_sdwa v[12:13], v2 src0_sel:WORD_1
	v_mfma_f32_16x16x16_f16 v[6:9], v[20:21], v[30:31], v[6:9]
	v_cvt_pk_f32_fp8_sdwa v[20:21], v3 src0_sel:WORD_1
	v_cvt_pkrtz_f16_f32 v2, v10, v11
	v_cvt_pkrtz_f16_f32 v3, v12, v13
	ds_read_b128 v[10:13], v14 offset:6144
	v_cvt_pkrtz_f16_f32 v22, v16, v17
	v_cvt_pkrtz_f16_f32 v23, v20, v21
	v_cvt_pk_f32_fp8_e32 v[20:21], v4
	s_waitcnt lgkmcnt(0)
	v_mfma_f32_16x16x16_f16 v[6:9], v[2:3], v[10:11], v[6:9]
	ds_read_b128 v[14:17], v14 offset:6160
	v_cvt_pkrtz_f16_f32 v2, v20, v21
	v_cvt_pkrtz_f16_f32 v3, v24, v25
	v_cvt_pk_f32_fp8_e32 v[10:11], v5
	v_mfma_f32_16x16x16_f16 v[6:9], v[22:23], v[12:13], v[6:9]
	v_cvt_pk_f32_fp8_sdwa v[12:13], v5 src0_sel:WORD_1
	s_waitcnt lgkmcnt(0)
	v_cvt_pkrtz_f16_f32 v10, v10, v11
	v_mfma_f32_16x16x16_f16 v[2:5], v[2:3], v[14:15], v[6:9]
	v_cvt_pkrtz_f16_f32 v11, v12, v13
	s_barrier
	s_nop 0
	v_mfma_f32_16x16x16_f16 v[2:5], v[10:11], v[16:17], v[2:5]
	s_nop 6
	v_pk_mul_f32 v[4:5], v[4:5], s[4:5] op_sel_hi:[1,0]
	v_pk_mul_f32 v[2:3], v[2:3], s[4:5] op_sel_hi:[1,0]
	v_cvt_f16_f32_e32 v4, v4
	v_cvt_f16_f32_e32 v2, v2
	;; [unrolled: 1-line block ×4, first 2 shown]
	s_and_b64 s[4:5], vcc, s[30:31]
	v_pack_b32_f16 v2, v2, v3
	v_pack_b32_f16 v3, v4, v5
	ds_write_b64 v18, v[2:3]
	s_waitcnt lgkmcnt(0)
	s_barrier
	s_and_saveexec_b64 s[8:9], s[4:5]
	s_cbranch_execz .LBB902_20
; %bb.18:
	s_load_dwordx2 s[4:5], s[0:1], 0x68
	s_lshl_b32 s0, s6, 6
	s_mul_i32 s1, s7, s2
	s_mul_hi_u32 s7, s1, s0
	s_mul_i32 s6, s1, s0
	v_lshlrev_b32_e32 v0, 10, v0
	s_lshl_b64 s[6:7], s[6:7], 1
	v_and_b32_e32 v0, 0x1800, v0
	v_lshlrev_b32_e32 v2, 5, v42
	v_and_b32_e32 v1, 16, v1
	s_waitcnt lgkmcnt(0)
	s_add_u32 s1, s4, s6
	v_or3_b32 v2, v0, v2, v1
	s_addc_u32 s4, s5, s7
	s_lshl_b32 s2, s28, 6
	ds_read_b128 v[4:7], v2 offset:256
	s_lshl_b64 s[2:3], s[2:3], 1
	ds_read_b128 v[8:11], v2 offset:128
	ds_read_b128 v[12:15], v2
	s_add_u32 s2, s1, s2
	s_addc_u32 s3, s4, s3
	v_add_u32_e32 v3, s48, v42
	v_lshl_add_u64 v[0:1], s[2:3], 0, v[26:27]
	v_mad_u64_u32 v[16:17], s[2:3], v3, s0, 0
	v_lshl_add_u64 v[16:17], v[16:17], 1, v[0:1]
	s_waitcnt lgkmcnt(0)
	global_store_dwordx4 v[16:17], v[12:15], off
	v_cmp_ne_u32_e32 vcc, 3, v42
	s_nop 0
	v_add_u32_e32 v12, 4, v3
	v_mad_u64_u32 v[12:13], s[2:3], v12, s0, 0
	v_lshl_add_u64 v[12:13], v[12:13], 1, v[0:1]
	v_add_u32_e32 v3, 8, v3
	global_store_dwordx4 v[12:13], v[8:11], off
	s_nop 1
	v_mad_u64_u32 v[8:9], s[2:3], v3, s0, 0
	v_lshl_add_u64 v[8:9], v[8:9], 1, v[0:1]
	global_store_dwordx4 v[8:9], v[4:7], off
	s_and_b64 exec, exec, vcc
	s_cbranch_execz .LBB902_20
; %bb.19:
	ds_read_b128 v[2:5], v2 offset:384
	v_add3_u32 v6, s48, v42, 12
	v_mad_u64_u32 v[6:7], s[0:1], v6, s0, 0
	v_lshl_add_u64 v[0:1], v[6:7], 1, v[0:1]
	s_waitcnt lgkmcnt(0)
	global_store_dwordx4 v[0:1], v[2:5], off
.LBB902_20:
	s_endpgm
	.section	.rodata,"a",@progbits
	.p2align	6, 0x0
	.amdhsa_kernel _Z39paged_attention_ll4mi_QKV_mfma16_kernelIDF16_hLN4vllm18Fp8KVCacheDataTypeE1EDF16_Li32ELi64ELi256ELb1ELi15EEvPKT_PKT0_S7_ifPKiS9_S9_iPKfiiiPfSC_PS2_PT2_iSB_SB_
		.amdhsa_group_segment_fixed_size 8192
		.amdhsa_private_segment_fixed_size 0
		.amdhsa_kernarg_size 400
		.amdhsa_user_sgpr_count 2
		.amdhsa_user_sgpr_dispatch_ptr 0
		.amdhsa_user_sgpr_queue_ptr 0
		.amdhsa_user_sgpr_kernarg_segment_ptr 1
		.amdhsa_user_sgpr_dispatch_id 0
		.amdhsa_user_sgpr_kernarg_preload_length 0
		.amdhsa_user_sgpr_kernarg_preload_offset 0
		.amdhsa_user_sgpr_private_segment_size 0
		.amdhsa_uses_dynamic_stack 0
		.amdhsa_enable_private_segment 0
		.amdhsa_system_sgpr_workgroup_id_x 1
		.amdhsa_system_sgpr_workgroup_id_y 1
		.amdhsa_system_sgpr_workgroup_id_z 1
		.amdhsa_system_sgpr_workgroup_info 0
		.amdhsa_system_vgpr_workitem_id 0
		.amdhsa_next_free_vgpr 71
		.amdhsa_next_free_sgpr 50
		.amdhsa_accum_offset 72
		.amdhsa_reserve_vcc 1
		.amdhsa_float_round_mode_32 0
		.amdhsa_float_round_mode_16_64 0
		.amdhsa_float_denorm_mode_32 3
		.amdhsa_float_denorm_mode_16_64 3
		.amdhsa_dx10_clamp 1
		.amdhsa_ieee_mode 1
		.amdhsa_fp16_overflow 0
		.amdhsa_tg_split 0
		.amdhsa_exception_fp_ieee_invalid_op 0
		.amdhsa_exception_fp_denorm_src 0
		.amdhsa_exception_fp_ieee_div_zero 0
		.amdhsa_exception_fp_ieee_overflow 0
		.amdhsa_exception_fp_ieee_underflow 0
		.amdhsa_exception_fp_ieee_inexact 0
		.amdhsa_exception_int_div_zero 0
	.end_amdhsa_kernel
	.section	.text._Z39paged_attention_ll4mi_QKV_mfma16_kernelIDF16_hLN4vllm18Fp8KVCacheDataTypeE1EDF16_Li32ELi64ELi256ELb1ELi15EEvPKT_PKT0_S7_ifPKiS9_S9_iPKfiiiPfSC_PS2_PT2_iSB_SB_,"axG",@progbits,_Z39paged_attention_ll4mi_QKV_mfma16_kernelIDF16_hLN4vllm18Fp8KVCacheDataTypeE1EDF16_Li32ELi64ELi256ELb1ELi15EEvPKT_PKT0_S7_ifPKiS9_S9_iPKfiiiPfSC_PS2_PT2_iSB_SB_,comdat
.Lfunc_end902:
	.size	_Z39paged_attention_ll4mi_QKV_mfma16_kernelIDF16_hLN4vllm18Fp8KVCacheDataTypeE1EDF16_Li32ELi64ELi256ELb1ELi15EEvPKT_PKT0_S7_ifPKiS9_S9_iPKfiiiPfSC_PS2_PT2_iSB_SB_, .Lfunc_end902-_Z39paged_attention_ll4mi_QKV_mfma16_kernelIDF16_hLN4vllm18Fp8KVCacheDataTypeE1EDF16_Li32ELi64ELi256ELb1ELi15EEvPKT_PKT0_S7_ifPKiS9_S9_iPKfiiiPfSC_PS2_PT2_iSB_SB_
                                        ; -- End function
	.section	.AMDGPU.csdata,"",@progbits
; Kernel info:
; codeLenInByte = 5008
; NumSgprs: 56
; NumVgprs: 71
; NumAgprs: 0
; TotalNumVgprs: 71
; ScratchSize: 0
; MemoryBound: 0
; FloatMode: 240
; IeeeMode: 1
; LDSByteSize: 8192 bytes/workgroup (compile time only)
; SGPRBlocks: 6
; VGPRBlocks: 8
; NumSGPRsForWavesPerEU: 56
; NumVGPRsForWavesPerEU: 71
; AccumOffset: 72
; Occupancy: 7
; WaveLimiterHint : 1
; COMPUTE_PGM_RSRC2:SCRATCH_EN: 0
; COMPUTE_PGM_RSRC2:USER_SGPR: 2
; COMPUTE_PGM_RSRC2:TRAP_HANDLER: 0
; COMPUTE_PGM_RSRC2:TGID_X_EN: 1
; COMPUTE_PGM_RSRC2:TGID_Y_EN: 1
; COMPUTE_PGM_RSRC2:TGID_Z_EN: 1
; COMPUTE_PGM_RSRC2:TIDIG_COMP_CNT: 0
; COMPUTE_PGM_RSRC3_GFX90A:ACCUM_OFFSET: 17
; COMPUTE_PGM_RSRC3_GFX90A:TG_SPLIT: 0
	.section	.text._Z39paged_attention_ll4mi_QKV_mfma16_kernelIDF16_hLN4vllm18Fp8KVCacheDataTypeE1EDF16_Li32ELi64ELi256ELb1ELi16EEvPKT_PKT0_S7_ifPKiS9_S9_iPKfiiiPfSC_PS2_PT2_iSB_SB_,"axG",@progbits,_Z39paged_attention_ll4mi_QKV_mfma16_kernelIDF16_hLN4vllm18Fp8KVCacheDataTypeE1EDF16_Li32ELi64ELi256ELb1ELi16EEvPKT_PKT0_S7_ifPKiS9_S9_iPKfiiiPfSC_PS2_PT2_iSB_SB_,comdat
	.protected	_Z39paged_attention_ll4mi_QKV_mfma16_kernelIDF16_hLN4vllm18Fp8KVCacheDataTypeE1EDF16_Li32ELi64ELi256ELb1ELi16EEvPKT_PKT0_S7_ifPKiS9_S9_iPKfiiiPfSC_PS2_PT2_iSB_SB_ ; -- Begin function _Z39paged_attention_ll4mi_QKV_mfma16_kernelIDF16_hLN4vllm18Fp8KVCacheDataTypeE1EDF16_Li32ELi64ELi256ELb1ELi16EEvPKT_PKT0_S7_ifPKiS9_S9_iPKfiiiPfSC_PS2_PT2_iSB_SB_
	.globl	_Z39paged_attention_ll4mi_QKV_mfma16_kernelIDF16_hLN4vllm18Fp8KVCacheDataTypeE1EDF16_Li32ELi64ELi256ELb1ELi16EEvPKT_PKT0_S7_ifPKiS9_S9_iPKfiiiPfSC_PS2_PT2_iSB_SB_
	.p2align	8
	.type	_Z39paged_attention_ll4mi_QKV_mfma16_kernelIDF16_hLN4vllm18Fp8KVCacheDataTypeE1EDF16_Li32ELi64ELi256ELb1ELi16EEvPKT_PKT0_S7_ifPKiS9_S9_iPKfiiiPfSC_PS2_PT2_iSB_SB_,@function
_Z39paged_attention_ll4mi_QKV_mfma16_kernelIDF16_hLN4vllm18Fp8KVCacheDataTypeE1EDF16_Li32ELi64ELi256ELb1ELi16EEvPKT_PKT0_S7_ifPKiS9_S9_iPKfiiiPfSC_PS2_PT2_iSB_SB_: ; @_Z39paged_attention_ll4mi_QKV_mfma16_kernelIDF16_hLN4vllm18Fp8KVCacheDataTypeE1EDF16_Li32ELi64ELi256ELb1ELi16EEvPKT_PKT0_S7_ifPKiS9_S9_iPKfiiiPfSC_PS2_PT2_iSB_SB_
; %bb.0:
	s_load_dwordx2 s[14:15], s[0:1], 0x30
	s_mov_b32 s24, s3
	s_mov_b64 s[6:7], 0
	s_waitcnt lgkmcnt(0)
	s_cmp_lg_u64 s[14:15], 0
	s_cselect_b64 s[16:17], -1, 0
	s_and_b64 vcc, exec, s[16:17]
	s_cbranch_vccz .LBB903_7
; %bb.1:
	s_add_i32 s8, s2, 1
	s_mov_b32 s9, 0
	s_lshl_b64 s[10:11], s[8:9], 2
	s_add_u32 s10, s14, s10
	s_mov_b32 s3, s9
	s_addc_u32 s11, s15, s11
	s_lshl_b64 s[8:9], s[2:3], 2
	s_add_u32 s8, s14, s8
	s_addc_u32 s9, s15, s9
	s_load_dword s5, s[10:11], 0x0
	s_load_dword s12, s[8:9], 0x0
	s_waitcnt lgkmcnt(0)
	s_sub_i32 s5, s5, s12
	s_cmp_eq_u32 s5, 1
	s_cselect_b64 s[8:9], -1, 0
	s_andn2_b64 vcc, exec, s[6:7]
	s_cbranch_vccnz .LBB903_3
.LBB903_2:
	s_mov_b32 s3, 0
	s_mov_b64 s[8:9], -1
.LBB903_3:
	s_andn2_b64 vcc, exec, s[8:9]
	s_cbranch_vccnz .LBB903_17
; %bb.4:
	s_load_dwordx2 s[6:7], s[0:1], 0x28
	s_lshl_b64 s[18:19], s[2:3], 2
	s_waitcnt lgkmcnt(0)
	s_add_u32 s6, s6, s18
	s_addc_u32 s7, s7, s19
	s_load_dword s48, s[6:7], 0x0
	s_lshl_b32 s5, s24, 8
	s_waitcnt lgkmcnt(0)
	s_cmp_ge_i32 s5, s48
	s_cbranch_scc1 .LBB903_17
; %bb.5:
	s_load_dwordx2 s[6:7], s[0:1], 0x20
	s_load_dword s8, s[0:1], 0x38
	s_add_i32 s9, s48, 31
	s_ashr_i32 s10, s9, 31
	v_and_b32_e32 v1, 0xcf, v0
	s_lshr_b32 s10, s10, 27
	v_add_u32_e32 v1, s5, v1
	s_add_i32 s9, s9, s10
	v_ashrrev_i32_e32 v2, 31, v1
	s_ashr_i32 s20, s9, 5
	v_lshrrev_b32_e32 v10, 27, v2
	s_add_i32 s20, s20, -1
	s_waitcnt lgkmcnt(0)
	s_mul_i32 s8, s2, s8
	s_mov_b32 s9, 0
	v_add_u32_e32 v2, v1, v10
	s_lshl_b64 s[8:9], s[8:9], 2
	v_ashrrev_i32_e32 v2, 5, v2
	v_mov_b32_e32 v11, s20
	v_cmp_gt_i32_e32 vcc, s48, v1
	s_add_u32 s6, s6, s8
	s_addc_u32 s7, s7, s9
	v_cndmask_b32_e32 v2, v11, v2, vcc
	v_ashrrev_i32_e32 v3, 31, v2
	v_lshl_add_u64 v[4:5], v[2:3], 2, s[6:7]
	v_or_b32_e32 v2, 16, v1
	v_add_u32_e32 v3, v2, v10
	v_ashrrev_i32_e32 v3, 5, v3
	v_cmp_gt_i32_e32 vcc, s48, v2
	s_nop 1
	v_cndmask_b32_e32 v2, v11, v3, vcc
	v_ashrrev_i32_e32 v3, 31, v2
	v_lshl_add_u64 v[6:7], v[2:3], 2, s[6:7]
	v_or_b32_e32 v2, 32, v1
	v_add_u32_e32 v3, v2, v10
	v_ashrrev_i32_e32 v3, 5, v3
	v_cmp_gt_i32_e32 vcc, s48, v2
	v_or_b32_e32 v1, 48, v1
	s_nop 0
	v_cndmask_b32_e32 v2, v11, v3, vcc
	v_ashrrev_i32_e32 v3, 31, v2
	v_lshl_add_u64 v[8:9], v[2:3], 2, s[6:7]
	v_add_u32_e32 v2, v1, v10
	v_ashrrev_i32_e32 v2, 5, v2
	v_cmp_gt_i32_e32 vcc, s48, v1
	s_nop 1
	v_cndmask_b32_e32 v2, v11, v2, vcc
	v_ashrrev_i32_e32 v3, 31, v2
	v_lshl_add_u64 v[12:13], v[2:3], 2, s[6:7]
	global_load_dword v3, v[4:5], off
	global_load_dword v2, v[6:7], off
	;; [unrolled: 1-line block ×4, first 2 shown]
	s_load_dwordx2 s[12:13], s[0:1], 0x40
	s_load_dwordx4 s[8:11], s[0:1], 0x8
	s_andn2_b64 vcc, exec, s[16:17]
	s_cbranch_vccnz .LBB903_8
; %bb.6:
	s_add_u32 s14, s14, s18
	s_addc_u32 s15, s15, s19
	s_load_dword s16, s[14:15], 0x0
	s_branch .LBB903_9
.LBB903_7:
	s_mov_b64 s[8:9], 0
	s_branch .LBB903_2
.LBB903_8:
	s_mov_b32 s16, s2
.LBB903_9:
	s_load_dwordx4 s[44:47], s[0:1], 0x48
	v_and_b32_e32 v45, 15, v0
	s_movk_i32 s14, 0x100
	v_lshlrev_b32_e32 v4, 3, v45
	v_cmp_gt_u32_e32 vcc, s14, v0
	v_cmp_gt_u32_e64 s[26:27], 8, v45
	v_lshrrev_b32_e32 v43, 6, v0
	v_and_b32_e32 v44, 63, v0
	v_bfe_u32 v1, v0, 4, 2
	s_lshl_b32 s25, s4, 4
	s_and_b64 s[18:19], vcc, s[26:27]
	v_lshlrev_b32_e32 v26, 1, v4
	v_lshlrev_b32_e32 v42, 4, v0
	s_and_saveexec_b64 s[14:15], s[18:19]
	s_cbranch_execz .LBB903_11
; %bb.10:
	s_load_dwordx2 s[18:19], s[0:1], 0x0
	s_waitcnt lgkmcnt(0)
	s_ashr_i32 s17, s44, 31
	s_mul_hi_u32 s21, s16, s44
	s_mul_i32 s17, s16, s17
	s_add_i32 s17, s21, s17
	s_mul_i32 s16, s16, s44
	v_lshl_or_b32 v8, v43, 2, v1
	s_lshl_b64 s[16:17], s[16:17], 1
	s_add_u32 s16, s18, s16
	v_add_lshl_u32 v4, v8, s25, 6
	s_addc_u32 s17, s19, s17
	v_ashrrev_i32_e32 v5, 31, v4
	v_lshl_add_u64 v[4:5], v[4:5], 1, s[16:17]
	v_mov_b32_e32 v27, 0
	v_lshl_add_u64 v[4:5], v[4:5], 0, v[26:27]
	global_load_dwordx4 v[4:7], v[4:5], off
	v_lshlrev_b32_e32 v11, 8, v45
	v_lshlrev_b32_e32 v8, 5, v8
	v_and_b32_e32 v9, 16, v42
	v_and_b32_e32 v11, 0xe00, v11
	v_or3_b32 v8, v11, v8, v9
	s_waitcnt vmcnt(0)
	ds_write_b128 v8, v[4:7]
.LBB903_11:
	s_or_b64 exec, exec, s[14:15]
	s_waitcnt lgkmcnt(0)
	s_mul_i32 s4, s4, s46
	s_add_u32 s8, s8, s4
	s_addc_u32 s9, s9, 0
	v_mov_b32_e32 v31, 0
	v_mov_b64_e32 v[14:15], s[8:9]
	v_and_b32_e32 v6, 48, v0
	s_waitcnt vmcnt(3)
	v_mad_i64_i32 v[4:5], s[8:9], v3, s45, v[14:15]
	v_lshlrev_b32_e32 v12, 4, v45
	v_mov_b32_e32 v13, v31
	v_lshlrev_b32_e32 v30, 5, v6
	v_lshl_add_u64 v[4:5], v[4:5], 0, v[12:13]
	v_lshl_add_u64 v[4:5], v[4:5], 0, v[30:31]
	s_load_dword s33, s[0:1], 0x98
	s_load_dwordx4 s[40:43], s[0:1], 0x80
	s_waitcnt lgkmcnt(0)
	s_barrier
	global_load_dwordx4 v[18:21], v[4:5], off
	s_waitcnt vmcnt(3)
	v_mad_i64_i32 v[2:3], s[8:9], v2, s45, v[14:15]
	v_or_b32_e32 v32, 0x100, v12
	v_mov_b32_e32 v33, v31
	v_lshl_add_u64 v[2:3], v[2:3], 0, v[32:33]
	v_lshl_add_u64 v[2:3], v[2:3], 0, v[30:31]
	global_load_dwordx4 v[22:25], v[2:3], off
	s_ashr_i32 s8, s5, 31
	v_or_b32_e32 v17, s5, v6
	s_lshr_b32 s14, s8, 27
	v_add_u32_e32 v4, s14, v17
	v_ashrrev_i32_e32 v4, 5, v4
	v_mov_b32_e32 v36, s20
	v_cmp_gt_i32_e32 vcc, s48, v17
	s_waitcnt vmcnt(3)
	v_mad_i64_i32 v[10:11], s[8:9], v10, s45, v[14:15]
	v_cndmask_b32_e32 v4, v36, v4, vcc
	v_ashrrev_i32_e32 v5, 31, v4
	v_lshlrev_b32_e32 v46, 5, v45
	v_lshl_add_u64 v[10:11], v[10:11], 0, v[12:13]
	v_lshl_add_u64 v[4:5], v[4:5], 2, s[6:7]
	v_lshl_or_b32 v27, v1, 9, v46
	v_lshl_add_u64 v[10:11], v[10:11], 0, v[30:31]
	global_load_dword v52, v[4:5], off
	ds_read_b128 v[6:9], v27
	ds_read_b128 v[2:5], v27 offset:16
	global_load_dwordx4 v[10:13], v[10:11], off
	v_or_b32_e32 v28, s25, v45
	v_ashrrev_i32_e32 v29, 31, v28
	v_lshl_add_u64 v[34:35], v[28:29], 2, s[12:13]
	v_or_b32_e32 v29, 64, v17
	v_or_b32_e32 v37, 0x80, v17
	s_waitcnt vmcnt(4)
	v_mad_i64_i32 v[14:15], s[8:9], v16, s45, v[14:15]
	v_add_u32_e32 v16, s14, v29
	global_load_dword v49, v[34:35], off
	v_add_u32_e32 v34, s14, v37
	v_lshl_add_u64 v[14:15], v[14:15], 0, v[32:33]
	v_ashrrev_i32_e32 v16, 5, v16
	v_cmp_gt_i32_e32 vcc, s48, v29
	v_or_b32_e32 v17, 0xc0, v17
	v_ashrrev_i32_e32 v33, 5, v34
	v_lshl_add_u64 v[14:15], v[14:15], 0, v[30:31]
	v_cndmask_b32_e32 v32, v36, v16, vcc
	v_cmp_gt_i32_e32 vcc, s48, v37
	v_add_u32_e32 v35, s14, v17
	v_ashrrev_i32_e32 v35, 5, v35
	v_cndmask_b32_e32 v34, v36, v33, vcc
	v_cmp_gt_i32_e32 vcc, s48, v17
	global_load_dwordx4 v[14:17], v[14:15], off
	v_ashrrev_i32_e32 v33, 31, v32
	v_cndmask_b32_e32 v36, v36, v35, vcc
	v_ashrrev_i32_e32 v35, 31, v34
	v_ashrrev_i32_e32 v37, 31, v36
	v_lshl_add_u64 v[32:33], v[32:33], 2, s[6:7]
	v_lshl_add_u64 v[34:35], v[34:35], 2, s[6:7]
	;; [unrolled: 1-line block ×3, first 2 shown]
	global_load_dword v48, v[32:33], off
	global_load_dword v29, v[34:35], off
	;; [unrolled: 1-line block ×3, first 2 shown]
	s_add_u32 s8, s10, s4
	s_addc_u32 s9, s11, 0
	v_and_b32_e32 v30, 16, v0
	v_lshl_add_u64 v[38:39], s[8:9], 0, v[30:31]
	v_lshl_or_b32 v30, v43, 9, v46
	v_lshl_add_u64 v[30:31], v[38:39], 0, v[30:31]
	s_load_dword s15, s[0:1], 0x1c
	s_load_dword s4, s[40:41], 0x0
	s_mov_b32 s44, 0xff7fffff
	s_waitcnt vmcnt(8)
	v_cvt_pk_f32_fp8_e32 v[32:33], v18
	v_cvt_pk_f32_fp8_sdwa v[34:35], v18 src0_sel:WORD_1
	v_cvt_pk_f32_fp8_e32 v[36:37], v19
	v_cvt_pk_f32_fp8_sdwa v[18:19], v19 src0_sel:WORD_1
	v_cvt_pkrtz_f16_f32 v32, v32, v33
	v_cvt_pkrtz_f16_f32 v33, v34, v35
	v_cvt_pk_f32_fp8_e32 v[38:39], v20
	v_cvt_pk_f32_fp8_sdwa v[40:41], v20 src0_sel:WORD_1
	v_cvt_pkrtz_f16_f32 v36, v36, v37
	v_cvt_pkrtz_f16_f32 v37, v18, v19
	s_waitcnt lgkmcnt(0)
	v_mfma_f32_16x16x16_f16 v[32:35], v[32:33], v[6:7], 0
	v_cvt_pk_f32_fp8_e32 v[50:51], v21
	v_cvt_pkrtz_f16_f32 v38, v38, v39
	v_cvt_pkrtz_f16_f32 v39, v40, v41
	v_cvt_pk_f32_fp8_sdwa v[20:21], v21 src0_sel:WORD_1
	v_mfma_f32_16x16x16_f16 v[32:35], v[36:37], v[8:9], v[32:35]
	v_cvt_pkrtz_f16_f32 v36, v50, v51
	s_waitcnt vmcnt(7)
	v_cvt_pk_f32_fp8_sdwa v[40:41], v24 src0_sel:WORD_1
	v_cvt_pkrtz_f16_f32 v37, v20, v21
	v_mfma_f32_16x16x16_f16 v[32:35], v[38:39], v[2:3], v[32:35]
	v_cvt_pk_f32_fp8_e32 v[20:21], v22
	v_cvt_pk_f32_fp8_sdwa v[38:39], v22 src0_sel:WORD_1
	v_mov_b32_e32 v50, s15
	v_mfma_f32_16x16x16_f16 v[34:37], v[36:37], v[4:5], v[32:35]
	v_cvt_pkrtz_f16_f32 v20, v20, v21
	v_cvt_pkrtz_f16_f32 v21, v38, v39
	v_cvt_pk_f32_fp8_e32 v[38:39], v24
	v_cvt_pk_f32_fp8_e32 v[32:33], v23
	v_cvt_pk_f32_fp8_sdwa v[22:23], v23 src0_sel:WORD_1
	s_waitcnt vmcnt(6)
	v_mad_i64_i32 v[18:19], s[6:7], v52, s45, v[30:31]
	v_cvt_pkrtz_f16_f32 v32, v32, v33
	v_cvt_pkrtz_f16_f32 v33, v22, v23
	v_mfma_f32_16x16x16_f16 v[20:23], v[20:21], v[6:7], 0
	v_cvt_pkrtz_f16_f32 v38, v38, v39
	v_cvt_pkrtz_f16_f32 v39, v40, v41
	v_cvt_pk_f32_fp8_e32 v[40:41], v25
	v_cvt_pk_f32_fp8_sdwa v[24:25], v25 src0_sel:WORD_1
	v_mfma_f32_16x16x16_f16 v[20:23], v[32:33], v[8:9], v[20:23]
	s_waitcnt vmcnt(5)
	v_cvt_pk_f32_fp8_e32 v[52:53], v12
	v_cvt_pkrtz_f16_f32 v32, v40, v41
	v_cvt_pkrtz_f16_f32 v33, v24, v25
	v_mfma_f32_16x16x16_f16 v[20:23], v[38:39], v[2:3], v[20:23]
	v_cvt_pk_f32_fp8_e32 v[24:25], v10
	v_cvt_pk_f32_fp8_sdwa v[38:39], v10 src0_sel:WORD_1
	v_cvt_pk_f32_fp8_sdwa v[54:55], v12 src0_sel:WORD_1
	v_mfma_f32_16x16x16_f16 v[20:23], v[32:33], v[4:5], v[20:23]
	v_cvt_pk_f32_fp8_e32 v[32:33], v11
	v_cvt_pkrtz_f16_f32 v24, v24, v25
	v_cvt_pkrtz_f16_f32 v25, v38, v39
	v_cvt_pk_f32_fp8_sdwa v[10:11], v11 src0_sel:WORD_1
	v_cvt_pkrtz_f16_f32 v32, v32, v33
	v_mfma_f32_16x16x16_f16 v[38:41], v[24:25], v[6:7], 0
	v_cvt_pkrtz_f16_f32 v33, v10, v11
	v_cvt_pkrtz_f16_f32 v24, v52, v53
	;; [unrolled: 1-line block ×3, first 2 shown]
	v_cvt_pk_f32_fp8_e32 v[52:53], v13
	v_cvt_pk_f32_fp8_sdwa v[54:55], v13 src0_sel:WORD_1
	v_mfma_f32_16x16x16_f16 v[10:13], v[32:33], v[8:9], v[38:41]
	v_mul_f32_e32 v50, s4, v50
	v_pk_mul_f32 v[32:33], v[50:51], v[36:37] op_sel_hi:[0,1]
	v_cvt_pkrtz_f16_f32 v36, v52, v53
	v_cvt_pkrtz_f16_f32 v37, v54, v55
	v_mfma_f32_16x16x16_f16 v[10:13], v[24:25], v[2:3], v[10:13]
	v_pk_mul_f32 v[38:39], v[50:51], v[34:35] op_sel_hi:[0,1]
	s_waitcnt vmcnt(3)
	v_cvt_pk_f32_fp8_e32 v[24:25], v14
	v_cvt_pk_f32_fp8_sdwa v[34:35], v14 src0_sel:WORD_1
	v_mfma_f32_16x16x16_f16 v[10:13], v[36:37], v[4:5], v[10:13]
	v_cvt_pk_f32_fp8_e32 v[36:37], v15
	v_cvt_pkrtz_f16_f32 v24, v24, v25
	v_cvt_pkrtz_f16_f32 v25, v34, v35
	v_cvt_pk_f32_fp8_sdwa v[14:15], v15 src0_sel:WORD_1
	v_cvt_pkrtz_f16_f32 v40, v36, v37
	v_cvt_pk_f32_fp8_e32 v[52:53], v16
	v_cvt_pk_f32_fp8_sdwa v[54:55], v16 src0_sel:WORD_1
	v_cvt_pkrtz_f16_f32 v41, v14, v15
	v_mfma_f32_16x16x16_f16 v[34:37], v[24:25], v[6:7], 0
	v_cvt_pkrtz_f16_f32 v14, v52, v53
	v_cvt_pkrtz_f16_f32 v15, v54, v55
	v_cvt_pk_f32_fp8_e32 v[24:25], v17
	v_cvt_pk_f32_fp8_sdwa v[16:17], v17 src0_sel:WORD_1
	v_mfma_f32_16x16x16_f16 v[6:9], v[40:41], v[8:9], v[34:37]
	v_pk_mul_f32 v[40:41], v[50:51], v[20:21] op_sel_hi:[0,1]
	s_nop 1
	v_pk_mul_f32 v[36:37], v[50:51], v[22:23] op_sel_hi:[0,1]
	v_cvt_pkrtz_f16_f32 v22, v24, v25
	v_cvt_pkrtz_f16_f32 v23, v16, v17
	v_mfma_f32_16x16x16_f16 v[6:9], v[14:15], v[2:3], v[6:9]
	v_pk_mul_f32 v[24:25], v[50:51], v[12:13] op_sel_hi:[0,1]
	v_pk_mul_f32 v[34:35], v[50:51], v[10:11] op_sel_hi:[0,1]
	v_mfma_f32_16x16x16_f16 v[2:5], v[22:23], v[4:5], v[6:9]
	s_nop 6
	v_pk_mul_f32 v[22:23], v[50:51], v[2:3] op_sel_hi:[0,1]
	v_and_b32_e32 v2, 0xc0, v0
	v_add_u32_e32 v2, s5, v2
	v_lshl_or_b32 v2, v1, 2, v2
	v_or_b32_e32 v3, 1, v2
	v_pk_mul_f32 v[20:21], v[50:51], v[4:5] op_sel_hi:[0,1]
	v_subrev_u32_e32 v4, s48, v3
	v_add_u32_e32 v6, 1, v4
	v_add_u32_e32 v7, 2, v4
	v_cvt_f32_i32_e32 v5, v4
	v_cvt_f32_i32_e32 v6, v6
	v_cvt_f32_i32_e32 v7, v7
	v_add_u32_e32 v8, 3, v4
	v_fma_f32 v9, v49, v5, v38
	v_fmac_f32_e32 v39, v49, v6
	v_fma_f32 v32, v49, v7, v32
	v_add_u32_e32 v5, 16, v4
	v_add_u32_e32 v6, 17, v4
	;; [unrolled: 1-line block ×3, first 2 shown]
	v_cvt_f32_i32_e32 v8, v8
	v_cvt_f32_i32_e32 v5, v5
	;; [unrolled: 1-line block ×4, first 2 shown]
	v_fmac_f32_e32 v33, v49, v8
	v_add_u32_e32 v8, 19, v4
	v_fma_f32 v40, v49, v5, v40
	v_fmac_f32_e32 v41, v49, v6
	v_fma_f32 v36, v49, v7, v36
	v_add_u32_e32 v5, 32, v4
	v_add_u32_e32 v6, 33, v4
	;; [unrolled: 1-line block ×3, first 2 shown]
	v_cvt_f32_i32_e32 v8, v8
	v_cvt_f32_i32_e32 v5, v5
	v_cvt_f32_i32_e32 v6, v6
	v_cvt_f32_i32_e32 v7, v7
	v_fmac_f32_e32 v37, v49, v8
	v_add_u32_e32 v8, 35, v4
	v_fma_f32 v34, v49, v5, v34
	v_fmac_f32_e32 v35, v49, v6
	v_fma_f32 v24, v49, v7, v24
	v_add_u32_e32 v5, 48, v4
	v_add_u32_e32 v6, 49, v4
	;; [unrolled: 1-line block ×4, first 2 shown]
	v_cvt_f32_i32_e32 v4, v4
	v_cvt_f32_i32_e32 v5, v5
	;; [unrolled: 1-line block ×3, first 2 shown]
	v_cmp_gt_i32_e64 s[4:5], s48, v2
	v_fmac_f32_e32 v21, v49, v4
	v_mov_b32_e32 v4, 0xff7fffff
	v_cmp_gt_i32_e64 s[28:29], s48, v3
	v_fma_f32 v22, v49, v5, v22
	v_cndmask_b32_e64 v5, v4, v9, s[4:5]
	v_cndmask_b32_e64 v3, v4, v39, s[28:29]
	v_fmac_f32_e32 v23, v49, v6
	v_max3_f32 v3, v5, s44, v3
	v_or_b32_e32 v5, 2, v2
	v_or_b32_e32 v6, 3, v2
	v_cmp_gt_i32_e64 s[30:31], s48, v5
	v_cmp_gt_i32_e64 s[34:35], s48, v6
	v_cvt_f32_i32_e32 v8, v8
	v_cndmask_b32_e64 v5, v4, v32, s[30:31]
	v_cndmask_b32_e64 v6, v4, v33, s[34:35]
	v_max3_f32 v3, v3, v5, v6
	v_or_b32_e32 v5, 16, v2
	v_or_b32_e32 v6, 17, v2
	v_cmp_gt_i32_e64 s[36:37], s48, v5
	v_cmp_gt_i32_e64 s[38:39], s48, v6
	v_fmac_f32_e32 v25, v49, v8
	v_cndmask_b32_e64 v5, v4, v40, s[36:37]
	v_cndmask_b32_e64 v6, v4, v41, s[38:39]
	v_max3_f32 v3, v3, v5, v6
	v_or_b32_e32 v5, 18, v2
	v_or_b32_e32 v6, 19, v2
	v_cmp_gt_i32_e64 s[20:21], s48, v5
	v_cmp_gt_i32_e64 s[22:23], s48, v6
	v_cvt_f32_i32_e32 v7, v7
	v_cndmask_b32_e64 v5, v4, v36, s[20:21]
	v_cndmask_b32_e64 v6, v4, v37, s[22:23]
	v_max3_f32 v3, v3, v5, v6
	v_or_b32_e32 v5, 32, v2
	v_or_b32_e32 v6, 33, v2
	v_cmp_gt_i32_e64 s[16:17], s48, v5
	v_cmp_gt_i32_e64 s[18:19], s48, v6
	v_fma_f32 v20, v49, v7, v20
	v_cndmask_b32_e64 v5, v4, v34, s[16:17]
	v_cndmask_b32_e64 v6, v4, v35, s[18:19]
	v_max3_f32 v3, v3, v5, v6
	v_or_b32_e32 v5, 34, v2
	v_or_b32_e32 v6, 35, v2
	v_cmp_gt_i32_e64 s[12:13], s48, v5
	v_cmp_gt_i32_e64 s[14:15], s48, v6
	s_nop 0
	v_cndmask_b32_e64 v5, v4, v24, s[12:13]
	v_cndmask_b32_e64 v6, v4, v25, s[14:15]
	v_max3_f32 v3, v3, v5, v6
	v_or_b32_e32 v5, 48, v2
	v_or_b32_e32 v6, 49, v2
	v_cmp_gt_i32_e64 s[8:9], s48, v5
	v_cmp_gt_i32_e64 s[10:11], s48, v6
	s_nop 0
	v_cndmask_b32_e64 v5, v4, v22, s[8:9]
	v_cndmask_b32_e64 v6, v4, v23, s[10:11]
	v_max3_f32 v3, v3, v5, v6
	v_or_b32_e32 v5, 50, v2
	v_or_b32_e32 v2, 51, v2
	v_cmp_gt_i32_e32 vcc, s48, v5
	v_cmp_gt_i32_e64 s[6:7], s48, v2
	s_nop 0
	v_cndmask_b32_e32 v5, v4, v20, vcc
	v_cndmask_b32_e64 v2, v4, v21, s[6:7]
	v_max3_f32 v4, v3, v5, v2
	v_mbcnt_lo_u32_b32 v2, -1, 0
	v_mbcnt_hi_u32_b32 v5, -1, v2
	v_and_b32_e32 v2, 64, v5
	v_add_u32_e32 v6, 64, v2
	v_xor_b32_e32 v2, 32, v5
	v_cmp_lt_i32_e64 s[40:41], v2, v6
	s_nop 1
	v_cndmask_b32_e64 v2, v5, v2, s[40:41]
	v_lshlrev_b32_e32 v49, 2, v2
	ds_bpermute_b32 v7, v49, v4
	s_waitcnt vmcnt(2)
	v_mad_i64_i32 v[2:3], s[40:41], v48, s45, v[30:31]
	global_load_dwordx4 v[14:17], v[18:19], off
	global_load_dwordx4 v[10:13], v[2:3], off
	s_waitcnt lgkmcnt(0)
	v_max_f32_e32 v2, v7, v7
	v_max_f32_e32 v7, v4, v2
	v_xor_b32_e32 v2, 16, v5
	v_cmp_lt_i32_e64 s[40:41], v2, v6
	s_nop 1
	v_cndmask_b32_e64 v2, v5, v2, s[40:41]
	v_lshlrev_b32_e32 v48, 2, v2
	ds_bpermute_b32 v6, v48, v7
	s_waitcnt vmcnt(3)
	v_mad_i64_i32 v[2:3], s[40:41], v29, s45, v[30:31]
	s_waitcnt vmcnt(2)
	v_mad_i64_i32 v[4:5], s[40:41], v47, s45, v[30:31]
	s_waitcnt lgkmcnt(0)
	v_max_f32_e32 v6, v6, v6
	v_max_f32_e32 v29, v7, v6
	v_sub_f32_e32 v6, v9, v29
	v_mul_f32_e32 v6, 0x3fb8aa3b, v6
	v_exp_f32_e32 v18, v6
	v_sub_f32_e32 v6, v39, v29
	v_mul_f32_e32 v6, 0x3fb8aa3b, v6
	v_exp_f32_e32 v19, v6
	global_load_dwordx4 v[6:9], v[2:3], off
	s_nop 0
	global_load_dwordx4 v[2:5], v[4:5], off
	v_sub_f32_e32 v31, v32, v29
	v_sub_f32_e32 v32, v33, v29
	v_mul_f32_e32 v31, 0x3fb8aa3b, v31
	v_mul_f32_e32 v32, 0x3fb8aa3b, v32
	v_exp_f32_e32 v31, v31
	v_exp_f32_e32 v32, v32
	v_cndmask_b32_e64 v18, 0, v18, s[4:5]
	v_add_f32_e32 v30, 0, v18
	v_cndmask_b32_e64 v38, 0, v31, s[30:31]
	v_cndmask_b32_e64 v39, 0, v32, s[34:35]
	v_sub_f32_e32 v31, v40, v29
	v_sub_f32_e32 v32, v41, v29
	v_mul_f32_e32 v31, 0x3fb8aa3b, v31
	v_mul_f32_e32 v32, 0x3fb8aa3b, v32
	v_exp_f32_e32 v31, v31
	v_exp_f32_e32 v32, v32
	v_cndmask_b32_e64 v19, 0, v19, s[28:29]
	v_add_f32_e32 v30, v30, v19
	v_add_f32_e32 v30, v30, v38
	;; [unrolled: 1-line block ×3, first 2 shown]
	v_cndmask_b32_e64 v30, 0, v31, s[36:37]
	v_cndmask_b32_e64 v31, 0, v32, s[38:39]
	v_sub_f32_e32 v32, v36, v29
	v_mul_f32_e32 v32, 0x3fb8aa3b, v32
	v_exp_f32_e32 v32, v32
	v_sub_f32_e32 v36, v37, v29
	v_add_f32_e32 v33, v33, v30
	v_mul_f32_e32 v36, 0x3fb8aa3b, v36
	v_exp_f32_e32 v37, v36
	v_add_f32_e32 v33, v33, v31
	v_cndmask_b32_e64 v36, 0, v32, s[20:21]
	v_add_f32_e32 v32, v33, v36
	v_sub_f32_e32 v33, v34, v29
	v_mul_f32_e32 v33, 0x3fb8aa3b, v33
	v_sub_f32_e32 v34, v35, v29
	v_exp_f32_e32 v33, v33
	v_mul_f32_e32 v34, 0x3fb8aa3b, v34
	v_sub_f32_e32 v24, v24, v29
	v_exp_f32_e32 v34, v34
	;; [unrolled: 3-line block ×3, first 2 shown]
	v_mul_f32_e32 v25, 0x3fb8aa3b, v25
	v_sub_f32_e32 v22, v22, v29
	v_cndmask_b32_e64 v37, 0, v37, s[22:23]
	v_exp_f32_e32 v25, v25
	v_mul_f32_e32 v22, 0x3fb8aa3b, v22
	v_sub_f32_e32 v23, v23, v29
	v_add_f32_e32 v35, v32, v37
	v_cndmask_b32_e64 v32, 0, v33, s[16:17]
	v_exp_f32_e32 v22, v22
	v_mul_f32_e32 v23, 0x3fb8aa3b, v23
	v_sub_f32_e32 v20, v20, v29
	v_add_f32_e32 v35, v35, v32
	;; [unrolled: 5-line block ×3, first 2 shown]
	v_cndmask_b32_e64 v24, 0, v24, s[12:13]
	v_exp_f32_e32 v20, v20
	v_mul_f32_e32 v21, 0x3fb8aa3b, v21
	v_add_f32_e32 v34, v34, v24
	v_cndmask_b32_e64 v25, 0, v25, s[14:15]
	v_exp_f32_e32 v21, v21
	v_add_f32_e32 v34, v34, v25
	v_cndmask_b32_e64 v22, 0, v22, s[8:9]
	v_add_f32_e32 v34, v34, v22
	v_cndmask_b32_e64 v23, 0, v23, s[10:11]
	v_add_f32_e32 v34, v34, v23
	v_cndmask_b32_e32 v20, 0, v20, vcc
	v_add_f32_e32 v34, v34, v20
	v_cndmask_b32_e64 v21, 0, v21, s[6:7]
	v_add_f32_e32 v34, v34, v21
	ds_bpermute_b32 v35, v49, v34
	v_cmp_gt_u32_e32 vcc, 16, v44
	s_waitcnt lgkmcnt(0)
	s_barrier
	v_add_f32_e32 v34, v34, v35
	ds_bpermute_b32 v40, v48, v34
	v_lshlrev_b32_e32 v35, 2, v45
	s_and_saveexec_b64 s[4:5], vcc
	s_cbranch_execz .LBB903_13
; %bb.12:
	s_waitcnt lgkmcnt(0)
	v_add_f32_e32 v34, v34, v40
	v_lshl_or_b32 v40, v43, 6, v35
	ds_write2st64_b32 v40, v29, v34 offset1:1
.LBB903_13:
	s_or_b64 exec, exec, s[4:5]
	s_load_dword s6, s[0:1], 0x94
	s_waitcnt lgkmcnt(0)
	s_barrier
	ds_read2_b32 v[40:41], v35 offset1:16
	ds_read2_b32 v[44:45], v35 offset0:32 offset1:48
	ds_read2_b32 v[48:49], v35 offset0:64 offset1:80
	s_lshl_b32 s7, s33, 4
	s_waitcnt lgkmcnt(2)
	v_max3_f32 v29, v40, s44, v41
	s_waitcnt lgkmcnt(1)
	v_max3_f32 v34, v29, v44, v45
	v_sub_f32_e32 v29, v40, v34
	v_sub_f32_e32 v40, v41, v34
	v_mul_f32_e32 v40, 0x3fb8aa3b, v40
	v_mul_f32_e32 v29, 0x3fb8aa3b, v29
	v_exp_f32_e32 v47, v40
	v_sub_f32_e32 v40, v44, v34
	v_exp_f32_e32 v29, v29
	v_mul_f32_e32 v40, 0x3fb8aa3b, v40
	v_exp_f32_e32 v44, v40
	ds_read2_b32 v[40:41], v35 offset0:96 offset1:112
	v_sub_f32_e32 v35, v45, v34
	v_mul_f32_e32 v35, 0x3fb8aa3b, v35
	v_exp_f32_e32 v45, v35
	s_waitcnt lgkmcnt(1)
	v_fma_f32 v35, v29, v48, 0
	v_fmac_f32_e32 v35, v47, v49
	s_waitcnt lgkmcnt(0)
	v_fmac_f32_e32 v35, v44, v40
	v_fmac_f32_e32 v35, v45, v41
	v_add_f32_e32 v40, 0x358637bd, v35
	v_div_scale_f32 v41, s[4:5], v40, v40, 1.0
	v_rcp_f32_e32 v48, v41
	s_barrier
	v_fma_f32 v49, -v41, v48, 1.0
	v_fmac_f32_e32 v48, v49, v48
	v_div_scale_f32 v49, vcc, 1.0, v40, 1.0
	v_mul_f32_e32 v50, v49, v48
	v_fma_f32 v51, -v41, v50, v49
	v_fmac_f32_e32 v50, v51, v48
	v_fma_f32 v41, -v41, v50, v49
	v_div_fmas_f32 v41, v41, v48, v50
	v_cmp_eq_u32_e32 vcc, 1, v43
	v_div_fixup_f32 v40, v41, v40, 1.0
	s_nop 0
	v_cndmask_b32_e32 v29, v29, v47, vcc
	v_cmp_eq_u32_e32 vcc, 2, v43
	s_nop 1
	v_cndmask_b32_e32 v29, v29, v44, vcc
	v_cmp_eq_u32_e32 vcc, 3, v43
	s_nop 1
	v_cndmask_b32_e32 v29, v29, v45, vcc
	v_mul_f32_e32 v40, v29, v40
	v_pk_mul_f32 v[18:19], v[40:41], v[18:19] op_sel_hi:[0,1]
	v_cvt_f16_f32_e32 v18, v18
	v_cvt_f16_f32_e32 v19, v19
	v_pk_mul_f32 v[38:39], v[40:41], v[38:39] op_sel_hi:[0,1]
	v_cvt_f16_f32_e32 v29, v38
	v_cvt_f16_f32_e32 v39, v39
	v_pack_b32_f16 v38, v18, v19
	v_pk_mul_f32 v[18:19], v[40:41], v[36:37] op_sel_hi:[0,1]
	v_pk_mul_f32 v[30:31], v[40:41], v[30:31] op_sel_hi:[0,1]
	v_cvt_f16_f32_e32 v30, v30
	v_cvt_f16_f32_e32 v31, v31
	;; [unrolled: 1-line block ×4, first 2 shown]
	v_pack_b32_f16 v39, v29, v39
	v_lshlrev_b32_e32 v29, 3, v1
	v_lshlrev_b32_e32 v18, 11, v43
	v_or3_b32 v18, v18, v46, v29
	v_pack_b32_f16 v30, v30, v31
	v_pack_b32_f16 v31, v36, v19
	ds_write2st64_b64 v18, v[38:39], v[30:31] offset1:1
	v_pk_mul_f32 v[24:25], v[40:41], v[24:25] op_sel_hi:[0,1]
	v_pk_mul_f32 v[30:31], v[40:41], v[32:33] op_sel_hi:[0,1]
	;; [unrolled: 1-line block ×4, first 2 shown]
	v_cvt_f16_f32_e32 v19, v30
	v_cvt_f16_f32_e32 v29, v31
	;; [unrolled: 1-line block ×8, first 2 shown]
	v_pack_b32_f16 v20, v19, v29
	v_pack_b32_f16 v21, v24, v25
	;; [unrolled: 1-line block ×4, first 2 shown]
	v_cmp_gt_u32_e32 vcc, 16, v0
	ds_write2st64_b64 v18, v[20:21], v[22:23] offset0:2 offset1:3
	s_and_saveexec_b64 s[4:5], vcc
	s_cbranch_execz .LBB903_15
; %bb.14:
	v_mov_b32_e32 v29, 0
	v_mov_b32_e32 v19, s7
	s_mul_i32 s3, s3, s7
	v_mad_u64_u32 v[20:21], s[12:13], s2, v19, v[28:29]
	v_mov_b32_e32 v28, s24
	s_load_dwordx4 s[8:11], s[0:1], 0x58
	v_add_u32_e32 v19, s3, v21
	v_mad_u64_u32 v[20:21], s[12:13], v20, s6, v[28:29]
	v_mov_b32_e32 v22, v21
	v_mad_u64_u32 v[22:23], s[12:13], v19, s6, v[22:23]
	v_mov_b32_e32 v21, v22
	v_lshlrev_b64 v[20:21], 2, v[20:21]
	s_waitcnt lgkmcnt(0)
	v_lshl_add_u64 v[22:23], s[10:11], 0, v[20:21]
	v_lshl_add_u64 v[20:21], s[8:9], 0, v[20:21]
	global_store_dword v[22:23], v34, off
	global_store_dword v[20:21], v35, off
.LBB903_15:
	s_or_b64 exec, exec, s[4:5]
	s_waitcnt vmcnt(3)
	v_cvt_pk_f32_fp8_e32 v[20:21], v14
	v_cvt_pk_f32_fp8_sdwa v[22:23], v14 src0_sel:WORD_1
	s_waitcnt lgkmcnt(0)
	s_barrier
	v_cvt_pk_f32_fp8_e32 v[24:25], v15
	v_cvt_pkrtz_f16_f32 v14, v20, v21
	v_cvt_pk_f32_fp8_sdwa v[28:29], v15 src0_sel:WORD_1
	v_cvt_pkrtz_f16_f32 v15, v22, v23
	ds_read_b128 v[20:23], v27
	v_cvt_pkrtz_f16_f32 v24, v24, v25
	v_cvt_pkrtz_f16_f32 v25, v28, v29
	ds_read_b128 v[28:31], v27 offset:16
	v_cvt_pk_f32_fp8_e32 v[36:37], v16
	v_cvt_pk_f32_fp8_sdwa v[38:39], v16 src0_sel:WORD_1
	s_waitcnt lgkmcnt(1)
	v_mfma_f32_16x16x16_f16 v[32:35], v[14:15], v[20:21], 0
	s_load_dword s4, s[42:43], 0x0
	v_cvt_pkrtz_f16_f32 v14, v36, v37
	v_cvt_pkrtz_f16_f32 v15, v38, v39
	v_cvt_pk_f32_fp8_e32 v[36:37], v17
	v_mfma_f32_16x16x16_f16 v[20:23], v[24:25], v[22:23], v[32:35]
	v_cvt_pk_f32_fp8_sdwa v[24:25], v17 src0_sel:WORD_1
	v_cmp_gt_u32_e32 vcc, 64, v0
	s_mov_b32 s3, 0
	v_cvt_pkrtz_f16_f32 v32, v36, v37
	s_waitcnt lgkmcnt(0)
	v_mfma_f32_16x16x16_f16 v[14:17], v[14:15], v[28:29], v[20:23]
	v_cvt_pkrtz_f16_f32 v33, v24, v25
	s_waitcnt vmcnt(2)
	v_cvt_pk_f32_fp8_e32 v[24:25], v11
	v_cvt_pk_f32_fp8_sdwa v[28:29], v11 src0_sel:WORD_1
	v_cvt_pk_f32_fp8_e32 v[20:21], v10
	v_cvt_pk_f32_fp8_sdwa v[22:23], v10 src0_sel:WORD_1
	v_mfma_f32_16x16x16_f16 v[14:17], v[32:33], v[30:31], v[14:17]
	v_cvt_pkrtz_f16_f32 v24, v24, v25
	v_cvt_pkrtz_f16_f32 v10, v20, v21
	;; [unrolled: 1-line block ×3, first 2 shown]
	ds_read_b128 v[20:23], v27 offset:2048
	v_cvt_pkrtz_f16_f32 v25, v28, v29
	ds_read_b128 v[28:31], v27 offset:2064
	v_cvt_pk_f32_fp8_e32 v[32:33], v12
	v_cvt_pk_f32_fp8_sdwa v[34:35], v12 src0_sel:WORD_1
	s_waitcnt lgkmcnt(1)
	v_mfma_f32_16x16x16_f16 v[14:17], v[10:11], v[20:21], v[14:17]
	v_cvt_pk_f32_fp8_e32 v[20:21], v13
	v_cvt_pkrtz_f16_f32 v10, v32, v33
	v_cvt_pkrtz_f16_f32 v11, v34, v35
	v_mfma_f32_16x16x16_f16 v[14:17], v[24:25], v[22:23], v[14:17]
	v_cvt_pk_f32_fp8_sdwa v[22:23], v13 src0_sel:WORD_1
	v_cvt_pkrtz_f16_f32 v20, v20, v21
	v_cvt_pkrtz_f16_f32 v21, v22, v23
	s_waitcnt lgkmcnt(0)
	v_mfma_f32_16x16x16_f16 v[10:13], v[10:11], v[28:29], v[14:17]
	s_waitcnt vmcnt(1)
	v_cvt_pk_f32_fp8_sdwa v[22:23], v7 src0_sel:WORD_1
	v_cvt_pk_f32_fp8_e32 v[28:29], v8
	v_cvt_pkrtz_f16_f32 v25, v22, v23
	v_cvt_pk_f32_fp8_e32 v[14:15], v6
	v_cvt_pk_f32_fp8_sdwa v[16:17], v6 src0_sel:WORD_1
	v_mfma_f32_16x16x16_f16 v[10:13], v[20:21], v[30:31], v[10:13]
	v_cvt_pk_f32_fp8_e32 v[20:21], v7
	v_cvt_pkrtz_f16_f32 v6, v14, v15
	v_cvt_pkrtz_f16_f32 v7, v16, v17
	ds_read_b128 v[14:17], v27 offset:4096
	v_cvt_pkrtz_f16_f32 v24, v20, v21
	ds_read_b128 v[20:23], v27 offset:4112
	v_cvt_pk_f32_fp8_sdwa v[30:31], v8 src0_sel:WORD_1
	s_waitcnt lgkmcnt(1)
	v_mfma_f32_16x16x16_f16 v[10:13], v[6:7], v[14:15], v[10:13]
	v_cvt_pkrtz_f16_f32 v6, v28, v29
	v_cvt_pkrtz_f16_f32 v7, v30, v31
	v_cvt_pk_f32_fp8_e32 v[14:15], v9
	v_mfma_f32_16x16x16_f16 v[10:13], v[24:25], v[16:17], v[10:13]
	v_cvt_pk_f32_fp8_sdwa v[16:17], v9 src0_sel:WORD_1
	s_waitcnt vmcnt(0)
	v_cvt_pk_f32_fp8_sdwa v[24:25], v4 src0_sel:WORD_1
	v_cvt_pkrtz_f16_f32 v14, v14, v15
	s_waitcnt lgkmcnt(0)
	v_mfma_f32_16x16x16_f16 v[6:9], v[6:7], v[20:21], v[10:13]
	v_cvt_pkrtz_f16_f32 v15, v16, v17
	v_cvt_pk_f32_fp8_sdwa v[16:17], v3 src0_sel:WORD_1
	s_nop 0
	v_cvt_pk_f32_fp8_e32 v[10:11], v2
	v_cvt_pk_f32_fp8_sdwa v[12:13], v2 src0_sel:WORD_1
	v_mfma_f32_16x16x16_f16 v[6:9], v[14:15], v[22:23], v[6:9]
	v_cvt_pk_f32_fp8_e32 v[14:15], v3
	v_cvt_pkrtz_f16_f32 v2, v10, v11
	v_cvt_pkrtz_f16_f32 v3, v12, v13
	ds_read_b128 v[10:13], v27 offset:6144
	v_cvt_pkrtz_f16_f32 v20, v14, v15
	v_cvt_pkrtz_f16_f32 v21, v16, v17
	ds_read_b128 v[14:17], v27 offset:6160
	v_cvt_pk_f32_fp8_e32 v[22:23], v4
	s_waitcnt lgkmcnt(1)
	v_mfma_f32_16x16x16_f16 v[6:9], v[2:3], v[10:11], v[6:9]
	v_cvt_pkrtz_f16_f32 v3, v24, v25
	v_cvt_pk_f32_fp8_e32 v[10:11], v5
	v_cvt_pkrtz_f16_f32 v2, v22, v23
	v_mfma_f32_16x16x16_f16 v[6:9], v[20:21], v[12:13], v[6:9]
	v_cvt_pk_f32_fp8_sdwa v[12:13], v5 src0_sel:WORD_1
	v_cvt_pkrtz_f16_f32 v10, v10, v11
	v_mov_b32_e32 v27, 0
	s_waitcnt lgkmcnt(0)
	v_mfma_f32_16x16x16_f16 v[2:5], v[2:3], v[14:15], v[6:9]
	v_cvt_pkrtz_f16_f32 v11, v12, v13
	s_barrier
	s_nop 0
	v_mfma_f32_16x16x16_f16 v[2:5], v[10:11], v[16:17], v[2:5]
	s_nop 6
	v_pk_mul_f32 v[4:5], v[4:5], s[4:5] op_sel_hi:[1,0]
	v_pk_mul_f32 v[2:3], v[2:3], s[4:5] op_sel_hi:[1,0]
	v_cvt_f16_f32_e32 v4, v4
	v_cvt_f16_f32_e32 v2, v2
	;; [unrolled: 1-line block ×4, first 2 shown]
	s_and_b64 s[4:5], vcc, s[26:27]
	v_pack_b32_f16 v2, v2, v3
	v_pack_b32_f16 v3, v4, v5
	ds_write_b64 v18, v[2:3]
	s_waitcnt lgkmcnt(0)
	s_barrier
	s_and_saveexec_b64 s[8:9], s[4:5]
	s_cbranch_execz .LBB903_17
; %bb.16:
	s_load_dwordx2 s[0:1], s[0:1], 0x68
	s_lshl_b32 s6, s6, 6
	s_mul_i32 s2, s7, s2
	s_mul_hi_u32 s5, s2, s6
	s_mul_i32 s4, s2, s6
	s_lshl_b64 s[4:5], s[4:5], 1
	s_waitcnt lgkmcnt(0)
	s_add_u32 s4, s0, s4
	s_addc_u32 s5, s1, s5
	s_lshl_b32 s2, s24, 6
	v_lshlrev_b32_e32 v0, 10, v0
	s_lshl_b64 s[0:1], s[2:3], 1
	v_and_b32_e32 v0, 0x1800, v0
	v_lshlrev_b32_e32 v2, 5, v1
	v_and_b32_e32 v3, 16, v42
	s_add_u32 s0, s4, s0
	v_or3_b32 v0, v0, v2, v3
	s_addc_u32 s1, s5, s1
	v_or_b32_e32 v20, s25, v1
	ds_read_b128 v[2:5], v0
	ds_read_b128 v[6:9], v0 offset:128
	ds_read_b128 v[10:13], v0 offset:256
	ds_read_b128 v[14:17], v0 offset:384
	v_lshl_add_u64 v[18:19], s[0:1], 0, v[26:27]
	v_mad_u64_u32 v[0:1], s[0:1], v20, s6, 0
	v_lshl_add_u64 v[0:1], v[0:1], 1, v[18:19]
	s_waitcnt lgkmcnt(3)
	global_store_dwordx4 v[0:1], v[2:5], off
	v_or_b32_e32 v0, 4, v20
	v_mad_u64_u32 v[0:1], s[0:1], v0, s6, 0
	v_lshl_add_u64 v[0:1], v[0:1], 1, v[18:19]
	s_waitcnt lgkmcnt(2)
	global_store_dwordx4 v[0:1], v[6:9], off
	v_or_b32_e32 v0, 8, v20
	;; [unrolled: 5-line block ×3, first 2 shown]
	v_mad_u64_u32 v[0:1], s[0:1], v0, s6, 0
	v_lshl_add_u64 v[0:1], v[0:1], 1, v[18:19]
	s_waitcnt lgkmcnt(0)
	global_store_dwordx4 v[0:1], v[14:17], off
.LBB903_17:
	s_endpgm
	.section	.rodata,"a",@progbits
	.p2align	6, 0x0
	.amdhsa_kernel _Z39paged_attention_ll4mi_QKV_mfma16_kernelIDF16_hLN4vllm18Fp8KVCacheDataTypeE1EDF16_Li32ELi64ELi256ELb1ELi16EEvPKT_PKT0_S7_ifPKiS9_S9_iPKfiiiPfSC_PS2_PT2_iSB_SB_
		.amdhsa_group_segment_fixed_size 8192
		.amdhsa_private_segment_fixed_size 0
		.amdhsa_kernarg_size 400
		.amdhsa_user_sgpr_count 2
		.amdhsa_user_sgpr_dispatch_ptr 0
		.amdhsa_user_sgpr_queue_ptr 0
		.amdhsa_user_sgpr_kernarg_segment_ptr 1
		.amdhsa_user_sgpr_dispatch_id 0
		.amdhsa_user_sgpr_kernarg_preload_length 0
		.amdhsa_user_sgpr_kernarg_preload_offset 0
		.amdhsa_user_sgpr_private_segment_size 0
		.amdhsa_uses_dynamic_stack 0
		.amdhsa_enable_private_segment 0
		.amdhsa_system_sgpr_workgroup_id_x 1
		.amdhsa_system_sgpr_workgroup_id_y 1
		.amdhsa_system_sgpr_workgroup_id_z 1
		.amdhsa_system_sgpr_workgroup_info 0
		.amdhsa_system_vgpr_workitem_id 0
		.amdhsa_next_free_vgpr 56
		.amdhsa_next_free_sgpr 49
		.amdhsa_accum_offset 56
		.amdhsa_reserve_vcc 1
		.amdhsa_float_round_mode_32 0
		.amdhsa_float_round_mode_16_64 0
		.amdhsa_float_denorm_mode_32 3
		.amdhsa_float_denorm_mode_16_64 3
		.amdhsa_dx10_clamp 1
		.amdhsa_ieee_mode 1
		.amdhsa_fp16_overflow 0
		.amdhsa_tg_split 0
		.amdhsa_exception_fp_ieee_invalid_op 0
		.amdhsa_exception_fp_denorm_src 0
		.amdhsa_exception_fp_ieee_div_zero 0
		.amdhsa_exception_fp_ieee_overflow 0
		.amdhsa_exception_fp_ieee_underflow 0
		.amdhsa_exception_fp_ieee_inexact 0
		.amdhsa_exception_int_div_zero 0
	.end_amdhsa_kernel
	.section	.text._Z39paged_attention_ll4mi_QKV_mfma16_kernelIDF16_hLN4vllm18Fp8KVCacheDataTypeE1EDF16_Li32ELi64ELi256ELb1ELi16EEvPKT_PKT0_S7_ifPKiS9_S9_iPKfiiiPfSC_PS2_PT2_iSB_SB_,"axG",@progbits,_Z39paged_attention_ll4mi_QKV_mfma16_kernelIDF16_hLN4vllm18Fp8KVCacheDataTypeE1EDF16_Li32ELi64ELi256ELb1ELi16EEvPKT_PKT0_S7_ifPKiS9_S9_iPKfiiiPfSC_PS2_PT2_iSB_SB_,comdat
.Lfunc_end903:
	.size	_Z39paged_attention_ll4mi_QKV_mfma16_kernelIDF16_hLN4vllm18Fp8KVCacheDataTypeE1EDF16_Li32ELi64ELi256ELb1ELi16EEvPKT_PKT0_S7_ifPKiS9_S9_iPKfiiiPfSC_PS2_PT2_iSB_SB_, .Lfunc_end903-_Z39paged_attention_ll4mi_QKV_mfma16_kernelIDF16_hLN4vllm18Fp8KVCacheDataTypeE1EDF16_Li32ELi64ELi256ELb1ELi16EEvPKT_PKT0_S7_ifPKiS9_S9_iPKfiiiPfSC_PS2_PT2_iSB_SB_
                                        ; -- End function
	.section	.AMDGPU.csdata,"",@progbits
; Kernel info:
; codeLenInByte = 4940
; NumSgprs: 55
; NumVgprs: 56
; NumAgprs: 0
; TotalNumVgprs: 56
; ScratchSize: 0
; MemoryBound: 0
; FloatMode: 240
; IeeeMode: 1
; LDSByteSize: 8192 bytes/workgroup (compile time only)
; SGPRBlocks: 6
; VGPRBlocks: 6
; NumSGPRsForWavesPerEU: 55
; NumVGPRsForWavesPerEU: 56
; AccumOffset: 56
; Occupancy: 8
; WaveLimiterHint : 1
; COMPUTE_PGM_RSRC2:SCRATCH_EN: 0
; COMPUTE_PGM_RSRC2:USER_SGPR: 2
; COMPUTE_PGM_RSRC2:TRAP_HANDLER: 0
; COMPUTE_PGM_RSRC2:TGID_X_EN: 1
; COMPUTE_PGM_RSRC2:TGID_Y_EN: 1
; COMPUTE_PGM_RSRC2:TGID_Z_EN: 1
; COMPUTE_PGM_RSRC2:TIDIG_COMP_CNT: 0
; COMPUTE_PGM_RSRC3_GFX90A:ACCUM_OFFSET: 13
; COMPUTE_PGM_RSRC3_GFX90A:TG_SPLIT: 0
	.section	.text._Z39paged_attention_ll4mi_QKV_mfma16_kernelIDF16_hLN4vllm18Fp8KVCacheDataTypeE1EDF16_Li32ELi64ELi256ELb1ELi1EEvPKT_PKT0_S7_ifPKiS9_S9_iPKfiiiPfSC_PS2_PT2_iSB_SB_,"axG",@progbits,_Z39paged_attention_ll4mi_QKV_mfma16_kernelIDF16_hLN4vllm18Fp8KVCacheDataTypeE1EDF16_Li32ELi64ELi256ELb1ELi1EEvPKT_PKT0_S7_ifPKiS9_S9_iPKfiiiPfSC_PS2_PT2_iSB_SB_,comdat
	.protected	_Z39paged_attention_ll4mi_QKV_mfma16_kernelIDF16_hLN4vllm18Fp8KVCacheDataTypeE1EDF16_Li32ELi64ELi256ELb1ELi1EEvPKT_PKT0_S7_ifPKiS9_S9_iPKfiiiPfSC_PS2_PT2_iSB_SB_ ; -- Begin function _Z39paged_attention_ll4mi_QKV_mfma16_kernelIDF16_hLN4vllm18Fp8KVCacheDataTypeE1EDF16_Li32ELi64ELi256ELb1ELi1EEvPKT_PKT0_S7_ifPKiS9_S9_iPKfiiiPfSC_PS2_PT2_iSB_SB_
	.globl	_Z39paged_attention_ll4mi_QKV_mfma16_kernelIDF16_hLN4vllm18Fp8KVCacheDataTypeE1EDF16_Li32ELi64ELi256ELb1ELi1EEvPKT_PKT0_S7_ifPKiS9_S9_iPKfiiiPfSC_PS2_PT2_iSB_SB_
	.p2align	8
	.type	_Z39paged_attention_ll4mi_QKV_mfma16_kernelIDF16_hLN4vllm18Fp8KVCacheDataTypeE1EDF16_Li32ELi64ELi256ELb1ELi1EEvPKT_PKT0_S7_ifPKiS9_S9_iPKfiiiPfSC_PS2_PT2_iSB_SB_,@function
_Z39paged_attention_ll4mi_QKV_mfma16_kernelIDF16_hLN4vllm18Fp8KVCacheDataTypeE1EDF16_Li32ELi64ELi256ELb1ELi1EEvPKT_PKT0_S7_ifPKiS9_S9_iPKfiiiPfSC_PS2_PT2_iSB_SB_: ; @_Z39paged_attention_ll4mi_QKV_mfma16_kernelIDF16_hLN4vllm18Fp8KVCacheDataTypeE1EDF16_Li32ELi64ELi256ELb1ELi1EEvPKT_PKT0_S7_ifPKiS9_S9_iPKfiiiPfSC_PS2_PT2_iSB_SB_
; %bb.0:
	s_load_dwordx2 s[6:7], s[0:1], 0x30
	s_mov_b32 s30, s3
	s_mov_b64 s[8:9], 0
	s_waitcnt lgkmcnt(0)
	s_cmp_lg_u64 s[6:7], 0
	s_cselect_b64 s[10:11], -1, 0
	s_and_b64 vcc, exec, s[10:11]
	s_cbranch_vccz .LBB904_7
; %bb.1:
	s_add_i32 s12, s2, 1
	s_mov_b32 s13, 0
	s_lshl_b64 s[14:15], s[12:13], 2
	s_add_u32 s14, s6, s14
	s_mov_b32 s3, s13
	s_addc_u32 s15, s7, s15
	s_lshl_b64 s[12:13], s[2:3], 2
	s_add_u32 s12, s6, s12
	s_addc_u32 s13, s7, s13
	s_load_dword s5, s[14:15], 0x0
	s_load_dword s16, s[12:13], 0x0
	s_waitcnt lgkmcnt(0)
	s_sub_i32 s5, s5, s16
	s_cmp_eq_u32 s5, 1
	s_cselect_b64 s[12:13], -1, 0
	s_andn2_b64 vcc, exec, s[8:9]
	s_cbranch_vccnz .LBB904_3
.LBB904_2:
	s_mov_b32 s3, 0
	s_mov_b64 s[12:13], -1
.LBB904_3:
	s_andn2_b64 vcc, exec, s[12:13]
	s_cbranch_vccnz .LBB904_19
; %bb.4:
	s_load_dwordx2 s[8:9], s[0:1], 0x28
	s_lshl_b64 s[12:13], s[2:3], 2
	s_waitcnt lgkmcnt(0)
	s_add_u32 s8, s8, s12
	s_addc_u32 s9, s9, s13
	s_load_dword s31, s[8:9], 0x0
	s_lshl_b32 s16, s30, 8
	s_waitcnt lgkmcnt(0)
	s_cmp_ge_i32 s16, s31
	s_cbranch_scc1 .LBB904_19
; %bb.5:
	s_load_dwordx2 s[8:9], s[0:1], 0x20
	s_load_dword s5, s[0:1], 0x38
	s_add_i32 s14, s31, 31
	s_ashr_i32 s15, s14, 31
	v_and_b32_e32 v1, 0xcf, v0
	s_lshr_b32 s15, s15, 27
	v_add_u32_e32 v1, s16, v1
	s_add_i32 s14, s14, s15
	v_ashrrev_i32_e32 v2, 31, v1
	s_ashr_i32 s17, s14, 5
	v_lshrrev_b32_e32 v4, 27, v2
	s_add_i32 s17, s17, -1
	s_waitcnt lgkmcnt(0)
	s_mul_i32 s14, s2, s5
	s_mov_b32 s15, 0
	v_add_u32_e32 v2, v1, v4
	s_lshl_b64 s[14:15], s[14:15], 2
	v_ashrrev_i32_e32 v2, 5, v2
	v_mov_b32_e32 v5, s17
	v_cmp_gt_i32_e32 vcc, s31, v1
	s_add_u32 s8, s8, s14
	s_addc_u32 s9, s9, s15
	v_cndmask_b32_e32 v2, v5, v2, vcc
	v_ashrrev_i32_e32 v3, 31, v2
	v_lshl_add_u64 v[6:7], v[2:3], 2, s[8:9]
	v_or_b32_e32 v2, 16, v1
	v_add_u32_e32 v3, v2, v4
	v_ashrrev_i32_e32 v3, 5, v3
	v_cmp_gt_i32_e32 vcc, s31, v2
	s_load_dwordx2 s[14:15], s[0:1], 0x8
	s_nop 0
	v_cndmask_b32_e32 v2, v5, v3, vcc
	v_ashrrev_i32_e32 v3, 31, v2
	v_lshl_add_u64 v[8:9], v[2:3], 2, s[8:9]
	v_or_b32_e32 v2, 32, v1
	v_add_u32_e32 v3, v2, v4
	v_ashrrev_i32_e32 v3, 5, v3
	v_cmp_gt_i32_e32 vcc, s31, v2
	v_or_b32_e32 v1, 48, v1
	s_nop 0
	v_cndmask_b32_e32 v2, v5, v3, vcc
	v_ashrrev_i32_e32 v3, 31, v2
	v_lshl_add_u64 v[10:11], v[2:3], 2, s[8:9]
	v_add_u32_e32 v2, v1, v4
	v_ashrrev_i32_e32 v2, 5, v2
	v_cmp_gt_i32_e32 vcc, s31, v1
	s_nop 1
	v_cndmask_b32_e32 v2, v5, v2, vcc
	v_ashrrev_i32_e32 v3, 31, v2
	v_lshl_add_u64 v[12:13], v[2:3], 2, s[8:9]
	global_load_dword v5, v[6:7], off
	global_load_dword v4, v[8:9], off
	;; [unrolled: 1-line block ×4, first 2 shown]
	s_andn2_b64 vcc, exec, s[10:11]
	s_cbranch_vccnz .LBB904_8
; %bb.6:
	s_add_u32 s6, s6, s12
	s_addc_u32 s7, s7, s13
	s_load_dword s5, s[6:7], 0x0
	s_branch .LBB904_9
.LBB904_7:
	s_mov_b64 s[12:13], 0
	s_branch .LBB904_2
.LBB904_8:
	s_mov_b32 s5, s2
.LBB904_9:
	s_load_dwordx2 s[10:11], s[0:1], 0x10
	s_load_dwordx4 s[48:51], s[0:1], 0x48
	v_lshrrev_b32_e32 v40, 6, v0
	v_bfe_u32 v38, v0, 4, 2
	v_lshl_or_b32 v1, v40, 2, v38
	v_and_b32_e32 v42, 15, v0
	v_lshlrev_b32_e32 v6, 3, v42
	v_cmp_eq_u32_e32 vcc, 0, v1
	v_cmp_gt_u32_e64 s[6:7], 8, v42
	s_and_b64 s[18:19], s[6:7], vcc
	v_lshlrev_b32_e32 v1, 1, v6
	v_lshlrev_b32_e32 v39, 4, v0
	s_and_saveexec_b64 s[12:13], s[18:19]
	s_cbranch_execz .LBB904_11
; %bb.10:
	s_load_dwordx2 s[18:19], s[0:1], 0x0
	s_waitcnt lgkmcnt(0)
	s_ashr_i32 s20, s48, 31
	s_mul_hi_u32 s21, s5, s48
	s_mul_i32 s20, s5, s20
	s_add_i32 s21, s21, s20
	s_mul_i32 s20, s5, s48
	s_lshl_b64 s[20:21], s[20:21], 1
	s_add_u32 s5, s18, s20
	s_addc_u32 s20, s19, s21
	s_lshl_b32 s18, s4, 6
	s_ashr_i32 s19, s18, 31
	s_lshl_b64 s[18:19], s[18:19], 1
	s_add_u32 s18, s5, s18
	s_addc_u32 s19, s20, s19
	global_load_dwordx4 v[6:9], v1, s[18:19]
	v_lshlrev_b32_e32 v10, 8, v42
	v_and_b32_e32 v11, 16, v39
	s_movk_i32 s5, 0xe00
	v_and_or_b32 v10, v10, s5, v11
	s_waitcnt vmcnt(0)
	ds_write_b128 v10, v[6:9]
.LBB904_11:
	s_or_b64 exec, exec, s[12:13]
	s_waitcnt lgkmcnt(0)
	s_mul_i32 s18, s4, s50
	s_add_u32 s12, s14, s18
	s_addc_u32 s13, s15, 0
	v_mov_b32_e32 v27, 0
	v_mov_b64_e32 v[6:7], s[12:13]
	v_lshlrev_b32_e32 v10, 4, v42
	v_and_b32_e32 v28, 48, v0
	s_waitcnt vmcnt(3)
	v_mad_i64_i32 v[8:9], s[12:13], v5, s49, v[6:7]
	v_mov_b32_e32 v11, v27
	s_waitcnt vmcnt(2)
	v_mad_i64_i32 v[4:5], s[12:13], v4, s49, v[6:7]
	v_or_b32_e32 v12, 0x100, v10
	v_mov_b32_e32 v13, v27
	v_lshlrev_b32_e32 v26, 5, v28
	v_lshl_add_u64 v[8:9], v[8:9], 0, v[10:11]
	v_lshl_add_u64 v[4:5], v[4:5], 0, v[12:13]
	;; [unrolled: 1-line block ×4, first 2 shown]
	s_barrier
	global_load_dwordx4 v[22:25], v[8:9], off
	global_load_dwordx4 v[18:21], v[4:5], off
	s_waitcnt vmcnt(3)
	v_mad_i64_i32 v[4:5], s[12:13], v3, s49, v[6:7]
	v_lshl_add_u64 v[4:5], v[4:5], 0, v[10:11]
	s_waitcnt vmcnt(2)
	v_mad_i64_i32 v[2:3], s[12:13], v2, s49, v[6:7]
	v_lshl_add_u64 v[4:5], v[4:5], 0, v[26:27]
	v_lshl_add_u64 v[2:3], v[2:3], 0, v[12:13]
	;; [unrolled: 1-line block ×3, first 2 shown]
	global_load_dwordx4 v[14:17], v[4:5], off
	global_load_dwordx4 v[6:9], v[2:3], off
	v_lshlrev_b32_e32 v2, 9, v38
	ds_read_b128 v[10:13], v2
	ds_read_b128 v[2:5], v2 offset:16
	v_and_b32_e32 v43, 63, v0
	v_cmp_eq_u32_e32 vcc, 0, v42
	v_mov_b32_e32 v44, 0
	s_and_saveexec_b64 s[12:13], vcc
	s_cbranch_execz .LBB904_13
; %bb.12:
	s_load_dwordx2 s[14:15], s[0:1], 0x40
	s_ashr_i32 s5, s4, 31
	s_lshl_b64 s[20:21], s[4:5], 2
	s_waitcnt lgkmcnt(0)
	s_add_u32 s14, s14, s20
	s_addc_u32 s15, s15, s21
	s_load_dword s5, s[14:15], 0x0
	s_waitcnt lgkmcnt(0)
	v_mov_b32_e32 v44, s5
.LBB904_13:
	s_or_b64 exec, exec, s[12:13]
	s_ashr_i32 s5, s16, 31
	v_or_b32_e32 v45, s16, v28
	s_lshr_b32 s5, s5, 27
	v_add_u32_e32 v26, s5, v45
	v_ashrrev_i32_e32 v26, 5, v26
	v_mov_b32_e32 v65, s17
	v_cmp_gt_i32_e32 vcc, s31, v45
	s_waitcnt vmcnt(3)
	v_cvt_pk_f32_fp8_sdwa v[30:31], v22 src0_sel:WORD_1
	s_waitcnt vmcnt(2)
	v_cvt_pk_f32_fp8_e32 v[48:49], v18
	v_cndmask_b32_e32 v28, v65, v26, vcc
	v_ashrrev_i32_e32 v29, 31, v28
	v_lshl_add_u64 v[28:29], v[28:29], 2, s[8:9]
	global_load_dword v72, v[28:29], off
	v_cvt_pk_f32_fp8_e32 v[28:29], v22
	v_cvt_pk_f32_fp8_sdwa v[50:51], v18 src0_sel:WORD_1
	v_or_b32_e32 v18, 64, v45
	v_cvt_pk_f32_fp8_e32 v[56:57], v20
	v_cvt_pk_f32_fp8_sdwa v[58:59], v20 src0_sel:WORD_1
	v_cvt_pk_f32_fp8_e32 v[60:61], v21
	v_cvt_pk_f32_fp8_sdwa v[62:63], v21 src0_sel:WORD_1
	v_or_b32_e32 v20, 0xc0, v45
	v_add_u32_e32 v21, s5, v18
	v_cvt_pk_f32_fp8_e32 v[52:53], v19
	v_cvt_pk_f32_fp8_sdwa v[54:55], v19 src0_sel:WORD_1
	v_or_b32_e32 v19, 0x80, v45
	v_add_u32_e32 v64, s5, v20
	v_ashrrev_i32_e32 v21, 5, v21
	v_cmp_gt_i32_e32 vcc, s31, v18
	v_cvt_pk_f32_fp8_e32 v[32:33], v23
	v_cvt_pk_f32_fp8_sdwa v[22:23], v23 src0_sel:WORD_1
	v_add_u32_e32 v45, s5, v19
	v_ashrrev_i32_e32 v67, 5, v64
	v_cndmask_b32_e32 v64, v65, v21, vcc
	v_cmp_gt_i32_e32 vcc, s31, v19
	v_cvt_pkrtz_f16_f32 v18, v28, v29
	v_cvt_pkrtz_f16_f32 v19, v30, v31
	v_cvt_pk_f32_fp8_e32 v[34:35], v24
	v_cvt_pk_f32_fp8_sdwa v[36:37], v24 src0_sel:WORD_1
	v_ashrrev_i32_e32 v45, 5, v45
	v_cvt_pkrtz_f16_f32 v28, v32, v33
	v_cvt_pkrtz_f16_f32 v29, v22, v23
	;; [unrolled: 1-line block ×4, first 2 shown]
	v_cvt_pk_f32_fp8_e32 v[46:47], v25
	v_cvt_pk_f32_fp8_sdwa v[24:25], v25 src0_sel:WORD_1
	v_cndmask_b32_e32 v66, v65, v45, vcc
	v_cmp_gt_i32_e32 vcc, s31, v20
	s_waitcnt lgkmcnt(1)
	v_mfma_f32_16x16x16_f16 v[18:21], v[18:19], v[10:11], 0
	v_cvt_pkrtz_f16_f32 v32, v34, v35
	v_cvt_pkrtz_f16_f32 v33, v36, v37
	v_cvt_pkrtz_f16_f32 v36, v52, v53
	v_cvt_pkrtz_f16_f32 v37, v54, v55
	v_cvt_pkrtz_f16_f32 v35, v24, v25
	v_mfma_f32_16x16x16_f16 v[22:25], v[22:23], v[10:11], 0
	s_add_u32 s10, s10, s18
	v_and_b32_e32 v26, 16, v0
	v_lshlrev_b32_e32 v41, 5, v42
	v_mfma_f32_16x16x16_f16 v[28:31], v[28:29], v[12:13], v[18:21]
	s_addc_u32 s11, s11, 0
	s_load_dword s12, s[0:1], 0x1c
	s_load_dwordx4 s[44:47], s[0:1], 0x80
	v_lshl_add_u64 v[70:71], s[10:11], 0, v[26:27]
	v_lshl_or_b32 v26, v40, 9, v41
	v_cvt_pkrtz_f16_f32 v34, v46, v47
	v_cvt_pkrtz_f16_f32 v46, v56, v57
	;; [unrolled: 1-line block ×3, first 2 shown]
	v_mfma_f32_16x16x16_f16 v[20:23], v[36:37], v[12:13], v[22:25]
	v_lshl_add_u64 v[18:19], v[70:71], 0, v[26:27]
	v_cndmask_b32_e32 v68, v65, v67, vcc
	v_ashrrev_i32_e32 v65, 31, v64
	s_waitcnt lgkmcnt(0)
	v_mfma_f32_16x16x16_f16 v[24:27], v[32:33], v[2:3], v[28:31]
	v_ashrrev_i32_e32 v67, 31, v66
	v_ashrrev_i32_e32 v69, 31, v68
	v_lshl_add_u64 v[32:33], v[68:69], 2, s[8:9]
	v_lshl_add_u64 v[28:29], v[64:65], 2, s[8:9]
	;; [unrolled: 1-line block ×3, first 2 shown]
	s_load_dword s5, s[44:45], 0x0
	v_mfma_f32_16x16x16_f16 v[20:23], v[46:47], v[2:3], v[20:23]
	global_load_dword v47, v[28:29], off
	global_load_dword v45, v[30:31], off
	;; [unrolled: 1-line block ×3, first 2 shown]
	s_waitcnt vmcnt(5)
	v_cvt_pk_f32_fp8_sdwa v[28:29], v14 src0_sel:WORD_1
	v_cvt_pkrtz_f16_f32 v48, v60, v61
	v_mfma_f32_16x16x16_f16 v[30:33], v[34:35], v[4:5], v[24:27]
	v_cvt_pkrtz_f16_f32 v49, v62, v63
	v_cvt_pk_f32_fp8_e32 v[34:35], v15
	v_mov_b32_e32 v36, s12
	v_cvt_pk_f32_fp8_e32 v[24:25], v14
	v_cvt_pk_f32_fp8_sdwa v[14:15], v15 src0_sel:WORD_1
	v_mfma_f32_16x16x16_f16 v[20:23], v[48:49], v[4:5], v[20:23]
	v_cvt_pk_f32_fp8_e32 v[48:49], v16
	v_cvt_pkrtz_f16_f32 v24, v24, v25
	v_cvt_pkrtz_f16_f32 v25, v28, v29
	;; [unrolled: 1-line block ×3, first 2 shown]
	v_cvt_pk_f32_fp8_sdwa v[52:53], v16 src0_sel:WORD_1
	v_cvt_pkrtz_f16_f32 v29, v14, v15
	s_waitcnt lgkmcnt(0)
	v_mul_f32_e32 v50, s5, v36
	v_mfma_f32_16x16x16_f16 v[34:37], v[24:25], v[10:11], 0
	v_cvt_pkrtz_f16_f32 v24, v48, v49
	v_cvt_pkrtz_f16_f32 v25, v52, v53
	v_cvt_pk_f32_fp8_e32 v[48:49], v17
	v_cvt_pk_f32_fp8_sdwa v[52:53], v17 src0_sel:WORD_1
	v_mfma_f32_16x16x16_f16 v[14:17], v[28:29], v[12:13], v[34:37]
	v_pk_mul_f32 v[28:29], v[50:51], v[32:33] op_sel_hi:[0,1]
	v_cvt_pkrtz_f16_f32 v32, v48, v49
	v_cvt_pkrtz_f16_f32 v33, v52, v53
	v_mfma_f32_16x16x16_f16 v[14:17], v[24:25], v[2:3], v[14:17]
	v_pk_mul_f32 v[34:35], v[50:51], v[30:31] op_sel_hi:[0,1]
	s_waitcnt vmcnt(4)
	v_cvt_pk_f32_fp8_e32 v[24:25], v6
	v_cvt_pk_f32_fp8_sdwa v[30:31], v6 src0_sel:WORD_1
	v_mfma_f32_16x16x16_f16 v[14:17], v[32:33], v[4:5], v[14:17]
	v_cvt_pk_f32_fp8_e32 v[32:33], v7
	v_cvt_pkrtz_f16_f32 v24, v24, v25
	v_cvt_pkrtz_f16_f32 v25, v30, v31
	v_cvt_pk_f32_fp8_sdwa v[6:7], v7 src0_sel:WORD_1
	v_cvt_pkrtz_f16_f32 v36, v32, v33
	v_cvt_pk_f32_fp8_e32 v[48:49], v8
	v_cvt_pk_f32_fp8_sdwa v[52:53], v8 src0_sel:WORD_1
	v_cvt_pkrtz_f16_f32 v37, v6, v7
	v_mfma_f32_16x16x16_f16 v[30:33], v[24:25], v[10:11], 0
	v_cvt_pkrtz_f16_f32 v10, v48, v49
	v_cvt_pkrtz_f16_f32 v11, v52, v53
	v_cvt_pk_f32_fp8_e32 v[24:25], v9
	v_cvt_pk_f32_fp8_sdwa v[48:49], v9 src0_sel:WORD_1
	v_mfma_f32_16x16x16_f16 v[6:9], v[36:37], v[12:13], v[30:33]
	v_pk_mul_f32 v[36:37], v[50:51], v[20:21] op_sel_hi:[0,1]
	v_cvt_pkrtz_f16_f32 v12, v24, v25
	v_cvt_pkrtz_f16_f32 v13, v48, v49
	v_mfma_f32_16x16x16_f16 v[6:9], v[10:11], v[2:3], v[6:9]
	v_pk_mul_f32 v[32:33], v[50:51], v[22:23] op_sel_hi:[0,1]
	v_pk_mul_f32 v[24:25], v[50:51], v[16:17] op_sel_hi:[0,1]
	v_pk_mul_f32 v[30:31], v[50:51], v[14:15] op_sel_hi:[0,1]
	v_mfma_f32_16x16x16_f16 v[2:5], v[12:13], v[4:5], v[6:9]
	s_mov_b32 s5, 0xff7fffff
	s_waitcnt vmcnt(3)
	v_mad_i64_i32 v[26:27], s[8:9], v72, s49, v[18:19]
	s_nop 3
	v_pk_mul_f32 v[22:23], v[50:51], v[2:3] op_sel_hi:[0,1]
	v_and_b32_e32 v2, 0xc0, v0
	v_add_u32_e32 v2, s16, v2
	v_lshl_or_b32 v2, v38, 2, v2
	v_or_b32_e32 v3, 1, v2
	v_pk_mul_f32 v[20:21], v[50:51], v[4:5] op_sel_hi:[0,1]
	v_subrev_u32_e32 v4, s31, v3
	v_add_u32_e32 v6, 1, v4
	v_add_u32_e32 v7, 2, v4
	;; [unrolled: 1-line block ×3, first 2 shown]
	v_cvt_f32_i32_e32 v6, v6
	v_cvt_f32_i32_e32 v7, v7
	;; [unrolled: 1-line block ×3, first 2 shown]
	v_add_u32_e32 v9, 19, v4
	v_fmac_f32_e32 v35, v44, v6
	v_fma_f32 v28, v44, v7, v28
	v_fmac_f32_e32 v29, v44, v8
	v_add_u32_e32 v6, 16, v4
	v_add_u32_e32 v7, 17, v4
	;; [unrolled: 1-line block ×3, first 2 shown]
	v_cvt_f32_i32_e32 v6, v6
	v_cvt_f32_i32_e32 v7, v7
	;; [unrolled: 1-line block ×4, first 2 shown]
	v_fma_f32 v36, v44, v6, v36
	v_fmac_f32_e32 v37, v44, v7
	v_fma_f32 v32, v44, v8, v32
	v_add_u32_e32 v6, 32, v4
	v_add_u32_e32 v7, 33, v4
	;; [unrolled: 1-line block ×3, first 2 shown]
	v_cvt_f32_i32_e32 v6, v6
	v_cvt_f32_i32_e32 v7, v7
	;; [unrolled: 1-line block ×4, first 2 shown]
	v_fmac_f32_e32 v33, v44, v9
	v_add_u32_e32 v9, 35, v4
	v_fma_f32 v48, v44, v6, v30
	v_fmac_f32_e32 v31, v44, v7
	v_fma_f32 v24, v44, v8, v24
	v_add_u32_e32 v6, 48, v4
	v_add_u32_e32 v7, 49, v4
	;; [unrolled: 1-line block ×4, first 2 shown]
	v_cvt_f32_i32_e32 v4, v4
	v_cvt_f32_i32_e32 v6, v6
	;; [unrolled: 1-line block ×3, first 2 shown]
	v_fma_f32 v5, v44, v5, v34
	v_fmac_f32_e32 v21, v44, v4
	v_mov_b32_e32 v4, 0xff7fffff
	v_cmp_gt_i32_e64 s[34:35], s31, v2
	v_cmp_gt_i32_e64 s[36:37], s31, v3
	v_fma_f32 v22, v44, v6, v22
	v_cndmask_b32_e64 v6, v4, v5, s[34:35]
	v_cndmask_b32_e64 v3, v4, v35, s[36:37]
	v_fmac_f32_e32 v23, v44, v7
	v_max3_f32 v3, v6, s5, v3
	v_or_b32_e32 v6, 2, v2
	v_or_b32_e32 v7, 3, v2
	v_cmp_gt_i32_e64 s[38:39], s31, v6
	v_cmp_gt_i32_e64 s[40:41], s31, v7
	v_cvt_f32_i32_e32 v9, v9
	v_cndmask_b32_e64 v6, v4, v28, s[38:39]
	v_cndmask_b32_e64 v7, v4, v29, s[40:41]
	v_max3_f32 v3, v3, v6, v7
	v_or_b32_e32 v6, 16, v2
	v_or_b32_e32 v7, 17, v2
	v_cmp_gt_i32_e64 s[26:27], s31, v6
	v_cmp_gt_i32_e64 s[28:29], s31, v7
	v_fmac_f32_e32 v25, v44, v9
	v_cndmask_b32_e64 v6, v4, v36, s[26:27]
	v_cndmask_b32_e64 v7, v4, v37, s[28:29]
	v_max3_f32 v3, v3, v6, v7
	v_or_b32_e32 v6, 18, v2
	v_or_b32_e32 v7, 19, v2
	v_cmp_gt_i32_e64 s[22:23], s31, v6
	v_cmp_gt_i32_e64 s[24:25], s31, v7
	v_cvt_f32_i32_e32 v8, v8
	v_cndmask_b32_e64 v6, v4, v32, s[22:23]
	v_cndmask_b32_e64 v7, v4, v33, s[24:25]
	v_max3_f32 v3, v3, v6, v7
	v_or_b32_e32 v6, 32, v2
	v_or_b32_e32 v7, 33, v2
	v_cmp_gt_i32_e64 s[18:19], s31, v6
	v_cmp_gt_i32_e64 s[20:21], s31, v7
	v_fma_f32 v20, v44, v8, v20
	v_cndmask_b32_e64 v6, v4, v48, s[18:19]
	v_cndmask_b32_e64 v7, v4, v31, s[20:21]
	v_max3_f32 v3, v3, v6, v7
	v_or_b32_e32 v6, 34, v2
	v_or_b32_e32 v7, 35, v2
	v_cmp_gt_i32_e64 s[14:15], s31, v6
	v_cmp_gt_i32_e64 s[16:17], s31, v7
	s_nop 0
	v_cndmask_b32_e64 v6, v4, v24, s[14:15]
	v_cndmask_b32_e64 v7, v4, v25, s[16:17]
	v_max3_f32 v3, v3, v6, v7
	v_or_b32_e32 v6, 48, v2
	v_or_b32_e32 v7, 49, v2
	v_cmp_gt_i32_e64 s[10:11], s31, v6
	v_cmp_gt_i32_e64 s[12:13], s31, v7
	s_nop 0
	v_cndmask_b32_e64 v6, v4, v22, s[10:11]
	v_cndmask_b32_e64 v7, v4, v23, s[12:13]
	v_max3_f32 v3, v3, v6, v7
	v_or_b32_e32 v6, 50, v2
	v_or_b32_e32 v2, 51, v2
	v_cmp_gt_i32_e32 vcc, s31, v6
	v_cmp_gt_i32_e64 s[8:9], s31, v2
	s_nop 0
	v_cndmask_b32_e32 v6, v4, v20, vcc
	v_cndmask_b32_e64 v2, v4, v21, s[8:9]
	v_max3_f32 v4, v3, v6, v2
	v_mbcnt_lo_u32_b32 v2, -1, 0
	v_mbcnt_hi_u32_b32 v6, -1, v2
	v_and_b32_e32 v2, 64, v6
	v_add_u32_e32 v7, 64, v2
	v_xor_b32_e32 v2, 32, v6
	v_cmp_lt_i32_e64 s[42:43], v2, v7
	s_nop 1
	v_cndmask_b32_e64 v2, v6, v2, s[42:43]
	v_lshlrev_b32_e32 v44, 2, v2
	ds_bpermute_b32 v8, v44, v4
	s_waitcnt vmcnt(2)
	v_mad_i64_i32 v[2:3], s[42:43], v47, s49, v[18:19]
	global_load_dwordx4 v[14:17], v[26:27], off
	global_load_dwordx4 v[10:13], v[2:3], off
	v_xor_b32_e32 v3, 16, v6
	v_cmp_lt_i32_e64 s[42:43], v3, v7
	s_waitcnt lgkmcnt(0)
	v_max_f32_e32 v2, v8, v8
	v_max_f32_e32 v2, v4, v2
	v_cndmask_b32_e64 v3, v6, v3, s[42:43]
	v_lshlrev_b32_e32 v47, 2, v3
	ds_bpermute_b32 v3, v47, v2
	s_waitcnt vmcnt(3)
	v_mad_i64_i32 v[26:27], s[42:43], v45, s49, v[18:19]
	s_waitcnt vmcnt(2)
	v_mad_i64_i32 v[18:19], s[42:43], v46, s49, v[18:19]
	s_waitcnt lgkmcnt(0)
	v_max_f32_e32 v3, v3, v3
	v_max_f32_e32 v30, v2, v3
	v_sub_f32_e32 v2, v5, v30
	v_mul_f32_e32 v2, 0x3fb8aa3b, v2
	v_exp_f32_e32 v34, v2
	v_sub_f32_e32 v2, v35, v30
	v_mul_f32_e32 v2, 0x3fb8aa3b, v2
	v_exp_f32_e32 v35, v2
	global_load_dwordx4 v[6:9], v[26:27], off
	global_load_dwordx4 v[2:5], v[18:19], off
	v_sub_f32_e32 v27, v28, v30
	v_sub_f32_e32 v28, v29, v30
	v_mul_f32_e32 v27, 0x3fb8aa3b, v27
	v_mul_f32_e32 v28, 0x3fb8aa3b, v28
	v_exp_f32_e32 v27, v27
	v_exp_f32_e32 v28, v28
	v_cndmask_b32_e64 v18, 0, v34, s[34:35]
	v_cndmask_b32_e64 v19, 0, v35, s[36:37]
	;; [unrolled: 1-line block ×4, first 2 shown]
	v_sub_f32_e32 v27, v36, v30
	v_sub_f32_e32 v28, v37, v30
	v_mul_f32_e32 v27, 0x3fb8aa3b, v27
	v_mul_f32_e32 v28, 0x3fb8aa3b, v28
	v_exp_f32_e32 v27, v27
	v_exp_f32_e32 v28, v28
	v_add_f32_e32 v26, 0, v18
	v_add_f32_e32 v26, v26, v19
	;; [unrolled: 1-line block ×4, first 2 shown]
	v_cndmask_b32_e64 v26, 0, v27, s[26:27]
	v_cndmask_b32_e64 v27, 0, v28, s[28:29]
	v_sub_f32_e32 v28, v32, v30
	v_mul_f32_e32 v28, 0x3fb8aa3b, v28
	v_exp_f32_e32 v28, v28
	v_sub_f32_e32 v32, v33, v30
	v_add_f32_e32 v29, v29, v26
	v_mul_f32_e32 v32, 0x3fb8aa3b, v32
	v_exp_f32_e32 v33, v32
	v_add_f32_e32 v29, v29, v27
	v_cndmask_b32_e64 v32, 0, v28, s[22:23]
	v_add_f32_e32 v28, v29, v32
	v_sub_f32_e32 v29, v48, v30
	v_mul_f32_e32 v29, 0x3fb8aa3b, v29
	v_sub_f32_e32 v31, v31, v30
	v_exp_f32_e32 v29, v29
	v_mul_f32_e32 v31, 0x3fb8aa3b, v31
	v_sub_f32_e32 v24, v24, v30
	v_exp_f32_e32 v31, v31
	;; [unrolled: 3-line block ×3, first 2 shown]
	v_mul_f32_e32 v25, 0x3fb8aa3b, v25
	v_sub_f32_e32 v22, v22, v30
	v_cndmask_b32_e64 v33, 0, v33, s[24:25]
	v_exp_f32_e32 v25, v25
	v_mul_f32_e32 v22, 0x3fb8aa3b, v22
	v_sub_f32_e32 v23, v23, v30
	v_add_f32_e32 v36, v28, v33
	v_cndmask_b32_e64 v28, 0, v29, s[18:19]
	v_exp_f32_e32 v22, v22
	v_mul_f32_e32 v23, 0x3fb8aa3b, v23
	v_sub_f32_e32 v20, v20, v30
	v_add_f32_e32 v36, v36, v28
	v_cndmask_b32_e64 v29, 0, v31, s[20:21]
	v_exp_f32_e32 v23, v23
	v_mul_f32_e32 v20, 0x3fb8aa3b, v20
	v_sub_f32_e32 v21, v21, v30
	v_add_f32_e32 v31, v36, v29
	v_cndmask_b32_e64 v24, 0, v24, s[14:15]
	v_exp_f32_e32 v20, v20
	v_mul_f32_e32 v21, 0x3fb8aa3b, v21
	v_add_f32_e32 v31, v31, v24
	v_cndmask_b32_e64 v25, 0, v25, s[16:17]
	v_exp_f32_e32 v21, v21
	v_add_f32_e32 v31, v31, v25
	v_cndmask_b32_e64 v22, 0, v22, s[10:11]
	v_add_f32_e32 v31, v31, v22
	v_cndmask_b32_e64 v23, 0, v23, s[12:13]
	v_add_f32_e32 v31, v31, v23
	v_cndmask_b32_e32 v20, 0, v20, vcc
	v_add_f32_e32 v31, v31, v20
	v_cndmask_b32_e64 v21, 0, v21, s[8:9]
	v_add_f32_e32 v31, v31, v21
	ds_bpermute_b32 v36, v44, v31
	v_cmp_gt_u32_e64 s[8:9], 16, v43
	s_waitcnt lgkmcnt(0)
	s_barrier
	v_add_f32_e32 v36, v31, v36
	ds_bpermute_b32 v37, v47, v36
	v_lshlrev_b32_e32 v31, 2, v42
	s_and_saveexec_b64 s[10:11], s[8:9]
	s_cbranch_execz .LBB904_15
; %bb.14:
	s_waitcnt lgkmcnt(0)
	v_add_f32_e32 v36, v36, v37
	v_lshl_or_b32 v37, v40, 6, v31
	ds_write2st64_b32 v37, v30, v36 offset1:1
.LBB904_15:
	s_or_b64 exec, exec, s[10:11]
	s_load_dwordx2 s[10:11], s[0:1], 0x94
	s_waitcnt lgkmcnt(0)
	s_barrier
	ds_read2_b32 v[36:37], v31 offset1:16
	ds_read2_b32 v[42:43], v31 offset0:32 offset1:48
	ds_read2_b32 v[44:45], v31 offset0:64 offset1:80
	s_waitcnt lgkmcnt(2)
	v_max3_f32 v30, v36, s5, v37
	s_waitcnt lgkmcnt(1)
	v_max3_f32 v30, v30, v42, v43
	v_sub_f32_e32 v36, v36, v30
	v_mul_f32_e32 v36, 0x3fb8aa3b, v36
	v_exp_f32_e32 v46, v36
	v_sub_f32_e32 v36, v37, v30
	v_mul_f32_e32 v36, 0x3fb8aa3b, v36
	v_exp_f32_e32 v47, v36
	v_sub_f32_e32 v36, v42, v30
	v_mul_f32_e32 v36, 0x3fb8aa3b, v36
	v_exp_f32_e32 v42, v36
	ds_read2_b32 v[36:37], v31 offset0:96 offset1:112
	v_sub_f32_e32 v31, v43, v30
	v_mul_f32_e32 v31, 0x3fb8aa3b, v31
	v_exp_f32_e32 v43, v31
	s_waitcnt lgkmcnt(1)
	v_fma_f32 v31, v46, v44, 0
	v_fmac_f32_e32 v31, v47, v45
	s_waitcnt lgkmcnt(0)
	v_fmac_f32_e32 v31, v42, v36
	v_fmac_f32_e32 v31, v43, v37
	v_add_f32_e32 v37, 0x358637bd, v31
	v_div_scale_f32 v44, s[12:13], v37, v37, 1.0
	v_rcp_f32_e32 v45, v44
	s_barrier
	v_fma_f32 v48, -v44, v45, 1.0
	v_fmac_f32_e32 v45, v48, v45
	v_div_scale_f32 v48, vcc, 1.0, v37, 1.0
	v_mul_f32_e32 v49, v48, v45
	v_fma_f32 v50, -v44, v49, v48
	v_fmac_f32_e32 v49, v50, v45
	v_fma_f32 v44, -v44, v49, v48
	v_div_fmas_f32 v44, v44, v45, v49
	v_cmp_eq_u32_e32 vcc, 1, v40
	v_div_fixup_f32 v37, v44, v37, 1.0
	v_mov_b32_e32 v36, 0
	v_cndmask_b32_e32 v44, v46, v47, vcc
	v_cmp_eq_u32_e32 vcc, 2, v40
	s_nop 1
	v_cndmask_b32_e32 v42, v44, v42, vcc
	v_cmp_eq_u32_e32 vcc, 3, v40
	s_nop 1
	v_cndmask_b32_e32 v42, v42, v43, vcc
	v_mul_f32_e32 v42, v42, v37
	v_pk_mul_f32 v[18:19], v[42:43], v[18:19] op_sel_hi:[0,1]
	v_cvt_f16_f32_e32 v18, v18
	v_cvt_f16_f32_e32 v19, v19
	v_pk_mul_f32 v[34:35], v[42:43], v[34:35] op_sel_hi:[0,1]
	v_cvt_f16_f32_e32 v37, v34
	v_cvt_f16_f32_e32 v35, v35
	v_pack_b32_f16 v34, v18, v19
	v_pk_mul_f32 v[18:19], v[42:43], v[32:33] op_sel_hi:[0,1]
	v_pk_mul_f32 v[26:27], v[42:43], v[26:27] op_sel_hi:[0,1]
	v_cvt_f16_f32_e32 v26, v26
	v_cvt_f16_f32_e32 v27, v27
	;; [unrolled: 1-line block ×4, first 2 shown]
	v_pack_b32_f16 v35, v37, v35
	v_lshlrev_b32_e32 v37, 3, v38
	v_lshlrev_b32_e32 v18, 11, v40
	v_or3_b32 v18, v18, v41, v37
	v_pack_b32_f16 v26, v26, v27
	v_pack_b32_f16 v27, v32, v19
	ds_write2st64_b64 v18, v[34:35], v[26:27] offset1:1
	v_pk_mul_f32 v[24:25], v[42:43], v[24:25] op_sel_hi:[0,1]
	v_pk_mul_f32 v[26:27], v[42:43], v[28:29] op_sel_hi:[0,1]
	;; [unrolled: 1-line block ×4, first 2 shown]
	v_cvt_f16_f32_e32 v19, v26
	v_cvt_f16_f32_e32 v26, v27
	;; [unrolled: 1-line block ×8, first 2 shown]
	v_pack_b32_f16 v20, v19, v26
	v_pack_b32_f16 v21, v24, v25
	;; [unrolled: 1-line block ×4, first 2 shown]
	v_cmp_eq_u32_e32 vcc, 0, v0
	ds_write2st64_b64 v18, v[20:21], v[22:23] offset0:2 offset1:3
	s_and_saveexec_b64 s[12:13], vcc
	s_cbranch_execz .LBB904_17
; %bb.16:
	s_mul_i32 s3, s3, s11
	s_mul_hi_u32 s5, s2, s11
	s_add_i32 s5, s5, s3
	s_mul_i32 s3, s2, s11
	s_add_u32 s3, s3, s4
	s_addc_u32 s5, s5, 0
	s_load_dwordx4 s[16:19], s[0:1], 0x58
	s_mul_i32 s5, s5, s10
	s_mul_hi_u32 s14, s3, s10
	s_add_i32 s5, s14, s5
	s_mul_i32 s3, s3, s10
	s_add_u32 s14, s3, s30
	s_addc_u32 s15, s5, 0
	s_lshl_b64 s[14:15], s[14:15], 2
	s_waitcnt lgkmcnt(0)
	s_add_u32 s18, s18, s14
	s_addc_u32 s19, s19, s15
	s_add_u32 s14, s16, s14
	s_addc_u32 s15, s17, s15
	global_store_dword v36, v30, s[18:19]
	global_store_dword v36, v31, s[14:15]
.LBB904_17:
	s_or_b64 exec, exec, s[12:13]
	s_waitcnt vmcnt(3)
	v_cvt_pk_f32_fp8_e32 v[20:21], v14
	v_cvt_pk_f32_fp8_sdwa v[22:23], v14 src0_sel:WORD_1
	v_lshl_or_b32 v14, v38, 9, v41
	s_waitcnt lgkmcnt(0)
	s_barrier
	v_cvt_pk_f32_fp8_e32 v[24:25], v15
	v_cvt_pkrtz_f16_f32 v28, v20, v21
	v_cvt_pkrtz_f16_f32 v29, v22, v23
	v_cvt_pk_f32_fp8_sdwa v[26:27], v15 src0_sel:WORD_1
	ds_read_b128 v[20:23], v14
	v_cvt_pkrtz_f16_f32 v32, v24, v25
	v_cvt_pk_f32_fp8_e32 v[34:35], v16
	v_cvt_pkrtz_f16_f32 v33, v26, v27
	ds_read_b128 v[24:27], v14 offset:16
	v_cvt_pk_f32_fp8_sdwa v[36:37], v16 src0_sel:WORD_1
	s_waitcnt lgkmcnt(1)
	v_mfma_f32_16x16x16_f16 v[28:31], v[28:29], v[20:21], 0
	v_cvt_pkrtz_f16_f32 v34, v34, v35
	s_load_dword s12, s[46:47], 0x0
	v_cvt_pkrtz_f16_f32 v35, v36, v37
	v_cvt_pk_f32_fp8_e32 v[36:37], v17
	v_cvt_pk_f32_fp8_sdwa v[16:17], v17 src0_sel:WORD_1
	v_mfma_f32_16x16x16_f16 v[20:23], v[32:33], v[22:23], v[28:31]
	v_cmp_gt_u32_e32 vcc, 64, v0
	s_and_b64 s[6:7], s[6:7], vcc
	s_mov_b32 s3, 0
	v_cvt_pkrtz_f16_f32 v28, v36, v37
	v_cvt_pkrtz_f16_f32 v29, v16, v17
	s_waitcnt lgkmcnt(0)
	v_mfma_f32_16x16x16_f16 v[20:23], v[34:35], v[24:25], v[20:23]
	s_waitcnt vmcnt(2)
	v_cvt_pk_f32_fp8_e32 v[16:17], v10
	v_cvt_pk_f32_fp8_sdwa v[24:25], v10 src0_sel:WORD_1
	v_cvt_pk_f32_fp8_sdwa v[34:35], v12 src0_sel:WORD_1
	v_mfma_f32_16x16x16_f16 v[20:23], v[28:29], v[26:27], v[20:23]
	v_cvt_pk_f32_fp8_e32 v[26:27], v11
	v_cvt_pkrtz_f16_f32 v10, v16, v17
	v_cvt_pk_f32_fp8_sdwa v[16:17], v11 src0_sel:WORD_1
	v_cvt_pkrtz_f16_f32 v11, v24, v25
	v_cvt_pkrtz_f16_f32 v32, v26, v27
	ds_read_b128 v[24:27], v14 offset:2048
	ds_read_b128 v[28:31], v14 offset:2064
	v_cvt_pkrtz_f16_f32 v33, v16, v17
	v_cvt_pk_f32_fp8_e32 v[16:17], v12
	s_waitcnt lgkmcnt(1)
	v_mfma_f32_16x16x16_f16 v[20:23], v[10:11], v[24:25], v[20:23]
	v_cvt_pkrtz_f16_f32 v11, v34, v35
	v_cvt_pkrtz_f16_f32 v10, v16, v17
	v_cvt_pk_f32_fp8_e32 v[16:17], v13
	v_cvt_pk_f32_fp8_sdwa v[24:25], v13 src0_sel:WORD_1
	v_mfma_f32_16x16x16_f16 v[20:23], v[32:33], v[26:27], v[20:23]
	s_and_b64 s[6:7], s[6:7], s[8:9]
	v_cvt_pkrtz_f16_f32 v16, v16, v17
	v_cvt_pkrtz_f16_f32 v17, v24, v25
	s_waitcnt lgkmcnt(0)
	v_mfma_f32_16x16x16_f16 v[10:13], v[10:11], v[28:29], v[20:23]
	s_waitcnt vmcnt(1)
	v_cvt_pk_f32_fp8_sdwa v[24:25], v7 src0_sel:WORD_1
	v_cvt_pk_f32_fp8_e32 v[28:29], v8
	v_cvt_pk_f32_fp8_e32 v[20:21], v6
	v_mfma_f32_16x16x16_f16 v[10:13], v[16:17], v[30:31], v[10:13]
	v_cvt_pk_f32_fp8_sdwa v[16:17], v6 src0_sel:WORD_1
	v_cvt_pk_f32_fp8_e32 v[22:23], v7
	v_cvt_pkrtz_f16_f32 v6, v20, v21
	v_cvt_pk_f32_fp8_sdwa v[30:31], v8 src0_sel:WORD_1
	v_cvt_pkrtz_f16_f32 v7, v16, v17
	v_cvt_pkrtz_f16_f32 v16, v22, v23
	ds_read_b128 v[20:23], v14 offset:4096
	v_cvt_pkrtz_f16_f32 v17, v24, v25
	ds_read_b128 v[24:27], v14 offset:4112
	s_waitcnt lgkmcnt(1)
	v_mfma_f32_16x16x16_f16 v[10:13], v[6:7], v[20:21], v[10:13]
	v_cvt_pkrtz_f16_f32 v6, v28, v29
	v_cvt_pkrtz_f16_f32 v7, v30, v31
	v_cvt_pk_f32_fp8_e32 v[20:21], v9
	v_mfma_f32_16x16x16_f16 v[10:13], v[16:17], v[22:23], v[10:13]
	v_cvt_pk_f32_fp8_sdwa v[16:17], v9 src0_sel:WORD_1
	v_cvt_pkrtz_f16_f32 v20, v20, v21
	s_waitcnt lgkmcnt(0)
	v_mfma_f32_16x16x16_f16 v[6:9], v[6:7], v[24:25], v[10:13]
	v_cvt_pkrtz_f16_f32 v21, v16, v17
	s_waitcnt vmcnt(0)
	v_cvt_pk_f32_fp8_e32 v[16:17], v3
	v_cvt_pk_f32_fp8_sdwa v[24:25], v4 src0_sel:WORD_1
	v_cvt_pk_f32_fp8_e32 v[10:11], v2
	v_cvt_pk_f32_fp8_sdwa v[12:13], v2 src0_sel:WORD_1
	v_mfma_f32_16x16x16_f16 v[6:9], v[20:21], v[26:27], v[6:9]
	v_cvt_pk_f32_fp8_sdwa v[20:21], v3 src0_sel:WORD_1
	v_cvt_pkrtz_f16_f32 v2, v10, v11
	v_cvt_pkrtz_f16_f32 v3, v12, v13
	ds_read_b128 v[10:13], v14 offset:6144
	v_cvt_pkrtz_f16_f32 v22, v16, v17
	v_cvt_pkrtz_f16_f32 v23, v20, v21
	v_cvt_pk_f32_fp8_e32 v[20:21], v4
	s_waitcnt lgkmcnt(0)
	v_mfma_f32_16x16x16_f16 v[6:9], v[2:3], v[10:11], v[6:9]
	ds_read_b128 v[14:17], v14 offset:6160
	v_cvt_pkrtz_f16_f32 v2, v20, v21
	v_cvt_pkrtz_f16_f32 v3, v24, v25
	v_cvt_pk_f32_fp8_e32 v[10:11], v5
	v_mfma_f32_16x16x16_f16 v[6:9], v[22:23], v[12:13], v[6:9]
	v_cvt_pk_f32_fp8_sdwa v[12:13], v5 src0_sel:WORD_1
	s_waitcnt lgkmcnt(0)
	v_cvt_pkrtz_f16_f32 v10, v10, v11
	v_mfma_f32_16x16x16_f16 v[2:5], v[2:3], v[14:15], v[6:9]
	v_cvt_pkrtz_f16_f32 v11, v12, v13
	s_barrier
	s_nop 0
	v_mfma_f32_16x16x16_f16 v[2:5], v[10:11], v[16:17], v[2:5]
	s_nop 6
	v_pk_mul_f32 v[4:5], v[4:5], s[12:13] op_sel_hi:[1,0]
	v_pk_mul_f32 v[2:3], v[2:3], s[12:13] op_sel_hi:[1,0]
	v_cvt_f16_f32_e32 v4, v4
	v_cvt_f16_f32_e32 v2, v2
	;; [unrolled: 1-line block ×4, first 2 shown]
	v_pack_b32_f16 v2, v2, v3
	v_pack_b32_f16 v3, v4, v5
	ds_write_b64 v18, v[2:3]
	s_waitcnt lgkmcnt(0)
	s_barrier
	s_and_saveexec_b64 s[8:9], s[6:7]
	s_cbranch_execz .LBB904_19
; %bb.18:
	s_load_dwordx2 s[0:1], s[0:1], 0x68
	s_mul_i32 s2, s11, s2
	s_lshl_b32 s5, s10, 6
	s_mul_hi_u32 s7, s2, s5
	s_mul_i32 s6, s2, s5
	s_lshl_b64 s[6:7], s[6:7], 1
	v_lshlrev_b32_e32 v0, 10, v0
	s_waitcnt lgkmcnt(0)
	s_add_u32 s6, s0, s6
	v_and_b32_e32 v0, 0x1800, v0
	v_lshlrev_b32_e32 v2, 5, v38
	v_and_b32_e32 v3, 16, v39
	s_addc_u32 s7, s1, s7
	s_lshl_b32 s2, s30, 6
	v_or3_b32 v0, v0, v2, v3
	s_lshl_b64 s[0:1], s[2:3], 1
	ds_read_b128 v[2:5], v0
	s_add_u32 s2, s6, s0
	s_addc_u32 s3, s7, s1
	s_mul_hi_u32 s1, s5, s4
	s_mul_i32 s0, s5, s4
	s_lshl_b64 s[0:1], s[0:1], 1
	s_add_u32 s0, s2, s0
	s_addc_u32 s1, s3, s1
	s_waitcnt lgkmcnt(0)
	global_store_dwordx4 v1, v[2:5], s[0:1]
.LBB904_19:
	s_endpgm
	.section	.rodata,"a",@progbits
	.p2align	6, 0x0
	.amdhsa_kernel _Z39paged_attention_ll4mi_QKV_mfma16_kernelIDF16_hLN4vllm18Fp8KVCacheDataTypeE1EDF16_Li32ELi64ELi256ELb1ELi1EEvPKT_PKT0_S7_ifPKiS9_S9_iPKfiiiPfSC_PS2_PT2_iSB_SB_
		.amdhsa_group_segment_fixed_size 8192
		.amdhsa_private_segment_fixed_size 0
		.amdhsa_kernarg_size 400
		.amdhsa_user_sgpr_count 2
		.amdhsa_user_sgpr_dispatch_ptr 0
		.amdhsa_user_sgpr_queue_ptr 0
		.amdhsa_user_sgpr_kernarg_segment_ptr 1
		.amdhsa_user_sgpr_dispatch_id 0
		.amdhsa_user_sgpr_kernarg_preload_length 0
		.amdhsa_user_sgpr_kernarg_preload_offset 0
		.amdhsa_user_sgpr_private_segment_size 0
		.amdhsa_uses_dynamic_stack 0
		.amdhsa_enable_private_segment 0
		.amdhsa_system_sgpr_workgroup_id_x 1
		.amdhsa_system_sgpr_workgroup_id_y 1
		.amdhsa_system_sgpr_workgroup_id_z 1
		.amdhsa_system_sgpr_workgroup_info 0
		.amdhsa_system_vgpr_workitem_id 0
		.amdhsa_next_free_vgpr 73
		.amdhsa_next_free_sgpr 52
		.amdhsa_accum_offset 76
		.amdhsa_reserve_vcc 1
		.amdhsa_float_round_mode_32 0
		.amdhsa_float_round_mode_16_64 0
		.amdhsa_float_denorm_mode_32 3
		.amdhsa_float_denorm_mode_16_64 3
		.amdhsa_dx10_clamp 1
		.amdhsa_ieee_mode 1
		.amdhsa_fp16_overflow 0
		.amdhsa_tg_split 0
		.amdhsa_exception_fp_ieee_invalid_op 0
		.amdhsa_exception_fp_denorm_src 0
		.amdhsa_exception_fp_ieee_div_zero 0
		.amdhsa_exception_fp_ieee_overflow 0
		.amdhsa_exception_fp_ieee_underflow 0
		.amdhsa_exception_fp_ieee_inexact 0
		.amdhsa_exception_int_div_zero 0
	.end_amdhsa_kernel
	.section	.text._Z39paged_attention_ll4mi_QKV_mfma16_kernelIDF16_hLN4vllm18Fp8KVCacheDataTypeE1EDF16_Li32ELi64ELi256ELb1ELi1EEvPKT_PKT0_S7_ifPKiS9_S9_iPKfiiiPfSC_PS2_PT2_iSB_SB_,"axG",@progbits,_Z39paged_attention_ll4mi_QKV_mfma16_kernelIDF16_hLN4vllm18Fp8KVCacheDataTypeE1EDF16_Li32ELi64ELi256ELb1ELi1EEvPKT_PKT0_S7_ifPKiS9_S9_iPKfiiiPfSC_PS2_PT2_iSB_SB_,comdat
.Lfunc_end904:
	.size	_Z39paged_attention_ll4mi_QKV_mfma16_kernelIDF16_hLN4vllm18Fp8KVCacheDataTypeE1EDF16_Li32ELi64ELi256ELb1ELi1EEvPKT_PKT0_S7_ifPKiS9_S9_iPKfiiiPfSC_PS2_PT2_iSB_SB_, .Lfunc_end904-_Z39paged_attention_ll4mi_QKV_mfma16_kernelIDF16_hLN4vllm18Fp8KVCacheDataTypeE1EDF16_Li32ELi64ELi256ELb1ELi1EEvPKT_PKT0_S7_ifPKiS9_S9_iPKfiiiPfSC_PS2_PT2_iSB_SB_
                                        ; -- End function
	.section	.AMDGPU.csdata,"",@progbits
; Kernel info:
; codeLenInByte = 4800
; NumSgprs: 58
; NumVgprs: 73
; NumAgprs: 0
; TotalNumVgprs: 73
; ScratchSize: 0
; MemoryBound: 0
; FloatMode: 240
; IeeeMode: 1
; LDSByteSize: 8192 bytes/workgroup (compile time only)
; SGPRBlocks: 7
; VGPRBlocks: 9
; NumSGPRsForWavesPerEU: 58
; NumVGPRsForWavesPerEU: 73
; AccumOffset: 76
; Occupancy: 6
; WaveLimiterHint : 1
; COMPUTE_PGM_RSRC2:SCRATCH_EN: 0
; COMPUTE_PGM_RSRC2:USER_SGPR: 2
; COMPUTE_PGM_RSRC2:TRAP_HANDLER: 0
; COMPUTE_PGM_RSRC2:TGID_X_EN: 1
; COMPUTE_PGM_RSRC2:TGID_Y_EN: 1
; COMPUTE_PGM_RSRC2:TGID_Z_EN: 1
; COMPUTE_PGM_RSRC2:TIDIG_COMP_CNT: 0
; COMPUTE_PGM_RSRC3_GFX90A:ACCUM_OFFSET: 18
; COMPUTE_PGM_RSRC3_GFX90A:TG_SPLIT: 0
	.section	.text._Z39paged_attention_ll4mi_QKV_mfma16_kernelIDF16_hLN4vllm18Fp8KVCacheDataTypeE1EDF16_Li32ELi64ELi256ELb1ELi2EEvPKT_PKT0_S7_ifPKiS9_S9_iPKfiiiPfSC_PS2_PT2_iSB_SB_,"axG",@progbits,_Z39paged_attention_ll4mi_QKV_mfma16_kernelIDF16_hLN4vllm18Fp8KVCacheDataTypeE1EDF16_Li32ELi64ELi256ELb1ELi2EEvPKT_PKT0_S7_ifPKiS9_S9_iPKfiiiPfSC_PS2_PT2_iSB_SB_,comdat
	.protected	_Z39paged_attention_ll4mi_QKV_mfma16_kernelIDF16_hLN4vllm18Fp8KVCacheDataTypeE1EDF16_Li32ELi64ELi256ELb1ELi2EEvPKT_PKT0_S7_ifPKiS9_S9_iPKfiiiPfSC_PS2_PT2_iSB_SB_ ; -- Begin function _Z39paged_attention_ll4mi_QKV_mfma16_kernelIDF16_hLN4vllm18Fp8KVCacheDataTypeE1EDF16_Li32ELi64ELi256ELb1ELi2EEvPKT_PKT0_S7_ifPKiS9_S9_iPKfiiiPfSC_PS2_PT2_iSB_SB_
	.globl	_Z39paged_attention_ll4mi_QKV_mfma16_kernelIDF16_hLN4vllm18Fp8KVCacheDataTypeE1EDF16_Li32ELi64ELi256ELb1ELi2EEvPKT_PKT0_S7_ifPKiS9_S9_iPKfiiiPfSC_PS2_PT2_iSB_SB_
	.p2align	8
	.type	_Z39paged_attention_ll4mi_QKV_mfma16_kernelIDF16_hLN4vllm18Fp8KVCacheDataTypeE1EDF16_Li32ELi64ELi256ELb1ELi2EEvPKT_PKT0_S7_ifPKiS9_S9_iPKfiiiPfSC_PS2_PT2_iSB_SB_,@function
_Z39paged_attention_ll4mi_QKV_mfma16_kernelIDF16_hLN4vllm18Fp8KVCacheDataTypeE1EDF16_Li32ELi64ELi256ELb1ELi2EEvPKT_PKT0_S7_ifPKiS9_S9_iPKfiiiPfSC_PS2_PT2_iSB_SB_: ; @_Z39paged_attention_ll4mi_QKV_mfma16_kernelIDF16_hLN4vllm18Fp8KVCacheDataTypeE1EDF16_Li32ELi64ELi256ELb1ELi2EEvPKT_PKT0_S7_ifPKiS9_S9_iPKfiiiPfSC_PS2_PT2_iSB_SB_
; %bb.0:
	s_load_dwordx2 s[8:9], s[0:1], 0x30
	s_mov_b32 s28, s3
	s_mov_b64 s[6:7], 0
	s_waitcnt lgkmcnt(0)
	s_cmp_lg_u64 s[8:9], 0
	s_cselect_b64 s[10:11], -1, 0
	s_and_b64 vcc, exec, s[10:11]
	s_cbranch_vccz .LBB905_7
; %bb.1:
	s_add_i32 s12, s2, 1
	s_mov_b32 s13, 0
	s_lshl_b64 s[14:15], s[12:13], 2
	s_add_u32 s14, s8, s14
	s_mov_b32 s3, s13
	s_addc_u32 s15, s9, s15
	s_lshl_b64 s[12:13], s[2:3], 2
	s_add_u32 s12, s8, s12
	s_addc_u32 s13, s9, s13
	s_load_dword s5, s[14:15], 0x0
	s_load_dword s16, s[12:13], 0x0
	s_waitcnt lgkmcnt(0)
	s_sub_i32 s5, s5, s16
	s_cmp_eq_u32 s5, 1
	s_cselect_b64 s[12:13], -1, 0
	s_andn2_b64 vcc, exec, s[6:7]
	s_cbranch_vccnz .LBB905_3
.LBB905_2:
	s_mov_b32 s3, 0
	s_mov_b64 s[12:13], -1
.LBB905_3:
	s_andn2_b64 vcc, exec, s[12:13]
	s_cbranch_vccnz .LBB905_19
; %bb.4:
	s_load_dwordx2 s[6:7], s[0:1], 0x28
	s_lshl_b64 s[12:13], s[2:3], 2
	s_waitcnt lgkmcnt(0)
	s_add_u32 s6, s6, s12
	s_addc_u32 s7, s7, s13
	s_load_dword s33, s[6:7], 0x0
	s_lshl_b32 s16, s28, 8
	s_waitcnt lgkmcnt(0)
	s_cmp_ge_i32 s16, s33
	s_cbranch_scc1 .LBB905_19
; %bb.5:
	s_load_dwordx2 s[6:7], s[0:1], 0x20
	s_load_dword s5, s[0:1], 0x38
	s_add_i32 s14, s33, 31
	s_ashr_i32 s15, s14, 31
	v_and_b32_e32 v1, 0xcf, v0
	s_lshr_b32 s15, s15, 27
	v_add_u32_e32 v1, s16, v1
	s_add_i32 s14, s14, s15
	v_ashrrev_i32_e32 v2, 31, v1
	s_ashr_i32 s17, s14, 5
	v_lshrrev_b32_e32 v4, 27, v2
	s_add_i32 s17, s17, -1
	s_waitcnt lgkmcnt(0)
	s_mul_i32 s14, s2, s5
	s_mov_b32 s15, 0
	v_add_u32_e32 v2, v1, v4
	s_lshl_b64 s[14:15], s[14:15], 2
	v_ashrrev_i32_e32 v2, 5, v2
	v_mov_b32_e32 v5, s17
	v_cmp_gt_i32_e32 vcc, s33, v1
	s_add_u32 s6, s6, s14
	s_addc_u32 s7, s7, s15
	v_cndmask_b32_e32 v2, v5, v2, vcc
	v_ashrrev_i32_e32 v3, 31, v2
	v_lshl_add_u64 v[6:7], v[2:3], 2, s[6:7]
	v_or_b32_e32 v2, 16, v1
	v_add_u32_e32 v3, v2, v4
	v_ashrrev_i32_e32 v3, 5, v3
	v_cmp_gt_i32_e32 vcc, s33, v2
	s_load_dwordx2 s[14:15], s[0:1], 0x8
	s_nop 0
	v_cndmask_b32_e32 v2, v5, v3, vcc
	v_ashrrev_i32_e32 v3, 31, v2
	v_lshl_add_u64 v[8:9], v[2:3], 2, s[6:7]
	v_or_b32_e32 v2, 32, v1
	v_add_u32_e32 v3, v2, v4
	v_ashrrev_i32_e32 v3, 5, v3
	v_cmp_gt_i32_e32 vcc, s33, v2
	v_or_b32_e32 v1, 48, v1
	s_nop 0
	v_cndmask_b32_e32 v2, v5, v3, vcc
	v_ashrrev_i32_e32 v3, 31, v2
	v_lshl_add_u64 v[10:11], v[2:3], 2, s[6:7]
	v_add_u32_e32 v2, v1, v4
	v_ashrrev_i32_e32 v2, 5, v2
	v_cmp_gt_i32_e32 vcc, s33, v1
	s_nop 1
	v_cndmask_b32_e32 v2, v5, v2, vcc
	v_ashrrev_i32_e32 v3, 31, v2
	v_lshl_add_u64 v[12:13], v[2:3], 2, s[6:7]
	global_load_dword v5, v[6:7], off
	global_load_dword v4, v[8:9], off
	;; [unrolled: 1-line block ×4, first 2 shown]
	s_andn2_b64 vcc, exec, s[10:11]
	s_cbranch_vccnz .LBB905_8
; %bb.6:
	s_add_u32 s8, s8, s12
	s_addc_u32 s9, s9, s13
	s_load_dword s5, s[8:9], 0x0
	s_branch .LBB905_9
.LBB905_7:
	s_mov_b64 s[12:13], 0
	s_branch .LBB905_2
.LBB905_8:
	s_mov_b32 s5, s2
.LBB905_9:
	s_load_dwordx2 s[8:9], s[0:1], 0x10
	s_load_dwordx4 s[44:47], s[0:1], 0x48
	v_lshrrev_b32_e32 v42, 6, v0
	v_bfe_u32 v1, v0, 4, 2
	v_lshl_or_b32 v6, v42, 2, v1
	v_and_b32_e32 v43, 15, v0
	v_lshlrev_b32_e32 v7, 3, v43
	v_cmp_gt_u32_e32 vcc, 2, v6
	v_cmp_gt_u32_e64 s[30:31], 8, v43
	s_lshl_b32 s29, s4, 1
	s_and_b64 s[12:13], s[30:31], vcc
	v_lshlrev_b32_e32 v26, 1, v7
	v_lshlrev_b32_e32 v40, 4, v0
	s_and_saveexec_b64 s[10:11], s[12:13]
	s_cbranch_execz .LBB905_11
; %bb.10:
	s_load_dwordx2 s[12:13], s[0:1], 0x0
	s_waitcnt lgkmcnt(0)
	s_ashr_i32 s18, s44, 31
	s_mul_hi_u32 s19, s5, s44
	s_mul_i32 s18, s5, s18
	s_add_i32 s19, s19, s18
	s_mul_i32 s18, s5, s44
	s_lshl_b64 s[18:19], s[18:19], 1
	s_add_u32 s12, s12, s18
	v_add_lshl_u32 v8, v1, s29, 6
	s_addc_u32 s13, s13, s19
	v_ashrrev_i32_e32 v9, 31, v8
	v_lshl_add_u64 v[8:9], v[8:9], 1, s[12:13]
	v_mov_b32_e32 v27, 0
	v_lshl_add_u64 v[8:9], v[8:9], 0, v[26:27]
	global_load_dwordx4 v[8:11], v[8:9], off
	v_lshlrev_b32_e32 v12, 8, v43
	v_lshlrev_b32_e32 v6, 5, v6
	v_and_b32_e32 v7, 16, v40
	v_and_b32_e32 v12, 0xe00, v12
	v_or3_b32 v6, v12, v6, v7
	s_waitcnt vmcnt(0)
	ds_write_b128 v6, v[8:11]
.LBB905_11:
	s_or_b64 exec, exec, s[10:11]
	s_waitcnt lgkmcnt(0)
	s_mul_i32 s10, s4, s46
	s_add_u32 s4, s14, s10
	s_addc_u32 s5, s15, 0
	v_mov_b32_e32 v29, 0
	v_mov_b64_e32 v[6:7], s[4:5]
	v_lshlrev_b32_e32 v10, 4, v43
	v_and_b32_e32 v27, 48, v0
	s_waitcnt vmcnt(3)
	v_mad_i64_i32 v[8:9], s[4:5], v5, s45, v[6:7]
	v_mov_b32_e32 v11, v29
	s_waitcnt vmcnt(2)
	v_mad_i64_i32 v[4:5], s[4:5], v4, s45, v[6:7]
	v_or_b32_e32 v12, 0x100, v10
	v_mov_b32_e32 v13, v29
	v_lshlrev_b32_e32 v28, 5, v27
	v_lshl_add_u64 v[8:9], v[8:9], 0, v[10:11]
	v_lshl_add_u64 v[4:5], v[4:5], 0, v[12:13]
	;; [unrolled: 1-line block ×4, first 2 shown]
	s_barrier
	global_load_dwordx4 v[22:25], v[8:9], off
	global_load_dwordx4 v[18:21], v[4:5], off
	s_waitcnt vmcnt(3)
	v_mad_i64_i32 v[4:5], s[4:5], v3, s45, v[6:7]
	v_lshl_add_u64 v[4:5], v[4:5], 0, v[10:11]
	s_waitcnt vmcnt(2)
	v_mad_i64_i32 v[2:3], s[4:5], v2, s45, v[6:7]
	v_lshl_add_u64 v[4:5], v[4:5], 0, v[28:29]
	v_lshl_add_u64 v[2:3], v[2:3], 0, v[12:13]
	v_lshl_add_u64 v[2:3], v[2:3], 0, v[28:29]
	global_load_dwordx4 v[14:17], v[4:5], off
	global_load_dwordx4 v[6:9], v[2:3], off
	v_and_b32_e32 v2, 1, v0
	v_lshlrev_b32_e32 v2, 5, v2
	v_lshl_or_b32 v2, v1, 9, v2
	ds_read_b128 v[10:13], v2
	ds_read_b128 v[2:5], v2 offset:16
	v_and_b32_e32 v41, 63, v0
	v_cmp_gt_u32_e32 vcc, 2, v43
	v_mov_b32_e32 v44, 0
	s_and_saveexec_b64 s[4:5], vcc
	s_cbranch_execz .LBB905_13
; %bb.12:
	s_load_dwordx2 s[12:13], s[0:1], 0x40
	v_or_b32_e32 v30, s29, v43
	v_ashrrev_i32_e32 v31, 31, v30
	s_waitcnt lgkmcnt(0)
	v_lshl_add_u64 v[30:31], v[30:31], 2, s[12:13]
	global_load_dword v44, v[30:31], off
.LBB905_13:
	s_or_b64 exec, exec, s[4:5]
	s_ashr_i32 s4, s16, 31
	v_or_b32_e32 v45, s16, v27
	s_lshr_b32 s4, s4, 27
	v_add_u32_e32 v27, s4, v45
	v_ashrrev_i32_e32 v27, 5, v27
	v_mov_b32_e32 v65, s17
	v_cmp_gt_i32_e32 vcc, s33, v45
	s_waitcnt vmcnt(3)
	v_cvt_pk_f32_fp8_sdwa v[32:33], v22 src0_sel:WORD_1
	s_waitcnt vmcnt(2)
	v_cvt_pk_f32_fp8_e32 v[48:49], v18
	v_cndmask_b32_e32 v30, v65, v27, vcc
	v_ashrrev_i32_e32 v31, 31, v30
	v_lshl_add_u64 v[30:31], v[30:31], 2, s[6:7]
	global_load_dword v72, v[30:31], off
	v_cvt_pk_f32_fp8_e32 v[30:31], v22
	v_cvt_pk_f32_fp8_sdwa v[50:51], v18 src0_sel:WORD_1
	v_or_b32_e32 v18, 64, v45
	v_cvt_pk_f32_fp8_e32 v[56:57], v20
	v_cvt_pk_f32_fp8_sdwa v[58:59], v20 src0_sel:WORD_1
	v_cvt_pk_f32_fp8_e32 v[60:61], v21
	v_cvt_pk_f32_fp8_sdwa v[62:63], v21 src0_sel:WORD_1
	v_or_b32_e32 v20, 0xc0, v45
	v_add_u32_e32 v21, s4, v18
	v_cvt_pk_f32_fp8_e32 v[52:53], v19
	v_cvt_pk_f32_fp8_sdwa v[54:55], v19 src0_sel:WORD_1
	v_or_b32_e32 v19, 0x80, v45
	v_add_u32_e32 v64, s4, v20
	v_ashrrev_i32_e32 v21, 5, v21
	v_cmp_gt_i32_e32 vcc, s33, v18
	v_cvt_pk_f32_fp8_e32 v[34:35], v23
	v_cvt_pk_f32_fp8_sdwa v[22:23], v23 src0_sel:WORD_1
	v_add_u32_e32 v45, s4, v19
	v_ashrrev_i32_e32 v67, 5, v64
	v_cndmask_b32_e32 v64, v65, v21, vcc
	v_cmp_gt_i32_e32 vcc, s33, v19
	v_cvt_pkrtz_f16_f32 v18, v30, v31
	v_cvt_pkrtz_f16_f32 v19, v32, v33
	v_cvt_pk_f32_fp8_e32 v[36:37], v24
	v_cvt_pk_f32_fp8_sdwa v[38:39], v24 src0_sel:WORD_1
	v_ashrrev_i32_e32 v45, 5, v45
	v_cvt_pkrtz_f16_f32 v30, v34, v35
	v_cvt_pkrtz_f16_f32 v31, v22, v23
	;; [unrolled: 1-line block ×4, first 2 shown]
	v_cvt_pk_f32_fp8_e32 v[46:47], v25
	v_cvt_pk_f32_fp8_sdwa v[24:25], v25 src0_sel:WORD_1
	v_cndmask_b32_e32 v66, v65, v45, vcc
	v_cmp_gt_i32_e32 vcc, s33, v20
	s_waitcnt lgkmcnt(1)
	v_mfma_f32_16x16x16_f16 v[18:21], v[18:19], v[10:11], 0
	v_cvt_pkrtz_f16_f32 v34, v36, v37
	v_cvt_pkrtz_f16_f32 v35, v38, v39
	;; [unrolled: 1-line block ×5, first 2 shown]
	v_mfma_f32_16x16x16_f16 v[22:25], v[22:23], v[10:11], 0
	s_add_u32 s4, s8, s10
	v_and_b32_e32 v28, 16, v0
	v_lshlrev_b32_e32 v27, 5, v43
	v_mfma_f32_16x16x16_f16 v[30:33], v[30:31], v[12:13], v[18:21]
	s_addc_u32 s5, s9, 0
	s_load_dword s11, s[0:1], 0x1c
	s_load_dwordx4 s[40:43], s[0:1], 0x80
	v_lshl_add_u64 v[70:71], s[4:5], 0, v[28:29]
	v_lshl_or_b32 v28, v42, 9, v27
	v_cvt_pkrtz_f16_f32 v36, v46, v47
	v_cvt_pkrtz_f16_f32 v46, v56, v57
	;; [unrolled: 1-line block ×3, first 2 shown]
	v_mfma_f32_16x16x16_f16 v[20:23], v[38:39], v[12:13], v[22:25]
	v_lshl_add_u64 v[18:19], v[70:71], 0, v[28:29]
	v_cndmask_b32_e32 v68, v65, v67, vcc
	v_ashrrev_i32_e32 v65, 31, v64
	s_waitcnt lgkmcnt(0)
	v_mfma_f32_16x16x16_f16 v[28:31], v[34:35], v[2:3], v[30:33]
	v_ashrrev_i32_e32 v67, 31, v66
	v_ashrrev_i32_e32 v69, 31, v68
	v_lshl_add_u64 v[24:25], v[64:65], 2, s[6:7]
	v_lshl_add_u64 v[32:33], v[66:67], 2, s[6:7]
	;; [unrolled: 1-line block ×3, first 2 shown]
	s_load_dword s4, s[40:41], 0x0
	v_mfma_f32_16x16x16_f16 v[20:23], v[46:47], v[2:3], v[20:23]
	global_load_dword v47, v[24:25], off
	global_load_dword v45, v[32:33], off
	;; [unrolled: 1-line block ×3, first 2 shown]
	s_waitcnt vmcnt(5)
	v_cvt_pk_f32_fp8_e32 v[24:25], v14
	v_cvt_pkrtz_f16_f32 v48, v60, v61
	v_mfma_f32_16x16x16_f16 v[32:35], v[36:37], v[4:5], v[28:31]
	v_cvt_pkrtz_f16_f32 v49, v62, v63
	v_cvt_pk_f32_fp8_e32 v[36:37], v15
	v_cvt_pkrtz_f16_f32 v24, v24, v25
	v_cvt_pk_f32_fp8_sdwa v[30:31], v14 src0_sel:WORD_1
	v_cvt_pk_f32_fp8_sdwa v[14:15], v15 src0_sel:WORD_1
	v_mov_b32_e32 v38, s11
	v_mfma_f32_16x16x16_f16 v[20:23], v[48:49], v[4:5], v[20:23]
	v_cvt_pkrtz_f16_f32 v25, v30, v31
	v_cvt_pkrtz_f16_f32 v30, v36, v37
	v_cvt_pk_f32_fp8_e32 v[48:49], v16
	v_cvt_pk_f32_fp8_sdwa v[52:53], v16 src0_sel:WORD_1
	v_cvt_pkrtz_f16_f32 v31, v14, v15
	s_waitcnt lgkmcnt(0)
	v_mul_f32_e32 v50, s4, v38
	v_mfma_f32_16x16x16_f16 v[36:39], v[24:25], v[10:11], 0
	v_cvt_pkrtz_f16_f32 v24, v48, v49
	v_cvt_pkrtz_f16_f32 v25, v52, v53
	v_cvt_pk_f32_fp8_e32 v[48:49], v17
	v_cvt_pk_f32_fp8_sdwa v[52:53], v17 src0_sel:WORD_1
	v_mfma_f32_16x16x16_f16 v[14:17], v[30:31], v[12:13], v[36:39]
	v_pk_mul_f32 v[30:31], v[50:51], v[34:35] op_sel_hi:[0,1]
	v_cvt_pkrtz_f16_f32 v34, v48, v49
	v_cvt_pkrtz_f16_f32 v35, v52, v53
	v_mfma_f32_16x16x16_f16 v[14:17], v[24:25], v[2:3], v[14:17]
	v_pk_mul_f32 v[36:37], v[50:51], v[32:33] op_sel_hi:[0,1]
	s_waitcnt vmcnt(4)
	v_cvt_pk_f32_fp8_e32 v[24:25], v6
	v_cvt_pk_f32_fp8_sdwa v[32:33], v6 src0_sel:WORD_1
	v_mfma_f32_16x16x16_f16 v[14:17], v[34:35], v[4:5], v[14:17]
	v_cvt_pk_f32_fp8_e32 v[34:35], v7
	v_cvt_pkrtz_f16_f32 v24, v24, v25
	v_cvt_pkrtz_f16_f32 v25, v32, v33
	v_cvt_pk_f32_fp8_sdwa v[6:7], v7 src0_sel:WORD_1
	v_cvt_pkrtz_f16_f32 v38, v34, v35
	v_cvt_pk_f32_fp8_e32 v[48:49], v8
	v_cvt_pk_f32_fp8_sdwa v[52:53], v8 src0_sel:WORD_1
	v_cvt_pkrtz_f16_f32 v39, v6, v7
	v_mfma_f32_16x16x16_f16 v[32:35], v[24:25], v[10:11], 0
	v_cvt_pkrtz_f16_f32 v10, v48, v49
	v_cvt_pkrtz_f16_f32 v11, v52, v53
	v_cvt_pk_f32_fp8_e32 v[24:25], v9
	v_cvt_pk_f32_fp8_sdwa v[48:49], v9 src0_sel:WORD_1
	v_mfma_f32_16x16x16_f16 v[6:9], v[38:39], v[12:13], v[32:35]
	v_pk_mul_f32 v[38:39], v[50:51], v[20:21] op_sel_hi:[0,1]
	v_cvt_pkrtz_f16_f32 v12, v24, v25
	v_cvt_pkrtz_f16_f32 v13, v48, v49
	v_mfma_f32_16x16x16_f16 v[6:9], v[10:11], v[2:3], v[6:9]
	v_pk_mul_f32 v[34:35], v[50:51], v[22:23] op_sel_hi:[0,1]
	v_pk_mul_f32 v[24:25], v[50:51], v[16:17] op_sel_hi:[0,1]
	;; [unrolled: 1-line block ×3, first 2 shown]
	v_mfma_f32_16x16x16_f16 v[2:5], v[12:13], v[4:5], v[6:9]
	s_waitcnt vmcnt(3)
	v_mad_i64_i32 v[28:29], s[4:5], v72, s45, v[18:19]
	s_mov_b32 s44, 0xff7fffff
	s_nop 3
	v_pk_mul_f32 v[22:23], v[50:51], v[2:3] op_sel_hi:[0,1]
	v_and_b32_e32 v2, 0xc0, v0
	v_add_u32_e32 v2, s16, v2
	v_lshl_or_b32 v2, v1, 2, v2
	v_or_b32_e32 v3, 1, v2
	v_pk_mul_f32 v[20:21], v[50:51], v[4:5] op_sel_hi:[0,1]
	v_subrev_u32_e32 v4, s33, v3
	v_add_u32_e32 v6, 1, v4
	v_add_u32_e32 v7, 2, v4
	;; [unrolled: 1-line block ×3, first 2 shown]
	v_cvt_f32_i32_e32 v6, v6
	v_cvt_f32_i32_e32 v7, v7
	;; [unrolled: 1-line block ×3, first 2 shown]
	v_add_u32_e32 v9, 19, v4
	v_fmac_f32_e32 v37, v44, v6
	v_fma_f32 v30, v44, v7, v30
	v_fmac_f32_e32 v31, v44, v8
	v_add_u32_e32 v6, 16, v4
	v_add_u32_e32 v7, 17, v4
	;; [unrolled: 1-line block ×3, first 2 shown]
	v_cvt_f32_i32_e32 v6, v6
	v_cvt_f32_i32_e32 v7, v7
	;; [unrolled: 1-line block ×4, first 2 shown]
	v_fma_f32 v38, v44, v6, v38
	v_fmac_f32_e32 v39, v44, v7
	v_fma_f32 v34, v44, v8, v34
	v_add_u32_e32 v6, 32, v4
	v_add_u32_e32 v7, 33, v4
	;; [unrolled: 1-line block ×3, first 2 shown]
	v_cvt_f32_i32_e32 v6, v6
	v_cvt_f32_i32_e32 v7, v7
	;; [unrolled: 1-line block ×4, first 2 shown]
	v_fmac_f32_e32 v35, v44, v9
	v_add_u32_e32 v9, 35, v4
	v_fma_f32 v48, v44, v6, v32
	v_fmac_f32_e32 v33, v44, v7
	v_fma_f32 v24, v44, v8, v24
	v_add_u32_e32 v6, 48, v4
	v_add_u32_e32 v7, 49, v4
	;; [unrolled: 1-line block ×4, first 2 shown]
	v_cvt_f32_i32_e32 v4, v4
	v_cvt_f32_i32_e32 v6, v6
	;; [unrolled: 1-line block ×3, first 2 shown]
	v_fma_f32 v5, v44, v5, v36
	v_fmac_f32_e32 v21, v44, v4
	v_mov_b32_e32 v4, 0xff7fffff
	v_cmp_gt_i32_e64 s[4:5], s33, v2
	v_cmp_gt_i32_e64 s[34:35], s33, v3
	v_fma_f32 v22, v44, v6, v22
	v_cndmask_b32_e64 v6, v4, v5, s[4:5]
	v_cndmask_b32_e64 v3, v4, v37, s[34:35]
	v_fmac_f32_e32 v23, v44, v7
	v_max3_f32 v3, v6, s44, v3
	v_or_b32_e32 v6, 2, v2
	v_or_b32_e32 v7, 3, v2
	v_cmp_gt_i32_e64 s[36:37], s33, v6
	v_cmp_gt_i32_e64 s[38:39], s33, v7
	v_cvt_f32_i32_e32 v9, v9
	v_cndmask_b32_e64 v6, v4, v30, s[36:37]
	v_cndmask_b32_e64 v7, v4, v31, s[38:39]
	v_max3_f32 v3, v3, v6, v7
	v_or_b32_e32 v6, 16, v2
	v_or_b32_e32 v7, 17, v2
	v_cmp_gt_i32_e64 s[24:25], s33, v6
	v_cmp_gt_i32_e64 s[26:27], s33, v7
	v_fmac_f32_e32 v25, v44, v9
	v_cndmask_b32_e64 v6, v4, v38, s[24:25]
	v_cndmask_b32_e64 v7, v4, v39, s[26:27]
	v_max3_f32 v3, v3, v6, v7
	v_or_b32_e32 v6, 18, v2
	v_or_b32_e32 v7, 19, v2
	v_cmp_gt_i32_e64 s[20:21], s33, v6
	v_cmp_gt_i32_e64 s[22:23], s33, v7
	v_cvt_f32_i32_e32 v8, v8
	v_cndmask_b32_e64 v6, v4, v34, s[20:21]
	v_cndmask_b32_e64 v7, v4, v35, s[22:23]
	v_max3_f32 v3, v3, v6, v7
	v_or_b32_e32 v6, 32, v2
	v_or_b32_e32 v7, 33, v2
	v_cmp_gt_i32_e64 s[16:17], s33, v6
	v_cmp_gt_i32_e64 s[18:19], s33, v7
	v_fma_f32 v20, v44, v8, v20
	v_cndmask_b32_e64 v6, v4, v48, s[16:17]
	v_cndmask_b32_e64 v7, v4, v33, s[18:19]
	v_max3_f32 v3, v3, v6, v7
	v_or_b32_e32 v6, 34, v2
	v_or_b32_e32 v7, 35, v2
	v_cmp_gt_i32_e64 s[12:13], s33, v6
	v_cmp_gt_i32_e64 s[14:15], s33, v7
	s_nop 0
	v_cndmask_b32_e64 v6, v4, v24, s[12:13]
	v_cndmask_b32_e64 v7, v4, v25, s[14:15]
	v_max3_f32 v3, v3, v6, v7
	v_or_b32_e32 v6, 48, v2
	v_or_b32_e32 v7, 49, v2
	v_cmp_gt_i32_e64 s[8:9], s33, v6
	v_cmp_gt_i32_e64 s[10:11], s33, v7
	s_nop 0
	v_cndmask_b32_e64 v6, v4, v22, s[8:9]
	v_cndmask_b32_e64 v7, v4, v23, s[10:11]
	v_max3_f32 v3, v3, v6, v7
	v_or_b32_e32 v6, 50, v2
	v_or_b32_e32 v2, 51, v2
	v_cmp_gt_i32_e32 vcc, s33, v6
	v_cmp_gt_i32_e64 s[6:7], s33, v2
	s_nop 0
	v_cndmask_b32_e32 v6, v4, v20, vcc
	v_cndmask_b32_e64 v2, v4, v21, s[6:7]
	v_max3_f32 v4, v3, v6, v2
	v_mbcnt_lo_u32_b32 v2, -1, 0
	v_mbcnt_hi_u32_b32 v6, -1, v2
	v_and_b32_e32 v2, 64, v6
	v_add_u32_e32 v7, 64, v2
	v_xor_b32_e32 v2, 32, v6
	v_cmp_lt_i32_e64 s[40:41], v2, v7
	s_nop 1
	v_cndmask_b32_e64 v2, v6, v2, s[40:41]
	v_lshlrev_b32_e32 v44, 2, v2
	ds_bpermute_b32 v8, v44, v4
	s_waitcnt vmcnt(2)
	v_mad_i64_i32 v[2:3], s[40:41], v47, s45, v[18:19]
	global_load_dwordx4 v[14:17], v[28:29], off
	global_load_dwordx4 v[10:13], v[2:3], off
	v_xor_b32_e32 v3, 16, v6
	v_cmp_lt_i32_e64 s[40:41], v3, v7
	s_waitcnt lgkmcnt(0)
	v_max_f32_e32 v2, v8, v8
	v_max_f32_e32 v2, v4, v2
	v_cndmask_b32_e64 v3, v6, v3, s[40:41]
	v_lshlrev_b32_e32 v47, 2, v3
	ds_bpermute_b32 v3, v47, v2
	s_waitcnt vmcnt(3)
	v_mad_i64_i32 v[28:29], s[40:41], v45, s45, v[18:19]
	s_waitcnt vmcnt(2)
	v_mad_i64_i32 v[18:19], s[40:41], v46, s45, v[18:19]
	s_waitcnt lgkmcnt(0)
	v_max_f32_e32 v3, v3, v3
	v_max_f32_e32 v32, v2, v3
	v_sub_f32_e32 v2, v5, v32
	v_mul_f32_e32 v2, 0x3fb8aa3b, v2
	v_exp_f32_e32 v36, v2
	v_sub_f32_e32 v2, v37, v32
	v_mul_f32_e32 v2, 0x3fb8aa3b, v2
	v_exp_f32_e32 v37, v2
	global_load_dwordx4 v[6:9], v[28:29], off
	global_load_dwordx4 v[2:5], v[18:19], off
	v_sub_f32_e32 v29, v30, v32
	v_sub_f32_e32 v30, v31, v32
	v_mul_f32_e32 v29, 0x3fb8aa3b, v29
	v_mul_f32_e32 v30, 0x3fb8aa3b, v30
	v_exp_f32_e32 v29, v29
	v_exp_f32_e32 v30, v30
	v_cndmask_b32_e64 v18, 0, v36, s[4:5]
	v_cndmask_b32_e64 v19, 0, v37, s[34:35]
	;; [unrolled: 1-line block ×4, first 2 shown]
	v_sub_f32_e32 v29, v38, v32
	v_sub_f32_e32 v30, v39, v32
	v_mul_f32_e32 v29, 0x3fb8aa3b, v29
	v_mul_f32_e32 v30, 0x3fb8aa3b, v30
	v_exp_f32_e32 v29, v29
	v_exp_f32_e32 v30, v30
	v_add_f32_e32 v28, 0, v18
	v_add_f32_e32 v28, v28, v19
	;; [unrolled: 1-line block ×4, first 2 shown]
	v_cndmask_b32_e64 v28, 0, v29, s[24:25]
	v_cndmask_b32_e64 v29, 0, v30, s[26:27]
	v_sub_f32_e32 v30, v34, v32
	v_mul_f32_e32 v30, 0x3fb8aa3b, v30
	v_exp_f32_e32 v30, v30
	v_sub_f32_e32 v34, v35, v32
	v_add_f32_e32 v31, v31, v28
	v_mul_f32_e32 v34, 0x3fb8aa3b, v34
	v_exp_f32_e32 v35, v34
	v_add_f32_e32 v31, v31, v29
	v_cndmask_b32_e64 v34, 0, v30, s[20:21]
	v_add_f32_e32 v30, v31, v34
	v_sub_f32_e32 v31, v48, v32
	v_mul_f32_e32 v31, 0x3fb8aa3b, v31
	v_sub_f32_e32 v33, v33, v32
	v_exp_f32_e32 v31, v31
	v_mul_f32_e32 v33, 0x3fb8aa3b, v33
	v_sub_f32_e32 v24, v24, v32
	v_exp_f32_e32 v33, v33
	;; [unrolled: 3-line block ×3, first 2 shown]
	v_mul_f32_e32 v25, 0x3fb8aa3b, v25
	v_sub_f32_e32 v22, v22, v32
	v_cndmask_b32_e64 v35, 0, v35, s[22:23]
	v_exp_f32_e32 v25, v25
	v_mul_f32_e32 v22, 0x3fb8aa3b, v22
	v_sub_f32_e32 v23, v23, v32
	v_add_f32_e32 v38, v30, v35
	v_cndmask_b32_e64 v30, 0, v31, s[16:17]
	v_exp_f32_e32 v22, v22
	v_mul_f32_e32 v23, 0x3fb8aa3b, v23
	v_sub_f32_e32 v20, v20, v32
	v_add_f32_e32 v38, v38, v30
	;; [unrolled: 5-line block ×3, first 2 shown]
	v_cndmask_b32_e64 v24, 0, v24, s[12:13]
	v_exp_f32_e32 v20, v20
	v_mul_f32_e32 v21, 0x3fb8aa3b, v21
	v_add_f32_e32 v33, v33, v24
	v_cndmask_b32_e64 v25, 0, v25, s[14:15]
	v_exp_f32_e32 v21, v21
	v_add_f32_e32 v33, v33, v25
	v_cndmask_b32_e64 v22, 0, v22, s[8:9]
	v_add_f32_e32 v33, v33, v22
	v_cndmask_b32_e64 v23, 0, v23, s[10:11]
	v_add_f32_e32 v33, v33, v23
	v_cndmask_b32_e32 v20, 0, v20, vcc
	v_add_f32_e32 v33, v33, v20
	v_cndmask_b32_e64 v21, 0, v21, s[6:7]
	v_add_f32_e32 v33, v33, v21
	ds_bpermute_b32 v38, v44, v33
	s_load_dword s7, s[0:1], 0x98
	v_cmp_gt_u32_e32 vcc, 16, v41
	s_waitcnt lgkmcnt(0)
	s_barrier
	v_add_f32_e32 v38, v33, v38
	ds_bpermute_b32 v39, v47, v38
	v_lshlrev_b32_e32 v33, 2, v43
	s_waitcnt lgkmcnt(0)
	s_and_saveexec_b64 s[4:5], vcc
	s_cbranch_execz .LBB905_15
; %bb.14:
	v_add_f32_e32 v38, v38, v39
	v_lshl_or_b32 v39, v42, 6, v33
	ds_write2st64_b32 v39, v32, v38 offset1:1
.LBB905_15:
	s_or_b64 exec, exec, s[4:5]
	s_load_dword s6, s[0:1], 0x94
	s_waitcnt lgkmcnt(0)
	s_barrier
	ds_read2_b32 v[38:39], v33 offset1:16
	ds_read2_b32 v[44:45], v33 offset0:32 offset1:48
	ds_read2_b32 v[46:47], v33 offset0:64 offset1:80
	s_lshl_b32 s7, s7, 1
	s_waitcnt lgkmcnt(2)
	v_max3_f32 v32, v38, s44, v39
	s_waitcnt lgkmcnt(1)
	v_max3_f32 v32, v32, v44, v45
	v_sub_f32_e32 v38, v38, v32
	v_mul_f32_e32 v38, 0x3fb8aa3b, v38
	v_exp_f32_e32 v43, v38
	v_sub_f32_e32 v38, v39, v32
	v_mul_f32_e32 v38, 0x3fb8aa3b, v38
	v_exp_f32_e32 v48, v38
	;; [unrolled: 3-line block ×3, first 2 shown]
	ds_read2_b32 v[38:39], v33 offset0:96 offset1:112
	v_sub_f32_e32 v33, v45, v32
	v_mul_f32_e32 v33, 0x3fb8aa3b, v33
	v_exp_f32_e32 v45, v33
	s_waitcnt lgkmcnt(1)
	v_fma_f32 v33, v43, v46, 0
	v_fmac_f32_e32 v33, v48, v47
	s_waitcnt lgkmcnt(0)
	v_fmac_f32_e32 v33, v44, v38
	v_fmac_f32_e32 v33, v45, v39
	v_add_f32_e32 v38, 0x358637bd, v33
	v_div_scale_f32 v39, s[4:5], v38, v38, 1.0
	v_rcp_f32_e32 v46, v39
	s_barrier
	v_fma_f32 v47, -v39, v46, 1.0
	v_fmac_f32_e32 v46, v47, v46
	v_div_scale_f32 v47, vcc, 1.0, v38, 1.0
	v_mul_f32_e32 v49, v47, v46
	v_fma_f32 v50, -v39, v49, v47
	v_fmac_f32_e32 v49, v50, v46
	v_fma_f32 v39, -v39, v49, v47
	v_div_fmas_f32 v39, v39, v46, v49
	v_cmp_eq_u32_e32 vcc, 1, v42
	v_div_fixup_f32 v38, v39, v38, 1.0
	s_nop 0
	v_cndmask_b32_e32 v39, v43, v48, vcc
	v_cmp_eq_u32_e32 vcc, 2, v42
	s_nop 1
	v_cndmask_b32_e32 v39, v39, v44, vcc
	v_cmp_eq_u32_e32 vcc, 3, v42
	s_nop 1
	v_cndmask_b32_e32 v39, v39, v45, vcc
	v_mul_f32_e32 v38, v39, v38
	v_pk_mul_f32 v[36:37], v[38:39], v[36:37] op_sel_hi:[0,1]
	v_pk_mul_f32 v[18:19], v[38:39], v[18:19] op_sel_hi:[0,1]
	v_cvt_f16_f32_e32 v39, v36
	v_cvt_f16_f32_e32 v37, v37
	;; [unrolled: 1-line block ×4, first 2 shown]
	v_cmp_gt_u32_e32 vcc, 2, v0
	v_pack_b32_f16 v37, v39, v37
	v_lshlrev_b32_e32 v39, 3, v1
	v_pack_b32_f16 v36, v18, v19
	v_pk_mul_f32 v[18:19], v[38:39], v[34:35] op_sel_hi:[0,1]
	v_pk_mul_f32 v[28:29], v[38:39], v[28:29] op_sel_hi:[0,1]
	v_cvt_f16_f32_e32 v28, v28
	v_cvt_f16_f32_e32 v29, v29
	;; [unrolled: 1-line block ×4, first 2 shown]
	v_lshlrev_b32_e32 v18, 11, v42
	v_or3_b32 v18, v18, v27, v39
	v_pack_b32_f16 v28, v28, v29
	v_pack_b32_f16 v29, v34, v19
	ds_write2st64_b64 v18, v[36:37], v[28:29] offset1:1
	v_pk_mul_f32 v[24:25], v[38:39], v[24:25] op_sel_hi:[0,1]
	v_pk_mul_f32 v[28:29], v[38:39], v[30:31] op_sel_hi:[0,1]
	;; [unrolled: 1-line block ×4, first 2 shown]
	v_cvt_f16_f32_e32 v19, v28
	v_cvt_f16_f32_e32 v28, v29
	;; [unrolled: 1-line block ×8, first 2 shown]
	v_pack_b32_f16 v20, v19, v28
	v_pack_b32_f16 v21, v24, v25
	;; [unrolled: 1-line block ×4, first 2 shown]
	ds_write2st64_b64 v18, v[20:21], v[22:23] offset0:2 offset1:3
	s_and_saveexec_b64 s[4:5], vcc
	s_cbranch_execz .LBB905_17
; %bb.16:
	v_or_b32_e32 v20, s29, v0
	v_mov_b32_e32 v21, 0
	v_mov_b32_e32 v19, s7
	v_mad_u64_u32 v[22:23], s[12:13], s2, v19, v[20:21]
	v_mov_b32_e32 v20, s28
	s_load_dwordx4 s[8:11], s[0:1], 0x58
	s_mul_i32 s3, s3, s7
	v_mad_u64_u32 v[20:21], s[12:13], v22, s6, v[20:21]
	v_add_u32_e32 v19, s3, v23
	v_mov_b32_e32 v22, v21
	v_mad_u64_u32 v[22:23], s[12:13], v19, s6, v[22:23]
	v_mov_b32_e32 v21, v22
	v_lshlrev_b64 v[20:21], 2, v[20:21]
	s_waitcnt lgkmcnt(0)
	v_lshl_add_u64 v[22:23], s[10:11], 0, v[20:21]
	v_lshl_add_u64 v[20:21], s[8:9], 0, v[20:21]
	global_store_dword v[22:23], v32, off
	global_store_dword v[20:21], v33, off
.LBB905_17:
	s_or_b64 exec, exec, s[4:5]
	s_waitcnt vmcnt(3)
	v_cvt_pk_f32_fp8_e32 v[20:21], v14
	v_cvt_pk_f32_fp8_sdwa v[22:23], v14 src0_sel:WORD_1
	v_lshl_or_b32 v14, v1, 9, v27
	s_waitcnt lgkmcnt(0)
	s_barrier
	v_cvt_pk_f32_fp8_e32 v[24:25], v15
	v_cvt_pkrtz_f16_f32 v32, v20, v21
	v_cvt_pkrtz_f16_f32 v33, v22, v23
	v_cvt_pk_f32_fp8_sdwa v[28:29], v15 src0_sel:WORD_1
	ds_read_b128 v[20:23], v14
	v_cvt_pkrtz_f16_f32 v24, v24, v25
	v_cvt_pk_f32_fp8_e32 v[36:37], v16
	v_cvt_pkrtz_f16_f32 v25, v28, v29
	ds_read_b128 v[28:31], v14 offset:16
	v_cvt_pk_f32_fp8_sdwa v[38:39], v16 src0_sel:WORD_1
	s_waitcnt lgkmcnt(1)
	v_mfma_f32_16x16x16_f16 v[32:35], v[32:33], v[20:21], 0
	v_cvt_pkrtz_f16_f32 v36, v36, v37
	s_load_dword s4, s[42:43], 0x0
	v_cvt_pkrtz_f16_f32 v37, v38, v39
	v_cvt_pk_f32_fp8_e32 v[38:39], v17
	v_cvt_pk_f32_fp8_sdwa v[16:17], v17 src0_sel:WORD_1
	v_mfma_f32_16x16x16_f16 v[20:23], v[24:25], v[22:23], v[32:35]
	v_cmp_gt_u32_e32 vcc, 64, v0
	v_cvt_pkrtz_f16_f32 v24, v38, v39
	v_cvt_pkrtz_f16_f32 v25, v16, v17
	s_waitcnt lgkmcnt(0)
	v_mfma_f32_16x16x16_f16 v[20:23], v[36:37], v[28:29], v[20:23]
	s_waitcnt vmcnt(2)
	v_cvt_pk_f32_fp8_e32 v[16:17], v10
	v_cvt_pk_f32_fp8_e32 v[28:29], v11
	v_cvt_pk_f32_fp8_sdwa v[36:37], v12 src0_sel:WORD_1
	v_mfma_f32_16x16x16_f16 v[20:23], v[24:25], v[30:31], v[20:23]
	v_cvt_pk_f32_fp8_sdwa v[24:25], v10 src0_sel:WORD_1
	v_cvt_pkrtz_f16_f32 v10, v16, v17
	v_cvt_pk_f32_fp8_sdwa v[16:17], v11 src0_sel:WORD_1
	ds_read_b128 v[32:35], v14 offset:2064
	v_cvt_pkrtz_f16_f32 v11, v24, v25
	v_cvt_pkrtz_f16_f32 v24, v28, v29
	ds_read_b128 v[28:31], v14 offset:2048
	v_cvt_pkrtz_f16_f32 v25, v16, v17
	v_cvt_pk_f32_fp8_e32 v[16:17], v12
	s_waitcnt lgkmcnt(0)
	v_mfma_f32_16x16x16_f16 v[20:23], v[10:11], v[28:29], v[20:23]
	v_cvt_pkrtz_f16_f32 v10, v16, v17
	v_cvt_pkrtz_f16_f32 v11, v36, v37
	v_cvt_pk_f32_fp8_e32 v[16:17], v13
	v_mfma_f32_16x16x16_f16 v[20:23], v[24:25], v[30:31], v[20:23]
	v_cvt_pk_f32_fp8_sdwa v[24:25], v13 src0_sel:WORD_1
	ds_read_b128 v[28:31], v14 offset:4112
	v_cvt_pkrtz_f16_f32 v16, v16, v17
	v_mfma_f32_16x16x16_f16 v[10:13], v[10:11], v[32:33], v[20:23]
	v_cvt_pkrtz_f16_f32 v17, v24, v25
	s_waitcnt vmcnt(1)
	v_cvt_pk_f32_fp8_sdwa v[24:25], v7 src0_sel:WORD_1
	v_cvt_pk_f32_fp8_sdwa v[32:33], v8 src0_sel:WORD_1
	v_cvt_pk_f32_fp8_e32 v[20:21], v6
	v_mfma_f32_16x16x16_f16 v[10:13], v[16:17], v[34:35], v[10:13]
	v_cvt_pk_f32_fp8_sdwa v[16:17], v6 src0_sel:WORD_1
	v_cvt_pk_f32_fp8_e32 v[22:23], v7
	v_cvt_pkrtz_f16_f32 v6, v20, v21
	s_mov_b32 s3, 0
	v_cvt_pkrtz_f16_f32 v7, v16, v17
	v_cvt_pkrtz_f16_f32 v16, v22, v23
	ds_read_b128 v[20:23], v14 offset:4096
	v_cvt_pkrtz_f16_f32 v17, v24, v25
	v_cvt_pk_f32_fp8_e32 v[24:25], v8
	s_waitcnt lgkmcnt(0)
	v_mfma_f32_16x16x16_f16 v[10:13], v[6:7], v[20:21], v[10:13]
	v_cvt_pkrtz_f16_f32 v6, v24, v25
	v_cvt_pkrtz_f16_f32 v7, v32, v33
	v_cvt_pk_f32_fp8_e32 v[20:21], v9
	v_mfma_f32_16x16x16_f16 v[10:13], v[16:17], v[22:23], v[10:13]
	v_cvt_pk_f32_fp8_sdwa v[16:17], v9 src0_sel:WORD_1
	s_waitcnt vmcnt(0)
	v_cvt_pk_f32_fp8_sdwa v[24:25], v4 src0_sel:WORD_1
	v_cvt_pkrtz_f16_f32 v20, v20, v21
	v_mfma_f32_16x16x16_f16 v[6:9], v[6:7], v[28:29], v[10:13]
	v_cvt_pkrtz_f16_f32 v21, v16, v17
	v_cvt_pk_f32_fp8_e32 v[16:17], v3
	v_mov_b32_e32 v27, 0
	v_cvt_pk_f32_fp8_e32 v[10:11], v2
	v_cvt_pk_f32_fp8_sdwa v[12:13], v2 src0_sel:WORD_1
	v_mfma_f32_16x16x16_f16 v[6:9], v[20:21], v[30:31], v[6:9]
	v_cvt_pk_f32_fp8_sdwa v[20:21], v3 src0_sel:WORD_1
	v_cvt_pkrtz_f16_f32 v2, v10, v11
	v_cvt_pkrtz_f16_f32 v3, v12, v13
	ds_read_b128 v[10:13], v14 offset:6144
	v_cvt_pkrtz_f16_f32 v22, v16, v17
	v_cvt_pkrtz_f16_f32 v23, v20, v21
	v_cvt_pk_f32_fp8_e32 v[20:21], v4
	s_waitcnt lgkmcnt(0)
	v_mfma_f32_16x16x16_f16 v[6:9], v[2:3], v[10:11], v[6:9]
	ds_read_b128 v[14:17], v14 offset:6160
	v_cvt_pkrtz_f16_f32 v2, v20, v21
	v_cvt_pkrtz_f16_f32 v3, v24, v25
	v_cvt_pk_f32_fp8_e32 v[10:11], v5
	v_mfma_f32_16x16x16_f16 v[6:9], v[22:23], v[12:13], v[6:9]
	v_cvt_pk_f32_fp8_sdwa v[12:13], v5 src0_sel:WORD_1
	s_waitcnt lgkmcnt(0)
	v_cvt_pkrtz_f16_f32 v10, v10, v11
	v_mfma_f32_16x16x16_f16 v[2:5], v[2:3], v[14:15], v[6:9]
	v_cvt_pkrtz_f16_f32 v11, v12, v13
	s_barrier
	s_nop 0
	v_mfma_f32_16x16x16_f16 v[2:5], v[10:11], v[16:17], v[2:5]
	s_nop 6
	v_pk_mul_f32 v[4:5], v[4:5], s[4:5] op_sel_hi:[1,0]
	v_pk_mul_f32 v[2:3], v[2:3], s[4:5] op_sel_hi:[1,0]
	v_cvt_f16_f32_e32 v4, v4
	v_cvt_f16_f32_e32 v2, v2
	v_cvt_f16_f32_e32 v3, v3
	v_cvt_f16_f32_e32 v5, v5
	v_cmp_gt_u32_e64 s[4:5], 32, v41
	s_and_b64 s[4:5], s[4:5], vcc
	v_pack_b32_f16 v2, v2, v3
	v_pack_b32_f16 v3, v4, v5
	s_and_b64 s[4:5], s[4:5], s[30:31]
	ds_write_b64 v18, v[2:3]
	s_waitcnt lgkmcnt(0)
	s_barrier
	s_and_saveexec_b64 s[8:9], s[4:5]
	s_cbranch_execz .LBB905_19
; %bb.18:
	s_load_dwordx2 s[0:1], s[0:1], 0x68
	s_mul_i32 s2, s7, s2
	s_lshl_b32 s6, s6, 6
	s_mul_hi_u32 s5, s2, s6
	s_mul_i32 s4, s2, s6
	v_lshlrev_b32_e32 v0, 10, v0
	s_lshl_b64 s[4:5], s[4:5], 1
	v_and_b32_e32 v0, 0x1800, v0
	v_lshlrev_b32_e32 v2, 5, v1
	v_and_b32_e32 v3, 16, v40
	s_waitcnt lgkmcnt(0)
	s_add_u32 s4, s0, s4
	v_or3_b32 v0, v0, v2, v3
	s_addc_u32 s5, s1, s5
	s_lshl_b32 s2, s28, 6
	ds_read_b128 v[2:5], v0
	s_lshl_b64 s[0:1], s[2:3], 1
	s_add_u32 s0, s4, s0
	v_or_b32_e32 v0, s29, v1
	s_addc_u32 s1, s5, s1
	v_mad_u64_u32 v[0:1], s[2:3], s6, v0, 0
	v_lshl_add_u64 v[0:1], v[0:1], 1, s[0:1]
	v_lshl_add_u64 v[0:1], v[0:1], 0, v[26:27]
	s_waitcnt lgkmcnt(0)
	global_store_dwordx4 v[0:1], v[2:5], off
.LBB905_19:
	s_endpgm
	.section	.rodata,"a",@progbits
	.p2align	6, 0x0
	.amdhsa_kernel _Z39paged_attention_ll4mi_QKV_mfma16_kernelIDF16_hLN4vllm18Fp8KVCacheDataTypeE1EDF16_Li32ELi64ELi256ELb1ELi2EEvPKT_PKT0_S7_ifPKiS9_S9_iPKfiiiPfSC_PS2_PT2_iSB_SB_
		.amdhsa_group_segment_fixed_size 8192
		.amdhsa_private_segment_fixed_size 0
		.amdhsa_kernarg_size 400
		.amdhsa_user_sgpr_count 2
		.amdhsa_user_sgpr_dispatch_ptr 0
		.amdhsa_user_sgpr_queue_ptr 0
		.amdhsa_user_sgpr_kernarg_segment_ptr 1
		.amdhsa_user_sgpr_dispatch_id 0
		.amdhsa_user_sgpr_kernarg_preload_length 0
		.amdhsa_user_sgpr_kernarg_preload_offset 0
		.amdhsa_user_sgpr_private_segment_size 0
		.amdhsa_uses_dynamic_stack 0
		.amdhsa_enable_private_segment 0
		.amdhsa_system_sgpr_workgroup_id_x 1
		.amdhsa_system_sgpr_workgroup_id_y 1
		.amdhsa_system_sgpr_workgroup_id_z 1
		.amdhsa_system_sgpr_workgroup_info 0
		.amdhsa_system_vgpr_workitem_id 0
		.amdhsa_next_free_vgpr 73
		.amdhsa_next_free_sgpr 48
		.amdhsa_accum_offset 76
		.amdhsa_reserve_vcc 1
		.amdhsa_float_round_mode_32 0
		.amdhsa_float_round_mode_16_64 0
		.amdhsa_float_denorm_mode_32 3
		.amdhsa_float_denorm_mode_16_64 3
		.amdhsa_dx10_clamp 1
		.amdhsa_ieee_mode 1
		.amdhsa_fp16_overflow 0
		.amdhsa_tg_split 0
		.amdhsa_exception_fp_ieee_invalid_op 0
		.amdhsa_exception_fp_denorm_src 0
		.amdhsa_exception_fp_ieee_div_zero 0
		.amdhsa_exception_fp_ieee_overflow 0
		.amdhsa_exception_fp_ieee_underflow 0
		.amdhsa_exception_fp_ieee_inexact 0
		.amdhsa_exception_int_div_zero 0
	.end_amdhsa_kernel
	.section	.text._Z39paged_attention_ll4mi_QKV_mfma16_kernelIDF16_hLN4vllm18Fp8KVCacheDataTypeE1EDF16_Li32ELi64ELi256ELb1ELi2EEvPKT_PKT0_S7_ifPKiS9_S9_iPKfiiiPfSC_PS2_PT2_iSB_SB_,"axG",@progbits,_Z39paged_attention_ll4mi_QKV_mfma16_kernelIDF16_hLN4vllm18Fp8KVCacheDataTypeE1EDF16_Li32ELi64ELi256ELb1ELi2EEvPKT_PKT0_S7_ifPKiS9_S9_iPKfiiiPfSC_PS2_PT2_iSB_SB_,comdat
.Lfunc_end905:
	.size	_Z39paged_attention_ll4mi_QKV_mfma16_kernelIDF16_hLN4vllm18Fp8KVCacheDataTypeE1EDF16_Li32ELi64ELi256ELb1ELi2EEvPKT_PKT0_S7_ifPKiS9_S9_iPKfiiiPfSC_PS2_PT2_iSB_SB_, .Lfunc_end905-_Z39paged_attention_ll4mi_QKV_mfma16_kernelIDF16_hLN4vllm18Fp8KVCacheDataTypeE1EDF16_Li32ELi64ELi256ELb1ELi2EEvPKT_PKT0_S7_ifPKiS9_S9_iPKfiiiPfSC_PS2_PT2_iSB_SB_
                                        ; -- End function
	.section	.AMDGPU.csdata,"",@progbits
; Kernel info:
; codeLenInByte = 4860
; NumSgprs: 54
; NumVgprs: 73
; NumAgprs: 0
; TotalNumVgprs: 73
; ScratchSize: 0
; MemoryBound: 0
; FloatMode: 240
; IeeeMode: 1
; LDSByteSize: 8192 bytes/workgroup (compile time only)
; SGPRBlocks: 6
; VGPRBlocks: 9
; NumSGPRsForWavesPerEU: 54
; NumVGPRsForWavesPerEU: 73
; AccumOffset: 76
; Occupancy: 6
; WaveLimiterHint : 1
; COMPUTE_PGM_RSRC2:SCRATCH_EN: 0
; COMPUTE_PGM_RSRC2:USER_SGPR: 2
; COMPUTE_PGM_RSRC2:TRAP_HANDLER: 0
; COMPUTE_PGM_RSRC2:TGID_X_EN: 1
; COMPUTE_PGM_RSRC2:TGID_Y_EN: 1
; COMPUTE_PGM_RSRC2:TGID_Z_EN: 1
; COMPUTE_PGM_RSRC2:TIDIG_COMP_CNT: 0
; COMPUTE_PGM_RSRC3_GFX90A:ACCUM_OFFSET: 18
; COMPUTE_PGM_RSRC3_GFX90A:TG_SPLIT: 0
	.section	.text._Z39paged_attention_ll4mi_QKV_mfma16_kernelIDF16_hLN4vllm18Fp8KVCacheDataTypeE1EDF16_Li32ELi64ELi256ELb1ELi3EEvPKT_PKT0_S7_ifPKiS9_S9_iPKfiiiPfSC_PS2_PT2_iSB_SB_,"axG",@progbits,_Z39paged_attention_ll4mi_QKV_mfma16_kernelIDF16_hLN4vllm18Fp8KVCacheDataTypeE1EDF16_Li32ELi64ELi256ELb1ELi3EEvPKT_PKT0_S7_ifPKiS9_S9_iPKfiiiPfSC_PS2_PT2_iSB_SB_,comdat
	.protected	_Z39paged_attention_ll4mi_QKV_mfma16_kernelIDF16_hLN4vllm18Fp8KVCacheDataTypeE1EDF16_Li32ELi64ELi256ELb1ELi3EEvPKT_PKT0_S7_ifPKiS9_S9_iPKfiiiPfSC_PS2_PT2_iSB_SB_ ; -- Begin function _Z39paged_attention_ll4mi_QKV_mfma16_kernelIDF16_hLN4vllm18Fp8KVCacheDataTypeE1EDF16_Li32ELi64ELi256ELb1ELi3EEvPKT_PKT0_S7_ifPKiS9_S9_iPKfiiiPfSC_PS2_PT2_iSB_SB_
	.globl	_Z39paged_attention_ll4mi_QKV_mfma16_kernelIDF16_hLN4vllm18Fp8KVCacheDataTypeE1EDF16_Li32ELi64ELi256ELb1ELi3EEvPKT_PKT0_S7_ifPKiS9_S9_iPKfiiiPfSC_PS2_PT2_iSB_SB_
	.p2align	8
	.type	_Z39paged_attention_ll4mi_QKV_mfma16_kernelIDF16_hLN4vllm18Fp8KVCacheDataTypeE1EDF16_Li32ELi64ELi256ELb1ELi3EEvPKT_PKT0_S7_ifPKiS9_S9_iPKfiiiPfSC_PS2_PT2_iSB_SB_,@function
_Z39paged_attention_ll4mi_QKV_mfma16_kernelIDF16_hLN4vllm18Fp8KVCacheDataTypeE1EDF16_Li32ELi64ELi256ELb1ELi3EEvPKT_PKT0_S7_ifPKiS9_S9_iPKfiiiPfSC_PS2_PT2_iSB_SB_: ; @_Z39paged_attention_ll4mi_QKV_mfma16_kernelIDF16_hLN4vllm18Fp8KVCacheDataTypeE1EDF16_Li32ELi64ELi256ELb1ELi3EEvPKT_PKT0_S7_ifPKiS9_S9_iPKfiiiPfSC_PS2_PT2_iSB_SB_
; %bb.0:
	s_load_dwordx2 s[6:7], s[0:1], 0x30
	s_mov_b32 s28, s3
	s_mov_b64 s[8:9], 0
	s_waitcnt lgkmcnt(0)
	s_cmp_lg_u64 s[6:7], 0
	s_cselect_b64 s[10:11], -1, 0
	s_and_b64 vcc, exec, s[10:11]
	s_cbranch_vccz .LBB906_7
; %bb.1:
	s_add_i32 s12, s2, 1
	s_mov_b32 s13, 0
	s_lshl_b64 s[14:15], s[12:13], 2
	s_add_u32 s14, s6, s14
	s_mov_b32 s3, s13
	s_addc_u32 s15, s7, s15
	s_lshl_b64 s[12:13], s[2:3], 2
	s_add_u32 s12, s6, s12
	s_addc_u32 s13, s7, s13
	s_load_dword s5, s[14:15], 0x0
	s_load_dword s16, s[12:13], 0x0
	s_waitcnt lgkmcnt(0)
	s_sub_i32 s5, s5, s16
	s_cmp_eq_u32 s5, 1
	s_cselect_b64 s[12:13], -1, 0
	s_andn2_b64 vcc, exec, s[8:9]
	s_cbranch_vccnz .LBB906_3
.LBB906_2:
	s_mov_b32 s3, 0
	s_mov_b64 s[12:13], -1
.LBB906_3:
	s_andn2_b64 vcc, exec, s[12:13]
	s_cbranch_vccnz .LBB906_19
; %bb.4:
	s_load_dwordx2 s[8:9], s[0:1], 0x28
	s_lshl_b64 s[12:13], s[2:3], 2
	s_waitcnt lgkmcnt(0)
	s_add_u32 s8, s8, s12
	s_addc_u32 s9, s9, s13
	s_load_dword s29, s[8:9], 0x0
	s_lshl_b32 s16, s28, 8
	s_waitcnt lgkmcnt(0)
	s_cmp_ge_i32 s16, s29
	s_cbranch_scc1 .LBB906_19
; %bb.5:
	s_load_dwordx2 s[8:9], s[0:1], 0x20
	s_load_dword s5, s[0:1], 0x38
	s_add_i32 s14, s29, 31
	s_ashr_i32 s15, s14, 31
	v_and_b32_e32 v1, 0xcf, v0
	s_lshr_b32 s15, s15, 27
	v_add_u32_e32 v1, s16, v1
	s_add_i32 s14, s14, s15
	v_ashrrev_i32_e32 v2, 31, v1
	s_ashr_i32 s17, s14, 5
	v_lshrrev_b32_e32 v4, 27, v2
	s_add_i32 s17, s17, -1
	s_waitcnt lgkmcnt(0)
	s_mul_i32 s14, s2, s5
	s_mov_b32 s15, 0
	v_add_u32_e32 v2, v1, v4
	s_lshl_b64 s[14:15], s[14:15], 2
	v_ashrrev_i32_e32 v2, 5, v2
	v_mov_b32_e32 v5, s17
	v_cmp_gt_i32_e32 vcc, s29, v1
	s_add_u32 s8, s8, s14
	s_addc_u32 s9, s9, s15
	v_cndmask_b32_e32 v2, v5, v2, vcc
	v_ashrrev_i32_e32 v3, 31, v2
	v_lshl_add_u64 v[6:7], v[2:3], 2, s[8:9]
	v_or_b32_e32 v2, 16, v1
	v_add_u32_e32 v3, v2, v4
	v_ashrrev_i32_e32 v3, 5, v3
	v_cmp_gt_i32_e32 vcc, s29, v2
	s_load_dwordx2 s[14:15], s[0:1], 0x8
	s_nop 0
	v_cndmask_b32_e32 v2, v5, v3, vcc
	v_ashrrev_i32_e32 v3, 31, v2
	v_lshl_add_u64 v[8:9], v[2:3], 2, s[8:9]
	v_or_b32_e32 v2, 32, v1
	v_add_u32_e32 v3, v2, v4
	v_ashrrev_i32_e32 v3, 5, v3
	v_cmp_gt_i32_e32 vcc, s29, v2
	v_or_b32_e32 v1, 48, v1
	s_nop 0
	v_cndmask_b32_e32 v2, v5, v3, vcc
	v_ashrrev_i32_e32 v3, 31, v2
	v_lshl_add_u64 v[10:11], v[2:3], 2, s[8:9]
	v_add_u32_e32 v2, v1, v4
	v_ashrrev_i32_e32 v2, 5, v2
	v_cmp_gt_i32_e32 vcc, s29, v1
	s_nop 1
	v_cndmask_b32_e32 v2, v5, v2, vcc
	v_ashrrev_i32_e32 v3, 31, v2
	v_lshl_add_u64 v[12:13], v[2:3], 2, s[8:9]
	global_load_dword v5, v[6:7], off
	global_load_dword v4, v[8:9], off
	;; [unrolled: 1-line block ×4, first 2 shown]
	s_andn2_b64 vcc, exec, s[10:11]
	s_cbranch_vccnz .LBB906_8
; %bb.6:
	s_add_u32 s6, s6, s12
	s_addc_u32 s7, s7, s13
	s_load_dword s5, s[6:7], 0x0
	s_branch .LBB906_9
.LBB906_7:
	s_mov_b64 s[12:13], 0
	s_branch .LBB906_2
.LBB906_8:
	s_mov_b32 s5, s2
.LBB906_9:
	s_load_dwordx2 s[10:11], s[0:1], 0x10
	s_load_dwordx4 s[44:47], s[0:1], 0x48
	v_lshrrev_b32_e32 v29, 6, v0
	v_bfe_u32 v42, v0, 4, 2
	v_lshl_or_b32 v6, v29, 2, v42
	v_and_b32_e32 v28, 15, v0
	s_mul_i32 s48, s4, 3
	v_lshlrev_b32_e32 v7, 3, v28
	v_cmp_gt_u32_e32 vcc, 3, v6
	v_cmp_gt_u32_e64 s[30:31], 8, v28
	v_add_u32_e32 v1, s48, v42
	s_and_b64 s[12:13], s[30:31], vcc
	v_lshlrev_b32_e32 v26, 1, v7
	v_lshlrev_b32_e32 v43, 4, v0
	s_and_saveexec_b64 s[6:7], s[12:13]
	s_cbranch_execz .LBB906_11
; %bb.10:
	s_load_dwordx2 s[12:13], s[0:1], 0x0
	s_waitcnt lgkmcnt(0)
	s_ashr_i32 s18, s44, 31
	s_mul_hi_u32 s19, s5, s44
	s_mul_i32 s18, s5, s18
	s_add_i32 s19, s19, s18
	s_mul_i32 s18, s5, s44
	s_lshl_b64 s[18:19], s[18:19], 1
	s_add_u32 s12, s12, s18
	v_lshlrev_b32_e32 v8, 6, v1
	s_addc_u32 s13, s13, s19
	v_ashrrev_i32_e32 v9, 31, v8
	v_lshl_add_u64 v[8:9], v[8:9], 1, s[12:13]
	v_mov_b32_e32 v27, 0
	v_lshl_add_u64 v[8:9], v[8:9], 0, v[26:27]
	global_load_dwordx4 v[8:11], v[8:9], off
	v_lshlrev_b32_e32 v12, 8, v28
	v_lshlrev_b32_e32 v6, 5, v6
	v_and_b32_e32 v7, 16, v43
	v_and_b32_e32 v12, 0xe00, v12
	v_or3_b32 v6, v12, v6, v7
	s_waitcnt vmcnt(0)
	ds_write_b128 v6, v[8:11]
.LBB906_11:
	s_or_b64 exec, exec, s[6:7]
	s_waitcnt lgkmcnt(0)
	s_mul_i32 s12, s4, s46
	s_add_u32 s4, s14, s12
	s_addc_u32 s5, s15, 0
	v_mov_b32_e32 v31, 0
	v_mov_b64_e32 v[6:7], s[4:5]
	v_lshlrev_b32_e32 v10, 4, v28
	v_and_b32_e32 v27, 48, v0
	s_waitcnt vmcnt(3)
	v_mad_i64_i32 v[8:9], s[4:5], v5, s45, v[6:7]
	v_mov_b32_e32 v11, v31
	s_waitcnt vmcnt(2)
	v_mad_i64_i32 v[4:5], s[4:5], v4, s45, v[6:7]
	v_or_b32_e32 v12, 0x100, v10
	v_mov_b32_e32 v13, v31
	v_lshlrev_b32_e32 v30, 5, v27
	v_lshl_add_u64 v[8:9], v[8:9], 0, v[10:11]
	v_lshl_add_u64 v[4:5], v[4:5], 0, v[12:13]
	;; [unrolled: 1-line block ×4, first 2 shown]
	s_barrier
	global_load_dwordx4 v[22:25], v[8:9], off
	global_load_dwordx4 v[18:21], v[4:5], off
	s_waitcnt vmcnt(3)
	v_mad_i64_i32 v[4:5], s[4:5], v3, s45, v[6:7]
	v_lshl_add_u64 v[4:5], v[4:5], 0, v[10:11]
	s_waitcnt vmcnt(2)
	v_mad_i64_i32 v[2:3], s[4:5], v2, s45, v[6:7]
	v_lshl_add_u64 v[4:5], v[4:5], 0, v[30:31]
	v_lshl_add_u64 v[2:3], v[2:3], 0, v[12:13]
	;; [unrolled: 1-line block ×3, first 2 shown]
	global_load_dwordx4 v[14:17], v[4:5], off
	global_load_dwordx4 v[6:9], v[2:3], off
	v_mul_lo_u16_e32 v2, 0x56, v28
	v_mov_b32_e32 v3, 3
	v_mul_lo_u16_sdwa v2, v2, v3 dst_sel:DWORD dst_unused:UNUSED_PAD src0_sel:BYTE_1 src1_sel:DWORD
	v_sub_u16_e32 v2, v28, v2
	v_mov_b32_e32 v3, 5
	v_lshlrev_b32_sdwa v2, v3, v2 dst_sel:DWORD dst_unused:UNUSED_PAD src0_sel:DWORD src1_sel:BYTE_0
	v_lshl_add_u32 v2, v42, 9, v2
	ds_read_b128 v[10:13], v2
	ds_read_b128 v[2:5], v2 offset:16
	v_and_b32_e32 v44, 63, v0
	v_cmp_gt_u32_e32 vcc, 3, v28
	v_mov_b32_e32 v45, 0
	s_and_saveexec_b64 s[4:5], vcc
	s_cbranch_execz .LBB906_13
; %bb.12:
	s_load_dwordx2 s[6:7], s[0:1], 0x40
	v_add_u32_e32 v32, s48, v28
	v_ashrrev_i32_e32 v33, 31, v32
	s_waitcnt lgkmcnt(0)
	v_lshl_add_u64 v[32:33], v[32:33], 2, s[6:7]
	global_load_dword v45, v[32:33], off
.LBB906_13:
	s_or_b64 exec, exec, s[4:5]
	s_ashr_i32 s4, s16, 31
	v_or_b32_e32 v64, s16, v27
	s_lshr_b32 s13, s4, 27
	v_add_u32_e32 v27, s13, v64
	v_ashrrev_i32_e32 v27, 5, v27
	s_waitcnt vmcnt(3)
	v_cvt_pk_f32_fp8_e32 v[32:33], v22
	v_cvt_pk_f32_fp8_sdwa v[34:35], v22 src0_sel:WORD_1
	s_waitcnt vmcnt(2)
	v_cvt_pk_f32_fp8_e32 v[56:57], v20
	v_cvt_pk_f32_fp8_sdwa v[58:59], v20 src0_sel:WORD_1
	v_mov_b32_e32 v20, s17
	v_cmp_gt_i32_e32 vcc, s29, v64
	v_cvt_pk_f32_fp8_e32 v[48:49], v18
	v_cvt_pk_f32_fp8_sdwa v[50:51], v18 src0_sel:WORD_1
	v_cndmask_b32_e32 v18, v20, v27, vcc
	v_cvt_pk_f32_fp8_e32 v[52:53], v19
	v_cvt_pk_f32_fp8_sdwa v[54:55], v19 src0_sel:WORD_1
	v_ashrrev_i32_e32 v19, 31, v18
	v_lshl_add_u64 v[18:19], v[18:19], 2, s[8:9]
	v_cvt_pk_f32_fp8_e32 v[36:37], v23
	v_cvt_pk_f32_fp8_sdwa v[22:23], v23 src0_sel:WORD_1
	global_load_dword v70, v[18:19], off
	v_cvt_pkrtz_f16_f32 v18, v32, v33
	v_cvt_pkrtz_f16_f32 v19, v34, v35
	v_cvt_pk_f32_fp8_e32 v[60:61], v21
	v_cvt_pk_f32_fp8_sdwa v[62:63], v21 src0_sel:WORD_1
	v_or_b32_e32 v21, 64, v64
	v_or_b32_e32 v32, 0x80, v64
	;; [unrolled: 1-line block ×3, first 2 shown]
	v_cmp_gt_i32_e32 vcc, s29, v21
	v_add_u32_e32 v21, s13, v21
	v_cmp_gt_i32_e64 s[4:5], s29, v32
	v_add_u32_e32 v32, s13, v32
	v_cmp_gt_i32_e64 s[6:7], s29, v33
	v_add_u32_e32 v33, s13, v33
	v_cvt_pk_f32_fp8_e32 v[38:39], v24
	v_cvt_pk_f32_fp8_sdwa v[40:41], v24 src0_sel:WORD_1
	v_ashrrev_i32_e32 v21, 5, v21
	v_ashrrev_i32_e32 v34, 5, v32
	;; [unrolled: 1-line block ×3, first 2 shown]
	v_cvt_pkrtz_f16_f32 v32, v36, v37
	v_cvt_pkrtz_f16_f32 v33, v22, v23
	v_cndmask_b32_e32 v36, v20, v21, vcc
	v_cndmask_b32_e64 v64, v20, v34, s[4:5]
	v_cndmask_b32_e64 v66, v20, v35, s[6:7]
	s_waitcnt lgkmcnt(1)
	v_mfma_f32_16x16x16_f16 v[18:21], v[18:19], v[10:11], 0
	v_cvt_pk_f32_fp8_e32 v[46:47], v25
	v_cvt_pkrtz_f16_f32 v22, v48, v49
	v_cvt_pkrtz_f16_f32 v23, v50, v51
	v_cvt_pk_f32_fp8_sdwa v[24:25], v25 src0_sel:WORD_1
	v_cvt_pkrtz_f16_f32 v38, v38, v39
	v_cvt_pkrtz_f16_f32 v39, v40, v41
	v_mfma_f32_16x16x16_f16 v[32:35], v[32:33], v[12:13], v[18:21]
	s_add_u32 s10, s10, s12
	v_and_b32_e32 v30, 16, v0
	v_lshlrev_b32_e32 v27, 5, v28
	s_addc_u32 s11, s11, 0
	v_cvt_pkrtz_f16_f32 v68, v46, v47
	v_cvt_pkrtz_f16_f32 v46, v52, v53
	;; [unrolled: 1-line block ×3, first 2 shown]
	s_load_dword s14, s[0:1], 0x1c
	s_load_dwordx4 s[40:43], s[0:1], 0x80
	v_lshl_add_u64 v[40:41], s[10:11], 0, v[30:31]
	v_lshl_or_b32 v30, v29, 9, v27
	v_cvt_pkrtz_f16_f32 v69, v24, v25
	v_mfma_f32_16x16x16_f16 v[22:25], v[22:23], v[10:11], 0
	v_lshl_add_u64 v[18:19], v[40:41], 0, v[30:31]
	v_ashrrev_i32_e32 v37, 31, v36
	v_ashrrev_i32_e32 v65, 31, v64
	s_waitcnt lgkmcnt(0)
	v_mfma_f32_16x16x16_f16 v[30:33], v[38:39], v[2:3], v[32:35]
	v_ashrrev_i32_e32 v67, 31, v66
	v_cvt_pkrtz_f16_f32 v50, v56, v57
	v_cvt_pkrtz_f16_f32 v51, v58, v59
	v_mfma_f32_16x16x16_f16 v[20:23], v[46:47], v[12:13], v[22:25]
	v_lshl_add_u64 v[34:35], v[64:65], 2, s[8:9]
	s_load_dword s4, s[40:41], 0x0
	v_cvt_pkrtz_f16_f32 v52, v60, v61
	v_lshl_add_u64 v[24:25], v[36:37], 2, s[8:9]
	v_lshl_add_u64 v[36:37], v[66:67], 2, s[8:9]
	global_load_dword v48, v[24:25], off
	global_load_dword v46, v[34:35], off
	;; [unrolled: 1-line block ×3, first 2 shown]
	v_mfma_f32_16x16x16_f16 v[34:37], v[68:69], v[4:5], v[30:33]
	s_waitcnt vmcnt(5)
	v_cvt_pk_f32_fp8_e32 v[24:25], v14
	v_cvt_pkrtz_f16_f32 v53, v62, v63
	v_cvt_pk_f32_fp8_e32 v[38:39], v15
	v_cvt_pk_f32_fp8_sdwa v[32:33], v14 src0_sel:WORD_1
	v_mfma_f32_16x16x16_f16 v[20:23], v[50:51], v[2:3], v[20:23]
	v_cvt_pkrtz_f16_f32 v24, v24, v25
	v_cvt_pk_f32_fp8_sdwa v[14:15], v15 src0_sel:WORD_1
	v_cvt_pkrtz_f16_f32 v25, v32, v33
	v_mov_b32_e32 v40, s14
	v_mfma_f32_16x16x16_f16 v[20:23], v[52:53], v[4:5], v[20:23]
	v_cvt_pkrtz_f16_f32 v32, v38, v39
	v_cvt_pk_f32_fp8_e32 v[52:53], v16
	v_cvt_pk_f32_fp8_sdwa v[54:55], v16 src0_sel:WORD_1
	v_cvt_pkrtz_f16_f32 v33, v14, v15
	s_waitcnt lgkmcnt(0)
	v_mul_f32_e32 v50, s4, v40
	v_mfma_f32_16x16x16_f16 v[38:41], v[24:25], v[10:11], 0
	v_cvt_pkrtz_f16_f32 v24, v52, v53
	v_cvt_pkrtz_f16_f32 v25, v54, v55
	v_cvt_pk_f32_fp8_e32 v[52:53], v17
	v_cvt_pk_f32_fp8_sdwa v[54:55], v17 src0_sel:WORD_1
	v_mfma_f32_16x16x16_f16 v[14:17], v[32:33], v[12:13], v[38:41]
	v_pk_mul_f32 v[32:33], v[50:51], v[36:37] op_sel_hi:[0,1]
	v_cvt_pkrtz_f16_f32 v36, v52, v53
	v_cvt_pkrtz_f16_f32 v37, v54, v55
	v_mfma_f32_16x16x16_f16 v[14:17], v[24:25], v[2:3], v[14:17]
	v_pk_mul_f32 v[38:39], v[50:51], v[34:35] op_sel_hi:[0,1]
	s_waitcnt vmcnt(4)
	v_cvt_pk_f32_fp8_e32 v[24:25], v6
	v_cvt_pk_f32_fp8_sdwa v[34:35], v6 src0_sel:WORD_1
	v_mfma_f32_16x16x16_f16 v[14:17], v[36:37], v[4:5], v[14:17]
	v_cvt_pk_f32_fp8_e32 v[36:37], v7
	v_cvt_pkrtz_f16_f32 v24, v24, v25
	v_cvt_pkrtz_f16_f32 v25, v34, v35
	v_cvt_pk_f32_fp8_sdwa v[6:7], v7 src0_sel:WORD_1
	v_cvt_pkrtz_f16_f32 v40, v36, v37
	v_cvt_pk_f32_fp8_e32 v[52:53], v8
	v_cvt_pk_f32_fp8_sdwa v[54:55], v8 src0_sel:WORD_1
	v_cvt_pkrtz_f16_f32 v41, v6, v7
	v_mfma_f32_16x16x16_f16 v[34:37], v[24:25], v[10:11], 0
	v_cvt_pkrtz_f16_f32 v10, v52, v53
	v_cvt_pkrtz_f16_f32 v11, v54, v55
	v_cvt_pk_f32_fp8_e32 v[24:25], v9
	v_cvt_pk_f32_fp8_sdwa v[52:53], v9 src0_sel:WORD_1
	v_mfma_f32_16x16x16_f16 v[6:9], v[40:41], v[12:13], v[34:37]
	v_pk_mul_f32 v[40:41], v[50:51], v[20:21] op_sel_hi:[0,1]
	v_cvt_pkrtz_f16_f32 v12, v24, v25
	v_cvt_pkrtz_f16_f32 v13, v52, v53
	v_mfma_f32_16x16x16_f16 v[6:9], v[10:11], v[2:3], v[6:9]
	v_pk_mul_f32 v[36:37], v[50:51], v[22:23] op_sel_hi:[0,1]
	v_pk_mul_f32 v[24:25], v[50:51], v[16:17] op_sel_hi:[0,1]
	;; [unrolled: 1-line block ×3, first 2 shown]
	v_mfma_f32_16x16x16_f16 v[2:5], v[12:13], v[4:5], v[6:9]
	s_waitcnt vmcnt(3)
	v_mad_i64_i32 v[30:31], s[4:5], v70, s45, v[18:19]
	s_mov_b32 s33, 0xff7fffff
	s_nop 3
	v_pk_mul_f32 v[22:23], v[50:51], v[2:3] op_sel_hi:[0,1]
	v_and_b32_e32 v2, 0xc0, v0
	v_add_u32_e32 v2, s16, v2
	v_lshl_or_b32 v2, v42, 2, v2
	v_or_b32_e32 v3, 1, v2
	v_pk_mul_f32 v[20:21], v[50:51], v[4:5] op_sel_hi:[0,1]
	v_subrev_u32_e32 v4, s29, v3
	v_add_u32_e32 v6, 1, v4
	v_add_u32_e32 v7, 2, v4
	;; [unrolled: 1-line block ×3, first 2 shown]
	v_cvt_f32_i32_e32 v6, v6
	v_cvt_f32_i32_e32 v7, v7
	;; [unrolled: 1-line block ×3, first 2 shown]
	v_add_u32_e32 v9, 19, v4
	v_fmac_f32_e32 v39, v45, v6
	v_fma_f32 v32, v45, v7, v32
	v_fmac_f32_e32 v33, v45, v8
	v_add_u32_e32 v6, 16, v4
	v_add_u32_e32 v7, 17, v4
	;; [unrolled: 1-line block ×3, first 2 shown]
	v_cvt_f32_i32_e32 v6, v6
	v_cvt_f32_i32_e32 v7, v7
	v_cvt_f32_i32_e32 v8, v8
	v_cvt_f32_i32_e32 v9, v9
	v_fma_f32 v40, v45, v6, v40
	v_fmac_f32_e32 v41, v45, v7
	v_fma_f32 v36, v45, v8, v36
	v_add_u32_e32 v6, 32, v4
	v_add_u32_e32 v7, 33, v4
	;; [unrolled: 1-line block ×3, first 2 shown]
	v_cvt_f32_i32_e32 v6, v6
	v_cvt_f32_i32_e32 v7, v7
	;; [unrolled: 1-line block ×4, first 2 shown]
	v_fmac_f32_e32 v37, v45, v9
	v_add_u32_e32 v9, 35, v4
	v_fma_f32 v49, v45, v6, v34
	v_fmac_f32_e32 v35, v45, v7
	v_fma_f32 v24, v45, v8, v24
	v_add_u32_e32 v6, 48, v4
	v_add_u32_e32 v7, 49, v4
	;; [unrolled: 1-line block ×4, first 2 shown]
	v_cvt_f32_i32_e32 v4, v4
	v_cvt_f32_i32_e32 v6, v6
	;; [unrolled: 1-line block ×3, first 2 shown]
	v_fma_f32 v5, v45, v5, v38
	v_fmac_f32_e32 v21, v45, v4
	v_mov_b32_e32 v4, 0xff7fffff
	v_cmp_gt_i32_e64 s[4:5], s29, v2
	v_cmp_gt_i32_e64 s[34:35], s29, v3
	v_fma_f32 v22, v45, v6, v22
	v_cndmask_b32_e64 v6, v4, v5, s[4:5]
	v_cndmask_b32_e64 v3, v4, v39, s[34:35]
	v_fmac_f32_e32 v23, v45, v7
	v_max3_f32 v3, v6, s33, v3
	v_or_b32_e32 v6, 2, v2
	v_or_b32_e32 v7, 3, v2
	v_cmp_gt_i32_e64 s[36:37], s29, v6
	v_cmp_gt_i32_e64 s[38:39], s29, v7
	v_cvt_f32_i32_e32 v9, v9
	v_cndmask_b32_e64 v6, v4, v32, s[36:37]
	v_cndmask_b32_e64 v7, v4, v33, s[38:39]
	v_max3_f32 v3, v3, v6, v7
	v_or_b32_e32 v6, 16, v2
	v_or_b32_e32 v7, 17, v2
	v_cmp_gt_i32_e64 s[24:25], s29, v6
	v_cmp_gt_i32_e64 s[26:27], s29, v7
	v_fmac_f32_e32 v25, v45, v9
	v_cndmask_b32_e64 v6, v4, v40, s[24:25]
	v_cndmask_b32_e64 v7, v4, v41, s[26:27]
	v_max3_f32 v3, v3, v6, v7
	v_or_b32_e32 v6, 18, v2
	v_or_b32_e32 v7, 19, v2
	v_cmp_gt_i32_e64 s[20:21], s29, v6
	v_cmp_gt_i32_e64 s[22:23], s29, v7
	v_cvt_f32_i32_e32 v8, v8
	v_cndmask_b32_e64 v6, v4, v36, s[20:21]
	v_cndmask_b32_e64 v7, v4, v37, s[22:23]
	v_max3_f32 v3, v3, v6, v7
	v_or_b32_e32 v6, 32, v2
	v_or_b32_e32 v7, 33, v2
	v_cmp_gt_i32_e64 s[16:17], s29, v6
	v_cmp_gt_i32_e64 s[18:19], s29, v7
	v_fma_f32 v20, v45, v8, v20
	v_cndmask_b32_e64 v6, v4, v49, s[16:17]
	v_cndmask_b32_e64 v7, v4, v35, s[18:19]
	v_max3_f32 v3, v3, v6, v7
	v_or_b32_e32 v6, 34, v2
	v_or_b32_e32 v7, 35, v2
	v_cmp_gt_i32_e64 s[12:13], s29, v6
	v_cmp_gt_i32_e64 s[14:15], s29, v7
	s_nop 0
	v_cndmask_b32_e64 v6, v4, v24, s[12:13]
	v_cndmask_b32_e64 v7, v4, v25, s[14:15]
	v_max3_f32 v3, v3, v6, v7
	v_or_b32_e32 v6, 48, v2
	v_or_b32_e32 v7, 49, v2
	v_cmp_gt_i32_e64 s[8:9], s29, v6
	v_cmp_gt_i32_e64 s[10:11], s29, v7
	s_nop 0
	v_cndmask_b32_e64 v6, v4, v22, s[8:9]
	v_cndmask_b32_e64 v7, v4, v23, s[10:11]
	v_max3_f32 v3, v3, v6, v7
	v_or_b32_e32 v6, 50, v2
	v_or_b32_e32 v2, 51, v2
	v_cmp_gt_i32_e32 vcc, s29, v6
	v_cmp_gt_i32_e64 s[6:7], s29, v2
	s_nop 0
	v_cndmask_b32_e32 v6, v4, v20, vcc
	v_cndmask_b32_e64 v2, v4, v21, s[6:7]
	v_max3_f32 v4, v3, v6, v2
	v_mbcnt_lo_u32_b32 v2, -1, 0
	v_mbcnt_hi_u32_b32 v6, -1, v2
	v_and_b32_e32 v2, 64, v6
	v_add_u32_e32 v7, 64, v2
	v_xor_b32_e32 v2, 32, v6
	v_cmp_lt_i32_e64 s[40:41], v2, v7
	s_nop 1
	v_cndmask_b32_e64 v2, v6, v2, s[40:41]
	v_lshlrev_b32_e32 v45, 2, v2
	ds_bpermute_b32 v8, v45, v4
	s_waitcnt vmcnt(2)
	v_mad_i64_i32 v[2:3], s[40:41], v48, s45, v[18:19]
	global_load_dwordx4 v[14:17], v[30:31], off
	global_load_dwordx4 v[10:13], v[2:3], off
	v_xor_b32_e32 v3, 16, v6
	v_cmp_lt_i32_e64 s[40:41], v3, v7
	s_waitcnt lgkmcnt(0)
	v_max_f32_e32 v2, v8, v8
	v_max_f32_e32 v2, v4, v2
	v_cndmask_b32_e64 v3, v6, v3, s[40:41]
	v_lshlrev_b32_e32 v48, 2, v3
	ds_bpermute_b32 v3, v48, v2
	s_waitcnt vmcnt(3)
	v_mad_i64_i32 v[30:31], s[40:41], v46, s45, v[18:19]
	s_waitcnt vmcnt(2)
	v_mad_i64_i32 v[18:19], s[40:41], v47, s45, v[18:19]
	s_waitcnt lgkmcnt(0)
	v_max_f32_e32 v3, v3, v3
	v_max_f32_e32 v34, v2, v3
	v_sub_f32_e32 v2, v5, v34
	v_mul_f32_e32 v2, 0x3fb8aa3b, v2
	v_exp_f32_e32 v38, v2
	v_sub_f32_e32 v2, v39, v34
	v_mul_f32_e32 v2, 0x3fb8aa3b, v2
	v_exp_f32_e32 v39, v2
	global_load_dwordx4 v[6:9], v[30:31], off
	global_load_dwordx4 v[2:5], v[18:19], off
	v_sub_f32_e32 v31, v32, v34
	v_sub_f32_e32 v32, v33, v34
	v_mul_f32_e32 v31, 0x3fb8aa3b, v31
	v_mul_f32_e32 v32, 0x3fb8aa3b, v32
	v_exp_f32_e32 v31, v31
	v_exp_f32_e32 v32, v32
	v_cndmask_b32_e64 v18, 0, v38, s[4:5]
	v_cndmask_b32_e64 v19, 0, v39, s[34:35]
	;; [unrolled: 1-line block ×4, first 2 shown]
	v_sub_f32_e32 v31, v40, v34
	v_sub_f32_e32 v32, v41, v34
	v_mul_f32_e32 v31, 0x3fb8aa3b, v31
	v_mul_f32_e32 v32, 0x3fb8aa3b, v32
	v_exp_f32_e32 v31, v31
	v_exp_f32_e32 v32, v32
	v_add_f32_e32 v30, 0, v18
	v_add_f32_e32 v30, v30, v19
	;; [unrolled: 1-line block ×4, first 2 shown]
	v_cndmask_b32_e64 v30, 0, v31, s[24:25]
	v_cndmask_b32_e64 v31, 0, v32, s[26:27]
	v_sub_f32_e32 v32, v36, v34
	v_mul_f32_e32 v32, 0x3fb8aa3b, v32
	v_exp_f32_e32 v32, v32
	v_sub_f32_e32 v36, v37, v34
	v_add_f32_e32 v33, v33, v30
	v_mul_f32_e32 v36, 0x3fb8aa3b, v36
	v_exp_f32_e32 v37, v36
	v_add_f32_e32 v33, v33, v31
	v_cndmask_b32_e64 v36, 0, v32, s[20:21]
	v_add_f32_e32 v32, v33, v36
	v_sub_f32_e32 v33, v49, v34
	v_mul_f32_e32 v33, 0x3fb8aa3b, v33
	v_sub_f32_e32 v35, v35, v34
	v_exp_f32_e32 v33, v33
	v_mul_f32_e32 v35, 0x3fb8aa3b, v35
	v_sub_f32_e32 v24, v24, v34
	v_exp_f32_e32 v35, v35
	;; [unrolled: 3-line block ×3, first 2 shown]
	v_mul_f32_e32 v25, 0x3fb8aa3b, v25
	v_sub_f32_e32 v22, v22, v34
	v_cndmask_b32_e64 v37, 0, v37, s[22:23]
	v_exp_f32_e32 v25, v25
	v_mul_f32_e32 v22, 0x3fb8aa3b, v22
	v_sub_f32_e32 v23, v23, v34
	v_add_f32_e32 v40, v32, v37
	v_cndmask_b32_e64 v32, 0, v33, s[16:17]
	v_exp_f32_e32 v22, v22
	v_mul_f32_e32 v23, 0x3fb8aa3b, v23
	v_sub_f32_e32 v20, v20, v34
	v_add_f32_e32 v40, v40, v32
	;; [unrolled: 5-line block ×3, first 2 shown]
	v_cndmask_b32_e64 v24, 0, v24, s[12:13]
	v_exp_f32_e32 v20, v20
	v_mul_f32_e32 v21, 0x3fb8aa3b, v21
	v_add_f32_e32 v35, v35, v24
	v_cndmask_b32_e64 v25, 0, v25, s[14:15]
	v_exp_f32_e32 v21, v21
	v_add_f32_e32 v35, v35, v25
	v_cndmask_b32_e64 v22, 0, v22, s[8:9]
	v_add_f32_e32 v35, v35, v22
	v_cndmask_b32_e64 v23, 0, v23, s[10:11]
	v_add_f32_e32 v35, v35, v23
	v_cndmask_b32_e32 v20, 0, v20, vcc
	v_add_f32_e32 v35, v35, v20
	v_cndmask_b32_e64 v21, 0, v21, s[6:7]
	v_add_f32_e32 v35, v35, v21
	ds_bpermute_b32 v40, v45, v35
	s_load_dword s7, s[0:1], 0x98
	v_cmp_gt_u32_e32 vcc, 16, v44
	s_waitcnt lgkmcnt(0)
	s_barrier
	v_add_f32_e32 v40, v35, v40
	ds_bpermute_b32 v41, v48, v40
	v_lshlrev_b32_e32 v35, 2, v28
	s_waitcnt lgkmcnt(0)
	s_and_saveexec_b64 s[4:5], vcc
	s_cbranch_execz .LBB906_15
; %bb.14:
	v_add_f32_e32 v40, v40, v41
	v_lshl_or_b32 v41, v29, 6, v35
	ds_write2st64_b32 v41, v34, v40 offset1:1
.LBB906_15:
	s_or_b64 exec, exec, s[4:5]
	s_load_dword s6, s[0:1], 0x94
	s_waitcnt lgkmcnt(0)
	s_barrier
	ds_read2_b32 v[40:41], v35 offset1:16
	ds_read2_b32 v[44:45], v35 offset0:32 offset1:48
	ds_read2_b32 v[46:47], v35 offset0:64 offset1:80
	s_mul_i32 s7, s7, 3
	s_waitcnt lgkmcnt(2)
	v_max3_f32 v34, v40, s33, v41
	s_waitcnt lgkmcnt(1)
	v_max3_f32 v34, v34, v44, v45
	v_sub_f32_e32 v40, v40, v34
	v_mul_f32_e32 v40, 0x3fb8aa3b, v40
	v_exp_f32_e32 v48, v40
	v_sub_f32_e32 v40, v41, v34
	v_mul_f32_e32 v40, 0x3fb8aa3b, v40
	v_exp_f32_e32 v49, v40
	;; [unrolled: 3-line block ×3, first 2 shown]
	ds_read2_b32 v[40:41], v35 offset0:96 offset1:112
	v_sub_f32_e32 v35, v45, v34
	v_mul_f32_e32 v35, 0x3fb8aa3b, v35
	v_exp_f32_e32 v45, v35
	s_waitcnt lgkmcnt(1)
	v_fma_f32 v35, v48, v46, 0
	v_fmac_f32_e32 v35, v49, v47
	s_waitcnt lgkmcnt(0)
	v_fmac_f32_e32 v35, v44, v40
	v_fmac_f32_e32 v35, v45, v41
	v_add_f32_e32 v40, 0x358637bd, v35
	v_div_scale_f32 v41, s[4:5], v40, v40, 1.0
	v_rcp_f32_e32 v46, v41
	s_barrier
	v_fma_f32 v47, -v41, v46, 1.0
	v_fmac_f32_e32 v46, v47, v46
	v_div_scale_f32 v47, vcc, 1.0, v40, 1.0
	v_mul_f32_e32 v50, v47, v46
	v_fma_f32 v51, -v41, v50, v47
	v_fmac_f32_e32 v50, v51, v46
	v_fma_f32 v41, -v41, v50, v47
	v_div_fmas_f32 v41, v41, v46, v50
	v_cmp_eq_u32_e32 vcc, 1, v29
	v_div_fixup_f32 v40, v41, v40, 1.0
	s_nop 0
	v_cndmask_b32_e32 v41, v48, v49, vcc
	v_cmp_eq_u32_e32 vcc, 2, v29
	s_nop 1
	v_cndmask_b32_e32 v41, v41, v44, vcc
	v_cmp_eq_u32_e32 vcc, 3, v29
	s_nop 1
	v_cndmask_b32_e32 v41, v41, v45, vcc
	v_mul_f32_e32 v40, v41, v40
	v_pk_mul_f32 v[38:39], v[40:41], v[38:39] op_sel_hi:[0,1]
	v_pk_mul_f32 v[18:19], v[40:41], v[18:19] op_sel_hi:[0,1]
	v_cvt_f16_f32_e32 v41, v38
	v_cvt_f16_f32_e32 v39, v39
	;; [unrolled: 1-line block ×4, first 2 shown]
	v_cmp_gt_u32_e32 vcc, 3, v0
	v_pack_b32_f16 v39, v41, v39
	v_lshlrev_b32_e32 v41, 3, v42
	v_pack_b32_f16 v38, v18, v19
	v_pk_mul_f32 v[18:19], v[40:41], v[36:37] op_sel_hi:[0,1]
	v_pk_mul_f32 v[30:31], v[40:41], v[30:31] op_sel_hi:[0,1]
	v_cvt_f16_f32_e32 v30, v30
	v_cvt_f16_f32_e32 v31, v31
	;; [unrolled: 1-line block ×4, first 2 shown]
	v_lshlrev_b32_e32 v18, 11, v29
	v_or3_b32 v18, v18, v27, v41
	v_pack_b32_f16 v30, v30, v31
	v_pack_b32_f16 v31, v36, v19
	ds_write2st64_b64 v18, v[38:39], v[30:31] offset1:1
	v_pk_mul_f32 v[24:25], v[40:41], v[24:25] op_sel_hi:[0,1]
	v_pk_mul_f32 v[30:31], v[40:41], v[32:33] op_sel_hi:[0,1]
	;; [unrolled: 1-line block ×4, first 2 shown]
	v_cvt_f16_f32_e32 v19, v30
	v_cvt_f16_f32_e32 v29, v31
	;; [unrolled: 1-line block ×8, first 2 shown]
	v_pack_b32_f16 v20, v19, v29
	v_pack_b32_f16 v21, v24, v25
	;; [unrolled: 1-line block ×4, first 2 shown]
	ds_write2st64_b64 v18, v[20:21], v[22:23] offset0:2 offset1:3
	s_and_saveexec_b64 s[4:5], vcc
	s_cbranch_execz .LBB906_17
; %bb.16:
	s_mov_b32 s49, 0
	v_mov_b32_e32 v29, 0
	v_lshl_add_u64 v[20:21], s[48:49], 0, v[28:29]
	v_mov_b32_e32 v19, s7
	v_mad_u64_u32 v[20:21], s[12:13], s2, v19, v[20:21]
	s_mul_i32 s3, s3, s7
	v_mov_b32_e32 v28, s28
	s_load_dwordx4 s[8:11], s[0:1], 0x58
	v_add_u32_e32 v19, s3, v21
	v_mad_u64_u32 v[20:21], s[12:13], v20, s6, v[28:29]
	v_mov_b32_e32 v22, v21
	v_mad_u64_u32 v[22:23], s[12:13], v19, s6, v[22:23]
	v_mov_b32_e32 v21, v22
	v_lshlrev_b64 v[20:21], 2, v[20:21]
	s_waitcnt lgkmcnt(0)
	v_lshl_add_u64 v[22:23], s[10:11], 0, v[20:21]
	v_lshl_add_u64 v[20:21], s[8:9], 0, v[20:21]
	global_store_dword v[22:23], v34, off
	global_store_dword v[20:21], v35, off
.LBB906_17:
	s_or_b64 exec, exec, s[4:5]
	s_waitcnt vmcnt(3)
	v_cvt_pk_f32_fp8_e32 v[20:21], v14
	v_cvt_pk_f32_fp8_sdwa v[22:23], v14 src0_sel:WORD_1
	v_lshl_or_b32 v14, v42, 9, v27
	s_waitcnt lgkmcnt(0)
	s_barrier
	v_cvt_pk_f32_fp8_e32 v[24:25], v15
	v_cvt_pkrtz_f16_f32 v32, v20, v21
	v_cvt_pkrtz_f16_f32 v33, v22, v23
	v_cvt_pk_f32_fp8_sdwa v[28:29], v15 src0_sel:WORD_1
	ds_read_b128 v[20:23], v14
	v_cvt_pkrtz_f16_f32 v24, v24, v25
	v_cvt_pk_f32_fp8_e32 v[36:37], v16
	v_cvt_pkrtz_f16_f32 v25, v28, v29
	ds_read_b128 v[28:31], v14 offset:16
	v_cvt_pk_f32_fp8_sdwa v[38:39], v16 src0_sel:WORD_1
	s_waitcnt lgkmcnt(1)
	v_mfma_f32_16x16x16_f16 v[32:35], v[32:33], v[20:21], 0
	v_cvt_pkrtz_f16_f32 v36, v36, v37
	s_load_dword s4, s[42:43], 0x0
	v_cvt_pkrtz_f16_f32 v37, v38, v39
	v_cvt_pk_f32_fp8_e32 v[38:39], v17
	v_cvt_pk_f32_fp8_sdwa v[16:17], v17 src0_sel:WORD_1
	v_mfma_f32_16x16x16_f16 v[20:23], v[24:25], v[22:23], v[32:35]
	v_cmp_gt_u32_e32 vcc, 64, v0
	v_cvt_pkrtz_f16_f32 v24, v38, v39
	v_cvt_pkrtz_f16_f32 v25, v16, v17
	s_waitcnt lgkmcnt(0)
	v_mfma_f32_16x16x16_f16 v[20:23], v[36:37], v[28:29], v[20:23]
	s_waitcnt vmcnt(2)
	v_cvt_pk_f32_fp8_e32 v[16:17], v10
	v_cvt_pk_f32_fp8_e32 v[28:29], v11
	v_cvt_pk_f32_fp8_sdwa v[36:37], v12 src0_sel:WORD_1
	v_mfma_f32_16x16x16_f16 v[20:23], v[24:25], v[30:31], v[20:23]
	v_cvt_pk_f32_fp8_sdwa v[24:25], v10 src0_sel:WORD_1
	v_cvt_pkrtz_f16_f32 v10, v16, v17
	v_cvt_pk_f32_fp8_sdwa v[16:17], v11 src0_sel:WORD_1
	ds_read_b128 v[32:35], v14 offset:2064
	v_cvt_pkrtz_f16_f32 v11, v24, v25
	v_cvt_pkrtz_f16_f32 v24, v28, v29
	ds_read_b128 v[28:31], v14 offset:2048
	v_cvt_pkrtz_f16_f32 v25, v16, v17
	v_cvt_pk_f32_fp8_e32 v[16:17], v12
	s_waitcnt lgkmcnt(0)
	v_mfma_f32_16x16x16_f16 v[20:23], v[10:11], v[28:29], v[20:23]
	v_cvt_pkrtz_f16_f32 v10, v16, v17
	v_cvt_pkrtz_f16_f32 v11, v36, v37
	v_cvt_pk_f32_fp8_e32 v[16:17], v13
	v_mfma_f32_16x16x16_f16 v[20:23], v[24:25], v[30:31], v[20:23]
	v_cvt_pk_f32_fp8_sdwa v[24:25], v13 src0_sel:WORD_1
	ds_read_b128 v[28:31], v14 offset:4112
	v_cvt_pkrtz_f16_f32 v16, v16, v17
	v_mfma_f32_16x16x16_f16 v[10:13], v[10:11], v[32:33], v[20:23]
	v_cvt_pkrtz_f16_f32 v17, v24, v25
	s_waitcnt vmcnt(1)
	v_cvt_pk_f32_fp8_sdwa v[24:25], v7 src0_sel:WORD_1
	v_cvt_pk_f32_fp8_sdwa v[32:33], v8 src0_sel:WORD_1
	v_cvt_pk_f32_fp8_e32 v[20:21], v6
	v_mfma_f32_16x16x16_f16 v[10:13], v[16:17], v[34:35], v[10:13]
	v_cvt_pk_f32_fp8_sdwa v[16:17], v6 src0_sel:WORD_1
	v_cvt_pk_f32_fp8_e32 v[22:23], v7
	v_cvt_pkrtz_f16_f32 v6, v20, v21
	s_mov_b32 s3, 0
	v_cvt_pkrtz_f16_f32 v7, v16, v17
	v_cvt_pkrtz_f16_f32 v16, v22, v23
	ds_read_b128 v[20:23], v14 offset:4096
	v_cvt_pkrtz_f16_f32 v17, v24, v25
	v_cvt_pk_f32_fp8_e32 v[24:25], v8
	s_waitcnt lgkmcnt(0)
	v_mfma_f32_16x16x16_f16 v[10:13], v[6:7], v[20:21], v[10:13]
	v_cvt_pkrtz_f16_f32 v6, v24, v25
	v_cvt_pkrtz_f16_f32 v7, v32, v33
	v_cvt_pk_f32_fp8_e32 v[20:21], v9
	v_mfma_f32_16x16x16_f16 v[10:13], v[16:17], v[22:23], v[10:13]
	v_cvt_pk_f32_fp8_sdwa v[16:17], v9 src0_sel:WORD_1
	s_waitcnt vmcnt(0)
	v_cvt_pk_f32_fp8_sdwa v[24:25], v4 src0_sel:WORD_1
	v_cvt_pkrtz_f16_f32 v20, v20, v21
	v_mfma_f32_16x16x16_f16 v[6:9], v[6:7], v[28:29], v[10:13]
	v_cvt_pkrtz_f16_f32 v21, v16, v17
	v_cvt_pk_f32_fp8_e32 v[16:17], v3
	v_mov_b32_e32 v27, 0
	v_cvt_pk_f32_fp8_e32 v[10:11], v2
	v_cvt_pk_f32_fp8_sdwa v[12:13], v2 src0_sel:WORD_1
	v_mfma_f32_16x16x16_f16 v[6:9], v[20:21], v[30:31], v[6:9]
	v_cvt_pk_f32_fp8_sdwa v[20:21], v3 src0_sel:WORD_1
	v_cvt_pkrtz_f16_f32 v2, v10, v11
	v_cvt_pkrtz_f16_f32 v3, v12, v13
	ds_read_b128 v[10:13], v14 offset:6144
	v_cvt_pkrtz_f16_f32 v22, v16, v17
	v_cvt_pkrtz_f16_f32 v23, v20, v21
	v_cvt_pk_f32_fp8_e32 v[20:21], v4
	s_waitcnt lgkmcnt(0)
	v_mfma_f32_16x16x16_f16 v[6:9], v[2:3], v[10:11], v[6:9]
	ds_read_b128 v[14:17], v14 offset:6160
	v_cvt_pkrtz_f16_f32 v2, v20, v21
	v_cvt_pkrtz_f16_f32 v3, v24, v25
	v_cvt_pk_f32_fp8_e32 v[10:11], v5
	v_mfma_f32_16x16x16_f16 v[6:9], v[22:23], v[12:13], v[6:9]
	v_cvt_pk_f32_fp8_sdwa v[12:13], v5 src0_sel:WORD_1
	s_waitcnt lgkmcnt(0)
	v_cvt_pkrtz_f16_f32 v10, v10, v11
	v_mfma_f32_16x16x16_f16 v[2:5], v[2:3], v[14:15], v[6:9]
	v_cvt_pkrtz_f16_f32 v11, v12, v13
	s_barrier
	s_nop 0
	v_mfma_f32_16x16x16_f16 v[2:5], v[10:11], v[16:17], v[2:5]
	s_nop 6
	v_pk_mul_f32 v[4:5], v[4:5], s[4:5] op_sel_hi:[1,0]
	v_pk_mul_f32 v[2:3], v[2:3], s[4:5] op_sel_hi:[1,0]
	v_cvt_f16_f32_e32 v4, v4
	v_cvt_f16_f32_e32 v2, v2
	;; [unrolled: 1-line block ×4, first 2 shown]
	v_cmp_ne_u32_e64 s[4:5], 3, v42
	s_and_b64 s[4:5], s[4:5], vcc
	v_pack_b32_f16 v2, v2, v3
	v_pack_b32_f16 v3, v4, v5
	s_and_b64 s[4:5], s[4:5], s[30:31]
	ds_write_b64 v18, v[2:3]
	s_waitcnt lgkmcnt(0)
	s_barrier
	s_and_saveexec_b64 s[8:9], s[4:5]
	s_cbranch_execz .LBB906_19
; %bb.18:
	s_load_dwordx2 s[0:1], s[0:1], 0x68
	s_mul_i32 s2, s7, s2
	s_lshl_b32 s6, s6, 6
	s_mul_hi_u32 s5, s2, s6
	s_mul_i32 s4, s2, s6
	v_lshlrev_b32_e32 v0, 10, v0
	s_lshl_b64 s[4:5], s[4:5], 1
	v_and_b32_e32 v0, 0x1800, v0
	v_lshlrev_b32_e32 v2, 5, v42
	v_and_b32_e32 v3, 16, v43
	s_waitcnt lgkmcnt(0)
	s_add_u32 s4, s0, s4
	v_or3_b32 v0, v0, v2, v3
	s_addc_u32 s5, s1, s5
	s_lshl_b32 s2, s28, 6
	ds_read_b128 v[2:5], v0
	s_lshl_b64 s[0:1], s[2:3], 1
	s_add_u32 s0, s4, s0
	s_addc_u32 s1, s5, s1
	v_mad_u64_u32 v[0:1], s[2:3], s6, v1, 0
	v_lshl_add_u64 v[0:1], v[0:1], 1, s[0:1]
	v_lshl_add_u64 v[0:1], v[0:1], 0, v[26:27]
	s_waitcnt lgkmcnt(0)
	global_store_dwordx4 v[0:1], v[2:5], off
.LBB906_19:
	s_endpgm
	.section	.rodata,"a",@progbits
	.p2align	6, 0x0
	.amdhsa_kernel _Z39paged_attention_ll4mi_QKV_mfma16_kernelIDF16_hLN4vllm18Fp8KVCacheDataTypeE1EDF16_Li32ELi64ELi256ELb1ELi3EEvPKT_PKT0_S7_ifPKiS9_S9_iPKfiiiPfSC_PS2_PT2_iSB_SB_
		.amdhsa_group_segment_fixed_size 8192
		.amdhsa_private_segment_fixed_size 0
		.amdhsa_kernarg_size 400
		.amdhsa_user_sgpr_count 2
		.amdhsa_user_sgpr_dispatch_ptr 0
		.amdhsa_user_sgpr_queue_ptr 0
		.amdhsa_user_sgpr_kernarg_segment_ptr 1
		.amdhsa_user_sgpr_dispatch_id 0
		.amdhsa_user_sgpr_kernarg_preload_length 0
		.amdhsa_user_sgpr_kernarg_preload_offset 0
		.amdhsa_user_sgpr_private_segment_size 0
		.amdhsa_uses_dynamic_stack 0
		.amdhsa_enable_private_segment 0
		.amdhsa_system_sgpr_workgroup_id_x 1
		.amdhsa_system_sgpr_workgroup_id_y 1
		.amdhsa_system_sgpr_workgroup_id_z 1
		.amdhsa_system_sgpr_workgroup_info 0
		.amdhsa_system_vgpr_workitem_id 0
		.amdhsa_next_free_vgpr 71
		.amdhsa_next_free_sgpr 50
		.amdhsa_accum_offset 72
		.amdhsa_reserve_vcc 1
		.amdhsa_float_round_mode_32 0
		.amdhsa_float_round_mode_16_64 0
		.amdhsa_float_denorm_mode_32 3
		.amdhsa_float_denorm_mode_16_64 3
		.amdhsa_dx10_clamp 1
		.amdhsa_ieee_mode 1
		.amdhsa_fp16_overflow 0
		.amdhsa_tg_split 0
		.amdhsa_exception_fp_ieee_invalid_op 0
		.amdhsa_exception_fp_denorm_src 0
		.amdhsa_exception_fp_ieee_div_zero 0
		.amdhsa_exception_fp_ieee_overflow 0
		.amdhsa_exception_fp_ieee_underflow 0
		.amdhsa_exception_fp_ieee_inexact 0
		.amdhsa_exception_int_div_zero 0
	.end_amdhsa_kernel
	.section	.text._Z39paged_attention_ll4mi_QKV_mfma16_kernelIDF16_hLN4vllm18Fp8KVCacheDataTypeE1EDF16_Li32ELi64ELi256ELb1ELi3EEvPKT_PKT0_S7_ifPKiS9_S9_iPKfiiiPfSC_PS2_PT2_iSB_SB_,"axG",@progbits,_Z39paged_attention_ll4mi_QKV_mfma16_kernelIDF16_hLN4vllm18Fp8KVCacheDataTypeE1EDF16_Li32ELi64ELi256ELb1ELi3EEvPKT_PKT0_S7_ifPKiS9_S9_iPKfiiiPfSC_PS2_PT2_iSB_SB_,comdat
.Lfunc_end906:
	.size	_Z39paged_attention_ll4mi_QKV_mfma16_kernelIDF16_hLN4vllm18Fp8KVCacheDataTypeE1EDF16_Li32ELi64ELi256ELb1ELi3EEvPKT_PKT0_S7_ifPKiS9_S9_iPKfiiiPfSC_PS2_PT2_iSB_SB_, .Lfunc_end906-_Z39paged_attention_ll4mi_QKV_mfma16_kernelIDF16_hLN4vllm18Fp8KVCacheDataTypeE1EDF16_Li32ELi64ELi256ELb1ELi3EEvPKT_PKT0_S7_ifPKiS9_S9_iPKfiiiPfSC_PS2_PT2_iSB_SB_
                                        ; -- End function
	.section	.AMDGPU.csdata,"",@progbits
; Kernel info:
; codeLenInByte = 4908
; NumSgprs: 56
; NumVgprs: 71
; NumAgprs: 0
; TotalNumVgprs: 71
; ScratchSize: 0
; MemoryBound: 0
; FloatMode: 240
; IeeeMode: 1
; LDSByteSize: 8192 bytes/workgroup (compile time only)
; SGPRBlocks: 6
; VGPRBlocks: 8
; NumSGPRsForWavesPerEU: 56
; NumVGPRsForWavesPerEU: 71
; AccumOffset: 72
; Occupancy: 7
; WaveLimiterHint : 1
; COMPUTE_PGM_RSRC2:SCRATCH_EN: 0
; COMPUTE_PGM_RSRC2:USER_SGPR: 2
; COMPUTE_PGM_RSRC2:TRAP_HANDLER: 0
; COMPUTE_PGM_RSRC2:TGID_X_EN: 1
; COMPUTE_PGM_RSRC2:TGID_Y_EN: 1
; COMPUTE_PGM_RSRC2:TGID_Z_EN: 1
; COMPUTE_PGM_RSRC2:TIDIG_COMP_CNT: 0
; COMPUTE_PGM_RSRC3_GFX90A:ACCUM_OFFSET: 17
; COMPUTE_PGM_RSRC3_GFX90A:TG_SPLIT: 0
	.section	.text._Z39paged_attention_ll4mi_QKV_mfma16_kernelIDF16_hLN4vllm18Fp8KVCacheDataTypeE1EDF16_Li32ELi64ELi256ELb1ELi4EEvPKT_PKT0_S7_ifPKiS9_S9_iPKfiiiPfSC_PS2_PT2_iSB_SB_,"axG",@progbits,_Z39paged_attention_ll4mi_QKV_mfma16_kernelIDF16_hLN4vllm18Fp8KVCacheDataTypeE1EDF16_Li32ELi64ELi256ELb1ELi4EEvPKT_PKT0_S7_ifPKiS9_S9_iPKfiiiPfSC_PS2_PT2_iSB_SB_,comdat
	.protected	_Z39paged_attention_ll4mi_QKV_mfma16_kernelIDF16_hLN4vllm18Fp8KVCacheDataTypeE1EDF16_Li32ELi64ELi256ELb1ELi4EEvPKT_PKT0_S7_ifPKiS9_S9_iPKfiiiPfSC_PS2_PT2_iSB_SB_ ; -- Begin function _Z39paged_attention_ll4mi_QKV_mfma16_kernelIDF16_hLN4vllm18Fp8KVCacheDataTypeE1EDF16_Li32ELi64ELi256ELb1ELi4EEvPKT_PKT0_S7_ifPKiS9_S9_iPKfiiiPfSC_PS2_PT2_iSB_SB_
	.globl	_Z39paged_attention_ll4mi_QKV_mfma16_kernelIDF16_hLN4vllm18Fp8KVCacheDataTypeE1EDF16_Li32ELi64ELi256ELb1ELi4EEvPKT_PKT0_S7_ifPKiS9_S9_iPKfiiiPfSC_PS2_PT2_iSB_SB_
	.p2align	8
	.type	_Z39paged_attention_ll4mi_QKV_mfma16_kernelIDF16_hLN4vllm18Fp8KVCacheDataTypeE1EDF16_Li32ELi64ELi256ELb1ELi4EEvPKT_PKT0_S7_ifPKiS9_S9_iPKfiiiPfSC_PS2_PT2_iSB_SB_,@function
_Z39paged_attention_ll4mi_QKV_mfma16_kernelIDF16_hLN4vllm18Fp8KVCacheDataTypeE1EDF16_Li32ELi64ELi256ELb1ELi4EEvPKT_PKT0_S7_ifPKiS9_S9_iPKfiiiPfSC_PS2_PT2_iSB_SB_: ; @_Z39paged_attention_ll4mi_QKV_mfma16_kernelIDF16_hLN4vllm18Fp8KVCacheDataTypeE1EDF16_Li32ELi64ELi256ELb1ELi4EEvPKT_PKT0_S7_ifPKiS9_S9_iPKfiiiPfSC_PS2_PT2_iSB_SB_
; %bb.0:
	s_load_dwordx2 s[6:7], s[0:1], 0x30
	s_mov_b32 s22, s3
	s_mov_b64 s[8:9], 0
	s_waitcnt lgkmcnt(0)
	s_cmp_lg_u64 s[6:7], 0
	s_cselect_b64 s[10:11], -1, 0
	s_and_b64 vcc, exec, s[10:11]
	s_cbranch_vccz .LBB907_7
; %bb.1:
	s_add_i32 s12, s2, 1
	s_mov_b32 s13, 0
	s_lshl_b64 s[14:15], s[12:13], 2
	s_add_u32 s14, s6, s14
	s_mov_b32 s3, s13
	s_addc_u32 s15, s7, s15
	s_lshl_b64 s[12:13], s[2:3], 2
	s_add_u32 s12, s6, s12
	s_addc_u32 s13, s7, s13
	s_load_dword s5, s[14:15], 0x0
	s_load_dword s16, s[12:13], 0x0
	s_waitcnt lgkmcnt(0)
	s_sub_i32 s5, s5, s16
	s_cmp_eq_u32 s5, 1
	s_cselect_b64 s[12:13], -1, 0
	s_andn2_b64 vcc, exec, s[8:9]
	s_cbranch_vccnz .LBB907_3
.LBB907_2:
	s_mov_b32 s3, 0
	s_mov_b64 s[12:13], -1
.LBB907_3:
	s_andn2_b64 vcc, exec, s[12:13]
	s_cbranch_vccnz .LBB907_19
; %bb.4:
	s_load_dwordx2 s[8:9], s[0:1], 0x28
	s_lshl_b64 s[12:13], s[2:3], 2
	s_waitcnt lgkmcnt(0)
	s_add_u32 s8, s8, s12
	s_addc_u32 s9, s9, s13
	s_load_dword s33, s[8:9], 0x0
	s_lshl_b32 s16, s22, 8
	s_waitcnt lgkmcnt(0)
	s_cmp_ge_i32 s16, s33
	s_cbranch_scc1 .LBB907_19
; %bb.5:
	s_load_dwordx2 s[8:9], s[0:1], 0x20
	s_load_dword s5, s[0:1], 0x38
	s_add_i32 s14, s33, 31
	s_ashr_i32 s15, s14, 31
	v_and_b32_e32 v1, 0xcf, v0
	s_lshr_b32 s15, s15, 27
	v_add_u32_e32 v1, s16, v1
	s_add_i32 s14, s14, s15
	v_ashrrev_i32_e32 v2, 31, v1
	s_ashr_i32 s17, s14, 5
	v_lshrrev_b32_e32 v4, 27, v2
	s_add_i32 s17, s17, -1
	s_waitcnt lgkmcnt(0)
	s_mul_i32 s14, s2, s5
	s_mov_b32 s15, 0
	v_add_u32_e32 v2, v1, v4
	s_lshl_b64 s[14:15], s[14:15], 2
	v_ashrrev_i32_e32 v2, 5, v2
	v_mov_b32_e32 v5, s17
	v_cmp_gt_i32_e32 vcc, s33, v1
	s_add_u32 s8, s8, s14
	s_addc_u32 s9, s9, s15
	v_cndmask_b32_e32 v2, v5, v2, vcc
	v_ashrrev_i32_e32 v3, 31, v2
	v_lshl_add_u64 v[6:7], v[2:3], 2, s[8:9]
	v_or_b32_e32 v2, 16, v1
	v_add_u32_e32 v3, v2, v4
	v_ashrrev_i32_e32 v3, 5, v3
	v_cmp_gt_i32_e32 vcc, s33, v2
	s_load_dwordx2 s[14:15], s[0:1], 0x8
	s_nop 0
	v_cndmask_b32_e32 v2, v5, v3, vcc
	v_ashrrev_i32_e32 v3, 31, v2
	v_lshl_add_u64 v[8:9], v[2:3], 2, s[8:9]
	v_or_b32_e32 v2, 32, v1
	v_add_u32_e32 v3, v2, v4
	v_ashrrev_i32_e32 v3, 5, v3
	v_cmp_gt_i32_e32 vcc, s33, v2
	v_or_b32_e32 v1, 48, v1
	s_nop 0
	v_cndmask_b32_e32 v2, v5, v3, vcc
	v_ashrrev_i32_e32 v3, 31, v2
	v_lshl_add_u64 v[10:11], v[2:3], 2, s[8:9]
	v_add_u32_e32 v2, v1, v4
	v_ashrrev_i32_e32 v2, 5, v2
	v_cmp_gt_i32_e32 vcc, s33, v1
	s_nop 1
	v_cndmask_b32_e32 v2, v5, v2, vcc
	v_ashrrev_i32_e32 v3, 31, v2
	v_lshl_add_u64 v[12:13], v[2:3], 2, s[8:9]
	global_load_dword v5, v[6:7], off
	global_load_dword v4, v[8:9], off
	;; [unrolled: 1-line block ×4, first 2 shown]
	s_andn2_b64 vcc, exec, s[10:11]
	s_cbranch_vccnz .LBB907_8
; %bb.6:
	s_add_u32 s6, s6, s12
	s_addc_u32 s7, s7, s13
	s_load_dword s5, s[6:7], 0x0
	s_branch .LBB907_9
.LBB907_7:
	s_mov_b64 s[12:13], 0
	s_branch .LBB907_2
.LBB907_8:
	s_mov_b32 s5, s2
.LBB907_9:
	s_load_dwordx2 s[10:11], s[0:1], 0x10
	s_load_dwordx4 s[44:47], s[0:1], 0x48
	v_and_b32_e32 v44, 15, v0
	v_bfe_u32 v42, v0, 4, 2
	s_lshl_b32 s23, s4, 2
	v_lshlrev_b32_e32 v6, 3, v44
	v_cmp_gt_u32_e32 vcc, 64, v0
	v_cmp_gt_u32_e64 s[6:7], 8, v44
	v_lshrrev_b32_e32 v43, 6, v0
	v_or_b32_e32 v1, s23, v42
	s_and_b64 s[48:49], vcc, s[6:7]
	v_lshlrev_b32_e32 v26, 1, v6
	v_lshlrev_b32_e32 v40, 5, v42
	;; [unrolled: 1-line block ×3, first 2 shown]
	s_and_saveexec_b64 s[6:7], s[48:49]
	s_cbranch_execz .LBB907_11
; %bb.10:
	s_load_dwordx2 s[12:13], s[0:1], 0x0
	s_waitcnt lgkmcnt(0)
	s_ashr_i32 s18, s44, 31
	s_mul_hi_u32 s19, s5, s44
	s_mul_i32 s18, s5, s18
	s_add_i32 s19, s19, s18
	s_mul_i32 s18, s5, s44
	s_lshl_b64 s[18:19], s[18:19], 1
	s_add_u32 s12, s12, s18
	v_lshlrev_b32_e32 v6, 6, v1
	s_addc_u32 s13, s13, s19
	v_ashrrev_i32_e32 v7, 31, v6
	v_lshl_add_u64 v[6:7], v[6:7], 1, s[12:13]
	v_mov_b32_e32 v27, 0
	v_lshl_add_u64 v[6:7], v[6:7], 0, v[26:27]
	global_load_dwordx4 v[6:9], v[6:7], off
	v_lshlrev_b32_e32 v12, 8, v44
	v_lshl_or_b32 v10, v43, 7, v40
	v_and_b32_e32 v11, 16, v41
	v_and_b32_e32 v12, 0xe00, v12
	v_or3_b32 v10, v12, v10, v11
	s_waitcnt vmcnt(0)
	ds_write_b128 v10, v[6:9]
.LBB907_11:
	s_or_b64 exec, exec, s[6:7]
	s_waitcnt lgkmcnt(0)
	s_mul_i32 s6, s4, s46
	s_add_u32 s4, s14, s6
	s_addc_u32 s5, s15, 0
	v_mov_b32_e32 v29, 0
	v_mov_b64_e32 v[6:7], s[4:5]
	v_lshlrev_b32_e32 v10, 4, v44
	v_and_b32_e32 v27, 48, v0
	s_waitcnt vmcnt(3)
	v_mad_i64_i32 v[8:9], s[4:5], v5, s45, v[6:7]
	v_mov_b32_e32 v11, v29
	s_waitcnt vmcnt(2)
	v_mad_i64_i32 v[4:5], s[4:5], v4, s45, v[6:7]
	v_or_b32_e32 v12, 0x100, v10
	v_mov_b32_e32 v13, v29
	v_lshlrev_b32_e32 v28, 5, v27
	v_lshl_add_u64 v[8:9], v[8:9], 0, v[10:11]
	v_lshl_add_u64 v[4:5], v[4:5], 0, v[12:13]
	;; [unrolled: 1-line block ×4, first 2 shown]
	s_barrier
	global_load_dwordx4 v[22:25], v[8:9], off
	global_load_dwordx4 v[18:21], v[4:5], off
	s_waitcnt vmcnt(3)
	v_mad_i64_i32 v[4:5], s[4:5], v3, s45, v[6:7]
	v_lshl_add_u64 v[4:5], v[4:5], 0, v[10:11]
	s_waitcnt vmcnt(2)
	v_mad_i64_i32 v[2:3], s[4:5], v2, s45, v[6:7]
	v_lshl_add_u64 v[4:5], v[4:5], 0, v[28:29]
	v_lshl_add_u64 v[2:3], v[2:3], 0, v[12:13]
	;; [unrolled: 1-line block ×3, first 2 shown]
	global_load_dwordx4 v[14:17], v[4:5], off
	global_load_dwordx4 v[6:9], v[2:3], off
	v_and_b32_e32 v2, 3, v0
	v_lshlrev_b32_e32 v2, 5, v2
	v_lshl_or_b32 v2, v42, 9, v2
	ds_read_b128 v[10:13], v2
	ds_read_b128 v[2:5], v2 offset:16
	v_and_b32_e32 v45, 63, v0
	v_cmp_gt_u32_e32 vcc, 4, v44
	v_mov_b32_e32 v46, 0
	s_and_saveexec_b64 s[4:5], vcc
	s_cbranch_execz .LBB907_13
; %bb.12:
	s_load_dwordx2 s[12:13], s[0:1], 0x40
	v_or_b32_e32 v30, s23, v44
	v_ashrrev_i32_e32 v31, 31, v30
	s_waitcnt lgkmcnt(0)
	v_lshl_add_u64 v[30:31], v[30:31], 2, s[12:13]
	global_load_dword v46, v[30:31], off
.LBB907_13:
	s_or_b64 exec, exec, s[4:5]
	s_ashr_i32 s4, s16, 31
	v_or_b32_e32 v47, s16, v27
	s_lshr_b32 s4, s4, 27
	v_add_u32_e32 v27, s4, v47
	v_ashrrev_i32_e32 v27, 5, v27
	v_mov_b32_e32 v67, s17
	v_cmp_gt_i32_e32 vcc, s33, v47
	s_waitcnt vmcnt(3)
	v_cvt_pk_f32_fp8_sdwa v[32:33], v22 src0_sel:WORD_1
	v_cvt_pk_f32_fp8_e32 v[34:35], v23
	v_cndmask_b32_e32 v30, v67, v27, vcc
	v_ashrrev_i32_e32 v31, 31, v30
	v_lshl_add_u64 v[30:31], v[30:31], 2, s[8:9]
	global_load_dword v74, v[30:31], off
	v_cvt_pk_f32_fp8_e32 v[30:31], v22
	v_cvt_pk_f32_fp8_sdwa v[22:23], v23 src0_sel:WORD_1
	s_waitcnt vmcnt(3)
	v_cvt_pk_f32_fp8_e32 v[50:51], v18
	v_cvt_pk_f32_fp8_sdwa v[52:53], v18 src0_sel:WORD_1
	v_or_b32_e32 v18, 64, v47
	v_cvt_pk_f32_fp8_e32 v[58:59], v20
	v_cvt_pk_f32_fp8_sdwa v[60:61], v20 src0_sel:WORD_1
	v_cvt_pk_f32_fp8_e32 v[62:63], v21
	v_cvt_pk_f32_fp8_sdwa v[64:65], v21 src0_sel:WORD_1
	v_or_b32_e32 v20, 0xc0, v47
	v_add_u32_e32 v21, s4, v18
	v_cvt_pk_f32_fp8_e32 v[54:55], v19
	v_cvt_pk_f32_fp8_sdwa v[56:57], v19 src0_sel:WORD_1
	v_or_b32_e32 v19, 0x80, v47
	v_add_u32_e32 v66, s4, v20
	v_ashrrev_i32_e32 v21, 5, v21
	v_cmp_gt_i32_e32 vcc, s33, v18
	v_add_u32_e32 v47, s4, v19
	v_ashrrev_i32_e32 v69, 5, v66
	v_cndmask_b32_e32 v66, v67, v21, vcc
	v_cmp_gt_i32_e32 vcc, s33, v19
	v_cvt_pkrtz_f16_f32 v18, v30, v31
	v_cvt_pkrtz_f16_f32 v19, v32, v33
	v_cvt_pk_f32_fp8_sdwa v[38:39], v24 src0_sel:WORD_1
	v_cvt_pkrtz_f16_f32 v31, v22, v23
	v_cvt_pkrtz_f16_f32 v22, v50, v51
	;; [unrolled: 1-line block ×3, first 2 shown]
	v_cvt_pk_f32_fp8_e32 v[36:37], v24
	v_cvt_pk_f32_fp8_e32 v[48:49], v25
	v_cvt_pk_f32_fp8_sdwa v[24:25], v25 src0_sel:WORD_1
	v_ashrrev_i32_e32 v47, 5, v47
	v_cvt_pkrtz_f16_f32 v30, v34, v35
	v_cndmask_b32_e32 v68, v67, v47, vcc
	v_cmp_gt_i32_e32 vcc, s33, v20
	v_cvt_pkrtz_f16_f32 v35, v38, v39
	s_waitcnt lgkmcnt(1)
	v_mfma_f32_16x16x16_f16 v[18:21], v[18:19], v[10:11], 0
	v_cvt_pkrtz_f16_f32 v38, v54, v55
	v_cvt_pkrtz_f16_f32 v39, v56, v57
	;; [unrolled: 1-line block ×4, first 2 shown]
	v_mfma_f32_16x16x16_f16 v[22:25], v[22:23], v[10:11], 0
	s_load_dword s7, s[0:1], 0x1c
	s_load_dwordx4 s[40:43], s[0:1], 0x80
	v_cvt_pkrtz_f16_f32 v36, v48, v49
	v_cvt_pkrtz_f16_f32 v48, v58, v59
	;; [unrolled: 1-line block ×3, first 2 shown]
	v_mfma_f32_16x16x16_f16 v[30:33], v[30:31], v[12:13], v[18:21]
	s_add_u32 s4, s10, s6
	v_and_b32_e32 v28, 16, v0
	v_lshlrev_b32_e32 v27, 5, v44
	v_mfma_f32_16x16x16_f16 v[20:23], v[38:39], v[12:13], v[22:25]
	s_addc_u32 s5, s11, 0
	v_cndmask_b32_e32 v70, v67, v69, vcc
	v_lshl_add_u64 v[72:73], s[4:5], 0, v[28:29]
	v_lshl_or_b32 v28, v43, 9, v27
	v_ashrrev_i32_e32 v67, 31, v66
	v_ashrrev_i32_e32 v69, 31, v68
	;; [unrolled: 1-line block ×3, first 2 shown]
	v_lshl_add_u64 v[18:19], v[72:73], 0, v[28:29]
	s_waitcnt lgkmcnt(0)
	v_mfma_f32_16x16x16_f16 v[28:31], v[34:35], v[2:3], v[30:33]
	v_lshl_add_u64 v[24:25], v[66:67], 2, s[8:9]
	v_lshl_add_u64 v[34:35], v[70:71], 2, s[8:9]
	s_load_dword s4, s[40:41], 0x0
	v_lshl_add_u64 v[32:33], v[68:69], 2, s[8:9]
	v_mfma_f32_16x16x16_f16 v[20:23], v[48:49], v[2:3], v[20:23]
	global_load_dword v49, v[24:25], off
	global_load_dword v47, v[32:33], off
	;; [unrolled: 1-line block ×3, first 2 shown]
	s_waitcnt vmcnt(5)
	v_cvt_pk_f32_fp8_e32 v[32:33], v14
	v_cvt_pk_f32_fp8_sdwa v[34:35], v14 src0_sel:WORD_1
	v_cvt_pkrtz_f16_f32 v50, v62, v63
	v_cvt_pkrtz_f16_f32 v51, v64, v65
	v_mfma_f32_16x16x16_f16 v[28:31], v[36:37], v[4:5], v[28:31]
	v_cvt_pk_f32_fp8_e32 v[36:37], v15
	v_cvt_pkrtz_f16_f32 v32, v32, v33
	v_cvt_pkrtz_f16_f32 v33, v34, v35
	v_cvt_pk_f32_fp8_sdwa v[14:15], v15 src0_sel:WORD_1
	v_mov_b32_e32 v38, s7
	s_waitcnt lgkmcnt(0)
	v_mul_f32_e32 v52, s4, v38
	v_mfma_f32_16x16x16_f16 v[20:23], v[50:51], v[4:5], v[20:23]
	v_cvt_pkrtz_f16_f32 v36, v36, v37
	v_cvt_pk_f32_fp8_e32 v[38:39], v16
	v_cvt_pk_f32_fp8_sdwa v[50:51], v16 src0_sel:WORD_1
	v_cvt_pkrtz_f16_f32 v37, v14, v15
	v_mfma_f32_16x16x16_f16 v[32:35], v[32:33], v[10:11], 0
	v_cvt_pkrtz_f16_f32 v38, v38, v39
	v_cvt_pkrtz_f16_f32 v39, v50, v51
	v_cvt_pk_f32_fp8_e32 v[50:51], v17
	v_cvt_pk_f32_fp8_sdwa v[54:55], v17 src0_sel:WORD_1
	v_mfma_f32_16x16x16_f16 v[14:17], v[36:37], v[12:13], v[32:35]
	v_pk_mul_f32 v[36:37], v[52:53], v[28:29] op_sel_hi:[0,1]
	s_waitcnt vmcnt(4)
	v_cvt_pk_f32_fp8_e32 v[28:29], v6
	v_pk_mul_f32 v[30:31], v[52:53], v[30:31] op_sel_hi:[0,1]
	v_cvt_pkrtz_f16_f32 v32, v50, v51
	v_cvt_pkrtz_f16_f32 v33, v54, v55
	v_mfma_f32_16x16x16_f16 v[14:17], v[38:39], v[2:3], v[14:17]
	v_cvt_pk_f32_fp8_sdwa v[34:35], v6 src0_sel:WORD_1
	v_cvt_pkrtz_f16_f32 v28, v28, v29
	v_cvt_pk_f32_fp8_e32 v[50:51], v8
	v_mfma_f32_16x16x16_f16 v[14:17], v[32:33], v[4:5], v[14:17]
	v_cvt_pk_f32_fp8_e32 v[32:33], v7
	v_cvt_pkrtz_f16_f32 v29, v34, v35
	v_cvt_pk_f32_fp8_sdwa v[6:7], v7 src0_sel:WORD_1
	v_cvt_pk_f32_fp8_sdwa v[54:55], v8 src0_sel:WORD_1
	v_cvt_pkrtz_f16_f32 v38, v32, v33
	v_mfma_f32_16x16x16_f16 v[32:35], v[28:29], v[10:11], 0
	v_cvt_pkrtz_f16_f32 v39, v6, v7
	v_cvt_pkrtz_f16_f32 v10, v50, v51
	;; [unrolled: 1-line block ×3, first 2 shown]
	v_cvt_pk_f32_fp8_e32 v[28:29], v9
	v_cvt_pk_f32_fp8_sdwa v[50:51], v9 src0_sel:WORD_1
	v_mfma_f32_16x16x16_f16 v[6:9], v[38:39], v[12:13], v[32:35]
	v_pk_mul_f32 v[38:39], v[52:53], v[20:21] op_sel_hi:[0,1]
	v_cvt_pkrtz_f16_f32 v12, v28, v29
	v_cvt_pkrtz_f16_f32 v13, v50, v51
	v_mfma_f32_16x16x16_f16 v[6:9], v[10:11], v[2:3], v[6:9]
	v_pk_mul_f32 v[34:35], v[52:53], v[22:23] op_sel_hi:[0,1]
	v_pk_mul_f32 v[28:29], v[52:53], v[16:17] op_sel_hi:[0,1]
	;; [unrolled: 1-line block ×3, first 2 shown]
	v_mfma_f32_16x16x16_f16 v[2:5], v[12:13], v[4:5], v[6:9]
	s_mov_b32 s40, 0xff7fffff
	s_waitcnt vmcnt(3)
	v_mad_i64_i32 v[24:25], s[4:5], v74, s45, v[18:19]
	s_nop 3
	v_pk_mul_f32 v[22:23], v[52:53], v[2:3] op_sel_hi:[0,1]
	v_and_b32_e32 v2, 0xc0, v0
	v_add_u32_e32 v2, s16, v2
	v_lshl_or_b32 v2, v42, 2, v2
	v_or_b32_e32 v3, 1, v2
	v_pk_mul_f32 v[20:21], v[52:53], v[4:5] op_sel_hi:[0,1]
	v_subrev_u32_e32 v4, s33, v3
	v_add_u32_e32 v6, 1, v4
	v_add_u32_e32 v7, 2, v4
	v_cvt_f32_i32_e32 v5, v4
	v_cvt_f32_i32_e32 v6, v6
	;; [unrolled: 1-line block ×3, first 2 shown]
	v_add_u32_e32 v8, 3, v4
	v_fma_f32 v9, v46, v5, v36
	v_fmac_f32_e32 v37, v46, v6
	v_fma_f32 v30, v46, v7, v30
	v_add_u32_e32 v5, 16, v4
	v_add_u32_e32 v6, 17, v4
	;; [unrolled: 1-line block ×3, first 2 shown]
	v_cvt_f32_i32_e32 v8, v8
	v_cvt_f32_i32_e32 v5, v5
	;; [unrolled: 1-line block ×4, first 2 shown]
	v_fmac_f32_e32 v31, v46, v8
	v_add_u32_e32 v8, 19, v4
	v_fma_f32 v38, v46, v5, v38
	v_fmac_f32_e32 v39, v46, v6
	v_fma_f32 v34, v46, v7, v34
	v_add_u32_e32 v5, 32, v4
	v_add_u32_e32 v6, 33, v4
	;; [unrolled: 1-line block ×3, first 2 shown]
	v_cvt_f32_i32_e32 v8, v8
	v_cvt_f32_i32_e32 v5, v5
	;; [unrolled: 1-line block ×4, first 2 shown]
	v_fmac_f32_e32 v35, v46, v8
	v_add_u32_e32 v8, 35, v4
	v_fma_f32 v50, v46, v5, v32
	v_fmac_f32_e32 v33, v46, v6
	v_fma_f32 v28, v46, v7, v28
	v_add_u32_e32 v5, 48, v4
	v_add_u32_e32 v6, 49, v4
	;; [unrolled: 1-line block ×4, first 2 shown]
	v_cvt_f32_i32_e32 v4, v4
	v_cvt_f32_i32_e32 v5, v5
	;; [unrolled: 1-line block ×3, first 2 shown]
	v_cmp_gt_i32_e64 s[24:25], s33, v2
	v_fmac_f32_e32 v21, v46, v4
	v_mov_b32_e32 v4, 0xff7fffff
	v_cmp_gt_i32_e64 s[26:27], s33, v3
	v_fma_f32 v22, v46, v5, v22
	v_cndmask_b32_e64 v5, v4, v9, s[24:25]
	v_cndmask_b32_e64 v3, v4, v37, s[26:27]
	v_fmac_f32_e32 v23, v46, v6
	v_max3_f32 v3, v5, s40, v3
	v_or_b32_e32 v5, 2, v2
	v_or_b32_e32 v6, 3, v2
	v_cmp_gt_i32_e64 s[28:29], s33, v5
	v_cmp_gt_i32_e64 s[30:31], s33, v6
	v_cvt_f32_i32_e32 v8, v8
	v_cndmask_b32_e64 v5, v4, v30, s[28:29]
	v_cndmask_b32_e64 v6, v4, v31, s[30:31]
	v_max3_f32 v3, v3, v5, v6
	v_or_b32_e32 v5, 16, v2
	v_or_b32_e32 v6, 17, v2
	v_cmp_gt_i32_e64 s[34:35], s33, v5
	v_cmp_gt_i32_e64 s[36:37], s33, v6
	v_fmac_f32_e32 v29, v46, v8
	v_cndmask_b32_e64 v5, v4, v38, s[34:35]
	v_cndmask_b32_e64 v6, v4, v39, s[36:37]
	v_max3_f32 v3, v3, v5, v6
	v_or_b32_e32 v5, 18, v2
	v_or_b32_e32 v6, 19, v2
	v_cmp_gt_i32_e64 s[18:19], s33, v5
	v_cmp_gt_i32_e64 s[20:21], s33, v6
	v_cvt_f32_i32_e32 v7, v7
	v_cndmask_b32_e64 v5, v4, v34, s[18:19]
	v_cndmask_b32_e64 v6, v4, v35, s[20:21]
	v_max3_f32 v3, v3, v5, v6
	v_or_b32_e32 v5, 32, v2
	v_or_b32_e32 v6, 33, v2
	v_cmp_gt_i32_e64 s[14:15], s33, v5
	v_cmp_gt_i32_e64 s[16:17], s33, v6
	v_fma_f32 v20, v46, v7, v20
	v_cndmask_b32_e64 v5, v4, v50, s[14:15]
	v_cndmask_b32_e64 v6, v4, v33, s[16:17]
	v_max3_f32 v3, v3, v5, v6
	v_or_b32_e32 v5, 34, v2
	v_or_b32_e32 v6, 35, v2
	v_cmp_gt_i32_e64 s[10:11], s33, v5
	v_cmp_gt_i32_e64 s[12:13], s33, v6
	s_nop 0
	v_cndmask_b32_e64 v5, v4, v28, s[10:11]
	v_cndmask_b32_e64 v6, v4, v29, s[12:13]
	v_max3_f32 v3, v3, v5, v6
	v_or_b32_e32 v5, 48, v2
	v_or_b32_e32 v6, 49, v2
	v_cmp_gt_i32_e64 s[6:7], s33, v5
	v_cmp_gt_i32_e64 s[8:9], s33, v6
	s_nop 0
	v_cndmask_b32_e64 v5, v4, v22, s[6:7]
	v_cndmask_b32_e64 v6, v4, v23, s[8:9]
	v_max3_f32 v3, v3, v5, v6
	v_or_b32_e32 v5, 50, v2
	v_or_b32_e32 v2, 51, v2
	v_cmp_gt_i32_e32 vcc, s33, v5
	v_cmp_gt_i32_e64 s[4:5], s33, v2
	s_nop 0
	v_cndmask_b32_e32 v5, v4, v20, vcc
	v_cndmask_b32_e64 v2, v4, v21, s[4:5]
	v_max3_f32 v4, v3, v5, v2
	v_mbcnt_lo_u32_b32 v2, -1, 0
	v_mbcnt_hi_u32_b32 v5, -1, v2
	v_and_b32_e32 v2, 64, v5
	v_add_u32_e32 v6, 64, v2
	v_xor_b32_e32 v2, 32, v5
	v_cmp_lt_i32_e64 s[38:39], v2, v6
	s_nop 1
	v_cndmask_b32_e64 v2, v5, v2, s[38:39]
	v_lshlrev_b32_e32 v46, 2, v2
	ds_bpermute_b32 v7, v46, v4
	s_waitcnt vmcnt(2)
	v_mad_i64_i32 v[2:3], s[38:39], v49, s45, v[18:19]
	global_load_dwordx4 v[14:17], v[24:25], off
	global_load_dwordx4 v[10:13], v[2:3], off
	s_waitcnt lgkmcnt(0)
	v_max_f32_e32 v2, v7, v7
	v_max_f32_e32 v7, v4, v2
	v_xor_b32_e32 v2, 16, v5
	v_cmp_lt_i32_e64 s[38:39], v2, v6
	s_nop 1
	v_cndmask_b32_e64 v2, v5, v2, s[38:39]
	v_lshlrev_b32_e32 v49, 2, v2
	ds_bpermute_b32 v6, v49, v7
	s_waitcnt vmcnt(3)
	v_mad_i64_i32 v[2:3], s[38:39], v47, s45, v[18:19]
	s_waitcnt vmcnt(2)
	v_mad_i64_i32 v[4:5], s[38:39], v48, s45, v[18:19]
	s_waitcnt lgkmcnt(0)
	v_max_f32_e32 v6, v6, v6
	v_max_f32_e32 v32, v7, v6
	v_sub_f32_e32 v6, v9, v32
	v_mul_f32_e32 v6, 0x3fb8aa3b, v6
	v_exp_f32_e32 v18, v6
	v_sub_f32_e32 v6, v37, v32
	v_mul_f32_e32 v6, 0x3fb8aa3b, v6
	v_exp_f32_e32 v19, v6
	global_load_dwordx4 v[6:9], v[2:3], off
	s_nop 0
	global_load_dwordx4 v[2:5], v[4:5], off
	v_sub_f32_e32 v25, v30, v32
	v_sub_f32_e32 v30, v31, v32
	v_mul_f32_e32 v25, 0x3fb8aa3b, v25
	v_mul_f32_e32 v30, 0x3fb8aa3b, v30
	v_exp_f32_e32 v25, v25
	v_exp_f32_e32 v30, v30
	v_cndmask_b32_e64 v18, 0, v18, s[24:25]
	v_add_f32_e32 v24, 0, v18
	v_cndmask_b32_e64 v36, 0, v25, s[28:29]
	v_cndmask_b32_e64 v37, 0, v30, s[30:31]
	v_sub_f32_e32 v25, v38, v32
	v_sub_f32_e32 v30, v39, v32
	v_mul_f32_e32 v25, 0x3fb8aa3b, v25
	v_mul_f32_e32 v30, 0x3fb8aa3b, v30
	v_exp_f32_e32 v25, v25
	v_exp_f32_e32 v30, v30
	v_cndmask_b32_e64 v19, 0, v19, s[26:27]
	v_add_f32_e32 v24, v24, v19
	v_add_f32_e32 v24, v24, v36
	;; [unrolled: 1-line block ×3, first 2 shown]
	v_cndmask_b32_e64 v24, 0, v25, s[34:35]
	v_cndmask_b32_e64 v25, 0, v30, s[36:37]
	v_sub_f32_e32 v30, v34, v32
	v_mul_f32_e32 v30, 0x3fb8aa3b, v30
	v_exp_f32_e32 v30, v30
	v_sub_f32_e32 v34, v35, v32
	v_add_f32_e32 v31, v31, v24
	v_mul_f32_e32 v34, 0x3fb8aa3b, v34
	v_exp_f32_e32 v35, v34
	v_add_f32_e32 v31, v31, v25
	v_cndmask_b32_e64 v34, 0, v30, s[18:19]
	v_add_f32_e32 v30, v31, v34
	v_sub_f32_e32 v31, v50, v32
	v_mul_f32_e32 v31, 0x3fb8aa3b, v31
	v_sub_f32_e32 v33, v33, v32
	v_exp_f32_e32 v31, v31
	v_mul_f32_e32 v33, 0x3fb8aa3b, v33
	v_sub_f32_e32 v28, v28, v32
	v_exp_f32_e32 v33, v33
	;; [unrolled: 3-line block ×3, first 2 shown]
	v_mul_f32_e32 v29, 0x3fb8aa3b, v29
	v_sub_f32_e32 v22, v22, v32
	v_cndmask_b32_e64 v35, 0, v35, s[20:21]
	v_exp_f32_e32 v29, v29
	v_mul_f32_e32 v22, 0x3fb8aa3b, v22
	v_sub_f32_e32 v23, v23, v32
	v_add_f32_e32 v38, v30, v35
	v_cndmask_b32_e64 v30, 0, v31, s[14:15]
	v_exp_f32_e32 v22, v22
	v_mul_f32_e32 v23, 0x3fb8aa3b, v23
	v_sub_f32_e32 v20, v20, v32
	v_add_f32_e32 v38, v38, v30
	;; [unrolled: 5-line block ×3, first 2 shown]
	v_cndmask_b32_e64 v28, 0, v28, s[10:11]
	v_exp_f32_e32 v20, v20
	v_mul_f32_e32 v21, 0x3fb8aa3b, v21
	v_add_f32_e32 v33, v33, v28
	v_cndmask_b32_e64 v29, 0, v29, s[12:13]
	v_exp_f32_e32 v21, v21
	v_add_f32_e32 v33, v33, v29
	v_cndmask_b32_e64 v22, 0, v22, s[6:7]
	v_add_f32_e32 v33, v33, v22
	v_cndmask_b32_e64 v23, 0, v23, s[8:9]
	v_add_f32_e32 v33, v33, v23
	v_cndmask_b32_e32 v20, 0, v20, vcc
	v_add_f32_e32 v33, v33, v20
	v_cndmask_b32_e64 v21, 0, v21, s[4:5]
	v_add_f32_e32 v33, v33, v21
	ds_bpermute_b32 v38, v46, v33
	s_load_dword s7, s[0:1], 0x98
	v_cmp_gt_u32_e32 vcc, 16, v45
	s_waitcnt lgkmcnt(0)
	s_barrier
	v_add_f32_e32 v38, v33, v38
	ds_bpermute_b32 v39, v49, v38
	v_lshlrev_b32_e32 v33, 2, v44
	s_waitcnt lgkmcnt(0)
	s_and_saveexec_b64 s[4:5], vcc
	s_cbranch_execz .LBB907_15
; %bb.14:
	v_add_f32_e32 v38, v38, v39
	v_lshl_or_b32 v39, v43, 6, v33
	ds_write2st64_b32 v39, v32, v38 offset1:1
.LBB907_15:
	s_or_b64 exec, exec, s[4:5]
	s_load_dword s6, s[0:1], 0x94
	s_waitcnt lgkmcnt(0)
	s_barrier
	ds_read2_b32 v[38:39], v33 offset1:16
	ds_read2_b32 v[44:45], v33 offset0:32 offset1:48
	ds_read2_b32 v[46:47], v33 offset0:64 offset1:80
	s_lshl_b32 s7, s7, 2
	s_waitcnt lgkmcnt(2)
	v_max3_f32 v32, v38, s40, v39
	s_waitcnt lgkmcnt(1)
	v_max3_f32 v32, v32, v44, v45
	v_sub_f32_e32 v38, v38, v32
	v_mul_f32_e32 v38, 0x3fb8aa3b, v38
	v_exp_f32_e32 v48, v38
	v_sub_f32_e32 v38, v39, v32
	v_mul_f32_e32 v38, 0x3fb8aa3b, v38
	v_exp_f32_e32 v49, v38
	v_sub_f32_e32 v38, v44, v32
	v_mul_f32_e32 v38, 0x3fb8aa3b, v38
	v_exp_f32_e32 v44, v38
	ds_read2_b32 v[38:39], v33 offset0:96 offset1:112
	v_sub_f32_e32 v33, v45, v32
	v_mul_f32_e32 v33, 0x3fb8aa3b, v33
	v_exp_f32_e32 v45, v33
	s_waitcnt lgkmcnt(1)
	v_fma_f32 v33, v48, v46, 0
	v_fmac_f32_e32 v33, v49, v47
	s_waitcnt lgkmcnt(0)
	v_fmac_f32_e32 v33, v44, v38
	v_fmac_f32_e32 v33, v45, v39
	v_add_f32_e32 v38, 0x358637bd, v33
	v_div_scale_f32 v39, s[4:5], v38, v38, 1.0
	v_rcp_f32_e32 v46, v39
	s_barrier
	v_fma_f32 v47, -v39, v46, 1.0
	v_fmac_f32_e32 v46, v47, v46
	v_div_scale_f32 v47, vcc, 1.0, v38, 1.0
	v_mul_f32_e32 v50, v47, v46
	v_fma_f32 v51, -v39, v50, v47
	v_fmac_f32_e32 v50, v51, v46
	v_fma_f32 v39, -v39, v50, v47
	v_div_fmas_f32 v39, v39, v46, v50
	v_cmp_eq_u32_e32 vcc, 1, v43
	v_div_fixup_f32 v38, v39, v38, 1.0
	s_nop 0
	v_cndmask_b32_e32 v39, v48, v49, vcc
	v_cmp_eq_u32_e32 vcc, 2, v43
	s_nop 1
	v_cndmask_b32_e32 v39, v39, v44, vcc
	v_cmp_eq_u32_e32 vcc, 3, v43
	s_nop 1
	v_cndmask_b32_e32 v39, v39, v45, vcc
	v_mul_f32_e32 v38, v39, v38
	v_pk_mul_f32 v[36:37], v[38:39], v[36:37] op_sel_hi:[0,1]
	v_pk_mul_f32 v[18:19], v[38:39], v[18:19] op_sel_hi:[0,1]
	v_cvt_f16_f32_e32 v39, v36
	v_cvt_f16_f32_e32 v37, v37
	;; [unrolled: 1-line block ×4, first 2 shown]
	v_cmp_gt_u32_e32 vcc, 4, v0
	v_pack_b32_f16 v37, v39, v37
	v_lshlrev_b32_e32 v39, 3, v42
	v_pack_b32_f16 v36, v18, v19
	v_pk_mul_f32 v[18:19], v[38:39], v[34:35] op_sel_hi:[0,1]
	v_pk_mul_f32 v[24:25], v[38:39], v[24:25] op_sel_hi:[0,1]
	v_cvt_f16_f32_e32 v24, v24
	v_cvt_f16_f32_e32 v25, v25
	v_cvt_f16_f32_e32 v34, v18
	v_cvt_f16_f32_e32 v19, v19
	v_lshlrev_b32_e32 v18, 11, v43
	v_or3_b32 v18, v18, v27, v39
	v_pack_b32_f16 v24, v24, v25
	v_pack_b32_f16 v25, v34, v19
	ds_write2st64_b64 v18, v[36:37], v[24:25] offset1:1
	v_pk_mul_f32 v[24:25], v[38:39], v[28:29] op_sel_hi:[0,1]
	v_pk_mul_f32 v[28:29], v[38:39], v[30:31] op_sel_hi:[0,1]
	;; [unrolled: 1-line block ×4, first 2 shown]
	v_cvt_f16_f32_e32 v19, v28
	v_cvt_f16_f32_e32 v28, v29
	;; [unrolled: 1-line block ×8, first 2 shown]
	v_pack_b32_f16 v20, v19, v28
	v_pack_b32_f16 v21, v24, v25
	;; [unrolled: 1-line block ×4, first 2 shown]
	ds_write2st64_b64 v18, v[20:21], v[22:23] offset0:2 offset1:3
	s_and_saveexec_b64 s[4:5], vcc
	s_cbranch_execz .LBB907_17
; %bb.16:
	v_or_b32_e32 v20, s23, v0
	v_mov_b32_e32 v21, 0
	v_mov_b32_e32 v19, s7
	v_mad_u64_u32 v[22:23], s[12:13], s2, v19, v[20:21]
	v_mov_b32_e32 v20, s22
	s_load_dwordx4 s[8:11], s[0:1], 0x58
	s_mul_i32 s3, s3, s7
	v_mad_u64_u32 v[20:21], s[12:13], v22, s6, v[20:21]
	v_add_u32_e32 v19, s3, v23
	v_mov_b32_e32 v22, v21
	v_mad_u64_u32 v[22:23], s[12:13], v19, s6, v[22:23]
	v_mov_b32_e32 v21, v22
	v_lshlrev_b64 v[20:21], 2, v[20:21]
	s_waitcnt lgkmcnt(0)
	v_lshl_add_u64 v[22:23], s[10:11], 0, v[20:21]
	v_lshl_add_u64 v[20:21], s[8:9], 0, v[20:21]
	global_store_dword v[22:23], v32, off
	global_store_dword v[20:21], v33, off
.LBB907_17:
	s_or_b64 exec, exec, s[4:5]
	s_waitcnt vmcnt(3)
	v_cvt_pk_f32_fp8_e32 v[20:21], v14
	v_cvt_pk_f32_fp8_sdwa v[22:23], v14 src0_sel:WORD_1
	v_lshl_or_b32 v14, v42, 9, v27
	s_waitcnt lgkmcnt(0)
	s_barrier
	v_cvt_pk_f32_fp8_e32 v[24:25], v15
	v_cvt_pkrtz_f16_f32 v32, v20, v21
	v_cvt_pkrtz_f16_f32 v33, v22, v23
	v_cvt_pk_f32_fp8_sdwa v[28:29], v15 src0_sel:WORD_1
	ds_read_b128 v[20:23], v14
	v_cvt_pkrtz_f16_f32 v24, v24, v25
	v_cvt_pk_f32_fp8_e32 v[36:37], v16
	v_cvt_pkrtz_f16_f32 v25, v28, v29
	ds_read_b128 v[28:31], v14 offset:16
	v_cvt_pk_f32_fp8_sdwa v[38:39], v16 src0_sel:WORD_1
	s_waitcnt lgkmcnt(1)
	v_mfma_f32_16x16x16_f16 v[32:35], v[32:33], v[20:21], 0
	v_cvt_pkrtz_f16_f32 v36, v36, v37
	s_load_dword s4, s[42:43], 0x0
	v_cvt_pkrtz_f16_f32 v37, v38, v39
	v_cvt_pk_f32_fp8_e32 v[38:39], v17
	v_cvt_pk_f32_fp8_sdwa v[16:17], v17 src0_sel:WORD_1
	v_mfma_f32_16x16x16_f16 v[20:23], v[24:25], v[22:23], v[32:35]
	s_mov_b32 s3, 0
	v_cvt_pkrtz_f16_f32 v24, v38, v39
	v_cvt_pkrtz_f16_f32 v25, v16, v17
	s_waitcnt lgkmcnt(0)
	v_mfma_f32_16x16x16_f16 v[20:23], v[36:37], v[28:29], v[20:23]
	s_waitcnt vmcnt(2)
	v_cvt_pk_f32_fp8_e32 v[16:17], v10
	v_cvt_pk_f32_fp8_e32 v[28:29], v11
	v_cvt_pk_f32_fp8_sdwa v[36:37], v12 src0_sel:WORD_1
	v_mfma_f32_16x16x16_f16 v[20:23], v[24:25], v[30:31], v[20:23]
	v_cvt_pk_f32_fp8_sdwa v[24:25], v10 src0_sel:WORD_1
	v_cvt_pkrtz_f16_f32 v10, v16, v17
	v_cvt_pk_f32_fp8_sdwa v[16:17], v11 src0_sel:WORD_1
	ds_read_b128 v[32:35], v14 offset:2064
	v_cvt_pkrtz_f16_f32 v11, v24, v25
	v_cvt_pkrtz_f16_f32 v24, v28, v29
	ds_read_b128 v[28:31], v14 offset:2048
	v_cvt_pkrtz_f16_f32 v25, v16, v17
	v_cvt_pk_f32_fp8_e32 v[16:17], v12
	s_waitcnt lgkmcnt(0)
	v_mfma_f32_16x16x16_f16 v[20:23], v[10:11], v[28:29], v[20:23]
	v_cvt_pkrtz_f16_f32 v10, v16, v17
	v_cvt_pkrtz_f16_f32 v11, v36, v37
	v_cvt_pk_f32_fp8_e32 v[16:17], v13
	v_mfma_f32_16x16x16_f16 v[20:23], v[24:25], v[30:31], v[20:23]
	v_cvt_pk_f32_fp8_sdwa v[24:25], v13 src0_sel:WORD_1
	ds_read_b128 v[28:31], v14 offset:4112
	v_cvt_pkrtz_f16_f32 v16, v16, v17
	v_mfma_f32_16x16x16_f16 v[10:13], v[10:11], v[32:33], v[20:23]
	v_cvt_pkrtz_f16_f32 v17, v24, v25
	s_waitcnt vmcnt(1)
	v_cvt_pk_f32_fp8_sdwa v[24:25], v7 src0_sel:WORD_1
	v_cvt_pk_f32_fp8_sdwa v[32:33], v8 src0_sel:WORD_1
	v_cvt_pk_f32_fp8_e32 v[20:21], v6
	v_mfma_f32_16x16x16_f16 v[10:13], v[16:17], v[34:35], v[10:13]
	v_cvt_pk_f32_fp8_sdwa v[16:17], v6 src0_sel:WORD_1
	v_cvt_pk_f32_fp8_e32 v[22:23], v7
	v_cvt_pkrtz_f16_f32 v6, v20, v21
	v_mov_b32_e32 v27, 0
	v_cvt_pkrtz_f16_f32 v7, v16, v17
	v_cvt_pkrtz_f16_f32 v16, v22, v23
	ds_read_b128 v[20:23], v14 offset:4096
	v_cvt_pkrtz_f16_f32 v17, v24, v25
	v_cvt_pk_f32_fp8_e32 v[24:25], v8
	s_waitcnt lgkmcnt(0)
	v_mfma_f32_16x16x16_f16 v[10:13], v[6:7], v[20:21], v[10:13]
	v_cvt_pkrtz_f16_f32 v6, v24, v25
	v_cvt_pkrtz_f16_f32 v7, v32, v33
	v_cvt_pk_f32_fp8_e32 v[20:21], v9
	v_mfma_f32_16x16x16_f16 v[10:13], v[16:17], v[22:23], v[10:13]
	v_cvt_pk_f32_fp8_sdwa v[16:17], v9 src0_sel:WORD_1
	s_waitcnt vmcnt(0)
	v_cvt_pk_f32_fp8_sdwa v[24:25], v4 src0_sel:WORD_1
	v_cvt_pkrtz_f16_f32 v20, v20, v21
	v_mfma_f32_16x16x16_f16 v[6:9], v[6:7], v[28:29], v[10:13]
	v_cvt_pkrtz_f16_f32 v21, v16, v17
	v_cvt_pk_f32_fp8_e32 v[16:17], v3
	v_cvt_pkrtz_f16_f32 v22, v16, v17
	v_cvt_pk_f32_fp8_e32 v[10:11], v2
	v_cvt_pk_f32_fp8_sdwa v[12:13], v2 src0_sel:WORD_1
	v_mfma_f32_16x16x16_f16 v[6:9], v[20:21], v[30:31], v[6:9]
	v_cvt_pk_f32_fp8_sdwa v[20:21], v3 src0_sel:WORD_1
	v_cvt_pkrtz_f16_f32 v2, v10, v11
	v_cvt_pkrtz_f16_f32 v3, v12, v13
	ds_read_b128 v[10:13], v14 offset:6144
	v_cvt_pkrtz_f16_f32 v23, v20, v21
	v_cvt_pk_f32_fp8_e32 v[20:21], v4
	s_waitcnt lgkmcnt(0)
	v_mfma_f32_16x16x16_f16 v[6:9], v[2:3], v[10:11], v[6:9]
	ds_read_b128 v[14:17], v14 offset:6160
	v_cvt_pkrtz_f16_f32 v2, v20, v21
	v_cvt_pkrtz_f16_f32 v3, v24, v25
	v_cvt_pk_f32_fp8_e32 v[10:11], v5
	v_mfma_f32_16x16x16_f16 v[6:9], v[22:23], v[12:13], v[6:9]
	v_cvt_pk_f32_fp8_sdwa v[12:13], v5 src0_sel:WORD_1
	s_waitcnt lgkmcnt(0)
	v_cvt_pkrtz_f16_f32 v10, v10, v11
	v_mfma_f32_16x16x16_f16 v[2:5], v[2:3], v[14:15], v[6:9]
	v_cvt_pkrtz_f16_f32 v11, v12, v13
	s_barrier
	s_nop 0
	v_mfma_f32_16x16x16_f16 v[2:5], v[10:11], v[16:17], v[2:5]
	s_nop 6
	v_pk_mul_f32 v[4:5], v[4:5], s[4:5] op_sel_hi:[1,0]
	v_pk_mul_f32 v[2:3], v[2:3], s[4:5] op_sel_hi:[1,0]
	v_cvt_f16_f32_e32 v4, v4
	v_cvt_f16_f32_e32 v2, v2
	;; [unrolled: 1-line block ×4, first 2 shown]
	v_pack_b32_f16 v2, v2, v3
	v_pack_b32_f16 v3, v4, v5
	ds_write_b64 v18, v[2:3]
	s_waitcnt lgkmcnt(0)
	s_barrier
	s_and_saveexec_b64 s[4:5], s[48:49]
	s_cbranch_execz .LBB907_19
; %bb.18:
	s_load_dwordx2 s[0:1], s[0:1], 0x68
	s_lshl_b32 s6, s6, 6
	s_mul_i32 s2, s7, s2
	s_mul_hi_u32 s5, s2, s6
	s_mul_i32 s4, s2, s6
	v_lshlrev_b32_e32 v0, 10, v0
	s_lshl_b64 s[4:5], s[4:5], 1
	v_and_b32_e32 v0, 0x1800, v0
	v_and_b32_e32 v2, 16, v41
	s_waitcnt lgkmcnt(0)
	s_add_u32 s4, s0, s4
	v_or3_b32 v0, v0, v40, v2
	s_addc_u32 s5, s1, s5
	s_lshl_b32 s2, s22, 6
	ds_read_b128 v[2:5], v0
	s_lshl_b64 s[0:1], s[2:3], 1
	s_add_u32 s0, s4, s0
	s_addc_u32 s1, s5, s1
	v_mad_u64_u32 v[0:1], s[2:3], s6, v1, 0
	v_lshl_add_u64 v[0:1], v[0:1], 1, s[0:1]
	v_lshl_add_u64 v[0:1], v[0:1], 0, v[26:27]
	s_waitcnt lgkmcnt(0)
	global_store_dwordx4 v[0:1], v[2:5], off
.LBB907_19:
	s_endpgm
	.section	.rodata,"a",@progbits
	.p2align	6, 0x0
	.amdhsa_kernel _Z39paged_attention_ll4mi_QKV_mfma16_kernelIDF16_hLN4vllm18Fp8KVCacheDataTypeE1EDF16_Li32ELi64ELi256ELb1ELi4EEvPKT_PKT0_S7_ifPKiS9_S9_iPKfiiiPfSC_PS2_PT2_iSB_SB_
		.amdhsa_group_segment_fixed_size 8192
		.amdhsa_private_segment_fixed_size 0
		.amdhsa_kernarg_size 400
		.amdhsa_user_sgpr_count 2
		.amdhsa_user_sgpr_dispatch_ptr 0
		.amdhsa_user_sgpr_queue_ptr 0
		.amdhsa_user_sgpr_kernarg_segment_ptr 1
		.amdhsa_user_sgpr_dispatch_id 0
		.amdhsa_user_sgpr_kernarg_preload_length 0
		.amdhsa_user_sgpr_kernarg_preload_offset 0
		.amdhsa_user_sgpr_private_segment_size 0
		.amdhsa_uses_dynamic_stack 0
		.amdhsa_enable_private_segment 0
		.amdhsa_system_sgpr_workgroup_id_x 1
		.amdhsa_system_sgpr_workgroup_id_y 1
		.amdhsa_system_sgpr_workgroup_id_z 1
		.amdhsa_system_sgpr_workgroup_info 0
		.amdhsa_system_vgpr_workitem_id 0
		.amdhsa_next_free_vgpr 75
		.amdhsa_next_free_sgpr 50
		.amdhsa_accum_offset 76
		.amdhsa_reserve_vcc 1
		.amdhsa_float_round_mode_32 0
		.amdhsa_float_round_mode_16_64 0
		.amdhsa_float_denorm_mode_32 3
		.amdhsa_float_denorm_mode_16_64 3
		.amdhsa_dx10_clamp 1
		.amdhsa_ieee_mode 1
		.amdhsa_fp16_overflow 0
		.amdhsa_tg_split 0
		.amdhsa_exception_fp_ieee_invalid_op 0
		.amdhsa_exception_fp_denorm_src 0
		.amdhsa_exception_fp_ieee_div_zero 0
		.amdhsa_exception_fp_ieee_overflow 0
		.amdhsa_exception_fp_ieee_underflow 0
		.amdhsa_exception_fp_ieee_inexact 0
		.amdhsa_exception_int_div_zero 0
	.end_amdhsa_kernel
	.section	.text._Z39paged_attention_ll4mi_QKV_mfma16_kernelIDF16_hLN4vllm18Fp8KVCacheDataTypeE1EDF16_Li32ELi64ELi256ELb1ELi4EEvPKT_PKT0_S7_ifPKiS9_S9_iPKfiiiPfSC_PS2_PT2_iSB_SB_,"axG",@progbits,_Z39paged_attention_ll4mi_QKV_mfma16_kernelIDF16_hLN4vllm18Fp8KVCacheDataTypeE1EDF16_Li32ELi64ELi256ELb1ELi4EEvPKT_PKT0_S7_ifPKiS9_S9_iPKfiiiPfSC_PS2_PT2_iSB_SB_,comdat
.Lfunc_end907:
	.size	_Z39paged_attention_ll4mi_QKV_mfma16_kernelIDF16_hLN4vllm18Fp8KVCacheDataTypeE1EDF16_Li32ELi64ELi256ELb1ELi4EEvPKT_PKT0_S7_ifPKiS9_S9_iPKfiiiPfSC_PS2_PT2_iSB_SB_, .Lfunc_end907-_Z39paged_attention_ll4mi_QKV_mfma16_kernelIDF16_hLN4vllm18Fp8KVCacheDataTypeE1EDF16_Li32ELi64ELi256ELb1ELi4EEvPKT_PKT0_S7_ifPKiS9_S9_iPKfiiiPfSC_PS2_PT2_iSB_SB_
                                        ; -- End function
	.section	.AMDGPU.csdata,"",@progbits
; Kernel info:
; codeLenInByte = 4840
; NumSgprs: 56
; NumVgprs: 75
; NumAgprs: 0
; TotalNumVgprs: 75
; ScratchSize: 0
; MemoryBound: 0
; FloatMode: 240
; IeeeMode: 1
; LDSByteSize: 8192 bytes/workgroup (compile time only)
; SGPRBlocks: 6
; VGPRBlocks: 9
; NumSGPRsForWavesPerEU: 56
; NumVGPRsForWavesPerEU: 75
; AccumOffset: 76
; Occupancy: 6
; WaveLimiterHint : 1
; COMPUTE_PGM_RSRC2:SCRATCH_EN: 0
; COMPUTE_PGM_RSRC2:USER_SGPR: 2
; COMPUTE_PGM_RSRC2:TRAP_HANDLER: 0
; COMPUTE_PGM_RSRC2:TGID_X_EN: 1
; COMPUTE_PGM_RSRC2:TGID_Y_EN: 1
; COMPUTE_PGM_RSRC2:TGID_Z_EN: 1
; COMPUTE_PGM_RSRC2:TIDIG_COMP_CNT: 0
; COMPUTE_PGM_RSRC3_GFX90A:ACCUM_OFFSET: 18
; COMPUTE_PGM_RSRC3_GFX90A:TG_SPLIT: 0
	.section	.text._Z38paged_attention_ll4mi_QKV_mfma4_kernelIDF16_hLN4vllm18Fp8KVCacheDataTypeE1EDF16_Li32ELi64ELi256ELb0ELi1EEvPKT_PKT0_S7_ifPKiS9_S9_iPKfiiiPfSC_PS2_PT2_iSB_SB_,"axG",@progbits,_Z38paged_attention_ll4mi_QKV_mfma4_kernelIDF16_hLN4vllm18Fp8KVCacheDataTypeE1EDF16_Li32ELi64ELi256ELb0ELi1EEvPKT_PKT0_S7_ifPKiS9_S9_iPKfiiiPfSC_PS2_PT2_iSB_SB_,comdat
	.protected	_Z38paged_attention_ll4mi_QKV_mfma4_kernelIDF16_hLN4vllm18Fp8KVCacheDataTypeE1EDF16_Li32ELi64ELi256ELb0ELi1EEvPKT_PKT0_S7_ifPKiS9_S9_iPKfiiiPfSC_PS2_PT2_iSB_SB_ ; -- Begin function _Z38paged_attention_ll4mi_QKV_mfma4_kernelIDF16_hLN4vllm18Fp8KVCacheDataTypeE1EDF16_Li32ELi64ELi256ELb0ELi1EEvPKT_PKT0_S7_ifPKiS9_S9_iPKfiiiPfSC_PS2_PT2_iSB_SB_
	.globl	_Z38paged_attention_ll4mi_QKV_mfma4_kernelIDF16_hLN4vllm18Fp8KVCacheDataTypeE1EDF16_Li32ELi64ELi256ELb0ELi1EEvPKT_PKT0_S7_ifPKiS9_S9_iPKfiiiPfSC_PS2_PT2_iSB_SB_
	.p2align	8
	.type	_Z38paged_attention_ll4mi_QKV_mfma4_kernelIDF16_hLN4vllm18Fp8KVCacheDataTypeE1EDF16_Li32ELi64ELi256ELb0ELi1EEvPKT_PKT0_S7_ifPKiS9_S9_iPKfiiiPfSC_PS2_PT2_iSB_SB_,@function
_Z38paged_attention_ll4mi_QKV_mfma4_kernelIDF16_hLN4vllm18Fp8KVCacheDataTypeE1EDF16_Li32ELi64ELi256ELb0ELi1EEvPKT_PKT0_S7_ifPKiS9_S9_iPKfiiiPfSC_PS2_PT2_iSB_SB_: ; @_Z38paged_attention_ll4mi_QKV_mfma4_kernelIDF16_hLN4vllm18Fp8KVCacheDataTypeE1EDF16_Li32ELi64ELi256ELb0ELi1EEvPKT_PKT0_S7_ifPKiS9_S9_iPKfiiiPfSC_PS2_PT2_iSB_SB_
; %bb.0:
	s_load_dwordx2 s[20:21], s[0:1], 0x30
	s_mov_b32 s24, s3
	s_mov_b64 s[6:7], 0
	s_waitcnt lgkmcnt(0)
	s_cmp_lg_u64 s[20:21], 0
	s_cselect_b64 s[22:23], -1, 0
	s_and_b64 vcc, exec, s[22:23]
	s_cbranch_vccz .LBB908_10
; %bb.1:
	s_add_i32 s8, s2, 1
	s_mov_b32 s9, 0
	s_lshl_b64 s[10:11], s[8:9], 2
	s_add_u32 s10, s20, s10
	s_mov_b32 s3, s9
	s_addc_u32 s11, s21, s11
	s_lshl_b64 s[8:9], s[2:3], 2
	s_add_u32 s8, s20, s8
	s_addc_u32 s9, s21, s9
	s_load_dword s5, s[10:11], 0x0
	s_load_dword s12, s[8:9], 0x0
	s_waitcnt lgkmcnt(0)
	s_sub_i32 s5, s5, s12
	s_cmp_eq_u32 s5, 1
	s_cselect_b64 s[8:9], -1, 0
	s_andn2_b64 vcc, exec, s[6:7]
	s_cbranch_vccnz .LBB908_3
.LBB908_2:
	s_mov_b32 s3, 0
	s_mov_b64 s[8:9], -1
.LBB908_3:
	s_andn2_b64 vcc, exec, s[8:9]
	s_cbranch_vccnz .LBB908_23
; %bb.4:
	s_load_dword s5, s[0:1], 0x9c
	s_load_dwordx2 s[6:7], s[0:1], 0x28
	s_add_u32 s28, s0, 0x90
	s_addc_u32 s29, s1, 0
	s_lshl_b64 s[34:35], s[2:3], 2
	s_waitcnt lgkmcnt(0)
	s_and_b32 s5, s5, 0xffff
	s_add_u32 s6, s6, s34
	s_addc_u32 s7, s7, s35
	s_load_dword s3, s[6:7], 0x0
	s_mul_i32 s10, s24, s5
	s_waitcnt lgkmcnt(0)
	s_cmp_ge_i32 s10, s3
	s_cbranch_scc1 .LBB908_23
; %bb.5:
	v_and_b32_e32 v2, 0xc0, v0
	v_add_u32_e32 v4, s10, v2
	v_lshrrev_b32_e32 v1, 6, v0
	v_cmp_gt_i32_e64 s[6:7], s3, v4
	v_cmp_le_i32_e32 vcc, s3, v4
                                        ; implicit-def: $sgpr25
                                        ; implicit-def: $sgpr11
	s_and_saveexec_b64 s[8:9], vcc
	s_xor_b64 s[8:9], exec, s[8:9]
	s_cbranch_execz .LBB908_7
; %bb.6:
	v_mul_u32_u24_e32 v2, 20, v1
	v_or_b32_e32 v2, 0xa00, v2
	v_mov_b32_e32 v3, 0xa50
	v_mov_b32_e32 v4, 0xff7fffff
	v_mad_u32_u24 v3, v1, 20, v3
	ds_write2_b32 v2, v4, v4 offset1:1
	v_mov_b32_e32 v2, 0
	ds_write2_b32 v3, v2, v2 offset1:1
	v_mov_b32_e32 v3, 0xa08
	s_mov_b32 s11, 0xff7fffff
	s_mov_b32 s25, 0
	v_mad_u32_u24 v3, v1, 20, v3
	v_mov_b32_e32 v5, 0xa58
	v_mad_u32_u24 v5, v1, 20, v5
	ds_write2_b32 v3, v4, v4 offset1:1
	ds_write2_b32 v5, v2, v2 offset1:1
                                        ; implicit-def: $vgpr4
.LBB908_7:
	s_or_saveexec_b64 s[30:31], s[8:9]
	s_load_dwordx2 s[26:27], s[0:1], 0x68
	s_load_dwordx4 s[16:19], s[0:1], 0x58
	s_load_dword s5, s[28:29], 0x4
	s_load_dwordx4 s[12:15], s[0:1], 0x80
	v_and_b32_e32 v30, 63, v0
	v_and_b32_e32 v31, 3, v0
	v_mov_b32_e32 v21, s25
	v_mov_b32_e32 v24, s11
	;; [unrolled: 1-line block ×5, first 2 shown]
                                        ; implicit-def: $vgpr10_vgpr11
                                        ; implicit-def: $vgpr6_vgpr7
                                        ; implicit-def: $vgpr14_vgpr15
                                        ; implicit-def: $vgpr2_vgpr3
	s_xor_b64 exec, exec, s[30:31]
	s_cbranch_execz .LBB908_17
; %bb.8:
	s_load_dwordx2 s[8:9], s[0:1], 0x20
	s_load_dword s11, s[0:1], 0x38
	s_add_i32 s25, s3, 31
	s_ashr_i32 s33, s25, 31
	s_lshr_b32 s33, s33, 27
	v_add_u32_e32 v32, s10, v0
	s_add_i32 s25, s25, s33
	v_ashrrev_i32_e32 v2, 31, v32
	v_ashrrev_i32_e32 v5, 31, v4
	s_ashr_i32 s25, s25, 5
	v_lshrrev_b32_e32 v2, 27, v2
	v_lshrrev_b32_e32 v5, 27, v5
	s_add_i32 s25, s25, -1
	s_waitcnt lgkmcnt(0)
	s_mul_i32 s36, s2, s11
	s_mov_b32 s37, 0
	v_add_u32_e32 v2, v32, v2
	v_add_u32_e32 v4, v4, v5
	s_lshl_b64 s[36:37], s[36:37], 2
	v_ashrrev_i32_e32 v2, 5, v2
	v_mov_b32_e32 v3, s25
	v_cmp_gt_i32_e32 vcc, s3, v32
	v_ashrrev_i32_e32 v6, 5, v4
	s_add_u32 s8, s8, s36
	v_cndmask_b32_e32 v2, v3, v2, vcc
	v_min_i32_e32 v4, s25, v6
	v_add_u32_e32 v6, 1, v6
	s_addc_u32 s9, s9, s37
	v_ashrrev_i32_e32 v3, 31, v2
	v_min_i32_e32 v6, s25, v6
	v_lshl_add_u64 v[2:3], v[2:3], 2, s[8:9]
	v_ashrrev_i32_e32 v5, 31, v4
	v_ashrrev_i32_e32 v7, 31, v6
	v_lshl_add_u64 v[4:5], v[4:5], 2, s[8:9]
	v_lshl_add_u64 v[10:11], v[6:7], 2, s[8:9]
	global_load_dword v6, v[2:3], off
	global_load_dword v9, v[4:5], off
	;; [unrolled: 1-line block ×3, first 2 shown]
	s_load_dwordx4 s[8:11], s[0:1], 0x8
	s_andn2_b64 vcc, exec, s[22:23]
	s_cbranch_vccnz .LBB908_11
; %bb.9:
	s_add_u32 s20, s20, s34
	s_addc_u32 s21, s21, s35
	s_load_dword s25, s[20:21], 0x0
	s_branch .LBB908_12
.LBB908_10:
	s_mov_b64 s[8:9], 0
	s_branch .LBB908_2
.LBB908_11:
	s_mov_b32 s25, s2
.LBB908_12:
	s_load_dwordx4 s[20:23], s[0:1], 0x48
	v_cmp_eq_u32_e32 vcc, 0, v31
	s_mov_b32 s37, 0
	v_mov_b32_e32 v33, 0
	v_mov_b32_e32 v7, 0
	;; [unrolled: 1-line block ×6, first 2 shown]
	s_and_saveexec_b64 s[34:35], vcc
	s_cbranch_execz .LBB908_14
; %bb.13:
	s_load_dwordx2 s[38:39], s[0:1], 0x0
	s_waitcnt lgkmcnt(0)
	s_ashr_i32 s23, s20, 31
	s_mul_hi_u32 s33, s25, s20
	s_mul_i32 s23, s25, s23
	s_add_i32 s41, s33, s23
	s_mul_i32 s40, s25, s20
	s_lshl_b64 s[40:41], s[40:41], 1
	s_add_u32 s20, s38, s40
	s_addc_u32 s23, s39, s41
	s_lshl_b32 s36, s4, 6
	s_lshl_b64 s[36:37], s[36:37], 1
	s_add_u32 s36, s20, s36
	s_addc_u32 s37, s23, s37
	v_lshlrev_b32_e32 v2, 2, v30
	global_load_dwordx4 v[2:5], v2, s[36:37]
	v_mov_b32_e32 v33, 1.0
.LBB908_14:
	s_or_b64 exec, exec, s[34:35]
	s_waitcnt lgkmcnt(0)
	s_mul_i32 s20, s4, s22
	s_add_u32 s8, s20, s8
	s_addc_u32 s9, 0, s9
	v_mov_b64_e32 v[10:11], s[8:9]
	s_waitcnt vmcnt(2)
	v_mad_i64_i32 v[10:11], s[8:9], v6, s21, v[10:11]
	v_lshlrev_b32_e32 v6, 4, v0
	v_and_b32_e32 v6, 0x1f0, v6
	v_lshl_add_u64 v[10:11], v[10:11], 0, v[6:7]
	global_load_dwordx4 v[26:29], v[10:11], off
	global_load_dwordx4 v[22:25], v[10:11], off offset:512
	global_load_dwordx4 v[18:21], v[10:11], off offset:1024
	;; [unrolled: 1-line block ×3, first 2 shown]
	s_load_dword s8, s[0:1], 0x1c
	s_load_dword s9, s[12:13], 0x0
	s_waitcnt vmcnt(5)
	v_mul_hi_i32 v6, v9, s21
	s_add_u32 s0, s10, s20
	s_waitcnt vmcnt(4)
	v_mul_hi_i32 v10, v8, s21
	v_ashrrev_i32_e32 v12, 31, v6
	s_addc_u32 s1, s11, 0
	v_lshlrev_b32_e32 v6, 5, v30
	v_ashrrev_i32_e32 v36, 31, v10
	s_waitcnt lgkmcnt(0)
	v_mov_b32_e32 v13, s8
	v_lshl_add_u64 v[10:11], s[0:1], 0, v[6:7]
	v_lshrrev_b32_e32 v6, 29, v12
	v_mul_f32_e32 v34, s9, v13
	v_mad_i64_i32 v[12:13], s[0:1], v9, s21, v[6:7]
	v_lshrrev_b32_e32 v6, 29, v36
	v_and_b32_e32 v12, -8, v12
	v_mad_i64_i32 v[6:7], s[0:1], v8, s21, v[6:7]
	v_lshl_add_u64 v[36:37], v[10:11], 0, v[12:13]
	v_and_b32_e32 v6, -8, v6
	v_lshl_add_u64 v[38:39], v[10:11], 0, v[6:7]
	global_load_dwordx4 v[6:9], v[36:37], off offset:16
	global_load_dwordx4 v[10:13], v[36:37], off
	v_and_b32_e32 v35, -4, v32
	v_cmp_eq_u32_e32 vcc, 1, v31
	s_waitcnt vmcnt(5)
	v_cvt_pk_f32_fp8_e32 v[36:37], v26
	v_cvt_pk_f32_fp8_sdwa v[40:41], v26 src0_sel:WORD_1
	v_cvt_pk_f32_fp8_e32 v[42:43], v27
	v_cvt_pk_f32_fp8_sdwa v[26:27], v27 src0_sel:WORD_1
	;; [unrolled: 2-line block ×3, first 2 shown]
	v_cvt_pkrtz_f16_f32 v36, v36, v37
	v_cvt_pkrtz_f16_f32 v37, v40, v41
	v_cvt_pk_f32_fp8_e32 v[48:49], v29
	v_cvt_pk_f32_fp8_sdwa v[28:29], v29 src0_sel:WORD_1
	v_mfma_f32_4x4x4_16b_f16 a[0:3], v[2:3], v[36:37], 0 cbsz:4
	v_cvt_pkrtz_f16_f32 v40, v42, v43
	v_cvt_pkrtz_f16_f32 v41, v26, v27
	s_waitcnt vmcnt(4)
	v_cvt_pk_f32_fp8_e32 v[50:51], v22
	v_cvt_pk_f32_fp8_sdwa v[52:53], v22 src0_sel:WORD_1
	v_mfma_f32_4x4x4_16b_f16 a[0:3], v[4:5], v[40:41], a[0:3] cbsz:4
	v_cvt_pkrtz_f16_f32 v26, v44, v45
	v_cvt_pkrtz_f16_f32 v27, v46, v47
	v_cvt_pk_f32_fp8_e32 v[54:55], v23
	v_cvt_pk_f32_fp8_sdwa v[22:23], v23 src0_sel:WORD_1
	v_mfma_f32_4x4x4_16b_f16 a[0:3], v[2:3], v[26:27], a[0:3] cbsz:4 abid:1
	v_cvt_pkrtz_f16_f32 v42, v48, v49
	v_cvt_pkrtz_f16_f32 v43, v28, v29
	v_cvt_pk_f32_fp8_e32 v[56:57], v24
	v_cvt_pk_f32_fp8_sdwa v[58:59], v24 src0_sel:WORD_1
	v_mfma_f32_4x4x4_16b_f16 a[0:3], v[4:5], v[42:43], a[0:3] cbsz:4 abid:1
	v_cvt_pkrtz_f16_f32 v28, v50, v51
	v_cvt_pkrtz_f16_f32 v29, v52, v53
	v_cvt_pk_f32_fp8_e32 v[60:61], v25
	v_cvt_pk_f32_fp8_sdwa v[24:25], v25 src0_sel:WORD_1
	v_mfma_f32_4x4x4_16b_f16 a[0:3], v[2:3], v[28:29], a[0:3] cbsz:4 abid:2
	v_cvt_pkrtz_f16_f32 v44, v54, v55
	v_cvt_pkrtz_f16_f32 v45, v22, v23
	s_waitcnt vmcnt(3)
	v_cvt_pk_f32_fp8_e32 v[62:63], v18
	v_cvt_pk_f32_fp8_sdwa v[64:65], v18 src0_sel:WORD_1
	v_mfma_f32_4x4x4_16b_f16 a[0:3], v[4:5], v[44:45], a[0:3] cbsz:4 abid:2
	v_cvt_pkrtz_f16_f32 v22, v56, v57
	v_cvt_pkrtz_f16_f32 v23, v58, v59
	v_cvt_pk_f32_fp8_e32 v[66:67], v19
	v_cvt_pk_f32_fp8_sdwa v[18:19], v19 src0_sel:WORD_1
	v_mfma_f32_4x4x4_16b_f16 a[0:3], v[2:3], v[22:23], a[0:3] cbsz:4 abid:3
	v_cvt_pkrtz_f16_f32 v46, v60, v61
	v_cvt_pkrtz_f16_f32 v47, v24, v25
	;; [unrolled: 5-line block ×4, first 2 shown]
	s_waitcnt vmcnt(2)
	v_cvt_pk_f32_fp8_e32 v[74:75], v14
	v_cvt_pk_f32_fp8_sdwa v[76:77], v14 src0_sel:WORD_1
	v_mfma_f32_4x4x4_16b_f16 a[0:3], v[4:5], v[36:37], a[0:3] cbsz:4 abid:4
	v_cvt_pkrtz_f16_f32 v18, v68, v69
	v_cvt_pkrtz_f16_f32 v19, v70, v71
	v_cvt_pk_f32_fp8_e32 v[78:79], v15
	v_cvt_pk_f32_fp8_sdwa v[14:15], v15 src0_sel:WORD_1
	v_mfma_f32_4x4x4_16b_f16 a[0:3], v[2:3], v[18:19], a[0:3] cbsz:4 abid:5
	v_cvt_pkrtz_f16_f32 v26, v72, v73
	v_cvt_pkrtz_f16_f32 v27, v20, v21
	;; [unrolled: 5-line block ×4, first 2 shown]
	v_cvt_pkrtz_f16_f32 v14, v80, v81
	v_cvt_pkrtz_f16_f32 v15, v82, v83
	v_mfma_f32_4x4x4_16b_f16 a[0:3], v[4:5], v[22:23], a[0:3] cbsz:4 abid:6
	v_cvt_pkrtz_f16_f32 v18, v84, v85
	v_cvt_pkrtz_f16_f32 v19, v16, v17
	v_mfma_f32_4x4x4_16b_f16 a[0:3], v[2:3], v[14:15], a[0:3] cbsz:4 abid:7
	v_cndmask_b32_e64 v86, 0, 1.0, vcc
	v_cmp_eq_u32_e32 vcc, 2, v31
	v_mfma_f32_4x4x4_16b_f16 a[0:3], v[4:5], v[18:19], a[0:3] cbsz:4 abid:7
	s_nop 4
	v_accvgpr_read_b32 v3, a1
	v_accvgpr_read_b32 v2, a0
	v_pk_mul_f32 v[18:19], v[2:3], v[34:35] op_sel_hi:[1,0]
	global_load_dwordx4 v[2:5], v[38:39], off offset:16
	global_load_dwordx4 v[14:17], v[38:39], off
	v_accvgpr_read_b32 v21, a3
	v_accvgpr_read_b32 v20, a2
	v_pk_mul_f32 v[20:21], v[20:21], v[34:35] op_sel_hi:[1,0]
	v_mfma_f32_4x4x1_16b_f32 a[0:3], v18, v33, 0
	v_cndmask_b32_e64 v18, 0, 1.0, vcc
	v_cmp_eq_u32_e32 vcc, 3, v31
	v_mfma_f32_4x4x1_16b_f32 a[0:3], v19, v86, a[0:3]
	s_nop 0
	v_cndmask_b32_e64 v19, 0, 1.0, vcc
	v_mfma_f32_4x4x1_16b_f32 a[0:3], v20, v18, a[0:3]
	v_cmp_gt_i32_e32 vcc, s3, v35
	v_lshlrev_b32_e32 v18, 2, v0
	v_mfma_f32_4x4x1_16b_f32 a[0:3], v21, v19, a[0:3]
	v_mov_b32_e32 v21, 0xff7fffff
	v_and_or_b32 v18, v18, 48, v31
	v_lshlrev_b32_e32 v26, 2, v18
	s_nop 0
	v_accvgpr_read_b32 v19, a0
	v_max_f32_e32 v20, v19, v19
	v_max_f32_e32 v20, 0xff7fffff, v20
	v_accvgpr_read_b32 v22, a1
	v_cndmask_b32_e32 v20, v21, v20, vcc
	v_or_b32_e32 v21, 1, v35
	v_max_f32_e32 v23, v22, v22
	v_max_f32_e32 v23, v20, v23
	v_cmp_gt_i32_e64 s[0:1], s3, v21
	v_or_b32_e32 v21, 2, v35
	v_cmp_gt_i32_e64 s[8:9], s3, v21
	v_cndmask_b32_e64 v20, v20, v23, s[0:1]
	v_accvgpr_read_b32 v23, a2
	v_max_f32_e32 v24, v23, v23
	v_max_f32_e32 v24, v20, v24
	v_accvgpr_read_b32 v25, a3
	v_cndmask_b32_e64 v20, v20, v24, s[8:9]
	v_or_b32_e32 v21, 3, v32
	v_max_f32_e32 v24, v25, v25
	v_max_f32_e32 v24, v20, v24
	v_cmp_gt_i32_e64 s[10:11], s3, v21
	s_nop 1
	v_cndmask_b32_e64 v20, v20, v24, s[10:11]
	;;#ASMSTART
	v_nop
 v_nop
 v_max_f32_dpp v18, v20, v20 row_ror:4
	;;#ASMEND
	s_nop 0
	;;#ASMSTART
	v_nop
 v_nop
 v_max_f32_dpp v18, v18, v18 row_ror:8
	;;#ASMEND
	ds_bpermute_b32 v18, v26, v18
	s_waitcnt lgkmcnt(0)
	;;#ASMSTART
	v_nop
 v_nop
 v_max_f32_dpp v18, v18, v18 row_ror:4
	;;#ASMEND
	s_nop 0
	;;#ASMSTART
	v_nop
 v_nop
 v_max_f32_dpp v24, v18, v18 row_ror:8
	;;#ASMEND
	s_nop 0
	v_sub_f32_e32 v18, v19, v24
	v_mul_f32_e32 v18, 0x3fb8aa3b, v18
	v_sub_f32_e32 v19, v22, v24
	v_exp_f32_e32 v18, v18
	v_mul_f32_e32 v19, 0x3fb8aa3b, v19
	v_sub_f32_e32 v21, v23, v24
	v_exp_f32_e32 v19, v19
	;; [unrolled: 3-line block ×3, first 2 shown]
	v_mul_f32_e32 v22, 0x3fb8aa3b, v22
	v_exp_f32_e32 v22, v22
	v_cndmask_b32_e32 v18, 0, v18, vcc
	v_add_f32_e32 v20, 0, v18
	v_cndmask_b32_e64 v19, 0, v19, s[0:1]
	v_add_f32_e32 v23, v20, v19
	v_cndmask_b32_e64 v20, 0, v21, s[8:9]
	;; [unrolled: 2-line block ×3, first 2 shown]
	v_add_f32_e32 v22, v23, v21
	;;#ASMSTART
	v_nop
 v_nop
 v_add_f32_dpp v22, v22, v22 row_ror:4
	;;#ASMEND
	v_cmp_gt_u32_e32 vcc, 4, v30
	;;#ASMSTART
	v_nop
 v_nop
 v_add_f32_dpp v22, v22, v22 row_ror:8
	;;#ASMEND
	ds_bpermute_b32 v22, v26, v22
	s_waitcnt lgkmcnt(0)
	;;#ASMSTART
	v_nop
 v_nop
 v_add_f32_dpp v22, v22, v22 row_ror:4
	;;#ASMEND
	s_nop 0
	;;#ASMSTART
	v_nop
 v_nop
 v_add_f32_dpp v22, v22, v22 row_ror:8
	;;#ASMEND
	s_and_saveexec_b64 s[0:1], vcc
	s_cbranch_execz .LBB908_16
; %bb.15:
	v_mul_u32_u24_e32 v23, 20, v1
	v_lshl_add_u32 v23, v31, 2, v23
	v_add_u32_e32 v23, 0x800, v23
	ds_write2_b32 v23, v24, v22 offset0:128 offset1:148
.LBB908_16:
	s_or_b64 exec, exec, s[0:1]
.LBB908_17:
	s_or_b64 exec, exec, s[30:31]
	s_waitcnt lgkmcnt(0)
	s_barrier
	s_load_dword s0, s[28:29], 0x8
	v_lshlrev_b32_e32 v22, 2, v31
	v_add_u32_e32 v32, 0x800, v22
	ds_read2_b32 v[22:23], v32 offset0:128 offset1:133
	ds_read2_b32 v[26:27], v32 offset0:138 offset1:143
	s_mul_i32 s1, s5, s2
	s_waitcnt lgkmcnt(0)
	s_mul_i32 s0, s1, s0
	s_mov_b32 s1, 0xff7fffff
	v_max3_f32 v25, v22, s1, v23
	v_max3_f32 v25, v25, v26, v27
	v_sub_f32_e32 v22, v22, v25
	ds_read2_b32 v[28:29], v32 offset0:148 offset1:153
	v_mul_f32_e32 v22, 0x3fb8aa3b, v22
	v_sub_f32_e32 v23, v23, v25
	v_sub_f32_e32 v26, v26, v25
	v_exp_f32_e32 v34, v22
	v_mul_f32_e32 v23, 0x3fb8aa3b, v23
	v_mul_f32_e32 v26, 0x3fb8aa3b, v26
	v_exp_f32_e32 v23, v23
	ds_read2_b32 v[32:33], v32 offset0:158 offset1:163
	v_exp_f32_e32 v35, v26
	v_sub_f32_e32 v26, v27, v25
	v_mul_f32_e32 v26, 0x3fb8aa3b, v26
	v_exp_f32_e32 v27, v26
	s_waitcnt lgkmcnt(1)
	v_fma_f32 v26, v34, v28, 0
	v_fmac_f32_e32 v26, v23, v29
	s_waitcnt lgkmcnt(0)
	v_fmac_f32_e32 v26, v35, v32
	v_mov_b32_e32 v22, 0
	v_fmac_f32_e32 v26, v27, v33
	s_mov_b32 s1, 0
	v_cmp_eq_u32_e32 vcc, 0, v31
	s_and_saveexec_b64 s[2:3], vcc
	s_cbranch_execz .LBB908_19
; %bb.18:
	s_lshl_b64 s[8:9], s[0:1], 2
	s_add_u32 s12, s16, s8
	s_mov_b32 s25, s1
	s_addc_u32 s13, s17, s9
	s_lshl_b64 s[10:11], s[24:25], 2
	s_add_u32 s12, s12, s10
	s_addc_u32 s13, s13, s11
	s_add_u32 s8, s18, s8
	s_addc_u32 s9, s19, s9
	;; [unrolled: 2-line block ×3, first 2 shown]
	s_mul_i32 s8, s5, s4
	s_mov_b32 s9, s1
	s_lshl_b64 s[8:9], s[8:9], 2
	s_add_u32 s10, s12, s8
	s_addc_u32 s11, s13, s9
	s_add_u32 s8, s16, s8
	s_addc_u32 s9, s17, s9
	global_store_dword v22, v25, s[8:9]
	global_store_dword v22, v26, s[10:11]
.LBB908_19:
	s_or_b64 exec, exec, s[2:3]
	v_mov_b32_e32 v23, 0
	s_and_saveexec_b64 s[2:3], s[6:7]
	s_cbranch_execz .LBB908_21
; %bb.20:
	v_add_f32_e32 v22, 0x358637bd, v26
	v_div_scale_f32 v23, s[6:7], v22, v22, 1.0
	v_rcp_f32_e32 v26, v23
	v_div_scale_f32 v27, vcc, 1.0, v22, 1.0
	v_sub_f32_e32 v24, v24, v25
	v_fma_f32 v28, -v23, v26, 1.0
	v_fmac_f32_e32 v26, v28, v26
	v_mul_f32_e32 v28, v27, v26
	v_fma_f32 v29, -v23, v28, v27
	v_mul_f32_e32 v24, 0x3fb8aa3b, v24
	v_fmac_f32_e32 v28, v29, v26
	v_exp_f32_e32 v24, v24
	v_fma_f32 v23, -v23, v28, v27
	v_div_fmas_f32 v23, v23, v26, v28
	v_div_fixup_f32 v22, v23, v22, 1.0
	v_mul_f32_e32 v22, v24, v22
	v_pk_mul_f32 v[20:21], v[20:21], v[22:23] op_sel_hi:[1,0]
	v_pk_mul_f32 v[18:19], v[18:19], v[22:23] op_sel_hi:[1,0]
	v_cvt_f16_f32_e32 v22, v20
	v_cvt_f16_f32_e32 v18, v18
	;; [unrolled: 1-line block ×4, first 2 shown]
	s_waitcnt vmcnt(2)
	v_cvt_pk_f32_fp8_e32 v[20:21], v10
	v_cvt_pk_f32_fp8_e32 v[24:25], v11
	v_pack_b32_f16 v18, v18, v19
	v_pack_b32_f16 v19, v22, v23
	v_cvt_pk_f32_fp8_sdwa v[22:23], v10 src0_sel:WORD_1
	v_cvt_pkrtz_f16_f32 v10, v20, v21
	v_cvt_pk_f32_fp8_sdwa v[20:21], v11 src0_sel:WORD_1
	s_load_dword s6, s[14:15], 0x0
	v_cvt_pkrtz_f16_f32 v11, v22, v23
	v_cvt_pkrtz_f16_f32 v22, v24, v25
	;; [unrolled: 1-line block ×3, first 2 shown]
	v_mfma_f32_4x4x4_16b_f16 a[0:3], v[18:19], v[10:11], 0 cbsz:4
	v_cvt_pk_f32_fp8_e32 v[10:11], v12
	v_cvt_pk_f32_fp8_sdwa v[20:21], v12 src0_sel:WORD_1
	v_mfma_f32_4x4x4_16b_f16 a[0:3], v[18:19], v[22:23], a[0:3] cbsz:4 abid:1
	v_cvt_pk_f32_fp8_e32 v[22:23], v13
	v_cvt_pk_f32_fp8_sdwa v[12:13], v13 src0_sel:WORD_1
	v_cvt_pkrtz_f16_f32 v10, v10, v11
	v_cvt_pkrtz_f16_f32 v11, v20, v21
	;; [unrolled: 1-line block ×4, first 2 shown]
	v_mfma_f32_4x4x4_16b_f16 a[0:3], v[18:19], v[10:11], a[0:3] cbsz:4 abid:2
	v_cvt_pk_f32_fp8_e32 v[10:11], v6
	v_cvt_pk_f32_fp8_sdwa v[12:13], v6 src0_sel:WORD_1
	v_mfma_f32_4x4x4_16b_f16 a[0:3], v[18:19], v[20:21], a[0:3] cbsz:4 abid:3
	v_cvt_pk_f32_fp8_e32 v[20:21], v7
	v_cvt_pkrtz_f16_f32 v6, v10, v11
	v_cvt_pk_f32_fp8_sdwa v[10:11], v7 src0_sel:WORD_1
	v_cvt_pkrtz_f16_f32 v7, v12, v13
	v_cvt_pkrtz_f16_f32 v12, v20, v21
	s_mov_b32 s1, 0x5040100
	v_mfma_f32_4x4x4_16b_f16 a[0:3], v[18:19], v[6:7], a[0:3] cbsz:4 abid:4
	v_cvt_pkrtz_f16_f32 v13, v10, v11
	v_cvt_pk_f32_fp8_e32 v[6:7], v8
	v_cvt_pk_f32_fp8_sdwa v[10:11], v8 src0_sel:WORD_1
	v_mfma_f32_4x4x4_16b_f16 a[0:3], v[18:19], v[12:13], a[0:3] cbsz:4 abid:5
	v_cvt_pk_f32_fp8_e32 v[12:13], v9
	v_cvt_pk_f32_fp8_sdwa v[8:9], v9 src0_sel:WORD_1
	v_cvt_pkrtz_f16_f32 v6, v6, v7
	v_cvt_pkrtz_f16_f32 v7, v10, v11
	;; [unrolled: 1-line block ×4, first 2 shown]
	v_mfma_f32_4x4x4_16b_f16 a[0:3], v[18:19], v[6:7], a[0:3] cbsz:4 abid:6
	s_waitcnt vmcnt(0)
	v_cvt_pk_f32_fp8_e32 v[6:7], v14
	v_cvt_pk_f32_fp8_sdwa v[8:9], v14 src0_sel:WORD_1
	v_mfma_f32_4x4x4_16b_f16 a[0:3], v[18:19], v[10:11], a[0:3] cbsz:4 abid:7
	v_cvt_pk_f32_fp8_e32 v[10:11], v15
	v_cvt_pk_f32_fp8_sdwa v[12:13], v15 src0_sel:WORD_1
	v_cvt_pkrtz_f16_f32 v6, v6, v7
	v_cvt_pkrtz_f16_f32 v7, v8, v9
	;; [unrolled: 1-line block ×4, first 2 shown]
	v_mfma_f32_4x4x4_16b_f16 a[0:3], v[18:19], v[6:7], a[0:3] cbsz:4 abid:8
	v_cvt_pk_f32_fp8_e32 v[6:7], v16
	v_cvt_pk_f32_fp8_e32 v[10:11], v17
	v_mfma_f32_4x4x4_16b_f16 a[0:3], v[18:19], v[8:9], a[0:3] cbsz:4 abid:9
	v_cvt_pk_f32_fp8_sdwa v[8:9], v16 src0_sel:WORD_1
	v_cvt_pk_f32_fp8_sdwa v[12:13], v17 src0_sel:WORD_1
	v_cvt_pkrtz_f16_f32 v6, v6, v7
	v_cvt_pkrtz_f16_f32 v7, v8, v9
	;; [unrolled: 1-line block ×3, first 2 shown]
	s_nop 0
	v_mfma_f32_4x4x4_16b_f16 a[0:3], v[18:19], v[6:7], a[0:3] cbsz:4 abid:10
	v_cvt_pk_f32_fp8_e32 v[6:7], v2
	v_cvt_pkrtz_f16_f32 v9, v12, v13
	v_cvt_pk_f32_fp8_e32 v[10:11], v3
	s_nop 0
	v_mfma_f32_4x4x4_16b_f16 a[0:3], v[18:19], v[8:9], a[0:3] cbsz:4 abid:11
	v_cvt_pk_f32_fp8_sdwa v[8:9], v2 src0_sel:WORD_1
	v_cvt_pkrtz_f16_f32 v2, v6, v7
	v_cvt_pk_f32_fp8_sdwa v[6:7], v3 src0_sel:WORD_1
	v_cvt_pkrtz_f16_f32 v3, v8, v9
	v_cvt_pkrtz_f16_f32 v8, v10, v11
	s_nop 0
	v_mfma_f32_4x4x4_16b_f16 a[0:3], v[18:19], v[2:3], a[0:3] cbsz:4 abid:12
	v_cvt_pkrtz_f16_f32 v9, v6, v7
	v_cvt_pk_f32_fp8_e32 v[2:3], v4
	v_cvt_pk_f32_fp8_sdwa v[6:7], v4 src0_sel:WORD_1
	v_mfma_f32_4x4x4_16b_f16 a[0:3], v[18:19], v[8:9], a[0:3] cbsz:4 abid:13
	v_cvt_pk_f32_fp8_e32 v[8:9], v5
	v_cvt_pk_f32_fp8_sdwa v[4:5], v5 src0_sel:WORD_1
	v_cvt_pkrtz_f16_f32 v2, v2, v3
	v_cvt_pkrtz_f16_f32 v3, v6, v7
	;; [unrolled: 1-line block ×4, first 2 shown]
	v_mfma_f32_4x4x4_16b_f16 a[0:3], v[18:19], v[2:3], a[0:3] cbsz:4 abid:14
	s_nop 1
	v_mfma_f32_4x4x4_16b_f16 a[0:3], v[18:19], v[6:7], a[0:3] cbsz:4 abid:15
	s_nop 4
	v_accvgpr_read_b32 v5, a1
	v_accvgpr_read_b32 v3, a3
	;; [unrolled: 1-line block ×4, first 2 shown]
	s_waitcnt lgkmcnt(0)
	v_pk_mul_f32 v[2:3], v[2:3], s[6:7] op_sel_hi:[1,0]
	v_pk_mul_f32 v[4:5], v[4:5], s[6:7] op_sel_hi:[1,0]
	v_cvt_f16_f32_e32 v2, v2
	v_cvt_f16_f32_e32 v4, v4
	;; [unrolled: 1-line block ×4, first 2 shown]
	v_perm_b32 v22, v5, v4, s1
	v_perm_b32 v23, v3, v2, s1
.LBB908_21:
	s_or_b64 exec, exec, s[2:3]
	v_lshlrev_b32_e32 v1, 3, v1
	v_mad_u32_u24 v1, v30, 40, v1
	v_cmp_gt_u32_e32 vcc, 64, v0
	ds_write_b64 v1, v[22:23]
	s_waitcnt lgkmcnt(0)
	s_barrier
	s_and_saveexec_b64 s[2:3], vcc
	s_cbranch_execz .LBB908_23
; %bb.22:
	v_mul_u32_u24_e32 v1, 40, v30
	s_waitcnt vmcnt(1)
	ds_read2_b64 v[2:5], v1 offset1:1
	ds_read2_b64 v[6:9], v1 offset0:2 offset1:3
	s_lshl_b32 s0, s0, 6
	s_mov_b32 s1, 0
	s_lshl_b64 s[2:3], s[0:1], 1
	s_add_u32 s2, s26, s2
	s_addc_u32 s3, s27, s3
	s_lshl_b32 s0, s24, 6
	s_lshl_b64 s[0:1], s[0:1], 1
	s_waitcnt lgkmcnt(1)
	v_pk_add_f16 v2, v2, 0
	s_add_u32 s0, s2, s0
	s_mul_i32 s4, s4, s5
	v_pk_add_f16 v2, v2, v4
	s_addc_u32 s1, s3, s1
	v_lshl_or_b32 v0, s4, 6, v0
	v_mov_b32_e32 v1, 0
	s_waitcnt lgkmcnt(0)
	v_pk_add_f16 v2, v2, v6
	v_lshl_add_u64 v[0:1], v[0:1], 1, s[0:1]
	v_pk_add_f16 v2, v2, v8
	global_store_short v[0:1], v2, off
.LBB908_23:
	s_endpgm
	.section	.rodata,"a",@progbits
	.p2align	6, 0x0
	.amdhsa_kernel _Z38paged_attention_ll4mi_QKV_mfma4_kernelIDF16_hLN4vllm18Fp8KVCacheDataTypeE1EDF16_Li32ELi64ELi256ELb0ELi1EEvPKT_PKT0_S7_ifPKiS9_S9_iPKfiiiPfSC_PS2_PT2_iSB_SB_
		.amdhsa_group_segment_fixed_size 2720
		.amdhsa_private_segment_fixed_size 0
		.amdhsa_kernarg_size 400
		.amdhsa_user_sgpr_count 2
		.amdhsa_user_sgpr_dispatch_ptr 0
		.amdhsa_user_sgpr_queue_ptr 0
		.amdhsa_user_sgpr_kernarg_segment_ptr 1
		.amdhsa_user_sgpr_dispatch_id 0
		.amdhsa_user_sgpr_kernarg_preload_length 0
		.amdhsa_user_sgpr_kernarg_preload_offset 0
		.amdhsa_user_sgpr_private_segment_size 0
		.amdhsa_uses_dynamic_stack 0
		.amdhsa_enable_private_segment 0
		.amdhsa_system_sgpr_workgroup_id_x 1
		.amdhsa_system_sgpr_workgroup_id_y 1
		.amdhsa_system_sgpr_workgroup_id_z 1
		.amdhsa_system_sgpr_workgroup_info 0
		.amdhsa_system_vgpr_workitem_id 0
		.amdhsa_next_free_vgpr 92
		.amdhsa_next_free_sgpr 42
		.amdhsa_accum_offset 88
		.amdhsa_reserve_vcc 1
		.amdhsa_float_round_mode_32 0
		.amdhsa_float_round_mode_16_64 0
		.amdhsa_float_denorm_mode_32 3
		.amdhsa_float_denorm_mode_16_64 3
		.amdhsa_dx10_clamp 1
		.amdhsa_ieee_mode 1
		.amdhsa_fp16_overflow 0
		.amdhsa_tg_split 0
		.amdhsa_exception_fp_ieee_invalid_op 0
		.amdhsa_exception_fp_denorm_src 0
		.amdhsa_exception_fp_ieee_div_zero 0
		.amdhsa_exception_fp_ieee_overflow 0
		.amdhsa_exception_fp_ieee_underflow 0
		.amdhsa_exception_fp_ieee_inexact 0
		.amdhsa_exception_int_div_zero 0
	.end_amdhsa_kernel
	.section	.text._Z38paged_attention_ll4mi_QKV_mfma4_kernelIDF16_hLN4vllm18Fp8KVCacheDataTypeE1EDF16_Li32ELi64ELi256ELb0ELi1EEvPKT_PKT0_S7_ifPKiS9_S9_iPKfiiiPfSC_PS2_PT2_iSB_SB_,"axG",@progbits,_Z38paged_attention_ll4mi_QKV_mfma4_kernelIDF16_hLN4vllm18Fp8KVCacheDataTypeE1EDF16_Li32ELi64ELi256ELb0ELi1EEvPKT_PKT0_S7_ifPKiS9_S9_iPKfiiiPfSC_PS2_PT2_iSB_SB_,comdat
.Lfunc_end908:
	.size	_Z38paged_attention_ll4mi_QKV_mfma4_kernelIDF16_hLN4vllm18Fp8KVCacheDataTypeE1EDF16_Li32ELi64ELi256ELb0ELi1EEvPKT_PKT0_S7_ifPKiS9_S9_iPKfiiiPfSC_PS2_PT2_iSB_SB_, .Lfunc_end908-_Z38paged_attention_ll4mi_QKV_mfma4_kernelIDF16_hLN4vllm18Fp8KVCacheDataTypeE1EDF16_Li32ELi64ELi256ELb0ELi1EEvPKT_PKT0_S7_ifPKiS9_S9_iPKfiiiPfSC_PS2_PT2_iSB_SB_
                                        ; -- End function
	.section	.AMDGPU.csdata,"",@progbits
; Kernel info:
; codeLenInByte = 3656
; NumSgprs: 48
; NumVgprs: 87
; NumAgprs: 4
; TotalNumVgprs: 92
; ScratchSize: 0
; MemoryBound: 0
; FloatMode: 240
; IeeeMode: 1
; LDSByteSize: 2720 bytes/workgroup (compile time only)
; SGPRBlocks: 5
; VGPRBlocks: 11
; NumSGPRsForWavesPerEU: 48
; NumVGPRsForWavesPerEU: 92
; AccumOffset: 88
; Occupancy: 5
; WaveLimiterHint : 1
; COMPUTE_PGM_RSRC2:SCRATCH_EN: 0
; COMPUTE_PGM_RSRC2:USER_SGPR: 2
; COMPUTE_PGM_RSRC2:TRAP_HANDLER: 0
; COMPUTE_PGM_RSRC2:TGID_X_EN: 1
; COMPUTE_PGM_RSRC2:TGID_Y_EN: 1
; COMPUTE_PGM_RSRC2:TGID_Z_EN: 1
; COMPUTE_PGM_RSRC2:TIDIG_COMP_CNT: 0
; COMPUTE_PGM_RSRC3_GFX90A:ACCUM_OFFSET: 21
; COMPUTE_PGM_RSRC3_GFX90A:TG_SPLIT: 0
	.section	.text._Z38paged_attention_ll4mi_QKV_mfma4_kernelIDF16_hLN4vllm18Fp8KVCacheDataTypeE1EDF16_Li32ELi64ELi256ELb0ELi2EEvPKT_PKT0_S7_ifPKiS9_S9_iPKfiiiPfSC_PS2_PT2_iSB_SB_,"axG",@progbits,_Z38paged_attention_ll4mi_QKV_mfma4_kernelIDF16_hLN4vllm18Fp8KVCacheDataTypeE1EDF16_Li32ELi64ELi256ELb0ELi2EEvPKT_PKT0_S7_ifPKiS9_S9_iPKfiiiPfSC_PS2_PT2_iSB_SB_,comdat
	.protected	_Z38paged_attention_ll4mi_QKV_mfma4_kernelIDF16_hLN4vllm18Fp8KVCacheDataTypeE1EDF16_Li32ELi64ELi256ELb0ELi2EEvPKT_PKT0_S7_ifPKiS9_S9_iPKfiiiPfSC_PS2_PT2_iSB_SB_ ; -- Begin function _Z38paged_attention_ll4mi_QKV_mfma4_kernelIDF16_hLN4vllm18Fp8KVCacheDataTypeE1EDF16_Li32ELi64ELi256ELb0ELi2EEvPKT_PKT0_S7_ifPKiS9_S9_iPKfiiiPfSC_PS2_PT2_iSB_SB_
	.globl	_Z38paged_attention_ll4mi_QKV_mfma4_kernelIDF16_hLN4vllm18Fp8KVCacheDataTypeE1EDF16_Li32ELi64ELi256ELb0ELi2EEvPKT_PKT0_S7_ifPKiS9_S9_iPKfiiiPfSC_PS2_PT2_iSB_SB_
	.p2align	8
	.type	_Z38paged_attention_ll4mi_QKV_mfma4_kernelIDF16_hLN4vllm18Fp8KVCacheDataTypeE1EDF16_Li32ELi64ELi256ELb0ELi2EEvPKT_PKT0_S7_ifPKiS9_S9_iPKfiiiPfSC_PS2_PT2_iSB_SB_,@function
_Z38paged_attention_ll4mi_QKV_mfma4_kernelIDF16_hLN4vllm18Fp8KVCacheDataTypeE1EDF16_Li32ELi64ELi256ELb0ELi2EEvPKT_PKT0_S7_ifPKiS9_S9_iPKfiiiPfSC_PS2_PT2_iSB_SB_: ; @_Z38paged_attention_ll4mi_QKV_mfma4_kernelIDF16_hLN4vllm18Fp8KVCacheDataTypeE1EDF16_Li32ELi64ELi256ELb0ELi2EEvPKT_PKT0_S7_ifPKiS9_S9_iPKfiiiPfSC_PS2_PT2_iSB_SB_
; %bb.0:
	s_load_dwordx2 s[20:21], s[0:1], 0x30
	s_mov_b32 s24, s3
	s_mov_b64 s[6:7], 0
	s_waitcnt lgkmcnt(0)
	s_cmp_lg_u64 s[20:21], 0
	s_cselect_b64 s[22:23], -1, 0
	s_and_b64 vcc, exec, s[22:23]
	s_cbranch_vccz .LBB909_10
; %bb.1:
	s_add_i32 s8, s2, 1
	s_mov_b32 s9, 0
	s_lshl_b64 s[10:11], s[8:9], 2
	s_add_u32 s10, s20, s10
	s_mov_b32 s3, s9
	s_addc_u32 s11, s21, s11
	s_lshl_b64 s[8:9], s[2:3], 2
	s_add_u32 s8, s20, s8
	s_addc_u32 s9, s21, s9
	s_load_dword s5, s[10:11], 0x0
	s_load_dword s12, s[8:9], 0x0
	s_waitcnt lgkmcnt(0)
	s_sub_i32 s5, s5, s12
	s_cmp_eq_u32 s5, 1
	s_cselect_b64 s[8:9], -1, 0
	s_andn2_b64 vcc, exec, s[6:7]
	s_cbranch_vccnz .LBB909_3
.LBB909_2:
	s_mov_b32 s3, 0
	s_mov_b64 s[8:9], -1
.LBB909_3:
	s_andn2_b64 vcc, exec, s[8:9]
	s_cbranch_vccnz .LBB909_23
; %bb.4:
	s_load_dword s5, s[0:1], 0x9c
	s_load_dwordx2 s[6:7], s[0:1], 0x28
	s_add_u32 s28, s0, 0x90
	s_addc_u32 s29, s1, 0
	s_lshl_b64 s[34:35], s[2:3], 2
	s_waitcnt lgkmcnt(0)
	s_and_b32 s5, s5, 0xffff
	s_add_u32 s6, s6, s34
	s_addc_u32 s7, s7, s35
	s_load_dword s3, s[6:7], 0x0
	s_mul_i32 s10, s24, s5
	s_waitcnt lgkmcnt(0)
	s_cmp_ge_i32 s10, s3
	s_cbranch_scc1 .LBB909_23
; %bb.5:
	v_and_b32_e32 v2, 0xc0, v0
	v_add_u32_e32 v4, s10, v2
	v_lshrrev_b32_e32 v1, 6, v0
	v_cmp_gt_i32_e64 s[6:7], s3, v4
	v_cmp_le_i32_e32 vcc, s3, v4
                                        ; implicit-def: $sgpr25
                                        ; implicit-def: $sgpr11
	s_and_saveexec_b64 s[8:9], vcc
	s_xor_b64 s[8:9], exec, s[8:9]
	s_cbranch_execz .LBB909_7
; %bb.6:
	v_mul_u32_u24_e32 v2, 20, v1
	v_or_b32_e32 v2, 0xa00, v2
	v_mov_b32_e32 v3, 0xa50
	v_mov_b32_e32 v4, 0xff7fffff
	v_mad_u32_u24 v3, v1, 20, v3
	ds_write2_b32 v2, v4, v4 offset1:1
	v_mov_b32_e32 v2, 0
	ds_write2_b32 v3, v2, v2 offset1:1
	v_mov_b32_e32 v3, 0xa08
	s_mov_b32 s11, 0xff7fffff
	s_mov_b32 s25, 0
	v_mad_u32_u24 v3, v1, 20, v3
	v_mov_b32_e32 v5, 0xa58
	v_mad_u32_u24 v5, v1, 20, v5
	ds_write2_b32 v3, v4, v4 offset1:1
	ds_write2_b32 v5, v2, v2 offset1:1
                                        ; implicit-def: $vgpr4
.LBB909_7:
	s_or_saveexec_b64 s[30:31], s[8:9]
	s_load_dwordx2 s[26:27], s[0:1], 0x68
	s_load_dwordx4 s[16:19], s[0:1], 0x58
	s_load_dword s5, s[28:29], 0x4
	s_load_dwordx4 s[12:15], s[0:1], 0x80
	v_and_b32_e32 v30, 63, v0
	v_and_b32_e32 v31, 3, v0
	v_mov_b32_e32 v21, s25
	v_mov_b32_e32 v24, s11
	;; [unrolled: 1-line block ×5, first 2 shown]
                                        ; implicit-def: $vgpr10_vgpr11
                                        ; implicit-def: $vgpr6_vgpr7
                                        ; implicit-def: $vgpr14_vgpr15
                                        ; implicit-def: $vgpr2_vgpr3
	s_xor_b64 exec, exec, s[30:31]
	s_cbranch_execz .LBB909_17
; %bb.8:
	s_load_dwordx2 s[8:9], s[0:1], 0x20
	s_load_dword s11, s[0:1], 0x38
	s_add_i32 s25, s3, 31
	s_ashr_i32 s33, s25, 31
	s_lshr_b32 s33, s33, 27
	v_add_u32_e32 v32, s10, v0
	s_add_i32 s25, s25, s33
	v_ashrrev_i32_e32 v2, 31, v32
	v_ashrrev_i32_e32 v5, 31, v4
	s_ashr_i32 s25, s25, 5
	v_lshrrev_b32_e32 v2, 27, v2
	v_lshrrev_b32_e32 v5, 27, v5
	s_add_i32 s25, s25, -1
	s_waitcnt lgkmcnt(0)
	s_mul_i32 s36, s2, s11
	s_mov_b32 s37, 0
	v_add_u32_e32 v2, v32, v2
	v_add_u32_e32 v4, v4, v5
	s_lshl_b64 s[36:37], s[36:37], 2
	v_ashrrev_i32_e32 v2, 5, v2
	v_mov_b32_e32 v3, s25
	v_cmp_gt_i32_e32 vcc, s3, v32
	v_ashrrev_i32_e32 v6, 5, v4
	s_add_u32 s8, s8, s36
	v_cndmask_b32_e32 v2, v3, v2, vcc
	v_min_i32_e32 v4, s25, v6
	v_add_u32_e32 v6, 1, v6
	s_addc_u32 s9, s9, s37
	v_ashrrev_i32_e32 v3, 31, v2
	v_min_i32_e32 v6, s25, v6
	v_lshl_add_u64 v[2:3], v[2:3], 2, s[8:9]
	v_ashrrev_i32_e32 v5, 31, v4
	v_ashrrev_i32_e32 v7, 31, v6
	v_lshl_add_u64 v[4:5], v[4:5], 2, s[8:9]
	v_lshl_add_u64 v[10:11], v[6:7], 2, s[8:9]
	global_load_dword v6, v[2:3], off
	global_load_dword v9, v[4:5], off
	global_load_dword v8, v[10:11], off
	s_load_dwordx4 s[8:11], s[0:1], 0x8
	s_andn2_b64 vcc, exec, s[22:23]
	s_cbranch_vccnz .LBB909_11
; %bb.9:
	s_add_u32 s20, s20, s34
	s_addc_u32 s21, s21, s35
	s_load_dword s25, s[20:21], 0x0
	s_branch .LBB909_12
.LBB909_10:
	s_mov_b64 s[8:9], 0
	s_branch .LBB909_2
.LBB909_11:
	s_mov_b32 s25, s2
.LBB909_12:
	s_load_dwordx4 s[20:23], s[0:1], 0x48
	v_cmp_gt_u32_e32 vcc, 2, v31
	s_mov_b32 s37, 0
	v_mov_b32_e32 v7, 0
	v_mov_b32_e32 v2, 0
	;; [unrolled: 1-line block ×5, first 2 shown]
	s_and_saveexec_b64 s[34:35], vcc
	s_cbranch_execz .LBB909_14
; %bb.13:
	s_load_dwordx2 s[38:39], s[0:1], 0x0
	s_waitcnt lgkmcnt(0)
	s_ashr_i32 s23, s20, 31
	s_mul_hi_u32 s33, s25, s20
	s_mul_i32 s23, s25, s23
	s_add_i32 s41, s33, s23
	s_mul_i32 s40, s25, s20
	s_lshl_b64 s[40:41], s[40:41], 1
	s_add_u32 s20, s38, s40
	s_addc_u32 s23, s39, s41
	s_lshl_b32 s36, s4, 7
	s_lshl_b64 s[36:37], s[36:37], 1
	s_add_u32 s36, s20, s36
	v_lshlrev_b32_e32 v2, 3, v31
	v_lshrrev_b32_e32 v3, 2, v30
	s_addc_u32 s37, s23, s37
	v_add_lshl_u32 v2, v2, v3, 4
	global_load_dwordx4 v[2:5], v2, s[36:37]
.LBB909_14:
	s_or_b64 exec, exec, s[34:35]
	s_waitcnt lgkmcnt(0)
	s_mul_i32 s20, s4, s22
	s_add_u32 s8, s20, s8
	s_addc_u32 s9, 0, s9
	v_mov_b64_e32 v[10:11], s[8:9]
	s_waitcnt vmcnt(2)
	v_mad_i64_i32 v[10:11], s[8:9], v6, s21, v[10:11]
	v_lshlrev_b32_e32 v6, 4, v0
	v_and_b32_e32 v6, 0x1f0, v6
	v_lshl_add_u64 v[10:11], v[10:11], 0, v[6:7]
	global_load_dwordx4 v[26:29], v[10:11], off
	global_load_dwordx4 v[22:25], v[10:11], off offset:512
	global_load_dwordx4 v[18:21], v[10:11], off offset:1024
	;; [unrolled: 1-line block ×3, first 2 shown]
	s_load_dword s8, s[0:1], 0x1c
	s_load_dword s9, s[12:13], 0x0
	s_waitcnt vmcnt(5)
	v_mul_hi_i32 v6, v9, s21
	s_add_u32 s0, s10, s20
	s_waitcnt vmcnt(4)
	v_mul_hi_i32 v10, v8, s21
	v_ashrrev_i32_e32 v12, 31, v6
	s_addc_u32 s1, s11, 0
	v_lshlrev_b32_e32 v6, 5, v30
	v_ashrrev_i32_e32 v35, 31, v10
	s_waitcnt lgkmcnt(0)
	v_mov_b32_e32 v13, s8
	v_lshl_add_u64 v[10:11], s[0:1], 0, v[6:7]
	v_lshrrev_b32_e32 v6, 29, v12
	v_mul_f32_e32 v34, s9, v13
	v_mad_i64_i32 v[12:13], s[0:1], v9, s21, v[6:7]
	v_lshrrev_b32_e32 v6, 29, v35
	v_and_b32_e32 v12, -8, v12
	v_mad_i64_i32 v[6:7], s[0:1], v8, s21, v[6:7]
	v_lshl_add_u64 v[36:37], v[10:11], 0, v[12:13]
	v_and_b32_e32 v6, -8, v6
	v_lshl_add_u64 v[38:39], v[10:11], 0, v[6:7]
	global_load_dwordx4 v[6:9], v[36:37], off offset:16
	global_load_dwordx4 v[10:13], v[36:37], off
	v_cmp_eq_u32_e32 vcc, 0, v31
	s_waitcnt vmcnt(5)
	v_cvt_pk_f32_fp8_e32 v[36:37], v26
	v_cvt_pk_f32_fp8_sdwa v[40:41], v26 src0_sel:WORD_1
	v_cvt_pk_f32_fp8_e32 v[42:43], v27
	v_cvt_pk_f32_fp8_sdwa v[26:27], v27 src0_sel:WORD_1
	;; [unrolled: 2-line block ×3, first 2 shown]
	v_cvt_pkrtz_f16_f32 v36, v36, v37
	v_cvt_pkrtz_f16_f32 v37, v40, v41
	v_cvt_pk_f32_fp8_e32 v[48:49], v29
	v_cvt_pk_f32_fp8_sdwa v[28:29], v29 src0_sel:WORD_1
	v_mfma_f32_4x4x4_16b_f16 a[0:3], v[2:3], v[36:37], 0 cbsz:4
	v_cvt_pkrtz_f16_f32 v40, v42, v43
	v_cvt_pkrtz_f16_f32 v41, v26, v27
	s_waitcnt vmcnt(4)
	v_cvt_pk_f32_fp8_e32 v[50:51], v22
	v_cvt_pk_f32_fp8_sdwa v[52:53], v22 src0_sel:WORD_1
	v_mfma_f32_4x4x4_16b_f16 a[0:3], v[4:5], v[40:41], a[0:3] cbsz:4
	v_cvt_pkrtz_f16_f32 v26, v44, v45
	v_cvt_pkrtz_f16_f32 v27, v46, v47
	v_cvt_pk_f32_fp8_e32 v[54:55], v23
	v_cvt_pk_f32_fp8_sdwa v[22:23], v23 src0_sel:WORD_1
	v_mfma_f32_4x4x4_16b_f16 a[0:3], v[2:3], v[26:27], a[0:3] cbsz:4 abid:1
	v_cvt_pkrtz_f16_f32 v42, v48, v49
	v_cvt_pkrtz_f16_f32 v43, v28, v29
	v_cvt_pk_f32_fp8_e32 v[56:57], v24
	v_cvt_pk_f32_fp8_sdwa v[58:59], v24 src0_sel:WORD_1
	v_mfma_f32_4x4x4_16b_f16 a[0:3], v[4:5], v[42:43], a[0:3] cbsz:4 abid:1
	;; [unrolled: 5-line block ×3, first 2 shown]
	v_cvt_pkrtz_f16_f32 v44, v54, v55
	v_cvt_pkrtz_f16_f32 v45, v22, v23
	s_waitcnt vmcnt(3)
	v_cvt_pk_f32_fp8_e32 v[62:63], v18
	v_cvt_pk_f32_fp8_sdwa v[64:65], v18 src0_sel:WORD_1
	v_mfma_f32_4x4x4_16b_f16 a[0:3], v[4:5], v[44:45], a[0:3] cbsz:4 abid:2
	v_cvt_pkrtz_f16_f32 v22, v56, v57
	v_cvt_pkrtz_f16_f32 v23, v58, v59
	v_cvt_pk_f32_fp8_e32 v[66:67], v19
	v_cvt_pk_f32_fp8_sdwa v[18:19], v19 src0_sel:WORD_1
	v_mfma_f32_4x4x4_16b_f16 a[0:3], v[2:3], v[22:23], a[0:3] cbsz:4 abid:3
	v_cvt_pkrtz_f16_f32 v46, v60, v61
	v_cvt_pkrtz_f16_f32 v47, v24, v25
	;; [unrolled: 5-line block ×4, first 2 shown]
	s_waitcnt vmcnt(2)
	v_cvt_pk_f32_fp8_e32 v[74:75], v14
	v_cvt_pk_f32_fp8_sdwa v[76:77], v14 src0_sel:WORD_1
	v_mfma_f32_4x4x4_16b_f16 a[0:3], v[4:5], v[36:37], a[0:3] cbsz:4 abid:4
	v_cvt_pkrtz_f16_f32 v18, v68, v69
	v_cvt_pkrtz_f16_f32 v19, v70, v71
	v_cvt_pk_f32_fp8_e32 v[78:79], v15
	v_cvt_pk_f32_fp8_sdwa v[14:15], v15 src0_sel:WORD_1
	v_mfma_f32_4x4x4_16b_f16 a[0:3], v[2:3], v[18:19], a[0:3] cbsz:4 abid:5
	v_cvt_pkrtz_f16_f32 v26, v72, v73
	v_cvt_pkrtz_f16_f32 v27, v20, v21
	;; [unrolled: 5-line block ×4, first 2 shown]
	v_cvt_pkrtz_f16_f32 v14, v80, v81
	v_cvt_pkrtz_f16_f32 v15, v82, v83
	v_mfma_f32_4x4x4_16b_f16 a[0:3], v[4:5], v[22:23], a[0:3] cbsz:4 abid:6
	v_cvt_pkrtz_f16_f32 v18, v84, v85
	v_cvt_pkrtz_f16_f32 v19, v16, v17
	v_mfma_f32_4x4x4_16b_f16 a[0:3], v[2:3], v[14:15], a[0:3] cbsz:4 abid:7
	v_cndmask_b32_e64 v33, 0, 1.0, vcc
	v_cmp_eq_u32_e32 vcc, 1, v31
	v_mfma_f32_4x4x4_16b_f16 a[0:3], v[4:5], v[18:19], a[0:3] cbsz:4 abid:7
	v_mov_b32_e32 v22, 0xff7fffff
	s_nop 3
	v_accvgpr_read_b32 v3, a1
	v_accvgpr_read_b32 v2, a0
	v_pk_mul_f32 v[18:19], v[2:3], v[34:35] op_sel_hi:[1,0]
	global_load_dwordx4 v[2:5], v[38:39], off offset:16
	global_load_dwordx4 v[14:17], v[38:39], off
	v_accvgpr_read_b32 v21, a3
	v_accvgpr_read_b32 v20, a2
	v_pk_mul_f32 v[20:21], v[20:21], v[34:35] op_sel_hi:[1,0]
	v_mfma_f32_4x4x1_16b_f32 a[0:3], v18, v33, 0
	v_cndmask_b32_e64 v18, 0, 1.0, vcc
	v_cmp_eq_u32_e32 vcc, 2, v31
	s_nop 0
	v_mfma_f32_4x4x1_16b_f32 a[0:3], v19, v18, a[0:3]
	v_cndmask_b32_e64 v18, 0, 1.0, vcc
	v_cmp_eq_u32_e32 vcc, 3, v31
	v_lshlrev_b32_e32 v19, 2, v0
	v_mfma_f32_4x4x1_16b_f32 a[0:3], v20, v18, a[0:3]
	v_cndmask_b32_e64 v18, 0, 1.0, vcc
	v_and_or_b32 v19, v19, 48, v31
	v_lshlrev_b32_e32 v26, 2, v19
	v_mfma_f32_4x4x1_16b_f32 a[0:3], v21, v18, a[0:3]
	v_and_b32_e32 v18, -4, v32
	v_cmp_gt_i32_e32 vcc, s3, v18
	s_nop 1
	v_accvgpr_read_b32 v20, a0
	v_max_f32_e32 v21, v20, v20
	v_max_f32_e32 v21, 0xff7fffff, v21
	v_accvgpr_read_b32 v23, a1
	v_cndmask_b32_e32 v21, v22, v21, vcc
	v_or_b32_e32 v22, 1, v18
	v_max_f32_e32 v24, v23, v23
	v_max_f32_e32 v24, v21, v24
	v_cmp_gt_i32_e64 s[0:1], s3, v22
	v_accvgpr_read_b32 v22, a2
	v_or_b32_e32 v18, 2, v18
	v_cndmask_b32_e64 v21, v21, v24, s[0:1]
	v_max_f32_e32 v24, v22, v22
	v_max_f32_e32 v24, v21, v24
	v_cmp_gt_i32_e64 s[8:9], s3, v18
	v_accvgpr_read_b32 v25, a3
	s_nop 0
	v_cndmask_b32_e64 v18, v21, v24, s[8:9]
	v_or_b32_e32 v21, 3, v32
	v_max_f32_e32 v24, v25, v25
	v_max_f32_e32 v24, v18, v24
	v_cmp_gt_i32_e64 s[10:11], s3, v21
	s_nop 1
	v_cndmask_b32_e64 v18, v18, v24, s[10:11]
	;;#ASMSTART
	v_nop
 v_nop
 v_max_f32_dpp v18, v18, v18 row_ror:4
	;;#ASMEND
	s_nop 0
	;;#ASMSTART
	v_nop
 v_nop
 v_max_f32_dpp v18, v18, v18 row_ror:8
	;;#ASMEND
	ds_bpermute_b32 v18, v26, v18
	s_waitcnt lgkmcnt(0)
	;;#ASMSTART
	v_nop
 v_nop
 v_max_f32_dpp v18, v18, v18 row_ror:4
	;;#ASMEND
	s_nop 0
	;;#ASMSTART
	v_nop
 v_nop
 v_max_f32_dpp v24, v18, v18 row_ror:8
	;;#ASMEND
	s_nop 0
	v_sub_f32_e32 v18, v20, v24
	v_mul_f32_e32 v18, 0x3fb8aa3b, v18
	v_sub_f32_e32 v19, v23, v24
	v_exp_f32_e32 v18, v18
	v_mul_f32_e32 v19, 0x3fb8aa3b, v19
	v_sub_f32_e32 v21, v22, v24
	v_exp_f32_e32 v19, v19
	;; [unrolled: 3-line block ×3, first 2 shown]
	v_mul_f32_e32 v22, 0x3fb8aa3b, v22
	v_exp_f32_e32 v22, v22
	v_cndmask_b32_e32 v18, 0, v18, vcc
	v_add_f32_e32 v20, 0, v18
	v_cndmask_b32_e64 v19, 0, v19, s[0:1]
	v_add_f32_e32 v23, v20, v19
	v_cndmask_b32_e64 v20, 0, v21, s[8:9]
	;; [unrolled: 2-line block ×3, first 2 shown]
	v_add_f32_e32 v22, v23, v21
	;;#ASMSTART
	v_nop
 v_nop
 v_add_f32_dpp v22, v22, v22 row_ror:4
	;;#ASMEND
	v_cmp_gt_u32_e32 vcc, 4, v30
	;;#ASMSTART
	v_nop
 v_nop
 v_add_f32_dpp v22, v22, v22 row_ror:8
	;;#ASMEND
	ds_bpermute_b32 v22, v26, v22
	s_waitcnt lgkmcnt(0)
	;;#ASMSTART
	v_nop
 v_nop
 v_add_f32_dpp v22, v22, v22 row_ror:4
	;;#ASMEND
	s_nop 0
	;;#ASMSTART
	v_nop
 v_nop
 v_add_f32_dpp v22, v22, v22 row_ror:8
	;;#ASMEND
	s_and_saveexec_b64 s[0:1], vcc
	s_cbranch_execz .LBB909_16
; %bb.15:
	v_mul_u32_u24_e32 v23, 20, v1
	v_lshl_add_u32 v23, v31, 2, v23
	v_add_u32_e32 v23, 0x800, v23
	ds_write2_b32 v23, v24, v22 offset0:128 offset1:148
.LBB909_16:
	s_or_b64 exec, exec, s[0:1]
.LBB909_17:
	s_or_b64 exec, exec, s[30:31]
	s_waitcnt lgkmcnt(0)
	s_barrier
	s_load_dword s0, s[28:29], 0x8
	v_lshlrev_b32_e32 v22, 2, v31
	v_add_u32_e32 v32, 0x800, v22
	ds_read2_b32 v[22:23], v32 offset0:128 offset1:133
	ds_read2_b32 v[26:27], v32 offset0:138 offset1:143
	s_mul_i32 s1, s2, s5
	s_waitcnt lgkmcnt(0)
	s_mul_i32 s1, s1, s0
	s_lshl_b32 s0, s1, 1
	s_mov_b32 s1, 0xff7fffff
	v_max3_f32 v25, v22, s1, v23
	v_max3_f32 v25, v25, v26, v27
	v_sub_f32_e32 v22, v22, v25
	v_mul_f32_e32 v22, 0x3fb8aa3b, v22
	ds_read2_b32 v[28:29], v32 offset0:148 offset1:153
	v_exp_f32_e32 v33, v22
	v_sub_f32_e32 v22, v23, v25
	v_sub_f32_e32 v26, v26, v25
	v_mul_f32_e32 v22, 0x3fb8aa3b, v22
	v_mul_f32_e32 v26, 0x3fb8aa3b, v26
	v_exp_f32_e32 v34, v22
	ds_read2_b32 v[22:23], v32 offset0:158 offset1:163
	v_exp_f32_e32 v32, v26
	v_sub_f32_e32 v26, v27, v25
	v_mul_f32_e32 v26, 0x3fb8aa3b, v26
	v_exp_f32_e32 v27, v26
	s_waitcnt lgkmcnt(1)
	v_fma_f32 v26, v33, v28, 0
	v_fmac_f32_e32 v26, v34, v29
	s_waitcnt lgkmcnt(0)
	v_fmac_f32_e32 v26, v32, v22
	s_lshl_b32 s4, s4, 1
	v_fmac_f32_e32 v26, v27, v23
	v_cmp_gt_u32_e32 vcc, 2, v31
	s_and_saveexec_b64 s[2:3], vcc
	s_cbranch_execz .LBB909_19
; %bb.18:
	s_mov_b32 s1, 0
	s_lshl_b64 s[8:9], s[0:1], 2
	s_add_u32 s12, s16, s8
	s_mov_b32 s25, s1
	s_addc_u32 s13, s17, s9
	s_lshl_b64 s[10:11], s[24:25], 2
	s_add_u32 s12, s12, s10
	s_addc_u32 s13, s13, s11
	s_add_u32 s1, s18, s8
	s_addc_u32 s9, s19, s9
	v_or_b32_e32 v22, s4, v31
	s_add_u32 s8, s1, s10
	v_mul_lo_u32 v22, s5, v22
	v_mov_b32_e32 v23, 0
	s_addc_u32 s9, s9, s11
	v_lshlrev_b64 v[22:23], 2, v[22:23]
	v_lshl_add_u64 v[28:29], s[12:13], 0, v[22:23]
	v_lshl_add_u64 v[22:23], s[8:9], 0, v[22:23]
	global_store_dword v[22:23], v25, off
	global_store_dword v[28:29], v26, off
.LBB909_19:
	s_or_b64 exec, exec, s[2:3]
	v_mov_b32_e32 v22, 0
	v_mov_b32_e32 v23, 0
	s_and_saveexec_b64 s[2:3], s[6:7]
	s_cbranch_execz .LBB909_21
; %bb.20:
	v_add_f32_e32 v22, 0x358637bd, v26
	v_div_scale_f32 v23, s[6:7], v22, v22, 1.0
	v_rcp_f32_e32 v26, v23
	v_div_scale_f32 v27, vcc, 1.0, v22, 1.0
	v_sub_f32_e32 v24, v24, v25
	v_fma_f32 v28, -v23, v26, 1.0
	v_fmac_f32_e32 v26, v28, v26
	v_mul_f32_e32 v28, v27, v26
	v_fma_f32 v29, -v23, v28, v27
	v_mul_f32_e32 v24, 0x3fb8aa3b, v24
	v_fmac_f32_e32 v28, v29, v26
	v_exp_f32_e32 v24, v24
	v_fma_f32 v23, -v23, v28, v27
	v_div_fmas_f32 v23, v23, v26, v28
	v_div_fixup_f32 v22, v23, v22, 1.0
	v_mul_f32_e32 v22, v24, v22
	v_pk_mul_f32 v[20:21], v[20:21], v[22:23] op_sel_hi:[1,0]
	v_pk_mul_f32 v[18:19], v[18:19], v[22:23] op_sel_hi:[1,0]
	v_cvt_f16_f32_e32 v22, v20
	v_cvt_f16_f32_e32 v18, v18
	;; [unrolled: 1-line block ×4, first 2 shown]
	s_waitcnt vmcnt(2)
	v_cvt_pk_f32_fp8_e32 v[20:21], v10
	v_cvt_pk_f32_fp8_e32 v[24:25], v11
	v_pack_b32_f16 v18, v18, v19
	v_pack_b32_f16 v19, v22, v23
	v_cvt_pk_f32_fp8_sdwa v[22:23], v10 src0_sel:WORD_1
	v_cvt_pkrtz_f16_f32 v10, v20, v21
	v_cvt_pk_f32_fp8_sdwa v[20:21], v11 src0_sel:WORD_1
	s_load_dword s6, s[14:15], 0x0
	v_cvt_pkrtz_f16_f32 v11, v22, v23
	v_cvt_pkrtz_f16_f32 v22, v24, v25
	;; [unrolled: 1-line block ×3, first 2 shown]
	v_mfma_f32_4x4x4_16b_f16 a[0:3], v[18:19], v[10:11], 0 cbsz:4
	v_cvt_pk_f32_fp8_e32 v[10:11], v12
	v_cvt_pk_f32_fp8_sdwa v[20:21], v12 src0_sel:WORD_1
	v_mfma_f32_4x4x4_16b_f16 a[0:3], v[18:19], v[22:23], a[0:3] cbsz:4 abid:1
	v_cvt_pk_f32_fp8_e32 v[22:23], v13
	v_cvt_pk_f32_fp8_sdwa v[12:13], v13 src0_sel:WORD_1
	v_cvt_pkrtz_f16_f32 v10, v10, v11
	v_cvt_pkrtz_f16_f32 v11, v20, v21
	;; [unrolled: 1-line block ×4, first 2 shown]
	v_mfma_f32_4x4x4_16b_f16 a[0:3], v[18:19], v[10:11], a[0:3] cbsz:4 abid:2
	v_cvt_pk_f32_fp8_e32 v[10:11], v6
	v_cvt_pk_f32_fp8_sdwa v[12:13], v6 src0_sel:WORD_1
	v_mfma_f32_4x4x4_16b_f16 a[0:3], v[18:19], v[20:21], a[0:3] cbsz:4 abid:3
	v_cvt_pk_f32_fp8_e32 v[20:21], v7
	v_cvt_pkrtz_f16_f32 v6, v10, v11
	v_cvt_pk_f32_fp8_sdwa v[10:11], v7 src0_sel:WORD_1
	v_cvt_pkrtz_f16_f32 v7, v12, v13
	v_cvt_pkrtz_f16_f32 v12, v20, v21
	s_mov_b32 s1, 0x5040100
	v_mfma_f32_4x4x4_16b_f16 a[0:3], v[18:19], v[6:7], a[0:3] cbsz:4 abid:4
	v_cvt_pkrtz_f16_f32 v13, v10, v11
	v_cvt_pk_f32_fp8_e32 v[6:7], v8
	v_cvt_pk_f32_fp8_sdwa v[10:11], v8 src0_sel:WORD_1
	v_mfma_f32_4x4x4_16b_f16 a[0:3], v[18:19], v[12:13], a[0:3] cbsz:4 abid:5
	v_cvt_pk_f32_fp8_e32 v[12:13], v9
	v_cvt_pk_f32_fp8_sdwa v[8:9], v9 src0_sel:WORD_1
	v_cvt_pkrtz_f16_f32 v6, v6, v7
	v_cvt_pkrtz_f16_f32 v7, v10, v11
	;; [unrolled: 1-line block ×4, first 2 shown]
	v_mfma_f32_4x4x4_16b_f16 a[0:3], v[18:19], v[6:7], a[0:3] cbsz:4 abid:6
	s_waitcnt vmcnt(0)
	v_cvt_pk_f32_fp8_e32 v[6:7], v14
	v_cvt_pk_f32_fp8_sdwa v[8:9], v14 src0_sel:WORD_1
	v_mfma_f32_4x4x4_16b_f16 a[0:3], v[18:19], v[10:11], a[0:3] cbsz:4 abid:7
	v_cvt_pk_f32_fp8_e32 v[10:11], v15
	v_cvt_pk_f32_fp8_sdwa v[12:13], v15 src0_sel:WORD_1
	v_cvt_pkrtz_f16_f32 v6, v6, v7
	v_cvt_pkrtz_f16_f32 v7, v8, v9
	;; [unrolled: 1-line block ×4, first 2 shown]
	v_mfma_f32_4x4x4_16b_f16 a[0:3], v[18:19], v[6:7], a[0:3] cbsz:4 abid:8
	v_cvt_pk_f32_fp8_e32 v[6:7], v16
	v_cvt_pk_f32_fp8_e32 v[10:11], v17
	v_mfma_f32_4x4x4_16b_f16 a[0:3], v[18:19], v[8:9], a[0:3] cbsz:4 abid:9
	v_cvt_pk_f32_fp8_sdwa v[8:9], v16 src0_sel:WORD_1
	v_cvt_pk_f32_fp8_sdwa v[12:13], v17 src0_sel:WORD_1
	v_cvt_pkrtz_f16_f32 v6, v6, v7
	v_cvt_pkrtz_f16_f32 v7, v8, v9
	;; [unrolled: 1-line block ×3, first 2 shown]
	s_nop 0
	v_mfma_f32_4x4x4_16b_f16 a[0:3], v[18:19], v[6:7], a[0:3] cbsz:4 abid:10
	v_cvt_pk_f32_fp8_e32 v[6:7], v2
	v_cvt_pkrtz_f16_f32 v9, v12, v13
	v_cvt_pk_f32_fp8_e32 v[10:11], v3
	s_nop 0
	v_mfma_f32_4x4x4_16b_f16 a[0:3], v[18:19], v[8:9], a[0:3] cbsz:4 abid:11
	v_cvt_pk_f32_fp8_sdwa v[8:9], v2 src0_sel:WORD_1
	v_cvt_pkrtz_f16_f32 v2, v6, v7
	v_cvt_pk_f32_fp8_sdwa v[6:7], v3 src0_sel:WORD_1
	v_cvt_pkrtz_f16_f32 v3, v8, v9
	v_cvt_pkrtz_f16_f32 v8, v10, v11
	s_nop 0
	v_mfma_f32_4x4x4_16b_f16 a[0:3], v[18:19], v[2:3], a[0:3] cbsz:4 abid:12
	v_cvt_pkrtz_f16_f32 v9, v6, v7
	v_cvt_pk_f32_fp8_e32 v[2:3], v4
	v_cvt_pk_f32_fp8_sdwa v[6:7], v4 src0_sel:WORD_1
	v_mfma_f32_4x4x4_16b_f16 a[0:3], v[18:19], v[8:9], a[0:3] cbsz:4 abid:13
	v_cvt_pk_f32_fp8_e32 v[8:9], v5
	v_cvt_pk_f32_fp8_sdwa v[4:5], v5 src0_sel:WORD_1
	v_cvt_pkrtz_f16_f32 v2, v2, v3
	v_cvt_pkrtz_f16_f32 v3, v6, v7
	;; [unrolled: 1-line block ×4, first 2 shown]
	v_mfma_f32_4x4x4_16b_f16 a[0:3], v[18:19], v[2:3], a[0:3] cbsz:4 abid:14
	s_nop 1
	v_mfma_f32_4x4x4_16b_f16 a[0:3], v[18:19], v[6:7], a[0:3] cbsz:4 abid:15
	s_nop 4
	v_accvgpr_read_b32 v5, a1
	v_accvgpr_read_b32 v3, a3
	v_accvgpr_read_b32 v2, a2
	v_accvgpr_read_b32 v4, a0
	s_waitcnt lgkmcnt(0)
	v_pk_mul_f32 v[2:3], v[2:3], s[6:7] op_sel_hi:[1,0]
	v_pk_mul_f32 v[4:5], v[4:5], s[6:7] op_sel_hi:[1,0]
	v_cvt_f16_f32_e32 v2, v2
	v_cvt_f16_f32_e32 v4, v4
	;; [unrolled: 1-line block ×4, first 2 shown]
	v_perm_b32 v22, v5, v4, s1
	v_perm_b32 v23, v3, v2, s1
.LBB909_21:
	s_or_b64 exec, exec, s[2:3]
	v_lshlrev_b32_e32 v1, 3, v1
	v_mad_u32_u24 v1, v30, 40, v1
	v_cmp_gt_u32_e32 vcc, 64, v0
	ds_write_b64 v1, v[22:23]
	s_waitcnt lgkmcnt(0)
	s_barrier
	s_and_saveexec_b64 s[2:3], vcc
	s_cbranch_execz .LBB909_23
; %bb.22:
	s_mov_b32 s1, 0
	s_lshl_b32 s0, s0, 6
	v_mul_u32_u24_e32 v1, 40, v30
	s_lshl_b64 s[2:3], s[0:1], 1
	s_waitcnt vmcnt(1)
	ds_read2_b64 v[2:5], v1 offset1:1
	ds_read2_b64 v[6:9], v1 offset0:2 offset1:3
	s_add_u32 s2, s26, s2
	s_addc_u32 s3, s27, s3
	s_lshl_b32 s0, s24, 6
	s_lshl_b64 s[0:1], s[0:1], 1
	s_add_u32 s0, s2, s0
	s_addc_u32 s1, s3, s1
	s_lshl_b32 s2, s5, 6
	s_waitcnt lgkmcnt(1)
	v_pk_add_f16 v1, v2, 0
	s_mul_i32 s3, s2, s4
	v_pk_add_f16 v1, v1, v4
	v_or_b32_e32 v2, s3, v0
	v_mov_b32_e32 v3, 0
	s_add_i32 s3, s3, s2
	s_waitcnt lgkmcnt(0)
	v_pk_add_f16 v1, v1, v6
	v_lshl_add_u64 v[4:5], v[2:3], 1, s[0:1]
	v_or_b32_e32 v2, s3, v0
	v_pk_add_f16 v6, v1, v8
	v_lshl_add_u64 v[0:1], v[2:3], 1, s[0:1]
	global_store_short v[4:5], v6, off
	global_store_short_d16_hi v[0:1], v6, off
.LBB909_23:
	s_endpgm
	.section	.rodata,"a",@progbits
	.p2align	6, 0x0
	.amdhsa_kernel _Z38paged_attention_ll4mi_QKV_mfma4_kernelIDF16_hLN4vllm18Fp8KVCacheDataTypeE1EDF16_Li32ELi64ELi256ELb0ELi2EEvPKT_PKT0_S7_ifPKiS9_S9_iPKfiiiPfSC_PS2_PT2_iSB_SB_
		.amdhsa_group_segment_fixed_size 2720
		.amdhsa_private_segment_fixed_size 0
		.amdhsa_kernarg_size 400
		.amdhsa_user_sgpr_count 2
		.amdhsa_user_sgpr_dispatch_ptr 0
		.amdhsa_user_sgpr_queue_ptr 0
		.amdhsa_user_sgpr_kernarg_segment_ptr 1
		.amdhsa_user_sgpr_dispatch_id 0
		.amdhsa_user_sgpr_kernarg_preload_length 0
		.amdhsa_user_sgpr_kernarg_preload_offset 0
		.amdhsa_user_sgpr_private_segment_size 0
		.amdhsa_uses_dynamic_stack 0
		.amdhsa_enable_private_segment 0
		.amdhsa_system_sgpr_workgroup_id_x 1
		.amdhsa_system_sgpr_workgroup_id_y 1
		.amdhsa_system_sgpr_workgroup_id_z 1
		.amdhsa_system_sgpr_workgroup_info 0
		.amdhsa_system_vgpr_workitem_id 0
		.amdhsa_next_free_vgpr 92
		.amdhsa_next_free_sgpr 42
		.amdhsa_accum_offset 88
		.amdhsa_reserve_vcc 1
		.amdhsa_float_round_mode_32 0
		.amdhsa_float_round_mode_16_64 0
		.amdhsa_float_denorm_mode_32 3
		.amdhsa_float_denorm_mode_16_64 3
		.amdhsa_dx10_clamp 1
		.amdhsa_ieee_mode 1
		.amdhsa_fp16_overflow 0
		.amdhsa_tg_split 0
		.amdhsa_exception_fp_ieee_invalid_op 0
		.amdhsa_exception_fp_denorm_src 0
		.amdhsa_exception_fp_ieee_div_zero 0
		.amdhsa_exception_fp_ieee_overflow 0
		.amdhsa_exception_fp_ieee_underflow 0
		.amdhsa_exception_fp_ieee_inexact 0
		.amdhsa_exception_int_div_zero 0
	.end_amdhsa_kernel
	.section	.text._Z38paged_attention_ll4mi_QKV_mfma4_kernelIDF16_hLN4vllm18Fp8KVCacheDataTypeE1EDF16_Li32ELi64ELi256ELb0ELi2EEvPKT_PKT0_S7_ifPKiS9_S9_iPKfiiiPfSC_PS2_PT2_iSB_SB_,"axG",@progbits,_Z38paged_attention_ll4mi_QKV_mfma4_kernelIDF16_hLN4vllm18Fp8KVCacheDataTypeE1EDF16_Li32ELi64ELi256ELb0ELi2EEvPKT_PKT0_S7_ifPKiS9_S9_iPKfiiiPfSC_PS2_PT2_iSB_SB_,comdat
.Lfunc_end909:
	.size	_Z38paged_attention_ll4mi_QKV_mfma4_kernelIDF16_hLN4vllm18Fp8KVCacheDataTypeE1EDF16_Li32ELi64ELi256ELb0ELi2EEvPKT_PKT0_S7_ifPKiS9_S9_iPKfiiiPfSC_PS2_PT2_iSB_SB_, .Lfunc_end909-_Z38paged_attention_ll4mi_QKV_mfma4_kernelIDF16_hLN4vllm18Fp8KVCacheDataTypeE1EDF16_Li32ELi64ELi256ELb0ELi2EEvPKT_PKT0_S7_ifPKiS9_S9_iPKfiiiPfSC_PS2_PT2_iSB_SB_
                                        ; -- End function
	.section	.AMDGPU.csdata,"",@progbits
; Kernel info:
; codeLenInByte = 3720
; NumSgprs: 48
; NumVgprs: 86
; NumAgprs: 4
; TotalNumVgprs: 92
; ScratchSize: 0
; MemoryBound: 0
; FloatMode: 240
; IeeeMode: 1
; LDSByteSize: 2720 bytes/workgroup (compile time only)
; SGPRBlocks: 5
; VGPRBlocks: 11
; NumSGPRsForWavesPerEU: 48
; NumVGPRsForWavesPerEU: 92
; AccumOffset: 88
; Occupancy: 5
; WaveLimiterHint : 1
; COMPUTE_PGM_RSRC2:SCRATCH_EN: 0
; COMPUTE_PGM_RSRC2:USER_SGPR: 2
; COMPUTE_PGM_RSRC2:TRAP_HANDLER: 0
; COMPUTE_PGM_RSRC2:TGID_X_EN: 1
; COMPUTE_PGM_RSRC2:TGID_Y_EN: 1
; COMPUTE_PGM_RSRC2:TGID_Z_EN: 1
; COMPUTE_PGM_RSRC2:TIDIG_COMP_CNT: 0
; COMPUTE_PGM_RSRC3_GFX90A:ACCUM_OFFSET: 21
; COMPUTE_PGM_RSRC3_GFX90A:TG_SPLIT: 0
	.section	.text._Z38paged_attention_ll4mi_QKV_mfma4_kernelIDF16_hLN4vllm18Fp8KVCacheDataTypeE1EDF16_Li32ELi64ELi256ELb0ELi3EEvPKT_PKT0_S7_ifPKiS9_S9_iPKfiiiPfSC_PS2_PT2_iSB_SB_,"axG",@progbits,_Z38paged_attention_ll4mi_QKV_mfma4_kernelIDF16_hLN4vllm18Fp8KVCacheDataTypeE1EDF16_Li32ELi64ELi256ELb0ELi3EEvPKT_PKT0_S7_ifPKiS9_S9_iPKfiiiPfSC_PS2_PT2_iSB_SB_,comdat
	.protected	_Z38paged_attention_ll4mi_QKV_mfma4_kernelIDF16_hLN4vllm18Fp8KVCacheDataTypeE1EDF16_Li32ELi64ELi256ELb0ELi3EEvPKT_PKT0_S7_ifPKiS9_S9_iPKfiiiPfSC_PS2_PT2_iSB_SB_ ; -- Begin function _Z38paged_attention_ll4mi_QKV_mfma4_kernelIDF16_hLN4vllm18Fp8KVCacheDataTypeE1EDF16_Li32ELi64ELi256ELb0ELi3EEvPKT_PKT0_S7_ifPKiS9_S9_iPKfiiiPfSC_PS2_PT2_iSB_SB_
	.globl	_Z38paged_attention_ll4mi_QKV_mfma4_kernelIDF16_hLN4vllm18Fp8KVCacheDataTypeE1EDF16_Li32ELi64ELi256ELb0ELi3EEvPKT_PKT0_S7_ifPKiS9_S9_iPKfiiiPfSC_PS2_PT2_iSB_SB_
	.p2align	8
	.type	_Z38paged_attention_ll4mi_QKV_mfma4_kernelIDF16_hLN4vllm18Fp8KVCacheDataTypeE1EDF16_Li32ELi64ELi256ELb0ELi3EEvPKT_PKT0_S7_ifPKiS9_S9_iPKfiiiPfSC_PS2_PT2_iSB_SB_,@function
_Z38paged_attention_ll4mi_QKV_mfma4_kernelIDF16_hLN4vllm18Fp8KVCacheDataTypeE1EDF16_Li32ELi64ELi256ELb0ELi3EEvPKT_PKT0_S7_ifPKiS9_S9_iPKfiiiPfSC_PS2_PT2_iSB_SB_: ; @_Z38paged_attention_ll4mi_QKV_mfma4_kernelIDF16_hLN4vllm18Fp8KVCacheDataTypeE1EDF16_Li32ELi64ELi256ELb0ELi3EEvPKT_PKT0_S7_ifPKiS9_S9_iPKfiiiPfSC_PS2_PT2_iSB_SB_
; %bb.0:
	s_load_dwordx2 s[20:21], s[0:1], 0x30
	s_mov_b32 s24, s3
	s_mov_b64 s[6:7], 0
	s_waitcnt lgkmcnt(0)
	s_cmp_lg_u64 s[20:21], 0
	s_cselect_b64 s[22:23], -1, 0
	s_and_b64 vcc, exec, s[22:23]
	s_cbranch_vccz .LBB910_10
; %bb.1:
	s_add_i32 s8, s2, 1
	s_mov_b32 s9, 0
	s_lshl_b64 s[10:11], s[8:9], 2
	s_add_u32 s10, s20, s10
	s_mov_b32 s3, s9
	s_addc_u32 s11, s21, s11
	s_lshl_b64 s[8:9], s[2:3], 2
	s_add_u32 s8, s20, s8
	s_addc_u32 s9, s21, s9
	s_load_dword s5, s[10:11], 0x0
	s_load_dword s12, s[8:9], 0x0
	s_waitcnt lgkmcnt(0)
	s_sub_i32 s5, s5, s12
	s_cmp_eq_u32 s5, 1
	s_cselect_b64 s[8:9], -1, 0
	s_andn2_b64 vcc, exec, s[6:7]
	s_cbranch_vccnz .LBB910_3
.LBB910_2:
	s_mov_b32 s3, 0
	s_mov_b64 s[8:9], -1
.LBB910_3:
	s_andn2_b64 vcc, exec, s[8:9]
	s_cbranch_vccnz .LBB910_23
; %bb.4:
	s_load_dword s5, s[0:1], 0x9c
	s_load_dwordx2 s[6:7], s[0:1], 0x28
	s_add_u32 s28, s0, 0x90
	s_addc_u32 s29, s1, 0
	s_lshl_b64 s[34:35], s[2:3], 2
	s_waitcnt lgkmcnt(0)
	s_and_b32 s5, s5, 0xffff
	s_add_u32 s6, s6, s34
	s_addc_u32 s7, s7, s35
	s_load_dword s3, s[6:7], 0x0
	s_mul_i32 s10, s24, s5
	s_waitcnt lgkmcnt(0)
	s_cmp_ge_i32 s10, s3
	s_cbranch_scc1 .LBB910_23
; %bb.5:
	v_and_b32_e32 v2, 0xc0, v0
	v_add_u32_e32 v4, s10, v2
	v_lshrrev_b32_e32 v1, 6, v0
	v_cmp_gt_i32_e64 s[6:7], s3, v4
	v_cmp_le_i32_e32 vcc, s3, v4
                                        ; implicit-def: $sgpr25
                                        ; implicit-def: $sgpr11
	s_and_saveexec_b64 s[8:9], vcc
	s_xor_b64 s[8:9], exec, s[8:9]
	s_cbranch_execz .LBB910_7
; %bb.6:
	v_mul_u32_u24_e32 v2, 20, v1
	v_or_b32_e32 v2, 0xa00, v2
	v_mov_b32_e32 v3, 0xa50
	v_mov_b32_e32 v4, 0xff7fffff
	v_mad_u32_u24 v3, v1, 20, v3
	ds_write2_b32 v2, v4, v4 offset1:1
	v_mov_b32_e32 v2, 0
	ds_write2_b32 v3, v2, v2 offset1:1
	v_mov_b32_e32 v3, 0xa08
	s_mov_b32 s11, 0xff7fffff
	s_mov_b32 s25, 0
	v_mad_u32_u24 v3, v1, 20, v3
	v_mov_b32_e32 v5, 0xa58
	v_mad_u32_u24 v5, v1, 20, v5
	ds_write2_b32 v3, v4, v4 offset1:1
	ds_write2_b32 v5, v2, v2 offset1:1
                                        ; implicit-def: $vgpr4
.LBB910_7:
	s_or_saveexec_b64 s[30:31], s[8:9]
	s_load_dwordx2 s[26:27], s[0:1], 0x68
	s_load_dwordx4 s[16:19], s[0:1], 0x58
	s_load_dword s5, s[28:29], 0x4
	s_load_dwordx4 s[12:15], s[0:1], 0x80
	v_and_b32_e32 v30, 63, v0
	v_and_b32_e32 v31, 3, v0
	v_mov_b32_e32 v21, s25
	v_mov_b32_e32 v24, s11
	;; [unrolled: 1-line block ×5, first 2 shown]
                                        ; implicit-def: $vgpr10_vgpr11
                                        ; implicit-def: $vgpr6_vgpr7
                                        ; implicit-def: $vgpr14_vgpr15
                                        ; implicit-def: $vgpr2_vgpr3
	s_xor_b64 exec, exec, s[30:31]
	s_cbranch_execz .LBB910_17
; %bb.8:
	s_load_dwordx2 s[8:9], s[0:1], 0x20
	s_load_dword s11, s[0:1], 0x38
	s_add_i32 s25, s3, 31
	s_ashr_i32 s33, s25, 31
	s_lshr_b32 s33, s33, 27
	v_add_u32_e32 v32, s10, v0
	s_add_i32 s25, s25, s33
	v_ashrrev_i32_e32 v2, 31, v32
	v_ashrrev_i32_e32 v5, 31, v4
	s_ashr_i32 s25, s25, 5
	v_lshrrev_b32_e32 v2, 27, v2
	v_lshrrev_b32_e32 v5, 27, v5
	s_add_i32 s25, s25, -1
	s_waitcnt lgkmcnt(0)
	s_mul_i32 s36, s2, s11
	s_mov_b32 s37, 0
	v_add_u32_e32 v2, v32, v2
	v_add_u32_e32 v4, v4, v5
	s_lshl_b64 s[36:37], s[36:37], 2
	v_ashrrev_i32_e32 v2, 5, v2
	v_mov_b32_e32 v3, s25
	v_cmp_gt_i32_e32 vcc, s3, v32
	v_ashrrev_i32_e32 v6, 5, v4
	s_add_u32 s8, s8, s36
	v_cndmask_b32_e32 v2, v3, v2, vcc
	v_min_i32_e32 v4, s25, v6
	v_add_u32_e32 v6, 1, v6
	s_addc_u32 s9, s9, s37
	v_ashrrev_i32_e32 v3, 31, v2
	v_min_i32_e32 v6, s25, v6
	v_lshl_add_u64 v[2:3], v[2:3], 2, s[8:9]
	v_ashrrev_i32_e32 v5, 31, v4
	v_ashrrev_i32_e32 v7, 31, v6
	v_lshl_add_u64 v[4:5], v[4:5], 2, s[8:9]
	v_lshl_add_u64 v[10:11], v[6:7], 2, s[8:9]
	global_load_dword v6, v[2:3], off
	global_load_dword v9, v[4:5], off
	;; [unrolled: 1-line block ×3, first 2 shown]
	s_load_dwordx4 s[8:11], s[0:1], 0x8
	s_andn2_b64 vcc, exec, s[22:23]
	s_cbranch_vccnz .LBB910_11
; %bb.9:
	s_add_u32 s20, s20, s34
	s_addc_u32 s21, s21, s35
	s_load_dword s25, s[20:21], 0x0
	s_branch .LBB910_12
.LBB910_10:
	s_mov_b64 s[8:9], 0
	s_branch .LBB910_2
.LBB910_11:
	s_mov_b32 s25, s2
.LBB910_12:
	s_load_dwordx4 s[20:23], s[0:1], 0x48
	v_cmp_ne_u32_e32 vcc, 3, v31
	s_mov_b32 s37, 0
	v_mov_b32_e32 v33, 1.0
	v_mov_b32_e32 v7, 0
	v_mov_b32_e32 v2, 0
	;; [unrolled: 1-line block ×5, first 2 shown]
	s_and_saveexec_b64 s[34:35], vcc
	s_cbranch_execz .LBB910_14
; %bb.13:
	s_load_dwordx2 s[38:39], s[0:1], 0x0
	s_waitcnt lgkmcnt(0)
	s_ashr_i32 s23, s20, 31
	s_mul_hi_u32 s33, s25, s20
	s_mul_i32 s23, s25, s23
	s_add_i32 s41, s33, s23
	s_mul_i32 s40, s25, s20
	s_lshl_b64 s[40:41], s[40:41], 1
	s_add_u32 s20, s38, s40
	s_mul_i32 s36, s4, 0xc0
	s_addc_u32 s23, s39, s41
	s_lshl_b64 s[36:37], s[36:37], 1
	s_add_u32 s36, s20, s36
	v_lshlrev_b32_e32 v2, 3, v31
	v_lshrrev_b32_e32 v3, 2, v30
	s_addc_u32 s37, s23, s37
	v_add_lshl_u32 v2, v2, v3, 4
	global_load_dwordx4 v[2:5], v2, s[36:37]
	v_mov_b32_e32 v33, 0
.LBB910_14:
	s_or_b64 exec, exec, s[34:35]
	s_waitcnt lgkmcnt(0)
	s_mul_i32 s20, s4, s22
	s_add_u32 s8, s20, s8
	s_addc_u32 s9, 0, s9
	v_mov_b64_e32 v[10:11], s[8:9]
	s_waitcnt vmcnt(2)
	v_mad_i64_i32 v[10:11], s[8:9], v6, s21, v[10:11]
	v_lshlrev_b32_e32 v6, 4, v0
	v_and_b32_e32 v6, 0x1f0, v6
	v_lshl_add_u64 v[10:11], v[10:11], 0, v[6:7]
	global_load_dwordx4 v[26:29], v[10:11], off
	global_load_dwordx4 v[22:25], v[10:11], off offset:512
	global_load_dwordx4 v[18:21], v[10:11], off offset:1024
	;; [unrolled: 1-line block ×3, first 2 shown]
	s_load_dword s8, s[0:1], 0x1c
	s_load_dword s9, s[12:13], 0x0
	s_waitcnt vmcnt(5)
	v_mul_hi_i32 v6, v9, s21
	s_add_u32 s0, s10, s20
	s_waitcnt vmcnt(4)
	v_mul_hi_i32 v10, v8, s21
	v_ashrrev_i32_e32 v12, 31, v6
	s_addc_u32 s1, s11, 0
	v_lshlrev_b32_e32 v6, 5, v30
	v_ashrrev_i32_e32 v36, 31, v10
	s_waitcnt lgkmcnt(0)
	v_mov_b32_e32 v13, s8
	v_lshl_add_u64 v[10:11], s[0:1], 0, v[6:7]
	v_lshrrev_b32_e32 v6, 29, v12
	v_mul_f32_e32 v34, s9, v13
	v_mad_i64_i32 v[12:13], s[0:1], v9, s21, v[6:7]
	v_lshrrev_b32_e32 v6, 29, v36
	v_and_b32_e32 v12, -8, v12
	v_mad_i64_i32 v[6:7], s[0:1], v8, s21, v[6:7]
	v_lshl_add_u64 v[36:37], v[10:11], 0, v[12:13]
	v_and_b32_e32 v6, -8, v6
	v_lshl_add_u64 v[38:39], v[10:11], 0, v[6:7]
	global_load_dwordx4 v[6:9], v[36:37], off offset:16
	global_load_dwordx4 v[10:13], v[36:37], off
	v_and_b32_e32 v35, -4, v32
	v_cmp_eq_u32_e32 vcc, 0, v31
	s_waitcnt vmcnt(5)
	v_cvt_pk_f32_fp8_e32 v[36:37], v26
	v_cvt_pk_f32_fp8_sdwa v[40:41], v26 src0_sel:WORD_1
	v_cvt_pk_f32_fp8_e32 v[42:43], v27
	v_cvt_pk_f32_fp8_sdwa v[26:27], v27 src0_sel:WORD_1
	;; [unrolled: 2-line block ×3, first 2 shown]
	v_cvt_pkrtz_f16_f32 v36, v36, v37
	v_cvt_pkrtz_f16_f32 v37, v40, v41
	v_cvt_pk_f32_fp8_e32 v[48:49], v29
	v_cvt_pk_f32_fp8_sdwa v[28:29], v29 src0_sel:WORD_1
	v_mfma_f32_4x4x4_16b_f16 a[0:3], v[2:3], v[36:37], 0 cbsz:4
	v_cvt_pkrtz_f16_f32 v40, v42, v43
	v_cvt_pkrtz_f16_f32 v41, v26, v27
	s_waitcnt vmcnt(4)
	v_cvt_pk_f32_fp8_e32 v[50:51], v22
	v_cvt_pk_f32_fp8_sdwa v[52:53], v22 src0_sel:WORD_1
	v_mfma_f32_4x4x4_16b_f16 a[0:3], v[4:5], v[40:41], a[0:3] cbsz:4
	v_cvt_pkrtz_f16_f32 v26, v44, v45
	v_cvt_pkrtz_f16_f32 v27, v46, v47
	v_cvt_pk_f32_fp8_e32 v[54:55], v23
	v_cvt_pk_f32_fp8_sdwa v[22:23], v23 src0_sel:WORD_1
	v_mfma_f32_4x4x4_16b_f16 a[0:3], v[2:3], v[26:27], a[0:3] cbsz:4 abid:1
	v_cvt_pkrtz_f16_f32 v42, v48, v49
	v_cvt_pkrtz_f16_f32 v43, v28, v29
	v_cvt_pk_f32_fp8_e32 v[56:57], v24
	v_cvt_pk_f32_fp8_sdwa v[58:59], v24 src0_sel:WORD_1
	v_mfma_f32_4x4x4_16b_f16 a[0:3], v[4:5], v[42:43], a[0:3] cbsz:4 abid:1
	;; [unrolled: 5-line block ×3, first 2 shown]
	v_cvt_pkrtz_f16_f32 v44, v54, v55
	v_cvt_pkrtz_f16_f32 v45, v22, v23
	s_waitcnt vmcnt(3)
	v_cvt_pk_f32_fp8_e32 v[62:63], v18
	v_cvt_pk_f32_fp8_sdwa v[64:65], v18 src0_sel:WORD_1
	v_mfma_f32_4x4x4_16b_f16 a[0:3], v[4:5], v[44:45], a[0:3] cbsz:4 abid:2
	v_cvt_pkrtz_f16_f32 v22, v56, v57
	v_cvt_pkrtz_f16_f32 v23, v58, v59
	v_cvt_pk_f32_fp8_e32 v[66:67], v19
	v_cvt_pk_f32_fp8_sdwa v[18:19], v19 src0_sel:WORD_1
	v_mfma_f32_4x4x4_16b_f16 a[0:3], v[2:3], v[22:23], a[0:3] cbsz:4 abid:3
	v_cvt_pkrtz_f16_f32 v46, v60, v61
	v_cvt_pkrtz_f16_f32 v47, v24, v25
	;; [unrolled: 5-line block ×4, first 2 shown]
	s_waitcnt vmcnt(2)
	v_cvt_pk_f32_fp8_e32 v[74:75], v14
	v_cvt_pk_f32_fp8_sdwa v[76:77], v14 src0_sel:WORD_1
	v_mfma_f32_4x4x4_16b_f16 a[0:3], v[4:5], v[36:37], a[0:3] cbsz:4 abid:4
	v_cvt_pkrtz_f16_f32 v18, v68, v69
	v_cvt_pkrtz_f16_f32 v19, v70, v71
	v_cvt_pk_f32_fp8_e32 v[78:79], v15
	v_cvt_pk_f32_fp8_sdwa v[14:15], v15 src0_sel:WORD_1
	v_mfma_f32_4x4x4_16b_f16 a[0:3], v[2:3], v[18:19], a[0:3] cbsz:4 abid:5
	v_cvt_pkrtz_f16_f32 v26, v72, v73
	v_cvt_pkrtz_f16_f32 v27, v20, v21
	;; [unrolled: 5-line block ×4, first 2 shown]
	v_cvt_pkrtz_f16_f32 v14, v80, v81
	v_cvt_pkrtz_f16_f32 v15, v82, v83
	v_mfma_f32_4x4x4_16b_f16 a[0:3], v[4:5], v[22:23], a[0:3] cbsz:4 abid:6
	v_cvt_pkrtz_f16_f32 v18, v84, v85
	v_cvt_pkrtz_f16_f32 v19, v16, v17
	v_mfma_f32_4x4x4_16b_f16 a[0:3], v[2:3], v[14:15], a[0:3] cbsz:4 abid:7
	v_cndmask_b32_e64 v86, 0, 1.0, vcc
	v_cmp_eq_u32_e32 vcc, 1, v31
	v_mfma_f32_4x4x4_16b_f16 a[0:3], v[4:5], v[18:19], a[0:3] cbsz:4 abid:7
	s_nop 4
	v_accvgpr_read_b32 v3, a1
	v_accvgpr_read_b32 v2, a0
	v_pk_mul_f32 v[18:19], v[2:3], v[34:35] op_sel_hi:[1,0]
	global_load_dwordx4 v[2:5], v[38:39], off offset:16
	global_load_dwordx4 v[14:17], v[38:39], off
	v_accvgpr_read_b32 v21, a3
	v_accvgpr_read_b32 v20, a2
	v_pk_mul_f32 v[20:21], v[20:21], v[34:35] op_sel_hi:[1,0]
	v_mfma_f32_4x4x1_16b_f32 a[0:3], v18, v86, 0
	v_cndmask_b32_e64 v18, 0, 1.0, vcc
	v_cmp_eq_u32_e32 vcc, 2, v31
	s_nop 0
	v_mfma_f32_4x4x1_16b_f32 a[0:3], v19, v18, a[0:3]
	v_cndmask_b32_e64 v18, 0, 1.0, vcc
	v_cmp_gt_i32_e32 vcc, s3, v35
	s_nop 0
	v_mfma_f32_4x4x1_16b_f32 a[0:3], v20, v18, a[0:3]
	v_lshlrev_b32_e32 v18, 2, v0
	v_and_or_b32 v18, v18, 48, v31
	v_mfma_f32_4x4x1_16b_f32 a[0:3], v21, v33, a[0:3]
	v_mov_b32_e32 v21, 0xff7fffff
	v_lshlrev_b32_e32 v26, 2, v18
	s_nop 1
	v_accvgpr_read_b32 v19, a0
	v_max_f32_e32 v20, v19, v19
	v_max_f32_e32 v20, 0xff7fffff, v20
	v_accvgpr_read_b32 v22, a1
	v_cndmask_b32_e32 v20, v21, v20, vcc
	v_or_b32_e32 v21, 1, v35
	v_max_f32_e32 v23, v22, v22
	v_max_f32_e32 v23, v20, v23
	v_cmp_gt_i32_e64 s[0:1], s3, v21
	v_or_b32_e32 v21, 2, v35
	v_cmp_gt_i32_e64 s[8:9], s3, v21
	v_cndmask_b32_e64 v20, v20, v23, s[0:1]
	v_accvgpr_read_b32 v23, a2
	v_max_f32_e32 v24, v23, v23
	v_max_f32_e32 v24, v20, v24
	v_accvgpr_read_b32 v25, a3
	v_cndmask_b32_e64 v20, v20, v24, s[8:9]
	v_or_b32_e32 v21, 3, v32
	v_max_f32_e32 v24, v25, v25
	v_max_f32_e32 v24, v20, v24
	v_cmp_gt_i32_e64 s[10:11], s3, v21
	s_nop 1
	v_cndmask_b32_e64 v20, v20, v24, s[10:11]
	;;#ASMSTART
	v_nop
 v_nop
 v_max_f32_dpp v18, v20, v20 row_ror:4
	;;#ASMEND
	s_nop 0
	;;#ASMSTART
	v_nop
 v_nop
 v_max_f32_dpp v18, v18, v18 row_ror:8
	;;#ASMEND
	ds_bpermute_b32 v18, v26, v18
	s_waitcnt lgkmcnt(0)
	;;#ASMSTART
	v_nop
 v_nop
 v_max_f32_dpp v18, v18, v18 row_ror:4
	;;#ASMEND
	s_nop 0
	;;#ASMSTART
	v_nop
 v_nop
 v_max_f32_dpp v24, v18, v18 row_ror:8
	;;#ASMEND
	s_nop 0
	v_sub_f32_e32 v18, v19, v24
	v_mul_f32_e32 v18, 0x3fb8aa3b, v18
	v_sub_f32_e32 v19, v22, v24
	v_exp_f32_e32 v18, v18
	v_mul_f32_e32 v19, 0x3fb8aa3b, v19
	v_sub_f32_e32 v21, v23, v24
	v_exp_f32_e32 v19, v19
	;; [unrolled: 3-line block ×3, first 2 shown]
	v_mul_f32_e32 v22, 0x3fb8aa3b, v22
	v_exp_f32_e32 v22, v22
	v_cndmask_b32_e32 v18, 0, v18, vcc
	v_add_f32_e32 v20, 0, v18
	v_cndmask_b32_e64 v19, 0, v19, s[0:1]
	v_add_f32_e32 v23, v20, v19
	v_cndmask_b32_e64 v20, 0, v21, s[8:9]
	;; [unrolled: 2-line block ×3, first 2 shown]
	v_add_f32_e32 v22, v23, v21
	;;#ASMSTART
	v_nop
 v_nop
 v_add_f32_dpp v22, v22, v22 row_ror:4
	;;#ASMEND
	v_cmp_gt_u32_e32 vcc, 4, v30
	;;#ASMSTART
	v_nop
 v_nop
 v_add_f32_dpp v22, v22, v22 row_ror:8
	;;#ASMEND
	ds_bpermute_b32 v22, v26, v22
	s_waitcnt lgkmcnt(0)
	;;#ASMSTART
	v_nop
 v_nop
 v_add_f32_dpp v22, v22, v22 row_ror:4
	;;#ASMEND
	s_nop 0
	;;#ASMSTART
	v_nop
 v_nop
 v_add_f32_dpp v22, v22, v22 row_ror:8
	;;#ASMEND
	s_and_saveexec_b64 s[0:1], vcc
	s_cbranch_execz .LBB910_16
; %bb.15:
	v_mul_u32_u24_e32 v23, 20, v1
	v_lshl_add_u32 v23, v31, 2, v23
	v_add_u32_e32 v23, 0x800, v23
	ds_write2_b32 v23, v24, v22 offset0:128 offset1:148
.LBB910_16:
	s_or_b64 exec, exec, s[0:1]
.LBB910_17:
	s_or_b64 exec, exec, s[30:31]
	s_waitcnt lgkmcnt(0)
	s_barrier
	s_load_dword s0, s[28:29], 0x8
	v_lshlrev_b32_e32 v22, 2, v31
	v_add_u32_e32 v32, 0x800, v22
	ds_read2_b32 v[22:23], v32 offset0:128 offset1:133
	ds_read2_b32 v[26:27], v32 offset0:138 offset1:143
	s_mul_i32 s1, s2, s5
	s_waitcnt lgkmcnt(0)
	s_mul_i32 s0, s1, s0
	s_mov_b32 s1, 0xff7fffff
	v_max3_f32 v25, v22, s1, v23
	v_max3_f32 v25, v25, v26, v27
	v_sub_f32_e32 v22, v22, v25
	v_mul_f32_e32 v22, 0x3fb8aa3b, v22
	ds_read2_b32 v[28:29], v32 offset0:148 offset1:153
	v_exp_f32_e32 v33, v22
	v_sub_f32_e32 v22, v23, v25
	v_sub_f32_e32 v26, v26, v25
	v_mul_f32_e32 v22, 0x3fb8aa3b, v22
	v_mul_f32_e32 v26, 0x3fb8aa3b, v26
	v_exp_f32_e32 v34, v22
	ds_read2_b32 v[22:23], v32 offset0:158 offset1:163
	v_exp_f32_e32 v32, v26
	v_sub_f32_e32 v26, v27, v25
	v_mul_f32_e32 v26, 0x3fb8aa3b, v26
	v_exp_f32_e32 v27, v26
	s_waitcnt lgkmcnt(1)
	v_fma_f32 v26, v33, v28, 0
	v_fmac_f32_e32 v26, v34, v29
	s_waitcnt lgkmcnt(0)
	v_fmac_f32_e32 v26, v32, v22
	s_mul_i32 s4, s4, 3
	s_mul_i32 s0, s0, 3
	v_fmac_f32_e32 v26, v27, v23
	v_cmp_ne_u32_e32 vcc, 3, v31
	s_and_saveexec_b64 s[2:3], vcc
	s_cbranch_execz .LBB910_19
; %bb.18:
	s_mov_b32 s1, 0
	s_lshl_b64 s[8:9], s[0:1], 2
	s_add_u32 s12, s16, s8
	s_mov_b32 s25, s1
	s_addc_u32 s13, s17, s9
	s_lshl_b64 s[10:11], s[24:25], 2
	s_add_u32 s12, s12, s10
	s_addc_u32 s13, s13, s11
	s_add_u32 s1, s18, s8
	s_addc_u32 s9, s19, s9
	v_add_u32_e32 v22, s4, v31
	s_add_u32 s8, s1, s10
	v_mul_lo_u32 v22, s5, v22
	v_mov_b32_e32 v23, 0
	s_addc_u32 s9, s9, s11
	v_lshlrev_b64 v[22:23], 2, v[22:23]
	v_lshl_add_u64 v[28:29], s[12:13], 0, v[22:23]
	v_lshl_add_u64 v[22:23], s[8:9], 0, v[22:23]
	global_store_dword v[22:23], v25, off
	global_store_dword v[28:29], v26, off
.LBB910_19:
	s_or_b64 exec, exec, s[2:3]
	v_mov_b32_e32 v22, 0
	v_mov_b32_e32 v23, 0
	s_and_saveexec_b64 s[2:3], s[6:7]
	s_cbranch_execz .LBB910_21
; %bb.20:
	v_add_f32_e32 v22, 0x358637bd, v26
	v_div_scale_f32 v23, s[6:7], v22, v22, 1.0
	v_rcp_f32_e32 v26, v23
	v_div_scale_f32 v27, vcc, 1.0, v22, 1.0
	v_sub_f32_e32 v24, v24, v25
	v_fma_f32 v28, -v23, v26, 1.0
	v_fmac_f32_e32 v26, v28, v26
	v_mul_f32_e32 v28, v27, v26
	v_fma_f32 v29, -v23, v28, v27
	v_mul_f32_e32 v24, 0x3fb8aa3b, v24
	v_fmac_f32_e32 v28, v29, v26
	v_exp_f32_e32 v24, v24
	v_fma_f32 v23, -v23, v28, v27
	v_div_fmas_f32 v23, v23, v26, v28
	v_div_fixup_f32 v22, v23, v22, 1.0
	v_mul_f32_e32 v22, v24, v22
	v_pk_mul_f32 v[20:21], v[20:21], v[22:23] op_sel_hi:[1,0]
	v_pk_mul_f32 v[18:19], v[18:19], v[22:23] op_sel_hi:[1,0]
	v_cvt_f16_f32_e32 v22, v20
	v_cvt_f16_f32_e32 v18, v18
	;; [unrolled: 1-line block ×4, first 2 shown]
	s_waitcnt vmcnt(2)
	v_cvt_pk_f32_fp8_e32 v[20:21], v10
	v_cvt_pk_f32_fp8_e32 v[24:25], v11
	v_pack_b32_f16 v18, v18, v19
	v_pack_b32_f16 v19, v22, v23
	v_cvt_pk_f32_fp8_sdwa v[22:23], v10 src0_sel:WORD_1
	v_cvt_pkrtz_f16_f32 v10, v20, v21
	v_cvt_pk_f32_fp8_sdwa v[20:21], v11 src0_sel:WORD_1
	s_load_dword s6, s[14:15], 0x0
	v_cvt_pkrtz_f16_f32 v11, v22, v23
	v_cvt_pkrtz_f16_f32 v22, v24, v25
	;; [unrolled: 1-line block ×3, first 2 shown]
	v_mfma_f32_4x4x4_16b_f16 a[0:3], v[18:19], v[10:11], 0 cbsz:4
	v_cvt_pk_f32_fp8_e32 v[10:11], v12
	v_cvt_pk_f32_fp8_sdwa v[20:21], v12 src0_sel:WORD_1
	v_mfma_f32_4x4x4_16b_f16 a[0:3], v[18:19], v[22:23], a[0:3] cbsz:4 abid:1
	v_cvt_pk_f32_fp8_e32 v[22:23], v13
	v_cvt_pk_f32_fp8_sdwa v[12:13], v13 src0_sel:WORD_1
	v_cvt_pkrtz_f16_f32 v10, v10, v11
	v_cvt_pkrtz_f16_f32 v11, v20, v21
	v_cvt_pkrtz_f16_f32 v20, v22, v23
	v_cvt_pkrtz_f16_f32 v21, v12, v13
	v_mfma_f32_4x4x4_16b_f16 a[0:3], v[18:19], v[10:11], a[0:3] cbsz:4 abid:2
	v_cvt_pk_f32_fp8_e32 v[10:11], v6
	v_cvt_pk_f32_fp8_sdwa v[12:13], v6 src0_sel:WORD_1
	v_mfma_f32_4x4x4_16b_f16 a[0:3], v[18:19], v[20:21], a[0:3] cbsz:4 abid:3
	v_cvt_pk_f32_fp8_e32 v[20:21], v7
	v_cvt_pkrtz_f16_f32 v6, v10, v11
	v_cvt_pk_f32_fp8_sdwa v[10:11], v7 src0_sel:WORD_1
	v_cvt_pkrtz_f16_f32 v7, v12, v13
	v_cvt_pkrtz_f16_f32 v12, v20, v21
	s_mov_b32 s1, 0x5040100
	v_mfma_f32_4x4x4_16b_f16 a[0:3], v[18:19], v[6:7], a[0:3] cbsz:4 abid:4
	v_cvt_pkrtz_f16_f32 v13, v10, v11
	v_cvt_pk_f32_fp8_e32 v[6:7], v8
	v_cvt_pk_f32_fp8_sdwa v[10:11], v8 src0_sel:WORD_1
	v_mfma_f32_4x4x4_16b_f16 a[0:3], v[18:19], v[12:13], a[0:3] cbsz:4 abid:5
	v_cvt_pk_f32_fp8_e32 v[12:13], v9
	v_cvt_pk_f32_fp8_sdwa v[8:9], v9 src0_sel:WORD_1
	v_cvt_pkrtz_f16_f32 v6, v6, v7
	v_cvt_pkrtz_f16_f32 v7, v10, v11
	;; [unrolled: 1-line block ×4, first 2 shown]
	v_mfma_f32_4x4x4_16b_f16 a[0:3], v[18:19], v[6:7], a[0:3] cbsz:4 abid:6
	s_waitcnt vmcnt(0)
	v_cvt_pk_f32_fp8_e32 v[6:7], v14
	v_cvt_pk_f32_fp8_sdwa v[8:9], v14 src0_sel:WORD_1
	v_mfma_f32_4x4x4_16b_f16 a[0:3], v[18:19], v[10:11], a[0:3] cbsz:4 abid:7
	v_cvt_pk_f32_fp8_e32 v[10:11], v15
	v_cvt_pk_f32_fp8_sdwa v[12:13], v15 src0_sel:WORD_1
	v_cvt_pkrtz_f16_f32 v6, v6, v7
	v_cvt_pkrtz_f16_f32 v7, v8, v9
	;; [unrolled: 1-line block ×4, first 2 shown]
	v_mfma_f32_4x4x4_16b_f16 a[0:3], v[18:19], v[6:7], a[0:3] cbsz:4 abid:8
	v_cvt_pk_f32_fp8_e32 v[6:7], v16
	v_cvt_pk_f32_fp8_e32 v[10:11], v17
	v_mfma_f32_4x4x4_16b_f16 a[0:3], v[18:19], v[8:9], a[0:3] cbsz:4 abid:9
	v_cvt_pk_f32_fp8_sdwa v[8:9], v16 src0_sel:WORD_1
	v_cvt_pk_f32_fp8_sdwa v[12:13], v17 src0_sel:WORD_1
	v_cvt_pkrtz_f16_f32 v6, v6, v7
	v_cvt_pkrtz_f16_f32 v7, v8, v9
	;; [unrolled: 1-line block ×3, first 2 shown]
	s_nop 0
	v_mfma_f32_4x4x4_16b_f16 a[0:3], v[18:19], v[6:7], a[0:3] cbsz:4 abid:10
	v_cvt_pk_f32_fp8_e32 v[6:7], v2
	v_cvt_pkrtz_f16_f32 v9, v12, v13
	v_cvt_pk_f32_fp8_e32 v[10:11], v3
	s_nop 0
	v_mfma_f32_4x4x4_16b_f16 a[0:3], v[18:19], v[8:9], a[0:3] cbsz:4 abid:11
	v_cvt_pk_f32_fp8_sdwa v[8:9], v2 src0_sel:WORD_1
	v_cvt_pkrtz_f16_f32 v2, v6, v7
	v_cvt_pk_f32_fp8_sdwa v[6:7], v3 src0_sel:WORD_1
	v_cvt_pkrtz_f16_f32 v3, v8, v9
	v_cvt_pkrtz_f16_f32 v8, v10, v11
	s_nop 0
	v_mfma_f32_4x4x4_16b_f16 a[0:3], v[18:19], v[2:3], a[0:3] cbsz:4 abid:12
	v_cvt_pkrtz_f16_f32 v9, v6, v7
	v_cvt_pk_f32_fp8_e32 v[2:3], v4
	v_cvt_pk_f32_fp8_sdwa v[6:7], v4 src0_sel:WORD_1
	v_mfma_f32_4x4x4_16b_f16 a[0:3], v[18:19], v[8:9], a[0:3] cbsz:4 abid:13
	v_cvt_pk_f32_fp8_e32 v[8:9], v5
	v_cvt_pk_f32_fp8_sdwa v[4:5], v5 src0_sel:WORD_1
	v_cvt_pkrtz_f16_f32 v2, v2, v3
	v_cvt_pkrtz_f16_f32 v3, v6, v7
	;; [unrolled: 1-line block ×4, first 2 shown]
	v_mfma_f32_4x4x4_16b_f16 a[0:3], v[18:19], v[2:3], a[0:3] cbsz:4 abid:14
	s_nop 1
	v_mfma_f32_4x4x4_16b_f16 a[0:3], v[18:19], v[6:7], a[0:3] cbsz:4 abid:15
	s_nop 4
	v_accvgpr_read_b32 v5, a1
	v_accvgpr_read_b32 v3, a3
	v_accvgpr_read_b32 v2, a2
	v_accvgpr_read_b32 v4, a0
	s_waitcnt lgkmcnt(0)
	v_pk_mul_f32 v[2:3], v[2:3], s[6:7] op_sel_hi:[1,0]
	v_pk_mul_f32 v[4:5], v[4:5], s[6:7] op_sel_hi:[1,0]
	v_cvt_f16_f32_e32 v2, v2
	v_cvt_f16_f32_e32 v4, v4
	;; [unrolled: 1-line block ×4, first 2 shown]
	v_perm_b32 v22, v5, v4, s1
	v_perm_b32 v23, v3, v2, s1
.LBB910_21:
	s_or_b64 exec, exec, s[2:3]
	v_lshlrev_b32_e32 v1, 3, v1
	v_mad_u32_u24 v1, v30, 40, v1
	v_cmp_gt_u32_e32 vcc, 64, v0
	ds_write_b64 v1, v[22:23]
	s_waitcnt lgkmcnt(0)
	s_barrier
	s_and_saveexec_b64 s[2:3], vcc
	s_cbranch_execz .LBB910_23
; %bb.22:
	v_mul_u32_u24_e32 v1, 40, v30
	s_waitcnt vmcnt(1)
	ds_read2_b64 v[2:5], v1 offset1:1
	ds_read2_b64 v[6:9], v1 offset0:2 offset1:3
	s_mov_b32 s1, 0
	s_lshl_b32 s0, s0, 6
	s_lshl_b64 s[2:3], s[0:1], 1
	s_add_u32 s2, s26, s2
	s_addc_u32 s3, s27, s3
	s_lshl_b32 s0, s24, 6
	s_lshl_b64 s[0:1], s[0:1], 1
	s_waitcnt lgkmcnt(1)
	v_pk_add_f16 v1, v2, 0
	v_pk_add_f16 v2, v3, 0
	s_add_u32 s0, s2, s0
	v_pk_add_f16 v2, v2, v5
	s_addc_u32 s1, s3, s1
	s_lshl_b32 s2, s5, 6
	v_pk_add_f16 v1, v1, v4
	s_waitcnt lgkmcnt(0)
	v_pk_add_f16 v2, v2, v7
	s_mul_i32 s3, s2, s4
	v_pk_add_f16 v1, v1, v6
	v_pk_add_f16 v6, v2, v9
	v_or_b32_e32 v2, s3, v0
	v_mov_b32_e32 v3, 0
	s_add_i32 s3, s3, s2
	v_pk_add_f16 v1, v1, v8
	v_lshl_add_u64 v[4:5], v[2:3], 1, s[0:1]
	v_or_b32_e32 v2, s3, v0
	s_add_i32 s3, s3, s2
	global_store_short v[4:5], v1, off
	v_lshl_add_u64 v[4:5], v[2:3], 1, s[0:1]
	v_or_b32_e32 v2, s3, v0
	global_store_short_d16_hi v[4:5], v1, off
	v_lshl_add_u64 v[0:1], v[2:3], 1, s[0:1]
	global_store_short v[0:1], v6, off
.LBB910_23:
	s_endpgm
	.section	.rodata,"a",@progbits
	.p2align	6, 0x0
	.amdhsa_kernel _Z38paged_attention_ll4mi_QKV_mfma4_kernelIDF16_hLN4vllm18Fp8KVCacheDataTypeE1EDF16_Li32ELi64ELi256ELb0ELi3EEvPKT_PKT0_S7_ifPKiS9_S9_iPKfiiiPfSC_PS2_PT2_iSB_SB_
		.amdhsa_group_segment_fixed_size 2720
		.amdhsa_private_segment_fixed_size 0
		.amdhsa_kernarg_size 400
		.amdhsa_user_sgpr_count 2
		.amdhsa_user_sgpr_dispatch_ptr 0
		.amdhsa_user_sgpr_queue_ptr 0
		.amdhsa_user_sgpr_kernarg_segment_ptr 1
		.amdhsa_user_sgpr_dispatch_id 0
		.amdhsa_user_sgpr_kernarg_preload_length 0
		.amdhsa_user_sgpr_kernarg_preload_offset 0
		.amdhsa_user_sgpr_private_segment_size 0
		.amdhsa_uses_dynamic_stack 0
		.amdhsa_enable_private_segment 0
		.amdhsa_system_sgpr_workgroup_id_x 1
		.amdhsa_system_sgpr_workgroup_id_y 1
		.amdhsa_system_sgpr_workgroup_id_z 1
		.amdhsa_system_sgpr_workgroup_info 0
		.amdhsa_system_vgpr_workitem_id 0
		.amdhsa_next_free_vgpr 92
		.amdhsa_next_free_sgpr 42
		.amdhsa_accum_offset 88
		.amdhsa_reserve_vcc 1
		.amdhsa_float_round_mode_32 0
		.amdhsa_float_round_mode_16_64 0
		.amdhsa_float_denorm_mode_32 3
		.amdhsa_float_denorm_mode_16_64 3
		.amdhsa_dx10_clamp 1
		.amdhsa_ieee_mode 1
		.amdhsa_fp16_overflow 0
		.amdhsa_tg_split 0
		.amdhsa_exception_fp_ieee_invalid_op 0
		.amdhsa_exception_fp_denorm_src 0
		.amdhsa_exception_fp_ieee_div_zero 0
		.amdhsa_exception_fp_ieee_overflow 0
		.amdhsa_exception_fp_ieee_underflow 0
		.amdhsa_exception_fp_ieee_inexact 0
		.amdhsa_exception_int_div_zero 0
	.end_amdhsa_kernel
	.section	.text._Z38paged_attention_ll4mi_QKV_mfma4_kernelIDF16_hLN4vllm18Fp8KVCacheDataTypeE1EDF16_Li32ELi64ELi256ELb0ELi3EEvPKT_PKT0_S7_ifPKiS9_S9_iPKfiiiPfSC_PS2_PT2_iSB_SB_,"axG",@progbits,_Z38paged_attention_ll4mi_QKV_mfma4_kernelIDF16_hLN4vllm18Fp8KVCacheDataTypeE1EDF16_Li32ELi64ELi256ELb0ELi3EEvPKT_PKT0_S7_ifPKiS9_S9_iPKfiiiPfSC_PS2_PT2_iSB_SB_,comdat
.Lfunc_end910:
	.size	_Z38paged_attention_ll4mi_QKV_mfma4_kernelIDF16_hLN4vllm18Fp8KVCacheDataTypeE1EDF16_Li32ELi64ELi256ELb0ELi3EEvPKT_PKT0_S7_ifPKiS9_S9_iPKfiiiPfSC_PS2_PT2_iSB_SB_, .Lfunc_end910-_Z38paged_attention_ll4mi_QKV_mfma4_kernelIDF16_hLN4vllm18Fp8KVCacheDataTypeE1EDF16_Li32ELi64ELi256ELb0ELi3EEvPKT_PKT0_S7_ifPKiS9_S9_iPKfiiiPfSC_PS2_PT2_iSB_SB_
                                        ; -- End function
	.section	.AMDGPU.csdata,"",@progbits
; Kernel info:
; codeLenInByte = 3776
; NumSgprs: 48
; NumVgprs: 87
; NumAgprs: 4
; TotalNumVgprs: 92
; ScratchSize: 0
; MemoryBound: 0
; FloatMode: 240
; IeeeMode: 1
; LDSByteSize: 2720 bytes/workgroup (compile time only)
; SGPRBlocks: 5
; VGPRBlocks: 11
; NumSGPRsForWavesPerEU: 48
; NumVGPRsForWavesPerEU: 92
; AccumOffset: 88
; Occupancy: 5
; WaveLimiterHint : 1
; COMPUTE_PGM_RSRC2:SCRATCH_EN: 0
; COMPUTE_PGM_RSRC2:USER_SGPR: 2
; COMPUTE_PGM_RSRC2:TRAP_HANDLER: 0
; COMPUTE_PGM_RSRC2:TGID_X_EN: 1
; COMPUTE_PGM_RSRC2:TGID_Y_EN: 1
; COMPUTE_PGM_RSRC2:TGID_Z_EN: 1
; COMPUTE_PGM_RSRC2:TIDIG_COMP_CNT: 0
; COMPUTE_PGM_RSRC3_GFX90A:ACCUM_OFFSET: 21
; COMPUTE_PGM_RSRC3_GFX90A:TG_SPLIT: 0
	.section	.text._Z38paged_attention_ll4mi_QKV_mfma4_kernelIDF16_hLN4vllm18Fp8KVCacheDataTypeE1EDF16_Li32ELi64ELi256ELb0ELi4EEvPKT_PKT0_S7_ifPKiS9_S9_iPKfiiiPfSC_PS2_PT2_iSB_SB_,"axG",@progbits,_Z38paged_attention_ll4mi_QKV_mfma4_kernelIDF16_hLN4vllm18Fp8KVCacheDataTypeE1EDF16_Li32ELi64ELi256ELb0ELi4EEvPKT_PKT0_S7_ifPKiS9_S9_iPKfiiiPfSC_PS2_PT2_iSB_SB_,comdat
	.protected	_Z38paged_attention_ll4mi_QKV_mfma4_kernelIDF16_hLN4vllm18Fp8KVCacheDataTypeE1EDF16_Li32ELi64ELi256ELb0ELi4EEvPKT_PKT0_S7_ifPKiS9_S9_iPKfiiiPfSC_PS2_PT2_iSB_SB_ ; -- Begin function _Z38paged_attention_ll4mi_QKV_mfma4_kernelIDF16_hLN4vllm18Fp8KVCacheDataTypeE1EDF16_Li32ELi64ELi256ELb0ELi4EEvPKT_PKT0_S7_ifPKiS9_S9_iPKfiiiPfSC_PS2_PT2_iSB_SB_
	.globl	_Z38paged_attention_ll4mi_QKV_mfma4_kernelIDF16_hLN4vllm18Fp8KVCacheDataTypeE1EDF16_Li32ELi64ELi256ELb0ELi4EEvPKT_PKT0_S7_ifPKiS9_S9_iPKfiiiPfSC_PS2_PT2_iSB_SB_
	.p2align	8
	.type	_Z38paged_attention_ll4mi_QKV_mfma4_kernelIDF16_hLN4vllm18Fp8KVCacheDataTypeE1EDF16_Li32ELi64ELi256ELb0ELi4EEvPKT_PKT0_S7_ifPKiS9_S9_iPKfiiiPfSC_PS2_PT2_iSB_SB_,@function
_Z38paged_attention_ll4mi_QKV_mfma4_kernelIDF16_hLN4vllm18Fp8KVCacheDataTypeE1EDF16_Li32ELi64ELi256ELb0ELi4EEvPKT_PKT0_S7_ifPKiS9_S9_iPKfiiiPfSC_PS2_PT2_iSB_SB_: ; @_Z38paged_attention_ll4mi_QKV_mfma4_kernelIDF16_hLN4vllm18Fp8KVCacheDataTypeE1EDF16_Li32ELi64ELi256ELb0ELi4EEvPKT_PKT0_S7_ifPKiS9_S9_iPKfiiiPfSC_PS2_PT2_iSB_SB_
; %bb.0:
	s_load_dwordx2 s[8:9], s[0:1], 0x30
	s_mov_b32 s24, s3
	s_mov_b64 s[6:7], 0
	s_waitcnt lgkmcnt(0)
	s_cmp_lg_u64 s[8:9], 0
	s_cselect_b64 s[10:11], -1, 0
	s_and_b64 vcc, exec, s[10:11]
	s_cbranch_vccz .LBB911_18
; %bb.1:
	s_add_i32 s12, s2, 1
	s_mov_b32 s13, 0
	s_lshl_b64 s[14:15], s[12:13], 2
	s_add_u32 s14, s8, s14
	s_mov_b32 s3, s13
	s_addc_u32 s15, s9, s15
	s_lshl_b64 s[12:13], s[2:3], 2
	s_add_u32 s12, s8, s12
	s_addc_u32 s13, s9, s13
	s_load_dword s5, s[14:15], 0x0
	s_load_dword s16, s[12:13], 0x0
	s_mov_b64 s[34:35], s[2:3]
	s_waitcnt lgkmcnt(0)
	s_sub_i32 s5, s5, s16
	s_cmp_eq_u32 s5, 1
	s_cselect_b64 s[12:13], -1, 0
	s_andn2_b64 vcc, exec, s[6:7]
	s_cbranch_vccnz .LBB911_3
.LBB911_2:
	s_mov_b32 s3, 0
	s_mov_b64 s[12:13], -1
	s_mov_b64 s[34:35], s[2:3]
.LBB911_3:
	s_andn2_b64 vcc, exec, s[12:13]
	s_cbranch_vccnz .LBB911_17
; %bb.4:
	s_load_dword s3, s[0:1], 0x9c
	s_load_dwordx2 s[6:7], s[0:1], 0x28
	s_add_u32 s28, s0, 0x90
	s_addc_u32 s29, s1, 0
	s_lshl_b64 s[40:41], s[34:35], 2
	s_waitcnt lgkmcnt(0)
	s_and_b32 s5, s3, 0xffff
	s_add_u32 s6, s6, s40
	s_addc_u32 s7, s7, s41
	s_load_dword s3, s[6:7], 0x0
	s_mul_i32 s20, s24, s5
	s_waitcnt lgkmcnt(0)
	s_cmp_ge_i32 s20, s3
	s_cbranch_scc1 .LBB911_17
; %bb.5:
	v_and_b32_e32 v2, 0xc0, v0
	v_add_u32_e32 v4, s20, v2
	v_lshrrev_b32_e32 v1, 6, v0
	v_cmp_gt_i32_e64 s[6:7], s3, v4
	v_cmp_le_i32_e32 vcc, s3, v4
                                        ; implicit-def: $sgpr22
                                        ; implicit-def: $sgpr21
	s_and_saveexec_b64 s[12:13], vcc
	s_xor_b64 s[12:13], exec, s[12:13]
	s_cbranch_execz .LBB911_7
; %bb.6:
	v_mul_u32_u24_e32 v2, 20, v1
	v_or_b32_e32 v2, 0xa00, v2
	v_mov_b32_e32 v3, 0xa50
	v_mov_b32_e32 v4, 0xff7fffff
	v_mad_u32_u24 v3, v1, 20, v3
	ds_write2_b32 v2, v4, v4 offset1:1
	v_mov_b32_e32 v2, 0
	ds_write2_b32 v3, v2, v2 offset1:1
	v_mov_b32_e32 v3, 0xa08
	s_mov_b32 s21, 0xff7fffff
	s_mov_b32 s22, 0
	v_mad_u32_u24 v3, v1, 20, v3
	v_mov_b32_e32 v5, 0xa58
	v_mad_u32_u24 v5, v1, 20, v5
	ds_write2_b32 v3, v4, v4 offset1:1
	ds_write2_b32 v5, v2, v2 offset1:1
                                        ; implicit-def: $vgpr4
.LBB911_7:
	s_or_saveexec_b64 s[30:31], s[12:13]
	s_load_dwordx2 s[26:27], s[0:1], 0x68
	s_load_dwordx4 s[16:19], s[0:1], 0x58
	s_load_dword s5, s[28:29], 0x4
	s_load_dwordx4 s[12:15], s[0:1], 0x80
	v_and_b32_e32 v24, 63, v0
	v_and_b32_e32 v22, 3, v0
	v_mov_b32_e32 v21, s22
	v_mov_b32_e32 v25, s21
	;; [unrolled: 1-line block ×5, first 2 shown]
                                        ; implicit-def: $vgpr14_vgpr15
                                        ; implicit-def: $vgpr10_vgpr11
                                        ; implicit-def: $vgpr6_vgpr7
                                        ; implicit-def: $vgpr2_vgpr3
	s_xor_b64 exec, exec, s[30:31]
	s_cbranch_execz .LBB911_13
; %bb.8:
	s_load_dwordx2 s[22:23], s[0:1], 0x20
	s_load_dword s21, s[0:1], 0x38
	s_add_i32 s25, s3, 31
	s_ashr_i32 s33, s25, 31
	s_lshr_b32 s33, s33, 27
	v_add_u32_e32 v18, s20, v0
	s_add_i32 s25, s25, s33
	v_ashrrev_i32_e32 v2, 31, v18
	s_ashr_i32 s25, s25, 5
	v_lshrrev_b32_e32 v2, 27, v2
	s_add_i32 s25, s25, -1
	s_waitcnt lgkmcnt(0)
	s_mul_i32 s36, s2, s21
	s_mov_b32 s37, 0
	v_add_u32_e32 v2, v18, v2
	s_lshl_b64 s[38:39], s[36:37], 2
	v_ashrrev_i32_e32 v2, 5, v2
	v_mov_b32_e32 v3, s25
	v_cmp_gt_i32_e32 vcc, s3, v18
	s_add_u32 s22, s22, s38
	s_addc_u32 s23, s23, s39
	v_cndmask_b32_e32 v2, v3, v2, vcc
	v_ashrrev_i32_e32 v3, 31, v2
	v_lshl_add_u64 v[6:7], v[2:3], 2, s[22:23]
	v_ashrrev_i32_e32 v2, 31, v4
	v_lshrrev_b32_e32 v2, 27, v2
	v_add_u32_e32 v2, v4, v2
	v_ashrrev_i32_e32 v4, 5, v2
	v_min_i32_e32 v2, s25, v4
	v_ashrrev_i32_e32 v3, 31, v2
	v_lshl_add_u64 v[8:9], v[2:3], 2, s[22:23]
	v_add_u32_e32 v2, 1, v4
	v_min_i32_e32 v2, s25, v2
	v_ashrrev_i32_e32 v3, 31, v2
	v_lshl_add_u64 v[10:11], v[2:3], 2, s[22:23]
	global_load_dword v4, v[6:7], off
	global_load_dword v3, v[8:9], off
	;; [unrolled: 1-line block ×3, first 2 shown]
	s_load_dwordx4 s[20:23], s[0:1], 0x0
	s_load_dwordx2 s[38:39], s[0:1], 0x10
	s_andn2_b64 vcc, exec, s[10:11]
	s_cbranch_vccnz .LBB911_10
; %bb.9:
	s_add_u32 s8, s8, s40
	s_addc_u32 s9, s9, s41
	s_load_dword s36, s[8:9], 0x0
	s_waitcnt lgkmcnt(0)
	s_mov_b64 s[34:35], s[36:37]
.LBB911_10:
	s_load_dwordx4 s[8:11], s[0:1], 0x48
	s_load_dword s25, s[0:1], 0x1c
	v_cmp_eq_u32_e32 vcc, 0, v22
	v_mov_b32_e32 v25, 0xff7fffff
	s_waitcnt lgkmcnt(0)
	s_ashr_i32 s1, s8, 31
	s_mul_hi_u32 s11, s34, s8
	s_mul_i32 s1, s34, s1
	s_mul_i32 s33, s35, s8
	s_add_i32 s1, s11, s1
	s_mul_i32 s0, s34, s8
	s_add_i32 s1, s1, s33
	s_lshl_b64 s[0:1], s[0:1], 1
	s_add_u32 s8, s20, s0
	s_addc_u32 s11, s21, s1
	s_lshl_b32 s36, s4, 8
	s_lshl_b64 s[0:1], s[36:37], 1
	s_add_u32 s0, s8, s0
	s_addc_u32 s1, s11, s1
	s_mul_i32 s8, s4, s10
	s_add_u32 s10, s8, s22
	s_addc_u32 s11, 0, s23
	v_mov_b64_e32 v[6:7], s[10:11]
	s_waitcnt vmcnt(2)
	v_mad_i64_i32 v[4:5], s[10:11], v4, s9, v[6:7]
	v_lshlrev_b32_e32 v6, 4, v0
	v_and_b32_e32 v6, 0x1f0, v6
	v_mov_b32_e32 v7, 0
	v_lshl_add_u64 v[4:5], v[4:5], 0, v[6:7]
	global_load_dwordx4 v[26:29], v[4:5], off
	global_load_dwordx4 v[30:33], v[4:5], off offset:512
	global_load_dwordx4 v[34:37], v[4:5], off offset:1024
	;; [unrolled: 1-line block ×3, first 2 shown]
	v_lshrrev_b32_e32 v4, 2, v24
	v_lshlrev_b32_e32 v5, 3, v22
	v_add_lshl_u32 v4, v5, v4, 4
	global_load_dwordx4 v[42:45], v4, s[0:1]
	s_waitcnt vmcnt(6)
	v_mul_hi_i32 v4, v3, s9
	s_add_u32 s0, s38, s8
	s_waitcnt vmcnt(5)
	v_mul_hi_i32 v5, v2, s9
	v_ashrrev_i32_e32 v8, 31, v4
	s_addc_u32 s1, s39, 0
	v_lshlrev_b32_e32 v6, 5, v24
	v_ashrrev_i32_e32 v10, 31, v5
	v_lshl_add_u64 v[4:5], s[0:1], 0, v[6:7]
	v_lshrrev_b32_e32 v6, 29, v8
	v_mad_i64_i32 v[8:9], s[0:1], v3, s9, v[6:7]
	v_lshrrev_b32_e32 v6, 29, v10
	v_mad_i64_i32 v[2:3], s[0:1], v2, s9, v[6:7]
	v_and_b32_e32 v8, -8, v8
	v_and_b32_e32 v2, -8, v2
	v_lshl_add_u64 v[20:21], v[4:5], 0, v[8:9]
	v_lshl_add_u64 v[46:47], v[4:5], 0, v[2:3]
	global_load_dwordx4 v[10:13], v[20:21], off offset:16
	global_load_dwordx4 v[14:17], v[20:21], off
	global_load_dwordx4 v[2:5], v[46:47], off offset:16
	global_load_dwordx4 v[6:9], v[46:47], off
	s_load_dword s0, s[12:13], 0x0
	v_mov_b32_e32 v19, s25
	s_waitcnt vmcnt(8)
	v_cvt_pk_f32_fp8_e32 v[20:21], v26
	v_cvt_pk_f32_fp8_sdwa v[46:47], v26 src0_sel:WORD_1
	v_cvt_pk_f32_fp8_e32 v[48:49], v27
	v_cvt_pk_f32_fp8_sdwa v[26:27], v27 src0_sel:WORD_1
	;; [unrolled: 2-line block ×3, first 2 shown]
	v_cvt_pkrtz_f16_f32 v20, v20, v21
	v_cvt_pkrtz_f16_f32 v21, v46, v47
	v_cvt_pk_f32_fp8_e32 v[54:55], v29
	v_cvt_pk_f32_fp8_sdwa v[28:29], v29 src0_sel:WORD_1
	s_waitcnt vmcnt(4)
	v_mfma_f32_4x4x4_16b_f16 a[0:3], v[42:43], v[20:21], 0 cbsz:4
	v_cvt_pkrtz_f16_f32 v46, v48, v49
	v_cvt_pkrtz_f16_f32 v47, v26, v27
	v_cvt_pk_f32_fp8_e32 v[56:57], v30
	v_cvt_pk_f32_fp8_sdwa v[58:59], v30 src0_sel:WORD_1
	v_mfma_f32_4x4x4_16b_f16 a[0:3], v[44:45], v[46:47], a[0:3] cbsz:4
	v_cvt_pkrtz_f16_f32 v26, v50, v51
	v_cvt_pkrtz_f16_f32 v27, v52, v53
	v_cvt_pk_f32_fp8_e32 v[60:61], v31
	v_cvt_pk_f32_fp8_sdwa v[30:31], v31 src0_sel:WORD_1
	v_mfma_f32_4x4x4_16b_f16 a[0:3], v[42:43], v[26:27], a[0:3] cbsz:4 abid:1
	v_cvt_pkrtz_f16_f32 v48, v54, v55
	v_cvt_pkrtz_f16_f32 v49, v28, v29
	v_cvt_pk_f32_fp8_e32 v[62:63], v32
	v_cvt_pk_f32_fp8_sdwa v[64:65], v32 src0_sel:WORD_1
	v_mfma_f32_4x4x4_16b_f16 a[0:3], v[44:45], v[48:49], a[0:3] cbsz:4 abid:1
	;; [unrolled: 5-line block ×11, first 2 shown]
	v_cvt_pkrtz_f16_f32 v20, v84, v85
	v_cvt_pkrtz_f16_f32 v21, v38, v39
	;; [unrolled: 1-line block ×4, first 2 shown]
	v_mfma_f32_4x4x4_16b_f16 a[0:3], v[44:45], v[20:21], a[0:3] cbsz:4 abid:6
	v_cvt_pkrtz_f16_f32 v20, v90, v91
	v_cvt_pkrtz_f16_f32 v21, v40, v41
	v_mfma_f32_4x4x4_16b_f16 a[0:3], v[42:43], v[26:27], a[0:3] cbsz:4 abid:7
	s_waitcnt lgkmcnt(0)
	v_mul_f32_e32 v26, s0, v19
	v_cndmask_b32_e64 v19, 0, 1.0, vcc
	v_mfma_f32_4x4x4_16b_f16 a[0:3], v[44:45], v[20:21], a[0:3] cbsz:4 abid:7
	v_cmp_eq_u32_e32 vcc, 1, v22
	s_nop 3
	v_accvgpr_read_b32 v29, a1
	v_accvgpr_read_b32 v28, a0
	v_pk_mul_f32 v[28:29], v[28:29], v[26:27] op_sel_hi:[1,0]
	v_accvgpr_read_b32 v21, a3
	v_accvgpr_read_b32 v20, a2
	v_pk_mul_f32 v[20:21], v[20:21], v[26:27] op_sel_hi:[1,0]
	v_mfma_f32_4x4x1_16b_f32 a[0:3], v28, v19, 0
	v_cndmask_b32_e64 v19, 0, 1.0, vcc
	v_cmp_eq_u32_e32 vcc, 2, v22
	s_nop 0
	v_mfma_f32_4x4x1_16b_f32 a[0:3], v29, v19, a[0:3]
	v_cndmask_b32_e64 v19, 0, 1.0, vcc
	v_cmp_eq_u32_e32 vcc, 3, v22
	s_nop 0
	v_mfma_f32_4x4x1_16b_f32 a[0:3], v20, v19, a[0:3]
	v_cndmask_b32_e64 v19, 0, 1.0, vcc
	v_lshlrev_b32_e32 v20, 2, v0
	v_and_or_b32 v20, v20, 48, v22
	v_mfma_f32_4x4x1_16b_f32 a[0:3], v21, v19, a[0:3]
	v_and_b32_e32 v19, -4, v18
	v_cmp_gt_i32_e32 vcc, s3, v19
	v_or_b32_e32 v18, 3, v18
	v_cmp_gt_i32_e64 s[10:11], s3, v18
	v_accvgpr_read_b32 v21, a0
	v_max_f32_e32 v23, v21, v21
	v_max_f32_e32 v23, 0xff7fffff, v23
	v_accvgpr_read_b32 v26, a1
	v_cndmask_b32_e32 v23, v25, v23, vcc
	v_or_b32_e32 v25, 1, v19
	v_max_f32_e32 v27, v26, v26
	v_max_f32_e32 v27, v23, v27
	v_cmp_gt_i32_e64 s[0:1], s3, v25
	v_or_b32_e32 v19, 2, v19
	v_cmp_gt_i32_e64 s[8:9], s3, v19
	v_cndmask_b32_e64 v23, v23, v27, s[0:1]
	v_accvgpr_read_b32 v27, a2
	v_max_f32_e32 v25, v27, v27
	v_max_f32_e32 v25, v23, v25
	v_cndmask_b32_e64 v19, v23, v25, s[8:9]
	v_accvgpr_read_b32 v23, a3
	v_max_f32_e32 v25, v23, v23
	v_max_f32_e32 v25, v19, v25
	v_cndmask_b32_e64 v18, v19, v25, s[10:11]
	;;#ASMSTART
	v_nop
 v_nop
 v_max_f32_dpp v18, v18, v18 row_ror:4
	;;#ASMEND
	v_lshlrev_b32_e32 v28, 2, v20
	;;#ASMSTART
	v_nop
 v_nop
 v_max_f32_dpp v18, v18, v18 row_ror:8
	;;#ASMEND
	ds_bpermute_b32 v18, v28, v18
	s_waitcnt lgkmcnt(0)
	;;#ASMSTART
	v_nop
 v_nop
 v_max_f32_dpp v18, v18, v18 row_ror:4
	;;#ASMEND
	s_nop 0
	;;#ASMSTART
	v_nop
 v_nop
 v_max_f32_dpp v25, v18, v18 row_ror:8
	;;#ASMEND
	s_nop 0
	v_sub_f32_e32 v18, v21, v25
	v_mul_f32_e32 v18, 0x3fb8aa3b, v18
	v_sub_f32_e32 v19, v26, v25
	v_exp_f32_e32 v18, v18
	v_mul_f32_e32 v19, 0x3fb8aa3b, v19
	v_sub_f32_e32 v21, v27, v25
	v_exp_f32_e32 v19, v19
	;; [unrolled: 3-line block ×3, first 2 shown]
	v_mul_f32_e32 v23, 0x3fb8aa3b, v23
	v_exp_f32_e32 v23, v23
	v_cndmask_b32_e32 v18, 0, v18, vcc
	v_add_f32_e32 v20, 0, v18
	v_cndmask_b32_e64 v19, 0, v19, s[0:1]
	v_add_f32_e32 v26, v20, v19
	v_cndmask_b32_e64 v20, 0, v21, s[8:9]
	;; [unrolled: 2-line block ×3, first 2 shown]
	v_add_f32_e32 v23, v26, v21
	;;#ASMSTART
	v_nop
 v_nop
 v_add_f32_dpp v23, v23, v23 row_ror:4
	;;#ASMEND
	v_cmp_gt_u32_e32 vcc, 4, v24
	;;#ASMSTART
	v_nop
 v_nop
 v_add_f32_dpp v23, v23, v23 row_ror:8
	;;#ASMEND
	ds_bpermute_b32 v23, v28, v23
	s_waitcnt lgkmcnt(0)
	;;#ASMSTART
	v_nop
 v_nop
 v_add_f32_dpp v23, v23, v23 row_ror:4
	;;#ASMEND
	s_nop 0
	;;#ASMSTART
	v_nop
 v_nop
 v_add_f32_dpp v23, v23, v23 row_ror:8
	;;#ASMEND
	s_and_saveexec_b64 s[0:1], vcc
	s_cbranch_execz .LBB911_12
; %bb.11:
	v_mul_u32_u24_e32 v26, 20, v1
	v_lshl_add_u32 v26, v22, 2, v26
	v_add_u32_e32 v26, 0x800, v26
	ds_write2_b32 v26, v25, v23 offset0:128 offset1:148
.LBB911_12:
	s_or_b64 exec, exec, s[0:1]
.LBB911_13:
	s_or_b64 exec, exec, s[30:31]
	v_lshlrev_b32_e32 v23, 2, v22
	v_add_u32_e32 v23, 0x800, v23
	s_waitcnt lgkmcnt(0)
	s_barrier
	s_load_dword s0, s[28:29], 0x8
	ds_read2_b32 v[28:29], v23 offset0:128 offset1:133
	ds_read2_b32 v[30:31], v23 offset0:138 offset1:143
	s_mov_b32 s8, 0xff7fffff
	s_mul_i32 s1, s2, s5
	s_lshl_b32 s4, s4, 2
	s_waitcnt lgkmcnt(0)
	v_max3_f32 v26, v28, s8, v29
	s_mul_i32 s1, s1, s0
	v_max3_f32 v26, v26, v30, v31
	s_lshl_b32 s0, s1, 2
	s_mov_b32 s1, 0
	v_sub_f32_e32 v27, v28, v26
	v_sub_f32_e32 v28, v29, v26
	s_lshl_b64 s[2:3], s[0:1], 2
	ds_read2_b32 v[32:33], v23 offset0:148 offset1:153
	v_mul_f32_e32 v27, 0x3fb8aa3b, v27
	v_mul_f32_e32 v28, 0x3fb8aa3b, v28
	s_mov_b32 s25, s1
	s_add_u32 s1, s16, s2
	v_exp_f32_e32 v27, v27
	v_exp_f32_e32 v34, v28
	ds_read2_b32 v[28:29], v23 offset0:158 offset1:163
	v_sub_f32_e32 v23, v30, v26
	s_addc_u32 s10, s17, s3
	v_mul_f32_e32 v23, 0x3fb8aa3b, v23
	v_sub_f32_e32 v30, v31, v26
	s_add_u32 s8, s18, s2
	v_exp_f32_e32 v23, v23
	v_mul_f32_e32 v30, 0x3fb8aa3b, v30
	s_addc_u32 s9, s19, s3
	s_lshl_b64 s[2:3], s[24:25], 2
	v_exp_f32_e32 v30, v30
	s_add_u32 s8, s8, s2
	s_waitcnt lgkmcnt(1)
	v_fma_f32 v27, v27, v32, 0
	s_addc_u32 s9, s9, s3
	v_fmac_f32_e32 v27, v34, v33
	v_or_b32_e32 v22, s4, v22
	s_waitcnt lgkmcnt(0)
	v_fmac_f32_e32 v27, v23, v28
	s_add_u32 s2, s1, s2
	v_mul_lo_u32 v22, s5, v22
	v_mov_b32_e32 v23, 0
	v_fmac_f32_e32 v27, v30, v29
	s_addc_u32 s3, s10, s3
	v_lshlrev_b64 v[28:29], 2, v[22:23]
	v_lshl_add_u64 v[30:31], s[8:9], 0, v[28:29]
	v_lshl_add_u64 v[28:29], s[2:3], 0, v[28:29]
	v_mov_b32_e32 v22, v23
	global_store_dword v[30:31], v26, off
	global_store_dword v[28:29], v27, off
	s_and_saveexec_b64 s[2:3], s[6:7]
	s_cbranch_execz .LBB911_15
; %bb.14:
	v_add_f32_e32 v22, 0x358637bd, v27
	v_div_scale_f32 v23, s[6:7], v22, v22, 1.0
	v_rcp_f32_e32 v27, v23
	v_div_scale_f32 v28, vcc, 1.0, v22, 1.0
	v_sub_f32_e32 v25, v25, v26
	v_fma_f32 v29, -v23, v27, 1.0
	v_fmac_f32_e32 v27, v29, v27
	v_mul_f32_e32 v29, v28, v27
	v_fma_f32 v30, -v23, v29, v28
	v_mul_f32_e32 v25, 0x3fb8aa3b, v25
	v_fmac_f32_e32 v29, v30, v27
	v_exp_f32_e32 v25, v25
	v_fma_f32 v23, -v23, v29, v28
	v_div_fmas_f32 v23, v23, v27, v29
	v_div_fixup_f32 v22, v23, v22, 1.0
	v_mul_f32_e32 v22, v25, v22
	v_pk_mul_f32 v[20:21], v[20:21], v[22:23] op_sel_hi:[1,0]
	v_pk_mul_f32 v[18:19], v[18:19], v[22:23] op_sel_hi:[1,0]
	v_cvt_f16_f32_e32 v22, v20
	v_cvt_f16_f32_e32 v18, v18
	;; [unrolled: 1-line block ×4, first 2 shown]
	s_waitcnt vmcnt(4)
	v_cvt_pk_f32_fp8_e32 v[20:21], v14
	v_cvt_pk_f32_fp8_e32 v[26:27], v15
	v_pack_b32_f16 v18, v18, v19
	v_pack_b32_f16 v19, v22, v23
	v_cvt_pk_f32_fp8_sdwa v[22:23], v14 src0_sel:WORD_1
	v_cvt_pkrtz_f16_f32 v14, v20, v21
	v_cvt_pk_f32_fp8_sdwa v[20:21], v15 src0_sel:WORD_1
	s_load_dword s6, s[14:15], 0x0
	v_cvt_pkrtz_f16_f32 v15, v22, v23
	v_cvt_pkrtz_f16_f32 v22, v26, v27
	;; [unrolled: 1-line block ×3, first 2 shown]
	v_mfma_f32_4x4x4_16b_f16 a[0:3], v[18:19], v[14:15], 0 cbsz:4
	v_cvt_pk_f32_fp8_e32 v[14:15], v16
	v_cvt_pk_f32_fp8_sdwa v[20:21], v16 src0_sel:WORD_1
	v_mfma_f32_4x4x4_16b_f16 a[0:3], v[18:19], v[22:23], a[0:3] cbsz:4 abid:1
	v_cvt_pk_f32_fp8_e32 v[22:23], v17
	v_cvt_pk_f32_fp8_sdwa v[16:17], v17 src0_sel:WORD_1
	v_cvt_pkrtz_f16_f32 v14, v14, v15
	v_cvt_pkrtz_f16_f32 v15, v20, v21
	v_cvt_pkrtz_f16_f32 v20, v22, v23
	v_cvt_pkrtz_f16_f32 v21, v16, v17
	v_mfma_f32_4x4x4_16b_f16 a[0:3], v[18:19], v[14:15], a[0:3] cbsz:4 abid:2
	v_cvt_pk_f32_fp8_e32 v[14:15], v10
	v_cvt_pk_f32_fp8_sdwa v[16:17], v10 src0_sel:WORD_1
	v_mfma_f32_4x4x4_16b_f16 a[0:3], v[18:19], v[20:21], a[0:3] cbsz:4 abid:3
	v_cvt_pk_f32_fp8_e32 v[20:21], v11
	v_cvt_pkrtz_f16_f32 v10, v14, v15
	v_cvt_pk_f32_fp8_sdwa v[14:15], v11 src0_sel:WORD_1
	v_cvt_pkrtz_f16_f32 v11, v16, v17
	v_cvt_pkrtz_f16_f32 v16, v20, v21
	s_mov_b32 s1, 0x5040100
	v_mfma_f32_4x4x4_16b_f16 a[0:3], v[18:19], v[10:11], a[0:3] cbsz:4 abid:4
	v_cvt_pkrtz_f16_f32 v17, v14, v15
	v_cvt_pk_f32_fp8_e32 v[10:11], v12
	v_cvt_pk_f32_fp8_sdwa v[14:15], v12 src0_sel:WORD_1
	v_mfma_f32_4x4x4_16b_f16 a[0:3], v[18:19], v[16:17], a[0:3] cbsz:4 abid:5
	v_cvt_pk_f32_fp8_e32 v[16:17], v13
	v_cvt_pk_f32_fp8_sdwa v[12:13], v13 src0_sel:WORD_1
	v_cvt_pkrtz_f16_f32 v10, v10, v11
	v_cvt_pkrtz_f16_f32 v11, v14, v15
	;; [unrolled: 1-line block ×4, first 2 shown]
	v_mfma_f32_4x4x4_16b_f16 a[0:3], v[18:19], v[10:11], a[0:3] cbsz:4 abid:6
	s_waitcnt vmcnt(2)
	v_cvt_pk_f32_fp8_e32 v[10:11], v6
	v_cvt_pk_f32_fp8_sdwa v[12:13], v6 src0_sel:WORD_1
	v_mfma_f32_4x4x4_16b_f16 a[0:3], v[18:19], v[14:15], a[0:3] cbsz:4 abid:7
	v_cvt_pk_f32_fp8_e32 v[14:15], v7
	v_cvt_pkrtz_f16_f32 v6, v10, v11
	v_cvt_pk_f32_fp8_sdwa v[10:11], v7 src0_sel:WORD_1
	v_cvt_pkrtz_f16_f32 v7, v12, v13
	v_cvt_pkrtz_f16_f32 v12, v14, v15
	;; [unrolled: 1-line block ×3, first 2 shown]
	v_mfma_f32_4x4x4_16b_f16 a[0:3], v[18:19], v[6:7], a[0:3] cbsz:4 abid:8
	v_cvt_pk_f32_fp8_e32 v[6:7], v8
	v_cvt_pk_f32_fp8_sdwa v[10:11], v8 src0_sel:WORD_1
	v_mfma_f32_4x4x4_16b_f16 a[0:3], v[18:19], v[12:13], a[0:3] cbsz:4 abid:9
	v_cvt_pk_f32_fp8_e32 v[12:13], v9
	v_cvt_pk_f32_fp8_sdwa v[8:9], v9 src0_sel:WORD_1
	v_cvt_pkrtz_f16_f32 v6, v6, v7
	v_cvt_pkrtz_f16_f32 v7, v10, v11
	;; [unrolled: 1-line block ×4, first 2 shown]
	v_mfma_f32_4x4x4_16b_f16 a[0:3], v[18:19], v[6:7], a[0:3] cbsz:4 abid:10
	v_cvt_pk_f32_fp8_e32 v[6:7], v2
	v_cvt_pk_f32_fp8_sdwa v[8:9], v2 src0_sel:WORD_1
	v_mfma_f32_4x4x4_16b_f16 a[0:3], v[18:19], v[10:11], a[0:3] cbsz:4 abid:11
	v_cvt_pk_f32_fp8_e32 v[10:11], v3
	v_cvt_pkrtz_f16_f32 v2, v6, v7
	v_cvt_pk_f32_fp8_sdwa v[6:7], v3 src0_sel:WORD_1
	v_cvt_pkrtz_f16_f32 v3, v8, v9
	v_cvt_pkrtz_f16_f32 v8, v10, v11
	;; [unrolled: 1-line block ×3, first 2 shown]
	v_mfma_f32_4x4x4_16b_f16 a[0:3], v[18:19], v[2:3], a[0:3] cbsz:4 abid:12
	v_cvt_pk_f32_fp8_e32 v[2:3], v4
	v_cvt_pk_f32_fp8_sdwa v[6:7], v4 src0_sel:WORD_1
	v_mfma_f32_4x4x4_16b_f16 a[0:3], v[18:19], v[8:9], a[0:3] cbsz:4 abid:13
	v_cvt_pk_f32_fp8_e32 v[8:9], v5
	v_cvt_pk_f32_fp8_sdwa v[4:5], v5 src0_sel:WORD_1
	v_cvt_pkrtz_f16_f32 v2, v2, v3
	v_cvt_pkrtz_f16_f32 v3, v6, v7
	;; [unrolled: 1-line block ×4, first 2 shown]
	v_mfma_f32_4x4x4_16b_f16 a[0:3], v[18:19], v[2:3], a[0:3] cbsz:4 abid:14
	s_nop 1
	v_mfma_f32_4x4x4_16b_f16 a[0:3], v[18:19], v[6:7], a[0:3] cbsz:4 abid:15
	s_nop 4
	v_accvgpr_read_b32 v5, a1
	v_accvgpr_read_b32 v3, a3
	;; [unrolled: 1-line block ×4, first 2 shown]
	s_waitcnt lgkmcnt(0)
	v_pk_mul_f32 v[2:3], v[2:3], s[6:7] op_sel_hi:[1,0]
	v_pk_mul_f32 v[4:5], v[4:5], s[6:7] op_sel_hi:[1,0]
	v_cvt_f16_f32_e32 v2, v2
	v_cvt_f16_f32_e32 v4, v4
	;; [unrolled: 1-line block ×4, first 2 shown]
	v_perm_b32 v22, v5, v4, s1
	v_perm_b32 v23, v3, v2, s1
.LBB911_15:
	s_or_b64 exec, exec, s[2:3]
	v_lshlrev_b32_e32 v1, 3, v1
	v_mad_u32_u24 v1, v24, 40, v1
	v_cmp_gt_u32_e32 vcc, 64, v0
	ds_write_b64 v1, v[22:23]
	s_waitcnt lgkmcnt(0)
	s_barrier
	s_and_saveexec_b64 s[2:3], vcc
	s_cbranch_execz .LBB911_17
; %bb.16:
	v_mul_u32_u24_e32 v1, 40, v24
	s_waitcnt vmcnt(3)
	ds_read2_b64 v[2:5], v1 offset1:1
	s_waitcnt vmcnt(2)
	ds_read2_b64 v[6:9], v1 offset0:2 offset1:3
	s_mov_b32 s1, 0
	s_lshl_b32 s0, s0, 6
	s_lshl_b64 s[2:3], s[0:1], 1
	s_add_u32 s2, s26, s2
	s_addc_u32 s3, s27, s3
	s_lshl_b32 s0, s24, 6
	s_lshl_b64 s[0:1], s[0:1], 1
	s_waitcnt lgkmcnt(1)
	v_pk_add_f16 v1, v2, 0
	v_pk_add_f16 v2, v3, 0
	s_add_u32 s0, s2, s0
	v_pk_add_f16 v2, v2, v5
	s_addc_u32 s1, s3, s1
	s_lshl_b32 s2, s5, 6
	v_pk_add_f16 v1, v1, v4
	s_waitcnt lgkmcnt(0)
	v_pk_add_f16 v2, v2, v7
	s_mul_i32 s3, s2, s4
	v_pk_add_f16 v1, v1, v6
	v_pk_add_f16 v6, v2, v9
	v_or_b32_e32 v2, s3, v0
	v_mov_b32_e32 v3, 0
	s_add_i32 s3, s3, s2
	v_pk_add_f16 v1, v1, v8
	v_lshl_add_u64 v[4:5], v[2:3], 1, s[0:1]
	v_or_b32_e32 v2, s3, v0
	s_add_i32 s3, s3, s2
	global_store_short v[4:5], v1, off
	v_lshl_add_u64 v[4:5], v[2:3], 1, s[0:1]
	v_or_b32_e32 v2, s3, v0
	s_add_i32 s3, s3, s2
	global_store_short_d16_hi v[4:5], v1, off
	v_lshl_add_u64 v[4:5], v[2:3], 1, s[0:1]
	v_or_b32_e32 v2, s3, v0
	v_lshl_add_u64 v[0:1], v[2:3], 1, s[0:1]
	global_store_short v[4:5], v6, off
	global_store_short_d16_hi v[0:1], v6, off
.LBB911_17:
	s_endpgm
.LBB911_18:
	s_mov_b64 s[12:13], 0
                                        ; implicit-def: $sgpr34_sgpr35
	s_branch .LBB911_2
	.section	.rodata,"a",@progbits
	.p2align	6, 0x0
	.amdhsa_kernel _Z38paged_attention_ll4mi_QKV_mfma4_kernelIDF16_hLN4vllm18Fp8KVCacheDataTypeE1EDF16_Li32ELi64ELi256ELb0ELi4EEvPKT_PKT0_S7_ifPKiS9_S9_iPKfiiiPfSC_PS2_PT2_iSB_SB_
		.amdhsa_group_segment_fixed_size 2720
		.amdhsa_private_segment_fixed_size 0
		.amdhsa_kernarg_size 400
		.amdhsa_user_sgpr_count 2
		.amdhsa_user_sgpr_dispatch_ptr 0
		.amdhsa_user_sgpr_queue_ptr 0
		.amdhsa_user_sgpr_kernarg_segment_ptr 1
		.amdhsa_user_sgpr_dispatch_id 0
		.amdhsa_user_sgpr_kernarg_preload_length 0
		.amdhsa_user_sgpr_kernarg_preload_offset 0
		.amdhsa_user_sgpr_private_segment_size 0
		.amdhsa_uses_dynamic_stack 0
		.amdhsa_enable_private_segment 0
		.amdhsa_system_sgpr_workgroup_id_x 1
		.amdhsa_system_sgpr_workgroup_id_y 1
		.amdhsa_system_sgpr_workgroup_id_z 1
		.amdhsa_system_sgpr_workgroup_info 0
		.amdhsa_system_vgpr_workitem_id 0
		.amdhsa_next_free_vgpr 96
		.amdhsa_next_free_sgpr 42
		.amdhsa_accum_offset 92
		.amdhsa_reserve_vcc 1
		.amdhsa_float_round_mode_32 0
		.amdhsa_float_round_mode_16_64 0
		.amdhsa_float_denorm_mode_32 3
		.amdhsa_float_denorm_mode_16_64 3
		.amdhsa_dx10_clamp 1
		.amdhsa_ieee_mode 1
		.amdhsa_fp16_overflow 0
		.amdhsa_tg_split 0
		.amdhsa_exception_fp_ieee_invalid_op 0
		.amdhsa_exception_fp_denorm_src 0
		.amdhsa_exception_fp_ieee_div_zero 0
		.amdhsa_exception_fp_ieee_overflow 0
		.amdhsa_exception_fp_ieee_underflow 0
		.amdhsa_exception_fp_ieee_inexact 0
		.amdhsa_exception_int_div_zero 0
	.end_amdhsa_kernel
	.section	.text._Z38paged_attention_ll4mi_QKV_mfma4_kernelIDF16_hLN4vllm18Fp8KVCacheDataTypeE1EDF16_Li32ELi64ELi256ELb0ELi4EEvPKT_PKT0_S7_ifPKiS9_S9_iPKfiiiPfSC_PS2_PT2_iSB_SB_,"axG",@progbits,_Z38paged_attention_ll4mi_QKV_mfma4_kernelIDF16_hLN4vllm18Fp8KVCacheDataTypeE1EDF16_Li32ELi64ELi256ELb0ELi4EEvPKT_PKT0_S7_ifPKiS9_S9_iPKfiiiPfSC_PS2_PT2_iSB_SB_,comdat
.Lfunc_end911:
	.size	_Z38paged_attention_ll4mi_QKV_mfma4_kernelIDF16_hLN4vllm18Fp8KVCacheDataTypeE1EDF16_Li32ELi64ELi256ELb0ELi4EEvPKT_PKT0_S7_ifPKiS9_S9_iPKfiiiPfSC_PS2_PT2_iSB_SB_, .Lfunc_end911-_Z38paged_attention_ll4mi_QKV_mfma4_kernelIDF16_hLN4vllm18Fp8KVCacheDataTypeE1EDF16_Li32ELi64ELi256ELb0ELi4EEvPKT_PKT0_S7_ifPKiS9_S9_iPKfiiiPfSC_PS2_PT2_iSB_SB_
                                        ; -- End function
	.section	.AMDGPU.csdata,"",@progbits
; Kernel info:
; codeLenInByte = 3728
; NumSgprs: 48
; NumVgprs: 92
; NumAgprs: 4
; TotalNumVgprs: 96
; ScratchSize: 0
; MemoryBound: 0
; FloatMode: 240
; IeeeMode: 1
; LDSByteSize: 2720 bytes/workgroup (compile time only)
; SGPRBlocks: 5
; VGPRBlocks: 11
; NumSGPRsForWavesPerEU: 48
; NumVGPRsForWavesPerEU: 96
; AccumOffset: 92
; Occupancy: 5
; WaveLimiterHint : 1
; COMPUTE_PGM_RSRC2:SCRATCH_EN: 0
; COMPUTE_PGM_RSRC2:USER_SGPR: 2
; COMPUTE_PGM_RSRC2:TRAP_HANDLER: 0
; COMPUTE_PGM_RSRC2:TGID_X_EN: 1
; COMPUTE_PGM_RSRC2:TGID_Y_EN: 1
; COMPUTE_PGM_RSRC2:TGID_Z_EN: 1
; COMPUTE_PGM_RSRC2:TIDIG_COMP_CNT: 0
; COMPUTE_PGM_RSRC3_GFX90A:ACCUM_OFFSET: 22
; COMPUTE_PGM_RSRC3_GFX90A:TG_SPLIT: 0
	.section	.text._Z39paged_attention_ll4mi_QKV_mfma16_kernelIDF16_hLN4vllm18Fp8KVCacheDataTypeE1EDF16_Li32ELi64ELi256ELb0ELi5EEvPKT_PKT0_S7_ifPKiS9_S9_iPKfiiiPfSC_PS2_PT2_iSB_SB_,"axG",@progbits,_Z39paged_attention_ll4mi_QKV_mfma16_kernelIDF16_hLN4vllm18Fp8KVCacheDataTypeE1EDF16_Li32ELi64ELi256ELb0ELi5EEvPKT_PKT0_S7_ifPKiS9_S9_iPKfiiiPfSC_PS2_PT2_iSB_SB_,comdat
	.protected	_Z39paged_attention_ll4mi_QKV_mfma16_kernelIDF16_hLN4vllm18Fp8KVCacheDataTypeE1EDF16_Li32ELi64ELi256ELb0ELi5EEvPKT_PKT0_S7_ifPKiS9_S9_iPKfiiiPfSC_PS2_PT2_iSB_SB_ ; -- Begin function _Z39paged_attention_ll4mi_QKV_mfma16_kernelIDF16_hLN4vllm18Fp8KVCacheDataTypeE1EDF16_Li32ELi64ELi256ELb0ELi5EEvPKT_PKT0_S7_ifPKiS9_S9_iPKfiiiPfSC_PS2_PT2_iSB_SB_
	.globl	_Z39paged_attention_ll4mi_QKV_mfma16_kernelIDF16_hLN4vllm18Fp8KVCacheDataTypeE1EDF16_Li32ELi64ELi256ELb0ELi5EEvPKT_PKT0_S7_ifPKiS9_S9_iPKfiiiPfSC_PS2_PT2_iSB_SB_
	.p2align	8
	.type	_Z39paged_attention_ll4mi_QKV_mfma16_kernelIDF16_hLN4vllm18Fp8KVCacheDataTypeE1EDF16_Li32ELi64ELi256ELb0ELi5EEvPKT_PKT0_S7_ifPKiS9_S9_iPKfiiiPfSC_PS2_PT2_iSB_SB_,@function
_Z39paged_attention_ll4mi_QKV_mfma16_kernelIDF16_hLN4vllm18Fp8KVCacheDataTypeE1EDF16_Li32ELi64ELi256ELb0ELi5EEvPKT_PKT0_S7_ifPKiS9_S9_iPKfiiiPfSC_PS2_PT2_iSB_SB_: ; @_Z39paged_attention_ll4mi_QKV_mfma16_kernelIDF16_hLN4vllm18Fp8KVCacheDataTypeE1EDF16_Li32ELi64ELi256ELb0ELi5EEvPKT_PKT0_S7_ifPKiS9_S9_iPKfiiiPfSC_PS2_PT2_iSB_SB_
; %bb.0:
	s_load_dwordx2 s[12:13], s[0:1], 0x30
	s_mov_b32 s28, s3
	s_mov_b64 s[6:7], 0
	s_waitcnt lgkmcnt(0)
	s_cmp_lg_u64 s[12:13], 0
	s_cselect_b64 s[14:15], -1, 0
	s_and_b64 vcc, exec, s[14:15]
	s_cbranch_vccz .LBB912_7
; %bb.1:
	s_add_i32 s8, s2, 1
	s_mov_b32 s9, 0
	s_lshl_b64 s[10:11], s[8:9], 2
	s_add_u32 s10, s12, s10
	s_mov_b32 s3, s9
	s_addc_u32 s11, s13, s11
	s_lshl_b64 s[8:9], s[2:3], 2
	s_add_u32 s8, s12, s8
	s_addc_u32 s9, s13, s9
	s_load_dword s5, s[10:11], 0x0
	s_load_dword s16, s[8:9], 0x0
	s_waitcnt lgkmcnt(0)
	s_sub_i32 s5, s5, s16
	s_cmp_eq_u32 s5, 1
	s_cselect_b64 s[8:9], -1, 0
	s_andn2_b64 vcc, exec, s[6:7]
	s_cbranch_vccnz .LBB912_3
.LBB912_2:
	s_mov_b32 s3, 0
	s_mov_b64 s[8:9], -1
.LBB912_3:
	s_andn2_b64 vcc, exec, s[8:9]
	s_cbranch_vccnz .LBB912_18
; %bb.4:
	s_load_dwordx2 s[6:7], s[0:1], 0x28
	s_lshl_b64 s[16:17], s[2:3], 2
	s_waitcnt lgkmcnt(0)
	s_add_u32 s6, s6, s16
	s_addc_u32 s7, s7, s17
	s_load_dword s33, s[6:7], 0x0
	s_lshl_b32 s5, s28, 8
	s_waitcnt lgkmcnt(0)
	s_cmp_ge_i32 s5, s33
	s_cbranch_scc1 .LBB912_18
; %bb.5:
	s_add_i32 s9, s33, 31
	s_load_dwordx2 s[6:7], s[0:1], 0x20
	s_load_dword s8, s[0:1], 0x38
	s_ashr_i32 s10, s9, 31
	v_and_b32_e32 v1, 0xcf, v0
	s_lshr_b32 s10, s10, 27
	v_add_u32_e32 v1, s5, v1
	s_add_i32 s9, s9, s10
	v_ashrrev_i32_e32 v2, 31, v1
	s_ashr_i32 s18, s9, 5
	v_lshrrev_b32_e32 v6, 27, v2
	s_add_i32 s18, s18, -1
	v_add_u32_e32 v2, v1, v6
	v_or_b32_e32 v4, 16, v1
	s_waitcnt lgkmcnt(0)
	s_mul_i32 s8, s2, s8
	s_mov_b32 s9, 0
	v_ashrrev_i32_e32 v2, 5, v2
	v_mov_b32_e32 v7, s18
	v_cmp_gt_i32_e32 vcc, s33, v1
	v_add_u32_e32 v5, v4, v6
	s_lshl_b64 s[8:9], s[8:9], 2
	v_cndmask_b32_e32 v2, v7, v2, vcc
	v_ashrrev_i32_e32 v5, 5, v5
	v_cmp_gt_i32_e32 vcc, s33, v4
	s_add_u32 s6, s6, s8
	s_addc_u32 s7, s7, s9
	v_cndmask_b32_e32 v4, v7, v5, vcc
	v_ashrrev_i32_e32 v5, 31, v4
	v_lshl_add_u64 v[10:11], v[4:5], 2, s[6:7]
	v_or_b32_e32 v4, 32, v1
	v_add_u32_e32 v5, v4, v6
	v_ashrrev_i32_e32 v5, 5, v5
	v_cmp_gt_i32_e32 vcc, s33, v4
	v_or_b32_e32 v1, 48, v1
	v_ashrrev_i32_e32 v3, 31, v2
	v_cndmask_b32_e32 v4, v7, v5, vcc
	v_ashrrev_i32_e32 v5, 31, v4
	v_lshl_add_u64 v[12:13], v[4:5], 2, s[6:7]
	v_add_u32_e32 v4, v1, v6
	v_ashrrev_i32_e32 v4, 5, v4
	v_cmp_gt_i32_e32 vcc, s33, v1
	v_lshl_add_u64 v[2:3], v[2:3], 2, s[6:7]
	s_load_dwordx4 s[8:11], s[0:1], 0x8
	v_cndmask_b32_e32 v4, v7, v4, vcc
	v_ashrrev_i32_e32 v5, 31, v4
	v_lshl_add_u64 v[14:15], v[4:5], 2, s[6:7]
	global_load_dword v4, v[2:3], off
	global_load_dword v8, v[10:11], off
	;; [unrolled: 1-line block ×4, first 2 shown]
	s_andn2_b64 vcc, exec, s[14:15]
	s_cbranch_vccnz .LBB912_8
; %bb.6:
	s_add_u32 s12, s12, s16
	s_addc_u32 s13, s13, s17
	s_load_dword s14, s[12:13], 0x0
	s_branch .LBB912_9
.LBB912_7:
	s_mov_b64 s[8:9], 0
	s_branch .LBB912_2
.LBB912_8:
	s_mov_b32 s14, s2
.LBB912_9:
	s_load_dwordx4 s[44:47], s[0:1], 0x48
	v_lshrrev_b32_e32 v29, 6, v0
	v_bfe_u32 v42, v0, 4, 2
	v_lshl_or_b32 v2, v29, 2, v42
	v_and_b32_e32 v28, 15, v0
	v_lshlrev_b32_e32 v1, 3, v28
	v_cmp_gt_u32_e32 vcc, 5, v2
	v_cmp_gt_u32_e64 s[30:31], 8, v28
	v_and_b32_e32 v43, 63, v0
	s_mul_i32 s48, s4, 5
	s_and_b64 s[16:17], s[30:31], vcc
	v_lshlrev_b32_e32 v26, 1, v1
	v_lshlrev_b32_e32 v1, 4, v0
	s_and_saveexec_b64 s[12:13], s[16:17]
	s_cbranch_execz .LBB912_11
; %bb.10:
	s_load_dwordx2 s[16:17], s[0:1], 0x0
	s_waitcnt lgkmcnt(0)
	s_ashr_i32 s15, s44, 31
	s_mul_hi_u32 s19, s14, s44
	s_mul_i32 s15, s14, s15
	s_add_i32 s15, s19, s15
	s_mul_i32 s14, s14, s44
	s_lshl_b64 s[14:15], s[14:15], 1
	s_add_u32 s14, s16, s14
	v_add_lshl_u32 v10, v2, s48, 6
	s_addc_u32 s15, s17, s15
	v_ashrrev_i32_e32 v11, 31, v10
	v_lshl_add_u64 v[10:11], v[10:11], 1, s[14:15]
	v_mov_b32_e32 v27, 0
	v_lshl_add_u64 v[10:11], v[10:11], 0, v[26:27]
	global_load_dwordx4 v[10:13], v[10:11], off
	v_lshlrev_b32_e32 v5, 8, v28
	v_lshlrev_b32_e32 v2, 5, v2
	v_and_b32_e32 v3, 16, v1
	v_and_b32_e32 v5, 0xe00, v5
	v_or3_b32 v2, v5, v2, v3
	s_waitcnt vmcnt(0)
	ds_write_b128 v2, v[10:13]
.LBB912_11:
	s_or_b64 exec, exec, s[12:13]
	s_waitcnt lgkmcnt(0)
	s_mul_i32 s4, s4, s46
	s_add_u32 s8, s8, s4
	s_addc_u32 s9, s9, 0
	v_mov_b32_e32 v31, 0
	v_mov_b64_e32 v[2:3], s[8:9]
	v_and_b32_e32 v12, 48, v0
	s_waitcnt vmcnt(3)
	v_mad_i64_i32 v[10:11], s[8:9], v4, s45, v[2:3]
	v_lshlrev_b32_e32 v4, 4, v28
	v_mov_b32_e32 v5, v31
	v_lshlrev_b32_e32 v30, 5, v12
	v_lshl_add_u64 v[10:11], v[10:11], 0, v[4:5]
	v_lshl_add_u64 v[10:11], v[10:11], 0, v[30:31]
	s_load_dword s29, s[0:1], 0x98
	s_load_dwordx4 s[40:43], s[0:1], 0x80
	s_waitcnt lgkmcnt(0)
	s_barrier
	global_load_dwordx4 v[14:17], v[10:11], off
	s_waitcnt vmcnt(3)
	v_mad_i64_i32 v[8:9], s[8:9], v8, s45, v[2:3]
	s_ashr_i32 s8, s5, 31
	v_or_b32_e32 v12, s5, v12
	s_lshr_b32 s12, s8, 27
	v_add_u32_e32 v10, s12, v12
	v_ashrrev_i32_e32 v10, 5, v10
	v_mov_b32_e32 v33, s18
	v_cmp_gt_i32_e32 vcc, s33, v12
	v_or_b32_e32 v32, 64, v12
	v_or_b32_e32 v34, 0x80, v12
	v_cndmask_b32_e32 v10, v33, v10, vcc
	v_ashrrev_i32_e32 v11, 31, v10
	v_lshl_add_u64 v[10:11], v[10:11], 2, s[6:7]
	global_load_dword v50, v[10:11], off
	v_or_b32_e32 v10, 0x100, v4
	v_mov_b32_e32 v11, v31
	v_lshl_add_u64 v[8:9], v[8:9], 0, v[10:11]
	v_lshl_add_u64 v[8:9], v[8:9], 0, v[30:31]
	global_load_dwordx4 v[18:21], v[8:9], off
	v_mul_lo_u16_e32 v8, 52, v28
	v_mov_b32_e32 v9, 5
	v_mul_lo_u16_sdwa v8, v8, v9 dst_sel:DWORD dst_unused:UNUSED_PAD src0_sel:BYTE_1 src1_sel:DWORD
	v_sub_u16_e32 v8, v28, v8
	v_or_b32_e32 v35, 0xc0, v12
	v_lshlrev_b32_sdwa v12, v9, v8 dst_sel:DWORD dst_unused:UNUSED_PAD src0_sel:DWORD src1_sel:BYTE_0
	s_waitcnt vmcnt(4)
	v_mad_i64_i32 v[8:9], s[8:9], v7, s45, v[2:3]
	v_lshl_add_u64 v[4:5], v[8:9], 0, v[4:5]
	v_lshl_add_u64 v[4:5], v[4:5], 0, v[30:31]
	global_load_dwordx4 v[22:25], v[4:5], off
	v_lshl_add_u32 v4, v42, 9, v12
	s_waitcnt vmcnt(4)
	v_mad_i64_i32 v[12:13], s[8:9], v6, s45, v[2:3]
	v_add_u32_e32 v36, s12, v32
	v_add_u32_e32 v37, s12, v34
	v_lshl_add_u64 v[10:11], v[12:13], 0, v[10:11]
	v_ashrrev_i32_e32 v12, 5, v36
	v_cmp_gt_i32_e32 vcc, s33, v32
	v_ashrrev_i32_e32 v13, 5, v37
	v_lshl_add_u64 v[10:11], v[10:11], 0, v[30:31]
	v_cndmask_b32_e32 v32, v33, v12, vcc
	v_cmp_gt_i32_e32 vcc, s33, v34
	ds_read_b128 v[6:9], v4
	ds_read_b128 v[2:5], v4 offset:16
	v_cndmask_b32_e32 v34, v33, v13, vcc
	global_load_dwordx4 v[10:13], v[10:11], off
	v_add_u32_e32 v38, s12, v35
	s_add_u32 s8, s10, s4
	v_ashrrev_i32_e32 v36, 5, v38
	v_cmp_gt_i32_e32 vcc, s33, v35
	v_lshlrev_b32_e32 v27, 5, v28
	s_addc_u32 s9, s11, 0
	v_cndmask_b32_e32 v36, v33, v36, vcc
	v_and_b32_e32 v30, 16, v0
	v_ashrrev_i32_e32 v37, 31, v36
	v_lshl_add_u64 v[38:39], s[8:9], 0, v[30:31]
	v_lshl_or_b32 v30, v29, 9, v27
	v_lshl_add_u64 v[40:41], v[36:37], 2, s[6:7]
	v_lshl_add_u64 v[30:31], v[38:39], 0, v[30:31]
	v_ashrrev_i32_e32 v33, 31, v32
	v_ashrrev_i32_e32 v35, 31, v34
	v_lshl_add_u64 v[32:33], v[32:33], 2, s[6:7]
	v_lshl_add_u64 v[34:35], v[34:35], 2, s[6:7]
	s_load_dword s13, s[0:1], 0x1c
	s_mov_b32 s44, 0xff7fffff
	s_waitcnt vmcnt(4)
	v_cvt_pk_f32_fp8_e32 v[36:37], v14
	v_cvt_pk_f32_fp8_sdwa v[38:39], v14 src0_sel:WORD_1
	v_cvt_pk_f32_fp8_e32 v[44:45], v15
	v_cvt_pk_f32_fp8_sdwa v[14:15], v15 src0_sel:WORD_1
	v_cvt_pkrtz_f16_f32 v36, v36, v37
	v_cvt_pkrtz_f16_f32 v37, v38, v39
	;; [unrolled: 1-line block ×4, first 2 shown]
	v_cvt_pk_f32_fp8_e32 v[46:47], v16
	v_cvt_pk_f32_fp8_sdwa v[48:49], v16 src0_sel:WORD_1
	s_waitcnt lgkmcnt(0)
	v_mfma_f32_16x16x16_f16 v[36:39], v[36:37], v[6:7], 0
	global_load_dword v16, v[32:33], off
	s_nop 0
	global_load_dword v34, v[34:35], off
	s_nop 0
	global_load_dword v35, v[40:41], off
	v_cvt_pkrtz_f16_f32 v32, v46, v47
	v_cvt_pkrtz_f16_f32 v33, v48, v49
	v_mfma_f32_16x16x16_f16 v[36:39], v[44:45], v[8:9], v[36:39]
	v_cvt_pk_f32_fp8_e32 v[40:41], v17
	v_cvt_pk_f32_fp8_sdwa v[44:45], v17 src0_sel:WORD_1
	s_waitcnt vmcnt(6)
	v_mad_i64_i32 v[14:15], s[6:7], v50, s45, v[30:31]
	v_cvt_pkrtz_f16_f32 v40, v40, v41
	v_cvt_pkrtz_f16_f32 v41, v44, v45
	v_mfma_f32_16x16x16_f16 v[36:39], v[32:33], v[2:3], v[36:39]
	s_waitcnt vmcnt(5)
	v_cvt_pk_f32_fp8_e32 v[32:33], v18
	v_cvt_pk_f32_fp8_sdwa v[44:45], v18 src0_sel:WORD_1
	v_cvt_pk_f32_fp8_e32 v[48:49], v20
	v_mfma_f32_16x16x16_f16 v[36:39], v[40:41], v[4:5], v[36:39]
	v_cvt_pk_f32_fp8_e32 v[40:41], v19
	v_cvt_pkrtz_f16_f32 v32, v32, v33
	v_cvt_pkrtz_f16_f32 v33, v44, v45
	v_cvt_pk_f32_fp8_sdwa v[18:19], v19 src0_sel:WORD_1
	v_cvt_pkrtz_f16_f32 v40, v40, v41
	v_cvt_pk_f32_fp8_sdwa v[50:51], v20 src0_sel:WORD_1
	v_mfma_f32_16x16x16_f16 v[44:47], v[32:33], v[6:7], 0
	v_cvt_pkrtz_f16_f32 v41, v18, v19
	v_cvt_pkrtz_f16_f32 v32, v48, v49
	;; [unrolled: 1-line block ×3, first 2 shown]
	v_cvt_pk_f32_fp8_e32 v[48:49], v21
	v_cvt_pk_f32_fp8_sdwa v[50:51], v21 src0_sel:WORD_1
	v_mfma_f32_16x16x16_f16 v[18:21], v[40:41], v[8:9], v[44:47]
	s_load_dword s4, s[40:41], 0x0
	v_cvt_pkrtz_f16_f32 v40, v48, v49
	v_cvt_pkrtz_f16_f32 v41, v50, v51
	v_mfma_f32_16x16x16_f16 v[18:21], v[32:33], v[2:3], v[18:21]
	s_waitcnt vmcnt(4)
	v_cvt_pk_f32_fp8_e32 v[32:33], v22
	v_cvt_pk_f32_fp8_sdwa v[48:49], v22 src0_sel:WORD_1
	v_mov_b32_e32 v17, s13
	v_mfma_f32_16x16x16_f16 v[44:47], v[40:41], v[4:5], v[18:21]
	v_cvt_pk_f32_fp8_e32 v[40:41], v24
	s_waitcnt lgkmcnt(0)
	v_mul_f32_e32 v52, s4, v17
	v_cvt_pkrtz_f16_f32 v40, v40, v41
	v_cvt_pk_f32_fp8_e32 v[18:19], v23
	v_cvt_pkrtz_f16_f32 v20, v32, v33
	v_cvt_pkrtz_f16_f32 v21, v48, v49
	v_cvt_pk_f32_fp8_sdwa v[22:23], v23 src0_sel:WORD_1
	v_cvt_pkrtz_f16_f32 v32, v18, v19
	v_cvt_pk_f32_fp8_sdwa v[48:49], v24 src0_sel:WORD_1
	v_mfma_f32_16x16x16_f16 v[18:21], v[20:21], v[6:7], 0
	v_cvt_pkrtz_f16_f32 v33, v22, v23
	v_cvt_pkrtz_f16_f32 v41, v48, v49
	v_cvt_pk_f32_fp8_e32 v[48:49], v25
	v_cvt_pk_f32_fp8_sdwa v[24:25], v25 src0_sel:WORD_1
	v_mfma_f32_16x16x16_f16 v[18:21], v[32:33], v[8:9], v[18:21]
	v_cvt_pkrtz_f16_f32 v32, v48, v49
	v_cvt_pkrtz_f16_f32 v33, v24, v25
	v_pk_mul_f32 v[22:23], v[52:53], v[38:39] op_sel_hi:[0,1]
	v_mfma_f32_16x16x16_f16 v[38:41], v[40:41], v[2:3], v[18:21]
	s_waitcnt vmcnt(3)
	v_cvt_pk_f32_fp8_sdwa v[24:25], v10 src0_sel:WORD_1
	s_nop 0
	v_cvt_pk_f32_fp8_e32 v[18:19], v10
	v_mfma_f32_16x16x16_f16 v[48:51], v[32:33], v[4:5], v[38:41]
	v_cvt_pk_f32_fp8_e32 v[32:33], v11
	v_cvt_pk_f32_fp8_sdwa v[10:11], v11 src0_sel:WORD_1
	v_cvt_pkrtz_f16_f32 v18, v18, v19
	v_cvt_pkrtz_f16_f32 v19, v24, v25
	;; [unrolled: 1-line block ×3, first 2 shown]
	v_cvt_pk_f32_fp8_e32 v[32:33], v12
	v_cvt_pk_f32_fp8_sdwa v[40:41], v12 src0_sel:WORD_1
	v_cvt_pkrtz_f16_f32 v25, v10, v11
	v_pk_mul_f32 v[20:21], v[52:53], v[36:37] op_sel_hi:[0,1]
	v_mfma_f32_16x16x16_f16 v[36:39], v[18:19], v[6:7], 0
	v_cvt_pkrtz_f16_f32 v10, v32, v33
	v_cvt_pkrtz_f16_f32 v11, v40, v41
	v_cvt_pk_f32_fp8_e32 v[18:19], v13
	v_cvt_pk_f32_fp8_sdwa v[12:13], v13 src0_sel:WORD_1
	v_mfma_f32_16x16x16_f16 v[6:9], v[24:25], v[8:9], v[36:39]
	v_pk_mul_f32 v[40:41], v[52:53], v[44:45] op_sel_hi:[0,1]
	v_cvt_pkrtz_f16_f32 v18, v18, v19
	v_cvt_pkrtz_f16_f32 v19, v12, v13
	v_mfma_f32_16x16x16_f16 v[6:9], v[10:11], v[2:3], v[6:9]
	v_pk_mul_f32 v[36:37], v[52:53], v[46:47] op_sel_hi:[0,1]
	v_pk_mul_f32 v[38:39], v[52:53], v[48:49] op_sel_hi:[0,1]
	;; [unrolled: 1-line block ×3, first 2 shown]
	v_mfma_f32_16x16x16_f16 v[2:5], v[18:19], v[4:5], v[6:9]
	s_nop 6
	v_pk_mul_f32 v[24:25], v[52:53], v[2:3] op_sel_hi:[0,1]
	v_and_b32_e32 v2, 0xc0, v0
	v_add_u32_e32 v2, s5, v2
	v_lshl_or_b32 v2, v42, 2, v2
	v_pk_mul_f32 v[18:19], v[52:53], v[4:5] op_sel_hi:[0,1]
	v_or_b32_e32 v5, 1, v2
	v_mov_b32_e32 v3, 0xff7fffff
	v_cmp_gt_i32_e64 s[4:5], s33, v2
	v_cmp_gt_i32_e64 s[34:35], s33, v5
	v_or_b32_e32 v6, 3, v2
	v_cndmask_b32_e64 v4, v3, v20, s[4:5]
	v_cndmask_b32_e64 v5, v3, v21, s[34:35]
	v_max3_f32 v4, v4, s44, v5
	v_or_b32_e32 v5, 2, v2
	v_cmp_gt_i32_e64 s[36:37], s33, v5
	v_cmp_gt_i32_e64 s[38:39], s33, v6
	s_nop 0
	v_cndmask_b32_e64 v5, v3, v22, s[36:37]
	v_cndmask_b32_e64 v6, v3, v23, s[38:39]
	v_max3_f32 v4, v4, v5, v6
	v_or_b32_e32 v5, 16, v2
	v_or_b32_e32 v6, 17, v2
	v_cmp_gt_i32_e64 s[24:25], s33, v5
	v_cmp_gt_i32_e64 s[26:27], s33, v6
	s_nop 0
	v_cndmask_b32_e64 v5, v3, v40, s[24:25]
	v_cndmask_b32_e64 v6, v3, v41, s[26:27]
	v_max3_f32 v4, v4, v5, v6
	v_or_b32_e32 v5, 18, v2
	;; [unrolled: 8-line block ×6, first 2 shown]
	v_or_b32_e32 v2, 51, v2
	v_cmp_gt_i32_e32 vcc, s33, v5
	v_cmp_gt_i32_e64 s[6:7], s33, v2
	s_nop 0
	v_cndmask_b32_e32 v5, v3, v18, vcc
	v_cndmask_b32_e64 v2, v3, v19, s[6:7]
	v_max3_f32 v4, v4, v5, v2
	v_mbcnt_lo_u32_b32 v2, -1, 0
	v_mbcnt_hi_u32_b32 v5, -1, v2
	v_and_b32_e32 v2, 64, v5
	v_add_u32_e32 v6, 64, v2
	v_xor_b32_e32 v2, 32, v5
	v_cmp_lt_i32_e64 s[40:41], v2, v6
	s_nop 1
	v_cndmask_b32_e64 v2, v5, v2, s[40:41]
	v_lshlrev_b32_e32 v45, 2, v2
	ds_bpermute_b32 v7, v45, v4
	s_waitcnt vmcnt(2)
	v_mad_i64_i32 v[2:3], s[40:41], v16, s45, v[30:31]
	global_load_dwordx4 v[14:17], v[14:15], off
	s_nop 0
	global_load_dwordx4 v[10:13], v[2:3], off
	v_xor_b32_e32 v3, 16, v5
	v_cmp_lt_i32_e64 s[40:41], v3, v6
	s_waitcnt lgkmcnt(0)
	v_max_f32_e32 v2, v7, v7
	v_max_f32_e32 v2, v4, v2
	v_cndmask_b32_e64 v3, v5, v3, s[40:41]
	v_lshlrev_b32_e32 v48, 2, v3
	ds_bpermute_b32 v3, v48, v2
	s_waitcnt vmcnt(3)
	v_mad_i64_i32 v[46:47], s[40:41], v34, s45, v[30:31]
	s_waitcnt vmcnt(2)
	v_mad_i64_i32 v[30:31], s[40:41], v35, s45, v[30:31]
	s_waitcnt lgkmcnt(0)
	v_max_f32_e32 v3, v3, v3
	v_max_f32_e32 v44, v2, v3
	v_sub_f32_e32 v2, v20, v44
	v_mul_f32_e32 v2, 0x3fb8aa3b, v2
	v_exp_f32_e32 v20, v2
	v_sub_f32_e32 v2, v21, v44
	v_mul_f32_e32 v2, 0x3fb8aa3b, v2
	v_exp_f32_e32 v21, v2
	global_load_dwordx4 v[6:9], v[46:47], off
	global_load_dwordx4 v[2:5], v[30:31], off
	v_sub_f32_e32 v22, v22, v44
	v_mul_f32_e32 v22, 0x3fb8aa3b, v22
	v_sub_f32_e32 v23, v23, v44
	v_exp_f32_e32 v22, v22
	v_mul_f32_e32 v23, 0x3fb8aa3b, v23
	v_exp_f32_e32 v23, v23
	v_cndmask_b32_e64 v20, 0, v20, s[4:5]
	v_add_f32_e32 v30, 0, v20
	v_cndmask_b32_e64 v21, 0, v21, s[34:35]
	v_add_f32_e32 v30, v30, v21
	;; [unrolled: 2-line block ×3, first 2 shown]
	v_cndmask_b32_e64 v35, 0, v23, s[38:39]
	v_sub_f32_e32 v23, v40, v44
	v_sub_f32_e32 v30, v41, v44
	v_mul_f32_e32 v23, 0x3fb8aa3b, v23
	v_mul_f32_e32 v30, 0x3fb8aa3b, v30
	v_exp_f32_e32 v23, v23
	v_exp_f32_e32 v30, v30
	v_add_f32_e32 v31, v22, v35
	v_sub_f32_e32 v32, v32, v44
	v_cndmask_b32_e64 v22, 0, v23, s[24:25]
	v_cndmask_b32_e64 v23, 0, v30, s[26:27]
	v_sub_f32_e32 v30, v36, v44
	v_mul_f32_e32 v30, 0x3fb8aa3b, v30
	v_exp_f32_e32 v30, v30
	v_sub_f32_e32 v36, v37, v44
	v_add_f32_e32 v31, v31, v22
	v_mul_f32_e32 v36, 0x3fb8aa3b, v36
	v_exp_f32_e32 v37, v36
	v_add_f32_e32 v31, v31, v23
	v_cndmask_b32_e64 v36, 0, v30, s[20:21]
	v_add_f32_e32 v30, v31, v36
	v_sub_f32_e32 v31, v38, v44
	v_mul_f32_e32 v31, 0x3fb8aa3b, v31
	v_sub_f32_e32 v38, v39, v44
	v_exp_f32_e32 v31, v31
	v_mul_f32_e32 v38, 0x3fb8aa3b, v38
	v_exp_f32_e32 v38, v38
	v_mul_f32_e32 v32, 0x3fb8aa3b, v32
	v_sub_f32_e32 v33, v33, v44
	v_exp_f32_e32 v32, v32
	v_mul_f32_e32 v33, 0x3fb8aa3b, v33
	v_sub_f32_e32 v24, v24, v44
	v_cndmask_b32_e64 v37, 0, v37, s[22:23]
	v_exp_f32_e32 v33, v33
	v_mul_f32_e32 v24, 0x3fb8aa3b, v24
	v_sub_f32_e32 v25, v25, v44
	v_add_f32_e32 v39, v30, v37
	v_cndmask_b32_e64 v30, 0, v31, s[16:17]
	v_exp_f32_e32 v24, v24
	v_mul_f32_e32 v25, 0x3fb8aa3b, v25
	v_sub_f32_e32 v18, v18, v44
	v_add_f32_e32 v39, v39, v30
	;; [unrolled: 5-line block ×3, first 2 shown]
	v_cndmask_b32_e64 v32, 0, v32, s[12:13]
	v_exp_f32_e32 v18, v18
	v_mul_f32_e32 v19, 0x3fb8aa3b, v19
	v_add_f32_e32 v38, v38, v32
	v_cndmask_b32_e64 v33, 0, v33, s[14:15]
	v_exp_f32_e32 v19, v19
	v_add_f32_e32 v38, v38, v33
	v_cndmask_b32_e64 v24, 0, v24, s[8:9]
	v_add_f32_e32 v38, v38, v24
	v_cndmask_b32_e64 v25, 0, v25, s[10:11]
	v_add_f32_e32 v38, v38, v25
	v_cndmask_b32_e32 v18, 0, v18, vcc
	v_add_f32_e32 v38, v38, v18
	v_cndmask_b32_e64 v19, 0, v19, s[6:7]
	v_add_f32_e32 v38, v38, v19
	ds_bpermute_b32 v39, v45, v38
	v_cmp_gt_u32_e64 s[6:7], 16, v43
	s_waitcnt lgkmcnt(0)
	s_barrier
	v_add_f32_e32 v38, v38, v39
	ds_bpermute_b32 v40, v48, v38
	v_lshlrev_b32_e32 v39, 2, v28
	s_and_saveexec_b64 s[4:5], s[6:7]
	s_cbranch_execz .LBB912_13
; %bb.12:
	s_waitcnt lgkmcnt(0)
	v_add_f32_e32 v38, v38, v40
	v_lshl_or_b32 v40, v29, 6, v39
	ds_write2st64_b32 v40, v44, v38 offset1:1
.LBB912_13:
	s_or_b64 exec, exec, s[4:5]
	s_load_dword s8, s[0:1], 0x94
	s_waitcnt lgkmcnt(0)
	s_barrier
	ds_read2_b32 v[40:41], v39 offset1:16
	ds_read2_b32 v[44:45], v39 offset0:32 offset1:48
	ds_read2_b32 v[46:47], v39 offset0:64 offset1:80
	s_mul_i32 s9, s29, 5
	s_waitcnt lgkmcnt(2)
	v_max3_f32 v38, v40, s44, v41
	s_waitcnt lgkmcnt(1)
	v_max3_f32 v38, v38, v44, v45
	v_sub_f32_e32 v40, v40, v38
	v_mul_f32_e32 v40, 0x3fb8aa3b, v40
	v_exp_f32_e32 v43, v40
	v_sub_f32_e32 v40, v41, v38
	v_mul_f32_e32 v40, 0x3fb8aa3b, v40
	v_exp_f32_e32 v48, v40
	;; [unrolled: 3-line block ×3, first 2 shown]
	ds_read2_b32 v[40:41], v39 offset0:96 offset1:112
	v_sub_f32_e32 v39, v45, v38
	v_mul_f32_e32 v39, 0x3fb8aa3b, v39
	v_exp_f32_e32 v45, v39
	s_waitcnt lgkmcnt(1)
	v_fma_f32 v39, v43, v46, 0
	v_fmac_f32_e32 v39, v48, v47
	s_waitcnt lgkmcnt(0)
	v_fmac_f32_e32 v39, v44, v40
	v_fmac_f32_e32 v39, v45, v41
	v_add_f32_e32 v40, 0x358637bd, v39
	v_div_scale_f32 v41, s[4:5], v40, v40, 1.0
	v_rcp_f32_e32 v46, v41
	s_barrier
	v_fma_f32 v47, -v41, v46, 1.0
	v_fmac_f32_e32 v46, v47, v46
	v_div_scale_f32 v47, vcc, 1.0, v40, 1.0
	v_mul_f32_e32 v49, v47, v46
	v_fma_f32 v50, -v41, v49, v47
	v_fmac_f32_e32 v49, v50, v46
	v_fma_f32 v41, -v41, v49, v47
	v_div_fmas_f32 v41, v41, v46, v49
	v_cmp_eq_u32_e32 vcc, 1, v29
	v_div_fixup_f32 v40, v41, v40, 1.0
	s_nop 0
	v_cndmask_b32_e32 v41, v43, v48, vcc
	v_cmp_eq_u32_e32 vcc, 2, v29
	s_nop 1
	v_cndmask_b32_e32 v41, v41, v44, vcc
	v_cmp_eq_u32_e32 vcc, 3, v29
	s_nop 1
	v_cndmask_b32_e32 v41, v41, v45, vcc
	v_mul_f32_e32 v40, v41, v40
	v_pk_mul_f32 v[34:35], v[40:41], v[34:35] op_sel_hi:[0,1]
	v_pk_mul_f32 v[20:21], v[40:41], v[20:21] op_sel_hi:[0,1]
	v_cvt_f16_f32_e32 v41, v34
	v_cvt_f16_f32_e32 v35, v35
	;; [unrolled: 1-line block ×4, first 2 shown]
	v_cmp_gt_u32_e32 vcc, 5, v0
	v_pack_b32_f16 v35, v41, v35
	v_lshlrev_b32_e32 v41, 3, v42
	v_pack_b32_f16 v34, v20, v21
	v_pk_mul_f32 v[20:21], v[40:41], v[36:37] op_sel_hi:[0,1]
	v_pk_mul_f32 v[22:23], v[40:41], v[22:23] op_sel_hi:[0,1]
	v_cvt_f16_f32_e32 v22, v22
	v_cvt_f16_f32_e32 v23, v23
	;; [unrolled: 1-line block ×4, first 2 shown]
	v_lshlrev_b32_e32 v20, 11, v29
	v_or3_b32 v20, v20, v27, v41
	v_pack_b32_f16 v22, v22, v23
	v_pack_b32_f16 v23, v36, v21
	ds_write2st64_b64 v20, v[34:35], v[22:23] offset1:1
	v_pk_mul_f32 v[22:23], v[40:41], v[32:33] op_sel_hi:[0,1]
	v_pk_mul_f32 v[30:31], v[40:41], v[30:31] op_sel_hi:[0,1]
	v_cvt_f16_f32_e32 v21, v30
	v_cvt_f16_f32_e32 v29, v31
	;; [unrolled: 1-line block ×4, first 2 shown]
	v_pk_mul_f32 v[18:19], v[40:41], v[18:19] op_sel_hi:[0,1]
	v_pk_mul_f32 v[22:23], v[40:41], v[24:25] op_sel_hi:[0,1]
	v_cvt_f16_f32_e32 v22, v22
	v_cvt_f16_f32_e32 v23, v23
	;; [unrolled: 1-line block ×4, first 2 shown]
	v_pack_b32_f16 v18, v21, v29
	v_pack_b32_f16 v19, v30, v31
	;; [unrolled: 1-line block ×4, first 2 shown]
	ds_write2st64_b64 v20, v[18:19], v[22:23] offset0:2 offset1:3
	s_and_saveexec_b64 s[4:5], vcc
	s_cbranch_execz .LBB912_15
; %bb.14:
	s_mov_b32 s49, 0
	v_mov_b32_e32 v29, 0
	v_lshl_add_u64 v[18:19], s[48:49], 0, v[28:29]
	v_mov_b32_e32 v21, s9
	v_mad_u64_u32 v[18:19], s[10:11], s2, v21, v[18:19]
	s_mul_i32 s3, s3, s9
	v_mov_b32_e32 v28, s28
	s_load_dwordx4 s[12:15], s[0:1], 0x58
	v_add_u32_e32 v21, s3, v19
	v_mad_u64_u32 v[18:19], s[10:11], v18, s8, v[28:29]
	v_mov_b32_e32 v22, v19
	v_mad_u64_u32 v[22:23], s[10:11], v21, s8, v[22:23]
	v_mov_b32_e32 v19, v22
	v_lshlrev_b64 v[18:19], 2, v[18:19]
	s_waitcnt lgkmcnt(0)
	v_lshl_add_u64 v[22:23], s[14:15], 0, v[18:19]
	v_lshl_add_u64 v[18:19], s[12:13], 0, v[18:19]
	global_store_dword v[22:23], v38, off
	global_store_dword v[18:19], v39, off
.LBB912_15:
	s_or_b64 exec, exec, s[4:5]
	s_waitcnt vmcnt(3)
	v_cvt_pk_f32_fp8_e32 v[18:19], v14
	v_cvt_pk_f32_fp8_sdwa v[22:23], v14 src0_sel:WORD_1
	v_cvt_pk_f32_fp8_e32 v[24:25], v15
	v_lshl_or_b32 v14, v42, 9, v27
	s_waitcnt lgkmcnt(0)
	s_barrier
	v_cvt_pkrtz_f16_f32 v18, v18, v19
	v_cvt_pkrtz_f16_f32 v19, v22, v23
	v_cvt_pk_f32_fp8_sdwa v[28:29], v15 src0_sel:WORD_1
	v_cvt_pkrtz_f16_f32 v36, v24, v25
	ds_read_b128 v[22:25], v14
	v_cvt_pk_f32_fp8_e32 v[38:39], v16
	v_cvt_pkrtz_f16_f32 v37, v28, v29
	ds_read_b128 v[28:31], v14 offset:16
	v_cvt_pk_f32_fp8_sdwa v[40:41], v16 src0_sel:WORD_1
	s_waitcnt lgkmcnt(1)
	v_mfma_f32_16x16x16_f16 v[32:35], v[18:19], v[22:23], 0
	v_cvt_pkrtz_f16_f32 v18, v38, v39
	v_cvt_pk_f32_fp8_e32 v[38:39], v17
	v_cvt_pkrtz_f16_f32 v19, v40, v41
	v_mfma_f32_16x16x16_f16 v[22:25], v[36:37], v[24:25], v[32:35]
	s_waitcnt vmcnt(2)
	v_cvt_pk_f32_fp8_sdwa v[36:37], v12 src0_sel:WORD_1
	s_load_dword s4, s[42:43], 0x0
	v_cmp_gt_u32_e32 vcc, 64, v0
	v_cvt_pk_f32_fp8_sdwa v[32:33], v17 src0_sel:WORD_1
	v_cvt_pkrtz_f16_f32 v34, v38, v39
	s_waitcnt lgkmcnt(0)
	v_mfma_f32_16x16x16_f16 v[16:19], v[18:19], v[28:29], v[22:25]
	v_cvt_pk_f32_fp8_e32 v[28:29], v11
	v_cvt_pkrtz_f16_f32 v35, v32, v33
	s_mov_b32 s3, 0
	v_cvt_pk_f32_fp8_e32 v[22:23], v10
	v_cvt_pk_f32_fp8_sdwa v[24:25], v10 src0_sel:WORD_1
	v_mfma_f32_16x16x16_f16 v[16:19], v[34:35], v[30:31], v[16:19]
	v_cvt_pkrtz_f16_f32 v10, v22, v23
	v_cvt_pk_f32_fp8_sdwa v[30:31], v11 src0_sel:WORD_1
	v_cvt_pkrtz_f16_f32 v11, v24, v25
	ds_read_b128 v[22:25], v14 offset:2048
	v_cvt_pkrtz_f16_f32 v32, v28, v29
	v_cvt_pkrtz_f16_f32 v33, v30, v31
	ds_read_b128 v[28:31], v14 offset:2064
	v_cvt_pk_f32_fp8_e32 v[34:35], v12
	s_waitcnt lgkmcnt(1)
	v_mfma_f32_16x16x16_f16 v[16:19], v[10:11], v[22:23], v[16:19]
	v_cvt_pkrtz_f16_f32 v11, v36, v37
	v_cvt_pk_f32_fp8_e32 v[22:23], v13
	v_cvt_pkrtz_f16_f32 v10, v34, v35
	v_mfma_f32_16x16x16_f16 v[16:19], v[32:33], v[24:25], v[16:19]
	v_cvt_pk_f32_fp8_sdwa v[24:25], v13 src0_sel:WORD_1
	v_cvt_pkrtz_f16_f32 v22, v22, v23
	s_waitcnt vmcnt(1)
	v_cvt_pk_f32_fp8_sdwa v[32:33], v8 src0_sel:WORD_1
	s_waitcnt lgkmcnt(0)
	v_mfma_f32_16x16x16_f16 v[10:13], v[10:11], v[28:29], v[16:19]
	v_cvt_pkrtz_f16_f32 v23, v24, v25
	v_cvt_pk_f32_fp8_sdwa v[24:25], v7 src0_sel:WORD_1
	v_mov_b32_e32 v27, 0
	v_cvt_pk_f32_fp8_e32 v[16:17], v6
	v_cvt_pk_f32_fp8_sdwa v[18:19], v6 src0_sel:WORD_1
	v_mfma_f32_16x16x16_f16 v[10:13], v[22:23], v[30:31], v[10:13]
	v_cvt_pk_f32_fp8_e32 v[22:23], v7
	v_cvt_pkrtz_f16_f32 v6, v16, v17
	v_cvt_pkrtz_f16_f32 v7, v18, v19
	ds_read_b128 v[16:19], v14 offset:4096
	v_cvt_pkrtz_f16_f32 v28, v22, v23
	v_cvt_pkrtz_f16_f32 v29, v24, v25
	ds_read_b128 v[22:25], v14 offset:4112
	v_cvt_pk_f32_fp8_e32 v[30:31], v8
	s_waitcnt lgkmcnt(1)
	v_mfma_f32_16x16x16_f16 v[10:13], v[6:7], v[16:17], v[10:13]
	v_cvt_pkrtz_f16_f32 v7, v32, v33
	v_cvt_pk_f32_fp8_e32 v[16:17], v9
	v_cvt_pkrtz_f16_f32 v6, v30, v31
	v_mfma_f32_16x16x16_f16 v[10:13], v[28:29], v[18:19], v[10:13]
	v_cvt_pk_f32_fp8_sdwa v[18:19], v9 src0_sel:WORD_1
	v_cvt_pkrtz_f16_f32 v16, v16, v17
	v_cvt_pkrtz_f16_f32 v17, v18, v19
	s_waitcnt lgkmcnt(0)
	v_mfma_f32_16x16x16_f16 v[6:9], v[6:7], v[22:23], v[10:13]
	s_waitcnt vmcnt(0)
	v_cvt_pk_f32_fp8_sdwa v[18:19], v3 src0_sel:WORD_1
	s_nop 0
	v_cvt_pkrtz_f16_f32 v23, v18, v19
	v_cvt_pk_f32_fp8_e32 v[10:11], v2
	v_cvt_pk_f32_fp8_sdwa v[12:13], v2 src0_sel:WORD_1
	v_mfma_f32_16x16x16_f16 v[6:9], v[16:17], v[24:25], v[6:9]
	v_cvt_pk_f32_fp8_e32 v[16:17], v3
	v_cvt_pkrtz_f16_f32 v2, v10, v11
	v_cvt_pkrtz_f16_f32 v3, v12, v13
	ds_read_b128 v[10:13], v14 offset:6144
	v_cvt_pkrtz_f16_f32 v22, v16, v17
	v_cvt_pk_f32_fp8_e32 v[18:19], v4
	v_cvt_pk_f32_fp8_sdwa v[24:25], v4 src0_sel:WORD_1
	s_waitcnt lgkmcnt(0)
	v_mfma_f32_16x16x16_f16 v[6:9], v[2:3], v[10:11], v[6:9]
	ds_read_b128 v[14:17], v14 offset:6160
	v_cvt_pkrtz_f16_f32 v2, v18, v19
	v_cvt_pkrtz_f16_f32 v3, v24, v25
	v_cvt_pk_f32_fp8_e32 v[10:11], v5
	v_mfma_f32_16x16x16_f16 v[6:9], v[22:23], v[12:13], v[6:9]
	v_cvt_pk_f32_fp8_sdwa v[12:13], v5 src0_sel:WORD_1
	s_waitcnt lgkmcnt(0)
	v_cvt_pkrtz_f16_f32 v10, v10, v11
	v_mfma_f32_16x16x16_f16 v[2:5], v[2:3], v[14:15], v[6:9]
	v_cvt_pkrtz_f16_f32 v11, v12, v13
	s_barrier
	s_nop 0
	v_mfma_f32_16x16x16_f16 v[2:5], v[10:11], v[16:17], v[2:5]
	s_nop 6
	v_pk_mul_f32 v[4:5], v[4:5], s[4:5] op_sel_hi:[1,0]
	v_pk_mul_f32 v[2:3], v[2:3], s[4:5] op_sel_hi:[1,0]
	v_cvt_f16_f32_e32 v4, v4
	v_cvt_f16_f32_e32 v2, v2
	;; [unrolled: 1-line block ×4, first 2 shown]
	s_and_b64 s[4:5], vcc, s[30:31]
	v_pack_b32_f16 v2, v2, v3
	v_pack_b32_f16 v3, v4, v5
	ds_write_b64 v20, v[2:3]
	s_waitcnt lgkmcnt(0)
	s_barrier
	s_and_saveexec_b64 s[10:11], s[4:5]
	s_cbranch_execz .LBB912_18
; %bb.16:
	s_load_dwordx2 s[4:5], s[0:1], 0x68
	s_lshl_b32 s0, s8, 6
	s_mul_i32 s1, s9, s2
	s_mul_hi_u32 s9, s1, s0
	s_mul_i32 s8, s1, s0
	v_lshlrev_b32_e32 v0, 10, v0
	s_lshl_b64 s[8:9], s[8:9], 1
	v_and_b32_e32 v0, 0x1800, v0
	v_lshlrev_b32_e32 v2, 5, v42
	v_and_b32_e32 v1, 16, v1
	s_waitcnt lgkmcnt(0)
	s_add_u32 s1, s4, s8
	v_or3_b32 v2, v0, v2, v1
	s_addc_u32 s4, s5, s9
	s_lshl_b32 s2, s28, 6
	s_lshl_b64 s[2:3], s[2:3], 1
	ds_read_b128 v[4:7], v2
	s_add_u32 s2, s1, s2
	s_addc_u32 s3, s4, s3
	v_add_u32_e32 v3, s48, v42
	v_lshl_add_u64 v[0:1], s[2:3], 0, v[26:27]
	v_mad_u64_u32 v[8:9], s[2:3], v3, s0, 0
	v_lshl_add_u64 v[8:9], v[8:9], 1, v[0:1]
	s_waitcnt lgkmcnt(0)
	global_store_dwordx4 v[8:9], v[4:7], off
	s_and_b64 exec, exec, s[6:7]
	s_cbranch_execz .LBB912_18
; %bb.17:
	ds_read_b128 v[2:5], v2 offset:128
	v_add3_u32 v6, s48, v42, 4
	v_mad_u64_u32 v[6:7], s[0:1], v6, s0, 0
	v_lshl_add_u64 v[0:1], v[6:7], 1, v[0:1]
	s_waitcnt lgkmcnt(0)
	global_store_dwordx4 v[0:1], v[2:5], off
.LBB912_18:
	s_endpgm
	.section	.rodata,"a",@progbits
	.p2align	6, 0x0
	.amdhsa_kernel _Z39paged_attention_ll4mi_QKV_mfma16_kernelIDF16_hLN4vllm18Fp8KVCacheDataTypeE1EDF16_Li32ELi64ELi256ELb0ELi5EEvPKT_PKT0_S7_ifPKiS9_S9_iPKfiiiPfSC_PS2_PT2_iSB_SB_
		.amdhsa_group_segment_fixed_size 8192
		.amdhsa_private_segment_fixed_size 0
		.amdhsa_kernarg_size 400
		.amdhsa_user_sgpr_count 2
		.amdhsa_user_sgpr_dispatch_ptr 0
		.amdhsa_user_sgpr_queue_ptr 0
		.amdhsa_user_sgpr_kernarg_segment_ptr 1
		.amdhsa_user_sgpr_dispatch_id 0
		.amdhsa_user_sgpr_kernarg_preload_length 0
		.amdhsa_user_sgpr_kernarg_preload_offset 0
		.amdhsa_user_sgpr_private_segment_size 0
		.amdhsa_uses_dynamic_stack 0
		.amdhsa_enable_private_segment 0
		.amdhsa_system_sgpr_workgroup_id_x 1
		.amdhsa_system_sgpr_workgroup_id_y 1
		.amdhsa_system_sgpr_workgroup_id_z 1
		.amdhsa_system_sgpr_workgroup_info 0
		.amdhsa_system_vgpr_workitem_id 0
		.amdhsa_next_free_vgpr 54
		.amdhsa_next_free_sgpr 50
		.amdhsa_accum_offset 56
		.amdhsa_reserve_vcc 1
		.amdhsa_float_round_mode_32 0
		.amdhsa_float_round_mode_16_64 0
		.amdhsa_float_denorm_mode_32 3
		.amdhsa_float_denorm_mode_16_64 3
		.amdhsa_dx10_clamp 1
		.amdhsa_ieee_mode 1
		.amdhsa_fp16_overflow 0
		.amdhsa_tg_split 0
		.amdhsa_exception_fp_ieee_invalid_op 0
		.amdhsa_exception_fp_denorm_src 0
		.amdhsa_exception_fp_ieee_div_zero 0
		.amdhsa_exception_fp_ieee_overflow 0
		.amdhsa_exception_fp_ieee_underflow 0
		.amdhsa_exception_fp_ieee_inexact 0
		.amdhsa_exception_int_div_zero 0
	.end_amdhsa_kernel
	.section	.text._Z39paged_attention_ll4mi_QKV_mfma16_kernelIDF16_hLN4vllm18Fp8KVCacheDataTypeE1EDF16_Li32ELi64ELi256ELb0ELi5EEvPKT_PKT0_S7_ifPKiS9_S9_iPKfiiiPfSC_PS2_PT2_iSB_SB_,"axG",@progbits,_Z39paged_attention_ll4mi_QKV_mfma16_kernelIDF16_hLN4vllm18Fp8KVCacheDataTypeE1EDF16_Li32ELi64ELi256ELb0ELi5EEvPKT_PKT0_S7_ifPKiS9_S9_iPKfiiiPfSC_PS2_PT2_iSB_SB_,comdat
.Lfunc_end912:
	.size	_Z39paged_attention_ll4mi_QKV_mfma16_kernelIDF16_hLN4vllm18Fp8KVCacheDataTypeE1EDF16_Li32ELi64ELi256ELb0ELi5EEvPKT_PKT0_S7_ifPKiS9_S9_iPKfiiiPfSC_PS2_PT2_iSB_SB_, .Lfunc_end912-_Z39paged_attention_ll4mi_QKV_mfma16_kernelIDF16_hLN4vllm18Fp8KVCacheDataTypeE1EDF16_Li32ELi64ELi256ELb0ELi5EEvPKT_PKT0_S7_ifPKiS9_S9_iPKfiiiPfSC_PS2_PT2_iSB_SB_
                                        ; -- End function
	.section	.AMDGPU.csdata,"",@progbits
; Kernel info:
; codeLenInByte = 4676
; NumSgprs: 56
; NumVgprs: 54
; NumAgprs: 0
; TotalNumVgprs: 54
; ScratchSize: 0
; MemoryBound: 0
; FloatMode: 240
; IeeeMode: 1
; LDSByteSize: 8192 bytes/workgroup (compile time only)
; SGPRBlocks: 6
; VGPRBlocks: 6
; NumSGPRsForWavesPerEU: 56
; NumVGPRsForWavesPerEU: 54
; AccumOffset: 56
; Occupancy: 8
; WaveLimiterHint : 1
; COMPUTE_PGM_RSRC2:SCRATCH_EN: 0
; COMPUTE_PGM_RSRC2:USER_SGPR: 2
; COMPUTE_PGM_RSRC2:TRAP_HANDLER: 0
; COMPUTE_PGM_RSRC2:TGID_X_EN: 1
; COMPUTE_PGM_RSRC2:TGID_Y_EN: 1
; COMPUTE_PGM_RSRC2:TGID_Z_EN: 1
; COMPUTE_PGM_RSRC2:TIDIG_COMP_CNT: 0
; COMPUTE_PGM_RSRC3_GFX90A:ACCUM_OFFSET: 13
; COMPUTE_PGM_RSRC3_GFX90A:TG_SPLIT: 0
	.section	.text._Z39paged_attention_ll4mi_QKV_mfma16_kernelIDF16_hLN4vllm18Fp8KVCacheDataTypeE1EDF16_Li32ELi64ELi256ELb0ELi6EEvPKT_PKT0_S7_ifPKiS9_S9_iPKfiiiPfSC_PS2_PT2_iSB_SB_,"axG",@progbits,_Z39paged_attention_ll4mi_QKV_mfma16_kernelIDF16_hLN4vllm18Fp8KVCacheDataTypeE1EDF16_Li32ELi64ELi256ELb0ELi6EEvPKT_PKT0_S7_ifPKiS9_S9_iPKfiiiPfSC_PS2_PT2_iSB_SB_,comdat
	.protected	_Z39paged_attention_ll4mi_QKV_mfma16_kernelIDF16_hLN4vllm18Fp8KVCacheDataTypeE1EDF16_Li32ELi64ELi256ELb0ELi6EEvPKT_PKT0_S7_ifPKiS9_S9_iPKfiiiPfSC_PS2_PT2_iSB_SB_ ; -- Begin function _Z39paged_attention_ll4mi_QKV_mfma16_kernelIDF16_hLN4vllm18Fp8KVCacheDataTypeE1EDF16_Li32ELi64ELi256ELb0ELi6EEvPKT_PKT0_S7_ifPKiS9_S9_iPKfiiiPfSC_PS2_PT2_iSB_SB_
	.globl	_Z39paged_attention_ll4mi_QKV_mfma16_kernelIDF16_hLN4vllm18Fp8KVCacheDataTypeE1EDF16_Li32ELi64ELi256ELb0ELi6EEvPKT_PKT0_S7_ifPKiS9_S9_iPKfiiiPfSC_PS2_PT2_iSB_SB_
	.p2align	8
	.type	_Z39paged_attention_ll4mi_QKV_mfma16_kernelIDF16_hLN4vllm18Fp8KVCacheDataTypeE1EDF16_Li32ELi64ELi256ELb0ELi6EEvPKT_PKT0_S7_ifPKiS9_S9_iPKfiiiPfSC_PS2_PT2_iSB_SB_,@function
_Z39paged_attention_ll4mi_QKV_mfma16_kernelIDF16_hLN4vllm18Fp8KVCacheDataTypeE1EDF16_Li32ELi64ELi256ELb0ELi6EEvPKT_PKT0_S7_ifPKiS9_S9_iPKfiiiPfSC_PS2_PT2_iSB_SB_: ; @_Z39paged_attention_ll4mi_QKV_mfma16_kernelIDF16_hLN4vllm18Fp8KVCacheDataTypeE1EDF16_Li32ELi64ELi256ELb0ELi6EEvPKT_PKT0_S7_ifPKiS9_S9_iPKfiiiPfSC_PS2_PT2_iSB_SB_
; %bb.0:
	s_load_dwordx2 s[12:13], s[0:1], 0x30
	s_mov_b32 s28, s3
	s_mov_b64 s[6:7], 0
	s_waitcnt lgkmcnt(0)
	s_cmp_lg_u64 s[12:13], 0
	s_cselect_b64 s[14:15], -1, 0
	s_and_b64 vcc, exec, s[14:15]
	s_cbranch_vccz .LBB913_7
; %bb.1:
	s_add_i32 s8, s2, 1
	s_mov_b32 s9, 0
	s_lshl_b64 s[10:11], s[8:9], 2
	s_add_u32 s10, s12, s10
	s_mov_b32 s3, s9
	s_addc_u32 s11, s13, s11
	s_lshl_b64 s[8:9], s[2:3], 2
	s_add_u32 s8, s12, s8
	s_addc_u32 s9, s13, s9
	s_load_dword s5, s[10:11], 0x0
	s_load_dword s16, s[8:9], 0x0
	s_waitcnt lgkmcnt(0)
	s_sub_i32 s5, s5, s16
	s_cmp_eq_u32 s5, 1
	s_cselect_b64 s[8:9], -1, 0
	s_andn2_b64 vcc, exec, s[6:7]
	s_cbranch_vccnz .LBB913_3
.LBB913_2:
	s_mov_b32 s3, 0
	s_mov_b64 s[8:9], -1
.LBB913_3:
	s_andn2_b64 vcc, exec, s[8:9]
	s_cbranch_vccnz .LBB913_18
; %bb.4:
	s_load_dwordx2 s[6:7], s[0:1], 0x28
	s_lshl_b64 s[16:17], s[2:3], 2
	s_waitcnt lgkmcnt(0)
	s_add_u32 s6, s6, s16
	s_addc_u32 s7, s7, s17
	s_load_dword s33, s[6:7], 0x0
	s_lshl_b32 s5, s28, 8
	s_waitcnt lgkmcnt(0)
	s_cmp_ge_i32 s5, s33
	s_cbranch_scc1 .LBB913_18
; %bb.5:
	s_add_i32 s9, s33, 31
	s_load_dwordx2 s[6:7], s[0:1], 0x20
	s_load_dword s8, s[0:1], 0x38
	s_ashr_i32 s10, s9, 31
	v_and_b32_e32 v1, 0xcf, v0
	s_lshr_b32 s10, s10, 27
	v_add_u32_e32 v1, s5, v1
	s_add_i32 s9, s9, s10
	v_ashrrev_i32_e32 v2, 31, v1
	s_ashr_i32 s18, s9, 5
	v_lshrrev_b32_e32 v6, 27, v2
	s_add_i32 s18, s18, -1
	v_add_u32_e32 v2, v1, v6
	v_or_b32_e32 v4, 16, v1
	s_waitcnt lgkmcnt(0)
	s_mul_i32 s8, s2, s8
	s_mov_b32 s9, 0
	v_ashrrev_i32_e32 v2, 5, v2
	v_mov_b32_e32 v7, s18
	v_cmp_gt_i32_e32 vcc, s33, v1
	v_add_u32_e32 v5, v4, v6
	s_lshl_b64 s[8:9], s[8:9], 2
	v_cndmask_b32_e32 v2, v7, v2, vcc
	v_ashrrev_i32_e32 v5, 5, v5
	v_cmp_gt_i32_e32 vcc, s33, v4
	s_add_u32 s6, s6, s8
	s_addc_u32 s7, s7, s9
	v_cndmask_b32_e32 v4, v7, v5, vcc
	v_ashrrev_i32_e32 v5, 31, v4
	v_lshl_add_u64 v[10:11], v[4:5], 2, s[6:7]
	v_or_b32_e32 v4, 32, v1
	v_add_u32_e32 v5, v4, v6
	v_ashrrev_i32_e32 v5, 5, v5
	v_cmp_gt_i32_e32 vcc, s33, v4
	v_or_b32_e32 v1, 48, v1
	v_ashrrev_i32_e32 v3, 31, v2
	v_cndmask_b32_e32 v4, v7, v5, vcc
	v_ashrrev_i32_e32 v5, 31, v4
	v_lshl_add_u64 v[12:13], v[4:5], 2, s[6:7]
	v_add_u32_e32 v4, v1, v6
	v_ashrrev_i32_e32 v4, 5, v4
	v_cmp_gt_i32_e32 vcc, s33, v1
	v_lshl_add_u64 v[2:3], v[2:3], 2, s[6:7]
	s_load_dwordx4 s[8:11], s[0:1], 0x8
	v_cndmask_b32_e32 v4, v7, v4, vcc
	v_ashrrev_i32_e32 v5, 31, v4
	v_lshl_add_u64 v[14:15], v[4:5], 2, s[6:7]
	global_load_dword v4, v[2:3], off
	global_load_dword v8, v[10:11], off
	global_load_dword v7, v[12:13], off
	global_load_dword v6, v[14:15], off
	s_andn2_b64 vcc, exec, s[14:15]
	s_cbranch_vccnz .LBB913_8
; %bb.6:
	s_add_u32 s12, s12, s16
	s_addc_u32 s13, s13, s17
	s_load_dword s14, s[12:13], 0x0
	s_branch .LBB913_9
.LBB913_7:
	s_mov_b64 s[8:9], 0
	s_branch .LBB913_2
.LBB913_8:
	s_mov_b32 s14, s2
.LBB913_9:
	s_load_dwordx4 s[44:47], s[0:1], 0x48
	v_lshrrev_b32_e32 v29, 6, v0
	v_bfe_u32 v42, v0, 4, 2
	v_lshl_or_b32 v2, v29, 2, v42
	v_and_b32_e32 v28, 15, v0
	v_lshlrev_b32_e32 v1, 3, v28
	v_cmp_gt_u32_e32 vcc, 6, v2
	v_cmp_gt_u32_e64 s[30:31], 8, v28
	v_and_b32_e32 v43, 63, v0
	s_mul_i32 s48, s4, 6
	s_and_b64 s[16:17], s[30:31], vcc
	v_lshlrev_b32_e32 v26, 1, v1
	v_lshlrev_b32_e32 v1, 4, v0
	s_and_saveexec_b64 s[12:13], s[16:17]
	s_cbranch_execz .LBB913_11
; %bb.10:
	s_load_dwordx2 s[16:17], s[0:1], 0x0
	s_waitcnt lgkmcnt(0)
	s_ashr_i32 s15, s44, 31
	s_mul_hi_u32 s19, s14, s44
	s_mul_i32 s15, s14, s15
	s_add_i32 s15, s19, s15
	s_mul_i32 s14, s14, s44
	s_lshl_b64 s[14:15], s[14:15], 1
	s_add_u32 s14, s16, s14
	v_add_lshl_u32 v10, v2, s48, 6
	s_addc_u32 s15, s17, s15
	v_ashrrev_i32_e32 v11, 31, v10
	v_lshl_add_u64 v[10:11], v[10:11], 1, s[14:15]
	v_mov_b32_e32 v27, 0
	v_lshl_add_u64 v[10:11], v[10:11], 0, v[26:27]
	global_load_dwordx4 v[10:13], v[10:11], off
	v_lshlrev_b32_e32 v5, 8, v28
	v_lshlrev_b32_e32 v2, 5, v2
	v_and_b32_e32 v3, 16, v1
	v_and_b32_e32 v5, 0xe00, v5
	v_or3_b32 v2, v5, v2, v3
	s_waitcnt vmcnt(0)
	ds_write_b128 v2, v[10:13]
.LBB913_11:
	s_or_b64 exec, exec, s[12:13]
	s_waitcnt lgkmcnt(0)
	s_mul_i32 s4, s4, s46
	s_add_u32 s8, s8, s4
	s_addc_u32 s9, s9, 0
	v_mov_b32_e32 v31, 0
	v_mov_b64_e32 v[2:3], s[8:9]
	v_and_b32_e32 v12, 48, v0
	s_waitcnt vmcnt(3)
	v_mad_i64_i32 v[10:11], s[8:9], v4, s45, v[2:3]
	v_lshlrev_b32_e32 v4, 4, v28
	v_mov_b32_e32 v5, v31
	v_lshlrev_b32_e32 v30, 5, v12
	v_lshl_add_u64 v[10:11], v[10:11], 0, v[4:5]
	v_lshl_add_u64 v[10:11], v[10:11], 0, v[30:31]
	s_load_dword s29, s[0:1], 0x98
	s_load_dwordx4 s[40:43], s[0:1], 0x80
	s_waitcnt lgkmcnt(0)
	s_barrier
	global_load_dwordx4 v[14:17], v[10:11], off
	s_waitcnt vmcnt(3)
	v_mad_i64_i32 v[8:9], s[8:9], v8, s45, v[2:3]
	s_ashr_i32 s8, s5, 31
	v_or_b32_e32 v12, s5, v12
	s_lshr_b32 s12, s8, 27
	v_add_u32_e32 v10, s12, v12
	v_ashrrev_i32_e32 v10, 5, v10
	v_mov_b32_e32 v33, s18
	v_cmp_gt_i32_e32 vcc, s33, v12
	v_mov_b32_e32 v13, 5
	v_or_b32_e32 v32, 64, v12
	v_cndmask_b32_e32 v10, v33, v10, vcc
	v_ashrrev_i32_e32 v11, 31, v10
	v_lshl_add_u64 v[10:11], v[10:11], 2, s[6:7]
	global_load_dword v50, v[10:11], off
	v_or_b32_e32 v10, 0x100, v4
	v_mov_b32_e32 v11, v31
	v_lshl_add_u64 v[8:9], v[8:9], 0, v[10:11]
	v_lshl_add_u64 v[8:9], v[8:9], 0, v[30:31]
	global_load_dwordx4 v[18:21], v[8:9], off
	v_mul_lo_u16_e32 v8, 43, v28
	v_mov_b32_e32 v9, 6
	v_mul_lo_u16_sdwa v8, v8, v9 dst_sel:DWORD dst_unused:UNUSED_PAD src0_sel:BYTE_1 src1_sel:DWORD
	v_sub_u16_e32 v8, v28, v8
	v_or_b32_e32 v34, 0x80, v12
	v_or_b32_e32 v35, 0xc0, v12
	v_lshlrev_b32_sdwa v12, v13, v8 dst_sel:DWORD dst_unused:UNUSED_PAD src0_sel:DWORD src1_sel:BYTE_0
	s_waitcnt vmcnt(4)
	v_mad_i64_i32 v[8:9], s[8:9], v7, s45, v[2:3]
	v_lshl_add_u64 v[4:5], v[8:9], 0, v[4:5]
	v_lshl_add_u64 v[4:5], v[4:5], 0, v[30:31]
	global_load_dwordx4 v[22:25], v[4:5], off
	v_lshl_add_u32 v4, v42, 9, v12
	s_waitcnt vmcnt(4)
	v_mad_i64_i32 v[12:13], s[8:9], v6, s45, v[2:3]
	v_add_u32_e32 v36, s12, v32
	v_add_u32_e32 v37, s12, v34
	v_lshl_add_u64 v[10:11], v[12:13], 0, v[10:11]
	v_ashrrev_i32_e32 v12, 5, v36
	v_cmp_gt_i32_e32 vcc, s33, v32
	v_ashrrev_i32_e32 v13, 5, v37
	v_lshl_add_u64 v[10:11], v[10:11], 0, v[30:31]
	v_cndmask_b32_e32 v32, v33, v12, vcc
	v_cmp_gt_i32_e32 vcc, s33, v34
	ds_read_b128 v[6:9], v4
	ds_read_b128 v[2:5], v4 offset:16
	v_cndmask_b32_e32 v34, v33, v13, vcc
	global_load_dwordx4 v[10:13], v[10:11], off
	v_add_u32_e32 v38, s12, v35
	s_add_u32 s8, s10, s4
	v_ashrrev_i32_e32 v36, 5, v38
	v_cmp_gt_i32_e32 vcc, s33, v35
	v_lshlrev_b32_e32 v27, 5, v28
	s_addc_u32 s9, s11, 0
	v_cndmask_b32_e32 v36, v33, v36, vcc
	v_and_b32_e32 v30, 16, v0
	v_ashrrev_i32_e32 v37, 31, v36
	v_lshl_add_u64 v[38:39], s[8:9], 0, v[30:31]
	v_lshl_or_b32 v30, v29, 9, v27
	v_lshl_add_u64 v[40:41], v[36:37], 2, s[6:7]
	v_lshl_add_u64 v[30:31], v[38:39], 0, v[30:31]
	v_ashrrev_i32_e32 v33, 31, v32
	v_ashrrev_i32_e32 v35, 31, v34
	v_lshl_add_u64 v[32:33], v[32:33], 2, s[6:7]
	v_lshl_add_u64 v[34:35], v[34:35], 2, s[6:7]
	s_load_dword s13, s[0:1], 0x1c
	s_mov_b32 s44, 0xff7fffff
	s_waitcnt vmcnt(4)
	v_cvt_pk_f32_fp8_e32 v[36:37], v14
	v_cvt_pk_f32_fp8_sdwa v[38:39], v14 src0_sel:WORD_1
	v_cvt_pk_f32_fp8_e32 v[44:45], v15
	v_cvt_pk_f32_fp8_sdwa v[14:15], v15 src0_sel:WORD_1
	v_cvt_pkrtz_f16_f32 v36, v36, v37
	v_cvt_pkrtz_f16_f32 v37, v38, v39
	;; [unrolled: 1-line block ×4, first 2 shown]
	v_cvt_pk_f32_fp8_e32 v[46:47], v16
	v_cvt_pk_f32_fp8_sdwa v[48:49], v16 src0_sel:WORD_1
	s_waitcnt lgkmcnt(0)
	v_mfma_f32_16x16x16_f16 v[36:39], v[36:37], v[6:7], 0
	global_load_dword v16, v[32:33], off
	s_nop 0
	global_load_dword v34, v[34:35], off
	s_nop 0
	global_load_dword v35, v[40:41], off
	v_cvt_pkrtz_f16_f32 v32, v46, v47
	v_cvt_pkrtz_f16_f32 v33, v48, v49
	v_mfma_f32_16x16x16_f16 v[36:39], v[44:45], v[8:9], v[36:39]
	v_cvt_pk_f32_fp8_e32 v[40:41], v17
	v_cvt_pk_f32_fp8_sdwa v[44:45], v17 src0_sel:WORD_1
	s_waitcnt vmcnt(6)
	v_mad_i64_i32 v[14:15], s[6:7], v50, s45, v[30:31]
	v_cvt_pkrtz_f16_f32 v40, v40, v41
	v_cvt_pkrtz_f16_f32 v41, v44, v45
	v_mfma_f32_16x16x16_f16 v[36:39], v[32:33], v[2:3], v[36:39]
	s_waitcnt vmcnt(5)
	v_cvt_pk_f32_fp8_e32 v[32:33], v18
	v_cvt_pk_f32_fp8_sdwa v[44:45], v18 src0_sel:WORD_1
	v_cvt_pk_f32_fp8_e32 v[48:49], v20
	v_mfma_f32_16x16x16_f16 v[36:39], v[40:41], v[4:5], v[36:39]
	v_cvt_pk_f32_fp8_e32 v[40:41], v19
	v_cvt_pkrtz_f16_f32 v32, v32, v33
	v_cvt_pkrtz_f16_f32 v33, v44, v45
	v_cvt_pk_f32_fp8_sdwa v[18:19], v19 src0_sel:WORD_1
	v_cvt_pkrtz_f16_f32 v40, v40, v41
	v_cvt_pk_f32_fp8_sdwa v[50:51], v20 src0_sel:WORD_1
	v_mfma_f32_16x16x16_f16 v[44:47], v[32:33], v[6:7], 0
	v_cvt_pkrtz_f16_f32 v41, v18, v19
	v_cvt_pkrtz_f16_f32 v32, v48, v49
	;; [unrolled: 1-line block ×3, first 2 shown]
	v_cvt_pk_f32_fp8_e32 v[48:49], v21
	v_cvt_pk_f32_fp8_sdwa v[50:51], v21 src0_sel:WORD_1
	v_mfma_f32_16x16x16_f16 v[18:21], v[40:41], v[8:9], v[44:47]
	s_load_dword s4, s[40:41], 0x0
	v_cvt_pkrtz_f16_f32 v40, v48, v49
	v_cvt_pkrtz_f16_f32 v41, v50, v51
	v_mfma_f32_16x16x16_f16 v[18:21], v[32:33], v[2:3], v[18:21]
	s_waitcnt vmcnt(4)
	v_cvt_pk_f32_fp8_e32 v[32:33], v22
	v_cvt_pk_f32_fp8_sdwa v[48:49], v22 src0_sel:WORD_1
	v_mov_b32_e32 v17, s13
	v_mfma_f32_16x16x16_f16 v[44:47], v[40:41], v[4:5], v[18:21]
	v_cvt_pk_f32_fp8_e32 v[40:41], v24
	s_waitcnt lgkmcnt(0)
	v_mul_f32_e32 v52, s4, v17
	v_cvt_pkrtz_f16_f32 v40, v40, v41
	v_cvt_pk_f32_fp8_e32 v[18:19], v23
	v_cvt_pkrtz_f16_f32 v20, v32, v33
	v_cvt_pkrtz_f16_f32 v21, v48, v49
	v_cvt_pk_f32_fp8_sdwa v[22:23], v23 src0_sel:WORD_1
	v_cvt_pkrtz_f16_f32 v32, v18, v19
	v_cvt_pk_f32_fp8_sdwa v[48:49], v24 src0_sel:WORD_1
	v_mfma_f32_16x16x16_f16 v[18:21], v[20:21], v[6:7], 0
	v_cvt_pkrtz_f16_f32 v33, v22, v23
	v_cvt_pkrtz_f16_f32 v41, v48, v49
	v_cvt_pk_f32_fp8_e32 v[48:49], v25
	v_cvt_pk_f32_fp8_sdwa v[24:25], v25 src0_sel:WORD_1
	v_mfma_f32_16x16x16_f16 v[18:21], v[32:33], v[8:9], v[18:21]
	v_cvt_pkrtz_f16_f32 v32, v48, v49
	v_cvt_pkrtz_f16_f32 v33, v24, v25
	v_pk_mul_f32 v[22:23], v[52:53], v[38:39] op_sel_hi:[0,1]
	v_mfma_f32_16x16x16_f16 v[38:41], v[40:41], v[2:3], v[18:21]
	s_waitcnt vmcnt(3)
	v_cvt_pk_f32_fp8_sdwa v[24:25], v10 src0_sel:WORD_1
	s_nop 0
	v_cvt_pk_f32_fp8_e32 v[18:19], v10
	v_mfma_f32_16x16x16_f16 v[48:51], v[32:33], v[4:5], v[38:41]
	v_cvt_pk_f32_fp8_e32 v[32:33], v11
	v_cvt_pk_f32_fp8_sdwa v[10:11], v11 src0_sel:WORD_1
	v_cvt_pkrtz_f16_f32 v18, v18, v19
	v_cvt_pkrtz_f16_f32 v19, v24, v25
	;; [unrolled: 1-line block ×3, first 2 shown]
	v_cvt_pk_f32_fp8_e32 v[32:33], v12
	v_cvt_pk_f32_fp8_sdwa v[40:41], v12 src0_sel:WORD_1
	v_cvt_pkrtz_f16_f32 v25, v10, v11
	v_pk_mul_f32 v[20:21], v[52:53], v[36:37] op_sel_hi:[0,1]
	v_mfma_f32_16x16x16_f16 v[36:39], v[18:19], v[6:7], 0
	v_cvt_pkrtz_f16_f32 v10, v32, v33
	v_cvt_pkrtz_f16_f32 v11, v40, v41
	v_cvt_pk_f32_fp8_e32 v[18:19], v13
	v_cvt_pk_f32_fp8_sdwa v[12:13], v13 src0_sel:WORD_1
	v_mfma_f32_16x16x16_f16 v[6:9], v[24:25], v[8:9], v[36:39]
	v_pk_mul_f32 v[40:41], v[52:53], v[44:45] op_sel_hi:[0,1]
	v_cvt_pkrtz_f16_f32 v18, v18, v19
	v_cvt_pkrtz_f16_f32 v19, v12, v13
	v_mfma_f32_16x16x16_f16 v[6:9], v[10:11], v[2:3], v[6:9]
	v_pk_mul_f32 v[36:37], v[52:53], v[46:47] op_sel_hi:[0,1]
	v_pk_mul_f32 v[38:39], v[52:53], v[48:49] op_sel_hi:[0,1]
	;; [unrolled: 1-line block ×3, first 2 shown]
	v_mfma_f32_16x16x16_f16 v[2:5], v[18:19], v[4:5], v[6:9]
	s_nop 6
	v_pk_mul_f32 v[24:25], v[52:53], v[2:3] op_sel_hi:[0,1]
	v_and_b32_e32 v2, 0xc0, v0
	v_add_u32_e32 v2, s5, v2
	v_lshl_or_b32 v2, v42, 2, v2
	v_pk_mul_f32 v[18:19], v[52:53], v[4:5] op_sel_hi:[0,1]
	v_or_b32_e32 v5, 1, v2
	v_mov_b32_e32 v3, 0xff7fffff
	v_cmp_gt_i32_e64 s[4:5], s33, v2
	v_cmp_gt_i32_e64 s[34:35], s33, v5
	v_or_b32_e32 v6, 3, v2
	v_cndmask_b32_e64 v4, v3, v20, s[4:5]
	v_cndmask_b32_e64 v5, v3, v21, s[34:35]
	v_max3_f32 v4, v4, s44, v5
	v_or_b32_e32 v5, 2, v2
	v_cmp_gt_i32_e64 s[36:37], s33, v5
	v_cmp_gt_i32_e64 s[38:39], s33, v6
	s_nop 0
	v_cndmask_b32_e64 v5, v3, v22, s[36:37]
	v_cndmask_b32_e64 v6, v3, v23, s[38:39]
	v_max3_f32 v4, v4, v5, v6
	v_or_b32_e32 v5, 16, v2
	v_or_b32_e32 v6, 17, v2
	v_cmp_gt_i32_e64 s[24:25], s33, v5
	v_cmp_gt_i32_e64 s[26:27], s33, v6
	s_nop 0
	v_cndmask_b32_e64 v5, v3, v40, s[24:25]
	v_cndmask_b32_e64 v6, v3, v41, s[26:27]
	v_max3_f32 v4, v4, v5, v6
	v_or_b32_e32 v5, 18, v2
	;; [unrolled: 8-line block ×6, first 2 shown]
	v_or_b32_e32 v2, 51, v2
	v_cmp_gt_i32_e32 vcc, s33, v5
	v_cmp_gt_i32_e64 s[6:7], s33, v2
	s_nop 0
	v_cndmask_b32_e32 v5, v3, v18, vcc
	v_cndmask_b32_e64 v2, v3, v19, s[6:7]
	v_max3_f32 v4, v4, v5, v2
	v_mbcnt_lo_u32_b32 v2, -1, 0
	v_mbcnt_hi_u32_b32 v5, -1, v2
	v_and_b32_e32 v2, 64, v5
	v_add_u32_e32 v6, 64, v2
	v_xor_b32_e32 v2, 32, v5
	v_cmp_lt_i32_e64 s[40:41], v2, v6
	s_nop 1
	v_cndmask_b32_e64 v2, v5, v2, s[40:41]
	v_lshlrev_b32_e32 v45, 2, v2
	ds_bpermute_b32 v7, v45, v4
	s_waitcnt vmcnt(2)
	v_mad_i64_i32 v[2:3], s[40:41], v16, s45, v[30:31]
	global_load_dwordx4 v[14:17], v[14:15], off
	s_nop 0
	global_load_dwordx4 v[10:13], v[2:3], off
	v_xor_b32_e32 v3, 16, v5
	v_cmp_lt_i32_e64 s[40:41], v3, v6
	s_waitcnt lgkmcnt(0)
	v_max_f32_e32 v2, v7, v7
	v_max_f32_e32 v2, v4, v2
	v_cndmask_b32_e64 v3, v5, v3, s[40:41]
	v_lshlrev_b32_e32 v48, 2, v3
	ds_bpermute_b32 v3, v48, v2
	s_waitcnt vmcnt(3)
	v_mad_i64_i32 v[46:47], s[40:41], v34, s45, v[30:31]
	s_waitcnt vmcnt(2)
	v_mad_i64_i32 v[30:31], s[40:41], v35, s45, v[30:31]
	s_waitcnt lgkmcnt(0)
	v_max_f32_e32 v3, v3, v3
	v_max_f32_e32 v44, v2, v3
	v_sub_f32_e32 v2, v20, v44
	v_mul_f32_e32 v2, 0x3fb8aa3b, v2
	v_exp_f32_e32 v20, v2
	v_sub_f32_e32 v2, v21, v44
	v_mul_f32_e32 v2, 0x3fb8aa3b, v2
	v_exp_f32_e32 v21, v2
	global_load_dwordx4 v[6:9], v[46:47], off
	global_load_dwordx4 v[2:5], v[30:31], off
	v_sub_f32_e32 v22, v22, v44
	v_mul_f32_e32 v22, 0x3fb8aa3b, v22
	v_sub_f32_e32 v23, v23, v44
	v_exp_f32_e32 v22, v22
	v_mul_f32_e32 v23, 0x3fb8aa3b, v23
	v_exp_f32_e32 v23, v23
	v_cndmask_b32_e64 v20, 0, v20, s[4:5]
	v_add_f32_e32 v30, 0, v20
	v_cndmask_b32_e64 v21, 0, v21, s[34:35]
	v_add_f32_e32 v30, v30, v21
	;; [unrolled: 2-line block ×3, first 2 shown]
	v_cndmask_b32_e64 v35, 0, v23, s[38:39]
	v_sub_f32_e32 v23, v40, v44
	v_sub_f32_e32 v30, v41, v44
	v_mul_f32_e32 v23, 0x3fb8aa3b, v23
	v_mul_f32_e32 v30, 0x3fb8aa3b, v30
	v_exp_f32_e32 v23, v23
	v_exp_f32_e32 v30, v30
	v_add_f32_e32 v31, v22, v35
	v_sub_f32_e32 v32, v32, v44
	v_cndmask_b32_e64 v22, 0, v23, s[24:25]
	v_cndmask_b32_e64 v23, 0, v30, s[26:27]
	v_sub_f32_e32 v30, v36, v44
	v_mul_f32_e32 v30, 0x3fb8aa3b, v30
	v_exp_f32_e32 v30, v30
	v_sub_f32_e32 v36, v37, v44
	v_add_f32_e32 v31, v31, v22
	v_mul_f32_e32 v36, 0x3fb8aa3b, v36
	v_exp_f32_e32 v37, v36
	v_add_f32_e32 v31, v31, v23
	v_cndmask_b32_e64 v36, 0, v30, s[20:21]
	v_add_f32_e32 v30, v31, v36
	v_sub_f32_e32 v31, v38, v44
	v_mul_f32_e32 v31, 0x3fb8aa3b, v31
	v_sub_f32_e32 v38, v39, v44
	v_exp_f32_e32 v31, v31
	v_mul_f32_e32 v38, 0x3fb8aa3b, v38
	v_exp_f32_e32 v38, v38
	v_mul_f32_e32 v32, 0x3fb8aa3b, v32
	v_sub_f32_e32 v33, v33, v44
	v_exp_f32_e32 v32, v32
	v_mul_f32_e32 v33, 0x3fb8aa3b, v33
	v_sub_f32_e32 v24, v24, v44
	v_cndmask_b32_e64 v37, 0, v37, s[22:23]
	v_exp_f32_e32 v33, v33
	v_mul_f32_e32 v24, 0x3fb8aa3b, v24
	v_sub_f32_e32 v25, v25, v44
	v_add_f32_e32 v39, v30, v37
	v_cndmask_b32_e64 v30, 0, v31, s[16:17]
	v_exp_f32_e32 v24, v24
	v_mul_f32_e32 v25, 0x3fb8aa3b, v25
	v_sub_f32_e32 v18, v18, v44
	v_add_f32_e32 v39, v39, v30
	;; [unrolled: 5-line block ×3, first 2 shown]
	v_cndmask_b32_e64 v32, 0, v32, s[12:13]
	v_exp_f32_e32 v18, v18
	v_mul_f32_e32 v19, 0x3fb8aa3b, v19
	v_add_f32_e32 v38, v38, v32
	v_cndmask_b32_e64 v33, 0, v33, s[14:15]
	v_exp_f32_e32 v19, v19
	v_add_f32_e32 v38, v38, v33
	v_cndmask_b32_e64 v24, 0, v24, s[8:9]
	v_add_f32_e32 v38, v38, v24
	v_cndmask_b32_e64 v25, 0, v25, s[10:11]
	v_add_f32_e32 v38, v38, v25
	v_cndmask_b32_e32 v18, 0, v18, vcc
	v_add_f32_e32 v38, v38, v18
	v_cndmask_b32_e64 v19, 0, v19, s[6:7]
	v_add_f32_e32 v38, v38, v19
	ds_bpermute_b32 v39, v45, v38
	v_cmp_gt_u32_e32 vcc, 16, v43
	s_waitcnt lgkmcnt(0)
	s_barrier
	v_add_f32_e32 v38, v38, v39
	ds_bpermute_b32 v40, v48, v38
	v_lshlrev_b32_e32 v39, 2, v28
	s_and_saveexec_b64 s[4:5], vcc
	s_cbranch_execz .LBB913_13
; %bb.12:
	s_waitcnt lgkmcnt(0)
	v_add_f32_e32 v38, v38, v40
	v_lshl_or_b32 v40, v29, 6, v39
	ds_write2st64_b32 v40, v44, v38 offset1:1
.LBB913_13:
	s_or_b64 exec, exec, s[4:5]
	s_load_dword s6, s[0:1], 0x94
	s_waitcnt lgkmcnt(0)
	s_barrier
	ds_read2_b32 v[40:41], v39 offset1:16
	ds_read2_b32 v[44:45], v39 offset0:32 offset1:48
	ds_read2_b32 v[46:47], v39 offset0:64 offset1:80
	s_mul_i32 s7, s29, 6
	s_waitcnt lgkmcnt(2)
	v_max3_f32 v38, v40, s44, v41
	s_waitcnt lgkmcnt(1)
	v_max3_f32 v38, v38, v44, v45
	v_sub_f32_e32 v40, v40, v38
	v_mul_f32_e32 v40, 0x3fb8aa3b, v40
	v_exp_f32_e32 v43, v40
	v_sub_f32_e32 v40, v41, v38
	v_mul_f32_e32 v40, 0x3fb8aa3b, v40
	v_exp_f32_e32 v48, v40
	;; [unrolled: 3-line block ×3, first 2 shown]
	ds_read2_b32 v[40:41], v39 offset0:96 offset1:112
	v_sub_f32_e32 v39, v45, v38
	v_mul_f32_e32 v39, 0x3fb8aa3b, v39
	v_exp_f32_e32 v45, v39
	s_waitcnt lgkmcnt(1)
	v_fma_f32 v39, v43, v46, 0
	v_fmac_f32_e32 v39, v48, v47
	s_waitcnt lgkmcnt(0)
	v_fmac_f32_e32 v39, v44, v40
	v_fmac_f32_e32 v39, v45, v41
	v_add_f32_e32 v40, 0x358637bd, v39
	v_div_scale_f32 v41, s[4:5], v40, v40, 1.0
	v_rcp_f32_e32 v46, v41
	s_barrier
	v_fma_f32 v47, -v41, v46, 1.0
	v_fmac_f32_e32 v46, v47, v46
	v_div_scale_f32 v47, vcc, 1.0, v40, 1.0
	v_mul_f32_e32 v49, v47, v46
	v_fma_f32 v50, -v41, v49, v47
	v_fmac_f32_e32 v49, v50, v46
	v_fma_f32 v41, -v41, v49, v47
	v_div_fmas_f32 v41, v41, v46, v49
	v_cmp_eq_u32_e32 vcc, 1, v29
	v_div_fixup_f32 v40, v41, v40, 1.0
	s_nop 0
	v_cndmask_b32_e32 v41, v43, v48, vcc
	v_cmp_eq_u32_e32 vcc, 2, v29
	s_nop 1
	v_cndmask_b32_e32 v41, v41, v44, vcc
	v_cmp_eq_u32_e32 vcc, 3, v29
	s_nop 1
	v_cndmask_b32_e32 v41, v41, v45, vcc
	v_mul_f32_e32 v40, v41, v40
	v_pk_mul_f32 v[34:35], v[40:41], v[34:35] op_sel_hi:[0,1]
	v_pk_mul_f32 v[20:21], v[40:41], v[20:21] op_sel_hi:[0,1]
	v_cvt_f16_f32_e32 v41, v34
	v_cvt_f16_f32_e32 v35, v35
	;; [unrolled: 1-line block ×4, first 2 shown]
	v_cmp_gt_u32_e32 vcc, 6, v0
	v_pack_b32_f16 v35, v41, v35
	v_lshlrev_b32_e32 v41, 3, v42
	v_pack_b32_f16 v34, v20, v21
	v_pk_mul_f32 v[20:21], v[40:41], v[36:37] op_sel_hi:[0,1]
	v_pk_mul_f32 v[22:23], v[40:41], v[22:23] op_sel_hi:[0,1]
	v_cvt_f16_f32_e32 v22, v22
	v_cvt_f16_f32_e32 v23, v23
	;; [unrolled: 1-line block ×4, first 2 shown]
	v_lshlrev_b32_e32 v20, 11, v29
	v_or3_b32 v20, v20, v27, v41
	v_pack_b32_f16 v22, v22, v23
	v_pack_b32_f16 v23, v36, v21
	ds_write2st64_b64 v20, v[34:35], v[22:23] offset1:1
	v_pk_mul_f32 v[22:23], v[40:41], v[32:33] op_sel_hi:[0,1]
	v_pk_mul_f32 v[30:31], v[40:41], v[30:31] op_sel_hi:[0,1]
	v_cvt_f16_f32_e32 v21, v30
	v_cvt_f16_f32_e32 v29, v31
	;; [unrolled: 1-line block ×4, first 2 shown]
	v_pk_mul_f32 v[18:19], v[40:41], v[18:19] op_sel_hi:[0,1]
	v_pk_mul_f32 v[22:23], v[40:41], v[24:25] op_sel_hi:[0,1]
	v_cvt_f16_f32_e32 v22, v22
	v_cvt_f16_f32_e32 v23, v23
	;; [unrolled: 1-line block ×4, first 2 shown]
	v_pack_b32_f16 v18, v21, v29
	v_pack_b32_f16 v19, v30, v31
	;; [unrolled: 1-line block ×4, first 2 shown]
	ds_write2st64_b64 v20, v[18:19], v[22:23] offset0:2 offset1:3
	s_and_saveexec_b64 s[4:5], vcc
	s_cbranch_execz .LBB913_15
; %bb.14:
	s_mov_b32 s49, 0
	v_mov_b32_e32 v29, 0
	v_lshl_add_u64 v[18:19], s[48:49], 0, v[28:29]
	v_mov_b32_e32 v21, s7
	v_mad_u64_u32 v[18:19], s[12:13], s2, v21, v[18:19]
	s_mul_i32 s3, s3, s7
	v_mov_b32_e32 v28, s28
	s_load_dwordx4 s[8:11], s[0:1], 0x58
	v_add_u32_e32 v21, s3, v19
	v_mad_u64_u32 v[18:19], s[12:13], v18, s6, v[28:29]
	v_mov_b32_e32 v22, v19
	v_mad_u64_u32 v[22:23], s[12:13], v21, s6, v[22:23]
	v_mov_b32_e32 v19, v22
	v_lshlrev_b64 v[18:19], 2, v[18:19]
	s_waitcnt lgkmcnt(0)
	v_lshl_add_u64 v[22:23], s[10:11], 0, v[18:19]
	v_lshl_add_u64 v[18:19], s[8:9], 0, v[18:19]
	global_store_dword v[22:23], v38, off
	global_store_dword v[18:19], v39, off
.LBB913_15:
	s_or_b64 exec, exec, s[4:5]
	s_waitcnt vmcnt(3)
	v_cvt_pk_f32_fp8_e32 v[18:19], v14
	v_cvt_pk_f32_fp8_sdwa v[22:23], v14 src0_sel:WORD_1
	v_cvt_pk_f32_fp8_e32 v[24:25], v15
	v_lshl_or_b32 v14, v42, 9, v27
	s_waitcnt lgkmcnt(0)
	s_barrier
	v_cvt_pkrtz_f16_f32 v18, v18, v19
	v_cvt_pkrtz_f16_f32 v19, v22, v23
	v_cvt_pk_f32_fp8_sdwa v[28:29], v15 src0_sel:WORD_1
	v_cvt_pkrtz_f16_f32 v36, v24, v25
	ds_read_b128 v[22:25], v14
	v_cvt_pk_f32_fp8_e32 v[38:39], v16
	v_cvt_pkrtz_f16_f32 v37, v28, v29
	ds_read_b128 v[28:31], v14 offset:16
	v_cvt_pk_f32_fp8_sdwa v[40:41], v16 src0_sel:WORD_1
	s_waitcnt lgkmcnt(1)
	v_mfma_f32_16x16x16_f16 v[32:35], v[18:19], v[22:23], 0
	v_cvt_pkrtz_f16_f32 v18, v38, v39
	v_cvt_pk_f32_fp8_e32 v[38:39], v17
	v_cvt_pkrtz_f16_f32 v19, v40, v41
	v_mfma_f32_16x16x16_f16 v[22:25], v[36:37], v[24:25], v[32:35]
	s_waitcnt vmcnt(2)
	v_cvt_pk_f32_fp8_sdwa v[36:37], v12 src0_sel:WORD_1
	s_load_dword s4, s[42:43], 0x0
	v_cmp_gt_u32_e32 vcc, 64, v0
	v_cvt_pk_f32_fp8_sdwa v[32:33], v17 src0_sel:WORD_1
	v_cvt_pkrtz_f16_f32 v34, v38, v39
	s_waitcnt lgkmcnt(0)
	v_mfma_f32_16x16x16_f16 v[16:19], v[18:19], v[28:29], v[22:25]
	v_cvt_pk_f32_fp8_e32 v[28:29], v11
	v_cvt_pkrtz_f16_f32 v35, v32, v33
	s_mov_b32 s3, 0
	v_cvt_pk_f32_fp8_e32 v[22:23], v10
	v_cvt_pk_f32_fp8_sdwa v[24:25], v10 src0_sel:WORD_1
	v_mfma_f32_16x16x16_f16 v[16:19], v[34:35], v[30:31], v[16:19]
	v_cvt_pkrtz_f16_f32 v10, v22, v23
	v_cvt_pk_f32_fp8_sdwa v[30:31], v11 src0_sel:WORD_1
	v_cvt_pkrtz_f16_f32 v11, v24, v25
	ds_read_b128 v[22:25], v14 offset:2048
	v_cvt_pkrtz_f16_f32 v32, v28, v29
	v_cvt_pkrtz_f16_f32 v33, v30, v31
	ds_read_b128 v[28:31], v14 offset:2064
	v_cvt_pk_f32_fp8_e32 v[34:35], v12
	s_waitcnt lgkmcnt(1)
	v_mfma_f32_16x16x16_f16 v[16:19], v[10:11], v[22:23], v[16:19]
	v_cvt_pkrtz_f16_f32 v11, v36, v37
	v_cvt_pk_f32_fp8_e32 v[22:23], v13
	v_cvt_pkrtz_f16_f32 v10, v34, v35
	v_mfma_f32_16x16x16_f16 v[16:19], v[32:33], v[24:25], v[16:19]
	v_cvt_pk_f32_fp8_sdwa v[24:25], v13 src0_sel:WORD_1
	v_cvt_pkrtz_f16_f32 v22, v22, v23
	s_waitcnt vmcnt(1)
	v_cvt_pk_f32_fp8_sdwa v[32:33], v8 src0_sel:WORD_1
	s_waitcnt lgkmcnt(0)
	v_mfma_f32_16x16x16_f16 v[10:13], v[10:11], v[28:29], v[16:19]
	v_cvt_pkrtz_f16_f32 v23, v24, v25
	v_cvt_pk_f32_fp8_sdwa v[24:25], v7 src0_sel:WORD_1
	v_mov_b32_e32 v27, 0
	v_cvt_pk_f32_fp8_e32 v[16:17], v6
	v_cvt_pk_f32_fp8_sdwa v[18:19], v6 src0_sel:WORD_1
	v_mfma_f32_16x16x16_f16 v[10:13], v[22:23], v[30:31], v[10:13]
	v_cvt_pk_f32_fp8_e32 v[22:23], v7
	v_cvt_pkrtz_f16_f32 v6, v16, v17
	v_cvt_pkrtz_f16_f32 v7, v18, v19
	ds_read_b128 v[16:19], v14 offset:4096
	v_cvt_pkrtz_f16_f32 v28, v22, v23
	v_cvt_pkrtz_f16_f32 v29, v24, v25
	ds_read_b128 v[22:25], v14 offset:4112
	v_cvt_pk_f32_fp8_e32 v[30:31], v8
	s_waitcnt lgkmcnt(1)
	v_mfma_f32_16x16x16_f16 v[10:13], v[6:7], v[16:17], v[10:13]
	v_cvt_pkrtz_f16_f32 v7, v32, v33
	v_cvt_pk_f32_fp8_e32 v[16:17], v9
	v_cvt_pkrtz_f16_f32 v6, v30, v31
	v_mfma_f32_16x16x16_f16 v[10:13], v[28:29], v[18:19], v[10:13]
	v_cvt_pk_f32_fp8_sdwa v[18:19], v9 src0_sel:WORD_1
	v_cvt_pkrtz_f16_f32 v16, v16, v17
	v_cvt_pkrtz_f16_f32 v17, v18, v19
	s_waitcnt lgkmcnt(0)
	v_mfma_f32_16x16x16_f16 v[6:9], v[6:7], v[22:23], v[10:13]
	s_waitcnt vmcnt(0)
	v_cvt_pk_f32_fp8_sdwa v[18:19], v3 src0_sel:WORD_1
	s_nop 0
	v_cvt_pkrtz_f16_f32 v23, v18, v19
	v_cvt_pk_f32_fp8_e32 v[10:11], v2
	v_cvt_pk_f32_fp8_sdwa v[12:13], v2 src0_sel:WORD_1
	v_mfma_f32_16x16x16_f16 v[6:9], v[16:17], v[24:25], v[6:9]
	v_cvt_pk_f32_fp8_e32 v[16:17], v3
	v_cvt_pkrtz_f16_f32 v2, v10, v11
	v_cvt_pkrtz_f16_f32 v3, v12, v13
	ds_read_b128 v[10:13], v14 offset:6144
	v_cvt_pkrtz_f16_f32 v22, v16, v17
	v_cvt_pk_f32_fp8_e32 v[18:19], v4
	v_cvt_pk_f32_fp8_sdwa v[24:25], v4 src0_sel:WORD_1
	s_waitcnt lgkmcnt(0)
	v_mfma_f32_16x16x16_f16 v[6:9], v[2:3], v[10:11], v[6:9]
	ds_read_b128 v[14:17], v14 offset:6160
	v_cvt_pkrtz_f16_f32 v2, v18, v19
	v_cvt_pkrtz_f16_f32 v3, v24, v25
	v_cvt_pk_f32_fp8_e32 v[10:11], v5
	v_mfma_f32_16x16x16_f16 v[6:9], v[22:23], v[12:13], v[6:9]
	v_cvt_pk_f32_fp8_sdwa v[12:13], v5 src0_sel:WORD_1
	s_waitcnt lgkmcnt(0)
	v_cvt_pkrtz_f16_f32 v10, v10, v11
	v_mfma_f32_16x16x16_f16 v[2:5], v[2:3], v[14:15], v[6:9]
	v_cvt_pkrtz_f16_f32 v11, v12, v13
	s_barrier
	s_nop 0
	v_mfma_f32_16x16x16_f16 v[2:5], v[10:11], v[16:17], v[2:5]
	s_nop 6
	v_pk_mul_f32 v[4:5], v[4:5], s[4:5] op_sel_hi:[1,0]
	v_pk_mul_f32 v[2:3], v[2:3], s[4:5] op_sel_hi:[1,0]
	v_cvt_f16_f32_e32 v4, v4
	v_cvt_f16_f32_e32 v2, v2
	;; [unrolled: 1-line block ×4, first 2 shown]
	s_and_b64 s[4:5], vcc, s[30:31]
	v_pack_b32_f16 v2, v2, v3
	v_pack_b32_f16 v3, v4, v5
	ds_write_b64 v20, v[2:3]
	s_waitcnt lgkmcnt(0)
	s_barrier
	s_and_saveexec_b64 s[8:9], s[4:5]
	s_cbranch_execz .LBB913_18
; %bb.16:
	s_load_dwordx2 s[4:5], s[0:1], 0x68
	s_lshl_b32 s0, s6, 6
	s_mul_i32 s1, s7, s2
	s_mul_hi_u32 s7, s1, s0
	s_mul_i32 s6, s1, s0
	v_lshlrev_b32_e32 v0, 10, v0
	s_lshl_b64 s[6:7], s[6:7], 1
	v_and_b32_e32 v0, 0x1800, v0
	v_lshlrev_b32_e32 v3, 5, v42
	v_and_b32_e32 v1, 16, v1
	s_waitcnt lgkmcnt(0)
	s_add_u32 s1, s4, s6
	v_or3_b32 v3, v0, v3, v1
	s_addc_u32 s4, s5, s7
	s_lshl_b32 s2, s28, 6
	s_lshl_b64 s[2:3], s[2:3], 1
	ds_read_b128 v[4:7], v3
	s_add_u32 s2, s1, s2
	s_addc_u32 s3, s4, s3
	v_add_u32_e32 v8, s48, v42
	v_or_b32_e32 v2, 4, v42
	v_lshl_add_u64 v[0:1], s[2:3], 0, v[26:27]
	v_mad_u64_u32 v[8:9], s[2:3], v8, s0, 0
	v_lshl_add_u64 v[8:9], v[8:9], 1, v[0:1]
	v_cmp_gt_u32_e32 vcc, 6, v2
	s_waitcnt lgkmcnt(0)
	global_store_dwordx4 v[8:9], v[4:7], off
	s_and_b64 exec, exec, vcc
	s_cbranch_execz .LBB913_18
; %bb.17:
	ds_read_b128 v[4:7], v3 offset:128
	v_add_u32_e32 v2, s48, v2
	v_mad_u64_u32 v[2:3], s[0:1], v2, s0, 0
	v_lshl_add_u64 v[0:1], v[2:3], 1, v[0:1]
	s_waitcnt lgkmcnt(0)
	global_store_dwordx4 v[0:1], v[4:7], off
.LBB913_18:
	s_endpgm
	.section	.rodata,"a",@progbits
	.p2align	6, 0x0
	.amdhsa_kernel _Z39paged_attention_ll4mi_QKV_mfma16_kernelIDF16_hLN4vllm18Fp8KVCacheDataTypeE1EDF16_Li32ELi64ELi256ELb0ELi6EEvPKT_PKT0_S7_ifPKiS9_S9_iPKfiiiPfSC_PS2_PT2_iSB_SB_
		.amdhsa_group_segment_fixed_size 8192
		.amdhsa_private_segment_fixed_size 0
		.amdhsa_kernarg_size 400
		.amdhsa_user_sgpr_count 2
		.amdhsa_user_sgpr_dispatch_ptr 0
		.amdhsa_user_sgpr_queue_ptr 0
		.amdhsa_user_sgpr_kernarg_segment_ptr 1
		.amdhsa_user_sgpr_dispatch_id 0
		.amdhsa_user_sgpr_kernarg_preload_length 0
		.amdhsa_user_sgpr_kernarg_preload_offset 0
		.amdhsa_user_sgpr_private_segment_size 0
		.amdhsa_uses_dynamic_stack 0
		.amdhsa_enable_private_segment 0
		.amdhsa_system_sgpr_workgroup_id_x 1
		.amdhsa_system_sgpr_workgroup_id_y 1
		.amdhsa_system_sgpr_workgroup_id_z 1
		.amdhsa_system_sgpr_workgroup_info 0
		.amdhsa_system_vgpr_workitem_id 0
		.amdhsa_next_free_vgpr 54
		.amdhsa_next_free_sgpr 50
		.amdhsa_accum_offset 56
		.amdhsa_reserve_vcc 1
		.amdhsa_float_round_mode_32 0
		.amdhsa_float_round_mode_16_64 0
		.amdhsa_float_denorm_mode_32 3
		.amdhsa_float_denorm_mode_16_64 3
		.amdhsa_dx10_clamp 1
		.amdhsa_ieee_mode 1
		.amdhsa_fp16_overflow 0
		.amdhsa_tg_split 0
		.amdhsa_exception_fp_ieee_invalid_op 0
		.amdhsa_exception_fp_denorm_src 0
		.amdhsa_exception_fp_ieee_div_zero 0
		.amdhsa_exception_fp_ieee_overflow 0
		.amdhsa_exception_fp_ieee_underflow 0
		.amdhsa_exception_fp_ieee_inexact 0
		.amdhsa_exception_int_div_zero 0
	.end_amdhsa_kernel
	.section	.text._Z39paged_attention_ll4mi_QKV_mfma16_kernelIDF16_hLN4vllm18Fp8KVCacheDataTypeE1EDF16_Li32ELi64ELi256ELb0ELi6EEvPKT_PKT0_S7_ifPKiS9_S9_iPKfiiiPfSC_PS2_PT2_iSB_SB_,"axG",@progbits,_Z39paged_attention_ll4mi_QKV_mfma16_kernelIDF16_hLN4vllm18Fp8KVCacheDataTypeE1EDF16_Li32ELi64ELi256ELb0ELi6EEvPKT_PKT0_S7_ifPKiS9_S9_iPKfiiiPfSC_PS2_PT2_iSB_SB_,comdat
.Lfunc_end913:
	.size	_Z39paged_attention_ll4mi_QKV_mfma16_kernelIDF16_hLN4vllm18Fp8KVCacheDataTypeE1EDF16_Li32ELi64ELi256ELb0ELi6EEvPKT_PKT0_S7_ifPKiS9_S9_iPKfiiiPfSC_PS2_PT2_iSB_SB_, .Lfunc_end913-_Z39paged_attention_ll4mi_QKV_mfma16_kernelIDF16_hLN4vllm18Fp8KVCacheDataTypeE1EDF16_Li32ELi64ELi256ELb0ELi6EEvPKT_PKT0_S7_ifPKiS9_S9_iPKfiiiPfSC_PS2_PT2_iSB_SB_
                                        ; -- End function
	.section	.AMDGPU.csdata,"",@progbits
; Kernel info:
; codeLenInByte = 4680
; NumSgprs: 56
; NumVgprs: 54
; NumAgprs: 0
; TotalNumVgprs: 54
; ScratchSize: 0
; MemoryBound: 0
; FloatMode: 240
; IeeeMode: 1
; LDSByteSize: 8192 bytes/workgroup (compile time only)
; SGPRBlocks: 6
; VGPRBlocks: 6
; NumSGPRsForWavesPerEU: 56
; NumVGPRsForWavesPerEU: 54
; AccumOffset: 56
; Occupancy: 8
; WaveLimiterHint : 1
; COMPUTE_PGM_RSRC2:SCRATCH_EN: 0
; COMPUTE_PGM_RSRC2:USER_SGPR: 2
; COMPUTE_PGM_RSRC2:TRAP_HANDLER: 0
; COMPUTE_PGM_RSRC2:TGID_X_EN: 1
; COMPUTE_PGM_RSRC2:TGID_Y_EN: 1
; COMPUTE_PGM_RSRC2:TGID_Z_EN: 1
; COMPUTE_PGM_RSRC2:TIDIG_COMP_CNT: 0
; COMPUTE_PGM_RSRC3_GFX90A:ACCUM_OFFSET: 13
; COMPUTE_PGM_RSRC3_GFX90A:TG_SPLIT: 0
	.section	.text._Z39paged_attention_ll4mi_QKV_mfma16_kernelIDF16_hLN4vllm18Fp8KVCacheDataTypeE1EDF16_Li32ELi64ELi256ELb0ELi7EEvPKT_PKT0_S7_ifPKiS9_S9_iPKfiiiPfSC_PS2_PT2_iSB_SB_,"axG",@progbits,_Z39paged_attention_ll4mi_QKV_mfma16_kernelIDF16_hLN4vllm18Fp8KVCacheDataTypeE1EDF16_Li32ELi64ELi256ELb0ELi7EEvPKT_PKT0_S7_ifPKiS9_S9_iPKfiiiPfSC_PS2_PT2_iSB_SB_,comdat
	.protected	_Z39paged_attention_ll4mi_QKV_mfma16_kernelIDF16_hLN4vllm18Fp8KVCacheDataTypeE1EDF16_Li32ELi64ELi256ELb0ELi7EEvPKT_PKT0_S7_ifPKiS9_S9_iPKfiiiPfSC_PS2_PT2_iSB_SB_ ; -- Begin function _Z39paged_attention_ll4mi_QKV_mfma16_kernelIDF16_hLN4vllm18Fp8KVCacheDataTypeE1EDF16_Li32ELi64ELi256ELb0ELi7EEvPKT_PKT0_S7_ifPKiS9_S9_iPKfiiiPfSC_PS2_PT2_iSB_SB_
	.globl	_Z39paged_attention_ll4mi_QKV_mfma16_kernelIDF16_hLN4vllm18Fp8KVCacheDataTypeE1EDF16_Li32ELi64ELi256ELb0ELi7EEvPKT_PKT0_S7_ifPKiS9_S9_iPKfiiiPfSC_PS2_PT2_iSB_SB_
	.p2align	8
	.type	_Z39paged_attention_ll4mi_QKV_mfma16_kernelIDF16_hLN4vllm18Fp8KVCacheDataTypeE1EDF16_Li32ELi64ELi256ELb0ELi7EEvPKT_PKT0_S7_ifPKiS9_S9_iPKfiiiPfSC_PS2_PT2_iSB_SB_,@function
_Z39paged_attention_ll4mi_QKV_mfma16_kernelIDF16_hLN4vllm18Fp8KVCacheDataTypeE1EDF16_Li32ELi64ELi256ELb0ELi7EEvPKT_PKT0_S7_ifPKiS9_S9_iPKfiiiPfSC_PS2_PT2_iSB_SB_: ; @_Z39paged_attention_ll4mi_QKV_mfma16_kernelIDF16_hLN4vllm18Fp8KVCacheDataTypeE1EDF16_Li32ELi64ELi256ELb0ELi7EEvPKT_PKT0_S7_ifPKiS9_S9_iPKfiiiPfSC_PS2_PT2_iSB_SB_
; %bb.0:
	s_load_dwordx2 s[12:13], s[0:1], 0x30
	s_mov_b32 s28, s3
	s_mov_b64 s[6:7], 0
	s_waitcnt lgkmcnt(0)
	s_cmp_lg_u64 s[12:13], 0
	s_cselect_b64 s[14:15], -1, 0
	s_and_b64 vcc, exec, s[14:15]
	s_cbranch_vccz .LBB914_7
; %bb.1:
	s_add_i32 s8, s2, 1
	s_mov_b32 s9, 0
	s_lshl_b64 s[10:11], s[8:9], 2
	s_add_u32 s10, s12, s10
	s_mov_b32 s3, s9
	s_addc_u32 s11, s13, s11
	s_lshl_b64 s[8:9], s[2:3], 2
	s_add_u32 s8, s12, s8
	s_addc_u32 s9, s13, s9
	s_load_dword s5, s[10:11], 0x0
	s_load_dword s16, s[8:9], 0x0
	s_waitcnt lgkmcnt(0)
	s_sub_i32 s5, s5, s16
	s_cmp_eq_u32 s5, 1
	s_cselect_b64 s[8:9], -1, 0
	s_andn2_b64 vcc, exec, s[6:7]
	s_cbranch_vccnz .LBB914_3
.LBB914_2:
	s_mov_b32 s3, 0
	s_mov_b64 s[8:9], -1
.LBB914_3:
	s_andn2_b64 vcc, exec, s[8:9]
	s_cbranch_vccnz .LBB914_18
; %bb.4:
	s_load_dwordx2 s[6:7], s[0:1], 0x28
	s_lshl_b64 s[16:17], s[2:3], 2
	s_waitcnt lgkmcnt(0)
	s_add_u32 s6, s6, s16
	s_addc_u32 s7, s7, s17
	s_load_dword s33, s[6:7], 0x0
	s_lshl_b32 s5, s28, 8
	s_waitcnt lgkmcnt(0)
	s_cmp_ge_i32 s5, s33
	s_cbranch_scc1 .LBB914_18
; %bb.5:
	s_add_i32 s9, s33, 31
	s_load_dwordx2 s[6:7], s[0:1], 0x20
	s_load_dword s8, s[0:1], 0x38
	s_ashr_i32 s10, s9, 31
	v_and_b32_e32 v1, 0xcf, v0
	s_lshr_b32 s10, s10, 27
	v_add_u32_e32 v1, s5, v1
	s_add_i32 s9, s9, s10
	v_ashrrev_i32_e32 v2, 31, v1
	s_ashr_i32 s18, s9, 5
	v_lshrrev_b32_e32 v6, 27, v2
	s_add_i32 s18, s18, -1
	v_add_u32_e32 v2, v1, v6
	v_or_b32_e32 v4, 16, v1
	s_waitcnt lgkmcnt(0)
	s_mul_i32 s8, s2, s8
	s_mov_b32 s9, 0
	v_ashrrev_i32_e32 v2, 5, v2
	v_mov_b32_e32 v7, s18
	v_cmp_gt_i32_e32 vcc, s33, v1
	v_add_u32_e32 v5, v4, v6
	s_lshl_b64 s[8:9], s[8:9], 2
	v_cndmask_b32_e32 v2, v7, v2, vcc
	v_ashrrev_i32_e32 v5, 5, v5
	v_cmp_gt_i32_e32 vcc, s33, v4
	s_add_u32 s6, s6, s8
	s_addc_u32 s7, s7, s9
	v_cndmask_b32_e32 v4, v7, v5, vcc
	v_ashrrev_i32_e32 v5, 31, v4
	v_lshl_add_u64 v[10:11], v[4:5], 2, s[6:7]
	v_or_b32_e32 v4, 32, v1
	v_add_u32_e32 v5, v4, v6
	v_ashrrev_i32_e32 v5, 5, v5
	v_cmp_gt_i32_e32 vcc, s33, v4
	v_or_b32_e32 v1, 48, v1
	v_ashrrev_i32_e32 v3, 31, v2
	v_cndmask_b32_e32 v4, v7, v5, vcc
	v_ashrrev_i32_e32 v5, 31, v4
	v_lshl_add_u64 v[12:13], v[4:5], 2, s[6:7]
	v_add_u32_e32 v4, v1, v6
	v_ashrrev_i32_e32 v4, 5, v4
	v_cmp_gt_i32_e32 vcc, s33, v1
	v_lshl_add_u64 v[2:3], v[2:3], 2, s[6:7]
	s_load_dwordx4 s[8:11], s[0:1], 0x8
	v_cndmask_b32_e32 v4, v7, v4, vcc
	v_ashrrev_i32_e32 v5, 31, v4
	v_lshl_add_u64 v[14:15], v[4:5], 2, s[6:7]
	global_load_dword v4, v[2:3], off
	global_load_dword v8, v[10:11], off
	;; [unrolled: 1-line block ×4, first 2 shown]
	s_andn2_b64 vcc, exec, s[14:15]
	s_cbranch_vccnz .LBB914_8
; %bb.6:
	s_add_u32 s12, s12, s16
	s_addc_u32 s13, s13, s17
	s_load_dword s14, s[12:13], 0x0
	s_branch .LBB914_9
.LBB914_7:
	s_mov_b64 s[8:9], 0
	s_branch .LBB914_2
.LBB914_8:
	s_mov_b32 s14, s2
.LBB914_9:
	s_load_dwordx4 s[44:47], s[0:1], 0x48
	v_lshrrev_b32_e32 v29, 6, v0
	v_bfe_u32 v42, v0, 4, 2
	v_lshl_or_b32 v2, v29, 2, v42
	v_and_b32_e32 v28, 15, v0
	v_lshlrev_b32_e32 v1, 3, v28
	v_cmp_gt_u32_e32 vcc, 7, v2
	v_cmp_gt_u32_e64 s[30:31], 8, v28
	v_and_b32_e32 v43, 63, v0
	s_mul_i32 s48, s4, 7
	s_and_b64 s[16:17], s[30:31], vcc
	v_lshlrev_b32_e32 v26, 1, v1
	v_lshlrev_b32_e32 v1, 4, v0
	s_and_saveexec_b64 s[12:13], s[16:17]
	s_cbranch_execz .LBB914_11
; %bb.10:
	s_load_dwordx2 s[16:17], s[0:1], 0x0
	s_waitcnt lgkmcnt(0)
	s_ashr_i32 s15, s44, 31
	s_mul_hi_u32 s19, s14, s44
	s_mul_i32 s15, s14, s15
	s_add_i32 s15, s19, s15
	s_mul_i32 s14, s14, s44
	s_lshl_b64 s[14:15], s[14:15], 1
	s_add_u32 s14, s16, s14
	v_add_lshl_u32 v10, v2, s48, 6
	s_addc_u32 s15, s17, s15
	v_ashrrev_i32_e32 v11, 31, v10
	v_lshl_add_u64 v[10:11], v[10:11], 1, s[14:15]
	v_mov_b32_e32 v27, 0
	v_lshl_add_u64 v[10:11], v[10:11], 0, v[26:27]
	global_load_dwordx4 v[10:13], v[10:11], off
	v_lshlrev_b32_e32 v5, 8, v28
	v_lshlrev_b32_e32 v2, 5, v2
	v_and_b32_e32 v3, 16, v1
	v_and_b32_e32 v5, 0xe00, v5
	v_or3_b32 v2, v5, v2, v3
	s_waitcnt vmcnt(0)
	ds_write_b128 v2, v[10:13]
.LBB914_11:
	s_or_b64 exec, exec, s[12:13]
	s_waitcnt lgkmcnt(0)
	s_mul_i32 s4, s4, s46
	s_add_u32 s8, s8, s4
	s_addc_u32 s9, s9, 0
	v_mov_b32_e32 v31, 0
	v_mov_b64_e32 v[2:3], s[8:9]
	v_and_b32_e32 v12, 48, v0
	s_waitcnt vmcnt(3)
	v_mad_i64_i32 v[10:11], s[8:9], v4, s45, v[2:3]
	v_lshlrev_b32_e32 v4, 4, v28
	v_mov_b32_e32 v5, v31
	v_lshlrev_b32_e32 v30, 5, v12
	v_lshl_add_u64 v[10:11], v[10:11], 0, v[4:5]
	v_lshl_add_u64 v[10:11], v[10:11], 0, v[30:31]
	s_load_dword s29, s[0:1], 0x98
	s_load_dwordx4 s[40:43], s[0:1], 0x80
	s_waitcnt lgkmcnt(0)
	s_barrier
	global_load_dwordx4 v[14:17], v[10:11], off
	s_waitcnt vmcnt(3)
	v_mad_i64_i32 v[8:9], s[8:9], v8, s45, v[2:3]
	s_ashr_i32 s8, s5, 31
	v_or_b32_e32 v12, s5, v12
	s_lshr_b32 s12, s8, 27
	v_add_u32_e32 v10, s12, v12
	v_ashrrev_i32_e32 v10, 5, v10
	v_mov_b32_e32 v33, s18
	v_cmp_gt_i32_e32 vcc, s33, v12
	v_mov_b32_e32 v13, 5
	v_or_b32_e32 v32, 64, v12
	v_cndmask_b32_e32 v10, v33, v10, vcc
	v_ashrrev_i32_e32 v11, 31, v10
	v_lshl_add_u64 v[10:11], v[10:11], 2, s[6:7]
	global_load_dword v50, v[10:11], off
	v_or_b32_e32 v10, 0x100, v4
	v_mov_b32_e32 v11, v31
	v_lshl_add_u64 v[8:9], v[8:9], 0, v[10:11]
	v_lshl_add_u64 v[8:9], v[8:9], 0, v[30:31]
	global_load_dwordx4 v[18:21], v[8:9], off
	v_mul_lo_u16_e32 v8, 37, v28
	v_mov_b32_e32 v9, 7
	v_mul_lo_u16_sdwa v8, v8, v9 dst_sel:DWORD dst_unused:UNUSED_PAD src0_sel:BYTE_1 src1_sel:DWORD
	v_sub_u16_e32 v8, v28, v8
	v_or_b32_e32 v34, 0x80, v12
	v_or_b32_e32 v35, 0xc0, v12
	v_lshlrev_b32_sdwa v12, v13, v8 dst_sel:DWORD dst_unused:UNUSED_PAD src0_sel:DWORD src1_sel:BYTE_0
	s_waitcnt vmcnt(4)
	v_mad_i64_i32 v[8:9], s[8:9], v7, s45, v[2:3]
	v_lshl_add_u64 v[4:5], v[8:9], 0, v[4:5]
	v_lshl_add_u64 v[4:5], v[4:5], 0, v[30:31]
	global_load_dwordx4 v[22:25], v[4:5], off
	v_lshl_add_u32 v4, v42, 9, v12
	s_waitcnt vmcnt(4)
	v_mad_i64_i32 v[12:13], s[8:9], v6, s45, v[2:3]
	v_add_u32_e32 v36, s12, v32
	v_add_u32_e32 v37, s12, v34
	v_lshl_add_u64 v[10:11], v[12:13], 0, v[10:11]
	v_ashrrev_i32_e32 v12, 5, v36
	v_cmp_gt_i32_e32 vcc, s33, v32
	v_ashrrev_i32_e32 v13, 5, v37
	v_lshl_add_u64 v[10:11], v[10:11], 0, v[30:31]
	v_cndmask_b32_e32 v32, v33, v12, vcc
	v_cmp_gt_i32_e32 vcc, s33, v34
	ds_read_b128 v[6:9], v4
	ds_read_b128 v[2:5], v4 offset:16
	v_cndmask_b32_e32 v34, v33, v13, vcc
	global_load_dwordx4 v[10:13], v[10:11], off
	v_add_u32_e32 v38, s12, v35
	s_add_u32 s8, s10, s4
	v_ashrrev_i32_e32 v36, 5, v38
	v_cmp_gt_i32_e32 vcc, s33, v35
	v_lshlrev_b32_e32 v27, 5, v28
	s_addc_u32 s9, s11, 0
	v_cndmask_b32_e32 v36, v33, v36, vcc
	v_and_b32_e32 v30, 16, v0
	v_ashrrev_i32_e32 v37, 31, v36
	v_lshl_add_u64 v[38:39], s[8:9], 0, v[30:31]
	v_lshl_or_b32 v30, v29, 9, v27
	v_lshl_add_u64 v[40:41], v[36:37], 2, s[6:7]
	v_lshl_add_u64 v[30:31], v[38:39], 0, v[30:31]
	v_ashrrev_i32_e32 v33, 31, v32
	v_ashrrev_i32_e32 v35, 31, v34
	v_lshl_add_u64 v[32:33], v[32:33], 2, s[6:7]
	v_lshl_add_u64 v[34:35], v[34:35], 2, s[6:7]
	s_load_dword s13, s[0:1], 0x1c
	s_mov_b32 s44, 0xff7fffff
	s_waitcnt vmcnt(4)
	v_cvt_pk_f32_fp8_e32 v[36:37], v14
	v_cvt_pk_f32_fp8_sdwa v[38:39], v14 src0_sel:WORD_1
	v_cvt_pk_f32_fp8_e32 v[44:45], v15
	v_cvt_pk_f32_fp8_sdwa v[14:15], v15 src0_sel:WORD_1
	v_cvt_pkrtz_f16_f32 v36, v36, v37
	v_cvt_pkrtz_f16_f32 v37, v38, v39
	;; [unrolled: 1-line block ×4, first 2 shown]
	v_cvt_pk_f32_fp8_e32 v[46:47], v16
	v_cvt_pk_f32_fp8_sdwa v[48:49], v16 src0_sel:WORD_1
	s_waitcnt lgkmcnt(0)
	v_mfma_f32_16x16x16_f16 v[36:39], v[36:37], v[6:7], 0
	global_load_dword v16, v[32:33], off
	s_nop 0
	global_load_dword v34, v[34:35], off
	s_nop 0
	global_load_dword v35, v[40:41], off
	v_cvt_pkrtz_f16_f32 v32, v46, v47
	v_cvt_pkrtz_f16_f32 v33, v48, v49
	v_mfma_f32_16x16x16_f16 v[36:39], v[44:45], v[8:9], v[36:39]
	v_cvt_pk_f32_fp8_e32 v[40:41], v17
	v_cvt_pk_f32_fp8_sdwa v[44:45], v17 src0_sel:WORD_1
	s_waitcnt vmcnt(6)
	v_mad_i64_i32 v[14:15], s[6:7], v50, s45, v[30:31]
	v_cvt_pkrtz_f16_f32 v40, v40, v41
	v_cvt_pkrtz_f16_f32 v41, v44, v45
	v_mfma_f32_16x16x16_f16 v[36:39], v[32:33], v[2:3], v[36:39]
	s_waitcnt vmcnt(5)
	v_cvt_pk_f32_fp8_e32 v[32:33], v18
	v_cvt_pk_f32_fp8_sdwa v[44:45], v18 src0_sel:WORD_1
	v_cvt_pk_f32_fp8_e32 v[48:49], v20
	v_mfma_f32_16x16x16_f16 v[36:39], v[40:41], v[4:5], v[36:39]
	v_cvt_pk_f32_fp8_e32 v[40:41], v19
	v_cvt_pkrtz_f16_f32 v32, v32, v33
	v_cvt_pkrtz_f16_f32 v33, v44, v45
	v_cvt_pk_f32_fp8_sdwa v[18:19], v19 src0_sel:WORD_1
	v_cvt_pkrtz_f16_f32 v40, v40, v41
	v_cvt_pk_f32_fp8_sdwa v[50:51], v20 src0_sel:WORD_1
	v_mfma_f32_16x16x16_f16 v[44:47], v[32:33], v[6:7], 0
	v_cvt_pkrtz_f16_f32 v41, v18, v19
	v_cvt_pkrtz_f16_f32 v32, v48, v49
	;; [unrolled: 1-line block ×3, first 2 shown]
	v_cvt_pk_f32_fp8_e32 v[48:49], v21
	v_cvt_pk_f32_fp8_sdwa v[50:51], v21 src0_sel:WORD_1
	v_mfma_f32_16x16x16_f16 v[18:21], v[40:41], v[8:9], v[44:47]
	s_load_dword s4, s[40:41], 0x0
	v_cvt_pkrtz_f16_f32 v40, v48, v49
	v_cvt_pkrtz_f16_f32 v41, v50, v51
	v_mfma_f32_16x16x16_f16 v[18:21], v[32:33], v[2:3], v[18:21]
	s_waitcnt vmcnt(4)
	v_cvt_pk_f32_fp8_e32 v[32:33], v22
	v_cvt_pk_f32_fp8_sdwa v[48:49], v22 src0_sel:WORD_1
	v_mov_b32_e32 v17, s13
	v_mfma_f32_16x16x16_f16 v[44:47], v[40:41], v[4:5], v[18:21]
	v_cvt_pk_f32_fp8_e32 v[40:41], v24
	s_waitcnt lgkmcnt(0)
	v_mul_f32_e32 v52, s4, v17
	v_cvt_pkrtz_f16_f32 v40, v40, v41
	v_cvt_pk_f32_fp8_e32 v[18:19], v23
	v_cvt_pkrtz_f16_f32 v20, v32, v33
	v_cvt_pkrtz_f16_f32 v21, v48, v49
	v_cvt_pk_f32_fp8_sdwa v[22:23], v23 src0_sel:WORD_1
	v_cvt_pkrtz_f16_f32 v32, v18, v19
	v_cvt_pk_f32_fp8_sdwa v[48:49], v24 src0_sel:WORD_1
	v_mfma_f32_16x16x16_f16 v[18:21], v[20:21], v[6:7], 0
	v_cvt_pkrtz_f16_f32 v33, v22, v23
	v_cvt_pkrtz_f16_f32 v41, v48, v49
	v_cvt_pk_f32_fp8_e32 v[48:49], v25
	v_cvt_pk_f32_fp8_sdwa v[24:25], v25 src0_sel:WORD_1
	v_mfma_f32_16x16x16_f16 v[18:21], v[32:33], v[8:9], v[18:21]
	v_cvt_pkrtz_f16_f32 v32, v48, v49
	v_cvt_pkrtz_f16_f32 v33, v24, v25
	v_pk_mul_f32 v[22:23], v[52:53], v[38:39] op_sel_hi:[0,1]
	v_mfma_f32_16x16x16_f16 v[38:41], v[40:41], v[2:3], v[18:21]
	s_waitcnt vmcnt(3)
	v_cvt_pk_f32_fp8_sdwa v[24:25], v10 src0_sel:WORD_1
	s_nop 0
	v_cvt_pk_f32_fp8_e32 v[18:19], v10
	v_mfma_f32_16x16x16_f16 v[48:51], v[32:33], v[4:5], v[38:41]
	v_cvt_pk_f32_fp8_e32 v[32:33], v11
	v_cvt_pk_f32_fp8_sdwa v[10:11], v11 src0_sel:WORD_1
	v_cvt_pkrtz_f16_f32 v18, v18, v19
	v_cvt_pkrtz_f16_f32 v19, v24, v25
	;; [unrolled: 1-line block ×3, first 2 shown]
	v_cvt_pk_f32_fp8_e32 v[32:33], v12
	v_cvt_pk_f32_fp8_sdwa v[40:41], v12 src0_sel:WORD_1
	v_cvt_pkrtz_f16_f32 v25, v10, v11
	v_pk_mul_f32 v[20:21], v[52:53], v[36:37] op_sel_hi:[0,1]
	v_mfma_f32_16x16x16_f16 v[36:39], v[18:19], v[6:7], 0
	v_cvt_pkrtz_f16_f32 v10, v32, v33
	v_cvt_pkrtz_f16_f32 v11, v40, v41
	v_cvt_pk_f32_fp8_e32 v[18:19], v13
	v_cvt_pk_f32_fp8_sdwa v[12:13], v13 src0_sel:WORD_1
	v_mfma_f32_16x16x16_f16 v[6:9], v[24:25], v[8:9], v[36:39]
	v_pk_mul_f32 v[40:41], v[52:53], v[44:45] op_sel_hi:[0,1]
	v_cvt_pkrtz_f16_f32 v18, v18, v19
	v_cvt_pkrtz_f16_f32 v19, v12, v13
	v_mfma_f32_16x16x16_f16 v[6:9], v[10:11], v[2:3], v[6:9]
	v_pk_mul_f32 v[36:37], v[52:53], v[46:47] op_sel_hi:[0,1]
	v_pk_mul_f32 v[38:39], v[52:53], v[48:49] op_sel_hi:[0,1]
	;; [unrolled: 1-line block ×3, first 2 shown]
	v_mfma_f32_16x16x16_f16 v[2:5], v[18:19], v[4:5], v[6:9]
	s_nop 6
	v_pk_mul_f32 v[24:25], v[52:53], v[2:3] op_sel_hi:[0,1]
	v_and_b32_e32 v2, 0xc0, v0
	v_add_u32_e32 v2, s5, v2
	v_lshl_or_b32 v2, v42, 2, v2
	v_pk_mul_f32 v[18:19], v[52:53], v[4:5] op_sel_hi:[0,1]
	v_or_b32_e32 v5, 1, v2
	v_mov_b32_e32 v3, 0xff7fffff
	v_cmp_gt_i32_e64 s[4:5], s33, v2
	v_cmp_gt_i32_e64 s[34:35], s33, v5
	v_or_b32_e32 v6, 3, v2
	v_cndmask_b32_e64 v4, v3, v20, s[4:5]
	v_cndmask_b32_e64 v5, v3, v21, s[34:35]
	v_max3_f32 v4, v4, s44, v5
	v_or_b32_e32 v5, 2, v2
	v_cmp_gt_i32_e64 s[36:37], s33, v5
	v_cmp_gt_i32_e64 s[38:39], s33, v6
	s_nop 0
	v_cndmask_b32_e64 v5, v3, v22, s[36:37]
	v_cndmask_b32_e64 v6, v3, v23, s[38:39]
	v_max3_f32 v4, v4, v5, v6
	v_or_b32_e32 v5, 16, v2
	v_or_b32_e32 v6, 17, v2
	v_cmp_gt_i32_e64 s[24:25], s33, v5
	v_cmp_gt_i32_e64 s[26:27], s33, v6
	s_nop 0
	v_cndmask_b32_e64 v5, v3, v40, s[24:25]
	v_cndmask_b32_e64 v6, v3, v41, s[26:27]
	v_max3_f32 v4, v4, v5, v6
	v_or_b32_e32 v5, 18, v2
	;; [unrolled: 8-line block ×6, first 2 shown]
	v_or_b32_e32 v2, 51, v2
	v_cmp_gt_i32_e32 vcc, s33, v5
	v_cmp_gt_i32_e64 s[6:7], s33, v2
	s_nop 0
	v_cndmask_b32_e32 v5, v3, v18, vcc
	v_cndmask_b32_e64 v2, v3, v19, s[6:7]
	v_max3_f32 v4, v4, v5, v2
	v_mbcnt_lo_u32_b32 v2, -1, 0
	v_mbcnt_hi_u32_b32 v5, -1, v2
	v_and_b32_e32 v2, 64, v5
	v_add_u32_e32 v6, 64, v2
	v_xor_b32_e32 v2, 32, v5
	v_cmp_lt_i32_e64 s[40:41], v2, v6
	s_nop 1
	v_cndmask_b32_e64 v2, v5, v2, s[40:41]
	v_lshlrev_b32_e32 v45, 2, v2
	ds_bpermute_b32 v7, v45, v4
	s_waitcnt vmcnt(2)
	v_mad_i64_i32 v[2:3], s[40:41], v16, s45, v[30:31]
	global_load_dwordx4 v[14:17], v[14:15], off
	s_nop 0
	global_load_dwordx4 v[10:13], v[2:3], off
	v_xor_b32_e32 v3, 16, v5
	v_cmp_lt_i32_e64 s[40:41], v3, v6
	s_waitcnt lgkmcnt(0)
	v_max_f32_e32 v2, v7, v7
	v_max_f32_e32 v2, v4, v2
	v_cndmask_b32_e64 v3, v5, v3, s[40:41]
	v_lshlrev_b32_e32 v48, 2, v3
	ds_bpermute_b32 v3, v48, v2
	s_waitcnt vmcnt(3)
	v_mad_i64_i32 v[46:47], s[40:41], v34, s45, v[30:31]
	s_waitcnt vmcnt(2)
	v_mad_i64_i32 v[30:31], s[40:41], v35, s45, v[30:31]
	s_waitcnt lgkmcnt(0)
	v_max_f32_e32 v3, v3, v3
	v_max_f32_e32 v44, v2, v3
	v_sub_f32_e32 v2, v20, v44
	v_mul_f32_e32 v2, 0x3fb8aa3b, v2
	v_exp_f32_e32 v20, v2
	v_sub_f32_e32 v2, v21, v44
	v_mul_f32_e32 v2, 0x3fb8aa3b, v2
	v_exp_f32_e32 v21, v2
	global_load_dwordx4 v[6:9], v[46:47], off
	global_load_dwordx4 v[2:5], v[30:31], off
	v_sub_f32_e32 v22, v22, v44
	v_mul_f32_e32 v22, 0x3fb8aa3b, v22
	v_sub_f32_e32 v23, v23, v44
	v_exp_f32_e32 v22, v22
	v_mul_f32_e32 v23, 0x3fb8aa3b, v23
	v_exp_f32_e32 v23, v23
	v_cndmask_b32_e64 v20, 0, v20, s[4:5]
	v_add_f32_e32 v30, 0, v20
	v_cndmask_b32_e64 v21, 0, v21, s[34:35]
	v_add_f32_e32 v30, v30, v21
	;; [unrolled: 2-line block ×3, first 2 shown]
	v_cndmask_b32_e64 v35, 0, v23, s[38:39]
	v_sub_f32_e32 v23, v40, v44
	v_sub_f32_e32 v30, v41, v44
	v_mul_f32_e32 v23, 0x3fb8aa3b, v23
	v_mul_f32_e32 v30, 0x3fb8aa3b, v30
	v_exp_f32_e32 v23, v23
	v_exp_f32_e32 v30, v30
	v_add_f32_e32 v31, v22, v35
	v_sub_f32_e32 v32, v32, v44
	v_cndmask_b32_e64 v22, 0, v23, s[24:25]
	v_cndmask_b32_e64 v23, 0, v30, s[26:27]
	v_sub_f32_e32 v30, v36, v44
	v_mul_f32_e32 v30, 0x3fb8aa3b, v30
	v_exp_f32_e32 v30, v30
	v_sub_f32_e32 v36, v37, v44
	v_add_f32_e32 v31, v31, v22
	v_mul_f32_e32 v36, 0x3fb8aa3b, v36
	v_exp_f32_e32 v37, v36
	v_add_f32_e32 v31, v31, v23
	v_cndmask_b32_e64 v36, 0, v30, s[20:21]
	v_add_f32_e32 v30, v31, v36
	v_sub_f32_e32 v31, v38, v44
	v_mul_f32_e32 v31, 0x3fb8aa3b, v31
	v_sub_f32_e32 v38, v39, v44
	v_exp_f32_e32 v31, v31
	v_mul_f32_e32 v38, 0x3fb8aa3b, v38
	v_exp_f32_e32 v38, v38
	v_mul_f32_e32 v32, 0x3fb8aa3b, v32
	v_sub_f32_e32 v33, v33, v44
	v_exp_f32_e32 v32, v32
	v_mul_f32_e32 v33, 0x3fb8aa3b, v33
	v_sub_f32_e32 v24, v24, v44
	v_cndmask_b32_e64 v37, 0, v37, s[22:23]
	v_exp_f32_e32 v33, v33
	v_mul_f32_e32 v24, 0x3fb8aa3b, v24
	v_sub_f32_e32 v25, v25, v44
	v_add_f32_e32 v39, v30, v37
	v_cndmask_b32_e64 v30, 0, v31, s[16:17]
	v_exp_f32_e32 v24, v24
	v_mul_f32_e32 v25, 0x3fb8aa3b, v25
	v_sub_f32_e32 v18, v18, v44
	v_add_f32_e32 v39, v39, v30
	v_cndmask_b32_e64 v31, 0, v38, s[18:19]
	v_exp_f32_e32 v25, v25
	v_mul_f32_e32 v18, 0x3fb8aa3b, v18
	v_sub_f32_e32 v19, v19, v44
	v_add_f32_e32 v38, v39, v31
	v_cndmask_b32_e64 v32, 0, v32, s[12:13]
	v_exp_f32_e32 v18, v18
	v_mul_f32_e32 v19, 0x3fb8aa3b, v19
	v_add_f32_e32 v38, v38, v32
	v_cndmask_b32_e64 v33, 0, v33, s[14:15]
	v_exp_f32_e32 v19, v19
	v_add_f32_e32 v38, v38, v33
	v_cndmask_b32_e64 v24, 0, v24, s[8:9]
	v_add_f32_e32 v38, v38, v24
	v_cndmask_b32_e64 v25, 0, v25, s[10:11]
	v_add_f32_e32 v38, v38, v25
	v_cndmask_b32_e32 v18, 0, v18, vcc
	v_add_f32_e32 v38, v38, v18
	v_cndmask_b32_e64 v19, 0, v19, s[6:7]
	v_add_f32_e32 v38, v38, v19
	ds_bpermute_b32 v39, v45, v38
	v_cmp_gt_u32_e32 vcc, 16, v43
	s_waitcnt lgkmcnt(0)
	s_barrier
	v_add_f32_e32 v38, v38, v39
	ds_bpermute_b32 v40, v48, v38
	v_lshlrev_b32_e32 v39, 2, v28
	s_and_saveexec_b64 s[4:5], vcc
	s_cbranch_execz .LBB914_13
; %bb.12:
	s_waitcnt lgkmcnt(0)
	v_add_f32_e32 v38, v38, v40
	v_lshl_or_b32 v40, v29, 6, v39
	ds_write2st64_b32 v40, v44, v38 offset1:1
.LBB914_13:
	s_or_b64 exec, exec, s[4:5]
	s_load_dword s6, s[0:1], 0x94
	s_waitcnt lgkmcnt(0)
	s_barrier
	ds_read2_b32 v[40:41], v39 offset1:16
	ds_read2_b32 v[44:45], v39 offset0:32 offset1:48
	ds_read2_b32 v[46:47], v39 offset0:64 offset1:80
	s_mul_i32 s7, s29, 7
	s_waitcnt lgkmcnt(2)
	v_max3_f32 v38, v40, s44, v41
	s_waitcnt lgkmcnt(1)
	v_max3_f32 v38, v38, v44, v45
	v_sub_f32_e32 v40, v40, v38
	v_mul_f32_e32 v40, 0x3fb8aa3b, v40
	v_exp_f32_e32 v43, v40
	v_sub_f32_e32 v40, v41, v38
	v_mul_f32_e32 v40, 0x3fb8aa3b, v40
	v_exp_f32_e32 v48, v40
	v_sub_f32_e32 v40, v44, v38
	v_mul_f32_e32 v40, 0x3fb8aa3b, v40
	v_exp_f32_e32 v44, v40
	ds_read2_b32 v[40:41], v39 offset0:96 offset1:112
	v_sub_f32_e32 v39, v45, v38
	v_mul_f32_e32 v39, 0x3fb8aa3b, v39
	v_exp_f32_e32 v45, v39
	s_waitcnt lgkmcnt(1)
	v_fma_f32 v39, v43, v46, 0
	v_fmac_f32_e32 v39, v48, v47
	s_waitcnt lgkmcnt(0)
	v_fmac_f32_e32 v39, v44, v40
	v_fmac_f32_e32 v39, v45, v41
	v_add_f32_e32 v40, 0x358637bd, v39
	v_div_scale_f32 v41, s[4:5], v40, v40, 1.0
	v_rcp_f32_e32 v46, v41
	s_barrier
	v_fma_f32 v47, -v41, v46, 1.0
	v_fmac_f32_e32 v46, v47, v46
	v_div_scale_f32 v47, vcc, 1.0, v40, 1.0
	v_mul_f32_e32 v49, v47, v46
	v_fma_f32 v50, -v41, v49, v47
	v_fmac_f32_e32 v49, v50, v46
	v_fma_f32 v41, -v41, v49, v47
	v_div_fmas_f32 v41, v41, v46, v49
	v_cmp_eq_u32_e32 vcc, 1, v29
	v_div_fixup_f32 v40, v41, v40, 1.0
	s_nop 0
	v_cndmask_b32_e32 v41, v43, v48, vcc
	v_cmp_eq_u32_e32 vcc, 2, v29
	s_nop 1
	v_cndmask_b32_e32 v41, v41, v44, vcc
	v_cmp_eq_u32_e32 vcc, 3, v29
	s_nop 1
	v_cndmask_b32_e32 v41, v41, v45, vcc
	v_mul_f32_e32 v40, v41, v40
	v_pk_mul_f32 v[34:35], v[40:41], v[34:35] op_sel_hi:[0,1]
	v_pk_mul_f32 v[20:21], v[40:41], v[20:21] op_sel_hi:[0,1]
	v_cvt_f16_f32_e32 v41, v34
	v_cvt_f16_f32_e32 v35, v35
	;; [unrolled: 1-line block ×4, first 2 shown]
	v_cmp_gt_u32_e32 vcc, 7, v0
	v_pack_b32_f16 v35, v41, v35
	v_lshlrev_b32_e32 v41, 3, v42
	v_pack_b32_f16 v34, v20, v21
	v_pk_mul_f32 v[20:21], v[40:41], v[36:37] op_sel_hi:[0,1]
	v_pk_mul_f32 v[22:23], v[40:41], v[22:23] op_sel_hi:[0,1]
	v_cvt_f16_f32_e32 v22, v22
	v_cvt_f16_f32_e32 v23, v23
	;; [unrolled: 1-line block ×4, first 2 shown]
	v_lshlrev_b32_e32 v20, 11, v29
	v_or3_b32 v20, v20, v27, v41
	v_pack_b32_f16 v22, v22, v23
	v_pack_b32_f16 v23, v36, v21
	ds_write2st64_b64 v20, v[34:35], v[22:23] offset1:1
	v_pk_mul_f32 v[22:23], v[40:41], v[32:33] op_sel_hi:[0,1]
	v_pk_mul_f32 v[30:31], v[40:41], v[30:31] op_sel_hi:[0,1]
	v_cvt_f16_f32_e32 v21, v30
	v_cvt_f16_f32_e32 v29, v31
	;; [unrolled: 1-line block ×4, first 2 shown]
	v_pk_mul_f32 v[18:19], v[40:41], v[18:19] op_sel_hi:[0,1]
	v_pk_mul_f32 v[22:23], v[40:41], v[24:25] op_sel_hi:[0,1]
	v_cvt_f16_f32_e32 v22, v22
	v_cvt_f16_f32_e32 v23, v23
	;; [unrolled: 1-line block ×4, first 2 shown]
	v_pack_b32_f16 v18, v21, v29
	v_pack_b32_f16 v19, v30, v31
	;; [unrolled: 1-line block ×4, first 2 shown]
	ds_write2st64_b64 v20, v[18:19], v[22:23] offset0:2 offset1:3
	s_and_saveexec_b64 s[4:5], vcc
	s_cbranch_execz .LBB914_15
; %bb.14:
	s_mov_b32 s49, 0
	v_mov_b32_e32 v29, 0
	v_lshl_add_u64 v[18:19], s[48:49], 0, v[28:29]
	v_mov_b32_e32 v21, s7
	v_mad_u64_u32 v[18:19], s[12:13], s2, v21, v[18:19]
	s_mul_i32 s3, s3, s7
	v_mov_b32_e32 v28, s28
	s_load_dwordx4 s[8:11], s[0:1], 0x58
	v_add_u32_e32 v21, s3, v19
	v_mad_u64_u32 v[18:19], s[12:13], v18, s6, v[28:29]
	v_mov_b32_e32 v22, v19
	v_mad_u64_u32 v[22:23], s[12:13], v21, s6, v[22:23]
	v_mov_b32_e32 v19, v22
	v_lshlrev_b64 v[18:19], 2, v[18:19]
	s_waitcnt lgkmcnt(0)
	v_lshl_add_u64 v[22:23], s[10:11], 0, v[18:19]
	v_lshl_add_u64 v[18:19], s[8:9], 0, v[18:19]
	global_store_dword v[22:23], v38, off
	global_store_dword v[18:19], v39, off
.LBB914_15:
	s_or_b64 exec, exec, s[4:5]
	s_waitcnt vmcnt(3)
	v_cvt_pk_f32_fp8_e32 v[18:19], v14
	v_cvt_pk_f32_fp8_sdwa v[22:23], v14 src0_sel:WORD_1
	v_cvt_pk_f32_fp8_e32 v[24:25], v15
	v_lshl_or_b32 v14, v42, 9, v27
	s_waitcnt lgkmcnt(0)
	s_barrier
	v_cvt_pkrtz_f16_f32 v18, v18, v19
	v_cvt_pkrtz_f16_f32 v19, v22, v23
	v_cvt_pk_f32_fp8_sdwa v[28:29], v15 src0_sel:WORD_1
	v_cvt_pkrtz_f16_f32 v36, v24, v25
	ds_read_b128 v[22:25], v14
	v_cvt_pk_f32_fp8_e32 v[38:39], v16
	v_cvt_pkrtz_f16_f32 v37, v28, v29
	ds_read_b128 v[28:31], v14 offset:16
	v_cvt_pk_f32_fp8_sdwa v[40:41], v16 src0_sel:WORD_1
	s_waitcnt lgkmcnt(1)
	v_mfma_f32_16x16x16_f16 v[32:35], v[18:19], v[22:23], 0
	v_cvt_pkrtz_f16_f32 v18, v38, v39
	v_cvt_pk_f32_fp8_e32 v[38:39], v17
	v_cvt_pkrtz_f16_f32 v19, v40, v41
	v_mfma_f32_16x16x16_f16 v[22:25], v[36:37], v[24:25], v[32:35]
	s_waitcnt vmcnt(2)
	v_cvt_pk_f32_fp8_sdwa v[36:37], v12 src0_sel:WORD_1
	s_load_dword s4, s[42:43], 0x0
	v_cmp_gt_u32_e32 vcc, 64, v0
	v_cvt_pk_f32_fp8_sdwa v[32:33], v17 src0_sel:WORD_1
	v_cvt_pkrtz_f16_f32 v34, v38, v39
	s_waitcnt lgkmcnt(0)
	v_mfma_f32_16x16x16_f16 v[16:19], v[18:19], v[28:29], v[22:25]
	v_cvt_pk_f32_fp8_e32 v[28:29], v11
	v_cvt_pkrtz_f16_f32 v35, v32, v33
	s_mov_b32 s3, 0
	v_cvt_pk_f32_fp8_e32 v[22:23], v10
	v_cvt_pk_f32_fp8_sdwa v[24:25], v10 src0_sel:WORD_1
	v_mfma_f32_16x16x16_f16 v[16:19], v[34:35], v[30:31], v[16:19]
	v_cvt_pkrtz_f16_f32 v10, v22, v23
	v_cvt_pk_f32_fp8_sdwa v[30:31], v11 src0_sel:WORD_1
	v_cvt_pkrtz_f16_f32 v11, v24, v25
	ds_read_b128 v[22:25], v14 offset:2048
	v_cvt_pkrtz_f16_f32 v32, v28, v29
	v_cvt_pkrtz_f16_f32 v33, v30, v31
	ds_read_b128 v[28:31], v14 offset:2064
	v_cvt_pk_f32_fp8_e32 v[34:35], v12
	s_waitcnt lgkmcnt(1)
	v_mfma_f32_16x16x16_f16 v[16:19], v[10:11], v[22:23], v[16:19]
	v_cvt_pkrtz_f16_f32 v11, v36, v37
	v_cvt_pk_f32_fp8_e32 v[22:23], v13
	v_cvt_pkrtz_f16_f32 v10, v34, v35
	v_mfma_f32_16x16x16_f16 v[16:19], v[32:33], v[24:25], v[16:19]
	v_cvt_pk_f32_fp8_sdwa v[24:25], v13 src0_sel:WORD_1
	v_cvt_pkrtz_f16_f32 v22, v22, v23
	s_waitcnt vmcnt(1)
	v_cvt_pk_f32_fp8_sdwa v[32:33], v8 src0_sel:WORD_1
	s_waitcnt lgkmcnt(0)
	v_mfma_f32_16x16x16_f16 v[10:13], v[10:11], v[28:29], v[16:19]
	v_cvt_pkrtz_f16_f32 v23, v24, v25
	v_cvt_pk_f32_fp8_sdwa v[24:25], v7 src0_sel:WORD_1
	v_mov_b32_e32 v27, 0
	v_cvt_pk_f32_fp8_e32 v[16:17], v6
	v_cvt_pk_f32_fp8_sdwa v[18:19], v6 src0_sel:WORD_1
	v_mfma_f32_16x16x16_f16 v[10:13], v[22:23], v[30:31], v[10:13]
	v_cvt_pk_f32_fp8_e32 v[22:23], v7
	v_cvt_pkrtz_f16_f32 v6, v16, v17
	v_cvt_pkrtz_f16_f32 v7, v18, v19
	ds_read_b128 v[16:19], v14 offset:4096
	v_cvt_pkrtz_f16_f32 v28, v22, v23
	v_cvt_pkrtz_f16_f32 v29, v24, v25
	ds_read_b128 v[22:25], v14 offset:4112
	v_cvt_pk_f32_fp8_e32 v[30:31], v8
	s_waitcnt lgkmcnt(1)
	v_mfma_f32_16x16x16_f16 v[10:13], v[6:7], v[16:17], v[10:13]
	v_cvt_pkrtz_f16_f32 v7, v32, v33
	v_cvt_pk_f32_fp8_e32 v[16:17], v9
	v_cvt_pkrtz_f16_f32 v6, v30, v31
	v_mfma_f32_16x16x16_f16 v[10:13], v[28:29], v[18:19], v[10:13]
	v_cvt_pk_f32_fp8_sdwa v[18:19], v9 src0_sel:WORD_1
	v_cvt_pkrtz_f16_f32 v16, v16, v17
	v_cvt_pkrtz_f16_f32 v17, v18, v19
	s_waitcnt lgkmcnt(0)
	v_mfma_f32_16x16x16_f16 v[6:9], v[6:7], v[22:23], v[10:13]
	s_waitcnt vmcnt(0)
	v_cvt_pk_f32_fp8_sdwa v[18:19], v3 src0_sel:WORD_1
	s_nop 0
	v_cvt_pkrtz_f16_f32 v23, v18, v19
	v_cvt_pk_f32_fp8_e32 v[10:11], v2
	v_cvt_pk_f32_fp8_sdwa v[12:13], v2 src0_sel:WORD_1
	v_mfma_f32_16x16x16_f16 v[6:9], v[16:17], v[24:25], v[6:9]
	v_cvt_pk_f32_fp8_e32 v[16:17], v3
	v_cvt_pkrtz_f16_f32 v2, v10, v11
	v_cvt_pkrtz_f16_f32 v3, v12, v13
	ds_read_b128 v[10:13], v14 offset:6144
	v_cvt_pkrtz_f16_f32 v22, v16, v17
	v_cvt_pk_f32_fp8_e32 v[18:19], v4
	v_cvt_pk_f32_fp8_sdwa v[24:25], v4 src0_sel:WORD_1
	s_waitcnt lgkmcnt(0)
	v_mfma_f32_16x16x16_f16 v[6:9], v[2:3], v[10:11], v[6:9]
	ds_read_b128 v[14:17], v14 offset:6160
	v_cvt_pkrtz_f16_f32 v2, v18, v19
	v_cvt_pkrtz_f16_f32 v3, v24, v25
	v_cvt_pk_f32_fp8_e32 v[10:11], v5
	v_mfma_f32_16x16x16_f16 v[6:9], v[22:23], v[12:13], v[6:9]
	v_cvt_pk_f32_fp8_sdwa v[12:13], v5 src0_sel:WORD_1
	s_waitcnt lgkmcnt(0)
	v_cvt_pkrtz_f16_f32 v10, v10, v11
	v_mfma_f32_16x16x16_f16 v[2:5], v[2:3], v[14:15], v[6:9]
	v_cvt_pkrtz_f16_f32 v11, v12, v13
	s_barrier
	s_nop 0
	v_mfma_f32_16x16x16_f16 v[2:5], v[10:11], v[16:17], v[2:5]
	s_nop 6
	v_pk_mul_f32 v[4:5], v[4:5], s[4:5] op_sel_hi:[1,0]
	v_pk_mul_f32 v[2:3], v[2:3], s[4:5] op_sel_hi:[1,0]
	v_cvt_f16_f32_e32 v4, v4
	v_cvt_f16_f32_e32 v2, v2
	;; [unrolled: 1-line block ×4, first 2 shown]
	s_and_b64 s[4:5], vcc, s[30:31]
	v_pack_b32_f16 v2, v2, v3
	v_pack_b32_f16 v3, v4, v5
	ds_write_b64 v20, v[2:3]
	s_waitcnt lgkmcnt(0)
	s_barrier
	s_and_saveexec_b64 s[8:9], s[4:5]
	s_cbranch_execz .LBB914_18
; %bb.16:
	s_load_dwordx2 s[4:5], s[0:1], 0x68
	s_lshl_b32 s0, s6, 6
	s_mul_i32 s1, s7, s2
	s_mul_hi_u32 s7, s1, s0
	s_mul_i32 s6, s1, s0
	v_lshlrev_b32_e32 v0, 10, v0
	s_lshl_b64 s[6:7], s[6:7], 1
	v_and_b32_e32 v0, 0x1800, v0
	v_lshlrev_b32_e32 v2, 5, v42
	v_and_b32_e32 v1, 16, v1
	s_waitcnt lgkmcnt(0)
	s_add_u32 s1, s4, s6
	v_or3_b32 v2, v0, v2, v1
	s_addc_u32 s4, s5, s7
	s_lshl_b32 s2, s28, 6
	s_lshl_b64 s[2:3], s[2:3], 1
	ds_read_b128 v[4:7], v2
	s_add_u32 s2, s1, s2
	s_addc_u32 s3, s4, s3
	v_add_u32_e32 v3, s48, v42
	v_lshl_add_u64 v[0:1], s[2:3], 0, v[26:27]
	v_mad_u64_u32 v[8:9], s[2:3], v3, s0, 0
	v_lshl_add_u64 v[8:9], v[8:9], 1, v[0:1]
	v_cmp_ne_u32_e32 vcc, 3, v42
	s_waitcnt lgkmcnt(0)
	global_store_dwordx4 v[8:9], v[4:7], off
	s_and_b64 exec, exec, vcc
	s_cbranch_execz .LBB914_18
; %bb.17:
	ds_read_b128 v[2:5], v2 offset:128
	v_add3_u32 v6, s48, v42, 4
	v_mad_u64_u32 v[6:7], s[0:1], v6, s0, 0
	v_lshl_add_u64 v[0:1], v[6:7], 1, v[0:1]
	s_waitcnt lgkmcnt(0)
	global_store_dwordx4 v[0:1], v[2:5], off
.LBB914_18:
	s_endpgm
	.section	.rodata,"a",@progbits
	.p2align	6, 0x0
	.amdhsa_kernel _Z39paged_attention_ll4mi_QKV_mfma16_kernelIDF16_hLN4vllm18Fp8KVCacheDataTypeE1EDF16_Li32ELi64ELi256ELb0ELi7EEvPKT_PKT0_S7_ifPKiS9_S9_iPKfiiiPfSC_PS2_PT2_iSB_SB_
		.amdhsa_group_segment_fixed_size 8192
		.amdhsa_private_segment_fixed_size 0
		.amdhsa_kernarg_size 400
		.amdhsa_user_sgpr_count 2
		.amdhsa_user_sgpr_dispatch_ptr 0
		.amdhsa_user_sgpr_queue_ptr 0
		.amdhsa_user_sgpr_kernarg_segment_ptr 1
		.amdhsa_user_sgpr_dispatch_id 0
		.amdhsa_user_sgpr_kernarg_preload_length 0
		.amdhsa_user_sgpr_kernarg_preload_offset 0
		.amdhsa_user_sgpr_private_segment_size 0
		.amdhsa_uses_dynamic_stack 0
		.amdhsa_enable_private_segment 0
		.amdhsa_system_sgpr_workgroup_id_x 1
		.amdhsa_system_sgpr_workgroup_id_y 1
		.amdhsa_system_sgpr_workgroup_id_z 1
		.amdhsa_system_sgpr_workgroup_info 0
		.amdhsa_system_vgpr_workitem_id 0
		.amdhsa_next_free_vgpr 54
		.amdhsa_next_free_sgpr 50
		.amdhsa_accum_offset 56
		.amdhsa_reserve_vcc 1
		.amdhsa_float_round_mode_32 0
		.amdhsa_float_round_mode_16_64 0
		.amdhsa_float_denorm_mode_32 3
		.amdhsa_float_denorm_mode_16_64 3
		.amdhsa_dx10_clamp 1
		.amdhsa_ieee_mode 1
		.amdhsa_fp16_overflow 0
		.amdhsa_tg_split 0
		.amdhsa_exception_fp_ieee_invalid_op 0
		.amdhsa_exception_fp_denorm_src 0
		.amdhsa_exception_fp_ieee_div_zero 0
		.amdhsa_exception_fp_ieee_overflow 0
		.amdhsa_exception_fp_ieee_underflow 0
		.amdhsa_exception_fp_ieee_inexact 0
		.amdhsa_exception_int_div_zero 0
	.end_amdhsa_kernel
	.section	.text._Z39paged_attention_ll4mi_QKV_mfma16_kernelIDF16_hLN4vllm18Fp8KVCacheDataTypeE1EDF16_Li32ELi64ELi256ELb0ELi7EEvPKT_PKT0_S7_ifPKiS9_S9_iPKfiiiPfSC_PS2_PT2_iSB_SB_,"axG",@progbits,_Z39paged_attention_ll4mi_QKV_mfma16_kernelIDF16_hLN4vllm18Fp8KVCacheDataTypeE1EDF16_Li32ELi64ELi256ELb0ELi7EEvPKT_PKT0_S7_ifPKiS9_S9_iPKfiiiPfSC_PS2_PT2_iSB_SB_,comdat
.Lfunc_end914:
	.size	_Z39paged_attention_ll4mi_QKV_mfma16_kernelIDF16_hLN4vllm18Fp8KVCacheDataTypeE1EDF16_Li32ELi64ELi256ELb0ELi7EEvPKT_PKT0_S7_ifPKiS9_S9_iPKfiiiPfSC_PS2_PT2_iSB_SB_, .Lfunc_end914-_Z39paged_attention_ll4mi_QKV_mfma16_kernelIDF16_hLN4vllm18Fp8KVCacheDataTypeE1EDF16_Li32ELi64ELi256ELb0ELi7EEvPKT_PKT0_S7_ifPKiS9_S9_iPKfiiiPfSC_PS2_PT2_iSB_SB_
                                        ; -- End function
	.section	.AMDGPU.csdata,"",@progbits
; Kernel info:
; codeLenInByte = 4680
; NumSgprs: 56
; NumVgprs: 54
; NumAgprs: 0
; TotalNumVgprs: 54
; ScratchSize: 0
; MemoryBound: 0
; FloatMode: 240
; IeeeMode: 1
; LDSByteSize: 8192 bytes/workgroup (compile time only)
; SGPRBlocks: 6
; VGPRBlocks: 6
; NumSGPRsForWavesPerEU: 56
; NumVGPRsForWavesPerEU: 54
; AccumOffset: 56
; Occupancy: 8
; WaveLimiterHint : 1
; COMPUTE_PGM_RSRC2:SCRATCH_EN: 0
; COMPUTE_PGM_RSRC2:USER_SGPR: 2
; COMPUTE_PGM_RSRC2:TRAP_HANDLER: 0
; COMPUTE_PGM_RSRC2:TGID_X_EN: 1
; COMPUTE_PGM_RSRC2:TGID_Y_EN: 1
; COMPUTE_PGM_RSRC2:TGID_Z_EN: 1
; COMPUTE_PGM_RSRC2:TIDIG_COMP_CNT: 0
; COMPUTE_PGM_RSRC3_GFX90A:ACCUM_OFFSET: 13
; COMPUTE_PGM_RSRC3_GFX90A:TG_SPLIT: 0
	.section	.text._Z39paged_attention_ll4mi_QKV_mfma16_kernelIDF16_hLN4vllm18Fp8KVCacheDataTypeE1EDF16_Li32ELi64ELi256ELb0ELi8EEvPKT_PKT0_S7_ifPKiS9_S9_iPKfiiiPfSC_PS2_PT2_iSB_SB_,"axG",@progbits,_Z39paged_attention_ll4mi_QKV_mfma16_kernelIDF16_hLN4vllm18Fp8KVCacheDataTypeE1EDF16_Li32ELi64ELi256ELb0ELi8EEvPKT_PKT0_S7_ifPKiS9_S9_iPKfiiiPfSC_PS2_PT2_iSB_SB_,comdat
	.protected	_Z39paged_attention_ll4mi_QKV_mfma16_kernelIDF16_hLN4vllm18Fp8KVCacheDataTypeE1EDF16_Li32ELi64ELi256ELb0ELi8EEvPKT_PKT0_S7_ifPKiS9_S9_iPKfiiiPfSC_PS2_PT2_iSB_SB_ ; -- Begin function _Z39paged_attention_ll4mi_QKV_mfma16_kernelIDF16_hLN4vllm18Fp8KVCacheDataTypeE1EDF16_Li32ELi64ELi256ELb0ELi8EEvPKT_PKT0_S7_ifPKiS9_S9_iPKfiiiPfSC_PS2_PT2_iSB_SB_
	.globl	_Z39paged_attention_ll4mi_QKV_mfma16_kernelIDF16_hLN4vllm18Fp8KVCacheDataTypeE1EDF16_Li32ELi64ELi256ELb0ELi8EEvPKT_PKT0_S7_ifPKiS9_S9_iPKfiiiPfSC_PS2_PT2_iSB_SB_
	.p2align	8
	.type	_Z39paged_attention_ll4mi_QKV_mfma16_kernelIDF16_hLN4vllm18Fp8KVCacheDataTypeE1EDF16_Li32ELi64ELi256ELb0ELi8EEvPKT_PKT0_S7_ifPKiS9_S9_iPKfiiiPfSC_PS2_PT2_iSB_SB_,@function
_Z39paged_attention_ll4mi_QKV_mfma16_kernelIDF16_hLN4vllm18Fp8KVCacheDataTypeE1EDF16_Li32ELi64ELi256ELb0ELi8EEvPKT_PKT0_S7_ifPKiS9_S9_iPKfiiiPfSC_PS2_PT2_iSB_SB_: ; @_Z39paged_attention_ll4mi_QKV_mfma16_kernelIDF16_hLN4vllm18Fp8KVCacheDataTypeE1EDF16_Li32ELi64ELi256ELb0ELi8EEvPKT_PKT0_S7_ifPKiS9_S9_iPKfiiiPfSC_PS2_PT2_iSB_SB_
; %bb.0:
	s_load_dwordx2 s[12:13], s[0:1], 0x30
	s_mov_b32 s28, s3
	s_mov_b64 s[6:7], 0
	s_waitcnt lgkmcnt(0)
	s_cmp_lg_u64 s[12:13], 0
	s_cselect_b64 s[14:15], -1, 0
	s_and_b64 vcc, exec, s[14:15]
	s_cbranch_vccz .LBB915_7
; %bb.1:
	s_add_i32 s8, s2, 1
	s_mov_b32 s9, 0
	s_lshl_b64 s[10:11], s[8:9], 2
	s_add_u32 s10, s12, s10
	s_mov_b32 s3, s9
	s_addc_u32 s11, s13, s11
	s_lshl_b64 s[8:9], s[2:3], 2
	s_add_u32 s8, s12, s8
	s_addc_u32 s9, s13, s9
	s_load_dword s5, s[10:11], 0x0
	s_load_dword s16, s[8:9], 0x0
	s_waitcnt lgkmcnt(0)
	s_sub_i32 s5, s5, s16
	s_cmp_eq_u32 s5, 1
	s_cselect_b64 s[8:9], -1, 0
	s_andn2_b64 vcc, exec, s[6:7]
	s_cbranch_vccnz .LBB915_3
.LBB915_2:
	s_mov_b32 s3, 0
	s_mov_b64 s[8:9], -1
.LBB915_3:
	s_andn2_b64 vcc, exec, s[8:9]
	s_cbranch_vccnz .LBB915_17
; %bb.4:
	s_load_dwordx2 s[6:7], s[0:1], 0x28
	s_lshl_b64 s[16:17], s[2:3], 2
	s_waitcnt lgkmcnt(0)
	s_add_u32 s6, s6, s16
	s_addc_u32 s7, s7, s17
	s_load_dword s48, s[6:7], 0x0
	s_lshl_b32 s5, s28, 8
	s_waitcnt lgkmcnt(0)
	s_cmp_ge_i32 s5, s48
	s_cbranch_scc1 .LBB915_17
; %bb.5:
	s_load_dwordx2 s[6:7], s[0:1], 0x20
	s_load_dword s8, s[0:1], 0x38
	s_add_i32 s9, s48, 31
	s_ashr_i32 s10, s9, 31
	v_and_b32_e32 v1, 0xcf, v0
	s_lshr_b32 s10, s10, 27
	v_add_u32_e32 v1, s5, v1
	s_add_i32 s9, s9, s10
	v_ashrrev_i32_e32 v2, 31, v1
	s_ashr_i32 s18, s9, 5
	v_lshrrev_b32_e32 v4, 27, v2
	s_add_i32 s18, s18, -1
	s_waitcnt lgkmcnt(0)
	s_mul_i32 s8, s2, s8
	s_mov_b32 s9, 0
	v_add_u32_e32 v2, v1, v4
	s_lshl_b64 s[8:9], s[8:9], 2
	v_ashrrev_i32_e32 v2, 5, v2
	v_mov_b32_e32 v5, s18
	v_cmp_gt_i32_e32 vcc, s48, v1
	s_add_u32 s6, s6, s8
	s_addc_u32 s7, s7, s9
	v_cndmask_b32_e32 v2, v5, v2, vcc
	v_ashrrev_i32_e32 v3, 31, v2
	v_lshl_add_u64 v[6:7], v[2:3], 2, s[6:7]
	v_or_b32_e32 v2, 16, v1
	v_add_u32_e32 v3, v2, v4
	v_ashrrev_i32_e32 v3, 5, v3
	v_cmp_gt_i32_e32 vcc, s48, v2
	s_load_dwordx4 s[8:11], s[0:1], 0x8
	s_nop 0
	v_cndmask_b32_e32 v2, v5, v3, vcc
	v_ashrrev_i32_e32 v3, 31, v2
	v_lshl_add_u64 v[8:9], v[2:3], 2, s[6:7]
	v_or_b32_e32 v2, 32, v1
	v_add_u32_e32 v3, v2, v4
	v_ashrrev_i32_e32 v3, 5, v3
	v_cmp_gt_i32_e32 vcc, s48, v2
	v_or_b32_e32 v1, 48, v1
	s_nop 0
	v_cndmask_b32_e32 v2, v5, v3, vcc
	v_ashrrev_i32_e32 v3, 31, v2
	v_lshl_add_u64 v[10:11], v[2:3], 2, s[6:7]
	v_add_u32_e32 v2, v1, v4
	v_ashrrev_i32_e32 v2, 5, v2
	v_cmp_gt_i32_e32 vcc, s48, v1
	s_nop 1
	v_cndmask_b32_e32 v2, v5, v2, vcc
	v_ashrrev_i32_e32 v3, 31, v2
	v_lshl_add_u64 v[12:13], v[2:3], 2, s[6:7]
	global_load_dword v2, v[6:7], off
	global_load_dword v5, v[8:9], off
	;; [unrolled: 1-line block ×4, first 2 shown]
	s_andn2_b64 vcc, exec, s[14:15]
	s_cbranch_vccnz .LBB915_8
; %bb.6:
	s_add_u32 s12, s12, s16
	s_addc_u32 s13, s13, s17
	s_load_dword s14, s[12:13], 0x0
	s_branch .LBB915_9
.LBB915_7:
	s_mov_b64 s[8:9], 0
	s_branch .LBB915_2
.LBB915_8:
	s_mov_b32 s14, s2
.LBB915_9:
	s_load_dwordx4 s[44:47], s[0:1], 0x48
	v_and_b32_e32 v43, 15, v0
	s_movk_i32 s12, 0x80
	v_lshlrev_b32_e32 v3, 3, v43
	v_cmp_gt_u32_e32 vcc, s12, v0
	v_cmp_gt_u32_e64 s[30:31], 8, v43
	v_lshrrev_b32_e32 v41, 6, v0
	v_and_b32_e32 v42, 63, v0
	v_bfe_u32 v1, v0, 4, 2
	s_lshl_b32 s29, s4, 3
	s_and_b64 s[16:17], vcc, s[30:31]
	v_lshlrev_b32_e32 v26, 1, v3
	v_lshlrev_b32_e32 v40, 4, v0
	s_and_saveexec_b64 s[12:13], s[16:17]
	s_cbranch_execz .LBB915_11
; %bb.10:
	s_load_dwordx2 s[16:17], s[0:1], 0x0
	s_waitcnt lgkmcnt(0)
	s_ashr_i32 s15, s44, 31
	s_mul_hi_u32 s19, s14, s44
	s_mul_i32 s15, s14, s15
	s_add_i32 s15, s19, s15
	s_mul_i32 s14, s14, s44
	v_lshl_or_b32 v3, v41, 2, v1
	s_lshl_b64 s[14:15], s[14:15], 1
	s_add_u32 s14, s16, s14
	v_add_lshl_u32 v6, v3, s29, 6
	s_addc_u32 s15, s17, s15
	v_ashrrev_i32_e32 v7, 31, v6
	v_lshl_add_u64 v[6:7], v[6:7], 1, s[14:15]
	v_mov_b32_e32 v27, 0
	v_lshl_add_u64 v[6:7], v[6:7], 0, v[26:27]
	global_load_dwordx4 v[6:9], v[6:7], off
	v_lshlrev_b32_e32 v11, 8, v43
	v_lshlrev_b32_e32 v3, 5, v3
	v_and_b32_e32 v10, 16, v40
	v_and_b32_e32 v11, 0xe00, v11
	v_or3_b32 v3, v11, v3, v10
	s_waitcnt vmcnt(0)
	ds_write_b128 v3, v[6:9]
.LBB915_11:
	s_or_b64 exec, exec, s[12:13]
	s_waitcnt lgkmcnt(0)
	s_mul_i32 s4, s4, s46
	s_add_u32 s8, s8, s4
	s_addc_u32 s9, s9, 0
	v_mov_b32_e32 v29, 0
	v_mov_b64_e32 v[14:15], s[8:9]
	v_and_b32_e32 v8, 48, v0
	s_waitcnt vmcnt(3)
	v_mad_i64_i32 v[6:7], s[8:9], v2, s45, v[14:15]
	v_lshlrev_b32_e32 v2, 4, v43
	v_mov_b32_e32 v3, v29
	v_lshlrev_b32_e32 v28, 5, v8
	v_lshl_add_u64 v[6:7], v[6:7], 0, v[2:3]
	v_lshl_add_u64 v[6:7], v[6:7], 0, v[28:29]
	s_load_dword s33, s[0:1], 0x98
	s_load_dwordx4 s[40:43], s[0:1], 0x80
	s_waitcnt lgkmcnt(0)
	s_barrier
	global_load_dwordx4 v[18:21], v[6:7], off
	s_waitcnt vmcnt(3)
	v_mad_i64_i32 v[6:7], s[8:9], v5, s45, v[14:15]
	v_or_b32_e32 v16, 0x100, v2
	v_mov_b32_e32 v17, v29
	v_lshl_add_u64 v[6:7], v[6:7], 0, v[16:17]
	v_lshl_add_u64 v[6:7], v[6:7], 0, v[28:29]
	global_load_dwordx4 v[10:13], v[6:7], off
	s_ashr_i32 s8, s5, 31
	v_or_b32_e32 v8, s5, v8
	s_lshr_b32 s12, s8, 27
	v_add_u32_e32 v5, s12, v8
	v_ashrrev_i32_e32 v5, 5, v5
	v_mov_b32_e32 v31, s18
	v_cmp_gt_i32_e32 vcc, s48, v8
	v_or_b32_e32 v33, 64, v8
	v_or_b32_e32 v34, 0x80, v8
	v_cndmask_b32_e32 v6, v31, v5, vcc
	v_and_b32_e32 v5, 7, v0
	v_lshlrev_b32_e32 v5, 5, v5
	v_lshl_or_b32 v32, v1, 9, v5
	s_waitcnt vmcnt(3)
	v_mad_i64_i32 v[4:5], s[8:9], v4, s45, v[14:15]
	v_lshl_add_u64 v[2:3], v[4:5], 0, v[2:3]
	v_lshl_add_u64 v[2:3], v[2:3], 0, v[28:29]
	global_load_dwordx4 v[22:25], v[2:3], off
	v_ashrrev_i32_e32 v7, 31, v6
	v_lshl_add_u64 v[6:7], v[6:7], 2, s[6:7]
	s_waitcnt vmcnt(3)
	v_mad_i64_i32 v[14:15], s[8:9], v30, s45, v[14:15]
	v_add_u32_e32 v30, s12, v33
	global_load_dword v47, v[6:7], off
	v_or_b32_e32 v35, 0xc0, v8
	ds_read_b128 v[6:9], v32
	ds_read_b128 v[2:5], v32 offset:16
	v_add_u32_e32 v32, s12, v34
	v_lshl_add_u64 v[14:15], v[14:15], 0, v[16:17]
	v_ashrrev_i32_e32 v16, 5, v30
	v_cmp_gt_i32_e32 vcc, s48, v33
	v_ashrrev_i32_e32 v17, 5, v32
	v_lshl_add_u64 v[14:15], v[14:15], 0, v[28:29]
	v_cndmask_b32_e32 v30, v31, v16, vcc
	v_cmp_gt_i32_e32 vcc, s48, v34
	v_add_u32_e32 v36, s12, v35
	v_ashrrev_i32_e32 v36, 5, v36
	v_cndmask_b32_e32 v32, v31, v17, vcc
	global_load_dwordx4 v[14:17], v[14:15], off
	v_cmp_gt_i32_e32 vcc, s48, v35
	v_ashrrev_i32_e32 v33, 31, v32
	v_lshl_add_u64 v[32:33], v[32:33], 2, s[6:7]
	v_cndmask_b32_e32 v34, v31, v36, vcc
	v_ashrrev_i32_e32 v31, 31, v30
	v_ashrrev_i32_e32 v35, 31, v34
	v_lshl_add_u64 v[30:31], v[30:31], 2, s[6:7]
	s_add_u32 s8, s10, s4
	s_load_dword s4, s[40:41], 0x0
	v_lshl_add_u64 v[34:35], v[34:35], 2, s[6:7]
	global_load_dword v46, v[30:31], off
	global_load_dword v44, v[32:33], off
	;; [unrolled: 1-line block ×3, first 2 shown]
	v_lshlrev_b32_e32 v27, 5, v43
	s_addc_u32 s9, s11, 0
	v_and_b32_e32 v28, 16, v0
	v_lshl_add_u64 v[36:37], s[8:9], 0, v[28:29]
	v_lshl_or_b32 v28, v41, 9, v27
	v_lshl_add_u64 v[28:29], v[36:37], 0, v[28:29]
	s_load_dword s13, s[0:1], 0x1c
	s_mov_b32 s44, 0xff7fffff
	s_waitcnt vmcnt(7)
	v_cvt_pk_f32_fp8_e32 v[30:31], v18
	v_cvt_pk_f32_fp8_sdwa v[32:33], v18 src0_sel:WORD_1
	v_cvt_pk_f32_fp8_e32 v[34:35], v19
	v_cvt_pk_f32_fp8_sdwa v[18:19], v19 src0_sel:WORD_1
	v_cvt_pkrtz_f16_f32 v30, v30, v31
	v_cvt_pkrtz_f16_f32 v31, v32, v33
	v_cvt_pk_f32_fp8_e32 v[36:37], v20
	v_cvt_pk_f32_fp8_sdwa v[38:39], v20 src0_sel:WORD_1
	v_cvt_pkrtz_f16_f32 v34, v34, v35
	v_cvt_pkrtz_f16_f32 v35, v18, v19
	s_waitcnt lgkmcnt(0)
	v_mfma_f32_16x16x16_f16 v[30:33], v[30:31], v[6:7], 0
	v_cvt_pkrtz_f16_f32 v36, v36, v37
	v_cvt_pkrtz_f16_f32 v37, v38, v39
	v_cvt_pk_f32_fp8_e32 v[48:49], v21
	v_cvt_pk_f32_fp8_sdwa v[50:51], v21 src0_sel:WORD_1
	v_mfma_f32_16x16x16_f16 v[18:21], v[34:35], v[8:9], v[30:33]
	s_waitcnt vmcnt(6)
	v_cvt_pk_f32_fp8_e32 v[34:35], v10
	v_cvt_pkrtz_f16_f32 v38, v48, v49
	v_cvt_pkrtz_f16_f32 v39, v50, v51
	v_mfma_f32_16x16x16_f16 v[30:33], v[36:37], v[2:3], v[18:21]
	v_cvt_pk_f32_fp8_e32 v[36:37], v11
	v_cvt_pkrtz_f16_f32 v34, v34, v35
	v_cvt_pk_f32_fp8_sdwa v[48:49], v12 src0_sel:WORD_1
	v_cvt_pk_f32_fp8_sdwa v[20:21], v10 src0_sel:WORD_1
	v_cvt_pk_f32_fp8_sdwa v[10:11], v11 src0_sel:WORD_1
	v_mfma_f32_16x16x16_f16 v[30:33], v[38:39], v[4:5], v[30:33]
	v_cvt_pk_f32_fp8_e32 v[38:39], v12
	v_cvt_pkrtz_f16_f32 v35, v20, v21
	v_cvt_pkrtz_f16_f32 v20, v36, v37
	;; [unrolled: 1-line block ×3, first 2 shown]
	v_mfma_f32_16x16x16_f16 v[34:37], v[34:35], v[6:7], 0
	v_cvt_pkrtz_f16_f32 v38, v38, v39
	v_cvt_pkrtz_f16_f32 v39, v48, v49
	v_cvt_pk_f32_fp8_e32 v[48:49], v13
	v_cvt_pk_f32_fp8_sdwa v[50:51], v13 src0_sel:WORD_1
	v_mfma_f32_16x16x16_f16 v[10:13], v[20:21], v[8:9], v[34:37]
	s_waitcnt vmcnt(4)
	v_mad_i64_i32 v[18:19], s[6:7], v47, s45, v[28:29]
	v_cvt_pkrtz_f16_f32 v20, v48, v49
	v_mov_b32_e32 v34, s13
	v_cvt_pkrtz_f16_f32 v21, v50, v51
	v_mfma_f32_16x16x16_f16 v[10:13], v[38:39], v[2:3], v[10:13]
	v_mul_f32_e32 v52, s4, v34
	v_cvt_pk_f32_fp8_e32 v[34:35], v22
	v_cvt_pk_f32_fp8_sdwa v[36:37], v22 src0_sel:WORD_1
	v_mfma_f32_16x16x16_f16 v[10:13], v[20:21], v[4:5], v[10:13]
	v_cvt_pk_f32_fp8_e32 v[20:21], v23
	v_cvt_pkrtz_f16_f32 v34, v34, v35
	v_cvt_pkrtz_f16_f32 v35, v36, v37
	v_cvt_pk_f32_fp8_sdwa v[22:23], v23 src0_sel:WORD_1
	v_cvt_pkrtz_f16_f32 v36, v20, v21
	v_cvt_pk_f32_fp8_e32 v[38:39], v24
	v_cvt_pk_f32_fp8_sdwa v[48:49], v24 src0_sel:WORD_1
	v_cvt_pkrtz_f16_f32 v37, v22, v23
	v_mfma_f32_16x16x16_f16 v[20:23], v[34:35], v[6:7], 0
	v_cvt_pkrtz_f16_f32 v38, v38, v39
	v_cvt_pkrtz_f16_f32 v39, v48, v49
	v_cvt_pk_f32_fp8_e32 v[48:49], v25
	v_cvt_pk_f32_fp8_sdwa v[24:25], v25 src0_sel:WORD_1
	v_mfma_f32_16x16x16_f16 v[34:37], v[36:37], v[8:9], v[20:23]
	s_nop 2
	v_cvt_pkrtz_f16_f32 v20, v48, v49
	v_cvt_pkrtz_f16_f32 v21, v24, v25
	v_pk_mul_f32 v[22:23], v[52:53], v[32:33] op_sel_hi:[0,1]
	v_mfma_f32_16x16x16_f16 v[34:37], v[38:39], v[2:3], v[34:37]
	v_pk_mul_f32 v[32:33], v[52:53], v[30:31] op_sel_hi:[0,1]
	s_waitcnt vmcnt(3)
	v_cvt_pk_f32_fp8_e32 v[24:25], v14
	v_cvt_pk_f32_fp8_sdwa v[30:31], v14 src0_sel:WORD_1
	v_mfma_f32_16x16x16_f16 v[48:51], v[20:21], v[4:5], v[34:37]
	v_cvt_pk_f32_fp8_e32 v[20:21], v15
	v_cvt_pkrtz_f16_f32 v24, v24, v25
	v_cvt_pkrtz_f16_f32 v25, v30, v31
	v_cvt_pk_f32_fp8_sdwa v[14:15], v15 src0_sel:WORD_1
	v_cvt_pkrtz_f16_f32 v20, v20, v21
	v_cvt_pk_f32_fp8_e32 v[30:31], v16
	v_cvt_pk_f32_fp8_sdwa v[38:39], v16 src0_sel:WORD_1
	v_cvt_pkrtz_f16_f32 v21, v14, v15
	v_mfma_f32_16x16x16_f16 v[34:37], v[24:25], v[6:7], 0
	v_cvt_pkrtz_f16_f32 v14, v30, v31
	v_cvt_pkrtz_f16_f32 v15, v38, v39
	v_cvt_pk_f32_fp8_e32 v[24:25], v17
	v_cvt_pk_f32_fp8_sdwa v[16:17], v17 src0_sel:WORD_1
	v_mfma_f32_16x16x16_f16 v[6:9], v[20:21], v[8:9], v[34:37]
	v_pk_mul_f32 v[38:39], v[52:53], v[10:11] op_sel_hi:[0,1]
	v_pk_mul_f32 v[30:31], v[52:53], v[50:51] op_sel_hi:[0,1]
	s_nop 0
	v_pk_mul_f32 v[34:35], v[52:53], v[12:13] op_sel_hi:[0,1]
	v_cvt_pkrtz_f16_f32 v12, v24, v25
	v_cvt_pkrtz_f16_f32 v13, v16, v17
	v_mfma_f32_16x16x16_f16 v[6:9], v[14:15], v[2:3], v[6:9]
	v_pk_mul_f32 v[36:37], v[52:53], v[48:49] op_sel_hi:[0,1]
	v_mfma_f32_16x16x16_f16 v[2:5], v[12:13], v[4:5], v[6:9]
	s_nop 6
	v_pk_mul_f32 v[24:25], v[52:53], v[2:3] op_sel_hi:[0,1]
	v_and_b32_e32 v2, 0xc0, v0
	v_add_u32_e32 v2, s5, v2
	v_lshl_or_b32 v2, v1, 2, v2
	v_pk_mul_f32 v[20:21], v[52:53], v[4:5] op_sel_hi:[0,1]
	v_or_b32_e32 v5, 1, v2
	v_mov_b32_e32 v3, 0xff7fffff
	v_cmp_gt_i32_e64 s[4:5], s48, v2
	v_cmp_gt_i32_e64 s[34:35], s48, v5
	v_or_b32_e32 v6, 3, v2
	v_cndmask_b32_e64 v4, v3, v32, s[4:5]
	v_cndmask_b32_e64 v5, v3, v33, s[34:35]
	v_max3_f32 v4, v4, s44, v5
	v_or_b32_e32 v5, 2, v2
	v_cmp_gt_i32_e64 s[36:37], s48, v5
	v_cmp_gt_i32_e64 s[38:39], s48, v6
	s_nop 0
	v_cndmask_b32_e64 v5, v3, v22, s[36:37]
	v_cndmask_b32_e64 v6, v3, v23, s[38:39]
	v_max3_f32 v4, v4, v5, v6
	v_or_b32_e32 v5, 16, v2
	v_or_b32_e32 v6, 17, v2
	v_cmp_gt_i32_e64 s[24:25], s48, v5
	v_cmp_gt_i32_e64 s[26:27], s48, v6
	s_nop 0
	v_cndmask_b32_e64 v5, v3, v38, s[24:25]
	v_cndmask_b32_e64 v6, v3, v39, s[26:27]
	v_max3_f32 v4, v4, v5, v6
	v_or_b32_e32 v5, 18, v2
	;; [unrolled: 8-line block ×6, first 2 shown]
	v_or_b32_e32 v2, 51, v2
	v_cmp_gt_i32_e32 vcc, s48, v5
	v_cmp_gt_i32_e64 s[6:7], s48, v2
	s_nop 0
	v_cndmask_b32_e32 v5, v3, v20, vcc
	v_cndmask_b32_e64 v2, v3, v21, s[6:7]
	v_max3_f32 v4, v4, v5, v2
	v_mbcnt_lo_u32_b32 v2, -1, 0
	v_mbcnt_hi_u32_b32 v5, -1, v2
	v_and_b32_e32 v2, 64, v5
	v_add_u32_e32 v6, 64, v2
	v_xor_b32_e32 v2, 32, v5
	v_cmp_lt_i32_e64 s[40:41], v2, v6
	s_nop 1
	v_cndmask_b32_e64 v2, v5, v2, s[40:41]
	v_lshlrev_b32_e32 v47, 2, v2
	ds_bpermute_b32 v7, v47, v4
	s_waitcnt vmcnt(2)
	v_mad_i64_i32 v[2:3], s[40:41], v46, s45, v[28:29]
	global_load_dwordx4 v[14:17], v[18:19], off
	global_load_dwordx4 v[10:13], v[2:3], off
	v_xor_b32_e32 v3, 16, v5
	v_cmp_lt_i32_e64 s[40:41], v3, v6
	s_waitcnt lgkmcnt(0)
	v_max_f32_e32 v2, v7, v7
	v_max_f32_e32 v2, v4, v2
	v_cndmask_b32_e64 v3, v5, v3, s[40:41]
	v_lshlrev_b32_e32 v46, 2, v3
	ds_bpermute_b32 v3, v46, v2
	s_waitcnt vmcnt(3)
	v_mad_i64_i32 v[18:19], s[40:41], v44, s45, v[28:29]
	s_waitcnt vmcnt(2)
	v_mad_i64_i32 v[28:29], s[40:41], v45, s45, v[28:29]
	s_waitcnt lgkmcnt(0)
	v_max_f32_e32 v3, v3, v3
	v_max_f32_e32 v44, v2, v3
	v_sub_f32_e32 v2, v32, v44
	v_mul_f32_e32 v2, 0x3fb8aa3b, v2
	v_exp_f32_e32 v32, v2
	v_sub_f32_e32 v2, v33, v44
	v_mul_f32_e32 v2, 0x3fb8aa3b, v2
	v_exp_f32_e32 v33, v2
	global_load_dwordx4 v[6:9], v[18:19], off
	global_load_dwordx4 v[2:5], v[28:29], off
	v_sub_f32_e32 v22, v22, v44
	v_mul_f32_e32 v22, 0x3fb8aa3b, v22
	v_sub_f32_e32 v23, v23, v44
	v_exp_f32_e32 v22, v22
	v_mul_f32_e32 v23, 0x3fb8aa3b, v23
	v_exp_f32_e32 v23, v23
	v_cndmask_b32_e64 v18, 0, v32, s[4:5]
	v_add_f32_e32 v28, 0, v18
	v_cndmask_b32_e64 v19, 0, v33, s[34:35]
	v_add_f32_e32 v28, v28, v19
	;; [unrolled: 2-line block ×3, first 2 shown]
	v_cndmask_b32_e64 v33, 0, v23, s[38:39]
	v_sub_f32_e32 v23, v38, v44
	v_sub_f32_e32 v28, v39, v44
	v_mul_f32_e32 v23, 0x3fb8aa3b, v23
	v_mul_f32_e32 v28, 0x3fb8aa3b, v28
	v_exp_f32_e32 v23, v23
	v_exp_f32_e32 v28, v28
	v_add_f32_e32 v29, v22, v33
	v_sub_f32_e32 v30, v30, v44
	v_cndmask_b32_e64 v22, 0, v23, s[24:25]
	v_cndmask_b32_e64 v23, 0, v28, s[26:27]
	v_sub_f32_e32 v28, v34, v44
	v_mul_f32_e32 v28, 0x3fb8aa3b, v28
	v_exp_f32_e32 v28, v28
	v_sub_f32_e32 v34, v35, v44
	v_add_f32_e32 v29, v29, v22
	v_mul_f32_e32 v34, 0x3fb8aa3b, v34
	v_exp_f32_e32 v35, v34
	v_add_f32_e32 v29, v29, v23
	v_cndmask_b32_e64 v34, 0, v28, s[20:21]
	v_add_f32_e32 v28, v29, v34
	v_sub_f32_e32 v29, v36, v44
	v_mul_f32_e32 v29, 0x3fb8aa3b, v29
	v_sub_f32_e32 v36, v37, v44
	v_exp_f32_e32 v29, v29
	v_mul_f32_e32 v36, 0x3fb8aa3b, v36
	v_exp_f32_e32 v36, v36
	v_mul_f32_e32 v30, 0x3fb8aa3b, v30
	v_sub_f32_e32 v31, v31, v44
	v_exp_f32_e32 v30, v30
	v_mul_f32_e32 v31, 0x3fb8aa3b, v31
	v_sub_f32_e32 v24, v24, v44
	v_cndmask_b32_e64 v35, 0, v35, s[22:23]
	v_exp_f32_e32 v31, v31
	v_mul_f32_e32 v24, 0x3fb8aa3b, v24
	v_sub_f32_e32 v25, v25, v44
	v_add_f32_e32 v37, v28, v35
	v_cndmask_b32_e64 v28, 0, v29, s[16:17]
	v_exp_f32_e32 v24, v24
	v_mul_f32_e32 v25, 0x3fb8aa3b, v25
	v_sub_f32_e32 v20, v20, v44
	v_add_f32_e32 v37, v37, v28
	;; [unrolled: 5-line block ×3, first 2 shown]
	v_cndmask_b32_e64 v30, 0, v30, s[12:13]
	v_exp_f32_e32 v20, v20
	v_mul_f32_e32 v21, 0x3fb8aa3b, v21
	v_add_f32_e32 v36, v36, v30
	v_cndmask_b32_e64 v31, 0, v31, s[14:15]
	v_exp_f32_e32 v21, v21
	v_add_f32_e32 v36, v36, v31
	v_cndmask_b32_e64 v24, 0, v24, s[8:9]
	v_add_f32_e32 v36, v36, v24
	v_cndmask_b32_e64 v25, 0, v25, s[10:11]
	v_add_f32_e32 v36, v36, v25
	v_cndmask_b32_e32 v20, 0, v20, vcc
	v_add_f32_e32 v36, v36, v20
	v_cndmask_b32_e64 v21, 0, v21, s[6:7]
	v_add_f32_e32 v36, v36, v21
	ds_bpermute_b32 v37, v47, v36
	v_cmp_gt_u32_e32 vcc, 16, v42
	s_waitcnt lgkmcnt(0)
	s_barrier
	v_add_f32_e32 v36, v36, v37
	ds_bpermute_b32 v38, v46, v36
	v_lshlrev_b32_e32 v37, 2, v43
	s_and_saveexec_b64 s[4:5], vcc
	s_cbranch_execz .LBB915_13
; %bb.12:
	s_waitcnt lgkmcnt(0)
	v_add_f32_e32 v36, v36, v38
	v_lshl_or_b32 v38, v41, 6, v37
	ds_write2st64_b32 v38, v44, v36 offset1:1
.LBB915_13:
	s_or_b64 exec, exec, s[4:5]
	s_load_dword s6, s[0:1], 0x94
	s_waitcnt lgkmcnt(0)
	s_barrier
	ds_read2_b32 v[38:39], v37 offset1:16
	ds_read2_b32 v[42:43], v37 offset0:32 offset1:48
	ds_read2_b32 v[44:45], v37 offset0:64 offset1:80
	s_lshl_b32 s7, s33, 3
	s_waitcnt lgkmcnt(2)
	v_max3_f32 v36, v38, s44, v39
	s_waitcnt lgkmcnt(1)
	v_max3_f32 v36, v36, v42, v43
	v_sub_f32_e32 v38, v38, v36
	v_mul_f32_e32 v38, 0x3fb8aa3b, v38
	v_exp_f32_e32 v46, v38
	v_sub_f32_e32 v38, v39, v36
	v_mul_f32_e32 v38, 0x3fb8aa3b, v38
	v_exp_f32_e32 v47, v38
	;; [unrolled: 3-line block ×3, first 2 shown]
	ds_read2_b32 v[38:39], v37 offset0:96 offset1:112
	v_sub_f32_e32 v37, v43, v36
	v_mul_f32_e32 v37, 0x3fb8aa3b, v37
	v_exp_f32_e32 v43, v37
	s_waitcnt lgkmcnt(1)
	v_fma_f32 v37, v46, v44, 0
	v_fmac_f32_e32 v37, v47, v45
	s_waitcnt lgkmcnt(0)
	v_fmac_f32_e32 v37, v42, v38
	v_fmac_f32_e32 v37, v43, v39
	v_add_f32_e32 v38, 0x358637bd, v37
	v_div_scale_f32 v39, s[4:5], v38, v38, 1.0
	v_rcp_f32_e32 v44, v39
	s_barrier
	v_fma_f32 v45, -v39, v44, 1.0
	v_fmac_f32_e32 v44, v45, v44
	v_div_scale_f32 v45, vcc, 1.0, v38, 1.0
	v_mul_f32_e32 v48, v45, v44
	v_fma_f32 v49, -v39, v48, v45
	v_fmac_f32_e32 v48, v49, v44
	v_fma_f32 v39, -v39, v48, v45
	v_div_fmas_f32 v39, v39, v44, v48
	v_cmp_eq_u32_e32 vcc, 1, v41
	v_div_fixup_f32 v38, v39, v38, 1.0
	s_nop 0
	v_cndmask_b32_e32 v39, v46, v47, vcc
	v_cmp_eq_u32_e32 vcc, 2, v41
	s_nop 1
	v_cndmask_b32_e32 v39, v39, v42, vcc
	v_cmp_eq_u32_e32 vcc, 3, v41
	s_nop 1
	v_cndmask_b32_e32 v39, v39, v43, vcc
	v_mul_f32_e32 v38, v39, v38
	v_pk_mul_f32 v[32:33], v[38:39], v[32:33] op_sel_hi:[0,1]
	v_pk_mul_f32 v[18:19], v[38:39], v[18:19] op_sel_hi:[0,1]
	v_cvt_f16_f32_e32 v39, v32
	v_cvt_f16_f32_e32 v33, v33
	;; [unrolled: 1-line block ×4, first 2 shown]
	v_cmp_gt_u32_e32 vcc, 8, v0
	v_pack_b32_f16 v33, v39, v33
	v_lshlrev_b32_e32 v39, 3, v1
	v_pack_b32_f16 v32, v18, v19
	v_pk_mul_f32 v[18:19], v[38:39], v[34:35] op_sel_hi:[0,1]
	v_pk_mul_f32 v[22:23], v[38:39], v[22:23] op_sel_hi:[0,1]
	v_cvt_f16_f32_e32 v22, v22
	v_cvt_f16_f32_e32 v23, v23
	;; [unrolled: 1-line block ×4, first 2 shown]
	v_lshlrev_b32_e32 v18, 11, v41
	v_or3_b32 v18, v18, v27, v39
	v_pack_b32_f16 v22, v22, v23
	v_pack_b32_f16 v23, v34, v19
	ds_write2st64_b64 v18, v[32:33], v[22:23] offset1:1
	v_pk_mul_f32 v[22:23], v[38:39], v[30:31] op_sel_hi:[0,1]
	v_pk_mul_f32 v[28:29], v[38:39], v[28:29] op_sel_hi:[0,1]
	v_cvt_f16_f32_e32 v19, v28
	v_cvt_f16_f32_e32 v28, v29
	;; [unrolled: 1-line block ×4, first 2 shown]
	v_pk_mul_f32 v[20:21], v[38:39], v[20:21] op_sel_hi:[0,1]
	v_pk_mul_f32 v[22:23], v[38:39], v[24:25] op_sel_hi:[0,1]
	v_cvt_f16_f32_e32 v22, v22
	v_cvt_f16_f32_e32 v23, v23
	v_cvt_f16_f32_e32 v24, v20
	v_cvt_f16_f32_e32 v25, v21
	v_pack_b32_f16 v20, v19, v28
	v_pack_b32_f16 v21, v29, v30
	;; [unrolled: 1-line block ×4, first 2 shown]
	ds_write2st64_b64 v18, v[20:21], v[22:23] offset0:2 offset1:3
	s_and_saveexec_b64 s[4:5], vcc
	s_cbranch_execz .LBB915_15
; %bb.14:
	v_or_b32_e32 v20, s29, v0
	v_mov_b32_e32 v21, 0
	v_mov_b32_e32 v19, s7
	v_mad_u64_u32 v[22:23], s[12:13], s2, v19, v[20:21]
	v_mov_b32_e32 v20, s28
	s_load_dwordx4 s[8:11], s[0:1], 0x58
	s_mul_i32 s3, s3, s7
	v_mad_u64_u32 v[20:21], s[12:13], v22, s6, v[20:21]
	v_add_u32_e32 v19, s3, v23
	v_mov_b32_e32 v22, v21
	v_mad_u64_u32 v[22:23], s[12:13], v19, s6, v[22:23]
	v_mov_b32_e32 v21, v22
	v_lshlrev_b64 v[20:21], 2, v[20:21]
	s_waitcnt lgkmcnt(0)
	v_lshl_add_u64 v[22:23], s[10:11], 0, v[20:21]
	v_lshl_add_u64 v[20:21], s[8:9], 0, v[20:21]
	global_store_dword v[22:23], v36, off
	global_store_dword v[20:21], v37, off
.LBB915_15:
	s_or_b64 exec, exec, s[4:5]
	s_waitcnt vmcnt(3)
	v_cvt_pk_f32_fp8_e32 v[20:21], v14
	v_cvt_pk_f32_fp8_sdwa v[22:23], v14 src0_sel:WORD_1
	v_lshl_or_b32 v14, v1, 9, v27
	s_waitcnt lgkmcnt(0)
	s_barrier
	v_cvt_pk_f32_fp8_e32 v[24:25], v15
	v_cvt_pkrtz_f16_f32 v32, v20, v21
	v_cvt_pkrtz_f16_f32 v33, v22, v23
	v_cvt_pk_f32_fp8_sdwa v[28:29], v15 src0_sel:WORD_1
	ds_read_b128 v[20:23], v14
	v_cvt_pkrtz_f16_f32 v24, v24, v25
	v_cvt_pk_f32_fp8_e32 v[36:37], v16
	v_cvt_pkrtz_f16_f32 v25, v28, v29
	ds_read_b128 v[28:31], v14 offset:16
	v_cvt_pk_f32_fp8_sdwa v[38:39], v16 src0_sel:WORD_1
	s_waitcnt lgkmcnt(1)
	v_mfma_f32_16x16x16_f16 v[32:35], v[32:33], v[20:21], 0
	v_cvt_pkrtz_f16_f32 v36, v36, v37
	s_load_dword s4, s[42:43], 0x0
	v_cvt_pkrtz_f16_f32 v37, v38, v39
	v_cvt_pk_f32_fp8_e32 v[38:39], v17
	v_cvt_pk_f32_fp8_sdwa v[16:17], v17 src0_sel:WORD_1
	v_mfma_f32_16x16x16_f16 v[20:23], v[24:25], v[22:23], v[32:35]
	v_cmp_gt_u32_e32 vcc, 64, v0
	v_cvt_pkrtz_f16_f32 v24, v38, v39
	v_cvt_pkrtz_f16_f32 v25, v16, v17
	s_waitcnt lgkmcnt(0)
	v_mfma_f32_16x16x16_f16 v[20:23], v[36:37], v[28:29], v[20:23]
	s_waitcnt vmcnt(2)
	v_cvt_pk_f32_fp8_e32 v[16:17], v10
	v_cvt_pk_f32_fp8_e32 v[28:29], v11
	v_cvt_pk_f32_fp8_sdwa v[36:37], v12 src0_sel:WORD_1
	v_mfma_f32_16x16x16_f16 v[20:23], v[24:25], v[30:31], v[20:23]
	v_cvt_pk_f32_fp8_sdwa v[24:25], v10 src0_sel:WORD_1
	v_cvt_pkrtz_f16_f32 v10, v16, v17
	v_cvt_pk_f32_fp8_sdwa v[16:17], v11 src0_sel:WORD_1
	ds_read_b128 v[32:35], v14 offset:2064
	v_cvt_pkrtz_f16_f32 v11, v24, v25
	v_cvt_pkrtz_f16_f32 v24, v28, v29
	ds_read_b128 v[28:31], v14 offset:2048
	v_cvt_pkrtz_f16_f32 v25, v16, v17
	v_cvt_pk_f32_fp8_e32 v[16:17], v12
	s_waitcnt lgkmcnt(0)
	v_mfma_f32_16x16x16_f16 v[20:23], v[10:11], v[28:29], v[20:23]
	v_cvt_pkrtz_f16_f32 v10, v16, v17
	v_cvt_pkrtz_f16_f32 v11, v36, v37
	v_cvt_pk_f32_fp8_e32 v[16:17], v13
	v_mfma_f32_16x16x16_f16 v[20:23], v[24:25], v[30:31], v[20:23]
	v_cvt_pk_f32_fp8_sdwa v[24:25], v13 src0_sel:WORD_1
	ds_read_b128 v[28:31], v14 offset:4112
	v_cvt_pkrtz_f16_f32 v16, v16, v17
	v_mfma_f32_16x16x16_f16 v[10:13], v[10:11], v[32:33], v[20:23]
	v_cvt_pkrtz_f16_f32 v17, v24, v25
	s_waitcnt vmcnt(1)
	v_cvt_pk_f32_fp8_sdwa v[24:25], v7 src0_sel:WORD_1
	v_cvt_pk_f32_fp8_sdwa v[32:33], v8 src0_sel:WORD_1
	v_cvt_pk_f32_fp8_e32 v[20:21], v6
	v_mfma_f32_16x16x16_f16 v[10:13], v[16:17], v[34:35], v[10:13]
	v_cvt_pk_f32_fp8_sdwa v[16:17], v6 src0_sel:WORD_1
	v_cvt_pk_f32_fp8_e32 v[22:23], v7
	v_cvt_pkrtz_f16_f32 v6, v20, v21
	s_mov_b32 s3, 0
	v_cvt_pkrtz_f16_f32 v7, v16, v17
	v_cvt_pkrtz_f16_f32 v16, v22, v23
	ds_read_b128 v[20:23], v14 offset:4096
	v_cvt_pkrtz_f16_f32 v17, v24, v25
	v_cvt_pk_f32_fp8_e32 v[24:25], v8
	s_waitcnt lgkmcnt(0)
	v_mfma_f32_16x16x16_f16 v[10:13], v[6:7], v[20:21], v[10:13]
	v_cvt_pkrtz_f16_f32 v6, v24, v25
	v_cvt_pkrtz_f16_f32 v7, v32, v33
	v_cvt_pk_f32_fp8_e32 v[20:21], v9
	v_mfma_f32_16x16x16_f16 v[10:13], v[16:17], v[22:23], v[10:13]
	v_cvt_pk_f32_fp8_sdwa v[16:17], v9 src0_sel:WORD_1
	s_waitcnt vmcnt(0)
	v_cvt_pk_f32_fp8_sdwa v[24:25], v4 src0_sel:WORD_1
	v_cvt_pkrtz_f16_f32 v20, v20, v21
	v_mfma_f32_16x16x16_f16 v[6:9], v[6:7], v[28:29], v[10:13]
	v_cvt_pkrtz_f16_f32 v21, v16, v17
	v_cvt_pk_f32_fp8_e32 v[16:17], v3
	v_mov_b32_e32 v27, 0
	v_cvt_pk_f32_fp8_e32 v[10:11], v2
	v_cvt_pk_f32_fp8_sdwa v[12:13], v2 src0_sel:WORD_1
	v_mfma_f32_16x16x16_f16 v[6:9], v[20:21], v[30:31], v[6:9]
	v_cvt_pk_f32_fp8_sdwa v[20:21], v3 src0_sel:WORD_1
	v_cvt_pkrtz_f16_f32 v2, v10, v11
	v_cvt_pkrtz_f16_f32 v3, v12, v13
	ds_read_b128 v[10:13], v14 offset:6144
	v_cvt_pkrtz_f16_f32 v22, v16, v17
	v_cvt_pkrtz_f16_f32 v23, v20, v21
	v_cvt_pk_f32_fp8_e32 v[20:21], v4
	s_waitcnt lgkmcnt(0)
	v_mfma_f32_16x16x16_f16 v[6:9], v[2:3], v[10:11], v[6:9]
	ds_read_b128 v[14:17], v14 offset:6160
	v_cvt_pkrtz_f16_f32 v2, v20, v21
	v_cvt_pkrtz_f16_f32 v3, v24, v25
	v_cvt_pk_f32_fp8_e32 v[10:11], v5
	v_mfma_f32_16x16x16_f16 v[6:9], v[22:23], v[12:13], v[6:9]
	v_cvt_pk_f32_fp8_sdwa v[12:13], v5 src0_sel:WORD_1
	s_waitcnt lgkmcnt(0)
	v_cvt_pkrtz_f16_f32 v10, v10, v11
	v_mfma_f32_16x16x16_f16 v[2:5], v[2:3], v[14:15], v[6:9]
	v_cvt_pkrtz_f16_f32 v11, v12, v13
	s_barrier
	s_nop 0
	v_mfma_f32_16x16x16_f16 v[2:5], v[10:11], v[16:17], v[2:5]
	s_nop 6
	v_pk_mul_f32 v[4:5], v[4:5], s[4:5] op_sel_hi:[1,0]
	v_pk_mul_f32 v[2:3], v[2:3], s[4:5] op_sel_hi:[1,0]
	v_cvt_f16_f32_e32 v4, v4
	v_cvt_f16_f32_e32 v2, v2
	;; [unrolled: 1-line block ×4, first 2 shown]
	s_and_b64 s[4:5], vcc, s[30:31]
	v_pack_b32_f16 v2, v2, v3
	v_pack_b32_f16 v3, v4, v5
	ds_write_b64 v18, v[2:3]
	s_waitcnt lgkmcnt(0)
	s_barrier
	s_and_saveexec_b64 s[8:9], s[4:5]
	s_cbranch_execz .LBB915_17
; %bb.16:
	s_load_dwordx2 s[0:1], s[0:1], 0x68
	s_lshl_b32 s6, s6, 6
	s_mul_i32 s2, s7, s2
	s_mul_hi_u32 s5, s2, s6
	s_mul_i32 s4, s2, s6
	s_lshl_b64 s[4:5], s[4:5], 1
	v_lshlrev_b32_e32 v0, 10, v0
	s_waitcnt lgkmcnt(0)
	s_add_u32 s4, s0, s4
	v_and_b32_e32 v0, 0x1800, v0
	v_lshlrev_b32_e32 v2, 5, v1
	v_and_b32_e32 v3, 16, v40
	s_addc_u32 s5, s1, s5
	s_lshl_b32 s2, s28, 6
	v_or3_b32 v0, v0, v2, v3
	s_lshl_b64 s[0:1], s[2:3], 1
	ds_read_b128 v[2:5], v0
	ds_read_b128 v[6:9], v0 offset:128
	s_add_u32 s0, s4, s0
	s_addc_u32 s1, s5, s1
	v_or_b32_e32 v12, s29, v1
	v_lshl_add_u64 v[10:11], s[0:1], 0, v[26:27]
	v_mad_u64_u32 v[0:1], s[0:1], v12, s6, 0
	v_lshl_add_u64 v[0:1], v[0:1], 1, v[10:11]
	s_waitcnt lgkmcnt(1)
	global_store_dwordx4 v[0:1], v[2:5], off
	v_or_b32_e32 v0, 4, v12
	v_mad_u64_u32 v[0:1], s[0:1], v0, s6, 0
	v_lshl_add_u64 v[0:1], v[0:1], 1, v[10:11]
	s_waitcnt lgkmcnt(0)
	global_store_dwordx4 v[0:1], v[6:9], off
.LBB915_17:
	s_endpgm
	.section	.rodata,"a",@progbits
	.p2align	6, 0x0
	.amdhsa_kernel _Z39paged_attention_ll4mi_QKV_mfma16_kernelIDF16_hLN4vllm18Fp8KVCacheDataTypeE1EDF16_Li32ELi64ELi256ELb0ELi8EEvPKT_PKT0_S7_ifPKiS9_S9_iPKfiiiPfSC_PS2_PT2_iSB_SB_
		.amdhsa_group_segment_fixed_size 8192
		.amdhsa_private_segment_fixed_size 0
		.amdhsa_kernarg_size 400
		.amdhsa_user_sgpr_count 2
		.amdhsa_user_sgpr_dispatch_ptr 0
		.amdhsa_user_sgpr_queue_ptr 0
		.amdhsa_user_sgpr_kernarg_segment_ptr 1
		.amdhsa_user_sgpr_dispatch_id 0
		.amdhsa_user_sgpr_kernarg_preload_length 0
		.amdhsa_user_sgpr_kernarg_preload_offset 0
		.amdhsa_user_sgpr_private_segment_size 0
		.amdhsa_uses_dynamic_stack 0
		.amdhsa_enable_private_segment 0
		.amdhsa_system_sgpr_workgroup_id_x 1
		.amdhsa_system_sgpr_workgroup_id_y 1
		.amdhsa_system_sgpr_workgroup_id_z 1
		.amdhsa_system_sgpr_workgroup_info 0
		.amdhsa_system_vgpr_workitem_id 0
		.amdhsa_next_free_vgpr 54
		.amdhsa_next_free_sgpr 49
		.amdhsa_accum_offset 56
		.amdhsa_reserve_vcc 1
		.amdhsa_float_round_mode_32 0
		.amdhsa_float_round_mode_16_64 0
		.amdhsa_float_denorm_mode_32 3
		.amdhsa_float_denorm_mode_16_64 3
		.amdhsa_dx10_clamp 1
		.amdhsa_ieee_mode 1
		.amdhsa_fp16_overflow 0
		.amdhsa_tg_split 0
		.amdhsa_exception_fp_ieee_invalid_op 0
		.amdhsa_exception_fp_denorm_src 0
		.amdhsa_exception_fp_ieee_div_zero 0
		.amdhsa_exception_fp_ieee_overflow 0
		.amdhsa_exception_fp_ieee_underflow 0
		.amdhsa_exception_fp_ieee_inexact 0
		.amdhsa_exception_int_div_zero 0
	.end_amdhsa_kernel
	.section	.text._Z39paged_attention_ll4mi_QKV_mfma16_kernelIDF16_hLN4vllm18Fp8KVCacheDataTypeE1EDF16_Li32ELi64ELi256ELb0ELi8EEvPKT_PKT0_S7_ifPKiS9_S9_iPKfiiiPfSC_PS2_PT2_iSB_SB_,"axG",@progbits,_Z39paged_attention_ll4mi_QKV_mfma16_kernelIDF16_hLN4vllm18Fp8KVCacheDataTypeE1EDF16_Li32ELi64ELi256ELb0ELi8EEvPKT_PKT0_S7_ifPKiS9_S9_iPKfiiiPfSC_PS2_PT2_iSB_SB_,comdat
.Lfunc_end915:
	.size	_Z39paged_attention_ll4mi_QKV_mfma16_kernelIDF16_hLN4vllm18Fp8KVCacheDataTypeE1EDF16_Li32ELi64ELi256ELb0ELi8EEvPKT_PKT0_S7_ifPKiS9_S9_iPKfiiiPfSC_PS2_PT2_iSB_SB_, .Lfunc_end915-_Z39paged_attention_ll4mi_QKV_mfma16_kernelIDF16_hLN4vllm18Fp8KVCacheDataTypeE1EDF16_Li32ELi64ELi256ELb0ELi8EEvPKT_PKT0_S7_ifPKiS9_S9_iPKfiiiPfSC_PS2_PT2_iSB_SB_
                                        ; -- End function
	.section	.AMDGPU.csdata,"",@progbits
; Kernel info:
; codeLenInByte = 4620
; NumSgprs: 55
; NumVgprs: 54
; NumAgprs: 0
; TotalNumVgprs: 54
; ScratchSize: 0
; MemoryBound: 0
; FloatMode: 240
; IeeeMode: 1
; LDSByteSize: 8192 bytes/workgroup (compile time only)
; SGPRBlocks: 6
; VGPRBlocks: 6
; NumSGPRsForWavesPerEU: 55
; NumVGPRsForWavesPerEU: 54
; AccumOffset: 56
; Occupancy: 8
; WaveLimiterHint : 1
; COMPUTE_PGM_RSRC2:SCRATCH_EN: 0
; COMPUTE_PGM_RSRC2:USER_SGPR: 2
; COMPUTE_PGM_RSRC2:TRAP_HANDLER: 0
; COMPUTE_PGM_RSRC2:TGID_X_EN: 1
; COMPUTE_PGM_RSRC2:TGID_Y_EN: 1
; COMPUTE_PGM_RSRC2:TGID_Z_EN: 1
; COMPUTE_PGM_RSRC2:TIDIG_COMP_CNT: 0
; COMPUTE_PGM_RSRC3_GFX90A:ACCUM_OFFSET: 13
; COMPUTE_PGM_RSRC3_GFX90A:TG_SPLIT: 0
	.section	.text._Z39paged_attention_ll4mi_QKV_mfma16_kernelIDF16_hLN4vllm18Fp8KVCacheDataTypeE1EDF16_Li32ELi64ELi256ELb0ELi9EEvPKT_PKT0_S7_ifPKiS9_S9_iPKfiiiPfSC_PS2_PT2_iSB_SB_,"axG",@progbits,_Z39paged_attention_ll4mi_QKV_mfma16_kernelIDF16_hLN4vllm18Fp8KVCacheDataTypeE1EDF16_Li32ELi64ELi256ELb0ELi9EEvPKT_PKT0_S7_ifPKiS9_S9_iPKfiiiPfSC_PS2_PT2_iSB_SB_,comdat
	.protected	_Z39paged_attention_ll4mi_QKV_mfma16_kernelIDF16_hLN4vllm18Fp8KVCacheDataTypeE1EDF16_Li32ELi64ELi256ELb0ELi9EEvPKT_PKT0_S7_ifPKiS9_S9_iPKfiiiPfSC_PS2_PT2_iSB_SB_ ; -- Begin function _Z39paged_attention_ll4mi_QKV_mfma16_kernelIDF16_hLN4vllm18Fp8KVCacheDataTypeE1EDF16_Li32ELi64ELi256ELb0ELi9EEvPKT_PKT0_S7_ifPKiS9_S9_iPKfiiiPfSC_PS2_PT2_iSB_SB_
	.globl	_Z39paged_attention_ll4mi_QKV_mfma16_kernelIDF16_hLN4vllm18Fp8KVCacheDataTypeE1EDF16_Li32ELi64ELi256ELb0ELi9EEvPKT_PKT0_S7_ifPKiS9_S9_iPKfiiiPfSC_PS2_PT2_iSB_SB_
	.p2align	8
	.type	_Z39paged_attention_ll4mi_QKV_mfma16_kernelIDF16_hLN4vllm18Fp8KVCacheDataTypeE1EDF16_Li32ELi64ELi256ELb0ELi9EEvPKT_PKT0_S7_ifPKiS9_S9_iPKfiiiPfSC_PS2_PT2_iSB_SB_,@function
_Z39paged_attention_ll4mi_QKV_mfma16_kernelIDF16_hLN4vllm18Fp8KVCacheDataTypeE1EDF16_Li32ELi64ELi256ELb0ELi9EEvPKT_PKT0_S7_ifPKiS9_S9_iPKfiiiPfSC_PS2_PT2_iSB_SB_: ; @_Z39paged_attention_ll4mi_QKV_mfma16_kernelIDF16_hLN4vllm18Fp8KVCacheDataTypeE1EDF16_Li32ELi64ELi256ELb0ELi9EEvPKT_PKT0_S7_ifPKiS9_S9_iPKfiiiPfSC_PS2_PT2_iSB_SB_
; %bb.0:
	s_load_dwordx2 s[12:13], s[0:1], 0x30
	s_mov_b32 s28, s3
	s_mov_b64 s[6:7], 0
	s_waitcnt lgkmcnt(0)
	s_cmp_lg_u64 s[12:13], 0
	s_cselect_b64 s[14:15], -1, 0
	s_and_b64 vcc, exec, s[14:15]
	s_cbranch_vccz .LBB916_7
; %bb.1:
	s_add_i32 s8, s2, 1
	s_mov_b32 s9, 0
	s_lshl_b64 s[10:11], s[8:9], 2
	s_add_u32 s10, s12, s10
	s_mov_b32 s3, s9
	s_addc_u32 s11, s13, s11
	s_lshl_b64 s[8:9], s[2:3], 2
	s_add_u32 s8, s12, s8
	s_addc_u32 s9, s13, s9
	s_load_dword s5, s[10:11], 0x0
	s_load_dword s16, s[8:9], 0x0
	s_waitcnt lgkmcnt(0)
	s_sub_i32 s5, s5, s16
	s_cmp_eq_u32 s5, 1
	s_cselect_b64 s[8:9], -1, 0
	s_andn2_b64 vcc, exec, s[6:7]
	s_cbranch_vccnz .LBB916_3
.LBB916_2:
	s_mov_b32 s3, 0
	s_mov_b64 s[8:9], -1
.LBB916_3:
	s_andn2_b64 vcc, exec, s[8:9]
	s_cbranch_vccnz .LBB916_18
; %bb.4:
	s_load_dwordx2 s[6:7], s[0:1], 0x28
	s_lshl_b64 s[16:17], s[2:3], 2
	s_waitcnt lgkmcnt(0)
	s_add_u32 s6, s6, s16
	s_addc_u32 s7, s7, s17
	s_load_dword s33, s[6:7], 0x0
	s_lshl_b32 s5, s28, 8
	s_waitcnt lgkmcnt(0)
	s_cmp_ge_i32 s5, s33
	s_cbranch_scc1 .LBB916_18
; %bb.5:
	s_load_dwordx2 s[6:7], s[0:1], 0x20
	s_load_dword s8, s[0:1], 0x38
	s_add_i32 s9, s33, 31
	s_ashr_i32 s10, s9, 31
	v_and_b32_e32 v1, 0xcf, v0
	s_lshr_b32 s10, s10, 27
	v_add_u32_e32 v1, s5, v1
	s_add_i32 s9, s9, s10
	v_ashrrev_i32_e32 v2, 31, v1
	s_ashr_i32 s18, s9, 5
	v_lshrrev_b32_e32 v4, 27, v2
	s_add_i32 s18, s18, -1
	s_waitcnt lgkmcnt(0)
	s_mul_i32 s8, s2, s8
	s_mov_b32 s9, 0
	v_add_u32_e32 v2, v1, v4
	s_lshl_b64 s[8:9], s[8:9], 2
	v_ashrrev_i32_e32 v2, 5, v2
	v_mov_b32_e32 v5, s18
	v_cmp_gt_i32_e32 vcc, s33, v1
	s_add_u32 s6, s6, s8
	s_addc_u32 s7, s7, s9
	v_cndmask_b32_e32 v2, v5, v2, vcc
	v_ashrrev_i32_e32 v3, 31, v2
	v_lshl_add_u64 v[6:7], v[2:3], 2, s[6:7]
	v_or_b32_e32 v2, 16, v1
	v_add_u32_e32 v3, v2, v4
	v_ashrrev_i32_e32 v3, 5, v3
	v_cmp_gt_i32_e32 vcc, s33, v2
	s_load_dwordx4 s[8:11], s[0:1], 0x8
	s_nop 0
	v_cndmask_b32_e32 v2, v5, v3, vcc
	v_ashrrev_i32_e32 v3, 31, v2
	v_lshl_add_u64 v[8:9], v[2:3], 2, s[6:7]
	v_or_b32_e32 v2, 32, v1
	v_add_u32_e32 v3, v2, v4
	v_ashrrev_i32_e32 v3, 5, v3
	v_cmp_gt_i32_e32 vcc, s33, v2
	v_or_b32_e32 v1, 48, v1
	s_nop 0
	v_cndmask_b32_e32 v2, v5, v3, vcc
	v_ashrrev_i32_e32 v3, 31, v2
	v_lshl_add_u64 v[10:11], v[2:3], 2, s[6:7]
	v_add_u32_e32 v2, v1, v4
	v_ashrrev_i32_e32 v2, 5, v2
	v_cmp_gt_i32_e32 vcc, s33, v1
	s_nop 1
	v_cndmask_b32_e32 v2, v5, v2, vcc
	v_ashrrev_i32_e32 v3, 31, v2
	v_lshl_add_u64 v[14:15], v[2:3], 2, s[6:7]
	global_load_dword v2, v[6:7], off
	global_load_dword v5, v[8:9], off
	;; [unrolled: 1-line block ×4, first 2 shown]
	s_andn2_b64 vcc, exec, s[14:15]
	s_cbranch_vccnz .LBB916_8
; %bb.6:
	s_add_u32 s12, s12, s16
	s_addc_u32 s13, s13, s17
	s_load_dword s14, s[12:13], 0x0
	s_branch .LBB916_9
.LBB916_7:
	s_mov_b64 s[8:9], 0
	s_branch .LBB916_2
.LBB916_8:
	s_mov_b32 s14, s2
.LBB916_9:
	s_load_dwordx4 s[44:47], s[0:1], 0x48
	v_lshrrev_b32_e32 v29, 6, v0
	v_bfe_u32 v42, v0, 4, 2
	v_lshl_or_b32 v3, v29, 2, v42
	v_and_b32_e32 v28, 15, v0
	v_lshlrev_b32_e32 v1, 3, v28
	v_cmp_gt_u32_e32 vcc, 9, v3
	v_cmp_gt_u32_e64 s[30:31], 8, v28
	v_and_b32_e32 v43, 63, v0
	s_mul_i32 s48, s4, 9
	s_and_b64 s[16:17], s[30:31], vcc
	v_lshlrev_b32_e32 v26, 1, v1
	v_lshlrev_b32_e32 v1, 4, v0
	s_and_saveexec_b64 s[12:13], s[16:17]
	s_cbranch_execz .LBB916_11
; %bb.10:
	s_load_dwordx2 s[16:17], s[0:1], 0x0
	s_waitcnt lgkmcnt(0)
	s_ashr_i32 s15, s44, 31
	s_mul_hi_u32 s19, s14, s44
	s_mul_i32 s15, s14, s15
	s_add_i32 s15, s19, s15
	s_mul_i32 s14, s14, s44
	s_lshl_b64 s[14:15], s[14:15], 1
	s_add_u32 s14, s16, s14
	v_add_lshl_u32 v6, v3, s48, 6
	s_addc_u32 s15, s17, s15
	v_ashrrev_i32_e32 v7, 31, v6
	v_lshl_add_u64 v[6:7], v[6:7], 1, s[14:15]
	v_mov_b32_e32 v27, 0
	v_lshl_add_u64 v[6:7], v[6:7], 0, v[26:27]
	global_load_dwordx4 v[6:9], v[6:7], off
	v_lshlrev_b32_e32 v11, 8, v28
	v_lshlrev_b32_e32 v3, 5, v3
	v_and_b32_e32 v10, 16, v1
	v_and_b32_e32 v11, 0xe00, v11
	v_or3_b32 v3, v11, v3, v10
	s_waitcnt vmcnt(0)
	ds_write_b128 v3, v[6:9]
.LBB916_11:
	s_or_b64 exec, exec, s[12:13]
	s_waitcnt lgkmcnt(0)
	s_mul_i32 s4, s4, s46
	s_add_u32 s8, s8, s4
	s_addc_u32 s9, s9, 0
	v_mov_b32_e32 v31, 0
	v_mov_b64_e32 v[10:11], s[8:9]
	v_and_b32_e32 v8, 48, v0
	s_waitcnt vmcnt(3)
	v_mad_i64_i32 v[6:7], s[8:9], v2, s45, v[10:11]
	v_lshlrev_b32_e32 v2, 4, v28
	v_mov_b32_e32 v3, v31
	v_lshlrev_b32_e32 v30, 5, v8
	v_lshl_add_u64 v[6:7], v[6:7], 0, v[2:3]
	v_lshl_add_u64 v[6:7], v[6:7], 0, v[30:31]
	s_load_dword s29, s[0:1], 0x98
	s_load_dwordx4 s[40:43], s[0:1], 0x80
	s_waitcnt lgkmcnt(0)
	s_barrier
	global_load_dwordx4 v[14:17], v[6:7], off
	s_waitcnt vmcnt(3)
	v_mad_i64_i32 v[6:7], s[8:9], v5, s45, v[10:11]
	v_or_b32_e32 v32, 0x100, v2
	v_mov_b32_e32 v33, v31
	v_lshl_add_u64 v[6:7], v[6:7], 0, v[32:33]
	v_lshl_add_u64 v[6:7], v[6:7], 0, v[30:31]
	global_load_dwordx4 v[18:21], v[6:7], off
	s_ashr_i32 s8, s5, 31
	v_or_b32_e32 v5, s5, v8
	s_lshr_b32 s12, s8, 27
	v_add_u32_e32 v8, s12, v5
	v_cmp_gt_i32_e32 vcc, s33, v5
	v_or_b32_e32 v34, 64, v5
	v_or_b32_e32 v35, 0x80, v5
	;; [unrolled: 1-line block ×3, first 2 shown]
	s_waitcnt vmcnt(3)
	v_mad_i64_i32 v[4:5], s[8:9], v4, s45, v[10:11]
	v_lshl_add_u64 v[2:3], v[4:5], 0, v[2:3]
	v_lshl_add_u64 v[2:3], v[2:3], 0, v[30:31]
	global_load_dwordx4 v[22:25], v[2:3], off
	v_ashrrev_i32_e32 v8, 5, v8
	v_mov_b32_e32 v13, s18
	v_cndmask_b32_e32 v8, v13, v8, vcc
	v_ashrrev_i32_e32 v9, 31, v8
	v_add_u32_e32 v6, -9, v28
	v_cmp_gt_u32_e32 vcc, 9, v28
	s_waitcnt vmcnt(3)
	v_mad_i64_i32 v[10:11], s[8:9], v12, s45, v[10:11]
	v_add_u32_e32 v12, s12, v34
	v_lshl_add_u64 v[8:9], v[8:9], 2, s[6:7]
	v_cndmask_b32_e32 v6, v6, v28, vcc
	v_add_u32_e32 v37, s12, v35
	v_ashrrev_i32_e32 v12, 5, v12
	v_cmp_gt_i32_e32 vcc, s33, v34
	global_load_dword v45, v[8:9], off
	v_lshlrev_b32_e32 v6, 5, v6
	v_add_u32_e32 v38, s12, v36
	v_lshl_add_u64 v[10:11], v[10:11], 0, v[32:33]
	v_ashrrev_i32_e32 v33, 5, v37
	v_cndmask_b32_e32 v32, v13, v12, vcc
	v_cmp_gt_i32_e32 vcc, s33, v35
	v_lshl_add_u32 v2, v42, 9, v6
	v_ashrrev_i32_e32 v37, 5, v38
	v_lshl_add_u64 v[10:11], v[10:11], 0, v[30:31]
	v_cndmask_b32_e32 v34, v13, v33, vcc
	v_cmp_gt_i32_e32 vcc, s33, v36
	ds_read_b128 v[6:9], v2
	ds_read_b128 v[2:5], v2 offset:16
	v_cndmask_b32_e32 v36, v13, v37, vcc
	global_load_dwordx4 v[10:13], v[10:11], off
	v_ashrrev_i32_e32 v33, 31, v32
	v_ashrrev_i32_e32 v37, 31, v36
	;; [unrolled: 1-line block ×3, first 2 shown]
	v_lshl_add_u64 v[32:33], v[32:33], 2, s[6:7]
	v_lshl_add_u64 v[36:37], v[36:37], 2, s[6:7]
	;; [unrolled: 1-line block ×3, first 2 shown]
	global_load_dword v44, v[32:33], off
	global_load_dword v34, v[40:41], off
	;; [unrolled: 1-line block ×3, first 2 shown]
	s_add_u32 s8, s10, s4
	v_lshlrev_b32_e32 v27, 5, v28
	s_addc_u32 s9, s11, 0
	v_and_b32_e32 v30, 16, v0
	v_lshl_add_u64 v[38:39], s[8:9], 0, v[30:31]
	v_lshl_or_b32 v30, v29, 9, v27
	v_lshl_add_u64 v[30:31], v[38:39], 0, v[30:31]
	s_load_dword s13, s[0:1], 0x1c
	s_load_dword s4, s[40:41], 0x0
	s_mov_b32 s44, 0xff7fffff
	s_waitcnt vmcnt(7)
	v_cvt_pk_f32_fp8_e32 v[32:33], v14
	v_cvt_pk_f32_fp8_sdwa v[36:37], v14 src0_sel:WORD_1
	v_cvt_pk_f32_fp8_e32 v[38:39], v15
	v_cvt_pk_f32_fp8_sdwa v[14:15], v15 src0_sel:WORD_1
	v_cvt_pkrtz_f16_f32 v32, v32, v33
	v_cvt_pkrtz_f16_f32 v33, v36, v37
	v_cvt_pk_f32_fp8_e32 v[40:41], v16
	v_cvt_pk_f32_fp8_sdwa v[46:47], v16 src0_sel:WORD_1
	v_cvt_pkrtz_f16_f32 v48, v38, v39
	v_cvt_pkrtz_f16_f32 v49, v14, v15
	s_waitcnt lgkmcnt(0)
	v_mfma_f32_16x16x16_f16 v[36:39], v[32:33], v[6:7], 0
	v_cvt_pk_f32_fp8_e32 v[32:33], v17
	v_cvt_pkrtz_f16_f32 v40, v40, v41
	v_cvt_pkrtz_f16_f32 v41, v46, v47
	v_cvt_pk_f32_fp8_sdwa v[16:17], v17 src0_sel:WORD_1
	v_mfma_f32_16x16x16_f16 v[36:39], v[48:49], v[8:9], v[36:39]
	v_cvt_pkrtz_f16_f32 v32, v32, v33
	s_waitcnt vmcnt(6)
	v_cvt_pk_f32_fp8_sdwa v[46:47], v20 src0_sel:WORD_1
	v_cvt_pkrtz_f16_f32 v33, v16, v17
	v_mfma_f32_16x16x16_f16 v[36:39], v[40:41], v[2:3], v[36:39]
	v_cvt_pk_f32_fp8_e32 v[16:17], v18
	v_cvt_pk_f32_fp8_sdwa v[40:41], v18 src0_sel:WORD_1
	s_waitcnt vmcnt(5)
	v_cvt_pk_f32_fp8_e32 v[52:53], v25
	v_mfma_f32_16x16x16_f16 v[36:39], v[32:33], v[4:5], v[36:39]
	v_cvt_pk_f32_fp8_e32 v[32:33], v19
	v_cvt_pkrtz_f16_f32 v16, v16, v17
	v_cvt_pkrtz_f16_f32 v17, v40, v41
	v_cvt_pk_f32_fp8_sdwa v[18:19], v19 src0_sel:WORD_1
	v_cvt_pkrtz_f16_f32 v32, v32, v33
	v_cvt_pk_f32_fp8_e32 v[40:41], v20
	v_cvt_pkrtz_f16_f32 v33, v18, v19
	v_mfma_f32_16x16x16_f16 v[16:19], v[16:17], v[6:7], 0
	v_cvt_pkrtz_f16_f32 v40, v40, v41
	v_cvt_pkrtz_f16_f32 v41, v46, v47
	v_cvt_pk_f32_fp8_e32 v[46:47], v21
	v_cvt_pk_f32_fp8_sdwa v[20:21], v21 src0_sel:WORD_1
	v_mfma_f32_16x16x16_f16 v[16:19], v[32:33], v[8:9], v[16:19]
	s_waitcnt vmcnt(4)
	v_mad_i64_i32 v[14:15], s[6:7], v45, s45, v[30:31]
	v_cvt_pkrtz_f16_f32 v32, v46, v47
	v_cvt_pkrtz_f16_f32 v33, v20, v21
	v_mfma_f32_16x16x16_f16 v[16:19], v[40:41], v[2:3], v[16:19]
	v_cvt_pk_f32_fp8_e32 v[20:21], v22
	v_cvt_pk_f32_fp8_sdwa v[40:41], v22 src0_sel:WORD_1
	v_cvt_pk_f32_fp8_sdwa v[46:47], v24 src0_sel:WORD_1
	v_mfma_f32_16x16x16_f16 v[16:19], v[32:33], v[4:5], v[16:19]
	v_cvt_pk_f32_fp8_e32 v[32:33], v23
	v_cvt_pkrtz_f16_f32 v20, v20, v21
	v_cvt_pkrtz_f16_f32 v21, v40, v41
	v_cvt_pk_f32_fp8_sdwa v[22:23], v23 src0_sel:WORD_1
	v_cvt_pkrtz_f16_f32 v32, v32, v33
	v_cvt_pk_f32_fp8_e32 v[40:41], v24
	v_cvt_pk_f32_fp8_sdwa v[24:25], v25 src0_sel:WORD_1
	v_cvt_pkrtz_f16_f32 v33, v22, v23
	v_mfma_f32_16x16x16_f16 v[20:23], v[20:21], v[6:7], 0
	v_cvt_pkrtz_f16_f32 v40, v40, v41
	v_cvt_pkrtz_f16_f32 v41, v46, v47
	v_mov_b32_e32 v45, s13
	v_mfma_f32_16x16x16_f16 v[46:49], v[32:33], v[8:9], v[20:23]
	v_mul_f32_e32 v50, s4, v45
	v_cvt_pkrtz_f16_f32 v32, v52, v53
	v_cvt_pkrtz_f16_f32 v33, v24, v25
	v_pk_mul_f32 v[22:23], v[50:51], v[38:39] op_sel_hi:[0,1]
	v_mfma_f32_16x16x16_f16 v[38:41], v[40:41], v[2:3], v[46:49]
	v_pk_mul_f32 v[20:21], v[50:51], v[36:37] op_sel_hi:[0,1]
	s_waitcnt vmcnt(3)
	v_cvt_pk_f32_fp8_e32 v[24:25], v10
	v_cvt_pk_f32_fp8_sdwa v[36:37], v10 src0_sel:WORD_1
	v_mfma_f32_16x16x16_f16 v[46:49], v[32:33], v[4:5], v[38:41]
	v_cvt_pk_f32_fp8_e32 v[32:33], v11
	v_cvt_pkrtz_f16_f32 v24, v24, v25
	v_cvt_pkrtz_f16_f32 v25, v36, v37
	v_cvt_pk_f32_fp8_sdwa v[10:11], v11 src0_sel:WORD_1
	v_cvt_pkrtz_f16_f32 v32, v32, v33
	v_cvt_pk_f32_fp8_e32 v[40:41], v12
	v_cvt_pk_f32_fp8_sdwa v[52:53], v12 src0_sel:WORD_1
	v_cvt_pkrtz_f16_f32 v33, v10, v11
	v_mfma_f32_16x16x16_f16 v[36:39], v[24:25], v[6:7], 0
	v_cvt_pkrtz_f16_f32 v10, v40, v41
	v_cvt_pkrtz_f16_f32 v11, v52, v53
	v_cvt_pk_f32_fp8_e32 v[24:25], v13
	v_cvt_pk_f32_fp8_sdwa v[12:13], v13 src0_sel:WORD_1
	v_mfma_f32_16x16x16_f16 v[6:9], v[32:33], v[8:9], v[36:39]
	v_pk_mul_f32 v[40:41], v[50:51], v[16:17] op_sel_hi:[0,1]
	v_pk_mul_f32 v[32:33], v[50:51], v[48:49] op_sel_hi:[0,1]
	s_nop 0
	v_pk_mul_f32 v[36:37], v[50:51], v[18:19] op_sel_hi:[0,1]
	v_cvt_pkrtz_f16_f32 v18, v24, v25
	v_cvt_pkrtz_f16_f32 v19, v12, v13
	v_mfma_f32_16x16x16_f16 v[6:9], v[10:11], v[2:3], v[6:9]
	v_pk_mul_f32 v[38:39], v[50:51], v[46:47] op_sel_hi:[0,1]
	v_mfma_f32_16x16x16_f16 v[2:5], v[18:19], v[4:5], v[6:9]
	s_nop 6
	v_pk_mul_f32 v[24:25], v[50:51], v[2:3] op_sel_hi:[0,1]
	v_and_b32_e32 v2, 0xc0, v0
	v_add_u32_e32 v2, s5, v2
	v_lshl_or_b32 v2, v42, 2, v2
	v_pk_mul_f32 v[18:19], v[50:51], v[4:5] op_sel_hi:[0,1]
	v_or_b32_e32 v5, 1, v2
	v_mov_b32_e32 v3, 0xff7fffff
	v_cmp_gt_i32_e64 s[4:5], s33, v2
	v_cmp_gt_i32_e64 s[34:35], s33, v5
	v_or_b32_e32 v6, 3, v2
	v_cndmask_b32_e64 v4, v3, v20, s[4:5]
	v_cndmask_b32_e64 v5, v3, v21, s[34:35]
	v_max3_f32 v4, v4, s44, v5
	v_or_b32_e32 v5, 2, v2
	v_cmp_gt_i32_e64 s[36:37], s33, v5
	v_cmp_gt_i32_e64 s[38:39], s33, v6
	s_nop 0
	v_cndmask_b32_e64 v5, v3, v22, s[36:37]
	v_cndmask_b32_e64 v6, v3, v23, s[38:39]
	v_max3_f32 v4, v4, v5, v6
	v_or_b32_e32 v5, 16, v2
	v_or_b32_e32 v6, 17, v2
	v_cmp_gt_i32_e64 s[24:25], s33, v5
	v_cmp_gt_i32_e64 s[26:27], s33, v6
	s_nop 0
	v_cndmask_b32_e64 v5, v3, v40, s[24:25]
	v_cndmask_b32_e64 v6, v3, v41, s[26:27]
	v_max3_f32 v4, v4, v5, v6
	v_or_b32_e32 v5, 18, v2
	;; [unrolled: 8-line block ×6, first 2 shown]
	v_or_b32_e32 v2, 51, v2
	v_cmp_gt_i32_e32 vcc, s33, v5
	v_cmp_gt_i32_e64 s[6:7], s33, v2
	s_nop 0
	v_cndmask_b32_e32 v5, v3, v18, vcc
	v_cndmask_b32_e64 v2, v3, v19, s[6:7]
	v_max3_f32 v4, v4, v5, v2
	v_mbcnt_lo_u32_b32 v2, -1, 0
	v_mbcnt_hi_u32_b32 v5, -1, v2
	v_and_b32_e32 v2, 64, v5
	v_add_u32_e32 v6, 64, v2
	v_xor_b32_e32 v2, 32, v5
	v_cmp_lt_i32_e64 s[40:41], v2, v6
	s_nop 1
	v_cndmask_b32_e64 v2, v5, v2, s[40:41]
	v_lshlrev_b32_e32 v45, 2, v2
	ds_bpermute_b32 v7, v45, v4
	s_waitcnt vmcnt(2)
	v_mad_i64_i32 v[2:3], s[40:41], v44, s45, v[30:31]
	global_load_dwordx4 v[14:17], v[14:15], off
	s_nop 0
	global_load_dwordx4 v[10:13], v[2:3], off
	v_xor_b32_e32 v3, 16, v5
	v_cmp_lt_i32_e64 s[40:41], v3, v6
	s_waitcnt lgkmcnt(0)
	v_max_f32_e32 v2, v7, v7
	v_max_f32_e32 v2, v4, v2
	v_cndmask_b32_e64 v3, v5, v3, s[40:41]
	v_lshlrev_b32_e32 v48, 2, v3
	ds_bpermute_b32 v3, v48, v2
	s_waitcnt vmcnt(3)
	v_mad_i64_i32 v[46:47], s[40:41], v34, s45, v[30:31]
	s_waitcnt vmcnt(2)
	v_mad_i64_i32 v[30:31], s[40:41], v35, s45, v[30:31]
	s_waitcnt lgkmcnt(0)
	v_max_f32_e32 v3, v3, v3
	v_max_f32_e32 v44, v2, v3
	v_sub_f32_e32 v2, v20, v44
	v_mul_f32_e32 v2, 0x3fb8aa3b, v2
	v_exp_f32_e32 v20, v2
	v_sub_f32_e32 v2, v21, v44
	v_mul_f32_e32 v2, 0x3fb8aa3b, v2
	v_exp_f32_e32 v21, v2
	global_load_dwordx4 v[6:9], v[46:47], off
	global_load_dwordx4 v[2:5], v[30:31], off
	v_sub_f32_e32 v22, v22, v44
	v_mul_f32_e32 v22, 0x3fb8aa3b, v22
	v_sub_f32_e32 v23, v23, v44
	v_exp_f32_e32 v22, v22
	v_mul_f32_e32 v23, 0x3fb8aa3b, v23
	v_exp_f32_e32 v23, v23
	v_cndmask_b32_e64 v20, 0, v20, s[4:5]
	v_add_f32_e32 v30, 0, v20
	v_cndmask_b32_e64 v21, 0, v21, s[34:35]
	v_add_f32_e32 v30, v30, v21
	;; [unrolled: 2-line block ×3, first 2 shown]
	v_cndmask_b32_e64 v35, 0, v23, s[38:39]
	v_sub_f32_e32 v23, v40, v44
	v_sub_f32_e32 v30, v41, v44
	v_mul_f32_e32 v23, 0x3fb8aa3b, v23
	v_mul_f32_e32 v30, 0x3fb8aa3b, v30
	v_exp_f32_e32 v23, v23
	v_exp_f32_e32 v30, v30
	v_add_f32_e32 v31, v22, v35
	v_sub_f32_e32 v32, v32, v44
	v_cndmask_b32_e64 v22, 0, v23, s[24:25]
	v_cndmask_b32_e64 v23, 0, v30, s[26:27]
	v_sub_f32_e32 v30, v36, v44
	v_mul_f32_e32 v30, 0x3fb8aa3b, v30
	v_exp_f32_e32 v30, v30
	v_sub_f32_e32 v36, v37, v44
	v_add_f32_e32 v31, v31, v22
	v_mul_f32_e32 v36, 0x3fb8aa3b, v36
	v_exp_f32_e32 v37, v36
	v_add_f32_e32 v31, v31, v23
	v_cndmask_b32_e64 v36, 0, v30, s[20:21]
	v_add_f32_e32 v30, v31, v36
	v_sub_f32_e32 v31, v38, v44
	v_mul_f32_e32 v31, 0x3fb8aa3b, v31
	v_sub_f32_e32 v38, v39, v44
	v_exp_f32_e32 v31, v31
	v_mul_f32_e32 v38, 0x3fb8aa3b, v38
	v_exp_f32_e32 v38, v38
	v_mul_f32_e32 v32, 0x3fb8aa3b, v32
	v_sub_f32_e32 v33, v33, v44
	v_exp_f32_e32 v32, v32
	v_mul_f32_e32 v33, 0x3fb8aa3b, v33
	v_sub_f32_e32 v24, v24, v44
	v_cndmask_b32_e64 v37, 0, v37, s[22:23]
	v_exp_f32_e32 v33, v33
	v_mul_f32_e32 v24, 0x3fb8aa3b, v24
	v_sub_f32_e32 v25, v25, v44
	v_add_f32_e32 v39, v30, v37
	v_cndmask_b32_e64 v30, 0, v31, s[16:17]
	v_exp_f32_e32 v24, v24
	v_mul_f32_e32 v25, 0x3fb8aa3b, v25
	v_sub_f32_e32 v18, v18, v44
	v_add_f32_e32 v39, v39, v30
	;; [unrolled: 5-line block ×3, first 2 shown]
	v_cndmask_b32_e64 v32, 0, v32, s[12:13]
	v_exp_f32_e32 v18, v18
	v_mul_f32_e32 v19, 0x3fb8aa3b, v19
	v_add_f32_e32 v38, v38, v32
	v_cndmask_b32_e64 v33, 0, v33, s[14:15]
	v_exp_f32_e32 v19, v19
	v_add_f32_e32 v38, v38, v33
	v_cndmask_b32_e64 v24, 0, v24, s[8:9]
	v_add_f32_e32 v38, v38, v24
	v_cndmask_b32_e64 v25, 0, v25, s[10:11]
	v_add_f32_e32 v38, v38, v25
	v_cndmask_b32_e32 v18, 0, v18, vcc
	v_add_f32_e32 v38, v38, v18
	v_cndmask_b32_e64 v19, 0, v19, s[6:7]
	v_add_f32_e32 v38, v38, v19
	ds_bpermute_b32 v39, v45, v38
	v_cmp_gt_u32_e64 s[6:7], 16, v43
	s_waitcnt lgkmcnt(0)
	s_barrier
	v_add_f32_e32 v38, v38, v39
	ds_bpermute_b32 v40, v48, v38
	v_lshlrev_b32_e32 v39, 2, v28
	s_and_saveexec_b64 s[4:5], s[6:7]
	s_cbranch_execz .LBB916_13
; %bb.12:
	s_waitcnt lgkmcnt(0)
	v_add_f32_e32 v38, v38, v40
	v_lshl_or_b32 v40, v29, 6, v39
	ds_write2st64_b32 v40, v44, v38 offset1:1
.LBB916_13:
	s_or_b64 exec, exec, s[4:5]
	s_load_dword s8, s[0:1], 0x94
	s_waitcnt lgkmcnt(0)
	s_barrier
	ds_read2_b32 v[40:41], v39 offset1:16
	ds_read2_b32 v[44:45], v39 offset0:32 offset1:48
	ds_read2_b32 v[46:47], v39 offset0:64 offset1:80
	s_mul_i32 s9, s29, 9
	s_waitcnt lgkmcnt(2)
	v_max3_f32 v38, v40, s44, v41
	s_waitcnt lgkmcnt(1)
	v_max3_f32 v38, v38, v44, v45
	v_sub_f32_e32 v40, v40, v38
	v_mul_f32_e32 v40, 0x3fb8aa3b, v40
	v_exp_f32_e32 v43, v40
	v_sub_f32_e32 v40, v41, v38
	v_mul_f32_e32 v40, 0x3fb8aa3b, v40
	v_exp_f32_e32 v48, v40
	;; [unrolled: 3-line block ×3, first 2 shown]
	ds_read2_b32 v[40:41], v39 offset0:96 offset1:112
	v_sub_f32_e32 v39, v45, v38
	v_mul_f32_e32 v39, 0x3fb8aa3b, v39
	v_exp_f32_e32 v45, v39
	s_waitcnt lgkmcnt(1)
	v_fma_f32 v39, v43, v46, 0
	v_fmac_f32_e32 v39, v48, v47
	s_waitcnt lgkmcnt(0)
	v_fmac_f32_e32 v39, v44, v40
	v_fmac_f32_e32 v39, v45, v41
	v_add_f32_e32 v40, 0x358637bd, v39
	v_div_scale_f32 v41, s[4:5], v40, v40, 1.0
	v_rcp_f32_e32 v46, v41
	s_barrier
	v_fma_f32 v47, -v41, v46, 1.0
	v_fmac_f32_e32 v46, v47, v46
	v_div_scale_f32 v47, vcc, 1.0, v40, 1.0
	v_mul_f32_e32 v49, v47, v46
	v_fma_f32 v50, -v41, v49, v47
	v_fmac_f32_e32 v49, v50, v46
	v_fma_f32 v41, -v41, v49, v47
	v_div_fmas_f32 v41, v41, v46, v49
	v_cmp_eq_u32_e32 vcc, 1, v29
	v_div_fixup_f32 v40, v41, v40, 1.0
	s_nop 0
	v_cndmask_b32_e32 v41, v43, v48, vcc
	v_cmp_eq_u32_e32 vcc, 2, v29
	s_nop 1
	v_cndmask_b32_e32 v41, v41, v44, vcc
	v_cmp_eq_u32_e32 vcc, 3, v29
	s_nop 1
	v_cndmask_b32_e32 v41, v41, v45, vcc
	v_mul_f32_e32 v40, v41, v40
	v_pk_mul_f32 v[34:35], v[40:41], v[34:35] op_sel_hi:[0,1]
	v_pk_mul_f32 v[20:21], v[40:41], v[20:21] op_sel_hi:[0,1]
	v_cvt_f16_f32_e32 v41, v34
	v_cvt_f16_f32_e32 v35, v35
	;; [unrolled: 1-line block ×4, first 2 shown]
	v_cmp_gt_u32_e32 vcc, 9, v0
	v_pack_b32_f16 v35, v41, v35
	v_lshlrev_b32_e32 v41, 3, v42
	v_pack_b32_f16 v34, v20, v21
	v_pk_mul_f32 v[20:21], v[40:41], v[36:37] op_sel_hi:[0,1]
	v_pk_mul_f32 v[22:23], v[40:41], v[22:23] op_sel_hi:[0,1]
	v_cvt_f16_f32_e32 v22, v22
	v_cvt_f16_f32_e32 v23, v23
	;; [unrolled: 1-line block ×4, first 2 shown]
	v_lshlrev_b32_e32 v20, 11, v29
	v_or3_b32 v20, v20, v27, v41
	v_pack_b32_f16 v22, v22, v23
	v_pack_b32_f16 v23, v36, v21
	ds_write2st64_b64 v20, v[34:35], v[22:23] offset1:1
	v_pk_mul_f32 v[22:23], v[40:41], v[32:33] op_sel_hi:[0,1]
	v_pk_mul_f32 v[30:31], v[40:41], v[30:31] op_sel_hi:[0,1]
	v_cvt_f16_f32_e32 v21, v30
	v_cvt_f16_f32_e32 v29, v31
	;; [unrolled: 1-line block ×4, first 2 shown]
	v_pk_mul_f32 v[18:19], v[40:41], v[18:19] op_sel_hi:[0,1]
	v_pk_mul_f32 v[22:23], v[40:41], v[24:25] op_sel_hi:[0,1]
	v_cvt_f16_f32_e32 v22, v22
	v_cvt_f16_f32_e32 v23, v23
	;; [unrolled: 1-line block ×4, first 2 shown]
	v_pack_b32_f16 v18, v21, v29
	v_pack_b32_f16 v19, v30, v31
	;; [unrolled: 1-line block ×4, first 2 shown]
	ds_write2st64_b64 v20, v[18:19], v[22:23] offset0:2 offset1:3
	s_and_saveexec_b64 s[4:5], vcc
	s_cbranch_execz .LBB916_15
; %bb.14:
	s_mov_b32 s49, 0
	v_mov_b32_e32 v29, 0
	v_lshl_add_u64 v[18:19], s[48:49], 0, v[28:29]
	v_mov_b32_e32 v21, s9
	v_mad_u64_u32 v[18:19], s[10:11], s2, v21, v[18:19]
	s_mul_i32 s3, s3, s9
	v_mov_b32_e32 v28, s28
	s_load_dwordx4 s[12:15], s[0:1], 0x58
	v_add_u32_e32 v21, s3, v19
	v_mad_u64_u32 v[18:19], s[10:11], v18, s8, v[28:29]
	v_mov_b32_e32 v22, v19
	v_mad_u64_u32 v[22:23], s[10:11], v21, s8, v[22:23]
	v_mov_b32_e32 v19, v22
	v_lshlrev_b64 v[18:19], 2, v[18:19]
	s_waitcnt lgkmcnt(0)
	v_lshl_add_u64 v[22:23], s[14:15], 0, v[18:19]
	v_lshl_add_u64 v[18:19], s[12:13], 0, v[18:19]
	global_store_dword v[22:23], v38, off
	global_store_dword v[18:19], v39, off
.LBB916_15:
	s_or_b64 exec, exec, s[4:5]
	s_waitcnt vmcnt(3)
	v_cvt_pk_f32_fp8_e32 v[18:19], v14
	v_cvt_pk_f32_fp8_sdwa v[22:23], v14 src0_sel:WORD_1
	v_cvt_pk_f32_fp8_e32 v[24:25], v15
	v_lshl_or_b32 v14, v42, 9, v27
	s_waitcnt lgkmcnt(0)
	s_barrier
	v_cvt_pkrtz_f16_f32 v18, v18, v19
	v_cvt_pkrtz_f16_f32 v19, v22, v23
	v_cvt_pk_f32_fp8_sdwa v[28:29], v15 src0_sel:WORD_1
	v_cvt_pkrtz_f16_f32 v36, v24, v25
	ds_read_b128 v[22:25], v14
	v_cvt_pk_f32_fp8_e32 v[38:39], v16
	v_cvt_pkrtz_f16_f32 v37, v28, v29
	ds_read_b128 v[28:31], v14 offset:16
	v_cvt_pk_f32_fp8_sdwa v[40:41], v16 src0_sel:WORD_1
	s_waitcnt lgkmcnt(1)
	v_mfma_f32_16x16x16_f16 v[32:35], v[18:19], v[22:23], 0
	v_cvt_pkrtz_f16_f32 v18, v38, v39
	v_cvt_pk_f32_fp8_e32 v[38:39], v17
	v_cvt_pkrtz_f16_f32 v19, v40, v41
	v_mfma_f32_16x16x16_f16 v[22:25], v[36:37], v[24:25], v[32:35]
	s_waitcnt vmcnt(2)
	v_cvt_pk_f32_fp8_sdwa v[36:37], v12 src0_sel:WORD_1
	s_load_dword s4, s[42:43], 0x0
	v_cmp_gt_u32_e32 vcc, 64, v0
	v_cvt_pk_f32_fp8_sdwa v[32:33], v17 src0_sel:WORD_1
	v_cvt_pkrtz_f16_f32 v34, v38, v39
	s_waitcnt lgkmcnt(0)
	v_mfma_f32_16x16x16_f16 v[16:19], v[18:19], v[28:29], v[22:25]
	v_cvt_pk_f32_fp8_e32 v[28:29], v11
	v_cvt_pkrtz_f16_f32 v35, v32, v33
	s_mov_b32 s3, 0
	v_cvt_pk_f32_fp8_e32 v[22:23], v10
	v_cvt_pk_f32_fp8_sdwa v[24:25], v10 src0_sel:WORD_1
	v_mfma_f32_16x16x16_f16 v[16:19], v[34:35], v[30:31], v[16:19]
	v_cvt_pkrtz_f16_f32 v10, v22, v23
	v_cvt_pk_f32_fp8_sdwa v[30:31], v11 src0_sel:WORD_1
	v_cvt_pkrtz_f16_f32 v11, v24, v25
	ds_read_b128 v[22:25], v14 offset:2048
	v_cvt_pkrtz_f16_f32 v32, v28, v29
	v_cvt_pkrtz_f16_f32 v33, v30, v31
	ds_read_b128 v[28:31], v14 offset:2064
	v_cvt_pk_f32_fp8_e32 v[34:35], v12
	s_waitcnt lgkmcnt(1)
	v_mfma_f32_16x16x16_f16 v[16:19], v[10:11], v[22:23], v[16:19]
	v_cvt_pkrtz_f16_f32 v11, v36, v37
	v_cvt_pk_f32_fp8_e32 v[22:23], v13
	v_cvt_pkrtz_f16_f32 v10, v34, v35
	v_mfma_f32_16x16x16_f16 v[16:19], v[32:33], v[24:25], v[16:19]
	v_cvt_pk_f32_fp8_sdwa v[24:25], v13 src0_sel:WORD_1
	v_cvt_pkrtz_f16_f32 v22, v22, v23
	s_waitcnt vmcnt(1)
	v_cvt_pk_f32_fp8_sdwa v[32:33], v8 src0_sel:WORD_1
	s_waitcnt lgkmcnt(0)
	v_mfma_f32_16x16x16_f16 v[10:13], v[10:11], v[28:29], v[16:19]
	v_cvt_pkrtz_f16_f32 v23, v24, v25
	v_cvt_pk_f32_fp8_sdwa v[24:25], v7 src0_sel:WORD_1
	v_mov_b32_e32 v27, 0
	v_cvt_pk_f32_fp8_e32 v[16:17], v6
	v_cvt_pk_f32_fp8_sdwa v[18:19], v6 src0_sel:WORD_1
	v_mfma_f32_16x16x16_f16 v[10:13], v[22:23], v[30:31], v[10:13]
	v_cvt_pk_f32_fp8_e32 v[22:23], v7
	v_cvt_pkrtz_f16_f32 v6, v16, v17
	v_cvt_pkrtz_f16_f32 v7, v18, v19
	ds_read_b128 v[16:19], v14 offset:4096
	v_cvt_pkrtz_f16_f32 v28, v22, v23
	v_cvt_pkrtz_f16_f32 v29, v24, v25
	ds_read_b128 v[22:25], v14 offset:4112
	v_cvt_pk_f32_fp8_e32 v[30:31], v8
	s_waitcnt lgkmcnt(1)
	v_mfma_f32_16x16x16_f16 v[10:13], v[6:7], v[16:17], v[10:13]
	v_cvt_pkrtz_f16_f32 v7, v32, v33
	v_cvt_pk_f32_fp8_e32 v[16:17], v9
	v_cvt_pkrtz_f16_f32 v6, v30, v31
	v_mfma_f32_16x16x16_f16 v[10:13], v[28:29], v[18:19], v[10:13]
	v_cvt_pk_f32_fp8_sdwa v[18:19], v9 src0_sel:WORD_1
	v_cvt_pkrtz_f16_f32 v16, v16, v17
	v_cvt_pkrtz_f16_f32 v17, v18, v19
	s_waitcnt lgkmcnt(0)
	v_mfma_f32_16x16x16_f16 v[6:9], v[6:7], v[22:23], v[10:13]
	s_waitcnt vmcnt(0)
	v_cvt_pk_f32_fp8_sdwa v[18:19], v3 src0_sel:WORD_1
	s_nop 0
	v_cvt_pkrtz_f16_f32 v23, v18, v19
	v_cvt_pk_f32_fp8_e32 v[10:11], v2
	v_cvt_pk_f32_fp8_sdwa v[12:13], v2 src0_sel:WORD_1
	v_mfma_f32_16x16x16_f16 v[6:9], v[16:17], v[24:25], v[6:9]
	v_cvt_pk_f32_fp8_e32 v[16:17], v3
	v_cvt_pkrtz_f16_f32 v2, v10, v11
	v_cvt_pkrtz_f16_f32 v3, v12, v13
	ds_read_b128 v[10:13], v14 offset:6144
	v_cvt_pkrtz_f16_f32 v22, v16, v17
	v_cvt_pk_f32_fp8_e32 v[18:19], v4
	v_cvt_pk_f32_fp8_sdwa v[24:25], v4 src0_sel:WORD_1
	s_waitcnt lgkmcnt(0)
	v_mfma_f32_16x16x16_f16 v[6:9], v[2:3], v[10:11], v[6:9]
	ds_read_b128 v[14:17], v14 offset:6160
	v_cvt_pkrtz_f16_f32 v2, v18, v19
	v_cvt_pkrtz_f16_f32 v3, v24, v25
	v_cvt_pk_f32_fp8_e32 v[10:11], v5
	v_mfma_f32_16x16x16_f16 v[6:9], v[22:23], v[12:13], v[6:9]
	v_cvt_pk_f32_fp8_sdwa v[12:13], v5 src0_sel:WORD_1
	s_waitcnt lgkmcnt(0)
	v_cvt_pkrtz_f16_f32 v10, v10, v11
	v_mfma_f32_16x16x16_f16 v[2:5], v[2:3], v[14:15], v[6:9]
	v_cvt_pkrtz_f16_f32 v11, v12, v13
	s_barrier
	s_nop 0
	v_mfma_f32_16x16x16_f16 v[2:5], v[10:11], v[16:17], v[2:5]
	s_nop 6
	v_pk_mul_f32 v[4:5], v[4:5], s[4:5] op_sel_hi:[1,0]
	v_pk_mul_f32 v[2:3], v[2:3], s[4:5] op_sel_hi:[1,0]
	v_cvt_f16_f32_e32 v4, v4
	v_cvt_f16_f32_e32 v2, v2
	;; [unrolled: 1-line block ×4, first 2 shown]
	s_and_b64 s[4:5], vcc, s[30:31]
	v_pack_b32_f16 v2, v2, v3
	v_pack_b32_f16 v3, v4, v5
	ds_write_b64 v20, v[2:3]
	s_waitcnt lgkmcnt(0)
	s_barrier
	s_and_saveexec_b64 s[10:11], s[4:5]
	s_cbranch_execz .LBB916_18
; %bb.16:
	s_load_dwordx2 s[4:5], s[0:1], 0x68
	s_lshl_b32 s0, s8, 6
	s_mul_i32 s1, s9, s2
	s_mul_hi_u32 s9, s1, s0
	s_mul_i32 s8, s1, s0
	v_lshlrev_b32_e32 v0, 10, v0
	s_lshl_b64 s[8:9], s[8:9], 1
	v_and_b32_e32 v0, 0x1800, v0
	v_lshlrev_b32_e32 v2, 5, v42
	v_and_b32_e32 v1, 16, v1
	s_waitcnt lgkmcnt(0)
	s_add_u32 s1, s4, s8
	v_or3_b32 v2, v0, v2, v1
	s_addc_u32 s4, s5, s9
	s_lshl_b32 s2, s28, 6
	s_lshl_b64 s[2:3], s[2:3], 1
	ds_read_b128 v[4:7], v2 offset:128
	ds_read_b128 v[8:11], v2
	s_add_u32 s2, s1, s2
	s_addc_u32 s3, s4, s3
	v_add_u32_e32 v3, s48, v42
	v_lshl_add_u64 v[0:1], s[2:3], 0, v[26:27]
	v_mad_u64_u32 v[12:13], s[2:3], v3, s0, 0
	v_lshl_add_u64 v[12:13], v[12:13], 1, v[0:1]
	v_add_u32_e32 v3, 4, v3
	s_waitcnt lgkmcnt(0)
	global_store_dwordx4 v[12:13], v[8:11], off
	s_nop 1
	v_mad_u64_u32 v[8:9], s[2:3], v3, s0, 0
	v_lshl_add_u64 v[8:9], v[8:9], 1, v[0:1]
	global_store_dwordx4 v[8:9], v[4:7], off
	s_and_b64 exec, exec, s[6:7]
	s_cbranch_execz .LBB916_18
; %bb.17:
	ds_read_b128 v[2:5], v2 offset:256
	v_add3_u32 v6, s48, v42, 8
	v_mad_u64_u32 v[6:7], s[0:1], v6, s0, 0
	v_lshl_add_u64 v[0:1], v[6:7], 1, v[0:1]
	s_waitcnt lgkmcnt(0)
	global_store_dwordx4 v[0:1], v[2:5], off
.LBB916_18:
	s_endpgm
	.section	.rodata,"a",@progbits
	.p2align	6, 0x0
	.amdhsa_kernel _Z39paged_attention_ll4mi_QKV_mfma16_kernelIDF16_hLN4vllm18Fp8KVCacheDataTypeE1EDF16_Li32ELi64ELi256ELb0ELi9EEvPKT_PKT0_S7_ifPKiS9_S9_iPKfiiiPfSC_PS2_PT2_iSB_SB_
		.amdhsa_group_segment_fixed_size 8192
		.amdhsa_private_segment_fixed_size 0
		.amdhsa_kernarg_size 400
		.amdhsa_user_sgpr_count 2
		.amdhsa_user_sgpr_dispatch_ptr 0
		.amdhsa_user_sgpr_queue_ptr 0
		.amdhsa_user_sgpr_kernarg_segment_ptr 1
		.amdhsa_user_sgpr_dispatch_id 0
		.amdhsa_user_sgpr_kernarg_preload_length 0
		.amdhsa_user_sgpr_kernarg_preload_offset 0
		.amdhsa_user_sgpr_private_segment_size 0
		.amdhsa_uses_dynamic_stack 0
		.amdhsa_enable_private_segment 0
		.amdhsa_system_sgpr_workgroup_id_x 1
		.amdhsa_system_sgpr_workgroup_id_y 1
		.amdhsa_system_sgpr_workgroup_id_z 1
		.amdhsa_system_sgpr_workgroup_info 0
		.amdhsa_system_vgpr_workitem_id 0
		.amdhsa_next_free_vgpr 54
		.amdhsa_next_free_sgpr 50
		.amdhsa_accum_offset 56
		.amdhsa_reserve_vcc 1
		.amdhsa_float_round_mode_32 0
		.amdhsa_float_round_mode_16_64 0
		.amdhsa_float_denorm_mode_32 3
		.amdhsa_float_denorm_mode_16_64 3
		.amdhsa_dx10_clamp 1
		.amdhsa_ieee_mode 1
		.amdhsa_fp16_overflow 0
		.amdhsa_tg_split 0
		.amdhsa_exception_fp_ieee_invalid_op 0
		.amdhsa_exception_fp_denorm_src 0
		.amdhsa_exception_fp_ieee_div_zero 0
		.amdhsa_exception_fp_ieee_overflow 0
		.amdhsa_exception_fp_ieee_underflow 0
		.amdhsa_exception_fp_ieee_inexact 0
		.amdhsa_exception_int_div_zero 0
	.end_amdhsa_kernel
	.section	.text._Z39paged_attention_ll4mi_QKV_mfma16_kernelIDF16_hLN4vllm18Fp8KVCacheDataTypeE1EDF16_Li32ELi64ELi256ELb0ELi9EEvPKT_PKT0_S7_ifPKiS9_S9_iPKfiiiPfSC_PS2_PT2_iSB_SB_,"axG",@progbits,_Z39paged_attention_ll4mi_QKV_mfma16_kernelIDF16_hLN4vllm18Fp8KVCacheDataTypeE1EDF16_Li32ELi64ELi256ELb0ELi9EEvPKT_PKT0_S7_ifPKiS9_S9_iPKfiiiPfSC_PS2_PT2_iSB_SB_,comdat
.Lfunc_end916:
	.size	_Z39paged_attention_ll4mi_QKV_mfma16_kernelIDF16_hLN4vllm18Fp8KVCacheDataTypeE1EDF16_Li32ELi64ELi256ELb0ELi9EEvPKT_PKT0_S7_ifPKiS9_S9_iPKfiiiPfSC_PS2_PT2_iSB_SB_, .Lfunc_end916-_Z39paged_attention_ll4mi_QKV_mfma16_kernelIDF16_hLN4vllm18Fp8KVCacheDataTypeE1EDF16_Li32ELi64ELi256ELb0ELi9EEvPKT_PKT0_S7_ifPKiS9_S9_iPKfiiiPfSC_PS2_PT2_iSB_SB_
                                        ; -- End function
	.section	.AMDGPU.csdata,"",@progbits
; Kernel info:
; codeLenInByte = 4704
; NumSgprs: 56
; NumVgprs: 54
; NumAgprs: 0
; TotalNumVgprs: 54
; ScratchSize: 0
; MemoryBound: 0
; FloatMode: 240
; IeeeMode: 1
; LDSByteSize: 8192 bytes/workgroup (compile time only)
; SGPRBlocks: 6
; VGPRBlocks: 6
; NumSGPRsForWavesPerEU: 56
; NumVGPRsForWavesPerEU: 54
; AccumOffset: 56
; Occupancy: 8
; WaveLimiterHint : 1
; COMPUTE_PGM_RSRC2:SCRATCH_EN: 0
; COMPUTE_PGM_RSRC2:USER_SGPR: 2
; COMPUTE_PGM_RSRC2:TRAP_HANDLER: 0
; COMPUTE_PGM_RSRC2:TGID_X_EN: 1
; COMPUTE_PGM_RSRC2:TGID_Y_EN: 1
; COMPUTE_PGM_RSRC2:TGID_Z_EN: 1
; COMPUTE_PGM_RSRC2:TIDIG_COMP_CNT: 0
; COMPUTE_PGM_RSRC3_GFX90A:ACCUM_OFFSET: 13
; COMPUTE_PGM_RSRC3_GFX90A:TG_SPLIT: 0
	.section	.text._Z39paged_attention_ll4mi_QKV_mfma16_kernelIDF16_hLN4vllm18Fp8KVCacheDataTypeE1EDF16_Li32ELi64ELi256ELb0ELi10EEvPKT_PKT0_S7_ifPKiS9_S9_iPKfiiiPfSC_PS2_PT2_iSB_SB_,"axG",@progbits,_Z39paged_attention_ll4mi_QKV_mfma16_kernelIDF16_hLN4vllm18Fp8KVCacheDataTypeE1EDF16_Li32ELi64ELi256ELb0ELi10EEvPKT_PKT0_S7_ifPKiS9_S9_iPKfiiiPfSC_PS2_PT2_iSB_SB_,comdat
	.protected	_Z39paged_attention_ll4mi_QKV_mfma16_kernelIDF16_hLN4vllm18Fp8KVCacheDataTypeE1EDF16_Li32ELi64ELi256ELb0ELi10EEvPKT_PKT0_S7_ifPKiS9_S9_iPKfiiiPfSC_PS2_PT2_iSB_SB_ ; -- Begin function _Z39paged_attention_ll4mi_QKV_mfma16_kernelIDF16_hLN4vllm18Fp8KVCacheDataTypeE1EDF16_Li32ELi64ELi256ELb0ELi10EEvPKT_PKT0_S7_ifPKiS9_S9_iPKfiiiPfSC_PS2_PT2_iSB_SB_
	.globl	_Z39paged_attention_ll4mi_QKV_mfma16_kernelIDF16_hLN4vllm18Fp8KVCacheDataTypeE1EDF16_Li32ELi64ELi256ELb0ELi10EEvPKT_PKT0_S7_ifPKiS9_S9_iPKfiiiPfSC_PS2_PT2_iSB_SB_
	.p2align	8
	.type	_Z39paged_attention_ll4mi_QKV_mfma16_kernelIDF16_hLN4vllm18Fp8KVCacheDataTypeE1EDF16_Li32ELi64ELi256ELb0ELi10EEvPKT_PKT0_S7_ifPKiS9_S9_iPKfiiiPfSC_PS2_PT2_iSB_SB_,@function
_Z39paged_attention_ll4mi_QKV_mfma16_kernelIDF16_hLN4vllm18Fp8KVCacheDataTypeE1EDF16_Li32ELi64ELi256ELb0ELi10EEvPKT_PKT0_S7_ifPKiS9_S9_iPKfiiiPfSC_PS2_PT2_iSB_SB_: ; @_Z39paged_attention_ll4mi_QKV_mfma16_kernelIDF16_hLN4vllm18Fp8KVCacheDataTypeE1EDF16_Li32ELi64ELi256ELb0ELi10EEvPKT_PKT0_S7_ifPKiS9_S9_iPKfiiiPfSC_PS2_PT2_iSB_SB_
; %bb.0:
	s_load_dwordx2 s[12:13], s[0:1], 0x30
	s_mov_b32 s28, s3
	s_mov_b64 s[6:7], 0
	s_waitcnt lgkmcnt(0)
	s_cmp_lg_u64 s[12:13], 0
	s_cselect_b64 s[14:15], -1, 0
	s_and_b64 vcc, exec, s[14:15]
	s_cbranch_vccz .LBB917_7
; %bb.1:
	s_add_i32 s8, s2, 1
	s_mov_b32 s9, 0
	s_lshl_b64 s[10:11], s[8:9], 2
	s_add_u32 s10, s12, s10
	s_mov_b32 s3, s9
	s_addc_u32 s11, s13, s11
	s_lshl_b64 s[8:9], s[2:3], 2
	s_add_u32 s8, s12, s8
	s_addc_u32 s9, s13, s9
	s_load_dword s5, s[10:11], 0x0
	s_load_dword s16, s[8:9], 0x0
	s_waitcnt lgkmcnt(0)
	s_sub_i32 s5, s5, s16
	s_cmp_eq_u32 s5, 1
	s_cselect_b64 s[8:9], -1, 0
	s_andn2_b64 vcc, exec, s[6:7]
	s_cbranch_vccnz .LBB917_3
.LBB917_2:
	s_mov_b32 s3, 0
	s_mov_b64 s[8:9], -1
.LBB917_3:
	s_andn2_b64 vcc, exec, s[8:9]
	s_cbranch_vccnz .LBB917_18
; %bb.4:
	s_load_dwordx2 s[6:7], s[0:1], 0x28
	s_lshl_b64 s[16:17], s[2:3], 2
	s_waitcnt lgkmcnt(0)
	s_add_u32 s6, s6, s16
	s_addc_u32 s7, s7, s17
	s_load_dword s33, s[6:7], 0x0
	s_lshl_b32 s5, s28, 8
	s_waitcnt lgkmcnt(0)
	s_cmp_ge_i32 s5, s33
	s_cbranch_scc1 .LBB917_18
; %bb.5:
	s_load_dwordx2 s[6:7], s[0:1], 0x20
	s_load_dword s8, s[0:1], 0x38
	s_add_i32 s9, s33, 31
	s_ashr_i32 s10, s9, 31
	v_and_b32_e32 v1, 0xcf, v0
	s_lshr_b32 s10, s10, 27
	v_add_u32_e32 v1, s5, v1
	s_add_i32 s9, s9, s10
	v_ashrrev_i32_e32 v2, 31, v1
	s_ashr_i32 s18, s9, 5
	v_lshrrev_b32_e32 v4, 27, v2
	s_add_i32 s18, s18, -1
	s_waitcnt lgkmcnt(0)
	s_mul_i32 s8, s2, s8
	s_mov_b32 s9, 0
	v_add_u32_e32 v2, v1, v4
	s_lshl_b64 s[8:9], s[8:9], 2
	v_ashrrev_i32_e32 v2, 5, v2
	v_mov_b32_e32 v5, s18
	v_cmp_gt_i32_e32 vcc, s33, v1
	s_add_u32 s6, s6, s8
	s_addc_u32 s7, s7, s9
	v_cndmask_b32_e32 v2, v5, v2, vcc
	v_ashrrev_i32_e32 v3, 31, v2
	v_lshl_add_u64 v[6:7], v[2:3], 2, s[6:7]
	v_or_b32_e32 v2, 16, v1
	v_add_u32_e32 v3, v2, v4
	v_ashrrev_i32_e32 v3, 5, v3
	v_cmp_gt_i32_e32 vcc, s33, v2
	s_load_dwordx4 s[8:11], s[0:1], 0x8
	s_nop 0
	v_cndmask_b32_e32 v2, v5, v3, vcc
	v_ashrrev_i32_e32 v3, 31, v2
	v_lshl_add_u64 v[8:9], v[2:3], 2, s[6:7]
	v_or_b32_e32 v2, 32, v1
	v_add_u32_e32 v3, v2, v4
	v_ashrrev_i32_e32 v3, 5, v3
	v_cmp_gt_i32_e32 vcc, s33, v2
	v_or_b32_e32 v1, 48, v1
	s_nop 0
	v_cndmask_b32_e32 v2, v5, v3, vcc
	v_ashrrev_i32_e32 v3, 31, v2
	v_lshl_add_u64 v[10:11], v[2:3], 2, s[6:7]
	v_add_u32_e32 v2, v1, v4
	v_ashrrev_i32_e32 v2, 5, v2
	v_cmp_gt_i32_e32 vcc, s33, v1
	s_nop 1
	v_cndmask_b32_e32 v2, v5, v2, vcc
	v_ashrrev_i32_e32 v3, 31, v2
	v_lshl_add_u64 v[14:15], v[2:3], 2, s[6:7]
	global_load_dword v2, v[6:7], off
	global_load_dword v5, v[8:9], off
	;; [unrolled: 1-line block ×4, first 2 shown]
	s_andn2_b64 vcc, exec, s[14:15]
	s_cbranch_vccnz .LBB917_8
; %bb.6:
	s_add_u32 s12, s12, s16
	s_addc_u32 s13, s13, s17
	s_load_dword s14, s[12:13], 0x0
	s_branch .LBB917_9
.LBB917_7:
	s_mov_b64 s[8:9], 0
	s_branch .LBB917_2
.LBB917_8:
	s_mov_b32 s14, s2
.LBB917_9:
	s_load_dwordx4 s[44:47], s[0:1], 0x48
	v_lshrrev_b32_e32 v29, 6, v0
	v_bfe_u32 v42, v0, 4, 2
	v_lshl_or_b32 v3, v29, 2, v42
	v_and_b32_e32 v28, 15, v0
	v_lshlrev_b32_e32 v1, 3, v28
	v_cmp_gt_u32_e32 vcc, 10, v3
	v_cmp_gt_u32_e64 s[30:31], 8, v28
	v_and_b32_e32 v43, 63, v0
	s_mul_i32 s48, s4, 10
	s_and_b64 s[16:17], s[30:31], vcc
	v_lshlrev_b32_e32 v26, 1, v1
	v_lshlrev_b32_e32 v1, 4, v0
	s_and_saveexec_b64 s[12:13], s[16:17]
	s_cbranch_execz .LBB917_11
; %bb.10:
	s_load_dwordx2 s[16:17], s[0:1], 0x0
	s_waitcnt lgkmcnt(0)
	s_ashr_i32 s15, s44, 31
	s_mul_hi_u32 s19, s14, s44
	s_mul_i32 s15, s14, s15
	s_add_i32 s15, s19, s15
	s_mul_i32 s14, s14, s44
	s_lshl_b64 s[14:15], s[14:15], 1
	s_add_u32 s14, s16, s14
	v_add_lshl_u32 v6, v3, s48, 6
	s_addc_u32 s15, s17, s15
	v_ashrrev_i32_e32 v7, 31, v6
	v_lshl_add_u64 v[6:7], v[6:7], 1, s[14:15]
	v_mov_b32_e32 v27, 0
	v_lshl_add_u64 v[6:7], v[6:7], 0, v[26:27]
	global_load_dwordx4 v[6:9], v[6:7], off
	v_lshlrev_b32_e32 v11, 8, v28
	v_lshlrev_b32_e32 v3, 5, v3
	v_and_b32_e32 v10, 16, v1
	v_and_b32_e32 v11, 0xe00, v11
	v_or3_b32 v3, v11, v3, v10
	s_waitcnt vmcnt(0)
	ds_write_b128 v3, v[6:9]
.LBB917_11:
	s_or_b64 exec, exec, s[12:13]
	s_waitcnt lgkmcnt(0)
	s_mul_i32 s4, s4, s46
	s_add_u32 s8, s8, s4
	s_addc_u32 s9, s9, 0
	v_mov_b32_e32 v31, 0
	v_mov_b64_e32 v[10:11], s[8:9]
	v_and_b32_e32 v8, 48, v0
	s_waitcnt vmcnt(3)
	v_mad_i64_i32 v[6:7], s[8:9], v2, s45, v[10:11]
	v_lshlrev_b32_e32 v2, 4, v28
	v_mov_b32_e32 v3, v31
	v_lshlrev_b32_e32 v30, 5, v8
	v_lshl_add_u64 v[6:7], v[6:7], 0, v[2:3]
	v_lshl_add_u64 v[6:7], v[6:7], 0, v[30:31]
	s_load_dword s29, s[0:1], 0x98
	s_load_dwordx4 s[40:43], s[0:1], 0x80
	s_waitcnt lgkmcnt(0)
	s_barrier
	global_load_dwordx4 v[14:17], v[6:7], off
	s_waitcnt vmcnt(3)
	v_mad_i64_i32 v[6:7], s[8:9], v5, s45, v[10:11]
	v_or_b32_e32 v32, 0x100, v2
	v_mov_b32_e32 v33, v31
	v_lshl_add_u64 v[6:7], v[6:7], 0, v[32:33]
	v_lshl_add_u64 v[6:7], v[6:7], 0, v[30:31]
	global_load_dwordx4 v[18:21], v[6:7], off
	s_ashr_i32 s8, s5, 31
	v_or_b32_e32 v5, s5, v8
	s_lshr_b32 s12, s8, 27
	v_add_u32_e32 v8, s12, v5
	v_cmp_gt_i32_e32 vcc, s33, v5
	v_or_b32_e32 v34, 64, v5
	v_or_b32_e32 v35, 0x80, v5
	;; [unrolled: 1-line block ×3, first 2 shown]
	s_waitcnt vmcnt(3)
	v_mad_i64_i32 v[4:5], s[8:9], v4, s45, v[10:11]
	v_lshl_add_u64 v[2:3], v[4:5], 0, v[2:3]
	v_lshl_add_u64 v[2:3], v[2:3], 0, v[30:31]
	global_load_dwordx4 v[22:25], v[2:3], off
	v_ashrrev_i32_e32 v8, 5, v8
	v_mov_b32_e32 v13, s18
	v_cndmask_b32_e32 v8, v13, v8, vcc
	v_ashrrev_i32_e32 v9, 31, v8
	v_add_u32_e32 v6, -10, v28
	v_cmp_gt_u32_e32 vcc, 10, v28
	s_waitcnt vmcnt(3)
	v_mad_i64_i32 v[10:11], s[8:9], v12, s45, v[10:11]
	v_add_u32_e32 v12, s12, v34
	v_lshl_add_u64 v[8:9], v[8:9], 2, s[6:7]
	v_cndmask_b32_e32 v6, v6, v28, vcc
	v_add_u32_e32 v37, s12, v35
	v_ashrrev_i32_e32 v12, 5, v12
	v_cmp_gt_i32_e32 vcc, s33, v34
	global_load_dword v45, v[8:9], off
	v_lshlrev_b32_e32 v6, 5, v6
	v_add_u32_e32 v38, s12, v36
	v_lshl_add_u64 v[10:11], v[10:11], 0, v[32:33]
	v_ashrrev_i32_e32 v33, 5, v37
	v_cndmask_b32_e32 v32, v13, v12, vcc
	v_cmp_gt_i32_e32 vcc, s33, v35
	v_lshl_add_u32 v2, v42, 9, v6
	v_ashrrev_i32_e32 v37, 5, v38
	v_lshl_add_u64 v[10:11], v[10:11], 0, v[30:31]
	v_cndmask_b32_e32 v34, v13, v33, vcc
	v_cmp_gt_i32_e32 vcc, s33, v36
	ds_read_b128 v[6:9], v2
	ds_read_b128 v[2:5], v2 offset:16
	v_cndmask_b32_e32 v36, v13, v37, vcc
	global_load_dwordx4 v[10:13], v[10:11], off
	v_ashrrev_i32_e32 v33, 31, v32
	v_ashrrev_i32_e32 v37, 31, v36
	;; [unrolled: 1-line block ×3, first 2 shown]
	v_lshl_add_u64 v[32:33], v[32:33], 2, s[6:7]
	v_lshl_add_u64 v[36:37], v[36:37], 2, s[6:7]
	;; [unrolled: 1-line block ×3, first 2 shown]
	global_load_dword v44, v[32:33], off
	global_load_dword v34, v[40:41], off
	;; [unrolled: 1-line block ×3, first 2 shown]
	s_add_u32 s8, s10, s4
	v_lshlrev_b32_e32 v27, 5, v28
	s_addc_u32 s9, s11, 0
	v_and_b32_e32 v30, 16, v0
	v_lshl_add_u64 v[38:39], s[8:9], 0, v[30:31]
	v_lshl_or_b32 v30, v29, 9, v27
	v_lshl_add_u64 v[30:31], v[38:39], 0, v[30:31]
	s_load_dword s13, s[0:1], 0x1c
	s_load_dword s4, s[40:41], 0x0
	s_mov_b32 s44, 0xff7fffff
	s_waitcnt vmcnt(7)
	v_cvt_pk_f32_fp8_e32 v[32:33], v14
	v_cvt_pk_f32_fp8_sdwa v[36:37], v14 src0_sel:WORD_1
	v_cvt_pk_f32_fp8_e32 v[38:39], v15
	v_cvt_pk_f32_fp8_sdwa v[14:15], v15 src0_sel:WORD_1
	v_cvt_pkrtz_f16_f32 v32, v32, v33
	v_cvt_pkrtz_f16_f32 v33, v36, v37
	v_cvt_pk_f32_fp8_e32 v[40:41], v16
	v_cvt_pk_f32_fp8_sdwa v[46:47], v16 src0_sel:WORD_1
	v_cvt_pkrtz_f16_f32 v48, v38, v39
	v_cvt_pkrtz_f16_f32 v49, v14, v15
	s_waitcnt lgkmcnt(0)
	v_mfma_f32_16x16x16_f16 v[36:39], v[32:33], v[6:7], 0
	v_cvt_pk_f32_fp8_e32 v[32:33], v17
	v_cvt_pkrtz_f16_f32 v40, v40, v41
	v_cvt_pkrtz_f16_f32 v41, v46, v47
	v_cvt_pk_f32_fp8_sdwa v[16:17], v17 src0_sel:WORD_1
	v_mfma_f32_16x16x16_f16 v[36:39], v[48:49], v[8:9], v[36:39]
	v_cvt_pkrtz_f16_f32 v32, v32, v33
	s_waitcnt vmcnt(6)
	v_cvt_pk_f32_fp8_sdwa v[46:47], v20 src0_sel:WORD_1
	v_cvt_pkrtz_f16_f32 v33, v16, v17
	v_mfma_f32_16x16x16_f16 v[36:39], v[40:41], v[2:3], v[36:39]
	v_cvt_pk_f32_fp8_e32 v[16:17], v18
	v_cvt_pk_f32_fp8_sdwa v[40:41], v18 src0_sel:WORD_1
	s_waitcnt vmcnt(5)
	v_cvt_pk_f32_fp8_e32 v[52:53], v25
	v_mfma_f32_16x16x16_f16 v[36:39], v[32:33], v[4:5], v[36:39]
	v_cvt_pk_f32_fp8_e32 v[32:33], v19
	v_cvt_pkrtz_f16_f32 v16, v16, v17
	v_cvt_pkrtz_f16_f32 v17, v40, v41
	v_cvt_pk_f32_fp8_sdwa v[18:19], v19 src0_sel:WORD_1
	v_cvt_pkrtz_f16_f32 v32, v32, v33
	v_cvt_pk_f32_fp8_e32 v[40:41], v20
	v_cvt_pkrtz_f16_f32 v33, v18, v19
	v_mfma_f32_16x16x16_f16 v[16:19], v[16:17], v[6:7], 0
	v_cvt_pkrtz_f16_f32 v40, v40, v41
	v_cvt_pkrtz_f16_f32 v41, v46, v47
	v_cvt_pk_f32_fp8_e32 v[46:47], v21
	v_cvt_pk_f32_fp8_sdwa v[20:21], v21 src0_sel:WORD_1
	v_mfma_f32_16x16x16_f16 v[16:19], v[32:33], v[8:9], v[16:19]
	s_waitcnt vmcnt(4)
	v_mad_i64_i32 v[14:15], s[6:7], v45, s45, v[30:31]
	v_cvt_pkrtz_f16_f32 v32, v46, v47
	v_cvt_pkrtz_f16_f32 v33, v20, v21
	v_mfma_f32_16x16x16_f16 v[16:19], v[40:41], v[2:3], v[16:19]
	v_cvt_pk_f32_fp8_e32 v[20:21], v22
	v_cvt_pk_f32_fp8_sdwa v[40:41], v22 src0_sel:WORD_1
	v_cvt_pk_f32_fp8_sdwa v[46:47], v24 src0_sel:WORD_1
	v_mfma_f32_16x16x16_f16 v[16:19], v[32:33], v[4:5], v[16:19]
	v_cvt_pk_f32_fp8_e32 v[32:33], v23
	v_cvt_pkrtz_f16_f32 v20, v20, v21
	v_cvt_pkrtz_f16_f32 v21, v40, v41
	v_cvt_pk_f32_fp8_sdwa v[22:23], v23 src0_sel:WORD_1
	v_cvt_pkrtz_f16_f32 v32, v32, v33
	v_cvt_pk_f32_fp8_e32 v[40:41], v24
	v_cvt_pk_f32_fp8_sdwa v[24:25], v25 src0_sel:WORD_1
	v_cvt_pkrtz_f16_f32 v33, v22, v23
	v_mfma_f32_16x16x16_f16 v[20:23], v[20:21], v[6:7], 0
	v_cvt_pkrtz_f16_f32 v40, v40, v41
	v_cvt_pkrtz_f16_f32 v41, v46, v47
	v_mov_b32_e32 v45, s13
	v_mfma_f32_16x16x16_f16 v[46:49], v[32:33], v[8:9], v[20:23]
	v_mul_f32_e32 v50, s4, v45
	v_cvt_pkrtz_f16_f32 v32, v52, v53
	v_cvt_pkrtz_f16_f32 v33, v24, v25
	v_pk_mul_f32 v[22:23], v[50:51], v[38:39] op_sel_hi:[0,1]
	v_mfma_f32_16x16x16_f16 v[38:41], v[40:41], v[2:3], v[46:49]
	v_pk_mul_f32 v[20:21], v[50:51], v[36:37] op_sel_hi:[0,1]
	s_waitcnt vmcnt(3)
	v_cvt_pk_f32_fp8_e32 v[24:25], v10
	v_cvt_pk_f32_fp8_sdwa v[36:37], v10 src0_sel:WORD_1
	v_mfma_f32_16x16x16_f16 v[46:49], v[32:33], v[4:5], v[38:41]
	v_cvt_pk_f32_fp8_e32 v[32:33], v11
	v_cvt_pkrtz_f16_f32 v24, v24, v25
	v_cvt_pkrtz_f16_f32 v25, v36, v37
	v_cvt_pk_f32_fp8_sdwa v[10:11], v11 src0_sel:WORD_1
	v_cvt_pkrtz_f16_f32 v32, v32, v33
	v_cvt_pk_f32_fp8_e32 v[40:41], v12
	v_cvt_pk_f32_fp8_sdwa v[52:53], v12 src0_sel:WORD_1
	v_cvt_pkrtz_f16_f32 v33, v10, v11
	v_mfma_f32_16x16x16_f16 v[36:39], v[24:25], v[6:7], 0
	v_cvt_pkrtz_f16_f32 v10, v40, v41
	v_cvt_pkrtz_f16_f32 v11, v52, v53
	v_cvt_pk_f32_fp8_e32 v[24:25], v13
	v_cvt_pk_f32_fp8_sdwa v[12:13], v13 src0_sel:WORD_1
	v_mfma_f32_16x16x16_f16 v[6:9], v[32:33], v[8:9], v[36:39]
	v_pk_mul_f32 v[40:41], v[50:51], v[16:17] op_sel_hi:[0,1]
	v_pk_mul_f32 v[32:33], v[50:51], v[48:49] op_sel_hi:[0,1]
	s_nop 0
	v_pk_mul_f32 v[36:37], v[50:51], v[18:19] op_sel_hi:[0,1]
	v_cvt_pkrtz_f16_f32 v18, v24, v25
	v_cvt_pkrtz_f16_f32 v19, v12, v13
	v_mfma_f32_16x16x16_f16 v[6:9], v[10:11], v[2:3], v[6:9]
	v_pk_mul_f32 v[38:39], v[50:51], v[46:47] op_sel_hi:[0,1]
	v_mfma_f32_16x16x16_f16 v[2:5], v[18:19], v[4:5], v[6:9]
	s_nop 6
	v_pk_mul_f32 v[24:25], v[50:51], v[2:3] op_sel_hi:[0,1]
	v_and_b32_e32 v2, 0xc0, v0
	v_add_u32_e32 v2, s5, v2
	v_lshl_or_b32 v2, v42, 2, v2
	v_pk_mul_f32 v[18:19], v[50:51], v[4:5] op_sel_hi:[0,1]
	v_or_b32_e32 v5, 1, v2
	v_mov_b32_e32 v3, 0xff7fffff
	v_cmp_gt_i32_e64 s[4:5], s33, v2
	v_cmp_gt_i32_e64 s[34:35], s33, v5
	v_or_b32_e32 v6, 3, v2
	v_cndmask_b32_e64 v4, v3, v20, s[4:5]
	v_cndmask_b32_e64 v5, v3, v21, s[34:35]
	v_max3_f32 v4, v4, s44, v5
	v_or_b32_e32 v5, 2, v2
	v_cmp_gt_i32_e64 s[36:37], s33, v5
	v_cmp_gt_i32_e64 s[38:39], s33, v6
	s_nop 0
	v_cndmask_b32_e64 v5, v3, v22, s[36:37]
	v_cndmask_b32_e64 v6, v3, v23, s[38:39]
	v_max3_f32 v4, v4, v5, v6
	v_or_b32_e32 v5, 16, v2
	v_or_b32_e32 v6, 17, v2
	v_cmp_gt_i32_e64 s[24:25], s33, v5
	v_cmp_gt_i32_e64 s[26:27], s33, v6
	s_nop 0
	v_cndmask_b32_e64 v5, v3, v40, s[24:25]
	v_cndmask_b32_e64 v6, v3, v41, s[26:27]
	v_max3_f32 v4, v4, v5, v6
	v_or_b32_e32 v5, 18, v2
	;; [unrolled: 8-line block ×6, first 2 shown]
	v_or_b32_e32 v2, 51, v2
	v_cmp_gt_i32_e32 vcc, s33, v5
	v_cmp_gt_i32_e64 s[6:7], s33, v2
	s_nop 0
	v_cndmask_b32_e32 v5, v3, v18, vcc
	v_cndmask_b32_e64 v2, v3, v19, s[6:7]
	v_max3_f32 v4, v4, v5, v2
	v_mbcnt_lo_u32_b32 v2, -1, 0
	v_mbcnt_hi_u32_b32 v5, -1, v2
	v_and_b32_e32 v2, 64, v5
	v_add_u32_e32 v6, 64, v2
	v_xor_b32_e32 v2, 32, v5
	v_cmp_lt_i32_e64 s[40:41], v2, v6
	s_nop 1
	v_cndmask_b32_e64 v2, v5, v2, s[40:41]
	v_lshlrev_b32_e32 v45, 2, v2
	ds_bpermute_b32 v7, v45, v4
	s_waitcnt vmcnt(2)
	v_mad_i64_i32 v[2:3], s[40:41], v44, s45, v[30:31]
	global_load_dwordx4 v[14:17], v[14:15], off
	s_nop 0
	global_load_dwordx4 v[10:13], v[2:3], off
	v_xor_b32_e32 v3, 16, v5
	v_cmp_lt_i32_e64 s[40:41], v3, v6
	s_waitcnt lgkmcnt(0)
	v_max_f32_e32 v2, v7, v7
	v_max_f32_e32 v2, v4, v2
	v_cndmask_b32_e64 v3, v5, v3, s[40:41]
	v_lshlrev_b32_e32 v48, 2, v3
	ds_bpermute_b32 v3, v48, v2
	s_waitcnt vmcnt(3)
	v_mad_i64_i32 v[46:47], s[40:41], v34, s45, v[30:31]
	s_waitcnt vmcnt(2)
	v_mad_i64_i32 v[30:31], s[40:41], v35, s45, v[30:31]
	s_waitcnt lgkmcnt(0)
	v_max_f32_e32 v3, v3, v3
	v_max_f32_e32 v44, v2, v3
	v_sub_f32_e32 v2, v20, v44
	v_mul_f32_e32 v2, 0x3fb8aa3b, v2
	v_exp_f32_e32 v20, v2
	v_sub_f32_e32 v2, v21, v44
	v_mul_f32_e32 v2, 0x3fb8aa3b, v2
	v_exp_f32_e32 v21, v2
	global_load_dwordx4 v[6:9], v[46:47], off
	global_load_dwordx4 v[2:5], v[30:31], off
	v_sub_f32_e32 v22, v22, v44
	v_mul_f32_e32 v22, 0x3fb8aa3b, v22
	v_sub_f32_e32 v23, v23, v44
	v_exp_f32_e32 v22, v22
	v_mul_f32_e32 v23, 0x3fb8aa3b, v23
	v_exp_f32_e32 v23, v23
	v_cndmask_b32_e64 v20, 0, v20, s[4:5]
	v_add_f32_e32 v30, 0, v20
	v_cndmask_b32_e64 v21, 0, v21, s[34:35]
	v_add_f32_e32 v30, v30, v21
	;; [unrolled: 2-line block ×3, first 2 shown]
	v_cndmask_b32_e64 v35, 0, v23, s[38:39]
	v_sub_f32_e32 v23, v40, v44
	v_sub_f32_e32 v30, v41, v44
	v_mul_f32_e32 v23, 0x3fb8aa3b, v23
	v_mul_f32_e32 v30, 0x3fb8aa3b, v30
	v_exp_f32_e32 v23, v23
	v_exp_f32_e32 v30, v30
	v_add_f32_e32 v31, v22, v35
	v_sub_f32_e32 v32, v32, v44
	v_cndmask_b32_e64 v22, 0, v23, s[24:25]
	v_cndmask_b32_e64 v23, 0, v30, s[26:27]
	v_sub_f32_e32 v30, v36, v44
	v_mul_f32_e32 v30, 0x3fb8aa3b, v30
	v_exp_f32_e32 v30, v30
	v_sub_f32_e32 v36, v37, v44
	v_add_f32_e32 v31, v31, v22
	v_mul_f32_e32 v36, 0x3fb8aa3b, v36
	v_exp_f32_e32 v37, v36
	v_add_f32_e32 v31, v31, v23
	v_cndmask_b32_e64 v36, 0, v30, s[20:21]
	v_add_f32_e32 v30, v31, v36
	v_sub_f32_e32 v31, v38, v44
	v_mul_f32_e32 v31, 0x3fb8aa3b, v31
	v_sub_f32_e32 v38, v39, v44
	v_exp_f32_e32 v31, v31
	v_mul_f32_e32 v38, 0x3fb8aa3b, v38
	v_exp_f32_e32 v38, v38
	v_mul_f32_e32 v32, 0x3fb8aa3b, v32
	v_sub_f32_e32 v33, v33, v44
	v_exp_f32_e32 v32, v32
	v_mul_f32_e32 v33, 0x3fb8aa3b, v33
	v_sub_f32_e32 v24, v24, v44
	v_cndmask_b32_e64 v37, 0, v37, s[22:23]
	v_exp_f32_e32 v33, v33
	v_mul_f32_e32 v24, 0x3fb8aa3b, v24
	v_sub_f32_e32 v25, v25, v44
	v_add_f32_e32 v39, v30, v37
	v_cndmask_b32_e64 v30, 0, v31, s[16:17]
	v_exp_f32_e32 v24, v24
	v_mul_f32_e32 v25, 0x3fb8aa3b, v25
	v_sub_f32_e32 v18, v18, v44
	v_add_f32_e32 v39, v39, v30
	;; [unrolled: 5-line block ×3, first 2 shown]
	v_cndmask_b32_e64 v32, 0, v32, s[12:13]
	v_exp_f32_e32 v18, v18
	v_mul_f32_e32 v19, 0x3fb8aa3b, v19
	v_add_f32_e32 v38, v38, v32
	v_cndmask_b32_e64 v33, 0, v33, s[14:15]
	v_exp_f32_e32 v19, v19
	v_add_f32_e32 v38, v38, v33
	v_cndmask_b32_e64 v24, 0, v24, s[8:9]
	v_add_f32_e32 v38, v38, v24
	v_cndmask_b32_e64 v25, 0, v25, s[10:11]
	v_add_f32_e32 v38, v38, v25
	v_cndmask_b32_e32 v18, 0, v18, vcc
	v_add_f32_e32 v38, v38, v18
	v_cndmask_b32_e64 v19, 0, v19, s[6:7]
	v_add_f32_e32 v38, v38, v19
	ds_bpermute_b32 v39, v45, v38
	v_cmp_gt_u32_e32 vcc, 16, v43
	s_waitcnt lgkmcnt(0)
	s_barrier
	v_add_f32_e32 v38, v38, v39
	ds_bpermute_b32 v40, v48, v38
	v_lshlrev_b32_e32 v39, 2, v28
	s_and_saveexec_b64 s[4:5], vcc
	s_cbranch_execz .LBB917_13
; %bb.12:
	s_waitcnt lgkmcnt(0)
	v_add_f32_e32 v38, v38, v40
	v_lshl_or_b32 v40, v29, 6, v39
	ds_write2st64_b32 v40, v44, v38 offset1:1
.LBB917_13:
	s_or_b64 exec, exec, s[4:5]
	s_load_dword s6, s[0:1], 0x94
	s_waitcnt lgkmcnt(0)
	s_barrier
	ds_read2_b32 v[40:41], v39 offset1:16
	ds_read2_b32 v[44:45], v39 offset0:32 offset1:48
	ds_read2_b32 v[46:47], v39 offset0:64 offset1:80
	s_mul_i32 s7, s29, 10
	s_waitcnt lgkmcnt(2)
	v_max3_f32 v38, v40, s44, v41
	s_waitcnt lgkmcnt(1)
	v_max3_f32 v38, v38, v44, v45
	v_sub_f32_e32 v40, v40, v38
	v_mul_f32_e32 v40, 0x3fb8aa3b, v40
	v_exp_f32_e32 v43, v40
	v_sub_f32_e32 v40, v41, v38
	v_mul_f32_e32 v40, 0x3fb8aa3b, v40
	v_exp_f32_e32 v48, v40
	;; [unrolled: 3-line block ×3, first 2 shown]
	ds_read2_b32 v[40:41], v39 offset0:96 offset1:112
	v_sub_f32_e32 v39, v45, v38
	v_mul_f32_e32 v39, 0x3fb8aa3b, v39
	v_exp_f32_e32 v45, v39
	s_waitcnt lgkmcnt(1)
	v_fma_f32 v39, v43, v46, 0
	v_fmac_f32_e32 v39, v48, v47
	s_waitcnt lgkmcnt(0)
	v_fmac_f32_e32 v39, v44, v40
	v_fmac_f32_e32 v39, v45, v41
	v_add_f32_e32 v40, 0x358637bd, v39
	v_div_scale_f32 v41, s[4:5], v40, v40, 1.0
	v_rcp_f32_e32 v46, v41
	s_barrier
	v_fma_f32 v47, -v41, v46, 1.0
	v_fmac_f32_e32 v46, v47, v46
	v_div_scale_f32 v47, vcc, 1.0, v40, 1.0
	v_mul_f32_e32 v49, v47, v46
	v_fma_f32 v50, -v41, v49, v47
	v_fmac_f32_e32 v49, v50, v46
	v_fma_f32 v41, -v41, v49, v47
	v_div_fmas_f32 v41, v41, v46, v49
	v_cmp_eq_u32_e32 vcc, 1, v29
	v_div_fixup_f32 v40, v41, v40, 1.0
	s_nop 0
	v_cndmask_b32_e32 v41, v43, v48, vcc
	v_cmp_eq_u32_e32 vcc, 2, v29
	s_nop 1
	v_cndmask_b32_e32 v41, v41, v44, vcc
	v_cmp_eq_u32_e32 vcc, 3, v29
	s_nop 1
	v_cndmask_b32_e32 v41, v41, v45, vcc
	v_mul_f32_e32 v40, v41, v40
	v_pk_mul_f32 v[34:35], v[40:41], v[34:35] op_sel_hi:[0,1]
	v_pk_mul_f32 v[20:21], v[40:41], v[20:21] op_sel_hi:[0,1]
	v_cvt_f16_f32_e32 v41, v34
	v_cvt_f16_f32_e32 v35, v35
	v_cvt_f16_f32_e32 v20, v20
	v_cvt_f16_f32_e32 v21, v21
	v_cmp_gt_u32_e32 vcc, 10, v0
	v_pack_b32_f16 v35, v41, v35
	v_lshlrev_b32_e32 v41, 3, v42
	v_pack_b32_f16 v34, v20, v21
	v_pk_mul_f32 v[20:21], v[40:41], v[36:37] op_sel_hi:[0,1]
	v_pk_mul_f32 v[22:23], v[40:41], v[22:23] op_sel_hi:[0,1]
	v_cvt_f16_f32_e32 v22, v22
	v_cvt_f16_f32_e32 v23, v23
	;; [unrolled: 1-line block ×4, first 2 shown]
	v_lshlrev_b32_e32 v20, 11, v29
	v_or3_b32 v20, v20, v27, v41
	v_pack_b32_f16 v22, v22, v23
	v_pack_b32_f16 v23, v36, v21
	ds_write2st64_b64 v20, v[34:35], v[22:23] offset1:1
	v_pk_mul_f32 v[22:23], v[40:41], v[32:33] op_sel_hi:[0,1]
	v_pk_mul_f32 v[30:31], v[40:41], v[30:31] op_sel_hi:[0,1]
	v_cvt_f16_f32_e32 v21, v30
	v_cvt_f16_f32_e32 v29, v31
	;; [unrolled: 1-line block ×4, first 2 shown]
	v_pk_mul_f32 v[18:19], v[40:41], v[18:19] op_sel_hi:[0,1]
	v_pk_mul_f32 v[22:23], v[40:41], v[24:25] op_sel_hi:[0,1]
	v_cvt_f16_f32_e32 v22, v22
	v_cvt_f16_f32_e32 v23, v23
	;; [unrolled: 1-line block ×4, first 2 shown]
	v_pack_b32_f16 v18, v21, v29
	v_pack_b32_f16 v19, v30, v31
	v_pack_b32_f16 v22, v22, v23
	v_pack_b32_f16 v23, v24, v25
	ds_write2st64_b64 v20, v[18:19], v[22:23] offset0:2 offset1:3
	s_and_saveexec_b64 s[4:5], vcc
	s_cbranch_execz .LBB917_15
; %bb.14:
	s_mov_b32 s49, 0
	v_mov_b32_e32 v29, 0
	v_lshl_add_u64 v[18:19], s[48:49], 0, v[28:29]
	v_mov_b32_e32 v21, s7
	v_mad_u64_u32 v[18:19], s[12:13], s2, v21, v[18:19]
	s_mul_i32 s3, s3, s7
	v_mov_b32_e32 v28, s28
	s_load_dwordx4 s[8:11], s[0:1], 0x58
	v_add_u32_e32 v21, s3, v19
	v_mad_u64_u32 v[18:19], s[12:13], v18, s6, v[28:29]
	v_mov_b32_e32 v22, v19
	v_mad_u64_u32 v[22:23], s[12:13], v21, s6, v[22:23]
	v_mov_b32_e32 v19, v22
	v_lshlrev_b64 v[18:19], 2, v[18:19]
	s_waitcnt lgkmcnt(0)
	v_lshl_add_u64 v[22:23], s[10:11], 0, v[18:19]
	v_lshl_add_u64 v[18:19], s[8:9], 0, v[18:19]
	global_store_dword v[22:23], v38, off
	global_store_dword v[18:19], v39, off
.LBB917_15:
	s_or_b64 exec, exec, s[4:5]
	s_waitcnt vmcnt(3)
	v_cvt_pk_f32_fp8_e32 v[18:19], v14
	v_cvt_pk_f32_fp8_sdwa v[22:23], v14 src0_sel:WORD_1
	v_cvt_pk_f32_fp8_e32 v[24:25], v15
	v_lshl_or_b32 v14, v42, 9, v27
	s_waitcnt lgkmcnt(0)
	s_barrier
	v_cvt_pkrtz_f16_f32 v18, v18, v19
	v_cvt_pkrtz_f16_f32 v19, v22, v23
	v_cvt_pk_f32_fp8_sdwa v[28:29], v15 src0_sel:WORD_1
	v_cvt_pkrtz_f16_f32 v36, v24, v25
	ds_read_b128 v[22:25], v14
	v_cvt_pk_f32_fp8_e32 v[38:39], v16
	v_cvt_pkrtz_f16_f32 v37, v28, v29
	ds_read_b128 v[28:31], v14 offset:16
	v_cvt_pk_f32_fp8_sdwa v[40:41], v16 src0_sel:WORD_1
	s_waitcnt lgkmcnt(1)
	v_mfma_f32_16x16x16_f16 v[32:35], v[18:19], v[22:23], 0
	v_cvt_pkrtz_f16_f32 v18, v38, v39
	v_cvt_pk_f32_fp8_e32 v[38:39], v17
	v_cvt_pkrtz_f16_f32 v19, v40, v41
	v_mfma_f32_16x16x16_f16 v[22:25], v[36:37], v[24:25], v[32:35]
	s_waitcnt vmcnt(2)
	v_cvt_pk_f32_fp8_sdwa v[36:37], v12 src0_sel:WORD_1
	s_load_dword s4, s[42:43], 0x0
	v_cmp_gt_u32_e32 vcc, 64, v0
	v_cvt_pk_f32_fp8_sdwa v[32:33], v17 src0_sel:WORD_1
	v_cvt_pkrtz_f16_f32 v34, v38, v39
	s_waitcnt lgkmcnt(0)
	v_mfma_f32_16x16x16_f16 v[16:19], v[18:19], v[28:29], v[22:25]
	v_cvt_pk_f32_fp8_e32 v[28:29], v11
	v_cvt_pkrtz_f16_f32 v35, v32, v33
	s_mov_b32 s3, 0
	v_cvt_pk_f32_fp8_e32 v[22:23], v10
	v_cvt_pk_f32_fp8_sdwa v[24:25], v10 src0_sel:WORD_1
	v_mfma_f32_16x16x16_f16 v[16:19], v[34:35], v[30:31], v[16:19]
	v_cvt_pkrtz_f16_f32 v10, v22, v23
	v_cvt_pk_f32_fp8_sdwa v[30:31], v11 src0_sel:WORD_1
	v_cvt_pkrtz_f16_f32 v11, v24, v25
	ds_read_b128 v[22:25], v14 offset:2048
	v_cvt_pkrtz_f16_f32 v32, v28, v29
	v_cvt_pkrtz_f16_f32 v33, v30, v31
	ds_read_b128 v[28:31], v14 offset:2064
	v_cvt_pk_f32_fp8_e32 v[34:35], v12
	s_waitcnt lgkmcnt(1)
	v_mfma_f32_16x16x16_f16 v[16:19], v[10:11], v[22:23], v[16:19]
	v_cvt_pkrtz_f16_f32 v11, v36, v37
	v_cvt_pk_f32_fp8_e32 v[22:23], v13
	v_cvt_pkrtz_f16_f32 v10, v34, v35
	v_mfma_f32_16x16x16_f16 v[16:19], v[32:33], v[24:25], v[16:19]
	v_cvt_pk_f32_fp8_sdwa v[24:25], v13 src0_sel:WORD_1
	v_cvt_pkrtz_f16_f32 v22, v22, v23
	s_waitcnt vmcnt(1)
	v_cvt_pk_f32_fp8_sdwa v[32:33], v8 src0_sel:WORD_1
	s_waitcnt lgkmcnt(0)
	v_mfma_f32_16x16x16_f16 v[10:13], v[10:11], v[28:29], v[16:19]
	v_cvt_pkrtz_f16_f32 v23, v24, v25
	v_cvt_pk_f32_fp8_sdwa v[24:25], v7 src0_sel:WORD_1
	v_mov_b32_e32 v27, 0
	v_cvt_pk_f32_fp8_e32 v[16:17], v6
	v_cvt_pk_f32_fp8_sdwa v[18:19], v6 src0_sel:WORD_1
	v_mfma_f32_16x16x16_f16 v[10:13], v[22:23], v[30:31], v[10:13]
	v_cvt_pk_f32_fp8_e32 v[22:23], v7
	v_cvt_pkrtz_f16_f32 v6, v16, v17
	v_cvt_pkrtz_f16_f32 v7, v18, v19
	ds_read_b128 v[16:19], v14 offset:4096
	v_cvt_pkrtz_f16_f32 v28, v22, v23
	v_cvt_pkrtz_f16_f32 v29, v24, v25
	ds_read_b128 v[22:25], v14 offset:4112
	v_cvt_pk_f32_fp8_e32 v[30:31], v8
	s_waitcnt lgkmcnt(1)
	v_mfma_f32_16x16x16_f16 v[10:13], v[6:7], v[16:17], v[10:13]
	v_cvt_pkrtz_f16_f32 v7, v32, v33
	v_cvt_pk_f32_fp8_e32 v[16:17], v9
	v_cvt_pkrtz_f16_f32 v6, v30, v31
	v_mfma_f32_16x16x16_f16 v[10:13], v[28:29], v[18:19], v[10:13]
	v_cvt_pk_f32_fp8_sdwa v[18:19], v9 src0_sel:WORD_1
	v_cvt_pkrtz_f16_f32 v16, v16, v17
	v_cvt_pkrtz_f16_f32 v17, v18, v19
	s_waitcnt lgkmcnt(0)
	v_mfma_f32_16x16x16_f16 v[6:9], v[6:7], v[22:23], v[10:13]
	s_waitcnt vmcnt(0)
	v_cvt_pk_f32_fp8_sdwa v[18:19], v3 src0_sel:WORD_1
	s_nop 0
	v_cvt_pkrtz_f16_f32 v23, v18, v19
	v_cvt_pk_f32_fp8_e32 v[10:11], v2
	v_cvt_pk_f32_fp8_sdwa v[12:13], v2 src0_sel:WORD_1
	v_mfma_f32_16x16x16_f16 v[6:9], v[16:17], v[24:25], v[6:9]
	v_cvt_pk_f32_fp8_e32 v[16:17], v3
	v_cvt_pkrtz_f16_f32 v2, v10, v11
	v_cvt_pkrtz_f16_f32 v3, v12, v13
	ds_read_b128 v[10:13], v14 offset:6144
	v_cvt_pkrtz_f16_f32 v22, v16, v17
	v_cvt_pk_f32_fp8_e32 v[18:19], v4
	v_cvt_pk_f32_fp8_sdwa v[24:25], v4 src0_sel:WORD_1
	s_waitcnt lgkmcnt(0)
	v_mfma_f32_16x16x16_f16 v[6:9], v[2:3], v[10:11], v[6:9]
	ds_read_b128 v[14:17], v14 offset:6160
	v_cvt_pkrtz_f16_f32 v2, v18, v19
	v_cvt_pkrtz_f16_f32 v3, v24, v25
	v_cvt_pk_f32_fp8_e32 v[10:11], v5
	v_mfma_f32_16x16x16_f16 v[6:9], v[22:23], v[12:13], v[6:9]
	v_cvt_pk_f32_fp8_sdwa v[12:13], v5 src0_sel:WORD_1
	s_waitcnt lgkmcnt(0)
	v_cvt_pkrtz_f16_f32 v10, v10, v11
	v_mfma_f32_16x16x16_f16 v[2:5], v[2:3], v[14:15], v[6:9]
	v_cvt_pkrtz_f16_f32 v11, v12, v13
	s_barrier
	s_nop 0
	v_mfma_f32_16x16x16_f16 v[2:5], v[10:11], v[16:17], v[2:5]
	s_nop 6
	v_pk_mul_f32 v[4:5], v[4:5], s[4:5] op_sel_hi:[1,0]
	v_pk_mul_f32 v[2:3], v[2:3], s[4:5] op_sel_hi:[1,0]
	v_cvt_f16_f32_e32 v4, v4
	v_cvt_f16_f32_e32 v2, v2
	;; [unrolled: 1-line block ×4, first 2 shown]
	s_and_b64 s[4:5], vcc, s[30:31]
	v_pack_b32_f16 v2, v2, v3
	v_pack_b32_f16 v3, v4, v5
	ds_write_b64 v20, v[2:3]
	s_waitcnt lgkmcnt(0)
	s_barrier
	s_and_saveexec_b64 s[8:9], s[4:5]
	s_cbranch_execz .LBB917_18
; %bb.16:
	s_load_dwordx2 s[4:5], s[0:1], 0x68
	s_lshl_b32 s0, s6, 6
	s_mul_i32 s1, s7, s2
	s_mul_hi_u32 s7, s1, s0
	s_mul_i32 s6, s1, s0
	v_lshlrev_b32_e32 v0, 10, v0
	s_lshl_b64 s[6:7], s[6:7], 1
	v_and_b32_e32 v0, 0x1800, v0
	v_lshlrev_b32_e32 v2, 5, v42
	v_and_b32_e32 v1, 16, v1
	s_waitcnt lgkmcnt(0)
	s_add_u32 s1, s4, s6
	v_or3_b32 v2, v0, v2, v1
	s_addc_u32 s4, s5, s7
	s_lshl_b32 s2, s28, 6
	s_lshl_b64 s[2:3], s[2:3], 1
	ds_read_b128 v[4:7], v2 offset:128
	ds_read_b128 v[8:11], v2
	s_add_u32 s2, s1, s2
	s_addc_u32 s3, s4, s3
	v_add_u32_e32 v14, s48, v42
	v_lshl_add_u64 v[0:1], s[2:3], 0, v[26:27]
	v_mad_u64_u32 v[12:13], s[2:3], v14, s0, 0
	v_lshl_add_u64 v[12:13], v[12:13], 1, v[0:1]
	s_waitcnt lgkmcnt(0)
	global_store_dwordx4 v[12:13], v[8:11], off
	v_or_b32_e32 v3, 8, v42
	v_cmp_gt_u32_e32 vcc, 10, v3
	v_add_u32_e32 v8, 4, v14
	v_mad_u64_u32 v[8:9], s[2:3], v8, s0, 0
	v_lshl_add_u64 v[8:9], v[8:9], 1, v[0:1]
	global_store_dwordx4 v[8:9], v[4:7], off
	s_and_b64 exec, exec, vcc
	s_cbranch_execz .LBB917_18
; %bb.17:
	ds_read_b128 v[4:7], v2 offset:256
	v_add_u32_e32 v2, s48, v3
	v_mad_u64_u32 v[2:3], s[0:1], v2, s0, 0
	v_lshl_add_u64 v[0:1], v[2:3], 1, v[0:1]
	s_waitcnt lgkmcnt(0)
	global_store_dwordx4 v[0:1], v[4:7], off
.LBB917_18:
	s_endpgm
	.section	.rodata,"a",@progbits
	.p2align	6, 0x0
	.amdhsa_kernel _Z39paged_attention_ll4mi_QKV_mfma16_kernelIDF16_hLN4vllm18Fp8KVCacheDataTypeE1EDF16_Li32ELi64ELi256ELb0ELi10EEvPKT_PKT0_S7_ifPKiS9_S9_iPKfiiiPfSC_PS2_PT2_iSB_SB_
		.amdhsa_group_segment_fixed_size 8192
		.amdhsa_private_segment_fixed_size 0
		.amdhsa_kernarg_size 400
		.amdhsa_user_sgpr_count 2
		.amdhsa_user_sgpr_dispatch_ptr 0
		.amdhsa_user_sgpr_queue_ptr 0
		.amdhsa_user_sgpr_kernarg_segment_ptr 1
		.amdhsa_user_sgpr_dispatch_id 0
		.amdhsa_user_sgpr_kernarg_preload_length 0
		.amdhsa_user_sgpr_kernarg_preload_offset 0
		.amdhsa_user_sgpr_private_segment_size 0
		.amdhsa_uses_dynamic_stack 0
		.amdhsa_enable_private_segment 0
		.amdhsa_system_sgpr_workgroup_id_x 1
		.amdhsa_system_sgpr_workgroup_id_y 1
		.amdhsa_system_sgpr_workgroup_id_z 1
		.amdhsa_system_sgpr_workgroup_info 0
		.amdhsa_system_vgpr_workitem_id 0
		.amdhsa_next_free_vgpr 54
		.amdhsa_next_free_sgpr 50
		.amdhsa_accum_offset 56
		.amdhsa_reserve_vcc 1
		.amdhsa_float_round_mode_32 0
		.amdhsa_float_round_mode_16_64 0
		.amdhsa_float_denorm_mode_32 3
		.amdhsa_float_denorm_mode_16_64 3
		.amdhsa_dx10_clamp 1
		.amdhsa_ieee_mode 1
		.amdhsa_fp16_overflow 0
		.amdhsa_tg_split 0
		.amdhsa_exception_fp_ieee_invalid_op 0
		.amdhsa_exception_fp_denorm_src 0
		.amdhsa_exception_fp_ieee_div_zero 0
		.amdhsa_exception_fp_ieee_overflow 0
		.amdhsa_exception_fp_ieee_underflow 0
		.amdhsa_exception_fp_ieee_inexact 0
		.amdhsa_exception_int_div_zero 0
	.end_amdhsa_kernel
	.section	.text._Z39paged_attention_ll4mi_QKV_mfma16_kernelIDF16_hLN4vllm18Fp8KVCacheDataTypeE1EDF16_Li32ELi64ELi256ELb0ELi10EEvPKT_PKT0_S7_ifPKiS9_S9_iPKfiiiPfSC_PS2_PT2_iSB_SB_,"axG",@progbits,_Z39paged_attention_ll4mi_QKV_mfma16_kernelIDF16_hLN4vllm18Fp8KVCacheDataTypeE1EDF16_Li32ELi64ELi256ELb0ELi10EEvPKT_PKT0_S7_ifPKiS9_S9_iPKfiiiPfSC_PS2_PT2_iSB_SB_,comdat
.Lfunc_end917:
	.size	_Z39paged_attention_ll4mi_QKV_mfma16_kernelIDF16_hLN4vllm18Fp8KVCacheDataTypeE1EDF16_Li32ELi64ELi256ELb0ELi10EEvPKT_PKT0_S7_ifPKiS9_S9_iPKfiiiPfSC_PS2_PT2_iSB_SB_, .Lfunc_end917-_Z39paged_attention_ll4mi_QKV_mfma16_kernelIDF16_hLN4vllm18Fp8KVCacheDataTypeE1EDF16_Li32ELi64ELi256ELb0ELi10EEvPKT_PKT0_S7_ifPKiS9_S9_iPKfiiiPfSC_PS2_PT2_iSB_SB_
                                        ; -- End function
	.section	.AMDGPU.csdata,"",@progbits
; Kernel info:
; codeLenInByte = 4700
; NumSgprs: 56
; NumVgprs: 54
; NumAgprs: 0
; TotalNumVgprs: 54
; ScratchSize: 0
; MemoryBound: 0
; FloatMode: 240
; IeeeMode: 1
; LDSByteSize: 8192 bytes/workgroup (compile time only)
; SGPRBlocks: 6
; VGPRBlocks: 6
; NumSGPRsForWavesPerEU: 56
; NumVGPRsForWavesPerEU: 54
; AccumOffset: 56
; Occupancy: 8
; WaveLimiterHint : 1
; COMPUTE_PGM_RSRC2:SCRATCH_EN: 0
; COMPUTE_PGM_RSRC2:USER_SGPR: 2
; COMPUTE_PGM_RSRC2:TRAP_HANDLER: 0
; COMPUTE_PGM_RSRC2:TGID_X_EN: 1
; COMPUTE_PGM_RSRC2:TGID_Y_EN: 1
; COMPUTE_PGM_RSRC2:TGID_Z_EN: 1
; COMPUTE_PGM_RSRC2:TIDIG_COMP_CNT: 0
; COMPUTE_PGM_RSRC3_GFX90A:ACCUM_OFFSET: 13
; COMPUTE_PGM_RSRC3_GFX90A:TG_SPLIT: 0
	.section	.text._Z39paged_attention_ll4mi_QKV_mfma16_kernelIDF16_hLN4vllm18Fp8KVCacheDataTypeE1EDF16_Li32ELi64ELi256ELb0ELi11EEvPKT_PKT0_S7_ifPKiS9_S9_iPKfiiiPfSC_PS2_PT2_iSB_SB_,"axG",@progbits,_Z39paged_attention_ll4mi_QKV_mfma16_kernelIDF16_hLN4vllm18Fp8KVCacheDataTypeE1EDF16_Li32ELi64ELi256ELb0ELi11EEvPKT_PKT0_S7_ifPKiS9_S9_iPKfiiiPfSC_PS2_PT2_iSB_SB_,comdat
	.protected	_Z39paged_attention_ll4mi_QKV_mfma16_kernelIDF16_hLN4vllm18Fp8KVCacheDataTypeE1EDF16_Li32ELi64ELi256ELb0ELi11EEvPKT_PKT0_S7_ifPKiS9_S9_iPKfiiiPfSC_PS2_PT2_iSB_SB_ ; -- Begin function _Z39paged_attention_ll4mi_QKV_mfma16_kernelIDF16_hLN4vllm18Fp8KVCacheDataTypeE1EDF16_Li32ELi64ELi256ELb0ELi11EEvPKT_PKT0_S7_ifPKiS9_S9_iPKfiiiPfSC_PS2_PT2_iSB_SB_
	.globl	_Z39paged_attention_ll4mi_QKV_mfma16_kernelIDF16_hLN4vllm18Fp8KVCacheDataTypeE1EDF16_Li32ELi64ELi256ELb0ELi11EEvPKT_PKT0_S7_ifPKiS9_S9_iPKfiiiPfSC_PS2_PT2_iSB_SB_
	.p2align	8
	.type	_Z39paged_attention_ll4mi_QKV_mfma16_kernelIDF16_hLN4vllm18Fp8KVCacheDataTypeE1EDF16_Li32ELi64ELi256ELb0ELi11EEvPKT_PKT0_S7_ifPKiS9_S9_iPKfiiiPfSC_PS2_PT2_iSB_SB_,@function
_Z39paged_attention_ll4mi_QKV_mfma16_kernelIDF16_hLN4vllm18Fp8KVCacheDataTypeE1EDF16_Li32ELi64ELi256ELb0ELi11EEvPKT_PKT0_S7_ifPKiS9_S9_iPKfiiiPfSC_PS2_PT2_iSB_SB_: ; @_Z39paged_attention_ll4mi_QKV_mfma16_kernelIDF16_hLN4vllm18Fp8KVCacheDataTypeE1EDF16_Li32ELi64ELi256ELb0ELi11EEvPKT_PKT0_S7_ifPKiS9_S9_iPKfiiiPfSC_PS2_PT2_iSB_SB_
; %bb.0:
	s_load_dwordx2 s[12:13], s[0:1], 0x30
	s_mov_b32 s28, s3
	s_mov_b64 s[6:7], 0
	s_waitcnt lgkmcnt(0)
	s_cmp_lg_u64 s[12:13], 0
	s_cselect_b64 s[14:15], -1, 0
	s_and_b64 vcc, exec, s[14:15]
	s_cbranch_vccz .LBB918_7
; %bb.1:
	s_add_i32 s8, s2, 1
	s_mov_b32 s9, 0
	s_lshl_b64 s[10:11], s[8:9], 2
	s_add_u32 s10, s12, s10
	s_mov_b32 s3, s9
	s_addc_u32 s11, s13, s11
	s_lshl_b64 s[8:9], s[2:3], 2
	s_add_u32 s8, s12, s8
	s_addc_u32 s9, s13, s9
	s_load_dword s5, s[10:11], 0x0
	s_load_dword s16, s[8:9], 0x0
	s_waitcnt lgkmcnt(0)
	s_sub_i32 s5, s5, s16
	s_cmp_eq_u32 s5, 1
	s_cselect_b64 s[8:9], -1, 0
	s_andn2_b64 vcc, exec, s[6:7]
	s_cbranch_vccnz .LBB918_3
.LBB918_2:
	s_mov_b32 s3, 0
	s_mov_b64 s[8:9], -1
.LBB918_3:
	s_andn2_b64 vcc, exec, s[8:9]
	s_cbranch_vccnz .LBB918_18
; %bb.4:
	s_load_dwordx2 s[6:7], s[0:1], 0x28
	s_lshl_b64 s[16:17], s[2:3], 2
	s_waitcnt lgkmcnt(0)
	s_add_u32 s6, s6, s16
	s_addc_u32 s7, s7, s17
	s_load_dword s33, s[6:7], 0x0
	s_lshl_b32 s5, s28, 8
	s_waitcnt lgkmcnt(0)
	s_cmp_ge_i32 s5, s33
	s_cbranch_scc1 .LBB918_18
; %bb.5:
	s_load_dwordx2 s[6:7], s[0:1], 0x20
	s_load_dword s8, s[0:1], 0x38
	s_add_i32 s9, s33, 31
	s_ashr_i32 s10, s9, 31
	v_and_b32_e32 v1, 0xcf, v0
	s_lshr_b32 s10, s10, 27
	v_add_u32_e32 v1, s5, v1
	s_add_i32 s9, s9, s10
	v_ashrrev_i32_e32 v2, 31, v1
	s_ashr_i32 s18, s9, 5
	v_lshrrev_b32_e32 v4, 27, v2
	s_add_i32 s18, s18, -1
	s_waitcnt lgkmcnt(0)
	s_mul_i32 s8, s2, s8
	s_mov_b32 s9, 0
	v_add_u32_e32 v2, v1, v4
	s_lshl_b64 s[8:9], s[8:9], 2
	v_ashrrev_i32_e32 v2, 5, v2
	v_mov_b32_e32 v5, s18
	v_cmp_gt_i32_e32 vcc, s33, v1
	s_add_u32 s6, s6, s8
	s_addc_u32 s7, s7, s9
	v_cndmask_b32_e32 v2, v5, v2, vcc
	v_ashrrev_i32_e32 v3, 31, v2
	v_lshl_add_u64 v[6:7], v[2:3], 2, s[6:7]
	v_or_b32_e32 v2, 16, v1
	v_add_u32_e32 v3, v2, v4
	v_ashrrev_i32_e32 v3, 5, v3
	v_cmp_gt_i32_e32 vcc, s33, v2
	s_load_dwordx4 s[8:11], s[0:1], 0x8
	s_nop 0
	v_cndmask_b32_e32 v2, v5, v3, vcc
	v_ashrrev_i32_e32 v3, 31, v2
	v_lshl_add_u64 v[8:9], v[2:3], 2, s[6:7]
	v_or_b32_e32 v2, 32, v1
	v_add_u32_e32 v3, v2, v4
	v_ashrrev_i32_e32 v3, 5, v3
	v_cmp_gt_i32_e32 vcc, s33, v2
	v_or_b32_e32 v1, 48, v1
	s_nop 0
	v_cndmask_b32_e32 v2, v5, v3, vcc
	v_ashrrev_i32_e32 v3, 31, v2
	v_lshl_add_u64 v[10:11], v[2:3], 2, s[6:7]
	v_add_u32_e32 v2, v1, v4
	v_ashrrev_i32_e32 v2, 5, v2
	v_cmp_gt_i32_e32 vcc, s33, v1
	s_nop 1
	v_cndmask_b32_e32 v2, v5, v2, vcc
	v_ashrrev_i32_e32 v3, 31, v2
	v_lshl_add_u64 v[14:15], v[2:3], 2, s[6:7]
	global_load_dword v2, v[6:7], off
	global_load_dword v5, v[8:9], off
	;; [unrolled: 1-line block ×4, first 2 shown]
	s_andn2_b64 vcc, exec, s[14:15]
	s_cbranch_vccnz .LBB918_8
; %bb.6:
	s_add_u32 s12, s12, s16
	s_addc_u32 s13, s13, s17
	s_load_dword s14, s[12:13], 0x0
	s_branch .LBB918_9
.LBB918_7:
	s_mov_b64 s[8:9], 0
	s_branch .LBB918_2
.LBB918_8:
	s_mov_b32 s14, s2
.LBB918_9:
	s_load_dwordx4 s[44:47], s[0:1], 0x48
	v_lshrrev_b32_e32 v29, 6, v0
	v_bfe_u32 v42, v0, 4, 2
	v_lshl_or_b32 v3, v29, 2, v42
	v_and_b32_e32 v28, 15, v0
	v_lshlrev_b32_e32 v1, 3, v28
	v_cmp_gt_u32_e32 vcc, 11, v3
	v_cmp_gt_u32_e64 s[30:31], 8, v28
	v_and_b32_e32 v43, 63, v0
	s_mul_i32 s48, s4, 11
	s_and_b64 s[16:17], s[30:31], vcc
	v_lshlrev_b32_e32 v26, 1, v1
	v_lshlrev_b32_e32 v1, 4, v0
	s_and_saveexec_b64 s[12:13], s[16:17]
	s_cbranch_execz .LBB918_11
; %bb.10:
	s_load_dwordx2 s[16:17], s[0:1], 0x0
	s_waitcnt lgkmcnt(0)
	s_ashr_i32 s15, s44, 31
	s_mul_hi_u32 s19, s14, s44
	s_mul_i32 s15, s14, s15
	s_add_i32 s15, s19, s15
	s_mul_i32 s14, s14, s44
	s_lshl_b64 s[14:15], s[14:15], 1
	s_add_u32 s14, s16, s14
	v_add_lshl_u32 v6, v3, s48, 6
	s_addc_u32 s15, s17, s15
	v_ashrrev_i32_e32 v7, 31, v6
	v_lshl_add_u64 v[6:7], v[6:7], 1, s[14:15]
	v_mov_b32_e32 v27, 0
	v_lshl_add_u64 v[6:7], v[6:7], 0, v[26:27]
	global_load_dwordx4 v[6:9], v[6:7], off
	v_lshlrev_b32_e32 v11, 8, v28
	v_lshlrev_b32_e32 v3, 5, v3
	v_and_b32_e32 v10, 16, v1
	v_and_b32_e32 v11, 0xe00, v11
	v_or3_b32 v3, v11, v3, v10
	s_waitcnt vmcnt(0)
	ds_write_b128 v3, v[6:9]
.LBB918_11:
	s_or_b64 exec, exec, s[12:13]
	s_waitcnt lgkmcnt(0)
	s_mul_i32 s4, s4, s46
	s_add_u32 s8, s8, s4
	s_addc_u32 s9, s9, 0
	v_mov_b32_e32 v31, 0
	v_mov_b64_e32 v[10:11], s[8:9]
	v_and_b32_e32 v8, 48, v0
	s_waitcnt vmcnt(3)
	v_mad_i64_i32 v[6:7], s[8:9], v2, s45, v[10:11]
	v_lshlrev_b32_e32 v2, 4, v28
	v_mov_b32_e32 v3, v31
	v_lshlrev_b32_e32 v30, 5, v8
	v_lshl_add_u64 v[6:7], v[6:7], 0, v[2:3]
	v_lshl_add_u64 v[6:7], v[6:7], 0, v[30:31]
	s_load_dword s29, s[0:1], 0x98
	s_load_dwordx4 s[40:43], s[0:1], 0x80
	s_waitcnt lgkmcnt(0)
	s_barrier
	global_load_dwordx4 v[14:17], v[6:7], off
	s_waitcnt vmcnt(3)
	v_mad_i64_i32 v[6:7], s[8:9], v5, s45, v[10:11]
	v_or_b32_e32 v32, 0x100, v2
	v_mov_b32_e32 v33, v31
	v_lshl_add_u64 v[6:7], v[6:7], 0, v[32:33]
	v_lshl_add_u64 v[6:7], v[6:7], 0, v[30:31]
	global_load_dwordx4 v[18:21], v[6:7], off
	s_ashr_i32 s8, s5, 31
	v_or_b32_e32 v5, s5, v8
	s_lshr_b32 s12, s8, 27
	v_add_u32_e32 v8, s12, v5
	v_cmp_gt_i32_e32 vcc, s33, v5
	v_or_b32_e32 v34, 64, v5
	v_or_b32_e32 v35, 0x80, v5
	;; [unrolled: 1-line block ×3, first 2 shown]
	s_waitcnt vmcnt(3)
	v_mad_i64_i32 v[4:5], s[8:9], v4, s45, v[10:11]
	v_lshl_add_u64 v[2:3], v[4:5], 0, v[2:3]
	v_lshl_add_u64 v[2:3], v[2:3], 0, v[30:31]
	global_load_dwordx4 v[22:25], v[2:3], off
	v_ashrrev_i32_e32 v8, 5, v8
	v_mov_b32_e32 v13, s18
	v_cndmask_b32_e32 v8, v13, v8, vcc
	v_ashrrev_i32_e32 v9, 31, v8
	v_add_u32_e32 v6, -11, v28
	v_cmp_gt_u32_e32 vcc, 11, v28
	s_waitcnt vmcnt(3)
	v_mad_i64_i32 v[10:11], s[8:9], v12, s45, v[10:11]
	v_add_u32_e32 v12, s12, v34
	v_lshl_add_u64 v[8:9], v[8:9], 2, s[6:7]
	v_cndmask_b32_e32 v6, v6, v28, vcc
	v_add_u32_e32 v37, s12, v35
	v_ashrrev_i32_e32 v12, 5, v12
	v_cmp_gt_i32_e32 vcc, s33, v34
	global_load_dword v45, v[8:9], off
	v_lshlrev_b32_e32 v6, 5, v6
	v_add_u32_e32 v38, s12, v36
	v_lshl_add_u64 v[10:11], v[10:11], 0, v[32:33]
	v_ashrrev_i32_e32 v33, 5, v37
	v_cndmask_b32_e32 v32, v13, v12, vcc
	v_cmp_gt_i32_e32 vcc, s33, v35
	v_lshl_add_u32 v2, v42, 9, v6
	v_ashrrev_i32_e32 v37, 5, v38
	v_lshl_add_u64 v[10:11], v[10:11], 0, v[30:31]
	v_cndmask_b32_e32 v34, v13, v33, vcc
	v_cmp_gt_i32_e32 vcc, s33, v36
	ds_read_b128 v[6:9], v2
	ds_read_b128 v[2:5], v2 offset:16
	v_cndmask_b32_e32 v36, v13, v37, vcc
	global_load_dwordx4 v[10:13], v[10:11], off
	v_ashrrev_i32_e32 v33, 31, v32
	v_ashrrev_i32_e32 v37, 31, v36
	;; [unrolled: 1-line block ×3, first 2 shown]
	v_lshl_add_u64 v[32:33], v[32:33], 2, s[6:7]
	v_lshl_add_u64 v[36:37], v[36:37], 2, s[6:7]
	;; [unrolled: 1-line block ×3, first 2 shown]
	global_load_dword v44, v[32:33], off
	global_load_dword v34, v[40:41], off
	;; [unrolled: 1-line block ×3, first 2 shown]
	s_add_u32 s8, s10, s4
	v_lshlrev_b32_e32 v27, 5, v28
	s_addc_u32 s9, s11, 0
	v_and_b32_e32 v30, 16, v0
	v_lshl_add_u64 v[38:39], s[8:9], 0, v[30:31]
	v_lshl_or_b32 v30, v29, 9, v27
	v_lshl_add_u64 v[30:31], v[38:39], 0, v[30:31]
	s_load_dword s13, s[0:1], 0x1c
	s_load_dword s4, s[40:41], 0x0
	s_mov_b32 s44, 0xff7fffff
	s_waitcnt vmcnt(7)
	v_cvt_pk_f32_fp8_e32 v[32:33], v14
	v_cvt_pk_f32_fp8_sdwa v[36:37], v14 src0_sel:WORD_1
	v_cvt_pk_f32_fp8_e32 v[38:39], v15
	v_cvt_pk_f32_fp8_sdwa v[14:15], v15 src0_sel:WORD_1
	v_cvt_pkrtz_f16_f32 v32, v32, v33
	v_cvt_pkrtz_f16_f32 v33, v36, v37
	v_cvt_pk_f32_fp8_e32 v[40:41], v16
	v_cvt_pk_f32_fp8_sdwa v[46:47], v16 src0_sel:WORD_1
	v_cvt_pkrtz_f16_f32 v48, v38, v39
	v_cvt_pkrtz_f16_f32 v49, v14, v15
	s_waitcnt lgkmcnt(0)
	v_mfma_f32_16x16x16_f16 v[36:39], v[32:33], v[6:7], 0
	v_cvt_pk_f32_fp8_e32 v[32:33], v17
	v_cvt_pkrtz_f16_f32 v40, v40, v41
	v_cvt_pkrtz_f16_f32 v41, v46, v47
	v_cvt_pk_f32_fp8_sdwa v[16:17], v17 src0_sel:WORD_1
	v_mfma_f32_16x16x16_f16 v[36:39], v[48:49], v[8:9], v[36:39]
	v_cvt_pkrtz_f16_f32 v32, v32, v33
	s_waitcnt vmcnt(6)
	v_cvt_pk_f32_fp8_sdwa v[46:47], v20 src0_sel:WORD_1
	v_cvt_pkrtz_f16_f32 v33, v16, v17
	v_mfma_f32_16x16x16_f16 v[36:39], v[40:41], v[2:3], v[36:39]
	v_cvt_pk_f32_fp8_e32 v[16:17], v18
	v_cvt_pk_f32_fp8_sdwa v[40:41], v18 src0_sel:WORD_1
	s_waitcnt vmcnt(5)
	v_cvt_pk_f32_fp8_e32 v[52:53], v25
	v_mfma_f32_16x16x16_f16 v[36:39], v[32:33], v[4:5], v[36:39]
	v_cvt_pk_f32_fp8_e32 v[32:33], v19
	v_cvt_pkrtz_f16_f32 v16, v16, v17
	v_cvt_pkrtz_f16_f32 v17, v40, v41
	v_cvt_pk_f32_fp8_sdwa v[18:19], v19 src0_sel:WORD_1
	v_cvt_pkrtz_f16_f32 v32, v32, v33
	v_cvt_pk_f32_fp8_e32 v[40:41], v20
	v_cvt_pkrtz_f16_f32 v33, v18, v19
	v_mfma_f32_16x16x16_f16 v[16:19], v[16:17], v[6:7], 0
	v_cvt_pkrtz_f16_f32 v40, v40, v41
	v_cvt_pkrtz_f16_f32 v41, v46, v47
	v_cvt_pk_f32_fp8_e32 v[46:47], v21
	v_cvt_pk_f32_fp8_sdwa v[20:21], v21 src0_sel:WORD_1
	v_mfma_f32_16x16x16_f16 v[16:19], v[32:33], v[8:9], v[16:19]
	s_waitcnt vmcnt(4)
	v_mad_i64_i32 v[14:15], s[6:7], v45, s45, v[30:31]
	v_cvt_pkrtz_f16_f32 v32, v46, v47
	v_cvt_pkrtz_f16_f32 v33, v20, v21
	v_mfma_f32_16x16x16_f16 v[16:19], v[40:41], v[2:3], v[16:19]
	v_cvt_pk_f32_fp8_e32 v[20:21], v22
	v_cvt_pk_f32_fp8_sdwa v[40:41], v22 src0_sel:WORD_1
	v_cvt_pk_f32_fp8_sdwa v[46:47], v24 src0_sel:WORD_1
	v_mfma_f32_16x16x16_f16 v[16:19], v[32:33], v[4:5], v[16:19]
	v_cvt_pk_f32_fp8_e32 v[32:33], v23
	v_cvt_pkrtz_f16_f32 v20, v20, v21
	v_cvt_pkrtz_f16_f32 v21, v40, v41
	v_cvt_pk_f32_fp8_sdwa v[22:23], v23 src0_sel:WORD_1
	v_cvt_pkrtz_f16_f32 v32, v32, v33
	v_cvt_pk_f32_fp8_e32 v[40:41], v24
	v_cvt_pk_f32_fp8_sdwa v[24:25], v25 src0_sel:WORD_1
	v_cvt_pkrtz_f16_f32 v33, v22, v23
	v_mfma_f32_16x16x16_f16 v[20:23], v[20:21], v[6:7], 0
	v_cvt_pkrtz_f16_f32 v40, v40, v41
	v_cvt_pkrtz_f16_f32 v41, v46, v47
	v_mov_b32_e32 v45, s13
	v_mfma_f32_16x16x16_f16 v[46:49], v[32:33], v[8:9], v[20:23]
	v_mul_f32_e32 v50, s4, v45
	v_cvt_pkrtz_f16_f32 v32, v52, v53
	v_cvt_pkrtz_f16_f32 v33, v24, v25
	v_pk_mul_f32 v[22:23], v[50:51], v[38:39] op_sel_hi:[0,1]
	v_mfma_f32_16x16x16_f16 v[38:41], v[40:41], v[2:3], v[46:49]
	v_pk_mul_f32 v[20:21], v[50:51], v[36:37] op_sel_hi:[0,1]
	s_waitcnt vmcnt(3)
	v_cvt_pk_f32_fp8_e32 v[24:25], v10
	v_cvt_pk_f32_fp8_sdwa v[36:37], v10 src0_sel:WORD_1
	v_mfma_f32_16x16x16_f16 v[46:49], v[32:33], v[4:5], v[38:41]
	v_cvt_pk_f32_fp8_e32 v[32:33], v11
	v_cvt_pkrtz_f16_f32 v24, v24, v25
	v_cvt_pkrtz_f16_f32 v25, v36, v37
	v_cvt_pk_f32_fp8_sdwa v[10:11], v11 src0_sel:WORD_1
	v_cvt_pkrtz_f16_f32 v32, v32, v33
	v_cvt_pk_f32_fp8_e32 v[40:41], v12
	v_cvt_pk_f32_fp8_sdwa v[52:53], v12 src0_sel:WORD_1
	v_cvt_pkrtz_f16_f32 v33, v10, v11
	v_mfma_f32_16x16x16_f16 v[36:39], v[24:25], v[6:7], 0
	v_cvt_pkrtz_f16_f32 v10, v40, v41
	v_cvt_pkrtz_f16_f32 v11, v52, v53
	v_cvt_pk_f32_fp8_e32 v[24:25], v13
	v_cvt_pk_f32_fp8_sdwa v[12:13], v13 src0_sel:WORD_1
	v_mfma_f32_16x16x16_f16 v[6:9], v[32:33], v[8:9], v[36:39]
	v_pk_mul_f32 v[40:41], v[50:51], v[16:17] op_sel_hi:[0,1]
	v_pk_mul_f32 v[32:33], v[50:51], v[48:49] op_sel_hi:[0,1]
	s_nop 0
	v_pk_mul_f32 v[36:37], v[50:51], v[18:19] op_sel_hi:[0,1]
	v_cvt_pkrtz_f16_f32 v18, v24, v25
	v_cvt_pkrtz_f16_f32 v19, v12, v13
	v_mfma_f32_16x16x16_f16 v[6:9], v[10:11], v[2:3], v[6:9]
	v_pk_mul_f32 v[38:39], v[50:51], v[46:47] op_sel_hi:[0,1]
	v_mfma_f32_16x16x16_f16 v[2:5], v[18:19], v[4:5], v[6:9]
	s_nop 6
	v_pk_mul_f32 v[24:25], v[50:51], v[2:3] op_sel_hi:[0,1]
	v_and_b32_e32 v2, 0xc0, v0
	v_add_u32_e32 v2, s5, v2
	v_lshl_or_b32 v2, v42, 2, v2
	v_pk_mul_f32 v[18:19], v[50:51], v[4:5] op_sel_hi:[0,1]
	v_or_b32_e32 v5, 1, v2
	v_mov_b32_e32 v3, 0xff7fffff
	v_cmp_gt_i32_e64 s[4:5], s33, v2
	v_cmp_gt_i32_e64 s[34:35], s33, v5
	v_or_b32_e32 v6, 3, v2
	v_cndmask_b32_e64 v4, v3, v20, s[4:5]
	v_cndmask_b32_e64 v5, v3, v21, s[34:35]
	v_max3_f32 v4, v4, s44, v5
	v_or_b32_e32 v5, 2, v2
	v_cmp_gt_i32_e64 s[36:37], s33, v5
	v_cmp_gt_i32_e64 s[38:39], s33, v6
	s_nop 0
	v_cndmask_b32_e64 v5, v3, v22, s[36:37]
	v_cndmask_b32_e64 v6, v3, v23, s[38:39]
	v_max3_f32 v4, v4, v5, v6
	v_or_b32_e32 v5, 16, v2
	v_or_b32_e32 v6, 17, v2
	v_cmp_gt_i32_e64 s[24:25], s33, v5
	v_cmp_gt_i32_e64 s[26:27], s33, v6
	s_nop 0
	v_cndmask_b32_e64 v5, v3, v40, s[24:25]
	v_cndmask_b32_e64 v6, v3, v41, s[26:27]
	v_max3_f32 v4, v4, v5, v6
	v_or_b32_e32 v5, 18, v2
	;; [unrolled: 8-line block ×6, first 2 shown]
	v_or_b32_e32 v2, 51, v2
	v_cmp_gt_i32_e32 vcc, s33, v5
	v_cmp_gt_i32_e64 s[6:7], s33, v2
	s_nop 0
	v_cndmask_b32_e32 v5, v3, v18, vcc
	v_cndmask_b32_e64 v2, v3, v19, s[6:7]
	v_max3_f32 v4, v4, v5, v2
	v_mbcnt_lo_u32_b32 v2, -1, 0
	v_mbcnt_hi_u32_b32 v5, -1, v2
	v_and_b32_e32 v2, 64, v5
	v_add_u32_e32 v6, 64, v2
	v_xor_b32_e32 v2, 32, v5
	v_cmp_lt_i32_e64 s[40:41], v2, v6
	s_nop 1
	v_cndmask_b32_e64 v2, v5, v2, s[40:41]
	v_lshlrev_b32_e32 v45, 2, v2
	ds_bpermute_b32 v7, v45, v4
	s_waitcnt vmcnt(2)
	v_mad_i64_i32 v[2:3], s[40:41], v44, s45, v[30:31]
	global_load_dwordx4 v[14:17], v[14:15], off
	s_nop 0
	global_load_dwordx4 v[10:13], v[2:3], off
	v_xor_b32_e32 v3, 16, v5
	v_cmp_lt_i32_e64 s[40:41], v3, v6
	s_waitcnt lgkmcnt(0)
	v_max_f32_e32 v2, v7, v7
	v_max_f32_e32 v2, v4, v2
	v_cndmask_b32_e64 v3, v5, v3, s[40:41]
	v_lshlrev_b32_e32 v48, 2, v3
	ds_bpermute_b32 v3, v48, v2
	s_waitcnt vmcnt(3)
	v_mad_i64_i32 v[46:47], s[40:41], v34, s45, v[30:31]
	s_waitcnt vmcnt(2)
	v_mad_i64_i32 v[30:31], s[40:41], v35, s45, v[30:31]
	s_waitcnt lgkmcnt(0)
	v_max_f32_e32 v3, v3, v3
	v_max_f32_e32 v44, v2, v3
	v_sub_f32_e32 v2, v20, v44
	v_mul_f32_e32 v2, 0x3fb8aa3b, v2
	v_exp_f32_e32 v20, v2
	v_sub_f32_e32 v2, v21, v44
	v_mul_f32_e32 v2, 0x3fb8aa3b, v2
	v_exp_f32_e32 v21, v2
	global_load_dwordx4 v[6:9], v[46:47], off
	global_load_dwordx4 v[2:5], v[30:31], off
	v_sub_f32_e32 v22, v22, v44
	v_mul_f32_e32 v22, 0x3fb8aa3b, v22
	v_sub_f32_e32 v23, v23, v44
	v_exp_f32_e32 v22, v22
	v_mul_f32_e32 v23, 0x3fb8aa3b, v23
	v_exp_f32_e32 v23, v23
	v_cndmask_b32_e64 v20, 0, v20, s[4:5]
	v_add_f32_e32 v30, 0, v20
	v_cndmask_b32_e64 v21, 0, v21, s[34:35]
	v_add_f32_e32 v30, v30, v21
	;; [unrolled: 2-line block ×3, first 2 shown]
	v_cndmask_b32_e64 v35, 0, v23, s[38:39]
	v_sub_f32_e32 v23, v40, v44
	v_sub_f32_e32 v30, v41, v44
	v_mul_f32_e32 v23, 0x3fb8aa3b, v23
	v_mul_f32_e32 v30, 0x3fb8aa3b, v30
	v_exp_f32_e32 v23, v23
	v_exp_f32_e32 v30, v30
	v_add_f32_e32 v31, v22, v35
	v_sub_f32_e32 v32, v32, v44
	v_cndmask_b32_e64 v22, 0, v23, s[24:25]
	v_cndmask_b32_e64 v23, 0, v30, s[26:27]
	v_sub_f32_e32 v30, v36, v44
	v_mul_f32_e32 v30, 0x3fb8aa3b, v30
	v_exp_f32_e32 v30, v30
	v_sub_f32_e32 v36, v37, v44
	v_add_f32_e32 v31, v31, v22
	v_mul_f32_e32 v36, 0x3fb8aa3b, v36
	v_exp_f32_e32 v37, v36
	v_add_f32_e32 v31, v31, v23
	v_cndmask_b32_e64 v36, 0, v30, s[20:21]
	v_add_f32_e32 v30, v31, v36
	v_sub_f32_e32 v31, v38, v44
	v_mul_f32_e32 v31, 0x3fb8aa3b, v31
	v_sub_f32_e32 v38, v39, v44
	v_exp_f32_e32 v31, v31
	v_mul_f32_e32 v38, 0x3fb8aa3b, v38
	v_exp_f32_e32 v38, v38
	v_mul_f32_e32 v32, 0x3fb8aa3b, v32
	v_sub_f32_e32 v33, v33, v44
	v_exp_f32_e32 v32, v32
	v_mul_f32_e32 v33, 0x3fb8aa3b, v33
	v_sub_f32_e32 v24, v24, v44
	v_cndmask_b32_e64 v37, 0, v37, s[22:23]
	v_exp_f32_e32 v33, v33
	v_mul_f32_e32 v24, 0x3fb8aa3b, v24
	v_sub_f32_e32 v25, v25, v44
	v_add_f32_e32 v39, v30, v37
	v_cndmask_b32_e64 v30, 0, v31, s[16:17]
	v_exp_f32_e32 v24, v24
	v_mul_f32_e32 v25, 0x3fb8aa3b, v25
	v_sub_f32_e32 v18, v18, v44
	v_add_f32_e32 v39, v39, v30
	;; [unrolled: 5-line block ×3, first 2 shown]
	v_cndmask_b32_e64 v32, 0, v32, s[12:13]
	v_exp_f32_e32 v18, v18
	v_mul_f32_e32 v19, 0x3fb8aa3b, v19
	v_add_f32_e32 v38, v38, v32
	v_cndmask_b32_e64 v33, 0, v33, s[14:15]
	v_exp_f32_e32 v19, v19
	v_add_f32_e32 v38, v38, v33
	v_cndmask_b32_e64 v24, 0, v24, s[8:9]
	v_add_f32_e32 v38, v38, v24
	v_cndmask_b32_e64 v25, 0, v25, s[10:11]
	v_add_f32_e32 v38, v38, v25
	v_cndmask_b32_e32 v18, 0, v18, vcc
	v_add_f32_e32 v38, v38, v18
	v_cndmask_b32_e64 v19, 0, v19, s[6:7]
	v_add_f32_e32 v38, v38, v19
	ds_bpermute_b32 v39, v45, v38
	v_cmp_gt_u32_e32 vcc, 16, v43
	s_waitcnt lgkmcnt(0)
	s_barrier
	v_add_f32_e32 v38, v38, v39
	ds_bpermute_b32 v40, v48, v38
	v_lshlrev_b32_e32 v39, 2, v28
	s_and_saveexec_b64 s[4:5], vcc
	s_cbranch_execz .LBB918_13
; %bb.12:
	s_waitcnt lgkmcnt(0)
	v_add_f32_e32 v38, v38, v40
	v_lshl_or_b32 v40, v29, 6, v39
	ds_write2st64_b32 v40, v44, v38 offset1:1
.LBB918_13:
	s_or_b64 exec, exec, s[4:5]
	s_load_dword s6, s[0:1], 0x94
	s_waitcnt lgkmcnt(0)
	s_barrier
	ds_read2_b32 v[40:41], v39 offset1:16
	ds_read2_b32 v[44:45], v39 offset0:32 offset1:48
	ds_read2_b32 v[46:47], v39 offset0:64 offset1:80
	s_mul_i32 s7, s29, 11
	s_waitcnt lgkmcnt(2)
	v_max3_f32 v38, v40, s44, v41
	s_waitcnt lgkmcnt(1)
	v_max3_f32 v38, v38, v44, v45
	v_sub_f32_e32 v40, v40, v38
	v_mul_f32_e32 v40, 0x3fb8aa3b, v40
	v_exp_f32_e32 v43, v40
	v_sub_f32_e32 v40, v41, v38
	v_mul_f32_e32 v40, 0x3fb8aa3b, v40
	v_exp_f32_e32 v48, v40
	;; [unrolled: 3-line block ×3, first 2 shown]
	ds_read2_b32 v[40:41], v39 offset0:96 offset1:112
	v_sub_f32_e32 v39, v45, v38
	v_mul_f32_e32 v39, 0x3fb8aa3b, v39
	v_exp_f32_e32 v45, v39
	s_waitcnt lgkmcnt(1)
	v_fma_f32 v39, v43, v46, 0
	v_fmac_f32_e32 v39, v48, v47
	s_waitcnt lgkmcnt(0)
	v_fmac_f32_e32 v39, v44, v40
	v_fmac_f32_e32 v39, v45, v41
	v_add_f32_e32 v40, 0x358637bd, v39
	v_div_scale_f32 v41, s[4:5], v40, v40, 1.0
	v_rcp_f32_e32 v46, v41
	s_barrier
	v_fma_f32 v47, -v41, v46, 1.0
	v_fmac_f32_e32 v46, v47, v46
	v_div_scale_f32 v47, vcc, 1.0, v40, 1.0
	v_mul_f32_e32 v49, v47, v46
	v_fma_f32 v50, -v41, v49, v47
	v_fmac_f32_e32 v49, v50, v46
	v_fma_f32 v41, -v41, v49, v47
	v_div_fmas_f32 v41, v41, v46, v49
	v_cmp_eq_u32_e32 vcc, 1, v29
	v_div_fixup_f32 v40, v41, v40, 1.0
	s_nop 0
	v_cndmask_b32_e32 v41, v43, v48, vcc
	v_cmp_eq_u32_e32 vcc, 2, v29
	s_nop 1
	v_cndmask_b32_e32 v41, v41, v44, vcc
	v_cmp_eq_u32_e32 vcc, 3, v29
	s_nop 1
	v_cndmask_b32_e32 v41, v41, v45, vcc
	v_mul_f32_e32 v40, v41, v40
	v_pk_mul_f32 v[34:35], v[40:41], v[34:35] op_sel_hi:[0,1]
	v_pk_mul_f32 v[20:21], v[40:41], v[20:21] op_sel_hi:[0,1]
	v_cvt_f16_f32_e32 v41, v34
	v_cvt_f16_f32_e32 v35, v35
	;; [unrolled: 1-line block ×4, first 2 shown]
	v_cmp_gt_u32_e32 vcc, 11, v0
	v_pack_b32_f16 v35, v41, v35
	v_lshlrev_b32_e32 v41, 3, v42
	v_pack_b32_f16 v34, v20, v21
	v_pk_mul_f32 v[20:21], v[40:41], v[36:37] op_sel_hi:[0,1]
	v_pk_mul_f32 v[22:23], v[40:41], v[22:23] op_sel_hi:[0,1]
	v_cvt_f16_f32_e32 v22, v22
	v_cvt_f16_f32_e32 v23, v23
	;; [unrolled: 1-line block ×4, first 2 shown]
	v_lshlrev_b32_e32 v20, 11, v29
	v_or3_b32 v20, v20, v27, v41
	v_pack_b32_f16 v22, v22, v23
	v_pack_b32_f16 v23, v36, v21
	ds_write2st64_b64 v20, v[34:35], v[22:23] offset1:1
	v_pk_mul_f32 v[22:23], v[40:41], v[32:33] op_sel_hi:[0,1]
	v_pk_mul_f32 v[30:31], v[40:41], v[30:31] op_sel_hi:[0,1]
	v_cvt_f16_f32_e32 v21, v30
	v_cvt_f16_f32_e32 v29, v31
	;; [unrolled: 1-line block ×4, first 2 shown]
	v_pk_mul_f32 v[18:19], v[40:41], v[18:19] op_sel_hi:[0,1]
	v_pk_mul_f32 v[22:23], v[40:41], v[24:25] op_sel_hi:[0,1]
	v_cvt_f16_f32_e32 v22, v22
	v_cvt_f16_f32_e32 v23, v23
	;; [unrolled: 1-line block ×4, first 2 shown]
	v_pack_b32_f16 v18, v21, v29
	v_pack_b32_f16 v19, v30, v31
	;; [unrolled: 1-line block ×4, first 2 shown]
	ds_write2st64_b64 v20, v[18:19], v[22:23] offset0:2 offset1:3
	s_and_saveexec_b64 s[4:5], vcc
	s_cbranch_execz .LBB918_15
; %bb.14:
	s_mov_b32 s49, 0
	v_mov_b32_e32 v29, 0
	v_lshl_add_u64 v[18:19], s[48:49], 0, v[28:29]
	v_mov_b32_e32 v21, s7
	v_mad_u64_u32 v[18:19], s[12:13], s2, v21, v[18:19]
	s_mul_i32 s3, s3, s7
	v_mov_b32_e32 v28, s28
	s_load_dwordx4 s[8:11], s[0:1], 0x58
	v_add_u32_e32 v21, s3, v19
	v_mad_u64_u32 v[18:19], s[12:13], v18, s6, v[28:29]
	v_mov_b32_e32 v22, v19
	v_mad_u64_u32 v[22:23], s[12:13], v21, s6, v[22:23]
	v_mov_b32_e32 v19, v22
	v_lshlrev_b64 v[18:19], 2, v[18:19]
	s_waitcnt lgkmcnt(0)
	v_lshl_add_u64 v[22:23], s[10:11], 0, v[18:19]
	v_lshl_add_u64 v[18:19], s[8:9], 0, v[18:19]
	global_store_dword v[22:23], v38, off
	global_store_dword v[18:19], v39, off
.LBB918_15:
	s_or_b64 exec, exec, s[4:5]
	s_waitcnt vmcnt(3)
	v_cvt_pk_f32_fp8_e32 v[18:19], v14
	v_cvt_pk_f32_fp8_sdwa v[22:23], v14 src0_sel:WORD_1
	v_cvt_pk_f32_fp8_e32 v[24:25], v15
	v_lshl_or_b32 v14, v42, 9, v27
	s_waitcnt lgkmcnt(0)
	s_barrier
	v_cvt_pkrtz_f16_f32 v18, v18, v19
	v_cvt_pkrtz_f16_f32 v19, v22, v23
	v_cvt_pk_f32_fp8_sdwa v[28:29], v15 src0_sel:WORD_1
	v_cvt_pkrtz_f16_f32 v36, v24, v25
	ds_read_b128 v[22:25], v14
	v_cvt_pk_f32_fp8_e32 v[38:39], v16
	v_cvt_pkrtz_f16_f32 v37, v28, v29
	ds_read_b128 v[28:31], v14 offset:16
	v_cvt_pk_f32_fp8_sdwa v[40:41], v16 src0_sel:WORD_1
	s_waitcnt lgkmcnt(1)
	v_mfma_f32_16x16x16_f16 v[32:35], v[18:19], v[22:23], 0
	v_cvt_pkrtz_f16_f32 v18, v38, v39
	v_cvt_pk_f32_fp8_e32 v[38:39], v17
	v_cvt_pkrtz_f16_f32 v19, v40, v41
	v_mfma_f32_16x16x16_f16 v[22:25], v[36:37], v[24:25], v[32:35]
	s_waitcnt vmcnt(2)
	v_cvt_pk_f32_fp8_sdwa v[36:37], v12 src0_sel:WORD_1
	s_load_dword s4, s[42:43], 0x0
	v_cmp_gt_u32_e32 vcc, 64, v0
	v_cvt_pk_f32_fp8_sdwa v[32:33], v17 src0_sel:WORD_1
	v_cvt_pkrtz_f16_f32 v34, v38, v39
	s_waitcnt lgkmcnt(0)
	v_mfma_f32_16x16x16_f16 v[16:19], v[18:19], v[28:29], v[22:25]
	v_cvt_pk_f32_fp8_e32 v[28:29], v11
	v_cvt_pkrtz_f16_f32 v35, v32, v33
	s_mov_b32 s3, 0
	v_cvt_pk_f32_fp8_e32 v[22:23], v10
	v_cvt_pk_f32_fp8_sdwa v[24:25], v10 src0_sel:WORD_1
	v_mfma_f32_16x16x16_f16 v[16:19], v[34:35], v[30:31], v[16:19]
	v_cvt_pkrtz_f16_f32 v10, v22, v23
	v_cvt_pk_f32_fp8_sdwa v[30:31], v11 src0_sel:WORD_1
	v_cvt_pkrtz_f16_f32 v11, v24, v25
	ds_read_b128 v[22:25], v14 offset:2048
	v_cvt_pkrtz_f16_f32 v32, v28, v29
	v_cvt_pkrtz_f16_f32 v33, v30, v31
	ds_read_b128 v[28:31], v14 offset:2064
	v_cvt_pk_f32_fp8_e32 v[34:35], v12
	s_waitcnt lgkmcnt(1)
	v_mfma_f32_16x16x16_f16 v[16:19], v[10:11], v[22:23], v[16:19]
	v_cvt_pkrtz_f16_f32 v11, v36, v37
	v_cvt_pk_f32_fp8_e32 v[22:23], v13
	v_cvt_pkrtz_f16_f32 v10, v34, v35
	v_mfma_f32_16x16x16_f16 v[16:19], v[32:33], v[24:25], v[16:19]
	v_cvt_pk_f32_fp8_sdwa v[24:25], v13 src0_sel:WORD_1
	v_cvt_pkrtz_f16_f32 v22, v22, v23
	s_waitcnt vmcnt(1)
	v_cvt_pk_f32_fp8_sdwa v[32:33], v8 src0_sel:WORD_1
	s_waitcnt lgkmcnt(0)
	v_mfma_f32_16x16x16_f16 v[10:13], v[10:11], v[28:29], v[16:19]
	v_cvt_pkrtz_f16_f32 v23, v24, v25
	v_cvt_pk_f32_fp8_sdwa v[24:25], v7 src0_sel:WORD_1
	v_mov_b32_e32 v27, 0
	v_cvt_pk_f32_fp8_e32 v[16:17], v6
	v_cvt_pk_f32_fp8_sdwa v[18:19], v6 src0_sel:WORD_1
	v_mfma_f32_16x16x16_f16 v[10:13], v[22:23], v[30:31], v[10:13]
	v_cvt_pk_f32_fp8_e32 v[22:23], v7
	v_cvt_pkrtz_f16_f32 v6, v16, v17
	v_cvt_pkrtz_f16_f32 v7, v18, v19
	ds_read_b128 v[16:19], v14 offset:4096
	v_cvt_pkrtz_f16_f32 v28, v22, v23
	v_cvt_pkrtz_f16_f32 v29, v24, v25
	ds_read_b128 v[22:25], v14 offset:4112
	v_cvt_pk_f32_fp8_e32 v[30:31], v8
	s_waitcnt lgkmcnt(1)
	v_mfma_f32_16x16x16_f16 v[10:13], v[6:7], v[16:17], v[10:13]
	v_cvt_pkrtz_f16_f32 v7, v32, v33
	v_cvt_pk_f32_fp8_e32 v[16:17], v9
	v_cvt_pkrtz_f16_f32 v6, v30, v31
	v_mfma_f32_16x16x16_f16 v[10:13], v[28:29], v[18:19], v[10:13]
	v_cvt_pk_f32_fp8_sdwa v[18:19], v9 src0_sel:WORD_1
	v_cvt_pkrtz_f16_f32 v16, v16, v17
	v_cvt_pkrtz_f16_f32 v17, v18, v19
	s_waitcnt lgkmcnt(0)
	v_mfma_f32_16x16x16_f16 v[6:9], v[6:7], v[22:23], v[10:13]
	s_waitcnt vmcnt(0)
	v_cvt_pk_f32_fp8_sdwa v[18:19], v3 src0_sel:WORD_1
	s_nop 0
	v_cvt_pkrtz_f16_f32 v23, v18, v19
	v_cvt_pk_f32_fp8_e32 v[10:11], v2
	v_cvt_pk_f32_fp8_sdwa v[12:13], v2 src0_sel:WORD_1
	v_mfma_f32_16x16x16_f16 v[6:9], v[16:17], v[24:25], v[6:9]
	v_cvt_pk_f32_fp8_e32 v[16:17], v3
	v_cvt_pkrtz_f16_f32 v2, v10, v11
	v_cvt_pkrtz_f16_f32 v3, v12, v13
	ds_read_b128 v[10:13], v14 offset:6144
	v_cvt_pkrtz_f16_f32 v22, v16, v17
	v_cvt_pk_f32_fp8_e32 v[18:19], v4
	v_cvt_pk_f32_fp8_sdwa v[24:25], v4 src0_sel:WORD_1
	s_waitcnt lgkmcnt(0)
	v_mfma_f32_16x16x16_f16 v[6:9], v[2:3], v[10:11], v[6:9]
	ds_read_b128 v[14:17], v14 offset:6160
	v_cvt_pkrtz_f16_f32 v2, v18, v19
	v_cvt_pkrtz_f16_f32 v3, v24, v25
	v_cvt_pk_f32_fp8_e32 v[10:11], v5
	v_mfma_f32_16x16x16_f16 v[6:9], v[22:23], v[12:13], v[6:9]
	v_cvt_pk_f32_fp8_sdwa v[12:13], v5 src0_sel:WORD_1
	s_waitcnt lgkmcnt(0)
	v_cvt_pkrtz_f16_f32 v10, v10, v11
	v_mfma_f32_16x16x16_f16 v[2:5], v[2:3], v[14:15], v[6:9]
	v_cvt_pkrtz_f16_f32 v11, v12, v13
	s_barrier
	s_nop 0
	v_mfma_f32_16x16x16_f16 v[2:5], v[10:11], v[16:17], v[2:5]
	s_nop 6
	v_pk_mul_f32 v[4:5], v[4:5], s[4:5] op_sel_hi:[1,0]
	v_pk_mul_f32 v[2:3], v[2:3], s[4:5] op_sel_hi:[1,0]
	v_cvt_f16_f32_e32 v4, v4
	v_cvt_f16_f32_e32 v2, v2
	;; [unrolled: 1-line block ×4, first 2 shown]
	s_and_b64 s[4:5], vcc, s[30:31]
	v_pack_b32_f16 v2, v2, v3
	v_pack_b32_f16 v3, v4, v5
	ds_write_b64 v20, v[2:3]
	s_waitcnt lgkmcnt(0)
	s_barrier
	s_and_saveexec_b64 s[8:9], s[4:5]
	s_cbranch_execz .LBB918_18
; %bb.16:
	s_load_dwordx2 s[4:5], s[0:1], 0x68
	s_lshl_b32 s0, s6, 6
	s_mul_i32 s1, s7, s2
	s_mul_hi_u32 s7, s1, s0
	s_mul_i32 s6, s1, s0
	v_lshlrev_b32_e32 v0, 10, v0
	s_lshl_b64 s[6:7], s[6:7], 1
	v_and_b32_e32 v0, 0x1800, v0
	v_lshlrev_b32_e32 v2, 5, v42
	v_and_b32_e32 v1, 16, v1
	s_waitcnt lgkmcnt(0)
	s_add_u32 s1, s4, s6
	v_or3_b32 v2, v0, v2, v1
	s_addc_u32 s4, s5, s7
	s_lshl_b32 s2, s28, 6
	s_lshl_b64 s[2:3], s[2:3], 1
	ds_read_b128 v[4:7], v2 offset:128
	ds_read_b128 v[8:11], v2
	s_add_u32 s2, s1, s2
	s_addc_u32 s3, s4, s3
	v_add_u32_e32 v3, s48, v42
	v_lshl_add_u64 v[0:1], s[2:3], 0, v[26:27]
	v_mad_u64_u32 v[12:13], s[2:3], v3, s0, 0
	v_lshl_add_u64 v[12:13], v[12:13], 1, v[0:1]
	v_add_u32_e32 v3, 4, v3
	s_waitcnt lgkmcnt(0)
	global_store_dwordx4 v[12:13], v[8:11], off
	v_cmp_ne_u32_e32 vcc, 3, v42
	s_nop 0
	v_mad_u64_u32 v[8:9], s[2:3], v3, s0, 0
	v_lshl_add_u64 v[8:9], v[8:9], 1, v[0:1]
	global_store_dwordx4 v[8:9], v[4:7], off
	s_and_b64 exec, exec, vcc
	s_cbranch_execz .LBB918_18
; %bb.17:
	ds_read_b128 v[2:5], v2 offset:256
	v_add3_u32 v6, s48, v42, 8
	v_mad_u64_u32 v[6:7], s[0:1], v6, s0, 0
	v_lshl_add_u64 v[0:1], v[6:7], 1, v[0:1]
	s_waitcnt lgkmcnt(0)
	global_store_dwordx4 v[0:1], v[2:5], off
.LBB918_18:
	s_endpgm
	.section	.rodata,"a",@progbits
	.p2align	6, 0x0
	.amdhsa_kernel _Z39paged_attention_ll4mi_QKV_mfma16_kernelIDF16_hLN4vllm18Fp8KVCacheDataTypeE1EDF16_Li32ELi64ELi256ELb0ELi11EEvPKT_PKT0_S7_ifPKiS9_S9_iPKfiiiPfSC_PS2_PT2_iSB_SB_
		.amdhsa_group_segment_fixed_size 8192
		.amdhsa_private_segment_fixed_size 0
		.amdhsa_kernarg_size 400
		.amdhsa_user_sgpr_count 2
		.amdhsa_user_sgpr_dispatch_ptr 0
		.amdhsa_user_sgpr_queue_ptr 0
		.amdhsa_user_sgpr_kernarg_segment_ptr 1
		.amdhsa_user_sgpr_dispatch_id 0
		.amdhsa_user_sgpr_kernarg_preload_length 0
		.amdhsa_user_sgpr_kernarg_preload_offset 0
		.amdhsa_user_sgpr_private_segment_size 0
		.amdhsa_uses_dynamic_stack 0
		.amdhsa_enable_private_segment 0
		.amdhsa_system_sgpr_workgroup_id_x 1
		.amdhsa_system_sgpr_workgroup_id_y 1
		.amdhsa_system_sgpr_workgroup_id_z 1
		.amdhsa_system_sgpr_workgroup_info 0
		.amdhsa_system_vgpr_workitem_id 0
		.amdhsa_next_free_vgpr 54
		.amdhsa_next_free_sgpr 50
		.amdhsa_accum_offset 56
		.amdhsa_reserve_vcc 1
		.amdhsa_float_round_mode_32 0
		.amdhsa_float_round_mode_16_64 0
		.amdhsa_float_denorm_mode_32 3
		.amdhsa_float_denorm_mode_16_64 3
		.amdhsa_dx10_clamp 1
		.amdhsa_ieee_mode 1
		.amdhsa_fp16_overflow 0
		.amdhsa_tg_split 0
		.amdhsa_exception_fp_ieee_invalid_op 0
		.amdhsa_exception_fp_denorm_src 0
		.amdhsa_exception_fp_ieee_div_zero 0
		.amdhsa_exception_fp_ieee_overflow 0
		.amdhsa_exception_fp_ieee_underflow 0
		.amdhsa_exception_fp_ieee_inexact 0
		.amdhsa_exception_int_div_zero 0
	.end_amdhsa_kernel
	.section	.text._Z39paged_attention_ll4mi_QKV_mfma16_kernelIDF16_hLN4vllm18Fp8KVCacheDataTypeE1EDF16_Li32ELi64ELi256ELb0ELi11EEvPKT_PKT0_S7_ifPKiS9_S9_iPKfiiiPfSC_PS2_PT2_iSB_SB_,"axG",@progbits,_Z39paged_attention_ll4mi_QKV_mfma16_kernelIDF16_hLN4vllm18Fp8KVCacheDataTypeE1EDF16_Li32ELi64ELi256ELb0ELi11EEvPKT_PKT0_S7_ifPKiS9_S9_iPKfiiiPfSC_PS2_PT2_iSB_SB_,comdat
.Lfunc_end918:
	.size	_Z39paged_attention_ll4mi_QKV_mfma16_kernelIDF16_hLN4vllm18Fp8KVCacheDataTypeE1EDF16_Li32ELi64ELi256ELb0ELi11EEvPKT_PKT0_S7_ifPKiS9_S9_iPKfiiiPfSC_PS2_PT2_iSB_SB_, .Lfunc_end918-_Z39paged_attention_ll4mi_QKV_mfma16_kernelIDF16_hLN4vllm18Fp8KVCacheDataTypeE1EDF16_Li32ELi64ELi256ELb0ELi11EEvPKT_PKT0_S7_ifPKiS9_S9_iPKfiiiPfSC_PS2_PT2_iSB_SB_
                                        ; -- End function
	.section	.AMDGPU.csdata,"",@progbits
; Kernel info:
; codeLenInByte = 4704
; NumSgprs: 56
; NumVgprs: 54
; NumAgprs: 0
; TotalNumVgprs: 54
; ScratchSize: 0
; MemoryBound: 0
; FloatMode: 240
; IeeeMode: 1
; LDSByteSize: 8192 bytes/workgroup (compile time only)
; SGPRBlocks: 6
; VGPRBlocks: 6
; NumSGPRsForWavesPerEU: 56
; NumVGPRsForWavesPerEU: 54
; AccumOffset: 56
; Occupancy: 8
; WaveLimiterHint : 1
; COMPUTE_PGM_RSRC2:SCRATCH_EN: 0
; COMPUTE_PGM_RSRC2:USER_SGPR: 2
; COMPUTE_PGM_RSRC2:TRAP_HANDLER: 0
; COMPUTE_PGM_RSRC2:TGID_X_EN: 1
; COMPUTE_PGM_RSRC2:TGID_Y_EN: 1
; COMPUTE_PGM_RSRC2:TGID_Z_EN: 1
; COMPUTE_PGM_RSRC2:TIDIG_COMP_CNT: 0
; COMPUTE_PGM_RSRC3_GFX90A:ACCUM_OFFSET: 13
; COMPUTE_PGM_RSRC3_GFX90A:TG_SPLIT: 0
	.section	.text._Z39paged_attention_ll4mi_QKV_mfma16_kernelIDF16_hLN4vllm18Fp8KVCacheDataTypeE1EDF16_Li32ELi64ELi256ELb0ELi12EEvPKT_PKT0_S7_ifPKiS9_S9_iPKfiiiPfSC_PS2_PT2_iSB_SB_,"axG",@progbits,_Z39paged_attention_ll4mi_QKV_mfma16_kernelIDF16_hLN4vllm18Fp8KVCacheDataTypeE1EDF16_Li32ELi64ELi256ELb0ELi12EEvPKT_PKT0_S7_ifPKiS9_S9_iPKfiiiPfSC_PS2_PT2_iSB_SB_,comdat
	.protected	_Z39paged_attention_ll4mi_QKV_mfma16_kernelIDF16_hLN4vllm18Fp8KVCacheDataTypeE1EDF16_Li32ELi64ELi256ELb0ELi12EEvPKT_PKT0_S7_ifPKiS9_S9_iPKfiiiPfSC_PS2_PT2_iSB_SB_ ; -- Begin function _Z39paged_attention_ll4mi_QKV_mfma16_kernelIDF16_hLN4vllm18Fp8KVCacheDataTypeE1EDF16_Li32ELi64ELi256ELb0ELi12EEvPKT_PKT0_S7_ifPKiS9_S9_iPKfiiiPfSC_PS2_PT2_iSB_SB_
	.globl	_Z39paged_attention_ll4mi_QKV_mfma16_kernelIDF16_hLN4vllm18Fp8KVCacheDataTypeE1EDF16_Li32ELi64ELi256ELb0ELi12EEvPKT_PKT0_S7_ifPKiS9_S9_iPKfiiiPfSC_PS2_PT2_iSB_SB_
	.p2align	8
	.type	_Z39paged_attention_ll4mi_QKV_mfma16_kernelIDF16_hLN4vllm18Fp8KVCacheDataTypeE1EDF16_Li32ELi64ELi256ELb0ELi12EEvPKT_PKT0_S7_ifPKiS9_S9_iPKfiiiPfSC_PS2_PT2_iSB_SB_,@function
_Z39paged_attention_ll4mi_QKV_mfma16_kernelIDF16_hLN4vllm18Fp8KVCacheDataTypeE1EDF16_Li32ELi64ELi256ELb0ELi12EEvPKT_PKT0_S7_ifPKiS9_S9_iPKfiiiPfSC_PS2_PT2_iSB_SB_: ; @_Z39paged_attention_ll4mi_QKV_mfma16_kernelIDF16_hLN4vllm18Fp8KVCacheDataTypeE1EDF16_Li32ELi64ELi256ELb0ELi12EEvPKT_PKT0_S7_ifPKiS9_S9_iPKfiiiPfSC_PS2_PT2_iSB_SB_
; %bb.0:
	s_load_dwordx2 s[12:13], s[0:1], 0x30
	s_mov_b32 s28, s3
	s_mov_b64 s[6:7], 0
	s_waitcnt lgkmcnt(0)
	s_cmp_lg_u64 s[12:13], 0
	s_cselect_b64 s[14:15], -1, 0
	s_and_b64 vcc, exec, s[14:15]
	s_cbranch_vccz .LBB919_7
; %bb.1:
	s_add_i32 s8, s2, 1
	s_mov_b32 s9, 0
	s_lshl_b64 s[10:11], s[8:9], 2
	s_add_u32 s10, s12, s10
	s_mov_b32 s3, s9
	s_addc_u32 s11, s13, s11
	s_lshl_b64 s[8:9], s[2:3], 2
	s_add_u32 s8, s12, s8
	s_addc_u32 s9, s13, s9
	s_load_dword s5, s[10:11], 0x0
	s_load_dword s16, s[8:9], 0x0
	s_waitcnt lgkmcnt(0)
	s_sub_i32 s5, s5, s16
	s_cmp_eq_u32 s5, 1
	s_cselect_b64 s[8:9], -1, 0
	s_andn2_b64 vcc, exec, s[6:7]
	s_cbranch_vccnz .LBB919_3
.LBB919_2:
	s_mov_b32 s3, 0
	s_mov_b64 s[8:9], -1
.LBB919_3:
	s_andn2_b64 vcc, exec, s[8:9]
	s_cbranch_vccnz .LBB919_17
; %bb.4:
	s_load_dwordx2 s[6:7], s[0:1], 0x28
	s_lshl_b64 s[16:17], s[2:3], 2
	s_waitcnt lgkmcnt(0)
	s_add_u32 s6, s6, s16
	s_addc_u32 s7, s7, s17
	s_load_dword s33, s[6:7], 0x0
	s_lshl_b32 s5, s28, 8
	s_waitcnt lgkmcnt(0)
	s_cmp_ge_i32 s5, s33
	s_cbranch_scc1 .LBB919_17
; %bb.5:
	s_load_dwordx2 s[6:7], s[0:1], 0x20
	s_load_dword s8, s[0:1], 0x38
	s_add_i32 s9, s33, 31
	s_ashr_i32 s10, s9, 31
	v_and_b32_e32 v1, 0xcf, v0
	s_lshr_b32 s10, s10, 27
	v_add_u32_e32 v1, s5, v1
	s_add_i32 s9, s9, s10
	v_ashrrev_i32_e32 v2, 31, v1
	s_ashr_i32 s18, s9, 5
	v_lshrrev_b32_e32 v4, 27, v2
	s_add_i32 s18, s18, -1
	s_waitcnt lgkmcnt(0)
	s_mul_i32 s8, s2, s8
	s_mov_b32 s9, 0
	v_add_u32_e32 v2, v1, v4
	s_lshl_b64 s[8:9], s[8:9], 2
	v_ashrrev_i32_e32 v2, 5, v2
	v_mov_b32_e32 v5, s18
	v_cmp_gt_i32_e32 vcc, s33, v1
	s_add_u32 s6, s6, s8
	s_addc_u32 s7, s7, s9
	v_cndmask_b32_e32 v2, v5, v2, vcc
	v_ashrrev_i32_e32 v3, 31, v2
	v_lshl_add_u64 v[6:7], v[2:3], 2, s[6:7]
	v_or_b32_e32 v2, 16, v1
	v_add_u32_e32 v3, v2, v4
	v_ashrrev_i32_e32 v3, 5, v3
	v_cmp_gt_i32_e32 vcc, s33, v2
	s_load_dwordx4 s[8:11], s[0:1], 0x8
	s_nop 0
	v_cndmask_b32_e32 v2, v5, v3, vcc
	v_ashrrev_i32_e32 v3, 31, v2
	v_lshl_add_u64 v[8:9], v[2:3], 2, s[6:7]
	v_or_b32_e32 v2, 32, v1
	v_add_u32_e32 v3, v2, v4
	v_ashrrev_i32_e32 v3, 5, v3
	v_cmp_gt_i32_e32 vcc, s33, v2
	v_or_b32_e32 v1, 48, v1
	s_nop 0
	v_cndmask_b32_e32 v2, v5, v3, vcc
	v_ashrrev_i32_e32 v3, 31, v2
	v_lshl_add_u64 v[10:11], v[2:3], 2, s[6:7]
	v_add_u32_e32 v2, v1, v4
	v_ashrrev_i32_e32 v2, 5, v2
	v_cmp_gt_i32_e32 vcc, s33, v1
	s_nop 1
	v_cndmask_b32_e32 v2, v5, v2, vcc
	v_ashrrev_i32_e32 v3, 31, v2
	v_lshl_add_u64 v[14:15], v[2:3], 2, s[6:7]
	global_load_dword v2, v[6:7], off
	global_load_dword v5, v[8:9], off
	;; [unrolled: 1-line block ×4, first 2 shown]
	s_andn2_b64 vcc, exec, s[14:15]
	s_cbranch_vccnz .LBB919_8
; %bb.6:
	s_add_u32 s12, s12, s16
	s_addc_u32 s13, s13, s17
	s_load_dword s14, s[12:13], 0x0
	s_branch .LBB919_9
.LBB919_7:
	s_mov_b64 s[8:9], 0
	s_branch .LBB919_2
.LBB919_8:
	s_mov_b32 s14, s2
.LBB919_9:
	s_load_dwordx4 s[44:47], s[0:1], 0x48
	v_and_b32_e32 v28, 15, v0
	s_movk_i32 s12, 0xc0
	v_lshlrev_b32_e32 v3, 3, v28
	v_cmp_gt_u32_e32 vcc, s12, v0
	v_cmp_gt_u32_e64 s[30:31], 8, v28
	v_lshrrev_b32_e32 v29, 6, v0
	v_and_b32_e32 v43, 63, v0
	v_bfe_u32 v1, v0, 4, 2
	s_mul_i32 s48, s4, 12
	s_and_b64 s[16:17], vcc, s[30:31]
	v_lshlrev_b32_e32 v26, 1, v3
	v_lshlrev_b32_e32 v42, 4, v0
	s_and_saveexec_b64 s[12:13], s[16:17]
	s_cbranch_execz .LBB919_11
; %bb.10:
	s_load_dwordx2 s[16:17], s[0:1], 0x0
	s_waitcnt lgkmcnt(0)
	s_ashr_i32 s15, s44, 31
	s_mul_hi_u32 s19, s14, s44
	s_mul_i32 s15, s14, s15
	s_add_i32 s15, s19, s15
	s_mul_i32 s14, s14, s44
	v_lshl_or_b32 v3, v29, 2, v1
	s_lshl_b64 s[14:15], s[14:15], 1
	s_add_u32 s14, s16, s14
	v_add_lshl_u32 v6, v3, s48, 6
	s_addc_u32 s15, s17, s15
	v_ashrrev_i32_e32 v7, 31, v6
	v_lshl_add_u64 v[6:7], v[6:7], 1, s[14:15]
	v_mov_b32_e32 v27, 0
	v_lshl_add_u64 v[6:7], v[6:7], 0, v[26:27]
	global_load_dwordx4 v[6:9], v[6:7], off
	v_lshlrev_b32_e32 v11, 8, v28
	v_lshlrev_b32_e32 v3, 5, v3
	v_and_b32_e32 v10, 16, v42
	v_and_b32_e32 v11, 0xe00, v11
	v_or3_b32 v3, v11, v3, v10
	s_waitcnt vmcnt(0)
	ds_write_b128 v3, v[6:9]
.LBB919_11:
	s_or_b64 exec, exec, s[12:13]
	s_waitcnt lgkmcnt(0)
	s_mul_i32 s4, s4, s46
	s_add_u32 s8, s8, s4
	s_addc_u32 s9, s9, 0
	v_mov_b32_e32 v31, 0
	v_mov_b64_e32 v[10:11], s[8:9]
	v_and_b32_e32 v8, 48, v0
	s_waitcnt vmcnt(3)
	v_mad_i64_i32 v[6:7], s[8:9], v2, s45, v[10:11]
	v_lshlrev_b32_e32 v2, 4, v28
	v_mov_b32_e32 v3, v31
	v_lshlrev_b32_e32 v30, 5, v8
	v_lshl_add_u64 v[6:7], v[6:7], 0, v[2:3]
	v_lshl_add_u64 v[6:7], v[6:7], 0, v[30:31]
	s_load_dword s29, s[0:1], 0x98
	s_load_dwordx4 s[40:43], s[0:1], 0x80
	s_waitcnt lgkmcnt(0)
	s_barrier
	global_load_dwordx4 v[14:17], v[6:7], off
	s_waitcnt vmcnt(3)
	v_mad_i64_i32 v[6:7], s[8:9], v5, s45, v[10:11]
	v_or_b32_e32 v32, 0x100, v2
	v_mov_b32_e32 v33, v31
	v_lshl_add_u64 v[6:7], v[6:7], 0, v[32:33]
	v_lshl_add_u64 v[6:7], v[6:7], 0, v[30:31]
	global_load_dwordx4 v[18:21], v[6:7], off
	s_ashr_i32 s8, s5, 31
	v_or_b32_e32 v5, s5, v8
	s_lshr_b32 s12, s8, 27
	v_add_u32_e32 v8, s12, v5
	v_cmp_gt_i32_e32 vcc, s33, v5
	v_or_b32_e32 v34, 64, v5
	v_or_b32_e32 v35, 0x80, v5
	;; [unrolled: 1-line block ×3, first 2 shown]
	s_waitcnt vmcnt(3)
	v_mad_i64_i32 v[4:5], s[8:9], v4, s45, v[10:11]
	v_lshl_add_u64 v[2:3], v[4:5], 0, v[2:3]
	v_lshl_add_u64 v[2:3], v[2:3], 0, v[30:31]
	global_load_dwordx4 v[22:25], v[2:3], off
	v_ashrrev_i32_e32 v8, 5, v8
	v_mov_b32_e32 v13, s18
	v_cndmask_b32_e32 v8, v13, v8, vcc
	v_ashrrev_i32_e32 v9, 31, v8
	v_add_u32_e32 v6, -12, v28
	v_cmp_gt_u32_e32 vcc, 12, v28
	s_waitcnt vmcnt(3)
	v_mad_i64_i32 v[10:11], s[8:9], v12, s45, v[10:11]
	v_add_u32_e32 v12, s12, v34
	v_lshl_add_u64 v[8:9], v[8:9], 2, s[6:7]
	v_cndmask_b32_e32 v6, v6, v28, vcc
	v_add_u32_e32 v37, s12, v35
	v_ashrrev_i32_e32 v12, 5, v12
	v_cmp_gt_i32_e32 vcc, s33, v34
	global_load_dword v45, v[8:9], off
	v_lshlrev_b32_e32 v6, 5, v6
	v_add_u32_e32 v38, s12, v36
	v_lshl_add_u64 v[10:11], v[10:11], 0, v[32:33]
	v_ashrrev_i32_e32 v33, 5, v37
	v_cndmask_b32_e32 v32, v13, v12, vcc
	v_cmp_gt_i32_e32 vcc, s33, v35
	v_lshl_add_u32 v2, v1, 9, v6
	v_ashrrev_i32_e32 v37, 5, v38
	v_lshl_add_u64 v[10:11], v[10:11], 0, v[30:31]
	v_cndmask_b32_e32 v34, v13, v33, vcc
	v_cmp_gt_i32_e32 vcc, s33, v36
	ds_read_b128 v[6:9], v2
	ds_read_b128 v[2:5], v2 offset:16
	v_cndmask_b32_e32 v36, v13, v37, vcc
	global_load_dwordx4 v[10:13], v[10:11], off
	v_ashrrev_i32_e32 v33, 31, v32
	v_ashrrev_i32_e32 v37, 31, v36
	;; [unrolled: 1-line block ×3, first 2 shown]
	v_lshl_add_u64 v[32:33], v[32:33], 2, s[6:7]
	v_lshl_add_u64 v[36:37], v[36:37], 2, s[6:7]
	;; [unrolled: 1-line block ×3, first 2 shown]
	global_load_dword v44, v[32:33], off
	global_load_dword v34, v[40:41], off
	;; [unrolled: 1-line block ×3, first 2 shown]
	s_add_u32 s8, s10, s4
	v_lshlrev_b32_e32 v27, 5, v28
	s_addc_u32 s9, s11, 0
	v_and_b32_e32 v30, 16, v0
	v_lshl_add_u64 v[38:39], s[8:9], 0, v[30:31]
	v_lshl_or_b32 v30, v29, 9, v27
	v_lshl_add_u64 v[30:31], v[38:39], 0, v[30:31]
	s_load_dword s13, s[0:1], 0x1c
	s_load_dword s4, s[40:41], 0x0
	s_mov_b32 s44, 0xff7fffff
	s_waitcnt vmcnt(7)
	v_cvt_pk_f32_fp8_e32 v[32:33], v14
	v_cvt_pk_f32_fp8_sdwa v[36:37], v14 src0_sel:WORD_1
	v_cvt_pk_f32_fp8_e32 v[38:39], v15
	v_cvt_pk_f32_fp8_sdwa v[14:15], v15 src0_sel:WORD_1
	v_cvt_pkrtz_f16_f32 v32, v32, v33
	v_cvt_pkrtz_f16_f32 v33, v36, v37
	v_cvt_pk_f32_fp8_e32 v[40:41], v16
	v_cvt_pk_f32_fp8_sdwa v[46:47], v16 src0_sel:WORD_1
	v_cvt_pkrtz_f16_f32 v48, v38, v39
	v_cvt_pkrtz_f16_f32 v49, v14, v15
	s_waitcnt lgkmcnt(0)
	v_mfma_f32_16x16x16_f16 v[36:39], v[32:33], v[6:7], 0
	v_cvt_pk_f32_fp8_e32 v[32:33], v17
	v_cvt_pkrtz_f16_f32 v40, v40, v41
	v_cvt_pkrtz_f16_f32 v41, v46, v47
	v_cvt_pk_f32_fp8_sdwa v[16:17], v17 src0_sel:WORD_1
	v_mfma_f32_16x16x16_f16 v[36:39], v[48:49], v[8:9], v[36:39]
	v_cvt_pkrtz_f16_f32 v32, v32, v33
	s_waitcnt vmcnt(6)
	v_cvt_pk_f32_fp8_sdwa v[46:47], v20 src0_sel:WORD_1
	v_cvt_pkrtz_f16_f32 v33, v16, v17
	v_mfma_f32_16x16x16_f16 v[36:39], v[40:41], v[2:3], v[36:39]
	v_cvt_pk_f32_fp8_e32 v[16:17], v18
	v_cvt_pk_f32_fp8_sdwa v[40:41], v18 src0_sel:WORD_1
	s_waitcnt vmcnt(5)
	v_cvt_pk_f32_fp8_e32 v[52:53], v25
	v_mfma_f32_16x16x16_f16 v[36:39], v[32:33], v[4:5], v[36:39]
	v_cvt_pk_f32_fp8_e32 v[32:33], v19
	v_cvt_pkrtz_f16_f32 v16, v16, v17
	v_cvt_pkrtz_f16_f32 v17, v40, v41
	v_cvt_pk_f32_fp8_sdwa v[18:19], v19 src0_sel:WORD_1
	v_cvt_pkrtz_f16_f32 v32, v32, v33
	v_cvt_pk_f32_fp8_e32 v[40:41], v20
	v_cvt_pkrtz_f16_f32 v33, v18, v19
	v_mfma_f32_16x16x16_f16 v[16:19], v[16:17], v[6:7], 0
	v_cvt_pkrtz_f16_f32 v40, v40, v41
	v_cvt_pkrtz_f16_f32 v41, v46, v47
	v_cvt_pk_f32_fp8_e32 v[46:47], v21
	v_cvt_pk_f32_fp8_sdwa v[20:21], v21 src0_sel:WORD_1
	v_mfma_f32_16x16x16_f16 v[16:19], v[32:33], v[8:9], v[16:19]
	s_waitcnt vmcnt(4)
	v_mad_i64_i32 v[14:15], s[6:7], v45, s45, v[30:31]
	v_cvt_pkrtz_f16_f32 v32, v46, v47
	v_cvt_pkrtz_f16_f32 v33, v20, v21
	v_mfma_f32_16x16x16_f16 v[16:19], v[40:41], v[2:3], v[16:19]
	v_cvt_pk_f32_fp8_e32 v[20:21], v22
	v_cvt_pk_f32_fp8_sdwa v[40:41], v22 src0_sel:WORD_1
	v_cvt_pk_f32_fp8_sdwa v[46:47], v24 src0_sel:WORD_1
	v_mfma_f32_16x16x16_f16 v[16:19], v[32:33], v[4:5], v[16:19]
	v_cvt_pk_f32_fp8_e32 v[32:33], v23
	v_cvt_pkrtz_f16_f32 v20, v20, v21
	v_cvt_pkrtz_f16_f32 v21, v40, v41
	v_cvt_pk_f32_fp8_sdwa v[22:23], v23 src0_sel:WORD_1
	v_cvt_pkrtz_f16_f32 v32, v32, v33
	v_cvt_pk_f32_fp8_e32 v[40:41], v24
	v_cvt_pk_f32_fp8_sdwa v[24:25], v25 src0_sel:WORD_1
	v_cvt_pkrtz_f16_f32 v33, v22, v23
	v_mfma_f32_16x16x16_f16 v[20:23], v[20:21], v[6:7], 0
	v_cvt_pkrtz_f16_f32 v40, v40, v41
	v_cvt_pkrtz_f16_f32 v41, v46, v47
	v_mov_b32_e32 v45, s13
	v_mfma_f32_16x16x16_f16 v[46:49], v[32:33], v[8:9], v[20:23]
	v_mul_f32_e32 v50, s4, v45
	v_cvt_pkrtz_f16_f32 v32, v52, v53
	v_cvt_pkrtz_f16_f32 v33, v24, v25
	v_pk_mul_f32 v[22:23], v[50:51], v[38:39] op_sel_hi:[0,1]
	v_mfma_f32_16x16x16_f16 v[38:41], v[40:41], v[2:3], v[46:49]
	v_pk_mul_f32 v[20:21], v[50:51], v[36:37] op_sel_hi:[0,1]
	s_waitcnt vmcnt(3)
	v_cvt_pk_f32_fp8_e32 v[24:25], v10
	v_cvt_pk_f32_fp8_sdwa v[36:37], v10 src0_sel:WORD_1
	v_mfma_f32_16x16x16_f16 v[46:49], v[32:33], v[4:5], v[38:41]
	v_cvt_pk_f32_fp8_e32 v[32:33], v11
	v_cvt_pkrtz_f16_f32 v24, v24, v25
	v_cvt_pkrtz_f16_f32 v25, v36, v37
	v_cvt_pk_f32_fp8_sdwa v[10:11], v11 src0_sel:WORD_1
	v_cvt_pkrtz_f16_f32 v32, v32, v33
	v_cvt_pk_f32_fp8_e32 v[40:41], v12
	v_cvt_pk_f32_fp8_sdwa v[52:53], v12 src0_sel:WORD_1
	v_cvt_pkrtz_f16_f32 v33, v10, v11
	v_mfma_f32_16x16x16_f16 v[36:39], v[24:25], v[6:7], 0
	v_cvt_pkrtz_f16_f32 v10, v40, v41
	v_cvt_pkrtz_f16_f32 v11, v52, v53
	v_cvt_pk_f32_fp8_e32 v[24:25], v13
	v_cvt_pk_f32_fp8_sdwa v[12:13], v13 src0_sel:WORD_1
	v_mfma_f32_16x16x16_f16 v[6:9], v[32:33], v[8:9], v[36:39]
	v_pk_mul_f32 v[40:41], v[50:51], v[16:17] op_sel_hi:[0,1]
	v_pk_mul_f32 v[32:33], v[50:51], v[48:49] op_sel_hi:[0,1]
	s_nop 0
	v_pk_mul_f32 v[36:37], v[50:51], v[18:19] op_sel_hi:[0,1]
	v_cvt_pkrtz_f16_f32 v18, v24, v25
	v_cvt_pkrtz_f16_f32 v19, v12, v13
	v_mfma_f32_16x16x16_f16 v[6:9], v[10:11], v[2:3], v[6:9]
	v_pk_mul_f32 v[38:39], v[50:51], v[46:47] op_sel_hi:[0,1]
	v_mfma_f32_16x16x16_f16 v[2:5], v[18:19], v[4:5], v[6:9]
	s_nop 6
	v_pk_mul_f32 v[24:25], v[50:51], v[2:3] op_sel_hi:[0,1]
	v_and_b32_e32 v2, 0xc0, v0
	v_add_u32_e32 v2, s5, v2
	v_lshl_or_b32 v2, v1, 2, v2
	v_pk_mul_f32 v[18:19], v[50:51], v[4:5] op_sel_hi:[0,1]
	v_or_b32_e32 v5, 1, v2
	v_mov_b32_e32 v3, 0xff7fffff
	v_cmp_gt_i32_e64 s[4:5], s33, v2
	v_cmp_gt_i32_e64 s[34:35], s33, v5
	v_or_b32_e32 v6, 3, v2
	v_cndmask_b32_e64 v4, v3, v20, s[4:5]
	v_cndmask_b32_e64 v5, v3, v21, s[34:35]
	v_max3_f32 v4, v4, s44, v5
	v_or_b32_e32 v5, 2, v2
	v_cmp_gt_i32_e64 s[36:37], s33, v5
	v_cmp_gt_i32_e64 s[38:39], s33, v6
	s_nop 0
	v_cndmask_b32_e64 v5, v3, v22, s[36:37]
	v_cndmask_b32_e64 v6, v3, v23, s[38:39]
	v_max3_f32 v4, v4, v5, v6
	v_or_b32_e32 v5, 16, v2
	v_or_b32_e32 v6, 17, v2
	v_cmp_gt_i32_e64 s[24:25], s33, v5
	v_cmp_gt_i32_e64 s[26:27], s33, v6
	s_nop 0
	v_cndmask_b32_e64 v5, v3, v40, s[24:25]
	v_cndmask_b32_e64 v6, v3, v41, s[26:27]
	v_max3_f32 v4, v4, v5, v6
	v_or_b32_e32 v5, 18, v2
	;; [unrolled: 8-line block ×6, first 2 shown]
	v_or_b32_e32 v2, 51, v2
	v_cmp_gt_i32_e32 vcc, s33, v5
	v_cmp_gt_i32_e64 s[6:7], s33, v2
	s_nop 0
	v_cndmask_b32_e32 v5, v3, v18, vcc
	v_cndmask_b32_e64 v2, v3, v19, s[6:7]
	v_max3_f32 v4, v4, v5, v2
	v_mbcnt_lo_u32_b32 v2, -1, 0
	v_mbcnt_hi_u32_b32 v5, -1, v2
	v_and_b32_e32 v2, 64, v5
	v_add_u32_e32 v6, 64, v2
	v_xor_b32_e32 v2, 32, v5
	v_cmp_lt_i32_e64 s[40:41], v2, v6
	s_nop 1
	v_cndmask_b32_e64 v2, v5, v2, s[40:41]
	v_lshlrev_b32_e32 v45, 2, v2
	ds_bpermute_b32 v7, v45, v4
	s_waitcnt vmcnt(2)
	v_mad_i64_i32 v[2:3], s[40:41], v44, s45, v[30:31]
	global_load_dwordx4 v[14:17], v[14:15], off
	s_nop 0
	global_load_dwordx4 v[10:13], v[2:3], off
	v_xor_b32_e32 v3, 16, v5
	v_cmp_lt_i32_e64 s[40:41], v3, v6
	s_waitcnt lgkmcnt(0)
	v_max_f32_e32 v2, v7, v7
	v_max_f32_e32 v2, v4, v2
	v_cndmask_b32_e64 v3, v5, v3, s[40:41]
	v_lshlrev_b32_e32 v48, 2, v3
	ds_bpermute_b32 v3, v48, v2
	s_waitcnt vmcnt(3)
	v_mad_i64_i32 v[46:47], s[40:41], v34, s45, v[30:31]
	s_waitcnt vmcnt(2)
	v_mad_i64_i32 v[30:31], s[40:41], v35, s45, v[30:31]
	s_waitcnt lgkmcnt(0)
	v_max_f32_e32 v3, v3, v3
	v_max_f32_e32 v44, v2, v3
	v_sub_f32_e32 v2, v20, v44
	v_mul_f32_e32 v2, 0x3fb8aa3b, v2
	v_exp_f32_e32 v20, v2
	v_sub_f32_e32 v2, v21, v44
	v_mul_f32_e32 v2, 0x3fb8aa3b, v2
	v_exp_f32_e32 v21, v2
	global_load_dwordx4 v[6:9], v[46:47], off
	global_load_dwordx4 v[2:5], v[30:31], off
	v_sub_f32_e32 v22, v22, v44
	v_mul_f32_e32 v22, 0x3fb8aa3b, v22
	v_sub_f32_e32 v23, v23, v44
	v_exp_f32_e32 v22, v22
	v_mul_f32_e32 v23, 0x3fb8aa3b, v23
	v_exp_f32_e32 v23, v23
	v_cndmask_b32_e64 v20, 0, v20, s[4:5]
	v_add_f32_e32 v30, 0, v20
	v_cndmask_b32_e64 v21, 0, v21, s[34:35]
	v_add_f32_e32 v30, v30, v21
	;; [unrolled: 2-line block ×3, first 2 shown]
	v_cndmask_b32_e64 v35, 0, v23, s[38:39]
	v_sub_f32_e32 v23, v40, v44
	v_sub_f32_e32 v30, v41, v44
	v_mul_f32_e32 v23, 0x3fb8aa3b, v23
	v_mul_f32_e32 v30, 0x3fb8aa3b, v30
	v_exp_f32_e32 v23, v23
	v_exp_f32_e32 v30, v30
	v_add_f32_e32 v31, v22, v35
	v_sub_f32_e32 v32, v32, v44
	v_cndmask_b32_e64 v22, 0, v23, s[24:25]
	v_cndmask_b32_e64 v23, 0, v30, s[26:27]
	v_sub_f32_e32 v30, v36, v44
	v_mul_f32_e32 v30, 0x3fb8aa3b, v30
	v_exp_f32_e32 v30, v30
	v_sub_f32_e32 v36, v37, v44
	v_add_f32_e32 v31, v31, v22
	v_mul_f32_e32 v36, 0x3fb8aa3b, v36
	v_exp_f32_e32 v37, v36
	v_add_f32_e32 v31, v31, v23
	v_cndmask_b32_e64 v36, 0, v30, s[20:21]
	v_add_f32_e32 v30, v31, v36
	v_sub_f32_e32 v31, v38, v44
	v_mul_f32_e32 v31, 0x3fb8aa3b, v31
	v_sub_f32_e32 v38, v39, v44
	v_exp_f32_e32 v31, v31
	v_mul_f32_e32 v38, 0x3fb8aa3b, v38
	v_exp_f32_e32 v38, v38
	v_mul_f32_e32 v32, 0x3fb8aa3b, v32
	v_sub_f32_e32 v33, v33, v44
	v_exp_f32_e32 v32, v32
	v_mul_f32_e32 v33, 0x3fb8aa3b, v33
	v_sub_f32_e32 v24, v24, v44
	v_cndmask_b32_e64 v37, 0, v37, s[22:23]
	v_exp_f32_e32 v33, v33
	v_mul_f32_e32 v24, 0x3fb8aa3b, v24
	v_sub_f32_e32 v25, v25, v44
	v_add_f32_e32 v39, v30, v37
	v_cndmask_b32_e64 v30, 0, v31, s[16:17]
	v_exp_f32_e32 v24, v24
	v_mul_f32_e32 v25, 0x3fb8aa3b, v25
	v_sub_f32_e32 v18, v18, v44
	v_add_f32_e32 v39, v39, v30
	;; [unrolled: 5-line block ×3, first 2 shown]
	v_cndmask_b32_e64 v32, 0, v32, s[12:13]
	v_exp_f32_e32 v18, v18
	v_mul_f32_e32 v19, 0x3fb8aa3b, v19
	v_add_f32_e32 v38, v38, v32
	v_cndmask_b32_e64 v33, 0, v33, s[14:15]
	v_exp_f32_e32 v19, v19
	v_add_f32_e32 v38, v38, v33
	v_cndmask_b32_e64 v24, 0, v24, s[8:9]
	v_add_f32_e32 v38, v38, v24
	v_cndmask_b32_e64 v25, 0, v25, s[10:11]
	v_add_f32_e32 v38, v38, v25
	v_cndmask_b32_e32 v18, 0, v18, vcc
	v_add_f32_e32 v38, v38, v18
	v_cndmask_b32_e64 v19, 0, v19, s[6:7]
	v_add_f32_e32 v38, v38, v19
	ds_bpermute_b32 v39, v45, v38
	v_cmp_gt_u32_e32 vcc, 16, v43
	s_waitcnt lgkmcnt(0)
	s_barrier
	v_add_f32_e32 v38, v38, v39
	ds_bpermute_b32 v40, v48, v38
	v_lshlrev_b32_e32 v39, 2, v28
	s_and_saveexec_b64 s[4:5], vcc
	s_cbranch_execz .LBB919_13
; %bb.12:
	s_waitcnt lgkmcnt(0)
	v_add_f32_e32 v38, v38, v40
	v_lshl_or_b32 v40, v29, 6, v39
	ds_write2st64_b32 v40, v44, v38 offset1:1
.LBB919_13:
	s_or_b64 exec, exec, s[4:5]
	s_load_dword s6, s[0:1], 0x94
	s_waitcnt lgkmcnt(0)
	s_barrier
	ds_read2_b32 v[40:41], v39 offset1:16
	ds_read2_b32 v[44:45], v39 offset0:32 offset1:48
	ds_read2_b32 v[46:47], v39 offset0:64 offset1:80
	s_mul_i32 s7, s29, 12
	s_waitcnt lgkmcnt(2)
	v_max3_f32 v38, v40, s44, v41
	s_waitcnt lgkmcnt(1)
	v_max3_f32 v38, v38, v44, v45
	v_sub_f32_e32 v40, v40, v38
	v_mul_f32_e32 v40, 0x3fb8aa3b, v40
	v_exp_f32_e32 v43, v40
	v_sub_f32_e32 v40, v41, v38
	v_mul_f32_e32 v40, 0x3fb8aa3b, v40
	v_exp_f32_e32 v48, v40
	;; [unrolled: 3-line block ×3, first 2 shown]
	ds_read2_b32 v[40:41], v39 offset0:96 offset1:112
	v_sub_f32_e32 v39, v45, v38
	v_mul_f32_e32 v39, 0x3fb8aa3b, v39
	v_exp_f32_e32 v45, v39
	s_waitcnt lgkmcnt(1)
	v_fma_f32 v39, v43, v46, 0
	v_fmac_f32_e32 v39, v48, v47
	s_waitcnt lgkmcnt(0)
	v_fmac_f32_e32 v39, v44, v40
	v_fmac_f32_e32 v39, v45, v41
	v_add_f32_e32 v40, 0x358637bd, v39
	v_div_scale_f32 v41, s[4:5], v40, v40, 1.0
	v_rcp_f32_e32 v46, v41
	s_barrier
	v_fma_f32 v47, -v41, v46, 1.0
	v_fmac_f32_e32 v46, v47, v46
	v_div_scale_f32 v47, vcc, 1.0, v40, 1.0
	v_mul_f32_e32 v49, v47, v46
	v_fma_f32 v50, -v41, v49, v47
	v_fmac_f32_e32 v49, v50, v46
	v_fma_f32 v41, -v41, v49, v47
	v_div_fmas_f32 v41, v41, v46, v49
	v_cmp_eq_u32_e32 vcc, 1, v29
	v_div_fixup_f32 v40, v41, v40, 1.0
	s_nop 0
	v_cndmask_b32_e32 v41, v43, v48, vcc
	v_cmp_eq_u32_e32 vcc, 2, v29
	s_nop 1
	v_cndmask_b32_e32 v41, v41, v44, vcc
	v_cmp_eq_u32_e32 vcc, 3, v29
	s_nop 1
	v_cndmask_b32_e32 v41, v41, v45, vcc
	v_mul_f32_e32 v40, v41, v40
	v_pk_mul_f32 v[34:35], v[40:41], v[34:35] op_sel_hi:[0,1]
	v_pk_mul_f32 v[20:21], v[40:41], v[20:21] op_sel_hi:[0,1]
	v_cvt_f16_f32_e32 v41, v34
	v_cvt_f16_f32_e32 v35, v35
	;; [unrolled: 1-line block ×4, first 2 shown]
	v_cmp_gt_u32_e32 vcc, 12, v0
	v_pack_b32_f16 v35, v41, v35
	v_lshlrev_b32_e32 v41, 3, v1
	v_pack_b32_f16 v34, v20, v21
	v_pk_mul_f32 v[20:21], v[40:41], v[36:37] op_sel_hi:[0,1]
	v_pk_mul_f32 v[22:23], v[40:41], v[22:23] op_sel_hi:[0,1]
	v_cvt_f16_f32_e32 v22, v22
	v_cvt_f16_f32_e32 v23, v23
	v_cvt_f16_f32_e32 v36, v20
	v_cvt_f16_f32_e32 v21, v21
	v_lshlrev_b32_e32 v20, 11, v29
	v_or3_b32 v20, v20, v27, v41
	v_pack_b32_f16 v22, v22, v23
	v_pack_b32_f16 v23, v36, v21
	ds_write2st64_b64 v20, v[34:35], v[22:23] offset1:1
	v_pk_mul_f32 v[22:23], v[40:41], v[32:33] op_sel_hi:[0,1]
	v_pk_mul_f32 v[30:31], v[40:41], v[30:31] op_sel_hi:[0,1]
	v_cvt_f16_f32_e32 v21, v30
	v_cvt_f16_f32_e32 v29, v31
	;; [unrolled: 1-line block ×4, first 2 shown]
	v_pk_mul_f32 v[18:19], v[40:41], v[18:19] op_sel_hi:[0,1]
	v_pk_mul_f32 v[22:23], v[40:41], v[24:25] op_sel_hi:[0,1]
	v_cvt_f16_f32_e32 v22, v22
	v_cvt_f16_f32_e32 v23, v23
	;; [unrolled: 1-line block ×4, first 2 shown]
	v_pack_b32_f16 v18, v21, v29
	v_pack_b32_f16 v19, v30, v31
	;; [unrolled: 1-line block ×4, first 2 shown]
	ds_write2st64_b64 v20, v[18:19], v[22:23] offset0:2 offset1:3
	s_and_saveexec_b64 s[4:5], vcc
	s_cbranch_execz .LBB919_15
; %bb.14:
	s_mov_b32 s49, 0
	v_mov_b32_e32 v29, 0
	v_lshl_add_u64 v[18:19], s[48:49], 0, v[28:29]
	v_mov_b32_e32 v21, s7
	v_mad_u64_u32 v[18:19], s[12:13], s2, v21, v[18:19]
	s_mul_i32 s3, s3, s7
	v_mov_b32_e32 v28, s28
	s_load_dwordx4 s[8:11], s[0:1], 0x58
	v_add_u32_e32 v21, s3, v19
	v_mad_u64_u32 v[18:19], s[12:13], v18, s6, v[28:29]
	v_mov_b32_e32 v22, v19
	v_mad_u64_u32 v[22:23], s[12:13], v21, s6, v[22:23]
	v_mov_b32_e32 v19, v22
	v_lshlrev_b64 v[18:19], 2, v[18:19]
	s_waitcnt lgkmcnt(0)
	v_lshl_add_u64 v[22:23], s[10:11], 0, v[18:19]
	v_lshl_add_u64 v[18:19], s[8:9], 0, v[18:19]
	global_store_dword v[22:23], v38, off
	global_store_dword v[18:19], v39, off
.LBB919_15:
	s_or_b64 exec, exec, s[4:5]
	s_waitcnt vmcnt(3)
	v_cvt_pk_f32_fp8_e32 v[18:19], v14
	v_cvt_pk_f32_fp8_sdwa v[22:23], v14 src0_sel:WORD_1
	v_cvt_pk_f32_fp8_e32 v[24:25], v15
	v_lshl_or_b32 v14, v1, 9, v27
	s_waitcnt lgkmcnt(0)
	s_barrier
	v_cvt_pkrtz_f16_f32 v18, v18, v19
	v_cvt_pkrtz_f16_f32 v19, v22, v23
	v_cvt_pk_f32_fp8_sdwa v[28:29], v15 src0_sel:WORD_1
	v_cvt_pkrtz_f16_f32 v36, v24, v25
	ds_read_b128 v[22:25], v14
	v_cvt_pk_f32_fp8_e32 v[38:39], v16
	v_cvt_pkrtz_f16_f32 v37, v28, v29
	ds_read_b128 v[28:31], v14 offset:16
	v_cvt_pk_f32_fp8_sdwa v[40:41], v16 src0_sel:WORD_1
	s_waitcnt lgkmcnt(1)
	v_mfma_f32_16x16x16_f16 v[32:35], v[18:19], v[22:23], 0
	v_cvt_pkrtz_f16_f32 v18, v38, v39
	v_cvt_pk_f32_fp8_e32 v[38:39], v17
	v_cvt_pkrtz_f16_f32 v19, v40, v41
	v_mfma_f32_16x16x16_f16 v[22:25], v[36:37], v[24:25], v[32:35]
	s_waitcnt vmcnt(2)
	v_cvt_pk_f32_fp8_sdwa v[36:37], v12 src0_sel:WORD_1
	s_load_dword s4, s[42:43], 0x0
	v_cmp_gt_u32_e32 vcc, 64, v0
	v_cvt_pk_f32_fp8_sdwa v[32:33], v17 src0_sel:WORD_1
	v_cvt_pkrtz_f16_f32 v34, v38, v39
	s_waitcnt lgkmcnt(0)
	v_mfma_f32_16x16x16_f16 v[16:19], v[18:19], v[28:29], v[22:25]
	v_cvt_pk_f32_fp8_e32 v[28:29], v11
	v_cvt_pkrtz_f16_f32 v35, v32, v33
	s_mov_b32 s3, 0
	v_cvt_pk_f32_fp8_e32 v[22:23], v10
	v_cvt_pk_f32_fp8_sdwa v[24:25], v10 src0_sel:WORD_1
	v_mfma_f32_16x16x16_f16 v[16:19], v[34:35], v[30:31], v[16:19]
	v_cvt_pkrtz_f16_f32 v10, v22, v23
	v_cvt_pk_f32_fp8_sdwa v[30:31], v11 src0_sel:WORD_1
	v_cvt_pkrtz_f16_f32 v11, v24, v25
	ds_read_b128 v[22:25], v14 offset:2048
	v_cvt_pkrtz_f16_f32 v32, v28, v29
	v_cvt_pkrtz_f16_f32 v33, v30, v31
	ds_read_b128 v[28:31], v14 offset:2064
	v_cvt_pk_f32_fp8_e32 v[34:35], v12
	s_waitcnt lgkmcnt(1)
	v_mfma_f32_16x16x16_f16 v[16:19], v[10:11], v[22:23], v[16:19]
	v_cvt_pkrtz_f16_f32 v11, v36, v37
	v_cvt_pk_f32_fp8_e32 v[22:23], v13
	v_cvt_pkrtz_f16_f32 v10, v34, v35
	v_mfma_f32_16x16x16_f16 v[16:19], v[32:33], v[24:25], v[16:19]
	v_cvt_pk_f32_fp8_sdwa v[24:25], v13 src0_sel:WORD_1
	v_cvt_pkrtz_f16_f32 v22, v22, v23
	s_waitcnt vmcnt(1)
	v_cvt_pk_f32_fp8_sdwa v[32:33], v8 src0_sel:WORD_1
	s_waitcnt lgkmcnt(0)
	v_mfma_f32_16x16x16_f16 v[10:13], v[10:11], v[28:29], v[16:19]
	v_cvt_pkrtz_f16_f32 v23, v24, v25
	v_cvt_pk_f32_fp8_sdwa v[24:25], v7 src0_sel:WORD_1
	v_mov_b32_e32 v27, 0
	v_cvt_pk_f32_fp8_e32 v[16:17], v6
	v_cvt_pk_f32_fp8_sdwa v[18:19], v6 src0_sel:WORD_1
	v_mfma_f32_16x16x16_f16 v[10:13], v[22:23], v[30:31], v[10:13]
	v_cvt_pk_f32_fp8_e32 v[22:23], v7
	v_cvt_pkrtz_f16_f32 v6, v16, v17
	v_cvt_pkrtz_f16_f32 v7, v18, v19
	ds_read_b128 v[16:19], v14 offset:4096
	v_cvt_pkrtz_f16_f32 v28, v22, v23
	v_cvt_pkrtz_f16_f32 v29, v24, v25
	ds_read_b128 v[22:25], v14 offset:4112
	v_cvt_pk_f32_fp8_e32 v[30:31], v8
	s_waitcnt lgkmcnt(1)
	v_mfma_f32_16x16x16_f16 v[10:13], v[6:7], v[16:17], v[10:13]
	v_cvt_pkrtz_f16_f32 v7, v32, v33
	v_cvt_pk_f32_fp8_e32 v[16:17], v9
	v_cvt_pkrtz_f16_f32 v6, v30, v31
	v_mfma_f32_16x16x16_f16 v[10:13], v[28:29], v[18:19], v[10:13]
	v_cvt_pk_f32_fp8_sdwa v[18:19], v9 src0_sel:WORD_1
	v_cvt_pkrtz_f16_f32 v16, v16, v17
	v_cvt_pkrtz_f16_f32 v17, v18, v19
	s_waitcnt lgkmcnt(0)
	v_mfma_f32_16x16x16_f16 v[6:9], v[6:7], v[22:23], v[10:13]
	s_waitcnt vmcnt(0)
	v_cvt_pk_f32_fp8_sdwa v[18:19], v3 src0_sel:WORD_1
	s_nop 0
	v_cvt_pkrtz_f16_f32 v23, v18, v19
	v_cvt_pk_f32_fp8_e32 v[10:11], v2
	v_cvt_pk_f32_fp8_sdwa v[12:13], v2 src0_sel:WORD_1
	v_mfma_f32_16x16x16_f16 v[6:9], v[16:17], v[24:25], v[6:9]
	v_cvt_pk_f32_fp8_e32 v[16:17], v3
	v_cvt_pkrtz_f16_f32 v2, v10, v11
	v_cvt_pkrtz_f16_f32 v3, v12, v13
	ds_read_b128 v[10:13], v14 offset:6144
	v_cvt_pkrtz_f16_f32 v22, v16, v17
	v_cvt_pk_f32_fp8_e32 v[18:19], v4
	v_cvt_pk_f32_fp8_sdwa v[24:25], v4 src0_sel:WORD_1
	s_waitcnt lgkmcnt(0)
	v_mfma_f32_16x16x16_f16 v[6:9], v[2:3], v[10:11], v[6:9]
	ds_read_b128 v[14:17], v14 offset:6160
	v_cvt_pkrtz_f16_f32 v2, v18, v19
	v_cvt_pkrtz_f16_f32 v3, v24, v25
	v_cvt_pk_f32_fp8_e32 v[10:11], v5
	v_mfma_f32_16x16x16_f16 v[6:9], v[22:23], v[12:13], v[6:9]
	v_cvt_pk_f32_fp8_sdwa v[12:13], v5 src0_sel:WORD_1
	s_waitcnt lgkmcnt(0)
	v_cvt_pkrtz_f16_f32 v10, v10, v11
	v_mfma_f32_16x16x16_f16 v[2:5], v[2:3], v[14:15], v[6:9]
	v_cvt_pkrtz_f16_f32 v11, v12, v13
	s_barrier
	s_nop 0
	v_mfma_f32_16x16x16_f16 v[2:5], v[10:11], v[16:17], v[2:5]
	s_nop 6
	v_pk_mul_f32 v[4:5], v[4:5], s[4:5] op_sel_hi:[1,0]
	v_pk_mul_f32 v[2:3], v[2:3], s[4:5] op_sel_hi:[1,0]
	v_cvt_f16_f32_e32 v4, v4
	v_cvt_f16_f32_e32 v2, v2
	;; [unrolled: 1-line block ×4, first 2 shown]
	s_and_b64 s[4:5], vcc, s[30:31]
	v_pack_b32_f16 v2, v2, v3
	v_pack_b32_f16 v3, v4, v5
	ds_write_b64 v20, v[2:3]
	s_waitcnt lgkmcnt(0)
	s_barrier
	s_and_saveexec_b64 s[8:9], s[4:5]
	s_cbranch_execz .LBB919_17
; %bb.16:
	s_load_dwordx2 s[0:1], s[0:1], 0x68
	s_lshl_b32 s6, s6, 6
	s_mul_i32 s2, s7, s2
	s_mul_hi_u32 s5, s2, s6
	s_mul_i32 s4, s2, s6
	s_lshl_b64 s[4:5], s[4:5], 1
	s_waitcnt lgkmcnt(0)
	s_add_u32 s4, s0, s4
	v_lshlrev_b32_e32 v0, 10, v0
	s_addc_u32 s5, s1, s5
	s_lshl_b32 s2, s28, 6
	v_and_b32_e32 v0, 0x1800, v0
	v_lshlrev_b32_e32 v2, 5, v1
	v_and_b32_e32 v3, 16, v42
	s_lshl_b64 s[0:1], s[2:3], 1
	v_or3_b32 v0, v0, v2, v3
	s_add_u32 s0, s4, s0
	ds_read_b128 v[2:5], v0
	ds_read_b128 v[6:9], v0 offset:128
	ds_read_b128 v[10:13], v0 offset:256
	s_addc_u32 s1, s5, s1
	v_or_b32_e32 v16, s48, v1
	v_lshl_add_u64 v[0:1], s[0:1], 0, v[26:27]
	v_mad_u64_u32 v[14:15], s[0:1], v16, s6, 0
	v_lshl_add_u64 v[14:15], v[14:15], 1, v[0:1]
	s_waitcnt lgkmcnt(2)
	global_store_dwordx4 v[14:15], v[2:5], off
	s_nop 1
	v_add_u32_e32 v2, 4, v16
	v_mad_u64_u32 v[2:3], s[0:1], v2, s6, 0
	v_lshl_add_u64 v[2:3], v[2:3], 1, v[0:1]
	s_waitcnt lgkmcnt(1)
	global_store_dwordx4 v[2:3], v[6:9], off
	v_add_u32_e32 v2, 8, v16
	v_mad_u64_u32 v[2:3], s[0:1], v2, s6, 0
	v_lshl_add_u64 v[0:1], v[2:3], 1, v[0:1]
	s_waitcnt lgkmcnt(0)
	global_store_dwordx4 v[0:1], v[10:13], off
.LBB919_17:
	s_endpgm
	.section	.rodata,"a",@progbits
	.p2align	6, 0x0
	.amdhsa_kernel _Z39paged_attention_ll4mi_QKV_mfma16_kernelIDF16_hLN4vllm18Fp8KVCacheDataTypeE1EDF16_Li32ELi64ELi256ELb0ELi12EEvPKT_PKT0_S7_ifPKiS9_S9_iPKfiiiPfSC_PS2_PT2_iSB_SB_
		.amdhsa_group_segment_fixed_size 8192
		.amdhsa_private_segment_fixed_size 0
		.amdhsa_kernarg_size 400
		.amdhsa_user_sgpr_count 2
		.amdhsa_user_sgpr_dispatch_ptr 0
		.amdhsa_user_sgpr_queue_ptr 0
		.amdhsa_user_sgpr_kernarg_segment_ptr 1
		.amdhsa_user_sgpr_dispatch_id 0
		.amdhsa_user_sgpr_kernarg_preload_length 0
		.amdhsa_user_sgpr_kernarg_preload_offset 0
		.amdhsa_user_sgpr_private_segment_size 0
		.amdhsa_uses_dynamic_stack 0
		.amdhsa_enable_private_segment 0
		.amdhsa_system_sgpr_workgroup_id_x 1
		.amdhsa_system_sgpr_workgroup_id_y 1
		.amdhsa_system_sgpr_workgroup_id_z 1
		.amdhsa_system_sgpr_workgroup_info 0
		.amdhsa_system_vgpr_workitem_id 0
		.amdhsa_next_free_vgpr 54
		.amdhsa_next_free_sgpr 50
		.amdhsa_accum_offset 56
		.amdhsa_reserve_vcc 1
		.amdhsa_float_round_mode_32 0
		.amdhsa_float_round_mode_16_64 0
		.amdhsa_float_denorm_mode_32 3
		.amdhsa_float_denorm_mode_16_64 3
		.amdhsa_dx10_clamp 1
		.amdhsa_ieee_mode 1
		.amdhsa_fp16_overflow 0
		.amdhsa_tg_split 0
		.amdhsa_exception_fp_ieee_invalid_op 0
		.amdhsa_exception_fp_denorm_src 0
		.amdhsa_exception_fp_ieee_div_zero 0
		.amdhsa_exception_fp_ieee_overflow 0
		.amdhsa_exception_fp_ieee_underflow 0
		.amdhsa_exception_fp_ieee_inexact 0
		.amdhsa_exception_int_div_zero 0
	.end_amdhsa_kernel
	.section	.text._Z39paged_attention_ll4mi_QKV_mfma16_kernelIDF16_hLN4vllm18Fp8KVCacheDataTypeE1EDF16_Li32ELi64ELi256ELb0ELi12EEvPKT_PKT0_S7_ifPKiS9_S9_iPKfiiiPfSC_PS2_PT2_iSB_SB_,"axG",@progbits,_Z39paged_attention_ll4mi_QKV_mfma16_kernelIDF16_hLN4vllm18Fp8KVCacheDataTypeE1EDF16_Li32ELi64ELi256ELb0ELi12EEvPKT_PKT0_S7_ifPKiS9_S9_iPKfiiiPfSC_PS2_PT2_iSB_SB_,comdat
.Lfunc_end919:
	.size	_Z39paged_attention_ll4mi_QKV_mfma16_kernelIDF16_hLN4vllm18Fp8KVCacheDataTypeE1EDF16_Li32ELi64ELi256ELb0ELi12EEvPKT_PKT0_S7_ifPKiS9_S9_iPKfiiiPfSC_PS2_PT2_iSB_SB_, .Lfunc_end919-_Z39paged_attention_ll4mi_QKV_mfma16_kernelIDF16_hLN4vllm18Fp8KVCacheDataTypeE1EDF16_Li32ELi64ELi256ELb0ELi12EEvPKT_PKT0_S7_ifPKiS9_S9_iPKfiiiPfSC_PS2_PT2_iSB_SB_
                                        ; -- End function
	.section	.AMDGPU.csdata,"",@progbits
; Kernel info:
; codeLenInByte = 4696
; NumSgprs: 56
; NumVgprs: 54
; NumAgprs: 0
; TotalNumVgprs: 54
; ScratchSize: 0
; MemoryBound: 0
; FloatMode: 240
; IeeeMode: 1
; LDSByteSize: 8192 bytes/workgroup (compile time only)
; SGPRBlocks: 6
; VGPRBlocks: 6
; NumSGPRsForWavesPerEU: 56
; NumVGPRsForWavesPerEU: 54
; AccumOffset: 56
; Occupancy: 8
; WaveLimiterHint : 1
; COMPUTE_PGM_RSRC2:SCRATCH_EN: 0
; COMPUTE_PGM_RSRC2:USER_SGPR: 2
; COMPUTE_PGM_RSRC2:TRAP_HANDLER: 0
; COMPUTE_PGM_RSRC2:TGID_X_EN: 1
; COMPUTE_PGM_RSRC2:TGID_Y_EN: 1
; COMPUTE_PGM_RSRC2:TGID_Z_EN: 1
; COMPUTE_PGM_RSRC2:TIDIG_COMP_CNT: 0
; COMPUTE_PGM_RSRC3_GFX90A:ACCUM_OFFSET: 13
; COMPUTE_PGM_RSRC3_GFX90A:TG_SPLIT: 0
	.section	.text._Z39paged_attention_ll4mi_QKV_mfma16_kernelIDF16_hLN4vllm18Fp8KVCacheDataTypeE1EDF16_Li32ELi64ELi256ELb0ELi13EEvPKT_PKT0_S7_ifPKiS9_S9_iPKfiiiPfSC_PS2_PT2_iSB_SB_,"axG",@progbits,_Z39paged_attention_ll4mi_QKV_mfma16_kernelIDF16_hLN4vllm18Fp8KVCacheDataTypeE1EDF16_Li32ELi64ELi256ELb0ELi13EEvPKT_PKT0_S7_ifPKiS9_S9_iPKfiiiPfSC_PS2_PT2_iSB_SB_,comdat
	.protected	_Z39paged_attention_ll4mi_QKV_mfma16_kernelIDF16_hLN4vllm18Fp8KVCacheDataTypeE1EDF16_Li32ELi64ELi256ELb0ELi13EEvPKT_PKT0_S7_ifPKiS9_S9_iPKfiiiPfSC_PS2_PT2_iSB_SB_ ; -- Begin function _Z39paged_attention_ll4mi_QKV_mfma16_kernelIDF16_hLN4vllm18Fp8KVCacheDataTypeE1EDF16_Li32ELi64ELi256ELb0ELi13EEvPKT_PKT0_S7_ifPKiS9_S9_iPKfiiiPfSC_PS2_PT2_iSB_SB_
	.globl	_Z39paged_attention_ll4mi_QKV_mfma16_kernelIDF16_hLN4vllm18Fp8KVCacheDataTypeE1EDF16_Li32ELi64ELi256ELb0ELi13EEvPKT_PKT0_S7_ifPKiS9_S9_iPKfiiiPfSC_PS2_PT2_iSB_SB_
	.p2align	8
	.type	_Z39paged_attention_ll4mi_QKV_mfma16_kernelIDF16_hLN4vllm18Fp8KVCacheDataTypeE1EDF16_Li32ELi64ELi256ELb0ELi13EEvPKT_PKT0_S7_ifPKiS9_S9_iPKfiiiPfSC_PS2_PT2_iSB_SB_,@function
_Z39paged_attention_ll4mi_QKV_mfma16_kernelIDF16_hLN4vllm18Fp8KVCacheDataTypeE1EDF16_Li32ELi64ELi256ELb0ELi13EEvPKT_PKT0_S7_ifPKiS9_S9_iPKfiiiPfSC_PS2_PT2_iSB_SB_: ; @_Z39paged_attention_ll4mi_QKV_mfma16_kernelIDF16_hLN4vllm18Fp8KVCacheDataTypeE1EDF16_Li32ELi64ELi256ELb0ELi13EEvPKT_PKT0_S7_ifPKiS9_S9_iPKfiiiPfSC_PS2_PT2_iSB_SB_
; %bb.0:
	s_load_dwordx2 s[12:13], s[0:1], 0x30
	s_mov_b32 s28, s3
	s_mov_b64 s[6:7], 0
	s_waitcnt lgkmcnt(0)
	s_cmp_lg_u64 s[12:13], 0
	s_cselect_b64 s[14:15], -1, 0
	s_and_b64 vcc, exec, s[14:15]
	s_cbranch_vccz .LBB920_7
; %bb.1:
	s_add_i32 s8, s2, 1
	s_mov_b32 s9, 0
	s_lshl_b64 s[10:11], s[8:9], 2
	s_add_u32 s10, s12, s10
	s_mov_b32 s3, s9
	s_addc_u32 s11, s13, s11
	s_lshl_b64 s[8:9], s[2:3], 2
	s_add_u32 s8, s12, s8
	s_addc_u32 s9, s13, s9
	s_load_dword s5, s[10:11], 0x0
	s_load_dword s16, s[8:9], 0x0
	s_waitcnt lgkmcnt(0)
	s_sub_i32 s5, s5, s16
	s_cmp_eq_u32 s5, 1
	s_cselect_b64 s[8:9], -1, 0
	s_andn2_b64 vcc, exec, s[6:7]
	s_cbranch_vccnz .LBB920_3
.LBB920_2:
	s_mov_b32 s3, 0
	s_mov_b64 s[8:9], -1
.LBB920_3:
	s_andn2_b64 vcc, exec, s[8:9]
	s_cbranch_vccnz .LBB920_18
; %bb.4:
	s_load_dwordx2 s[6:7], s[0:1], 0x28
	s_lshl_b64 s[16:17], s[2:3], 2
	s_waitcnt lgkmcnt(0)
	s_add_u32 s6, s6, s16
	s_addc_u32 s7, s7, s17
	s_load_dword s33, s[6:7], 0x0
	s_lshl_b32 s5, s28, 8
	s_waitcnt lgkmcnt(0)
	s_cmp_ge_i32 s5, s33
	s_cbranch_scc1 .LBB920_18
; %bb.5:
	s_load_dwordx2 s[6:7], s[0:1], 0x20
	s_load_dword s8, s[0:1], 0x38
	s_add_i32 s9, s33, 31
	s_ashr_i32 s10, s9, 31
	v_and_b32_e32 v1, 0xcf, v0
	s_lshr_b32 s10, s10, 27
	v_add_u32_e32 v1, s5, v1
	s_add_i32 s9, s9, s10
	v_ashrrev_i32_e32 v2, 31, v1
	s_ashr_i32 s18, s9, 5
	v_lshrrev_b32_e32 v4, 27, v2
	s_add_i32 s18, s18, -1
	s_waitcnt lgkmcnt(0)
	s_mul_i32 s8, s2, s8
	s_mov_b32 s9, 0
	v_add_u32_e32 v2, v1, v4
	s_lshl_b64 s[8:9], s[8:9], 2
	v_ashrrev_i32_e32 v2, 5, v2
	v_mov_b32_e32 v5, s18
	v_cmp_gt_i32_e32 vcc, s33, v1
	s_add_u32 s6, s6, s8
	s_addc_u32 s7, s7, s9
	v_cndmask_b32_e32 v2, v5, v2, vcc
	v_ashrrev_i32_e32 v3, 31, v2
	v_lshl_add_u64 v[6:7], v[2:3], 2, s[6:7]
	v_or_b32_e32 v2, 16, v1
	v_add_u32_e32 v3, v2, v4
	v_ashrrev_i32_e32 v3, 5, v3
	v_cmp_gt_i32_e32 vcc, s33, v2
	s_load_dwordx4 s[8:11], s[0:1], 0x8
	s_nop 0
	v_cndmask_b32_e32 v2, v5, v3, vcc
	v_ashrrev_i32_e32 v3, 31, v2
	v_lshl_add_u64 v[8:9], v[2:3], 2, s[6:7]
	v_or_b32_e32 v2, 32, v1
	v_add_u32_e32 v3, v2, v4
	v_ashrrev_i32_e32 v3, 5, v3
	v_cmp_gt_i32_e32 vcc, s33, v2
	v_or_b32_e32 v1, 48, v1
	s_nop 0
	v_cndmask_b32_e32 v2, v5, v3, vcc
	v_ashrrev_i32_e32 v3, 31, v2
	v_lshl_add_u64 v[10:11], v[2:3], 2, s[6:7]
	v_add_u32_e32 v2, v1, v4
	v_ashrrev_i32_e32 v2, 5, v2
	v_cmp_gt_i32_e32 vcc, s33, v1
	s_nop 1
	v_cndmask_b32_e32 v2, v5, v2, vcc
	v_ashrrev_i32_e32 v3, 31, v2
	v_lshl_add_u64 v[14:15], v[2:3], 2, s[6:7]
	global_load_dword v2, v[6:7], off
	global_load_dword v5, v[8:9], off
	;; [unrolled: 1-line block ×4, first 2 shown]
	s_andn2_b64 vcc, exec, s[14:15]
	s_cbranch_vccnz .LBB920_8
; %bb.6:
	s_add_u32 s12, s12, s16
	s_addc_u32 s13, s13, s17
	s_load_dword s14, s[12:13], 0x0
	s_branch .LBB920_9
.LBB920_7:
	s_mov_b64 s[8:9], 0
	s_branch .LBB920_2
.LBB920_8:
	s_mov_b32 s14, s2
.LBB920_9:
	s_load_dwordx4 s[44:47], s[0:1], 0x48
	v_lshrrev_b32_e32 v29, 6, v0
	v_bfe_u32 v42, v0, 4, 2
	v_lshl_or_b32 v3, v29, 2, v42
	v_and_b32_e32 v28, 15, v0
	v_lshlrev_b32_e32 v1, 3, v28
	v_cmp_gt_u32_e32 vcc, 13, v3
	v_cmp_gt_u32_e64 s[30:31], 8, v28
	v_and_b32_e32 v43, 63, v0
	s_mul_i32 s48, s4, 13
	s_and_b64 s[16:17], s[30:31], vcc
	v_lshlrev_b32_e32 v26, 1, v1
	v_lshlrev_b32_e32 v1, 4, v0
	s_and_saveexec_b64 s[12:13], s[16:17]
	s_cbranch_execz .LBB920_11
; %bb.10:
	s_load_dwordx2 s[16:17], s[0:1], 0x0
	s_waitcnt lgkmcnt(0)
	s_ashr_i32 s15, s44, 31
	s_mul_hi_u32 s19, s14, s44
	s_mul_i32 s15, s14, s15
	s_add_i32 s15, s19, s15
	s_mul_i32 s14, s14, s44
	s_lshl_b64 s[14:15], s[14:15], 1
	s_add_u32 s14, s16, s14
	v_add_lshl_u32 v6, v3, s48, 6
	s_addc_u32 s15, s17, s15
	v_ashrrev_i32_e32 v7, 31, v6
	v_lshl_add_u64 v[6:7], v[6:7], 1, s[14:15]
	v_mov_b32_e32 v27, 0
	v_lshl_add_u64 v[6:7], v[6:7], 0, v[26:27]
	global_load_dwordx4 v[6:9], v[6:7], off
	v_lshlrev_b32_e32 v11, 8, v28
	v_lshlrev_b32_e32 v3, 5, v3
	v_and_b32_e32 v10, 16, v1
	v_and_b32_e32 v11, 0xe00, v11
	v_or3_b32 v3, v11, v3, v10
	s_waitcnt vmcnt(0)
	ds_write_b128 v3, v[6:9]
.LBB920_11:
	s_or_b64 exec, exec, s[12:13]
	s_waitcnt lgkmcnt(0)
	s_mul_i32 s4, s4, s46
	s_add_u32 s8, s8, s4
	s_addc_u32 s9, s9, 0
	v_mov_b32_e32 v31, 0
	v_mov_b64_e32 v[10:11], s[8:9]
	v_and_b32_e32 v8, 48, v0
	s_waitcnt vmcnt(3)
	v_mad_i64_i32 v[6:7], s[8:9], v2, s45, v[10:11]
	v_lshlrev_b32_e32 v2, 4, v28
	v_mov_b32_e32 v3, v31
	v_lshlrev_b32_e32 v30, 5, v8
	v_lshl_add_u64 v[6:7], v[6:7], 0, v[2:3]
	v_lshl_add_u64 v[6:7], v[6:7], 0, v[30:31]
	s_load_dword s29, s[0:1], 0x98
	s_load_dwordx4 s[40:43], s[0:1], 0x80
	s_waitcnt lgkmcnt(0)
	s_barrier
	global_load_dwordx4 v[14:17], v[6:7], off
	s_waitcnt vmcnt(3)
	v_mad_i64_i32 v[6:7], s[8:9], v5, s45, v[10:11]
	v_or_b32_e32 v32, 0x100, v2
	v_mov_b32_e32 v33, v31
	v_lshl_add_u64 v[6:7], v[6:7], 0, v[32:33]
	v_lshl_add_u64 v[6:7], v[6:7], 0, v[30:31]
	global_load_dwordx4 v[18:21], v[6:7], off
	s_ashr_i32 s8, s5, 31
	v_or_b32_e32 v5, s5, v8
	s_lshr_b32 s12, s8, 27
	v_add_u32_e32 v8, s12, v5
	v_cmp_gt_i32_e32 vcc, s33, v5
	v_or_b32_e32 v34, 64, v5
	v_or_b32_e32 v35, 0x80, v5
	;; [unrolled: 1-line block ×3, first 2 shown]
	s_waitcnt vmcnt(3)
	v_mad_i64_i32 v[4:5], s[8:9], v4, s45, v[10:11]
	v_lshl_add_u64 v[2:3], v[4:5], 0, v[2:3]
	v_lshl_add_u64 v[2:3], v[2:3], 0, v[30:31]
	global_load_dwordx4 v[22:25], v[2:3], off
	v_ashrrev_i32_e32 v8, 5, v8
	v_mov_b32_e32 v13, s18
	v_cndmask_b32_e32 v8, v13, v8, vcc
	v_ashrrev_i32_e32 v9, 31, v8
	v_add_u32_e32 v6, -13, v28
	v_cmp_gt_u32_e32 vcc, 13, v28
	s_waitcnt vmcnt(3)
	v_mad_i64_i32 v[10:11], s[8:9], v12, s45, v[10:11]
	v_add_u32_e32 v12, s12, v34
	v_lshl_add_u64 v[8:9], v[8:9], 2, s[6:7]
	v_cndmask_b32_e32 v6, v6, v28, vcc
	v_add_u32_e32 v37, s12, v35
	v_ashrrev_i32_e32 v12, 5, v12
	v_cmp_gt_i32_e32 vcc, s33, v34
	global_load_dword v45, v[8:9], off
	v_lshlrev_b32_e32 v6, 5, v6
	v_add_u32_e32 v38, s12, v36
	v_lshl_add_u64 v[10:11], v[10:11], 0, v[32:33]
	v_ashrrev_i32_e32 v33, 5, v37
	v_cndmask_b32_e32 v32, v13, v12, vcc
	v_cmp_gt_i32_e32 vcc, s33, v35
	v_lshl_add_u32 v2, v42, 9, v6
	v_ashrrev_i32_e32 v37, 5, v38
	v_lshl_add_u64 v[10:11], v[10:11], 0, v[30:31]
	v_cndmask_b32_e32 v34, v13, v33, vcc
	v_cmp_gt_i32_e32 vcc, s33, v36
	ds_read_b128 v[6:9], v2
	ds_read_b128 v[2:5], v2 offset:16
	v_cndmask_b32_e32 v36, v13, v37, vcc
	global_load_dwordx4 v[10:13], v[10:11], off
	v_ashrrev_i32_e32 v33, 31, v32
	v_ashrrev_i32_e32 v37, 31, v36
	;; [unrolled: 1-line block ×3, first 2 shown]
	v_lshl_add_u64 v[32:33], v[32:33], 2, s[6:7]
	v_lshl_add_u64 v[36:37], v[36:37], 2, s[6:7]
	;; [unrolled: 1-line block ×3, first 2 shown]
	global_load_dword v44, v[32:33], off
	global_load_dword v34, v[40:41], off
	;; [unrolled: 1-line block ×3, first 2 shown]
	s_add_u32 s8, s10, s4
	v_lshlrev_b32_e32 v27, 5, v28
	s_addc_u32 s9, s11, 0
	v_and_b32_e32 v30, 16, v0
	v_lshl_add_u64 v[38:39], s[8:9], 0, v[30:31]
	v_lshl_or_b32 v30, v29, 9, v27
	v_lshl_add_u64 v[30:31], v[38:39], 0, v[30:31]
	s_load_dword s13, s[0:1], 0x1c
	s_load_dword s4, s[40:41], 0x0
	s_mov_b32 s44, 0xff7fffff
	s_waitcnt vmcnt(7)
	v_cvt_pk_f32_fp8_e32 v[32:33], v14
	v_cvt_pk_f32_fp8_sdwa v[36:37], v14 src0_sel:WORD_1
	v_cvt_pk_f32_fp8_e32 v[38:39], v15
	v_cvt_pk_f32_fp8_sdwa v[14:15], v15 src0_sel:WORD_1
	v_cvt_pkrtz_f16_f32 v32, v32, v33
	v_cvt_pkrtz_f16_f32 v33, v36, v37
	v_cvt_pk_f32_fp8_e32 v[40:41], v16
	v_cvt_pk_f32_fp8_sdwa v[46:47], v16 src0_sel:WORD_1
	v_cvt_pkrtz_f16_f32 v48, v38, v39
	v_cvt_pkrtz_f16_f32 v49, v14, v15
	s_waitcnt lgkmcnt(0)
	v_mfma_f32_16x16x16_f16 v[36:39], v[32:33], v[6:7], 0
	v_cvt_pk_f32_fp8_e32 v[32:33], v17
	v_cvt_pkrtz_f16_f32 v40, v40, v41
	v_cvt_pkrtz_f16_f32 v41, v46, v47
	v_cvt_pk_f32_fp8_sdwa v[16:17], v17 src0_sel:WORD_1
	v_mfma_f32_16x16x16_f16 v[36:39], v[48:49], v[8:9], v[36:39]
	v_cvt_pkrtz_f16_f32 v32, v32, v33
	s_waitcnt vmcnt(6)
	v_cvt_pk_f32_fp8_sdwa v[46:47], v20 src0_sel:WORD_1
	v_cvt_pkrtz_f16_f32 v33, v16, v17
	v_mfma_f32_16x16x16_f16 v[36:39], v[40:41], v[2:3], v[36:39]
	v_cvt_pk_f32_fp8_e32 v[16:17], v18
	v_cvt_pk_f32_fp8_sdwa v[40:41], v18 src0_sel:WORD_1
	s_waitcnt vmcnt(5)
	v_cvt_pk_f32_fp8_e32 v[52:53], v25
	v_mfma_f32_16x16x16_f16 v[36:39], v[32:33], v[4:5], v[36:39]
	v_cvt_pk_f32_fp8_e32 v[32:33], v19
	v_cvt_pkrtz_f16_f32 v16, v16, v17
	v_cvt_pkrtz_f16_f32 v17, v40, v41
	v_cvt_pk_f32_fp8_sdwa v[18:19], v19 src0_sel:WORD_1
	v_cvt_pkrtz_f16_f32 v32, v32, v33
	v_cvt_pk_f32_fp8_e32 v[40:41], v20
	v_cvt_pkrtz_f16_f32 v33, v18, v19
	v_mfma_f32_16x16x16_f16 v[16:19], v[16:17], v[6:7], 0
	v_cvt_pkrtz_f16_f32 v40, v40, v41
	v_cvt_pkrtz_f16_f32 v41, v46, v47
	v_cvt_pk_f32_fp8_e32 v[46:47], v21
	v_cvt_pk_f32_fp8_sdwa v[20:21], v21 src0_sel:WORD_1
	v_mfma_f32_16x16x16_f16 v[16:19], v[32:33], v[8:9], v[16:19]
	s_waitcnt vmcnt(4)
	v_mad_i64_i32 v[14:15], s[6:7], v45, s45, v[30:31]
	v_cvt_pkrtz_f16_f32 v32, v46, v47
	v_cvt_pkrtz_f16_f32 v33, v20, v21
	v_mfma_f32_16x16x16_f16 v[16:19], v[40:41], v[2:3], v[16:19]
	v_cvt_pk_f32_fp8_e32 v[20:21], v22
	v_cvt_pk_f32_fp8_sdwa v[40:41], v22 src0_sel:WORD_1
	v_cvt_pk_f32_fp8_sdwa v[46:47], v24 src0_sel:WORD_1
	v_mfma_f32_16x16x16_f16 v[16:19], v[32:33], v[4:5], v[16:19]
	v_cvt_pk_f32_fp8_e32 v[32:33], v23
	v_cvt_pkrtz_f16_f32 v20, v20, v21
	v_cvt_pkrtz_f16_f32 v21, v40, v41
	v_cvt_pk_f32_fp8_sdwa v[22:23], v23 src0_sel:WORD_1
	v_cvt_pkrtz_f16_f32 v32, v32, v33
	v_cvt_pk_f32_fp8_e32 v[40:41], v24
	v_cvt_pk_f32_fp8_sdwa v[24:25], v25 src0_sel:WORD_1
	v_cvt_pkrtz_f16_f32 v33, v22, v23
	v_mfma_f32_16x16x16_f16 v[20:23], v[20:21], v[6:7], 0
	v_cvt_pkrtz_f16_f32 v40, v40, v41
	v_cvt_pkrtz_f16_f32 v41, v46, v47
	v_mov_b32_e32 v45, s13
	v_mfma_f32_16x16x16_f16 v[46:49], v[32:33], v[8:9], v[20:23]
	v_mul_f32_e32 v50, s4, v45
	v_cvt_pkrtz_f16_f32 v32, v52, v53
	v_cvt_pkrtz_f16_f32 v33, v24, v25
	v_pk_mul_f32 v[22:23], v[50:51], v[38:39] op_sel_hi:[0,1]
	v_mfma_f32_16x16x16_f16 v[38:41], v[40:41], v[2:3], v[46:49]
	v_pk_mul_f32 v[20:21], v[50:51], v[36:37] op_sel_hi:[0,1]
	s_waitcnt vmcnt(3)
	v_cvt_pk_f32_fp8_e32 v[24:25], v10
	v_cvt_pk_f32_fp8_sdwa v[36:37], v10 src0_sel:WORD_1
	v_mfma_f32_16x16x16_f16 v[46:49], v[32:33], v[4:5], v[38:41]
	v_cvt_pk_f32_fp8_e32 v[32:33], v11
	v_cvt_pkrtz_f16_f32 v24, v24, v25
	v_cvt_pkrtz_f16_f32 v25, v36, v37
	v_cvt_pk_f32_fp8_sdwa v[10:11], v11 src0_sel:WORD_1
	v_cvt_pkrtz_f16_f32 v32, v32, v33
	v_cvt_pk_f32_fp8_e32 v[40:41], v12
	v_cvt_pk_f32_fp8_sdwa v[52:53], v12 src0_sel:WORD_1
	v_cvt_pkrtz_f16_f32 v33, v10, v11
	v_mfma_f32_16x16x16_f16 v[36:39], v[24:25], v[6:7], 0
	v_cvt_pkrtz_f16_f32 v10, v40, v41
	v_cvt_pkrtz_f16_f32 v11, v52, v53
	v_cvt_pk_f32_fp8_e32 v[24:25], v13
	v_cvt_pk_f32_fp8_sdwa v[12:13], v13 src0_sel:WORD_1
	v_mfma_f32_16x16x16_f16 v[6:9], v[32:33], v[8:9], v[36:39]
	v_pk_mul_f32 v[40:41], v[50:51], v[16:17] op_sel_hi:[0,1]
	v_pk_mul_f32 v[32:33], v[50:51], v[48:49] op_sel_hi:[0,1]
	s_nop 0
	v_pk_mul_f32 v[36:37], v[50:51], v[18:19] op_sel_hi:[0,1]
	v_cvt_pkrtz_f16_f32 v18, v24, v25
	v_cvt_pkrtz_f16_f32 v19, v12, v13
	v_mfma_f32_16x16x16_f16 v[6:9], v[10:11], v[2:3], v[6:9]
	v_pk_mul_f32 v[38:39], v[50:51], v[46:47] op_sel_hi:[0,1]
	v_mfma_f32_16x16x16_f16 v[2:5], v[18:19], v[4:5], v[6:9]
	s_nop 6
	v_pk_mul_f32 v[24:25], v[50:51], v[2:3] op_sel_hi:[0,1]
	v_and_b32_e32 v2, 0xc0, v0
	v_add_u32_e32 v2, s5, v2
	v_lshl_or_b32 v2, v42, 2, v2
	v_pk_mul_f32 v[18:19], v[50:51], v[4:5] op_sel_hi:[0,1]
	v_or_b32_e32 v5, 1, v2
	v_mov_b32_e32 v3, 0xff7fffff
	v_cmp_gt_i32_e64 s[4:5], s33, v2
	v_cmp_gt_i32_e64 s[34:35], s33, v5
	v_or_b32_e32 v6, 3, v2
	v_cndmask_b32_e64 v4, v3, v20, s[4:5]
	v_cndmask_b32_e64 v5, v3, v21, s[34:35]
	v_max3_f32 v4, v4, s44, v5
	v_or_b32_e32 v5, 2, v2
	v_cmp_gt_i32_e64 s[36:37], s33, v5
	v_cmp_gt_i32_e64 s[38:39], s33, v6
	s_nop 0
	v_cndmask_b32_e64 v5, v3, v22, s[36:37]
	v_cndmask_b32_e64 v6, v3, v23, s[38:39]
	v_max3_f32 v4, v4, v5, v6
	v_or_b32_e32 v5, 16, v2
	v_or_b32_e32 v6, 17, v2
	v_cmp_gt_i32_e64 s[24:25], s33, v5
	v_cmp_gt_i32_e64 s[26:27], s33, v6
	s_nop 0
	v_cndmask_b32_e64 v5, v3, v40, s[24:25]
	v_cndmask_b32_e64 v6, v3, v41, s[26:27]
	v_max3_f32 v4, v4, v5, v6
	v_or_b32_e32 v5, 18, v2
	;; [unrolled: 8-line block ×6, first 2 shown]
	v_or_b32_e32 v2, 51, v2
	v_cmp_gt_i32_e32 vcc, s33, v5
	v_cmp_gt_i32_e64 s[6:7], s33, v2
	s_nop 0
	v_cndmask_b32_e32 v5, v3, v18, vcc
	v_cndmask_b32_e64 v2, v3, v19, s[6:7]
	v_max3_f32 v4, v4, v5, v2
	v_mbcnt_lo_u32_b32 v2, -1, 0
	v_mbcnt_hi_u32_b32 v5, -1, v2
	v_and_b32_e32 v2, 64, v5
	v_add_u32_e32 v6, 64, v2
	v_xor_b32_e32 v2, 32, v5
	v_cmp_lt_i32_e64 s[40:41], v2, v6
	s_nop 1
	v_cndmask_b32_e64 v2, v5, v2, s[40:41]
	v_lshlrev_b32_e32 v45, 2, v2
	ds_bpermute_b32 v7, v45, v4
	s_waitcnt vmcnt(2)
	v_mad_i64_i32 v[2:3], s[40:41], v44, s45, v[30:31]
	global_load_dwordx4 v[14:17], v[14:15], off
	s_nop 0
	global_load_dwordx4 v[10:13], v[2:3], off
	v_xor_b32_e32 v3, 16, v5
	v_cmp_lt_i32_e64 s[40:41], v3, v6
	s_waitcnt lgkmcnt(0)
	v_max_f32_e32 v2, v7, v7
	v_max_f32_e32 v2, v4, v2
	v_cndmask_b32_e64 v3, v5, v3, s[40:41]
	v_lshlrev_b32_e32 v48, 2, v3
	ds_bpermute_b32 v3, v48, v2
	s_waitcnt vmcnt(3)
	v_mad_i64_i32 v[46:47], s[40:41], v34, s45, v[30:31]
	s_waitcnt vmcnt(2)
	v_mad_i64_i32 v[30:31], s[40:41], v35, s45, v[30:31]
	s_waitcnt lgkmcnt(0)
	v_max_f32_e32 v3, v3, v3
	v_max_f32_e32 v44, v2, v3
	v_sub_f32_e32 v2, v20, v44
	v_mul_f32_e32 v2, 0x3fb8aa3b, v2
	v_exp_f32_e32 v20, v2
	v_sub_f32_e32 v2, v21, v44
	v_mul_f32_e32 v2, 0x3fb8aa3b, v2
	v_exp_f32_e32 v21, v2
	global_load_dwordx4 v[6:9], v[46:47], off
	global_load_dwordx4 v[2:5], v[30:31], off
	v_sub_f32_e32 v22, v22, v44
	v_mul_f32_e32 v22, 0x3fb8aa3b, v22
	v_sub_f32_e32 v23, v23, v44
	v_exp_f32_e32 v22, v22
	v_mul_f32_e32 v23, 0x3fb8aa3b, v23
	v_exp_f32_e32 v23, v23
	v_cndmask_b32_e64 v20, 0, v20, s[4:5]
	v_add_f32_e32 v30, 0, v20
	v_cndmask_b32_e64 v21, 0, v21, s[34:35]
	v_add_f32_e32 v30, v30, v21
	;; [unrolled: 2-line block ×3, first 2 shown]
	v_cndmask_b32_e64 v35, 0, v23, s[38:39]
	v_sub_f32_e32 v23, v40, v44
	v_sub_f32_e32 v30, v41, v44
	v_mul_f32_e32 v23, 0x3fb8aa3b, v23
	v_mul_f32_e32 v30, 0x3fb8aa3b, v30
	v_exp_f32_e32 v23, v23
	v_exp_f32_e32 v30, v30
	v_add_f32_e32 v31, v22, v35
	v_sub_f32_e32 v32, v32, v44
	v_cndmask_b32_e64 v22, 0, v23, s[24:25]
	v_cndmask_b32_e64 v23, 0, v30, s[26:27]
	v_sub_f32_e32 v30, v36, v44
	v_mul_f32_e32 v30, 0x3fb8aa3b, v30
	v_exp_f32_e32 v30, v30
	v_sub_f32_e32 v36, v37, v44
	v_add_f32_e32 v31, v31, v22
	v_mul_f32_e32 v36, 0x3fb8aa3b, v36
	v_exp_f32_e32 v37, v36
	v_add_f32_e32 v31, v31, v23
	v_cndmask_b32_e64 v36, 0, v30, s[20:21]
	v_add_f32_e32 v30, v31, v36
	v_sub_f32_e32 v31, v38, v44
	v_mul_f32_e32 v31, 0x3fb8aa3b, v31
	v_sub_f32_e32 v38, v39, v44
	v_exp_f32_e32 v31, v31
	v_mul_f32_e32 v38, 0x3fb8aa3b, v38
	v_exp_f32_e32 v38, v38
	v_mul_f32_e32 v32, 0x3fb8aa3b, v32
	v_sub_f32_e32 v33, v33, v44
	v_exp_f32_e32 v32, v32
	v_mul_f32_e32 v33, 0x3fb8aa3b, v33
	v_sub_f32_e32 v24, v24, v44
	v_cndmask_b32_e64 v37, 0, v37, s[22:23]
	v_exp_f32_e32 v33, v33
	v_mul_f32_e32 v24, 0x3fb8aa3b, v24
	v_sub_f32_e32 v25, v25, v44
	v_add_f32_e32 v39, v30, v37
	v_cndmask_b32_e64 v30, 0, v31, s[16:17]
	v_exp_f32_e32 v24, v24
	v_mul_f32_e32 v25, 0x3fb8aa3b, v25
	v_sub_f32_e32 v18, v18, v44
	v_add_f32_e32 v39, v39, v30
	;; [unrolled: 5-line block ×3, first 2 shown]
	v_cndmask_b32_e64 v32, 0, v32, s[12:13]
	v_exp_f32_e32 v18, v18
	v_mul_f32_e32 v19, 0x3fb8aa3b, v19
	v_add_f32_e32 v38, v38, v32
	v_cndmask_b32_e64 v33, 0, v33, s[14:15]
	v_exp_f32_e32 v19, v19
	v_add_f32_e32 v38, v38, v33
	v_cndmask_b32_e64 v24, 0, v24, s[8:9]
	v_add_f32_e32 v38, v38, v24
	v_cndmask_b32_e64 v25, 0, v25, s[10:11]
	v_add_f32_e32 v38, v38, v25
	v_cndmask_b32_e32 v18, 0, v18, vcc
	v_add_f32_e32 v38, v38, v18
	v_cndmask_b32_e64 v19, 0, v19, s[6:7]
	v_add_f32_e32 v38, v38, v19
	ds_bpermute_b32 v39, v45, v38
	v_cmp_gt_u32_e64 s[6:7], 16, v43
	s_waitcnt lgkmcnt(0)
	s_barrier
	v_add_f32_e32 v38, v38, v39
	ds_bpermute_b32 v40, v48, v38
	v_lshlrev_b32_e32 v39, 2, v28
	s_and_saveexec_b64 s[4:5], s[6:7]
	s_cbranch_execz .LBB920_13
; %bb.12:
	s_waitcnt lgkmcnt(0)
	v_add_f32_e32 v38, v38, v40
	v_lshl_or_b32 v40, v29, 6, v39
	ds_write2st64_b32 v40, v44, v38 offset1:1
.LBB920_13:
	s_or_b64 exec, exec, s[4:5]
	s_load_dword s8, s[0:1], 0x94
	s_waitcnt lgkmcnt(0)
	s_barrier
	ds_read2_b32 v[40:41], v39 offset1:16
	ds_read2_b32 v[44:45], v39 offset0:32 offset1:48
	ds_read2_b32 v[46:47], v39 offset0:64 offset1:80
	s_mul_i32 s9, s29, 13
	s_waitcnt lgkmcnt(2)
	v_max3_f32 v38, v40, s44, v41
	s_waitcnt lgkmcnt(1)
	v_max3_f32 v38, v38, v44, v45
	v_sub_f32_e32 v40, v40, v38
	v_mul_f32_e32 v40, 0x3fb8aa3b, v40
	v_exp_f32_e32 v43, v40
	v_sub_f32_e32 v40, v41, v38
	v_mul_f32_e32 v40, 0x3fb8aa3b, v40
	v_exp_f32_e32 v48, v40
	;; [unrolled: 3-line block ×3, first 2 shown]
	ds_read2_b32 v[40:41], v39 offset0:96 offset1:112
	v_sub_f32_e32 v39, v45, v38
	v_mul_f32_e32 v39, 0x3fb8aa3b, v39
	v_exp_f32_e32 v45, v39
	s_waitcnt lgkmcnt(1)
	v_fma_f32 v39, v43, v46, 0
	v_fmac_f32_e32 v39, v48, v47
	s_waitcnt lgkmcnt(0)
	v_fmac_f32_e32 v39, v44, v40
	v_fmac_f32_e32 v39, v45, v41
	v_add_f32_e32 v40, 0x358637bd, v39
	v_div_scale_f32 v41, s[4:5], v40, v40, 1.0
	v_rcp_f32_e32 v46, v41
	s_barrier
	v_fma_f32 v47, -v41, v46, 1.0
	v_fmac_f32_e32 v46, v47, v46
	v_div_scale_f32 v47, vcc, 1.0, v40, 1.0
	v_mul_f32_e32 v49, v47, v46
	v_fma_f32 v50, -v41, v49, v47
	v_fmac_f32_e32 v49, v50, v46
	v_fma_f32 v41, -v41, v49, v47
	v_div_fmas_f32 v41, v41, v46, v49
	v_cmp_eq_u32_e32 vcc, 1, v29
	v_div_fixup_f32 v40, v41, v40, 1.0
	s_nop 0
	v_cndmask_b32_e32 v41, v43, v48, vcc
	v_cmp_eq_u32_e32 vcc, 2, v29
	s_nop 1
	v_cndmask_b32_e32 v41, v41, v44, vcc
	v_cmp_eq_u32_e32 vcc, 3, v29
	s_nop 1
	v_cndmask_b32_e32 v41, v41, v45, vcc
	v_mul_f32_e32 v40, v41, v40
	v_pk_mul_f32 v[34:35], v[40:41], v[34:35] op_sel_hi:[0,1]
	v_pk_mul_f32 v[20:21], v[40:41], v[20:21] op_sel_hi:[0,1]
	v_cvt_f16_f32_e32 v41, v34
	v_cvt_f16_f32_e32 v35, v35
	;; [unrolled: 1-line block ×4, first 2 shown]
	v_cmp_gt_u32_e32 vcc, 13, v0
	v_pack_b32_f16 v35, v41, v35
	v_lshlrev_b32_e32 v41, 3, v42
	v_pack_b32_f16 v34, v20, v21
	v_pk_mul_f32 v[20:21], v[40:41], v[36:37] op_sel_hi:[0,1]
	v_pk_mul_f32 v[22:23], v[40:41], v[22:23] op_sel_hi:[0,1]
	v_cvt_f16_f32_e32 v22, v22
	v_cvt_f16_f32_e32 v23, v23
	;; [unrolled: 1-line block ×4, first 2 shown]
	v_lshlrev_b32_e32 v20, 11, v29
	v_or3_b32 v20, v20, v27, v41
	v_pack_b32_f16 v22, v22, v23
	v_pack_b32_f16 v23, v36, v21
	ds_write2st64_b64 v20, v[34:35], v[22:23] offset1:1
	v_pk_mul_f32 v[22:23], v[40:41], v[32:33] op_sel_hi:[0,1]
	v_pk_mul_f32 v[30:31], v[40:41], v[30:31] op_sel_hi:[0,1]
	v_cvt_f16_f32_e32 v21, v30
	v_cvt_f16_f32_e32 v29, v31
	;; [unrolled: 1-line block ×4, first 2 shown]
	v_pk_mul_f32 v[18:19], v[40:41], v[18:19] op_sel_hi:[0,1]
	v_pk_mul_f32 v[22:23], v[40:41], v[24:25] op_sel_hi:[0,1]
	v_cvt_f16_f32_e32 v22, v22
	v_cvt_f16_f32_e32 v23, v23
	;; [unrolled: 1-line block ×4, first 2 shown]
	v_pack_b32_f16 v18, v21, v29
	v_pack_b32_f16 v19, v30, v31
	;; [unrolled: 1-line block ×4, first 2 shown]
	ds_write2st64_b64 v20, v[18:19], v[22:23] offset0:2 offset1:3
	s_and_saveexec_b64 s[4:5], vcc
	s_cbranch_execz .LBB920_15
; %bb.14:
	s_mov_b32 s49, 0
	v_mov_b32_e32 v29, 0
	v_lshl_add_u64 v[18:19], s[48:49], 0, v[28:29]
	v_mov_b32_e32 v21, s9
	v_mad_u64_u32 v[18:19], s[10:11], s2, v21, v[18:19]
	s_mul_i32 s3, s3, s9
	v_mov_b32_e32 v28, s28
	s_load_dwordx4 s[12:15], s[0:1], 0x58
	v_add_u32_e32 v21, s3, v19
	v_mad_u64_u32 v[18:19], s[10:11], v18, s8, v[28:29]
	v_mov_b32_e32 v22, v19
	v_mad_u64_u32 v[22:23], s[10:11], v21, s8, v[22:23]
	v_mov_b32_e32 v19, v22
	v_lshlrev_b64 v[18:19], 2, v[18:19]
	s_waitcnt lgkmcnt(0)
	v_lshl_add_u64 v[22:23], s[14:15], 0, v[18:19]
	v_lshl_add_u64 v[18:19], s[12:13], 0, v[18:19]
	global_store_dword v[22:23], v38, off
	global_store_dword v[18:19], v39, off
.LBB920_15:
	s_or_b64 exec, exec, s[4:5]
	s_waitcnt vmcnt(3)
	v_cvt_pk_f32_fp8_e32 v[18:19], v14
	v_cvt_pk_f32_fp8_sdwa v[22:23], v14 src0_sel:WORD_1
	v_cvt_pk_f32_fp8_e32 v[24:25], v15
	v_lshl_or_b32 v14, v42, 9, v27
	s_waitcnt lgkmcnt(0)
	s_barrier
	v_cvt_pkrtz_f16_f32 v18, v18, v19
	v_cvt_pkrtz_f16_f32 v19, v22, v23
	v_cvt_pk_f32_fp8_sdwa v[28:29], v15 src0_sel:WORD_1
	v_cvt_pkrtz_f16_f32 v36, v24, v25
	ds_read_b128 v[22:25], v14
	v_cvt_pk_f32_fp8_e32 v[38:39], v16
	v_cvt_pkrtz_f16_f32 v37, v28, v29
	ds_read_b128 v[28:31], v14 offset:16
	v_cvt_pk_f32_fp8_sdwa v[40:41], v16 src0_sel:WORD_1
	s_waitcnt lgkmcnt(1)
	v_mfma_f32_16x16x16_f16 v[32:35], v[18:19], v[22:23], 0
	v_cvt_pkrtz_f16_f32 v18, v38, v39
	v_cvt_pk_f32_fp8_e32 v[38:39], v17
	v_cvt_pkrtz_f16_f32 v19, v40, v41
	v_mfma_f32_16x16x16_f16 v[22:25], v[36:37], v[24:25], v[32:35]
	s_waitcnt vmcnt(2)
	v_cvt_pk_f32_fp8_sdwa v[36:37], v12 src0_sel:WORD_1
	s_load_dword s4, s[42:43], 0x0
	v_cmp_gt_u32_e32 vcc, 64, v0
	v_cvt_pk_f32_fp8_sdwa v[32:33], v17 src0_sel:WORD_1
	v_cvt_pkrtz_f16_f32 v34, v38, v39
	s_waitcnt lgkmcnt(0)
	v_mfma_f32_16x16x16_f16 v[16:19], v[18:19], v[28:29], v[22:25]
	v_cvt_pk_f32_fp8_e32 v[28:29], v11
	v_cvt_pkrtz_f16_f32 v35, v32, v33
	s_mov_b32 s3, 0
	v_cvt_pk_f32_fp8_e32 v[22:23], v10
	v_cvt_pk_f32_fp8_sdwa v[24:25], v10 src0_sel:WORD_1
	v_mfma_f32_16x16x16_f16 v[16:19], v[34:35], v[30:31], v[16:19]
	v_cvt_pkrtz_f16_f32 v10, v22, v23
	v_cvt_pk_f32_fp8_sdwa v[30:31], v11 src0_sel:WORD_1
	v_cvt_pkrtz_f16_f32 v11, v24, v25
	ds_read_b128 v[22:25], v14 offset:2048
	v_cvt_pkrtz_f16_f32 v32, v28, v29
	v_cvt_pkrtz_f16_f32 v33, v30, v31
	ds_read_b128 v[28:31], v14 offset:2064
	v_cvt_pk_f32_fp8_e32 v[34:35], v12
	s_waitcnt lgkmcnt(1)
	v_mfma_f32_16x16x16_f16 v[16:19], v[10:11], v[22:23], v[16:19]
	v_cvt_pkrtz_f16_f32 v11, v36, v37
	v_cvt_pk_f32_fp8_e32 v[22:23], v13
	v_cvt_pkrtz_f16_f32 v10, v34, v35
	v_mfma_f32_16x16x16_f16 v[16:19], v[32:33], v[24:25], v[16:19]
	v_cvt_pk_f32_fp8_sdwa v[24:25], v13 src0_sel:WORD_1
	v_cvt_pkrtz_f16_f32 v22, v22, v23
	s_waitcnt vmcnt(1)
	v_cvt_pk_f32_fp8_sdwa v[32:33], v8 src0_sel:WORD_1
	s_waitcnt lgkmcnt(0)
	v_mfma_f32_16x16x16_f16 v[10:13], v[10:11], v[28:29], v[16:19]
	v_cvt_pkrtz_f16_f32 v23, v24, v25
	v_cvt_pk_f32_fp8_sdwa v[24:25], v7 src0_sel:WORD_1
	v_mov_b32_e32 v27, 0
	v_cvt_pk_f32_fp8_e32 v[16:17], v6
	v_cvt_pk_f32_fp8_sdwa v[18:19], v6 src0_sel:WORD_1
	v_mfma_f32_16x16x16_f16 v[10:13], v[22:23], v[30:31], v[10:13]
	v_cvt_pk_f32_fp8_e32 v[22:23], v7
	v_cvt_pkrtz_f16_f32 v6, v16, v17
	v_cvt_pkrtz_f16_f32 v7, v18, v19
	ds_read_b128 v[16:19], v14 offset:4096
	v_cvt_pkrtz_f16_f32 v28, v22, v23
	v_cvt_pkrtz_f16_f32 v29, v24, v25
	ds_read_b128 v[22:25], v14 offset:4112
	v_cvt_pk_f32_fp8_e32 v[30:31], v8
	s_waitcnt lgkmcnt(1)
	v_mfma_f32_16x16x16_f16 v[10:13], v[6:7], v[16:17], v[10:13]
	v_cvt_pkrtz_f16_f32 v7, v32, v33
	v_cvt_pk_f32_fp8_e32 v[16:17], v9
	v_cvt_pkrtz_f16_f32 v6, v30, v31
	v_mfma_f32_16x16x16_f16 v[10:13], v[28:29], v[18:19], v[10:13]
	v_cvt_pk_f32_fp8_sdwa v[18:19], v9 src0_sel:WORD_1
	v_cvt_pkrtz_f16_f32 v16, v16, v17
	v_cvt_pkrtz_f16_f32 v17, v18, v19
	s_waitcnt lgkmcnt(0)
	v_mfma_f32_16x16x16_f16 v[6:9], v[6:7], v[22:23], v[10:13]
	s_waitcnt vmcnt(0)
	v_cvt_pk_f32_fp8_sdwa v[18:19], v3 src0_sel:WORD_1
	s_nop 0
	v_cvt_pkrtz_f16_f32 v23, v18, v19
	v_cvt_pk_f32_fp8_e32 v[10:11], v2
	v_cvt_pk_f32_fp8_sdwa v[12:13], v2 src0_sel:WORD_1
	v_mfma_f32_16x16x16_f16 v[6:9], v[16:17], v[24:25], v[6:9]
	v_cvt_pk_f32_fp8_e32 v[16:17], v3
	v_cvt_pkrtz_f16_f32 v2, v10, v11
	v_cvt_pkrtz_f16_f32 v3, v12, v13
	ds_read_b128 v[10:13], v14 offset:6144
	v_cvt_pkrtz_f16_f32 v22, v16, v17
	v_cvt_pk_f32_fp8_e32 v[18:19], v4
	v_cvt_pk_f32_fp8_sdwa v[24:25], v4 src0_sel:WORD_1
	s_waitcnt lgkmcnt(0)
	v_mfma_f32_16x16x16_f16 v[6:9], v[2:3], v[10:11], v[6:9]
	ds_read_b128 v[14:17], v14 offset:6160
	v_cvt_pkrtz_f16_f32 v2, v18, v19
	v_cvt_pkrtz_f16_f32 v3, v24, v25
	v_cvt_pk_f32_fp8_e32 v[10:11], v5
	v_mfma_f32_16x16x16_f16 v[6:9], v[22:23], v[12:13], v[6:9]
	v_cvt_pk_f32_fp8_sdwa v[12:13], v5 src0_sel:WORD_1
	s_waitcnt lgkmcnt(0)
	v_cvt_pkrtz_f16_f32 v10, v10, v11
	v_mfma_f32_16x16x16_f16 v[2:5], v[2:3], v[14:15], v[6:9]
	v_cvt_pkrtz_f16_f32 v11, v12, v13
	s_barrier
	s_nop 0
	v_mfma_f32_16x16x16_f16 v[2:5], v[10:11], v[16:17], v[2:5]
	s_nop 6
	v_pk_mul_f32 v[4:5], v[4:5], s[4:5] op_sel_hi:[1,0]
	v_pk_mul_f32 v[2:3], v[2:3], s[4:5] op_sel_hi:[1,0]
	v_cvt_f16_f32_e32 v4, v4
	v_cvt_f16_f32_e32 v2, v2
	;; [unrolled: 1-line block ×4, first 2 shown]
	s_and_b64 s[4:5], vcc, s[30:31]
	v_pack_b32_f16 v2, v2, v3
	v_pack_b32_f16 v3, v4, v5
	ds_write_b64 v20, v[2:3]
	s_waitcnt lgkmcnt(0)
	s_barrier
	s_and_saveexec_b64 s[10:11], s[4:5]
	s_cbranch_execz .LBB920_18
; %bb.16:
	s_load_dwordx2 s[4:5], s[0:1], 0x68
	s_lshl_b32 s0, s8, 6
	s_mul_i32 s1, s9, s2
	s_mul_hi_u32 s9, s1, s0
	s_mul_i32 s8, s1, s0
	v_lshlrev_b32_e32 v0, 10, v0
	s_lshl_b64 s[8:9], s[8:9], 1
	v_and_b32_e32 v0, 0x1800, v0
	v_lshlrev_b32_e32 v2, 5, v42
	v_and_b32_e32 v1, 16, v1
	s_waitcnt lgkmcnt(0)
	s_add_u32 s1, s4, s8
	v_or3_b32 v2, v0, v2, v1
	s_addc_u32 s4, s5, s9
	s_lshl_b32 s2, s28, 6
	ds_read_b128 v[4:7], v2 offset:256
	s_lshl_b64 s[2:3], s[2:3], 1
	ds_read_b128 v[8:11], v2 offset:128
	ds_read_b128 v[12:15], v2
	s_add_u32 s2, s1, s2
	s_addc_u32 s3, s4, s3
	v_add_u32_e32 v3, s48, v42
	v_lshl_add_u64 v[0:1], s[2:3], 0, v[26:27]
	v_mad_u64_u32 v[16:17], s[2:3], v3, s0, 0
	v_lshl_add_u64 v[16:17], v[16:17], 1, v[0:1]
	s_waitcnt lgkmcnt(0)
	global_store_dwordx4 v[16:17], v[12:15], off
	s_nop 1
	v_add_u32_e32 v12, 4, v3
	v_mad_u64_u32 v[12:13], s[2:3], v12, s0, 0
	v_lshl_add_u64 v[12:13], v[12:13], 1, v[0:1]
	v_add_u32_e32 v3, 8, v3
	global_store_dwordx4 v[12:13], v[8:11], off
	s_nop 1
	v_mad_u64_u32 v[8:9], s[2:3], v3, s0, 0
	v_lshl_add_u64 v[8:9], v[8:9], 1, v[0:1]
	global_store_dwordx4 v[8:9], v[4:7], off
	s_and_b64 exec, exec, s[6:7]
	s_cbranch_execz .LBB920_18
; %bb.17:
	ds_read_b128 v[2:5], v2 offset:384
	v_add3_u32 v6, s48, v42, 12
	v_mad_u64_u32 v[6:7], s[0:1], v6, s0, 0
	v_lshl_add_u64 v[0:1], v[6:7], 1, v[0:1]
	s_waitcnt lgkmcnt(0)
	global_store_dwordx4 v[0:1], v[2:5], off
.LBB920_18:
	s_endpgm
	.section	.rodata,"a",@progbits
	.p2align	6, 0x0
	.amdhsa_kernel _Z39paged_attention_ll4mi_QKV_mfma16_kernelIDF16_hLN4vllm18Fp8KVCacheDataTypeE1EDF16_Li32ELi64ELi256ELb0ELi13EEvPKT_PKT0_S7_ifPKiS9_S9_iPKfiiiPfSC_PS2_PT2_iSB_SB_
		.amdhsa_group_segment_fixed_size 8192
		.amdhsa_private_segment_fixed_size 0
		.amdhsa_kernarg_size 400
		.amdhsa_user_sgpr_count 2
		.amdhsa_user_sgpr_dispatch_ptr 0
		.amdhsa_user_sgpr_queue_ptr 0
		.amdhsa_user_sgpr_kernarg_segment_ptr 1
		.amdhsa_user_sgpr_dispatch_id 0
		.amdhsa_user_sgpr_kernarg_preload_length 0
		.amdhsa_user_sgpr_kernarg_preload_offset 0
		.amdhsa_user_sgpr_private_segment_size 0
		.amdhsa_uses_dynamic_stack 0
		.amdhsa_enable_private_segment 0
		.amdhsa_system_sgpr_workgroup_id_x 1
		.amdhsa_system_sgpr_workgroup_id_y 1
		.amdhsa_system_sgpr_workgroup_id_z 1
		.amdhsa_system_sgpr_workgroup_info 0
		.amdhsa_system_vgpr_workitem_id 0
		.amdhsa_next_free_vgpr 54
		.amdhsa_next_free_sgpr 50
		.amdhsa_accum_offset 56
		.amdhsa_reserve_vcc 1
		.amdhsa_float_round_mode_32 0
		.amdhsa_float_round_mode_16_64 0
		.amdhsa_float_denorm_mode_32 3
		.amdhsa_float_denorm_mode_16_64 3
		.amdhsa_dx10_clamp 1
		.amdhsa_ieee_mode 1
		.amdhsa_fp16_overflow 0
		.amdhsa_tg_split 0
		.amdhsa_exception_fp_ieee_invalid_op 0
		.amdhsa_exception_fp_denorm_src 0
		.amdhsa_exception_fp_ieee_div_zero 0
		.amdhsa_exception_fp_ieee_overflow 0
		.amdhsa_exception_fp_ieee_underflow 0
		.amdhsa_exception_fp_ieee_inexact 0
		.amdhsa_exception_int_div_zero 0
	.end_amdhsa_kernel
	.section	.text._Z39paged_attention_ll4mi_QKV_mfma16_kernelIDF16_hLN4vllm18Fp8KVCacheDataTypeE1EDF16_Li32ELi64ELi256ELb0ELi13EEvPKT_PKT0_S7_ifPKiS9_S9_iPKfiiiPfSC_PS2_PT2_iSB_SB_,"axG",@progbits,_Z39paged_attention_ll4mi_QKV_mfma16_kernelIDF16_hLN4vllm18Fp8KVCacheDataTypeE1EDF16_Li32ELi64ELi256ELb0ELi13EEvPKT_PKT0_S7_ifPKiS9_S9_iPKfiiiPfSC_PS2_PT2_iSB_SB_,comdat
.Lfunc_end920:
	.size	_Z39paged_attention_ll4mi_QKV_mfma16_kernelIDF16_hLN4vllm18Fp8KVCacheDataTypeE1EDF16_Li32ELi64ELi256ELb0ELi13EEvPKT_PKT0_S7_ifPKiS9_S9_iPKfiiiPfSC_PS2_PT2_iSB_SB_, .Lfunc_end920-_Z39paged_attention_ll4mi_QKV_mfma16_kernelIDF16_hLN4vllm18Fp8KVCacheDataTypeE1EDF16_Li32ELi64ELi256ELb0ELi13EEvPKT_PKT0_S7_ifPKiS9_S9_iPKfiiiPfSC_PS2_PT2_iSB_SB_
                                        ; -- End function
	.section	.AMDGPU.csdata,"",@progbits
; Kernel info:
; codeLenInByte = 4744
; NumSgprs: 56
; NumVgprs: 54
; NumAgprs: 0
; TotalNumVgprs: 54
; ScratchSize: 0
; MemoryBound: 0
; FloatMode: 240
; IeeeMode: 1
; LDSByteSize: 8192 bytes/workgroup (compile time only)
; SGPRBlocks: 6
; VGPRBlocks: 6
; NumSGPRsForWavesPerEU: 56
; NumVGPRsForWavesPerEU: 54
; AccumOffset: 56
; Occupancy: 8
; WaveLimiterHint : 1
; COMPUTE_PGM_RSRC2:SCRATCH_EN: 0
; COMPUTE_PGM_RSRC2:USER_SGPR: 2
; COMPUTE_PGM_RSRC2:TRAP_HANDLER: 0
; COMPUTE_PGM_RSRC2:TGID_X_EN: 1
; COMPUTE_PGM_RSRC2:TGID_Y_EN: 1
; COMPUTE_PGM_RSRC2:TGID_Z_EN: 1
; COMPUTE_PGM_RSRC2:TIDIG_COMP_CNT: 0
; COMPUTE_PGM_RSRC3_GFX90A:ACCUM_OFFSET: 13
; COMPUTE_PGM_RSRC3_GFX90A:TG_SPLIT: 0
	.section	.text._Z39paged_attention_ll4mi_QKV_mfma16_kernelIDF16_hLN4vllm18Fp8KVCacheDataTypeE1EDF16_Li32ELi64ELi256ELb0ELi14EEvPKT_PKT0_S7_ifPKiS9_S9_iPKfiiiPfSC_PS2_PT2_iSB_SB_,"axG",@progbits,_Z39paged_attention_ll4mi_QKV_mfma16_kernelIDF16_hLN4vllm18Fp8KVCacheDataTypeE1EDF16_Li32ELi64ELi256ELb0ELi14EEvPKT_PKT0_S7_ifPKiS9_S9_iPKfiiiPfSC_PS2_PT2_iSB_SB_,comdat
	.protected	_Z39paged_attention_ll4mi_QKV_mfma16_kernelIDF16_hLN4vllm18Fp8KVCacheDataTypeE1EDF16_Li32ELi64ELi256ELb0ELi14EEvPKT_PKT0_S7_ifPKiS9_S9_iPKfiiiPfSC_PS2_PT2_iSB_SB_ ; -- Begin function _Z39paged_attention_ll4mi_QKV_mfma16_kernelIDF16_hLN4vllm18Fp8KVCacheDataTypeE1EDF16_Li32ELi64ELi256ELb0ELi14EEvPKT_PKT0_S7_ifPKiS9_S9_iPKfiiiPfSC_PS2_PT2_iSB_SB_
	.globl	_Z39paged_attention_ll4mi_QKV_mfma16_kernelIDF16_hLN4vllm18Fp8KVCacheDataTypeE1EDF16_Li32ELi64ELi256ELb0ELi14EEvPKT_PKT0_S7_ifPKiS9_S9_iPKfiiiPfSC_PS2_PT2_iSB_SB_
	.p2align	8
	.type	_Z39paged_attention_ll4mi_QKV_mfma16_kernelIDF16_hLN4vllm18Fp8KVCacheDataTypeE1EDF16_Li32ELi64ELi256ELb0ELi14EEvPKT_PKT0_S7_ifPKiS9_S9_iPKfiiiPfSC_PS2_PT2_iSB_SB_,@function
_Z39paged_attention_ll4mi_QKV_mfma16_kernelIDF16_hLN4vllm18Fp8KVCacheDataTypeE1EDF16_Li32ELi64ELi256ELb0ELi14EEvPKT_PKT0_S7_ifPKiS9_S9_iPKfiiiPfSC_PS2_PT2_iSB_SB_: ; @_Z39paged_attention_ll4mi_QKV_mfma16_kernelIDF16_hLN4vllm18Fp8KVCacheDataTypeE1EDF16_Li32ELi64ELi256ELb0ELi14EEvPKT_PKT0_S7_ifPKiS9_S9_iPKfiiiPfSC_PS2_PT2_iSB_SB_
; %bb.0:
	s_load_dwordx2 s[12:13], s[0:1], 0x30
	s_mov_b32 s28, s3
	s_mov_b64 s[6:7], 0
	s_waitcnt lgkmcnt(0)
	s_cmp_lg_u64 s[12:13], 0
	s_cselect_b64 s[14:15], -1, 0
	s_and_b64 vcc, exec, s[14:15]
	s_cbranch_vccz .LBB921_7
; %bb.1:
	s_add_i32 s8, s2, 1
	s_mov_b32 s9, 0
	s_lshl_b64 s[10:11], s[8:9], 2
	s_add_u32 s10, s12, s10
	s_mov_b32 s3, s9
	s_addc_u32 s11, s13, s11
	s_lshl_b64 s[8:9], s[2:3], 2
	s_add_u32 s8, s12, s8
	s_addc_u32 s9, s13, s9
	s_load_dword s5, s[10:11], 0x0
	s_load_dword s16, s[8:9], 0x0
	s_waitcnt lgkmcnt(0)
	s_sub_i32 s5, s5, s16
	s_cmp_eq_u32 s5, 1
	s_cselect_b64 s[8:9], -1, 0
	s_andn2_b64 vcc, exec, s[6:7]
	s_cbranch_vccnz .LBB921_3
.LBB921_2:
	s_mov_b32 s3, 0
	s_mov_b64 s[8:9], -1
.LBB921_3:
	s_andn2_b64 vcc, exec, s[8:9]
	s_cbranch_vccnz .LBB921_18
; %bb.4:
	s_load_dwordx2 s[6:7], s[0:1], 0x28
	s_lshl_b64 s[16:17], s[2:3], 2
	s_waitcnt lgkmcnt(0)
	s_add_u32 s6, s6, s16
	s_addc_u32 s7, s7, s17
	s_load_dword s33, s[6:7], 0x0
	s_lshl_b32 s5, s28, 8
	s_waitcnt lgkmcnt(0)
	s_cmp_ge_i32 s5, s33
	s_cbranch_scc1 .LBB921_18
; %bb.5:
	s_load_dwordx2 s[6:7], s[0:1], 0x20
	s_load_dword s8, s[0:1], 0x38
	s_add_i32 s9, s33, 31
	s_ashr_i32 s10, s9, 31
	v_and_b32_e32 v1, 0xcf, v0
	s_lshr_b32 s10, s10, 27
	v_add_u32_e32 v1, s5, v1
	s_add_i32 s9, s9, s10
	v_ashrrev_i32_e32 v2, 31, v1
	s_ashr_i32 s18, s9, 5
	v_lshrrev_b32_e32 v4, 27, v2
	s_add_i32 s18, s18, -1
	s_waitcnt lgkmcnt(0)
	s_mul_i32 s8, s2, s8
	s_mov_b32 s9, 0
	v_add_u32_e32 v2, v1, v4
	s_lshl_b64 s[8:9], s[8:9], 2
	v_ashrrev_i32_e32 v2, 5, v2
	v_mov_b32_e32 v5, s18
	v_cmp_gt_i32_e32 vcc, s33, v1
	s_add_u32 s6, s6, s8
	s_addc_u32 s7, s7, s9
	v_cndmask_b32_e32 v2, v5, v2, vcc
	v_ashrrev_i32_e32 v3, 31, v2
	v_lshl_add_u64 v[6:7], v[2:3], 2, s[6:7]
	v_or_b32_e32 v2, 16, v1
	v_add_u32_e32 v3, v2, v4
	v_ashrrev_i32_e32 v3, 5, v3
	v_cmp_gt_i32_e32 vcc, s33, v2
	s_load_dwordx4 s[8:11], s[0:1], 0x8
	s_nop 0
	v_cndmask_b32_e32 v2, v5, v3, vcc
	v_ashrrev_i32_e32 v3, 31, v2
	v_lshl_add_u64 v[8:9], v[2:3], 2, s[6:7]
	v_or_b32_e32 v2, 32, v1
	v_add_u32_e32 v3, v2, v4
	v_ashrrev_i32_e32 v3, 5, v3
	v_cmp_gt_i32_e32 vcc, s33, v2
	v_or_b32_e32 v1, 48, v1
	s_nop 0
	v_cndmask_b32_e32 v2, v5, v3, vcc
	v_ashrrev_i32_e32 v3, 31, v2
	v_lshl_add_u64 v[10:11], v[2:3], 2, s[6:7]
	v_add_u32_e32 v2, v1, v4
	v_ashrrev_i32_e32 v2, 5, v2
	v_cmp_gt_i32_e32 vcc, s33, v1
	s_nop 1
	v_cndmask_b32_e32 v2, v5, v2, vcc
	v_ashrrev_i32_e32 v3, 31, v2
	v_lshl_add_u64 v[14:15], v[2:3], 2, s[6:7]
	global_load_dword v2, v[6:7], off
	global_load_dword v5, v[8:9], off
	;; [unrolled: 1-line block ×4, first 2 shown]
	s_andn2_b64 vcc, exec, s[14:15]
	s_cbranch_vccnz .LBB921_8
; %bb.6:
	s_add_u32 s12, s12, s16
	s_addc_u32 s13, s13, s17
	s_load_dword s14, s[12:13], 0x0
	s_branch .LBB921_9
.LBB921_7:
	s_mov_b64 s[8:9], 0
	s_branch .LBB921_2
.LBB921_8:
	s_mov_b32 s14, s2
.LBB921_9:
	s_load_dwordx4 s[44:47], s[0:1], 0x48
	v_lshrrev_b32_e32 v29, 6, v0
	v_bfe_u32 v42, v0, 4, 2
	v_lshl_or_b32 v3, v29, 2, v42
	v_and_b32_e32 v28, 15, v0
	v_lshlrev_b32_e32 v1, 3, v28
	v_cmp_gt_u32_e32 vcc, 14, v3
	v_cmp_gt_u32_e64 s[30:31], 8, v28
	v_and_b32_e32 v43, 63, v0
	s_mul_i32 s48, s4, 14
	s_and_b64 s[16:17], s[30:31], vcc
	v_lshlrev_b32_e32 v26, 1, v1
	v_lshlrev_b32_e32 v1, 4, v0
	s_and_saveexec_b64 s[12:13], s[16:17]
	s_cbranch_execz .LBB921_11
; %bb.10:
	s_load_dwordx2 s[16:17], s[0:1], 0x0
	s_waitcnt lgkmcnt(0)
	s_ashr_i32 s15, s44, 31
	s_mul_hi_u32 s19, s14, s44
	s_mul_i32 s15, s14, s15
	s_add_i32 s15, s19, s15
	s_mul_i32 s14, s14, s44
	s_lshl_b64 s[14:15], s[14:15], 1
	s_add_u32 s14, s16, s14
	v_add_lshl_u32 v6, v3, s48, 6
	s_addc_u32 s15, s17, s15
	v_ashrrev_i32_e32 v7, 31, v6
	v_lshl_add_u64 v[6:7], v[6:7], 1, s[14:15]
	v_mov_b32_e32 v27, 0
	v_lshl_add_u64 v[6:7], v[6:7], 0, v[26:27]
	global_load_dwordx4 v[6:9], v[6:7], off
	v_lshlrev_b32_e32 v11, 8, v28
	v_lshlrev_b32_e32 v3, 5, v3
	v_and_b32_e32 v10, 16, v1
	v_and_b32_e32 v11, 0xe00, v11
	v_or3_b32 v3, v11, v3, v10
	s_waitcnt vmcnt(0)
	ds_write_b128 v3, v[6:9]
.LBB921_11:
	s_or_b64 exec, exec, s[12:13]
	s_waitcnt lgkmcnt(0)
	s_mul_i32 s4, s4, s46
	s_add_u32 s8, s8, s4
	s_addc_u32 s9, s9, 0
	v_mov_b32_e32 v31, 0
	v_mov_b64_e32 v[10:11], s[8:9]
	v_and_b32_e32 v8, 48, v0
	s_waitcnt vmcnt(3)
	v_mad_i64_i32 v[6:7], s[8:9], v2, s45, v[10:11]
	v_lshlrev_b32_e32 v2, 4, v28
	v_mov_b32_e32 v3, v31
	v_lshlrev_b32_e32 v30, 5, v8
	v_lshl_add_u64 v[6:7], v[6:7], 0, v[2:3]
	v_lshl_add_u64 v[6:7], v[6:7], 0, v[30:31]
	s_load_dword s29, s[0:1], 0x98
	s_load_dwordx4 s[40:43], s[0:1], 0x80
	s_waitcnt lgkmcnt(0)
	s_barrier
	global_load_dwordx4 v[14:17], v[6:7], off
	s_waitcnt vmcnt(3)
	v_mad_i64_i32 v[6:7], s[8:9], v5, s45, v[10:11]
	v_or_b32_e32 v32, 0x100, v2
	v_mov_b32_e32 v33, v31
	v_lshl_add_u64 v[6:7], v[6:7], 0, v[32:33]
	v_lshl_add_u64 v[6:7], v[6:7], 0, v[30:31]
	global_load_dwordx4 v[18:21], v[6:7], off
	s_ashr_i32 s8, s5, 31
	v_or_b32_e32 v5, s5, v8
	s_lshr_b32 s12, s8, 27
	v_add_u32_e32 v8, s12, v5
	v_cmp_gt_i32_e32 vcc, s33, v5
	v_or_b32_e32 v34, 64, v5
	v_or_b32_e32 v35, 0x80, v5
	;; [unrolled: 1-line block ×3, first 2 shown]
	s_waitcnt vmcnt(3)
	v_mad_i64_i32 v[4:5], s[8:9], v4, s45, v[10:11]
	v_lshl_add_u64 v[2:3], v[4:5], 0, v[2:3]
	v_lshl_add_u64 v[2:3], v[2:3], 0, v[30:31]
	global_load_dwordx4 v[22:25], v[2:3], off
	v_ashrrev_i32_e32 v8, 5, v8
	v_mov_b32_e32 v13, s18
	v_cndmask_b32_e32 v8, v13, v8, vcc
	v_ashrrev_i32_e32 v9, 31, v8
	v_add_u32_e32 v6, -14, v28
	v_cmp_gt_u32_e32 vcc, 14, v28
	s_waitcnt vmcnt(3)
	v_mad_i64_i32 v[10:11], s[8:9], v12, s45, v[10:11]
	v_add_u32_e32 v12, s12, v34
	v_lshl_add_u64 v[8:9], v[8:9], 2, s[6:7]
	v_cndmask_b32_e32 v6, v6, v28, vcc
	v_add_u32_e32 v37, s12, v35
	v_ashrrev_i32_e32 v12, 5, v12
	v_cmp_gt_i32_e32 vcc, s33, v34
	global_load_dword v45, v[8:9], off
	v_lshlrev_b32_e32 v6, 5, v6
	v_add_u32_e32 v38, s12, v36
	v_lshl_add_u64 v[10:11], v[10:11], 0, v[32:33]
	v_ashrrev_i32_e32 v33, 5, v37
	v_cndmask_b32_e32 v32, v13, v12, vcc
	v_cmp_gt_i32_e32 vcc, s33, v35
	v_lshl_add_u32 v2, v42, 9, v6
	v_ashrrev_i32_e32 v37, 5, v38
	v_lshl_add_u64 v[10:11], v[10:11], 0, v[30:31]
	v_cndmask_b32_e32 v34, v13, v33, vcc
	v_cmp_gt_i32_e32 vcc, s33, v36
	ds_read_b128 v[6:9], v2
	ds_read_b128 v[2:5], v2 offset:16
	v_cndmask_b32_e32 v36, v13, v37, vcc
	global_load_dwordx4 v[10:13], v[10:11], off
	v_ashrrev_i32_e32 v33, 31, v32
	v_ashrrev_i32_e32 v37, 31, v36
	;; [unrolled: 1-line block ×3, first 2 shown]
	v_lshl_add_u64 v[32:33], v[32:33], 2, s[6:7]
	v_lshl_add_u64 v[36:37], v[36:37], 2, s[6:7]
	;; [unrolled: 1-line block ×3, first 2 shown]
	global_load_dword v44, v[32:33], off
	global_load_dword v34, v[40:41], off
	global_load_dword v35, v[36:37], off
	s_add_u32 s8, s10, s4
	v_lshlrev_b32_e32 v27, 5, v28
	s_addc_u32 s9, s11, 0
	v_and_b32_e32 v30, 16, v0
	v_lshl_add_u64 v[38:39], s[8:9], 0, v[30:31]
	v_lshl_or_b32 v30, v29, 9, v27
	v_lshl_add_u64 v[30:31], v[38:39], 0, v[30:31]
	s_load_dword s13, s[0:1], 0x1c
	s_load_dword s4, s[40:41], 0x0
	s_mov_b32 s44, 0xff7fffff
	s_waitcnt vmcnt(7)
	v_cvt_pk_f32_fp8_e32 v[32:33], v14
	v_cvt_pk_f32_fp8_sdwa v[36:37], v14 src0_sel:WORD_1
	v_cvt_pk_f32_fp8_e32 v[38:39], v15
	v_cvt_pk_f32_fp8_sdwa v[14:15], v15 src0_sel:WORD_1
	v_cvt_pkrtz_f16_f32 v32, v32, v33
	v_cvt_pkrtz_f16_f32 v33, v36, v37
	v_cvt_pk_f32_fp8_e32 v[40:41], v16
	v_cvt_pk_f32_fp8_sdwa v[46:47], v16 src0_sel:WORD_1
	v_cvt_pkrtz_f16_f32 v48, v38, v39
	v_cvt_pkrtz_f16_f32 v49, v14, v15
	s_waitcnt lgkmcnt(0)
	v_mfma_f32_16x16x16_f16 v[36:39], v[32:33], v[6:7], 0
	v_cvt_pk_f32_fp8_e32 v[32:33], v17
	v_cvt_pkrtz_f16_f32 v40, v40, v41
	v_cvt_pkrtz_f16_f32 v41, v46, v47
	v_cvt_pk_f32_fp8_sdwa v[16:17], v17 src0_sel:WORD_1
	v_mfma_f32_16x16x16_f16 v[36:39], v[48:49], v[8:9], v[36:39]
	v_cvt_pkrtz_f16_f32 v32, v32, v33
	s_waitcnt vmcnt(6)
	v_cvt_pk_f32_fp8_sdwa v[46:47], v20 src0_sel:WORD_1
	v_cvt_pkrtz_f16_f32 v33, v16, v17
	v_mfma_f32_16x16x16_f16 v[36:39], v[40:41], v[2:3], v[36:39]
	v_cvt_pk_f32_fp8_e32 v[16:17], v18
	v_cvt_pk_f32_fp8_sdwa v[40:41], v18 src0_sel:WORD_1
	s_waitcnt vmcnt(5)
	v_cvt_pk_f32_fp8_e32 v[52:53], v25
	v_mfma_f32_16x16x16_f16 v[36:39], v[32:33], v[4:5], v[36:39]
	v_cvt_pk_f32_fp8_e32 v[32:33], v19
	v_cvt_pkrtz_f16_f32 v16, v16, v17
	v_cvt_pkrtz_f16_f32 v17, v40, v41
	v_cvt_pk_f32_fp8_sdwa v[18:19], v19 src0_sel:WORD_1
	v_cvt_pkrtz_f16_f32 v32, v32, v33
	v_cvt_pk_f32_fp8_e32 v[40:41], v20
	v_cvt_pkrtz_f16_f32 v33, v18, v19
	v_mfma_f32_16x16x16_f16 v[16:19], v[16:17], v[6:7], 0
	v_cvt_pkrtz_f16_f32 v40, v40, v41
	v_cvt_pkrtz_f16_f32 v41, v46, v47
	v_cvt_pk_f32_fp8_e32 v[46:47], v21
	v_cvt_pk_f32_fp8_sdwa v[20:21], v21 src0_sel:WORD_1
	v_mfma_f32_16x16x16_f16 v[16:19], v[32:33], v[8:9], v[16:19]
	s_waitcnt vmcnt(4)
	v_mad_i64_i32 v[14:15], s[6:7], v45, s45, v[30:31]
	v_cvt_pkrtz_f16_f32 v32, v46, v47
	v_cvt_pkrtz_f16_f32 v33, v20, v21
	v_mfma_f32_16x16x16_f16 v[16:19], v[40:41], v[2:3], v[16:19]
	v_cvt_pk_f32_fp8_e32 v[20:21], v22
	v_cvt_pk_f32_fp8_sdwa v[40:41], v22 src0_sel:WORD_1
	v_cvt_pk_f32_fp8_sdwa v[46:47], v24 src0_sel:WORD_1
	v_mfma_f32_16x16x16_f16 v[16:19], v[32:33], v[4:5], v[16:19]
	v_cvt_pk_f32_fp8_e32 v[32:33], v23
	v_cvt_pkrtz_f16_f32 v20, v20, v21
	v_cvt_pkrtz_f16_f32 v21, v40, v41
	v_cvt_pk_f32_fp8_sdwa v[22:23], v23 src0_sel:WORD_1
	v_cvt_pkrtz_f16_f32 v32, v32, v33
	v_cvt_pk_f32_fp8_e32 v[40:41], v24
	v_cvt_pk_f32_fp8_sdwa v[24:25], v25 src0_sel:WORD_1
	v_cvt_pkrtz_f16_f32 v33, v22, v23
	v_mfma_f32_16x16x16_f16 v[20:23], v[20:21], v[6:7], 0
	v_cvt_pkrtz_f16_f32 v40, v40, v41
	v_cvt_pkrtz_f16_f32 v41, v46, v47
	v_mov_b32_e32 v45, s13
	v_mfma_f32_16x16x16_f16 v[46:49], v[32:33], v[8:9], v[20:23]
	v_mul_f32_e32 v50, s4, v45
	v_cvt_pkrtz_f16_f32 v32, v52, v53
	v_cvt_pkrtz_f16_f32 v33, v24, v25
	v_pk_mul_f32 v[22:23], v[50:51], v[38:39] op_sel_hi:[0,1]
	v_mfma_f32_16x16x16_f16 v[38:41], v[40:41], v[2:3], v[46:49]
	v_pk_mul_f32 v[20:21], v[50:51], v[36:37] op_sel_hi:[0,1]
	s_waitcnt vmcnt(3)
	v_cvt_pk_f32_fp8_e32 v[24:25], v10
	v_cvt_pk_f32_fp8_sdwa v[36:37], v10 src0_sel:WORD_1
	v_mfma_f32_16x16x16_f16 v[46:49], v[32:33], v[4:5], v[38:41]
	v_cvt_pk_f32_fp8_e32 v[32:33], v11
	v_cvt_pkrtz_f16_f32 v24, v24, v25
	v_cvt_pkrtz_f16_f32 v25, v36, v37
	v_cvt_pk_f32_fp8_sdwa v[10:11], v11 src0_sel:WORD_1
	v_cvt_pkrtz_f16_f32 v32, v32, v33
	v_cvt_pk_f32_fp8_e32 v[40:41], v12
	v_cvt_pk_f32_fp8_sdwa v[52:53], v12 src0_sel:WORD_1
	v_cvt_pkrtz_f16_f32 v33, v10, v11
	v_mfma_f32_16x16x16_f16 v[36:39], v[24:25], v[6:7], 0
	v_cvt_pkrtz_f16_f32 v10, v40, v41
	v_cvt_pkrtz_f16_f32 v11, v52, v53
	v_cvt_pk_f32_fp8_e32 v[24:25], v13
	v_cvt_pk_f32_fp8_sdwa v[12:13], v13 src0_sel:WORD_1
	v_mfma_f32_16x16x16_f16 v[6:9], v[32:33], v[8:9], v[36:39]
	v_pk_mul_f32 v[40:41], v[50:51], v[16:17] op_sel_hi:[0,1]
	v_pk_mul_f32 v[32:33], v[50:51], v[48:49] op_sel_hi:[0,1]
	s_nop 0
	v_pk_mul_f32 v[36:37], v[50:51], v[18:19] op_sel_hi:[0,1]
	v_cvt_pkrtz_f16_f32 v18, v24, v25
	v_cvt_pkrtz_f16_f32 v19, v12, v13
	v_mfma_f32_16x16x16_f16 v[6:9], v[10:11], v[2:3], v[6:9]
	v_pk_mul_f32 v[38:39], v[50:51], v[46:47] op_sel_hi:[0,1]
	v_mfma_f32_16x16x16_f16 v[2:5], v[18:19], v[4:5], v[6:9]
	s_nop 6
	v_pk_mul_f32 v[24:25], v[50:51], v[2:3] op_sel_hi:[0,1]
	v_and_b32_e32 v2, 0xc0, v0
	v_add_u32_e32 v2, s5, v2
	v_lshl_or_b32 v2, v42, 2, v2
	v_pk_mul_f32 v[18:19], v[50:51], v[4:5] op_sel_hi:[0,1]
	v_or_b32_e32 v5, 1, v2
	v_mov_b32_e32 v3, 0xff7fffff
	v_cmp_gt_i32_e64 s[4:5], s33, v2
	v_cmp_gt_i32_e64 s[34:35], s33, v5
	v_or_b32_e32 v6, 3, v2
	v_cndmask_b32_e64 v4, v3, v20, s[4:5]
	v_cndmask_b32_e64 v5, v3, v21, s[34:35]
	v_max3_f32 v4, v4, s44, v5
	v_or_b32_e32 v5, 2, v2
	v_cmp_gt_i32_e64 s[36:37], s33, v5
	v_cmp_gt_i32_e64 s[38:39], s33, v6
	s_nop 0
	v_cndmask_b32_e64 v5, v3, v22, s[36:37]
	v_cndmask_b32_e64 v6, v3, v23, s[38:39]
	v_max3_f32 v4, v4, v5, v6
	v_or_b32_e32 v5, 16, v2
	v_or_b32_e32 v6, 17, v2
	v_cmp_gt_i32_e64 s[24:25], s33, v5
	v_cmp_gt_i32_e64 s[26:27], s33, v6
	s_nop 0
	v_cndmask_b32_e64 v5, v3, v40, s[24:25]
	v_cndmask_b32_e64 v6, v3, v41, s[26:27]
	v_max3_f32 v4, v4, v5, v6
	v_or_b32_e32 v5, 18, v2
	;; [unrolled: 8-line block ×6, first 2 shown]
	v_or_b32_e32 v2, 51, v2
	v_cmp_gt_i32_e32 vcc, s33, v5
	v_cmp_gt_i32_e64 s[6:7], s33, v2
	s_nop 0
	v_cndmask_b32_e32 v5, v3, v18, vcc
	v_cndmask_b32_e64 v2, v3, v19, s[6:7]
	v_max3_f32 v4, v4, v5, v2
	v_mbcnt_lo_u32_b32 v2, -1, 0
	v_mbcnt_hi_u32_b32 v5, -1, v2
	v_and_b32_e32 v2, 64, v5
	v_add_u32_e32 v6, 64, v2
	v_xor_b32_e32 v2, 32, v5
	v_cmp_lt_i32_e64 s[40:41], v2, v6
	s_nop 1
	v_cndmask_b32_e64 v2, v5, v2, s[40:41]
	v_lshlrev_b32_e32 v45, 2, v2
	ds_bpermute_b32 v7, v45, v4
	s_waitcnt vmcnt(2)
	v_mad_i64_i32 v[2:3], s[40:41], v44, s45, v[30:31]
	global_load_dwordx4 v[14:17], v[14:15], off
	s_nop 0
	global_load_dwordx4 v[10:13], v[2:3], off
	v_xor_b32_e32 v3, 16, v5
	v_cmp_lt_i32_e64 s[40:41], v3, v6
	s_waitcnt lgkmcnt(0)
	v_max_f32_e32 v2, v7, v7
	v_max_f32_e32 v2, v4, v2
	v_cndmask_b32_e64 v3, v5, v3, s[40:41]
	v_lshlrev_b32_e32 v48, 2, v3
	ds_bpermute_b32 v3, v48, v2
	s_waitcnt vmcnt(3)
	v_mad_i64_i32 v[46:47], s[40:41], v34, s45, v[30:31]
	s_waitcnt vmcnt(2)
	v_mad_i64_i32 v[30:31], s[40:41], v35, s45, v[30:31]
	s_waitcnt lgkmcnt(0)
	v_max_f32_e32 v3, v3, v3
	v_max_f32_e32 v44, v2, v3
	v_sub_f32_e32 v2, v20, v44
	v_mul_f32_e32 v2, 0x3fb8aa3b, v2
	v_exp_f32_e32 v20, v2
	v_sub_f32_e32 v2, v21, v44
	v_mul_f32_e32 v2, 0x3fb8aa3b, v2
	v_exp_f32_e32 v21, v2
	global_load_dwordx4 v[6:9], v[46:47], off
	global_load_dwordx4 v[2:5], v[30:31], off
	v_sub_f32_e32 v22, v22, v44
	v_mul_f32_e32 v22, 0x3fb8aa3b, v22
	v_sub_f32_e32 v23, v23, v44
	v_exp_f32_e32 v22, v22
	v_mul_f32_e32 v23, 0x3fb8aa3b, v23
	v_exp_f32_e32 v23, v23
	v_cndmask_b32_e64 v20, 0, v20, s[4:5]
	v_add_f32_e32 v30, 0, v20
	v_cndmask_b32_e64 v21, 0, v21, s[34:35]
	v_add_f32_e32 v30, v30, v21
	;; [unrolled: 2-line block ×3, first 2 shown]
	v_cndmask_b32_e64 v35, 0, v23, s[38:39]
	v_sub_f32_e32 v23, v40, v44
	v_sub_f32_e32 v30, v41, v44
	v_mul_f32_e32 v23, 0x3fb8aa3b, v23
	v_mul_f32_e32 v30, 0x3fb8aa3b, v30
	v_exp_f32_e32 v23, v23
	v_exp_f32_e32 v30, v30
	v_add_f32_e32 v31, v22, v35
	v_sub_f32_e32 v32, v32, v44
	v_cndmask_b32_e64 v22, 0, v23, s[24:25]
	v_cndmask_b32_e64 v23, 0, v30, s[26:27]
	v_sub_f32_e32 v30, v36, v44
	v_mul_f32_e32 v30, 0x3fb8aa3b, v30
	v_exp_f32_e32 v30, v30
	v_sub_f32_e32 v36, v37, v44
	v_add_f32_e32 v31, v31, v22
	v_mul_f32_e32 v36, 0x3fb8aa3b, v36
	v_exp_f32_e32 v37, v36
	v_add_f32_e32 v31, v31, v23
	v_cndmask_b32_e64 v36, 0, v30, s[20:21]
	v_add_f32_e32 v30, v31, v36
	v_sub_f32_e32 v31, v38, v44
	v_mul_f32_e32 v31, 0x3fb8aa3b, v31
	v_sub_f32_e32 v38, v39, v44
	v_exp_f32_e32 v31, v31
	v_mul_f32_e32 v38, 0x3fb8aa3b, v38
	v_exp_f32_e32 v38, v38
	v_mul_f32_e32 v32, 0x3fb8aa3b, v32
	v_sub_f32_e32 v33, v33, v44
	v_exp_f32_e32 v32, v32
	v_mul_f32_e32 v33, 0x3fb8aa3b, v33
	v_sub_f32_e32 v24, v24, v44
	v_cndmask_b32_e64 v37, 0, v37, s[22:23]
	v_exp_f32_e32 v33, v33
	v_mul_f32_e32 v24, 0x3fb8aa3b, v24
	v_sub_f32_e32 v25, v25, v44
	v_add_f32_e32 v39, v30, v37
	v_cndmask_b32_e64 v30, 0, v31, s[16:17]
	v_exp_f32_e32 v24, v24
	v_mul_f32_e32 v25, 0x3fb8aa3b, v25
	v_sub_f32_e32 v18, v18, v44
	v_add_f32_e32 v39, v39, v30
	;; [unrolled: 5-line block ×3, first 2 shown]
	v_cndmask_b32_e64 v32, 0, v32, s[12:13]
	v_exp_f32_e32 v18, v18
	v_mul_f32_e32 v19, 0x3fb8aa3b, v19
	v_add_f32_e32 v38, v38, v32
	v_cndmask_b32_e64 v33, 0, v33, s[14:15]
	v_exp_f32_e32 v19, v19
	v_add_f32_e32 v38, v38, v33
	v_cndmask_b32_e64 v24, 0, v24, s[8:9]
	v_add_f32_e32 v38, v38, v24
	v_cndmask_b32_e64 v25, 0, v25, s[10:11]
	v_add_f32_e32 v38, v38, v25
	v_cndmask_b32_e32 v18, 0, v18, vcc
	v_add_f32_e32 v38, v38, v18
	v_cndmask_b32_e64 v19, 0, v19, s[6:7]
	v_add_f32_e32 v38, v38, v19
	ds_bpermute_b32 v39, v45, v38
	v_cmp_gt_u32_e32 vcc, 16, v43
	s_waitcnt lgkmcnt(0)
	s_barrier
	v_add_f32_e32 v38, v38, v39
	ds_bpermute_b32 v40, v48, v38
	v_lshlrev_b32_e32 v39, 2, v28
	s_and_saveexec_b64 s[4:5], vcc
	s_cbranch_execz .LBB921_13
; %bb.12:
	s_waitcnt lgkmcnt(0)
	v_add_f32_e32 v38, v38, v40
	v_lshl_or_b32 v40, v29, 6, v39
	ds_write2st64_b32 v40, v44, v38 offset1:1
.LBB921_13:
	s_or_b64 exec, exec, s[4:5]
	s_load_dword s6, s[0:1], 0x94
	s_waitcnt lgkmcnt(0)
	s_barrier
	ds_read2_b32 v[40:41], v39 offset1:16
	ds_read2_b32 v[44:45], v39 offset0:32 offset1:48
	ds_read2_b32 v[46:47], v39 offset0:64 offset1:80
	s_mul_i32 s7, s29, 14
	s_waitcnt lgkmcnt(2)
	v_max3_f32 v38, v40, s44, v41
	s_waitcnt lgkmcnt(1)
	v_max3_f32 v38, v38, v44, v45
	v_sub_f32_e32 v40, v40, v38
	v_mul_f32_e32 v40, 0x3fb8aa3b, v40
	v_exp_f32_e32 v43, v40
	v_sub_f32_e32 v40, v41, v38
	v_mul_f32_e32 v40, 0x3fb8aa3b, v40
	v_exp_f32_e32 v48, v40
	;; [unrolled: 3-line block ×3, first 2 shown]
	ds_read2_b32 v[40:41], v39 offset0:96 offset1:112
	v_sub_f32_e32 v39, v45, v38
	v_mul_f32_e32 v39, 0x3fb8aa3b, v39
	v_exp_f32_e32 v45, v39
	s_waitcnt lgkmcnt(1)
	v_fma_f32 v39, v43, v46, 0
	v_fmac_f32_e32 v39, v48, v47
	s_waitcnt lgkmcnt(0)
	v_fmac_f32_e32 v39, v44, v40
	v_fmac_f32_e32 v39, v45, v41
	v_add_f32_e32 v40, 0x358637bd, v39
	v_div_scale_f32 v41, s[4:5], v40, v40, 1.0
	v_rcp_f32_e32 v46, v41
	s_barrier
	v_fma_f32 v47, -v41, v46, 1.0
	v_fmac_f32_e32 v46, v47, v46
	v_div_scale_f32 v47, vcc, 1.0, v40, 1.0
	v_mul_f32_e32 v49, v47, v46
	v_fma_f32 v50, -v41, v49, v47
	v_fmac_f32_e32 v49, v50, v46
	v_fma_f32 v41, -v41, v49, v47
	v_div_fmas_f32 v41, v41, v46, v49
	v_cmp_eq_u32_e32 vcc, 1, v29
	v_div_fixup_f32 v40, v41, v40, 1.0
	s_nop 0
	v_cndmask_b32_e32 v41, v43, v48, vcc
	v_cmp_eq_u32_e32 vcc, 2, v29
	s_nop 1
	v_cndmask_b32_e32 v41, v41, v44, vcc
	v_cmp_eq_u32_e32 vcc, 3, v29
	s_nop 1
	v_cndmask_b32_e32 v41, v41, v45, vcc
	v_mul_f32_e32 v40, v41, v40
	v_pk_mul_f32 v[34:35], v[40:41], v[34:35] op_sel_hi:[0,1]
	v_pk_mul_f32 v[20:21], v[40:41], v[20:21] op_sel_hi:[0,1]
	v_cvt_f16_f32_e32 v41, v34
	v_cvt_f16_f32_e32 v35, v35
	;; [unrolled: 1-line block ×4, first 2 shown]
	v_cmp_gt_u32_e32 vcc, 14, v0
	v_pack_b32_f16 v35, v41, v35
	v_lshlrev_b32_e32 v41, 3, v42
	v_pack_b32_f16 v34, v20, v21
	v_pk_mul_f32 v[20:21], v[40:41], v[36:37] op_sel_hi:[0,1]
	v_pk_mul_f32 v[22:23], v[40:41], v[22:23] op_sel_hi:[0,1]
	v_cvt_f16_f32_e32 v22, v22
	v_cvt_f16_f32_e32 v23, v23
	;; [unrolled: 1-line block ×4, first 2 shown]
	v_lshlrev_b32_e32 v20, 11, v29
	v_or3_b32 v20, v20, v27, v41
	v_pack_b32_f16 v22, v22, v23
	v_pack_b32_f16 v23, v36, v21
	ds_write2st64_b64 v20, v[34:35], v[22:23] offset1:1
	v_pk_mul_f32 v[22:23], v[40:41], v[32:33] op_sel_hi:[0,1]
	v_pk_mul_f32 v[30:31], v[40:41], v[30:31] op_sel_hi:[0,1]
	v_cvt_f16_f32_e32 v21, v30
	v_cvt_f16_f32_e32 v29, v31
	v_cvt_f16_f32_e32 v30, v22
	v_cvt_f16_f32_e32 v31, v23
	v_pk_mul_f32 v[18:19], v[40:41], v[18:19] op_sel_hi:[0,1]
	v_pk_mul_f32 v[22:23], v[40:41], v[24:25] op_sel_hi:[0,1]
	v_cvt_f16_f32_e32 v22, v22
	v_cvt_f16_f32_e32 v23, v23
	;; [unrolled: 1-line block ×4, first 2 shown]
	v_pack_b32_f16 v18, v21, v29
	v_pack_b32_f16 v19, v30, v31
	;; [unrolled: 1-line block ×4, first 2 shown]
	ds_write2st64_b64 v20, v[18:19], v[22:23] offset0:2 offset1:3
	s_and_saveexec_b64 s[4:5], vcc
	s_cbranch_execz .LBB921_15
; %bb.14:
	s_mov_b32 s49, 0
	v_mov_b32_e32 v29, 0
	v_lshl_add_u64 v[18:19], s[48:49], 0, v[28:29]
	v_mov_b32_e32 v21, s7
	v_mad_u64_u32 v[18:19], s[12:13], s2, v21, v[18:19]
	s_mul_i32 s3, s3, s7
	v_mov_b32_e32 v28, s28
	s_load_dwordx4 s[8:11], s[0:1], 0x58
	v_add_u32_e32 v21, s3, v19
	v_mad_u64_u32 v[18:19], s[12:13], v18, s6, v[28:29]
	v_mov_b32_e32 v22, v19
	v_mad_u64_u32 v[22:23], s[12:13], v21, s6, v[22:23]
	v_mov_b32_e32 v19, v22
	v_lshlrev_b64 v[18:19], 2, v[18:19]
	s_waitcnt lgkmcnt(0)
	v_lshl_add_u64 v[22:23], s[10:11], 0, v[18:19]
	v_lshl_add_u64 v[18:19], s[8:9], 0, v[18:19]
	global_store_dword v[22:23], v38, off
	global_store_dword v[18:19], v39, off
.LBB921_15:
	s_or_b64 exec, exec, s[4:5]
	s_waitcnt vmcnt(3)
	v_cvt_pk_f32_fp8_e32 v[18:19], v14
	v_cvt_pk_f32_fp8_sdwa v[22:23], v14 src0_sel:WORD_1
	v_cvt_pk_f32_fp8_e32 v[24:25], v15
	v_lshl_or_b32 v14, v42, 9, v27
	s_waitcnt lgkmcnt(0)
	s_barrier
	v_cvt_pkrtz_f16_f32 v18, v18, v19
	v_cvt_pkrtz_f16_f32 v19, v22, v23
	v_cvt_pk_f32_fp8_sdwa v[28:29], v15 src0_sel:WORD_1
	v_cvt_pkrtz_f16_f32 v36, v24, v25
	ds_read_b128 v[22:25], v14
	v_cvt_pk_f32_fp8_e32 v[38:39], v16
	v_cvt_pkrtz_f16_f32 v37, v28, v29
	ds_read_b128 v[28:31], v14 offset:16
	v_cvt_pk_f32_fp8_sdwa v[40:41], v16 src0_sel:WORD_1
	s_waitcnt lgkmcnt(1)
	v_mfma_f32_16x16x16_f16 v[32:35], v[18:19], v[22:23], 0
	v_cvt_pkrtz_f16_f32 v18, v38, v39
	v_cvt_pk_f32_fp8_e32 v[38:39], v17
	v_cvt_pkrtz_f16_f32 v19, v40, v41
	v_mfma_f32_16x16x16_f16 v[22:25], v[36:37], v[24:25], v[32:35]
	s_waitcnt vmcnt(2)
	v_cvt_pk_f32_fp8_sdwa v[36:37], v12 src0_sel:WORD_1
	s_load_dword s4, s[42:43], 0x0
	v_cmp_gt_u32_e32 vcc, 64, v0
	v_cvt_pk_f32_fp8_sdwa v[32:33], v17 src0_sel:WORD_1
	v_cvt_pkrtz_f16_f32 v34, v38, v39
	s_waitcnt lgkmcnt(0)
	v_mfma_f32_16x16x16_f16 v[16:19], v[18:19], v[28:29], v[22:25]
	v_cvt_pk_f32_fp8_e32 v[28:29], v11
	v_cvt_pkrtz_f16_f32 v35, v32, v33
	s_mov_b32 s3, 0
	v_cvt_pk_f32_fp8_e32 v[22:23], v10
	v_cvt_pk_f32_fp8_sdwa v[24:25], v10 src0_sel:WORD_1
	v_mfma_f32_16x16x16_f16 v[16:19], v[34:35], v[30:31], v[16:19]
	v_cvt_pkrtz_f16_f32 v10, v22, v23
	v_cvt_pk_f32_fp8_sdwa v[30:31], v11 src0_sel:WORD_1
	v_cvt_pkrtz_f16_f32 v11, v24, v25
	ds_read_b128 v[22:25], v14 offset:2048
	v_cvt_pkrtz_f16_f32 v32, v28, v29
	v_cvt_pkrtz_f16_f32 v33, v30, v31
	ds_read_b128 v[28:31], v14 offset:2064
	v_cvt_pk_f32_fp8_e32 v[34:35], v12
	s_waitcnt lgkmcnt(1)
	v_mfma_f32_16x16x16_f16 v[16:19], v[10:11], v[22:23], v[16:19]
	v_cvt_pkrtz_f16_f32 v11, v36, v37
	v_cvt_pk_f32_fp8_e32 v[22:23], v13
	v_cvt_pkrtz_f16_f32 v10, v34, v35
	v_mfma_f32_16x16x16_f16 v[16:19], v[32:33], v[24:25], v[16:19]
	v_cvt_pk_f32_fp8_sdwa v[24:25], v13 src0_sel:WORD_1
	v_cvt_pkrtz_f16_f32 v22, v22, v23
	s_waitcnt vmcnt(1)
	v_cvt_pk_f32_fp8_sdwa v[32:33], v8 src0_sel:WORD_1
	s_waitcnt lgkmcnt(0)
	v_mfma_f32_16x16x16_f16 v[10:13], v[10:11], v[28:29], v[16:19]
	v_cvt_pkrtz_f16_f32 v23, v24, v25
	v_cvt_pk_f32_fp8_sdwa v[24:25], v7 src0_sel:WORD_1
	v_mov_b32_e32 v27, 0
	v_cvt_pk_f32_fp8_e32 v[16:17], v6
	v_cvt_pk_f32_fp8_sdwa v[18:19], v6 src0_sel:WORD_1
	v_mfma_f32_16x16x16_f16 v[10:13], v[22:23], v[30:31], v[10:13]
	v_cvt_pk_f32_fp8_e32 v[22:23], v7
	v_cvt_pkrtz_f16_f32 v6, v16, v17
	v_cvt_pkrtz_f16_f32 v7, v18, v19
	ds_read_b128 v[16:19], v14 offset:4096
	v_cvt_pkrtz_f16_f32 v28, v22, v23
	v_cvt_pkrtz_f16_f32 v29, v24, v25
	ds_read_b128 v[22:25], v14 offset:4112
	v_cvt_pk_f32_fp8_e32 v[30:31], v8
	s_waitcnt lgkmcnt(1)
	v_mfma_f32_16x16x16_f16 v[10:13], v[6:7], v[16:17], v[10:13]
	v_cvt_pkrtz_f16_f32 v7, v32, v33
	v_cvt_pk_f32_fp8_e32 v[16:17], v9
	v_cvt_pkrtz_f16_f32 v6, v30, v31
	v_mfma_f32_16x16x16_f16 v[10:13], v[28:29], v[18:19], v[10:13]
	v_cvt_pk_f32_fp8_sdwa v[18:19], v9 src0_sel:WORD_1
	v_cvt_pkrtz_f16_f32 v16, v16, v17
	v_cvt_pkrtz_f16_f32 v17, v18, v19
	s_waitcnt lgkmcnt(0)
	v_mfma_f32_16x16x16_f16 v[6:9], v[6:7], v[22:23], v[10:13]
	s_waitcnt vmcnt(0)
	v_cvt_pk_f32_fp8_sdwa v[18:19], v3 src0_sel:WORD_1
	s_nop 0
	v_cvt_pkrtz_f16_f32 v23, v18, v19
	v_cvt_pk_f32_fp8_e32 v[10:11], v2
	v_cvt_pk_f32_fp8_sdwa v[12:13], v2 src0_sel:WORD_1
	v_mfma_f32_16x16x16_f16 v[6:9], v[16:17], v[24:25], v[6:9]
	v_cvt_pk_f32_fp8_e32 v[16:17], v3
	v_cvt_pkrtz_f16_f32 v2, v10, v11
	v_cvt_pkrtz_f16_f32 v3, v12, v13
	ds_read_b128 v[10:13], v14 offset:6144
	v_cvt_pkrtz_f16_f32 v22, v16, v17
	v_cvt_pk_f32_fp8_e32 v[18:19], v4
	v_cvt_pk_f32_fp8_sdwa v[24:25], v4 src0_sel:WORD_1
	s_waitcnt lgkmcnt(0)
	v_mfma_f32_16x16x16_f16 v[6:9], v[2:3], v[10:11], v[6:9]
	ds_read_b128 v[14:17], v14 offset:6160
	v_cvt_pkrtz_f16_f32 v2, v18, v19
	v_cvt_pkrtz_f16_f32 v3, v24, v25
	v_cvt_pk_f32_fp8_e32 v[10:11], v5
	v_mfma_f32_16x16x16_f16 v[6:9], v[22:23], v[12:13], v[6:9]
	v_cvt_pk_f32_fp8_sdwa v[12:13], v5 src0_sel:WORD_1
	s_waitcnt lgkmcnt(0)
	v_cvt_pkrtz_f16_f32 v10, v10, v11
	v_mfma_f32_16x16x16_f16 v[2:5], v[2:3], v[14:15], v[6:9]
	v_cvt_pkrtz_f16_f32 v11, v12, v13
	s_barrier
	s_nop 0
	v_mfma_f32_16x16x16_f16 v[2:5], v[10:11], v[16:17], v[2:5]
	s_nop 6
	v_pk_mul_f32 v[4:5], v[4:5], s[4:5] op_sel_hi:[1,0]
	v_pk_mul_f32 v[2:3], v[2:3], s[4:5] op_sel_hi:[1,0]
	v_cvt_f16_f32_e32 v4, v4
	v_cvt_f16_f32_e32 v2, v2
	;; [unrolled: 1-line block ×4, first 2 shown]
	s_and_b64 s[4:5], vcc, s[30:31]
	v_pack_b32_f16 v2, v2, v3
	v_pack_b32_f16 v3, v4, v5
	ds_write_b64 v20, v[2:3]
	s_waitcnt lgkmcnt(0)
	s_barrier
	s_and_saveexec_b64 s[8:9], s[4:5]
	s_cbranch_execz .LBB921_18
; %bb.16:
	s_load_dwordx2 s[4:5], s[0:1], 0x68
	s_lshl_b32 s0, s6, 6
	s_mul_i32 s1, s7, s2
	s_mul_hi_u32 s7, s1, s0
	s_mul_i32 s6, s1, s0
	v_lshlrev_b32_e32 v0, 10, v0
	s_lshl_b64 s[6:7], s[6:7], 1
	v_and_b32_e32 v0, 0x1800, v0
	v_lshlrev_b32_e32 v2, 5, v42
	v_and_b32_e32 v1, 16, v1
	s_waitcnt lgkmcnt(0)
	s_add_u32 s1, s4, s6
	v_or3_b32 v2, v0, v2, v1
	s_addc_u32 s4, s5, s7
	s_lshl_b32 s2, s28, 6
	ds_read_b128 v[4:7], v2 offset:256
	s_lshl_b64 s[2:3], s[2:3], 1
	ds_read_b128 v[8:11], v2 offset:128
	ds_read_b128 v[12:15], v2
	s_add_u32 s2, s1, s2
	s_addc_u32 s3, s4, s3
	v_add_u32_e32 v18, s48, v42
	v_lshl_add_u64 v[0:1], s[2:3], 0, v[26:27]
	v_mad_u64_u32 v[16:17], s[2:3], v18, s0, 0
	v_lshl_add_u64 v[16:17], v[16:17], 1, v[0:1]
	s_waitcnt lgkmcnt(0)
	global_store_dwordx4 v[16:17], v[12:15], off
	v_or_b32_e32 v3, 12, v42
	v_cmp_gt_u32_e32 vcc, 14, v3
	v_add_u32_e32 v12, 4, v18
	v_mad_u64_u32 v[12:13], s[2:3], v12, s0, 0
	v_lshl_add_u64 v[12:13], v[12:13], 1, v[0:1]
	global_store_dwordx4 v[12:13], v[8:11], off
	s_nop 1
	v_add_u32_e32 v8, 8, v18
	v_mad_u64_u32 v[8:9], s[2:3], v8, s0, 0
	v_lshl_add_u64 v[8:9], v[8:9], 1, v[0:1]
	global_store_dwordx4 v[8:9], v[4:7], off
	s_and_b64 exec, exec, vcc
	s_cbranch_execz .LBB921_18
; %bb.17:
	ds_read_b128 v[4:7], v2 offset:384
	v_add_u32_e32 v2, s48, v3
	v_mad_u64_u32 v[2:3], s[0:1], v2, s0, 0
	v_lshl_add_u64 v[0:1], v[2:3], 1, v[0:1]
	s_waitcnt lgkmcnt(0)
	global_store_dwordx4 v[0:1], v[4:7], off
.LBB921_18:
	s_endpgm
	.section	.rodata,"a",@progbits
	.p2align	6, 0x0
	.amdhsa_kernel _Z39paged_attention_ll4mi_QKV_mfma16_kernelIDF16_hLN4vllm18Fp8KVCacheDataTypeE1EDF16_Li32ELi64ELi256ELb0ELi14EEvPKT_PKT0_S7_ifPKiS9_S9_iPKfiiiPfSC_PS2_PT2_iSB_SB_
		.amdhsa_group_segment_fixed_size 8192
		.amdhsa_private_segment_fixed_size 0
		.amdhsa_kernarg_size 400
		.amdhsa_user_sgpr_count 2
		.amdhsa_user_sgpr_dispatch_ptr 0
		.amdhsa_user_sgpr_queue_ptr 0
		.amdhsa_user_sgpr_kernarg_segment_ptr 1
		.amdhsa_user_sgpr_dispatch_id 0
		.amdhsa_user_sgpr_kernarg_preload_length 0
		.amdhsa_user_sgpr_kernarg_preload_offset 0
		.amdhsa_user_sgpr_private_segment_size 0
		.amdhsa_uses_dynamic_stack 0
		.amdhsa_enable_private_segment 0
		.amdhsa_system_sgpr_workgroup_id_x 1
		.amdhsa_system_sgpr_workgroup_id_y 1
		.amdhsa_system_sgpr_workgroup_id_z 1
		.amdhsa_system_sgpr_workgroup_info 0
		.amdhsa_system_vgpr_workitem_id 0
		.amdhsa_next_free_vgpr 54
		.amdhsa_next_free_sgpr 50
		.amdhsa_accum_offset 56
		.amdhsa_reserve_vcc 1
		.amdhsa_float_round_mode_32 0
		.amdhsa_float_round_mode_16_64 0
		.amdhsa_float_denorm_mode_32 3
		.amdhsa_float_denorm_mode_16_64 3
		.amdhsa_dx10_clamp 1
		.amdhsa_ieee_mode 1
		.amdhsa_fp16_overflow 0
		.amdhsa_tg_split 0
		.amdhsa_exception_fp_ieee_invalid_op 0
		.amdhsa_exception_fp_denorm_src 0
		.amdhsa_exception_fp_ieee_div_zero 0
		.amdhsa_exception_fp_ieee_overflow 0
		.amdhsa_exception_fp_ieee_underflow 0
		.amdhsa_exception_fp_ieee_inexact 0
		.amdhsa_exception_int_div_zero 0
	.end_amdhsa_kernel
	.section	.text._Z39paged_attention_ll4mi_QKV_mfma16_kernelIDF16_hLN4vllm18Fp8KVCacheDataTypeE1EDF16_Li32ELi64ELi256ELb0ELi14EEvPKT_PKT0_S7_ifPKiS9_S9_iPKfiiiPfSC_PS2_PT2_iSB_SB_,"axG",@progbits,_Z39paged_attention_ll4mi_QKV_mfma16_kernelIDF16_hLN4vllm18Fp8KVCacheDataTypeE1EDF16_Li32ELi64ELi256ELb0ELi14EEvPKT_PKT0_S7_ifPKiS9_S9_iPKfiiiPfSC_PS2_PT2_iSB_SB_,comdat
.Lfunc_end921:
	.size	_Z39paged_attention_ll4mi_QKV_mfma16_kernelIDF16_hLN4vllm18Fp8KVCacheDataTypeE1EDF16_Li32ELi64ELi256ELb0ELi14EEvPKT_PKT0_S7_ifPKiS9_S9_iPKfiiiPfSC_PS2_PT2_iSB_SB_, .Lfunc_end921-_Z39paged_attention_ll4mi_QKV_mfma16_kernelIDF16_hLN4vllm18Fp8KVCacheDataTypeE1EDF16_Li32ELi64ELi256ELb0ELi14EEvPKT_PKT0_S7_ifPKiS9_S9_iPKfiiiPfSC_PS2_PT2_iSB_SB_
                                        ; -- End function
	.section	.AMDGPU.csdata,"",@progbits
; Kernel info:
; codeLenInByte = 4740
; NumSgprs: 56
; NumVgprs: 54
; NumAgprs: 0
; TotalNumVgprs: 54
; ScratchSize: 0
; MemoryBound: 0
; FloatMode: 240
; IeeeMode: 1
; LDSByteSize: 8192 bytes/workgroup (compile time only)
; SGPRBlocks: 6
; VGPRBlocks: 6
; NumSGPRsForWavesPerEU: 56
; NumVGPRsForWavesPerEU: 54
; AccumOffset: 56
; Occupancy: 8
; WaveLimiterHint : 1
; COMPUTE_PGM_RSRC2:SCRATCH_EN: 0
; COMPUTE_PGM_RSRC2:USER_SGPR: 2
; COMPUTE_PGM_RSRC2:TRAP_HANDLER: 0
; COMPUTE_PGM_RSRC2:TGID_X_EN: 1
; COMPUTE_PGM_RSRC2:TGID_Y_EN: 1
; COMPUTE_PGM_RSRC2:TGID_Z_EN: 1
; COMPUTE_PGM_RSRC2:TIDIG_COMP_CNT: 0
; COMPUTE_PGM_RSRC3_GFX90A:ACCUM_OFFSET: 13
; COMPUTE_PGM_RSRC3_GFX90A:TG_SPLIT: 0
	.section	.text._Z39paged_attention_ll4mi_QKV_mfma16_kernelIDF16_hLN4vllm18Fp8KVCacheDataTypeE1EDF16_Li32ELi64ELi256ELb0ELi15EEvPKT_PKT0_S7_ifPKiS9_S9_iPKfiiiPfSC_PS2_PT2_iSB_SB_,"axG",@progbits,_Z39paged_attention_ll4mi_QKV_mfma16_kernelIDF16_hLN4vllm18Fp8KVCacheDataTypeE1EDF16_Li32ELi64ELi256ELb0ELi15EEvPKT_PKT0_S7_ifPKiS9_S9_iPKfiiiPfSC_PS2_PT2_iSB_SB_,comdat
	.protected	_Z39paged_attention_ll4mi_QKV_mfma16_kernelIDF16_hLN4vllm18Fp8KVCacheDataTypeE1EDF16_Li32ELi64ELi256ELb0ELi15EEvPKT_PKT0_S7_ifPKiS9_S9_iPKfiiiPfSC_PS2_PT2_iSB_SB_ ; -- Begin function _Z39paged_attention_ll4mi_QKV_mfma16_kernelIDF16_hLN4vllm18Fp8KVCacheDataTypeE1EDF16_Li32ELi64ELi256ELb0ELi15EEvPKT_PKT0_S7_ifPKiS9_S9_iPKfiiiPfSC_PS2_PT2_iSB_SB_
	.globl	_Z39paged_attention_ll4mi_QKV_mfma16_kernelIDF16_hLN4vllm18Fp8KVCacheDataTypeE1EDF16_Li32ELi64ELi256ELb0ELi15EEvPKT_PKT0_S7_ifPKiS9_S9_iPKfiiiPfSC_PS2_PT2_iSB_SB_
	.p2align	8
	.type	_Z39paged_attention_ll4mi_QKV_mfma16_kernelIDF16_hLN4vllm18Fp8KVCacheDataTypeE1EDF16_Li32ELi64ELi256ELb0ELi15EEvPKT_PKT0_S7_ifPKiS9_S9_iPKfiiiPfSC_PS2_PT2_iSB_SB_,@function
_Z39paged_attention_ll4mi_QKV_mfma16_kernelIDF16_hLN4vllm18Fp8KVCacheDataTypeE1EDF16_Li32ELi64ELi256ELb0ELi15EEvPKT_PKT0_S7_ifPKiS9_S9_iPKfiiiPfSC_PS2_PT2_iSB_SB_: ; @_Z39paged_attention_ll4mi_QKV_mfma16_kernelIDF16_hLN4vllm18Fp8KVCacheDataTypeE1EDF16_Li32ELi64ELi256ELb0ELi15EEvPKT_PKT0_S7_ifPKiS9_S9_iPKfiiiPfSC_PS2_PT2_iSB_SB_
; %bb.0:
	s_load_dwordx2 s[12:13], s[0:1], 0x30
	s_mov_b32 s28, s3
	s_mov_b64 s[6:7], 0
	s_waitcnt lgkmcnt(0)
	s_cmp_lg_u64 s[12:13], 0
	s_cselect_b64 s[14:15], -1, 0
	s_and_b64 vcc, exec, s[14:15]
	s_cbranch_vccz .LBB922_7
; %bb.1:
	s_add_i32 s8, s2, 1
	s_mov_b32 s9, 0
	s_lshl_b64 s[10:11], s[8:9], 2
	s_add_u32 s10, s12, s10
	s_mov_b32 s3, s9
	s_addc_u32 s11, s13, s11
	s_lshl_b64 s[8:9], s[2:3], 2
	s_add_u32 s8, s12, s8
	s_addc_u32 s9, s13, s9
	s_load_dword s5, s[10:11], 0x0
	s_load_dword s16, s[8:9], 0x0
	s_waitcnt lgkmcnt(0)
	s_sub_i32 s5, s5, s16
	s_cmp_eq_u32 s5, 1
	s_cselect_b64 s[8:9], -1, 0
	s_andn2_b64 vcc, exec, s[6:7]
	s_cbranch_vccnz .LBB922_3
.LBB922_2:
	s_mov_b32 s3, 0
	s_mov_b64 s[8:9], -1
.LBB922_3:
	s_andn2_b64 vcc, exec, s[8:9]
	s_cbranch_vccnz .LBB922_18
; %bb.4:
	s_load_dwordx2 s[6:7], s[0:1], 0x28
	s_lshl_b64 s[16:17], s[2:3], 2
	s_waitcnt lgkmcnt(0)
	s_add_u32 s6, s6, s16
	s_addc_u32 s7, s7, s17
	s_load_dword s33, s[6:7], 0x0
	s_lshl_b32 s5, s28, 8
	s_waitcnt lgkmcnt(0)
	s_cmp_ge_i32 s5, s33
	s_cbranch_scc1 .LBB922_18
; %bb.5:
	s_load_dwordx2 s[6:7], s[0:1], 0x20
	s_load_dword s8, s[0:1], 0x38
	s_add_i32 s9, s33, 31
	s_ashr_i32 s10, s9, 31
	v_and_b32_e32 v1, 0xcf, v0
	s_lshr_b32 s10, s10, 27
	v_add_u32_e32 v1, s5, v1
	s_add_i32 s9, s9, s10
	v_ashrrev_i32_e32 v2, 31, v1
	s_ashr_i32 s18, s9, 5
	v_lshrrev_b32_e32 v4, 27, v2
	s_add_i32 s18, s18, -1
	s_waitcnt lgkmcnt(0)
	s_mul_i32 s8, s2, s8
	s_mov_b32 s9, 0
	v_add_u32_e32 v2, v1, v4
	s_lshl_b64 s[8:9], s[8:9], 2
	v_ashrrev_i32_e32 v2, 5, v2
	v_mov_b32_e32 v5, s18
	v_cmp_gt_i32_e32 vcc, s33, v1
	s_add_u32 s6, s6, s8
	s_addc_u32 s7, s7, s9
	v_cndmask_b32_e32 v2, v5, v2, vcc
	v_ashrrev_i32_e32 v3, 31, v2
	v_lshl_add_u64 v[6:7], v[2:3], 2, s[6:7]
	v_or_b32_e32 v2, 16, v1
	v_add_u32_e32 v3, v2, v4
	v_ashrrev_i32_e32 v3, 5, v3
	v_cmp_gt_i32_e32 vcc, s33, v2
	s_load_dwordx4 s[8:11], s[0:1], 0x8
	s_nop 0
	v_cndmask_b32_e32 v2, v5, v3, vcc
	v_ashrrev_i32_e32 v3, 31, v2
	v_lshl_add_u64 v[8:9], v[2:3], 2, s[6:7]
	v_or_b32_e32 v2, 32, v1
	v_add_u32_e32 v3, v2, v4
	v_ashrrev_i32_e32 v3, 5, v3
	v_cmp_gt_i32_e32 vcc, s33, v2
	v_or_b32_e32 v1, 48, v1
	s_nop 0
	v_cndmask_b32_e32 v2, v5, v3, vcc
	v_ashrrev_i32_e32 v3, 31, v2
	v_lshl_add_u64 v[10:11], v[2:3], 2, s[6:7]
	v_add_u32_e32 v2, v1, v4
	v_ashrrev_i32_e32 v2, 5, v2
	v_cmp_gt_i32_e32 vcc, s33, v1
	s_nop 1
	v_cndmask_b32_e32 v2, v5, v2, vcc
	v_ashrrev_i32_e32 v3, 31, v2
	v_lshl_add_u64 v[14:15], v[2:3], 2, s[6:7]
	global_load_dword v2, v[6:7], off
	global_load_dword v5, v[8:9], off
	;; [unrolled: 1-line block ×4, first 2 shown]
	s_andn2_b64 vcc, exec, s[14:15]
	s_cbranch_vccnz .LBB922_8
; %bb.6:
	s_add_u32 s12, s12, s16
	s_addc_u32 s13, s13, s17
	s_load_dword s14, s[12:13], 0x0
	s_branch .LBB922_9
.LBB922_7:
	s_mov_b64 s[8:9], 0
	s_branch .LBB922_2
.LBB922_8:
	s_mov_b32 s14, s2
.LBB922_9:
	s_load_dwordx4 s[44:47], s[0:1], 0x48
	v_lshrrev_b32_e32 v29, 6, v0
	v_bfe_u32 v42, v0, 4, 2
	v_lshl_or_b32 v3, v29, 2, v42
	v_and_b32_e32 v28, 15, v0
	v_lshlrev_b32_e32 v1, 3, v28
	v_cmp_gt_u32_e32 vcc, 15, v3
	v_cmp_gt_u32_e64 s[30:31], 8, v28
	v_and_b32_e32 v43, 63, v0
	s_mul_i32 s48, s4, 15
	s_and_b64 s[16:17], s[30:31], vcc
	v_lshlrev_b32_e32 v26, 1, v1
	v_lshlrev_b32_e32 v1, 4, v0
	s_and_saveexec_b64 s[12:13], s[16:17]
	s_cbranch_execz .LBB922_11
; %bb.10:
	s_load_dwordx2 s[16:17], s[0:1], 0x0
	s_waitcnt lgkmcnt(0)
	s_ashr_i32 s15, s44, 31
	s_mul_hi_u32 s19, s14, s44
	s_mul_i32 s15, s14, s15
	s_add_i32 s15, s19, s15
	s_mul_i32 s14, s14, s44
	s_lshl_b64 s[14:15], s[14:15], 1
	s_add_u32 s14, s16, s14
	v_add_lshl_u32 v6, v3, s48, 6
	s_addc_u32 s15, s17, s15
	v_ashrrev_i32_e32 v7, 31, v6
	v_lshl_add_u64 v[6:7], v[6:7], 1, s[14:15]
	v_mov_b32_e32 v27, 0
	v_lshl_add_u64 v[6:7], v[6:7], 0, v[26:27]
	global_load_dwordx4 v[6:9], v[6:7], off
	v_lshlrev_b32_e32 v11, 8, v28
	v_lshlrev_b32_e32 v3, 5, v3
	v_and_b32_e32 v10, 16, v1
	v_and_b32_e32 v11, 0xe00, v11
	v_or3_b32 v3, v11, v3, v10
	s_waitcnt vmcnt(0)
	ds_write_b128 v3, v[6:9]
.LBB922_11:
	s_or_b64 exec, exec, s[12:13]
	s_waitcnt lgkmcnt(0)
	s_mul_i32 s4, s4, s46
	s_add_u32 s8, s8, s4
	s_addc_u32 s9, s9, 0
	v_mov_b32_e32 v31, 0
	v_mov_b64_e32 v[10:11], s[8:9]
	v_and_b32_e32 v8, 48, v0
	s_waitcnt vmcnt(3)
	v_mad_i64_i32 v[6:7], s[8:9], v2, s45, v[10:11]
	v_lshlrev_b32_e32 v2, 4, v28
	v_mov_b32_e32 v3, v31
	v_lshlrev_b32_e32 v30, 5, v8
	v_lshl_add_u64 v[6:7], v[6:7], 0, v[2:3]
	v_lshl_add_u64 v[6:7], v[6:7], 0, v[30:31]
	s_load_dword s29, s[0:1], 0x98
	s_load_dwordx4 s[40:43], s[0:1], 0x80
	s_waitcnt lgkmcnt(0)
	s_barrier
	global_load_dwordx4 v[14:17], v[6:7], off
	s_waitcnt vmcnt(3)
	v_mad_i64_i32 v[6:7], s[8:9], v5, s45, v[10:11]
	v_or_b32_e32 v32, 0x100, v2
	v_mov_b32_e32 v33, v31
	v_lshl_add_u64 v[6:7], v[6:7], 0, v[32:33]
	v_lshl_add_u64 v[6:7], v[6:7], 0, v[30:31]
	global_load_dwordx4 v[18:21], v[6:7], off
	s_ashr_i32 s8, s5, 31
	v_or_b32_e32 v13, s5, v8
	s_lshr_b32 s12, s8, 27
	v_add_u32_e32 v5, s12, v13
	v_ashrrev_i32_e32 v5, 5, v5
	v_mov_b32_e32 v35, s18
	v_cmp_gt_i32_e32 vcc, s33, v13
	v_or_b32_e32 v36, 64, v13
	v_or_b32_e32 v37, 0x80, v13
	v_cndmask_b32_e32 v8, v35, v5, vcc
	v_cmp_ne_u32_e32 vcc, 15, v28
	v_ashrrev_i32_e32 v9, 31, v8
	v_lshl_add_u64 v[8:9], v[8:9], 2, s[6:7]
	v_cndmask_b32_e32 v5, 0, v28, vcc
	v_lshlrev_b32_e32 v5, 5, v5
	v_lshl_or_b32 v34, v42, 9, v5
	s_waitcnt vmcnt(3)
	v_mad_i64_i32 v[4:5], s[8:9], v4, s45, v[10:11]
	v_lshl_add_u64 v[2:3], v[4:5], 0, v[2:3]
	v_lshl_add_u64 v[2:3], v[2:3], 0, v[30:31]
	global_load_dwordx4 v[22:25], v[2:3], off
	s_waitcnt vmcnt(3)
	v_mad_i64_i32 v[10:11], s[8:9], v12, s45, v[10:11]
	v_add_u32_e32 v12, s12, v36
	global_load_dword v45, v[8:9], off
	ds_read_b128 v[6:9], v34
	ds_read_b128 v[2:5], v34 offset:16
	v_add_u32_e32 v34, s12, v37
	v_lshl_add_u64 v[10:11], v[10:11], 0, v[32:33]
	v_ashrrev_i32_e32 v12, 5, v12
	v_cmp_gt_i32_e32 vcc, s33, v36
	v_or_b32_e32 v13, 0xc0, v13
	v_ashrrev_i32_e32 v33, 5, v34
	v_lshl_add_u64 v[10:11], v[10:11], 0, v[30:31]
	v_cndmask_b32_e32 v32, v35, v12, vcc
	v_cmp_gt_i32_e32 vcc, s33, v37
	v_add_u32_e32 v38, s12, v13
	v_ashrrev_i32_e32 v38, 5, v38
	v_cndmask_b32_e32 v34, v35, v33, vcc
	v_cmp_gt_i32_e32 vcc, s33, v13
	global_load_dwordx4 v[10:13], v[10:11], off
	v_ashrrev_i32_e32 v33, 31, v32
	v_cndmask_b32_e32 v36, v35, v38, vcc
	v_ashrrev_i32_e32 v37, 31, v36
	v_ashrrev_i32_e32 v35, 31, v34
	v_lshl_add_u64 v[32:33], v[32:33], 2, s[6:7]
	v_lshl_add_u64 v[36:37], v[36:37], 2, s[6:7]
	;; [unrolled: 1-line block ×3, first 2 shown]
	global_load_dword v44, v[32:33], off
	global_load_dword v34, v[40:41], off
	global_load_dword v35, v[36:37], off
	s_add_u32 s8, s10, s4
	v_lshlrev_b32_e32 v27, 5, v28
	s_addc_u32 s9, s11, 0
	v_and_b32_e32 v30, 16, v0
	v_lshl_add_u64 v[38:39], s[8:9], 0, v[30:31]
	v_lshl_or_b32 v30, v29, 9, v27
	v_lshl_add_u64 v[30:31], v[38:39], 0, v[30:31]
	s_load_dword s13, s[0:1], 0x1c
	s_load_dword s4, s[40:41], 0x0
	s_mov_b32 s44, 0xff7fffff
	s_waitcnt vmcnt(7)
	v_cvt_pk_f32_fp8_e32 v[32:33], v14
	v_cvt_pk_f32_fp8_sdwa v[36:37], v14 src0_sel:WORD_1
	v_cvt_pk_f32_fp8_e32 v[38:39], v15
	v_cvt_pk_f32_fp8_sdwa v[14:15], v15 src0_sel:WORD_1
	v_cvt_pkrtz_f16_f32 v32, v32, v33
	v_cvt_pkrtz_f16_f32 v33, v36, v37
	v_cvt_pk_f32_fp8_e32 v[40:41], v16
	v_cvt_pk_f32_fp8_sdwa v[46:47], v16 src0_sel:WORD_1
	v_cvt_pkrtz_f16_f32 v50, v38, v39
	v_cvt_pkrtz_f16_f32 v51, v14, v15
	s_waitcnt lgkmcnt(0)
	v_mfma_f32_16x16x16_f16 v[36:39], v[32:33], v[6:7], 0
	v_cvt_pk_f32_fp8_e32 v[48:49], v17
	v_cvt_pk_f32_fp8_sdwa v[16:17], v17 src0_sel:WORD_1
	v_cvt_pkrtz_f16_f32 v32, v40, v41
	v_cvt_pkrtz_f16_f32 v33, v46, v47
	v_mfma_f32_16x16x16_f16 v[36:39], v[50:51], v[8:9], v[36:39]
	v_cvt_pkrtz_f16_f32 v40, v48, v49
	v_cvt_pkrtz_f16_f32 v41, v16, v17
	s_waitcnt vmcnt(6)
	v_cvt_pk_f32_fp8_e32 v[16:17], v18
	v_mfma_f32_16x16x16_f16 v[36:39], v[32:33], v[2:3], v[36:39]
	v_cvt_pk_f32_fp8_sdwa v[32:33], v18 src0_sel:WORD_1
	v_cvt_pk_f32_fp8_sdwa v[46:47], v20 src0_sel:WORD_1
	v_cvt_pkrtz_f16_f32 v16, v16, v17
	v_mfma_f32_16x16x16_f16 v[36:39], v[40:41], v[4:5], v[36:39]
	v_cvt_pk_f32_fp8_e32 v[40:41], v19
	v_cvt_pkrtz_f16_f32 v17, v32, v33
	v_cvt_pk_f32_fp8_sdwa v[18:19], v19 src0_sel:WORD_1
	v_cvt_pkrtz_f16_f32 v32, v40, v41
	v_cvt_pk_f32_fp8_e32 v[40:41], v20
	v_cvt_pkrtz_f16_f32 v33, v18, v19
	v_mfma_f32_16x16x16_f16 v[16:19], v[16:17], v[6:7], 0
	s_waitcnt vmcnt(5)
	v_cvt_pk_f32_fp8_e32 v[52:53], v25
	v_cvt_pkrtz_f16_f32 v40, v40, v41
	v_cvt_pkrtz_f16_f32 v41, v46, v47
	v_cvt_pk_f32_fp8_e32 v[46:47], v21
	v_cvt_pk_f32_fp8_sdwa v[20:21], v21 src0_sel:WORD_1
	v_mfma_f32_16x16x16_f16 v[16:19], v[32:33], v[8:9], v[16:19]
	s_waitcnt vmcnt(4)
	v_mad_i64_i32 v[14:15], s[6:7], v45, s45, v[30:31]
	v_cvt_pkrtz_f16_f32 v32, v46, v47
	v_cvt_pkrtz_f16_f32 v33, v20, v21
	v_mfma_f32_16x16x16_f16 v[16:19], v[40:41], v[2:3], v[16:19]
	v_cvt_pk_f32_fp8_e32 v[20:21], v22
	v_cvt_pk_f32_fp8_sdwa v[40:41], v22 src0_sel:WORD_1
	v_cvt_pk_f32_fp8_sdwa v[46:47], v24 src0_sel:WORD_1
	v_mfma_f32_16x16x16_f16 v[16:19], v[32:33], v[4:5], v[16:19]
	v_cvt_pk_f32_fp8_e32 v[32:33], v23
	v_cvt_pkrtz_f16_f32 v20, v20, v21
	v_cvt_pkrtz_f16_f32 v21, v40, v41
	v_cvt_pk_f32_fp8_sdwa v[22:23], v23 src0_sel:WORD_1
	v_cvt_pkrtz_f16_f32 v32, v32, v33
	v_cvt_pk_f32_fp8_e32 v[40:41], v24
	v_cvt_pk_f32_fp8_sdwa v[24:25], v25 src0_sel:WORD_1
	v_cvt_pkrtz_f16_f32 v33, v22, v23
	v_mfma_f32_16x16x16_f16 v[20:23], v[20:21], v[6:7], 0
	v_cvt_pkrtz_f16_f32 v40, v40, v41
	v_cvt_pkrtz_f16_f32 v41, v46, v47
	v_mov_b32_e32 v45, s13
	v_mfma_f32_16x16x16_f16 v[46:49], v[32:33], v[8:9], v[20:23]
	v_mul_f32_e32 v50, s4, v45
	v_cvt_pkrtz_f16_f32 v32, v52, v53
	v_cvt_pkrtz_f16_f32 v33, v24, v25
	v_pk_mul_f32 v[22:23], v[50:51], v[38:39] op_sel_hi:[0,1]
	v_mfma_f32_16x16x16_f16 v[38:41], v[40:41], v[2:3], v[46:49]
	v_pk_mul_f32 v[20:21], v[50:51], v[36:37] op_sel_hi:[0,1]
	s_waitcnt vmcnt(3)
	v_cvt_pk_f32_fp8_e32 v[24:25], v10
	v_cvt_pk_f32_fp8_sdwa v[36:37], v10 src0_sel:WORD_1
	v_mfma_f32_16x16x16_f16 v[46:49], v[32:33], v[4:5], v[38:41]
	v_cvt_pk_f32_fp8_e32 v[32:33], v11
	v_cvt_pkrtz_f16_f32 v24, v24, v25
	v_cvt_pkrtz_f16_f32 v25, v36, v37
	v_cvt_pk_f32_fp8_sdwa v[10:11], v11 src0_sel:WORD_1
	v_cvt_pkrtz_f16_f32 v32, v32, v33
	v_cvt_pk_f32_fp8_e32 v[40:41], v12
	v_cvt_pk_f32_fp8_sdwa v[52:53], v12 src0_sel:WORD_1
	v_cvt_pkrtz_f16_f32 v33, v10, v11
	v_mfma_f32_16x16x16_f16 v[36:39], v[24:25], v[6:7], 0
	v_cvt_pkrtz_f16_f32 v10, v40, v41
	v_cvt_pkrtz_f16_f32 v11, v52, v53
	v_cvt_pk_f32_fp8_e32 v[24:25], v13
	v_cvt_pk_f32_fp8_sdwa v[12:13], v13 src0_sel:WORD_1
	v_mfma_f32_16x16x16_f16 v[6:9], v[32:33], v[8:9], v[36:39]
	v_pk_mul_f32 v[40:41], v[50:51], v[16:17] op_sel_hi:[0,1]
	v_pk_mul_f32 v[32:33], v[50:51], v[48:49] op_sel_hi:[0,1]
	s_nop 0
	v_pk_mul_f32 v[36:37], v[50:51], v[18:19] op_sel_hi:[0,1]
	v_cvt_pkrtz_f16_f32 v18, v24, v25
	v_cvt_pkrtz_f16_f32 v19, v12, v13
	v_mfma_f32_16x16x16_f16 v[6:9], v[10:11], v[2:3], v[6:9]
	v_pk_mul_f32 v[38:39], v[50:51], v[46:47] op_sel_hi:[0,1]
	v_mfma_f32_16x16x16_f16 v[2:5], v[18:19], v[4:5], v[6:9]
	s_nop 6
	v_pk_mul_f32 v[24:25], v[50:51], v[2:3] op_sel_hi:[0,1]
	v_and_b32_e32 v2, 0xc0, v0
	v_add_u32_e32 v2, s5, v2
	v_lshl_or_b32 v2, v42, 2, v2
	v_pk_mul_f32 v[18:19], v[50:51], v[4:5] op_sel_hi:[0,1]
	v_or_b32_e32 v5, 1, v2
	v_mov_b32_e32 v3, 0xff7fffff
	v_cmp_gt_i32_e64 s[4:5], s33, v2
	v_cmp_gt_i32_e64 s[34:35], s33, v5
	v_or_b32_e32 v6, 3, v2
	v_cndmask_b32_e64 v4, v3, v20, s[4:5]
	v_cndmask_b32_e64 v5, v3, v21, s[34:35]
	v_max3_f32 v4, v4, s44, v5
	v_or_b32_e32 v5, 2, v2
	v_cmp_gt_i32_e64 s[36:37], s33, v5
	v_cmp_gt_i32_e64 s[38:39], s33, v6
	s_nop 0
	v_cndmask_b32_e64 v5, v3, v22, s[36:37]
	v_cndmask_b32_e64 v6, v3, v23, s[38:39]
	v_max3_f32 v4, v4, v5, v6
	v_or_b32_e32 v5, 16, v2
	v_or_b32_e32 v6, 17, v2
	v_cmp_gt_i32_e64 s[24:25], s33, v5
	v_cmp_gt_i32_e64 s[26:27], s33, v6
	s_nop 0
	v_cndmask_b32_e64 v5, v3, v40, s[24:25]
	v_cndmask_b32_e64 v6, v3, v41, s[26:27]
	v_max3_f32 v4, v4, v5, v6
	v_or_b32_e32 v5, 18, v2
	;; [unrolled: 8-line block ×6, first 2 shown]
	v_or_b32_e32 v2, 51, v2
	v_cmp_gt_i32_e32 vcc, s33, v5
	v_cmp_gt_i32_e64 s[6:7], s33, v2
	s_nop 0
	v_cndmask_b32_e32 v5, v3, v18, vcc
	v_cndmask_b32_e64 v2, v3, v19, s[6:7]
	v_max3_f32 v4, v4, v5, v2
	v_mbcnt_lo_u32_b32 v2, -1, 0
	v_mbcnt_hi_u32_b32 v5, -1, v2
	v_and_b32_e32 v2, 64, v5
	v_add_u32_e32 v6, 64, v2
	v_xor_b32_e32 v2, 32, v5
	v_cmp_lt_i32_e64 s[40:41], v2, v6
	s_nop 1
	v_cndmask_b32_e64 v2, v5, v2, s[40:41]
	v_lshlrev_b32_e32 v45, 2, v2
	ds_bpermute_b32 v7, v45, v4
	s_waitcnt vmcnt(2)
	v_mad_i64_i32 v[2:3], s[40:41], v44, s45, v[30:31]
	global_load_dwordx4 v[14:17], v[14:15], off
	s_nop 0
	global_load_dwordx4 v[10:13], v[2:3], off
	v_xor_b32_e32 v3, 16, v5
	v_cmp_lt_i32_e64 s[40:41], v3, v6
	s_waitcnt lgkmcnt(0)
	v_max_f32_e32 v2, v7, v7
	v_max_f32_e32 v2, v4, v2
	v_cndmask_b32_e64 v3, v5, v3, s[40:41]
	v_lshlrev_b32_e32 v48, 2, v3
	ds_bpermute_b32 v3, v48, v2
	s_waitcnt vmcnt(3)
	v_mad_i64_i32 v[46:47], s[40:41], v34, s45, v[30:31]
	s_waitcnt vmcnt(2)
	v_mad_i64_i32 v[30:31], s[40:41], v35, s45, v[30:31]
	s_waitcnt lgkmcnt(0)
	v_max_f32_e32 v3, v3, v3
	v_max_f32_e32 v44, v2, v3
	v_sub_f32_e32 v2, v20, v44
	v_mul_f32_e32 v2, 0x3fb8aa3b, v2
	v_exp_f32_e32 v20, v2
	v_sub_f32_e32 v2, v21, v44
	v_mul_f32_e32 v2, 0x3fb8aa3b, v2
	v_exp_f32_e32 v21, v2
	global_load_dwordx4 v[6:9], v[46:47], off
	global_load_dwordx4 v[2:5], v[30:31], off
	v_sub_f32_e32 v22, v22, v44
	v_mul_f32_e32 v22, 0x3fb8aa3b, v22
	v_sub_f32_e32 v23, v23, v44
	v_exp_f32_e32 v22, v22
	v_mul_f32_e32 v23, 0x3fb8aa3b, v23
	v_exp_f32_e32 v23, v23
	v_cndmask_b32_e64 v20, 0, v20, s[4:5]
	v_add_f32_e32 v30, 0, v20
	v_cndmask_b32_e64 v21, 0, v21, s[34:35]
	v_add_f32_e32 v30, v30, v21
	;; [unrolled: 2-line block ×3, first 2 shown]
	v_cndmask_b32_e64 v35, 0, v23, s[38:39]
	v_sub_f32_e32 v23, v40, v44
	v_sub_f32_e32 v30, v41, v44
	v_mul_f32_e32 v23, 0x3fb8aa3b, v23
	v_mul_f32_e32 v30, 0x3fb8aa3b, v30
	v_exp_f32_e32 v23, v23
	v_exp_f32_e32 v30, v30
	v_add_f32_e32 v31, v22, v35
	v_sub_f32_e32 v32, v32, v44
	v_cndmask_b32_e64 v22, 0, v23, s[24:25]
	v_cndmask_b32_e64 v23, 0, v30, s[26:27]
	v_sub_f32_e32 v30, v36, v44
	v_mul_f32_e32 v30, 0x3fb8aa3b, v30
	v_exp_f32_e32 v30, v30
	v_sub_f32_e32 v36, v37, v44
	v_add_f32_e32 v31, v31, v22
	v_mul_f32_e32 v36, 0x3fb8aa3b, v36
	v_exp_f32_e32 v37, v36
	v_add_f32_e32 v31, v31, v23
	v_cndmask_b32_e64 v36, 0, v30, s[20:21]
	v_add_f32_e32 v30, v31, v36
	v_sub_f32_e32 v31, v38, v44
	v_mul_f32_e32 v31, 0x3fb8aa3b, v31
	v_sub_f32_e32 v38, v39, v44
	v_exp_f32_e32 v31, v31
	v_mul_f32_e32 v38, 0x3fb8aa3b, v38
	v_exp_f32_e32 v38, v38
	v_mul_f32_e32 v32, 0x3fb8aa3b, v32
	v_sub_f32_e32 v33, v33, v44
	v_exp_f32_e32 v32, v32
	v_mul_f32_e32 v33, 0x3fb8aa3b, v33
	v_sub_f32_e32 v24, v24, v44
	v_cndmask_b32_e64 v37, 0, v37, s[22:23]
	v_exp_f32_e32 v33, v33
	v_mul_f32_e32 v24, 0x3fb8aa3b, v24
	v_sub_f32_e32 v25, v25, v44
	v_add_f32_e32 v39, v30, v37
	v_cndmask_b32_e64 v30, 0, v31, s[16:17]
	v_exp_f32_e32 v24, v24
	v_mul_f32_e32 v25, 0x3fb8aa3b, v25
	v_sub_f32_e32 v18, v18, v44
	v_add_f32_e32 v39, v39, v30
	;; [unrolled: 5-line block ×3, first 2 shown]
	v_cndmask_b32_e64 v32, 0, v32, s[12:13]
	v_exp_f32_e32 v18, v18
	v_mul_f32_e32 v19, 0x3fb8aa3b, v19
	v_add_f32_e32 v38, v38, v32
	v_cndmask_b32_e64 v33, 0, v33, s[14:15]
	v_exp_f32_e32 v19, v19
	v_add_f32_e32 v38, v38, v33
	v_cndmask_b32_e64 v24, 0, v24, s[8:9]
	v_add_f32_e32 v38, v38, v24
	v_cndmask_b32_e64 v25, 0, v25, s[10:11]
	v_add_f32_e32 v38, v38, v25
	v_cndmask_b32_e32 v18, 0, v18, vcc
	v_add_f32_e32 v38, v38, v18
	v_cndmask_b32_e64 v19, 0, v19, s[6:7]
	v_add_f32_e32 v38, v38, v19
	ds_bpermute_b32 v39, v45, v38
	v_cmp_gt_u32_e32 vcc, 16, v43
	s_waitcnt lgkmcnt(0)
	s_barrier
	v_add_f32_e32 v38, v38, v39
	ds_bpermute_b32 v40, v48, v38
	v_lshlrev_b32_e32 v39, 2, v28
	s_and_saveexec_b64 s[4:5], vcc
	s_cbranch_execz .LBB922_13
; %bb.12:
	s_waitcnt lgkmcnt(0)
	v_add_f32_e32 v38, v38, v40
	v_lshl_or_b32 v40, v29, 6, v39
	ds_write2st64_b32 v40, v44, v38 offset1:1
.LBB922_13:
	s_or_b64 exec, exec, s[4:5]
	s_load_dword s6, s[0:1], 0x94
	s_waitcnt lgkmcnt(0)
	s_barrier
	ds_read2_b32 v[40:41], v39 offset1:16
	ds_read2_b32 v[44:45], v39 offset0:32 offset1:48
	ds_read2_b32 v[46:47], v39 offset0:64 offset1:80
	s_mul_i32 s7, s29, 15
	s_waitcnt lgkmcnt(2)
	v_max3_f32 v38, v40, s44, v41
	s_waitcnt lgkmcnt(1)
	v_max3_f32 v38, v38, v44, v45
	v_sub_f32_e32 v40, v40, v38
	v_mul_f32_e32 v40, 0x3fb8aa3b, v40
	v_exp_f32_e32 v43, v40
	v_sub_f32_e32 v40, v41, v38
	v_mul_f32_e32 v40, 0x3fb8aa3b, v40
	v_exp_f32_e32 v48, v40
	;; [unrolled: 3-line block ×3, first 2 shown]
	ds_read2_b32 v[40:41], v39 offset0:96 offset1:112
	v_sub_f32_e32 v39, v45, v38
	v_mul_f32_e32 v39, 0x3fb8aa3b, v39
	v_exp_f32_e32 v45, v39
	s_waitcnt lgkmcnt(1)
	v_fma_f32 v39, v43, v46, 0
	v_fmac_f32_e32 v39, v48, v47
	s_waitcnt lgkmcnt(0)
	v_fmac_f32_e32 v39, v44, v40
	v_fmac_f32_e32 v39, v45, v41
	v_add_f32_e32 v40, 0x358637bd, v39
	v_div_scale_f32 v41, s[4:5], v40, v40, 1.0
	v_rcp_f32_e32 v46, v41
	s_barrier
	v_fma_f32 v47, -v41, v46, 1.0
	v_fmac_f32_e32 v46, v47, v46
	v_div_scale_f32 v47, vcc, 1.0, v40, 1.0
	v_mul_f32_e32 v49, v47, v46
	v_fma_f32 v50, -v41, v49, v47
	v_fmac_f32_e32 v49, v50, v46
	v_fma_f32 v41, -v41, v49, v47
	v_div_fmas_f32 v41, v41, v46, v49
	v_cmp_eq_u32_e32 vcc, 1, v29
	v_div_fixup_f32 v40, v41, v40, 1.0
	s_nop 0
	v_cndmask_b32_e32 v41, v43, v48, vcc
	v_cmp_eq_u32_e32 vcc, 2, v29
	s_nop 1
	v_cndmask_b32_e32 v41, v41, v44, vcc
	v_cmp_eq_u32_e32 vcc, 3, v29
	s_nop 1
	v_cndmask_b32_e32 v41, v41, v45, vcc
	v_mul_f32_e32 v40, v41, v40
	v_pk_mul_f32 v[34:35], v[40:41], v[34:35] op_sel_hi:[0,1]
	v_pk_mul_f32 v[20:21], v[40:41], v[20:21] op_sel_hi:[0,1]
	v_cvt_f16_f32_e32 v41, v34
	v_cvt_f16_f32_e32 v35, v35
	;; [unrolled: 1-line block ×4, first 2 shown]
	v_cmp_gt_u32_e32 vcc, 15, v0
	v_pack_b32_f16 v35, v41, v35
	v_lshlrev_b32_e32 v41, 3, v42
	v_pack_b32_f16 v34, v20, v21
	v_pk_mul_f32 v[20:21], v[40:41], v[36:37] op_sel_hi:[0,1]
	v_pk_mul_f32 v[22:23], v[40:41], v[22:23] op_sel_hi:[0,1]
	v_cvt_f16_f32_e32 v22, v22
	v_cvt_f16_f32_e32 v23, v23
	;; [unrolled: 1-line block ×4, first 2 shown]
	v_lshlrev_b32_e32 v20, 11, v29
	v_or3_b32 v20, v20, v27, v41
	v_pack_b32_f16 v22, v22, v23
	v_pack_b32_f16 v23, v36, v21
	ds_write2st64_b64 v20, v[34:35], v[22:23] offset1:1
	v_pk_mul_f32 v[22:23], v[40:41], v[32:33] op_sel_hi:[0,1]
	v_pk_mul_f32 v[30:31], v[40:41], v[30:31] op_sel_hi:[0,1]
	v_cvt_f16_f32_e32 v21, v30
	v_cvt_f16_f32_e32 v29, v31
	;; [unrolled: 1-line block ×4, first 2 shown]
	v_pk_mul_f32 v[18:19], v[40:41], v[18:19] op_sel_hi:[0,1]
	v_pk_mul_f32 v[22:23], v[40:41], v[24:25] op_sel_hi:[0,1]
	v_cvt_f16_f32_e32 v22, v22
	v_cvt_f16_f32_e32 v23, v23
	;; [unrolled: 1-line block ×4, first 2 shown]
	v_pack_b32_f16 v18, v21, v29
	v_pack_b32_f16 v19, v30, v31
	;; [unrolled: 1-line block ×4, first 2 shown]
	ds_write2st64_b64 v20, v[18:19], v[22:23] offset0:2 offset1:3
	s_and_saveexec_b64 s[4:5], vcc
	s_cbranch_execz .LBB922_15
; %bb.14:
	s_mov_b32 s49, 0
	v_mov_b32_e32 v29, 0
	v_lshl_add_u64 v[18:19], s[48:49], 0, v[28:29]
	v_mov_b32_e32 v21, s7
	v_mad_u64_u32 v[18:19], s[12:13], s2, v21, v[18:19]
	s_mul_i32 s3, s3, s7
	v_mov_b32_e32 v28, s28
	s_load_dwordx4 s[8:11], s[0:1], 0x58
	v_add_u32_e32 v21, s3, v19
	v_mad_u64_u32 v[18:19], s[12:13], v18, s6, v[28:29]
	v_mov_b32_e32 v22, v19
	v_mad_u64_u32 v[22:23], s[12:13], v21, s6, v[22:23]
	v_mov_b32_e32 v19, v22
	v_lshlrev_b64 v[18:19], 2, v[18:19]
	s_waitcnt lgkmcnt(0)
	v_lshl_add_u64 v[22:23], s[10:11], 0, v[18:19]
	v_lshl_add_u64 v[18:19], s[8:9], 0, v[18:19]
	global_store_dword v[22:23], v38, off
	global_store_dword v[18:19], v39, off
.LBB922_15:
	s_or_b64 exec, exec, s[4:5]
	s_waitcnt vmcnt(3)
	v_cvt_pk_f32_fp8_e32 v[18:19], v14
	v_cvt_pk_f32_fp8_sdwa v[22:23], v14 src0_sel:WORD_1
	v_cvt_pk_f32_fp8_e32 v[24:25], v15
	v_lshl_or_b32 v14, v42, 9, v27
	s_waitcnt lgkmcnt(0)
	s_barrier
	v_cvt_pkrtz_f16_f32 v18, v18, v19
	v_cvt_pkrtz_f16_f32 v19, v22, v23
	v_cvt_pk_f32_fp8_sdwa v[28:29], v15 src0_sel:WORD_1
	v_cvt_pkrtz_f16_f32 v36, v24, v25
	ds_read_b128 v[22:25], v14
	v_cvt_pk_f32_fp8_e32 v[38:39], v16
	v_cvt_pkrtz_f16_f32 v37, v28, v29
	ds_read_b128 v[28:31], v14 offset:16
	v_cvt_pk_f32_fp8_sdwa v[40:41], v16 src0_sel:WORD_1
	s_waitcnt lgkmcnt(1)
	v_mfma_f32_16x16x16_f16 v[32:35], v[18:19], v[22:23], 0
	v_cvt_pkrtz_f16_f32 v18, v38, v39
	v_cvt_pk_f32_fp8_e32 v[38:39], v17
	v_cvt_pkrtz_f16_f32 v19, v40, v41
	v_mfma_f32_16x16x16_f16 v[22:25], v[36:37], v[24:25], v[32:35]
	s_waitcnt vmcnt(2)
	v_cvt_pk_f32_fp8_sdwa v[36:37], v12 src0_sel:WORD_1
	s_load_dword s4, s[42:43], 0x0
	v_cmp_gt_u32_e32 vcc, 64, v0
	v_cvt_pk_f32_fp8_sdwa v[32:33], v17 src0_sel:WORD_1
	v_cvt_pkrtz_f16_f32 v34, v38, v39
	s_waitcnt lgkmcnt(0)
	v_mfma_f32_16x16x16_f16 v[16:19], v[18:19], v[28:29], v[22:25]
	v_cvt_pk_f32_fp8_e32 v[28:29], v11
	v_cvt_pkrtz_f16_f32 v35, v32, v33
	s_mov_b32 s3, 0
	v_cvt_pk_f32_fp8_e32 v[22:23], v10
	v_cvt_pk_f32_fp8_sdwa v[24:25], v10 src0_sel:WORD_1
	v_mfma_f32_16x16x16_f16 v[16:19], v[34:35], v[30:31], v[16:19]
	v_cvt_pkrtz_f16_f32 v10, v22, v23
	v_cvt_pk_f32_fp8_sdwa v[30:31], v11 src0_sel:WORD_1
	v_cvt_pkrtz_f16_f32 v11, v24, v25
	ds_read_b128 v[22:25], v14 offset:2048
	v_cvt_pkrtz_f16_f32 v32, v28, v29
	v_cvt_pkrtz_f16_f32 v33, v30, v31
	ds_read_b128 v[28:31], v14 offset:2064
	v_cvt_pk_f32_fp8_e32 v[34:35], v12
	s_waitcnt lgkmcnt(1)
	v_mfma_f32_16x16x16_f16 v[16:19], v[10:11], v[22:23], v[16:19]
	v_cvt_pkrtz_f16_f32 v11, v36, v37
	v_cvt_pk_f32_fp8_e32 v[22:23], v13
	v_cvt_pkrtz_f16_f32 v10, v34, v35
	v_mfma_f32_16x16x16_f16 v[16:19], v[32:33], v[24:25], v[16:19]
	v_cvt_pk_f32_fp8_sdwa v[24:25], v13 src0_sel:WORD_1
	v_cvt_pkrtz_f16_f32 v22, v22, v23
	s_waitcnt vmcnt(1)
	v_cvt_pk_f32_fp8_sdwa v[32:33], v8 src0_sel:WORD_1
	s_waitcnt lgkmcnt(0)
	v_mfma_f32_16x16x16_f16 v[10:13], v[10:11], v[28:29], v[16:19]
	v_cvt_pkrtz_f16_f32 v23, v24, v25
	v_cvt_pk_f32_fp8_sdwa v[24:25], v7 src0_sel:WORD_1
	v_mov_b32_e32 v27, 0
	v_cvt_pk_f32_fp8_e32 v[16:17], v6
	v_cvt_pk_f32_fp8_sdwa v[18:19], v6 src0_sel:WORD_1
	v_mfma_f32_16x16x16_f16 v[10:13], v[22:23], v[30:31], v[10:13]
	v_cvt_pk_f32_fp8_e32 v[22:23], v7
	v_cvt_pkrtz_f16_f32 v6, v16, v17
	v_cvt_pkrtz_f16_f32 v7, v18, v19
	ds_read_b128 v[16:19], v14 offset:4096
	v_cvt_pkrtz_f16_f32 v28, v22, v23
	v_cvt_pkrtz_f16_f32 v29, v24, v25
	ds_read_b128 v[22:25], v14 offset:4112
	v_cvt_pk_f32_fp8_e32 v[30:31], v8
	s_waitcnt lgkmcnt(1)
	v_mfma_f32_16x16x16_f16 v[10:13], v[6:7], v[16:17], v[10:13]
	v_cvt_pkrtz_f16_f32 v7, v32, v33
	v_cvt_pk_f32_fp8_e32 v[16:17], v9
	v_cvt_pkrtz_f16_f32 v6, v30, v31
	v_mfma_f32_16x16x16_f16 v[10:13], v[28:29], v[18:19], v[10:13]
	v_cvt_pk_f32_fp8_sdwa v[18:19], v9 src0_sel:WORD_1
	v_cvt_pkrtz_f16_f32 v16, v16, v17
	v_cvt_pkrtz_f16_f32 v17, v18, v19
	s_waitcnt lgkmcnt(0)
	v_mfma_f32_16x16x16_f16 v[6:9], v[6:7], v[22:23], v[10:13]
	s_waitcnt vmcnt(0)
	v_cvt_pk_f32_fp8_sdwa v[18:19], v3 src0_sel:WORD_1
	s_nop 0
	v_cvt_pkrtz_f16_f32 v23, v18, v19
	v_cvt_pk_f32_fp8_e32 v[10:11], v2
	v_cvt_pk_f32_fp8_sdwa v[12:13], v2 src0_sel:WORD_1
	v_mfma_f32_16x16x16_f16 v[6:9], v[16:17], v[24:25], v[6:9]
	v_cvt_pk_f32_fp8_e32 v[16:17], v3
	v_cvt_pkrtz_f16_f32 v2, v10, v11
	v_cvt_pkrtz_f16_f32 v3, v12, v13
	ds_read_b128 v[10:13], v14 offset:6144
	v_cvt_pkrtz_f16_f32 v22, v16, v17
	v_cvt_pk_f32_fp8_e32 v[18:19], v4
	v_cvt_pk_f32_fp8_sdwa v[24:25], v4 src0_sel:WORD_1
	s_waitcnt lgkmcnt(0)
	v_mfma_f32_16x16x16_f16 v[6:9], v[2:3], v[10:11], v[6:9]
	ds_read_b128 v[14:17], v14 offset:6160
	v_cvt_pkrtz_f16_f32 v2, v18, v19
	v_cvt_pkrtz_f16_f32 v3, v24, v25
	v_cvt_pk_f32_fp8_e32 v[10:11], v5
	v_mfma_f32_16x16x16_f16 v[6:9], v[22:23], v[12:13], v[6:9]
	v_cvt_pk_f32_fp8_sdwa v[12:13], v5 src0_sel:WORD_1
	s_waitcnt lgkmcnt(0)
	v_cvt_pkrtz_f16_f32 v10, v10, v11
	v_mfma_f32_16x16x16_f16 v[2:5], v[2:3], v[14:15], v[6:9]
	v_cvt_pkrtz_f16_f32 v11, v12, v13
	s_barrier
	s_nop 0
	v_mfma_f32_16x16x16_f16 v[2:5], v[10:11], v[16:17], v[2:5]
	s_nop 6
	v_pk_mul_f32 v[4:5], v[4:5], s[4:5] op_sel_hi:[1,0]
	v_pk_mul_f32 v[2:3], v[2:3], s[4:5] op_sel_hi:[1,0]
	v_cvt_f16_f32_e32 v4, v4
	v_cvt_f16_f32_e32 v2, v2
	;; [unrolled: 1-line block ×4, first 2 shown]
	s_and_b64 s[4:5], vcc, s[30:31]
	v_pack_b32_f16 v2, v2, v3
	v_pack_b32_f16 v3, v4, v5
	ds_write_b64 v20, v[2:3]
	s_waitcnt lgkmcnt(0)
	s_barrier
	s_and_saveexec_b64 s[8:9], s[4:5]
	s_cbranch_execz .LBB922_18
; %bb.16:
	s_load_dwordx2 s[4:5], s[0:1], 0x68
	s_lshl_b32 s0, s6, 6
	s_mul_i32 s1, s7, s2
	s_mul_hi_u32 s7, s1, s0
	s_mul_i32 s6, s1, s0
	v_lshlrev_b32_e32 v0, 10, v0
	s_lshl_b64 s[6:7], s[6:7], 1
	v_and_b32_e32 v0, 0x1800, v0
	v_lshlrev_b32_e32 v2, 5, v42
	v_and_b32_e32 v1, 16, v1
	s_waitcnt lgkmcnt(0)
	s_add_u32 s1, s4, s6
	v_or3_b32 v2, v0, v2, v1
	s_addc_u32 s4, s5, s7
	s_lshl_b32 s2, s28, 6
	ds_read_b128 v[4:7], v2 offset:256
	s_lshl_b64 s[2:3], s[2:3], 1
	ds_read_b128 v[8:11], v2 offset:128
	ds_read_b128 v[12:15], v2
	s_add_u32 s2, s1, s2
	s_addc_u32 s3, s4, s3
	v_add_u32_e32 v3, s48, v42
	v_lshl_add_u64 v[0:1], s[2:3], 0, v[26:27]
	v_mad_u64_u32 v[16:17], s[2:3], v3, s0, 0
	v_lshl_add_u64 v[16:17], v[16:17], 1, v[0:1]
	s_waitcnt lgkmcnt(0)
	global_store_dwordx4 v[16:17], v[12:15], off
	v_cmp_ne_u32_e32 vcc, 3, v42
	s_nop 0
	v_add_u32_e32 v12, 4, v3
	v_mad_u64_u32 v[12:13], s[2:3], v12, s0, 0
	v_lshl_add_u64 v[12:13], v[12:13], 1, v[0:1]
	v_add_u32_e32 v3, 8, v3
	global_store_dwordx4 v[12:13], v[8:11], off
	s_nop 1
	v_mad_u64_u32 v[8:9], s[2:3], v3, s0, 0
	v_lshl_add_u64 v[8:9], v[8:9], 1, v[0:1]
	global_store_dwordx4 v[8:9], v[4:7], off
	s_and_b64 exec, exec, vcc
	s_cbranch_execz .LBB922_18
; %bb.17:
	ds_read_b128 v[2:5], v2 offset:384
	v_add3_u32 v6, s48, v42, 12
	v_mad_u64_u32 v[6:7], s[0:1], v6, s0, 0
	v_lshl_add_u64 v[0:1], v[6:7], 1, v[0:1]
	s_waitcnt lgkmcnt(0)
	global_store_dwordx4 v[0:1], v[2:5], off
.LBB922_18:
	s_endpgm
	.section	.rodata,"a",@progbits
	.p2align	6, 0x0
	.amdhsa_kernel _Z39paged_attention_ll4mi_QKV_mfma16_kernelIDF16_hLN4vllm18Fp8KVCacheDataTypeE1EDF16_Li32ELi64ELi256ELb0ELi15EEvPKT_PKT0_S7_ifPKiS9_S9_iPKfiiiPfSC_PS2_PT2_iSB_SB_
		.amdhsa_group_segment_fixed_size 8192
		.amdhsa_private_segment_fixed_size 0
		.amdhsa_kernarg_size 400
		.amdhsa_user_sgpr_count 2
		.amdhsa_user_sgpr_dispatch_ptr 0
		.amdhsa_user_sgpr_queue_ptr 0
		.amdhsa_user_sgpr_kernarg_segment_ptr 1
		.amdhsa_user_sgpr_dispatch_id 0
		.amdhsa_user_sgpr_kernarg_preload_length 0
		.amdhsa_user_sgpr_kernarg_preload_offset 0
		.amdhsa_user_sgpr_private_segment_size 0
		.amdhsa_uses_dynamic_stack 0
		.amdhsa_enable_private_segment 0
		.amdhsa_system_sgpr_workgroup_id_x 1
		.amdhsa_system_sgpr_workgroup_id_y 1
		.amdhsa_system_sgpr_workgroup_id_z 1
		.amdhsa_system_sgpr_workgroup_info 0
		.amdhsa_system_vgpr_workitem_id 0
		.amdhsa_next_free_vgpr 54
		.amdhsa_next_free_sgpr 50
		.amdhsa_accum_offset 56
		.amdhsa_reserve_vcc 1
		.amdhsa_float_round_mode_32 0
		.amdhsa_float_round_mode_16_64 0
		.amdhsa_float_denorm_mode_32 3
		.amdhsa_float_denorm_mode_16_64 3
		.amdhsa_dx10_clamp 1
		.amdhsa_ieee_mode 1
		.amdhsa_fp16_overflow 0
		.amdhsa_tg_split 0
		.amdhsa_exception_fp_ieee_invalid_op 0
		.amdhsa_exception_fp_denorm_src 0
		.amdhsa_exception_fp_ieee_div_zero 0
		.amdhsa_exception_fp_ieee_overflow 0
		.amdhsa_exception_fp_ieee_underflow 0
		.amdhsa_exception_fp_ieee_inexact 0
		.amdhsa_exception_int_div_zero 0
	.end_amdhsa_kernel
	.section	.text._Z39paged_attention_ll4mi_QKV_mfma16_kernelIDF16_hLN4vllm18Fp8KVCacheDataTypeE1EDF16_Li32ELi64ELi256ELb0ELi15EEvPKT_PKT0_S7_ifPKiS9_S9_iPKfiiiPfSC_PS2_PT2_iSB_SB_,"axG",@progbits,_Z39paged_attention_ll4mi_QKV_mfma16_kernelIDF16_hLN4vllm18Fp8KVCacheDataTypeE1EDF16_Li32ELi64ELi256ELb0ELi15EEvPKT_PKT0_S7_ifPKiS9_S9_iPKfiiiPfSC_PS2_PT2_iSB_SB_,comdat
.Lfunc_end922:
	.size	_Z39paged_attention_ll4mi_QKV_mfma16_kernelIDF16_hLN4vllm18Fp8KVCacheDataTypeE1EDF16_Li32ELi64ELi256ELb0ELi15EEvPKT_PKT0_S7_ifPKiS9_S9_iPKfiiiPfSC_PS2_PT2_iSB_SB_, .Lfunc_end922-_Z39paged_attention_ll4mi_QKV_mfma16_kernelIDF16_hLN4vllm18Fp8KVCacheDataTypeE1EDF16_Li32ELi64ELi256ELb0ELi15EEvPKT_PKT0_S7_ifPKiS9_S9_iPKfiiiPfSC_PS2_PT2_iSB_SB_
                                        ; -- End function
	.section	.AMDGPU.csdata,"",@progbits
; Kernel info:
; codeLenInByte = 4740
; NumSgprs: 56
; NumVgprs: 54
; NumAgprs: 0
; TotalNumVgprs: 54
; ScratchSize: 0
; MemoryBound: 0
; FloatMode: 240
; IeeeMode: 1
; LDSByteSize: 8192 bytes/workgroup (compile time only)
; SGPRBlocks: 6
; VGPRBlocks: 6
; NumSGPRsForWavesPerEU: 56
; NumVGPRsForWavesPerEU: 54
; AccumOffset: 56
; Occupancy: 8
; WaveLimiterHint : 1
; COMPUTE_PGM_RSRC2:SCRATCH_EN: 0
; COMPUTE_PGM_RSRC2:USER_SGPR: 2
; COMPUTE_PGM_RSRC2:TRAP_HANDLER: 0
; COMPUTE_PGM_RSRC2:TGID_X_EN: 1
; COMPUTE_PGM_RSRC2:TGID_Y_EN: 1
; COMPUTE_PGM_RSRC2:TGID_Z_EN: 1
; COMPUTE_PGM_RSRC2:TIDIG_COMP_CNT: 0
; COMPUTE_PGM_RSRC3_GFX90A:ACCUM_OFFSET: 13
; COMPUTE_PGM_RSRC3_GFX90A:TG_SPLIT: 0
	.section	.text._Z39paged_attention_ll4mi_QKV_mfma16_kernelIDF16_hLN4vllm18Fp8KVCacheDataTypeE1EDF16_Li32ELi64ELi256ELb0ELi16EEvPKT_PKT0_S7_ifPKiS9_S9_iPKfiiiPfSC_PS2_PT2_iSB_SB_,"axG",@progbits,_Z39paged_attention_ll4mi_QKV_mfma16_kernelIDF16_hLN4vllm18Fp8KVCacheDataTypeE1EDF16_Li32ELi64ELi256ELb0ELi16EEvPKT_PKT0_S7_ifPKiS9_S9_iPKfiiiPfSC_PS2_PT2_iSB_SB_,comdat
	.protected	_Z39paged_attention_ll4mi_QKV_mfma16_kernelIDF16_hLN4vllm18Fp8KVCacheDataTypeE1EDF16_Li32ELi64ELi256ELb0ELi16EEvPKT_PKT0_S7_ifPKiS9_S9_iPKfiiiPfSC_PS2_PT2_iSB_SB_ ; -- Begin function _Z39paged_attention_ll4mi_QKV_mfma16_kernelIDF16_hLN4vllm18Fp8KVCacheDataTypeE1EDF16_Li32ELi64ELi256ELb0ELi16EEvPKT_PKT0_S7_ifPKiS9_S9_iPKfiiiPfSC_PS2_PT2_iSB_SB_
	.globl	_Z39paged_attention_ll4mi_QKV_mfma16_kernelIDF16_hLN4vllm18Fp8KVCacheDataTypeE1EDF16_Li32ELi64ELi256ELb0ELi16EEvPKT_PKT0_S7_ifPKiS9_S9_iPKfiiiPfSC_PS2_PT2_iSB_SB_
	.p2align	8
	.type	_Z39paged_attention_ll4mi_QKV_mfma16_kernelIDF16_hLN4vllm18Fp8KVCacheDataTypeE1EDF16_Li32ELi64ELi256ELb0ELi16EEvPKT_PKT0_S7_ifPKiS9_S9_iPKfiiiPfSC_PS2_PT2_iSB_SB_,@function
_Z39paged_attention_ll4mi_QKV_mfma16_kernelIDF16_hLN4vllm18Fp8KVCacheDataTypeE1EDF16_Li32ELi64ELi256ELb0ELi16EEvPKT_PKT0_S7_ifPKiS9_S9_iPKfiiiPfSC_PS2_PT2_iSB_SB_: ; @_Z39paged_attention_ll4mi_QKV_mfma16_kernelIDF16_hLN4vllm18Fp8KVCacheDataTypeE1EDF16_Li32ELi64ELi256ELb0ELi16EEvPKT_PKT0_S7_ifPKiS9_S9_iPKfiiiPfSC_PS2_PT2_iSB_SB_
; %bb.0:
	s_load_dwordx2 s[12:13], s[0:1], 0x30
	s_mov_b32 s28, s3
	s_mov_b64 s[6:7], 0
	s_waitcnt lgkmcnt(0)
	s_cmp_lg_u64 s[12:13], 0
	s_cselect_b64 s[14:15], -1, 0
	s_and_b64 vcc, exec, s[14:15]
	s_cbranch_vccz .LBB923_7
; %bb.1:
	s_add_i32 s8, s2, 1
	s_mov_b32 s9, 0
	s_lshl_b64 s[10:11], s[8:9], 2
	s_add_u32 s10, s12, s10
	s_mov_b32 s3, s9
	s_addc_u32 s11, s13, s11
	s_lshl_b64 s[8:9], s[2:3], 2
	s_add_u32 s8, s12, s8
	s_addc_u32 s9, s13, s9
	s_load_dword s5, s[10:11], 0x0
	s_load_dword s16, s[8:9], 0x0
	s_waitcnt lgkmcnt(0)
	s_sub_i32 s5, s5, s16
	s_cmp_eq_u32 s5, 1
	s_cselect_b64 s[8:9], -1, 0
	s_andn2_b64 vcc, exec, s[6:7]
	s_cbranch_vccnz .LBB923_3
.LBB923_2:
	s_mov_b32 s3, 0
	s_mov_b64 s[8:9], -1
.LBB923_3:
	s_andn2_b64 vcc, exec, s[8:9]
	s_cbranch_vccnz .LBB923_17
; %bb.4:
	s_load_dwordx2 s[6:7], s[0:1], 0x28
	s_lshl_b64 s[16:17], s[2:3], 2
	s_waitcnt lgkmcnt(0)
	s_add_u32 s6, s6, s16
	s_addc_u32 s7, s7, s17
	s_load_dword s48, s[6:7], 0x0
	s_lshl_b32 s5, s28, 8
	s_waitcnt lgkmcnt(0)
	s_cmp_ge_i32 s5, s48
	s_cbranch_scc1 .LBB923_17
; %bb.5:
	s_load_dwordx2 s[6:7], s[0:1], 0x20
	s_load_dword s8, s[0:1], 0x38
	s_add_i32 s9, s48, 31
	s_ashr_i32 s10, s9, 31
	v_and_b32_e32 v1, 0xcf, v0
	s_lshr_b32 s10, s10, 27
	v_add_u32_e32 v1, s5, v1
	s_add_i32 s9, s9, s10
	v_ashrrev_i32_e32 v2, 31, v1
	s_ashr_i32 s18, s9, 5
	v_lshrrev_b32_e32 v10, 27, v2
	s_add_i32 s18, s18, -1
	s_waitcnt lgkmcnt(0)
	s_mul_i32 s8, s2, s8
	s_mov_b32 s9, 0
	v_add_u32_e32 v2, v1, v10
	s_lshl_b64 s[8:9], s[8:9], 2
	v_ashrrev_i32_e32 v2, 5, v2
	v_mov_b32_e32 v11, s18
	v_cmp_gt_i32_e32 vcc, s48, v1
	s_add_u32 s6, s6, s8
	s_addc_u32 s7, s7, s9
	v_cndmask_b32_e32 v2, v11, v2, vcc
	v_ashrrev_i32_e32 v3, 31, v2
	v_lshl_add_u64 v[4:5], v[2:3], 2, s[6:7]
	v_or_b32_e32 v2, 16, v1
	v_add_u32_e32 v3, v2, v10
	v_ashrrev_i32_e32 v3, 5, v3
	v_cmp_gt_i32_e32 vcc, s48, v2
	s_load_dwordx4 s[8:11], s[0:1], 0x8
	s_nop 0
	v_cndmask_b32_e32 v2, v11, v3, vcc
	v_ashrrev_i32_e32 v3, 31, v2
	v_lshl_add_u64 v[6:7], v[2:3], 2, s[6:7]
	v_or_b32_e32 v2, 32, v1
	v_add_u32_e32 v3, v2, v10
	v_ashrrev_i32_e32 v3, 5, v3
	v_cmp_gt_i32_e32 vcc, s48, v2
	v_or_b32_e32 v1, 48, v1
	s_nop 0
	v_cndmask_b32_e32 v2, v11, v3, vcc
	v_ashrrev_i32_e32 v3, 31, v2
	v_lshl_add_u64 v[8:9], v[2:3], 2, s[6:7]
	v_add_u32_e32 v2, v1, v10
	v_ashrrev_i32_e32 v2, 5, v2
	v_cmp_gt_i32_e32 vcc, s48, v1
	s_nop 1
	v_cndmask_b32_e32 v2, v11, v2, vcc
	v_ashrrev_i32_e32 v3, 31, v2
	v_lshl_add_u64 v[10:11], v[2:3], 2, s[6:7]
	global_load_dword v3, v[4:5], off
	global_load_dword v2, v[6:7], off
	;; [unrolled: 1-line block ×4, first 2 shown]
	s_andn2_b64 vcc, exec, s[14:15]
	s_cbranch_vccnz .LBB923_8
; %bb.6:
	s_add_u32 s12, s12, s16
	s_addc_u32 s13, s13, s17
	s_load_dword s14, s[12:13], 0x0
	s_branch .LBB923_9
.LBB923_7:
	s_mov_b64 s[8:9], 0
	s_branch .LBB923_2
.LBB923_8:
	s_mov_b32 s14, s2
.LBB923_9:
	s_load_dwordx4 s[44:47], s[0:1], 0x48
	v_and_b32_e32 v45, 15, v0
	s_movk_i32 s12, 0x100
	v_lshlrev_b32_e32 v4, 3, v45
	v_cmp_gt_u32_e32 vcc, s12, v0
	v_cmp_gt_u32_e64 s[30:31], 8, v45
	v_lshrrev_b32_e32 v43, 6, v0
	v_and_b32_e32 v44, 63, v0
	v_bfe_u32 v1, v0, 4, 2
	s_lshl_b32 s29, s4, 4
	s_and_b64 s[16:17], vcc, s[30:31]
	v_lshlrev_b32_e32 v26, 1, v4
	v_lshlrev_b32_e32 v42, 4, v0
	s_and_saveexec_b64 s[12:13], s[16:17]
	s_cbranch_execz .LBB923_11
; %bb.10:
	s_load_dwordx2 s[16:17], s[0:1], 0x0
	s_waitcnt lgkmcnt(0)
	s_ashr_i32 s15, s44, 31
	s_mul_hi_u32 s19, s14, s44
	s_mul_i32 s15, s14, s15
	s_add_i32 s15, s19, s15
	s_mul_i32 s14, s14, s44
	v_lshl_or_b32 v8, v43, 2, v1
	s_lshl_b64 s[14:15], s[14:15], 1
	s_add_u32 s14, s16, s14
	v_add_lshl_u32 v4, v8, s29, 6
	s_addc_u32 s15, s17, s15
	v_ashrrev_i32_e32 v5, 31, v4
	v_lshl_add_u64 v[4:5], v[4:5], 1, s[14:15]
	v_mov_b32_e32 v27, 0
	v_lshl_add_u64 v[4:5], v[4:5], 0, v[26:27]
	global_load_dwordx4 v[4:7], v[4:5], off
	v_lshlrev_b32_e32 v10, 8, v45
	v_lshlrev_b32_e32 v8, 5, v8
	v_and_b32_e32 v9, 16, v42
	v_and_b32_e32 v10, 0xe00, v10
	v_or3_b32 v8, v10, v8, v9
	s_waitcnt vmcnt(0)
	ds_write_b128 v8, v[4:7]
.LBB923_11:
	s_or_b64 exec, exec, s[12:13]
	s_waitcnt lgkmcnt(0)
	s_mul_i32 s4, s4, s46
	s_add_u32 s8, s8, s4
	s_addc_u32 s9, s9, 0
	v_mov_b32_e32 v29, 0
	v_mov_b64_e32 v[20:21], s[8:9]
	v_and_b32_e32 v6, 48, v0
	s_waitcnt vmcnt(3)
	v_mad_i64_i32 v[4:5], s[8:9], v3, s45, v[20:21]
	v_lshlrev_b32_e32 v16, 4, v45
	v_mov_b32_e32 v17, v29
	v_lshlrev_b32_e32 v28, 5, v6
	v_lshl_add_u64 v[4:5], v[4:5], 0, v[16:17]
	v_lshl_add_u64 v[4:5], v[4:5], 0, v[28:29]
	s_load_dword s33, s[0:1], 0x98
	s_load_dwordx4 s[40:43], s[0:1], 0x80
	s_waitcnt lgkmcnt(0)
	s_barrier
	global_load_dwordx4 v[22:25], v[4:5], off
	s_waitcnt vmcnt(3)
	v_mad_i64_i32 v[2:3], s[8:9], v2, s45, v[20:21]
	v_or_b32_e32 v30, 0x100, v16
	v_mov_b32_e32 v31, v29
	v_lshl_add_u64 v[2:3], v[2:3], 0, v[30:31]
	v_lshl_add_u64 v[2:3], v[2:3], 0, v[28:29]
	global_load_dwordx4 v[10:13], v[2:3], off
	s_ashr_i32 s8, s5, 31
	v_or_b32_e32 v19, s5, v6
	s_lshr_b32 s12, s8, 27
	v_add_u32_e32 v2, s12, v19
	v_ashrrev_i32_e32 v2, 5, v2
	v_mov_b32_e32 v33, s18
	v_cmp_gt_i32_e32 vcc, s48, v19
	s_waitcnt vmcnt(3)
	v_mad_i64_i32 v[14:15], s[8:9], v14, s45, v[20:21]
	v_cndmask_b32_e32 v2, v33, v2, vcc
	v_ashrrev_i32_e32 v3, 31, v2
	v_lshlrev_b32_e32 v46, 5, v45
	v_lshl_add_u64 v[14:15], v[14:15], 0, v[16:17]
	v_lshl_add_u64 v[2:3], v[2:3], 2, s[6:7]
	v_lshl_or_b32 v27, v1, 9, v46
	v_lshl_add_u64 v[14:15], v[14:15], 0, v[28:29]
	global_load_dword v54, v[2:3], off
	ds_read_b128 v[6:9], v27
	ds_read_b128 v[2:5], v27 offset:16
	global_load_dwordx4 v[14:17], v[14:15], off
	v_or_b32_e32 v32, 64, v19
	v_or_b32_e32 v34, 0x80, v19
	;; [unrolled: 1-line block ×3, first 2 shown]
	s_waitcnt vmcnt(4)
	v_mad_i64_i32 v[18:19], s[8:9], v18, s45, v[20:21]
	v_add_u32_e32 v20, s12, v32
	v_add_u32_e32 v21, s12, v34
	v_lshl_add_u64 v[18:19], v[18:19], 0, v[30:31]
	v_ashrrev_i32_e32 v20, 5, v20
	v_cmp_gt_i32_e32 vcc, s48, v32
	v_ashrrev_i32_e32 v21, 5, v21
	v_lshl_add_u64 v[18:19], v[18:19], 0, v[28:29]
	v_cndmask_b32_e32 v30, v33, v20, vcc
	v_cmp_gt_i32_e32 vcc, s48, v34
	v_add_u32_e32 v36, s12, v35
	v_ashrrev_i32_e32 v31, 5, v36
	v_cndmask_b32_e32 v32, v33, v21, vcc
	global_load_dwordx4 v[18:21], v[18:19], off
	v_cmp_gt_i32_e32 vcc, s48, v35
	s_add_u32 s8, s10, s4
	s_load_dword s4, s[40:41], 0x0
	v_cndmask_b32_e32 v34, v33, v31, vcc
	v_ashrrev_i32_e32 v31, 31, v30
	v_ashrrev_i32_e32 v33, 31, v32
	;; [unrolled: 1-line block ×3, first 2 shown]
	v_lshl_add_u64 v[30:31], v[30:31], 2, s[6:7]
	v_lshl_add_u64 v[32:33], v[32:33], 2, s[6:7]
	;; [unrolled: 1-line block ×3, first 2 shown]
	global_load_dword v49, v[30:31], off
	global_load_dword v47, v[32:33], off
	;; [unrolled: 1-line block ×3, first 2 shown]
	s_addc_u32 s9, s11, 0
	v_and_b32_e32 v28, 16, v0
	v_lshl_add_u64 v[36:37], s[8:9], 0, v[28:29]
	v_lshl_or_b32 v28, v43, 9, v46
	v_lshl_add_u64 v[28:29], v[36:37], 0, v[28:29]
	s_load_dword s13, s[0:1], 0x1c
	s_mov_b32 s44, 0xff7fffff
	s_waitcnt vmcnt(7)
	v_cvt_pk_f32_fp8_e32 v[30:31], v22
	v_cvt_pk_f32_fp8_sdwa v[32:33], v22 src0_sel:WORD_1
	v_cvt_pk_f32_fp8_e32 v[34:35], v23
	v_cvt_pk_f32_fp8_sdwa v[22:23], v23 src0_sel:WORD_1
	v_cvt_pkrtz_f16_f32 v30, v30, v31
	v_cvt_pkrtz_f16_f32 v31, v32, v33
	v_cvt_pk_f32_fp8_e32 v[36:37], v24
	v_cvt_pk_f32_fp8_sdwa v[38:39], v24 src0_sel:WORD_1
	v_cvt_pkrtz_f16_f32 v34, v34, v35
	v_cvt_pkrtz_f16_f32 v35, v22, v23
	v_cvt_pk_f32_fp8_e32 v[40:41], v25
	v_cvt_pk_f32_fp8_sdwa v[32:33], v25 src0_sel:WORD_1
	s_waitcnt lgkmcnt(0)
	v_mfma_f32_16x16x16_f16 v[22:25], v[30:31], v[6:7], 0
	v_cvt_pkrtz_f16_f32 v30, v36, v37
	v_cvt_pkrtz_f16_f32 v31, v38, v39
	s_waitcnt vmcnt(6)
	v_cvt_pk_f32_fp8_e32 v[50:51], v10
	v_cvt_pk_f32_fp8_sdwa v[52:53], v10 src0_sel:WORD_1
	v_mfma_f32_16x16x16_f16 v[22:25], v[34:35], v[8:9], v[22:25]
	v_cvt_pk_f32_fp8_e32 v[34:35], v11
	v_cvt_pkrtz_f16_f32 v36, v40, v41
	v_cvt_pkrtz_f16_f32 v37, v32, v33
	v_mfma_f32_16x16x16_f16 v[30:33], v[30:31], v[2:3], v[22:25]
	v_cvt_pk_f32_fp8_sdwa v[10:11], v11 src0_sel:WORD_1
	v_cvt_pkrtz_f16_f32 v38, v34, v35
	v_cvt_pk_f32_fp8_e32 v[40:41], v12
	v_cvt_pkrtz_f16_f32 v24, v50, v51
	v_cvt_pkrtz_f16_f32 v25, v52, v53
	v_cvt_pk_f32_fp8_sdwa v[50:51], v12 src0_sel:WORD_1
	v_cvt_pkrtz_f16_f32 v39, v10, v11
	v_mfma_f32_16x16x16_f16 v[30:33], v[36:37], v[4:5], v[30:33]
	s_waitcnt vmcnt(4)
	v_cvt_pk_f32_fp8_sdwa v[52:53], v17 src0_sel:WORD_1
	v_mad_i64_i32 v[22:23], s[6:7], v54, s45, v[28:29]
	v_mfma_f32_16x16x16_f16 v[34:37], v[24:25], v[6:7], 0
	v_cvt_pkrtz_f16_f32 v24, v40, v41
	v_cvt_pkrtz_f16_f32 v25, v50, v51
	v_cvt_pk_f32_fp8_e32 v[40:41], v13
	v_cvt_pk_f32_fp8_sdwa v[50:51], v13 src0_sel:WORD_1
	v_mfma_f32_16x16x16_f16 v[10:13], v[38:39], v[8:9], v[34:37]
	v_cvt_pk_f32_fp8_sdwa v[38:39], v14 src0_sel:WORD_1
	s_nop 1
	v_mov_b32_e32 v36, s13
	v_cvt_pkrtz_f16_f32 v34, v40, v41
	v_cvt_pkrtz_f16_f32 v35, v50, v51
	v_mfma_f32_16x16x16_f16 v[10:13], v[24:25], v[2:3], v[10:13]
	v_mul_f32_e32 v24, s4, v36
	v_cvt_pk_f32_fp8_e32 v[36:37], v14
	v_cvt_pk_f32_fp8_e32 v[40:41], v16
	v_mfma_f32_16x16x16_f16 v[10:13], v[34:35], v[4:5], v[10:13]
	v_cvt_pk_f32_fp8_e32 v[34:35], v15
	v_cvt_pkrtz_f16_f32 v36, v36, v37
	v_cvt_pkrtz_f16_f32 v37, v38, v39
	v_cvt_pk_f32_fp8_sdwa v[14:15], v15 src0_sel:WORD_1
	v_cvt_pkrtz_f16_f32 v38, v34, v35
	v_cvt_pk_f32_fp8_sdwa v[50:51], v16 src0_sel:WORD_1
	v_mfma_f32_16x16x16_f16 v[34:37], v[36:37], v[6:7], 0
	v_cvt_pkrtz_f16_f32 v39, v14, v15
	v_cvt_pkrtz_f16_f32 v40, v40, v41
	;; [unrolled: 1-line block ×3, first 2 shown]
	v_cvt_pk_f32_fp8_e32 v[50:51], v17
	v_mfma_f32_16x16x16_f16 v[14:17], v[38:39], v[8:9], v[34:37]
	v_pk_mul_f32 v[38:39], v[24:25], v[30:31] op_sel_hi:[0,1]
	s_waitcnt vmcnt(3)
	v_cvt_pk_f32_fp8_e32 v[30:31], v18
	v_cvt_pkrtz_f16_f32 v34, v50, v51
	v_cvt_pkrtz_f16_f32 v35, v52, v53
	v_mfma_f32_16x16x16_f16 v[14:17], v[40:41], v[2:3], v[14:17]
	v_cvt_pk_f32_fp8_sdwa v[36:37], v18 src0_sel:WORD_1
	v_cvt_pkrtz_f16_f32 v30, v30, v31
	v_cvt_pk_f32_fp8_e32 v[50:51], v20
	v_mfma_f32_16x16x16_f16 v[14:17], v[34:35], v[4:5], v[14:17]
	v_cvt_pk_f32_fp8_e32 v[34:35], v19
	v_cvt_pkrtz_f16_f32 v31, v36, v37
	v_cvt_pk_f32_fp8_sdwa v[18:19], v19 src0_sel:WORD_1
	v_cvt_pk_f32_fp8_sdwa v[52:53], v20 src0_sel:WORD_1
	v_cvt_pkrtz_f16_f32 v40, v34, v35
	v_mfma_f32_16x16x16_f16 v[34:37], v[30:31], v[6:7], 0
	v_cvt_pkrtz_f16_f32 v41, v18, v19
	v_cvt_pkrtz_f16_f32 v18, v50, v51
	;; [unrolled: 1-line block ×3, first 2 shown]
	v_cvt_pk_f32_fp8_e32 v[30:31], v21
	v_cvt_pk_f32_fp8_sdwa v[20:21], v21 src0_sel:WORD_1
	v_mfma_f32_16x16x16_f16 v[6:9], v[40:41], v[8:9], v[34:37]
	v_pk_mul_f32 v[32:33], v[24:25], v[32:33] op_sel_hi:[0,1]
	v_pk_mul_f32 v[40:41], v[24:25], v[10:11] op_sel_hi:[0,1]
	s_nop 0
	v_pk_mul_f32 v[34:35], v[24:25], v[12:13] op_sel_hi:[0,1]
	v_cvt_pkrtz_f16_f32 v12, v30, v31
	v_cvt_pkrtz_f16_f32 v13, v20, v21
	v_mfma_f32_16x16x16_f16 v[6:9], v[18:19], v[2:3], v[6:9]
	v_pk_mul_f32 v[30:31], v[24:25], v[16:17] op_sel_hi:[0,1]
	v_pk_mul_f32 v[36:37], v[24:25], v[14:15] op_sel_hi:[0,1]
	v_mfma_f32_16x16x16_f16 v[2:5], v[12:13], v[4:5], v[6:9]
	s_nop 6
	v_pk_mul_f32 v[18:19], v[24:25], v[4:5] op_sel_hi:[0,1]
	v_pk_mul_f32 v[24:25], v[24:25], v[2:3] op_sel_hi:[0,1]
	v_and_b32_e32 v2, 0xc0, v0
	v_add_u32_e32 v2, s5, v2
	v_lshl_or_b32 v2, v1, 2, v2
	v_or_b32_e32 v5, 1, v2
	v_mov_b32_e32 v3, 0xff7fffff
	v_cmp_gt_i32_e64 s[4:5], s48, v2
	v_cmp_gt_i32_e64 s[34:35], s48, v5
	v_or_b32_e32 v6, 3, v2
	v_cndmask_b32_e64 v4, v3, v38, s[4:5]
	v_cndmask_b32_e64 v5, v3, v39, s[34:35]
	v_max3_f32 v4, v4, s44, v5
	v_or_b32_e32 v5, 2, v2
	v_cmp_gt_i32_e64 s[36:37], s48, v5
	v_cmp_gt_i32_e64 s[38:39], s48, v6
	s_nop 0
	v_cndmask_b32_e64 v5, v3, v32, s[36:37]
	v_cndmask_b32_e64 v6, v3, v33, s[38:39]
	v_max3_f32 v4, v4, v5, v6
	v_or_b32_e32 v5, 16, v2
	v_or_b32_e32 v6, 17, v2
	v_cmp_gt_i32_e64 s[24:25], s48, v5
	v_cmp_gt_i32_e64 s[26:27], s48, v6
	s_nop 0
	v_cndmask_b32_e64 v5, v3, v40, s[24:25]
	v_cndmask_b32_e64 v6, v3, v41, s[26:27]
	v_max3_f32 v4, v4, v5, v6
	v_or_b32_e32 v5, 18, v2
	;; [unrolled: 8-line block ×6, first 2 shown]
	v_or_b32_e32 v2, 51, v2
	v_cmp_gt_i32_e32 vcc, s48, v5
	v_cmp_gt_i32_e64 s[6:7], s48, v2
	s_nop 0
	v_cndmask_b32_e32 v5, v3, v18, vcc
	v_cndmask_b32_e64 v2, v3, v19, s[6:7]
	v_max3_f32 v4, v4, v5, v2
	v_mbcnt_lo_u32_b32 v2, -1, 0
	v_mbcnt_hi_u32_b32 v5, -1, v2
	v_and_b32_e32 v2, 64, v5
	v_add_u32_e32 v6, 64, v2
	v_xor_b32_e32 v2, 32, v5
	v_cmp_lt_i32_e64 s[40:41], v2, v6
	s_nop 1
	v_cndmask_b32_e64 v2, v5, v2, s[40:41]
	v_lshlrev_b32_e32 v50, 2, v2
	ds_bpermute_b32 v7, v50, v4
	s_waitcnt vmcnt(2)
	v_mad_i64_i32 v[2:3], s[40:41], v49, s45, v[28:29]
	global_load_dwordx4 v[14:17], v[22:23], off
	global_load_dwordx4 v[10:13], v[2:3], off
	v_xor_b32_e32 v3, 16, v5
	v_cmp_lt_i32_e64 s[40:41], v3, v6
	s_waitcnt lgkmcnt(0)
	v_max_f32_e32 v2, v7, v7
	v_max_f32_e32 v2, v4, v2
	v_cndmask_b32_e64 v3, v5, v3, s[40:41]
	v_lshlrev_b32_e32 v49, 2, v3
	ds_bpermute_b32 v3, v49, v2
	s_waitcnt vmcnt(3)
	v_mad_i64_i32 v[20:21], s[40:41], v47, s45, v[28:29]
	s_waitcnt vmcnt(2)
	v_mad_i64_i32 v[22:23], s[40:41], v48, s45, v[28:29]
	s_waitcnt lgkmcnt(0)
	v_max_f32_e32 v3, v3, v3
	v_max_f32_e32 v47, v2, v3
	v_sub_f32_e32 v2, v38, v47
	v_mul_f32_e32 v2, 0x3fb8aa3b, v2
	v_exp_f32_e32 v28, v2
	v_sub_f32_e32 v2, v39, v47
	v_mul_f32_e32 v2, 0x3fb8aa3b, v2
	v_exp_f32_e32 v29, v2
	global_load_dwordx4 v[6:9], v[20:21], off
	global_load_dwordx4 v[2:5], v[22:23], off
	v_cndmask_b32_e64 v20, 0, v28, s[4:5]
	v_sub_f32_e32 v23, v32, v47
	v_sub_f32_e32 v28, v33, v47
	v_mul_f32_e32 v23, 0x3fb8aa3b, v23
	v_mul_f32_e32 v28, 0x3fb8aa3b, v28
	v_exp_f32_e32 v23, v23
	v_exp_f32_e32 v28, v28
	v_add_f32_e32 v22, 0, v20
	v_cndmask_b32_e64 v21, 0, v29, s[34:35]
	v_cndmask_b32_e64 v32, 0, v23, s[36:37]
	v_cndmask_b32_e64 v33, 0, v28, s[38:39]
	v_sub_f32_e32 v23, v40, v47
	v_sub_f32_e32 v28, v41, v47
	v_mul_f32_e32 v23, 0x3fb8aa3b, v23
	v_mul_f32_e32 v28, 0x3fb8aa3b, v28
	v_exp_f32_e32 v23, v23
	v_exp_f32_e32 v28, v28
	v_add_f32_e32 v22, v22, v21
	v_add_f32_e32 v22, v22, v32
	;; [unrolled: 1-line block ×3, first 2 shown]
	v_cndmask_b32_e64 v22, 0, v23, s[24:25]
	v_cndmask_b32_e64 v23, 0, v28, s[26:27]
	v_sub_f32_e32 v28, v34, v47
	v_mul_f32_e32 v28, 0x3fb8aa3b, v28
	v_exp_f32_e32 v28, v28
	v_sub_f32_e32 v34, v35, v47
	v_add_f32_e32 v29, v29, v22
	v_mul_f32_e32 v34, 0x3fb8aa3b, v34
	v_exp_f32_e32 v35, v34
	v_add_f32_e32 v29, v29, v23
	v_cndmask_b32_e64 v34, 0, v28, s[20:21]
	v_add_f32_e32 v28, v29, v34
	v_sub_f32_e32 v29, v36, v47
	v_mul_f32_e32 v29, 0x3fb8aa3b, v29
	v_sub_f32_e32 v36, v37, v47
	v_exp_f32_e32 v29, v29
	v_mul_f32_e32 v36, 0x3fb8aa3b, v36
	v_sub_f32_e32 v30, v30, v47
	v_exp_f32_e32 v36, v36
	;; [unrolled: 3-line block ×3, first 2 shown]
	v_mul_f32_e32 v31, 0x3fb8aa3b, v31
	v_sub_f32_e32 v24, v24, v47
	v_cndmask_b32_e64 v35, 0, v35, s[22:23]
	v_exp_f32_e32 v31, v31
	v_mul_f32_e32 v24, 0x3fb8aa3b, v24
	v_sub_f32_e32 v25, v25, v47
	v_add_f32_e32 v37, v28, v35
	v_cndmask_b32_e64 v28, 0, v29, s[16:17]
	v_exp_f32_e32 v24, v24
	v_mul_f32_e32 v25, 0x3fb8aa3b, v25
	v_sub_f32_e32 v18, v18, v47
	v_add_f32_e32 v37, v37, v28
	;; [unrolled: 5-line block ×3, first 2 shown]
	v_cndmask_b32_e64 v30, 0, v30, s[12:13]
	v_exp_f32_e32 v18, v18
	v_mul_f32_e32 v19, 0x3fb8aa3b, v19
	v_add_f32_e32 v36, v36, v30
	v_cndmask_b32_e64 v31, 0, v31, s[14:15]
	v_exp_f32_e32 v19, v19
	v_add_f32_e32 v36, v36, v31
	v_cndmask_b32_e64 v24, 0, v24, s[8:9]
	v_add_f32_e32 v36, v36, v24
	v_cndmask_b32_e64 v25, 0, v25, s[10:11]
	v_add_f32_e32 v36, v36, v25
	v_cndmask_b32_e32 v18, 0, v18, vcc
	v_add_f32_e32 v36, v36, v18
	v_cndmask_b32_e64 v19, 0, v19, s[6:7]
	v_add_f32_e32 v36, v36, v19
	ds_bpermute_b32 v37, v50, v36
	v_cmp_gt_u32_e32 vcc, 16, v44
	s_waitcnt lgkmcnt(0)
	s_barrier
	v_add_f32_e32 v36, v36, v37
	ds_bpermute_b32 v38, v49, v36
	v_lshlrev_b32_e32 v37, 2, v45
	s_and_saveexec_b64 s[4:5], vcc
	s_cbranch_execz .LBB923_13
; %bb.12:
	s_waitcnt lgkmcnt(0)
	v_add_f32_e32 v36, v36, v38
	v_lshl_or_b32 v38, v43, 6, v37
	ds_write2st64_b32 v38, v47, v36 offset1:1
.LBB923_13:
	s_or_b64 exec, exec, s[4:5]
	s_load_dword s6, s[0:1], 0x94
	s_waitcnt lgkmcnt(0)
	s_barrier
	ds_read2_b32 v[38:39], v37 offset1:16
	ds_read2_b32 v[40:41], v37 offset0:32 offset1:48
	ds_read2_b32 v[44:45], v37 offset0:64 offset1:80
	s_lshl_b32 s7, s33, 4
	s_waitcnt lgkmcnt(2)
	v_max3_f32 v36, v38, s44, v39
	s_waitcnt lgkmcnt(1)
	v_max3_f32 v36, v36, v40, v41
	v_sub_f32_e32 v38, v38, v36
	v_mul_f32_e32 v38, 0x3fb8aa3b, v38
	v_exp_f32_e32 v47, v38
	v_sub_f32_e32 v38, v39, v36
	v_mul_f32_e32 v38, 0x3fb8aa3b, v38
	v_exp_f32_e32 v48, v38
	;; [unrolled: 3-line block ×3, first 2 shown]
	ds_read2_b32 v[38:39], v37 offset0:96 offset1:112
	v_sub_f32_e32 v37, v41, v36
	v_mul_f32_e32 v37, 0x3fb8aa3b, v37
	v_exp_f32_e32 v41, v37
	s_waitcnt lgkmcnt(1)
	v_fma_f32 v37, v47, v44, 0
	v_fmac_f32_e32 v37, v48, v45
	s_waitcnt lgkmcnt(0)
	v_fmac_f32_e32 v37, v40, v38
	v_fmac_f32_e32 v37, v41, v39
	v_add_f32_e32 v38, 0x358637bd, v37
	v_div_scale_f32 v39, s[4:5], v38, v38, 1.0
	v_rcp_f32_e32 v44, v39
	s_barrier
	v_fma_f32 v45, -v39, v44, 1.0
	v_fmac_f32_e32 v44, v45, v44
	v_div_scale_f32 v45, vcc, 1.0, v38, 1.0
	v_mul_f32_e32 v49, v45, v44
	v_fma_f32 v50, -v39, v49, v45
	v_fmac_f32_e32 v49, v50, v44
	v_fma_f32 v39, -v39, v49, v45
	v_div_fmas_f32 v39, v39, v44, v49
	v_cmp_eq_u32_e32 vcc, 1, v43
	v_div_fixup_f32 v38, v39, v38, 1.0
	s_nop 0
	v_cndmask_b32_e32 v39, v47, v48, vcc
	v_cmp_eq_u32_e32 vcc, 2, v43
	s_nop 1
	v_cndmask_b32_e32 v39, v39, v40, vcc
	v_cmp_eq_u32_e32 vcc, 3, v43
	s_nop 1
	v_cndmask_b32_e32 v39, v39, v41, vcc
	v_mul_f32_e32 v38, v39, v38
	v_pk_mul_f32 v[32:33], v[38:39], v[32:33] op_sel_hi:[0,1]
	v_pk_mul_f32 v[20:21], v[38:39], v[20:21] op_sel_hi:[0,1]
	v_cvt_f16_f32_e32 v39, v32
	v_cvt_f16_f32_e32 v33, v33
	v_cvt_f16_f32_e32 v20, v20
	v_cvt_f16_f32_e32 v21, v21
	v_cmp_gt_u32_e32 vcc, 16, v0
	v_pack_b32_f16 v33, v39, v33
	v_lshlrev_b32_e32 v39, 3, v1
	v_pack_b32_f16 v32, v20, v21
	v_pk_mul_f32 v[20:21], v[38:39], v[34:35] op_sel_hi:[0,1]
	v_pk_mul_f32 v[22:23], v[38:39], v[22:23] op_sel_hi:[0,1]
	v_cvt_f16_f32_e32 v22, v22
	v_cvt_f16_f32_e32 v23, v23
	;; [unrolled: 1-line block ×4, first 2 shown]
	v_lshlrev_b32_e32 v20, 11, v43
	v_or3_b32 v20, v20, v46, v39
	v_pack_b32_f16 v22, v22, v23
	v_pack_b32_f16 v23, v34, v21
	ds_write2st64_b64 v20, v[32:33], v[22:23] offset1:1
	v_pk_mul_f32 v[22:23], v[38:39], v[30:31] op_sel_hi:[0,1]
	v_pk_mul_f32 v[28:29], v[38:39], v[28:29] op_sel_hi:[0,1]
	v_cvt_f16_f32_e32 v21, v28
	v_cvt_f16_f32_e32 v28, v29
	;; [unrolled: 1-line block ×4, first 2 shown]
	v_pk_mul_f32 v[18:19], v[38:39], v[18:19] op_sel_hi:[0,1]
	v_pk_mul_f32 v[22:23], v[38:39], v[24:25] op_sel_hi:[0,1]
	v_cvt_f16_f32_e32 v22, v22
	v_cvt_f16_f32_e32 v23, v23
	;; [unrolled: 1-line block ×4, first 2 shown]
	v_pack_b32_f16 v18, v21, v28
	v_pack_b32_f16 v19, v29, v30
	;; [unrolled: 1-line block ×4, first 2 shown]
	ds_write2st64_b64 v20, v[18:19], v[22:23] offset0:2 offset1:3
	s_and_saveexec_b64 s[4:5], vcc
	s_cbranch_execz .LBB923_15
; %bb.14:
	v_or_b32_e32 v18, s29, v0
	v_mov_b32_e32 v19, 0
	v_mov_b32_e32 v21, s7
	v_mad_u64_u32 v[22:23], s[12:13], s2, v21, v[18:19]
	v_mov_b32_e32 v18, s28
	s_load_dwordx4 s[8:11], s[0:1], 0x58
	s_mul_i32 s3, s3, s7
	v_mad_u64_u32 v[18:19], s[12:13], v22, s6, v[18:19]
	v_add_u32_e32 v21, s3, v23
	v_mov_b32_e32 v22, v19
	v_mad_u64_u32 v[22:23], s[12:13], v21, s6, v[22:23]
	v_mov_b32_e32 v19, v22
	v_lshlrev_b64 v[18:19], 2, v[18:19]
	s_waitcnt lgkmcnt(0)
	v_lshl_add_u64 v[22:23], s[10:11], 0, v[18:19]
	v_lshl_add_u64 v[18:19], s[8:9], 0, v[18:19]
	global_store_dword v[22:23], v36, off
	global_store_dword v[18:19], v37, off
.LBB923_15:
	s_or_b64 exec, exec, s[4:5]
	s_waitcnt vmcnt(3)
	v_cvt_pk_f32_fp8_e32 v[18:19], v14
	v_cvt_pk_f32_fp8_sdwa v[22:23], v14 src0_sel:WORD_1
	v_cvt_pk_f32_fp8_e32 v[24:25], v15
	s_waitcnt lgkmcnt(0)
	s_barrier
	v_cvt_pkrtz_f16_f32 v14, v18, v19
	v_cvt_pk_f32_fp8_sdwa v[18:19], v15 src0_sel:WORD_1
	v_cvt_pkrtz_f16_f32 v15, v22, v23
	v_cvt_pkrtz_f16_f32 v36, v24, v25
	ds_read_b128 v[22:25], v27
	ds_read_b128 v[28:31], v27 offset:16
	v_cvt_pkrtz_f16_f32 v37, v18, v19
	v_cvt_pk_f32_fp8_e32 v[18:19], v16
	v_cvt_pk_f32_fp8_sdwa v[38:39], v16 src0_sel:WORD_1
	s_waitcnt lgkmcnt(1)
	v_mfma_f32_16x16x16_f16 v[32:35], v[14:15], v[22:23], 0
	s_load_dword s4, s[42:43], 0x0
	v_cvt_pkrtz_f16_f32 v14, v18, v19
	v_cvt_pkrtz_f16_f32 v15, v38, v39
	v_cvt_pk_f32_fp8_e32 v[18:19], v17
	v_mfma_f32_16x16x16_f16 v[22:25], v[36:37], v[24:25], v[32:35]
	v_cmp_gt_u32_e32 vcc, 64, v0
	s_mov_b32 s3, 0
	v_cvt_pkrtz_f16_f32 v18, v18, v19
	v_cvt_pk_f32_fp8_sdwa v[32:33], v17 src0_sel:WORD_1
	s_waitcnt lgkmcnt(0)
	v_mfma_f32_16x16x16_f16 v[14:17], v[14:15], v[28:29], v[22:25]
	s_waitcnt vmcnt(2)
	v_cvt_pk_f32_fp8_sdwa v[28:29], v11 src0_sel:WORD_1
	v_cvt_pk_f32_fp8_sdwa v[34:35], v12 src0_sel:WORD_1
	v_cvt_pkrtz_f16_f32 v19, v32, v33
	v_cvt_pk_f32_fp8_e32 v[22:23], v10
	v_cvt_pk_f32_fp8_e32 v[24:25], v11
	v_mfma_f32_16x16x16_f16 v[14:17], v[18:19], v[30:31], v[14:17]
	v_cvt_pk_f32_fp8_sdwa v[18:19], v10 src0_sel:WORD_1
	v_cvt_pkrtz_f16_f32 v10, v22, v23
	v_cvt_pk_f32_fp8_e32 v[32:33], v12
	v_cvt_pkrtz_f16_f32 v11, v18, v19
	v_cvt_pkrtz_f16_f32 v18, v24, v25
	ds_read_b128 v[22:25], v27 offset:2048
	v_cvt_pkrtz_f16_f32 v19, v28, v29
	ds_read_b128 v[28:31], v27 offset:2064
	s_waitcnt lgkmcnt(1)
	v_mfma_f32_16x16x16_f16 v[14:17], v[10:11], v[22:23], v[14:17]
	v_cvt_pkrtz_f16_f32 v10, v32, v33
	v_cvt_pkrtz_f16_f32 v11, v34, v35
	v_cvt_pk_f32_fp8_e32 v[22:23], v13
	v_mfma_f32_16x16x16_f16 v[14:17], v[18:19], v[24:25], v[14:17]
	v_cvt_pk_f32_fp8_sdwa v[18:19], v13 src0_sel:WORD_1
	v_cvt_pkrtz_f16_f32 v22, v22, v23
	s_waitcnt lgkmcnt(0)
	v_mfma_f32_16x16x16_f16 v[10:13], v[10:11], v[28:29], v[14:17]
	v_cvt_pkrtz_f16_f32 v23, v18, v19
	s_waitcnt vmcnt(1)
	v_cvt_pk_f32_fp8_e32 v[18:19], v7
	v_cvt_pk_f32_fp8_e32 v[28:29], v8
	;; [unrolled: 1-line block ×3, first 2 shown]
	v_cvt_pk_f32_fp8_sdwa v[16:17], v6 src0_sel:WORD_1
	v_mfma_f32_16x16x16_f16 v[10:13], v[22:23], v[30:31], v[10:13]
	v_cvt_pk_f32_fp8_sdwa v[22:23], v7 src0_sel:WORD_1
	v_cvt_pkrtz_f16_f32 v6, v14, v15
	v_cvt_pkrtz_f16_f32 v7, v16, v17
	ds_read_b128 v[14:17], v27 offset:4096
	v_cvt_pkrtz_f16_f32 v18, v18, v19
	v_cvt_pkrtz_f16_f32 v19, v22, v23
	ds_read_b128 v[22:25], v27 offset:4112
	v_cvt_pk_f32_fp8_sdwa v[30:31], v8 src0_sel:WORD_1
	s_waitcnt lgkmcnt(1)
	v_mfma_f32_16x16x16_f16 v[10:13], v[6:7], v[14:15], v[10:13]
	v_cvt_pkrtz_f16_f32 v6, v28, v29
	v_cvt_pk_f32_fp8_e32 v[14:15], v9
	v_cvt_pkrtz_f16_f32 v7, v30, v31
	v_mfma_f32_16x16x16_f16 v[10:13], v[18:19], v[16:17], v[10:13]
	v_cvt_pk_f32_fp8_sdwa v[16:17], v9 src0_sel:WORD_1
	v_cvt_pkrtz_f16_f32 v14, v14, v15
	v_cvt_pkrtz_f16_f32 v15, v16, v17
	s_waitcnt lgkmcnt(0)
	v_mfma_f32_16x16x16_f16 v[6:9], v[6:7], v[22:23], v[10:13]
	s_waitcnt vmcnt(0)
	v_cvt_pk_f32_fp8_sdwa v[16:17], v3 src0_sel:WORD_1
	v_cvt_pk_f32_fp8_e32 v[22:23], v4
	v_cvt_pkrtz_f16_f32 v19, v16, v17
	v_cvt_pk_f32_fp8_e32 v[10:11], v2
	v_cvt_pk_f32_fp8_sdwa v[12:13], v2 src0_sel:WORD_1
	v_mfma_f32_16x16x16_f16 v[6:9], v[14:15], v[24:25], v[6:9]
	v_cvt_pk_f32_fp8_e32 v[14:15], v3
	v_cvt_pkrtz_f16_f32 v2, v10, v11
	v_cvt_pkrtz_f16_f32 v3, v12, v13
	ds_read_b128 v[10:13], v27 offset:6144
	v_cvt_pkrtz_f16_f32 v18, v14, v15
	ds_read_b128 v[14:17], v27 offset:6160
	v_cvt_pk_f32_fp8_sdwa v[24:25], v4 src0_sel:WORD_1
	s_waitcnt lgkmcnt(1)
	v_mfma_f32_16x16x16_f16 v[6:9], v[2:3], v[10:11], v[6:9]
	v_cvt_pkrtz_f16_f32 v2, v22, v23
	v_cvt_pkrtz_f16_f32 v3, v24, v25
	v_cvt_pk_f32_fp8_e32 v[10:11], v5
	v_mfma_f32_16x16x16_f16 v[6:9], v[18:19], v[12:13], v[6:9]
	v_cvt_pk_f32_fp8_sdwa v[12:13], v5 src0_sel:WORD_1
	v_mov_b32_e32 v27, 0
	v_cvt_pkrtz_f16_f32 v10, v10, v11
	s_waitcnt lgkmcnt(0)
	v_mfma_f32_16x16x16_f16 v[2:5], v[2:3], v[14:15], v[6:9]
	v_cvt_pkrtz_f16_f32 v11, v12, v13
	s_barrier
	s_nop 0
	v_mfma_f32_16x16x16_f16 v[2:5], v[10:11], v[16:17], v[2:5]
	s_nop 6
	v_pk_mul_f32 v[4:5], v[4:5], s[4:5] op_sel_hi:[1,0]
	v_pk_mul_f32 v[2:3], v[2:3], s[4:5] op_sel_hi:[1,0]
	v_cvt_f16_f32_e32 v4, v4
	v_cvt_f16_f32_e32 v2, v2
	;; [unrolled: 1-line block ×4, first 2 shown]
	s_and_b64 s[4:5], vcc, s[30:31]
	v_pack_b32_f16 v2, v2, v3
	v_pack_b32_f16 v3, v4, v5
	ds_write_b64 v20, v[2:3]
	s_waitcnt lgkmcnt(0)
	s_barrier
	s_and_saveexec_b64 s[8:9], s[4:5]
	s_cbranch_execz .LBB923_17
; %bb.16:
	s_load_dwordx2 s[0:1], s[0:1], 0x68
	s_lshl_b32 s6, s6, 6
	s_mul_i32 s2, s7, s2
	s_mul_hi_u32 s5, s2, s6
	s_mul_i32 s4, s2, s6
	s_lshl_b64 s[4:5], s[4:5], 1
	s_waitcnt lgkmcnt(0)
	s_add_u32 s4, s0, s4
	s_addc_u32 s5, s1, s5
	s_lshl_b32 s2, s28, 6
	v_lshlrev_b32_e32 v0, 10, v0
	s_lshl_b64 s[0:1], s[2:3], 1
	v_and_b32_e32 v0, 0x1800, v0
	v_lshlrev_b32_e32 v2, 5, v1
	v_and_b32_e32 v3, 16, v42
	s_add_u32 s0, s4, s0
	v_or3_b32 v0, v0, v2, v3
	s_addc_u32 s1, s5, s1
	v_or_b32_e32 v20, s29, v1
	ds_read_b128 v[2:5], v0
	ds_read_b128 v[6:9], v0 offset:128
	ds_read_b128 v[10:13], v0 offset:256
	;; [unrolled: 1-line block ×3, first 2 shown]
	v_lshl_add_u64 v[18:19], s[0:1], 0, v[26:27]
	v_mad_u64_u32 v[0:1], s[0:1], v20, s6, 0
	v_lshl_add_u64 v[0:1], v[0:1], 1, v[18:19]
	s_waitcnt lgkmcnt(3)
	global_store_dwordx4 v[0:1], v[2:5], off
	v_or_b32_e32 v0, 4, v20
	v_mad_u64_u32 v[0:1], s[0:1], v0, s6, 0
	v_lshl_add_u64 v[0:1], v[0:1], 1, v[18:19]
	s_waitcnt lgkmcnt(2)
	global_store_dwordx4 v[0:1], v[6:9], off
	v_or_b32_e32 v0, 8, v20
	;; [unrolled: 5-line block ×3, first 2 shown]
	v_mad_u64_u32 v[0:1], s[0:1], v0, s6, 0
	v_lshl_add_u64 v[0:1], v[0:1], 1, v[18:19]
	s_waitcnt lgkmcnt(0)
	global_store_dwordx4 v[0:1], v[14:17], off
.LBB923_17:
	s_endpgm
	.section	.rodata,"a",@progbits
	.p2align	6, 0x0
	.amdhsa_kernel _Z39paged_attention_ll4mi_QKV_mfma16_kernelIDF16_hLN4vllm18Fp8KVCacheDataTypeE1EDF16_Li32ELi64ELi256ELb0ELi16EEvPKT_PKT0_S7_ifPKiS9_S9_iPKfiiiPfSC_PS2_PT2_iSB_SB_
		.amdhsa_group_segment_fixed_size 8192
		.amdhsa_private_segment_fixed_size 0
		.amdhsa_kernarg_size 400
		.amdhsa_user_sgpr_count 2
		.amdhsa_user_sgpr_dispatch_ptr 0
		.amdhsa_user_sgpr_queue_ptr 0
		.amdhsa_user_sgpr_kernarg_segment_ptr 1
		.amdhsa_user_sgpr_dispatch_id 0
		.amdhsa_user_sgpr_kernarg_preload_length 0
		.amdhsa_user_sgpr_kernarg_preload_offset 0
		.amdhsa_user_sgpr_private_segment_size 0
		.amdhsa_uses_dynamic_stack 0
		.amdhsa_enable_private_segment 0
		.amdhsa_system_sgpr_workgroup_id_x 1
		.amdhsa_system_sgpr_workgroup_id_y 1
		.amdhsa_system_sgpr_workgroup_id_z 1
		.amdhsa_system_sgpr_workgroup_info 0
		.amdhsa_system_vgpr_workitem_id 0
		.amdhsa_next_free_vgpr 55
		.amdhsa_next_free_sgpr 49
		.amdhsa_accum_offset 56
		.amdhsa_reserve_vcc 1
		.amdhsa_float_round_mode_32 0
		.amdhsa_float_round_mode_16_64 0
		.amdhsa_float_denorm_mode_32 3
		.amdhsa_float_denorm_mode_16_64 3
		.amdhsa_dx10_clamp 1
		.amdhsa_ieee_mode 1
		.amdhsa_fp16_overflow 0
		.amdhsa_tg_split 0
		.amdhsa_exception_fp_ieee_invalid_op 0
		.amdhsa_exception_fp_denorm_src 0
		.amdhsa_exception_fp_ieee_div_zero 0
		.amdhsa_exception_fp_ieee_overflow 0
		.amdhsa_exception_fp_ieee_underflow 0
		.amdhsa_exception_fp_ieee_inexact 0
		.amdhsa_exception_int_div_zero 0
	.end_amdhsa_kernel
	.section	.text._Z39paged_attention_ll4mi_QKV_mfma16_kernelIDF16_hLN4vllm18Fp8KVCacheDataTypeE1EDF16_Li32ELi64ELi256ELb0ELi16EEvPKT_PKT0_S7_ifPKiS9_S9_iPKfiiiPfSC_PS2_PT2_iSB_SB_,"axG",@progbits,_Z39paged_attention_ll4mi_QKV_mfma16_kernelIDF16_hLN4vllm18Fp8KVCacheDataTypeE1EDF16_Li32ELi64ELi256ELb0ELi16EEvPKT_PKT0_S7_ifPKiS9_S9_iPKfiiiPfSC_PS2_PT2_iSB_SB_,comdat
.Lfunc_end923:
	.size	_Z39paged_attention_ll4mi_QKV_mfma16_kernelIDF16_hLN4vllm18Fp8KVCacheDataTypeE1EDF16_Li32ELi64ELi256ELb0ELi16EEvPKT_PKT0_S7_ifPKiS9_S9_iPKfiiiPfSC_PS2_PT2_iSB_SB_, .Lfunc_end923-_Z39paged_attention_ll4mi_QKV_mfma16_kernelIDF16_hLN4vllm18Fp8KVCacheDataTypeE1EDF16_Li32ELi64ELi256ELb0ELi16EEvPKT_PKT0_S7_ifPKiS9_S9_iPKfiiiPfSC_PS2_PT2_iSB_SB_
                                        ; -- End function
	.section	.AMDGPU.csdata,"",@progbits
; Kernel info:
; codeLenInByte = 4692
; NumSgprs: 55
; NumVgprs: 55
; NumAgprs: 0
; TotalNumVgprs: 55
; ScratchSize: 0
; MemoryBound: 0
; FloatMode: 240
; IeeeMode: 1
; LDSByteSize: 8192 bytes/workgroup (compile time only)
; SGPRBlocks: 6
; VGPRBlocks: 6
; NumSGPRsForWavesPerEU: 55
; NumVGPRsForWavesPerEU: 55
; AccumOffset: 56
; Occupancy: 8
; WaveLimiterHint : 1
; COMPUTE_PGM_RSRC2:SCRATCH_EN: 0
; COMPUTE_PGM_RSRC2:USER_SGPR: 2
; COMPUTE_PGM_RSRC2:TRAP_HANDLER: 0
; COMPUTE_PGM_RSRC2:TGID_X_EN: 1
; COMPUTE_PGM_RSRC2:TGID_Y_EN: 1
; COMPUTE_PGM_RSRC2:TGID_Z_EN: 1
; COMPUTE_PGM_RSRC2:TIDIG_COMP_CNT: 0
; COMPUTE_PGM_RSRC3_GFX90A:ACCUM_OFFSET: 13
; COMPUTE_PGM_RSRC3_GFX90A:TG_SPLIT: 0
	.section	.text._Z39paged_attention_ll4mi_QKV_mfma16_kernelIDF16_hLN4vllm18Fp8KVCacheDataTypeE1EDF16_Li32ELi64ELi256ELb0ELi1EEvPKT_PKT0_S7_ifPKiS9_S9_iPKfiiiPfSC_PS2_PT2_iSB_SB_,"axG",@progbits,_Z39paged_attention_ll4mi_QKV_mfma16_kernelIDF16_hLN4vllm18Fp8KVCacheDataTypeE1EDF16_Li32ELi64ELi256ELb0ELi1EEvPKT_PKT0_S7_ifPKiS9_S9_iPKfiiiPfSC_PS2_PT2_iSB_SB_,comdat
	.protected	_Z39paged_attention_ll4mi_QKV_mfma16_kernelIDF16_hLN4vllm18Fp8KVCacheDataTypeE1EDF16_Li32ELi64ELi256ELb0ELi1EEvPKT_PKT0_S7_ifPKiS9_S9_iPKfiiiPfSC_PS2_PT2_iSB_SB_ ; -- Begin function _Z39paged_attention_ll4mi_QKV_mfma16_kernelIDF16_hLN4vllm18Fp8KVCacheDataTypeE1EDF16_Li32ELi64ELi256ELb0ELi1EEvPKT_PKT0_S7_ifPKiS9_S9_iPKfiiiPfSC_PS2_PT2_iSB_SB_
	.globl	_Z39paged_attention_ll4mi_QKV_mfma16_kernelIDF16_hLN4vllm18Fp8KVCacheDataTypeE1EDF16_Li32ELi64ELi256ELb0ELi1EEvPKT_PKT0_S7_ifPKiS9_S9_iPKfiiiPfSC_PS2_PT2_iSB_SB_
	.p2align	8
	.type	_Z39paged_attention_ll4mi_QKV_mfma16_kernelIDF16_hLN4vllm18Fp8KVCacheDataTypeE1EDF16_Li32ELi64ELi256ELb0ELi1EEvPKT_PKT0_S7_ifPKiS9_S9_iPKfiiiPfSC_PS2_PT2_iSB_SB_,@function
_Z39paged_attention_ll4mi_QKV_mfma16_kernelIDF16_hLN4vllm18Fp8KVCacheDataTypeE1EDF16_Li32ELi64ELi256ELb0ELi1EEvPKT_PKT0_S7_ifPKiS9_S9_iPKfiiiPfSC_PS2_PT2_iSB_SB_: ; @_Z39paged_attention_ll4mi_QKV_mfma16_kernelIDF16_hLN4vllm18Fp8KVCacheDataTypeE1EDF16_Li32ELi64ELi256ELb0ELi1EEvPKT_PKT0_S7_ifPKiS9_S9_iPKfiiiPfSC_PS2_PT2_iSB_SB_
; %bb.0:
	s_load_dwordx2 s[12:13], s[0:1], 0x30
	s_mov_b32 s5, s3
	s_mov_b64 s[6:7], 0
	s_waitcnt lgkmcnt(0)
	s_cmp_lg_u64 s[12:13], 0
	s_cselect_b64 s[14:15], -1, 0
	s_and_b64 vcc, exec, s[14:15]
	s_cbranch_vccz .LBB924_7
; %bb.1:
	s_add_i32 s8, s2, 1
	s_mov_b32 s9, 0
	s_lshl_b64 s[10:11], s[8:9], 2
	s_add_u32 s10, s12, s10
	s_mov_b32 s3, s9
	s_addc_u32 s11, s13, s11
	s_lshl_b64 s[8:9], s[2:3], 2
	s_add_u32 s8, s12, s8
	s_addc_u32 s9, s13, s9
	s_load_dword s16, s[10:11], 0x0
	s_load_dword s17, s[8:9], 0x0
	s_waitcnt lgkmcnt(0)
	s_sub_i32 s8, s16, s17
	s_cmp_eq_u32 s8, 1
	s_cselect_b64 s[8:9], -1, 0
	s_andn2_b64 vcc, exec, s[6:7]
	s_cbranch_vccnz .LBB924_3
.LBB924_2:
	s_mov_b32 s3, 0
	s_mov_b64 s[8:9], -1
.LBB924_3:
	s_andn2_b64 vcc, exec, s[8:9]
	s_cbranch_vccnz .LBB924_17
; %bb.4:
	s_load_dwordx2 s[6:7], s[0:1], 0x28
	s_lshl_b64 s[16:17], s[2:3], 2
	s_waitcnt lgkmcnt(0)
	s_add_u32 s6, s6, s16
	s_addc_u32 s7, s7, s17
	s_load_dword s33, s[6:7], 0x0
	s_lshl_b32 s18, s5, 8
	s_waitcnt lgkmcnt(0)
	s_cmp_ge_i32 s18, s33
	s_cbranch_scc1 .LBB924_17
; %bb.5:
	s_load_dwordx2 s[6:7], s[0:1], 0x20
	s_load_dword s8, s[0:1], 0x38
	s_add_i32 s9, s33, 31
	s_ashr_i32 s10, s9, 31
	v_and_b32_e32 v1, 0xcf, v0
	s_lshr_b32 s10, s10, 27
	v_add_u32_e32 v1, s18, v1
	s_add_i32 s9, s9, s10
	v_ashrrev_i32_e32 v2, 31, v1
	s_ashr_i32 s19, s9, 5
	v_lshrrev_b32_e32 v10, 27, v2
	s_add_i32 s19, s19, -1
	s_waitcnt lgkmcnt(0)
	s_mul_i32 s8, s2, s8
	s_mov_b32 s9, 0
	v_add_u32_e32 v2, v1, v10
	s_lshl_b64 s[8:9], s[8:9], 2
	v_ashrrev_i32_e32 v2, 5, v2
	v_mov_b32_e32 v11, s19
	v_cmp_gt_i32_e32 vcc, s33, v1
	s_add_u32 s6, s6, s8
	s_addc_u32 s7, s7, s9
	v_cndmask_b32_e32 v2, v11, v2, vcc
	v_ashrrev_i32_e32 v3, 31, v2
	v_lshl_add_u64 v[4:5], v[2:3], 2, s[6:7]
	v_or_b32_e32 v2, 16, v1
	v_add_u32_e32 v3, v2, v10
	v_ashrrev_i32_e32 v3, 5, v3
	v_cmp_gt_i32_e32 vcc, s33, v2
	s_load_dwordx4 s[8:11], s[0:1], 0x8
	s_nop 0
	v_cndmask_b32_e32 v2, v11, v3, vcc
	v_ashrrev_i32_e32 v3, 31, v2
	v_lshl_add_u64 v[6:7], v[2:3], 2, s[6:7]
	v_or_b32_e32 v2, 32, v1
	v_add_u32_e32 v3, v2, v10
	v_ashrrev_i32_e32 v3, 5, v3
	v_cmp_gt_i32_e32 vcc, s33, v2
	v_or_b32_e32 v1, 48, v1
	s_nop 0
	v_cndmask_b32_e32 v2, v11, v3, vcc
	v_ashrrev_i32_e32 v3, 31, v2
	v_lshl_add_u64 v[8:9], v[2:3], 2, s[6:7]
	v_add_u32_e32 v2, v1, v10
	v_ashrrev_i32_e32 v2, 5, v2
	v_cmp_gt_i32_e32 vcc, s33, v1
	s_nop 1
	v_cndmask_b32_e32 v2, v11, v2, vcc
	v_ashrrev_i32_e32 v3, 31, v2
	v_lshl_add_u64 v[10:11], v[2:3], 2, s[6:7]
	global_load_dword v3, v[4:5], off
	global_load_dword v2, v[6:7], off
	;; [unrolled: 1-line block ×4, first 2 shown]
	s_andn2_b64 vcc, exec, s[14:15]
	s_cbranch_vccnz .LBB924_8
; %bb.6:
	s_add_u32 s12, s12, s16
	s_addc_u32 s13, s13, s17
	s_load_dword s14, s[12:13], 0x0
	s_branch .LBB924_9
.LBB924_7:
	s_mov_b64 s[8:9], 0
	s_branch .LBB924_2
.LBB924_8:
	s_mov_b32 s14, s2
.LBB924_9:
	s_load_dwordx4 s[44:47], s[0:1], 0x48
	v_lshrrev_b32_e32 v42, 6, v0
	v_bfe_u32 v40, v0, 4, 2
	v_lshl_or_b32 v1, v42, 2, v40
	v_and_b32_e32 v45, 15, v0
	v_lshlrev_b32_e32 v4, 3, v45
	v_cmp_eq_u32_e32 vcc, 0, v1
	v_cmp_gt_u32_e64 s[28:29], 8, v45
	v_and_b32_e32 v44, 63, v0
	s_and_b64 s[16:17], s[28:29], vcc
	v_lshlrev_b32_e32 v1, 1, v4
	v_lshlrev_b32_e32 v41, 4, v0
	s_and_saveexec_b64 s[12:13], s[16:17]
	s_cbranch_execz .LBB924_11
; %bb.10:
	s_load_dwordx2 s[16:17], s[0:1], 0x0
	s_waitcnt lgkmcnt(0)
	s_ashr_i32 s15, s44, 31
	s_mul_hi_u32 s20, s14, s44
	s_mul_i32 s15, s14, s15
	s_add_i32 s15, s20, s15
	s_mul_i32 s14, s14, s44
	s_lshl_b64 s[14:15], s[14:15], 1
	s_add_u32 s16, s16, s14
	s_addc_u32 s17, s17, s15
	s_lshl_b32 s14, s4, 6
	s_ashr_i32 s15, s14, 31
	s_lshl_b64 s[14:15], s[14:15], 1
	s_add_u32 s14, s16, s14
	s_addc_u32 s15, s17, s15
	global_load_dwordx4 v[4:7], v1, s[14:15]
	v_lshlrev_b32_e32 v8, 8, v45
	v_and_b32_e32 v9, 16, v41
	s_movk_i32 s14, 0xe00
	v_and_or_b32 v8, v8, s14, v9
	s_waitcnt vmcnt(0)
	ds_write_b128 v8, v[4:7]
.LBB924_11:
	s_or_b64 exec, exec, s[12:13]
	s_waitcnt lgkmcnt(0)
	s_mul_i32 s12, s4, s46
	s_add_u32 s8, s8, s12
	s_addc_u32 s9, s9, 0
	v_mov_b32_e32 v27, 0
	v_mov_b64_e32 v[14:15], s[8:9]
	v_and_b32_e32 v6, 48, v0
	s_waitcnt vmcnt(3)
	v_mad_i64_i32 v[4:5], s[8:9], v3, s45, v[14:15]
	v_lshlrev_b32_e32 v22, 4, v45
	v_mov_b32_e32 v23, v27
	v_lshlrev_b32_e32 v26, 5, v6
	v_lshl_add_u64 v[4:5], v[4:5], 0, v[22:23]
	v_lshl_add_u64 v[4:5], v[4:5], 0, v[26:27]
	s_barrier
	global_load_dwordx4 v[18:21], v[4:5], off
	s_waitcnt vmcnt(3)
	v_mad_i64_i32 v[2:3], s[8:9], v2, s45, v[14:15]
	v_or_b32_e32 v28, 0x100, v22
	v_mov_b32_e32 v29, v27
	v_lshl_add_u64 v[2:3], v[2:3], 0, v[28:29]
	v_lshl_add_u64 v[2:3], v[2:3], 0, v[26:27]
	global_load_dwordx4 v[10:13], v[2:3], off
	s_ashr_i32 s8, s18, 31
	v_or_b32_e32 v30, s18, v6
	s_lshr_b32 s13, s8, 27
	v_add_u32_e32 v2, s13, v30
	v_ashrrev_i32_e32 v2, 5, v2
	v_mov_b32_e32 v31, s19
	v_cmp_gt_i32_e32 vcc, s33, v30
	s_waitcnt vmcnt(3)
	v_mad_i64_i32 v[24:25], s[8:9], v17, s45, v[14:15]
	v_cndmask_b32_e32 v2, v31, v2, vcc
	v_ashrrev_i32_e32 v3, 31, v2
	v_lshl_add_u64 v[2:3], v[2:3], 2, s[6:7]
	v_lshl_add_u64 v[22:23], v[24:25], 0, v[22:23]
	global_load_dword v54, v[2:3], off
	v_lshlrev_b32_e32 v2, 9, v40
	v_lshl_add_u64 v[22:23], v[22:23], 0, v[26:27]
	s_load_dword s14, s[0:1], 0x1c
	s_load_dwordx4 s[40:43], s[0:1], 0x80
	ds_read_b128 v[6:9], v2
	ds_read_b128 v[2:5], v2 offset:16
	global_load_dwordx4 v[22:25], v[22:23], off
	v_or_b32_e32 v17, 64, v30
	s_waitcnt vmcnt(4)
	v_mad_i64_i32 v[14:15], s[8:9], v16, s45, v[14:15]
	v_add_u32_e32 v16, s13, v17
	v_lshl_add_u64 v[14:15], v[14:15], 0, v[28:29]
	v_ashrrev_i32_e32 v16, 5, v16
	v_lshl_add_u64 v[14:15], v[14:15], 0, v[26:27]
	v_cmp_gt_i32_e32 vcc, s33, v17
	v_or_b32_e32 v32, 0x80, v30
	v_or_b32_e32 v33, 0xc0, v30
	v_cndmask_b32_e32 v28, v31, v16, vcc
	global_load_dwordx4 v[14:17], v[14:15], off
	v_add_u32_e32 v30, s13, v32
	v_add_u32_e32 v34, s13, v33
	v_ashrrev_i32_e32 v29, 5, v30
	v_cmp_gt_i32_e32 vcc, s33, v32
	v_ashrrev_i32_e32 v34, 5, v34
	s_add_u32 s8, s10, s12
	v_cndmask_b32_e32 v30, v31, v29, vcc
	v_cmp_gt_i32_e32 vcc, s33, v33
	v_lshlrev_b32_e32 v43, 5, v45
	s_addc_u32 s9, s11, 0
	v_cndmask_b32_e32 v32, v31, v34, vcc
	v_and_b32_e32 v26, 16, v0
	v_ashrrev_i32_e32 v29, 31, v28
	v_ashrrev_i32_e32 v31, 31, v30
	;; [unrolled: 1-line block ×3, first 2 shown]
	v_lshl_add_u64 v[34:35], s[8:9], 0, v[26:27]
	v_lshl_or_b32 v26, v42, 9, v43
	v_lshl_add_u64 v[36:37], v[28:29], 2, s[6:7]
	v_lshl_add_u64 v[30:31], v[30:31], 2, s[6:7]
	;; [unrolled: 1-line block ×3, first 2 shown]
	s_waitcnt lgkmcnt(0)
	s_load_dword s10, s[40:41], 0x0
	v_lshl_add_u64 v[28:29], v[34:35], 0, v[26:27]
	global_load_dword v47, v[36:37], off
	global_load_dword v26, v[30:31], off
	;; [unrolled: 1-line block ×3, first 2 shown]
	s_mov_b32 s44, 0xff7fffff
	s_waitcnt vmcnt(7)
	v_cvt_pk_f32_fp8_e32 v[30:31], v18
	v_cvt_pk_f32_fp8_sdwa v[32:33], v18 src0_sel:WORD_1
	v_cvt_pk_f32_fp8_e32 v[34:35], v19
	v_cvt_pk_f32_fp8_sdwa v[18:19], v19 src0_sel:WORD_1
	v_cvt_pkrtz_f16_f32 v30, v30, v31
	v_cvt_pkrtz_f16_f32 v31, v32, v33
	v_cvt_pk_f32_fp8_e32 v[36:37], v20
	v_cvt_pk_f32_fp8_sdwa v[38:39], v20 src0_sel:WORD_1
	v_cvt_pkrtz_f16_f32 v34, v34, v35
	v_cvt_pkrtz_f16_f32 v35, v18, v19
	v_cvt_pk_f32_fp8_e32 v[48:49], v21
	v_cvt_pk_f32_fp8_sdwa v[32:33], v21 src0_sel:WORD_1
	v_mfma_f32_16x16x16_f16 v[18:21], v[30:31], v[6:7], 0
	v_cvt_pkrtz_f16_f32 v30, v36, v37
	v_cvt_pkrtz_f16_f32 v31, v38, v39
	s_waitcnt vmcnt(6)
	v_cvt_pk_f32_fp8_e32 v[50:51], v10
	v_cvt_pk_f32_fp8_sdwa v[52:53], v10 src0_sel:WORD_1
	v_mfma_f32_16x16x16_f16 v[18:21], v[34:35], v[8:9], v[18:21]
	v_cvt_pk_f32_fp8_e32 v[34:35], v11
	v_cvt_pkrtz_f16_f32 v36, v48, v49
	v_cvt_pkrtz_f16_f32 v37, v32, v33
	v_mfma_f32_16x16x16_f16 v[30:33], v[30:31], v[2:3], v[18:21]
	v_cvt_pk_f32_fp8_sdwa v[10:11], v11 src0_sel:WORD_1
	v_cvt_pkrtz_f16_f32 v38, v34, v35
	v_cvt_pk_f32_fp8_e32 v[48:49], v12
	v_cvt_pkrtz_f16_f32 v20, v50, v51
	v_cvt_pkrtz_f16_f32 v21, v52, v53
	v_cvt_pk_f32_fp8_sdwa v[50:51], v12 src0_sel:WORD_1
	v_cvt_pkrtz_f16_f32 v39, v10, v11
	v_mfma_f32_16x16x16_f16 v[30:33], v[36:37], v[4:5], v[30:33]
	s_waitcnt vmcnt(5)
	v_mad_i64_i32 v[18:19], s[6:7], v54, s45, v[28:29]
	v_mfma_f32_16x16x16_f16 v[34:37], v[20:21], v[6:7], 0
	v_cvt_pkrtz_f16_f32 v20, v48, v49
	v_cvt_pkrtz_f16_f32 v21, v50, v51
	v_cvt_pk_f32_fp8_e32 v[48:49], v13
	v_cvt_pk_f32_fp8_sdwa v[50:51], v13 src0_sel:WORD_1
	v_mfma_f32_16x16x16_f16 v[10:13], v[38:39], v[8:9], v[34:37]
	s_waitcnt vmcnt(4)
	v_cvt_pk_f32_fp8_sdwa v[38:39], v24 src0_sel:WORD_1
	s_nop 0
	v_mov_b32_e32 v36, s14
	v_cvt_pkrtz_f16_f32 v34, v48, v49
	v_cvt_pkrtz_f16_f32 v35, v50, v51
	v_mfma_f32_16x16x16_f16 v[10:13], v[20:21], v[2:3], v[10:13]
	s_waitcnt lgkmcnt(0)
	v_mul_f32_e32 v52, s10, v36
	v_cvt_pk_f32_fp8_e32 v[20:21], v22
	v_cvt_pk_f32_fp8_sdwa v[36:37], v22 src0_sel:WORD_1
	v_mfma_f32_16x16x16_f16 v[10:13], v[34:35], v[4:5], v[10:13]
	v_cvt_pk_f32_fp8_e32 v[34:35], v23
	v_cvt_pkrtz_f16_f32 v20, v20, v21
	v_cvt_pkrtz_f16_f32 v21, v36, v37
	v_cvt_pk_f32_fp8_sdwa v[22:23], v23 src0_sel:WORD_1
	v_cvt_pkrtz_f16_f32 v34, v34, v35
	v_cvt_pk_f32_fp8_e32 v[36:37], v24
	v_cvt_pkrtz_f16_f32 v49, v38, v39
	v_cvt_pkrtz_f16_f32 v35, v22, v23
	v_mfma_f32_16x16x16_f16 v[20:23], v[20:21], v[6:7], 0
	v_cvt_pkrtz_f16_f32 v48, v36, v37
	v_cvt_pk_f32_fp8_e32 v[38:39], v25
	v_cvt_pk_f32_fp8_sdwa v[24:25], v25 src0_sel:WORD_1
	v_mfma_f32_16x16x16_f16 v[34:37], v[34:35], v[8:9], v[20:23]
	s_nop 2
	v_cvt_pkrtz_f16_f32 v20, v38, v39
	v_cvt_pkrtz_f16_f32 v21, v24, v25
	v_pk_mul_f32 v[22:23], v[52:53], v[32:33] op_sel_hi:[0,1]
	v_mfma_f32_16x16x16_f16 v[34:37], v[48:49], v[2:3], v[34:37]
	v_pk_mul_f32 v[32:33], v[52:53], v[30:31] op_sel_hi:[0,1]
	s_waitcnt vmcnt(3)
	v_cvt_pk_f32_fp8_e32 v[24:25], v14
	v_cvt_pk_f32_fp8_sdwa v[30:31], v14 src0_sel:WORD_1
	v_mfma_f32_16x16x16_f16 v[48:51], v[20:21], v[4:5], v[34:37]
	v_cvt_pk_f32_fp8_e32 v[20:21], v15
	v_cvt_pkrtz_f16_f32 v24, v24, v25
	v_cvt_pkrtz_f16_f32 v25, v30, v31
	v_cvt_pk_f32_fp8_sdwa v[14:15], v15 src0_sel:WORD_1
	v_cvt_pkrtz_f16_f32 v20, v20, v21
	v_cvt_pk_f32_fp8_e32 v[30:31], v16
	v_cvt_pk_f32_fp8_sdwa v[38:39], v16 src0_sel:WORD_1
	v_cvt_pkrtz_f16_f32 v21, v14, v15
	v_mfma_f32_16x16x16_f16 v[34:37], v[24:25], v[6:7], 0
	v_cvt_pkrtz_f16_f32 v14, v30, v31
	v_cvt_pkrtz_f16_f32 v15, v38, v39
	v_cvt_pk_f32_fp8_e32 v[24:25], v17
	v_cvt_pk_f32_fp8_sdwa v[16:17], v17 src0_sel:WORD_1
	v_mfma_f32_16x16x16_f16 v[6:9], v[20:21], v[8:9], v[34:37]
	v_pk_mul_f32 v[38:39], v[52:53], v[10:11] op_sel_hi:[0,1]
	v_pk_mul_f32 v[30:31], v[52:53], v[50:51] op_sel_hi:[0,1]
	s_nop 0
	v_pk_mul_f32 v[34:35], v[52:53], v[12:13] op_sel_hi:[0,1]
	v_cvt_pkrtz_f16_f32 v12, v24, v25
	v_cvt_pkrtz_f16_f32 v13, v16, v17
	v_mfma_f32_16x16x16_f16 v[6:9], v[14:15], v[2:3], v[6:9]
	v_pk_mul_f32 v[36:37], v[52:53], v[48:49] op_sel_hi:[0,1]
	v_mfma_f32_16x16x16_f16 v[2:5], v[12:13], v[4:5], v[6:9]
	s_nop 6
	v_pk_mul_f32 v[24:25], v[52:53], v[2:3] op_sel_hi:[0,1]
	v_and_b32_e32 v2, 0xc0, v0
	v_add_u32_e32 v2, s18, v2
	v_lshl_or_b32 v2, v40, 2, v2
	v_pk_mul_f32 v[20:21], v[52:53], v[4:5] op_sel_hi:[0,1]
	v_or_b32_e32 v5, 1, v2
	v_mov_b32_e32 v3, 0xff7fffff
	v_cmp_gt_i32_e64 s[30:31], s33, v2
	v_cmp_gt_i32_e64 s[34:35], s33, v5
	v_or_b32_e32 v6, 3, v2
	v_cndmask_b32_e64 v4, v3, v32, s[30:31]
	v_cndmask_b32_e64 v5, v3, v33, s[34:35]
	v_max3_f32 v4, v4, s44, v5
	v_or_b32_e32 v5, 2, v2
	v_cmp_gt_i32_e64 s[36:37], s33, v5
	v_cmp_gt_i32_e64 s[38:39], s33, v6
	s_nop 0
	v_cndmask_b32_e64 v5, v3, v22, s[36:37]
	v_cndmask_b32_e64 v6, v3, v23, s[38:39]
	v_max3_f32 v4, v4, v5, v6
	v_or_b32_e32 v5, 16, v2
	v_or_b32_e32 v6, 17, v2
	v_cmp_gt_i32_e64 s[24:25], s33, v5
	v_cmp_gt_i32_e64 s[26:27], s33, v6
	s_nop 0
	v_cndmask_b32_e64 v5, v3, v38, s[24:25]
	v_cndmask_b32_e64 v6, v3, v39, s[26:27]
	v_max3_f32 v4, v4, v5, v6
	v_or_b32_e32 v5, 18, v2
	v_or_b32_e32 v6, 19, v2
	v_cmp_gt_i32_e64 s[20:21], s33, v5
	v_cmp_gt_i32_e64 s[22:23], s33, v6
	s_nop 0
	v_cndmask_b32_e64 v5, v3, v34, s[20:21]
	v_cndmask_b32_e64 v6, v3, v35, s[22:23]
	v_max3_f32 v4, v4, v5, v6
	v_or_b32_e32 v5, 32, v2
	v_or_b32_e32 v6, 33, v2
	v_cmp_gt_i32_e64 s[16:17], s33, v5
	v_cmp_gt_i32_e64 s[18:19], s33, v6
	s_nop 0
	v_cndmask_b32_e64 v5, v3, v36, s[16:17]
	v_cndmask_b32_e64 v6, v3, v37, s[18:19]
	v_max3_f32 v4, v4, v5, v6
	v_or_b32_e32 v5, 34, v2
	v_or_b32_e32 v6, 35, v2
	v_cmp_gt_i32_e64 s[12:13], s33, v5
	v_cmp_gt_i32_e64 s[14:15], s33, v6
	s_nop 0
	v_cndmask_b32_e64 v5, v3, v30, s[12:13]
	v_cndmask_b32_e64 v6, v3, v31, s[14:15]
	v_max3_f32 v4, v4, v5, v6
	v_or_b32_e32 v5, 48, v2
	v_or_b32_e32 v6, 49, v2
	v_cmp_gt_i32_e64 s[8:9], s33, v5
	v_cmp_gt_i32_e64 s[10:11], s33, v6
	s_nop 0
	v_cndmask_b32_e64 v5, v3, v24, s[8:9]
	v_cndmask_b32_e64 v6, v3, v25, s[10:11]
	v_max3_f32 v4, v4, v5, v6
	v_or_b32_e32 v5, 50, v2
	v_or_b32_e32 v2, 51, v2
	v_cmp_gt_i32_e32 vcc, s33, v5
	v_cmp_gt_i32_e64 s[6:7], s33, v2
	s_nop 0
	v_cndmask_b32_e32 v5, v3, v20, vcc
	v_cndmask_b32_e64 v2, v3, v21, s[6:7]
	v_max3_f32 v4, v4, v5, v2
	v_mbcnt_lo_u32_b32 v2, -1, 0
	v_mbcnt_hi_u32_b32 v5, -1, v2
	v_and_b32_e32 v2, 64, v5
	v_add_u32_e32 v6, 64, v2
	v_xor_b32_e32 v2, 32, v5
	v_cmp_lt_i32_e64 s[40:41], v2, v6
	s_nop 1
	v_cndmask_b32_e64 v2, v5, v2, s[40:41]
	v_lshlrev_b32_e32 v48, 2, v2
	ds_bpermute_b32 v7, v48, v4
	s_waitcnt vmcnt(2)
	v_mad_i64_i32 v[2:3], s[40:41], v47, s45, v[28:29]
	global_load_dwordx4 v[14:17], v[18:19], off
	global_load_dwordx4 v[10:13], v[2:3], off
	v_xor_b32_e32 v3, 16, v5
	v_cmp_lt_i32_e64 s[40:41], v3, v6
	s_waitcnt lgkmcnt(0)
	v_max_f32_e32 v2, v7, v7
	v_max_f32_e32 v2, v4, v2
	v_cndmask_b32_e64 v3, v5, v3, s[40:41]
	v_lshlrev_b32_e32 v47, 2, v3
	ds_bpermute_b32 v3, v47, v2
	s_waitcnt vmcnt(3)
	v_mad_i64_i32 v[18:19], s[40:41], v26, s45, v[28:29]
	s_waitcnt vmcnt(2)
	v_mad_i64_i32 v[28:29], s[40:41], v46, s45, v[28:29]
	s_waitcnt lgkmcnt(0)
	v_max_f32_e32 v3, v3, v3
	v_max_f32_e32 v26, v2, v3
	v_sub_f32_e32 v2, v32, v26
	v_mul_f32_e32 v2, 0x3fb8aa3b, v2
	v_exp_f32_e32 v32, v2
	v_sub_f32_e32 v2, v33, v26
	v_mul_f32_e32 v2, 0x3fb8aa3b, v2
	v_exp_f32_e32 v33, v2
	global_load_dwordx4 v[6:9], v[18:19], off
	global_load_dwordx4 v[2:5], v[28:29], off
	v_sub_f32_e32 v22, v22, v26
	v_mul_f32_e32 v22, 0x3fb8aa3b, v22
	v_sub_f32_e32 v23, v23, v26
	v_exp_f32_e32 v22, v22
	v_mul_f32_e32 v23, 0x3fb8aa3b, v23
	v_exp_f32_e32 v23, v23
	v_cndmask_b32_e64 v18, 0, v32, s[30:31]
	v_add_f32_e32 v28, 0, v18
	v_cndmask_b32_e64 v19, 0, v33, s[34:35]
	v_add_f32_e32 v28, v28, v19
	;; [unrolled: 2-line block ×3, first 2 shown]
	v_cndmask_b32_e64 v33, 0, v23, s[38:39]
	v_sub_f32_e32 v23, v38, v26
	v_sub_f32_e32 v28, v39, v26
	v_mul_f32_e32 v23, 0x3fb8aa3b, v23
	v_mul_f32_e32 v28, 0x3fb8aa3b, v28
	v_exp_f32_e32 v23, v23
	v_exp_f32_e32 v28, v28
	v_add_f32_e32 v29, v22, v33
	v_sub_f32_e32 v30, v30, v26
	v_cndmask_b32_e64 v22, 0, v23, s[24:25]
	v_cndmask_b32_e64 v23, 0, v28, s[26:27]
	v_sub_f32_e32 v28, v34, v26
	v_mul_f32_e32 v28, 0x3fb8aa3b, v28
	v_exp_f32_e32 v28, v28
	v_sub_f32_e32 v34, v35, v26
	v_add_f32_e32 v29, v29, v22
	v_mul_f32_e32 v34, 0x3fb8aa3b, v34
	v_exp_f32_e32 v35, v34
	v_add_f32_e32 v29, v29, v23
	v_cndmask_b32_e64 v34, 0, v28, s[20:21]
	v_add_f32_e32 v28, v29, v34
	v_sub_f32_e32 v29, v36, v26
	v_mul_f32_e32 v29, 0x3fb8aa3b, v29
	v_sub_f32_e32 v36, v37, v26
	v_exp_f32_e32 v29, v29
	v_mul_f32_e32 v36, 0x3fb8aa3b, v36
	v_exp_f32_e32 v36, v36
	v_mul_f32_e32 v30, 0x3fb8aa3b, v30
	v_sub_f32_e32 v31, v31, v26
	v_exp_f32_e32 v30, v30
	v_mul_f32_e32 v31, 0x3fb8aa3b, v31
	v_sub_f32_e32 v24, v24, v26
	v_cndmask_b32_e64 v35, 0, v35, s[22:23]
	v_exp_f32_e32 v31, v31
	v_mul_f32_e32 v24, 0x3fb8aa3b, v24
	v_sub_f32_e32 v25, v25, v26
	v_add_f32_e32 v37, v28, v35
	v_cndmask_b32_e64 v28, 0, v29, s[16:17]
	v_exp_f32_e32 v24, v24
	v_mul_f32_e32 v25, 0x3fb8aa3b, v25
	v_sub_f32_e32 v20, v20, v26
	v_add_f32_e32 v37, v37, v28
	;; [unrolled: 5-line block ×3, first 2 shown]
	v_cndmask_b32_e64 v30, 0, v30, s[12:13]
	v_exp_f32_e32 v20, v20
	v_mul_f32_e32 v21, 0x3fb8aa3b, v21
	v_add_f32_e32 v36, v36, v30
	v_cndmask_b32_e64 v31, 0, v31, s[14:15]
	v_exp_f32_e32 v21, v21
	v_add_f32_e32 v36, v36, v31
	v_cndmask_b32_e64 v24, 0, v24, s[8:9]
	v_add_f32_e32 v36, v36, v24
	v_cndmask_b32_e64 v25, 0, v25, s[10:11]
	v_add_f32_e32 v36, v36, v25
	v_cndmask_b32_e32 v20, 0, v20, vcc
	v_add_f32_e32 v36, v36, v20
	v_cndmask_b32_e64 v21, 0, v21, s[6:7]
	v_add_f32_e32 v36, v36, v21
	ds_bpermute_b32 v37, v48, v36
	v_cmp_gt_u32_e64 s[6:7], 16, v44
	s_waitcnt lgkmcnt(0)
	s_barrier
	v_add_f32_e32 v37, v36, v37
	ds_bpermute_b32 v38, v47, v37
	v_lshlrev_b32_e32 v36, 2, v45
	s_and_saveexec_b64 s[8:9], s[6:7]
	s_cbranch_execz .LBB924_13
; %bb.12:
	s_waitcnt lgkmcnt(0)
	v_add_f32_e32 v37, v37, v38
	v_lshl_or_b32 v38, v42, 6, v36
	ds_write2st64_b32 v38, v26, v37 offset1:1
.LBB924_13:
	s_or_b64 exec, exec, s[8:9]
	s_load_dwordx2 s[8:9], s[0:1], 0x94
	s_waitcnt lgkmcnt(0)
	s_barrier
	ds_read2_b32 v[38:39], v36 offset1:16
	ds_read2_b32 v[44:45], v36 offset0:32 offset1:48
	ds_read2_b32 v[46:47], v36 offset0:64 offset1:80
	s_waitcnt lgkmcnt(2)
	v_max3_f32 v26, v38, s44, v39
	s_waitcnt lgkmcnt(1)
	v_max3_f32 v26, v26, v44, v45
	v_sub_f32_e32 v37, v38, v26
	v_sub_f32_e32 v38, v39, v26
	v_mul_f32_e32 v38, 0x3fb8aa3b, v38
	v_mul_f32_e32 v37, 0x3fb8aa3b, v37
	v_exp_f32_e32 v48, v38
	v_sub_f32_e32 v38, v44, v26
	v_exp_f32_e32 v37, v37
	v_mul_f32_e32 v38, 0x3fb8aa3b, v38
	v_exp_f32_e32 v44, v38
	ds_read2_b32 v[38:39], v36 offset0:96 offset1:112
	v_sub_f32_e32 v36, v45, v26
	v_mul_f32_e32 v36, 0x3fb8aa3b, v36
	v_exp_f32_e32 v45, v36
	s_waitcnt lgkmcnt(1)
	v_fma_f32 v36, v37, v46, 0
	v_fmac_f32_e32 v36, v48, v47
	s_waitcnt lgkmcnt(0)
	v_fmac_f32_e32 v36, v44, v38
	v_fmac_f32_e32 v36, v45, v39
	v_add_f32_e32 v38, 0x358637bd, v36
	v_div_scale_f32 v39, s[10:11], v38, v38, 1.0
	v_rcp_f32_e32 v46, v39
	s_barrier
	v_fma_f32 v47, -v39, v46, 1.0
	v_fmac_f32_e32 v46, v47, v46
	v_div_scale_f32 v47, vcc, 1.0, v38, 1.0
	v_mul_f32_e32 v49, v47, v46
	v_fma_f32 v50, -v39, v49, v47
	v_fmac_f32_e32 v49, v50, v46
	v_fma_f32 v39, -v39, v49, v47
	v_div_fmas_f32 v39, v39, v46, v49
	v_cmp_eq_u32_e32 vcc, 1, v42
	v_div_fixup_f32 v38, v39, v38, 1.0
	s_nop 0
	v_cndmask_b32_e32 v37, v37, v48, vcc
	v_cmp_eq_u32_e32 vcc, 2, v42
	s_nop 1
	v_cndmask_b32_e32 v37, v37, v44, vcc
	v_cmp_eq_u32_e32 vcc, 3, v42
	s_nop 1
	v_cndmask_b32_e32 v37, v37, v45, vcc
	v_mul_f32_e32 v38, v37, v38
	v_pk_mul_f32 v[18:19], v[38:39], v[18:19] op_sel_hi:[0,1]
	v_cvt_f16_f32_e32 v18, v18
	v_cvt_f16_f32_e32 v19, v19
	v_pk_mul_f32 v[32:33], v[38:39], v[32:33] op_sel_hi:[0,1]
	v_cvt_f16_f32_e32 v37, v32
	v_cvt_f16_f32_e32 v33, v33
	v_pack_b32_f16 v32, v18, v19
	v_pk_mul_f32 v[18:19], v[38:39], v[34:35] op_sel_hi:[0,1]
	v_pk_mul_f32 v[22:23], v[38:39], v[22:23] op_sel_hi:[0,1]
	v_cvt_f16_f32_e32 v22, v22
	v_cvt_f16_f32_e32 v23, v23
	;; [unrolled: 1-line block ×4, first 2 shown]
	v_pack_b32_f16 v33, v37, v33
	v_lshlrev_b32_e32 v37, 3, v40
	v_lshlrev_b32_e32 v18, 11, v42
	v_or3_b32 v18, v18, v43, v37
	v_pack_b32_f16 v22, v22, v23
	v_pack_b32_f16 v23, v34, v19
	ds_write2st64_b64 v18, v[32:33], v[22:23] offset1:1
	v_pk_mul_f32 v[22:23], v[38:39], v[30:31] op_sel_hi:[0,1]
	v_pk_mul_f32 v[28:29], v[38:39], v[28:29] op_sel_hi:[0,1]
	v_cvt_f16_f32_e32 v19, v28
	v_cvt_f16_f32_e32 v28, v29
	;; [unrolled: 1-line block ×4, first 2 shown]
	v_pk_mul_f32 v[20:21], v[38:39], v[20:21] op_sel_hi:[0,1]
	v_pk_mul_f32 v[22:23], v[38:39], v[24:25] op_sel_hi:[0,1]
	v_cvt_f16_f32_e32 v22, v22
	v_cvt_f16_f32_e32 v23, v23
	;; [unrolled: 1-line block ×4, first 2 shown]
	v_pack_b32_f16 v20, v19, v28
	v_pack_b32_f16 v21, v29, v30
	;; [unrolled: 1-line block ×4, first 2 shown]
	v_cmp_eq_u32_e32 vcc, 0, v0
	ds_write2st64_b64 v18, v[20:21], v[22:23] offset0:2 offset1:3
	s_and_saveexec_b64 s[10:11], vcc
	s_cbranch_execz .LBB924_15
; %bb.14:
	s_mul_i32 s3, s3, s9
	s_mul_hi_u32 s16, s2, s9
	s_add_i32 s16, s16, s3
	s_mul_i32 s3, s2, s9
	s_add_u32 s3, s3, s4
	s_addc_u32 s16, s16, 0
	s_load_dwordx4 s[12:15], s[0:1], 0x58
	s_mul_i32 s16, s16, s8
	s_mul_hi_u32 s17, s3, s8
	s_add_i32 s17, s17, s16
	s_mul_i32 s3, s3, s8
	s_add_u32 s16, s3, s5
	s_addc_u32 s17, s17, 0
	s_lshl_b64 s[16:17], s[16:17], 2
	s_waitcnt lgkmcnt(0)
	s_add_u32 s14, s14, s16
	s_addc_u32 s15, s15, s17
	s_add_u32 s12, s12, s16
	s_addc_u32 s13, s13, s17
	global_store_dword v27, v26, s[14:15]
	global_store_dword v27, v36, s[12:13]
.LBB924_15:
	s_or_b64 exec, exec, s[10:11]
	s_waitcnt vmcnt(3)
	v_cvt_pk_f32_fp8_e32 v[20:21], v14
	v_cvt_pk_f32_fp8_sdwa v[22:23], v14 src0_sel:WORD_1
	v_lshl_or_b32 v14, v40, 9, v43
	s_waitcnt lgkmcnt(0)
	s_barrier
	v_cvt_pk_f32_fp8_e32 v[24:25], v15
	v_cvt_pkrtz_f16_f32 v28, v20, v21
	v_cvt_pkrtz_f16_f32 v29, v22, v23
	v_cvt_pk_f32_fp8_sdwa v[26:27], v15 src0_sel:WORD_1
	ds_read_b128 v[20:23], v14
	v_cvt_pkrtz_f16_f32 v32, v24, v25
	v_cvt_pk_f32_fp8_e32 v[34:35], v16
	v_cvt_pkrtz_f16_f32 v33, v26, v27
	ds_read_b128 v[24:27], v14 offset:16
	v_cvt_pk_f32_fp8_sdwa v[36:37], v16 src0_sel:WORD_1
	s_waitcnt lgkmcnt(1)
	v_mfma_f32_16x16x16_f16 v[28:31], v[28:29], v[20:21], 0
	v_cvt_pkrtz_f16_f32 v34, v34, v35
	s_load_dword s10, s[42:43], 0x0
	v_cvt_pkrtz_f16_f32 v35, v36, v37
	v_cvt_pk_f32_fp8_e32 v[36:37], v17
	v_cvt_pk_f32_fp8_sdwa v[16:17], v17 src0_sel:WORD_1
	v_mfma_f32_16x16x16_f16 v[20:23], v[32:33], v[22:23], v[28:31]
	v_cmp_gt_u32_e32 vcc, 64, v0
	s_mov_b32 s3, 0
	s_nop 0
	v_cvt_pkrtz_f16_f32 v28, v36, v37
	v_cvt_pkrtz_f16_f32 v29, v16, v17
	s_waitcnt lgkmcnt(0)
	v_mfma_f32_16x16x16_f16 v[20:23], v[34:35], v[24:25], v[20:23]
	s_waitcnt vmcnt(2)
	v_cvt_pk_f32_fp8_e32 v[16:17], v10
	v_cvt_pk_f32_fp8_sdwa v[24:25], v10 src0_sel:WORD_1
	v_cvt_pk_f32_fp8_sdwa v[34:35], v12 src0_sel:WORD_1
	v_mfma_f32_16x16x16_f16 v[20:23], v[28:29], v[26:27], v[20:23]
	v_cvt_pk_f32_fp8_e32 v[26:27], v11
	v_cvt_pkrtz_f16_f32 v10, v16, v17
	v_cvt_pk_f32_fp8_sdwa v[16:17], v11 src0_sel:WORD_1
	v_cvt_pkrtz_f16_f32 v11, v24, v25
	v_cvt_pkrtz_f16_f32 v32, v26, v27
	ds_read_b128 v[24:27], v14 offset:2048
	ds_read_b128 v[28:31], v14 offset:2064
	v_cvt_pkrtz_f16_f32 v33, v16, v17
	v_cvt_pk_f32_fp8_e32 v[16:17], v12
	s_waitcnt lgkmcnt(1)
	v_mfma_f32_16x16x16_f16 v[20:23], v[10:11], v[24:25], v[20:23]
	v_cvt_pkrtz_f16_f32 v11, v34, v35
	v_cvt_pkrtz_f16_f32 v10, v16, v17
	v_cvt_pk_f32_fp8_e32 v[16:17], v13
	v_cvt_pk_f32_fp8_sdwa v[24:25], v13 src0_sel:WORD_1
	v_mfma_f32_16x16x16_f16 v[20:23], v[32:33], v[26:27], v[20:23]
	v_cvt_pkrtz_f16_f32 v16, v16, v17
	v_cvt_pkrtz_f16_f32 v17, v24, v25
	s_waitcnt lgkmcnt(0)
	v_mfma_f32_16x16x16_f16 v[10:13], v[10:11], v[28:29], v[20:23]
	s_waitcnt vmcnt(1)
	v_cvt_pk_f32_fp8_sdwa v[24:25], v7 src0_sel:WORD_1
	v_cvt_pk_f32_fp8_e32 v[28:29], v8
	v_cvt_pk_f32_fp8_e32 v[20:21], v6
	v_mfma_f32_16x16x16_f16 v[10:13], v[16:17], v[30:31], v[10:13]
	v_cvt_pk_f32_fp8_sdwa v[16:17], v6 src0_sel:WORD_1
	v_cvt_pk_f32_fp8_e32 v[22:23], v7
	v_cvt_pkrtz_f16_f32 v6, v20, v21
	v_cvt_pk_f32_fp8_sdwa v[30:31], v8 src0_sel:WORD_1
	v_cvt_pkrtz_f16_f32 v7, v16, v17
	v_cvt_pkrtz_f16_f32 v16, v22, v23
	ds_read_b128 v[20:23], v14 offset:4096
	v_cvt_pkrtz_f16_f32 v17, v24, v25
	ds_read_b128 v[24:27], v14 offset:4112
	s_waitcnt lgkmcnt(1)
	v_mfma_f32_16x16x16_f16 v[10:13], v[6:7], v[20:21], v[10:13]
	v_cvt_pkrtz_f16_f32 v6, v28, v29
	v_cvt_pkrtz_f16_f32 v7, v30, v31
	v_cvt_pk_f32_fp8_e32 v[20:21], v9
	v_mfma_f32_16x16x16_f16 v[10:13], v[16:17], v[22:23], v[10:13]
	v_cvt_pk_f32_fp8_sdwa v[16:17], v9 src0_sel:WORD_1
	v_cvt_pkrtz_f16_f32 v20, v20, v21
	s_waitcnt lgkmcnt(0)
	v_mfma_f32_16x16x16_f16 v[6:9], v[6:7], v[24:25], v[10:13]
	v_cvt_pkrtz_f16_f32 v21, v16, v17
	s_waitcnt vmcnt(0)
	v_cvt_pk_f32_fp8_e32 v[16:17], v3
	v_cvt_pk_f32_fp8_sdwa v[24:25], v4 src0_sel:WORD_1
	v_cvt_pk_f32_fp8_e32 v[10:11], v2
	v_cvt_pk_f32_fp8_sdwa v[12:13], v2 src0_sel:WORD_1
	v_mfma_f32_16x16x16_f16 v[6:9], v[20:21], v[26:27], v[6:9]
	v_cvt_pk_f32_fp8_sdwa v[20:21], v3 src0_sel:WORD_1
	v_cvt_pkrtz_f16_f32 v2, v10, v11
	v_cvt_pkrtz_f16_f32 v3, v12, v13
	ds_read_b128 v[10:13], v14 offset:6144
	v_cvt_pkrtz_f16_f32 v22, v16, v17
	v_cvt_pkrtz_f16_f32 v23, v20, v21
	v_cvt_pk_f32_fp8_e32 v[20:21], v4
	s_waitcnt lgkmcnt(0)
	v_mfma_f32_16x16x16_f16 v[6:9], v[2:3], v[10:11], v[6:9]
	ds_read_b128 v[14:17], v14 offset:6160
	v_cvt_pkrtz_f16_f32 v2, v20, v21
	v_cvt_pkrtz_f16_f32 v3, v24, v25
	v_cvt_pk_f32_fp8_e32 v[10:11], v5
	v_mfma_f32_16x16x16_f16 v[6:9], v[22:23], v[12:13], v[6:9]
	v_cvt_pk_f32_fp8_sdwa v[12:13], v5 src0_sel:WORD_1
	s_waitcnt lgkmcnt(0)
	v_cvt_pkrtz_f16_f32 v10, v10, v11
	v_mfma_f32_16x16x16_f16 v[2:5], v[2:3], v[14:15], v[6:9]
	v_cvt_pkrtz_f16_f32 v11, v12, v13
	s_barrier
	s_nop 0
	v_mfma_f32_16x16x16_f16 v[2:5], v[10:11], v[16:17], v[2:5]
	s_nop 6
	v_pk_mul_f32 v[4:5], v[4:5], s[10:11] op_sel_hi:[1,0]
	v_pk_mul_f32 v[2:3], v[2:3], s[10:11] op_sel_hi:[1,0]
	v_cvt_f16_f32_e32 v4, v4
	v_cvt_f16_f32_e32 v2, v2
	;; [unrolled: 1-line block ×4, first 2 shown]
	s_and_b64 s[10:11], s[28:29], vcc
	s_and_b64 s[6:7], s[10:11], s[6:7]
	v_pack_b32_f16 v2, v2, v3
	v_pack_b32_f16 v3, v4, v5
	ds_write_b64 v18, v[2:3]
	s_waitcnt lgkmcnt(0)
	s_barrier
	s_and_saveexec_b64 s[10:11], s[6:7]
	s_cbranch_execz .LBB924_17
; %bb.16:
	s_load_dwordx2 s[0:1], s[0:1], 0x68
	s_mul_i32 s2, s9, s2
	s_lshl_b32 s8, s8, 6
	s_mul_hi_u32 s7, s2, s8
	s_mul_i32 s6, s2, s8
	s_lshl_b64 s[6:7], s[6:7], 1
	v_lshlrev_b32_e32 v0, 10, v0
	s_waitcnt lgkmcnt(0)
	s_add_u32 s6, s0, s6
	v_and_b32_e32 v0, 0x1800, v0
	v_lshlrev_b32_e32 v2, 5, v40
	v_and_b32_e32 v3, 16, v41
	s_addc_u32 s7, s1, s7
	s_lshl_b32 s2, s5, 6
	v_or3_b32 v0, v0, v2, v3
	s_lshl_b64 s[0:1], s[2:3], 1
	ds_read_b128 v[2:5], v0
	s_add_u32 s2, s6, s0
	s_addc_u32 s3, s7, s1
	s_mul_hi_u32 s1, s8, s4
	s_mul_i32 s0, s8, s4
	s_lshl_b64 s[0:1], s[0:1], 1
	s_add_u32 s0, s2, s0
	s_addc_u32 s1, s3, s1
	s_waitcnt lgkmcnt(0)
	global_store_dwordx4 v1, v[2:5], s[0:1]
.LBB924_17:
	s_endpgm
	.section	.rodata,"a",@progbits
	.p2align	6, 0x0
	.amdhsa_kernel _Z39paged_attention_ll4mi_QKV_mfma16_kernelIDF16_hLN4vllm18Fp8KVCacheDataTypeE1EDF16_Li32ELi64ELi256ELb0ELi1EEvPKT_PKT0_S7_ifPKiS9_S9_iPKfiiiPfSC_PS2_PT2_iSB_SB_
		.amdhsa_group_segment_fixed_size 8192
		.amdhsa_private_segment_fixed_size 0
		.amdhsa_kernarg_size 400
		.amdhsa_user_sgpr_count 2
		.amdhsa_user_sgpr_dispatch_ptr 0
		.amdhsa_user_sgpr_queue_ptr 0
		.amdhsa_user_sgpr_kernarg_segment_ptr 1
		.amdhsa_user_sgpr_dispatch_id 0
		.amdhsa_user_sgpr_kernarg_preload_length 0
		.amdhsa_user_sgpr_kernarg_preload_offset 0
		.amdhsa_user_sgpr_private_segment_size 0
		.amdhsa_uses_dynamic_stack 0
		.amdhsa_enable_private_segment 0
		.amdhsa_system_sgpr_workgroup_id_x 1
		.amdhsa_system_sgpr_workgroup_id_y 1
		.amdhsa_system_sgpr_workgroup_id_z 1
		.amdhsa_system_sgpr_workgroup_info 0
		.amdhsa_system_vgpr_workitem_id 0
		.amdhsa_next_free_vgpr 55
		.amdhsa_next_free_sgpr 48
		.amdhsa_accum_offset 56
		.amdhsa_reserve_vcc 1
		.amdhsa_float_round_mode_32 0
		.amdhsa_float_round_mode_16_64 0
		.amdhsa_float_denorm_mode_32 3
		.amdhsa_float_denorm_mode_16_64 3
		.amdhsa_dx10_clamp 1
		.amdhsa_ieee_mode 1
		.amdhsa_fp16_overflow 0
		.amdhsa_tg_split 0
		.amdhsa_exception_fp_ieee_invalid_op 0
		.amdhsa_exception_fp_denorm_src 0
		.amdhsa_exception_fp_ieee_div_zero 0
		.amdhsa_exception_fp_ieee_overflow 0
		.amdhsa_exception_fp_ieee_underflow 0
		.amdhsa_exception_fp_ieee_inexact 0
		.amdhsa_exception_int_div_zero 0
	.end_amdhsa_kernel
	.section	.text._Z39paged_attention_ll4mi_QKV_mfma16_kernelIDF16_hLN4vllm18Fp8KVCacheDataTypeE1EDF16_Li32ELi64ELi256ELb0ELi1EEvPKT_PKT0_S7_ifPKiS9_S9_iPKfiiiPfSC_PS2_PT2_iSB_SB_,"axG",@progbits,_Z39paged_attention_ll4mi_QKV_mfma16_kernelIDF16_hLN4vllm18Fp8KVCacheDataTypeE1EDF16_Li32ELi64ELi256ELb0ELi1EEvPKT_PKT0_S7_ifPKiS9_S9_iPKfiiiPfSC_PS2_PT2_iSB_SB_,comdat
.Lfunc_end924:
	.size	_Z39paged_attention_ll4mi_QKV_mfma16_kernelIDF16_hLN4vllm18Fp8KVCacheDataTypeE1EDF16_Li32ELi64ELi256ELb0ELi1EEvPKT_PKT0_S7_ifPKiS9_S9_iPKfiiiPfSC_PS2_PT2_iSB_SB_, .Lfunc_end924-_Z39paged_attention_ll4mi_QKV_mfma16_kernelIDF16_hLN4vllm18Fp8KVCacheDataTypeE1EDF16_Li32ELi64ELi256ELb0ELi1EEvPKT_PKT0_S7_ifPKiS9_S9_iPKfiiiPfSC_PS2_PT2_iSB_SB_
                                        ; -- End function
	.section	.AMDGPU.csdata,"",@progbits
; Kernel info:
; codeLenInByte = 4532
; NumSgprs: 54
; NumVgprs: 55
; NumAgprs: 0
; TotalNumVgprs: 55
; ScratchSize: 0
; MemoryBound: 0
; FloatMode: 240
; IeeeMode: 1
; LDSByteSize: 8192 bytes/workgroup (compile time only)
; SGPRBlocks: 6
; VGPRBlocks: 6
; NumSGPRsForWavesPerEU: 54
; NumVGPRsForWavesPerEU: 55
; AccumOffset: 56
; Occupancy: 8
; WaveLimiterHint : 1
; COMPUTE_PGM_RSRC2:SCRATCH_EN: 0
; COMPUTE_PGM_RSRC2:USER_SGPR: 2
; COMPUTE_PGM_RSRC2:TRAP_HANDLER: 0
; COMPUTE_PGM_RSRC2:TGID_X_EN: 1
; COMPUTE_PGM_RSRC2:TGID_Y_EN: 1
; COMPUTE_PGM_RSRC2:TGID_Z_EN: 1
; COMPUTE_PGM_RSRC2:TIDIG_COMP_CNT: 0
; COMPUTE_PGM_RSRC3_GFX90A:ACCUM_OFFSET: 13
; COMPUTE_PGM_RSRC3_GFX90A:TG_SPLIT: 0
	.section	.text._Z39paged_attention_ll4mi_QKV_mfma16_kernelIDF16_hLN4vllm18Fp8KVCacheDataTypeE1EDF16_Li32ELi64ELi256ELb0ELi2EEvPKT_PKT0_S7_ifPKiS9_S9_iPKfiiiPfSC_PS2_PT2_iSB_SB_,"axG",@progbits,_Z39paged_attention_ll4mi_QKV_mfma16_kernelIDF16_hLN4vllm18Fp8KVCacheDataTypeE1EDF16_Li32ELi64ELi256ELb0ELi2EEvPKT_PKT0_S7_ifPKiS9_S9_iPKfiiiPfSC_PS2_PT2_iSB_SB_,comdat
	.protected	_Z39paged_attention_ll4mi_QKV_mfma16_kernelIDF16_hLN4vllm18Fp8KVCacheDataTypeE1EDF16_Li32ELi64ELi256ELb0ELi2EEvPKT_PKT0_S7_ifPKiS9_S9_iPKfiiiPfSC_PS2_PT2_iSB_SB_ ; -- Begin function _Z39paged_attention_ll4mi_QKV_mfma16_kernelIDF16_hLN4vllm18Fp8KVCacheDataTypeE1EDF16_Li32ELi64ELi256ELb0ELi2EEvPKT_PKT0_S7_ifPKiS9_S9_iPKfiiiPfSC_PS2_PT2_iSB_SB_
	.globl	_Z39paged_attention_ll4mi_QKV_mfma16_kernelIDF16_hLN4vllm18Fp8KVCacheDataTypeE1EDF16_Li32ELi64ELi256ELb0ELi2EEvPKT_PKT0_S7_ifPKiS9_S9_iPKfiiiPfSC_PS2_PT2_iSB_SB_
	.p2align	8
	.type	_Z39paged_attention_ll4mi_QKV_mfma16_kernelIDF16_hLN4vllm18Fp8KVCacheDataTypeE1EDF16_Li32ELi64ELi256ELb0ELi2EEvPKT_PKT0_S7_ifPKiS9_S9_iPKfiiiPfSC_PS2_PT2_iSB_SB_,@function
_Z39paged_attention_ll4mi_QKV_mfma16_kernelIDF16_hLN4vllm18Fp8KVCacheDataTypeE1EDF16_Li32ELi64ELi256ELb0ELi2EEvPKT_PKT0_S7_ifPKiS9_S9_iPKfiiiPfSC_PS2_PT2_iSB_SB_: ; @_Z39paged_attention_ll4mi_QKV_mfma16_kernelIDF16_hLN4vllm18Fp8KVCacheDataTypeE1EDF16_Li32ELi64ELi256ELb0ELi2EEvPKT_PKT0_S7_ifPKiS9_S9_iPKfiiiPfSC_PS2_PT2_iSB_SB_
; %bb.0:
	s_load_dwordx2 s[12:13], s[0:1], 0x30
	s_mov_b32 s28, s3
	s_mov_b64 s[6:7], 0
	s_waitcnt lgkmcnt(0)
	s_cmp_lg_u64 s[12:13], 0
	s_cselect_b64 s[14:15], -1, 0
	s_and_b64 vcc, exec, s[14:15]
	s_cbranch_vccz .LBB925_7
; %bb.1:
	s_add_i32 s8, s2, 1
	s_mov_b32 s9, 0
	s_lshl_b64 s[10:11], s[8:9], 2
	s_add_u32 s10, s12, s10
	s_mov_b32 s3, s9
	s_addc_u32 s11, s13, s11
	s_lshl_b64 s[8:9], s[2:3], 2
	s_add_u32 s8, s12, s8
	s_addc_u32 s9, s13, s9
	s_load_dword s5, s[10:11], 0x0
	s_load_dword s16, s[8:9], 0x0
	s_waitcnt lgkmcnt(0)
	s_sub_i32 s5, s5, s16
	s_cmp_eq_u32 s5, 1
	s_cselect_b64 s[8:9], -1, 0
	s_andn2_b64 vcc, exec, s[6:7]
	s_cbranch_vccnz .LBB925_3
.LBB925_2:
	s_mov_b32 s3, 0
	s_mov_b64 s[8:9], -1
.LBB925_3:
	s_andn2_b64 vcc, exec, s[8:9]
	s_cbranch_vccnz .LBB925_17
; %bb.4:
	s_load_dwordx2 s[6:7], s[0:1], 0x28
	s_lshl_b64 s[16:17], s[2:3], 2
	s_waitcnt lgkmcnt(0)
	s_add_u32 s6, s6, s16
	s_addc_u32 s7, s7, s17
	s_load_dword s48, s[6:7], 0x0
	s_lshl_b32 s5, s28, 8
	s_waitcnt lgkmcnt(0)
	s_cmp_ge_i32 s5, s48
	s_cbranch_scc1 .LBB925_17
; %bb.5:
	s_load_dwordx2 s[6:7], s[0:1], 0x20
	s_load_dword s8, s[0:1], 0x38
	s_add_i32 s9, s48, 31
	s_ashr_i32 s10, s9, 31
	v_and_b32_e32 v1, 0xcf, v0
	s_lshr_b32 s10, s10, 27
	v_add_u32_e32 v1, s5, v1
	s_add_i32 s9, s9, s10
	v_ashrrev_i32_e32 v2, 31, v1
	s_ashr_i32 s18, s9, 5
	v_lshrrev_b32_e32 v4, 27, v2
	s_add_i32 s18, s18, -1
	s_waitcnt lgkmcnt(0)
	s_mul_i32 s8, s2, s8
	s_mov_b32 s9, 0
	v_add_u32_e32 v2, v1, v4
	s_lshl_b64 s[8:9], s[8:9], 2
	v_ashrrev_i32_e32 v2, 5, v2
	v_mov_b32_e32 v5, s18
	v_cmp_gt_i32_e32 vcc, s48, v1
	s_add_u32 s6, s6, s8
	s_addc_u32 s7, s7, s9
	v_cndmask_b32_e32 v2, v5, v2, vcc
	v_ashrrev_i32_e32 v3, 31, v2
	v_lshl_add_u64 v[6:7], v[2:3], 2, s[6:7]
	v_or_b32_e32 v2, 16, v1
	v_add_u32_e32 v3, v2, v4
	v_ashrrev_i32_e32 v3, 5, v3
	v_cmp_gt_i32_e32 vcc, s48, v2
	s_load_dwordx4 s[8:11], s[0:1], 0x8
	s_nop 0
	v_cndmask_b32_e32 v2, v5, v3, vcc
	v_ashrrev_i32_e32 v3, 31, v2
	v_lshl_add_u64 v[8:9], v[2:3], 2, s[6:7]
	v_or_b32_e32 v2, 32, v1
	v_add_u32_e32 v3, v2, v4
	v_ashrrev_i32_e32 v3, 5, v3
	v_cmp_gt_i32_e32 vcc, s48, v2
	v_or_b32_e32 v1, 48, v1
	s_nop 0
	v_cndmask_b32_e32 v2, v5, v3, vcc
	v_ashrrev_i32_e32 v3, 31, v2
	v_lshl_add_u64 v[10:11], v[2:3], 2, s[6:7]
	v_add_u32_e32 v2, v1, v4
	v_ashrrev_i32_e32 v2, 5, v2
	v_cmp_gt_i32_e32 vcc, s48, v1
	s_nop 1
	v_cndmask_b32_e32 v2, v5, v2, vcc
	v_ashrrev_i32_e32 v3, 31, v2
	v_lshl_add_u64 v[12:13], v[2:3], 2, s[6:7]
	global_load_dword v2, v[6:7], off
	global_load_dword v5, v[8:9], off
	;; [unrolled: 1-line block ×4, first 2 shown]
	s_andn2_b64 vcc, exec, s[14:15]
	s_cbranch_vccnz .LBB925_8
; %bb.6:
	s_add_u32 s12, s12, s16
	s_addc_u32 s13, s13, s17
	s_load_dword s14, s[12:13], 0x0
	s_branch .LBB925_9
.LBB925_7:
	s_mov_b64 s[8:9], 0
	s_branch .LBB925_2
.LBB925_8:
	s_mov_b32 s14, s2
.LBB925_9:
	s_load_dwordx4 s[44:47], s[0:1], 0x48
	v_lshrrev_b32_e32 v42, 6, v0
	v_bfe_u32 v1, v0, 4, 2
	v_lshl_or_b32 v3, v42, 2, v1
	v_and_b32_e32 v43, 15, v0
	v_lshlrev_b32_e32 v6, 3, v43
	v_cmp_gt_u32_e32 vcc, 2, v3
	v_cmp_gt_u32_e64 s[30:31], 8, v43
	v_and_b32_e32 v41, 63, v0
	s_lshl_b32 s29, s4, 1
	s_and_b64 s[16:17], s[30:31], vcc
	v_lshlrev_b32_e32 v26, 1, v6
	v_lshlrev_b32_e32 v40, 4, v0
	s_and_saveexec_b64 s[12:13], s[16:17]
	s_cbranch_execz .LBB925_11
; %bb.10:
	s_load_dwordx2 s[16:17], s[0:1], 0x0
	s_waitcnt lgkmcnt(0)
	s_ashr_i32 s15, s44, 31
	s_mul_hi_u32 s19, s14, s44
	s_mul_i32 s15, s14, s15
	s_add_i32 s15, s19, s15
	s_mul_i32 s14, s14, s44
	s_lshl_b64 s[14:15], s[14:15], 1
	s_add_u32 s14, s16, s14
	v_add_lshl_u32 v6, v1, s29, 6
	s_addc_u32 s15, s17, s15
	v_ashrrev_i32_e32 v7, 31, v6
	v_lshl_add_u64 v[6:7], v[6:7], 1, s[14:15]
	v_mov_b32_e32 v27, 0
	v_lshl_add_u64 v[6:7], v[6:7], 0, v[26:27]
	global_load_dwordx4 v[6:9], v[6:7], off
	v_lshlrev_b32_e32 v11, 8, v43
	v_lshlrev_b32_e32 v3, 5, v3
	v_and_b32_e32 v10, 16, v40
	v_and_b32_e32 v11, 0xe00, v11
	v_or3_b32 v3, v11, v3, v10
	s_waitcnt vmcnt(0)
	ds_write_b128 v3, v[6:9]
.LBB925_11:
	s_or_b64 exec, exec, s[12:13]
	s_waitcnt lgkmcnt(0)
	s_mul_i32 s4, s4, s46
	s_add_u32 s8, s8, s4
	s_addc_u32 s9, s9, 0
	v_mov_b32_e32 v29, 0
	v_mov_b64_e32 v[14:15], s[8:9]
	v_and_b32_e32 v8, 48, v0
	s_waitcnt vmcnt(3)
	v_mad_i64_i32 v[6:7], s[8:9], v2, s45, v[14:15]
	v_lshlrev_b32_e32 v2, 4, v43
	v_mov_b32_e32 v3, v29
	v_lshlrev_b32_e32 v28, 5, v8
	v_lshl_add_u64 v[6:7], v[6:7], 0, v[2:3]
	v_lshl_add_u64 v[6:7], v[6:7], 0, v[28:29]
	s_load_dword s33, s[0:1], 0x98
	s_load_dwordx4 s[40:43], s[0:1], 0x80
	s_waitcnt lgkmcnt(0)
	s_barrier
	global_load_dwordx4 v[18:21], v[6:7], off
	s_waitcnt vmcnt(3)
	v_mad_i64_i32 v[6:7], s[8:9], v5, s45, v[14:15]
	v_or_b32_e32 v16, 0x100, v2
	v_mov_b32_e32 v17, v29
	v_lshl_add_u64 v[6:7], v[6:7], 0, v[16:17]
	v_lshl_add_u64 v[6:7], v[6:7], 0, v[28:29]
	global_load_dwordx4 v[10:13], v[6:7], off
	s_ashr_i32 s8, s5, 31
	v_or_b32_e32 v8, s5, v8
	s_lshr_b32 s12, s8, 27
	v_add_u32_e32 v5, s12, v8
	v_ashrrev_i32_e32 v5, 5, v5
	v_mov_b32_e32 v31, s18
	v_cmp_gt_i32_e32 vcc, s48, v8
	v_or_b32_e32 v33, 64, v8
	v_or_b32_e32 v34, 0x80, v8
	v_cndmask_b32_e32 v6, v31, v5, vcc
	v_and_b32_e32 v5, 1, v0
	v_lshlrev_b32_e32 v5, 5, v5
	v_lshl_or_b32 v32, v1, 9, v5
	s_waitcnt vmcnt(3)
	v_mad_i64_i32 v[4:5], s[8:9], v4, s45, v[14:15]
	v_lshl_add_u64 v[2:3], v[4:5], 0, v[2:3]
	v_lshl_add_u64 v[2:3], v[2:3], 0, v[28:29]
	global_load_dwordx4 v[22:25], v[2:3], off
	v_ashrrev_i32_e32 v7, 31, v6
	v_lshl_add_u64 v[6:7], v[6:7], 2, s[6:7]
	s_waitcnt vmcnt(3)
	v_mad_i64_i32 v[14:15], s[8:9], v30, s45, v[14:15]
	v_add_u32_e32 v30, s12, v33
	global_load_dword v47, v[6:7], off
	v_or_b32_e32 v35, 0xc0, v8
	ds_read_b128 v[6:9], v32
	ds_read_b128 v[2:5], v32 offset:16
	v_add_u32_e32 v32, s12, v34
	v_lshl_add_u64 v[14:15], v[14:15], 0, v[16:17]
	v_ashrrev_i32_e32 v16, 5, v30
	v_cmp_gt_i32_e32 vcc, s48, v33
	v_ashrrev_i32_e32 v17, 5, v32
	v_lshl_add_u64 v[14:15], v[14:15], 0, v[28:29]
	v_cndmask_b32_e32 v30, v31, v16, vcc
	v_cmp_gt_i32_e32 vcc, s48, v34
	v_add_u32_e32 v36, s12, v35
	v_ashrrev_i32_e32 v36, 5, v36
	v_cndmask_b32_e32 v32, v31, v17, vcc
	global_load_dwordx4 v[14:17], v[14:15], off
	v_cmp_gt_i32_e32 vcc, s48, v35
	v_ashrrev_i32_e32 v33, 31, v32
	v_lshl_add_u64 v[32:33], v[32:33], 2, s[6:7]
	v_cndmask_b32_e32 v34, v31, v36, vcc
	v_ashrrev_i32_e32 v31, 31, v30
	v_ashrrev_i32_e32 v35, 31, v34
	v_lshl_add_u64 v[30:31], v[30:31], 2, s[6:7]
	s_add_u32 s8, s10, s4
	s_load_dword s4, s[40:41], 0x0
	v_lshl_add_u64 v[34:35], v[34:35], 2, s[6:7]
	global_load_dword v46, v[30:31], off
	global_load_dword v44, v[32:33], off
	;; [unrolled: 1-line block ×3, first 2 shown]
	v_lshlrev_b32_e32 v27, 5, v43
	s_addc_u32 s9, s11, 0
	v_and_b32_e32 v28, 16, v0
	v_lshl_add_u64 v[36:37], s[8:9], 0, v[28:29]
	v_lshl_or_b32 v28, v42, 9, v27
	v_lshl_add_u64 v[28:29], v[36:37], 0, v[28:29]
	s_load_dword s13, s[0:1], 0x1c
	s_mov_b32 s44, 0xff7fffff
	s_waitcnt vmcnt(7)
	v_cvt_pk_f32_fp8_e32 v[30:31], v18
	v_cvt_pk_f32_fp8_sdwa v[32:33], v18 src0_sel:WORD_1
	v_cvt_pk_f32_fp8_e32 v[34:35], v19
	v_cvt_pk_f32_fp8_sdwa v[18:19], v19 src0_sel:WORD_1
	v_cvt_pkrtz_f16_f32 v30, v30, v31
	v_cvt_pkrtz_f16_f32 v31, v32, v33
	v_cvt_pk_f32_fp8_e32 v[36:37], v20
	v_cvt_pk_f32_fp8_sdwa v[38:39], v20 src0_sel:WORD_1
	v_cvt_pkrtz_f16_f32 v34, v34, v35
	v_cvt_pkrtz_f16_f32 v35, v18, v19
	s_waitcnt lgkmcnt(0)
	v_mfma_f32_16x16x16_f16 v[30:33], v[30:31], v[6:7], 0
	v_cvt_pkrtz_f16_f32 v36, v36, v37
	v_cvt_pkrtz_f16_f32 v37, v38, v39
	v_cvt_pk_f32_fp8_e32 v[48:49], v21
	v_cvt_pk_f32_fp8_sdwa v[50:51], v21 src0_sel:WORD_1
	v_mfma_f32_16x16x16_f16 v[18:21], v[34:35], v[8:9], v[30:33]
	s_waitcnt vmcnt(6)
	v_cvt_pk_f32_fp8_e32 v[34:35], v10
	v_cvt_pkrtz_f16_f32 v38, v48, v49
	v_cvt_pkrtz_f16_f32 v39, v50, v51
	v_mfma_f32_16x16x16_f16 v[30:33], v[36:37], v[2:3], v[18:21]
	v_cvt_pk_f32_fp8_e32 v[36:37], v11
	v_cvt_pkrtz_f16_f32 v34, v34, v35
	v_cvt_pk_f32_fp8_sdwa v[48:49], v12 src0_sel:WORD_1
	v_cvt_pk_f32_fp8_sdwa v[20:21], v10 src0_sel:WORD_1
	;; [unrolled: 1-line block ×3, first 2 shown]
	v_mfma_f32_16x16x16_f16 v[30:33], v[38:39], v[4:5], v[30:33]
	v_cvt_pk_f32_fp8_e32 v[38:39], v12
	v_cvt_pkrtz_f16_f32 v35, v20, v21
	v_cvt_pkrtz_f16_f32 v20, v36, v37
	;; [unrolled: 1-line block ×3, first 2 shown]
	v_mfma_f32_16x16x16_f16 v[34:37], v[34:35], v[6:7], 0
	v_cvt_pkrtz_f16_f32 v38, v38, v39
	v_cvt_pkrtz_f16_f32 v39, v48, v49
	v_cvt_pk_f32_fp8_e32 v[48:49], v13
	v_cvt_pk_f32_fp8_sdwa v[50:51], v13 src0_sel:WORD_1
	v_mfma_f32_16x16x16_f16 v[10:13], v[20:21], v[8:9], v[34:37]
	s_waitcnt vmcnt(4)
	v_mad_i64_i32 v[18:19], s[6:7], v47, s45, v[28:29]
	v_cvt_pkrtz_f16_f32 v20, v48, v49
	v_mov_b32_e32 v34, s13
	v_cvt_pkrtz_f16_f32 v21, v50, v51
	v_mfma_f32_16x16x16_f16 v[10:13], v[38:39], v[2:3], v[10:13]
	v_mul_f32_e32 v52, s4, v34
	v_cvt_pk_f32_fp8_e32 v[34:35], v22
	v_cvt_pk_f32_fp8_sdwa v[36:37], v22 src0_sel:WORD_1
	v_mfma_f32_16x16x16_f16 v[10:13], v[20:21], v[4:5], v[10:13]
	v_cvt_pk_f32_fp8_e32 v[20:21], v23
	v_cvt_pkrtz_f16_f32 v34, v34, v35
	v_cvt_pkrtz_f16_f32 v35, v36, v37
	v_cvt_pk_f32_fp8_sdwa v[22:23], v23 src0_sel:WORD_1
	v_cvt_pkrtz_f16_f32 v36, v20, v21
	v_cvt_pk_f32_fp8_e32 v[38:39], v24
	v_cvt_pk_f32_fp8_sdwa v[48:49], v24 src0_sel:WORD_1
	v_cvt_pkrtz_f16_f32 v37, v22, v23
	v_mfma_f32_16x16x16_f16 v[20:23], v[34:35], v[6:7], 0
	v_cvt_pkrtz_f16_f32 v38, v38, v39
	v_cvt_pkrtz_f16_f32 v39, v48, v49
	v_cvt_pk_f32_fp8_e32 v[48:49], v25
	v_cvt_pk_f32_fp8_sdwa v[24:25], v25 src0_sel:WORD_1
	v_mfma_f32_16x16x16_f16 v[34:37], v[36:37], v[8:9], v[20:23]
	s_nop 2
	v_cvt_pkrtz_f16_f32 v20, v48, v49
	v_cvt_pkrtz_f16_f32 v21, v24, v25
	v_pk_mul_f32 v[22:23], v[52:53], v[32:33] op_sel_hi:[0,1]
	v_mfma_f32_16x16x16_f16 v[34:37], v[38:39], v[2:3], v[34:37]
	v_pk_mul_f32 v[32:33], v[52:53], v[30:31] op_sel_hi:[0,1]
	s_waitcnt vmcnt(3)
	v_cvt_pk_f32_fp8_e32 v[24:25], v14
	v_cvt_pk_f32_fp8_sdwa v[30:31], v14 src0_sel:WORD_1
	v_mfma_f32_16x16x16_f16 v[48:51], v[20:21], v[4:5], v[34:37]
	v_cvt_pk_f32_fp8_e32 v[20:21], v15
	v_cvt_pkrtz_f16_f32 v24, v24, v25
	v_cvt_pkrtz_f16_f32 v25, v30, v31
	v_cvt_pk_f32_fp8_sdwa v[14:15], v15 src0_sel:WORD_1
	v_cvt_pkrtz_f16_f32 v20, v20, v21
	v_cvt_pk_f32_fp8_e32 v[30:31], v16
	v_cvt_pk_f32_fp8_sdwa v[38:39], v16 src0_sel:WORD_1
	v_cvt_pkrtz_f16_f32 v21, v14, v15
	v_mfma_f32_16x16x16_f16 v[34:37], v[24:25], v[6:7], 0
	v_cvt_pkrtz_f16_f32 v14, v30, v31
	v_cvt_pkrtz_f16_f32 v15, v38, v39
	v_cvt_pk_f32_fp8_e32 v[24:25], v17
	v_cvt_pk_f32_fp8_sdwa v[16:17], v17 src0_sel:WORD_1
	v_mfma_f32_16x16x16_f16 v[6:9], v[20:21], v[8:9], v[34:37]
	v_pk_mul_f32 v[38:39], v[52:53], v[10:11] op_sel_hi:[0,1]
	v_pk_mul_f32 v[30:31], v[52:53], v[50:51] op_sel_hi:[0,1]
	s_nop 0
	v_pk_mul_f32 v[34:35], v[52:53], v[12:13] op_sel_hi:[0,1]
	v_cvt_pkrtz_f16_f32 v12, v24, v25
	v_cvt_pkrtz_f16_f32 v13, v16, v17
	v_mfma_f32_16x16x16_f16 v[6:9], v[14:15], v[2:3], v[6:9]
	v_pk_mul_f32 v[36:37], v[52:53], v[48:49] op_sel_hi:[0,1]
	v_mfma_f32_16x16x16_f16 v[2:5], v[12:13], v[4:5], v[6:9]
	s_nop 6
	v_pk_mul_f32 v[24:25], v[52:53], v[2:3] op_sel_hi:[0,1]
	v_and_b32_e32 v2, 0xc0, v0
	v_add_u32_e32 v2, s5, v2
	v_lshl_or_b32 v2, v1, 2, v2
	v_pk_mul_f32 v[20:21], v[52:53], v[4:5] op_sel_hi:[0,1]
	v_or_b32_e32 v5, 1, v2
	v_mov_b32_e32 v3, 0xff7fffff
	v_cmp_gt_i32_e64 s[4:5], s48, v2
	v_cmp_gt_i32_e64 s[34:35], s48, v5
	v_or_b32_e32 v6, 3, v2
	v_cndmask_b32_e64 v4, v3, v32, s[4:5]
	v_cndmask_b32_e64 v5, v3, v33, s[34:35]
	v_max3_f32 v4, v4, s44, v5
	v_or_b32_e32 v5, 2, v2
	v_cmp_gt_i32_e64 s[36:37], s48, v5
	v_cmp_gt_i32_e64 s[38:39], s48, v6
	s_nop 0
	v_cndmask_b32_e64 v5, v3, v22, s[36:37]
	v_cndmask_b32_e64 v6, v3, v23, s[38:39]
	v_max3_f32 v4, v4, v5, v6
	v_or_b32_e32 v5, 16, v2
	v_or_b32_e32 v6, 17, v2
	v_cmp_gt_i32_e64 s[24:25], s48, v5
	v_cmp_gt_i32_e64 s[26:27], s48, v6
	s_nop 0
	v_cndmask_b32_e64 v5, v3, v38, s[24:25]
	v_cndmask_b32_e64 v6, v3, v39, s[26:27]
	v_max3_f32 v4, v4, v5, v6
	v_or_b32_e32 v5, 18, v2
	v_or_b32_e32 v6, 19, v2
	v_cmp_gt_i32_e64 s[20:21], s48, v5
	v_cmp_gt_i32_e64 s[22:23], s48, v6
	s_nop 0
	v_cndmask_b32_e64 v5, v3, v34, s[20:21]
	v_cndmask_b32_e64 v6, v3, v35, s[22:23]
	v_max3_f32 v4, v4, v5, v6
	v_or_b32_e32 v5, 32, v2
	v_or_b32_e32 v6, 33, v2
	v_cmp_gt_i32_e64 s[16:17], s48, v5
	v_cmp_gt_i32_e64 s[18:19], s48, v6
	s_nop 0
	v_cndmask_b32_e64 v5, v3, v36, s[16:17]
	v_cndmask_b32_e64 v6, v3, v37, s[18:19]
	v_max3_f32 v4, v4, v5, v6
	v_or_b32_e32 v5, 34, v2
	v_or_b32_e32 v6, 35, v2
	v_cmp_gt_i32_e64 s[12:13], s48, v5
	v_cmp_gt_i32_e64 s[14:15], s48, v6
	s_nop 0
	v_cndmask_b32_e64 v5, v3, v30, s[12:13]
	v_cndmask_b32_e64 v6, v3, v31, s[14:15]
	v_max3_f32 v4, v4, v5, v6
	v_or_b32_e32 v5, 48, v2
	v_or_b32_e32 v6, 49, v2
	v_cmp_gt_i32_e64 s[8:9], s48, v5
	v_cmp_gt_i32_e64 s[10:11], s48, v6
	s_nop 0
	v_cndmask_b32_e64 v5, v3, v24, s[8:9]
	v_cndmask_b32_e64 v6, v3, v25, s[10:11]
	v_max3_f32 v4, v4, v5, v6
	v_or_b32_e32 v5, 50, v2
	v_or_b32_e32 v2, 51, v2
	v_cmp_gt_i32_e32 vcc, s48, v5
	v_cmp_gt_i32_e64 s[6:7], s48, v2
	s_nop 0
	v_cndmask_b32_e32 v5, v3, v20, vcc
	v_cndmask_b32_e64 v2, v3, v21, s[6:7]
	v_max3_f32 v4, v4, v5, v2
	v_mbcnt_lo_u32_b32 v2, -1, 0
	v_mbcnt_hi_u32_b32 v5, -1, v2
	v_and_b32_e32 v2, 64, v5
	v_add_u32_e32 v6, 64, v2
	v_xor_b32_e32 v2, 32, v5
	v_cmp_lt_i32_e64 s[40:41], v2, v6
	s_nop 1
	v_cndmask_b32_e64 v2, v5, v2, s[40:41]
	v_lshlrev_b32_e32 v47, 2, v2
	ds_bpermute_b32 v7, v47, v4
	s_waitcnt vmcnt(2)
	v_mad_i64_i32 v[2:3], s[40:41], v46, s45, v[28:29]
	global_load_dwordx4 v[14:17], v[18:19], off
	global_load_dwordx4 v[10:13], v[2:3], off
	v_xor_b32_e32 v3, 16, v5
	v_cmp_lt_i32_e64 s[40:41], v3, v6
	s_waitcnt lgkmcnt(0)
	v_max_f32_e32 v2, v7, v7
	v_max_f32_e32 v2, v4, v2
	v_cndmask_b32_e64 v3, v5, v3, s[40:41]
	v_lshlrev_b32_e32 v46, 2, v3
	ds_bpermute_b32 v3, v46, v2
	s_waitcnt vmcnt(3)
	v_mad_i64_i32 v[18:19], s[40:41], v44, s45, v[28:29]
	s_waitcnt vmcnt(2)
	v_mad_i64_i32 v[28:29], s[40:41], v45, s45, v[28:29]
	s_waitcnt lgkmcnt(0)
	v_max_f32_e32 v3, v3, v3
	v_max_f32_e32 v44, v2, v3
	v_sub_f32_e32 v2, v32, v44
	v_mul_f32_e32 v2, 0x3fb8aa3b, v2
	v_exp_f32_e32 v32, v2
	v_sub_f32_e32 v2, v33, v44
	v_mul_f32_e32 v2, 0x3fb8aa3b, v2
	v_exp_f32_e32 v33, v2
	global_load_dwordx4 v[6:9], v[18:19], off
	global_load_dwordx4 v[2:5], v[28:29], off
	v_sub_f32_e32 v22, v22, v44
	v_mul_f32_e32 v22, 0x3fb8aa3b, v22
	v_sub_f32_e32 v23, v23, v44
	v_exp_f32_e32 v22, v22
	v_mul_f32_e32 v23, 0x3fb8aa3b, v23
	v_exp_f32_e32 v23, v23
	v_cndmask_b32_e64 v18, 0, v32, s[4:5]
	v_add_f32_e32 v28, 0, v18
	v_cndmask_b32_e64 v19, 0, v33, s[34:35]
	v_add_f32_e32 v28, v28, v19
	;; [unrolled: 2-line block ×3, first 2 shown]
	v_cndmask_b32_e64 v33, 0, v23, s[38:39]
	v_sub_f32_e32 v23, v38, v44
	v_sub_f32_e32 v28, v39, v44
	v_mul_f32_e32 v23, 0x3fb8aa3b, v23
	v_mul_f32_e32 v28, 0x3fb8aa3b, v28
	v_exp_f32_e32 v23, v23
	v_exp_f32_e32 v28, v28
	v_add_f32_e32 v29, v22, v33
	v_sub_f32_e32 v30, v30, v44
	v_cndmask_b32_e64 v22, 0, v23, s[24:25]
	v_cndmask_b32_e64 v23, 0, v28, s[26:27]
	v_sub_f32_e32 v28, v34, v44
	v_mul_f32_e32 v28, 0x3fb8aa3b, v28
	v_exp_f32_e32 v28, v28
	v_sub_f32_e32 v34, v35, v44
	v_add_f32_e32 v29, v29, v22
	v_mul_f32_e32 v34, 0x3fb8aa3b, v34
	v_exp_f32_e32 v35, v34
	v_add_f32_e32 v29, v29, v23
	v_cndmask_b32_e64 v34, 0, v28, s[20:21]
	v_add_f32_e32 v28, v29, v34
	v_sub_f32_e32 v29, v36, v44
	v_mul_f32_e32 v29, 0x3fb8aa3b, v29
	v_sub_f32_e32 v36, v37, v44
	v_exp_f32_e32 v29, v29
	v_mul_f32_e32 v36, 0x3fb8aa3b, v36
	v_exp_f32_e32 v36, v36
	v_mul_f32_e32 v30, 0x3fb8aa3b, v30
	v_sub_f32_e32 v31, v31, v44
	v_exp_f32_e32 v30, v30
	v_mul_f32_e32 v31, 0x3fb8aa3b, v31
	v_sub_f32_e32 v24, v24, v44
	v_cndmask_b32_e64 v35, 0, v35, s[22:23]
	v_exp_f32_e32 v31, v31
	v_mul_f32_e32 v24, 0x3fb8aa3b, v24
	v_sub_f32_e32 v25, v25, v44
	v_add_f32_e32 v37, v28, v35
	v_cndmask_b32_e64 v28, 0, v29, s[16:17]
	v_exp_f32_e32 v24, v24
	v_mul_f32_e32 v25, 0x3fb8aa3b, v25
	v_sub_f32_e32 v20, v20, v44
	v_add_f32_e32 v37, v37, v28
	;; [unrolled: 5-line block ×3, first 2 shown]
	v_cndmask_b32_e64 v30, 0, v30, s[12:13]
	v_exp_f32_e32 v20, v20
	v_mul_f32_e32 v21, 0x3fb8aa3b, v21
	v_add_f32_e32 v36, v36, v30
	v_cndmask_b32_e64 v31, 0, v31, s[14:15]
	v_exp_f32_e32 v21, v21
	v_add_f32_e32 v36, v36, v31
	v_cndmask_b32_e64 v24, 0, v24, s[8:9]
	v_add_f32_e32 v36, v36, v24
	v_cndmask_b32_e64 v25, 0, v25, s[10:11]
	v_add_f32_e32 v36, v36, v25
	v_cndmask_b32_e32 v20, 0, v20, vcc
	v_add_f32_e32 v36, v36, v20
	v_cndmask_b32_e64 v21, 0, v21, s[6:7]
	v_add_f32_e32 v36, v36, v21
	ds_bpermute_b32 v37, v47, v36
	v_cmp_gt_u32_e32 vcc, 16, v41
	s_waitcnt lgkmcnt(0)
	s_barrier
	v_add_f32_e32 v36, v36, v37
	ds_bpermute_b32 v38, v46, v36
	v_lshlrev_b32_e32 v37, 2, v43
	s_and_saveexec_b64 s[4:5], vcc
	s_cbranch_execz .LBB925_13
; %bb.12:
	s_waitcnt lgkmcnt(0)
	v_add_f32_e32 v36, v36, v38
	v_lshl_or_b32 v38, v42, 6, v37
	ds_write2st64_b32 v38, v44, v36 offset1:1
.LBB925_13:
	s_or_b64 exec, exec, s[4:5]
	s_load_dword s6, s[0:1], 0x94
	s_waitcnt lgkmcnt(0)
	s_barrier
	ds_read2_b32 v[38:39], v37 offset1:16
	ds_read2_b32 v[44:45], v37 offset0:32 offset1:48
	ds_read2_b32 v[46:47], v37 offset0:64 offset1:80
	s_lshl_b32 s7, s33, 1
	s_waitcnt lgkmcnt(2)
	v_max3_f32 v36, v38, s44, v39
	s_waitcnt lgkmcnt(1)
	v_max3_f32 v36, v36, v44, v45
	v_sub_f32_e32 v38, v38, v36
	v_mul_f32_e32 v38, 0x3fb8aa3b, v38
	v_exp_f32_e32 v43, v38
	v_sub_f32_e32 v38, v39, v36
	v_mul_f32_e32 v38, 0x3fb8aa3b, v38
	v_exp_f32_e32 v48, v38
	;; [unrolled: 3-line block ×3, first 2 shown]
	ds_read2_b32 v[38:39], v37 offset0:96 offset1:112
	v_sub_f32_e32 v37, v45, v36
	v_mul_f32_e32 v37, 0x3fb8aa3b, v37
	v_exp_f32_e32 v45, v37
	s_waitcnt lgkmcnt(1)
	v_fma_f32 v37, v43, v46, 0
	v_fmac_f32_e32 v37, v48, v47
	s_waitcnt lgkmcnt(0)
	v_fmac_f32_e32 v37, v44, v38
	v_fmac_f32_e32 v37, v45, v39
	v_add_f32_e32 v38, 0x358637bd, v37
	v_div_scale_f32 v39, s[4:5], v38, v38, 1.0
	v_rcp_f32_e32 v46, v39
	s_barrier
	v_fma_f32 v47, -v39, v46, 1.0
	v_fmac_f32_e32 v46, v47, v46
	v_div_scale_f32 v47, vcc, 1.0, v38, 1.0
	v_mul_f32_e32 v49, v47, v46
	v_fma_f32 v50, -v39, v49, v47
	v_fmac_f32_e32 v49, v50, v46
	v_fma_f32 v39, -v39, v49, v47
	v_div_fmas_f32 v39, v39, v46, v49
	v_cmp_eq_u32_e32 vcc, 1, v42
	v_div_fixup_f32 v38, v39, v38, 1.0
	s_nop 0
	v_cndmask_b32_e32 v39, v43, v48, vcc
	v_cmp_eq_u32_e32 vcc, 2, v42
	s_nop 1
	v_cndmask_b32_e32 v39, v39, v44, vcc
	v_cmp_eq_u32_e32 vcc, 3, v42
	s_nop 1
	v_cndmask_b32_e32 v39, v39, v45, vcc
	v_mul_f32_e32 v38, v39, v38
	v_pk_mul_f32 v[32:33], v[38:39], v[32:33] op_sel_hi:[0,1]
	v_pk_mul_f32 v[18:19], v[38:39], v[18:19] op_sel_hi:[0,1]
	v_cvt_f16_f32_e32 v39, v32
	v_cvt_f16_f32_e32 v33, v33
	;; [unrolled: 1-line block ×4, first 2 shown]
	v_cmp_gt_u32_e32 vcc, 2, v0
	v_pack_b32_f16 v33, v39, v33
	v_lshlrev_b32_e32 v39, 3, v1
	v_pack_b32_f16 v32, v18, v19
	v_pk_mul_f32 v[18:19], v[38:39], v[34:35] op_sel_hi:[0,1]
	v_pk_mul_f32 v[22:23], v[38:39], v[22:23] op_sel_hi:[0,1]
	v_cvt_f16_f32_e32 v22, v22
	v_cvt_f16_f32_e32 v23, v23
	;; [unrolled: 1-line block ×4, first 2 shown]
	v_lshlrev_b32_e32 v18, 11, v42
	v_or3_b32 v18, v18, v27, v39
	v_pack_b32_f16 v22, v22, v23
	v_pack_b32_f16 v23, v34, v19
	ds_write2st64_b64 v18, v[32:33], v[22:23] offset1:1
	v_pk_mul_f32 v[22:23], v[38:39], v[30:31] op_sel_hi:[0,1]
	v_pk_mul_f32 v[28:29], v[38:39], v[28:29] op_sel_hi:[0,1]
	v_cvt_f16_f32_e32 v19, v28
	v_cvt_f16_f32_e32 v28, v29
	;; [unrolled: 1-line block ×4, first 2 shown]
	v_pk_mul_f32 v[20:21], v[38:39], v[20:21] op_sel_hi:[0,1]
	v_pk_mul_f32 v[22:23], v[38:39], v[24:25] op_sel_hi:[0,1]
	v_cvt_f16_f32_e32 v22, v22
	v_cvt_f16_f32_e32 v23, v23
	;; [unrolled: 1-line block ×4, first 2 shown]
	v_pack_b32_f16 v20, v19, v28
	v_pack_b32_f16 v21, v29, v30
	;; [unrolled: 1-line block ×4, first 2 shown]
	ds_write2st64_b64 v18, v[20:21], v[22:23] offset0:2 offset1:3
	s_and_saveexec_b64 s[4:5], vcc
	s_cbranch_execz .LBB925_15
; %bb.14:
	v_or_b32_e32 v20, s29, v0
	v_mov_b32_e32 v21, 0
	v_mov_b32_e32 v19, s7
	v_mad_u64_u32 v[22:23], s[12:13], s2, v19, v[20:21]
	v_mov_b32_e32 v20, s28
	s_load_dwordx4 s[8:11], s[0:1], 0x58
	s_mul_i32 s3, s3, s7
	v_mad_u64_u32 v[20:21], s[12:13], v22, s6, v[20:21]
	v_add_u32_e32 v19, s3, v23
	v_mov_b32_e32 v22, v21
	v_mad_u64_u32 v[22:23], s[12:13], v19, s6, v[22:23]
	v_mov_b32_e32 v21, v22
	v_lshlrev_b64 v[20:21], 2, v[20:21]
	s_waitcnt lgkmcnt(0)
	v_lshl_add_u64 v[22:23], s[10:11], 0, v[20:21]
	v_lshl_add_u64 v[20:21], s[8:9], 0, v[20:21]
	global_store_dword v[22:23], v36, off
	global_store_dword v[20:21], v37, off
.LBB925_15:
	s_or_b64 exec, exec, s[4:5]
	s_waitcnt vmcnt(3)
	v_cvt_pk_f32_fp8_e32 v[20:21], v14
	v_cvt_pk_f32_fp8_sdwa v[22:23], v14 src0_sel:WORD_1
	v_lshl_or_b32 v14, v1, 9, v27
	s_waitcnt lgkmcnt(0)
	s_barrier
	v_cvt_pk_f32_fp8_e32 v[24:25], v15
	v_cvt_pkrtz_f16_f32 v32, v20, v21
	v_cvt_pkrtz_f16_f32 v33, v22, v23
	v_cvt_pk_f32_fp8_sdwa v[28:29], v15 src0_sel:WORD_1
	ds_read_b128 v[20:23], v14
	v_cvt_pkrtz_f16_f32 v24, v24, v25
	v_cvt_pk_f32_fp8_e32 v[36:37], v16
	v_cvt_pkrtz_f16_f32 v25, v28, v29
	ds_read_b128 v[28:31], v14 offset:16
	v_cvt_pk_f32_fp8_sdwa v[38:39], v16 src0_sel:WORD_1
	s_waitcnt lgkmcnt(1)
	v_mfma_f32_16x16x16_f16 v[32:35], v[32:33], v[20:21], 0
	v_cvt_pkrtz_f16_f32 v36, v36, v37
	s_load_dword s4, s[42:43], 0x0
	v_cvt_pkrtz_f16_f32 v37, v38, v39
	v_cvt_pk_f32_fp8_e32 v[38:39], v17
	v_cvt_pk_f32_fp8_sdwa v[16:17], v17 src0_sel:WORD_1
	v_mfma_f32_16x16x16_f16 v[20:23], v[24:25], v[22:23], v[32:35]
	v_cmp_gt_u32_e32 vcc, 64, v0
	v_cvt_pkrtz_f16_f32 v24, v38, v39
	v_cvt_pkrtz_f16_f32 v25, v16, v17
	s_waitcnt lgkmcnt(0)
	v_mfma_f32_16x16x16_f16 v[20:23], v[36:37], v[28:29], v[20:23]
	s_waitcnt vmcnt(2)
	v_cvt_pk_f32_fp8_e32 v[16:17], v10
	v_cvt_pk_f32_fp8_e32 v[28:29], v11
	v_cvt_pk_f32_fp8_sdwa v[36:37], v12 src0_sel:WORD_1
	v_mfma_f32_16x16x16_f16 v[20:23], v[24:25], v[30:31], v[20:23]
	v_cvt_pk_f32_fp8_sdwa v[24:25], v10 src0_sel:WORD_1
	v_cvt_pkrtz_f16_f32 v10, v16, v17
	v_cvt_pk_f32_fp8_sdwa v[16:17], v11 src0_sel:WORD_1
	ds_read_b128 v[32:35], v14 offset:2064
	v_cvt_pkrtz_f16_f32 v11, v24, v25
	v_cvt_pkrtz_f16_f32 v24, v28, v29
	ds_read_b128 v[28:31], v14 offset:2048
	v_cvt_pkrtz_f16_f32 v25, v16, v17
	v_cvt_pk_f32_fp8_e32 v[16:17], v12
	s_waitcnt lgkmcnt(0)
	v_mfma_f32_16x16x16_f16 v[20:23], v[10:11], v[28:29], v[20:23]
	v_cvt_pkrtz_f16_f32 v10, v16, v17
	v_cvt_pkrtz_f16_f32 v11, v36, v37
	v_cvt_pk_f32_fp8_e32 v[16:17], v13
	v_mfma_f32_16x16x16_f16 v[20:23], v[24:25], v[30:31], v[20:23]
	v_cvt_pk_f32_fp8_sdwa v[24:25], v13 src0_sel:WORD_1
	ds_read_b128 v[28:31], v14 offset:4112
	v_cvt_pkrtz_f16_f32 v16, v16, v17
	v_mfma_f32_16x16x16_f16 v[10:13], v[10:11], v[32:33], v[20:23]
	v_cvt_pkrtz_f16_f32 v17, v24, v25
	s_waitcnt vmcnt(1)
	v_cvt_pk_f32_fp8_sdwa v[24:25], v7 src0_sel:WORD_1
	v_cvt_pk_f32_fp8_sdwa v[32:33], v8 src0_sel:WORD_1
	v_cvt_pk_f32_fp8_e32 v[20:21], v6
	v_mfma_f32_16x16x16_f16 v[10:13], v[16:17], v[34:35], v[10:13]
	v_cvt_pk_f32_fp8_sdwa v[16:17], v6 src0_sel:WORD_1
	v_cvt_pk_f32_fp8_e32 v[22:23], v7
	v_cvt_pkrtz_f16_f32 v6, v20, v21
	s_mov_b32 s3, 0
	v_cvt_pkrtz_f16_f32 v7, v16, v17
	v_cvt_pkrtz_f16_f32 v16, v22, v23
	ds_read_b128 v[20:23], v14 offset:4096
	v_cvt_pkrtz_f16_f32 v17, v24, v25
	v_cvt_pk_f32_fp8_e32 v[24:25], v8
	s_waitcnt lgkmcnt(0)
	v_mfma_f32_16x16x16_f16 v[10:13], v[6:7], v[20:21], v[10:13]
	v_cvt_pkrtz_f16_f32 v6, v24, v25
	v_cvt_pkrtz_f16_f32 v7, v32, v33
	v_cvt_pk_f32_fp8_e32 v[20:21], v9
	v_mfma_f32_16x16x16_f16 v[10:13], v[16:17], v[22:23], v[10:13]
	v_cvt_pk_f32_fp8_sdwa v[16:17], v9 src0_sel:WORD_1
	s_waitcnt vmcnt(0)
	v_cvt_pk_f32_fp8_sdwa v[24:25], v4 src0_sel:WORD_1
	v_cvt_pkrtz_f16_f32 v20, v20, v21
	v_mfma_f32_16x16x16_f16 v[6:9], v[6:7], v[28:29], v[10:13]
	v_cvt_pkrtz_f16_f32 v21, v16, v17
	v_cvt_pk_f32_fp8_e32 v[16:17], v3
	v_mov_b32_e32 v27, 0
	v_cvt_pk_f32_fp8_e32 v[10:11], v2
	v_cvt_pk_f32_fp8_sdwa v[12:13], v2 src0_sel:WORD_1
	v_mfma_f32_16x16x16_f16 v[6:9], v[20:21], v[30:31], v[6:9]
	v_cvt_pk_f32_fp8_sdwa v[20:21], v3 src0_sel:WORD_1
	v_cvt_pkrtz_f16_f32 v2, v10, v11
	v_cvt_pkrtz_f16_f32 v3, v12, v13
	ds_read_b128 v[10:13], v14 offset:6144
	v_cvt_pkrtz_f16_f32 v22, v16, v17
	v_cvt_pkrtz_f16_f32 v23, v20, v21
	v_cvt_pk_f32_fp8_e32 v[20:21], v4
	s_waitcnt lgkmcnt(0)
	v_mfma_f32_16x16x16_f16 v[6:9], v[2:3], v[10:11], v[6:9]
	ds_read_b128 v[14:17], v14 offset:6160
	v_cvt_pkrtz_f16_f32 v2, v20, v21
	v_cvt_pkrtz_f16_f32 v3, v24, v25
	v_cvt_pk_f32_fp8_e32 v[10:11], v5
	v_mfma_f32_16x16x16_f16 v[6:9], v[22:23], v[12:13], v[6:9]
	v_cvt_pk_f32_fp8_sdwa v[12:13], v5 src0_sel:WORD_1
	s_waitcnt lgkmcnt(0)
	v_cvt_pkrtz_f16_f32 v10, v10, v11
	v_mfma_f32_16x16x16_f16 v[2:5], v[2:3], v[14:15], v[6:9]
	v_cvt_pkrtz_f16_f32 v11, v12, v13
	s_barrier
	s_nop 0
	v_mfma_f32_16x16x16_f16 v[2:5], v[10:11], v[16:17], v[2:5]
	s_nop 6
	v_pk_mul_f32 v[4:5], v[4:5], s[4:5] op_sel_hi:[1,0]
	v_pk_mul_f32 v[2:3], v[2:3], s[4:5] op_sel_hi:[1,0]
	v_cvt_f16_f32_e32 v4, v4
	v_cvt_f16_f32_e32 v2, v2
	;; [unrolled: 1-line block ×4, first 2 shown]
	v_cmp_gt_u32_e64 s[4:5], 32, v41
	s_and_b64 s[4:5], s[4:5], vcc
	v_pack_b32_f16 v2, v2, v3
	v_pack_b32_f16 v3, v4, v5
	s_and_b64 s[4:5], s[4:5], s[30:31]
	ds_write_b64 v18, v[2:3]
	s_waitcnt lgkmcnt(0)
	s_barrier
	s_and_saveexec_b64 s[8:9], s[4:5]
	s_cbranch_execz .LBB925_17
; %bb.16:
	s_load_dwordx2 s[0:1], s[0:1], 0x68
	s_mul_i32 s2, s7, s2
	s_lshl_b32 s6, s6, 6
	s_mul_hi_u32 s5, s2, s6
	s_mul_i32 s4, s2, s6
	v_lshlrev_b32_e32 v0, 10, v0
	s_lshl_b64 s[4:5], s[4:5], 1
	v_and_b32_e32 v0, 0x1800, v0
	v_lshlrev_b32_e32 v2, 5, v1
	v_and_b32_e32 v3, 16, v40
	s_waitcnt lgkmcnt(0)
	s_add_u32 s4, s0, s4
	v_or3_b32 v0, v0, v2, v3
	s_addc_u32 s5, s1, s5
	s_lshl_b32 s2, s28, 6
	ds_read_b128 v[2:5], v0
	s_lshl_b64 s[0:1], s[2:3], 1
	s_add_u32 s0, s4, s0
	v_or_b32_e32 v0, s29, v1
	s_addc_u32 s1, s5, s1
	v_mad_u64_u32 v[0:1], s[2:3], s6, v0, 0
	v_lshl_add_u64 v[0:1], v[0:1], 1, s[0:1]
	v_lshl_add_u64 v[0:1], v[0:1], 0, v[26:27]
	s_waitcnt lgkmcnt(0)
	global_store_dwordx4 v[0:1], v[2:5], off
.LBB925_17:
	s_endpgm
	.section	.rodata,"a",@progbits
	.p2align	6, 0x0
	.amdhsa_kernel _Z39paged_attention_ll4mi_QKV_mfma16_kernelIDF16_hLN4vllm18Fp8KVCacheDataTypeE1EDF16_Li32ELi64ELi256ELb0ELi2EEvPKT_PKT0_S7_ifPKiS9_S9_iPKfiiiPfSC_PS2_PT2_iSB_SB_
		.amdhsa_group_segment_fixed_size 8192
		.amdhsa_private_segment_fixed_size 0
		.amdhsa_kernarg_size 400
		.amdhsa_user_sgpr_count 2
		.amdhsa_user_sgpr_dispatch_ptr 0
		.amdhsa_user_sgpr_queue_ptr 0
		.amdhsa_user_sgpr_kernarg_segment_ptr 1
		.amdhsa_user_sgpr_dispatch_id 0
		.amdhsa_user_sgpr_kernarg_preload_length 0
		.amdhsa_user_sgpr_kernarg_preload_offset 0
		.amdhsa_user_sgpr_private_segment_size 0
		.amdhsa_uses_dynamic_stack 0
		.amdhsa_enable_private_segment 0
		.amdhsa_system_sgpr_workgroup_id_x 1
		.amdhsa_system_sgpr_workgroup_id_y 1
		.amdhsa_system_sgpr_workgroup_id_z 1
		.amdhsa_system_sgpr_workgroup_info 0
		.amdhsa_system_vgpr_workitem_id 0
		.amdhsa_next_free_vgpr 54
		.amdhsa_next_free_sgpr 49
		.amdhsa_accum_offset 56
		.amdhsa_reserve_vcc 1
		.amdhsa_float_round_mode_32 0
		.amdhsa_float_round_mode_16_64 0
		.amdhsa_float_denorm_mode_32 3
		.amdhsa_float_denorm_mode_16_64 3
		.amdhsa_dx10_clamp 1
		.amdhsa_ieee_mode 1
		.amdhsa_fp16_overflow 0
		.amdhsa_tg_split 0
		.amdhsa_exception_fp_ieee_invalid_op 0
		.amdhsa_exception_fp_denorm_src 0
		.amdhsa_exception_fp_ieee_div_zero 0
		.amdhsa_exception_fp_ieee_overflow 0
		.amdhsa_exception_fp_ieee_underflow 0
		.amdhsa_exception_fp_ieee_inexact 0
		.amdhsa_exception_int_div_zero 0
	.end_amdhsa_kernel
	.section	.text._Z39paged_attention_ll4mi_QKV_mfma16_kernelIDF16_hLN4vllm18Fp8KVCacheDataTypeE1EDF16_Li32ELi64ELi256ELb0ELi2EEvPKT_PKT0_S7_ifPKiS9_S9_iPKfiiiPfSC_PS2_PT2_iSB_SB_,"axG",@progbits,_Z39paged_attention_ll4mi_QKV_mfma16_kernelIDF16_hLN4vllm18Fp8KVCacheDataTypeE1EDF16_Li32ELi64ELi256ELb0ELi2EEvPKT_PKT0_S7_ifPKiS9_S9_iPKfiiiPfSC_PS2_PT2_iSB_SB_,comdat
.Lfunc_end925:
	.size	_Z39paged_attention_ll4mi_QKV_mfma16_kernelIDF16_hLN4vllm18Fp8KVCacheDataTypeE1EDF16_Li32ELi64ELi256ELb0ELi2EEvPKT_PKT0_S7_ifPKiS9_S9_iPKfiiiPfSC_PS2_PT2_iSB_SB_, .Lfunc_end925-_Z39paged_attention_ll4mi_QKV_mfma16_kernelIDF16_hLN4vllm18Fp8KVCacheDataTypeE1EDF16_Li32ELi64ELi256ELb0ELi2EEvPKT_PKT0_S7_ifPKiS9_S9_iPKfiiiPfSC_PS2_PT2_iSB_SB_
                                        ; -- End function
	.section	.AMDGPU.csdata,"",@progbits
; Kernel info:
; codeLenInByte = 4588
; NumSgprs: 55
; NumVgprs: 54
; NumAgprs: 0
; TotalNumVgprs: 54
; ScratchSize: 0
; MemoryBound: 0
; FloatMode: 240
; IeeeMode: 1
; LDSByteSize: 8192 bytes/workgroup (compile time only)
; SGPRBlocks: 6
; VGPRBlocks: 6
; NumSGPRsForWavesPerEU: 55
; NumVGPRsForWavesPerEU: 54
; AccumOffset: 56
; Occupancy: 8
; WaveLimiterHint : 1
; COMPUTE_PGM_RSRC2:SCRATCH_EN: 0
; COMPUTE_PGM_RSRC2:USER_SGPR: 2
; COMPUTE_PGM_RSRC2:TRAP_HANDLER: 0
; COMPUTE_PGM_RSRC2:TGID_X_EN: 1
; COMPUTE_PGM_RSRC2:TGID_Y_EN: 1
; COMPUTE_PGM_RSRC2:TGID_Z_EN: 1
; COMPUTE_PGM_RSRC2:TIDIG_COMP_CNT: 0
; COMPUTE_PGM_RSRC3_GFX90A:ACCUM_OFFSET: 13
; COMPUTE_PGM_RSRC3_GFX90A:TG_SPLIT: 0
	.section	.text._Z39paged_attention_ll4mi_QKV_mfma16_kernelIDF16_hLN4vllm18Fp8KVCacheDataTypeE1EDF16_Li32ELi64ELi256ELb0ELi3EEvPKT_PKT0_S7_ifPKiS9_S9_iPKfiiiPfSC_PS2_PT2_iSB_SB_,"axG",@progbits,_Z39paged_attention_ll4mi_QKV_mfma16_kernelIDF16_hLN4vllm18Fp8KVCacheDataTypeE1EDF16_Li32ELi64ELi256ELb0ELi3EEvPKT_PKT0_S7_ifPKiS9_S9_iPKfiiiPfSC_PS2_PT2_iSB_SB_,comdat
	.protected	_Z39paged_attention_ll4mi_QKV_mfma16_kernelIDF16_hLN4vllm18Fp8KVCacheDataTypeE1EDF16_Li32ELi64ELi256ELb0ELi3EEvPKT_PKT0_S7_ifPKiS9_S9_iPKfiiiPfSC_PS2_PT2_iSB_SB_ ; -- Begin function _Z39paged_attention_ll4mi_QKV_mfma16_kernelIDF16_hLN4vllm18Fp8KVCacheDataTypeE1EDF16_Li32ELi64ELi256ELb0ELi3EEvPKT_PKT0_S7_ifPKiS9_S9_iPKfiiiPfSC_PS2_PT2_iSB_SB_
	.globl	_Z39paged_attention_ll4mi_QKV_mfma16_kernelIDF16_hLN4vllm18Fp8KVCacheDataTypeE1EDF16_Li32ELi64ELi256ELb0ELi3EEvPKT_PKT0_S7_ifPKiS9_S9_iPKfiiiPfSC_PS2_PT2_iSB_SB_
	.p2align	8
	.type	_Z39paged_attention_ll4mi_QKV_mfma16_kernelIDF16_hLN4vllm18Fp8KVCacheDataTypeE1EDF16_Li32ELi64ELi256ELb0ELi3EEvPKT_PKT0_S7_ifPKiS9_S9_iPKfiiiPfSC_PS2_PT2_iSB_SB_,@function
_Z39paged_attention_ll4mi_QKV_mfma16_kernelIDF16_hLN4vllm18Fp8KVCacheDataTypeE1EDF16_Li32ELi64ELi256ELb0ELi3EEvPKT_PKT0_S7_ifPKiS9_S9_iPKfiiiPfSC_PS2_PT2_iSB_SB_: ; @_Z39paged_attention_ll4mi_QKV_mfma16_kernelIDF16_hLN4vllm18Fp8KVCacheDataTypeE1EDF16_Li32ELi64ELi256ELb0ELi3EEvPKT_PKT0_S7_ifPKiS9_S9_iPKfiiiPfSC_PS2_PT2_iSB_SB_
; %bb.0:
	s_load_dwordx2 s[12:13], s[0:1], 0x30
	s_mov_b32 s28, s3
	s_mov_b64 s[6:7], 0
	s_waitcnt lgkmcnt(0)
	s_cmp_lg_u64 s[12:13], 0
	s_cselect_b64 s[14:15], -1, 0
	s_and_b64 vcc, exec, s[14:15]
	s_cbranch_vccz .LBB926_7
; %bb.1:
	s_add_i32 s8, s2, 1
	s_mov_b32 s9, 0
	s_lshl_b64 s[10:11], s[8:9], 2
	s_add_u32 s10, s12, s10
	s_mov_b32 s3, s9
	s_addc_u32 s11, s13, s11
	s_lshl_b64 s[8:9], s[2:3], 2
	s_add_u32 s8, s12, s8
	s_addc_u32 s9, s13, s9
	s_load_dword s5, s[10:11], 0x0
	s_load_dword s16, s[8:9], 0x0
	s_waitcnt lgkmcnt(0)
	s_sub_i32 s5, s5, s16
	s_cmp_eq_u32 s5, 1
	s_cselect_b64 s[8:9], -1, 0
	s_andn2_b64 vcc, exec, s[6:7]
	s_cbranch_vccnz .LBB926_3
.LBB926_2:
	s_mov_b32 s3, 0
	s_mov_b64 s[8:9], -1
.LBB926_3:
	s_andn2_b64 vcc, exec, s[8:9]
	s_cbranch_vccnz .LBB926_17
; %bb.4:
	s_load_dwordx2 s[6:7], s[0:1], 0x28
	s_lshl_b64 s[16:17], s[2:3], 2
	s_waitcnt lgkmcnt(0)
	s_add_u32 s6, s6, s16
	s_addc_u32 s7, s7, s17
	s_load_dword s33, s[6:7], 0x0
	s_lshl_b32 s5, s28, 8
	s_waitcnt lgkmcnt(0)
	s_cmp_ge_i32 s5, s33
	s_cbranch_scc1 .LBB926_17
; %bb.5:
	s_add_i32 s9, s33, 31
	s_load_dwordx2 s[6:7], s[0:1], 0x20
	s_load_dword s8, s[0:1], 0x38
	s_ashr_i32 s10, s9, 31
	v_and_b32_e32 v1, 0xcf, v0
	s_lshr_b32 s10, s10, 27
	v_add_u32_e32 v1, s5, v1
	s_add_i32 s9, s9, s10
	v_ashrrev_i32_e32 v2, 31, v1
	s_ashr_i32 s18, s9, 5
	v_lshrrev_b32_e32 v6, 27, v2
	s_add_i32 s18, s18, -1
	v_add_u32_e32 v2, v1, v6
	v_or_b32_e32 v4, 16, v1
	s_waitcnt lgkmcnt(0)
	s_mul_i32 s8, s2, s8
	s_mov_b32 s9, 0
	v_ashrrev_i32_e32 v2, 5, v2
	v_mov_b32_e32 v7, s18
	v_cmp_gt_i32_e32 vcc, s33, v1
	v_add_u32_e32 v5, v4, v6
	s_lshl_b64 s[8:9], s[8:9], 2
	v_cndmask_b32_e32 v2, v7, v2, vcc
	v_ashrrev_i32_e32 v5, 5, v5
	v_cmp_gt_i32_e32 vcc, s33, v4
	s_add_u32 s6, s6, s8
	s_addc_u32 s7, s7, s9
	v_cndmask_b32_e32 v4, v7, v5, vcc
	v_ashrrev_i32_e32 v5, 31, v4
	v_lshl_add_u64 v[10:11], v[4:5], 2, s[6:7]
	v_or_b32_e32 v4, 32, v1
	v_add_u32_e32 v5, v4, v6
	v_ashrrev_i32_e32 v5, 5, v5
	v_cmp_gt_i32_e32 vcc, s33, v4
	v_or_b32_e32 v1, 48, v1
	v_ashrrev_i32_e32 v3, 31, v2
	v_cndmask_b32_e32 v4, v7, v5, vcc
	v_ashrrev_i32_e32 v5, 31, v4
	v_lshl_add_u64 v[12:13], v[4:5], 2, s[6:7]
	v_add_u32_e32 v4, v1, v6
	v_ashrrev_i32_e32 v4, 5, v4
	v_cmp_gt_i32_e32 vcc, s33, v1
	v_lshl_add_u64 v[2:3], v[2:3], 2, s[6:7]
	s_load_dwordx4 s[8:11], s[0:1], 0x8
	v_cndmask_b32_e32 v4, v7, v4, vcc
	v_ashrrev_i32_e32 v5, 31, v4
	v_lshl_add_u64 v[14:15], v[4:5], 2, s[6:7]
	global_load_dword v4, v[2:3], off
	global_load_dword v8, v[10:11], off
	;; [unrolled: 1-line block ×4, first 2 shown]
	s_andn2_b64 vcc, exec, s[14:15]
	s_cbranch_vccnz .LBB926_8
; %bb.6:
	s_add_u32 s12, s12, s16
	s_addc_u32 s13, s13, s17
	s_load_dword s14, s[12:13], 0x0
	s_branch .LBB926_9
.LBB926_7:
	s_mov_b64 s[8:9], 0
	s_branch .LBB926_2
.LBB926_8:
	s_mov_b32 s14, s2
.LBB926_9:
	s_load_dwordx4 s[44:47], s[0:1], 0x48
	v_lshrrev_b32_e32 v29, 6, v0
	v_bfe_u32 v42, v0, 4, 2
	v_lshl_or_b32 v2, v29, 2, v42
	v_and_b32_e32 v28, 15, v0
	s_mul_i32 s48, s4, 3
	v_lshlrev_b32_e32 v3, 3, v28
	v_cmp_gt_u32_e32 vcc, 3, v2
	v_cmp_gt_u32_e64 s[30:31], 8, v28
	v_and_b32_e32 v44, 63, v0
	v_add_u32_e32 v1, s48, v42
	s_and_b64 s[16:17], s[30:31], vcc
	v_lshlrev_b32_e32 v26, 1, v3
	v_lshlrev_b32_e32 v43, 4, v0
	s_and_saveexec_b64 s[12:13], s[16:17]
	s_cbranch_execz .LBB926_11
; %bb.10:
	s_load_dwordx2 s[16:17], s[0:1], 0x0
	s_waitcnt lgkmcnt(0)
	s_ashr_i32 s15, s44, 31
	s_mul_hi_u32 s19, s14, s44
	s_mul_i32 s15, s14, s15
	s_add_i32 s15, s19, s15
	s_mul_i32 s14, s14, s44
	s_lshl_b64 s[14:15], s[14:15], 1
	s_add_u32 s14, s16, s14
	v_lshlrev_b32_e32 v10, 6, v1
	s_addc_u32 s15, s17, s15
	v_ashrrev_i32_e32 v11, 31, v10
	v_lshl_add_u64 v[10:11], v[10:11], 1, s[14:15]
	v_mov_b32_e32 v27, 0
	v_lshl_add_u64 v[10:11], v[10:11], 0, v[26:27]
	global_load_dwordx4 v[10:13], v[10:11], off
	v_lshlrev_b32_e32 v5, 8, v28
	v_lshlrev_b32_e32 v2, 5, v2
	v_and_b32_e32 v3, 16, v43
	v_and_b32_e32 v5, 0xe00, v5
	v_or3_b32 v2, v5, v2, v3
	s_waitcnt vmcnt(0)
	ds_write_b128 v2, v[10:13]
.LBB926_11:
	s_or_b64 exec, exec, s[12:13]
	s_waitcnt lgkmcnt(0)
	s_mul_i32 s4, s4, s46
	s_add_u32 s8, s8, s4
	s_addc_u32 s9, s9, 0
	v_mov_b32_e32 v31, 0
	v_mov_b64_e32 v[2:3], s[8:9]
	v_and_b32_e32 v12, 48, v0
	s_waitcnt vmcnt(3)
	v_mad_i64_i32 v[10:11], s[8:9], v4, s45, v[2:3]
	v_lshlrev_b32_e32 v4, 4, v28
	v_mov_b32_e32 v5, v31
	v_lshlrev_b32_e32 v30, 5, v12
	v_lshl_add_u64 v[10:11], v[10:11], 0, v[4:5]
	v_lshl_add_u64 v[10:11], v[10:11], 0, v[30:31]
	s_load_dword s29, s[0:1], 0x98
	s_load_dwordx4 s[40:43], s[0:1], 0x80
	s_waitcnt lgkmcnt(0)
	s_barrier
	global_load_dwordx4 v[14:17], v[10:11], off
	s_waitcnt vmcnt(3)
	v_mad_i64_i32 v[8:9], s[8:9], v8, s45, v[2:3]
	s_ashr_i32 s8, s5, 31
	v_or_b32_e32 v12, s5, v12
	s_lshr_b32 s12, s8, 27
	v_add_u32_e32 v10, s12, v12
	v_ashrrev_i32_e32 v10, 5, v10
	v_mov_b32_e32 v33, s18
	v_cmp_gt_i32_e32 vcc, s33, v12
	v_mov_b32_e32 v13, 5
	v_or_b32_e32 v32, 64, v12
	v_cndmask_b32_e32 v10, v33, v10, vcc
	v_ashrrev_i32_e32 v11, 31, v10
	v_lshl_add_u64 v[10:11], v[10:11], 2, s[6:7]
	global_load_dword v45, v[10:11], off
	v_or_b32_e32 v10, 0x100, v4
	v_mov_b32_e32 v11, v31
	v_lshl_add_u64 v[8:9], v[8:9], 0, v[10:11]
	v_lshl_add_u64 v[8:9], v[8:9], 0, v[30:31]
	global_load_dwordx4 v[18:21], v[8:9], off
	v_mul_lo_u16_e32 v8, 0x56, v28
	v_mov_b32_e32 v9, 3
	v_mul_lo_u16_sdwa v8, v8, v9 dst_sel:DWORD dst_unused:UNUSED_PAD src0_sel:BYTE_1 src1_sel:DWORD
	v_sub_u16_e32 v8, v28, v8
	v_or_b32_e32 v34, 0x80, v12
	v_or_b32_e32 v35, 0xc0, v12
	v_lshlrev_b32_sdwa v12, v13, v8 dst_sel:DWORD dst_unused:UNUSED_PAD src0_sel:DWORD src1_sel:BYTE_0
	s_waitcnt vmcnt(4)
	v_mad_i64_i32 v[8:9], s[8:9], v7, s45, v[2:3]
	v_lshl_add_u64 v[4:5], v[8:9], 0, v[4:5]
	v_lshl_add_u64 v[4:5], v[4:5], 0, v[30:31]
	global_load_dwordx4 v[22:25], v[4:5], off
	v_lshl_add_u32 v4, v42, 9, v12
	s_waitcnt vmcnt(4)
	v_mad_i64_i32 v[12:13], s[8:9], v6, s45, v[2:3]
	v_add_u32_e32 v36, s12, v32
	v_add_u32_e32 v37, s12, v34
	v_lshl_add_u64 v[10:11], v[12:13], 0, v[10:11]
	v_ashrrev_i32_e32 v12, 5, v36
	v_cmp_gt_i32_e32 vcc, s33, v32
	v_ashrrev_i32_e32 v13, 5, v37
	v_lshl_add_u64 v[10:11], v[10:11], 0, v[30:31]
	v_cndmask_b32_e32 v32, v33, v12, vcc
	v_cmp_gt_i32_e32 vcc, s33, v34
	ds_read_b128 v[6:9], v4
	ds_read_b128 v[2:5], v4 offset:16
	v_cndmask_b32_e32 v34, v33, v13, vcc
	global_load_dwordx4 v[10:13], v[10:11], off
	v_add_u32_e32 v38, s12, v35
	s_add_u32 s8, s10, s4
	v_ashrrev_i32_e32 v36, 5, v38
	v_cmp_gt_i32_e32 vcc, s33, v35
	v_lshlrev_b32_e32 v27, 5, v28
	s_addc_u32 s9, s11, 0
	v_cndmask_b32_e32 v36, v33, v36, vcc
	v_and_b32_e32 v30, 16, v0
	v_ashrrev_i32_e32 v37, 31, v36
	v_lshl_add_u64 v[38:39], s[8:9], 0, v[30:31]
	v_lshl_or_b32 v30, v29, 9, v27
	v_lshl_add_u64 v[40:41], v[36:37], 2, s[6:7]
	v_lshl_add_u64 v[30:31], v[38:39], 0, v[30:31]
	v_ashrrev_i32_e32 v33, 31, v32
	v_ashrrev_i32_e32 v35, 31, v34
	v_lshl_add_u64 v[32:33], v[32:33], 2, s[6:7]
	v_lshl_add_u64 v[34:35], v[34:35], 2, s[6:7]
	s_load_dword s13, s[0:1], 0x1c
	s_mov_b32 s44, 0xff7fffff
	s_waitcnt vmcnt(4)
	v_cvt_pk_f32_fp8_e32 v[36:37], v14
	v_cvt_pk_f32_fp8_sdwa v[38:39], v14 src0_sel:WORD_1
	v_cvt_pk_f32_fp8_e32 v[46:47], v15
	v_cvt_pk_f32_fp8_sdwa v[14:15], v15 src0_sel:WORD_1
	v_cvt_pkrtz_f16_f32 v36, v36, v37
	v_cvt_pkrtz_f16_f32 v37, v38, v39
	;; [unrolled: 1-line block ×4, first 2 shown]
	v_cvt_pk_f32_fp8_e32 v[48:49], v16
	v_cvt_pk_f32_fp8_sdwa v[50:51], v16 src0_sel:WORD_1
	s_waitcnt lgkmcnt(0)
	v_mfma_f32_16x16x16_f16 v[36:39], v[36:37], v[6:7], 0
	global_load_dword v16, v[32:33], off
	s_nop 0
	global_load_dword v34, v[34:35], off
	s_nop 0
	global_load_dword v35, v[40:41], off
	v_cvt_pkrtz_f16_f32 v32, v48, v49
	v_cvt_pkrtz_f16_f32 v33, v50, v51
	v_mfma_f32_16x16x16_f16 v[36:39], v[46:47], v[8:9], v[36:39]
	v_cvt_pk_f32_fp8_e32 v[40:41], v17
	v_cvt_pk_f32_fp8_sdwa v[46:47], v17 src0_sel:WORD_1
	s_load_dword s4, s[40:41], 0x0
	v_mfma_f32_16x16x16_f16 v[36:39], v[32:33], v[2:3], v[36:39]
	v_cvt_pkrtz_f16_f32 v40, v40, v41
	v_cvt_pkrtz_f16_f32 v41, v46, v47
	s_waitcnt vmcnt(5)
	v_cvt_pk_f32_fp8_e32 v[32:33], v18
	v_cvt_pk_f32_fp8_sdwa v[46:47], v18 src0_sel:WORD_1
	v_mfma_f32_16x16x16_f16 v[36:39], v[40:41], v[4:5], v[36:39]
	v_cvt_pk_f32_fp8_e32 v[40:41], v19
	v_cvt_pkrtz_f16_f32 v32, v32, v33
	v_cvt_pkrtz_f16_f32 v33, v46, v47
	v_cvt_pk_f32_fp8_sdwa v[18:19], v19 src0_sel:WORD_1
	v_cvt_pkrtz_f16_f32 v40, v40, v41
	v_cvt_pk_f32_fp8_e32 v[50:51], v20
	v_cvt_pk_f32_fp8_sdwa v[52:53], v20 src0_sel:WORD_1
	v_cvt_pkrtz_f16_f32 v41, v18, v19
	v_mfma_f32_16x16x16_f16 v[46:49], v[32:33], v[6:7], 0
	v_cvt_pkrtz_f16_f32 v32, v50, v51
	v_cvt_pkrtz_f16_f32 v33, v52, v53
	v_cvt_pk_f32_fp8_e32 v[50:51], v21
	v_cvt_pk_f32_fp8_sdwa v[52:53], v21 src0_sel:WORD_1
	v_mfma_f32_16x16x16_f16 v[18:21], v[40:41], v[8:9], v[46:49]
	v_mov_b32_e32 v17, s13
	v_cvt_pkrtz_f16_f32 v40, v50, v51
	v_cvt_pkrtz_f16_f32 v41, v52, v53
	v_mfma_f32_16x16x16_f16 v[18:21], v[32:33], v[2:3], v[18:21]
	s_waitcnt vmcnt(4)
	v_cvt_pk_f32_fp8_e32 v[32:33], v22
	v_cvt_pk_f32_fp8_sdwa v[50:51], v22 src0_sel:WORD_1
	s_waitcnt lgkmcnt(0)
	v_mul_f32_e32 v54, s4, v17
	v_mfma_f32_16x16x16_f16 v[46:49], v[40:41], v[4:5], v[18:21]
	v_cvt_pk_f32_fp8_e32 v[40:41], v24
	v_mad_i64_i32 v[14:15], s[6:7], v45, s45, v[30:31]
	s_nop 0
	v_cvt_pk_f32_fp8_e32 v[18:19], v23
	v_cvt_pkrtz_f16_f32 v20, v32, v33
	v_cvt_pkrtz_f16_f32 v21, v50, v51
	v_cvt_pk_f32_fp8_sdwa v[22:23], v23 src0_sel:WORD_1
	v_cvt_pkrtz_f16_f32 v32, v18, v19
	v_cvt_pk_f32_fp8_sdwa v[50:51], v24 src0_sel:WORD_1
	v_mfma_f32_16x16x16_f16 v[18:21], v[20:21], v[6:7], 0
	v_cvt_pkrtz_f16_f32 v33, v22, v23
	v_cvt_pkrtz_f16_f32 v40, v40, v41
	;; [unrolled: 1-line block ×3, first 2 shown]
	v_cvt_pk_f32_fp8_e32 v[50:51], v25
	v_cvt_pk_f32_fp8_sdwa v[24:25], v25 src0_sel:WORD_1
	v_mfma_f32_16x16x16_f16 v[18:21], v[32:33], v[8:9], v[18:21]
	v_pk_mul_f32 v[22:23], v[54:55], v[38:39] op_sel_hi:[0,1]
	v_cvt_pkrtz_f16_f32 v32, v50, v51
	v_cvt_pkrtz_f16_f32 v33, v24, v25
	v_mfma_f32_16x16x16_f16 v[38:41], v[40:41], v[2:3], v[18:21]
	s_waitcnt vmcnt(3)
	v_cvt_pk_f32_fp8_sdwa v[24:25], v10 src0_sel:WORD_1
	s_nop 0
	v_cvt_pk_f32_fp8_e32 v[18:19], v10
	v_mfma_f32_16x16x16_f16 v[50:53], v[32:33], v[4:5], v[38:41]
	v_cvt_pk_f32_fp8_e32 v[32:33], v11
	v_cvt_pk_f32_fp8_sdwa v[10:11], v11 src0_sel:WORD_1
	v_cvt_pkrtz_f16_f32 v18, v18, v19
	v_cvt_pkrtz_f16_f32 v19, v24, v25
	;; [unrolled: 1-line block ×3, first 2 shown]
	v_cvt_pk_f32_fp8_e32 v[32:33], v12
	v_cvt_pk_f32_fp8_sdwa v[40:41], v12 src0_sel:WORD_1
	v_cvt_pkrtz_f16_f32 v25, v10, v11
	v_pk_mul_f32 v[20:21], v[54:55], v[36:37] op_sel_hi:[0,1]
	v_mfma_f32_16x16x16_f16 v[36:39], v[18:19], v[6:7], 0
	v_cvt_pkrtz_f16_f32 v10, v32, v33
	v_cvt_pkrtz_f16_f32 v11, v40, v41
	v_cvt_pk_f32_fp8_e32 v[18:19], v13
	v_cvt_pk_f32_fp8_sdwa v[12:13], v13 src0_sel:WORD_1
	v_mfma_f32_16x16x16_f16 v[6:9], v[24:25], v[8:9], v[36:39]
	v_pk_mul_f32 v[40:41], v[54:55], v[46:47] op_sel_hi:[0,1]
	v_cvt_pkrtz_f16_f32 v18, v18, v19
	v_cvt_pkrtz_f16_f32 v19, v12, v13
	v_mfma_f32_16x16x16_f16 v[6:9], v[10:11], v[2:3], v[6:9]
	v_pk_mul_f32 v[36:37], v[54:55], v[48:49] op_sel_hi:[0,1]
	v_pk_mul_f32 v[38:39], v[54:55], v[50:51] op_sel_hi:[0,1]
	;; [unrolled: 1-line block ×3, first 2 shown]
	v_mfma_f32_16x16x16_f16 v[2:5], v[18:19], v[4:5], v[6:9]
	s_nop 6
	v_pk_mul_f32 v[24:25], v[54:55], v[2:3] op_sel_hi:[0,1]
	v_and_b32_e32 v2, 0xc0, v0
	v_add_u32_e32 v2, s5, v2
	v_lshl_or_b32 v2, v42, 2, v2
	v_pk_mul_f32 v[18:19], v[54:55], v[4:5] op_sel_hi:[0,1]
	v_or_b32_e32 v5, 1, v2
	v_mov_b32_e32 v3, 0xff7fffff
	v_cmp_gt_i32_e64 s[4:5], s33, v2
	v_cmp_gt_i32_e64 s[34:35], s33, v5
	v_or_b32_e32 v6, 3, v2
	v_cndmask_b32_e64 v4, v3, v20, s[4:5]
	v_cndmask_b32_e64 v5, v3, v21, s[34:35]
	v_max3_f32 v4, v4, s44, v5
	v_or_b32_e32 v5, 2, v2
	v_cmp_gt_i32_e64 s[36:37], s33, v5
	v_cmp_gt_i32_e64 s[38:39], s33, v6
	s_nop 0
	v_cndmask_b32_e64 v5, v3, v22, s[36:37]
	v_cndmask_b32_e64 v6, v3, v23, s[38:39]
	v_max3_f32 v4, v4, v5, v6
	v_or_b32_e32 v5, 16, v2
	v_or_b32_e32 v6, 17, v2
	v_cmp_gt_i32_e64 s[24:25], s33, v5
	v_cmp_gt_i32_e64 s[26:27], s33, v6
	s_nop 0
	v_cndmask_b32_e64 v5, v3, v40, s[24:25]
	v_cndmask_b32_e64 v6, v3, v41, s[26:27]
	v_max3_f32 v4, v4, v5, v6
	v_or_b32_e32 v5, 18, v2
	;; [unrolled: 8-line block ×6, first 2 shown]
	v_or_b32_e32 v2, 51, v2
	v_cmp_gt_i32_e32 vcc, s33, v5
	v_cmp_gt_i32_e64 s[6:7], s33, v2
	s_nop 0
	v_cndmask_b32_e32 v5, v3, v18, vcc
	v_cndmask_b32_e64 v2, v3, v19, s[6:7]
	v_max3_f32 v4, v4, v5, v2
	v_mbcnt_lo_u32_b32 v2, -1, 0
	v_mbcnt_hi_u32_b32 v5, -1, v2
	v_and_b32_e32 v2, 64, v5
	v_add_u32_e32 v6, 64, v2
	v_xor_b32_e32 v2, 32, v5
	v_cmp_lt_i32_e64 s[40:41], v2, v6
	s_nop 1
	v_cndmask_b32_e64 v2, v5, v2, s[40:41]
	v_lshlrev_b32_e32 v48, 2, v2
	ds_bpermute_b32 v7, v48, v4
	s_waitcnt vmcnt(2)
	v_mad_i64_i32 v[2:3], s[40:41], v16, s45, v[30:31]
	global_load_dwordx4 v[14:17], v[14:15], off
	s_nop 0
	global_load_dwordx4 v[10:13], v[2:3], off
	v_xor_b32_e32 v3, 16, v5
	v_cmp_lt_i32_e64 s[40:41], v3, v6
	s_waitcnt lgkmcnt(0)
	v_max_f32_e32 v2, v7, v7
	v_max_f32_e32 v2, v4, v2
	v_cndmask_b32_e64 v3, v5, v3, s[40:41]
	v_lshlrev_b32_e32 v49, 2, v3
	ds_bpermute_b32 v3, v49, v2
	s_waitcnt vmcnt(3)
	v_mad_i64_i32 v[46:47], s[40:41], v34, s45, v[30:31]
	s_waitcnt vmcnt(2)
	v_mad_i64_i32 v[30:31], s[40:41], v35, s45, v[30:31]
	s_waitcnt lgkmcnt(0)
	v_max_f32_e32 v3, v3, v3
	v_max_f32_e32 v45, v2, v3
	v_sub_f32_e32 v2, v20, v45
	v_mul_f32_e32 v2, 0x3fb8aa3b, v2
	v_exp_f32_e32 v20, v2
	v_sub_f32_e32 v2, v21, v45
	v_mul_f32_e32 v2, 0x3fb8aa3b, v2
	v_exp_f32_e32 v21, v2
	global_load_dwordx4 v[6:9], v[46:47], off
	global_load_dwordx4 v[2:5], v[30:31], off
	v_sub_f32_e32 v22, v22, v45
	v_mul_f32_e32 v22, 0x3fb8aa3b, v22
	v_sub_f32_e32 v23, v23, v45
	v_exp_f32_e32 v22, v22
	v_mul_f32_e32 v23, 0x3fb8aa3b, v23
	v_exp_f32_e32 v23, v23
	v_cndmask_b32_e64 v20, 0, v20, s[4:5]
	v_add_f32_e32 v30, 0, v20
	v_cndmask_b32_e64 v21, 0, v21, s[34:35]
	v_add_f32_e32 v30, v30, v21
	;; [unrolled: 2-line block ×3, first 2 shown]
	v_cndmask_b32_e64 v35, 0, v23, s[38:39]
	v_sub_f32_e32 v23, v40, v45
	v_sub_f32_e32 v30, v41, v45
	v_mul_f32_e32 v23, 0x3fb8aa3b, v23
	v_mul_f32_e32 v30, 0x3fb8aa3b, v30
	v_exp_f32_e32 v23, v23
	v_exp_f32_e32 v30, v30
	v_add_f32_e32 v31, v22, v35
	v_sub_f32_e32 v32, v32, v45
	v_cndmask_b32_e64 v22, 0, v23, s[24:25]
	v_cndmask_b32_e64 v23, 0, v30, s[26:27]
	v_sub_f32_e32 v30, v36, v45
	v_mul_f32_e32 v30, 0x3fb8aa3b, v30
	v_exp_f32_e32 v30, v30
	v_sub_f32_e32 v36, v37, v45
	v_add_f32_e32 v31, v31, v22
	v_mul_f32_e32 v36, 0x3fb8aa3b, v36
	v_exp_f32_e32 v37, v36
	v_add_f32_e32 v31, v31, v23
	v_cndmask_b32_e64 v36, 0, v30, s[20:21]
	v_add_f32_e32 v30, v31, v36
	v_sub_f32_e32 v31, v38, v45
	v_mul_f32_e32 v31, 0x3fb8aa3b, v31
	v_sub_f32_e32 v38, v39, v45
	v_exp_f32_e32 v31, v31
	v_mul_f32_e32 v38, 0x3fb8aa3b, v38
	v_exp_f32_e32 v38, v38
	v_mul_f32_e32 v32, 0x3fb8aa3b, v32
	v_sub_f32_e32 v33, v33, v45
	v_exp_f32_e32 v32, v32
	v_mul_f32_e32 v33, 0x3fb8aa3b, v33
	v_sub_f32_e32 v24, v24, v45
	v_cndmask_b32_e64 v37, 0, v37, s[22:23]
	v_exp_f32_e32 v33, v33
	v_mul_f32_e32 v24, 0x3fb8aa3b, v24
	v_sub_f32_e32 v25, v25, v45
	v_add_f32_e32 v39, v30, v37
	v_cndmask_b32_e64 v30, 0, v31, s[16:17]
	v_exp_f32_e32 v24, v24
	v_mul_f32_e32 v25, 0x3fb8aa3b, v25
	v_sub_f32_e32 v18, v18, v45
	v_add_f32_e32 v39, v39, v30
	;; [unrolled: 5-line block ×3, first 2 shown]
	v_cndmask_b32_e64 v32, 0, v32, s[12:13]
	v_exp_f32_e32 v18, v18
	v_mul_f32_e32 v19, 0x3fb8aa3b, v19
	v_add_f32_e32 v38, v38, v32
	v_cndmask_b32_e64 v33, 0, v33, s[14:15]
	v_exp_f32_e32 v19, v19
	v_add_f32_e32 v38, v38, v33
	v_cndmask_b32_e64 v24, 0, v24, s[8:9]
	v_add_f32_e32 v38, v38, v24
	v_cndmask_b32_e64 v25, 0, v25, s[10:11]
	v_add_f32_e32 v38, v38, v25
	v_cndmask_b32_e32 v18, 0, v18, vcc
	v_add_f32_e32 v38, v38, v18
	v_cndmask_b32_e64 v19, 0, v19, s[6:7]
	v_add_f32_e32 v38, v38, v19
	ds_bpermute_b32 v39, v48, v38
	v_cmp_gt_u32_e32 vcc, 16, v44
	s_waitcnt lgkmcnt(0)
	s_barrier
	v_add_f32_e32 v38, v38, v39
	ds_bpermute_b32 v40, v49, v38
	v_lshlrev_b32_e32 v39, 2, v28
	s_and_saveexec_b64 s[4:5], vcc
	s_cbranch_execz .LBB926_13
; %bb.12:
	s_waitcnt lgkmcnt(0)
	v_add_f32_e32 v38, v38, v40
	v_lshl_or_b32 v40, v29, 6, v39
	ds_write2st64_b32 v40, v45, v38 offset1:1
.LBB926_13:
	s_or_b64 exec, exec, s[4:5]
	s_load_dword s6, s[0:1], 0x94
	s_waitcnt lgkmcnt(0)
	s_barrier
	ds_read2_b32 v[40:41], v39 offset1:16
	ds_read2_b32 v[44:45], v39 offset0:32 offset1:48
	ds_read2_b32 v[46:47], v39 offset0:64 offset1:80
	s_mul_i32 s7, s29, 3
	s_waitcnt lgkmcnt(2)
	v_max3_f32 v38, v40, s44, v41
	s_waitcnt lgkmcnt(1)
	v_max3_f32 v38, v38, v44, v45
	v_sub_f32_e32 v40, v40, v38
	v_mul_f32_e32 v40, 0x3fb8aa3b, v40
	v_exp_f32_e32 v48, v40
	v_sub_f32_e32 v40, v41, v38
	v_mul_f32_e32 v40, 0x3fb8aa3b, v40
	v_exp_f32_e32 v49, v40
	;; [unrolled: 3-line block ×3, first 2 shown]
	ds_read2_b32 v[40:41], v39 offset0:96 offset1:112
	v_sub_f32_e32 v39, v45, v38
	v_mul_f32_e32 v39, 0x3fb8aa3b, v39
	v_exp_f32_e32 v45, v39
	s_waitcnt lgkmcnt(1)
	v_fma_f32 v39, v48, v46, 0
	v_fmac_f32_e32 v39, v49, v47
	s_waitcnt lgkmcnt(0)
	v_fmac_f32_e32 v39, v44, v40
	v_fmac_f32_e32 v39, v45, v41
	v_add_f32_e32 v40, 0x358637bd, v39
	v_div_scale_f32 v41, s[4:5], v40, v40, 1.0
	v_rcp_f32_e32 v46, v41
	s_barrier
	v_fma_f32 v47, -v41, v46, 1.0
	v_fmac_f32_e32 v46, v47, v46
	v_div_scale_f32 v47, vcc, 1.0, v40, 1.0
	v_mul_f32_e32 v50, v47, v46
	v_fma_f32 v51, -v41, v50, v47
	v_fmac_f32_e32 v50, v51, v46
	v_fma_f32 v41, -v41, v50, v47
	v_div_fmas_f32 v41, v41, v46, v50
	v_cmp_eq_u32_e32 vcc, 1, v29
	v_div_fixup_f32 v40, v41, v40, 1.0
	s_nop 0
	v_cndmask_b32_e32 v41, v48, v49, vcc
	v_cmp_eq_u32_e32 vcc, 2, v29
	s_nop 1
	v_cndmask_b32_e32 v41, v41, v44, vcc
	v_cmp_eq_u32_e32 vcc, 3, v29
	s_nop 1
	v_cndmask_b32_e32 v41, v41, v45, vcc
	v_mul_f32_e32 v40, v41, v40
	v_pk_mul_f32 v[34:35], v[40:41], v[34:35] op_sel_hi:[0,1]
	v_pk_mul_f32 v[20:21], v[40:41], v[20:21] op_sel_hi:[0,1]
	v_cvt_f16_f32_e32 v41, v34
	v_cvt_f16_f32_e32 v35, v35
	;; [unrolled: 1-line block ×4, first 2 shown]
	v_cmp_gt_u32_e32 vcc, 3, v0
	v_pack_b32_f16 v35, v41, v35
	v_lshlrev_b32_e32 v41, 3, v42
	v_pack_b32_f16 v34, v20, v21
	v_pk_mul_f32 v[20:21], v[40:41], v[36:37] op_sel_hi:[0,1]
	v_pk_mul_f32 v[22:23], v[40:41], v[22:23] op_sel_hi:[0,1]
	v_cvt_f16_f32_e32 v22, v22
	v_cvt_f16_f32_e32 v23, v23
	v_cvt_f16_f32_e32 v36, v20
	v_cvt_f16_f32_e32 v21, v21
	v_lshlrev_b32_e32 v20, 11, v29
	v_or3_b32 v20, v20, v27, v41
	v_pack_b32_f16 v22, v22, v23
	v_pack_b32_f16 v23, v36, v21
	ds_write2st64_b64 v20, v[34:35], v[22:23] offset1:1
	v_pk_mul_f32 v[22:23], v[40:41], v[32:33] op_sel_hi:[0,1]
	v_pk_mul_f32 v[30:31], v[40:41], v[30:31] op_sel_hi:[0,1]
	v_cvt_f16_f32_e32 v21, v30
	v_cvt_f16_f32_e32 v29, v31
	;; [unrolled: 1-line block ×4, first 2 shown]
	v_pk_mul_f32 v[18:19], v[40:41], v[18:19] op_sel_hi:[0,1]
	v_pk_mul_f32 v[22:23], v[40:41], v[24:25] op_sel_hi:[0,1]
	v_cvt_f16_f32_e32 v22, v22
	v_cvt_f16_f32_e32 v23, v23
	;; [unrolled: 1-line block ×4, first 2 shown]
	v_pack_b32_f16 v18, v21, v29
	v_pack_b32_f16 v19, v30, v31
	;; [unrolled: 1-line block ×4, first 2 shown]
	ds_write2st64_b64 v20, v[18:19], v[22:23] offset0:2 offset1:3
	s_and_saveexec_b64 s[4:5], vcc
	s_cbranch_execz .LBB926_15
; %bb.14:
	s_mov_b32 s49, 0
	v_mov_b32_e32 v29, 0
	v_lshl_add_u64 v[18:19], s[48:49], 0, v[28:29]
	v_mov_b32_e32 v21, s7
	v_mad_u64_u32 v[18:19], s[12:13], s2, v21, v[18:19]
	s_mul_i32 s3, s3, s7
	v_mov_b32_e32 v28, s28
	s_load_dwordx4 s[8:11], s[0:1], 0x58
	v_add_u32_e32 v21, s3, v19
	v_mad_u64_u32 v[18:19], s[12:13], v18, s6, v[28:29]
	v_mov_b32_e32 v22, v19
	v_mad_u64_u32 v[22:23], s[12:13], v21, s6, v[22:23]
	v_mov_b32_e32 v19, v22
	v_lshlrev_b64 v[18:19], 2, v[18:19]
	s_waitcnt lgkmcnt(0)
	v_lshl_add_u64 v[22:23], s[10:11], 0, v[18:19]
	v_lshl_add_u64 v[18:19], s[8:9], 0, v[18:19]
	global_store_dword v[22:23], v38, off
	global_store_dword v[18:19], v39, off
.LBB926_15:
	s_or_b64 exec, exec, s[4:5]
	s_waitcnt vmcnt(3)
	v_cvt_pk_f32_fp8_e32 v[18:19], v14
	v_cvt_pk_f32_fp8_sdwa v[22:23], v14 src0_sel:WORD_1
	v_cvt_pk_f32_fp8_e32 v[24:25], v15
	v_lshl_or_b32 v14, v42, 9, v27
	s_waitcnt lgkmcnt(0)
	s_barrier
	v_cvt_pkrtz_f16_f32 v18, v18, v19
	v_cvt_pkrtz_f16_f32 v19, v22, v23
	v_cvt_pk_f32_fp8_sdwa v[28:29], v15 src0_sel:WORD_1
	v_cvt_pkrtz_f16_f32 v36, v24, v25
	ds_read_b128 v[22:25], v14
	v_cvt_pk_f32_fp8_e32 v[38:39], v16
	v_cvt_pkrtz_f16_f32 v37, v28, v29
	ds_read_b128 v[28:31], v14 offset:16
	v_cvt_pk_f32_fp8_sdwa v[40:41], v16 src0_sel:WORD_1
	s_waitcnt lgkmcnt(1)
	v_mfma_f32_16x16x16_f16 v[32:35], v[18:19], v[22:23], 0
	v_cvt_pkrtz_f16_f32 v18, v38, v39
	v_cvt_pk_f32_fp8_e32 v[38:39], v17
	v_cvt_pkrtz_f16_f32 v19, v40, v41
	v_mfma_f32_16x16x16_f16 v[22:25], v[36:37], v[24:25], v[32:35]
	s_waitcnt vmcnt(2)
	v_cvt_pk_f32_fp8_sdwa v[36:37], v12 src0_sel:WORD_1
	s_load_dword s4, s[42:43], 0x0
	v_cmp_gt_u32_e32 vcc, 64, v0
	v_cvt_pk_f32_fp8_sdwa v[32:33], v17 src0_sel:WORD_1
	v_cvt_pkrtz_f16_f32 v34, v38, v39
	s_waitcnt lgkmcnt(0)
	v_mfma_f32_16x16x16_f16 v[16:19], v[18:19], v[28:29], v[22:25]
	v_cvt_pk_f32_fp8_e32 v[28:29], v11
	v_cvt_pkrtz_f16_f32 v35, v32, v33
	s_mov_b32 s3, 0
	v_cvt_pk_f32_fp8_e32 v[22:23], v10
	v_cvt_pk_f32_fp8_sdwa v[24:25], v10 src0_sel:WORD_1
	v_mfma_f32_16x16x16_f16 v[16:19], v[34:35], v[30:31], v[16:19]
	v_cvt_pkrtz_f16_f32 v10, v22, v23
	v_cvt_pk_f32_fp8_sdwa v[30:31], v11 src0_sel:WORD_1
	v_cvt_pkrtz_f16_f32 v11, v24, v25
	ds_read_b128 v[22:25], v14 offset:2048
	v_cvt_pkrtz_f16_f32 v32, v28, v29
	v_cvt_pkrtz_f16_f32 v33, v30, v31
	ds_read_b128 v[28:31], v14 offset:2064
	v_cvt_pk_f32_fp8_e32 v[34:35], v12
	s_waitcnt lgkmcnt(1)
	v_mfma_f32_16x16x16_f16 v[16:19], v[10:11], v[22:23], v[16:19]
	v_cvt_pkrtz_f16_f32 v11, v36, v37
	v_cvt_pk_f32_fp8_e32 v[22:23], v13
	v_cvt_pkrtz_f16_f32 v10, v34, v35
	v_mfma_f32_16x16x16_f16 v[16:19], v[32:33], v[24:25], v[16:19]
	v_cvt_pk_f32_fp8_sdwa v[24:25], v13 src0_sel:WORD_1
	v_cvt_pkrtz_f16_f32 v22, v22, v23
	s_waitcnt vmcnt(1)
	v_cvt_pk_f32_fp8_sdwa v[32:33], v8 src0_sel:WORD_1
	s_waitcnt lgkmcnt(0)
	v_mfma_f32_16x16x16_f16 v[10:13], v[10:11], v[28:29], v[16:19]
	v_cvt_pkrtz_f16_f32 v23, v24, v25
	v_cvt_pk_f32_fp8_sdwa v[24:25], v7 src0_sel:WORD_1
	v_mov_b32_e32 v27, 0
	v_cvt_pk_f32_fp8_e32 v[16:17], v6
	v_cvt_pk_f32_fp8_sdwa v[18:19], v6 src0_sel:WORD_1
	v_mfma_f32_16x16x16_f16 v[10:13], v[22:23], v[30:31], v[10:13]
	v_cvt_pk_f32_fp8_e32 v[22:23], v7
	v_cvt_pkrtz_f16_f32 v6, v16, v17
	v_cvt_pkrtz_f16_f32 v7, v18, v19
	ds_read_b128 v[16:19], v14 offset:4096
	v_cvt_pkrtz_f16_f32 v28, v22, v23
	v_cvt_pkrtz_f16_f32 v29, v24, v25
	ds_read_b128 v[22:25], v14 offset:4112
	v_cvt_pk_f32_fp8_e32 v[30:31], v8
	s_waitcnt lgkmcnt(1)
	v_mfma_f32_16x16x16_f16 v[10:13], v[6:7], v[16:17], v[10:13]
	v_cvt_pkrtz_f16_f32 v7, v32, v33
	v_cvt_pk_f32_fp8_e32 v[16:17], v9
	v_cvt_pkrtz_f16_f32 v6, v30, v31
	v_mfma_f32_16x16x16_f16 v[10:13], v[28:29], v[18:19], v[10:13]
	v_cvt_pk_f32_fp8_sdwa v[18:19], v9 src0_sel:WORD_1
	v_cvt_pkrtz_f16_f32 v16, v16, v17
	v_cvt_pkrtz_f16_f32 v17, v18, v19
	s_waitcnt lgkmcnt(0)
	v_mfma_f32_16x16x16_f16 v[6:9], v[6:7], v[22:23], v[10:13]
	s_waitcnt vmcnt(0)
	v_cvt_pk_f32_fp8_sdwa v[18:19], v3 src0_sel:WORD_1
	s_nop 0
	v_cvt_pkrtz_f16_f32 v23, v18, v19
	v_cvt_pk_f32_fp8_e32 v[10:11], v2
	v_cvt_pk_f32_fp8_sdwa v[12:13], v2 src0_sel:WORD_1
	v_mfma_f32_16x16x16_f16 v[6:9], v[16:17], v[24:25], v[6:9]
	v_cvt_pk_f32_fp8_e32 v[16:17], v3
	v_cvt_pkrtz_f16_f32 v2, v10, v11
	v_cvt_pkrtz_f16_f32 v3, v12, v13
	ds_read_b128 v[10:13], v14 offset:6144
	v_cvt_pkrtz_f16_f32 v22, v16, v17
	v_cvt_pk_f32_fp8_e32 v[18:19], v4
	v_cvt_pk_f32_fp8_sdwa v[24:25], v4 src0_sel:WORD_1
	s_waitcnt lgkmcnt(0)
	v_mfma_f32_16x16x16_f16 v[6:9], v[2:3], v[10:11], v[6:9]
	ds_read_b128 v[14:17], v14 offset:6160
	v_cvt_pkrtz_f16_f32 v2, v18, v19
	v_cvt_pkrtz_f16_f32 v3, v24, v25
	v_cvt_pk_f32_fp8_e32 v[10:11], v5
	v_mfma_f32_16x16x16_f16 v[6:9], v[22:23], v[12:13], v[6:9]
	v_cvt_pk_f32_fp8_sdwa v[12:13], v5 src0_sel:WORD_1
	s_waitcnt lgkmcnt(0)
	v_cvt_pkrtz_f16_f32 v10, v10, v11
	v_mfma_f32_16x16x16_f16 v[2:5], v[2:3], v[14:15], v[6:9]
	v_cvt_pkrtz_f16_f32 v11, v12, v13
	s_barrier
	s_nop 0
	v_mfma_f32_16x16x16_f16 v[2:5], v[10:11], v[16:17], v[2:5]
	s_nop 6
	v_pk_mul_f32 v[4:5], v[4:5], s[4:5] op_sel_hi:[1,0]
	v_pk_mul_f32 v[2:3], v[2:3], s[4:5] op_sel_hi:[1,0]
	v_cvt_f16_f32_e32 v4, v4
	v_cvt_f16_f32_e32 v2, v2
	;; [unrolled: 1-line block ×4, first 2 shown]
	v_cmp_ne_u32_e64 s[4:5], 3, v42
	s_and_b64 s[4:5], s[4:5], vcc
	v_pack_b32_f16 v2, v2, v3
	v_pack_b32_f16 v3, v4, v5
	s_and_b64 s[4:5], s[4:5], s[30:31]
	ds_write_b64 v20, v[2:3]
	s_waitcnt lgkmcnt(0)
	s_barrier
	s_and_saveexec_b64 s[8:9], s[4:5]
	s_cbranch_execz .LBB926_17
; %bb.16:
	s_load_dwordx2 s[0:1], s[0:1], 0x68
	s_mul_i32 s2, s7, s2
	s_lshl_b32 s6, s6, 6
	s_mul_hi_u32 s5, s2, s6
	s_mul_i32 s4, s2, s6
	v_lshlrev_b32_e32 v0, 10, v0
	s_lshl_b64 s[4:5], s[4:5], 1
	v_and_b32_e32 v0, 0x1800, v0
	v_lshlrev_b32_e32 v2, 5, v42
	v_and_b32_e32 v3, 16, v43
	s_waitcnt lgkmcnt(0)
	s_add_u32 s4, s0, s4
	v_or3_b32 v0, v0, v2, v3
	s_addc_u32 s5, s1, s5
	s_lshl_b32 s2, s28, 6
	ds_read_b128 v[2:5], v0
	s_lshl_b64 s[0:1], s[2:3], 1
	s_add_u32 s0, s4, s0
	s_addc_u32 s1, s5, s1
	v_mad_u64_u32 v[0:1], s[2:3], s6, v1, 0
	v_lshl_add_u64 v[0:1], v[0:1], 1, s[0:1]
	v_lshl_add_u64 v[0:1], v[0:1], 0, v[26:27]
	s_waitcnt lgkmcnt(0)
	global_store_dwordx4 v[0:1], v[2:5], off
.LBB926_17:
	s_endpgm
	.section	.rodata,"a",@progbits
	.p2align	6, 0x0
	.amdhsa_kernel _Z39paged_attention_ll4mi_QKV_mfma16_kernelIDF16_hLN4vllm18Fp8KVCacheDataTypeE1EDF16_Li32ELi64ELi256ELb0ELi3EEvPKT_PKT0_S7_ifPKiS9_S9_iPKfiiiPfSC_PS2_PT2_iSB_SB_
		.amdhsa_group_segment_fixed_size 8192
		.amdhsa_private_segment_fixed_size 0
		.amdhsa_kernarg_size 400
		.amdhsa_user_sgpr_count 2
		.amdhsa_user_sgpr_dispatch_ptr 0
		.amdhsa_user_sgpr_queue_ptr 0
		.amdhsa_user_sgpr_kernarg_segment_ptr 1
		.amdhsa_user_sgpr_dispatch_id 0
		.amdhsa_user_sgpr_kernarg_preload_length 0
		.amdhsa_user_sgpr_kernarg_preload_offset 0
		.amdhsa_user_sgpr_private_segment_size 0
		.amdhsa_uses_dynamic_stack 0
		.amdhsa_enable_private_segment 0
		.amdhsa_system_sgpr_workgroup_id_x 1
		.amdhsa_system_sgpr_workgroup_id_y 1
		.amdhsa_system_sgpr_workgroup_id_z 1
		.amdhsa_system_sgpr_workgroup_info 0
		.amdhsa_system_vgpr_workitem_id 0
		.amdhsa_next_free_vgpr 56
		.amdhsa_next_free_sgpr 50
		.amdhsa_accum_offset 56
		.amdhsa_reserve_vcc 1
		.amdhsa_float_round_mode_32 0
		.amdhsa_float_round_mode_16_64 0
		.amdhsa_float_denorm_mode_32 3
		.amdhsa_float_denorm_mode_16_64 3
		.amdhsa_dx10_clamp 1
		.amdhsa_ieee_mode 1
		.amdhsa_fp16_overflow 0
		.amdhsa_tg_split 0
		.amdhsa_exception_fp_ieee_invalid_op 0
		.amdhsa_exception_fp_denorm_src 0
		.amdhsa_exception_fp_ieee_div_zero 0
		.amdhsa_exception_fp_ieee_overflow 0
		.amdhsa_exception_fp_ieee_underflow 0
		.amdhsa_exception_fp_ieee_inexact 0
		.amdhsa_exception_int_div_zero 0
	.end_amdhsa_kernel
	.section	.text._Z39paged_attention_ll4mi_QKV_mfma16_kernelIDF16_hLN4vllm18Fp8KVCacheDataTypeE1EDF16_Li32ELi64ELi256ELb0ELi3EEvPKT_PKT0_S7_ifPKiS9_S9_iPKfiiiPfSC_PS2_PT2_iSB_SB_,"axG",@progbits,_Z39paged_attention_ll4mi_QKV_mfma16_kernelIDF16_hLN4vllm18Fp8KVCacheDataTypeE1EDF16_Li32ELi64ELi256ELb0ELi3EEvPKT_PKT0_S7_ifPKiS9_S9_iPKfiiiPfSC_PS2_PT2_iSB_SB_,comdat
.Lfunc_end926:
	.size	_Z39paged_attention_ll4mi_QKV_mfma16_kernelIDF16_hLN4vllm18Fp8KVCacheDataTypeE1EDF16_Li32ELi64ELi256ELb0ELi3EEvPKT_PKT0_S7_ifPKiS9_S9_iPKfiiiPfSC_PS2_PT2_iSB_SB_, .Lfunc_end926-_Z39paged_attention_ll4mi_QKV_mfma16_kernelIDF16_hLN4vllm18Fp8KVCacheDataTypeE1EDF16_Li32ELi64ELi256ELb0ELi3EEvPKT_PKT0_S7_ifPKiS9_S9_iPKfiiiPfSC_PS2_PT2_iSB_SB_
                                        ; -- End function
	.section	.AMDGPU.csdata,"",@progbits
; Kernel info:
; codeLenInByte = 4636
; NumSgprs: 56
; NumVgprs: 56
; NumAgprs: 0
; TotalNumVgprs: 56
; ScratchSize: 0
; MemoryBound: 0
; FloatMode: 240
; IeeeMode: 1
; LDSByteSize: 8192 bytes/workgroup (compile time only)
; SGPRBlocks: 6
; VGPRBlocks: 6
; NumSGPRsForWavesPerEU: 56
; NumVGPRsForWavesPerEU: 56
; AccumOffset: 56
; Occupancy: 8
; WaveLimiterHint : 1
; COMPUTE_PGM_RSRC2:SCRATCH_EN: 0
; COMPUTE_PGM_RSRC2:USER_SGPR: 2
; COMPUTE_PGM_RSRC2:TRAP_HANDLER: 0
; COMPUTE_PGM_RSRC2:TGID_X_EN: 1
; COMPUTE_PGM_RSRC2:TGID_Y_EN: 1
; COMPUTE_PGM_RSRC2:TGID_Z_EN: 1
; COMPUTE_PGM_RSRC2:TIDIG_COMP_CNT: 0
; COMPUTE_PGM_RSRC3_GFX90A:ACCUM_OFFSET: 13
; COMPUTE_PGM_RSRC3_GFX90A:TG_SPLIT: 0
	.section	.text._Z39paged_attention_ll4mi_QKV_mfma16_kernelIDF16_hLN4vllm18Fp8KVCacheDataTypeE1EDF16_Li32ELi64ELi256ELb0ELi4EEvPKT_PKT0_S7_ifPKiS9_S9_iPKfiiiPfSC_PS2_PT2_iSB_SB_,"axG",@progbits,_Z39paged_attention_ll4mi_QKV_mfma16_kernelIDF16_hLN4vllm18Fp8KVCacheDataTypeE1EDF16_Li32ELi64ELi256ELb0ELi4EEvPKT_PKT0_S7_ifPKiS9_S9_iPKfiiiPfSC_PS2_PT2_iSB_SB_,comdat
	.protected	_Z39paged_attention_ll4mi_QKV_mfma16_kernelIDF16_hLN4vllm18Fp8KVCacheDataTypeE1EDF16_Li32ELi64ELi256ELb0ELi4EEvPKT_PKT0_S7_ifPKiS9_S9_iPKfiiiPfSC_PS2_PT2_iSB_SB_ ; -- Begin function _Z39paged_attention_ll4mi_QKV_mfma16_kernelIDF16_hLN4vllm18Fp8KVCacheDataTypeE1EDF16_Li32ELi64ELi256ELb0ELi4EEvPKT_PKT0_S7_ifPKiS9_S9_iPKfiiiPfSC_PS2_PT2_iSB_SB_
	.globl	_Z39paged_attention_ll4mi_QKV_mfma16_kernelIDF16_hLN4vllm18Fp8KVCacheDataTypeE1EDF16_Li32ELi64ELi256ELb0ELi4EEvPKT_PKT0_S7_ifPKiS9_S9_iPKfiiiPfSC_PS2_PT2_iSB_SB_
	.p2align	8
	.type	_Z39paged_attention_ll4mi_QKV_mfma16_kernelIDF16_hLN4vllm18Fp8KVCacheDataTypeE1EDF16_Li32ELi64ELi256ELb0ELi4EEvPKT_PKT0_S7_ifPKiS9_S9_iPKfiiiPfSC_PS2_PT2_iSB_SB_,@function
_Z39paged_attention_ll4mi_QKV_mfma16_kernelIDF16_hLN4vllm18Fp8KVCacheDataTypeE1EDF16_Li32ELi64ELi256ELb0ELi4EEvPKT_PKT0_S7_ifPKiS9_S9_iPKfiiiPfSC_PS2_PT2_iSB_SB_: ; @_Z39paged_attention_ll4mi_QKV_mfma16_kernelIDF16_hLN4vllm18Fp8KVCacheDataTypeE1EDF16_Li32ELi64ELi256ELb0ELi4EEvPKT_PKT0_S7_ifPKiS9_S9_iPKfiiiPfSC_PS2_PT2_iSB_SB_
; %bb.0:
	s_load_dwordx2 s[6:7], s[0:1], 0x30
	s_mov_b32 s22, s3
	s_mov_b64 s[8:9], 0
	s_waitcnt lgkmcnt(0)
	s_cmp_lg_u64 s[6:7], 0
	s_cselect_b64 s[14:15], -1, 0
	s_and_b64 vcc, exec, s[14:15]
	s_cbranch_vccz .LBB927_7
; %bb.1:
	s_add_i32 s10, s2, 1
	s_mov_b32 s11, 0
	s_lshl_b64 s[12:13], s[10:11], 2
	s_add_u32 s12, s6, s12
	s_mov_b32 s3, s11
	s_addc_u32 s13, s7, s13
	s_lshl_b64 s[10:11], s[2:3], 2
	s_add_u32 s10, s6, s10
	s_addc_u32 s11, s7, s11
	s_load_dword s5, s[12:13], 0x0
	s_load_dword s16, s[10:11], 0x0
	s_waitcnt lgkmcnt(0)
	s_sub_i32 s5, s5, s16
	s_cmp_eq_u32 s5, 1
	s_cselect_b64 s[10:11], -1, 0
	s_andn2_b64 vcc, exec, s[8:9]
	s_cbranch_vccnz .LBB927_3
.LBB927_2:
	s_mov_b32 s3, 0
	s_mov_b64 s[10:11], -1
.LBB927_3:
	s_andn2_b64 vcc, exec, s[10:11]
	s_cbranch_vccnz .LBB927_17
; %bb.4:
	s_load_dwordx2 s[8:9], s[0:1], 0x28
	s_lshl_b64 s[16:17], s[2:3], 2
	s_waitcnt lgkmcnt(0)
	s_add_u32 s8, s8, s16
	s_addc_u32 s9, s9, s17
	s_load_dword s5, s[8:9], 0x0
	s_lshl_b32 s18, s22, 8
	s_waitcnt lgkmcnt(0)
	s_cmp_ge_i32 s18, s5
	s_cbranch_scc1 .LBB927_17
; %bb.5:
	s_load_dwordx2 s[8:9], s[0:1], 0x20
	s_load_dword s10, s[0:1], 0x38
	s_add_i32 s11, s5, 31
	s_ashr_i32 s12, s11, 31
	v_and_b32_e32 v1, 0xcf, v0
	s_lshr_b32 s12, s12, 27
	v_add_u32_e32 v1, s18, v1
	s_add_i32 s11, s11, s12
	v_ashrrev_i32_e32 v2, 31, v1
	s_ashr_i32 s19, s11, 5
	v_lshrrev_b32_e32 v4, 27, v2
	s_add_i32 s19, s19, -1
	s_waitcnt lgkmcnt(0)
	s_mul_i32 s10, s2, s10
	s_mov_b32 s11, 0
	v_add_u32_e32 v2, v1, v4
	s_lshl_b64 s[10:11], s[10:11], 2
	v_ashrrev_i32_e32 v2, 5, v2
	v_mov_b32_e32 v5, s19
	v_cmp_gt_i32_e32 vcc, s5, v1
	s_add_u32 s12, s8, s10
	s_addc_u32 s13, s9, s11
	v_cndmask_b32_e32 v2, v5, v2, vcc
	v_ashrrev_i32_e32 v3, 31, v2
	v_lshl_add_u64 v[6:7], v[2:3], 2, s[12:13]
	v_or_b32_e32 v2, 16, v1
	v_add_u32_e32 v3, v2, v4
	v_ashrrev_i32_e32 v3, 5, v3
	v_cmp_gt_i32_e32 vcc, s5, v2
	s_load_dwordx4 s[8:11], s[0:1], 0x8
	s_nop 0
	v_cndmask_b32_e32 v2, v5, v3, vcc
	v_ashrrev_i32_e32 v3, 31, v2
	v_lshl_add_u64 v[8:9], v[2:3], 2, s[12:13]
	v_or_b32_e32 v2, 32, v1
	v_add_u32_e32 v3, v2, v4
	v_ashrrev_i32_e32 v3, 5, v3
	v_cmp_gt_i32_e32 vcc, s5, v2
	v_or_b32_e32 v1, 48, v1
	s_nop 0
	v_cndmask_b32_e32 v2, v5, v3, vcc
	v_ashrrev_i32_e32 v3, 31, v2
	v_lshl_add_u64 v[10:11], v[2:3], 2, s[12:13]
	v_add_u32_e32 v2, v1, v4
	v_ashrrev_i32_e32 v2, 5, v2
	v_cmp_gt_i32_e32 vcc, s5, v1
	s_nop 1
	v_cndmask_b32_e32 v2, v5, v2, vcc
	v_ashrrev_i32_e32 v3, 31, v2
	v_lshl_add_u64 v[12:13], v[2:3], 2, s[12:13]
	global_load_dword v2, v[6:7], off
	global_load_dword v5, v[8:9], off
	;; [unrolled: 1-line block ×4, first 2 shown]
	s_andn2_b64 vcc, exec, s[14:15]
	s_cbranch_vccnz .LBB927_8
; %bb.6:
	s_add_u32 s6, s6, s16
	s_addc_u32 s7, s7, s17
	s_load_dword s14, s[6:7], 0x0
	s_branch .LBB927_9
.LBB927_7:
	s_mov_b64 s[10:11], 0
	s_branch .LBB927_2
.LBB927_8:
	s_mov_b32 s14, s2
.LBB927_9:
	s_load_dwordx4 s[44:47], s[0:1], 0x48
	v_and_b32_e32 v45, 15, v0
	v_bfe_u32 v42, v0, 4, 2
	s_lshl_b32 s23, s4, 2
	v_lshlrev_b32_e32 v3, 3, v45
	v_cmp_gt_u32_e32 vcc, 64, v0
	v_cmp_gt_u32_e64 s[6:7], 8, v45
	v_lshrrev_b32_e32 v43, 6, v0
	v_and_b32_e32 v44, 63, v0
	v_or_b32_e32 v1, s23, v42
	s_and_b64 s[48:49], vcc, s[6:7]
	v_lshlrev_b32_e32 v26, 1, v3
	v_lshlrev_b32_e32 v40, 5, v42
	;; [unrolled: 1-line block ×3, first 2 shown]
	s_and_saveexec_b64 s[6:7], s[48:49]
	s_cbranch_execz .LBB927_11
; %bb.10:
	s_load_dwordx2 s[16:17], s[0:1], 0x0
	s_waitcnt lgkmcnt(0)
	s_ashr_i32 s15, s44, 31
	s_mul_hi_u32 s20, s14, s44
	s_mul_i32 s15, s14, s15
	s_add_i32 s15, s20, s15
	s_mul_i32 s14, s14, s44
	s_lshl_b64 s[14:15], s[14:15], 1
	s_add_u32 s14, s16, s14
	v_lshlrev_b32_e32 v6, 6, v1
	s_addc_u32 s15, s17, s15
	v_ashrrev_i32_e32 v7, 31, v6
	v_lshl_add_u64 v[6:7], v[6:7], 1, s[14:15]
	v_mov_b32_e32 v27, 0
	v_lshl_add_u64 v[6:7], v[6:7], 0, v[26:27]
	global_load_dwordx4 v[6:9], v[6:7], off
	v_lshlrev_b32_e32 v11, 8, v45
	v_lshl_or_b32 v3, v43, 7, v40
	v_and_b32_e32 v10, 16, v41
	v_and_b32_e32 v11, 0xe00, v11
	v_or3_b32 v3, v11, v3, v10
	s_waitcnt vmcnt(0)
	ds_write_b128 v3, v[6:9]
.LBB927_11:
	s_or_b64 exec, exec, s[6:7]
	s_waitcnt lgkmcnt(0)
	s_mul_i32 s4, s4, s46
	s_add_u32 s6, s8, s4
	s_addc_u32 s7, s9, 0
	v_mov_b32_e32 v29, 0
	v_mov_b64_e32 v[14:15], s[6:7]
	v_and_b32_e32 v8, 48, v0
	s_waitcnt vmcnt(3)
	v_mad_i64_i32 v[6:7], s[6:7], v2, s45, v[14:15]
	v_lshlrev_b32_e32 v2, 4, v45
	v_mov_b32_e32 v3, v29
	v_lshlrev_b32_e32 v28, 5, v8
	v_lshl_add_u64 v[6:7], v[6:7], 0, v[2:3]
	v_lshl_add_u64 v[6:7], v[6:7], 0, v[28:29]
	s_load_dword s33, s[0:1], 0x98
	s_load_dwordx4 s[40:43], s[0:1], 0x80
	s_waitcnt lgkmcnt(0)
	s_barrier
	global_load_dwordx4 v[18:21], v[6:7], off
	s_waitcnt vmcnt(3)
	v_mad_i64_i32 v[6:7], s[6:7], v5, s45, v[14:15]
	v_or_b32_e32 v16, 0x100, v2
	v_mov_b32_e32 v17, v29
	v_lshl_add_u64 v[6:7], v[6:7], 0, v[16:17]
	v_lshl_add_u64 v[6:7], v[6:7], 0, v[28:29]
	global_load_dwordx4 v[10:13], v[6:7], off
	s_ashr_i32 s6, s18, 31
	v_or_b32_e32 v8, s18, v8
	s_lshr_b32 s8, s6, 27
	v_add_u32_e32 v5, s8, v8
	v_ashrrev_i32_e32 v5, 5, v5
	v_mov_b32_e32 v31, s19
	v_cmp_gt_i32_e32 vcc, s5, v8
	v_or_b32_e32 v33, 64, v8
	v_or_b32_e32 v34, 0x80, v8
	v_cndmask_b32_e32 v6, v31, v5, vcc
	v_and_b32_e32 v5, 3, v0
	v_lshlrev_b32_e32 v5, 5, v5
	v_lshl_or_b32 v32, v42, 9, v5
	s_waitcnt vmcnt(3)
	v_mad_i64_i32 v[4:5], s[6:7], v4, s45, v[14:15]
	v_lshl_add_u64 v[2:3], v[4:5], 0, v[2:3]
	v_lshl_add_u64 v[2:3], v[2:3], 0, v[28:29]
	global_load_dwordx4 v[22:25], v[2:3], off
	v_ashrrev_i32_e32 v7, 31, v6
	v_lshl_add_u64 v[6:7], v[6:7], 2, s[12:13]
	s_waitcnt vmcnt(3)
	v_mad_i64_i32 v[14:15], s[6:7], v30, s45, v[14:15]
	v_add_u32_e32 v30, s8, v33
	global_load_dword v49, v[6:7], off
	v_or_b32_e32 v35, 0xc0, v8
	ds_read_b128 v[6:9], v32
	ds_read_b128 v[2:5], v32 offset:16
	v_add_u32_e32 v32, s8, v34
	v_lshl_add_u64 v[14:15], v[14:15], 0, v[16:17]
	v_ashrrev_i32_e32 v16, 5, v30
	v_cmp_gt_i32_e32 vcc, s5, v33
	v_ashrrev_i32_e32 v17, 5, v32
	v_lshl_add_u64 v[14:15], v[14:15], 0, v[28:29]
	v_cndmask_b32_e32 v30, v31, v16, vcc
	v_cmp_gt_i32_e32 vcc, s5, v34
	v_add_u32_e32 v36, s8, v35
	v_ashrrev_i32_e32 v36, 5, v36
	v_cndmask_b32_e32 v32, v31, v17, vcc
	global_load_dwordx4 v[14:17], v[14:15], off
	v_cmp_gt_i32_e32 vcc, s5, v35
	v_ashrrev_i32_e32 v33, 31, v32
	v_lshl_add_u64 v[32:33], v[32:33], 2, s[12:13]
	v_cndmask_b32_e32 v34, v31, v36, vcc
	v_ashrrev_i32_e32 v31, 31, v30
	v_ashrrev_i32_e32 v35, 31, v34
	v_lshl_add_u64 v[30:31], v[30:31], 2, s[12:13]
	s_add_u32 s6, s10, s4
	s_load_dword s4, s[40:41], 0x0
	v_lshl_add_u64 v[34:35], v[34:35], 2, s[12:13]
	global_load_dword v48, v[30:31], off
	global_load_dword v46, v[32:33], off
	;; [unrolled: 1-line block ×3, first 2 shown]
	v_lshlrev_b32_e32 v27, 5, v45
	s_addc_u32 s7, s11, 0
	v_and_b32_e32 v28, 16, v0
	v_lshl_add_u64 v[36:37], s[6:7], 0, v[28:29]
	v_lshl_or_b32 v28, v43, 9, v27
	v_lshl_add_u64 v[28:29], v[36:37], 0, v[28:29]
	s_load_dword s9, s[0:1], 0x1c
	s_mov_b32 s40, 0xff7fffff
	s_waitcnt vmcnt(7)
	v_cvt_pk_f32_fp8_e32 v[30:31], v18
	v_cvt_pk_f32_fp8_sdwa v[32:33], v18 src0_sel:WORD_1
	v_cvt_pk_f32_fp8_e32 v[34:35], v19
	v_cvt_pk_f32_fp8_sdwa v[18:19], v19 src0_sel:WORD_1
	v_cvt_pkrtz_f16_f32 v30, v30, v31
	v_cvt_pkrtz_f16_f32 v31, v32, v33
	v_cvt_pk_f32_fp8_e32 v[36:37], v20
	v_cvt_pk_f32_fp8_sdwa v[38:39], v20 src0_sel:WORD_1
	v_cvt_pkrtz_f16_f32 v34, v34, v35
	v_cvt_pkrtz_f16_f32 v35, v18, v19
	s_waitcnt lgkmcnt(0)
	v_mfma_f32_16x16x16_f16 v[30:33], v[30:31], v[6:7], 0
	v_cvt_pkrtz_f16_f32 v36, v36, v37
	v_cvt_pkrtz_f16_f32 v37, v38, v39
	v_cvt_pk_f32_fp8_e32 v[50:51], v21
	v_cvt_pk_f32_fp8_sdwa v[52:53], v21 src0_sel:WORD_1
	v_mfma_f32_16x16x16_f16 v[18:21], v[34:35], v[8:9], v[30:33]
	s_waitcnt vmcnt(6)
	v_cvt_pk_f32_fp8_e32 v[34:35], v10
	v_cvt_pkrtz_f16_f32 v38, v50, v51
	v_cvt_pkrtz_f16_f32 v39, v52, v53
	v_mfma_f32_16x16x16_f16 v[30:33], v[36:37], v[2:3], v[18:21]
	v_cvt_pk_f32_fp8_e32 v[36:37], v11
	v_cvt_pkrtz_f16_f32 v34, v34, v35
	v_cvt_pk_f32_fp8_sdwa v[50:51], v12 src0_sel:WORD_1
	v_cvt_pk_f32_fp8_sdwa v[20:21], v10 src0_sel:WORD_1
	;; [unrolled: 1-line block ×3, first 2 shown]
	v_mfma_f32_16x16x16_f16 v[30:33], v[38:39], v[4:5], v[30:33]
	v_cvt_pk_f32_fp8_e32 v[38:39], v12
	v_cvt_pkrtz_f16_f32 v35, v20, v21
	v_cvt_pkrtz_f16_f32 v20, v36, v37
	;; [unrolled: 1-line block ×3, first 2 shown]
	v_mfma_f32_16x16x16_f16 v[34:37], v[34:35], v[6:7], 0
	v_cvt_pkrtz_f16_f32 v38, v38, v39
	v_cvt_pkrtz_f16_f32 v39, v50, v51
	v_cvt_pk_f32_fp8_e32 v[50:51], v13
	v_cvt_pk_f32_fp8_sdwa v[52:53], v13 src0_sel:WORD_1
	v_mfma_f32_16x16x16_f16 v[10:13], v[20:21], v[8:9], v[34:37]
	s_waitcnt vmcnt(4)
	v_mad_i64_i32 v[18:19], s[6:7], v49, s45, v[28:29]
	v_cvt_pkrtz_f16_f32 v20, v50, v51
	v_mov_b32_e32 v34, s9
	v_cvt_pkrtz_f16_f32 v21, v52, v53
	v_mfma_f32_16x16x16_f16 v[10:13], v[38:39], v[2:3], v[10:13]
	v_mul_f32_e32 v54, s4, v34
	v_cvt_pk_f32_fp8_e32 v[34:35], v22
	v_cvt_pk_f32_fp8_sdwa v[36:37], v22 src0_sel:WORD_1
	v_mfma_f32_16x16x16_f16 v[10:13], v[20:21], v[4:5], v[10:13]
	v_cvt_pk_f32_fp8_e32 v[20:21], v23
	v_cvt_pkrtz_f16_f32 v34, v34, v35
	v_cvt_pkrtz_f16_f32 v35, v36, v37
	v_cvt_pk_f32_fp8_sdwa v[22:23], v23 src0_sel:WORD_1
	v_cvt_pkrtz_f16_f32 v36, v20, v21
	v_cvt_pk_f32_fp8_e32 v[38:39], v24
	v_cvt_pk_f32_fp8_sdwa v[50:51], v24 src0_sel:WORD_1
	v_cvt_pkrtz_f16_f32 v37, v22, v23
	v_mfma_f32_16x16x16_f16 v[20:23], v[34:35], v[6:7], 0
	v_cvt_pkrtz_f16_f32 v38, v38, v39
	v_cvt_pkrtz_f16_f32 v39, v50, v51
	v_cvt_pk_f32_fp8_e32 v[50:51], v25
	v_cvt_pk_f32_fp8_sdwa v[24:25], v25 src0_sel:WORD_1
	v_mfma_f32_16x16x16_f16 v[34:37], v[36:37], v[8:9], v[20:23]
	s_nop 2
	v_cvt_pkrtz_f16_f32 v20, v50, v51
	v_cvt_pkrtz_f16_f32 v21, v24, v25
	v_pk_mul_f32 v[22:23], v[54:55], v[32:33] op_sel_hi:[0,1]
	v_mfma_f32_16x16x16_f16 v[34:37], v[38:39], v[2:3], v[34:37]
	v_pk_mul_f32 v[32:33], v[54:55], v[30:31] op_sel_hi:[0,1]
	s_waitcnt vmcnt(3)
	v_cvt_pk_f32_fp8_e32 v[24:25], v14
	v_cvt_pk_f32_fp8_sdwa v[30:31], v14 src0_sel:WORD_1
	v_mfma_f32_16x16x16_f16 v[50:53], v[20:21], v[4:5], v[34:37]
	v_cvt_pk_f32_fp8_e32 v[20:21], v15
	v_cvt_pkrtz_f16_f32 v24, v24, v25
	v_cvt_pkrtz_f16_f32 v25, v30, v31
	v_cvt_pk_f32_fp8_sdwa v[14:15], v15 src0_sel:WORD_1
	v_cvt_pkrtz_f16_f32 v20, v20, v21
	v_cvt_pk_f32_fp8_e32 v[30:31], v16
	v_cvt_pk_f32_fp8_sdwa v[38:39], v16 src0_sel:WORD_1
	v_cvt_pkrtz_f16_f32 v21, v14, v15
	v_mfma_f32_16x16x16_f16 v[34:37], v[24:25], v[6:7], 0
	v_cvt_pkrtz_f16_f32 v14, v30, v31
	v_cvt_pkrtz_f16_f32 v15, v38, v39
	v_cvt_pk_f32_fp8_e32 v[24:25], v17
	v_cvt_pk_f32_fp8_sdwa v[16:17], v17 src0_sel:WORD_1
	v_mfma_f32_16x16x16_f16 v[6:9], v[20:21], v[8:9], v[34:37]
	v_pk_mul_f32 v[38:39], v[54:55], v[10:11] op_sel_hi:[0,1]
	v_pk_mul_f32 v[30:31], v[54:55], v[52:53] op_sel_hi:[0,1]
	s_nop 0
	v_pk_mul_f32 v[34:35], v[54:55], v[12:13] op_sel_hi:[0,1]
	v_cvt_pkrtz_f16_f32 v12, v24, v25
	v_cvt_pkrtz_f16_f32 v13, v16, v17
	v_mfma_f32_16x16x16_f16 v[6:9], v[14:15], v[2:3], v[6:9]
	v_pk_mul_f32 v[36:37], v[54:55], v[50:51] op_sel_hi:[0,1]
	v_mfma_f32_16x16x16_f16 v[2:5], v[12:13], v[4:5], v[6:9]
	s_nop 6
	v_pk_mul_f32 v[24:25], v[54:55], v[2:3] op_sel_hi:[0,1]
	v_and_b32_e32 v2, 0xc0, v0
	v_add_u32_e32 v2, s18, v2
	v_lshl_or_b32 v2, v42, 2, v2
	v_pk_mul_f32 v[20:21], v[54:55], v[4:5] op_sel_hi:[0,1]
	v_or_b32_e32 v5, 1, v2
	v_mov_b32_e32 v3, 0xff7fffff
	v_cmp_gt_i32_e64 s[24:25], s5, v2
	v_cmp_gt_i32_e64 s[26:27], s5, v5
	v_or_b32_e32 v6, 3, v2
	v_cndmask_b32_e64 v4, v3, v32, s[24:25]
	v_cndmask_b32_e64 v5, v3, v33, s[26:27]
	v_max3_f32 v4, v4, s40, v5
	v_or_b32_e32 v5, 2, v2
	v_cmp_gt_i32_e64 s[28:29], s5, v5
	v_cmp_gt_i32_e64 s[30:31], s5, v6
	s_nop 0
	v_cndmask_b32_e64 v5, v3, v22, s[28:29]
	v_cndmask_b32_e64 v6, v3, v23, s[30:31]
	v_max3_f32 v4, v4, v5, v6
	v_or_b32_e32 v5, 16, v2
	v_or_b32_e32 v6, 17, v2
	v_cmp_gt_i32_e64 s[34:35], s5, v5
	v_cmp_gt_i32_e64 s[36:37], s5, v6
	s_nop 0
	v_cndmask_b32_e64 v5, v3, v38, s[34:35]
	v_cndmask_b32_e64 v6, v3, v39, s[36:37]
	v_max3_f32 v4, v4, v5, v6
	v_or_b32_e32 v5, 18, v2
	;; [unrolled: 8-line block ×6, first 2 shown]
	v_or_b32_e32 v2, 51, v2
	v_cmp_gt_i32_e32 vcc, s5, v5
	v_cmp_gt_i32_e64 s[4:5], s5, v2
	s_nop 0
	v_cndmask_b32_e32 v5, v3, v20, vcc
	v_cndmask_b32_e64 v2, v3, v21, s[4:5]
	v_max3_f32 v4, v4, v5, v2
	v_mbcnt_lo_u32_b32 v2, -1, 0
	v_mbcnt_hi_u32_b32 v5, -1, v2
	v_and_b32_e32 v2, 64, v5
	v_add_u32_e32 v6, 64, v2
	v_xor_b32_e32 v2, 32, v5
	v_cmp_lt_i32_e64 s[38:39], v2, v6
	s_nop 1
	v_cndmask_b32_e64 v2, v5, v2, s[38:39]
	v_lshlrev_b32_e32 v49, 2, v2
	ds_bpermute_b32 v7, v49, v4
	s_waitcnt vmcnt(2)
	v_mad_i64_i32 v[2:3], s[38:39], v48, s45, v[28:29]
	global_load_dwordx4 v[14:17], v[18:19], off
	global_load_dwordx4 v[10:13], v[2:3], off
	s_waitcnt lgkmcnt(0)
	v_max_f32_e32 v2, v7, v7
	v_max_f32_e32 v7, v4, v2
	v_xor_b32_e32 v2, 16, v5
	v_cmp_lt_i32_e64 s[38:39], v2, v6
	s_nop 1
	v_cndmask_b32_e64 v2, v5, v2, s[38:39]
	v_lshlrev_b32_e32 v48, 2, v2
	ds_bpermute_b32 v6, v48, v7
	s_waitcnt vmcnt(3)
	v_mad_i64_i32 v[2:3], s[38:39], v46, s45, v[28:29]
	s_waitcnt vmcnt(2)
	v_mad_i64_i32 v[4:5], s[38:39], v47, s45, v[28:29]
	s_waitcnt lgkmcnt(0)
	v_max_f32_e32 v6, v6, v6
	v_max_f32_e32 v46, v7, v6
	v_sub_f32_e32 v6, v32, v46
	v_mul_f32_e32 v6, 0x3fb8aa3b, v6
	v_exp_f32_e32 v18, v6
	v_sub_f32_e32 v6, v33, v46
	v_mul_f32_e32 v6, 0x3fb8aa3b, v6
	v_exp_f32_e32 v19, v6
	global_load_dwordx4 v[6:9], v[2:3], off
	s_nop 0
	global_load_dwordx4 v[2:5], v[4:5], off
	v_sub_f32_e32 v22, v22, v46
	v_mul_f32_e32 v22, 0x3fb8aa3b, v22
	v_sub_f32_e32 v23, v23, v46
	v_exp_f32_e32 v22, v22
	v_mul_f32_e32 v23, 0x3fb8aa3b, v23
	v_exp_f32_e32 v23, v23
	v_cndmask_b32_e64 v18, 0, v18, s[24:25]
	v_add_f32_e32 v28, 0, v18
	v_cndmask_b32_e64 v19, 0, v19, s[26:27]
	v_add_f32_e32 v28, v28, v19
	;; [unrolled: 2-line block ×3, first 2 shown]
	v_cndmask_b32_e64 v33, 0, v23, s[30:31]
	v_sub_f32_e32 v23, v38, v46
	v_sub_f32_e32 v28, v39, v46
	v_mul_f32_e32 v23, 0x3fb8aa3b, v23
	v_mul_f32_e32 v28, 0x3fb8aa3b, v28
	v_exp_f32_e32 v23, v23
	v_exp_f32_e32 v28, v28
	v_add_f32_e32 v29, v22, v33
	v_sub_f32_e32 v30, v30, v46
	v_cndmask_b32_e64 v22, 0, v23, s[34:35]
	v_cndmask_b32_e64 v23, 0, v28, s[36:37]
	v_sub_f32_e32 v28, v34, v46
	v_mul_f32_e32 v28, 0x3fb8aa3b, v28
	v_exp_f32_e32 v28, v28
	v_sub_f32_e32 v34, v35, v46
	v_add_f32_e32 v29, v29, v22
	v_mul_f32_e32 v34, 0x3fb8aa3b, v34
	v_exp_f32_e32 v35, v34
	v_add_f32_e32 v29, v29, v23
	v_cndmask_b32_e64 v34, 0, v28, s[18:19]
	v_add_f32_e32 v28, v29, v34
	v_sub_f32_e32 v29, v36, v46
	v_mul_f32_e32 v29, 0x3fb8aa3b, v29
	v_sub_f32_e32 v36, v37, v46
	v_exp_f32_e32 v29, v29
	v_mul_f32_e32 v36, 0x3fb8aa3b, v36
	v_exp_f32_e32 v36, v36
	v_mul_f32_e32 v30, 0x3fb8aa3b, v30
	v_sub_f32_e32 v31, v31, v46
	v_exp_f32_e32 v30, v30
	v_mul_f32_e32 v31, 0x3fb8aa3b, v31
	v_sub_f32_e32 v24, v24, v46
	v_cndmask_b32_e64 v35, 0, v35, s[20:21]
	v_exp_f32_e32 v31, v31
	v_mul_f32_e32 v24, 0x3fb8aa3b, v24
	v_sub_f32_e32 v25, v25, v46
	v_add_f32_e32 v37, v28, v35
	v_cndmask_b32_e64 v28, 0, v29, s[14:15]
	v_exp_f32_e32 v24, v24
	v_mul_f32_e32 v25, 0x3fb8aa3b, v25
	v_sub_f32_e32 v20, v20, v46
	v_add_f32_e32 v37, v37, v28
	v_cndmask_b32_e64 v29, 0, v36, s[16:17]
	v_exp_f32_e32 v25, v25
	v_mul_f32_e32 v20, 0x3fb8aa3b, v20
	v_sub_f32_e32 v21, v21, v46
	v_add_f32_e32 v36, v37, v29
	v_cndmask_b32_e64 v30, 0, v30, s[10:11]
	v_exp_f32_e32 v20, v20
	v_mul_f32_e32 v21, 0x3fb8aa3b, v21
	v_add_f32_e32 v36, v36, v30
	v_cndmask_b32_e64 v31, 0, v31, s[12:13]
	v_exp_f32_e32 v21, v21
	v_add_f32_e32 v36, v36, v31
	v_cndmask_b32_e64 v24, 0, v24, s[6:7]
	v_add_f32_e32 v36, v36, v24
	v_cndmask_b32_e64 v25, 0, v25, s[8:9]
	v_add_f32_e32 v36, v36, v25
	v_cndmask_b32_e32 v20, 0, v20, vcc
	v_add_f32_e32 v36, v36, v20
	v_cndmask_b32_e64 v21, 0, v21, s[4:5]
	v_add_f32_e32 v36, v36, v21
	ds_bpermute_b32 v37, v49, v36
	v_cmp_gt_u32_e32 vcc, 16, v44
	s_waitcnt lgkmcnt(0)
	s_barrier
	v_add_f32_e32 v36, v36, v37
	ds_bpermute_b32 v38, v48, v36
	v_lshlrev_b32_e32 v37, 2, v45
	s_and_saveexec_b64 s[4:5], vcc
	s_cbranch_execz .LBB927_13
; %bb.12:
	s_waitcnt lgkmcnt(0)
	v_add_f32_e32 v36, v36, v38
	v_lshl_or_b32 v38, v43, 6, v37
	ds_write2st64_b32 v38, v46, v36 offset1:1
.LBB927_13:
	s_or_b64 exec, exec, s[4:5]
	s_load_dword s6, s[0:1], 0x94
	s_waitcnt lgkmcnt(0)
	s_barrier
	ds_read2_b32 v[38:39], v37 offset1:16
	ds_read2_b32 v[44:45], v37 offset0:32 offset1:48
	ds_read2_b32 v[46:47], v37 offset0:64 offset1:80
	s_lshl_b32 s7, s33, 2
	s_waitcnt lgkmcnt(2)
	v_max3_f32 v36, v38, s40, v39
	s_waitcnt lgkmcnt(1)
	v_max3_f32 v36, v36, v44, v45
	v_sub_f32_e32 v38, v38, v36
	v_mul_f32_e32 v38, 0x3fb8aa3b, v38
	v_exp_f32_e32 v48, v38
	v_sub_f32_e32 v38, v39, v36
	v_mul_f32_e32 v38, 0x3fb8aa3b, v38
	v_exp_f32_e32 v49, v38
	;; [unrolled: 3-line block ×3, first 2 shown]
	ds_read2_b32 v[38:39], v37 offset0:96 offset1:112
	v_sub_f32_e32 v37, v45, v36
	v_mul_f32_e32 v37, 0x3fb8aa3b, v37
	v_exp_f32_e32 v45, v37
	s_waitcnt lgkmcnt(1)
	v_fma_f32 v37, v48, v46, 0
	v_fmac_f32_e32 v37, v49, v47
	s_waitcnt lgkmcnt(0)
	v_fmac_f32_e32 v37, v44, v38
	v_fmac_f32_e32 v37, v45, v39
	v_add_f32_e32 v38, 0x358637bd, v37
	v_div_scale_f32 v39, s[4:5], v38, v38, 1.0
	v_rcp_f32_e32 v46, v39
	s_barrier
	v_fma_f32 v47, -v39, v46, 1.0
	v_fmac_f32_e32 v46, v47, v46
	v_div_scale_f32 v47, vcc, 1.0, v38, 1.0
	v_mul_f32_e32 v50, v47, v46
	v_fma_f32 v51, -v39, v50, v47
	v_fmac_f32_e32 v50, v51, v46
	v_fma_f32 v39, -v39, v50, v47
	v_div_fmas_f32 v39, v39, v46, v50
	v_cmp_eq_u32_e32 vcc, 1, v43
	v_div_fixup_f32 v38, v39, v38, 1.0
	s_nop 0
	v_cndmask_b32_e32 v39, v48, v49, vcc
	v_cmp_eq_u32_e32 vcc, 2, v43
	s_nop 1
	v_cndmask_b32_e32 v39, v39, v44, vcc
	v_cmp_eq_u32_e32 vcc, 3, v43
	s_nop 1
	v_cndmask_b32_e32 v39, v39, v45, vcc
	v_mul_f32_e32 v38, v39, v38
	v_pk_mul_f32 v[32:33], v[38:39], v[32:33] op_sel_hi:[0,1]
	v_pk_mul_f32 v[18:19], v[38:39], v[18:19] op_sel_hi:[0,1]
	v_cvt_f16_f32_e32 v39, v32
	v_cvt_f16_f32_e32 v33, v33
	;; [unrolled: 1-line block ×4, first 2 shown]
	v_cmp_gt_u32_e32 vcc, 4, v0
	v_pack_b32_f16 v33, v39, v33
	v_lshlrev_b32_e32 v39, 3, v42
	v_pack_b32_f16 v32, v18, v19
	v_pk_mul_f32 v[18:19], v[38:39], v[34:35] op_sel_hi:[0,1]
	v_pk_mul_f32 v[22:23], v[38:39], v[22:23] op_sel_hi:[0,1]
	v_cvt_f16_f32_e32 v22, v22
	v_cvt_f16_f32_e32 v23, v23
	;; [unrolled: 1-line block ×4, first 2 shown]
	v_lshlrev_b32_e32 v18, 11, v43
	v_or3_b32 v18, v18, v27, v39
	v_pack_b32_f16 v22, v22, v23
	v_pack_b32_f16 v23, v34, v19
	ds_write2st64_b64 v18, v[32:33], v[22:23] offset1:1
	v_pk_mul_f32 v[22:23], v[38:39], v[30:31] op_sel_hi:[0,1]
	v_pk_mul_f32 v[28:29], v[38:39], v[28:29] op_sel_hi:[0,1]
	v_cvt_f16_f32_e32 v19, v28
	v_cvt_f16_f32_e32 v28, v29
	;; [unrolled: 1-line block ×4, first 2 shown]
	v_pk_mul_f32 v[20:21], v[38:39], v[20:21] op_sel_hi:[0,1]
	v_pk_mul_f32 v[22:23], v[38:39], v[24:25] op_sel_hi:[0,1]
	v_cvt_f16_f32_e32 v22, v22
	v_cvt_f16_f32_e32 v23, v23
	;; [unrolled: 1-line block ×4, first 2 shown]
	v_pack_b32_f16 v20, v19, v28
	v_pack_b32_f16 v21, v29, v30
	;; [unrolled: 1-line block ×4, first 2 shown]
	ds_write2st64_b64 v18, v[20:21], v[22:23] offset0:2 offset1:3
	s_and_saveexec_b64 s[4:5], vcc
	s_cbranch_execz .LBB927_15
; %bb.14:
	v_or_b32_e32 v20, s23, v0
	v_mov_b32_e32 v21, 0
	v_mov_b32_e32 v19, s7
	v_mad_u64_u32 v[22:23], s[12:13], s2, v19, v[20:21]
	v_mov_b32_e32 v20, s22
	s_load_dwordx4 s[8:11], s[0:1], 0x58
	s_mul_i32 s3, s3, s7
	v_mad_u64_u32 v[20:21], s[12:13], v22, s6, v[20:21]
	v_add_u32_e32 v19, s3, v23
	v_mov_b32_e32 v22, v21
	v_mad_u64_u32 v[22:23], s[12:13], v19, s6, v[22:23]
	v_mov_b32_e32 v21, v22
	v_lshlrev_b64 v[20:21], 2, v[20:21]
	s_waitcnt lgkmcnt(0)
	v_lshl_add_u64 v[22:23], s[10:11], 0, v[20:21]
	v_lshl_add_u64 v[20:21], s[8:9], 0, v[20:21]
	global_store_dword v[22:23], v36, off
	global_store_dword v[20:21], v37, off
.LBB927_15:
	s_or_b64 exec, exec, s[4:5]
	s_waitcnt vmcnt(3)
	v_cvt_pk_f32_fp8_e32 v[20:21], v14
	v_cvt_pk_f32_fp8_sdwa v[22:23], v14 src0_sel:WORD_1
	v_lshl_or_b32 v14, v42, 9, v27
	s_waitcnt lgkmcnt(0)
	s_barrier
	v_cvt_pk_f32_fp8_e32 v[24:25], v15
	v_cvt_pkrtz_f16_f32 v32, v20, v21
	v_cvt_pkrtz_f16_f32 v33, v22, v23
	v_cvt_pk_f32_fp8_sdwa v[28:29], v15 src0_sel:WORD_1
	ds_read_b128 v[20:23], v14
	v_cvt_pkrtz_f16_f32 v24, v24, v25
	v_cvt_pk_f32_fp8_e32 v[36:37], v16
	v_cvt_pkrtz_f16_f32 v25, v28, v29
	ds_read_b128 v[28:31], v14 offset:16
	v_cvt_pk_f32_fp8_sdwa v[38:39], v16 src0_sel:WORD_1
	s_waitcnt lgkmcnt(1)
	v_mfma_f32_16x16x16_f16 v[32:35], v[32:33], v[20:21], 0
	v_cvt_pkrtz_f16_f32 v36, v36, v37
	s_load_dword s4, s[42:43], 0x0
	v_cvt_pkrtz_f16_f32 v37, v38, v39
	v_cvt_pk_f32_fp8_e32 v[38:39], v17
	v_cvt_pk_f32_fp8_sdwa v[16:17], v17 src0_sel:WORD_1
	v_mfma_f32_16x16x16_f16 v[20:23], v[24:25], v[22:23], v[32:35]
	s_mov_b32 s3, 0
	v_cvt_pkrtz_f16_f32 v24, v38, v39
	v_cvt_pkrtz_f16_f32 v25, v16, v17
	s_waitcnt lgkmcnt(0)
	v_mfma_f32_16x16x16_f16 v[20:23], v[36:37], v[28:29], v[20:23]
	s_waitcnt vmcnt(2)
	v_cvt_pk_f32_fp8_e32 v[16:17], v10
	v_cvt_pk_f32_fp8_e32 v[28:29], v11
	v_cvt_pk_f32_fp8_sdwa v[36:37], v12 src0_sel:WORD_1
	v_mfma_f32_16x16x16_f16 v[20:23], v[24:25], v[30:31], v[20:23]
	v_cvt_pk_f32_fp8_sdwa v[24:25], v10 src0_sel:WORD_1
	v_cvt_pkrtz_f16_f32 v10, v16, v17
	v_cvt_pk_f32_fp8_sdwa v[16:17], v11 src0_sel:WORD_1
	ds_read_b128 v[32:35], v14 offset:2064
	v_cvt_pkrtz_f16_f32 v11, v24, v25
	v_cvt_pkrtz_f16_f32 v24, v28, v29
	ds_read_b128 v[28:31], v14 offset:2048
	v_cvt_pkrtz_f16_f32 v25, v16, v17
	v_cvt_pk_f32_fp8_e32 v[16:17], v12
	s_waitcnt lgkmcnt(0)
	v_mfma_f32_16x16x16_f16 v[20:23], v[10:11], v[28:29], v[20:23]
	v_cvt_pkrtz_f16_f32 v10, v16, v17
	v_cvt_pkrtz_f16_f32 v11, v36, v37
	v_cvt_pk_f32_fp8_e32 v[16:17], v13
	v_mfma_f32_16x16x16_f16 v[20:23], v[24:25], v[30:31], v[20:23]
	v_cvt_pk_f32_fp8_sdwa v[24:25], v13 src0_sel:WORD_1
	ds_read_b128 v[28:31], v14 offset:4112
	v_cvt_pkrtz_f16_f32 v16, v16, v17
	v_mfma_f32_16x16x16_f16 v[10:13], v[10:11], v[32:33], v[20:23]
	v_cvt_pkrtz_f16_f32 v17, v24, v25
	s_waitcnt vmcnt(1)
	v_cvt_pk_f32_fp8_sdwa v[24:25], v7 src0_sel:WORD_1
	v_cvt_pk_f32_fp8_sdwa v[32:33], v8 src0_sel:WORD_1
	v_cvt_pk_f32_fp8_e32 v[20:21], v6
	v_mfma_f32_16x16x16_f16 v[10:13], v[16:17], v[34:35], v[10:13]
	v_cvt_pk_f32_fp8_sdwa v[16:17], v6 src0_sel:WORD_1
	v_cvt_pk_f32_fp8_e32 v[22:23], v7
	v_cvt_pkrtz_f16_f32 v6, v20, v21
	v_mov_b32_e32 v27, 0
	v_cvt_pkrtz_f16_f32 v7, v16, v17
	v_cvt_pkrtz_f16_f32 v16, v22, v23
	ds_read_b128 v[20:23], v14 offset:4096
	v_cvt_pkrtz_f16_f32 v17, v24, v25
	v_cvt_pk_f32_fp8_e32 v[24:25], v8
	s_waitcnt lgkmcnt(0)
	v_mfma_f32_16x16x16_f16 v[10:13], v[6:7], v[20:21], v[10:13]
	v_cvt_pkrtz_f16_f32 v6, v24, v25
	v_cvt_pkrtz_f16_f32 v7, v32, v33
	v_cvt_pk_f32_fp8_e32 v[20:21], v9
	v_mfma_f32_16x16x16_f16 v[10:13], v[16:17], v[22:23], v[10:13]
	v_cvt_pk_f32_fp8_sdwa v[16:17], v9 src0_sel:WORD_1
	s_waitcnt vmcnt(0)
	v_cvt_pk_f32_fp8_sdwa v[24:25], v4 src0_sel:WORD_1
	v_cvt_pkrtz_f16_f32 v20, v20, v21
	v_mfma_f32_16x16x16_f16 v[6:9], v[6:7], v[28:29], v[10:13]
	v_cvt_pkrtz_f16_f32 v21, v16, v17
	v_cvt_pk_f32_fp8_e32 v[16:17], v3
	v_cvt_pkrtz_f16_f32 v22, v16, v17
	v_cvt_pk_f32_fp8_e32 v[10:11], v2
	v_cvt_pk_f32_fp8_sdwa v[12:13], v2 src0_sel:WORD_1
	v_mfma_f32_16x16x16_f16 v[6:9], v[20:21], v[30:31], v[6:9]
	v_cvt_pk_f32_fp8_sdwa v[20:21], v3 src0_sel:WORD_1
	v_cvt_pkrtz_f16_f32 v2, v10, v11
	v_cvt_pkrtz_f16_f32 v3, v12, v13
	ds_read_b128 v[10:13], v14 offset:6144
	v_cvt_pkrtz_f16_f32 v23, v20, v21
	v_cvt_pk_f32_fp8_e32 v[20:21], v4
	s_waitcnt lgkmcnt(0)
	v_mfma_f32_16x16x16_f16 v[6:9], v[2:3], v[10:11], v[6:9]
	ds_read_b128 v[14:17], v14 offset:6160
	v_cvt_pkrtz_f16_f32 v2, v20, v21
	v_cvt_pkrtz_f16_f32 v3, v24, v25
	v_cvt_pk_f32_fp8_e32 v[10:11], v5
	v_mfma_f32_16x16x16_f16 v[6:9], v[22:23], v[12:13], v[6:9]
	v_cvt_pk_f32_fp8_sdwa v[12:13], v5 src0_sel:WORD_1
	s_waitcnt lgkmcnt(0)
	v_cvt_pkrtz_f16_f32 v10, v10, v11
	v_mfma_f32_16x16x16_f16 v[2:5], v[2:3], v[14:15], v[6:9]
	v_cvt_pkrtz_f16_f32 v11, v12, v13
	s_barrier
	s_nop 0
	v_mfma_f32_16x16x16_f16 v[2:5], v[10:11], v[16:17], v[2:5]
	s_nop 6
	v_pk_mul_f32 v[4:5], v[4:5], s[4:5] op_sel_hi:[1,0]
	v_pk_mul_f32 v[2:3], v[2:3], s[4:5] op_sel_hi:[1,0]
	v_cvt_f16_f32_e32 v4, v4
	v_cvt_f16_f32_e32 v2, v2
	;; [unrolled: 1-line block ×4, first 2 shown]
	v_pack_b32_f16 v2, v2, v3
	v_pack_b32_f16 v3, v4, v5
	ds_write_b64 v18, v[2:3]
	s_waitcnt lgkmcnt(0)
	s_barrier
	s_and_saveexec_b64 s[4:5], s[48:49]
	s_cbranch_execz .LBB927_17
; %bb.16:
	s_load_dwordx2 s[0:1], s[0:1], 0x68
	s_lshl_b32 s6, s6, 6
	s_mul_i32 s2, s7, s2
	s_mul_hi_u32 s5, s2, s6
	s_mul_i32 s4, s2, s6
	v_lshlrev_b32_e32 v0, 10, v0
	s_lshl_b64 s[4:5], s[4:5], 1
	v_and_b32_e32 v0, 0x1800, v0
	v_and_b32_e32 v2, 16, v41
	s_waitcnt lgkmcnt(0)
	s_add_u32 s4, s0, s4
	v_or3_b32 v0, v0, v40, v2
	s_addc_u32 s5, s1, s5
	s_lshl_b32 s2, s22, 6
	ds_read_b128 v[2:5], v0
	s_lshl_b64 s[0:1], s[2:3], 1
	s_add_u32 s0, s4, s0
	s_addc_u32 s1, s5, s1
	v_mad_u64_u32 v[0:1], s[2:3], s6, v1, 0
	v_lshl_add_u64 v[0:1], v[0:1], 1, s[0:1]
	v_lshl_add_u64 v[0:1], v[0:1], 0, v[26:27]
	s_waitcnt lgkmcnt(0)
	global_store_dwordx4 v[0:1], v[2:5], off
.LBB927_17:
	s_endpgm
	.section	.rodata,"a",@progbits
	.p2align	6, 0x0
	.amdhsa_kernel _Z39paged_attention_ll4mi_QKV_mfma16_kernelIDF16_hLN4vllm18Fp8KVCacheDataTypeE1EDF16_Li32ELi64ELi256ELb0ELi4EEvPKT_PKT0_S7_ifPKiS9_S9_iPKfiiiPfSC_PS2_PT2_iSB_SB_
		.amdhsa_group_segment_fixed_size 8192
		.amdhsa_private_segment_fixed_size 0
		.amdhsa_kernarg_size 400
		.amdhsa_user_sgpr_count 2
		.amdhsa_user_sgpr_dispatch_ptr 0
		.amdhsa_user_sgpr_queue_ptr 0
		.amdhsa_user_sgpr_kernarg_segment_ptr 1
		.amdhsa_user_sgpr_dispatch_id 0
		.amdhsa_user_sgpr_kernarg_preload_length 0
		.amdhsa_user_sgpr_kernarg_preload_offset 0
		.amdhsa_user_sgpr_private_segment_size 0
		.amdhsa_uses_dynamic_stack 0
		.amdhsa_enable_private_segment 0
		.amdhsa_system_sgpr_workgroup_id_x 1
		.amdhsa_system_sgpr_workgroup_id_y 1
		.amdhsa_system_sgpr_workgroup_id_z 1
		.amdhsa_system_sgpr_workgroup_info 0
		.amdhsa_system_vgpr_workitem_id 0
		.amdhsa_next_free_vgpr 56
		.amdhsa_next_free_sgpr 50
		.amdhsa_accum_offset 56
		.amdhsa_reserve_vcc 1
		.amdhsa_float_round_mode_32 0
		.amdhsa_float_round_mode_16_64 0
		.amdhsa_float_denorm_mode_32 3
		.amdhsa_float_denorm_mode_16_64 3
		.amdhsa_dx10_clamp 1
		.amdhsa_ieee_mode 1
		.amdhsa_fp16_overflow 0
		.amdhsa_tg_split 0
		.amdhsa_exception_fp_ieee_invalid_op 0
		.amdhsa_exception_fp_denorm_src 0
		.amdhsa_exception_fp_ieee_div_zero 0
		.amdhsa_exception_fp_ieee_overflow 0
		.amdhsa_exception_fp_ieee_underflow 0
		.amdhsa_exception_fp_ieee_inexact 0
		.amdhsa_exception_int_div_zero 0
	.end_amdhsa_kernel
	.section	.text._Z39paged_attention_ll4mi_QKV_mfma16_kernelIDF16_hLN4vllm18Fp8KVCacheDataTypeE1EDF16_Li32ELi64ELi256ELb0ELi4EEvPKT_PKT0_S7_ifPKiS9_S9_iPKfiiiPfSC_PS2_PT2_iSB_SB_,"axG",@progbits,_Z39paged_attention_ll4mi_QKV_mfma16_kernelIDF16_hLN4vllm18Fp8KVCacheDataTypeE1EDF16_Li32ELi64ELi256ELb0ELi4EEvPKT_PKT0_S7_ifPKiS9_S9_iPKfiiiPfSC_PS2_PT2_iSB_SB_,comdat
.Lfunc_end927:
	.size	_Z39paged_attention_ll4mi_QKV_mfma16_kernelIDF16_hLN4vllm18Fp8KVCacheDataTypeE1EDF16_Li32ELi64ELi256ELb0ELi4EEvPKT_PKT0_S7_ifPKiS9_S9_iPKfiiiPfSC_PS2_PT2_iSB_SB_, .Lfunc_end927-_Z39paged_attention_ll4mi_QKV_mfma16_kernelIDF16_hLN4vllm18Fp8KVCacheDataTypeE1EDF16_Li32ELi64ELi256ELb0ELi4EEvPKT_PKT0_S7_ifPKiS9_S9_iPKfiiiPfSC_PS2_PT2_iSB_SB_
                                        ; -- End function
	.section	.AMDGPU.csdata,"",@progbits
; Kernel info:
; codeLenInByte = 4568
; NumSgprs: 56
; NumVgprs: 56
; NumAgprs: 0
; TotalNumVgprs: 56
; ScratchSize: 0
; MemoryBound: 0
; FloatMode: 240
; IeeeMode: 1
; LDSByteSize: 8192 bytes/workgroup (compile time only)
; SGPRBlocks: 6
; VGPRBlocks: 6
; NumSGPRsForWavesPerEU: 56
; NumVGPRsForWavesPerEU: 56
; AccumOffset: 56
; Occupancy: 8
; WaveLimiterHint : 1
; COMPUTE_PGM_RSRC2:SCRATCH_EN: 0
; COMPUTE_PGM_RSRC2:USER_SGPR: 2
; COMPUTE_PGM_RSRC2:TRAP_HANDLER: 0
; COMPUTE_PGM_RSRC2:TGID_X_EN: 1
; COMPUTE_PGM_RSRC2:TGID_Y_EN: 1
; COMPUTE_PGM_RSRC2:TGID_Z_EN: 1
; COMPUTE_PGM_RSRC2:TIDIG_COMP_CNT: 0
; COMPUTE_PGM_RSRC3_GFX90A:ACCUM_OFFSET: 13
; COMPUTE_PGM_RSRC3_GFX90A:TG_SPLIT: 0
	.section	.text._Z38paged_attention_ll4mi_QKV_mfma4_kernelIDF16_hLN4vllm18Fp8KVCacheDataTypeE1EhLi16ELi128ELi256ELb1ELi1EEvPKT_PKT0_S7_ifPKiS9_S9_iPKfiiiPfSC_PS2_PT2_iSB_SB_,"axG",@progbits,_Z38paged_attention_ll4mi_QKV_mfma4_kernelIDF16_hLN4vllm18Fp8KVCacheDataTypeE1EhLi16ELi128ELi256ELb1ELi1EEvPKT_PKT0_S7_ifPKiS9_S9_iPKfiiiPfSC_PS2_PT2_iSB_SB_,comdat
	.protected	_Z38paged_attention_ll4mi_QKV_mfma4_kernelIDF16_hLN4vllm18Fp8KVCacheDataTypeE1EhLi16ELi128ELi256ELb1ELi1EEvPKT_PKT0_S7_ifPKiS9_S9_iPKfiiiPfSC_PS2_PT2_iSB_SB_ ; -- Begin function _Z38paged_attention_ll4mi_QKV_mfma4_kernelIDF16_hLN4vllm18Fp8KVCacheDataTypeE1EhLi16ELi128ELi256ELb1ELi1EEvPKT_PKT0_S7_ifPKiS9_S9_iPKfiiiPfSC_PS2_PT2_iSB_SB_
	.globl	_Z38paged_attention_ll4mi_QKV_mfma4_kernelIDF16_hLN4vllm18Fp8KVCacheDataTypeE1EhLi16ELi128ELi256ELb1ELi1EEvPKT_PKT0_S7_ifPKiS9_S9_iPKfiiiPfSC_PS2_PT2_iSB_SB_
	.p2align	8
	.type	_Z38paged_attention_ll4mi_QKV_mfma4_kernelIDF16_hLN4vllm18Fp8KVCacheDataTypeE1EhLi16ELi128ELi256ELb1ELi1EEvPKT_PKT0_S7_ifPKiS9_S9_iPKfiiiPfSC_PS2_PT2_iSB_SB_,@function
_Z38paged_attention_ll4mi_QKV_mfma4_kernelIDF16_hLN4vllm18Fp8KVCacheDataTypeE1EhLi16ELi128ELi256ELb1ELi1EEvPKT_PKT0_S7_ifPKiS9_S9_iPKfiiiPfSC_PS2_PT2_iSB_SB_: ; @_Z38paged_attention_ll4mi_QKV_mfma4_kernelIDF16_hLN4vllm18Fp8KVCacheDataTypeE1EhLi16ELi128ELi256ELb1ELi1EEvPKT_PKT0_S7_ifPKiS9_S9_iPKfiiiPfSC_PS2_PT2_iSB_SB_
; %bb.0:
	s_load_dwordx2 s[8:9], s[0:1], 0x30
	s_mov_b32 s20, s3
	s_mov_b64 s[6:7], 0
	s_waitcnt lgkmcnt(0)
	s_cmp_lg_u64 s[8:9], 0
	s_cselect_b64 s[10:11], -1, 0
	s_and_b64 vcc, exec, s[10:11]
	s_cbranch_vccz .LBB928_10
; %bb.1:
	s_add_i32 s12, s2, 1
	s_mov_b32 s13, 0
	s_lshl_b64 s[14:15], s[12:13], 2
	s_add_u32 s14, s8, s14
	s_mov_b32 s3, s13
	s_addc_u32 s15, s9, s15
	s_lshl_b64 s[12:13], s[2:3], 2
	s_add_u32 s12, s8, s12
	s_addc_u32 s13, s9, s13
	s_load_dword s5, s[14:15], 0x0
	s_load_dword s16, s[12:13], 0x0
	s_waitcnt lgkmcnt(0)
	s_sub_i32 s5, s5, s16
	s_cmp_eq_u32 s5, 1
	s_cselect_b64 s[12:13], -1, 0
	s_andn2_b64 vcc, exec, s[6:7]
	s_cbranch_vccnz .LBB928_3
.LBB928_2:
	s_mov_b32 s3, 0
	s_mov_b64 s[12:13], -1
.LBB928_3:
	s_andn2_b64 vcc, exec, s[12:13]
	s_cbranch_vccnz .LBB928_27
; %bb.4:
	s_load_dword s5, s[0:1], 0x9c
	s_load_dwordx2 s[6:7], s[0:1], 0x28
	s_add_u32 s24, s0, 0x90
	s_addc_u32 s25, s1, 0
	s_lshl_b64 s[28:29], s[2:3], 2
	s_waitcnt lgkmcnt(0)
	s_and_b32 s5, s5, 0xffff
	s_add_u32 s6, s6, s28
	s_addc_u32 s7, s7, s29
	s_load_dword s3, s[6:7], 0x0
	s_mul_i32 s5, s20, s5
	s_waitcnt lgkmcnt(0)
	s_cmp_ge_i32 s5, s3
	s_cbranch_scc1 .LBB928_27
; %bb.5:
	v_and_b32_e32 v1, 0xc0, v0
	v_add_u32_e32 v4, s5, v1
	v_lshrrev_b32_e32 v42, 6, v0
	v_cmp_le_i32_e64 s[6:7], s3, v4
                                        ; implicit-def: $sgpr30
                                        ; implicit-def: $sgpr21
	s_and_saveexec_b64 s[12:13], s[6:7]
	s_xor_b64 s[12:13], exec, s[12:13]
	s_cbranch_execz .LBB928_7
; %bb.6:
	v_mul_u32_u24_e32 v1, 20, v42
	v_or_b32_e32 v1, 0x1400, v1
	v_mov_b32_e32 v2, 0x1450
	v_mov_b32_e32 v3, 0xff7fffff
	v_mad_u32_u24 v2, v42, 20, v2
	ds_write2_b32 v1, v3, v3 offset1:1
	v_mov_b32_e32 v1, 0
	ds_write2_b32 v2, v1, v1 offset1:1
	v_mov_b32_e32 v2, 0x1408
	v_mov_b32_e32 v4, 0x1458
	s_mov_b32 s21, 0xff7fffff
	s_mov_b32 s30, 0
	v_mad_u32_u24 v2, v42, 20, v2
	v_mad_u32_u24 v4, v42, 20, v4
	ds_write2_b32 v2, v3, v3 offset1:1
	ds_write2_b32 v4, v1, v1 offset1:1
                                        ; implicit-def: $vgpr4
.LBB928_7:
	s_or_saveexec_b64 s[26:27], s[12:13]
	s_load_dwordx2 s[22:23], s[0:1], 0x68
	s_load_dwordx4 s[16:19], s[0:1], 0x58
	s_load_dword s33, s[24:25], 0x4
	s_load_dwordx4 s[12:15], s[0:1], 0x80
	v_and_b32_e32 v1, 63, v0
	v_and_b32_e32 v43, 3, v0
	v_mov_b32_e32 v37, s30
	v_mov_b32_e32 v39, s21
	;; [unrolled: 1-line block ×5, first 2 shown]
                                        ; implicit-def: $vgpr18_vgpr19
                                        ; implicit-def: $vgpr22_vgpr23
                                        ; implicit-def: $vgpr26_vgpr27
                                        ; implicit-def: $vgpr30_vgpr31
                                        ; implicit-def: $vgpr2_vgpr3
                                        ; implicit-def: $vgpr6_vgpr7
                                        ; implicit-def: $vgpr10_vgpr11
                                        ; implicit-def: $vgpr14_vgpr15
	s_xor_b64 exec, exec, s[26:27]
	s_cbranch_execz .LBB928_19
; %bb.8:
	s_load_dwordx2 s[30:31], s[0:1], 0x20
	s_load_dword s21, s[0:1], 0x38
	s_add_i32 s34, s3, 15
	s_ashr_i32 s35, s34, 31
	s_lshr_b32 s35, s35, 28
	v_add_u32_e32 v44, s5, v0
	s_add_i32 s34, s34, s35
	v_ashrrev_i32_e32 v2, 31, v44
	s_ashr_i32 s34, s34, 4
	v_lshrrev_b32_e32 v2, 28, v2
	s_add_i32 s36, s34, -1
	s_waitcnt lgkmcnt(0)
	s_mul_i32 s34, s2, s21
	s_mov_b32 s35, 0
	v_add_u32_e32 v2, v44, v2
	s_lshl_b64 s[34:35], s[34:35], 2
	v_ashrrev_i32_e32 v2, 4, v2
	v_mov_b32_e32 v3, s36
	v_cmp_gt_i32_e32 vcc, s3, v44
	s_add_u32 s30, s30, s34
	s_addc_u32 s31, s31, s35
	v_cndmask_b32_e32 v2, v3, v2, vcc
	v_ashrrev_i32_e32 v3, 31, v2
	v_lshl_add_u64 v[6:7], v[2:3], 2, s[30:31]
	v_ashrrev_i32_e32 v2, 31, v4
	v_lshrrev_b32_e32 v2, 28, v2
	v_add_u32_e32 v2, v4, v2
	v_ashrrev_i32_e32 v12, 4, v2
	v_min_i32_e32 v2, s36, v12
	v_ashrrev_i32_e32 v3, 31, v2
	v_lshl_add_u64 v[4:5], v[2:3], 2, s[30:31]
	v_add_u32_e32 v2, 1, v12
	v_min_i32_e32 v2, s36, v2
	v_ashrrev_i32_e32 v3, 31, v2
	v_lshl_add_u64 v[8:9], v[2:3], 2, s[30:31]
	v_add_u32_e32 v2, 2, v12
	v_min_i32_e32 v2, s36, v2
	v_ashrrev_i32_e32 v3, 31, v2
	v_lshl_add_u64 v[10:11], v[2:3], 2, s[30:31]
	v_add_u32_e32 v2, 3, v12
	v_min_i32_e32 v2, s36, v2
	v_ashrrev_i32_e32 v3, 31, v2
	v_lshl_add_u64 v[12:13], v[2:3], 2, s[30:31]
	global_load_dword v2, v[6:7], off
	global_load_dword v40, v[4:5], off
	;; [unrolled: 1-line block ×5, first 2 shown]
	s_load_dwordx2 s[34:35], s[0:1], 0x8
	s_andn2_b64 vcc, exec, s[10:11]
	s_cbranch_vccnz .LBB928_11
; %bb.9:
	s_add_u32 s8, s8, s28
	s_addc_u32 s9, s9, s29
	s_load_dword s5, s[8:9], 0x0
	s_branch .LBB928_12
.LBB928_10:
	s_mov_b64 s[12:13], 0
	s_branch .LBB928_2
.LBB928_11:
	s_mov_b32 s5, s2
.LBB928_12:
	s_load_dwordx2 s[28:29], s[0:1], 0x10
	s_load_dwordx4 s[8:11], s[0:1], 0x48
	v_cmp_eq_u32_e32 vcc, 0, v43
	s_mov_b32 s31, 0
	v_mov_b32_e32 v39, 0
	v_mov_b32_e32 v14, 0
	;; [unrolled: 1-line block ×5, first 2 shown]
	s_and_saveexec_b64 s[36:37], vcc
	s_cbranch_execz .LBB928_14
; %bb.13:
	s_load_dwordx2 s[38:39], s[0:1], 0x0
	s_waitcnt lgkmcnt(0)
	s_ashr_i32 s11, s8, 31
	s_mul_hi_u32 s21, s5, s8
	s_mul_i32 s11, s5, s11
	s_add_i32 s41, s21, s11
	s_mul_i32 s40, s5, s8
	s_lshl_b64 s[40:41], s[40:41], 1
	s_add_u32 s5, s38, s40
	s_addc_u32 s8, s39, s41
	s_lshl_b32 s30, s4, 7
	s_lshl_b64 s[38:39], s[30:31], 1
	s_add_u32 s38, s5, s38
	s_addc_u32 s39, s8, s39
	v_lshlrev_b32_e32 v3, 2, v1
	global_load_dwordx4 v[14:17], v3, s[38:39]
.LBB928_14:
	s_or_b64 exec, exec, s[36:37]
	s_waitcnt lgkmcnt(0)
	s_mul_i32 s8, s4, s10
	s_add_u32 s10, s8, s34
	s_addc_u32 s11, 0, s35
	v_mov_b64_e32 v[4:5], s[10:11]
	s_waitcnt vmcnt(4)
	v_mad_i64_i32 v[2:3], s[10:11], v2, s9, v[4:5]
	v_lshlrev_b32_e32 v4, 4, v0
	v_and_b32_e32 v38, 0xf0, v4
	v_lshl_add_u64 v[48:49], v[2:3], 0, v[38:39]
	global_load_dwordx4 v[22:25], v[48:49], off
	global_load_dwordx4 v[18:21], v[48:49], off offset:256
	global_load_dwordx4 v[2:5], v[48:49], off offset:512
	;; [unrolled: 1-line block ×7, first 2 shown]
	v_mov_b32_e32 v38, 0
	s_and_saveexec_b64 s[10:11], vcc
	s_cbranch_execz .LBB928_16
; %bb.15:
	s_load_dwordx2 s[34:35], s[0:1], 0x40
	s_mov_b32 s5, s31
	s_lshl_b64 s[30:31], s[4:5], 2
	v_mov_b32_e32 v39, 1.0
	s_waitcnt lgkmcnt(0)
	s_add_u32 s30, s34, s30
	s_addc_u32 s31, s35, s31
	s_load_dword s5, s[30:31], 0x0
	s_waitcnt lgkmcnt(0)
	v_mov_b32_e32 v38, s5
.LBB928_16:
	s_or_b64 exec, exec, s[10:11]
	s_waitcnt vmcnt(11)
	v_mul_hi_i32 v47, v40, s9
	v_ashrrev_i32_e32 v47, 31, v47
	v_lshrrev_b32_e32 v48, 29, v47
	s_waitcnt vmcnt(10)
	v_mul_hi_i32 v47, v46, s9
	v_mov_b32_e32 v49, 0
	v_ashrrev_i32_e32 v47, 31, v47
	s_add_u32 s10, s28, s8
	v_lshrrev_b32_e32 v50, 29, v47
	v_mov_b32_e32 v51, v49
	s_addc_u32 s11, s29, 0
	v_mad_i64_i32 v[46:47], s[28:29], v46, s9, v[50:51]
	s_waitcnt vmcnt(9)
	v_mul_hi_i32 v50, v45, s9
	v_ashrrev_i32_e32 v50, 31, v50
	v_lshrrev_b32_e32 v50, 29, v50
	v_mad_i64_i32 v[50:51], s[28:29], v45, s9, v[50:51]
	s_waitcnt vmcnt(8)
	v_mul_hi_i32 v45, v41, s9
	v_ashrrev_i32_e32 v45, 31, v45
	v_lshrrev_b32_e32 v52, 29, v45
	v_mov_b32_e32 v53, v49
	v_mad_i64_i32 v[52:53], s[28:29], v41, s9, v[52:53]
	v_mad_i64_i32 v[40:41], s[8:9], v40, s9, v[48:49]
	v_and_b32_e32 v40, -8, v40
	v_lshl_add_u64 v[40:41], s[10:11], 0, v[40:41]
	v_lshlrev_b32_e32 v48, 4, v1
	v_and_b32_e32 v46, -8, v46
	v_lshl_add_u64 v[54:55], v[40:41], 0, v[48:49]
	v_lshl_add_u64 v[40:41], s[10:11], 0, v[46:47]
	v_and_b32_e32 v50, -8, v50
	v_lshl_add_u64 v[46:47], v[40:41], 0, v[48:49]
	v_lshl_add_u64 v[40:41], s[10:11], 0, v[50:51]
	;; [unrolled: 3-line block ×3, first 2 shown]
	v_lshl_add_u64 v[40:41], v[40:41], 0, v[48:49]
	s_waitcnt vmcnt(7)
	v_cvt_pk_f32_fp8_e32 v[48:49], v22
	v_cvt_pk_f32_fp8_sdwa v[52:53], v22 src0_sel:WORD_1
	s_load_dword s0, s[0:1], 0x1c
	v_cmp_eq_u32_e32 vcc, 1, v43
	v_cvt_pkrtz_f16_f32 v48, v48, v49
	v_cvt_pkrtz_f16_f32 v49, v52, v53
	s_waitcnt vmcnt(5)
	v_cvt_pk_f32_fp8_sdwa v[52:53], v5 src0_sel:WORD_1
	s_load_dword s1, s[12:13], 0x0
	v_mfma_f32_4x4x4_16b_f16 a[0:3], v[14:15], v[48:49], 0 cbsz:4
	v_cvt_pk_f32_fp8_e32 v[48:49], v23
	v_cvt_pkrtz_f16_f32 v22, v48, v49
	v_cvt_pk_f32_fp8_sdwa v[48:49], v23 src0_sel:WORD_1
	s_nop 0
	v_cvt_pkrtz_f16_f32 v23, v48, v49
	s_nop 1
	v_mfma_f32_4x4x4_16b_f16 a[0:3], v[16:17], v[22:23], a[0:3] cbsz:4
	v_cvt_pk_f32_fp8_e32 v[22:23], v24
	v_cvt_pk_f32_fp8_sdwa v[48:49], v24 src0_sel:WORD_1
	v_cvt_pkrtz_f16_f32 v22, v22, v23
	v_cvt_pkrtz_f16_f32 v23, v48, v49
	v_cvt_pk_f32_fp8_e32 v[48:49], v25
	v_cvt_pk_f32_fp8_sdwa v[24:25], v25 src0_sel:WORD_1
	v_mfma_f32_4x4x4_16b_f16 a[0:3], v[14:15], v[22:23], a[0:3] cbsz:4 abid:1
	v_cvt_pk_f32_fp8_e32 v[22:23], v18
	v_cvt_pkrtz_f16_f32 v48, v48, v49
	v_cvt_pkrtz_f16_f32 v49, v24, v25
	v_cvt_pk_f32_fp8_sdwa v[24:25], v18 src0_sel:WORD_1
	v_cvt_pkrtz_f16_f32 v22, v22, v23
	v_mfma_f32_4x4x4_16b_f16 a[0:3], v[16:17], v[48:49], a[0:3] cbsz:4 abid:1
	v_cvt_pk_f32_fp8_e32 v[48:49], v19
	v_cvt_pk_f32_fp8_sdwa v[18:19], v19 src0_sel:WORD_1
	v_cvt_pkrtz_f16_f32 v23, v24, v25
	v_cvt_pkrtz_f16_f32 v24, v48, v49
	s_nop 0
	v_mfma_f32_4x4x4_16b_f16 a[0:3], v[14:15], v[22:23], a[0:3] cbsz:4 abid:2
	v_cvt_pkrtz_f16_f32 v25, v18, v19
	v_cvt_pk_f32_fp8_e32 v[18:19], v20
	v_cvt_pk_f32_fp8_sdwa v[22:23], v20 src0_sel:WORD_1
	v_mfma_f32_4x4x4_16b_f16 a[0:3], v[16:17], v[24:25], a[0:3] cbsz:4 abid:2
	v_cvt_pk_f32_fp8_e32 v[24:25], v21
	v_cvt_pk_f32_fp8_sdwa v[20:21], v21 src0_sel:WORD_1
	v_cvt_pkrtz_f16_f32 v18, v18, v19
	v_cvt_pkrtz_f16_f32 v19, v22, v23
	;; [unrolled: 1-line block ×4, first 2 shown]
	v_mfma_f32_4x4x4_16b_f16 a[0:3], v[14:15], v[18:19], a[0:3] cbsz:4 abid:3
	v_cvt_pk_f32_fp8_e32 v[18:19], v2
	v_cvt_pk_f32_fp8_sdwa v[20:21], v2 src0_sel:WORD_1
	v_mfma_f32_4x4x4_16b_f16 a[0:3], v[16:17], v[22:23], a[0:3] cbsz:4 abid:3
	v_cvt_pk_f32_fp8_e32 v[22:23], v3
	v_cvt_pk_f32_fp8_sdwa v[24:25], v3 src0_sel:WORD_1
	v_cvt_pkrtz_f16_f32 v2, v18, v19
	v_cvt_pkrtz_f16_f32 v3, v20, v21
	;; [unrolled: 1-line block ×4, first 2 shown]
	v_mfma_f32_4x4x4_16b_f16 a[0:3], v[14:15], v[2:3], a[0:3] cbsz:4 abid:4
	v_cvt_pk_f32_fp8_sdwa v[24:25], v4 src0_sel:WORD_1
	v_cvt_pk_f32_fp8_e32 v[48:49], v5
	v_mfma_f32_4x4x4_16b_f16 a[0:3], v[16:17], v[22:23], a[0:3] cbsz:4 abid:4
	v_cvt_pk_f32_fp8_e32 v[22:23], v4
	global_load_dwordx4 v[18:21], v[54:55], off
	global_load_dwordx4 v[2:5], v[54:55], off offset:1024
	s_waitcnt vmcnt(5)
	v_cvt_pk_f32_fp8_sdwa v[54:55], v27 src0_sel:WORD_1
	v_cvt_pkrtz_f16_f32 v22, v22, v23
	v_cvt_pkrtz_f16_f32 v23, v24, v25
	;; [unrolled: 1-line block ×4, first 2 shown]
	v_mfma_f32_4x4x4_16b_f16 a[0:3], v[14:15], v[22:23], a[0:3] cbsz:4 abid:5
	v_cvt_pk_f32_fp8_e32 v[22:23], v6
	v_cvt_pk_f32_fp8_e32 v[48:49], v7
	v_mfma_f32_4x4x4_16b_f16 a[0:3], v[16:17], v[24:25], a[0:3] cbsz:4 abid:5
	v_cvt_pk_f32_fp8_sdwa v[24:25], v6 src0_sel:WORD_1
	v_cvt_pk_f32_fp8_sdwa v[6:7], v7 src0_sel:WORD_1
	v_cvt_pkrtz_f16_f32 v22, v22, v23
	v_cvt_pk_f32_fp8_sdwa v[52:53], v26 src0_sel:WORD_1
	v_cvt_pkrtz_f16_f32 v23, v24, v25
	v_cvt_pkrtz_f16_f32 v25, v6, v7
	v_cvt_pk_f32_fp8_e32 v[6:7], v8
	v_mfma_f32_4x4x4_16b_f16 a[0:3], v[14:15], v[22:23], a[0:3] cbsz:4 abid:6
	v_cvt_pk_f32_fp8_sdwa v[22:23], v8 src0_sel:WORD_1
	v_cvt_pkrtz_f16_f32 v24, v48, v49
	v_cvt_pk_f32_fp8_e32 v[48:49], v9
	v_cvt_pk_f32_fp8_sdwa v[8:9], v9 src0_sel:WORD_1
	v_mfma_f32_4x4x4_16b_f16 a[0:3], v[16:17], v[24:25], a[0:3] cbsz:4 abid:6
	v_cvt_pkrtz_f16_f32 v6, v6, v7
	v_cvt_pkrtz_f16_f32 v7, v22, v23
	;; [unrolled: 1-line block ×4, first 2 shown]
	v_mfma_f32_4x4x4_16b_f16 a[0:3], v[14:15], v[6:7], a[0:3] cbsz:4 abid:7
	v_cvt_pk_f32_fp8_e32 v[6:7], v26
	global_load_dwordx4 v[22:25], v[46:47], off
	v_mfma_f32_4x4x4_16b_f16 a[0:3], v[16:17], v[48:49], a[0:3] cbsz:4 abid:7
	v_cvt_pk_f32_fp8_e32 v[48:49], v27
	v_cvt_pkrtz_f16_f32 v26, v6, v7
	global_load_dwordx4 v[6:9], v[46:47], off offset:1024
	v_cvt_pkrtz_f16_f32 v27, v52, v53
	v_cvt_pkrtz_f16_f32 v46, v48, v49
	;; [unrolled: 1-line block ×3, first 2 shown]
	v_mfma_f32_4x4x4_16b_f16 a[0:3], v[14:15], v[26:27], a[0:3] cbsz:4 abid:8
	v_cvt_pk_f32_fp8_e32 v[26:27], v28
	v_cvt_pk_f32_fp8_e32 v[48:49], v29
	v_mfma_f32_4x4x4_16b_f16 a[0:3], v[16:17], v[46:47], a[0:3] cbsz:4 abid:8
	v_cvt_pk_f32_fp8_sdwa v[46:47], v28 src0_sel:WORD_1
	v_cvt_pk_f32_fp8_sdwa v[28:29], v29 src0_sel:WORD_1
	v_cvt_pkrtz_f16_f32 v26, v26, v27
	s_waitcnt vmcnt(6)
	v_cvt_pk_f32_fp8_e32 v[52:53], v13
	v_cvt_pkrtz_f16_f32 v27, v46, v47
	v_cvt_pkrtz_f16_f32 v47, v28, v29
	v_cvt_pk_f32_fp8_sdwa v[28:29], v10 src0_sel:WORD_1
	v_mfma_f32_4x4x4_16b_f16 a[0:3], v[14:15], v[26:27], a[0:3] cbsz:4 abid:9
	v_cvt_pk_f32_fp8_e32 v[26:27], v10
	v_cvt_pkrtz_f16_f32 v46, v48, v49
	v_cvt_pkrtz_f16_f32 v49, v28, v29
	v_cvt_pk_f32_fp8_sdwa v[54:55], v13 src0_sel:WORD_1
	v_mfma_f32_4x4x4_16b_f16 a[0:3], v[16:17], v[46:47], a[0:3] cbsz:4 abid:9
	v_cvt_pk_f32_fp8_e32 v[46:47], v11
	v_cvt_pk_f32_fp8_sdwa v[10:11], v11 src0_sel:WORD_1
	v_cvt_pkrtz_f16_f32 v48, v26, v27
	global_load_dwordx4 v[26:29], v[50:51], off
	v_cvt_pkrtz_f16_f32 v46, v46, v47
	v_mfma_f32_4x4x4_16b_f16 a[0:3], v[14:15], v[48:49], a[0:3] cbsz:4 abid:10
	v_cvt_pkrtz_f16_f32 v47, v10, v11
	v_cvt_pk_f32_fp8_e32 v[48:49], v12
	v_cvt_pkrtz_f16_f32 v48, v48, v49
	v_mfma_f32_4x4x4_16b_f16 a[0:3], v[16:17], v[46:47], a[0:3] cbsz:4 abid:10
	v_cvt_pk_f32_fp8_sdwa v[46:47], v12 src0_sel:WORD_1
	global_load_dwordx4 v[10:13], v[50:51], off offset:1024
	s_waitcnt vmcnt(7)
	v_cvt_pk_f32_fp8_e32 v[50:51], v35
	v_cvt_pkrtz_f16_f32 v49, v46, v47
	v_cvt_pkrtz_f16_f32 v46, v52, v53
	s_nop 0
	v_mfma_f32_4x4x4_16b_f16 a[0:3], v[14:15], v[48:49], a[0:3] cbsz:4 abid:11
	v_cvt_pkrtz_f16_f32 v47, v54, v55
	v_cvt_pk_f32_fp8_sdwa v[48:49], v34 src0_sel:WORD_1
	s_nop 0
	v_mfma_f32_4x4x4_16b_f16 a[0:3], v[16:17], v[46:47], a[0:3] cbsz:4 abid:11
	v_cvt_pk_f32_fp8_e32 v[46:47], v34
	v_cvt_pk_f32_fp8_sdwa v[34:35], v35 src0_sel:WORD_1
	v_cvt_pkrtz_f16_f32 v46, v46, v47
	v_cvt_pkrtz_f16_f32 v47, v48, v49
	;; [unrolled: 1-line block ×3, first 2 shown]
	v_cvt_pk_f32_fp8_e32 v[34:35], v36
	v_mfma_f32_4x4x4_16b_f16 a[0:3], v[14:15], v[46:47], a[0:3] cbsz:4 abid:12
	v_cvt_pk_f32_fp8_sdwa v[46:47], v36 src0_sel:WORD_1
	v_cvt_pkrtz_f16_f32 v48, v50, v51
	v_cvt_pkrtz_f16_f32 v34, v34, v35
	;; [unrolled: 1-line block ×3, first 2 shown]
	v_mfma_f32_4x4x4_16b_f16 a[0:3], v[16:17], v[48:49], a[0:3] cbsz:4 abid:12
	v_cvt_pk_f32_fp8_e32 v[48:49], v37
	v_cvt_pk_f32_fp8_sdwa v[36:37], v37 src0_sel:WORD_1
	v_mfma_f32_4x4x4_16b_f16 a[0:3], v[14:15], v[34:35], a[0:3] cbsz:4 abid:13
	s_waitcnt vmcnt(6)
	v_cvt_pk_f32_fp8_e32 v[34:35], v30
	v_cvt_pkrtz_f16_f32 v46, v48, v49
	v_cvt_pkrtz_f16_f32 v47, v36, v37
	v_cvt_pk_f32_fp8_sdwa v[36:37], v30 src0_sel:WORD_1
	v_cvt_pkrtz_f16_f32 v34, v34, v35
	v_mfma_f32_4x4x4_16b_f16 a[0:3], v[16:17], v[46:47], a[0:3] cbsz:4 abid:13
	v_cvt_pk_f32_fp8_e32 v[46:47], v31
	v_cvt_pk_f32_fp8_sdwa v[30:31], v31 src0_sel:WORD_1
	v_cvt_pkrtz_f16_f32 v35, v36, v37
	v_cvt_pkrtz_f16_f32 v36, v46, v47
	;; [unrolled: 1-line block ×3, first 2 shown]
	v_mfma_f32_4x4x4_16b_f16 a[0:3], v[14:15], v[34:35], a[0:3] cbsz:4 abid:14
	v_cvt_pk_f32_fp8_e32 v[30:31], v32
	v_cvt_pk_f32_fp8_sdwa v[34:35], v32 src0_sel:WORD_1
	v_mfma_f32_4x4x4_16b_f16 a[0:3], v[16:17], v[36:37], a[0:3] cbsz:4 abid:14
	v_cvt_pk_f32_fp8_e32 v[36:37], v33
	v_cvt_pk_f32_fp8_sdwa v[32:33], v33 src0_sel:WORD_1
	v_cvt_pkrtz_f16_f32 v30, v30, v31
	v_cvt_pkrtz_f16_f32 v31, v34, v35
	;; [unrolled: 1-line block ×4, first 2 shown]
	v_mfma_f32_4x4x4_16b_f16 a[0:3], v[14:15], v[30:31], a[0:3] cbsz:4 abid:15
	s_waitcnt lgkmcnt(0)
	v_mov_b32_e32 v14, s0
	v_mfma_f32_4x4x4_16b_f16 a[0:3], v[16:17], v[34:35], a[0:3] cbsz:4 abid:15
	v_mul_f32_e32 v34, s1, v14
	s_nop 3
	v_accvgpr_read_b32 v15, a1
	v_accvgpr_read_b32 v14, a0
	v_pk_mul_f32 v[36:37], v[14:15], v[34:35] op_sel_hi:[1,0]
	global_load_dwordx4 v[30:33], v[40:41], off
	global_load_dwordx4 v[14:17], v[40:41], off offset:1024
	v_accvgpr_read_b32 v41, a3
	v_accvgpr_read_b32 v40, a2
	v_pk_mul_f32 v[34:35], v[40:41], v[34:35] op_sel_hi:[1,0]
	v_mfma_f32_4x4x1_16b_f32 a[0:3], v36, v39, 0
	v_cndmask_b32_e64 v36, 0, 1.0, vcc
	v_cmp_eq_u32_e32 vcc, 2, v43
	s_nop 0
	v_mfma_f32_4x4x1_16b_f32 a[0:3], v37, v36, a[0:3]
	v_cndmask_b32_e64 v36, 0, 1.0, vcc
	v_cmp_eq_u32_e32 vcc, 3, v43
	s_nop 0
	v_mfma_f32_4x4x1_16b_f32 a[0:3], v34, v36, a[0:3]
	v_cndmask_b32_e64 v34, 0, 1.0, vcc
	s_nop 1
	v_mfma_f32_4x4x1_16b_f32 a[0:3], v35, v34, a[0:3]
	v_and_b32_e32 v34, -4, v44
	v_subrev_u32_e32 v35, s3, v34
	v_add_u32_e32 v36, 1, v35
	v_cvt_f32_i32_e32 v36, v36
	v_add_u32_e32 v37, 2, v35
	v_cvt_f32_i32_e32 v37, v37
	v_accvgpr_read_b32 v39, a0
	v_fma_f32 v36, v38, v36, v39
	v_accvgpr_read_b32 v39, a1
	v_fma_f32 v37, v38, v37, v39
	v_add_u32_e32 v39, 3, v35
	v_add_u32_e32 v35, 4, v35
	v_cvt_f32_i32_e32 v39, v39
	v_cvt_f32_i32_e32 v35, v35
	v_accvgpr_read_b32 v40, a2
	v_accvgpr_read_b32 v41, a3
	v_fma_f32 v40, v38, v39, v40
	v_fmac_f32_e32 v41, v38, v35
	v_max_f32_e32 v38, 0xff7fffff, v36
	v_mov_b32_e32 v39, 0xff7fffff
	v_cmp_gt_i32_e32 vcc, s3, v34
	v_lshlrev_b32_e32 v35, 2, v0
	v_and_or_b32 v35, v35, 48, v43
	v_cndmask_b32_e32 v38, v39, v38, vcc
	v_or_b32_e32 v39, 1, v34
	v_max_f32_e32 v45, v38, v37
	v_cmp_gt_i32_e64 s[0:1], s3, v39
	v_or_b32_e32 v34, 2, v34
	v_cmp_gt_i32_e64 s[8:9], s3, v34
	v_cndmask_b32_e64 v38, v38, v45, s[0:1]
	v_max_f32_e32 v39, v38, v40
	v_cndmask_b32_e64 v34, v38, v39, s[8:9]
	v_or_b32_e32 v38, 3, v44
	v_max_f32_e32 v39, v34, v41
	v_cmp_gt_i32_e64 s[10:11], s3, v38
	v_lshlrev_b32_e32 v38, 2, v35
	s_nop 0
	v_cndmask_b32_e64 v34, v34, v39, s[10:11]
	;;#ASMSTART
	v_nop
 v_nop
 v_max_f32_dpp v34, v34, v34 row_ror:4
	;;#ASMEND
	s_nop 0
	;;#ASMSTART
	v_nop
 v_nop
 v_max_f32_dpp v34, v34, v34 row_ror:8
	;;#ASMEND
	ds_bpermute_b32 v34, v38, v34
	s_waitcnt lgkmcnt(0)
	;;#ASMSTART
	v_nop
 v_nop
 v_max_f32_dpp v34, v34, v34 row_ror:4
	;;#ASMEND
	s_nop 0
	;;#ASMSTART
	v_nop
 v_nop
 v_max_f32_dpp v39, v34, v34 row_ror:8
	;;#ASMEND
	s_nop 0
	v_sub_f32_e32 v34, v36, v39
	v_mul_f32_e32 v34, 0x3fb8aa3b, v34
	v_sub_f32_e32 v35, v37, v39
	v_exp_f32_e32 v34, v34
	v_mul_f32_e32 v35, 0x3fb8aa3b, v35
	v_sub_f32_e32 v37, v40, v39
	v_exp_f32_e32 v35, v35
	;; [unrolled: 3-line block ×3, first 2 shown]
	v_mul_f32_e32 v40, 0x3fb8aa3b, v40
	v_exp_f32_e32 v40, v40
	v_cndmask_b32_e32 v34, 0, v34, vcc
	v_add_f32_e32 v36, 0, v34
	v_cndmask_b32_e64 v35, 0, v35, s[0:1]
	v_add_f32_e32 v41, v36, v35
	v_cndmask_b32_e64 v36, 0, v37, s[8:9]
	;; [unrolled: 2-line block ×3, first 2 shown]
	v_add_f32_e32 v40, v41, v37
	;;#ASMSTART
	v_nop
 v_nop
 v_add_f32_dpp v40, v40, v40 row_ror:4
	;;#ASMEND
	v_cmp_gt_u32_e32 vcc, 4, v1
	;;#ASMSTART
	v_nop
 v_nop
 v_add_f32_dpp v40, v40, v40 row_ror:8
	;;#ASMEND
	ds_bpermute_b32 v38, v38, v40
	s_waitcnt lgkmcnt(0)
	;;#ASMSTART
	v_nop
 v_nop
 v_add_f32_dpp v38, v38, v38 row_ror:4
	;;#ASMEND
	s_nop 0
	;;#ASMSTART
	v_nop
 v_nop
 v_add_f32_dpp v38, v38, v38 row_ror:8
	;;#ASMEND
	s_and_saveexec_b64 s[0:1], vcc
	s_cbranch_execz .LBB928_18
; %bb.17:
	v_mul_u32_u24_e32 v40, 20, v42
	v_lshl_add_u32 v40, v43, 2, v40
	v_add_u32_e32 v40, 0x1400, v40
	ds_write2_b32 v40, v39, v38 offset1:20
.LBB928_18:
	s_or_b64 exec, exec, s[0:1]
.LBB928_19:
	s_or_b64 exec, exec, s[26:27]
	s_waitcnt lgkmcnt(0)
	s_barrier
	s_load_dword s0, s[24:25], 0x8
	v_lshlrev_b32_e32 v38, 2, v43
	v_add_u32_e32 v41, 0x1400, v38
	ds_read2_b32 v[44:45], v41 offset1:5
	ds_read2_b32 v[46:47], v41 offset0:10 offset1:15
	s_mul_i32 s1, s33, s2
	s_waitcnt lgkmcnt(0)
	s_mul_i32 s0, s1, s0
	s_mov_b32 s1, 0xff7fffff
	v_max3_f32 v38, v44, s1, v45
	v_max3_f32 v40, v38, v46, v47
	v_sub_f32_e32 v38, v44, v40
	v_sub_f32_e32 v44, v45, v40
	v_mul_f32_e32 v44, 0x3fb8aa3b, v44
	ds_read2_b32 v[48:49], v41 offset0:20 offset1:25
	v_mul_f32_e32 v38, 0x3fb8aa3b, v38
	v_exp_f32_e32 v51, v44
	ds_read2_b32 v[44:45], v41 offset0:30 offset1:35
	v_sub_f32_e32 v41, v46, v40
	v_exp_f32_e32 v50, v38
	v_mul_f32_e32 v41, 0x3fb8aa3b, v41
	v_exp_f32_e32 v46, v41
	v_sub_f32_e32 v41, v47, v40
	v_mul_f32_e32 v41, 0x3fb8aa3b, v41
	v_exp_f32_e32 v47, v41
	s_waitcnt lgkmcnt(1)
	v_fma_f32 v41, v50, v48, 0
	v_fmac_f32_e32 v41, v51, v49
	s_waitcnt lgkmcnt(0)
	v_fmac_f32_e32 v41, v46, v44
	v_mov_b32_e32 v38, 0
	v_fmac_f32_e32 v41, v47, v45
	s_mov_b32 s1, 0
	v_cmp_eq_u32_e32 vcc, 0, v43
	s_and_saveexec_b64 s[2:3], vcc
	s_cbranch_execz .LBB928_21
; %bb.20:
	s_lshl_b64 s[8:9], s[0:1], 2
	s_add_u32 s5, s16, s8
	s_mov_b32 s21, s1
	s_addc_u32 s12, s17, s9
	s_lshl_b64 s[10:11], s[20:21], 2
	s_add_u32 s5, s5, s10
	s_addc_u32 s12, s12, s11
	s_add_u32 s8, s18, s8
	s_addc_u32 s9, s19, s9
	;; [unrolled: 2-line block ×3, first 2 shown]
	s_mul_i32 s8, s33, s4
	s_mov_b32 s9, s1
	s_lshl_b64 s[8:9], s[8:9], 2
	s_add_u32 s10, s5, s8
	s_addc_u32 s11, s12, s9
	s_add_u32 s8, s13, s8
	s_addc_u32 s9, s16, s9
	global_store_dword v38, v40, s[8:9]
	global_store_dword v38, v41, s[10:11]
.LBB928_21:
	s_or_b64 exec, exec, s[2:3]
	v_lshlrev_b32_e32 v38, 3, v42
	s_and_saveexec_b64 s[2:3], s[6:7]
	s_xor_b64 s[2:3], exec, s[2:3]
	s_cbranch_execz .LBB928_23
; %bb.22:
	s_mov_b32 s6, 0
	s_mov_b32 s7, s6
	s_waitcnt vmcnt(6)
	v_mad_u32_u24 v4, v1, 40, v38
	v_mov_b64_e32 v[2:3], s[6:7]
	ds_write2st64_b64 v4, v[2:3], v[2:3] offset1:5
                                        ; implicit-def: $vgpr37
                                        ; implicit-def: $vgpr35
                                        ; implicit-def: $vgpr39
                                        ; implicit-def: $vgpr18_vgpr19
                                        ; implicit-def: $vgpr22_vgpr23
                                        ; implicit-def: $vgpr26_vgpr27
                                        ; implicit-def: $vgpr30_vgpr31
                                        ; implicit-def: $vgpr2_vgpr3
                                        ; implicit-def: $vgpr6_vgpr7
                                        ; implicit-def: $vgpr10_vgpr11
                                        ; implicit-def: $vgpr14_vgpr15
                                        ; implicit-def: $vgpr40
                                        ; implicit-def: $vgpr41
                                        ; implicit-def: $vgpr38
.LBB928_23:
	s_andn2_saveexec_b64 s[2:3], s[2:3]
	s_cbranch_execz .LBB928_25
; %bb.24:
	v_add_f32_e32 v41, 0x358637bd, v41
	v_div_scale_f32 v42, s[6:7], v41, v41, 1.0
	v_rcp_f32_e32 v43, v42
	v_sub_f32_e32 v39, v39, v40
	v_mul_f32_e32 v39, 0x3fb8aa3b, v39
	v_exp_f32_e32 v39, v39
	v_fma_f32 v40, -v42, v43, 1.0
	v_fmac_f32_e32 v43, v40, v43
	v_div_scale_f32 v40, vcc, 1.0, v41, 1.0
	v_mul_f32_e32 v44, v40, v43
	v_fma_f32 v45, -v42, v44, v40
	v_fmac_f32_e32 v44, v45, v43
	v_fma_f32 v40, -v42, v44, v40
	v_div_fmas_f32 v40, v40, v43, v44
	v_div_fixup_f32 v40, v40, v41, 1.0
	v_mul_f32_e32 v40, v39, v40
	v_pk_mul_f32 v[36:37], v[36:37], v[40:41] op_sel_hi:[1,0]
	v_pk_mul_f32 v[34:35], v[34:35], v[40:41] op_sel_hi:[1,0]
	v_cvt_f16_f32_e32 v36, v36
	v_cvt_f16_f32_e32 v34, v34
	;; [unrolled: 1-line block ×4, first 2 shown]
	s_waitcnt vmcnt(7)
	v_cvt_pk_f32_fp8_sdwa v[40:41], v18 src0_sel:WORD_1
	v_cvt_pk_f32_fp8_e32 v[42:43], v19
	v_pack_b32_f16 v34, v34, v35
	v_pack_b32_f16 v35, v36, v37
	v_cvt_pk_f32_fp8_e32 v[36:37], v18
	v_cvt_pk_f32_fp8_sdwa v[18:19], v19 src0_sel:WORD_1
	s_load_dword s6, s[14:15], 0x0
	v_cvt_pkrtz_f16_f32 v36, v36, v37
	v_cvt_pkrtz_f16_f32 v37, v40, v41
	;; [unrolled: 1-line block ×4, first 2 shown]
	v_mfma_f32_4x4x4_16b_f16 a[0:3], v[34:35], v[36:37], 0 cbsz:4
	v_cvt_pk_f32_fp8_e32 v[18:19], v20
	v_cvt_pk_f32_fp8_sdwa v[36:37], v20 src0_sel:WORD_1
	v_mfma_f32_4x4x4_16b_f16 a[0:3], v[34:35], v[40:41], a[0:3] cbsz:4 abid:1
	v_cvt_pk_f32_fp8_e32 v[40:41], v21
	v_cvt_pk_f32_fp8_sdwa v[20:21], v21 src0_sel:WORD_1
	v_cvt_pkrtz_f16_f32 v18, v18, v19
	v_cvt_pkrtz_f16_f32 v19, v36, v37
	;; [unrolled: 1-line block ×4, first 2 shown]
	v_mfma_f32_4x4x4_16b_f16 a[0:3], v[34:35], v[18:19], a[0:3] cbsz:4 abid:2
	s_waitcnt vmcnt(5)
	v_cvt_pk_f32_fp8_e32 v[18:19], v22
	v_cvt_pk_f32_fp8_sdwa v[20:21], v22 src0_sel:WORD_1
	v_mfma_f32_4x4x4_16b_f16 a[0:3], v[34:35], v[36:37], a[0:3] cbsz:4 abid:3
	v_cvt_pk_f32_fp8_e32 v[36:37], v23
	v_cvt_pk_f32_fp8_sdwa v[22:23], v23 src0_sel:WORD_1
	v_cvt_pkrtz_f16_f32 v18, v18, v19
	v_cvt_pkrtz_f16_f32 v19, v20, v21
	;; [unrolled: 1-line block ×4, first 2 shown]
	v_mfma_f32_4x4x4_16b_f16 a[0:3], v[34:35], v[18:19], a[0:3] cbsz:4 abid:4
	v_cvt_pk_f32_fp8_e32 v[18:19], v24
	v_cvt_pk_f32_fp8_e32 v[22:23], v25
	v_mfma_f32_4x4x4_16b_f16 a[0:3], v[34:35], v[20:21], a[0:3] cbsz:4 abid:5
	v_cvt_pk_f32_fp8_sdwa v[20:21], v24 src0_sel:WORD_1
	v_cvt_pk_f32_fp8_sdwa v[24:25], v25 src0_sel:WORD_1
	v_cvt_pkrtz_f16_f32 v18, v18, v19
	v_cvt_pkrtz_f16_f32 v19, v20, v21
	;; [unrolled: 1-line block ×3, first 2 shown]
	s_nop 0
	v_mfma_f32_4x4x4_16b_f16 a[0:3], v[34:35], v[18:19], a[0:3] cbsz:4 abid:6
	v_cvt_pkrtz_f16_f32 v21, v24, v25
	s_waitcnt vmcnt(3)
	v_cvt_pk_f32_fp8_e32 v[18:19], v26
	v_cvt_pk_f32_fp8_e32 v[22:23], v27
	v_mfma_f32_4x4x4_16b_f16 a[0:3], v[34:35], v[20:21], a[0:3] cbsz:4 abid:7
	v_cvt_pk_f32_fp8_sdwa v[20:21], v26 src0_sel:WORD_1
	v_cvt_pk_f32_fp8_sdwa v[24:25], v27 src0_sel:WORD_1
	v_cvt_pkrtz_f16_f32 v18, v18, v19
	v_cvt_pkrtz_f16_f32 v19, v20, v21
	;; [unrolled: 1-line block ×3, first 2 shown]
	s_nop 0
	v_mfma_f32_4x4x4_16b_f16 a[0:3], v[34:35], v[18:19], a[0:3] cbsz:4 abid:8
	v_cvt_pkrtz_f16_f32 v21, v24, v25
	v_cvt_pk_f32_fp8_e32 v[18:19], v28
	v_cvt_pk_f32_fp8_e32 v[22:23], v29
	v_mfma_f32_4x4x4_16b_f16 a[0:3], v[34:35], v[20:21], a[0:3] cbsz:4 abid:9
	v_cvt_pk_f32_fp8_sdwa v[20:21], v28 src0_sel:WORD_1
	v_cvt_pk_f32_fp8_sdwa v[24:25], v29 src0_sel:WORD_1
	v_cvt_pkrtz_f16_f32 v18, v18, v19
	v_cvt_pkrtz_f16_f32 v19, v20, v21
	;; [unrolled: 1-line block ×3, first 2 shown]
	s_nop 0
	v_mfma_f32_4x4x4_16b_f16 a[0:3], v[34:35], v[18:19], a[0:3] cbsz:4 abid:10
	v_cvt_pkrtz_f16_f32 v21, v24, v25
	s_waitcnt vmcnt(1)
	v_cvt_pk_f32_fp8_e32 v[18:19], v30
	v_cvt_pk_f32_fp8_e32 v[22:23], v31
	v_mfma_f32_4x4x4_16b_f16 a[0:3], v[34:35], v[20:21], a[0:3] cbsz:4 abid:11
	v_cvt_pk_f32_fp8_sdwa v[20:21], v30 src0_sel:WORD_1
	v_cvt_pk_f32_fp8_sdwa v[24:25], v31 src0_sel:WORD_1
	v_cvt_pkrtz_f16_f32 v18, v18, v19
	v_cvt_pkrtz_f16_f32 v19, v20, v21
	;; [unrolled: 1-line block ×3, first 2 shown]
	s_nop 0
	v_mfma_f32_4x4x4_16b_f16 a[0:3], v[34:35], v[18:19], a[0:3] cbsz:4 abid:12
	v_cvt_pkrtz_f16_f32 v21, v24, v25
	v_cvt_pk_f32_fp8_e32 v[18:19], v32
	v_cvt_pk_f32_fp8_e32 v[22:23], v33
	v_mfma_f32_4x4x4_16b_f16 a[0:3], v[34:35], v[20:21], a[0:3] cbsz:4 abid:13
	v_cvt_pk_f32_fp8_sdwa v[20:21], v32 src0_sel:WORD_1
	v_cvt_pk_f32_fp8_sdwa v[24:25], v33 src0_sel:WORD_1
	v_cvt_pkrtz_f16_f32 v18, v18, v19
	v_cvt_pkrtz_f16_f32 v19, v20, v21
	;; [unrolled: 1-line block ×3, first 2 shown]
	s_nop 0
	v_mfma_f32_4x4x4_16b_f16 a[0:3], v[34:35], v[18:19], a[0:3] cbsz:4 abid:14
	v_cvt_pkrtz_f16_f32 v21, v24, v25
	v_cvt_pk_f32_fp8_sdwa v[22:23], v2 src0_sel:WORD_1
	v_cvt_pk_f32_fp8_e32 v[24:25], v3
	v_mfma_f32_4x4x4_16b_f16 a[0:3], v[34:35], v[20:21], a[0:3] cbsz:4 abid:15
	s_nop 4
	v_accvgpr_read_b32 v19, a1
	v_accvgpr_read_b32 v18, a0
	s_waitcnt lgkmcnt(0)
	v_pk_mul_f32 v[18:19], v[18:19], s[6:7] op_sel_hi:[1,0]
	s_nop 0
	v_cvt_f16_f32_e32 v20, v18
	v_cvt_f16_f32_e32 v21, v19
	v_accvgpr_read_b32 v19, a3
	v_accvgpr_read_b32 v18, a2
	v_pk_mul_f32 v[18:19], v[18:19], s[6:7] op_sel_hi:[1,0]
	v_pack_b32_f16 v20, v20, v21
	v_cvt_f16_f32_e32 v21, v18
	v_cvt_f16_f32_e32 v26, v19
	v_cvt_pk_f32_fp8_e32 v[18:19], v2
	v_cvt_pk_f32_fp8_sdwa v[2:3], v3 src0_sel:WORD_1
	v_pack_b32_f16 v21, v21, v26
	v_cvt_pkrtz_f16_f32 v18, v18, v19
	v_cvt_pkrtz_f16_f32 v19, v22, v23
	;; [unrolled: 1-line block ×4, first 2 shown]
	v_mfma_f32_4x4x4_16b_f16 a[0:3], v[34:35], v[18:19], 0 cbsz:4
	v_cvt_pk_f32_fp8_e32 v[2:3], v4
	v_cvt_pk_f32_fp8_sdwa v[18:19], v4 src0_sel:WORD_1
	v_mfma_f32_4x4x4_16b_f16 a[0:3], v[34:35], v[22:23], a[0:3] cbsz:4 abid:1
	v_cvt_pk_f32_fp8_e32 v[22:23], v5
	v_cvt_pk_f32_fp8_sdwa v[4:5], v5 src0_sel:WORD_1
	v_cvt_pkrtz_f16_f32 v2, v2, v3
	v_cvt_pkrtz_f16_f32 v3, v18, v19
	;; [unrolled: 1-line block ×4, first 2 shown]
	v_mfma_f32_4x4x4_16b_f16 a[0:3], v[34:35], v[2:3], a[0:3] cbsz:4 abid:2
	v_cvt_pk_f32_fp8_e32 v[2:3], v6
	v_cvt_pk_f32_fp8_sdwa v[4:5], v6 src0_sel:WORD_1
	v_mfma_f32_4x4x4_16b_f16 a[0:3], v[34:35], v[18:19], a[0:3] cbsz:4 abid:3
	v_cvt_pk_f32_fp8_e32 v[18:19], v7
	v_cvt_pk_f32_fp8_sdwa v[6:7], v7 src0_sel:WORD_1
	v_cvt_pkrtz_f16_f32 v2, v2, v3
	v_cvt_pkrtz_f16_f32 v3, v4, v5
	;; [unrolled: 1-line block ×4, first 2 shown]
	v_mfma_f32_4x4x4_16b_f16 a[0:3], v[34:35], v[2:3], a[0:3] cbsz:4 abid:4
	v_cvt_pk_f32_fp8_e32 v[2:3], v8
	v_cvt_pk_f32_fp8_e32 v[6:7], v9
	v_mfma_f32_4x4x4_16b_f16 a[0:3], v[34:35], v[4:5], a[0:3] cbsz:4 abid:5
	v_cvt_pk_f32_fp8_sdwa v[4:5], v8 src0_sel:WORD_1
	v_cvt_pk_f32_fp8_sdwa v[8:9], v9 src0_sel:WORD_1
	v_cvt_pkrtz_f16_f32 v2, v2, v3
	v_cvt_pkrtz_f16_f32 v3, v4, v5
	v_cvt_pkrtz_f16_f32 v4, v6, v7
	s_nop 0
	v_mfma_f32_4x4x4_16b_f16 a[0:3], v[34:35], v[2:3], a[0:3] cbsz:4 abid:6
	v_cvt_pkrtz_f16_f32 v5, v8, v9
	v_cvt_pk_f32_fp8_e32 v[2:3], v10
	v_cvt_pk_f32_fp8_e32 v[6:7], v11
	v_mfma_f32_4x4x4_16b_f16 a[0:3], v[34:35], v[4:5], a[0:3] cbsz:4 abid:7
	v_cvt_pk_f32_fp8_sdwa v[4:5], v10 src0_sel:WORD_1
	v_cvt_pk_f32_fp8_sdwa v[8:9], v11 src0_sel:WORD_1
	v_cvt_pkrtz_f16_f32 v2, v2, v3
	v_cvt_pkrtz_f16_f32 v3, v4, v5
	v_cvt_pkrtz_f16_f32 v4, v6, v7
	s_nop 0
	v_mfma_f32_4x4x4_16b_f16 a[0:3], v[34:35], v[2:3], a[0:3] cbsz:4 abid:8
	v_cvt_pkrtz_f16_f32 v5, v8, v9
	;; [unrolled: 11-line block ×3, first 2 shown]
	s_waitcnt vmcnt(0)
	v_cvt_pk_f32_fp8_e32 v[2:3], v14
	v_cvt_pk_f32_fp8_e32 v[6:7], v15
	v_mfma_f32_4x4x4_16b_f16 a[0:3], v[34:35], v[4:5], a[0:3] cbsz:4 abid:11
	v_cvt_pk_f32_fp8_sdwa v[4:5], v14 src0_sel:WORD_1
	v_cvt_pk_f32_fp8_sdwa v[8:9], v15 src0_sel:WORD_1
	v_cvt_pkrtz_f16_f32 v2, v2, v3
	v_cvt_pkrtz_f16_f32 v3, v4, v5
	v_cvt_pkrtz_f16_f32 v4, v6, v7
	s_nop 0
	v_mfma_f32_4x4x4_16b_f16 a[0:3], v[34:35], v[2:3], a[0:3] cbsz:4 abid:12
	v_cvt_pkrtz_f16_f32 v5, v8, v9
	v_cvt_pk_f32_fp8_e32 v[2:3], v16
	v_cvt_pk_f32_fp8_e32 v[6:7], v17
	v_mfma_f32_4x4x4_16b_f16 a[0:3], v[34:35], v[4:5], a[0:3] cbsz:4 abid:13
	v_cvt_pk_f32_fp8_sdwa v[4:5], v16 src0_sel:WORD_1
	v_cvt_pk_f32_fp8_sdwa v[8:9], v17 src0_sel:WORD_1
	v_cvt_pkrtz_f16_f32 v2, v2, v3
	v_cvt_pkrtz_f16_f32 v3, v4, v5
	;; [unrolled: 1-line block ×3, first 2 shown]
	s_nop 0
	v_mfma_f32_4x4x4_16b_f16 a[0:3], v[34:35], v[2:3], a[0:3] cbsz:4 abid:14
	v_cvt_pkrtz_f16_f32 v5, v8, v9
	v_mad_u32_u24 v7, v1, 40, v38
	s_nop 0
	v_mfma_f32_4x4x4_16b_f16 a[0:3], v[34:35], v[4:5], a[0:3] cbsz:4 abid:15
	s_nop 4
	v_accvgpr_read_b32 v5, a1
	v_accvgpr_read_b32 v3, a3
	;; [unrolled: 1-line block ×4, first 2 shown]
	v_pk_mul_f32 v[2:3], v[2:3], s[6:7] op_sel_hi:[1,0]
	v_pk_mul_f32 v[4:5], v[4:5], s[6:7] op_sel_hi:[1,0]
	v_cvt_f16_f32_e32 v6, v2
	v_cvt_f16_f32_e32 v4, v4
	;; [unrolled: 1-line block ×4, first 2 shown]
	v_pack_b32_f16 v2, v4, v5
	v_pack_b32_f16 v3, v6, v3
	ds_write2st64_b64 v7, v[20:21], v[2:3] offset1:5
.LBB928_25:
	s_or_b64 exec, exec, s[2:3]
	v_cmp_gt_u32_e32 vcc, 64, v0
	s_waitcnt lgkmcnt(0)
	s_barrier
	s_and_saveexec_b64 s[2:3], vcc
	s_cbranch_execz .LBB928_27
; %bb.26:
	s_waitcnt vmcnt(6)
	v_mov_b32_e32 v2, 0xa00
	v_mad_u32_u24 v2, v1, 40, v2
	s_waitcnt vmcnt(4)
	v_mov_b32_e32 v6, 0xa10
	ds_read2_b64 v[2:5], v2 offset1:1
	s_waitcnt lgkmcnt(0)
	v_mad_u32_u24 v3, v1, 40, v6
	ds_read2_b64 v[6:9], v3 offset1:1
	v_mul_u32_u24_e32 v1, 40, v1
	s_lshl_b32 s0, s0, 7
	v_pk_add_f16 v2, v2, 0
	s_lshl_b64 s[2:3], s[0:1], 1
	v_pk_add_f16 v2, v2, v4
	s_add_u32 s2, s22, s2
	s_waitcnt lgkmcnt(0)
	v_pk_add_f16 v2, v2, v6
	s_addc_u32 s3, s23, s3
	s_waitcnt vmcnt(2)
	v_pk_add_f16 v10, v2, v8
	ds_read2_b64 v[2:5], v1 offset1:1
	ds_read2_b64 v[6:9], v1 offset0:2 offset1:3
	s_lshl_b32 s0, s20, 7
	s_lshl_b64 s[0:1], s[0:1], 1
	s_add_u32 s0, s2, s0
	s_waitcnt lgkmcnt(1)
	v_pk_add_f16 v2, v2, 0
	s_mul_i32 s2, s4, s33
	v_pk_add_f16 v2, v2, v4
	s_addc_u32 s1, s3, s1
	v_lshl_or_b32 v0, s2, 7, v0
	v_mov_b32_e32 v1, 0
	s_waitcnt lgkmcnt(0)
	v_pk_add_f16 v2, v2, v6
	v_lshl_add_u64 v[0:1], v[0:1], 1, s[0:1]
	v_pk_add_f16 v2, v2, v8
	global_store_short v[0:1], v2, off
	global_store_short v[0:1], v10, off offset:128
.LBB928_27:
	s_endpgm
	.section	.rodata,"a",@progbits
	.p2align	6, 0x0
	.amdhsa_kernel _Z38paged_attention_ll4mi_QKV_mfma4_kernelIDF16_hLN4vllm18Fp8KVCacheDataTypeE1EhLi16ELi128ELi256ELb1ELi1EEvPKT_PKT0_S7_ifPKiS9_S9_iPKfiiiPfSC_PS2_PT2_iSB_SB_
		.amdhsa_group_segment_fixed_size 5280
		.amdhsa_private_segment_fixed_size 0
		.amdhsa_kernarg_size 400
		.amdhsa_user_sgpr_count 2
		.amdhsa_user_sgpr_dispatch_ptr 0
		.amdhsa_user_sgpr_queue_ptr 0
		.amdhsa_user_sgpr_kernarg_segment_ptr 1
		.amdhsa_user_sgpr_dispatch_id 0
		.amdhsa_user_sgpr_kernarg_preload_length 0
		.amdhsa_user_sgpr_kernarg_preload_offset 0
		.amdhsa_user_sgpr_private_segment_size 0
		.amdhsa_uses_dynamic_stack 0
		.amdhsa_enable_private_segment 0
		.amdhsa_system_sgpr_workgroup_id_x 1
		.amdhsa_system_sgpr_workgroup_id_y 1
		.amdhsa_system_sgpr_workgroup_id_z 1
		.amdhsa_system_sgpr_workgroup_info 0
		.amdhsa_system_vgpr_workitem_id 0
		.amdhsa_next_free_vgpr 60
		.amdhsa_next_free_sgpr 42
		.amdhsa_accum_offset 56
		.amdhsa_reserve_vcc 1
		.amdhsa_float_round_mode_32 0
		.amdhsa_float_round_mode_16_64 0
		.amdhsa_float_denorm_mode_32 3
		.amdhsa_float_denorm_mode_16_64 3
		.amdhsa_dx10_clamp 1
		.amdhsa_ieee_mode 1
		.amdhsa_fp16_overflow 0
		.amdhsa_tg_split 0
		.amdhsa_exception_fp_ieee_invalid_op 0
		.amdhsa_exception_fp_denorm_src 0
		.amdhsa_exception_fp_ieee_div_zero 0
		.amdhsa_exception_fp_ieee_overflow 0
		.amdhsa_exception_fp_ieee_underflow 0
		.amdhsa_exception_fp_ieee_inexact 0
		.amdhsa_exception_int_div_zero 0
	.end_amdhsa_kernel
	.section	.text._Z38paged_attention_ll4mi_QKV_mfma4_kernelIDF16_hLN4vllm18Fp8KVCacheDataTypeE1EhLi16ELi128ELi256ELb1ELi1EEvPKT_PKT0_S7_ifPKiS9_S9_iPKfiiiPfSC_PS2_PT2_iSB_SB_,"axG",@progbits,_Z38paged_attention_ll4mi_QKV_mfma4_kernelIDF16_hLN4vllm18Fp8KVCacheDataTypeE1EhLi16ELi128ELi256ELb1ELi1EEvPKT_PKT0_S7_ifPKiS9_S9_iPKfiiiPfSC_PS2_PT2_iSB_SB_,comdat
.Lfunc_end928:
	.size	_Z38paged_attention_ll4mi_QKV_mfma4_kernelIDF16_hLN4vllm18Fp8KVCacheDataTypeE1EhLi16ELi128ELi256ELb1ELi1EEvPKT_PKT0_S7_ifPKiS9_S9_iPKfiiiPfSC_PS2_PT2_iSB_SB_, .Lfunc_end928-_Z38paged_attention_ll4mi_QKV_mfma4_kernelIDF16_hLN4vllm18Fp8KVCacheDataTypeE1EhLi16ELi128ELi256ELb1ELi1EEvPKT_PKT0_S7_ifPKiS9_S9_iPKfiiiPfSC_PS2_PT2_iSB_SB_
                                        ; -- End function
	.section	.AMDGPU.csdata,"",@progbits
; Kernel info:
; codeLenInByte = 5444
; NumSgprs: 48
; NumVgprs: 56
; NumAgprs: 4
; TotalNumVgprs: 60
; ScratchSize: 0
; MemoryBound: 0
; FloatMode: 240
; IeeeMode: 1
; LDSByteSize: 5280 bytes/workgroup (compile time only)
; SGPRBlocks: 5
; VGPRBlocks: 7
; NumSGPRsForWavesPerEU: 48
; NumVGPRsForWavesPerEU: 60
; AccumOffset: 56
; Occupancy: 8
; WaveLimiterHint : 1
; COMPUTE_PGM_RSRC2:SCRATCH_EN: 0
; COMPUTE_PGM_RSRC2:USER_SGPR: 2
; COMPUTE_PGM_RSRC2:TRAP_HANDLER: 0
; COMPUTE_PGM_RSRC2:TGID_X_EN: 1
; COMPUTE_PGM_RSRC2:TGID_Y_EN: 1
; COMPUTE_PGM_RSRC2:TGID_Z_EN: 1
; COMPUTE_PGM_RSRC2:TIDIG_COMP_CNT: 0
; COMPUTE_PGM_RSRC3_GFX90A:ACCUM_OFFSET: 13
; COMPUTE_PGM_RSRC3_GFX90A:TG_SPLIT: 0
	.section	.text._Z38paged_attention_ll4mi_QKV_mfma4_kernelIDF16_hLN4vllm18Fp8KVCacheDataTypeE1EhLi16ELi128ELi256ELb1ELi2EEvPKT_PKT0_S7_ifPKiS9_S9_iPKfiiiPfSC_PS2_PT2_iSB_SB_,"axG",@progbits,_Z38paged_attention_ll4mi_QKV_mfma4_kernelIDF16_hLN4vllm18Fp8KVCacheDataTypeE1EhLi16ELi128ELi256ELb1ELi2EEvPKT_PKT0_S7_ifPKiS9_S9_iPKfiiiPfSC_PS2_PT2_iSB_SB_,comdat
	.protected	_Z38paged_attention_ll4mi_QKV_mfma4_kernelIDF16_hLN4vllm18Fp8KVCacheDataTypeE1EhLi16ELi128ELi256ELb1ELi2EEvPKT_PKT0_S7_ifPKiS9_S9_iPKfiiiPfSC_PS2_PT2_iSB_SB_ ; -- Begin function _Z38paged_attention_ll4mi_QKV_mfma4_kernelIDF16_hLN4vllm18Fp8KVCacheDataTypeE1EhLi16ELi128ELi256ELb1ELi2EEvPKT_PKT0_S7_ifPKiS9_S9_iPKfiiiPfSC_PS2_PT2_iSB_SB_
	.globl	_Z38paged_attention_ll4mi_QKV_mfma4_kernelIDF16_hLN4vllm18Fp8KVCacheDataTypeE1EhLi16ELi128ELi256ELb1ELi2EEvPKT_PKT0_S7_ifPKiS9_S9_iPKfiiiPfSC_PS2_PT2_iSB_SB_
	.p2align	8
	.type	_Z38paged_attention_ll4mi_QKV_mfma4_kernelIDF16_hLN4vllm18Fp8KVCacheDataTypeE1EhLi16ELi128ELi256ELb1ELi2EEvPKT_PKT0_S7_ifPKiS9_S9_iPKfiiiPfSC_PS2_PT2_iSB_SB_,@function
_Z38paged_attention_ll4mi_QKV_mfma4_kernelIDF16_hLN4vllm18Fp8KVCacheDataTypeE1EhLi16ELi128ELi256ELb1ELi2EEvPKT_PKT0_S7_ifPKiS9_S9_iPKfiiiPfSC_PS2_PT2_iSB_SB_: ; @_Z38paged_attention_ll4mi_QKV_mfma4_kernelIDF16_hLN4vllm18Fp8KVCacheDataTypeE1EhLi16ELi128ELi256ELb1ELi2EEvPKT_PKT0_S7_ifPKiS9_S9_iPKfiiiPfSC_PS2_PT2_iSB_SB_
; %bb.0:
	s_load_dwordx2 s[16:17], s[0:1], 0x30
	s_mov_b32 s20, s3
	s_mov_b64 s[6:7], 0
	s_waitcnt lgkmcnt(0)
	s_cmp_lg_u64 s[16:17], 0
	s_cselect_b64 s[18:19], -1, 0
	s_and_b64 vcc, exec, s[18:19]
	s_cbranch_vccz .LBB929_10
; %bb.1:
	s_add_i32 s8, s2, 1
	s_mov_b32 s9, 0
	s_lshl_b64 s[10:11], s[8:9], 2
	s_add_u32 s10, s16, s10
	s_mov_b32 s3, s9
	s_addc_u32 s11, s17, s11
	s_lshl_b64 s[8:9], s[2:3], 2
	s_add_u32 s8, s16, s8
	s_addc_u32 s9, s17, s9
	s_load_dword s5, s[10:11], 0x0
	s_load_dword s12, s[8:9], 0x0
	s_waitcnt lgkmcnt(0)
	s_sub_i32 s5, s5, s12
	s_cmp_eq_u32 s5, 1
	s_cselect_b64 s[8:9], -1, 0
	s_andn2_b64 vcc, exec, s[6:7]
	s_cbranch_vccnz .LBB929_3
.LBB929_2:
	s_mov_b32 s3, 0
	s_mov_b64 s[8:9], -1
.LBB929_3:
	s_andn2_b64 vcc, exec, s[8:9]
	s_cbranch_vccnz .LBB929_27
; %bb.4:
	s_load_dword s5, s[0:1], 0x9c
	s_load_dwordx2 s[6:7], s[0:1], 0x28
	s_add_u32 s24, s0, 0x90
	s_addc_u32 s25, s1, 0
	s_lshl_b64 s[28:29], s[2:3], 2
	s_waitcnt lgkmcnt(0)
	s_and_b32 s5, s5, 0xffff
	s_add_u32 s6, s6, s28
	s_addc_u32 s7, s7, s29
	s_load_dword s3, s[6:7], 0x0
	s_mul_i32 s5, s20, s5
	s_waitcnt lgkmcnt(0)
	s_cmp_ge_i32 s5, s3
	s_cbranch_scc1 .LBB929_27
; %bb.5:
	v_and_b32_e32 v1, 0xc0, v0
	v_add_u32_e32 v4, s5, v1
	v_lshrrev_b32_e32 v42, 6, v0
	v_cmp_le_i32_e64 s[6:7], s3, v4
                                        ; implicit-def: $sgpr30
                                        ; implicit-def: $sgpr21
	s_and_saveexec_b64 s[8:9], s[6:7]
	s_xor_b64 s[8:9], exec, s[8:9]
	s_cbranch_execz .LBB929_7
; %bb.6:
	v_mul_u32_u24_e32 v1, 20, v42
	v_or_b32_e32 v1, 0x1400, v1
	v_mov_b32_e32 v2, 0x1450
	v_mov_b32_e32 v3, 0xff7fffff
	v_mad_u32_u24 v2, v42, 20, v2
	ds_write2_b32 v1, v3, v3 offset1:1
	v_mov_b32_e32 v1, 0
	ds_write2_b32 v2, v1, v1 offset1:1
	v_mov_b32_e32 v2, 0x1408
	v_mov_b32_e32 v4, 0x1458
	s_mov_b32 s21, 0xff7fffff
	s_mov_b32 s30, 0
	v_mad_u32_u24 v2, v42, 20, v2
	v_mad_u32_u24 v4, v42, 20, v4
	ds_write2_b32 v2, v3, v3 offset1:1
	ds_write2_b32 v4, v1, v1 offset1:1
                                        ; implicit-def: $vgpr4
.LBB929_7:
	s_or_saveexec_b64 s[26:27], s[8:9]
	s_load_dwordx2 s[22:23], s[0:1], 0x68
	s_load_dwordx4 s[12:15], s[0:1], 0x58
	s_load_dword s33, s[24:25], 0x4
	s_load_dwordx4 s[8:11], s[0:1], 0x80
	v_and_b32_e32 v1, 63, v0
	v_and_b32_e32 v43, 3, v0
	s_lshl_b32 s38, s4, 1
	v_mov_b32_e32 v37, s30
	v_mov_b32_e32 v39, s21
	;; [unrolled: 1-line block ×5, first 2 shown]
                                        ; implicit-def: $vgpr18_vgpr19
                                        ; implicit-def: $vgpr22_vgpr23
                                        ; implicit-def: $vgpr26_vgpr27
                                        ; implicit-def: $vgpr30_vgpr31
                                        ; implicit-def: $vgpr2_vgpr3
                                        ; implicit-def: $vgpr6_vgpr7
                                        ; implicit-def: $vgpr10_vgpr11
                                        ; implicit-def: $vgpr14_vgpr15
	s_xor_b64 exec, exec, s[26:27]
	s_cbranch_execz .LBB929_19
; %bb.8:
	s_load_dwordx2 s[30:31], s[0:1], 0x20
	s_load_dword s21, s[0:1], 0x38
	s_add_i32 s34, s3, 15
	s_ashr_i32 s35, s34, 31
	s_lshr_b32 s35, s35, 28
	v_add_u32_e32 v44, s5, v0
	s_add_i32 s34, s34, s35
	v_ashrrev_i32_e32 v2, 31, v44
	s_ashr_i32 s34, s34, 4
	v_lshrrev_b32_e32 v2, 28, v2
	s_add_i32 s36, s34, -1
	s_waitcnt lgkmcnt(0)
	s_mul_i32 s34, s2, s21
	s_mov_b32 s35, 0
	v_add_u32_e32 v2, v44, v2
	s_lshl_b64 s[34:35], s[34:35], 2
	v_ashrrev_i32_e32 v2, 4, v2
	v_mov_b32_e32 v3, s36
	v_cmp_gt_i32_e32 vcc, s3, v44
	s_add_u32 s30, s30, s34
	s_addc_u32 s31, s31, s35
	v_cndmask_b32_e32 v2, v3, v2, vcc
	v_ashrrev_i32_e32 v3, 31, v2
	v_lshl_add_u64 v[6:7], v[2:3], 2, s[30:31]
	v_ashrrev_i32_e32 v2, 31, v4
	v_lshrrev_b32_e32 v2, 28, v2
	v_add_u32_e32 v2, v4, v2
	v_ashrrev_i32_e32 v12, 4, v2
	v_min_i32_e32 v2, s36, v12
	v_ashrrev_i32_e32 v3, 31, v2
	v_lshl_add_u64 v[4:5], v[2:3], 2, s[30:31]
	v_add_u32_e32 v2, 1, v12
	v_min_i32_e32 v2, s36, v2
	v_ashrrev_i32_e32 v3, 31, v2
	v_lshl_add_u64 v[8:9], v[2:3], 2, s[30:31]
	v_add_u32_e32 v2, 2, v12
	;; [unrolled: 4-line block ×3, first 2 shown]
	v_min_i32_e32 v2, s36, v2
	v_ashrrev_i32_e32 v3, 31, v2
	v_lshl_add_u64 v[12:13], v[2:3], 2, s[30:31]
	global_load_dword v2, v[6:7], off
	global_load_dword v47, v[4:5], off
	;; [unrolled: 1-line block ×5, first 2 shown]
	s_load_dwordx2 s[30:31], s[0:1], 0x8
	s_andn2_b64 vcc, exec, s[18:19]
	s_cbranch_vccnz .LBB929_11
; %bb.9:
	s_add_u32 s16, s16, s28
	s_addc_u32 s17, s17, s29
	s_load_dword s5, s[16:17], 0x0
	s_branch .LBB929_12
.LBB929_10:
	s_mov_b64 s[8:9], 0
	s_branch .LBB929_2
.LBB929_11:
	s_mov_b32 s5, s2
.LBB929_12:
	s_load_dwordx2 s[28:29], s[0:1], 0x10
	s_load_dwordx4 s[16:19], s[0:1], 0x48
	v_cmp_gt_u32_e32 vcc, 2, v43
	s_mov_b32 s37, 0
	v_mov_b32_e32 v27, 0
	v_mov_b32_e32 v34, 0
	;; [unrolled: 1-line block ×5, first 2 shown]
	s_and_saveexec_b64 s[34:35], vcc
	s_cbranch_execz .LBB929_14
; %bb.13:
	s_load_dwordx2 s[40:41], s[0:1], 0x0
	s_waitcnt lgkmcnt(0)
	s_ashr_i32 s19, s16, 31
	s_mul_hi_u32 s21, s5, s16
	s_mul_i32 s19, s5, s19
	s_add_i32 s43, s21, s19
	s_mul_i32 s42, s5, s16
	s_lshl_b64 s[42:43], s[42:43], 1
	s_add_u32 s5, s40, s42
	s_addc_u32 s16, s41, s43
	s_lshl_b32 s36, s4, 8
	s_lshl_b64 s[36:37], s[36:37], 1
	v_lshlrev_b32_e32 v3, 2, v1
	s_add_u32 s36, s5, s36
	v_and_b32_e32 v3, 0xf0, v3
	s_addc_u32 s37, s16, s37
	v_lshl_or_b32 v3, v43, 8, v3
	global_load_dwordx4 v[34:37], v3, s[36:37]
.LBB929_14:
	s_or_b64 exec, exec, s[34:35]
	s_waitcnt lgkmcnt(0)
	s_mul_i32 s16, s4, s18
	s_add_u32 s4, s16, s30
	s_addc_u32 s5, 0, s31
	v_mov_b64_e32 v[4:5], s[4:5]
	s_waitcnt vmcnt(4)
	v_mad_i64_i32 v[2:3], s[4:5], v2, s17, v[4:5]
	v_lshlrev_b32_e32 v4, 4, v0
	v_and_b32_e32 v26, 0xf0, v4
	v_lshl_add_u64 v[48:49], v[2:3], 0, v[26:27]
	global_load_dwordx4 v[18:21], v[48:49], off
	global_load_dwordx4 v[2:5], v[48:49], off offset:256
	global_load_dwordx4 v[22:25], v[48:49], off offset:512
	;; [unrolled: 1-line block ×7, first 2 shown]
	v_mov_b32_e32 v45, 0
	s_and_saveexec_b64 s[4:5], vcc
	s_cbranch_execz .LBB929_16
; %bb.15:
	s_load_dwordx2 s[18:19], s[0:1], 0x40
	v_or_b32_e32 v48, s38, v43
	v_mov_b32_e32 v49, 0
	s_waitcnt lgkmcnt(0)
	v_lshl_add_u64 v[48:49], v[48:49], 2, s[18:19]
	global_load_dword v45, v[48:49], off
.LBB929_16:
	s_or_b64 exec, exec, s[4:5]
	s_waitcnt vmcnt(11)
	v_mul_hi_i32 v26, v47, s17
	v_ashrrev_i32_e32 v26, 31, v26
	v_lshrrev_b32_e32 v48, 29, v26
	v_mov_b32_e32 v49, 0
	v_mad_i64_i32 v[50:51], s[18:19], v47, s17, v[48:49]
	s_waitcnt vmcnt(10)
	v_mul_hi_i32 v47, v46, s17
	v_ashrrev_i32_e32 v47, 31, v47
	v_lshrrev_b32_e32 v48, 29, v47
	v_mad_i64_i32 v[46:47], s[18:19], v46, s17, v[48:49]
	s_waitcnt vmcnt(9)
	v_mul_hi_i32 v48, v29, s17
	v_ashrrev_i32_e32 v48, 31, v48
	v_lshrrev_b32_e32 v48, 29, v48
	;; [unrolled: 5-line block ×3, first 2 shown]
	s_add_u32 s4, s28, s16
	v_mad_i64_i32 v[28:29], s[16:17], v28, s17, v[48:49]
	s_addc_u32 s5, s29, 0
	v_and_b32_e32 v50, -8, v50
	v_and_b32_e32 v46, -8, v46
	;; [unrolled: 1-line block ×4, first 2 shown]
	v_lshl_add_u64 v[50:51], s[4:5], 0, v[50:51]
	v_lshlrev_b32_e32 v26, 4, v1
	v_lshl_add_u64 v[46:47], s[4:5], 0, v[46:47]
	v_lshl_add_u64 v[52:53], s[4:5], 0, v[52:53]
	;; [unrolled: 1-line block ×7, first 2 shown]
	s_waitcnt vmcnt(7)
	v_cvt_pk_f32_fp8_sdwa v[26:27], v18 src0_sel:WORD_1
	v_cvt_pk_f32_fp8_e32 v[48:49], v18
	s_load_dword s0, s[0:1], 0x1c
	v_cmp_eq_u32_e32 vcc, 0, v43
	v_cvt_pkrtz_f16_f32 v29, v26, v27
	v_cvt_pk_f32_fp8_e32 v[26:27], v19
	v_cvt_pk_f32_fp8_sdwa v[18:19], v19 src0_sel:WORD_1
	v_cvt_pkrtz_f16_f32 v28, v48, v49
	s_waitcnt vmcnt(5)
	v_cvt_pk_f32_fp8_e32 v[48:49], v23
	v_cvt_pkrtz_f16_f32 v26, v26, v27
	v_mfma_f32_4x4x4_16b_f16 a[0:3], v[34:35], v[28:29], 0 cbsz:4
	v_cvt_pkrtz_f16_f32 v27, v18, v19
	v_cvt_pk_f32_fp8_e32 v[18:19], v20
	v_cvt_pk_f32_fp8_e32 v[28:29], v21
	v_mfma_f32_4x4x4_16b_f16 a[0:3], v[36:37], v[26:27], a[0:3] cbsz:4
	v_cvt_pk_f32_fp8_sdwa v[26:27], v20 src0_sel:WORD_1
	v_cvt_pk_f32_fp8_sdwa v[20:21], v21 src0_sel:WORD_1
	v_cvt_pkrtz_f16_f32 v18, v18, v19
	s_load_dword s1, s[8:9], 0x0
	v_cvt_pkrtz_f16_f32 v19, v26, v27
	v_cvt_pkrtz_f16_f32 v26, v28, v29
	;; [unrolled: 1-line block ×3, first 2 shown]
	v_mfma_f32_4x4x4_16b_f16 a[0:3], v[34:35], v[18:19], a[0:3] cbsz:4 abid:1
	v_cvt_pk_f32_fp8_e32 v[18:19], v2
	v_cvt_pk_f32_fp8_sdwa v[20:21], v2 src0_sel:WORD_1
	v_mfma_f32_4x4x4_16b_f16 a[0:3], v[36:37], v[26:27], a[0:3] cbsz:4 abid:1
	v_cvt_pk_f32_fp8_e32 v[26:27], v3
	v_cvt_pk_f32_fp8_sdwa v[2:3], v3 src0_sel:WORD_1
	v_cvt_pkrtz_f16_f32 v18, v18, v19
	v_cvt_pkrtz_f16_f32 v19, v20, v21
	;; [unrolled: 1-line block ×4, first 2 shown]
	v_mfma_f32_4x4x4_16b_f16 a[0:3], v[34:35], v[18:19], a[0:3] cbsz:4 abid:2
	v_cvt_pk_f32_fp8_e32 v[2:3], v4
	v_cvt_pk_f32_fp8_sdwa v[18:19], v4 src0_sel:WORD_1
	v_mfma_f32_4x4x4_16b_f16 a[0:3], v[36:37], v[20:21], a[0:3] cbsz:4 abid:2
	v_cvt_pk_f32_fp8_e32 v[26:27], v5
	v_cvt_pk_f32_fp8_sdwa v[4:5], v5 src0_sel:WORD_1
	v_cvt_pkrtz_f16_f32 v2, v2, v3
	v_cvt_pkrtz_f16_f32 v3, v18, v19
	v_cvt_pk_f32_fp8_sdwa v[28:29], v22 src0_sel:WORD_1
	v_cvt_pkrtz_f16_f32 v26, v26, v27
	v_mfma_f32_4x4x4_16b_f16 a[0:3], v[34:35], v[2:3], a[0:3] cbsz:4 abid:3
	v_cvt_pk_f32_fp8_e32 v[2:3], v22
	v_cvt_pkrtz_f16_f32 v27, v4, v5
	v_cvt_pk_f32_fp8_sdwa v[22:23], v23 src0_sel:WORD_1
	global_load_dwordx4 v[18:21], v[50:51], off
	v_mfma_f32_4x4x4_16b_f16 a[0:3], v[36:37], v[26:27], a[0:3] cbsz:4 abid:3
	v_cvt_pkrtz_f16_f32 v26, v2, v3
	global_load_dwordx4 v[2:5], v[50:51], off offset:1024
	v_cvt_pkrtz_f16_f32 v27, v28, v29
	v_cvt_pkrtz_f16_f32 v28, v48, v49
	;; [unrolled: 1-line block ×3, first 2 shown]
	v_mfma_f32_4x4x4_16b_f16 a[0:3], v[34:35], v[26:27], a[0:3] cbsz:4 abid:4
	v_cvt_pk_f32_fp8_e32 v[22:23], v24
	v_cvt_pk_f32_fp8_sdwa v[26:27], v24 src0_sel:WORD_1
	v_mfma_f32_4x4x4_16b_f16 a[0:3], v[36:37], v[28:29], a[0:3] cbsz:4 abid:4
	v_cvt_pk_f32_fp8_e32 v[28:29], v25
	v_cvt_pk_f32_fp8_sdwa v[24:25], v25 src0_sel:WORD_1
	v_cvt_pkrtz_f16_f32 v22, v22, v23
	v_cvt_pkrtz_f16_f32 v23, v26, v27
	;; [unrolled: 1-line block ×4, first 2 shown]
	v_mfma_f32_4x4x4_16b_f16 a[0:3], v[34:35], v[22:23], a[0:3] cbsz:4 abid:5
	s_waitcnt vmcnt(6)
	v_cvt_pk_f32_fp8_e32 v[22:23], v6
	v_cvt_pk_f32_fp8_sdwa v[24:25], v6 src0_sel:WORD_1
	v_mfma_f32_4x4x4_16b_f16 a[0:3], v[36:37], v[26:27], a[0:3] cbsz:4 abid:5
	v_cvt_pk_f32_fp8_e32 v[26:27], v7
	v_cvt_pk_f32_fp8_sdwa v[28:29], v7 src0_sel:WORD_1
	v_cvt_pkrtz_f16_f32 v6, v22, v23
	v_cvt_pkrtz_f16_f32 v7, v24, v25
	;; [unrolled: 1-line block ×4, first 2 shown]
	v_mfma_f32_4x4x4_16b_f16 a[0:3], v[34:35], v[6:7], a[0:3] cbsz:4 abid:6
	v_cvt_pk_f32_fp8_sdwa v[28:29], v8 src0_sel:WORD_1
	v_cvt_pk_f32_fp8_e32 v[48:49], v9
	v_mfma_f32_4x4x4_16b_f16 a[0:3], v[36:37], v[26:27], a[0:3] cbsz:4 abid:6
	v_cvt_pk_f32_fp8_e32 v[26:27], v8
	v_cvt_pk_f32_fp8_sdwa v[50:51], v9 src0_sel:WORD_1
	global_load_dwordx4 v[22:25], v[46:47], off
	global_load_dwordx4 v[6:9], v[46:47], off offset:1024
	v_cvt_pkrtz_f16_f32 v26, v26, v27
	v_cvt_pkrtz_f16_f32 v27, v28, v29
	;; [unrolled: 1-line block ×4, first 2 shown]
	v_mfma_f32_4x4x4_16b_f16 a[0:3], v[34:35], v[26:27], a[0:3] cbsz:4 abid:7
	s_waitcnt vmcnt(7)
	v_cvt_pk_f32_fp8_e32 v[26:27], v10
	v_cvt_pk_f32_fp8_e32 v[46:47], v11
	v_mfma_f32_4x4x4_16b_f16 a[0:3], v[36:37], v[28:29], a[0:3] cbsz:4 abid:7
	v_cvt_pk_f32_fp8_sdwa v[28:29], v10 src0_sel:WORD_1
	v_cvt_pk_f32_fp8_sdwa v[10:11], v11 src0_sel:WORD_1
	v_cvt_pkrtz_f16_f32 v26, v26, v27
	s_waitcnt vmcnt(6)
	v_cvt_pk_f32_fp8_sdwa v[48:49], v30 src0_sel:WORD_1
	v_cvt_pkrtz_f16_f32 v27, v28, v29
	v_cvt_pkrtz_f16_f32 v29, v10, v11
	v_cvt_pk_f32_fp8_e32 v[10:11], v12
	v_mfma_f32_4x4x4_16b_f16 a[0:3], v[34:35], v[26:27], a[0:3] cbsz:4 abid:8
	v_cvt_pk_f32_fp8_sdwa v[26:27], v12 src0_sel:WORD_1
	v_cvt_pkrtz_f16_f32 v28, v46, v47
	v_cvt_pk_f32_fp8_e32 v[46:47], v13
	v_cvt_pk_f32_fp8_sdwa v[12:13], v13 src0_sel:WORD_1
	v_mfma_f32_4x4x4_16b_f16 a[0:3], v[36:37], v[28:29], a[0:3] cbsz:4 abid:8
	v_cvt_pkrtz_f16_f32 v10, v10, v11
	v_cvt_pkrtz_f16_f32 v11, v26, v27
	;; [unrolled: 1-line block ×4, first 2 shown]
	v_mfma_f32_4x4x4_16b_f16 a[0:3], v[34:35], v[10:11], a[0:3] cbsz:4 abid:9
	v_cvt_pk_f32_fp8_e32 v[10:11], v30
	v_cvt_pk_f32_fp8_e32 v[50:51], v31
	v_cvt_pk_f32_fp8_sdwa v[30:31], v31 src0_sel:WORD_1
	v_mfma_f32_4x4x4_16b_f16 a[0:3], v[36:37], v[46:47], a[0:3] cbsz:4 abid:9
	v_cvt_pkrtz_f16_f32 v46, v10, v11
	v_cvt_pkrtz_f16_f32 v47, v48, v49
	;; [unrolled: 1-line block ×4, first 2 shown]
	v_mfma_f32_4x4x4_16b_f16 a[0:3], v[34:35], v[46:47], a[0:3] cbsz:4 abid:10
	v_cvt_pk_f32_fp8_e32 v[30:31], v32
	v_cvt_pk_f32_fp8_sdwa v[46:47], v32 src0_sel:WORD_1
	v_mfma_f32_4x4x4_16b_f16 a[0:3], v[36:37], v[48:49], a[0:3] cbsz:4 abid:10
	v_cvt_pk_f32_fp8_e32 v[48:49], v33
	v_cvt_pk_f32_fp8_sdwa v[32:33], v33 src0_sel:WORD_1
	v_cvt_pkrtz_f16_f32 v30, v30, v31
	v_cvt_pkrtz_f16_f32 v31, v46, v47
	;; [unrolled: 1-line block ×4, first 2 shown]
	v_mfma_f32_4x4x4_16b_f16 a[0:3], v[34:35], v[30:31], a[0:3] cbsz:4 abid:11
	s_waitcnt vmcnt(5)
	v_cvt_pk_f32_fp8_e32 v[30:31], v14
	v_cvt_pk_f32_fp8_sdwa v[32:33], v14 src0_sel:WORD_1
	v_mfma_f32_4x4x4_16b_f16 a[0:3], v[36:37], v[46:47], a[0:3] cbsz:4 abid:11
	v_cvt_pk_f32_fp8_e32 v[46:47], v15
	v_cvt_pk_f32_fp8_sdwa v[48:49], v15 src0_sel:WORD_1
	v_cvt_pkrtz_f16_f32 v14, v30, v31
	v_cvt_pkrtz_f16_f32 v15, v32, v33
	;; [unrolled: 1-line block ×4, first 2 shown]
	v_mfma_f32_4x4x4_16b_f16 a[0:3], v[34:35], v[14:15], a[0:3] cbsz:4 abid:12
	global_load_dwordx4 v[26:29], v[52:53], off
	global_load_dwordx4 v[10:13], v[52:53], off offset:1024
	global_load_dwordx4 v[30:33], v[54:55], off
	v_mfma_f32_4x4x4_16b_f16 a[0:3], v[36:37], v[46:47], a[0:3] cbsz:4 abid:12
	v_cvt_pk_f32_fp8_e32 v[46:47], v16
	v_cvt_pk_f32_fp8_sdwa v[48:49], v16 src0_sel:WORD_1
	v_cvt_pk_f32_fp8_e32 v[50:51], v17
	v_cvt_pk_f32_fp8_sdwa v[52:53], v17 src0_sel:WORD_1
	global_load_dwordx4 v[14:17], v[54:55], off offset:1024
	v_cvt_pkrtz_f16_f32 v46, v46, v47
	v_cvt_pkrtz_f16_f32 v47, v48, v49
	;; [unrolled: 1-line block ×4, first 2 shown]
	v_mfma_f32_4x4x4_16b_f16 a[0:3], v[34:35], v[46:47], a[0:3] cbsz:4 abid:13
	s_waitcnt vmcnt(8)
	v_cvt_pk_f32_fp8_e32 v[46:47], v38
	v_cvt_pk_f32_fp8_e32 v[50:51], v39
	v_mfma_f32_4x4x4_16b_f16 a[0:3], v[36:37], v[48:49], a[0:3] cbsz:4 abid:13
	v_cvt_pk_f32_fp8_sdwa v[48:49], v38 src0_sel:WORD_1
	v_cvt_pkrtz_f16_f32 v38, v46, v47
	v_cvt_pk_f32_fp8_sdwa v[46:47], v39 src0_sel:WORD_1
	v_cvt_pkrtz_f16_f32 v39, v48, v49
	v_cvt_pkrtz_f16_f32 v48, v50, v51
	s_nop 0
	v_mfma_f32_4x4x4_16b_f16 a[0:3], v[34:35], v[38:39], a[0:3] cbsz:4 abid:14
	v_cvt_pkrtz_f16_f32 v49, v46, v47
	v_cvt_pk_f32_fp8_e32 v[38:39], v40
	v_cvt_pk_f32_fp8_sdwa v[46:47], v40 src0_sel:WORD_1
	v_mfma_f32_4x4x4_16b_f16 a[0:3], v[36:37], v[48:49], a[0:3] cbsz:4 abid:14
	v_cvt_pk_f32_fp8_e32 v[48:49], v41
	v_cvt_pk_f32_fp8_sdwa v[40:41], v41 src0_sel:WORD_1
	v_cvt_pkrtz_f16_f32 v38, v38, v39
	v_cvt_pkrtz_f16_f32 v39, v46, v47
	;; [unrolled: 1-line block ×4, first 2 shown]
	v_mfma_f32_4x4x4_16b_f16 a[0:3], v[34:35], v[38:39], a[0:3] cbsz:4 abid:15
	s_waitcnt lgkmcnt(0)
	v_mov_b32_e32 v34, s0
	v_mov_b32_e32 v41, 0xff7fffff
	v_mfma_f32_4x4x4_16b_f16 a[0:3], v[36:37], v[46:47], a[0:3] cbsz:4 abid:15
	v_mul_f32_e32 v36, s1, v34
	s_nop 3
	v_accvgpr_read_b32 v39, a1
	v_accvgpr_read_b32 v38, a0
	v_pk_mul_f32 v[38:39], v[38:39], v[36:37] op_sel_hi:[1,0]
	v_accvgpr_read_b32 v35, a3
	v_accvgpr_read_b32 v34, a2
	v_pk_mul_f32 v[34:35], v[34:35], v[36:37] op_sel_hi:[1,0]
	v_cndmask_b32_e64 v36, 0, 1.0, vcc
	v_cmp_eq_u32_e32 vcc, 1, v43
	s_nop 0
	v_mfma_f32_4x4x1_16b_f32 a[0:3], v38, v36, 0
	v_cndmask_b32_e64 v36, 0, 1.0, vcc
	v_cmp_eq_u32_e32 vcc, 2, v43
	s_nop 0
	v_mfma_f32_4x4x1_16b_f32 a[0:3], v39, v36, a[0:3]
	;; [unrolled: 4-line block ×3, first 2 shown]
	v_cndmask_b32_e64 v34, 0, 1.0, vcc
	s_nop 1
	v_mfma_f32_4x4x1_16b_f32 a[0:3], v35, v34, a[0:3]
	v_and_b32_e32 v34, -4, v44
	v_subrev_u32_e32 v35, s3, v34
	v_add_u32_e32 v36, 1, v35
	v_cvt_f32_i32_e32 v36, v36
	v_add_u32_e32 v37, 2, v35
	v_cvt_f32_i32_e32 v37, v37
	v_accvgpr_read_b32 v38, a0
	v_fma_f32 v36, v45, v36, v38
	v_accvgpr_read_b32 v38, a1
	v_fma_f32 v37, v45, v37, v38
	v_add_u32_e32 v38, 3, v35
	v_cvt_f32_i32_e32 v38, v38
	v_add_u32_e32 v35, 4, v35
	v_cvt_f32_i32_e32 v35, v35
	v_accvgpr_read_b32 v39, a2
	v_fma_f32 v38, v45, v38, v39
	v_max_f32_e32 v39, 0xff7fffff, v36
	v_cmp_gt_i32_e32 vcc, s3, v34
	v_accvgpr_read_b32 v40, a3
	v_fmac_f32_e32 v40, v45, v35
	v_cndmask_b32_e32 v39, v41, v39, vcc
	v_or_b32_e32 v41, 1, v34
	v_max_f32_e32 v45, v39, v37
	v_cmp_gt_i32_e64 s[0:1], s3, v41
	v_or_b32_e32 v34, 2, v34
	v_cmp_gt_i32_e64 s[4:5], s3, v34
	v_cndmask_b32_e64 v39, v39, v45, s[0:1]
	v_max_f32_e32 v41, v39, v38
	v_cndmask_b32_e64 v34, v39, v41, s[4:5]
	v_or_b32_e32 v39, 3, v44
	v_max_f32_e32 v41, v34, v40
	v_cmp_gt_i32_e64 s[8:9], s3, v39
	v_lshlrev_b32_e32 v35, 2, v0
	v_and_or_b32 v35, v35, 48, v43
	v_cndmask_b32_e64 v34, v34, v41, s[8:9]
	;;#ASMSTART
	v_nop
 v_nop
 v_max_f32_dpp v34, v34, v34 row_ror:4
	;;#ASMEND
	v_lshlrev_b32_e32 v41, 2, v35
	;;#ASMSTART
	v_nop
 v_nop
 v_max_f32_dpp v34, v34, v34 row_ror:8
	;;#ASMEND
	ds_bpermute_b32 v34, v41, v34
	s_waitcnt lgkmcnt(0)
	;;#ASMSTART
	v_nop
 v_nop
 v_max_f32_dpp v34, v34, v34 row_ror:4
	;;#ASMEND
	s_nop 0
	;;#ASMSTART
	v_nop
 v_nop
 v_max_f32_dpp v39, v34, v34 row_ror:8
	;;#ASMEND
	s_nop 0
	v_sub_f32_e32 v34, v36, v39
	v_mul_f32_e32 v34, 0x3fb8aa3b, v34
	v_sub_f32_e32 v35, v37, v39
	v_exp_f32_e32 v34, v34
	v_mul_f32_e32 v35, 0x3fb8aa3b, v35
	v_sub_f32_e32 v37, v38, v39
	v_exp_f32_e32 v35, v35
	;; [unrolled: 3-line block ×3, first 2 shown]
	v_mul_f32_e32 v38, 0x3fb8aa3b, v38
	v_exp_f32_e32 v38, v38
	v_cndmask_b32_e32 v34, 0, v34, vcc
	v_add_f32_e32 v36, 0, v34
	v_cndmask_b32_e64 v35, 0, v35, s[0:1]
	v_add_f32_e32 v40, v36, v35
	v_cndmask_b32_e64 v36, 0, v37, s[4:5]
	;; [unrolled: 2-line block ×3, first 2 shown]
	v_add_f32_e32 v38, v40, v37
	;;#ASMSTART
	v_nop
 v_nop
 v_add_f32_dpp v38, v38, v38 row_ror:4
	;;#ASMEND
	v_cmp_gt_u32_e32 vcc, 4, v1
	;;#ASMSTART
	v_nop
 v_nop
 v_add_f32_dpp v38, v38, v38 row_ror:8
	;;#ASMEND
	ds_bpermute_b32 v38, v41, v38
	s_waitcnt lgkmcnt(0)
	;;#ASMSTART
	v_nop
 v_nop
 v_add_f32_dpp v38, v38, v38 row_ror:4
	;;#ASMEND
	s_nop 0
	;;#ASMSTART
	v_nop
 v_nop
 v_add_f32_dpp v38, v38, v38 row_ror:8
	;;#ASMEND
	s_and_saveexec_b64 s[0:1], vcc
	s_cbranch_execz .LBB929_18
; %bb.17:
	v_mul_u32_u24_e32 v40, 20, v42
	v_lshl_add_u32 v40, v43, 2, v40
	v_add_u32_e32 v40, 0x1400, v40
	ds_write2_b32 v40, v39, v38 offset1:20
.LBB929_18:
	s_or_b64 exec, exec, s[0:1]
.LBB929_19:
	s_or_b64 exec, exec, s[26:27]
	s_waitcnt lgkmcnt(0)
	s_barrier
	s_load_dword s0, s[24:25], 0x8
	v_lshlrev_b32_e32 v38, 2, v43
	v_add_u32_e32 v38, 0x1400, v38
	ds_read2_b32 v[44:45], v38 offset1:5
	ds_read2_b32 v[46:47], v38 offset0:10 offset1:15
	s_mul_i32 s1, s2, s33
	s_waitcnt lgkmcnt(0)
	s_mul_i32 s1, s1, s0
	s_lshl_b32 s0, s1, 1
	s_mov_b32 s1, 0xff7fffff
	v_max3_f32 v40, v44, s1, v45
	v_max3_f32 v40, v40, v46, v47
	v_sub_f32_e32 v41, v44, v40
	v_sub_f32_e32 v44, v45, v40
	ds_read2_b32 v[48:49], v38 offset0:20 offset1:25
	v_mul_f32_e32 v41, 0x3fb8aa3b, v41
	v_mul_f32_e32 v44, 0x3fb8aa3b, v44
	v_exp_f32_e32 v41, v41
	v_exp_f32_e32 v50, v44
	ds_read2_b32 v[44:45], v38 offset0:30 offset1:35
	v_sub_f32_e32 v38, v46, v40
	v_mul_f32_e32 v38, 0x3fb8aa3b, v38
	v_sub_f32_e32 v46, v47, v40
	v_exp_f32_e32 v38, v38
	v_mul_f32_e32 v46, 0x3fb8aa3b, v46
	v_exp_f32_e32 v46, v46
	s_waitcnt lgkmcnt(1)
	v_fma_f32 v41, v41, v48, 0
	v_fmac_f32_e32 v41, v50, v49
	s_waitcnt lgkmcnt(0)
	v_fmac_f32_e32 v41, v38, v44
	v_fmac_f32_e32 v41, v46, v45
	v_cmp_gt_u32_e32 vcc, 2, v43
	s_and_saveexec_b64 s[2:3], vcc
	s_cbranch_execz .LBB929_21
; %bb.20:
	s_mov_b32 s1, 0
	s_lshl_b64 s[4:5], s[0:1], 2
	s_add_u32 s12, s12, s4
	s_mov_b32 s21, s1
	s_addc_u32 s13, s13, s5
	s_lshl_b64 s[8:9], s[20:21], 2
	s_add_u32 s12, s12, s8
	s_addc_u32 s13, s13, s9
	s_add_u32 s1, s14, s4
	s_addc_u32 s5, s15, s5
	v_or_b32_e32 v38, s38, v43
	s_add_u32 s4, s1, s8
	v_mul_lo_u32 v44, s33, v38
	v_mov_b32_e32 v45, 0
	s_addc_u32 s5, s5, s9
	v_lshlrev_b64 v[44:45], 2, v[44:45]
	v_lshl_add_u64 v[46:47], s[12:13], 0, v[44:45]
	v_lshl_add_u64 v[44:45], s[4:5], 0, v[44:45]
	global_store_dword v[44:45], v40, off
	global_store_dword v[46:47], v41, off
.LBB929_21:
	s_or_b64 exec, exec, s[2:3]
	v_lshlrev_b32_e32 v38, 3, v42
	s_and_saveexec_b64 s[2:3], s[6:7]
	s_xor_b64 s[2:3], exec, s[2:3]
	s_cbranch_execz .LBB929_23
; %bb.22:
	s_mov_b32 s4, 0
	s_mov_b32 s5, s4
	s_waitcnt vmcnt(6)
	v_mad_u32_u24 v4, v1, 40, v38
	v_mov_b64_e32 v[2:3], s[4:5]
	ds_write2st64_b64 v4, v[2:3], v[2:3] offset1:5
                                        ; implicit-def: $vgpr37
                                        ; implicit-def: $vgpr35
                                        ; implicit-def: $vgpr39
                                        ; implicit-def: $vgpr18_vgpr19
                                        ; implicit-def: $vgpr22_vgpr23
                                        ; implicit-def: $vgpr26_vgpr27
                                        ; implicit-def: $vgpr30_vgpr31
                                        ; implicit-def: $vgpr2_vgpr3
                                        ; implicit-def: $vgpr6_vgpr7
                                        ; implicit-def: $vgpr10_vgpr11
                                        ; implicit-def: $vgpr14_vgpr15
                                        ; implicit-def: $vgpr40
                                        ; implicit-def: $vgpr41
                                        ; implicit-def: $vgpr38
.LBB929_23:
	s_andn2_saveexec_b64 s[2:3], s[2:3]
	s_cbranch_execz .LBB929_25
; %bb.24:
	v_add_f32_e32 v41, 0x358637bd, v41
	v_div_scale_f32 v42, s[4:5], v41, v41, 1.0
	v_rcp_f32_e32 v43, v42
	v_sub_f32_e32 v39, v39, v40
	v_mul_f32_e32 v39, 0x3fb8aa3b, v39
	v_exp_f32_e32 v39, v39
	v_fma_f32 v40, -v42, v43, 1.0
	v_fmac_f32_e32 v43, v40, v43
	v_div_scale_f32 v40, vcc, 1.0, v41, 1.0
	v_mul_f32_e32 v44, v40, v43
	v_fma_f32 v45, -v42, v44, v40
	v_fmac_f32_e32 v44, v45, v43
	v_fma_f32 v40, -v42, v44, v40
	v_div_fmas_f32 v40, v40, v43, v44
	v_div_fixup_f32 v40, v40, v41, 1.0
	v_mul_f32_e32 v40, v39, v40
	v_pk_mul_f32 v[36:37], v[36:37], v[40:41] op_sel_hi:[1,0]
	v_pk_mul_f32 v[34:35], v[34:35], v[40:41] op_sel_hi:[1,0]
	v_cvt_f16_f32_e32 v36, v36
	v_cvt_f16_f32_e32 v34, v34
	;; [unrolled: 1-line block ×4, first 2 shown]
	s_waitcnt vmcnt(7)
	v_cvt_pk_f32_fp8_sdwa v[40:41], v18 src0_sel:WORD_1
	v_cvt_pk_f32_fp8_e32 v[42:43], v19
	v_pack_b32_f16 v34, v34, v35
	v_pack_b32_f16 v35, v36, v37
	v_cvt_pk_f32_fp8_e32 v[36:37], v18
	v_cvt_pk_f32_fp8_sdwa v[18:19], v19 src0_sel:WORD_1
	s_load_dword s4, s[10:11], 0x0
	v_cvt_pkrtz_f16_f32 v36, v36, v37
	v_cvt_pkrtz_f16_f32 v37, v40, v41
	;; [unrolled: 1-line block ×4, first 2 shown]
	v_mfma_f32_4x4x4_16b_f16 a[0:3], v[34:35], v[36:37], 0 cbsz:4
	v_cvt_pk_f32_fp8_e32 v[18:19], v20
	v_cvt_pk_f32_fp8_sdwa v[36:37], v20 src0_sel:WORD_1
	v_mfma_f32_4x4x4_16b_f16 a[0:3], v[34:35], v[40:41], a[0:3] cbsz:4 abid:1
	v_cvt_pk_f32_fp8_e32 v[40:41], v21
	v_cvt_pk_f32_fp8_sdwa v[20:21], v21 src0_sel:WORD_1
	v_cvt_pkrtz_f16_f32 v18, v18, v19
	v_cvt_pkrtz_f16_f32 v19, v36, v37
	;; [unrolled: 1-line block ×4, first 2 shown]
	v_mfma_f32_4x4x4_16b_f16 a[0:3], v[34:35], v[18:19], a[0:3] cbsz:4 abid:2
	s_waitcnt vmcnt(5)
	v_cvt_pk_f32_fp8_e32 v[18:19], v22
	v_cvt_pk_f32_fp8_sdwa v[20:21], v22 src0_sel:WORD_1
	v_mfma_f32_4x4x4_16b_f16 a[0:3], v[34:35], v[36:37], a[0:3] cbsz:4 abid:3
	v_cvt_pk_f32_fp8_e32 v[36:37], v23
	v_cvt_pk_f32_fp8_sdwa v[22:23], v23 src0_sel:WORD_1
	v_cvt_pkrtz_f16_f32 v18, v18, v19
	v_cvt_pkrtz_f16_f32 v19, v20, v21
	;; [unrolled: 1-line block ×4, first 2 shown]
	v_mfma_f32_4x4x4_16b_f16 a[0:3], v[34:35], v[18:19], a[0:3] cbsz:4 abid:4
	v_cvt_pk_f32_fp8_e32 v[18:19], v24
	v_cvt_pk_f32_fp8_e32 v[22:23], v25
	v_mfma_f32_4x4x4_16b_f16 a[0:3], v[34:35], v[20:21], a[0:3] cbsz:4 abid:5
	v_cvt_pk_f32_fp8_sdwa v[20:21], v24 src0_sel:WORD_1
	v_cvt_pk_f32_fp8_sdwa v[24:25], v25 src0_sel:WORD_1
	v_cvt_pkrtz_f16_f32 v18, v18, v19
	v_cvt_pkrtz_f16_f32 v19, v20, v21
	;; [unrolled: 1-line block ×3, first 2 shown]
	s_nop 0
	v_mfma_f32_4x4x4_16b_f16 a[0:3], v[34:35], v[18:19], a[0:3] cbsz:4 abid:6
	v_cvt_pkrtz_f16_f32 v21, v24, v25
	s_waitcnt vmcnt(3)
	v_cvt_pk_f32_fp8_e32 v[18:19], v26
	v_cvt_pk_f32_fp8_e32 v[22:23], v27
	v_mfma_f32_4x4x4_16b_f16 a[0:3], v[34:35], v[20:21], a[0:3] cbsz:4 abid:7
	v_cvt_pk_f32_fp8_sdwa v[20:21], v26 src0_sel:WORD_1
	v_cvt_pk_f32_fp8_sdwa v[24:25], v27 src0_sel:WORD_1
	v_cvt_pkrtz_f16_f32 v18, v18, v19
	v_cvt_pkrtz_f16_f32 v19, v20, v21
	;; [unrolled: 1-line block ×3, first 2 shown]
	s_nop 0
	v_mfma_f32_4x4x4_16b_f16 a[0:3], v[34:35], v[18:19], a[0:3] cbsz:4 abid:8
	v_cvt_pkrtz_f16_f32 v21, v24, v25
	v_cvt_pk_f32_fp8_e32 v[18:19], v28
	v_cvt_pk_f32_fp8_e32 v[22:23], v29
	v_mfma_f32_4x4x4_16b_f16 a[0:3], v[34:35], v[20:21], a[0:3] cbsz:4 abid:9
	v_cvt_pk_f32_fp8_sdwa v[20:21], v28 src0_sel:WORD_1
	v_cvt_pk_f32_fp8_sdwa v[24:25], v29 src0_sel:WORD_1
	v_cvt_pkrtz_f16_f32 v18, v18, v19
	v_cvt_pkrtz_f16_f32 v19, v20, v21
	;; [unrolled: 1-line block ×3, first 2 shown]
	s_nop 0
	v_mfma_f32_4x4x4_16b_f16 a[0:3], v[34:35], v[18:19], a[0:3] cbsz:4 abid:10
	v_cvt_pkrtz_f16_f32 v21, v24, v25
	s_waitcnt vmcnt(1)
	v_cvt_pk_f32_fp8_e32 v[18:19], v30
	v_cvt_pk_f32_fp8_e32 v[22:23], v31
	v_mfma_f32_4x4x4_16b_f16 a[0:3], v[34:35], v[20:21], a[0:3] cbsz:4 abid:11
	v_cvt_pk_f32_fp8_sdwa v[20:21], v30 src0_sel:WORD_1
	v_cvt_pk_f32_fp8_sdwa v[24:25], v31 src0_sel:WORD_1
	v_cvt_pkrtz_f16_f32 v18, v18, v19
	v_cvt_pkrtz_f16_f32 v19, v20, v21
	;; [unrolled: 1-line block ×3, first 2 shown]
	s_nop 0
	v_mfma_f32_4x4x4_16b_f16 a[0:3], v[34:35], v[18:19], a[0:3] cbsz:4 abid:12
	v_cvt_pkrtz_f16_f32 v21, v24, v25
	v_cvt_pk_f32_fp8_e32 v[18:19], v32
	v_cvt_pk_f32_fp8_e32 v[22:23], v33
	v_mfma_f32_4x4x4_16b_f16 a[0:3], v[34:35], v[20:21], a[0:3] cbsz:4 abid:13
	v_cvt_pk_f32_fp8_sdwa v[20:21], v32 src0_sel:WORD_1
	v_cvt_pk_f32_fp8_sdwa v[24:25], v33 src0_sel:WORD_1
	v_cvt_pkrtz_f16_f32 v18, v18, v19
	v_cvt_pkrtz_f16_f32 v19, v20, v21
	;; [unrolled: 1-line block ×3, first 2 shown]
	s_nop 0
	v_mfma_f32_4x4x4_16b_f16 a[0:3], v[34:35], v[18:19], a[0:3] cbsz:4 abid:14
	v_cvt_pkrtz_f16_f32 v21, v24, v25
	v_cvt_pk_f32_fp8_sdwa v[22:23], v2 src0_sel:WORD_1
	v_cvt_pk_f32_fp8_e32 v[24:25], v3
	v_mfma_f32_4x4x4_16b_f16 a[0:3], v[34:35], v[20:21], a[0:3] cbsz:4 abid:15
	s_nop 4
	v_accvgpr_read_b32 v19, a1
	v_accvgpr_read_b32 v18, a0
	s_waitcnt lgkmcnt(0)
	v_pk_mul_f32 v[18:19], v[18:19], s[4:5] op_sel_hi:[1,0]
	s_nop 0
	v_cvt_f16_f32_e32 v20, v18
	v_cvt_f16_f32_e32 v21, v19
	v_accvgpr_read_b32 v19, a3
	v_accvgpr_read_b32 v18, a2
	v_pk_mul_f32 v[18:19], v[18:19], s[4:5] op_sel_hi:[1,0]
	v_pack_b32_f16 v20, v20, v21
	v_cvt_f16_f32_e32 v21, v18
	v_cvt_f16_f32_e32 v26, v19
	v_cvt_pk_f32_fp8_e32 v[18:19], v2
	v_cvt_pk_f32_fp8_sdwa v[2:3], v3 src0_sel:WORD_1
	v_pack_b32_f16 v21, v21, v26
	v_cvt_pkrtz_f16_f32 v18, v18, v19
	v_cvt_pkrtz_f16_f32 v19, v22, v23
	;; [unrolled: 1-line block ×4, first 2 shown]
	v_mfma_f32_4x4x4_16b_f16 a[0:3], v[34:35], v[18:19], 0 cbsz:4
	v_cvt_pk_f32_fp8_e32 v[2:3], v4
	v_cvt_pk_f32_fp8_sdwa v[18:19], v4 src0_sel:WORD_1
	v_mfma_f32_4x4x4_16b_f16 a[0:3], v[34:35], v[22:23], a[0:3] cbsz:4 abid:1
	v_cvt_pk_f32_fp8_e32 v[22:23], v5
	v_cvt_pk_f32_fp8_sdwa v[4:5], v5 src0_sel:WORD_1
	v_cvt_pkrtz_f16_f32 v2, v2, v3
	v_cvt_pkrtz_f16_f32 v3, v18, v19
	;; [unrolled: 1-line block ×4, first 2 shown]
	v_mfma_f32_4x4x4_16b_f16 a[0:3], v[34:35], v[2:3], a[0:3] cbsz:4 abid:2
	v_cvt_pk_f32_fp8_e32 v[2:3], v6
	v_cvt_pk_f32_fp8_sdwa v[4:5], v6 src0_sel:WORD_1
	v_mfma_f32_4x4x4_16b_f16 a[0:3], v[34:35], v[18:19], a[0:3] cbsz:4 abid:3
	v_cvt_pk_f32_fp8_e32 v[18:19], v7
	v_cvt_pk_f32_fp8_sdwa v[6:7], v7 src0_sel:WORD_1
	v_cvt_pkrtz_f16_f32 v2, v2, v3
	v_cvt_pkrtz_f16_f32 v3, v4, v5
	;; [unrolled: 1-line block ×4, first 2 shown]
	v_mfma_f32_4x4x4_16b_f16 a[0:3], v[34:35], v[2:3], a[0:3] cbsz:4 abid:4
	v_cvt_pk_f32_fp8_e32 v[2:3], v8
	v_cvt_pk_f32_fp8_e32 v[6:7], v9
	v_mfma_f32_4x4x4_16b_f16 a[0:3], v[34:35], v[4:5], a[0:3] cbsz:4 abid:5
	v_cvt_pk_f32_fp8_sdwa v[4:5], v8 src0_sel:WORD_1
	v_cvt_pk_f32_fp8_sdwa v[8:9], v9 src0_sel:WORD_1
	v_cvt_pkrtz_f16_f32 v2, v2, v3
	v_cvt_pkrtz_f16_f32 v3, v4, v5
	v_cvt_pkrtz_f16_f32 v4, v6, v7
	s_nop 0
	v_mfma_f32_4x4x4_16b_f16 a[0:3], v[34:35], v[2:3], a[0:3] cbsz:4 abid:6
	v_cvt_pkrtz_f16_f32 v5, v8, v9
	v_cvt_pk_f32_fp8_e32 v[2:3], v10
	v_cvt_pk_f32_fp8_e32 v[6:7], v11
	v_mfma_f32_4x4x4_16b_f16 a[0:3], v[34:35], v[4:5], a[0:3] cbsz:4 abid:7
	v_cvt_pk_f32_fp8_sdwa v[4:5], v10 src0_sel:WORD_1
	v_cvt_pk_f32_fp8_sdwa v[8:9], v11 src0_sel:WORD_1
	v_cvt_pkrtz_f16_f32 v2, v2, v3
	v_cvt_pkrtz_f16_f32 v3, v4, v5
	v_cvt_pkrtz_f16_f32 v4, v6, v7
	s_nop 0
	v_mfma_f32_4x4x4_16b_f16 a[0:3], v[34:35], v[2:3], a[0:3] cbsz:4 abid:8
	v_cvt_pkrtz_f16_f32 v5, v8, v9
	v_cvt_pk_f32_fp8_e32 v[2:3], v12
	v_cvt_pk_f32_fp8_e32 v[6:7], v13
	v_mfma_f32_4x4x4_16b_f16 a[0:3], v[34:35], v[4:5], a[0:3] cbsz:4 abid:9
	v_cvt_pk_f32_fp8_sdwa v[4:5], v12 src0_sel:WORD_1
	v_cvt_pk_f32_fp8_sdwa v[8:9], v13 src0_sel:WORD_1
	v_cvt_pkrtz_f16_f32 v2, v2, v3
	v_cvt_pkrtz_f16_f32 v3, v4, v5
	v_cvt_pkrtz_f16_f32 v4, v6, v7
	s_nop 0
	v_mfma_f32_4x4x4_16b_f16 a[0:3], v[34:35], v[2:3], a[0:3] cbsz:4 abid:10
	v_cvt_pkrtz_f16_f32 v5, v8, v9
	s_waitcnt vmcnt(0)
	v_cvt_pk_f32_fp8_e32 v[2:3], v14
	v_cvt_pk_f32_fp8_e32 v[6:7], v15
	v_mfma_f32_4x4x4_16b_f16 a[0:3], v[34:35], v[4:5], a[0:3] cbsz:4 abid:11
	v_cvt_pk_f32_fp8_sdwa v[4:5], v14 src0_sel:WORD_1
	v_cvt_pk_f32_fp8_sdwa v[8:9], v15 src0_sel:WORD_1
	v_cvt_pkrtz_f16_f32 v2, v2, v3
	v_cvt_pkrtz_f16_f32 v3, v4, v5
	;; [unrolled: 1-line block ×3, first 2 shown]
	s_nop 0
	v_mfma_f32_4x4x4_16b_f16 a[0:3], v[34:35], v[2:3], a[0:3] cbsz:4 abid:12
	v_cvt_pkrtz_f16_f32 v5, v8, v9
	v_cvt_pk_f32_fp8_e32 v[2:3], v16
	v_cvt_pk_f32_fp8_e32 v[6:7], v17
	v_mfma_f32_4x4x4_16b_f16 a[0:3], v[34:35], v[4:5], a[0:3] cbsz:4 abid:13
	v_cvt_pk_f32_fp8_sdwa v[4:5], v16 src0_sel:WORD_1
	v_cvt_pk_f32_fp8_sdwa v[8:9], v17 src0_sel:WORD_1
	v_cvt_pkrtz_f16_f32 v2, v2, v3
	v_cvt_pkrtz_f16_f32 v3, v4, v5
	;; [unrolled: 1-line block ×3, first 2 shown]
	s_nop 0
	v_mfma_f32_4x4x4_16b_f16 a[0:3], v[34:35], v[2:3], a[0:3] cbsz:4 abid:14
	v_cvt_pkrtz_f16_f32 v5, v8, v9
	v_mad_u32_u24 v7, v1, 40, v38
	s_nop 0
	v_mfma_f32_4x4x4_16b_f16 a[0:3], v[34:35], v[4:5], a[0:3] cbsz:4 abid:15
	s_nop 4
	v_accvgpr_read_b32 v5, a1
	v_accvgpr_read_b32 v3, a3
	;; [unrolled: 1-line block ×4, first 2 shown]
	v_pk_mul_f32 v[2:3], v[2:3], s[4:5] op_sel_hi:[1,0]
	v_pk_mul_f32 v[4:5], v[4:5], s[4:5] op_sel_hi:[1,0]
	v_cvt_f16_f32_e32 v6, v2
	v_cvt_f16_f32_e32 v4, v4
	;; [unrolled: 1-line block ×4, first 2 shown]
	v_pack_b32_f16 v2, v4, v5
	v_pack_b32_f16 v3, v6, v3
	ds_write2st64_b64 v7, v[20:21], v[2:3] offset1:5
.LBB929_25:
	s_or_b64 exec, exec, s[2:3]
	v_cmp_gt_u32_e32 vcc, 64, v0
	s_waitcnt lgkmcnt(0)
	s_barrier
	s_and_saveexec_b64 s[2:3], vcc
	s_cbranch_execz .LBB929_27
; %bb.26:
	s_waitcnt vmcnt(4)
	v_mul_u32_u24_e32 v6, 40, v1
	ds_read2_b64 v[2:5], v6 offset1:1
	s_mov_b32 s1, 0
	s_waitcnt lgkmcnt(0)
	v_mov_b32_e32 v3, 0xa00
	s_lshl_b32 s0, s0, 7
	ds_read2_b64 v[6:9], v6 offset0:2 offset1:3
	v_mad_u32_u24 v3, v1, 40, v3
	v_pk_add_f16 v2, v2, 0
	s_lshl_b64 s[2:3], s[0:1], 1
	s_waitcnt lgkmcnt(0)
	v_pk_add_f16 v7, v2, v4
	v_mov_b32_e32 v9, 0xa10
	ds_read2_b64 v[2:5], v3 offset1:1
	s_add_u32 s2, s22, s2
	v_mad_u32_u24 v1, v1, 40, v9
	s_waitcnt vmcnt(2)
	ds_read2_b64 v[10:13], v1 offset1:1
	s_addc_u32 s3, s23, s3
	s_lshl_b32 s0, s20, 7
	s_lshl_b64 s[0:1], s[0:1], 1
	s_add_u32 s0, s2, s0
	v_pk_add_f16 v1, v7, v6
	s_addc_u32 s1, s3, s1
	s_lshl_b32 s2, s33, 7
	v_pk_add_f16 v6, v1, v8
	s_waitcnt lgkmcnt(1)
	v_pk_add_f16 v1, v2, 0
	s_mul_i32 s3, s2, s38
	v_pk_add_f16 v1, v1, v4
	v_or_b32_e32 v2, s3, v0
	v_mov_b32_e32 v3, 0
	s_add_i32 s3, s3, s2
	s_waitcnt lgkmcnt(0)
	v_pk_add_f16 v1, v1, v10
	v_lshl_add_u64 v[4:5], v[2:3], 1, s[0:1]
	v_or_b32_e32 v2, s3, v0
	v_pk_add_f16 v7, v1, v12
	v_lshl_add_u64 v[0:1], v[2:3], 1, s[0:1]
	global_store_short v[4:5], v6, off
	global_store_short_d16_hi v[0:1], v6, off
	global_store_short v[4:5], v7, off offset:128
	global_store_short_d16_hi v[0:1], v7, off offset:128
.LBB929_27:
	s_endpgm
	.section	.rodata,"a",@progbits
	.p2align	6, 0x0
	.amdhsa_kernel _Z38paged_attention_ll4mi_QKV_mfma4_kernelIDF16_hLN4vllm18Fp8KVCacheDataTypeE1EhLi16ELi128ELi256ELb1ELi2EEvPKT_PKT0_S7_ifPKiS9_S9_iPKfiiiPfSC_PS2_PT2_iSB_SB_
		.amdhsa_group_segment_fixed_size 5280
		.amdhsa_private_segment_fixed_size 0
		.amdhsa_kernarg_size 400
		.amdhsa_user_sgpr_count 2
		.amdhsa_user_sgpr_dispatch_ptr 0
		.amdhsa_user_sgpr_queue_ptr 0
		.amdhsa_user_sgpr_kernarg_segment_ptr 1
		.amdhsa_user_sgpr_dispatch_id 0
		.amdhsa_user_sgpr_kernarg_preload_length 0
		.amdhsa_user_sgpr_kernarg_preload_offset 0
		.amdhsa_user_sgpr_private_segment_size 0
		.amdhsa_uses_dynamic_stack 0
		.amdhsa_enable_private_segment 0
		.amdhsa_system_sgpr_workgroup_id_x 1
		.amdhsa_system_sgpr_workgroup_id_y 1
		.amdhsa_system_sgpr_workgroup_id_z 1
		.amdhsa_system_sgpr_workgroup_info 0
		.amdhsa_system_vgpr_workitem_id 0
		.amdhsa_next_free_vgpr 60
		.amdhsa_next_free_sgpr 44
		.amdhsa_accum_offset 56
		.amdhsa_reserve_vcc 1
		.amdhsa_float_round_mode_32 0
		.amdhsa_float_round_mode_16_64 0
		.amdhsa_float_denorm_mode_32 3
		.amdhsa_float_denorm_mode_16_64 3
		.amdhsa_dx10_clamp 1
		.amdhsa_ieee_mode 1
		.amdhsa_fp16_overflow 0
		.amdhsa_tg_split 0
		.amdhsa_exception_fp_ieee_invalid_op 0
		.amdhsa_exception_fp_denorm_src 0
		.amdhsa_exception_fp_ieee_div_zero 0
		.amdhsa_exception_fp_ieee_overflow 0
		.amdhsa_exception_fp_ieee_underflow 0
		.amdhsa_exception_fp_ieee_inexact 0
		.amdhsa_exception_int_div_zero 0
	.end_amdhsa_kernel
	.section	.text._Z38paged_attention_ll4mi_QKV_mfma4_kernelIDF16_hLN4vllm18Fp8KVCacheDataTypeE1EhLi16ELi128ELi256ELb1ELi2EEvPKT_PKT0_S7_ifPKiS9_S9_iPKfiiiPfSC_PS2_PT2_iSB_SB_,"axG",@progbits,_Z38paged_attention_ll4mi_QKV_mfma4_kernelIDF16_hLN4vllm18Fp8KVCacheDataTypeE1EhLi16ELi128ELi256ELb1ELi2EEvPKT_PKT0_S7_ifPKiS9_S9_iPKfiiiPfSC_PS2_PT2_iSB_SB_,comdat
.Lfunc_end929:
	.size	_Z38paged_attention_ll4mi_QKV_mfma4_kernelIDF16_hLN4vllm18Fp8KVCacheDataTypeE1EhLi16ELi128ELi256ELb1ELi2EEvPKT_PKT0_S7_ifPKiS9_S9_iPKfiiiPfSC_PS2_PT2_iSB_SB_, .Lfunc_end929-_Z38paged_attention_ll4mi_QKV_mfma4_kernelIDF16_hLN4vllm18Fp8KVCacheDataTypeE1EhLi16ELi128ELi256ELb1ELi2EEvPKT_PKT0_S7_ifPKiS9_S9_iPKfiiiPfSC_PS2_PT2_iSB_SB_
                                        ; -- End function
	.section	.AMDGPU.csdata,"",@progbits
; Kernel info:
; codeLenInByte = 5484
; NumSgprs: 50
; NumVgprs: 56
; NumAgprs: 4
; TotalNumVgprs: 60
; ScratchSize: 0
; MemoryBound: 0
; FloatMode: 240
; IeeeMode: 1
; LDSByteSize: 5280 bytes/workgroup (compile time only)
; SGPRBlocks: 6
; VGPRBlocks: 7
; NumSGPRsForWavesPerEU: 50
; NumVGPRsForWavesPerEU: 60
; AccumOffset: 56
; Occupancy: 8
; WaveLimiterHint : 1
; COMPUTE_PGM_RSRC2:SCRATCH_EN: 0
; COMPUTE_PGM_RSRC2:USER_SGPR: 2
; COMPUTE_PGM_RSRC2:TRAP_HANDLER: 0
; COMPUTE_PGM_RSRC2:TGID_X_EN: 1
; COMPUTE_PGM_RSRC2:TGID_Y_EN: 1
; COMPUTE_PGM_RSRC2:TGID_Z_EN: 1
; COMPUTE_PGM_RSRC2:TIDIG_COMP_CNT: 0
; COMPUTE_PGM_RSRC3_GFX90A:ACCUM_OFFSET: 13
; COMPUTE_PGM_RSRC3_GFX90A:TG_SPLIT: 0
	.section	.text._Z38paged_attention_ll4mi_QKV_mfma4_kernelIDF16_hLN4vllm18Fp8KVCacheDataTypeE1EhLi16ELi128ELi256ELb1ELi3EEvPKT_PKT0_S7_ifPKiS9_S9_iPKfiiiPfSC_PS2_PT2_iSB_SB_,"axG",@progbits,_Z38paged_attention_ll4mi_QKV_mfma4_kernelIDF16_hLN4vllm18Fp8KVCacheDataTypeE1EhLi16ELi128ELi256ELb1ELi3EEvPKT_PKT0_S7_ifPKiS9_S9_iPKfiiiPfSC_PS2_PT2_iSB_SB_,comdat
	.protected	_Z38paged_attention_ll4mi_QKV_mfma4_kernelIDF16_hLN4vllm18Fp8KVCacheDataTypeE1EhLi16ELi128ELi256ELb1ELi3EEvPKT_PKT0_S7_ifPKiS9_S9_iPKfiiiPfSC_PS2_PT2_iSB_SB_ ; -- Begin function _Z38paged_attention_ll4mi_QKV_mfma4_kernelIDF16_hLN4vllm18Fp8KVCacheDataTypeE1EhLi16ELi128ELi256ELb1ELi3EEvPKT_PKT0_S7_ifPKiS9_S9_iPKfiiiPfSC_PS2_PT2_iSB_SB_
	.globl	_Z38paged_attention_ll4mi_QKV_mfma4_kernelIDF16_hLN4vllm18Fp8KVCacheDataTypeE1EhLi16ELi128ELi256ELb1ELi3EEvPKT_PKT0_S7_ifPKiS9_S9_iPKfiiiPfSC_PS2_PT2_iSB_SB_
	.p2align	8
	.type	_Z38paged_attention_ll4mi_QKV_mfma4_kernelIDF16_hLN4vllm18Fp8KVCacheDataTypeE1EhLi16ELi128ELi256ELb1ELi3EEvPKT_PKT0_S7_ifPKiS9_S9_iPKfiiiPfSC_PS2_PT2_iSB_SB_,@function
_Z38paged_attention_ll4mi_QKV_mfma4_kernelIDF16_hLN4vllm18Fp8KVCacheDataTypeE1EhLi16ELi128ELi256ELb1ELi3EEvPKT_PKT0_S7_ifPKiS9_S9_iPKfiiiPfSC_PS2_PT2_iSB_SB_: ; @_Z38paged_attention_ll4mi_QKV_mfma4_kernelIDF16_hLN4vllm18Fp8KVCacheDataTypeE1EhLi16ELi128ELi256ELb1ELi3EEvPKT_PKT0_S7_ifPKiS9_S9_iPKfiiiPfSC_PS2_PT2_iSB_SB_
; %bb.0:
	s_load_dwordx2 s[16:17], s[0:1], 0x30
	s_mov_b32 s20, s3
	s_mov_b64 s[6:7], 0
	s_waitcnt lgkmcnt(0)
	s_cmp_lg_u64 s[16:17], 0
	s_cselect_b64 s[18:19], -1, 0
	s_and_b64 vcc, exec, s[18:19]
	s_cbranch_vccz .LBB930_10
; %bb.1:
	s_add_i32 s8, s2, 1
	s_mov_b32 s9, 0
	s_lshl_b64 s[10:11], s[8:9], 2
	s_add_u32 s10, s16, s10
	s_mov_b32 s3, s9
	s_addc_u32 s11, s17, s11
	s_lshl_b64 s[8:9], s[2:3], 2
	s_add_u32 s8, s16, s8
	s_addc_u32 s9, s17, s9
	s_load_dword s5, s[10:11], 0x0
	s_load_dword s12, s[8:9], 0x0
	s_waitcnt lgkmcnt(0)
	s_sub_i32 s5, s5, s12
	s_cmp_eq_u32 s5, 1
	s_cselect_b64 s[8:9], -1, 0
	s_andn2_b64 vcc, exec, s[6:7]
	s_cbranch_vccnz .LBB930_3
.LBB930_2:
	s_mov_b32 s3, 0
	s_mov_b64 s[8:9], -1
.LBB930_3:
	s_andn2_b64 vcc, exec, s[8:9]
	s_cbranch_vccnz .LBB930_27
; %bb.4:
	s_load_dword s5, s[0:1], 0x9c
	s_load_dwordx2 s[6:7], s[0:1], 0x28
	s_add_u32 s24, s0, 0x90
	s_addc_u32 s25, s1, 0
	s_lshl_b64 s[28:29], s[2:3], 2
	s_waitcnt lgkmcnt(0)
	s_and_b32 s5, s5, 0xffff
	s_add_u32 s6, s6, s28
	s_addc_u32 s7, s7, s29
	s_load_dword s3, s[6:7], 0x0
	s_mul_i32 s5, s20, s5
	s_waitcnt lgkmcnt(0)
	s_cmp_ge_i32 s5, s3
	s_cbranch_scc1 .LBB930_27
; %bb.5:
	v_and_b32_e32 v1, 0xc0, v0
	v_add_u32_e32 v4, s5, v1
	v_lshrrev_b32_e32 v42, 6, v0
	v_cmp_le_i32_e64 s[6:7], s3, v4
                                        ; implicit-def: $sgpr30
                                        ; implicit-def: $sgpr21
	s_and_saveexec_b64 s[8:9], s[6:7]
	s_xor_b64 s[8:9], exec, s[8:9]
	s_cbranch_execz .LBB930_7
; %bb.6:
	v_mul_u32_u24_e32 v1, 20, v42
	v_or_b32_e32 v1, 0x1400, v1
	v_mov_b32_e32 v2, 0x1450
	v_mov_b32_e32 v3, 0xff7fffff
	v_mad_u32_u24 v2, v42, 20, v2
	ds_write2_b32 v1, v3, v3 offset1:1
	v_mov_b32_e32 v1, 0
	ds_write2_b32 v2, v1, v1 offset1:1
	v_mov_b32_e32 v2, 0x1408
	v_mov_b32_e32 v4, 0x1458
	s_mov_b32 s21, 0xff7fffff
	s_mov_b32 s30, 0
	v_mad_u32_u24 v2, v42, 20, v2
	v_mad_u32_u24 v4, v42, 20, v4
	ds_write2_b32 v2, v3, v3 offset1:1
	ds_write2_b32 v4, v1, v1 offset1:1
                                        ; implicit-def: $vgpr4
.LBB930_7:
	s_or_saveexec_b64 s[26:27], s[8:9]
	s_load_dwordx2 s[22:23], s[0:1], 0x68
	s_load_dwordx4 s[12:15], s[0:1], 0x58
	s_load_dword s33, s[24:25], 0x4
	s_load_dwordx4 s[8:11], s[0:1], 0x80
	v_and_b32_e32 v1, 63, v0
	v_and_b32_e32 v43, 3, v0
	s_mul_i32 s38, s4, 3
	v_mov_b32_e32 v37, s30
	v_mov_b32_e32 v39, s21
	;; [unrolled: 1-line block ×5, first 2 shown]
                                        ; implicit-def: $vgpr18_vgpr19
                                        ; implicit-def: $vgpr22_vgpr23
                                        ; implicit-def: $vgpr26_vgpr27
                                        ; implicit-def: $vgpr30_vgpr31
                                        ; implicit-def: $vgpr2_vgpr3
                                        ; implicit-def: $vgpr6_vgpr7
                                        ; implicit-def: $vgpr10_vgpr11
                                        ; implicit-def: $vgpr14_vgpr15
	s_xor_b64 exec, exec, s[26:27]
	s_cbranch_execz .LBB930_19
; %bb.8:
	s_load_dwordx2 s[30:31], s[0:1], 0x20
	s_load_dword s21, s[0:1], 0x38
	s_add_i32 s34, s3, 15
	s_ashr_i32 s35, s34, 31
	s_lshr_b32 s35, s35, 28
	v_add_u32_e32 v44, s5, v0
	s_add_i32 s34, s34, s35
	v_ashrrev_i32_e32 v2, 31, v44
	s_ashr_i32 s34, s34, 4
	v_lshrrev_b32_e32 v2, 28, v2
	s_add_i32 s36, s34, -1
	s_waitcnt lgkmcnt(0)
	s_mul_i32 s34, s2, s21
	s_mov_b32 s35, 0
	v_add_u32_e32 v2, v44, v2
	s_lshl_b64 s[34:35], s[34:35], 2
	v_ashrrev_i32_e32 v2, 4, v2
	v_mov_b32_e32 v3, s36
	v_cmp_gt_i32_e32 vcc, s3, v44
	s_add_u32 s30, s30, s34
	s_addc_u32 s31, s31, s35
	v_cndmask_b32_e32 v2, v3, v2, vcc
	v_ashrrev_i32_e32 v3, 31, v2
	v_lshl_add_u64 v[6:7], v[2:3], 2, s[30:31]
	v_ashrrev_i32_e32 v2, 31, v4
	v_lshrrev_b32_e32 v2, 28, v2
	v_add_u32_e32 v2, v4, v2
	v_ashrrev_i32_e32 v12, 4, v2
	v_min_i32_e32 v2, s36, v12
	v_ashrrev_i32_e32 v3, 31, v2
	v_lshl_add_u64 v[4:5], v[2:3], 2, s[30:31]
	v_add_u32_e32 v2, 1, v12
	v_min_i32_e32 v2, s36, v2
	v_ashrrev_i32_e32 v3, 31, v2
	v_lshl_add_u64 v[8:9], v[2:3], 2, s[30:31]
	v_add_u32_e32 v2, 2, v12
	;; [unrolled: 4-line block ×3, first 2 shown]
	v_min_i32_e32 v2, s36, v2
	v_ashrrev_i32_e32 v3, 31, v2
	v_lshl_add_u64 v[12:13], v[2:3], 2, s[30:31]
	global_load_dword v2, v[6:7], off
	global_load_dword v48, v[4:5], off
	;; [unrolled: 1-line block ×5, first 2 shown]
	s_load_dwordx2 s[30:31], s[0:1], 0x8
	s_andn2_b64 vcc, exec, s[18:19]
	s_cbranch_vccnz .LBB930_11
; %bb.9:
	s_add_u32 s16, s16, s28
	s_addc_u32 s17, s17, s29
	s_load_dword s5, s[16:17], 0x0
	s_branch .LBB930_12
.LBB930_10:
	s_mov_b64 s[8:9], 0
	s_branch .LBB930_2
.LBB930_11:
	s_mov_b32 s5, s2
.LBB930_12:
	s_load_dwordx2 s[28:29], s[0:1], 0x10
	s_load_dwordx4 s[16:19], s[0:1], 0x48
	v_cmp_ne_u32_e32 vcc, 3, v43
	s_mov_b32 s37, 0
	v_mov_b32_e32 v41, 0
	v_mov_b32_e32 v14, 0
	;; [unrolled: 1-line block ×5, first 2 shown]
	s_and_saveexec_b64 s[34:35], vcc
	s_cbranch_execz .LBB930_14
; %bb.13:
	s_load_dwordx2 s[40:41], s[0:1], 0x0
	s_waitcnt lgkmcnt(0)
	s_ashr_i32 s19, s16, 31
	s_mul_hi_u32 s21, s5, s16
	s_mul_i32 s19, s5, s19
	s_add_i32 s43, s21, s19
	s_mul_i32 s42, s5, s16
	s_lshl_b64 s[42:43], s[42:43], 1
	s_add_u32 s5, s40, s42
	s_mul_i32 s36, s4, 0x180
	s_addc_u32 s16, s41, s43
	s_lshl_b64 s[36:37], s[36:37], 1
	v_lshlrev_b32_e32 v3, 2, v1
	s_add_u32 s36, s5, s36
	v_and_b32_e32 v3, 0xf0, v3
	s_addc_u32 s37, s16, s37
	v_lshl_or_b32 v3, v43, 8, v3
	global_load_dwordx4 v[14:17], v3, s[36:37]
.LBB930_14:
	s_or_b64 exec, exec, s[34:35]
	s_waitcnt lgkmcnt(0)
	s_mul_i32 s16, s4, s18
	s_add_u32 s4, s16, s30
	s_addc_u32 s5, 0, s31
	v_mov_b64_e32 v[4:5], s[4:5]
	s_waitcnt vmcnt(4)
	v_mad_i64_i32 v[2:3], s[4:5], v2, s17, v[4:5]
	v_lshlrev_b32_e32 v4, 4, v0
	v_and_b32_e32 v40, 0xf0, v4
	v_lshl_add_u64 v[38:39], v[2:3], 0, v[40:41]
	global_load_dwordx4 v[22:25], v[38:39], off
	global_load_dwordx4 v[18:21], v[38:39], off offset:256
	global_load_dwordx4 v[2:5], v[38:39], off offset:512
	;; [unrolled: 1-line block ×7, first 2 shown]
	v_mov_b32_e32 v39, 1.0
	v_mov_b32_e32 v38, 0
	s_and_saveexec_b64 s[4:5], vcc
	s_cbranch_execz .LBB930_16
; %bb.15:
	s_load_dwordx2 s[18:19], s[0:1], 0x40
	v_add_u32_e32 v38, s38, v43
	v_mov_b32_e32 v39, 0
	s_waitcnt lgkmcnt(0)
	v_lshl_add_u64 v[50:51], v[38:39], 2, s[18:19]
	global_load_dword v38, v[50:51], off
.LBB930_16:
	s_or_b64 exec, exec, s[4:5]
	s_waitcnt vmcnt(11)
	v_mul_hi_i32 v40, v48, s17
	v_ashrrev_i32_e32 v40, 31, v40
	v_lshrrev_b32_e32 v50, 29, v40
	s_waitcnt vmcnt(10)
	v_mul_hi_i32 v40, v47, s17
	v_mov_b32_e32 v51, 0
	v_ashrrev_i32_e32 v40, 31, v40
	v_mad_i64_i32 v[48:49], s[4:5], v48, s17, v[50:51]
	v_lshrrev_b32_e32 v50, 29, v40
	s_waitcnt vmcnt(9)
	v_mul_hi_i32 v40, v46, s17
	v_ashrrev_i32_e32 v40, 31, v40
	v_mad_i64_i32 v[52:53], s[4:5], v47, s17, v[50:51]
	v_lshrrev_b32_e32 v50, 29, v40
	s_waitcnt vmcnt(8)
	v_mul_hi_i32 v40, v45, s17
	v_ashrrev_i32_e32 v40, 31, v40
	v_mad_i64_i32 v[46:47], s[4:5], v46, s17, v[50:51]
	v_lshrrev_b32_e32 v50, 29, v40
	v_mad_i64_i32 v[50:51], s[4:5], v45, s17, v[50:51]
	s_add_u32 s4, s28, s16
	s_addc_u32 s5, s29, 0
	v_and_b32_e32 v48, -8, v48
	v_and_b32_e32 v52, -8, v52
	;; [unrolled: 1-line block ×4, first 2 shown]
	v_lshl_add_u64 v[48:49], s[4:5], 0, v[48:49]
	v_lshlrev_b32_e32 v40, 4, v1
	v_lshl_add_u64 v[52:53], s[4:5], 0, v[52:53]
	v_lshl_add_u64 v[46:47], s[4:5], 0, v[46:47]
	;; [unrolled: 1-line block ×7, first 2 shown]
	s_waitcnt vmcnt(7)
	v_cvt_pk_f32_fp8_e32 v[50:51], v22
	v_cvt_pk_f32_fp8_sdwa v[54:55], v22 src0_sel:WORD_1
	s_load_dword s0, s[0:1], 0x1c
	v_cmp_eq_u32_e32 vcc, 0, v43
	v_cvt_pkrtz_f16_f32 v50, v50, v51
	v_cvt_pkrtz_f16_f32 v51, v54, v55
	s_waitcnt vmcnt(5)
	v_cvt_pk_f32_fp8_sdwa v[54:55], v5 src0_sel:WORD_1
	s_load_dword s1, s[8:9], 0x0
	v_mfma_f32_4x4x4_16b_f16 a[0:3], v[14:15], v[50:51], 0 cbsz:4
	v_cvt_pk_f32_fp8_e32 v[50:51], v23
	v_cvt_pkrtz_f16_f32 v22, v50, v51
	v_cvt_pk_f32_fp8_sdwa v[50:51], v23 src0_sel:WORD_1
	s_nop 0
	v_cvt_pkrtz_f16_f32 v23, v50, v51
	s_nop 1
	v_mfma_f32_4x4x4_16b_f16 a[0:3], v[16:17], v[22:23], a[0:3] cbsz:4
	v_cvt_pk_f32_fp8_e32 v[22:23], v24
	v_cvt_pk_f32_fp8_sdwa v[50:51], v24 src0_sel:WORD_1
	v_cvt_pkrtz_f16_f32 v22, v22, v23
	v_cvt_pkrtz_f16_f32 v23, v50, v51
	v_cvt_pk_f32_fp8_e32 v[50:51], v25
	v_cvt_pk_f32_fp8_sdwa v[24:25], v25 src0_sel:WORD_1
	v_mfma_f32_4x4x4_16b_f16 a[0:3], v[14:15], v[22:23], a[0:3] cbsz:4 abid:1
	v_cvt_pk_f32_fp8_e32 v[22:23], v18
	v_cvt_pkrtz_f16_f32 v50, v50, v51
	v_cvt_pkrtz_f16_f32 v51, v24, v25
	v_cvt_pk_f32_fp8_sdwa v[24:25], v18 src0_sel:WORD_1
	v_cvt_pkrtz_f16_f32 v22, v22, v23
	v_mfma_f32_4x4x4_16b_f16 a[0:3], v[16:17], v[50:51], a[0:3] cbsz:4 abid:1
	v_cvt_pk_f32_fp8_e32 v[50:51], v19
	v_cvt_pk_f32_fp8_sdwa v[18:19], v19 src0_sel:WORD_1
	v_cvt_pkrtz_f16_f32 v23, v24, v25
	v_cvt_pkrtz_f16_f32 v24, v50, v51
	s_nop 0
	v_mfma_f32_4x4x4_16b_f16 a[0:3], v[14:15], v[22:23], a[0:3] cbsz:4 abid:2
	v_cvt_pkrtz_f16_f32 v25, v18, v19
	v_cvt_pk_f32_fp8_e32 v[18:19], v20
	v_cvt_pk_f32_fp8_sdwa v[22:23], v20 src0_sel:WORD_1
	v_mfma_f32_4x4x4_16b_f16 a[0:3], v[16:17], v[24:25], a[0:3] cbsz:4 abid:2
	v_cvt_pk_f32_fp8_e32 v[24:25], v21
	v_cvt_pk_f32_fp8_sdwa v[20:21], v21 src0_sel:WORD_1
	v_cvt_pkrtz_f16_f32 v18, v18, v19
	v_cvt_pkrtz_f16_f32 v19, v22, v23
	;; [unrolled: 1-line block ×4, first 2 shown]
	v_mfma_f32_4x4x4_16b_f16 a[0:3], v[14:15], v[18:19], a[0:3] cbsz:4 abid:3
	v_cvt_pk_f32_fp8_e32 v[18:19], v2
	v_cvt_pk_f32_fp8_sdwa v[20:21], v2 src0_sel:WORD_1
	v_mfma_f32_4x4x4_16b_f16 a[0:3], v[16:17], v[22:23], a[0:3] cbsz:4 abid:3
	v_cvt_pk_f32_fp8_e32 v[22:23], v3
	v_cvt_pk_f32_fp8_sdwa v[24:25], v3 src0_sel:WORD_1
	v_cvt_pkrtz_f16_f32 v2, v18, v19
	v_cvt_pkrtz_f16_f32 v3, v20, v21
	;; [unrolled: 1-line block ×4, first 2 shown]
	v_mfma_f32_4x4x4_16b_f16 a[0:3], v[14:15], v[2:3], a[0:3] cbsz:4 abid:4
	v_cvt_pk_f32_fp8_sdwa v[24:25], v4 src0_sel:WORD_1
	v_cvt_pk_f32_fp8_e32 v[50:51], v5
	v_mfma_f32_4x4x4_16b_f16 a[0:3], v[16:17], v[22:23], a[0:3] cbsz:4 abid:4
	v_cvt_pk_f32_fp8_e32 v[22:23], v4
	global_load_dwordx4 v[18:21], v[48:49], off
	global_load_dwordx4 v[2:5], v[48:49], off offset:1024
	s_waitcnt vmcnt(6)
	v_cvt_pk_f32_fp8_e32 v[48:49], v7
	v_cvt_pkrtz_f16_f32 v22, v22, v23
	v_cvt_pkrtz_f16_f32 v23, v24, v25
	;; [unrolled: 1-line block ×4, first 2 shown]
	v_mfma_f32_4x4x4_16b_f16 a[0:3], v[14:15], v[22:23], a[0:3] cbsz:4 abid:5
	v_cvt_pk_f32_fp8_e32 v[22:23], v6
	s_waitcnt vmcnt(5)
	v_cvt_pk_f32_fp8_sdwa v[50:51], v26 src0_sel:WORD_1
	v_mfma_f32_4x4x4_16b_f16 a[0:3], v[16:17], v[24:25], a[0:3] cbsz:4 abid:5
	v_cvt_pk_f32_fp8_sdwa v[24:25], v6 src0_sel:WORD_1
	v_cvt_pk_f32_fp8_sdwa v[6:7], v7 src0_sel:WORD_1
	v_cvt_pkrtz_f16_f32 v22, v22, v23
	v_cvt_pk_f32_fp8_e32 v[54:55], v27
	v_cvt_pkrtz_f16_f32 v23, v24, v25
	v_cvt_pkrtz_f16_f32 v25, v6, v7
	v_cvt_pk_f32_fp8_e32 v[6:7], v8
	v_mfma_f32_4x4x4_16b_f16 a[0:3], v[14:15], v[22:23], a[0:3] cbsz:4 abid:6
	v_cvt_pk_f32_fp8_sdwa v[22:23], v8 src0_sel:WORD_1
	v_cvt_pkrtz_f16_f32 v24, v48, v49
	v_cvt_pk_f32_fp8_e32 v[48:49], v9
	v_cvt_pk_f32_fp8_sdwa v[8:9], v9 src0_sel:WORD_1
	v_mfma_f32_4x4x4_16b_f16 a[0:3], v[16:17], v[24:25], a[0:3] cbsz:4 abid:6
	v_cvt_pkrtz_f16_f32 v6, v6, v7
	v_cvt_pkrtz_f16_f32 v7, v22, v23
	;; [unrolled: 1-line block ×4, first 2 shown]
	v_mfma_f32_4x4x4_16b_f16 a[0:3], v[14:15], v[6:7], a[0:3] cbsz:4 abid:7
	v_cvt_pk_f32_fp8_e32 v[6:7], v26
	v_cvt_pk_f32_fp8_sdwa v[26:27], v27 src0_sel:WORD_1
	v_mfma_f32_4x4x4_16b_f16 a[0:3], v[16:17], v[48:49], a[0:3] cbsz:4 abid:7
	v_cvt_pkrtz_f16_f32 v49, v50, v51
	v_cvt_pkrtz_f16_f32 v48, v6, v7
	;; [unrolled: 1-line block ×4, first 2 shown]
	v_mfma_f32_4x4x4_16b_f16 a[0:3], v[14:15], v[48:49], a[0:3] cbsz:4 abid:8
	v_cvt_pk_f32_fp8_e32 v[26:27], v28
	v_cvt_pk_f32_fp8_sdwa v[48:49], v28 src0_sel:WORD_1
	v_mfma_f32_4x4x4_16b_f16 a[0:3], v[16:17], v[50:51], a[0:3] cbsz:4 abid:8
	v_cvt_pk_f32_fp8_e32 v[50:51], v29
	v_cvt_pk_f32_fp8_sdwa v[28:29], v29 src0_sel:WORD_1
	v_cvt_pkrtz_f16_f32 v26, v26, v27
	v_cvt_pkrtz_f16_f32 v27, v48, v49
	;; [unrolled: 1-line block ×4, first 2 shown]
	v_mfma_f32_4x4x4_16b_f16 a[0:3], v[14:15], v[26:27], a[0:3] cbsz:4 abid:9
	s_waitcnt vmcnt(4)
	v_cvt_pk_f32_fp8_e32 v[26:27], v10
	v_cvt_pk_f32_fp8_sdwa v[28:29], v10 src0_sel:WORD_1
	v_mfma_f32_4x4x4_16b_f16 a[0:3], v[16:17], v[48:49], a[0:3] cbsz:4 abid:9
	v_cvt_pk_f32_fp8_e32 v[48:49], v11
	v_cvt_pk_f32_fp8_sdwa v[50:51], v11 src0_sel:WORD_1
	v_cvt_pkrtz_f16_f32 v10, v26, v27
	v_cvt_pkrtz_f16_f32 v11, v28, v29
	;; [unrolled: 1-line block ×4, first 2 shown]
	v_mfma_f32_4x4x4_16b_f16 a[0:3], v[14:15], v[10:11], a[0:3] cbsz:4 abid:10
	v_cvt_pk_f32_fp8_sdwa v[50:51], v12 src0_sel:WORD_1
	global_load_dwordx4 v[22:25], v[52:53], off
	global_load_dwordx4 v[6:9], v[52:53], off offset:1024
	v_mfma_f32_4x4x4_16b_f16 a[0:3], v[16:17], v[48:49], a[0:3] cbsz:4 abid:10
	v_cvt_pk_f32_fp8_e32 v[48:49], v12
	v_cvt_pk_f32_fp8_e32 v[52:53], v13
	v_cvt_pk_f32_fp8_sdwa v[54:55], v13 src0_sel:WORD_1
	global_load_dwordx4 v[26:29], v[46:47], off
	global_load_dwordx4 v[10:13], v[46:47], off offset:1024
	v_cvt_pkrtz_f16_f32 v46, v48, v49
	v_cvt_pkrtz_f16_f32 v47, v50, v51
	;; [unrolled: 1-line block ×4, first 2 shown]
	v_mfma_f32_4x4x4_16b_f16 a[0:3], v[14:15], v[46:47], a[0:3] cbsz:4 abid:11
	s_waitcnt vmcnt(7)
	v_cvt_pk_f32_fp8_e32 v[46:47], v34
	v_cvt_pk_f32_fp8_e32 v[50:51], v35
	v_mfma_f32_4x4x4_16b_f16 a[0:3], v[16:17], v[48:49], a[0:3] cbsz:4 abid:11
	v_cvt_pk_f32_fp8_sdwa v[48:49], v34 src0_sel:WORD_1
	v_cvt_pkrtz_f16_f32 v34, v46, v47
	v_cvt_pk_f32_fp8_sdwa v[46:47], v35 src0_sel:WORD_1
	v_cvt_pkrtz_f16_f32 v35, v48, v49
	v_cvt_pkrtz_f16_f32 v48, v50, v51
	s_nop 0
	v_mfma_f32_4x4x4_16b_f16 a[0:3], v[14:15], v[34:35], a[0:3] cbsz:4 abid:12
	v_cvt_pkrtz_f16_f32 v49, v46, v47
	v_cvt_pk_f32_fp8_e32 v[34:35], v36
	v_cvt_pk_f32_fp8_sdwa v[46:47], v36 src0_sel:WORD_1
	v_mfma_f32_4x4x4_16b_f16 a[0:3], v[16:17], v[48:49], a[0:3] cbsz:4 abid:12
	v_cvt_pk_f32_fp8_e32 v[48:49], v37
	v_cvt_pk_f32_fp8_sdwa v[36:37], v37 src0_sel:WORD_1
	v_cvt_pkrtz_f16_f32 v34, v34, v35
	v_cvt_pkrtz_f16_f32 v35, v46, v47
	;; [unrolled: 1-line block ×4, first 2 shown]
	v_mfma_f32_4x4x4_16b_f16 a[0:3], v[14:15], v[34:35], a[0:3] cbsz:4 abid:13
	s_waitcnt vmcnt(6)
	v_cvt_pk_f32_fp8_e32 v[34:35], v30
	v_cvt_pk_f32_fp8_sdwa v[36:37], v30 src0_sel:WORD_1
	v_mfma_f32_4x4x4_16b_f16 a[0:3], v[16:17], v[46:47], a[0:3] cbsz:4 abid:13
	v_cvt_pk_f32_fp8_e32 v[46:47], v31
	v_cvt_pkrtz_f16_f32 v30, v34, v35
	v_cvt_pk_f32_fp8_sdwa v[34:35], v31 src0_sel:WORD_1
	v_cvt_pkrtz_f16_f32 v31, v36, v37
	v_cvt_pkrtz_f16_f32 v36, v46, v47
	;; [unrolled: 1-line block ×3, first 2 shown]
	v_mfma_f32_4x4x4_16b_f16 a[0:3], v[14:15], v[30:31], a[0:3] cbsz:4 abid:14
	v_cvt_pk_f32_fp8_e32 v[30:31], v32
	v_cvt_pk_f32_fp8_sdwa v[34:35], v32 src0_sel:WORD_1
	v_mfma_f32_4x4x4_16b_f16 a[0:3], v[16:17], v[36:37], a[0:3] cbsz:4 abid:14
	v_cvt_pk_f32_fp8_e32 v[36:37], v33
	v_cvt_pk_f32_fp8_sdwa v[32:33], v33 src0_sel:WORD_1
	v_cvt_pkrtz_f16_f32 v30, v30, v31
	v_cvt_pkrtz_f16_f32 v31, v34, v35
	;; [unrolled: 1-line block ×4, first 2 shown]
	v_mfma_f32_4x4x4_16b_f16 a[0:3], v[14:15], v[30:31], a[0:3] cbsz:4 abid:15
	s_waitcnt lgkmcnt(0)
	v_mov_b32_e32 v14, s0
	v_mfma_f32_4x4x4_16b_f16 a[0:3], v[16:17], v[34:35], a[0:3] cbsz:4 abid:15
	v_mul_f32_e32 v16, s1, v14
	s_nop 3
	v_accvgpr_read_b32 v31, a1
	v_accvgpr_read_b32 v30, a0
	v_pk_mul_f32 v[30:31], v[30:31], v[16:17] op_sel_hi:[1,0]
	v_accvgpr_read_b32 v15, a3
	v_accvgpr_read_b32 v14, a2
	v_pk_mul_f32 v[34:35], v[14:15], v[16:17] op_sel_hi:[1,0]
	v_cndmask_b32_e64 v14, 0, 1.0, vcc
	v_cmp_eq_u32_e32 vcc, 1, v43
	s_nop 0
	v_mfma_f32_4x4x1_16b_f32 a[0:3], v30, v14, 0
	v_cndmask_b32_e64 v14, 0, 1.0, vcc
	v_cmp_eq_u32_e32 vcc, 2, v43
	s_nop 0
	v_mfma_f32_4x4x1_16b_f32 a[0:3], v31, v14, a[0:3]
	v_cndmask_b32_e64 v14, 0, 1.0, vcc
	s_nop 1
	v_mfma_f32_4x4x1_16b_f32 a[0:3], v34, v14, a[0:3]
	global_load_dwordx4 v[30:33], v[40:41], off
	global_load_dwordx4 v[14:17], v[40:41], off offset:1024
	v_and_b32_e32 v34, -4, v44
	v_mfma_f32_4x4x1_16b_f32 a[0:3], v35, v39, a[0:3]
	v_subrev_u32_e32 v35, s3, v34
	v_add_u32_e32 v36, 1, v35
	v_cvt_f32_i32_e32 v36, v36
	v_add_u32_e32 v37, 2, v35
	v_cvt_f32_i32_e32 v37, v37
	v_accvgpr_read_b32 v39, a0
	v_fma_f32 v36, v38, v36, v39
	v_accvgpr_read_b32 v39, a1
	v_fma_f32 v37, v38, v37, v39
	v_add_u32_e32 v39, 3, v35
	v_add_u32_e32 v35, 4, v35
	v_cvt_f32_i32_e32 v39, v39
	v_cvt_f32_i32_e32 v35, v35
	v_accvgpr_read_b32 v40, a2
	v_accvgpr_read_b32 v41, a3
	v_fma_f32 v40, v38, v39, v40
	v_fmac_f32_e32 v41, v38, v35
	v_max_f32_e32 v38, 0xff7fffff, v36
	v_mov_b32_e32 v39, 0xff7fffff
	v_cmp_gt_i32_e32 vcc, s3, v34
	v_lshlrev_b32_e32 v35, 2, v0
	v_and_or_b32 v35, v35, 48, v43
	v_cndmask_b32_e32 v38, v39, v38, vcc
	v_or_b32_e32 v39, 1, v34
	v_max_f32_e32 v45, v38, v37
	v_cmp_gt_i32_e64 s[0:1], s3, v39
	v_or_b32_e32 v34, 2, v34
	v_cmp_gt_i32_e64 s[4:5], s3, v34
	v_cndmask_b32_e64 v38, v38, v45, s[0:1]
	v_max_f32_e32 v39, v38, v40
	v_cndmask_b32_e64 v34, v38, v39, s[4:5]
	v_or_b32_e32 v38, 3, v44
	v_max_f32_e32 v39, v34, v41
	v_cmp_gt_i32_e64 s[8:9], s3, v38
	v_lshlrev_b32_e32 v38, 2, v35
	s_nop 0
	v_cndmask_b32_e64 v34, v34, v39, s[8:9]
	;;#ASMSTART
	v_nop
 v_nop
 v_max_f32_dpp v34, v34, v34 row_ror:4
	;;#ASMEND
	s_nop 0
	;;#ASMSTART
	v_nop
 v_nop
 v_max_f32_dpp v34, v34, v34 row_ror:8
	;;#ASMEND
	ds_bpermute_b32 v34, v38, v34
	s_waitcnt lgkmcnt(0)
	;;#ASMSTART
	v_nop
 v_nop
 v_max_f32_dpp v34, v34, v34 row_ror:4
	;;#ASMEND
	s_nop 0
	;;#ASMSTART
	v_nop
 v_nop
 v_max_f32_dpp v39, v34, v34 row_ror:8
	;;#ASMEND
	s_nop 0
	v_sub_f32_e32 v34, v36, v39
	v_mul_f32_e32 v34, 0x3fb8aa3b, v34
	v_sub_f32_e32 v35, v37, v39
	v_exp_f32_e32 v34, v34
	v_mul_f32_e32 v35, 0x3fb8aa3b, v35
	v_sub_f32_e32 v37, v40, v39
	v_exp_f32_e32 v35, v35
	;; [unrolled: 3-line block ×3, first 2 shown]
	v_mul_f32_e32 v40, 0x3fb8aa3b, v40
	v_exp_f32_e32 v40, v40
	v_cndmask_b32_e32 v34, 0, v34, vcc
	v_add_f32_e32 v36, 0, v34
	v_cndmask_b32_e64 v35, 0, v35, s[0:1]
	v_add_f32_e32 v41, v36, v35
	v_cndmask_b32_e64 v36, 0, v37, s[4:5]
	;; [unrolled: 2-line block ×3, first 2 shown]
	v_add_f32_e32 v40, v41, v37
	;;#ASMSTART
	v_nop
 v_nop
 v_add_f32_dpp v40, v40, v40 row_ror:4
	;;#ASMEND
	v_cmp_gt_u32_e32 vcc, 4, v1
	;;#ASMSTART
	v_nop
 v_nop
 v_add_f32_dpp v40, v40, v40 row_ror:8
	;;#ASMEND
	ds_bpermute_b32 v38, v38, v40
	s_waitcnt lgkmcnt(0)
	;;#ASMSTART
	v_nop
 v_nop
 v_add_f32_dpp v38, v38, v38 row_ror:4
	;;#ASMEND
	s_nop 0
	;;#ASMSTART
	v_nop
 v_nop
 v_add_f32_dpp v38, v38, v38 row_ror:8
	;;#ASMEND
	s_and_saveexec_b64 s[0:1], vcc
	s_cbranch_execz .LBB930_18
; %bb.17:
	v_mul_u32_u24_e32 v40, 20, v42
	v_lshl_add_u32 v40, v43, 2, v40
	v_add_u32_e32 v40, 0x1400, v40
	ds_write2_b32 v40, v39, v38 offset1:20
.LBB930_18:
	s_or_b64 exec, exec, s[0:1]
.LBB930_19:
	s_or_b64 exec, exec, s[26:27]
	s_waitcnt lgkmcnt(0)
	s_barrier
	s_load_dword s0, s[24:25], 0x8
	v_lshlrev_b32_e32 v38, 2, v43
	v_add_u32_e32 v38, 0x1400, v38
	ds_read2_b32 v[44:45], v38 offset1:5
	ds_read2_b32 v[46:47], v38 offset0:10 offset1:15
	s_mul_i32 s1, s2, s33
	s_waitcnt lgkmcnt(0)
	s_mul_i32 s0, s1, s0
	s_mov_b32 s1, 0xff7fffff
	v_max3_f32 v40, v44, s1, v45
	v_max3_f32 v40, v40, v46, v47
	v_sub_f32_e32 v41, v44, v40
	v_sub_f32_e32 v44, v45, v40
	ds_read2_b32 v[48:49], v38 offset0:20 offset1:25
	v_mul_f32_e32 v41, 0x3fb8aa3b, v41
	v_mul_f32_e32 v44, 0x3fb8aa3b, v44
	v_exp_f32_e32 v41, v41
	v_exp_f32_e32 v50, v44
	ds_read2_b32 v[44:45], v38 offset0:30 offset1:35
	v_sub_f32_e32 v38, v46, v40
	v_mul_f32_e32 v38, 0x3fb8aa3b, v38
	v_sub_f32_e32 v46, v47, v40
	v_exp_f32_e32 v38, v38
	v_mul_f32_e32 v46, 0x3fb8aa3b, v46
	v_exp_f32_e32 v46, v46
	s_waitcnt lgkmcnt(1)
	v_fma_f32 v41, v41, v48, 0
	v_fmac_f32_e32 v41, v50, v49
	s_waitcnt lgkmcnt(0)
	v_fmac_f32_e32 v41, v38, v44
	s_mul_i32 s0, s0, 3
	v_fmac_f32_e32 v41, v46, v45
	v_cmp_ne_u32_e32 vcc, 3, v43
	s_and_saveexec_b64 s[2:3], vcc
	s_cbranch_execz .LBB930_21
; %bb.20:
	s_mov_b32 s1, 0
	s_lshl_b64 s[4:5], s[0:1], 2
	s_add_u32 s12, s12, s4
	s_mov_b32 s21, s1
	s_addc_u32 s13, s13, s5
	s_lshl_b64 s[8:9], s[20:21], 2
	s_add_u32 s12, s12, s8
	s_addc_u32 s13, s13, s9
	s_add_u32 s1, s14, s4
	s_addc_u32 s5, s15, s5
	v_add_u32_e32 v38, s38, v43
	s_add_u32 s4, s1, s8
	v_mul_lo_u32 v44, s33, v38
	v_mov_b32_e32 v45, 0
	s_addc_u32 s5, s5, s9
	v_lshlrev_b64 v[44:45], 2, v[44:45]
	v_lshl_add_u64 v[46:47], s[12:13], 0, v[44:45]
	v_lshl_add_u64 v[44:45], s[4:5], 0, v[44:45]
	global_store_dword v[44:45], v40, off
	global_store_dword v[46:47], v41, off
.LBB930_21:
	s_or_b64 exec, exec, s[2:3]
	v_lshlrev_b32_e32 v38, 3, v42
	s_and_saveexec_b64 s[2:3], s[6:7]
	s_xor_b64 s[2:3], exec, s[2:3]
	s_cbranch_execz .LBB930_23
; %bb.22:
	s_mov_b32 s4, 0
	s_mov_b32 s5, s4
	s_waitcnt vmcnt(6)
	v_mad_u32_u24 v4, v1, 40, v38
	v_mov_b64_e32 v[2:3], s[4:5]
	ds_write2st64_b64 v4, v[2:3], v[2:3] offset1:5
                                        ; implicit-def: $vgpr37
                                        ; implicit-def: $vgpr35
                                        ; implicit-def: $vgpr39
                                        ; implicit-def: $vgpr18_vgpr19
                                        ; implicit-def: $vgpr22_vgpr23
                                        ; implicit-def: $vgpr26_vgpr27
                                        ; implicit-def: $vgpr30_vgpr31
                                        ; implicit-def: $vgpr2_vgpr3
                                        ; implicit-def: $vgpr6_vgpr7
                                        ; implicit-def: $vgpr10_vgpr11
                                        ; implicit-def: $vgpr14_vgpr15
                                        ; implicit-def: $vgpr40
                                        ; implicit-def: $vgpr41
                                        ; implicit-def: $vgpr38
.LBB930_23:
	s_andn2_saveexec_b64 s[2:3], s[2:3]
	s_cbranch_execz .LBB930_25
; %bb.24:
	v_add_f32_e32 v41, 0x358637bd, v41
	v_div_scale_f32 v42, s[4:5], v41, v41, 1.0
	v_rcp_f32_e32 v43, v42
	v_sub_f32_e32 v39, v39, v40
	v_mul_f32_e32 v39, 0x3fb8aa3b, v39
	v_exp_f32_e32 v39, v39
	v_fma_f32 v40, -v42, v43, 1.0
	v_fmac_f32_e32 v43, v40, v43
	v_div_scale_f32 v40, vcc, 1.0, v41, 1.0
	v_mul_f32_e32 v44, v40, v43
	v_fma_f32 v45, -v42, v44, v40
	v_fmac_f32_e32 v44, v45, v43
	v_fma_f32 v40, -v42, v44, v40
	v_div_fmas_f32 v40, v40, v43, v44
	v_div_fixup_f32 v40, v40, v41, 1.0
	v_mul_f32_e32 v40, v39, v40
	v_pk_mul_f32 v[36:37], v[36:37], v[40:41] op_sel_hi:[1,0]
	v_pk_mul_f32 v[34:35], v[34:35], v[40:41] op_sel_hi:[1,0]
	v_cvt_f16_f32_e32 v36, v36
	v_cvt_f16_f32_e32 v34, v34
	;; [unrolled: 1-line block ×4, first 2 shown]
	s_waitcnt vmcnt(7)
	v_cvt_pk_f32_fp8_sdwa v[40:41], v18 src0_sel:WORD_1
	v_cvt_pk_f32_fp8_e32 v[42:43], v19
	v_pack_b32_f16 v34, v34, v35
	v_pack_b32_f16 v35, v36, v37
	v_cvt_pk_f32_fp8_e32 v[36:37], v18
	v_cvt_pk_f32_fp8_sdwa v[18:19], v19 src0_sel:WORD_1
	s_load_dword s4, s[10:11], 0x0
	v_cvt_pkrtz_f16_f32 v36, v36, v37
	v_cvt_pkrtz_f16_f32 v37, v40, v41
	;; [unrolled: 1-line block ×4, first 2 shown]
	v_mfma_f32_4x4x4_16b_f16 a[0:3], v[34:35], v[36:37], 0 cbsz:4
	v_cvt_pk_f32_fp8_e32 v[18:19], v20
	v_cvt_pk_f32_fp8_sdwa v[36:37], v20 src0_sel:WORD_1
	v_mfma_f32_4x4x4_16b_f16 a[0:3], v[34:35], v[40:41], a[0:3] cbsz:4 abid:1
	v_cvt_pk_f32_fp8_e32 v[40:41], v21
	v_cvt_pk_f32_fp8_sdwa v[20:21], v21 src0_sel:WORD_1
	v_cvt_pkrtz_f16_f32 v18, v18, v19
	v_cvt_pkrtz_f16_f32 v19, v36, v37
	;; [unrolled: 1-line block ×4, first 2 shown]
	v_mfma_f32_4x4x4_16b_f16 a[0:3], v[34:35], v[18:19], a[0:3] cbsz:4 abid:2
	s_waitcnt vmcnt(5)
	v_cvt_pk_f32_fp8_e32 v[18:19], v22
	v_cvt_pk_f32_fp8_sdwa v[20:21], v22 src0_sel:WORD_1
	v_mfma_f32_4x4x4_16b_f16 a[0:3], v[34:35], v[36:37], a[0:3] cbsz:4 abid:3
	v_cvt_pk_f32_fp8_e32 v[36:37], v23
	v_cvt_pk_f32_fp8_sdwa v[22:23], v23 src0_sel:WORD_1
	v_cvt_pkrtz_f16_f32 v18, v18, v19
	v_cvt_pkrtz_f16_f32 v19, v20, v21
	;; [unrolled: 1-line block ×4, first 2 shown]
	v_mfma_f32_4x4x4_16b_f16 a[0:3], v[34:35], v[18:19], a[0:3] cbsz:4 abid:4
	v_cvt_pk_f32_fp8_e32 v[18:19], v24
	v_cvt_pk_f32_fp8_e32 v[22:23], v25
	v_mfma_f32_4x4x4_16b_f16 a[0:3], v[34:35], v[20:21], a[0:3] cbsz:4 abid:5
	v_cvt_pk_f32_fp8_sdwa v[20:21], v24 src0_sel:WORD_1
	v_cvt_pk_f32_fp8_sdwa v[24:25], v25 src0_sel:WORD_1
	v_cvt_pkrtz_f16_f32 v18, v18, v19
	v_cvt_pkrtz_f16_f32 v19, v20, v21
	v_cvt_pkrtz_f16_f32 v20, v22, v23
	s_nop 0
	v_mfma_f32_4x4x4_16b_f16 a[0:3], v[34:35], v[18:19], a[0:3] cbsz:4 abid:6
	v_cvt_pkrtz_f16_f32 v21, v24, v25
	s_waitcnt vmcnt(3)
	v_cvt_pk_f32_fp8_e32 v[18:19], v26
	v_cvt_pk_f32_fp8_e32 v[22:23], v27
	v_mfma_f32_4x4x4_16b_f16 a[0:3], v[34:35], v[20:21], a[0:3] cbsz:4 abid:7
	v_cvt_pk_f32_fp8_sdwa v[20:21], v26 src0_sel:WORD_1
	v_cvt_pk_f32_fp8_sdwa v[24:25], v27 src0_sel:WORD_1
	v_cvt_pkrtz_f16_f32 v18, v18, v19
	v_cvt_pkrtz_f16_f32 v19, v20, v21
	;; [unrolled: 1-line block ×3, first 2 shown]
	s_nop 0
	v_mfma_f32_4x4x4_16b_f16 a[0:3], v[34:35], v[18:19], a[0:3] cbsz:4 abid:8
	v_cvt_pkrtz_f16_f32 v21, v24, v25
	v_cvt_pk_f32_fp8_e32 v[18:19], v28
	v_cvt_pk_f32_fp8_e32 v[22:23], v29
	v_mfma_f32_4x4x4_16b_f16 a[0:3], v[34:35], v[20:21], a[0:3] cbsz:4 abid:9
	v_cvt_pk_f32_fp8_sdwa v[20:21], v28 src0_sel:WORD_1
	v_cvt_pk_f32_fp8_sdwa v[24:25], v29 src0_sel:WORD_1
	v_cvt_pkrtz_f16_f32 v18, v18, v19
	v_cvt_pkrtz_f16_f32 v19, v20, v21
	;; [unrolled: 1-line block ×3, first 2 shown]
	s_nop 0
	v_mfma_f32_4x4x4_16b_f16 a[0:3], v[34:35], v[18:19], a[0:3] cbsz:4 abid:10
	v_cvt_pkrtz_f16_f32 v21, v24, v25
	s_waitcnt vmcnt(1)
	v_cvt_pk_f32_fp8_e32 v[18:19], v30
	v_cvt_pk_f32_fp8_e32 v[22:23], v31
	v_mfma_f32_4x4x4_16b_f16 a[0:3], v[34:35], v[20:21], a[0:3] cbsz:4 abid:11
	v_cvt_pk_f32_fp8_sdwa v[20:21], v30 src0_sel:WORD_1
	v_cvt_pk_f32_fp8_sdwa v[24:25], v31 src0_sel:WORD_1
	v_cvt_pkrtz_f16_f32 v18, v18, v19
	v_cvt_pkrtz_f16_f32 v19, v20, v21
	;; [unrolled: 1-line block ×3, first 2 shown]
	s_nop 0
	v_mfma_f32_4x4x4_16b_f16 a[0:3], v[34:35], v[18:19], a[0:3] cbsz:4 abid:12
	v_cvt_pkrtz_f16_f32 v21, v24, v25
	v_cvt_pk_f32_fp8_e32 v[18:19], v32
	v_cvt_pk_f32_fp8_e32 v[22:23], v33
	v_mfma_f32_4x4x4_16b_f16 a[0:3], v[34:35], v[20:21], a[0:3] cbsz:4 abid:13
	v_cvt_pk_f32_fp8_sdwa v[20:21], v32 src0_sel:WORD_1
	v_cvt_pk_f32_fp8_sdwa v[24:25], v33 src0_sel:WORD_1
	v_cvt_pkrtz_f16_f32 v18, v18, v19
	v_cvt_pkrtz_f16_f32 v19, v20, v21
	;; [unrolled: 1-line block ×3, first 2 shown]
	s_nop 0
	v_mfma_f32_4x4x4_16b_f16 a[0:3], v[34:35], v[18:19], a[0:3] cbsz:4 abid:14
	v_cvt_pkrtz_f16_f32 v21, v24, v25
	v_cvt_pk_f32_fp8_sdwa v[22:23], v2 src0_sel:WORD_1
	v_cvt_pk_f32_fp8_e32 v[24:25], v3
	v_mfma_f32_4x4x4_16b_f16 a[0:3], v[34:35], v[20:21], a[0:3] cbsz:4 abid:15
	s_nop 4
	v_accvgpr_read_b32 v19, a1
	v_accvgpr_read_b32 v18, a0
	s_waitcnt lgkmcnt(0)
	v_pk_mul_f32 v[18:19], v[18:19], s[4:5] op_sel_hi:[1,0]
	s_nop 0
	v_cvt_f16_f32_e32 v20, v18
	v_cvt_f16_f32_e32 v21, v19
	v_accvgpr_read_b32 v19, a3
	v_accvgpr_read_b32 v18, a2
	v_pk_mul_f32 v[18:19], v[18:19], s[4:5] op_sel_hi:[1,0]
	v_pack_b32_f16 v20, v20, v21
	v_cvt_f16_f32_e32 v21, v18
	v_cvt_f16_f32_e32 v26, v19
	v_cvt_pk_f32_fp8_e32 v[18:19], v2
	v_cvt_pk_f32_fp8_sdwa v[2:3], v3 src0_sel:WORD_1
	v_pack_b32_f16 v21, v21, v26
	v_cvt_pkrtz_f16_f32 v18, v18, v19
	v_cvt_pkrtz_f16_f32 v19, v22, v23
	;; [unrolled: 1-line block ×4, first 2 shown]
	v_mfma_f32_4x4x4_16b_f16 a[0:3], v[34:35], v[18:19], 0 cbsz:4
	v_cvt_pk_f32_fp8_e32 v[2:3], v4
	v_cvt_pk_f32_fp8_sdwa v[18:19], v4 src0_sel:WORD_1
	v_mfma_f32_4x4x4_16b_f16 a[0:3], v[34:35], v[22:23], a[0:3] cbsz:4 abid:1
	v_cvt_pk_f32_fp8_e32 v[22:23], v5
	v_cvt_pk_f32_fp8_sdwa v[4:5], v5 src0_sel:WORD_1
	v_cvt_pkrtz_f16_f32 v2, v2, v3
	v_cvt_pkrtz_f16_f32 v3, v18, v19
	;; [unrolled: 1-line block ×4, first 2 shown]
	v_mfma_f32_4x4x4_16b_f16 a[0:3], v[34:35], v[2:3], a[0:3] cbsz:4 abid:2
	v_cvt_pk_f32_fp8_e32 v[2:3], v6
	v_cvt_pk_f32_fp8_sdwa v[4:5], v6 src0_sel:WORD_1
	v_mfma_f32_4x4x4_16b_f16 a[0:3], v[34:35], v[18:19], a[0:3] cbsz:4 abid:3
	v_cvt_pk_f32_fp8_e32 v[18:19], v7
	v_cvt_pk_f32_fp8_sdwa v[6:7], v7 src0_sel:WORD_1
	v_cvt_pkrtz_f16_f32 v2, v2, v3
	v_cvt_pkrtz_f16_f32 v3, v4, v5
	;; [unrolled: 1-line block ×4, first 2 shown]
	v_mfma_f32_4x4x4_16b_f16 a[0:3], v[34:35], v[2:3], a[0:3] cbsz:4 abid:4
	v_cvt_pk_f32_fp8_e32 v[2:3], v8
	v_cvt_pk_f32_fp8_e32 v[6:7], v9
	v_mfma_f32_4x4x4_16b_f16 a[0:3], v[34:35], v[4:5], a[0:3] cbsz:4 abid:5
	v_cvt_pk_f32_fp8_sdwa v[4:5], v8 src0_sel:WORD_1
	v_cvt_pk_f32_fp8_sdwa v[8:9], v9 src0_sel:WORD_1
	v_cvt_pkrtz_f16_f32 v2, v2, v3
	v_cvt_pkrtz_f16_f32 v3, v4, v5
	v_cvt_pkrtz_f16_f32 v4, v6, v7
	s_nop 0
	v_mfma_f32_4x4x4_16b_f16 a[0:3], v[34:35], v[2:3], a[0:3] cbsz:4 abid:6
	v_cvt_pkrtz_f16_f32 v5, v8, v9
	v_cvt_pk_f32_fp8_e32 v[2:3], v10
	v_cvt_pk_f32_fp8_e32 v[6:7], v11
	v_mfma_f32_4x4x4_16b_f16 a[0:3], v[34:35], v[4:5], a[0:3] cbsz:4 abid:7
	v_cvt_pk_f32_fp8_sdwa v[4:5], v10 src0_sel:WORD_1
	v_cvt_pk_f32_fp8_sdwa v[8:9], v11 src0_sel:WORD_1
	v_cvt_pkrtz_f16_f32 v2, v2, v3
	v_cvt_pkrtz_f16_f32 v3, v4, v5
	v_cvt_pkrtz_f16_f32 v4, v6, v7
	s_nop 0
	v_mfma_f32_4x4x4_16b_f16 a[0:3], v[34:35], v[2:3], a[0:3] cbsz:4 abid:8
	v_cvt_pkrtz_f16_f32 v5, v8, v9
	;; [unrolled: 11-line block ×3, first 2 shown]
	s_waitcnt vmcnt(0)
	v_cvt_pk_f32_fp8_e32 v[2:3], v14
	v_cvt_pk_f32_fp8_e32 v[6:7], v15
	v_mfma_f32_4x4x4_16b_f16 a[0:3], v[34:35], v[4:5], a[0:3] cbsz:4 abid:11
	v_cvt_pk_f32_fp8_sdwa v[4:5], v14 src0_sel:WORD_1
	v_cvt_pk_f32_fp8_sdwa v[8:9], v15 src0_sel:WORD_1
	v_cvt_pkrtz_f16_f32 v2, v2, v3
	v_cvt_pkrtz_f16_f32 v3, v4, v5
	;; [unrolled: 1-line block ×3, first 2 shown]
	s_nop 0
	v_mfma_f32_4x4x4_16b_f16 a[0:3], v[34:35], v[2:3], a[0:3] cbsz:4 abid:12
	v_cvt_pkrtz_f16_f32 v5, v8, v9
	v_cvt_pk_f32_fp8_e32 v[2:3], v16
	v_cvt_pk_f32_fp8_e32 v[6:7], v17
	v_mfma_f32_4x4x4_16b_f16 a[0:3], v[34:35], v[4:5], a[0:3] cbsz:4 abid:13
	v_cvt_pk_f32_fp8_sdwa v[4:5], v16 src0_sel:WORD_1
	v_cvt_pk_f32_fp8_sdwa v[8:9], v17 src0_sel:WORD_1
	v_cvt_pkrtz_f16_f32 v2, v2, v3
	v_cvt_pkrtz_f16_f32 v3, v4, v5
	;; [unrolled: 1-line block ×3, first 2 shown]
	s_nop 0
	v_mfma_f32_4x4x4_16b_f16 a[0:3], v[34:35], v[2:3], a[0:3] cbsz:4 abid:14
	v_cvt_pkrtz_f16_f32 v5, v8, v9
	v_mad_u32_u24 v7, v1, 40, v38
	s_nop 0
	v_mfma_f32_4x4x4_16b_f16 a[0:3], v[34:35], v[4:5], a[0:3] cbsz:4 abid:15
	s_nop 4
	v_accvgpr_read_b32 v5, a1
	v_accvgpr_read_b32 v3, a3
	;; [unrolled: 1-line block ×4, first 2 shown]
	v_pk_mul_f32 v[2:3], v[2:3], s[4:5] op_sel_hi:[1,0]
	v_pk_mul_f32 v[4:5], v[4:5], s[4:5] op_sel_hi:[1,0]
	v_cvt_f16_f32_e32 v6, v2
	v_cvt_f16_f32_e32 v4, v4
	;; [unrolled: 1-line block ×4, first 2 shown]
	v_pack_b32_f16 v2, v4, v5
	v_pack_b32_f16 v3, v6, v3
	ds_write2st64_b64 v7, v[20:21], v[2:3] offset1:5
.LBB930_25:
	s_or_b64 exec, exec, s[2:3]
	v_cmp_gt_u32_e32 vcc, 64, v0
	s_waitcnt lgkmcnt(0)
	s_barrier
	s_and_saveexec_b64 s[2:3], vcc
	s_cbranch_execz .LBB930_27
; %bb.26:
	s_waitcnt vmcnt(4)
	v_mul_u32_u24_e32 v6, 40, v1
	ds_read2_b64 v[2:5], v6 offset1:1
	ds_read2_b64 v[6:9], v6 offset0:2 offset1:3
	s_mov_b32 s1, 0
	s_lshl_b32 s0, s0, 7
	s_lshl_b64 s[2:3], s[0:1], 1
	s_waitcnt lgkmcnt(1)
	v_pk_add_f16 v2, v2, 0
	v_pk_add_f16 v3, v3, 0
	;; [unrolled: 1-line block ×4, first 2 shown]
	s_waitcnt lgkmcnt(0)
	v_pk_add_f16 v2, v2, v6
	v_pk_add_f16 v6, v3, v7
	s_waitcnt vmcnt(2)
	v_pk_add_f16 v10, v2, v8
	v_mov_b32_e32 v2, 0xa00
	v_mad_u32_u24 v2, v1, 40, v2
	ds_read2_b64 v[2:5], v2 offset1:1
	v_pk_add_f16 v11, v6, v9
	v_mov_b32_e32 v6, 0xa10
	v_mad_u32_u24 v1, v1, 40, v6
	ds_read2_b64 v[6:9], v1 offset1:1
	s_add_u32 s2, s22, s2
	s_addc_u32 s3, s23, s3
	s_lshl_b32 s0, s20, 7
	s_lshl_b64 s[0:1], s[0:1], 1
	s_waitcnt lgkmcnt(1)
	v_pk_add_f16 v1, v2, 0
	v_pk_add_f16 v2, v3, 0
	s_add_u32 s0, s2, s0
	v_pk_add_f16 v2, v2, v5
	s_addc_u32 s1, s3, s1
	s_lshl_b32 s2, s33, 7
	s_waitcnt lgkmcnt(0)
	v_pk_add_f16 v2, v2, v7
	s_mul_i32 s3, s2, s38
	v_pk_add_f16 v9, v2, v9
	v_or_b32_e32 v2, s3, v0
	v_mov_b32_e32 v3, 0
	s_add_i32 s3, s3, s2
	v_pk_add_f16 v1, v1, v4
	v_lshl_add_u64 v[4:5], v[2:3], 1, s[0:1]
	v_or_b32_e32 v2, s3, v0
	s_add_i32 s3, s3, s2
	v_pk_add_f16 v1, v1, v6
	v_lshl_add_u64 v[6:7], v[2:3], 1, s[0:1]
	v_or_b32_e32 v2, s3, v0
	v_pk_add_f16 v8, v1, v8
	v_lshl_add_u64 v[0:1], v[2:3], 1, s[0:1]
	global_store_short v[4:5], v10, off
	global_store_short_d16_hi v[6:7], v10, off
	global_store_short v[0:1], v11, off
	global_store_short v[4:5], v8, off offset:128
	global_store_short_d16_hi v[6:7], v8, off offset:128
	global_store_short v[0:1], v9, off offset:128
.LBB930_27:
	s_endpgm
	.section	.rodata,"a",@progbits
	.p2align	6, 0x0
	.amdhsa_kernel _Z38paged_attention_ll4mi_QKV_mfma4_kernelIDF16_hLN4vllm18Fp8KVCacheDataTypeE1EhLi16ELi128ELi256ELb1ELi3EEvPKT_PKT0_S7_ifPKiS9_S9_iPKfiiiPfSC_PS2_PT2_iSB_SB_
		.amdhsa_group_segment_fixed_size 5280
		.amdhsa_private_segment_fixed_size 0
		.amdhsa_kernarg_size 400
		.amdhsa_user_sgpr_count 2
		.amdhsa_user_sgpr_dispatch_ptr 0
		.amdhsa_user_sgpr_queue_ptr 0
		.amdhsa_user_sgpr_kernarg_segment_ptr 1
		.amdhsa_user_sgpr_dispatch_id 0
		.amdhsa_user_sgpr_kernarg_preload_length 0
		.amdhsa_user_sgpr_kernarg_preload_offset 0
		.amdhsa_user_sgpr_private_segment_size 0
		.amdhsa_uses_dynamic_stack 0
		.amdhsa_enable_private_segment 0
		.amdhsa_system_sgpr_workgroup_id_x 1
		.amdhsa_system_sgpr_workgroup_id_y 1
		.amdhsa_system_sgpr_workgroup_id_z 1
		.amdhsa_system_sgpr_workgroup_info 0
		.amdhsa_system_vgpr_workitem_id 0
		.amdhsa_next_free_vgpr 60
		.amdhsa_next_free_sgpr 44
		.amdhsa_accum_offset 56
		.amdhsa_reserve_vcc 1
		.amdhsa_float_round_mode_32 0
		.amdhsa_float_round_mode_16_64 0
		.amdhsa_float_denorm_mode_32 3
		.amdhsa_float_denorm_mode_16_64 3
		.amdhsa_dx10_clamp 1
		.amdhsa_ieee_mode 1
		.amdhsa_fp16_overflow 0
		.amdhsa_tg_split 0
		.amdhsa_exception_fp_ieee_invalid_op 0
		.amdhsa_exception_fp_denorm_src 0
		.amdhsa_exception_fp_ieee_div_zero 0
		.amdhsa_exception_fp_ieee_overflow 0
		.amdhsa_exception_fp_ieee_underflow 0
		.amdhsa_exception_fp_ieee_inexact 0
		.amdhsa_exception_int_div_zero 0
	.end_amdhsa_kernel
	.section	.text._Z38paged_attention_ll4mi_QKV_mfma4_kernelIDF16_hLN4vllm18Fp8KVCacheDataTypeE1EhLi16ELi128ELi256ELb1ELi3EEvPKT_PKT0_S7_ifPKiS9_S9_iPKfiiiPfSC_PS2_PT2_iSB_SB_,"axG",@progbits,_Z38paged_attention_ll4mi_QKV_mfma4_kernelIDF16_hLN4vllm18Fp8KVCacheDataTypeE1EhLi16ELi128ELi256ELb1ELi3EEvPKT_PKT0_S7_ifPKiS9_S9_iPKfiiiPfSC_PS2_PT2_iSB_SB_,comdat
.Lfunc_end930:
	.size	_Z38paged_attention_ll4mi_QKV_mfma4_kernelIDF16_hLN4vllm18Fp8KVCacheDataTypeE1EhLi16ELi128ELi256ELb1ELi3EEvPKT_PKT0_S7_ifPKiS9_S9_iPKfiiiPfSC_PS2_PT2_iSB_SB_, .Lfunc_end930-_Z38paged_attention_ll4mi_QKV_mfma4_kernelIDF16_hLN4vllm18Fp8KVCacheDataTypeE1EhLi16ELi128ELi256ELb1ELi3EEvPKT_PKT0_S7_ifPKiS9_S9_iPKfiiiPfSC_PS2_PT2_iSB_SB_
                                        ; -- End function
	.section	.AMDGPU.csdata,"",@progbits
; Kernel info:
; codeLenInByte = 5592
; NumSgprs: 50
; NumVgprs: 56
; NumAgprs: 4
; TotalNumVgprs: 60
; ScratchSize: 0
; MemoryBound: 0
; FloatMode: 240
; IeeeMode: 1
; LDSByteSize: 5280 bytes/workgroup (compile time only)
; SGPRBlocks: 6
; VGPRBlocks: 7
; NumSGPRsForWavesPerEU: 50
; NumVGPRsForWavesPerEU: 60
; AccumOffset: 56
; Occupancy: 8
; WaveLimiterHint : 1
; COMPUTE_PGM_RSRC2:SCRATCH_EN: 0
; COMPUTE_PGM_RSRC2:USER_SGPR: 2
; COMPUTE_PGM_RSRC2:TRAP_HANDLER: 0
; COMPUTE_PGM_RSRC2:TGID_X_EN: 1
; COMPUTE_PGM_RSRC2:TGID_Y_EN: 1
; COMPUTE_PGM_RSRC2:TGID_Z_EN: 1
; COMPUTE_PGM_RSRC2:TIDIG_COMP_CNT: 0
; COMPUTE_PGM_RSRC3_GFX90A:ACCUM_OFFSET: 13
; COMPUTE_PGM_RSRC3_GFX90A:TG_SPLIT: 0
	.section	.text._Z38paged_attention_ll4mi_QKV_mfma4_kernelIDF16_hLN4vllm18Fp8KVCacheDataTypeE1EhLi16ELi128ELi256ELb1ELi4EEvPKT_PKT0_S7_ifPKiS9_S9_iPKfiiiPfSC_PS2_PT2_iSB_SB_,"axG",@progbits,_Z38paged_attention_ll4mi_QKV_mfma4_kernelIDF16_hLN4vllm18Fp8KVCacheDataTypeE1EhLi16ELi128ELi256ELb1ELi4EEvPKT_PKT0_S7_ifPKiS9_S9_iPKfiiiPfSC_PS2_PT2_iSB_SB_,comdat
	.protected	_Z38paged_attention_ll4mi_QKV_mfma4_kernelIDF16_hLN4vllm18Fp8KVCacheDataTypeE1EhLi16ELi128ELi256ELb1ELi4EEvPKT_PKT0_S7_ifPKiS9_S9_iPKfiiiPfSC_PS2_PT2_iSB_SB_ ; -- Begin function _Z38paged_attention_ll4mi_QKV_mfma4_kernelIDF16_hLN4vllm18Fp8KVCacheDataTypeE1EhLi16ELi128ELi256ELb1ELi4EEvPKT_PKT0_S7_ifPKiS9_S9_iPKfiiiPfSC_PS2_PT2_iSB_SB_
	.globl	_Z38paged_attention_ll4mi_QKV_mfma4_kernelIDF16_hLN4vllm18Fp8KVCacheDataTypeE1EhLi16ELi128ELi256ELb1ELi4EEvPKT_PKT0_S7_ifPKiS9_S9_iPKfiiiPfSC_PS2_PT2_iSB_SB_
	.p2align	8
	.type	_Z38paged_attention_ll4mi_QKV_mfma4_kernelIDF16_hLN4vllm18Fp8KVCacheDataTypeE1EhLi16ELi128ELi256ELb1ELi4EEvPKT_PKT0_S7_ifPKiS9_S9_iPKfiiiPfSC_PS2_PT2_iSB_SB_,@function
_Z38paged_attention_ll4mi_QKV_mfma4_kernelIDF16_hLN4vllm18Fp8KVCacheDataTypeE1EhLi16ELi128ELi256ELb1ELi4EEvPKT_PKT0_S7_ifPKiS9_S9_iPKfiiiPfSC_PS2_PT2_iSB_SB_: ; @_Z38paged_attention_ll4mi_QKV_mfma4_kernelIDF16_hLN4vllm18Fp8KVCacheDataTypeE1EhLi16ELi128ELi256ELb1ELi4EEvPKT_PKT0_S7_ifPKiS9_S9_iPKfiiiPfSC_PS2_PT2_iSB_SB_
; %bb.0:
	s_load_dwordx2 s[16:17], s[0:1], 0x30
	s_mov_b32 s24, s3
	s_mov_b64 s[6:7], 0
	s_waitcnt lgkmcnt(0)
	s_cmp_lg_u64 s[16:17], 0
	s_cselect_b64 s[18:19], -1, 0
	s_and_b64 vcc, exec, s[18:19]
	s_cbranch_vccz .LBB931_20
; %bb.1:
	s_add_i32 s8, s2, 1
	s_mov_b32 s9, 0
	s_lshl_b64 s[10:11], s[8:9], 2
	s_add_u32 s10, s16, s10
	s_mov_b32 s3, s9
	s_addc_u32 s11, s17, s11
	s_lshl_b64 s[8:9], s[2:3], 2
	s_add_u32 s8, s16, s8
	s_addc_u32 s9, s17, s9
	s_load_dword s5, s[10:11], 0x0
	s_load_dword s12, s[8:9], 0x0
	s_mov_b64 s[34:35], s[2:3]
	s_waitcnt lgkmcnt(0)
	s_sub_i32 s5, s5, s12
	s_cmp_eq_u32 s5, 1
	s_cselect_b64 s[8:9], -1, 0
	s_andn2_b64 vcc, exec, s[6:7]
	s_cbranch_vccnz .LBB931_3
.LBB931_2:
	s_mov_b32 s3, 0
	s_mov_b64 s[8:9], -1
	s_mov_b64 s[34:35], s[2:3]
.LBB931_3:
	s_andn2_b64 vcc, exec, s[8:9]
	s_cbranch_vccnz .LBB931_19
; %bb.4:
	s_load_dword s3, s[0:1], 0x9c
	s_load_dwordx2 s[6:7], s[0:1], 0x28
	s_add_u32 s28, s0, 0x90
	s_addc_u32 s29, s1, 0
	s_lshl_b64 s[42:43], s[34:35], 2
	s_waitcnt lgkmcnt(0)
	s_and_b32 s5, s3, 0xffff
	s_add_u32 s6, s6, s42
	s_addc_u32 s7, s7, s43
	s_load_dword s3, s[6:7], 0x0
	s_mul_i32 s5, s24, s5
	s_waitcnt lgkmcnt(0)
	s_cmp_ge_i32 s5, s3
	s_cbranch_scc1 .LBB931_19
; %bb.5:
	v_and_b32_e32 v1, 0xc0, v0
	v_and_b32_e32 v41, 3, v0
	s_lshl_b32 s33, s4, 2
	v_add_u32_e32 v4, s5, v1
	v_lshrrev_b32_e32 v40, 6, v0
	v_cmp_le_i32_e64 s[6:7], s3, v4
	v_or_b32_e32 v38, s33, v41
                                        ; implicit-def: $sgpr21
                                        ; implicit-def: $sgpr20
	s_and_saveexec_b64 s[8:9], s[6:7]
	s_xor_b64 s[8:9], exec, s[8:9]
	s_cbranch_execz .LBB931_7
; %bb.6:
	v_mul_u32_u24_e32 v1, 20, v40
	v_or_b32_e32 v1, 0x1400, v1
	v_mov_b32_e32 v2, 0x1450
	v_mov_b32_e32 v3, 0xff7fffff
	v_mad_u32_u24 v2, v40, 20, v2
	ds_write2_b32 v1, v3, v3 offset1:1
	v_mov_b32_e32 v1, 0
	ds_write2_b32 v2, v1, v1 offset1:1
	v_mov_b32_e32 v2, 0x1408
	v_mov_b32_e32 v4, 0x1458
	s_mov_b32 s20, 0xff7fffff
	s_mov_b32 s21, 0
	v_mad_u32_u24 v2, v40, 20, v2
	v_mad_u32_u24 v4, v40, 20, v4
	v_or_b32_e32 v38, s33, v41
	ds_write2_b32 v2, v3, v3 offset1:1
	ds_write2_b32 v4, v1, v1 offset1:1
                                        ; implicit-def: $vgpr4
.LBB931_7:
	s_or_saveexec_b64 s[30:31], s[8:9]
	s_load_dwordx2 s[26:27], s[0:1], 0x68
	s_load_dwordx4 s[12:15], s[0:1], 0x58
	s_load_dword s44, s[28:29], 0x4
	s_load_dwordx4 s[8:11], s[0:1], 0x80
	v_and_b32_e32 v1, 63, v0
	v_mov_b32_e32 v37, s21
	v_mov_b32_e32 v39, s20
	;; [unrolled: 1-line block ×5, first 2 shown]
                                        ; implicit-def: $vgpr22_vgpr23
                                        ; implicit-def: $vgpr18_vgpr19
                                        ; implicit-def: $vgpr26_vgpr27
                                        ; implicit-def: $vgpr30_vgpr31
                                        ; implicit-def: $vgpr6_vgpr7
                                        ; implicit-def: $vgpr2_vgpr3
                                        ; implicit-def: $vgpr10_vgpr11
                                        ; implicit-def: $vgpr14_vgpr15
	s_xor_b64 exec, exec, s[30:31]
	s_cbranch_execz .LBB931_13
; %bb.8:
	s_load_dwordx2 s[20:21], s[0:1], 0x20
	s_load_dword s22, s[0:1], 0x38
	s_add_i32 s23, s3, 15
	s_ashr_i32 s25, s23, 31
	s_lshr_b32 s25, s25, 28
	v_add_u32_e32 v42, s5, v0
	s_add_i32 s23, s23, s25
	v_ashrrev_i32_e32 v2, 31, v42
	s_ashr_i32 s23, s23, 4
	v_lshrrev_b32_e32 v2, 28, v2
	s_add_i32 s25, s23, -1
	s_waitcnt lgkmcnt(0)
	s_mul_i32 s36, s2, s22
	s_mov_b32 s37, 0
	v_add_u32_e32 v2, v42, v2
	s_lshl_b64 s[22:23], s[36:37], 2
	v_ashrrev_i32_e32 v2, 4, v2
	v_mov_b32_e32 v3, s25
	v_cmp_gt_i32_e32 vcc, s3, v42
	s_add_u32 s20, s20, s22
	s_addc_u32 s21, s21, s23
	v_cndmask_b32_e32 v2, v3, v2, vcc
	v_ashrrev_i32_e32 v3, 31, v2
	v_lshl_add_u64 v[8:9], v[2:3], 2, s[20:21]
	v_ashrrev_i32_e32 v2, 31, v4
	v_lshrrev_b32_e32 v2, 28, v2
	v_add_u32_e32 v2, v4, v2
	v_ashrrev_i32_e32 v4, 4, v2
	v_min_i32_e32 v2, s25, v4
	v_ashrrev_i32_e32 v3, 31, v2
	v_lshl_add_u64 v[10:11], v[2:3], 2, s[20:21]
	v_add_u32_e32 v2, 1, v4
	v_min_i32_e32 v2, s25, v2
	v_ashrrev_i32_e32 v3, 31, v2
	v_lshl_add_u64 v[12:13], v[2:3], 2, s[20:21]
	v_add_u32_e32 v2, 2, v4
	v_min_i32_e32 v2, s25, v2
	v_ashrrev_i32_e32 v3, 31, v2
	v_lshl_add_u64 v[14:15], v[2:3], 2, s[20:21]
	v_add_u32_e32 v2, 3, v4
	v_min_i32_e32 v2, s25, v2
	v_ashrrev_i32_e32 v3, 31, v2
	v_lshl_add_u64 v[16:17], v[2:3], 2, s[20:21]
	global_load_dword v6, v[8:9], off
	global_load_dword v2, v[10:11], off
	;; [unrolled: 1-line block ×5, first 2 shown]
	s_load_dwordx2 s[40:41], s[0:1], 0x40
	s_load_dwordx4 s[20:23], s[0:1], 0x0
	s_load_dwordx2 s[38:39], s[0:1], 0x10
	s_andn2_b64 vcc, exec, s[18:19]
	s_cbranch_vccnz .LBB931_10
; %bb.9:
	s_add_u32 s16, s16, s42
	s_addc_u32 s17, s17, s43
	s_load_dword s36, s[16:17], 0x0
	s_waitcnt lgkmcnt(0)
	s_mov_b64 s[34:35], s[36:37]
.LBB931_10:
	s_load_dwordx4 s[16:19], s[0:1], 0x48
	s_load_dword s5, s[0:1], 0x1c
	v_lshlrev_b32_e32 v14, 2, v1
	v_mov_b32_e32 v19, 0
	v_and_b32_e32 v14, 0xf0, v14
	s_waitcnt lgkmcnt(0)
	s_ashr_i32 s1, s16, 31
	s_mul_hi_u32 s19, s34, s16
	s_mul_i32 s1, s34, s1
	s_mul_i32 s25, s35, s16
	s_add_i32 s1, s19, s1
	s_mul_i32 s0, s34, s16
	s_add_i32 s1, s1, s25
	s_lshl_b64 s[0:1], s[0:1], 1
	s_add_u32 s16, s20, s0
	s_addc_u32 s19, s21, s1
	s_lshl_b32 s36, s4, 9
	s_lshl_b64 s[0:1], s[36:37], 1
	s_add_u32 s0, s16, s0
	s_addc_u32 s1, s19, s1
	s_mul_i32 s4, s4, s18
	s_add_u32 s18, s4, s22
	s_addc_u32 s19, 0, s23
	v_mov_b64_e32 v[8:9], s[18:19]
	s_waitcnt vmcnt(4)
	v_mad_i64_i32 v[6:7], s[18:19], v6, s17, v[8:9]
	v_lshlrev_b32_e32 v8, 4, v0
	v_and_b32_e32 v18, 0xf0, v8
	v_lshl_add_u64 v[20:21], v[6:7], 0, v[18:19]
	v_lshl_or_b32 v14, v41, 8, v14
	global_load_dwordx4 v[6:9], v[20:21], off
	global_load_dwordx4 v[10:13], v[20:21], off offset:256
	global_load_dwordx4 v[44:47], v14, s[0:1]
	v_mov_b32_e32 v39, v19
	v_lshl_add_u64 v[14:15], v[38:39], 2, s[40:41]
	global_load_dword v39, v[14:15], off
	s_waitcnt vmcnt(7)
	v_mul_hi_i32 v14, v2, s17
	v_ashrrev_i32_e32 v32, 31, v14
	global_load_dwordx4 v[14:17], v[20:21], off offset:512
	s_waitcnt vmcnt(6)
	v_mul_hi_i32 v22, v4, s17
	s_waitcnt vmcnt(5)
	v_mul_hi_i32 v24, v5, s17
	v_ashrrev_i32_e32 v26, 31, v22
	v_ashrrev_i32_e32 v28, 31, v24
	v_lshrrev_b32_e32 v24, 29, v26
	v_lshrrev_b32_e32 v26, 29, v28
	global_load_dwordx4 v[28:31], v[20:21], off offset:768
	global_load_dwordx4 v[48:51], v[20:21], off offset:1024
	;; [unrolled: 1-line block ×5, first 2 shown]
	v_mul_hi_i32 v18, v3, s17
	v_ashrrev_i32_e32 v18, 31, v18
	v_mov_b32_e32 v23, v19
	v_mov_b32_e32 v25, v19
	;; [unrolled: 1-line block ×3, first 2 shown]
	v_lshrrev_b32_e32 v22, 29, v18
	v_mad_i64_i32 v[22:23], s[0:1], v3, s17, v[22:23]
	v_mad_i64_i32 v[24:25], s[0:1], v4, s17, v[24:25]
	;; [unrolled: 1-line block ×3, first 2 shown]
	v_lshrrev_b32_e32 v18, 29, v32
	s_add_u32 s0, s38, s4
	v_mad_i64_i32 v[2:3], s[16:17], v2, s17, v[18:19]
	v_and_b32_e32 v22, -8, v22
	v_and_b32_e32 v24, -8, v24
	v_and_b32_e32 v4, -8, v4
	s_addc_u32 s1, s39, 0
	v_and_b32_e32 v2, -8, v2
	v_lshl_add_u64 v[22:23], s[0:1], 0, v[22:23]
	v_lshl_add_u64 v[24:25], s[0:1], 0, v[24:25]
	;; [unrolled: 1-line block ×3, first 2 shown]
	v_lshlrev_b32_e32 v18, 4, v1
	v_lshl_add_u64 v[2:3], s[0:1], 0, v[2:3]
	v_lshl_add_u64 v[26:27], v[22:23], 0, v[18:19]
	;; [unrolled: 1-line block ×5, first 2 shown]
	v_cmp_eq_u32_e32 vcc, 0, v41
	s_waitcnt vmcnt(9)
	v_cvt_pk_f32_fp8_e32 v[4:5], v6
	v_cvt_pk_f32_fp8_sdwa v[18:19], v6 src0_sel:WORD_1
	v_cvt_pk_f32_fp8_e32 v[20:21], v7
	v_cvt_pk_f32_fp8_sdwa v[62:63], v7 src0_sel:WORD_1
	;; [unrolled: 2-line block ×3, first 2 shown]
	v_cvt_pkrtz_f16_f32 v4, v4, v5
	v_cvt_pkrtz_f16_f32 v5, v18, v19
	v_cvt_pk_f32_fp8_e32 v[68:69], v9
	v_cvt_pk_f32_fp8_sdwa v[70:71], v9 src0_sel:WORD_1
	s_waitcnt vmcnt(7)
	v_mfma_f32_4x4x4_16b_f16 a[0:3], v[44:45], v[4:5], 0 cbsz:4
	global_load_dwordx4 v[22:25], v[2:3], off
	global_load_dwordx4 v[6:9], v[2:3], off offset:1024
	v_cvt_pkrtz_f16_f32 v2, v20, v21
	v_cvt_pkrtz_f16_f32 v3, v62, v63
	v_cvt_pk_f32_fp8_e32 v[72:73], v10
	v_cvt_pk_f32_fp8_sdwa v[74:75], v10 src0_sel:WORD_1
	v_mfma_f32_4x4x4_16b_f16 a[0:3], v[46:47], v[2:3], a[0:3] cbsz:4
	v_cvt_pkrtz_f16_f32 v18, v64, v65
	v_cvt_pkrtz_f16_f32 v19, v66, v67
	v_cvt_pk_f32_fp8_e32 v[76:77], v11
	v_cvt_pk_f32_fp8_sdwa v[10:11], v11 src0_sel:WORD_1
	v_mfma_f32_4x4x4_16b_f16 a[0:3], v[44:45], v[18:19], a[0:3] cbsz:4 abid:1
	v_cvt_pkrtz_f16_f32 v20, v68, v69
	v_cvt_pkrtz_f16_f32 v21, v70, v71
	v_cvt_pk_f32_fp8_e32 v[78:79], v12
	v_cvt_pk_f32_fp8_sdwa v[80:81], v12 src0_sel:WORD_1
	v_mfma_f32_4x4x4_16b_f16 a[0:3], v[46:47], v[20:21], a[0:3] cbsz:4 abid:1
	;; [unrolled: 5-line block ×3, first 2 shown]
	v_cvt_pkrtz_f16_f32 v4, v76, v77
	v_cvt_pkrtz_f16_f32 v5, v10, v11
	;; [unrolled: 1-line block ×4, first 2 shown]
	v_mfma_f32_4x4x4_16b_f16 a[0:3], v[46:47], v[4:5], a[0:3] cbsz:4 abid:2
	global_load_dwordx4 v[18:21], v[26:27], off
	global_load_dwordx4 v[2:5], v[26:27], off offset:1024
	v_mfma_f32_4x4x4_16b_f16 a[0:3], v[44:45], v[10:11], a[0:3] cbsz:4 abid:3
	v_cvt_pkrtz_f16_f32 v26, v82, v83
	v_cvt_pkrtz_f16_f32 v27, v12, v13
	s_waitcnt vmcnt(9)
	v_cvt_pk_f32_fp8_e32 v[10:11], v14
	v_cvt_pk_f32_fp8_sdwa v[12:13], v14 src0_sel:WORD_1
	v_mfma_f32_4x4x4_16b_f16 a[0:3], v[46:47], v[26:27], a[0:3] cbsz:4 abid:3
	v_cvt_pk_f32_fp8_e32 v[26:27], v15
	v_cvt_pk_f32_fp8_sdwa v[14:15], v15 src0_sel:WORD_1
	v_cvt_pkrtz_f16_f32 v10, v10, v11
	v_cvt_pkrtz_f16_f32 v11, v12, v13
	v_cvt_pkrtz_f16_f32 v12, v26, v27
	v_cvt_pkrtz_f16_f32 v13, v14, v15
	v_mfma_f32_4x4x4_16b_f16 a[0:3], v[44:45], v[10:11], a[0:3] cbsz:4 abid:4
	v_cvt_pk_f32_fp8_e32 v[10:11], v16
	v_cvt_pk_f32_fp8_sdwa v[14:15], v16 src0_sel:WORD_1
	v_mfma_f32_4x4x4_16b_f16 a[0:3], v[46:47], v[12:13], a[0:3] cbsz:4 abid:4
	v_cvt_pk_f32_fp8_e32 v[12:13], v17
	v_cvt_pkrtz_f16_f32 v10, v10, v11
	v_cvt_pkrtz_f16_f32 v11, v14, v15
	v_cvt_pk_f32_fp8_sdwa v[14:15], v17 src0_sel:WORD_1
	s_waitcnt vmcnt(8)
	v_cvt_pk_f32_fp8_sdwa v[16:17], v28 src0_sel:WORD_1
	v_mfma_f32_4x4x4_16b_f16 a[0:3], v[44:45], v[10:11], a[0:3] cbsz:4 abid:5
	v_cvt_pk_f32_fp8_e32 v[10:11], v28
	v_cvt_pkrtz_f16_f32 v12, v12, v13
	v_cvt_pkrtz_f16_f32 v13, v14, v15
	;; [unrolled: 1-line block ×3, first 2 shown]
	v_cvt_pk_f32_fp8_e32 v[16:17], v29
	v_cvt_pk_f32_fp8_sdwa v[62:63], v29 src0_sel:WORD_1
	v_mfma_f32_4x4x4_16b_f16 a[0:3], v[46:47], v[12:13], a[0:3] cbsz:4 abid:5
	v_cvt_pkrtz_f16_f32 v14, v10, v11
	v_cvt_pkrtz_f16_f32 v16, v16, v17
	;; [unrolled: 1-line block ×3, first 2 shown]
	v_mfma_f32_4x4x4_16b_f16 a[0:3], v[44:45], v[14:15], a[0:3] cbsz:4 abid:6
	v_cvt_pk_f32_fp8_e32 v[14:15], v30
	global_load_dwordx4 v[26:29], v[32:33], off
	global_load_dwordx4 v[10:13], v[32:33], off offset:1024
	v_mfma_f32_4x4x4_16b_f16 a[0:3], v[46:47], v[16:17], a[0:3] cbsz:4 abid:6
	v_cvt_pk_f32_fp8_sdwa v[16:17], v30 src0_sel:WORD_1
	v_cvt_pk_f32_fp8_e32 v[32:33], v31
	v_cvt_pk_f32_fp8_sdwa v[30:31], v31 src0_sel:WORD_1
	v_cvt_pkrtz_f16_f32 v14, v14, v15
	v_cvt_pkrtz_f16_f32 v15, v16, v17
	;; [unrolled: 1-line block ×4, first 2 shown]
	v_mfma_f32_4x4x4_16b_f16 a[0:3], v[44:45], v[14:15], a[0:3] cbsz:4 abid:7
	s_waitcnt vmcnt(9)
	v_cvt_pk_f32_fp8_e32 v[14:15], v48
	v_cvt_pk_f32_fp8_e32 v[30:31], v49
	v_mfma_f32_4x4x4_16b_f16 a[0:3], v[46:47], v[16:17], a[0:3] cbsz:4 abid:7
	v_cvt_pk_f32_fp8_sdwa v[16:17], v48 src0_sel:WORD_1
	v_cvt_pk_f32_fp8_sdwa v[32:33], v49 src0_sel:WORD_1
	v_cvt_pkrtz_f16_f32 v14, v14, v15
	v_cvt_pk_f32_fp8_e32 v[48:49], v50
	v_cvt_pkrtz_f16_f32 v15, v16, v17
	v_cvt_pk_f32_fp8_sdwa v[62:63], v50 src0_sel:WORD_1
	v_cvt_pk_f32_fp8_e32 v[64:65], v51
	v_mfma_f32_4x4x4_16b_f16 a[0:3], v[44:45], v[14:15], a[0:3] cbsz:4 abid:8
	v_cvt_pk_f32_fp8_sdwa v[50:51], v51 src0_sel:WORD_1
	v_cvt_pkrtz_f16_f32 v16, v30, v31
	v_cvt_pkrtz_f16_f32 v17, v32, v33
	;; [unrolled: 1-line block ×4, first 2 shown]
	v_mfma_f32_4x4x4_16b_f16 a[0:3], v[46:47], v[16:17], a[0:3] cbsz:4 abid:8
	global_load_dwordx4 v[30:33], v[60:61], off
	global_load_dwordx4 v[14:17], v[60:61], off offset:1024
	v_cvt_pkrtz_f16_f32 v61, v50, v51
	v_mfma_f32_4x4x4_16b_f16 a[0:3], v[44:45], v[48:49], a[0:3] cbsz:4 abid:9
	s_waitcnt vmcnt(10)
	v_cvt_pk_f32_fp8_e32 v[48:49], v52
	v_cvt_pk_f32_fp8_sdwa v[50:51], v52 src0_sel:WORD_1
	v_cvt_pkrtz_f16_f32 v60, v64, v65
	s_load_dword s0, s[8:9], 0x0
	v_cvt_pkrtz_f16_f32 v48, v48, v49
	v_mfma_f32_4x4x4_16b_f16 a[0:3], v[46:47], v[60:61], a[0:3] cbsz:4 abid:9
	v_cvt_pk_f32_fp8_e32 v[60:61], v53
	v_cvt_pk_f32_fp8_sdwa v[52:53], v53 src0_sel:WORD_1
	v_cvt_pkrtz_f16_f32 v49, v50, v51
	v_cvt_pkrtz_f16_f32 v50, v60, v61
	s_nop 0
	v_mfma_f32_4x4x4_16b_f16 a[0:3], v[44:45], v[48:49], a[0:3] cbsz:4 abid:10
	v_cvt_pkrtz_f16_f32 v51, v52, v53
	v_cvt_pk_f32_fp8_e32 v[48:49], v54
	v_cvt_pk_f32_fp8_e32 v[52:53], v55
	v_mfma_f32_4x4x4_16b_f16 a[0:3], v[46:47], v[50:51], a[0:3] cbsz:4 abid:10
	v_cvt_pk_f32_fp8_sdwa v[50:51], v54 src0_sel:WORD_1
	v_cvt_pk_f32_fp8_sdwa v[54:55], v55 src0_sel:WORD_1
	v_cvt_pkrtz_f16_f32 v48, v48, v49
	v_cvt_pkrtz_f16_f32 v49, v50, v51
	;; [unrolled: 1-line block ×3, first 2 shown]
	s_nop 0
	v_mfma_f32_4x4x4_16b_f16 a[0:3], v[44:45], v[48:49], a[0:3] cbsz:4 abid:11
	v_cvt_pkrtz_f16_f32 v51, v54, v55
	s_waitcnt vmcnt(9)
	v_cvt_pk_f32_fp8_e32 v[48:49], v56
	v_cvt_pk_f32_fp8_e32 v[52:53], v57
	v_mfma_f32_4x4x4_16b_f16 a[0:3], v[46:47], v[50:51], a[0:3] cbsz:4 abid:11
	v_cvt_pk_f32_fp8_sdwa v[50:51], v56 src0_sel:WORD_1
	v_cvt_pk_f32_fp8_sdwa v[54:55], v57 src0_sel:WORD_1
	v_cvt_pkrtz_f16_f32 v48, v48, v49
	v_cvt_pkrtz_f16_f32 v49, v50, v51
	;; [unrolled: 1-line block ×3, first 2 shown]
	s_nop 0
	v_mfma_f32_4x4x4_16b_f16 a[0:3], v[44:45], v[48:49], a[0:3] cbsz:4 abid:12
	v_cvt_pkrtz_f16_f32 v51, v54, v55
	v_cvt_pk_f32_fp8_e32 v[48:49], v58
	v_cvt_pk_f32_fp8_e32 v[52:53], v59
	v_mfma_f32_4x4x4_16b_f16 a[0:3], v[46:47], v[50:51], a[0:3] cbsz:4 abid:12
	v_cvt_pk_f32_fp8_sdwa v[50:51], v58 src0_sel:WORD_1
	v_cvt_pk_f32_fp8_sdwa v[54:55], v59 src0_sel:WORD_1
	v_cvt_pkrtz_f16_f32 v48, v48, v49
	v_cvt_pkrtz_f16_f32 v49, v50, v51
	v_cvt_pkrtz_f16_f32 v50, v52, v53
	s_nop 0
	v_mfma_f32_4x4x4_16b_f16 a[0:3], v[44:45], v[48:49], a[0:3] cbsz:4 abid:13
	s_waitcnt vmcnt(8)
	v_cvt_pk_f32_fp8_e32 v[48:49], v34
	v_cvt_pkrtz_f16_f32 v51, v54, v55
	v_cvt_pk_f32_fp8_e32 v[52:53], v35
	s_nop 0
	v_mfma_f32_4x4x4_16b_f16 a[0:3], v[46:47], v[50:51], a[0:3] cbsz:4 abid:13
	v_cvt_pk_f32_fp8_sdwa v[50:51], v34 src0_sel:WORD_1
	v_cvt_pkrtz_f16_f32 v34, v48, v49
	v_cvt_pk_f32_fp8_sdwa v[48:49], v35 src0_sel:WORD_1
	v_cvt_pkrtz_f16_f32 v35, v50, v51
	v_cvt_pkrtz_f16_f32 v50, v52, v53
	s_nop 0
	v_mfma_f32_4x4x4_16b_f16 a[0:3], v[44:45], v[34:35], a[0:3] cbsz:4 abid:14
	v_cvt_pkrtz_f16_f32 v51, v48, v49
	v_cvt_pk_f32_fp8_e32 v[34:35], v36
	v_cvt_pk_f32_fp8_sdwa v[48:49], v36 src0_sel:WORD_1
	v_mfma_f32_4x4x4_16b_f16 a[0:3], v[46:47], v[50:51], a[0:3] cbsz:4 abid:14
	v_cvt_pk_f32_fp8_e32 v[50:51], v37
	v_cvt_pk_f32_fp8_sdwa v[36:37], v37 src0_sel:WORD_1
	v_cvt_pkrtz_f16_f32 v34, v34, v35
	v_cvt_pkrtz_f16_f32 v35, v48, v49
	;; [unrolled: 1-line block ×4, first 2 shown]
	v_mfma_f32_4x4x4_16b_f16 a[0:3], v[44:45], v[34:35], a[0:3] cbsz:4 abid:15
	v_mov_b32_e32 v34, s5
	s_waitcnt lgkmcnt(0)
	v_mul_f32_e32 v36, s0, v34
	v_mfma_f32_4x4x4_16b_f16 a[0:3], v[46:47], v[48:49], a[0:3] cbsz:4 abid:15
	s_nop 4
	v_accvgpr_read_b32 v45, a1
	v_accvgpr_read_b32 v44, a0
	v_pk_mul_f32 v[44:45], v[44:45], v[36:37] op_sel_hi:[1,0]
	v_accvgpr_read_b32 v35, a3
	v_accvgpr_read_b32 v34, a2
	v_pk_mul_f32 v[34:35], v[34:35], v[36:37] op_sel_hi:[1,0]
	v_cndmask_b32_e64 v36, 0, 1.0, vcc
	v_cmp_eq_u32_e32 vcc, 1, v41
	s_nop 0
	v_mfma_f32_4x4x1_16b_f32 a[0:3], v44, v36, 0
	v_cndmask_b32_e64 v36, 0, 1.0, vcc
	v_cmp_eq_u32_e32 vcc, 2, v41
	s_nop 0
	v_mfma_f32_4x4x1_16b_f32 a[0:3], v45, v36, a[0:3]
	v_cndmask_b32_e64 v36, 0, 1.0, vcc
	v_cmp_eq_u32_e32 vcc, 3, v41
	v_mov_b32_e32 v45, 0xff7fffff
	v_mfma_f32_4x4x1_16b_f32 a[0:3], v34, v36, a[0:3]
	v_cndmask_b32_e64 v34, 0, 1.0, vcc
	s_nop 1
	v_mfma_f32_4x4x1_16b_f32 a[0:3], v35, v34, a[0:3]
	v_and_b32_e32 v34, -4, v42
	v_subrev_u32_e32 v35, s3, v34
	v_add_u32_e32 v36, 1, v35
	v_cvt_f32_i32_e32 v36, v36
	v_add_u32_e32 v37, 2, v35
	v_cvt_f32_i32_e32 v37, v37
	v_accvgpr_read_b32 v43, a0
	v_fma_f32 v36, v39, v36, v43
	v_accvgpr_read_b32 v43, a1
	v_fma_f32 v37, v39, v37, v43
	v_add_u32_e32 v43, 3, v35
	v_cvt_f32_i32_e32 v43, v43
	v_add_u32_e32 v35, 4, v35
	v_cvt_f32_i32_e32 v35, v35
	v_accvgpr_read_b32 v44, a2
	v_fma_f32 v43, v39, v43, v44
	v_accvgpr_read_b32 v44, a3
	v_fmac_f32_e32 v44, v39, v35
	v_max_f32_e32 v39, 0xff7fffff, v36
	v_cmp_gt_i32_e32 vcc, s3, v34
	v_lshlrev_b32_e32 v35, 2, v0
	v_and_or_b32 v35, v35, 48, v41
	v_cndmask_b32_e32 v39, v45, v39, vcc
	v_or_b32_e32 v45, 1, v34
	v_max_f32_e32 v46, v39, v37
	v_cmp_gt_i32_e64 s[0:1], s3, v45
	v_or_b32_e32 v34, 2, v34
	v_cmp_gt_i32_e64 s[4:5], s3, v34
	v_cndmask_b32_e64 v39, v39, v46, s[0:1]
	v_max_f32_e32 v45, v39, v43
	v_cndmask_b32_e64 v34, v39, v45, s[4:5]
	v_or_b32_e32 v39, 3, v42
	v_max_f32_e32 v42, v34, v44
	v_cmp_gt_i32_e64 s[8:9], s3, v39
	s_nop 1
	v_cndmask_b32_e64 v34, v34, v42, s[8:9]
	;;#ASMSTART
	v_nop
 v_nop
 v_max_f32_dpp v34, v34, v34 row_ror:4
	;;#ASMEND
	v_lshlrev_b32_e32 v42, 2, v35
	;;#ASMSTART
	v_nop
 v_nop
 v_max_f32_dpp v34, v34, v34 row_ror:8
	;;#ASMEND
	ds_bpermute_b32 v34, v42, v34
	s_waitcnt lgkmcnt(0)
	;;#ASMSTART
	v_nop
 v_nop
 v_max_f32_dpp v34, v34, v34 row_ror:4
	;;#ASMEND
	s_nop 0
	;;#ASMSTART
	v_nop
 v_nop
 v_max_f32_dpp v39, v34, v34 row_ror:8
	;;#ASMEND
	s_nop 0
	v_sub_f32_e32 v34, v36, v39
	v_mul_f32_e32 v34, 0x3fb8aa3b, v34
	v_sub_f32_e32 v35, v37, v39
	v_exp_f32_e32 v34, v34
	v_mul_f32_e32 v35, 0x3fb8aa3b, v35
	v_sub_f32_e32 v37, v43, v39
	v_exp_f32_e32 v35, v35
	;; [unrolled: 3-line block ×3, first 2 shown]
	v_mul_f32_e32 v43, 0x3fb8aa3b, v43
	v_exp_f32_e32 v43, v43
	v_cndmask_b32_e32 v34, 0, v34, vcc
	v_add_f32_e32 v36, 0, v34
	v_cndmask_b32_e64 v35, 0, v35, s[0:1]
	v_add_f32_e32 v44, v36, v35
	v_cndmask_b32_e64 v36, 0, v37, s[4:5]
	;; [unrolled: 2-line block ×3, first 2 shown]
	v_add_f32_e32 v43, v44, v37
	;;#ASMSTART
	v_nop
 v_nop
 v_add_f32_dpp v43, v43, v43 row_ror:4
	;;#ASMEND
	v_cmp_gt_u32_e32 vcc, 4, v1
	;;#ASMSTART
	v_nop
 v_nop
 v_add_f32_dpp v43, v43, v43 row_ror:8
	;;#ASMEND
	ds_bpermute_b32 v42, v42, v43
	s_waitcnt lgkmcnt(0)
	;;#ASMSTART
	v_nop
 v_nop
 v_add_f32_dpp v42, v42, v42 row_ror:4
	;;#ASMEND
	s_nop 0
	;;#ASMSTART
	v_nop
 v_nop
 v_add_f32_dpp v42, v42, v42 row_ror:8
	;;#ASMEND
	s_and_saveexec_b64 s[0:1], vcc
	s_cbranch_execz .LBB931_12
; %bb.11:
	v_mul_u32_u24_e32 v43, 20, v40
	v_lshl_add_u32 v43, v41, 2, v43
	v_add_u32_e32 v43, 0x1400, v43
	ds_write2_b32 v43, v39, v42 offset1:20
.LBB931_12:
	s_or_b64 exec, exec, s[0:1]
.LBB931_13:
	s_or_b64 exec, exec, s[30:31]
	v_lshlrev_b32_e32 v41, 2, v41
	v_add_u32_e32 v48, 0x1400, v41
	s_waitcnt lgkmcnt(0)
	s_barrier
	s_load_dword s0, s[28:29], 0x8
	ds_read2_b32 v[42:43], v48 offset1:5
	ds_read2_b32 v[44:45], v48 offset0:10 offset1:15
	s_mov_b32 s4, 0xff7fffff
	s_mul_i32 s1, s2, s44
	ds_read2_b32 v[46:47], v48 offset0:20 offset1:25
	s_waitcnt lgkmcnt(0)
	v_max3_f32 v41, v42, s4, v43
	v_max3_f32 v41, v41, v44, v45
	s_mul_i32 s1, s1, s0
	v_sub_f32_e32 v42, v42, v41
	s_lshl_b32 s0, s1, 2
	s_mov_b32 s1, 0
	v_mul_f32_e32 v42, 0x3fb8aa3b, v42
	v_sub_f32_e32 v43, v43, v41
	s_lshl_b64 s[2:3], s[0:1], 2
	v_exp_f32_e32 v42, v42
	v_mul_f32_e32 v43, 0x3fb8aa3b, v43
	v_sub_f32_e32 v44, v44, v41
	s_add_u32 s8, s12, s2
	v_exp_f32_e32 v43, v43
	ds_read2_b32 v[48:49], v48 offset0:30 offset1:35
	v_mul_f32_e32 v44, 0x3fb8aa3b, v44
	v_sub_f32_e32 v45, v45, v41
	s_addc_u32 s9, s13, s3
	v_exp_f32_e32 v44, v44
	v_mul_f32_e32 v45, 0x3fb8aa3b, v45
	s_mov_b32 s25, s1
	s_add_u32 s4, s14, s2
	v_exp_f32_e32 v45, v45
	s_addc_u32 s5, s15, s3
	s_lshl_b64 s[2:3], s[24:25], 2
	v_fma_f32 v42, v42, v46, 0
	s_add_u32 s4, s4, s2
	v_fmac_f32_e32 v42, v43, v47
	s_addc_u32 s5, s5, s3
	s_waitcnt lgkmcnt(0)
	v_fmac_f32_e32 v42, v44, v48
	v_fmac_f32_e32 v42, v45, v49
	s_add_u32 s2, s8, s2
	v_mul_lo_u32 v44, s44, v38
	v_mov_b32_e32 v45, 0
	s_addc_u32 s3, s9, s3
	v_lshlrev_b64 v[44:45], 2, v[44:45]
	v_lshl_add_u64 v[46:47], s[4:5], 0, v[44:45]
	v_lshl_add_u64 v[44:45], s[2:3], 0, v[44:45]
	v_lshlrev_b32_e32 v38, 3, v40
	global_store_dword v[46:47], v41, off
	global_store_dword v[44:45], v42, off
	s_and_saveexec_b64 s[2:3], s[6:7]
	s_xor_b64 s[2:3], exec, s[2:3]
	s_cbranch_execz .LBB931_15
; %bb.14:
	s_mov_b32 s4, s1
	s_mov_b32 s5, s1
	s_waitcnt vmcnt(6)
	v_mad_u32_u24 v4, v1, 40, v38
	v_mov_b64_e32 v[2:3], s[4:5]
	ds_write2st64_b64 v4, v[2:3], v[2:3] offset1:5
                                        ; implicit-def: $vgpr37
                                        ; implicit-def: $vgpr35
                                        ; implicit-def: $vgpr39
                                        ; implicit-def: $vgpr22_vgpr23
                                        ; implicit-def: $vgpr18_vgpr19
                                        ; implicit-def: $vgpr26_vgpr27
                                        ; implicit-def: $vgpr30_vgpr31
                                        ; implicit-def: $vgpr6_vgpr7
                                        ; implicit-def: $vgpr2_vgpr3
                                        ; implicit-def: $vgpr10_vgpr11
                                        ; implicit-def: $vgpr14_vgpr15
                                        ; implicit-def: $vgpr41
                                        ; implicit-def: $vgpr42
                                        ; implicit-def: $vgpr38
.LBB931_15:
	s_andn2_saveexec_b64 s[2:3], s[2:3]
	s_cbranch_execz .LBB931_17
; %bb.16:
	v_add_f32_e32 v40, 0x358637bd, v42
	v_div_scale_f32 v42, s[4:5], v40, v40, 1.0
	v_rcp_f32_e32 v43, v42
	v_sub_f32_e32 v39, v39, v41
	v_mul_f32_e32 v39, 0x3fb8aa3b, v39
	v_exp_f32_e32 v39, v39
	v_fma_f32 v41, -v42, v43, 1.0
	v_fmac_f32_e32 v43, v41, v43
	v_div_scale_f32 v41, vcc, 1.0, v40, 1.0
	v_mul_f32_e32 v44, v41, v43
	v_fma_f32 v45, -v42, v44, v41
	v_fmac_f32_e32 v44, v45, v43
	v_fma_f32 v41, -v42, v44, v41
	v_div_fmas_f32 v41, v41, v43, v44
	v_div_fixup_f32 v40, v41, v40, 1.0
	v_mul_f32_e32 v40, v39, v40
	v_pk_mul_f32 v[36:37], v[36:37], v[40:41] op_sel_hi:[1,0]
	v_pk_mul_f32 v[34:35], v[34:35], v[40:41] op_sel_hi:[1,0]
	v_cvt_f16_f32_e32 v36, v36
	v_cvt_f16_f32_e32 v34, v34
	;; [unrolled: 1-line block ×4, first 2 shown]
	s_waitcnt vmcnt(9)
	v_cvt_pk_f32_fp8_sdwa v[40:41], v22 src0_sel:WORD_1
	v_cvt_pk_f32_fp8_e32 v[42:43], v23
	v_pack_b32_f16 v34, v34, v35
	v_pack_b32_f16 v35, v36, v37
	v_cvt_pk_f32_fp8_e32 v[36:37], v22
	v_cvt_pk_f32_fp8_sdwa v[22:23], v23 src0_sel:WORD_1
	s_load_dword s4, s[10:11], 0x0
	v_cvt_pkrtz_f16_f32 v36, v36, v37
	v_cvt_pkrtz_f16_f32 v37, v40, v41
	;; [unrolled: 1-line block ×4, first 2 shown]
	v_mfma_f32_4x4x4_16b_f16 a[0:3], v[34:35], v[36:37], 0 cbsz:4
	v_cvt_pk_f32_fp8_e32 v[22:23], v24
	v_cvt_pk_f32_fp8_sdwa v[36:37], v24 src0_sel:WORD_1
	v_mfma_f32_4x4x4_16b_f16 a[0:3], v[34:35], v[40:41], a[0:3] cbsz:4 abid:1
	v_cvt_pk_f32_fp8_e32 v[40:41], v25
	v_cvt_pk_f32_fp8_sdwa v[24:25], v25 src0_sel:WORD_1
	v_cvt_pkrtz_f16_f32 v22, v22, v23
	v_cvt_pkrtz_f16_f32 v23, v36, v37
	;; [unrolled: 1-line block ×4, first 2 shown]
	v_mfma_f32_4x4x4_16b_f16 a[0:3], v[34:35], v[22:23], a[0:3] cbsz:4 abid:2
	s_waitcnt vmcnt(7)
	v_cvt_pk_f32_fp8_e32 v[22:23], v18
	v_cvt_pk_f32_fp8_sdwa v[24:25], v18 src0_sel:WORD_1
	v_mfma_f32_4x4x4_16b_f16 a[0:3], v[34:35], v[36:37], a[0:3] cbsz:4 abid:3
	v_cvt_pk_f32_fp8_e32 v[36:37], v19
	v_cvt_pk_f32_fp8_sdwa v[18:19], v19 src0_sel:WORD_1
	v_cvt_pkrtz_f16_f32 v22, v22, v23
	v_cvt_pkrtz_f16_f32 v23, v24, v25
	;; [unrolled: 1-line block ×4, first 2 shown]
	v_mfma_f32_4x4x4_16b_f16 a[0:3], v[34:35], v[22:23], a[0:3] cbsz:4 abid:4
	v_cvt_pk_f32_fp8_e32 v[18:19], v20
	v_cvt_pk_f32_fp8_sdwa v[22:23], v20 src0_sel:WORD_1
	v_mfma_f32_4x4x4_16b_f16 a[0:3], v[34:35], v[24:25], a[0:3] cbsz:4 abid:5
	v_cvt_pk_f32_fp8_e32 v[24:25], v21
	v_cvt_pk_f32_fp8_sdwa v[20:21], v21 src0_sel:WORD_1
	v_cvt_pkrtz_f16_f32 v18, v18, v19
	v_cvt_pkrtz_f16_f32 v19, v22, v23
	;; [unrolled: 1-line block ×4, first 2 shown]
	v_mfma_f32_4x4x4_16b_f16 a[0:3], v[34:35], v[18:19], a[0:3] cbsz:4 abid:6
	s_waitcnt vmcnt(5)
	v_cvt_pk_f32_fp8_e32 v[18:19], v26
	v_cvt_pk_f32_fp8_sdwa v[20:21], v26 src0_sel:WORD_1
	v_mfma_f32_4x4x4_16b_f16 a[0:3], v[34:35], v[22:23], a[0:3] cbsz:4 abid:7
	v_cvt_pk_f32_fp8_e32 v[22:23], v27
	v_cvt_pk_f32_fp8_sdwa v[24:25], v27 src0_sel:WORD_1
	v_cvt_pkrtz_f16_f32 v18, v18, v19
	v_cvt_pkrtz_f16_f32 v19, v20, v21
	;; [unrolled: 1-line block ×4, first 2 shown]
	v_mfma_f32_4x4x4_16b_f16 a[0:3], v[34:35], v[18:19], a[0:3] cbsz:4 abid:8
	v_cvt_pk_f32_fp8_e32 v[18:19], v28
	v_cvt_pk_f32_fp8_e32 v[22:23], v29
	v_mfma_f32_4x4x4_16b_f16 a[0:3], v[34:35], v[20:21], a[0:3] cbsz:4 abid:9
	v_cvt_pk_f32_fp8_sdwa v[20:21], v28 src0_sel:WORD_1
	v_cvt_pk_f32_fp8_sdwa v[24:25], v29 src0_sel:WORD_1
	v_cvt_pkrtz_f16_f32 v18, v18, v19
	v_cvt_pkrtz_f16_f32 v19, v20, v21
	;; [unrolled: 1-line block ×3, first 2 shown]
	s_nop 0
	v_mfma_f32_4x4x4_16b_f16 a[0:3], v[34:35], v[18:19], a[0:3] cbsz:4 abid:10
	v_cvt_pkrtz_f16_f32 v21, v24, v25
	s_waitcnt vmcnt(3)
	v_cvt_pk_f32_fp8_e32 v[18:19], v30
	v_cvt_pk_f32_fp8_e32 v[22:23], v31
	v_mfma_f32_4x4x4_16b_f16 a[0:3], v[34:35], v[20:21], a[0:3] cbsz:4 abid:11
	v_cvt_pk_f32_fp8_sdwa v[20:21], v30 src0_sel:WORD_1
	v_cvt_pk_f32_fp8_sdwa v[24:25], v31 src0_sel:WORD_1
	v_cvt_pkrtz_f16_f32 v18, v18, v19
	v_cvt_pkrtz_f16_f32 v19, v20, v21
	;; [unrolled: 1-line block ×3, first 2 shown]
	s_nop 0
	v_mfma_f32_4x4x4_16b_f16 a[0:3], v[34:35], v[18:19], a[0:3] cbsz:4 abid:12
	v_cvt_pkrtz_f16_f32 v21, v24, v25
	v_cvt_pk_f32_fp8_e32 v[18:19], v32
	v_cvt_pk_f32_fp8_e32 v[22:23], v33
	v_mfma_f32_4x4x4_16b_f16 a[0:3], v[34:35], v[20:21], a[0:3] cbsz:4 abid:13
	v_cvt_pk_f32_fp8_sdwa v[20:21], v32 src0_sel:WORD_1
	v_cvt_pk_f32_fp8_sdwa v[24:25], v33 src0_sel:WORD_1
	v_cvt_pkrtz_f16_f32 v18, v18, v19
	v_cvt_pkrtz_f16_f32 v19, v20, v21
	;; [unrolled: 1-line block ×3, first 2 shown]
	s_nop 0
	v_mfma_f32_4x4x4_16b_f16 a[0:3], v[34:35], v[18:19], a[0:3] cbsz:4 abid:14
	v_cvt_pkrtz_f16_f32 v21, v24, v25
	v_cvt_pk_f32_fp8_sdwa v[22:23], v6 src0_sel:WORD_1
	v_cvt_pk_f32_fp8_e32 v[24:25], v7
	v_mfma_f32_4x4x4_16b_f16 a[0:3], v[34:35], v[20:21], a[0:3] cbsz:4 abid:15
	s_nop 4
	v_accvgpr_read_b32 v19, a1
	v_accvgpr_read_b32 v18, a0
	s_waitcnt lgkmcnt(0)
	v_pk_mul_f32 v[18:19], v[18:19], s[4:5] op_sel_hi:[1,0]
	s_nop 0
	v_cvt_f16_f32_e32 v20, v18
	v_cvt_f16_f32_e32 v21, v19
	v_accvgpr_read_b32 v19, a3
	v_accvgpr_read_b32 v18, a2
	v_pk_mul_f32 v[18:19], v[18:19], s[4:5] op_sel_hi:[1,0]
	v_pack_b32_f16 v20, v20, v21
	v_cvt_f16_f32_e32 v21, v18
	v_cvt_f16_f32_e32 v26, v19
	v_cvt_pk_f32_fp8_e32 v[18:19], v6
	v_cvt_pk_f32_fp8_sdwa v[6:7], v7 src0_sel:WORD_1
	v_pack_b32_f16 v21, v21, v26
	v_cvt_pkrtz_f16_f32 v18, v18, v19
	v_cvt_pkrtz_f16_f32 v19, v22, v23
	;; [unrolled: 1-line block ×4, first 2 shown]
	v_mfma_f32_4x4x4_16b_f16 a[0:3], v[34:35], v[18:19], 0 cbsz:4
	v_cvt_pk_f32_fp8_e32 v[6:7], v8
	v_cvt_pk_f32_fp8_sdwa v[18:19], v8 src0_sel:WORD_1
	v_mfma_f32_4x4x4_16b_f16 a[0:3], v[34:35], v[22:23], a[0:3] cbsz:4 abid:1
	v_cvt_pk_f32_fp8_e32 v[22:23], v9
	v_cvt_pk_f32_fp8_sdwa v[8:9], v9 src0_sel:WORD_1
	v_cvt_pkrtz_f16_f32 v6, v6, v7
	v_cvt_pkrtz_f16_f32 v7, v18, v19
	v_cvt_pkrtz_f16_f32 v18, v22, v23
	v_cvt_pkrtz_f16_f32 v19, v8, v9
	v_mfma_f32_4x4x4_16b_f16 a[0:3], v[34:35], v[6:7], a[0:3] cbsz:4 abid:2
	v_cvt_pk_f32_fp8_e32 v[6:7], v2
	v_cvt_pk_f32_fp8_sdwa v[8:9], v2 src0_sel:WORD_1
	v_mfma_f32_4x4x4_16b_f16 a[0:3], v[34:35], v[18:19], a[0:3] cbsz:4 abid:3
	v_cvt_pk_f32_fp8_e32 v[18:19], v3
	v_cvt_pk_f32_fp8_sdwa v[2:3], v3 src0_sel:WORD_1
	v_cvt_pkrtz_f16_f32 v6, v6, v7
	v_cvt_pkrtz_f16_f32 v7, v8, v9
	v_cvt_pkrtz_f16_f32 v8, v18, v19
	v_cvt_pkrtz_f16_f32 v9, v2, v3
	v_mfma_f32_4x4x4_16b_f16 a[0:3], v[34:35], v[6:7], a[0:3] cbsz:4 abid:4
	;; [unrolled: 10-line block ×4, first 2 shown]
	v_cvt_pk_f32_fp8_e32 v[2:3], v12
	v_cvt_pk_f32_fp8_e32 v[6:7], v13
	v_mfma_f32_4x4x4_16b_f16 a[0:3], v[34:35], v[4:5], a[0:3] cbsz:4 abid:9
	v_cvt_pk_f32_fp8_sdwa v[4:5], v12 src0_sel:WORD_1
	v_cvt_pk_f32_fp8_sdwa v[8:9], v13 src0_sel:WORD_1
	v_cvt_pkrtz_f16_f32 v2, v2, v3
	v_cvt_pkrtz_f16_f32 v3, v4, v5
	v_cvt_pkrtz_f16_f32 v4, v6, v7
	s_nop 0
	v_mfma_f32_4x4x4_16b_f16 a[0:3], v[34:35], v[2:3], a[0:3] cbsz:4 abid:10
	v_cvt_pkrtz_f16_f32 v5, v8, v9
	s_waitcnt vmcnt(2)
	v_cvt_pk_f32_fp8_e32 v[2:3], v14
	v_cvt_pk_f32_fp8_e32 v[6:7], v15
	v_mfma_f32_4x4x4_16b_f16 a[0:3], v[34:35], v[4:5], a[0:3] cbsz:4 abid:11
	v_cvt_pk_f32_fp8_sdwa v[4:5], v14 src0_sel:WORD_1
	v_cvt_pk_f32_fp8_sdwa v[8:9], v15 src0_sel:WORD_1
	v_cvt_pkrtz_f16_f32 v2, v2, v3
	v_cvt_pkrtz_f16_f32 v3, v4, v5
	;; [unrolled: 1-line block ×3, first 2 shown]
	s_nop 0
	v_mfma_f32_4x4x4_16b_f16 a[0:3], v[34:35], v[2:3], a[0:3] cbsz:4 abid:12
	v_cvt_pkrtz_f16_f32 v5, v8, v9
	v_cvt_pk_f32_fp8_e32 v[2:3], v16
	v_cvt_pk_f32_fp8_e32 v[6:7], v17
	v_mfma_f32_4x4x4_16b_f16 a[0:3], v[34:35], v[4:5], a[0:3] cbsz:4 abid:13
	v_cvt_pk_f32_fp8_sdwa v[4:5], v16 src0_sel:WORD_1
	v_cvt_pk_f32_fp8_sdwa v[8:9], v17 src0_sel:WORD_1
	v_cvt_pkrtz_f16_f32 v2, v2, v3
	v_cvt_pkrtz_f16_f32 v3, v4, v5
	;; [unrolled: 1-line block ×3, first 2 shown]
	s_nop 0
	v_mfma_f32_4x4x4_16b_f16 a[0:3], v[34:35], v[2:3], a[0:3] cbsz:4 abid:14
	v_cvt_pkrtz_f16_f32 v5, v8, v9
	v_mad_u32_u24 v7, v1, 40, v38
	s_nop 0
	v_mfma_f32_4x4x4_16b_f16 a[0:3], v[34:35], v[4:5], a[0:3] cbsz:4 abid:15
	s_nop 4
	v_accvgpr_read_b32 v5, a1
	v_accvgpr_read_b32 v3, a3
	;; [unrolled: 1-line block ×4, first 2 shown]
	v_pk_mul_f32 v[2:3], v[2:3], s[4:5] op_sel_hi:[1,0]
	v_pk_mul_f32 v[4:5], v[4:5], s[4:5] op_sel_hi:[1,0]
	v_cvt_f16_f32_e32 v6, v2
	v_cvt_f16_f32_e32 v4, v4
	;; [unrolled: 1-line block ×4, first 2 shown]
	v_pack_b32_f16 v2, v4, v5
	v_pack_b32_f16 v3, v6, v3
	ds_write2st64_b64 v7, v[20:21], v[2:3] offset1:5
.LBB931_17:
	s_or_b64 exec, exec, s[2:3]
	v_cmp_gt_u32_e32 vcc, 64, v0
	s_waitcnt lgkmcnt(0)
	s_barrier
	s_and_saveexec_b64 s[2:3], vcc
	s_cbranch_execz .LBB931_19
; %bb.18:
	s_waitcnt vmcnt(8)
	v_mul_u32_u24_e32 v6, 40, v1
	s_waitcnt vmcnt(6)
	ds_read2_b64 v[2:5], v6 offset1:1
	ds_read2_b64 v[6:9], v6 offset0:2 offset1:3
	s_lshl_b32 s0, s0, 7
	s_lshl_b64 s[2:3], s[0:1], 1
	s_add_u32 s2, s26, s2
	s_waitcnt lgkmcnt(1)
	v_pk_add_f16 v2, v2, 0
	v_pk_add_f16 v3, v3, 0
	;; [unrolled: 1-line block ×4, first 2 shown]
	s_waitcnt lgkmcnt(0)
	v_pk_add_f16 v2, v2, v6
	v_pk_add_f16 v6, v3, v7
	s_waitcnt vmcnt(4)
	v_pk_add_f16 v10, v2, v8
	v_mov_b32_e32 v2, 0xa00
	v_mad_u32_u24 v2, v1, 40, v2
	ds_read2_b64 v[2:5], v2 offset1:1
	v_pk_add_f16 v11, v6, v9
	v_mov_b32_e32 v6, 0xa10
	v_mad_u32_u24 v1, v1, 40, v6
	ds_read2_b64 v[6:9], v1 offset1:1
	s_addc_u32 s3, s27, s3
	s_lshl_b32 s0, s24, 7
	s_lshl_b64 s[0:1], s[0:1], 1
	s_waitcnt lgkmcnt(1)
	v_pk_add_f16 v1, v2, 0
	v_pk_add_f16 v2, v3, 0
	s_add_u32 s0, s2, s0
	v_pk_add_f16 v2, v2, v5
	s_addc_u32 s1, s3, s1
	s_lshl_b32 s2, s44, 7
	s_waitcnt lgkmcnt(0)
	v_pk_add_f16 v2, v2, v7
	s_mul_i32 s3, s2, s33
	v_pk_add_f16 v13, v2, v9
	v_or_b32_e32 v2, s3, v0
	v_mov_b32_e32 v3, 0
	s_add_i32 s3, s3, s2
	v_pk_add_f16 v1, v1, v4
	v_lshl_add_u64 v[4:5], v[2:3], 1, s[0:1]
	v_or_b32_e32 v2, s3, v0
	s_add_i32 s3, s3, s2
	v_pk_add_f16 v1, v1, v6
	v_lshl_add_u64 v[6:7], v[2:3], 1, s[0:1]
	v_or_b32_e32 v2, s3, v0
	;; [unrolled: 4-line block ×3, first 2 shown]
	v_lshl_add_u64 v[0:1], v[2:3], 1, s[0:1]
	global_store_short v[4:5], v10, off
	global_store_short_d16_hi v[6:7], v10, off
	global_store_short v[8:9], v11, off
	global_store_short_d16_hi v[0:1], v11, off
	global_store_short v[4:5], v12, off offset:128
	global_store_short_d16_hi v[6:7], v12, off offset:128
	global_store_short v[8:9], v13, off offset:128
	global_store_short_d16_hi v[0:1], v13, off offset:128
.LBB931_19:
	s_endpgm
.LBB931_20:
	s_mov_b64 s[8:9], 0
                                        ; implicit-def: $sgpr34_sgpr35
	s_branch .LBB931_2
	.section	.rodata,"a",@progbits
	.p2align	6, 0x0
	.amdhsa_kernel _Z38paged_attention_ll4mi_QKV_mfma4_kernelIDF16_hLN4vllm18Fp8KVCacheDataTypeE1EhLi16ELi128ELi256ELb1ELi4EEvPKT_PKT0_S7_ifPKiS9_S9_iPKfiiiPfSC_PS2_PT2_iSB_SB_
		.amdhsa_group_segment_fixed_size 5280
		.amdhsa_private_segment_fixed_size 0
		.amdhsa_kernarg_size 400
		.amdhsa_user_sgpr_count 2
		.amdhsa_user_sgpr_dispatch_ptr 0
		.amdhsa_user_sgpr_queue_ptr 0
		.amdhsa_user_sgpr_kernarg_segment_ptr 1
		.amdhsa_user_sgpr_dispatch_id 0
		.amdhsa_user_sgpr_kernarg_preload_length 0
		.amdhsa_user_sgpr_kernarg_preload_offset 0
		.amdhsa_user_sgpr_private_segment_size 0
		.amdhsa_uses_dynamic_stack 0
		.amdhsa_enable_private_segment 0
		.amdhsa_system_sgpr_workgroup_id_x 1
		.amdhsa_system_sgpr_workgroup_id_y 1
		.amdhsa_system_sgpr_workgroup_id_z 1
		.amdhsa_system_sgpr_workgroup_info 0
		.amdhsa_system_vgpr_workitem_id 0
		.amdhsa_next_free_vgpr 88
		.amdhsa_next_free_sgpr 45
		.amdhsa_accum_offset 84
		.amdhsa_reserve_vcc 1
		.amdhsa_float_round_mode_32 0
		.amdhsa_float_round_mode_16_64 0
		.amdhsa_float_denorm_mode_32 3
		.amdhsa_float_denorm_mode_16_64 3
		.amdhsa_dx10_clamp 1
		.amdhsa_ieee_mode 1
		.amdhsa_fp16_overflow 0
		.amdhsa_tg_split 0
		.amdhsa_exception_fp_ieee_invalid_op 0
		.amdhsa_exception_fp_denorm_src 0
		.amdhsa_exception_fp_ieee_div_zero 0
		.amdhsa_exception_fp_ieee_overflow 0
		.amdhsa_exception_fp_ieee_underflow 0
		.amdhsa_exception_fp_ieee_inexact 0
		.amdhsa_exception_int_div_zero 0
	.end_amdhsa_kernel
	.section	.text._Z38paged_attention_ll4mi_QKV_mfma4_kernelIDF16_hLN4vllm18Fp8KVCacheDataTypeE1EhLi16ELi128ELi256ELb1ELi4EEvPKT_PKT0_S7_ifPKiS9_S9_iPKfiiiPfSC_PS2_PT2_iSB_SB_,"axG",@progbits,_Z38paged_attention_ll4mi_QKV_mfma4_kernelIDF16_hLN4vllm18Fp8KVCacheDataTypeE1EhLi16ELi128ELi256ELb1ELi4EEvPKT_PKT0_S7_ifPKiS9_S9_iPKfiiiPfSC_PS2_PT2_iSB_SB_,comdat
.Lfunc_end931:
	.size	_Z38paged_attention_ll4mi_QKV_mfma4_kernelIDF16_hLN4vllm18Fp8KVCacheDataTypeE1EhLi16ELi128ELi256ELb1ELi4EEvPKT_PKT0_S7_ifPKiS9_S9_iPKfiiiPfSC_PS2_PT2_iSB_SB_, .Lfunc_end931-_Z38paged_attention_ll4mi_QKV_mfma4_kernelIDF16_hLN4vllm18Fp8KVCacheDataTypeE1EhLi16ELi128ELi256ELb1ELi4EEvPKT_PKT0_S7_ifPKiS9_S9_iPKfiiiPfSC_PS2_PT2_iSB_SB_
                                        ; -- End function
	.section	.AMDGPU.csdata,"",@progbits
; Kernel info:
; codeLenInByte = 5552
; NumSgprs: 51
; NumVgprs: 84
; NumAgprs: 4
; TotalNumVgprs: 88
; ScratchSize: 0
; MemoryBound: 0
; FloatMode: 240
; IeeeMode: 1
; LDSByteSize: 5280 bytes/workgroup (compile time only)
; SGPRBlocks: 6
; VGPRBlocks: 10
; NumSGPRsForWavesPerEU: 51
; NumVGPRsForWavesPerEU: 88
; AccumOffset: 84
; Occupancy: 5
; WaveLimiterHint : 1
; COMPUTE_PGM_RSRC2:SCRATCH_EN: 0
; COMPUTE_PGM_RSRC2:USER_SGPR: 2
; COMPUTE_PGM_RSRC2:TRAP_HANDLER: 0
; COMPUTE_PGM_RSRC2:TGID_X_EN: 1
; COMPUTE_PGM_RSRC2:TGID_Y_EN: 1
; COMPUTE_PGM_RSRC2:TGID_Z_EN: 1
; COMPUTE_PGM_RSRC2:TIDIG_COMP_CNT: 0
; COMPUTE_PGM_RSRC3_GFX90A:ACCUM_OFFSET: 20
; COMPUTE_PGM_RSRC3_GFX90A:TG_SPLIT: 0
	.section	.text._Z39paged_attention_ll4mi_QKV_mfma16_kernelIDF16_hLN4vllm18Fp8KVCacheDataTypeE1EhLi16ELi128ELi256ELb1ELi5EEvPKT_PKT0_S7_ifPKiS9_S9_iPKfiiiPfSC_PS2_PT2_iSB_SB_,"axG",@progbits,_Z39paged_attention_ll4mi_QKV_mfma16_kernelIDF16_hLN4vllm18Fp8KVCacheDataTypeE1EhLi16ELi128ELi256ELb1ELi5EEvPKT_PKT0_S7_ifPKiS9_S9_iPKfiiiPfSC_PS2_PT2_iSB_SB_,comdat
	.protected	_Z39paged_attention_ll4mi_QKV_mfma16_kernelIDF16_hLN4vllm18Fp8KVCacheDataTypeE1EhLi16ELi128ELi256ELb1ELi5EEvPKT_PKT0_S7_ifPKiS9_S9_iPKfiiiPfSC_PS2_PT2_iSB_SB_ ; -- Begin function _Z39paged_attention_ll4mi_QKV_mfma16_kernelIDF16_hLN4vllm18Fp8KVCacheDataTypeE1EhLi16ELi128ELi256ELb1ELi5EEvPKT_PKT0_S7_ifPKiS9_S9_iPKfiiiPfSC_PS2_PT2_iSB_SB_
	.globl	_Z39paged_attention_ll4mi_QKV_mfma16_kernelIDF16_hLN4vllm18Fp8KVCacheDataTypeE1EhLi16ELi128ELi256ELb1ELi5EEvPKT_PKT0_S7_ifPKiS9_S9_iPKfiiiPfSC_PS2_PT2_iSB_SB_
	.p2align	8
	.type	_Z39paged_attention_ll4mi_QKV_mfma16_kernelIDF16_hLN4vllm18Fp8KVCacheDataTypeE1EhLi16ELi128ELi256ELb1ELi5EEvPKT_PKT0_S7_ifPKiS9_S9_iPKfiiiPfSC_PS2_PT2_iSB_SB_,@function
_Z39paged_attention_ll4mi_QKV_mfma16_kernelIDF16_hLN4vllm18Fp8KVCacheDataTypeE1EhLi16ELi128ELi256ELb1ELi5EEvPKT_PKT0_S7_ifPKiS9_S9_iPKfiiiPfSC_PS2_PT2_iSB_SB_: ; @_Z39paged_attention_ll4mi_QKV_mfma16_kernelIDF16_hLN4vllm18Fp8KVCacheDataTypeE1EhLi16ELi128ELi256ELb1ELi5EEvPKT_PKT0_S7_ifPKiS9_S9_iPKfiiiPfSC_PS2_PT2_iSB_SB_
; %bb.0:
	s_load_dwordx2 s[10:11], s[0:1], 0x30
	s_mov_b32 s6, s3
	s_mov_b64 s[8:9], 0
	s_waitcnt lgkmcnt(0)
	s_cmp_lg_u64 s[10:11], 0
	s_cselect_b64 s[12:13], -1, 0
	s_and_b64 vcc, exec, s[12:13]
	s_cbranch_vccz .LBB932_7
; %bb.1:
	s_add_i32 s14, s2, 1
	s_mov_b32 s15, 0
	s_lshl_b64 s[16:17], s[14:15], 2
	s_add_u32 s16, s10, s16
	s_mov_b32 s3, s15
	s_addc_u32 s17, s11, s17
	s_lshl_b64 s[14:15], s[2:3], 2
	s_add_u32 s14, s10, s14
	s_addc_u32 s15, s11, s15
	s_load_dword s5, s[16:17], 0x0
	s_load_dword s7, s[14:15], 0x0
	s_waitcnt lgkmcnt(0)
	s_sub_i32 s5, s5, s7
	s_cmp_eq_u32 s5, 1
	s_cselect_b64 s[14:15], -1, 0
	s_andn2_b64 vcc, exec, s[8:9]
	s_cbranch_vccnz .LBB932_3
.LBB932_2:
	s_mov_b32 s3, 0
	s_mov_b64 s[14:15], -1
.LBB932_3:
	s_andn2_b64 vcc, exec, s[14:15]
	s_cbranch_vccnz .LBB932_20
; %bb.4:
	s_load_dwordx2 s[8:9], s[0:1], 0x28
	s_lshl_b64 s[14:15], s[2:3], 2
	s_waitcnt lgkmcnt(0)
	s_add_u32 s8, s8, s14
	s_addc_u32 s9, s9, s15
	s_load_dword s7, s[8:9], 0x0
	s_lshl_b32 s18, s6, 8
	s_waitcnt lgkmcnt(0)
	s_cmp_ge_i32 s18, s7
	s_cbranch_scc1 .LBB932_20
; %bb.5:
	s_load_dwordx2 s[8:9], s[0:1], 0x20
	s_load_dword s5, s[0:1], 0x38
	s_add_i32 s16, s7, 15
	s_ashr_i32 s17, s16, 31
	v_and_b32_e32 v1, 0xcf, v0
	s_lshr_b32 s17, s17, 28
	v_add_u32_e32 v1, s18, v1
	s_add_i32 s16, s16, s17
	v_ashrrev_i32_e32 v2, 31, v1
	s_ashr_i32 s19, s16, 4
	v_lshrrev_b32_e32 v4, 28, v2
	s_add_i32 s19, s19, -1
	s_waitcnt lgkmcnt(0)
	s_mul_i32 s16, s2, s5
	s_mov_b32 s17, 0
	v_add_u32_e32 v2, v1, v4
	s_lshl_b64 s[16:17], s[16:17], 2
	v_ashrrev_i32_e32 v2, 4, v2
	v_mov_b32_e32 v5, s19
	v_cmp_gt_i32_e32 vcc, s7, v1
	s_add_u32 s8, s8, s16
	s_addc_u32 s9, s9, s17
	v_cndmask_b32_e32 v2, v5, v2, vcc
	v_ashrrev_i32_e32 v3, 31, v2
	v_lshl_add_u64 v[6:7], v[2:3], 2, s[8:9]
	v_or_b32_e32 v2, 16, v1
	v_add_u32_e32 v3, v2, v4
	v_ashrrev_i32_e32 v3, 4, v3
	v_cmp_gt_i32_e32 vcc, s7, v2
	s_load_dwordx2 s[16:17], s[0:1], 0x8
	s_nop 0
	v_cndmask_b32_e32 v2, v5, v3, vcc
	v_ashrrev_i32_e32 v3, 31, v2
	v_lshl_add_u64 v[8:9], v[2:3], 2, s[8:9]
	v_or_b32_e32 v2, 32, v1
	v_add_u32_e32 v3, v2, v4
	v_ashrrev_i32_e32 v3, 4, v3
	v_cmp_gt_i32_e32 vcc, s7, v2
	v_or_b32_e32 v1, 48, v1
	s_nop 0
	v_cndmask_b32_e32 v2, v5, v3, vcc
	v_ashrrev_i32_e32 v3, 31, v2
	v_lshl_add_u64 v[12:13], v[2:3], 2, s[8:9]
	v_add_u32_e32 v2, v1, v4
	v_ashrrev_i32_e32 v2, 4, v2
	v_cmp_gt_i32_e32 vcc, s7, v1
	s_nop 1
	v_cndmask_b32_e32 v2, v5, v2, vcc
	v_ashrrev_i32_e32 v3, 31, v2
	v_lshl_add_u64 v[14:15], v[2:3], 2, s[8:9]
	global_load_dword v4, v[6:7], off
	global_load_dword v3, v[8:9], off
	;; [unrolled: 1-line block ×4, first 2 shown]
	s_andn2_b64 vcc, exec, s[12:13]
	s_cbranch_vccnz .LBB932_8
; %bb.6:
	s_add_u32 s10, s10, s14
	s_addc_u32 s11, s11, s15
	s_load_dword s5, s[10:11], 0x0
	s_branch .LBB932_9
.LBB932_7:
	s_mov_b64 s[14:15], 0
	s_branch .LBB932_2
.LBB932_8:
	s_mov_b32 s5, s2
.LBB932_9:
	s_load_dwordx2 s[10:11], s[0:1], 0x10
	s_load_dwordx4 s[44:47], s[0:1], 0x48
	v_lshrrev_b32_e32 v57, 6, v0
	v_bfe_u32 v60, v0, 4, 2
	v_and_b32_e32 v56, 15, v0
	v_lshl_or_b32 v5, v57, 2, v60
	v_lshlrev_b32_e32 v1, 3, v56
	s_mul_i32 s48, s4, 5
	v_cmp_gt_u32_e32 vcc, 5, v5
	v_lshlrev_b32_e32 v54, 1, v1
	v_lshlrev_b32_e32 v1, 4, v0
	s_and_saveexec_b64 s[12:13], vcc
	s_cbranch_execz .LBB932_11
; %bb.10:
	s_load_dwordx2 s[14:15], s[0:1], 0x0
	s_waitcnt lgkmcnt(0)
	s_ashr_i32 s20, s44, 31
	s_mul_hi_u32 s21, s5, s44
	s_mul_i32 s20, s5, s20
	s_add_i32 s21, s21, s20
	s_mul_i32 s20, s5, s44
	s_lshl_b64 s[20:21], s[20:21], 1
	s_add_u32 s14, s14, s20
	v_add_lshl_u32 v6, v5, s48, 7
	s_addc_u32 s15, s15, s21
	v_ashrrev_i32_e32 v7, 31, v6
	v_lshl_add_u64 v[6:7], v[6:7], 1, s[14:15]
	v_mov_b32_e32 v55, 0
	v_lshl_add_u64 v[6:7], v[6:7], 0, v[54:55]
	global_load_dwordx4 v[6:9], v[6:7], off
	v_lshlrev_b32_e32 v12, 8, v0
	v_lshlrev_b32_e32 v11, 8, v56
	v_and_b32_e32 v12, 0x600, v12
	s_movk_i32 s5, 0x800
	v_and_or_b32 v11, v11, s5, v12
	v_lshlrev_b32_e32 v5, 5, v5
	v_and_b32_e32 v12, 16, v1
	v_or3_b32 v5, v11, v5, v12
	s_waitcnt vmcnt(0)
	ds_write_b128 v5, v[6:9]
.LBB932_11:
	s_or_b64 exec, exec, s[12:13]
	s_waitcnt lgkmcnt(0)
	s_mul_i32 s12, s4, s46
	s_add_u32 s4, s16, s12
	s_addc_u32 s5, s17, 0
	v_and_b32_e32 v58, 0xf0, v1
	v_mov_b32_e32 v59, 0
	v_and_b32_e32 v34, 48, v0
	v_lshl_add_u64 v[12:13], s[4:5], 0, v[58:59]
	v_lshlrev_b32_e32 v58, 4, v34
	s_waitcnt vmcnt(3)
	v_mad_i64_i32 v[4:5], s[4:5], v4, s45, v[12:13]
	v_lshl_add_u64 v[4:5], v[4:5], 0, v[58:59]
	s_barrier
	global_load_dwordx4 v[50:53], v[4:5], off
	global_load_dwordx4 v[46:49], v[4:5], off offset:1024
	s_waitcnt vmcnt(4)
	v_mad_i64_i32 v[4:5], s[4:5], v3, s45, v[12:13]
	s_waitcnt vmcnt(3)
	v_mad_i64_i32 v[2:3], s[4:5], v2, s45, v[12:13]
	v_lshl_add_u64 v[4:5], v[4:5], 0, v[58:59]
	v_lshl_add_u64 v[14:15], v[2:3], 0, v[58:59]
	s_waitcnt vmcnt(2)
	v_mad_i64_i32 v[10:11], s[4:5], v10, s45, v[12:13]
	global_load_dwordx4 v[36:39], v[4:5], off
	global_load_dwordx4 v[6:9], v[4:5], off offset:1024
	s_nop 0
	global_load_dwordx4 v[2:5], v[14:15], off
	global_load_dwordx4 v[42:45], v[14:15], off offset:1024
	v_lshl_add_u64 v[14:15], v[10:11], 0, v[58:59]
	global_load_dwordx4 v[22:25], v[14:15], off
	global_load_dwordx4 v[10:13], v[14:15], off offset:1024
	v_mul_lo_u16_e32 v14, 52, v56
	v_mov_b32_e32 v15, 5
	v_mul_lo_u16_sdwa v14, v14, v15 dst_sel:DWORD dst_unused:UNUSED_PAD src0_sel:BYTE_1 src1_sel:DWORD
	v_sub_u16_e32 v14, v56, v14
	v_lshlrev_b32_sdwa v14, v15, v14 dst_sel:DWORD dst_unused:UNUSED_PAD src0_sel:DWORD src1_sel:BYTE_0
	v_lshl_add_u32 v14, v60, 9, v14
	ds_read_b128 v[30:33], v14
	ds_read_b128 v[26:29], v14 offset:16
	ds_read_b128 v[18:21], v14 offset:2048
	;; [unrolled: 1-line block ×3, first 2 shown]
	v_and_b32_e32 v55, 63, v0
	v_cmp_gt_u32_e32 vcc, 5, v56
	v_mov_b32_e32 v61, 0
	s_and_saveexec_b64 s[4:5], vcc
	s_cbranch_execz .LBB932_13
; %bb.12:
	s_load_dwordx2 s[14:15], s[0:1], 0x40
	v_add_u32_e32 v40, s48, v56
	v_ashrrev_i32_e32 v41, 31, v40
	s_waitcnt lgkmcnt(0)
	v_lshl_add_u64 v[40:41], v[40:41], 2, s[14:15]
	global_load_dword v61, v[40:41], off
.LBB932_13:
	s_or_b64 exec, exec, s[4:5]
	v_or_b32_e32 v58, s18, v34
	v_ashrrev_i32_e32 v34, 4, v58
	v_mov_b32_e32 v63, s19
	v_cmp_gt_i32_e32 vcc, s7, v58
	s_waitcnt vmcnt(7)
	v_cvt_pk_f32_fp8_e32 v[40:41], v50
	v_cvt_pk_f32_fp8_sdwa v[64:65], v50 src0_sel:WORD_1
	v_cndmask_b32_e32 v34, v63, v34, vcc
	v_ashrrev_i32_e32 v35, 31, v34
	v_lshl_add_u64 v[34:35], v[34:35], 2, s[8:9]
	global_load_dword v62, v[34:35], off
	v_or_b32_e32 v34, 64, v58
	v_ashrrev_i32_e32 v35, 4, v34
	v_cmp_gt_i32_e32 vcc, s7, v34
	v_or_b32_e32 v66, 0x80, v58
	v_ashrrev_i32_e32 v67, 4, v66
	v_cndmask_b32_e32 v34, v63, v35, vcc
	v_cmp_gt_i32_e32 vcc, s7, v66
	v_cvt_pkrtz_f16_f32 v40, v40, v41
	v_cvt_pkrtz_f16_f32 v41, v64, v65
	v_cndmask_b32_e32 v50, v63, v67, vcc
	v_cvt_pk_f32_fp8_e32 v[64:65], v51
	v_cvt_pk_f32_fp8_sdwa v[66:67], v51 src0_sel:WORD_1
	v_ashrrev_i32_e32 v51, 31, v50
	v_lshl_add_u64 v[68:69], v[50:51], 2, s[8:9]
	v_cvt_pkrtz_f16_f32 v50, v64, v65
	v_cvt_pkrtz_f16_f32 v51, v66, v67
	s_waitcnt lgkmcnt(3)
	v_mfma_f32_16x16x16_f16 v[64:67], v[40:41], v[30:31], 0
	v_cvt_pk_f32_fp8_e32 v[40:41], v52
	v_cvt_pk_f32_fp8_sdwa v[70:71], v52 src0_sel:WORD_1
	s_waitcnt vmcnt(7)
	v_cvt_pk_f32_fp8_e32 v[72:73], v46
	v_mfma_f32_16x16x16_f16 v[64:67], v[50:51], v[32:33], v[64:67]
	v_cvt_pk_f32_fp8_e32 v[50:51], v53
	v_cvt_pkrtz_f16_f32 v40, v40, v41
	v_cvt_pkrtz_f16_f32 v41, v70, v71
	v_cvt_pk_f32_fp8_sdwa v[52:53], v53 src0_sel:WORD_1
	v_cvt_pkrtz_f16_f32 v70, v50, v51
	v_cvt_pk_f32_fp8_sdwa v[74:75], v46 src0_sel:WORD_1
	v_ashrrev_i32_e32 v35, 31, v34
	v_cvt_pkrtz_f16_f32 v71, v52, v53
	s_waitcnt lgkmcnt(2)
	v_mfma_f32_16x16x16_f16 v[50:53], v[40:41], v[26:27], v[64:67]
	v_cvt_pkrtz_f16_f32 v40, v72, v73
	v_cvt_pkrtz_f16_f32 v41, v74, v75
	v_or_b32_e32 v58, 0xc0, v58
	v_cvt_pk_f32_fp8_e32 v[64:65], v47
	v_cvt_pk_f32_fp8_sdwa v[46:47], v47 src0_sel:WORD_1
	v_mfma_f32_16x16x16_f16 v[50:53], v[70:71], v[28:29], v[50:53]
	v_lshl_add_u64 v[34:35], v[34:35], 2, s[8:9]
	v_cvt_pkrtz_f16_f32 v64, v64, v65
	v_cvt_pkrtz_f16_f32 v65, v46, v47
	s_waitcnt lgkmcnt(1)
	v_mfma_f32_16x16x16_f16 v[50:53], v[40:41], v[18:19], v[50:53]
	v_ashrrev_i32_e32 v66, 4, v58
	v_cmp_gt_i32_e32 vcc, s7, v58
	v_cvt_pk_f32_fp8_e32 v[46:47], v48
	s_waitcnt vmcnt(6)
	v_cvt_pk_f32_fp8_sdwa v[70:71], v36 src0_sel:WORD_1
	v_cndmask_b32_e32 v40, v63, v66, vcc
	v_mfma_f32_16x16x16_f16 v[64:67], v[64:65], v[20:21], v[50:53]
	v_ashrrev_i32_e32 v41, 31, v40
	v_lshl_add_u64 v[40:41], v[40:41], 2, s[8:9]
	v_cvt_pkrtz_f16_f32 v46, v46, v47
	global_load_dword v53, v[34:35], off
	global_load_dword v63, v[40:41], off
	v_cvt_pk_f32_fp8_sdwa v[50:51], v48 src0_sel:WORD_1
	v_cvt_pk_f32_fp8_e32 v[34:35], v49
	v_cvt_pk_f32_fp8_sdwa v[48:49], v49 src0_sel:WORD_1
	s_add_u32 s46, s10, s12
	v_cvt_pkrtz_f16_f32 v47, v50, v51
	v_cvt_pkrtz_f16_f32 v34, v34, v35
	;; [unrolled: 1-line block ×3, first 2 shown]
	s_waitcnt lgkmcnt(0)
	v_mfma_f32_16x16x16_f16 v[46:49], v[46:47], v[14:15], v[64:67]
	v_cvt_pk_f32_fp8_e32 v[50:51], v36
	s_nop 1
	global_load_dword v64, v[68:69], off
	v_cvt_pk_f32_fp8_e32 v[66:67], v37
	s_waitcnt vmcnt(8)
	v_cvt_pk_f32_fp8_e32 v[68:69], v6
	v_cvt_pkrtz_f16_f32 v50, v50, v51
	v_cvt_pkrtz_f16_f32 v51, v70, v71
	v_cvt_pk_f32_fp8_sdwa v[70:71], v37 src0_sel:WORD_1
	v_cvt_pkrtz_f16_f32 v40, v66, v67
	v_mfma_f32_16x16x16_f16 v[34:37], v[34:35], v[16:17], v[46:49]
	v_cvt_pk_f32_fp8_sdwa v[66:67], v38 src0_sel:WORD_1
	v_cvt_pkrtz_f16_f32 v41, v70, v71
	v_cvt_pk_f32_fp8_sdwa v[70:71], v6 src0_sel:WORD_1
	v_mfma_f32_16x16x16_f16 v[46:49], v[50:51], v[30:31], 0
	v_cvt_pk_f32_fp8_e32 v[50:51], v38
	v_lshl_or_b32 v52, v57, 4, v56
	s_waitcnt vmcnt(6)
	v_cvt_pk_f32_fp8_e32 v[72:73], v43
	v_mfma_f32_16x16x16_f16 v[46:49], v[40:41], v[32:33], v[46:49]
	v_cvt_pk_f32_fp8_e32 v[40:41], v39
	v_cvt_pkrtz_f16_f32 v50, v50, v51
	v_cvt_pkrtz_f16_f32 v51, v66, v67
	v_cvt_pk_f32_fp8_sdwa v[38:39], v39 src0_sel:WORD_1
	v_cvt_pkrtz_f16_f32 v66, v40, v41
	s_addc_u32 s47, s11, 0
	v_lshlrev_b32_e32 v58, 4, v52
	v_cvt_pkrtz_f16_f32 v67, v38, v39
	v_mfma_f32_16x16x16_f16 v[38:41], v[50:51], v[26:27], v[46:49]
	v_cvt_pk_f32_fp8_sdwa v[50:51], v2 src0_sel:WORD_1
	s_nop 1
	v_cvt_pkrtz_f16_f32 v46, v68, v69
	v_cvt_pkrtz_f16_f32 v47, v70, v71
	v_cvt_pk_f32_fp8_e32 v[48:49], v7
	v_cvt_pk_f32_fp8_sdwa v[6:7], v7 src0_sel:WORD_1
	v_mfma_f32_16x16x16_f16 v[38:41], v[66:67], v[28:29], v[38:41]
	v_lshl_add_u64 v[70:71], s[46:47], 0, v[58:59]
	v_cvt_pkrtz_f16_f32 v48, v48, v49
	v_cvt_pkrtz_f16_f32 v49, v6, v7
	v_mfma_f32_16x16x16_f16 v[38:41], v[46:47], v[18:19], v[38:41]
	v_cvt_pk_f32_fp8_e32 v[6:7], v8
	v_cvt_pk_f32_fp8_sdwa v[46:47], v8 src0_sel:WORD_1
	v_or_b32_e32 v58, 0x400, v58
	v_mfma_f32_16x16x16_f16 v[38:41], v[48:49], v[20:21], v[38:41]
	v_cvt_pk_f32_fp8_e32 v[48:49], v9
	v_cvt_pkrtz_f16_f32 v6, v6, v7
	v_cvt_pkrtz_f16_f32 v7, v46, v47
	v_cvt_pk_f32_fp8_sdwa v[8:9], v9 src0_sel:WORD_1
	v_cvt_pkrtz_f16_f32 v46, v48, v49
	v_cvt_pk_f32_fp8_e32 v[48:49], v2
	v_cvt_pkrtz_f16_f32 v47, v8, v9
	v_mfma_f32_16x16x16_f16 v[6:9], v[6:7], v[14:15], v[38:41]
	v_cvt_pkrtz_f16_f32 v48, v48, v49
	v_cvt_pkrtz_f16_f32 v49, v50, v51
	v_cvt_pk_f32_fp8_e32 v[50:51], v3
	v_cvt_pk_f32_fp8_sdwa v[2:3], v3 src0_sel:WORD_1
	v_mfma_f32_16x16x16_f16 v[38:41], v[46:47], v[16:17], v[6:9]
	v_cvt_pkrtz_f16_f32 v46, v50, v51
	v_cvt_pkrtz_f16_f32 v47, v2, v3
	v_mfma_f32_16x16x16_f16 v[6:9], v[48:49], v[30:31], 0
	v_cvt_pk_f32_fp8_e32 v[2:3], v4
	v_cvt_pk_f32_fp8_sdwa v[48:49], v4 src0_sel:WORD_1
	s_waitcnt vmcnt(3)
	v_mad_i64_i32 v[50:51], s[4:5], v62, s45, v[70:71]
	v_cvt_pkrtz_f16_f32 v2, v2, v3
	v_cvt_pkrtz_f16_f32 v3, v48, v49
	v_mfma_f32_16x16x16_f16 v[6:9], v[46:47], v[32:33], v[6:9]
	v_cvt_pk_f32_fp8_e32 v[46:47], v5
	v_cvt_pk_f32_fp8_sdwa v[4:5], v5 src0_sel:WORD_1
	s_waitcnt vmcnt(2)
	v_mad_i64_i32 v[66:67], s[4:5], v53, s45, v[70:71]
	v_cvt_pkrtz_f16_f32 v46, v46, v47
	v_cvt_pkrtz_f16_f32 v47, v4, v5
	v_mfma_f32_16x16x16_f16 v[2:5], v[2:3], v[26:27], v[6:9]
	s_nop 2
	v_cvt_pk_f32_fp8_e32 v[6:7], v42
	v_cvt_pk_f32_fp8_sdwa v[8:9], v42 src0_sel:WORD_1
	v_cvt_pk_f32_fp8_sdwa v[42:43], v43 src0_sel:WORD_1
	v_mfma_f32_16x16x16_f16 v[46:49], v[46:47], v[28:29], v[2:5]
	v_cvt_pkrtz_f16_f32 v68, v6, v7
	v_cvt_pkrtz_f16_f32 v69, v8, v9
	global_load_dwordx4 v[6:9], v[50:51], off
	global_load_dwordx4 v[2:5], v[66:67], off
	v_cvt_pkrtz_f16_f32 v66, v72, v73
	v_cvt_pkrtz_f16_f32 v67, v42, v43
	v_mfma_f32_16x16x16_f16 v[48:51], v[68:69], v[18:19], v[46:49]
	v_cvt_pk_f32_fp8_e32 v[42:43], v44
	v_cvt_pk_f32_fp8_sdwa v[72:73], v44 src0_sel:WORD_1
	s_waitcnt vmcnt(2)
	v_mad_i64_i32 v[46:47], s[4:5], v64, s45, v[70:71]
	v_mfma_f32_16x16x16_f16 v[66:69], v[66:67], v[20:21], v[48:51]
	v_cvt_pkrtz_f16_f32 v42, v42, v43
	v_cvt_pkrtz_f16_f32 v43, v72, v73
	v_cvt_pk_f32_fp8_sdwa v[72:73], v22 src0_sel:WORD_1
	v_cvt_pk_f32_fp8_e32 v[50:51], v45
	v_cvt_pk_f32_fp8_sdwa v[44:45], v45 src0_sel:WORD_1
	v_mad_i64_i32 v[48:49], s[4:5], v63, s45, v[70:71]
	v_cvt_pkrtz_f16_f32 v50, v50, v51
	v_cvt_pkrtz_f16_f32 v51, v44, v45
	v_mfma_f32_16x16x16_f16 v[42:45], v[42:43], v[14:15], v[66:69]
	v_cvt_pk_f32_fp8_e32 v[70:71], v22
	s_load_dword s4, s[0:1], 0x1c
	s_load_dwordx4 s[40:43], s[0:1], 0x80
	s_load_dword s33, s[0:1], 0x98
	s_waitcnt lgkmcnt(0)
	s_load_dword s5, s[40:41], 0x0
	v_mfma_f32_16x16x16_f16 v[66:69], v[50:51], v[16:17], v[42:45]
	s_mov_b32 s40, 0xff7fffff
	s_nop 1
	v_cvt_pk_f32_fp8_e32 v[42:43], v23
	v_cvt_pkrtz_f16_f32 v44, v70, v71
	v_cvt_pkrtz_f16_f32 v45, v72, v73
	v_cvt_pk_f32_fp8_sdwa v[22:23], v23 src0_sel:WORD_1
	v_cvt_pkrtz_f16_f32 v50, v42, v43
	v_cvt_pk_f32_fp8_e32 v[70:71], v24
	v_cvt_pk_f32_fp8_sdwa v[72:73], v24 src0_sel:WORD_1
	v_cvt_pkrtz_f16_f32 v51, v22, v23
	v_mfma_f32_16x16x16_f16 v[42:45], v[44:45], v[30:31], 0
	v_cvt_pkrtz_f16_f32 v30, v70, v71
	v_cvt_pkrtz_f16_f32 v31, v72, v73
	v_cvt_pk_f32_fp8_e32 v[70:71], v25
	v_cvt_pk_f32_fp8_sdwa v[72:73], v25 src0_sel:WORD_1
	v_mfma_f32_16x16x16_f16 v[22:25], v[50:51], v[32:33], v[42:45]
	v_mov_b32_e32 v32, s4
	s_waitcnt lgkmcnt(0)
	v_mul_f32_e32 v50, s5, v32
	v_pk_mul_f32 v[32:33], v[50:51], v[34:35] op_sel_hi:[0,1]
	v_cvt_pkrtz_f16_f32 v42, v70, v71
	v_cvt_pkrtz_f16_f32 v43, v72, v73
	v_mfma_f32_16x16x16_f16 v[22:25], v[30:31], v[26:27], v[22:25]
	v_pk_mul_f32 v[30:31], v[50:51], v[36:37] op_sel_hi:[0,1]
	v_cvt_pk_f32_fp8_e32 v[26:27], v11
	v_cvt_pk_f32_fp8_sdwa v[70:71], v12 src0_sel:WORD_1
	v_mfma_f32_16x16x16_f16 v[34:37], v[42:43], v[28:29], v[22:25]
	v_pk_mul_f32 v[40:41], v[50:51], v[40:41] op_sel_hi:[0,1]
	v_cvt_pkrtz_f16_f32 v44, v26, v27
	s_nop 0
	v_cvt_pk_f32_fp8_e32 v[22:23], v10
	v_cvt_pk_f32_fp8_sdwa v[24:25], v10 src0_sel:WORD_1
	v_cvt_pk_f32_fp8_sdwa v[10:11], v11 src0_sel:WORD_1
	v_cvt_pkrtz_f16_f32 v42, v22, v23
	v_cvt_pkrtz_f16_f32 v43, v24, v25
	;; [unrolled: 1-line block ×3, first 2 shown]
	v_cvt_pk_f32_fp8_e32 v[10:11], v12
	v_mfma_f32_16x16x16_f16 v[34:37], v[42:43], v[18:19], v[34:37]
	global_load_dwordx4 v[26:29], v[46:47], off
	global_load_dwordx4 v[22:25], v[48:49], off
	v_cvt_pkrtz_f16_f32 v18, v10, v11
	v_cvt_pkrtz_f16_f32 v19, v70, v71
	v_cvt_pk_f32_fp8_e32 v[42:43], v13
	v_cvt_pk_f32_fp8_sdwa v[46:47], v13 src0_sel:WORD_1
	v_mfma_f32_16x16x16_f16 v[10:13], v[44:45], v[20:21], v[34:37]
	v_pk_mul_f32 v[44:45], v[50:51], v[38:39] op_sel_hi:[0,1]
	v_cvt_pkrtz_f16_f32 v20, v42, v43
	v_cvt_pkrtz_f16_f32 v21, v46, v47
	v_mfma_f32_16x16x16_f16 v[10:13], v[18:19], v[14:15], v[10:13]
	v_pk_mul_f32 v[38:39], v[50:51], v[68:69] op_sel_hi:[0,1]
	v_pk_mul_f32 v[42:43], v[50:51], v[66:67] op_sel_hi:[0,1]
	v_mfma_f32_16x16x16_f16 v[10:13], v[20:21], v[16:17], v[10:13]
	s_nop 6
	v_pk_mul_f32 v[36:37], v[50:51], v[10:11] op_sel_hi:[0,1]
	v_and_b32_e32 v10, 0xc0, v0
	v_add_u32_e32 v10, s18, v10
	v_lshl_or_b32 v10, v60, 2, v10
	v_or_b32_e32 v11, 1, v10
	v_pk_mul_f32 v[34:35], v[50:51], v[12:13] op_sel_hi:[0,1]
	v_subrev_u32_e32 v12, s7, v11
	v_add_u32_e32 v14, 1, v12
	v_add_u32_e32 v15, 2, v12
	v_cvt_f32_i32_e32 v13, v12
	v_cvt_f32_i32_e32 v14, v14
	;; [unrolled: 1-line block ×3, first 2 shown]
	v_add_u32_e32 v16, 3, v12
	v_fma_f32 v18, v61, v13, v32
	v_fmac_f32_e32 v33, v61, v14
	v_fma_f32 v48, v61, v15, v30
	v_add_u32_e32 v13, 16, v12
	v_add_u32_e32 v14, 17, v12
	;; [unrolled: 1-line block ×3, first 2 shown]
	v_cvt_f32_i32_e32 v16, v16
	v_cvt_f32_i32_e32 v13, v13
	v_cvt_f32_i32_e32 v14, v14
	v_cvt_f32_i32_e32 v15, v15
	v_fmac_f32_e32 v31, v61, v16
	v_add_u32_e32 v16, 19, v12
	v_fma_f32 v44, v61, v13, v44
	v_fmac_f32_e32 v45, v61, v14
	v_fma_f32 v40, v61, v15, v40
	v_add_u32_e32 v13, 32, v12
	v_add_u32_e32 v14, 33, v12
	;; [unrolled: 1-line block ×3, first 2 shown]
	v_cvt_f32_i32_e32 v16, v16
	v_cvt_f32_i32_e32 v13, v13
	;; [unrolled: 1-line block ×4, first 2 shown]
	v_fmac_f32_e32 v41, v61, v16
	v_add_u32_e32 v16, 35, v12
	v_fma_f32 v42, v61, v13, v42
	v_fmac_f32_e32 v43, v61, v14
	v_fma_f32 v38, v61, v15, v38
	v_add_u32_e32 v13, 48, v12
	v_add_u32_e32 v14, 49, v12
	;; [unrolled: 1-line block ×4, first 2 shown]
	v_cvt_f32_i32_e32 v12, v12
	v_cvt_f32_i32_e32 v13, v13
	;; [unrolled: 1-line block ×3, first 2 shown]
	v_cmp_gt_i32_e64 s[8:9], s7, v10
	v_fmac_f32_e32 v35, v61, v12
	v_mov_b32_e32 v12, 0xff7fffff
	v_cmp_gt_i32_e64 s[10:11], s7, v11
	v_fma_f32 v36, v61, v13, v36
	v_cndmask_b32_e64 v13, v12, v18, s[8:9]
	v_cndmask_b32_e64 v11, v12, v33, s[10:11]
	v_fmac_f32_e32 v37, v61, v14
	v_max3_f32 v11, v13, s40, v11
	v_or_b32_e32 v13, 2, v10
	v_or_b32_e32 v14, 3, v10
	v_cmp_gt_i32_e64 s[12:13], s7, v13
	v_cmp_gt_i32_e64 s[14:15], s7, v14
	v_cvt_f32_i32_e32 v16, v16
	v_cndmask_b32_e64 v13, v12, v48, s[12:13]
	v_cndmask_b32_e64 v14, v12, v31, s[14:15]
	v_max3_f32 v11, v11, v13, v14
	v_or_b32_e32 v13, 16, v10
	v_or_b32_e32 v14, 17, v10
	v_cmp_gt_i32_e64 s[16:17], s7, v13
	v_cmp_gt_i32_e64 s[18:19], s7, v14
	v_fmac_f32_e32 v39, v61, v16
	v_cndmask_b32_e64 v13, v12, v44, s[16:17]
	v_cndmask_b32_e64 v14, v12, v45, s[18:19]
	v_max3_f32 v11, v11, v13, v14
	v_or_b32_e32 v13, 18, v10
	v_or_b32_e32 v14, 19, v10
	v_cmp_gt_i32_e64 s[20:21], s7, v13
	v_cmp_gt_i32_e64 s[22:23], s7, v14
	v_cvt_f32_i32_e32 v15, v15
	v_cndmask_b32_e64 v13, v12, v40, s[20:21]
	v_cndmask_b32_e64 v14, v12, v41, s[22:23]
	v_max3_f32 v11, v11, v13, v14
	v_or_b32_e32 v13, 32, v10
	v_or_b32_e32 v14, 33, v10
	v_cmp_gt_i32_e64 s[24:25], s7, v13
	v_cmp_gt_i32_e64 s[26:27], s7, v14
	v_fma_f32 v34, v61, v15, v34
	v_cndmask_b32_e64 v13, v12, v42, s[24:25]
	v_cndmask_b32_e64 v14, v12, v43, s[26:27]
	v_max3_f32 v11, v11, v13, v14
	v_or_b32_e32 v13, 34, v10
	v_or_b32_e32 v14, 35, v10
	v_cmp_gt_i32_e64 s[28:29], s7, v13
	v_cmp_gt_i32_e64 s[30:31], s7, v14
	s_nop 0
	v_cndmask_b32_e64 v13, v12, v38, s[28:29]
	v_cndmask_b32_e64 v14, v12, v39, s[30:31]
	v_max3_f32 v11, v11, v13, v14
	v_or_b32_e32 v13, 48, v10
	v_or_b32_e32 v14, 49, v10
	v_cmp_gt_i32_e64 s[34:35], s7, v13
	v_cmp_gt_i32_e64 s[36:37], s7, v14
	s_nop 0
	v_cndmask_b32_e64 v13, v12, v36, s[34:35]
	v_cndmask_b32_e64 v14, v12, v37, s[36:37]
	v_max3_f32 v11, v11, v13, v14
	v_or_b32_e32 v13, 50, v10
	v_or_b32_e32 v10, 51, v10
	v_cmp_gt_i32_e32 vcc, s7, v13
	v_cmp_gt_i32_e64 s[4:5], s7, v10
	s_nop 0
	v_cndmask_b32_e32 v13, v12, v34, vcc
	v_cndmask_b32_e64 v10, v12, v35, s[4:5]
	v_max3_f32 v14, v11, v13, v10
	v_mbcnt_lo_u32_b32 v10, -1, 0
	v_mbcnt_hi_u32_b32 v15, -1, v10
	v_and_b32_e32 v10, 64, v15
	v_add_u32_e32 v16, 64, v10
	v_xor_b32_e32 v10, 32, v15
	v_cmp_lt_i32_e64 s[38:39], v10, v16
	s_nop 1
	v_cndmask_b32_e64 v10, v15, v10, s[38:39]
	v_lshlrev_b32_e32 v51, 2, v10
	ds_bpermute_b32 v17, v51, v14
	v_lshl_add_u64 v[10:11], s[46:47], 0, v[58:59]
	v_mad_i64_i32 v[12:13], s[38:39], v62, s45, v[10:11]
	s_waitcnt lgkmcnt(0)
	v_max_f32_e32 v17, v17, v17
	v_max_f32_e32 v19, v14, v17
	v_xor_b32_e32 v14, 16, v15
	v_cmp_lt_i32_e64 s[38:39], v14, v16
	s_nop 1
	v_cndmask_b32_e64 v14, v15, v14, s[38:39]
	v_lshlrev_b32_e32 v58, 2, v14
	ds_bpermute_b32 v20, v58, v19
	v_mad_i64_i32 v[14:15], s[38:39], v53, s45, v[10:11]
	v_mad_i64_i32 v[16:17], s[38:39], v64, s45, v[10:11]
	s_waitcnt lgkmcnt(0)
	v_max_f32_e32 v20, v20, v20
	v_max_f32_e32 v50, v19, v20
	v_sub_f32_e32 v18, v18, v50
	v_sub_f32_e32 v19, v33, v50
	v_mul_f32_e32 v18, 0x3fb8aa3b, v18
	v_mul_f32_e32 v19, 0x3fb8aa3b, v19
	v_exp_f32_e32 v18, v18
	v_exp_f32_e32 v19, v19
	v_sub_f32_e32 v49, v31, v50
	v_mad_i64_i32 v[10:11], s[38:39], v63, s45, v[10:11]
	v_cndmask_b32_e64 v46, 0, v18, s[8:9]
	v_cndmask_b32_e64 v47, 0, v19, s[10:11]
	global_load_dwordx4 v[30:33], v[12:13], off
	global_load_dwordx4 v[18:21], v[14:15], off
	v_sub_f32_e32 v12, v48, v50
	v_mul_f32_e32 v12, 0x3fb8aa3b, v12
	v_exp_f32_e32 v48, v12
	global_load_dwordx4 v[14:17], v[16:17], off
	s_nop 0
	global_load_dwordx4 v[10:13], v[10:11], off
	v_sub_f32_e32 v40, v40, v50
	v_sub_f32_e32 v42, v42, v50
	v_mul_f32_e32 v40, 0x3fb8aa3b, v40
	v_mul_f32_e32 v42, 0x3fb8aa3b, v42
	v_exp_f32_e32 v40, v40
	v_exp_f32_e32 v53, v42
	v_mul_f32_e32 v49, 0x3fb8aa3b, v49
	v_sub_f32_e32 v44, v44, v50
	v_exp_f32_e32 v49, v49
	v_mul_f32_e32 v44, 0x3fb8aa3b, v44
	v_sub_f32_e32 v45, v45, v50
	v_sub_f32_e32 v42, v43, v50
	v_exp_f32_e32 v44, v44
	v_mul_f32_e32 v45, 0x3fb8aa3b, v45
	v_mul_f32_e32 v42, 0x3fb8aa3b, v42
	v_exp_f32_e32 v45, v45
	v_sub_f32_e32 v41, v41, v50
	v_exp_f32_e32 v59, v42
	v_cndmask_b32_e64 v42, 0, v40, s[20:21]
	v_cndmask_b32_e64 v40, 0, v53, s[24:25]
	v_add_f32_e32 v53, 0, v46
	v_cndmask_b32_e64 v48, 0, v48, s[12:13]
	v_mul_f32_e32 v41, 0x3fb8aa3b, v41
	v_add_f32_e32 v53, v53, v47
	v_cndmask_b32_e64 v49, 0, v49, s[14:15]
	v_exp_f32_e32 v41, v41
	v_add_f32_e32 v53, v53, v48
	v_cndmask_b32_e64 v44, 0, v44, s[16:17]
	v_sub_f32_e32 v38, v38, v50
	v_add_f32_e32 v53, v53, v49
	v_cndmask_b32_e64 v45, 0, v45, s[18:19]
	v_sub_f32_e32 v39, v39, v50
	v_mul_f32_e32 v38, 0x3fb8aa3b, v38
	v_add_f32_e32 v53, v53, v44
	v_exp_f32_e32 v38, v38
	v_mul_f32_e32 v39, 0x3fb8aa3b, v39
	v_sub_f32_e32 v36, v36, v50
	v_add_f32_e32 v53, v53, v45
	v_cndmask_b32_e64 v43, 0, v41, s[22:23]
	v_exp_f32_e32 v39, v39
	v_mul_f32_e32 v36, 0x3fb8aa3b, v36
	v_sub_f32_e32 v37, v37, v50
	v_add_f32_e32 v53, v53, v42
	v_exp_f32_e32 v36, v36
	v_mul_f32_e32 v37, 0x3fb8aa3b, v37
	v_add_f32_e32 v53, v53, v43
	v_sub_f32_e32 v34, v34, v50
	v_cndmask_b32_e64 v41, 0, v59, s[26:27]
	v_exp_f32_e32 v37, v37
	v_add_f32_e32 v53, v53, v40
	v_mul_f32_e32 v34, 0x3fb8aa3b, v34
	v_sub_f32_e32 v35, v35, v50
	v_cndmask_b32_e64 v38, 0, v38, s[28:29]
	v_add_f32_e32 v53, v53, v41
	v_exp_f32_e32 v34, v34
	v_mul_f32_e32 v35, 0x3fb8aa3b, v35
	v_cndmask_b32_e64 v39, 0, v39, s[30:31]
	v_add_f32_e32 v53, v53, v38
	v_exp_f32_e32 v35, v35
	v_cndmask_b32_e64 v36, 0, v36, s[34:35]
	v_add_f32_e32 v53, v53, v39
	v_cndmask_b32_e64 v37, 0, v37, s[36:37]
	v_add_f32_e32 v53, v53, v36
	v_add_f32_e32 v53, v53, v37
	v_cndmask_b32_e32 v34, 0, v34, vcc
	v_add_f32_e32 v53, v53, v34
	v_cndmask_b32_e64 v35, 0, v35, s[4:5]
	v_add_f32_e32 v53, v53, v35
	ds_bpermute_b32 v51, v51, v53
	v_cmp_gt_u32_e64 s[4:5], 16, v55
	s_waitcnt lgkmcnt(0)
	s_barrier
	v_add_f32_e32 v51, v53, v51
	ds_bpermute_b32 v53, v58, v51
	s_and_saveexec_b64 s[8:9], s[4:5]
	s_cbranch_execz .LBB932_15
; %bb.14:
	s_waitcnt lgkmcnt(0)
	v_add_f32_e32 v51, v51, v53
	v_lshlrev_b32_e32 v52, 2, v52
	ds_write2st64_b32 v52, v50, v51 offset1:1
.LBB932_15:
	s_or_b64 exec, exec, s[8:9]
	v_lshlrev_b32_e32 v51, 2, v56
	s_load_dword s7, s[0:1], 0x94
	s_waitcnt lgkmcnt(0)
	s_barrier
	ds_read2_b32 v[52:53], v51 offset1:16
	ds_read2_b32 v[58:59], v51 offset0:32 offset1:48
	ds_read2_b32 v[62:63], v51 offset0:64 offset1:80
	s_mul_i32 s10, s33, 5
	s_waitcnt lgkmcnt(2)
	v_max3_f32 v50, v52, s40, v53
	s_waitcnt lgkmcnt(1)
	v_max3_f32 v50, v50, v58, v59
	v_sub_f32_e32 v52, v52, v50
	v_mul_f32_e32 v52, 0x3fb8aa3b, v52
	v_exp_f32_e32 v55, v52
	v_sub_f32_e32 v52, v53, v50
	v_mul_f32_e32 v52, 0x3fb8aa3b, v52
	v_exp_f32_e32 v61, v52
	;; [unrolled: 3-line block ×3, first 2 shown]
	ds_read2_b32 v[52:53], v51 offset0:96 offset1:112
	v_sub_f32_e32 v51, v59, v50
	v_mul_f32_e32 v51, 0x3fb8aa3b, v51
	v_exp_f32_e32 v59, v51
	s_waitcnt lgkmcnt(1)
	v_fma_f32 v51, v55, v62, 0
	v_fmac_f32_e32 v51, v61, v63
	s_waitcnt lgkmcnt(0)
	v_fmac_f32_e32 v51, v58, v52
	v_fmac_f32_e32 v51, v59, v53
	v_add_f32_e32 v52, 0x358637bd, v51
	v_div_scale_f32 v53, s[8:9], v52, v52, 1.0
	v_rcp_f32_e32 v62, v53
	s_barrier
	v_fma_f32 v63, -v53, v62, 1.0
	v_fmac_f32_e32 v62, v63, v62
	v_div_scale_f32 v63, vcc, 1.0, v52, 1.0
	v_mul_f32_e32 v64, v63, v62
	v_fma_f32 v65, -v53, v64, v63
	v_fmac_f32_e32 v64, v65, v62
	v_fma_f32 v53, -v53, v64, v63
	v_div_fmas_f32 v53, v53, v62, v64
	v_cmp_eq_u32_e32 vcc, 1, v57
	v_div_fixup_f32 v52, v53, v52, 1.0
	s_nop 0
	v_cndmask_b32_e32 v53, v55, v61, vcc
	v_cmp_eq_u32_e32 vcc, 2, v57
	s_nop 1
	v_cndmask_b32_e32 v53, v53, v58, vcc
	v_cmp_eq_u32_e32 vcc, 3, v57
	s_nop 1
	v_cndmask_b32_e32 v53, v53, v59, vcc
	v_mul_f32_e32 v52, v53, v52
	v_pk_mul_f32 v[48:49], v[52:53], v[48:49] op_sel_hi:[0,1]
	v_pk_mul_f32 v[46:47], v[52:53], v[46:47] op_sel_hi:[0,1]
	v_cvt_f16_f32_e32 v53, v48
	v_cvt_f16_f32_e32 v49, v49
	;; [unrolled: 1-line block ×4, first 2 shown]
	v_pk_mul_f32 v[42:43], v[52:53], v[42:43] op_sel_hi:[0,1]
	v_pk_mul_f32 v[44:45], v[52:53], v[44:45] op_sel_hi:[0,1]
	v_pack_b32_f16 v49, v53, v49
	v_cvt_f16_f32_e32 v44, v44
	v_cvt_f16_f32_e32 v45, v45
	;; [unrolled: 1-line block ×4, first 2 shown]
	v_pack_b32_f16 v48, v46, v47
	v_lshlrev_b32_e32 v47, 3, v60
	v_lshlrev_b32_e32 v46, 5, v56
	;; [unrolled: 1-line block ×3, first 2 shown]
	v_or3_b32 v55, v42, v46, v47
	v_pack_b32_f16 v42, v44, v45
	v_pack_b32_f16 v43, v53, v43
	v_pk_mul_f32 v[38:39], v[52:53], v[38:39] op_sel_hi:[0,1]
	v_pk_mul_f32 v[40:41], v[52:53], v[40:41] op_sel_hi:[0,1]
	;; [unrolled: 1-line block ×4, first 2 shown]
	ds_write2st64_b64 v55, v[48:49], v[42:43] offset1:1
	v_cvt_f16_f32_e32 v40, v40
	v_cvt_f16_f32_e32 v41, v41
	;; [unrolled: 1-line block ×8, first 2 shown]
	v_pack_b32_f16 v34, v40, v41
	v_pack_b32_f16 v35, v38, v39
	;; [unrolled: 1-line block ×4, first 2 shown]
	v_cmp_gt_u32_e32 vcc, 5, v0
	ds_write2st64_b64 v55, v[34:35], v[36:37] offset0:2 offset1:3
	s_and_saveexec_b64 s[8:9], vcc
	s_cbranch_execz .LBB932_17
; %bb.16:
	s_mov_b32 s49, 0
	v_mov_b32_e32 v57, 0
	v_lshl_add_u64 v[34:35], s[48:49], 0, v[56:57]
	v_mov_b32_e32 v36, s10
	v_mad_u64_u32 v[34:35], s[16:17], s2, v36, v[34:35]
	s_mul_i32 s3, s3, s10
	v_mov_b32_e32 v36, s6
	v_mov_b32_e32 v37, v57
	s_load_dwordx4 s[12:15], s[0:1], 0x58
	v_add_u32_e32 v38, s3, v35
	v_mad_u64_u32 v[34:35], s[16:17], v34, s7, v[36:37]
	v_mov_b32_e32 v36, v35
	v_mad_u64_u32 v[36:37], s[16:17], v38, s7, v[36:37]
	v_mov_b32_e32 v35, v36
	v_lshlrev_b64 v[34:35], 2, v[34:35]
	s_waitcnt lgkmcnt(0)
	v_lshl_add_u64 v[36:37], s[14:15], 0, v[34:35]
	v_lshl_add_u64 v[34:35], s[12:13], 0, v[34:35]
	global_store_dword v[36:37], v50, off
	global_store_dword v[34:35], v51, off
.LBB932_17:
	s_or_b64 exec, exec, s[8:9]
	s_waitcnt vmcnt(7)
	v_cvt_pk_f32_fp8_e32 v[34:35], v6
	v_cvt_pk_f32_fp8_sdwa v[36:37], v6 src0_sel:WORD_1
	v_lshl_or_b32 v50, v60, 9, v46
	s_waitcnt lgkmcnt(0)
	s_barrier
	v_cvt_pk_f32_fp8_e32 v[38:39], v7
	v_cvt_pkrtz_f16_f32 v6, v34, v35
	v_cvt_pk_f32_fp8_sdwa v[40:41], v7 src0_sel:WORD_1
	v_cvt_pkrtz_f16_f32 v7, v36, v37
	ds_read_b128 v[34:37], v50
	v_cvt_pkrtz_f16_f32 v46, v38, v39
	v_cvt_pkrtz_f16_f32 v47, v40, v41
	ds_read_b128 v[38:41], v50 offset:16
	v_cvt_pk_f32_fp8_e32 v[48:49], v8
	v_cvt_pk_f32_fp8_sdwa v[52:53], v8 src0_sel:WORD_1
	s_waitcnt lgkmcnt(1)
	v_mfma_f32_16x16x16_f16 v[42:45], v[6:7], v[34:35], 0
	s_waitcnt vmcnt(6)
	v_cvt_pk_f32_fp8_e32 v[58:59], v4
	v_cvt_pkrtz_f16_f32 v6, v48, v49
	v_cvt_pkrtz_f16_f32 v7, v52, v53
	v_cvt_pk_f32_fp8_e32 v[48:49], v9
	v_mfma_f32_16x16x16_f16 v[42:45], v[46:47], v[36:37], v[42:45]
	v_cvt_pk_f32_fp8_sdwa v[46:47], v9 src0_sel:WORD_1
	v_cvt_pk_f32_fp8_sdwa v[62:63], v4 src0_sel:WORD_1
	v_cvt_pkrtz_f16_f32 v48, v48, v49
	s_waitcnt lgkmcnt(0)
	v_mfma_f32_16x16x16_f16 v[6:9], v[6:7], v[38:39], v[42:45]
	v_cvt_pkrtz_f16_f32 v49, v46, v47
	s_waitcnt vmcnt(5)
	v_cvt_pk_f32_fp8_sdwa v[66:67], v28 src0_sel:WORD_1
	s_waitcnt vmcnt(4)
	v_cvt_pk_f32_fp8_sdwa v[68:69], v24 src0_sel:WORD_1
	v_cvt_pk_f32_fp8_e32 v[42:43], v2
	v_mfma_f32_16x16x16_f16 v[46:49], v[48:49], v[40:41], v[6:9]
	s_waitcnt vmcnt(3)
	v_cvt_pk_f32_fp8_sdwa v[70:71], v32 src0_sel:WORD_1
	s_load_dword s8, s[42:43], 0x0
	v_cvt_pk_f32_fp8_sdwa v[6:7], v2 src0_sel:WORD_1
	v_cvt_pk_f32_fp8_e32 v[8:9], v3
	v_cvt_pkrtz_f16_f32 v2, v42, v43
	v_cvt_pk_f32_fp8_sdwa v[42:43], v3 src0_sel:WORD_1
	v_cvt_pkrtz_f16_f32 v3, v6, v7
	v_cvt_pkrtz_f16_f32 v52, v8, v9
	ds_read_b128 v[6:9], v50 offset:2048
	v_cvt_pkrtz_f16_f32 v53, v42, v43
	ds_read_b128 v[42:45], v50 offset:2064
	s_waitcnt lgkmcnt(0)
	v_mfma_f32_16x16x16_f16 v[46:49], v[2:3], v[6:7], v[46:49]
	v_cvt_pkrtz_f16_f32 v2, v58, v59
	v_cvt_pkrtz_f16_f32 v3, v62, v63
	v_cvt_pk_f32_fp8_e32 v[58:59], v5
	v_mfma_f32_16x16x16_f16 v[46:49], v[52:53], v[8:9], v[46:49]
	v_cvt_pk_f32_fp8_sdwa v[52:53], v5 src0_sel:WORD_1
	s_mov_b32 s3, 0
	v_cvt_pkrtz_f16_f32 v58, v58, v59
	v_mfma_f32_16x16x16_f16 v[2:5], v[2:3], v[42:43], v[46:49]
	v_cvt_pkrtz_f16_f32 v59, v52, v53
	v_cmp_gt_u32_e32 vcc, 64, v0
	s_nop 0
	v_cvt_pk_f32_fp8_e32 v[46:47], v26
	v_mfma_f32_16x16x16_f16 v[62:65], v[58:59], v[44:45], v[2:5]
	v_cvt_pk_f32_fp8_e32 v[58:59], v28
	s_nop 1
	v_cvt_pk_f32_fp8_sdwa v[2:3], v26 src0_sel:WORD_1
	v_cvt_pk_f32_fp8_e32 v[4:5], v27
	v_cvt_pkrtz_f16_f32 v26, v46, v47
	v_cvt_pk_f32_fp8_sdwa v[46:47], v27 src0_sel:WORD_1
	v_cvt_pkrtz_f16_f32 v27, v2, v3
	v_cvt_pkrtz_f16_f32 v52, v4, v5
	ds_read_b128 v[2:5], v50 offset:4096
	v_cvt_pkrtz_f16_f32 v53, v46, v47
	ds_read_b128 v[46:49], v50 offset:4112
	s_waitcnt lgkmcnt(1)
	v_mfma_f32_16x16x16_f16 v[62:65], v[26:27], v[2:3], v[62:65]
	v_cvt_pkrtz_f16_f32 v26, v58, v59
	v_cvt_pkrtz_f16_f32 v27, v66, v67
	v_cvt_pk_f32_fp8_e32 v[58:59], v29
	v_mfma_f32_16x16x16_f16 v[62:65], v[52:53], v[4:5], v[62:65]
	v_cvt_pk_f32_fp8_sdwa v[52:53], v29 src0_sel:WORD_1
	v_cvt_pk_f32_fp8_e32 v[66:67], v24
	v_cvt_pkrtz_f16_f32 v58, v58, v59
	s_waitcnt lgkmcnt(0)
	v_mfma_f32_16x16x16_f16 v[26:29], v[26:27], v[46:47], v[62:65]
	v_cvt_pkrtz_f16_f32 v59, v52, v53
	v_cvt_pk_f32_fp8_e32 v[52:53], v22
	s_nop 0
	v_mfma_f32_16x16x16_f16 v[62:65], v[58:59], v[48:49], v[26:29]
	s_nop 2
	v_cvt_pk_f32_fp8_sdwa v[26:27], v22 src0_sel:WORD_1
	v_cvt_pk_f32_fp8_e32 v[28:29], v23
	v_cvt_pkrtz_f16_f32 v22, v52, v53
	v_cvt_pk_f32_fp8_sdwa v[52:53], v23 src0_sel:WORD_1
	v_cvt_pkrtz_f16_f32 v23, v26, v27
	v_cvt_pkrtz_f16_f32 v58, v28, v29
	ds_read_b128 v[26:29], v50 offset:6144
	v_cvt_pkrtz_f16_f32 v59, v52, v53
	s_waitcnt lgkmcnt(0)
	v_mfma_f32_16x16x16_f16 v[62:65], v[22:23], v[26:27], v[62:65]
	ds_read_b128 v[50:53], v50 offset:6160
	v_cvt_pkrtz_f16_f32 v22, v66, v67
	v_cvt_pkrtz_f16_f32 v23, v68, v69
	v_cvt_pk_f32_fp8_e32 v[66:67], v25
	v_mfma_f32_16x16x16_f16 v[62:65], v[58:59], v[28:29], v[62:65]
	v_cvt_pk_f32_fp8_sdwa v[58:59], v25 src0_sel:WORD_1
	v_cvt_pk_f32_fp8_e32 v[68:69], v32
	v_cvt_pkrtz_f16_f32 v66, v66, v67
	s_waitcnt lgkmcnt(0)
	v_mfma_f32_16x16x16_f16 v[22:25], v[22:23], v[50:51], v[62:65]
	v_cvt_pkrtz_f16_f32 v67, v58, v59
	v_cvt_pk_f32_fp8_e32 v[58:59], v30
	s_nop 0
	v_cvt_pk_f32_fp8_sdwa v[62:63], v30 src0_sel:WORD_1
	v_cvt_pk_f32_fp8_e32 v[64:65], v31
	v_cvt_pkrtz_f16_f32 v58, v58, v59
	v_cvt_pk_f32_fp8_sdwa v[30:31], v31 src0_sel:WORD_1
	v_cvt_pkrtz_f16_f32 v59, v62, v63
	v_mfma_f32_16x16x16_f16 v[22:25], v[66:67], v[52:53], v[22:25]
	v_cvt_pkrtz_f16_f32 v66, v64, v65
	v_cvt_pkrtz_f16_f32 v67, v30, v31
	;; [unrolled: 1-line block ×3, first 2 shown]
	v_mfma_f32_16x16x16_f16 v[62:65], v[58:59], v[34:35], 0
	v_cvt_pkrtz_f16_f32 v31, v70, v71
	v_cvt_pk_f32_fp8_e32 v[58:59], v33
	s_barrier
	v_mfma_f32_16x16x16_f16 v[34:37], v[66:67], v[36:37], v[62:65]
	v_cvt_pkrtz_f16_f32 v58, v58, v59
	s_nop 1
	v_cvt_pk_f32_fp8_sdwa v[62:63], v33 src0_sel:WORD_1
	v_mfma_f32_16x16x16_f16 v[30:33], v[30:31], v[38:39], v[34:37]
	s_waitcnt vmcnt(2)
	v_cvt_pk_f32_fp8_e32 v[38:39], v19
	v_cvt_pkrtz_f16_f32 v59, v62, v63
	v_cvt_pk_f32_fp8_e32 v[34:35], v18
	v_cvt_pk_f32_fp8_sdwa v[36:37], v18 src0_sel:WORD_1
	v_cvt_pk_f32_fp8_sdwa v[18:19], v19 src0_sel:WORD_1
	v_mfma_f32_16x16x16_f16 v[30:33], v[58:59], v[40:41], v[30:33]
	v_cvt_pkrtz_f16_f32 v34, v34, v35
	v_cvt_pkrtz_f16_f32 v35, v36, v37
	v_cvt_pkrtz_f16_f32 v36, v38, v39
	v_cvt_pk_f32_fp8_e32 v[38:39], v20
	v_cvt_pk_f32_fp8_sdwa v[40:41], v20 src0_sel:WORD_1
	v_cvt_pkrtz_f16_f32 v37, v18, v19
	v_mfma_f32_16x16x16_f16 v[30:33], v[34:35], v[6:7], v[30:33]
	v_cvt_pkrtz_f16_f32 v18, v38, v39
	v_cvt_pkrtz_f16_f32 v19, v40, v41
	v_cvt_pk_f32_fp8_e32 v[34:35], v21
	v_cvt_pk_f32_fp8_sdwa v[20:21], v21 src0_sel:WORD_1
	v_mfma_f32_16x16x16_f16 v[6:9], v[36:37], v[8:9], v[30:33]
	s_nop 2
	v_cvt_pkrtz_f16_f32 v30, v34, v35
	v_cvt_pkrtz_f16_f32 v31, v20, v21
	v_mfma_f32_16x16x16_f16 v[6:9], v[18:19], v[42:43], v[6:9]
	s_waitcnt vmcnt(1)
	v_cvt_pk_f32_fp8_e32 v[18:19], v14
	v_cvt_pk_f32_fp8_sdwa v[20:21], v14 src0_sel:WORD_1
	v_cvt_pk_f32_fp8_sdwa v[32:33], v16 src0_sel:WORD_1
	v_mfma_f32_16x16x16_f16 v[6:9], v[30:31], v[44:45], v[6:9]
	v_cvt_pk_f32_fp8_e32 v[30:31], v15
	v_cvt_pkrtz_f16_f32 v18, v18, v19
	v_cvt_pkrtz_f16_f32 v19, v20, v21
	v_cvt_pk_f32_fp8_sdwa v[14:15], v15 src0_sel:WORD_1
	v_cvt_pkrtz_f16_f32 v20, v30, v31
	v_cvt_pk_f32_fp8_e32 v[30:31], v16
	v_mfma_f32_16x16x16_f16 v[6:9], v[18:19], v[2:3], v[6:9]
	v_cvt_pkrtz_f16_f32 v21, v14, v15
	v_cvt_pkrtz_f16_f32 v14, v30, v31
	;; [unrolled: 1-line block ×3, first 2 shown]
	v_cvt_pk_f32_fp8_e32 v[18:19], v17
	v_cvt_pk_f32_fp8_sdwa v[16:17], v17 src0_sel:WORD_1
	v_mfma_f32_16x16x16_f16 v[2:5], v[20:21], v[4:5], v[6:9]
	s_waitcnt vmcnt(0)
	v_cvt_pk_f32_fp8_sdwa v[20:21], v12 src0_sel:WORD_1
	s_nop 0
	v_cvt_pkrtz_f16_f32 v8, v18, v19
	v_cvt_pkrtz_f16_f32 v9, v16, v17
	v_mfma_f32_16x16x16_f16 v[2:5], v[14:15], v[46:47], v[2:5]
	v_cvt_pk_f32_fp8_e32 v[16:17], v10
	v_cvt_pk_f32_fp8_sdwa v[18:19], v10 src0_sel:WORD_1
	v_pk_mul_f32 v[6:7], v[24:25], s[8:9] op_sel_hi:[1,0]
	v_mfma_f32_16x16x16_f16 v[2:5], v[8:9], v[48:49], v[2:5]
	v_cvt_pk_f32_fp8_e32 v[8:9], v11
	v_cvt_pkrtz_f16_f32 v16, v16, v17
	v_cvt_pkrtz_f16_f32 v17, v18, v19
	v_cvt_pk_f32_fp8_sdwa v[10:11], v11 src0_sel:WORD_1
	v_cvt_pkrtz_f16_f32 v8, v8, v9
	v_cvt_pk_f32_fp8_e32 v[18:19], v12
	v_mfma_f32_16x16x16_f16 v[2:5], v[16:17], v[26:27], v[2:5]
	v_cvt_pkrtz_f16_f32 v9, v10, v11
	v_cvt_pkrtz_f16_f32 v10, v18, v19
	;; [unrolled: 1-line block ×3, first 2 shown]
	v_cvt_pk_f32_fp8_e32 v[16:17], v13
	v_cvt_pk_f32_fp8_sdwa v[12:13], v13 src0_sel:WORD_1
	v_mfma_f32_16x16x16_f16 v[2:5], v[8:9], v[28:29], v[2:5]
	v_pk_mul_f32 v[14:15], v[22:23], s[8:9] op_sel_hi:[1,0]
	v_cvt_pkrtz_f16_f32 v8, v16, v17
	v_cvt_pkrtz_f16_f32 v9, v12, v13
	v_mfma_f32_16x16x16_f16 v[2:5], v[10:11], v[50:51], v[2:5]
	v_cvt_f16_f32_e32 v14, v14
	v_cvt_f16_f32_e32 v10, v15
	;; [unrolled: 1-line block ×3, first 2 shown]
	v_mfma_f32_16x16x16_f16 v[2:5], v[8:9], v[52:53], v[2:5]
	v_cvt_f16_f32_e32 v7, v7
	s_nop 5
	v_pk_mul_f32 v[4:5], v[4:5], s[8:9] op_sel_hi:[1,0]
	v_pk_mul_f32 v[2:3], v[2:3], s[8:9] op_sel_hi:[1,0]
	v_cvt_f16_f32_e32 v11, v4
	v_cvt_f16_f32_e32 v8, v2
	;; [unrolled: 1-line block ×4, first 2 shown]
	v_pack_b32_f16 v2, v14, v10
	v_pack_b32_f16 v3, v6, v7
	;; [unrolled: 1-line block ×4, first 2 shown]
	ds_write2st64_b64 v55, v[2:3], v[4:5] offset1:1
	s_waitcnt lgkmcnt(0)
	s_barrier
	s_and_saveexec_b64 s[8:9], vcc
	s_cbranch_execz .LBB932_20
; %bb.18:
	s_load_dwordx2 s[8:9], s[0:1], 0x68
	s_lshl_b32 s0, s7, 7
	s_mul_i32 s1, s10, s2
	v_lshlrev_b32_e32 v3, 6, v56
	s_mul_hi_u32 s11, s1, s0
	s_mul_i32 s10, s1, s0
	v_lshl_or_b32 v0, v0, 10, v3
	s_lshl_b64 s[10:11], s[10:11], 1
	v_lshlrev_b32_e32 v2, 5, v60
	v_and_b32_e32 v1, 16, v1
	v_and_b32_e32 v0, 0x1a00, v0
	s_waitcnt lgkmcnt(0)
	s_add_u32 s1, s8, s10
	v_or3_b32 v2, v0, v2, v1
	s_addc_u32 s7, s9, s11
	s_lshl_b32 s2, s6, 7
	s_lshl_b64 s[2:3], s[2:3], 1
	ds_read_b128 v[4:7], v2
	s_add_u32 s2, s1, s2
	s_addc_u32 s3, s7, s3
	v_mov_b32_e32 v55, 0
	v_add_u32_e32 v3, s48, v60
	v_lshl_add_u64 v[0:1], s[2:3], 0, v[54:55]
	v_mad_u64_u32 v[8:9], s[2:3], v3, s0, 0
	v_lshl_add_u64 v[8:9], v[8:9], 1, v[0:1]
	s_waitcnt lgkmcnt(0)
	global_store_dwordx4 v[8:9], v[4:7], off
	s_and_b64 exec, exec, s[4:5]
	s_cbranch_execz .LBB932_20
; %bb.19:
	ds_read_b128 v[2:5], v2 offset:128
	v_add3_u32 v6, s48, v60, 4
	v_mad_u64_u32 v[6:7], s[0:1], v6, s0, 0
	v_lshl_add_u64 v[0:1], v[6:7], 1, v[0:1]
	s_waitcnt lgkmcnt(0)
	global_store_dwordx4 v[0:1], v[2:5], off
.LBB932_20:
	s_endpgm
	.section	.rodata,"a",@progbits
	.p2align	6, 0x0
	.amdhsa_kernel _Z39paged_attention_ll4mi_QKV_mfma16_kernelIDF16_hLN4vllm18Fp8KVCacheDataTypeE1EhLi16ELi128ELi256ELb1ELi5EEvPKT_PKT0_S7_ifPKiS9_S9_iPKfiiiPfSC_PS2_PT2_iSB_SB_
		.amdhsa_group_segment_fixed_size 8192
		.amdhsa_private_segment_fixed_size 0
		.amdhsa_kernarg_size 400
		.amdhsa_user_sgpr_count 2
		.amdhsa_user_sgpr_dispatch_ptr 0
		.amdhsa_user_sgpr_queue_ptr 0
		.amdhsa_user_sgpr_kernarg_segment_ptr 1
		.amdhsa_user_sgpr_dispatch_id 0
		.amdhsa_user_sgpr_kernarg_preload_length 0
		.amdhsa_user_sgpr_kernarg_preload_offset 0
		.amdhsa_user_sgpr_private_segment_size 0
		.amdhsa_uses_dynamic_stack 0
		.amdhsa_enable_private_segment 0
		.amdhsa_system_sgpr_workgroup_id_x 1
		.amdhsa_system_sgpr_workgroup_id_y 1
		.amdhsa_system_sgpr_workgroup_id_z 1
		.amdhsa_system_sgpr_workgroup_info 0
		.amdhsa_system_vgpr_workitem_id 0
		.amdhsa_next_free_vgpr 76
		.amdhsa_next_free_sgpr 50
		.amdhsa_accum_offset 76
		.amdhsa_reserve_vcc 1
		.amdhsa_float_round_mode_32 0
		.amdhsa_float_round_mode_16_64 0
		.amdhsa_float_denorm_mode_32 3
		.amdhsa_float_denorm_mode_16_64 3
		.amdhsa_dx10_clamp 1
		.amdhsa_ieee_mode 1
		.amdhsa_fp16_overflow 0
		.amdhsa_tg_split 0
		.amdhsa_exception_fp_ieee_invalid_op 0
		.amdhsa_exception_fp_denorm_src 0
		.amdhsa_exception_fp_ieee_div_zero 0
		.amdhsa_exception_fp_ieee_overflow 0
		.amdhsa_exception_fp_ieee_underflow 0
		.amdhsa_exception_fp_ieee_inexact 0
		.amdhsa_exception_int_div_zero 0
	.end_amdhsa_kernel
	.section	.text._Z39paged_attention_ll4mi_QKV_mfma16_kernelIDF16_hLN4vllm18Fp8KVCacheDataTypeE1EhLi16ELi128ELi256ELb1ELi5EEvPKT_PKT0_S7_ifPKiS9_S9_iPKfiiiPfSC_PS2_PT2_iSB_SB_,"axG",@progbits,_Z39paged_attention_ll4mi_QKV_mfma16_kernelIDF16_hLN4vllm18Fp8KVCacheDataTypeE1EhLi16ELi128ELi256ELb1ELi5EEvPKT_PKT0_S7_ifPKiS9_S9_iPKfiiiPfSC_PS2_PT2_iSB_SB_,comdat
.Lfunc_end932:
	.size	_Z39paged_attention_ll4mi_QKV_mfma16_kernelIDF16_hLN4vllm18Fp8KVCacheDataTypeE1EhLi16ELi128ELi256ELb1ELi5EEvPKT_PKT0_S7_ifPKiS9_S9_iPKfiiiPfSC_PS2_PT2_iSB_SB_, .Lfunc_end932-_Z39paged_attention_ll4mi_QKV_mfma16_kernelIDF16_hLN4vllm18Fp8KVCacheDataTypeE1EhLi16ELi128ELi256ELb1ELi5EEvPKT_PKT0_S7_ifPKiS9_S9_iPKfiiiPfSC_PS2_PT2_iSB_SB_
                                        ; -- End function
	.section	.AMDGPU.csdata,"",@progbits
; Kernel info:
; codeLenInByte = 6288
; NumSgprs: 56
; NumVgprs: 76
; NumAgprs: 0
; TotalNumVgprs: 76
; ScratchSize: 0
; MemoryBound: 0
; FloatMode: 240
; IeeeMode: 1
; LDSByteSize: 8192 bytes/workgroup (compile time only)
; SGPRBlocks: 6
; VGPRBlocks: 9
; NumSGPRsForWavesPerEU: 56
; NumVGPRsForWavesPerEU: 76
; AccumOffset: 76
; Occupancy: 6
; WaveLimiterHint : 1
; COMPUTE_PGM_RSRC2:SCRATCH_EN: 0
; COMPUTE_PGM_RSRC2:USER_SGPR: 2
; COMPUTE_PGM_RSRC2:TRAP_HANDLER: 0
; COMPUTE_PGM_RSRC2:TGID_X_EN: 1
; COMPUTE_PGM_RSRC2:TGID_Y_EN: 1
; COMPUTE_PGM_RSRC2:TGID_Z_EN: 1
; COMPUTE_PGM_RSRC2:TIDIG_COMP_CNT: 0
; COMPUTE_PGM_RSRC3_GFX90A:ACCUM_OFFSET: 18
; COMPUTE_PGM_RSRC3_GFX90A:TG_SPLIT: 0
	.section	.text._Z39paged_attention_ll4mi_QKV_mfma16_kernelIDF16_hLN4vllm18Fp8KVCacheDataTypeE1EhLi16ELi128ELi256ELb1ELi6EEvPKT_PKT0_S7_ifPKiS9_S9_iPKfiiiPfSC_PS2_PT2_iSB_SB_,"axG",@progbits,_Z39paged_attention_ll4mi_QKV_mfma16_kernelIDF16_hLN4vllm18Fp8KVCacheDataTypeE1EhLi16ELi128ELi256ELb1ELi6EEvPKT_PKT0_S7_ifPKiS9_S9_iPKfiiiPfSC_PS2_PT2_iSB_SB_,comdat
	.protected	_Z39paged_attention_ll4mi_QKV_mfma16_kernelIDF16_hLN4vllm18Fp8KVCacheDataTypeE1EhLi16ELi128ELi256ELb1ELi6EEvPKT_PKT0_S7_ifPKiS9_S9_iPKfiiiPfSC_PS2_PT2_iSB_SB_ ; -- Begin function _Z39paged_attention_ll4mi_QKV_mfma16_kernelIDF16_hLN4vllm18Fp8KVCacheDataTypeE1EhLi16ELi128ELi256ELb1ELi6EEvPKT_PKT0_S7_ifPKiS9_S9_iPKfiiiPfSC_PS2_PT2_iSB_SB_
	.globl	_Z39paged_attention_ll4mi_QKV_mfma16_kernelIDF16_hLN4vllm18Fp8KVCacheDataTypeE1EhLi16ELi128ELi256ELb1ELi6EEvPKT_PKT0_S7_ifPKiS9_S9_iPKfiiiPfSC_PS2_PT2_iSB_SB_
	.p2align	8
	.type	_Z39paged_attention_ll4mi_QKV_mfma16_kernelIDF16_hLN4vllm18Fp8KVCacheDataTypeE1EhLi16ELi128ELi256ELb1ELi6EEvPKT_PKT0_S7_ifPKiS9_S9_iPKfiiiPfSC_PS2_PT2_iSB_SB_,@function
_Z39paged_attention_ll4mi_QKV_mfma16_kernelIDF16_hLN4vllm18Fp8KVCacheDataTypeE1EhLi16ELi128ELi256ELb1ELi6EEvPKT_PKT0_S7_ifPKiS9_S9_iPKfiiiPfSC_PS2_PT2_iSB_SB_: ; @_Z39paged_attention_ll4mi_QKV_mfma16_kernelIDF16_hLN4vllm18Fp8KVCacheDataTypeE1EhLi16ELi128ELi256ELb1ELi6EEvPKT_PKT0_S7_ifPKiS9_S9_iPKfiiiPfSC_PS2_PT2_iSB_SB_
; %bb.0:
	s_load_dwordx2 s[10:11], s[0:1], 0x30
	s_mov_b32 s6, s3
	s_mov_b64 s[8:9], 0
	s_waitcnt lgkmcnt(0)
	s_cmp_lg_u64 s[10:11], 0
	s_cselect_b64 s[12:13], -1, 0
	s_and_b64 vcc, exec, s[12:13]
	s_cbranch_vccz .LBB933_7
; %bb.1:
	s_add_i32 s14, s2, 1
	s_mov_b32 s15, 0
	s_lshl_b64 s[16:17], s[14:15], 2
	s_add_u32 s16, s10, s16
	s_mov_b32 s3, s15
	s_addc_u32 s17, s11, s17
	s_lshl_b64 s[14:15], s[2:3], 2
	s_add_u32 s14, s10, s14
	s_addc_u32 s15, s11, s15
	s_load_dword s5, s[16:17], 0x0
	s_load_dword s7, s[14:15], 0x0
	s_waitcnt lgkmcnt(0)
	s_sub_i32 s5, s5, s7
	s_cmp_eq_u32 s5, 1
	s_cselect_b64 s[14:15], -1, 0
	s_andn2_b64 vcc, exec, s[8:9]
	s_cbranch_vccnz .LBB933_3
.LBB933_2:
	s_mov_b32 s3, 0
	s_mov_b64 s[14:15], -1
.LBB933_3:
	s_andn2_b64 vcc, exec, s[14:15]
	s_cbranch_vccnz .LBB933_20
; %bb.4:
	s_load_dwordx2 s[8:9], s[0:1], 0x28
	s_lshl_b64 s[16:17], s[2:3], 2
	s_waitcnt lgkmcnt(0)
	s_add_u32 s8, s8, s16
	s_addc_u32 s9, s9, s17
	s_load_dword s7, s[8:9], 0x0
	s_lshl_b32 s18, s6, 8
	s_waitcnt lgkmcnt(0)
	s_cmp_ge_i32 s18, s7
	s_cbranch_scc1 .LBB933_20
; %bb.5:
	s_load_dwordx2 s[8:9], s[0:1], 0x20
	s_load_dword s5, s[0:1], 0x38
	s_add_i32 s14, s7, 15
	s_ashr_i32 s15, s14, 31
	v_and_b32_e32 v1, 0xcf, v0
	s_lshr_b32 s15, s15, 28
	v_add_u32_e32 v1, s18, v1
	s_add_i32 s14, s14, s15
	v_ashrrev_i32_e32 v2, 31, v1
	s_ashr_i32 s19, s14, 4
	v_lshrrev_b32_e32 v4, 28, v2
	s_add_i32 s19, s19, -1
	s_waitcnt lgkmcnt(0)
	s_mul_i32 s14, s2, s5
	s_mov_b32 s15, 0
	v_add_u32_e32 v2, v1, v4
	s_lshl_b64 s[14:15], s[14:15], 2
	v_ashrrev_i32_e32 v2, 4, v2
	v_mov_b32_e32 v5, s19
	v_cmp_gt_i32_e32 vcc, s7, v1
	s_add_u32 s8, s8, s14
	s_addc_u32 s9, s9, s15
	v_cndmask_b32_e32 v2, v5, v2, vcc
	v_ashrrev_i32_e32 v3, 31, v2
	v_lshl_add_u64 v[6:7], v[2:3], 2, s[8:9]
	v_or_b32_e32 v2, 16, v1
	v_add_u32_e32 v3, v2, v4
	v_ashrrev_i32_e32 v3, 4, v3
	v_cmp_gt_i32_e32 vcc, s7, v2
	s_load_dwordx2 s[14:15], s[0:1], 0x8
	s_nop 0
	v_cndmask_b32_e32 v2, v5, v3, vcc
	v_ashrrev_i32_e32 v3, 31, v2
	v_lshl_add_u64 v[8:9], v[2:3], 2, s[8:9]
	v_or_b32_e32 v2, 32, v1
	v_add_u32_e32 v3, v2, v4
	v_ashrrev_i32_e32 v3, 4, v3
	v_cmp_gt_i32_e32 vcc, s7, v2
	v_or_b32_e32 v1, 48, v1
	s_nop 0
	v_cndmask_b32_e32 v2, v5, v3, vcc
	v_ashrrev_i32_e32 v3, 31, v2
	v_lshl_add_u64 v[12:13], v[2:3], 2, s[8:9]
	v_add_u32_e32 v2, v1, v4
	v_ashrrev_i32_e32 v2, 4, v2
	v_cmp_gt_i32_e32 vcc, s7, v1
	s_nop 1
	v_cndmask_b32_e32 v2, v5, v2, vcc
	v_ashrrev_i32_e32 v3, 31, v2
	v_lshl_add_u64 v[14:15], v[2:3], 2, s[8:9]
	global_load_dword v4, v[6:7], off
	global_load_dword v3, v[8:9], off
	;; [unrolled: 1-line block ×4, first 2 shown]
	s_andn2_b64 vcc, exec, s[12:13]
	s_cbranch_vccnz .LBB933_8
; %bb.6:
	s_add_u32 s10, s10, s16
	s_addc_u32 s11, s11, s17
	s_load_dword s5, s[10:11], 0x0
	s_branch .LBB933_9
.LBB933_7:
	s_mov_b64 s[14:15], 0
	s_branch .LBB933_2
.LBB933_8:
	s_mov_b32 s5, s2
.LBB933_9:
	s_load_dwordx2 s[10:11], s[0:1], 0x10
	s_load_dwordx4 s[44:47], s[0:1], 0x48
	v_lshrrev_b32_e32 v57, 6, v0
	v_bfe_u32 v60, v0, 4, 2
	v_and_b32_e32 v56, 15, v0
	v_lshl_or_b32 v5, v57, 2, v60
	v_lshlrev_b32_e32 v1, 3, v56
	s_mul_i32 s48, s4, 6
	v_cmp_gt_u32_e32 vcc, 6, v5
	v_lshlrev_b32_e32 v54, 1, v1
	v_lshlrev_b32_e32 v1, 4, v0
	s_and_saveexec_b64 s[12:13], vcc
	s_cbranch_execz .LBB933_11
; %bb.10:
	s_load_dwordx2 s[16:17], s[0:1], 0x0
	s_waitcnt lgkmcnt(0)
	s_ashr_i32 s20, s44, 31
	s_mul_hi_u32 s21, s5, s44
	s_mul_i32 s20, s5, s20
	s_add_i32 s21, s21, s20
	s_mul_i32 s20, s5, s44
	s_lshl_b64 s[20:21], s[20:21], 1
	s_add_u32 s16, s16, s20
	v_add_lshl_u32 v6, v5, s48, 7
	s_addc_u32 s17, s17, s21
	v_ashrrev_i32_e32 v7, 31, v6
	v_lshl_add_u64 v[6:7], v[6:7], 1, s[16:17]
	v_mov_b32_e32 v55, 0
	v_lshl_add_u64 v[6:7], v[6:7], 0, v[54:55]
	global_load_dwordx4 v[6:9], v[6:7], off
	v_lshlrev_b32_e32 v12, 8, v0
	v_lshlrev_b32_e32 v11, 8, v56
	v_and_b32_e32 v12, 0x600, v12
	s_movk_i32 s5, 0x800
	v_and_or_b32 v11, v11, s5, v12
	v_lshlrev_b32_e32 v5, 5, v5
	v_and_b32_e32 v12, 16, v1
	v_or3_b32 v5, v11, v5, v12
	s_waitcnt vmcnt(0)
	ds_write_b128 v5, v[6:9]
.LBB933_11:
	s_or_b64 exec, exec, s[12:13]
	s_waitcnt lgkmcnt(0)
	s_mul_i32 s12, s4, s46
	s_add_u32 s4, s14, s12
	s_addc_u32 s5, s15, 0
	v_and_b32_e32 v58, 0xf0, v1
	v_mov_b32_e32 v59, 0
	v_and_b32_e32 v34, 48, v0
	v_lshl_add_u64 v[12:13], s[4:5], 0, v[58:59]
	v_lshlrev_b32_e32 v58, 4, v34
	s_waitcnt vmcnt(3)
	v_mad_i64_i32 v[4:5], s[4:5], v4, s45, v[12:13]
	v_lshl_add_u64 v[4:5], v[4:5], 0, v[58:59]
	s_barrier
	global_load_dwordx4 v[50:53], v[4:5], off
	global_load_dwordx4 v[46:49], v[4:5], off offset:1024
	s_waitcnt vmcnt(4)
	v_mad_i64_i32 v[4:5], s[4:5], v3, s45, v[12:13]
	s_waitcnt vmcnt(3)
	v_mad_i64_i32 v[2:3], s[4:5], v2, s45, v[12:13]
	v_lshl_add_u64 v[4:5], v[4:5], 0, v[58:59]
	v_lshl_add_u64 v[14:15], v[2:3], 0, v[58:59]
	s_waitcnt vmcnt(2)
	v_mad_i64_i32 v[10:11], s[4:5], v10, s45, v[12:13]
	global_load_dwordx4 v[36:39], v[4:5], off
	global_load_dwordx4 v[6:9], v[4:5], off offset:1024
	s_nop 0
	global_load_dwordx4 v[2:5], v[14:15], off
	global_load_dwordx4 v[42:45], v[14:15], off offset:1024
	v_lshl_add_u64 v[14:15], v[10:11], 0, v[58:59]
	global_load_dwordx4 v[22:25], v[14:15], off
	global_load_dwordx4 v[10:13], v[14:15], off offset:1024
	v_mul_lo_u16_e32 v14, 43, v56
	v_mov_b32_e32 v15, 6
	v_mul_lo_u16_sdwa v14, v14, v15 dst_sel:DWORD dst_unused:UNUSED_PAD src0_sel:BYTE_1 src1_sel:DWORD
	v_sub_u16_e32 v14, v56, v14
	v_mov_b32_e32 v15, 5
	v_lshlrev_b32_sdwa v14, v15, v14 dst_sel:DWORD dst_unused:UNUSED_PAD src0_sel:DWORD src1_sel:BYTE_0
	v_lshl_add_u32 v14, v60, 9, v14
	ds_read_b128 v[30:33], v14
	ds_read_b128 v[26:29], v14 offset:16
	ds_read_b128 v[18:21], v14 offset:2048
	;; [unrolled: 1-line block ×3, first 2 shown]
	v_and_b32_e32 v55, 63, v0
	v_cmp_gt_u32_e32 vcc, 6, v56
	v_mov_b32_e32 v61, 0
	s_and_saveexec_b64 s[4:5], vcc
	s_cbranch_execz .LBB933_13
; %bb.12:
	s_load_dwordx2 s[14:15], s[0:1], 0x40
	v_add_u32_e32 v40, s48, v56
	v_ashrrev_i32_e32 v41, 31, v40
	s_waitcnt lgkmcnt(0)
	v_lshl_add_u64 v[40:41], v[40:41], 2, s[14:15]
	global_load_dword v61, v[40:41], off
.LBB933_13:
	s_or_b64 exec, exec, s[4:5]
	v_or_b32_e32 v58, s18, v34
	v_ashrrev_i32_e32 v34, 4, v58
	v_mov_b32_e32 v63, s19
	v_cmp_gt_i32_e32 vcc, s7, v58
	s_waitcnt vmcnt(7)
	v_cvt_pk_f32_fp8_e32 v[40:41], v50
	v_cvt_pk_f32_fp8_sdwa v[64:65], v50 src0_sel:WORD_1
	v_cndmask_b32_e32 v34, v63, v34, vcc
	v_ashrrev_i32_e32 v35, 31, v34
	v_lshl_add_u64 v[34:35], v[34:35], 2, s[8:9]
	global_load_dword v62, v[34:35], off
	v_or_b32_e32 v34, 64, v58
	v_ashrrev_i32_e32 v35, 4, v34
	v_cmp_gt_i32_e32 vcc, s7, v34
	v_or_b32_e32 v66, 0x80, v58
	v_ashrrev_i32_e32 v67, 4, v66
	v_cndmask_b32_e32 v34, v63, v35, vcc
	v_cmp_gt_i32_e32 vcc, s7, v66
	v_cvt_pkrtz_f16_f32 v40, v40, v41
	v_cvt_pkrtz_f16_f32 v41, v64, v65
	v_cndmask_b32_e32 v50, v63, v67, vcc
	v_cvt_pk_f32_fp8_e32 v[64:65], v51
	v_cvt_pk_f32_fp8_sdwa v[66:67], v51 src0_sel:WORD_1
	v_ashrrev_i32_e32 v51, 31, v50
	v_lshl_add_u64 v[68:69], v[50:51], 2, s[8:9]
	v_cvt_pkrtz_f16_f32 v50, v64, v65
	v_cvt_pkrtz_f16_f32 v51, v66, v67
	s_waitcnt lgkmcnt(3)
	v_mfma_f32_16x16x16_f16 v[64:67], v[40:41], v[30:31], 0
	v_cvt_pk_f32_fp8_e32 v[40:41], v52
	v_cvt_pk_f32_fp8_sdwa v[70:71], v52 src0_sel:WORD_1
	s_waitcnt vmcnt(7)
	v_cvt_pk_f32_fp8_e32 v[72:73], v46
	v_mfma_f32_16x16x16_f16 v[64:67], v[50:51], v[32:33], v[64:67]
	v_cvt_pk_f32_fp8_e32 v[50:51], v53
	v_cvt_pkrtz_f16_f32 v40, v40, v41
	v_cvt_pkrtz_f16_f32 v41, v70, v71
	v_cvt_pk_f32_fp8_sdwa v[52:53], v53 src0_sel:WORD_1
	v_cvt_pkrtz_f16_f32 v70, v50, v51
	v_cvt_pk_f32_fp8_sdwa v[74:75], v46 src0_sel:WORD_1
	v_ashrrev_i32_e32 v35, 31, v34
	v_cvt_pkrtz_f16_f32 v71, v52, v53
	s_waitcnt lgkmcnt(2)
	v_mfma_f32_16x16x16_f16 v[50:53], v[40:41], v[26:27], v[64:67]
	v_cvt_pkrtz_f16_f32 v40, v72, v73
	v_cvt_pkrtz_f16_f32 v41, v74, v75
	v_or_b32_e32 v58, 0xc0, v58
	v_cvt_pk_f32_fp8_e32 v[64:65], v47
	v_cvt_pk_f32_fp8_sdwa v[46:47], v47 src0_sel:WORD_1
	v_mfma_f32_16x16x16_f16 v[50:53], v[70:71], v[28:29], v[50:53]
	v_lshl_add_u64 v[34:35], v[34:35], 2, s[8:9]
	v_cvt_pkrtz_f16_f32 v64, v64, v65
	v_cvt_pkrtz_f16_f32 v65, v46, v47
	s_waitcnt lgkmcnt(1)
	v_mfma_f32_16x16x16_f16 v[50:53], v[40:41], v[18:19], v[50:53]
	v_ashrrev_i32_e32 v66, 4, v58
	v_cmp_gt_i32_e32 vcc, s7, v58
	v_cvt_pk_f32_fp8_e32 v[46:47], v48
	s_waitcnt vmcnt(6)
	v_cvt_pk_f32_fp8_sdwa v[70:71], v36 src0_sel:WORD_1
	v_cndmask_b32_e32 v40, v63, v66, vcc
	v_mfma_f32_16x16x16_f16 v[64:67], v[64:65], v[20:21], v[50:53]
	v_ashrrev_i32_e32 v41, 31, v40
	v_lshl_add_u64 v[40:41], v[40:41], 2, s[8:9]
	v_cvt_pkrtz_f16_f32 v46, v46, v47
	global_load_dword v53, v[34:35], off
	global_load_dword v63, v[40:41], off
	v_cvt_pk_f32_fp8_sdwa v[50:51], v48 src0_sel:WORD_1
	v_cvt_pk_f32_fp8_e32 v[34:35], v49
	v_cvt_pk_f32_fp8_sdwa v[48:49], v49 src0_sel:WORD_1
	s_add_u32 s46, s10, s12
	v_cvt_pkrtz_f16_f32 v47, v50, v51
	v_cvt_pkrtz_f16_f32 v34, v34, v35
	;; [unrolled: 1-line block ×3, first 2 shown]
	s_waitcnt lgkmcnt(0)
	v_mfma_f32_16x16x16_f16 v[46:49], v[46:47], v[14:15], v[64:67]
	v_cvt_pk_f32_fp8_e32 v[50:51], v36
	s_nop 1
	global_load_dword v64, v[68:69], off
	v_cvt_pk_f32_fp8_e32 v[66:67], v37
	s_waitcnt vmcnt(8)
	v_cvt_pk_f32_fp8_e32 v[68:69], v6
	v_cvt_pkrtz_f16_f32 v50, v50, v51
	v_cvt_pkrtz_f16_f32 v51, v70, v71
	v_cvt_pk_f32_fp8_sdwa v[70:71], v37 src0_sel:WORD_1
	v_cvt_pkrtz_f16_f32 v40, v66, v67
	v_mfma_f32_16x16x16_f16 v[34:37], v[34:35], v[16:17], v[46:49]
	v_cvt_pk_f32_fp8_sdwa v[66:67], v38 src0_sel:WORD_1
	v_cvt_pkrtz_f16_f32 v41, v70, v71
	v_cvt_pk_f32_fp8_sdwa v[70:71], v6 src0_sel:WORD_1
	v_mfma_f32_16x16x16_f16 v[46:49], v[50:51], v[30:31], 0
	v_cvt_pk_f32_fp8_e32 v[50:51], v38
	v_lshl_or_b32 v52, v57, 4, v56
	s_waitcnt vmcnt(6)
	v_cvt_pk_f32_fp8_e32 v[72:73], v43
	v_mfma_f32_16x16x16_f16 v[46:49], v[40:41], v[32:33], v[46:49]
	v_cvt_pk_f32_fp8_e32 v[40:41], v39
	v_cvt_pkrtz_f16_f32 v50, v50, v51
	v_cvt_pkrtz_f16_f32 v51, v66, v67
	v_cvt_pk_f32_fp8_sdwa v[38:39], v39 src0_sel:WORD_1
	v_cvt_pkrtz_f16_f32 v66, v40, v41
	s_addc_u32 s47, s11, 0
	v_lshlrev_b32_e32 v58, 4, v52
	v_cvt_pkrtz_f16_f32 v67, v38, v39
	v_mfma_f32_16x16x16_f16 v[38:41], v[50:51], v[26:27], v[46:49]
	v_cvt_pk_f32_fp8_sdwa v[50:51], v2 src0_sel:WORD_1
	s_nop 1
	v_cvt_pkrtz_f16_f32 v46, v68, v69
	v_cvt_pkrtz_f16_f32 v47, v70, v71
	v_cvt_pk_f32_fp8_e32 v[48:49], v7
	v_cvt_pk_f32_fp8_sdwa v[6:7], v7 src0_sel:WORD_1
	v_mfma_f32_16x16x16_f16 v[38:41], v[66:67], v[28:29], v[38:41]
	v_lshl_add_u64 v[70:71], s[46:47], 0, v[58:59]
	v_cvt_pkrtz_f16_f32 v48, v48, v49
	v_cvt_pkrtz_f16_f32 v49, v6, v7
	v_mfma_f32_16x16x16_f16 v[38:41], v[46:47], v[18:19], v[38:41]
	v_cvt_pk_f32_fp8_e32 v[6:7], v8
	v_cvt_pk_f32_fp8_sdwa v[46:47], v8 src0_sel:WORD_1
	v_or_b32_e32 v58, 0x400, v58
	v_mfma_f32_16x16x16_f16 v[38:41], v[48:49], v[20:21], v[38:41]
	v_cvt_pk_f32_fp8_e32 v[48:49], v9
	v_cvt_pkrtz_f16_f32 v6, v6, v7
	v_cvt_pkrtz_f16_f32 v7, v46, v47
	v_cvt_pk_f32_fp8_sdwa v[8:9], v9 src0_sel:WORD_1
	v_cvt_pkrtz_f16_f32 v46, v48, v49
	v_cvt_pk_f32_fp8_e32 v[48:49], v2
	v_cvt_pkrtz_f16_f32 v47, v8, v9
	v_mfma_f32_16x16x16_f16 v[6:9], v[6:7], v[14:15], v[38:41]
	v_cvt_pkrtz_f16_f32 v48, v48, v49
	v_cvt_pkrtz_f16_f32 v49, v50, v51
	v_cvt_pk_f32_fp8_e32 v[50:51], v3
	v_cvt_pk_f32_fp8_sdwa v[2:3], v3 src0_sel:WORD_1
	v_mfma_f32_16x16x16_f16 v[38:41], v[46:47], v[16:17], v[6:9]
	v_cvt_pkrtz_f16_f32 v46, v50, v51
	v_cvt_pkrtz_f16_f32 v47, v2, v3
	v_mfma_f32_16x16x16_f16 v[6:9], v[48:49], v[30:31], 0
	v_cvt_pk_f32_fp8_e32 v[2:3], v4
	v_cvt_pk_f32_fp8_sdwa v[48:49], v4 src0_sel:WORD_1
	s_waitcnt vmcnt(3)
	v_mad_i64_i32 v[50:51], s[4:5], v62, s45, v[70:71]
	v_cvt_pkrtz_f16_f32 v2, v2, v3
	v_cvt_pkrtz_f16_f32 v3, v48, v49
	v_mfma_f32_16x16x16_f16 v[6:9], v[46:47], v[32:33], v[6:9]
	v_cvt_pk_f32_fp8_e32 v[46:47], v5
	v_cvt_pk_f32_fp8_sdwa v[4:5], v5 src0_sel:WORD_1
	s_waitcnt vmcnt(2)
	v_mad_i64_i32 v[66:67], s[4:5], v53, s45, v[70:71]
	v_cvt_pkrtz_f16_f32 v46, v46, v47
	v_cvt_pkrtz_f16_f32 v47, v4, v5
	v_mfma_f32_16x16x16_f16 v[2:5], v[2:3], v[26:27], v[6:9]
	s_nop 2
	v_cvt_pk_f32_fp8_e32 v[6:7], v42
	v_cvt_pk_f32_fp8_sdwa v[8:9], v42 src0_sel:WORD_1
	v_cvt_pk_f32_fp8_sdwa v[42:43], v43 src0_sel:WORD_1
	v_mfma_f32_16x16x16_f16 v[46:49], v[46:47], v[28:29], v[2:5]
	v_cvt_pkrtz_f16_f32 v68, v6, v7
	v_cvt_pkrtz_f16_f32 v69, v8, v9
	global_load_dwordx4 v[6:9], v[50:51], off
	global_load_dwordx4 v[2:5], v[66:67], off
	v_cvt_pkrtz_f16_f32 v66, v72, v73
	v_cvt_pkrtz_f16_f32 v67, v42, v43
	v_mfma_f32_16x16x16_f16 v[48:51], v[68:69], v[18:19], v[46:49]
	v_cvt_pk_f32_fp8_e32 v[42:43], v44
	v_cvt_pk_f32_fp8_sdwa v[72:73], v44 src0_sel:WORD_1
	s_waitcnt vmcnt(2)
	v_mad_i64_i32 v[46:47], s[4:5], v64, s45, v[70:71]
	v_mfma_f32_16x16x16_f16 v[66:69], v[66:67], v[20:21], v[48:51]
	v_cvt_pkrtz_f16_f32 v42, v42, v43
	v_cvt_pkrtz_f16_f32 v43, v72, v73
	v_cvt_pk_f32_fp8_sdwa v[72:73], v22 src0_sel:WORD_1
	v_cvt_pk_f32_fp8_e32 v[50:51], v45
	v_cvt_pk_f32_fp8_sdwa v[44:45], v45 src0_sel:WORD_1
	v_mad_i64_i32 v[48:49], s[4:5], v63, s45, v[70:71]
	v_cvt_pkrtz_f16_f32 v50, v50, v51
	v_cvt_pkrtz_f16_f32 v51, v44, v45
	v_mfma_f32_16x16x16_f16 v[42:45], v[42:43], v[14:15], v[66:69]
	v_cvt_pk_f32_fp8_e32 v[70:71], v22
	s_load_dword s4, s[0:1], 0x1c
	s_load_dwordx4 s[40:43], s[0:1], 0x80
	s_load_dword s33, s[0:1], 0x98
	s_waitcnt lgkmcnt(0)
	s_load_dword s5, s[40:41], 0x0
	v_mfma_f32_16x16x16_f16 v[66:69], v[50:51], v[16:17], v[42:45]
	s_mov_b32 s40, 0xff7fffff
	s_nop 1
	v_cvt_pk_f32_fp8_e32 v[42:43], v23
	v_cvt_pkrtz_f16_f32 v44, v70, v71
	v_cvt_pkrtz_f16_f32 v45, v72, v73
	v_cvt_pk_f32_fp8_sdwa v[22:23], v23 src0_sel:WORD_1
	v_cvt_pkrtz_f16_f32 v50, v42, v43
	v_cvt_pk_f32_fp8_e32 v[70:71], v24
	v_cvt_pk_f32_fp8_sdwa v[72:73], v24 src0_sel:WORD_1
	v_cvt_pkrtz_f16_f32 v51, v22, v23
	v_mfma_f32_16x16x16_f16 v[42:45], v[44:45], v[30:31], 0
	v_cvt_pkrtz_f16_f32 v30, v70, v71
	v_cvt_pkrtz_f16_f32 v31, v72, v73
	v_cvt_pk_f32_fp8_e32 v[70:71], v25
	v_cvt_pk_f32_fp8_sdwa v[72:73], v25 src0_sel:WORD_1
	v_mfma_f32_16x16x16_f16 v[22:25], v[50:51], v[32:33], v[42:45]
	v_mov_b32_e32 v32, s4
	s_waitcnt lgkmcnt(0)
	v_mul_f32_e32 v50, s5, v32
	v_pk_mul_f32 v[32:33], v[50:51], v[34:35] op_sel_hi:[0,1]
	v_cvt_pkrtz_f16_f32 v42, v70, v71
	v_cvt_pkrtz_f16_f32 v43, v72, v73
	v_mfma_f32_16x16x16_f16 v[22:25], v[30:31], v[26:27], v[22:25]
	v_pk_mul_f32 v[30:31], v[50:51], v[36:37] op_sel_hi:[0,1]
	v_cvt_pk_f32_fp8_e32 v[26:27], v11
	v_cvt_pk_f32_fp8_sdwa v[70:71], v12 src0_sel:WORD_1
	v_mfma_f32_16x16x16_f16 v[34:37], v[42:43], v[28:29], v[22:25]
	v_pk_mul_f32 v[40:41], v[50:51], v[40:41] op_sel_hi:[0,1]
	v_cvt_pkrtz_f16_f32 v44, v26, v27
	s_nop 0
	v_cvt_pk_f32_fp8_e32 v[22:23], v10
	v_cvt_pk_f32_fp8_sdwa v[24:25], v10 src0_sel:WORD_1
	v_cvt_pk_f32_fp8_sdwa v[10:11], v11 src0_sel:WORD_1
	v_cvt_pkrtz_f16_f32 v42, v22, v23
	v_cvt_pkrtz_f16_f32 v43, v24, v25
	;; [unrolled: 1-line block ×3, first 2 shown]
	v_cvt_pk_f32_fp8_e32 v[10:11], v12
	v_mfma_f32_16x16x16_f16 v[34:37], v[42:43], v[18:19], v[34:37]
	global_load_dwordx4 v[26:29], v[46:47], off
	global_load_dwordx4 v[22:25], v[48:49], off
	v_cvt_pkrtz_f16_f32 v18, v10, v11
	v_cvt_pkrtz_f16_f32 v19, v70, v71
	v_cvt_pk_f32_fp8_e32 v[42:43], v13
	v_cvt_pk_f32_fp8_sdwa v[46:47], v13 src0_sel:WORD_1
	v_mfma_f32_16x16x16_f16 v[10:13], v[44:45], v[20:21], v[34:37]
	v_pk_mul_f32 v[44:45], v[50:51], v[38:39] op_sel_hi:[0,1]
	v_cvt_pkrtz_f16_f32 v20, v42, v43
	v_cvt_pkrtz_f16_f32 v21, v46, v47
	v_mfma_f32_16x16x16_f16 v[10:13], v[18:19], v[14:15], v[10:13]
	v_pk_mul_f32 v[38:39], v[50:51], v[68:69] op_sel_hi:[0,1]
	v_pk_mul_f32 v[42:43], v[50:51], v[66:67] op_sel_hi:[0,1]
	v_mfma_f32_16x16x16_f16 v[10:13], v[20:21], v[16:17], v[10:13]
	s_nop 6
	v_pk_mul_f32 v[36:37], v[50:51], v[10:11] op_sel_hi:[0,1]
	v_and_b32_e32 v10, 0xc0, v0
	v_add_u32_e32 v10, s18, v10
	v_lshl_or_b32 v10, v60, 2, v10
	v_or_b32_e32 v11, 1, v10
	v_pk_mul_f32 v[34:35], v[50:51], v[12:13] op_sel_hi:[0,1]
	v_subrev_u32_e32 v12, s7, v11
	v_add_u32_e32 v14, 1, v12
	v_add_u32_e32 v15, 2, v12
	v_cvt_f32_i32_e32 v13, v12
	v_cvt_f32_i32_e32 v14, v14
	;; [unrolled: 1-line block ×3, first 2 shown]
	v_add_u32_e32 v16, 3, v12
	v_fma_f32 v18, v61, v13, v32
	v_fmac_f32_e32 v33, v61, v14
	v_fma_f32 v48, v61, v15, v30
	v_add_u32_e32 v13, 16, v12
	v_add_u32_e32 v14, 17, v12
	;; [unrolled: 1-line block ×3, first 2 shown]
	v_cvt_f32_i32_e32 v16, v16
	v_cvt_f32_i32_e32 v13, v13
	;; [unrolled: 1-line block ×4, first 2 shown]
	v_fmac_f32_e32 v31, v61, v16
	v_add_u32_e32 v16, 19, v12
	v_fma_f32 v44, v61, v13, v44
	v_fmac_f32_e32 v45, v61, v14
	v_fma_f32 v40, v61, v15, v40
	v_add_u32_e32 v13, 32, v12
	v_add_u32_e32 v14, 33, v12
	;; [unrolled: 1-line block ×3, first 2 shown]
	v_cvt_f32_i32_e32 v16, v16
	v_cvt_f32_i32_e32 v13, v13
	;; [unrolled: 1-line block ×4, first 2 shown]
	v_fmac_f32_e32 v41, v61, v16
	v_add_u32_e32 v16, 35, v12
	v_fma_f32 v42, v61, v13, v42
	v_fmac_f32_e32 v43, v61, v14
	v_fma_f32 v38, v61, v15, v38
	v_add_u32_e32 v13, 48, v12
	v_add_u32_e32 v14, 49, v12
	;; [unrolled: 1-line block ×4, first 2 shown]
	v_cvt_f32_i32_e32 v12, v12
	v_cvt_f32_i32_e32 v13, v13
	;; [unrolled: 1-line block ×3, first 2 shown]
	v_cmp_gt_i32_e64 s[8:9], s7, v10
	v_fmac_f32_e32 v35, v61, v12
	v_mov_b32_e32 v12, 0xff7fffff
	v_cmp_gt_i32_e64 s[10:11], s7, v11
	v_fma_f32 v36, v61, v13, v36
	v_cndmask_b32_e64 v13, v12, v18, s[8:9]
	v_cndmask_b32_e64 v11, v12, v33, s[10:11]
	v_fmac_f32_e32 v37, v61, v14
	v_max3_f32 v11, v13, s40, v11
	v_or_b32_e32 v13, 2, v10
	v_or_b32_e32 v14, 3, v10
	v_cmp_gt_i32_e64 s[12:13], s7, v13
	v_cmp_gt_i32_e64 s[14:15], s7, v14
	v_cvt_f32_i32_e32 v16, v16
	v_cndmask_b32_e64 v13, v12, v48, s[12:13]
	v_cndmask_b32_e64 v14, v12, v31, s[14:15]
	v_max3_f32 v11, v11, v13, v14
	v_or_b32_e32 v13, 16, v10
	v_or_b32_e32 v14, 17, v10
	v_cmp_gt_i32_e64 s[16:17], s7, v13
	v_cmp_gt_i32_e64 s[18:19], s7, v14
	v_fmac_f32_e32 v39, v61, v16
	v_cndmask_b32_e64 v13, v12, v44, s[16:17]
	v_cndmask_b32_e64 v14, v12, v45, s[18:19]
	v_max3_f32 v11, v11, v13, v14
	v_or_b32_e32 v13, 18, v10
	v_or_b32_e32 v14, 19, v10
	v_cmp_gt_i32_e64 s[20:21], s7, v13
	v_cmp_gt_i32_e64 s[22:23], s7, v14
	v_cvt_f32_i32_e32 v15, v15
	v_cndmask_b32_e64 v13, v12, v40, s[20:21]
	v_cndmask_b32_e64 v14, v12, v41, s[22:23]
	v_max3_f32 v11, v11, v13, v14
	v_or_b32_e32 v13, 32, v10
	v_or_b32_e32 v14, 33, v10
	v_cmp_gt_i32_e64 s[24:25], s7, v13
	v_cmp_gt_i32_e64 s[26:27], s7, v14
	v_fma_f32 v34, v61, v15, v34
	v_cndmask_b32_e64 v13, v12, v42, s[24:25]
	v_cndmask_b32_e64 v14, v12, v43, s[26:27]
	v_max3_f32 v11, v11, v13, v14
	v_or_b32_e32 v13, 34, v10
	v_or_b32_e32 v14, 35, v10
	v_cmp_gt_i32_e64 s[28:29], s7, v13
	v_cmp_gt_i32_e64 s[30:31], s7, v14
	s_nop 0
	v_cndmask_b32_e64 v13, v12, v38, s[28:29]
	v_cndmask_b32_e64 v14, v12, v39, s[30:31]
	v_max3_f32 v11, v11, v13, v14
	v_or_b32_e32 v13, 48, v10
	v_or_b32_e32 v14, 49, v10
	v_cmp_gt_i32_e64 s[34:35], s7, v13
	v_cmp_gt_i32_e64 s[36:37], s7, v14
	s_nop 0
	v_cndmask_b32_e64 v13, v12, v36, s[34:35]
	v_cndmask_b32_e64 v14, v12, v37, s[36:37]
	v_max3_f32 v11, v11, v13, v14
	v_or_b32_e32 v13, 50, v10
	v_or_b32_e32 v10, 51, v10
	v_cmp_gt_i32_e32 vcc, s7, v13
	v_cmp_gt_i32_e64 s[4:5], s7, v10
	s_nop 0
	v_cndmask_b32_e32 v13, v12, v34, vcc
	v_cndmask_b32_e64 v10, v12, v35, s[4:5]
	v_max3_f32 v14, v11, v13, v10
	v_mbcnt_lo_u32_b32 v10, -1, 0
	v_mbcnt_hi_u32_b32 v15, -1, v10
	v_and_b32_e32 v10, 64, v15
	v_add_u32_e32 v16, 64, v10
	v_xor_b32_e32 v10, 32, v15
	v_cmp_lt_i32_e64 s[38:39], v10, v16
	s_nop 1
	v_cndmask_b32_e64 v10, v15, v10, s[38:39]
	v_lshlrev_b32_e32 v51, 2, v10
	ds_bpermute_b32 v17, v51, v14
	v_lshl_add_u64 v[10:11], s[46:47], 0, v[58:59]
	v_mad_i64_i32 v[12:13], s[38:39], v62, s45, v[10:11]
	s_waitcnt lgkmcnt(0)
	v_max_f32_e32 v17, v17, v17
	v_max_f32_e32 v19, v14, v17
	v_xor_b32_e32 v14, 16, v15
	v_cmp_lt_i32_e64 s[38:39], v14, v16
	s_nop 1
	v_cndmask_b32_e64 v14, v15, v14, s[38:39]
	v_lshlrev_b32_e32 v58, 2, v14
	ds_bpermute_b32 v20, v58, v19
	v_mad_i64_i32 v[14:15], s[38:39], v53, s45, v[10:11]
	v_mad_i64_i32 v[16:17], s[38:39], v64, s45, v[10:11]
	s_waitcnt lgkmcnt(0)
	v_max_f32_e32 v20, v20, v20
	v_max_f32_e32 v50, v19, v20
	v_sub_f32_e32 v18, v18, v50
	v_sub_f32_e32 v19, v33, v50
	v_mul_f32_e32 v18, 0x3fb8aa3b, v18
	v_mul_f32_e32 v19, 0x3fb8aa3b, v19
	v_exp_f32_e32 v18, v18
	v_exp_f32_e32 v19, v19
	v_sub_f32_e32 v49, v31, v50
	v_mad_i64_i32 v[10:11], s[38:39], v63, s45, v[10:11]
	v_cndmask_b32_e64 v46, 0, v18, s[8:9]
	v_cndmask_b32_e64 v47, 0, v19, s[10:11]
	global_load_dwordx4 v[30:33], v[12:13], off
	global_load_dwordx4 v[18:21], v[14:15], off
	v_sub_f32_e32 v12, v48, v50
	v_mul_f32_e32 v12, 0x3fb8aa3b, v12
	v_exp_f32_e32 v48, v12
	global_load_dwordx4 v[14:17], v[16:17], off
	s_nop 0
	global_load_dwordx4 v[10:13], v[10:11], off
	v_sub_f32_e32 v40, v40, v50
	v_sub_f32_e32 v42, v42, v50
	v_mul_f32_e32 v40, 0x3fb8aa3b, v40
	v_mul_f32_e32 v42, 0x3fb8aa3b, v42
	v_exp_f32_e32 v40, v40
	v_exp_f32_e32 v53, v42
	v_mul_f32_e32 v49, 0x3fb8aa3b, v49
	v_sub_f32_e32 v44, v44, v50
	v_exp_f32_e32 v49, v49
	v_mul_f32_e32 v44, 0x3fb8aa3b, v44
	v_sub_f32_e32 v45, v45, v50
	v_sub_f32_e32 v42, v43, v50
	v_exp_f32_e32 v44, v44
	v_mul_f32_e32 v45, 0x3fb8aa3b, v45
	v_mul_f32_e32 v42, 0x3fb8aa3b, v42
	v_exp_f32_e32 v45, v45
	v_sub_f32_e32 v41, v41, v50
	v_exp_f32_e32 v59, v42
	v_cndmask_b32_e64 v42, 0, v40, s[20:21]
	v_cndmask_b32_e64 v40, 0, v53, s[24:25]
	v_add_f32_e32 v53, 0, v46
	v_cndmask_b32_e64 v48, 0, v48, s[12:13]
	v_mul_f32_e32 v41, 0x3fb8aa3b, v41
	v_add_f32_e32 v53, v53, v47
	v_cndmask_b32_e64 v49, 0, v49, s[14:15]
	v_exp_f32_e32 v41, v41
	v_add_f32_e32 v53, v53, v48
	v_cndmask_b32_e64 v44, 0, v44, s[16:17]
	v_sub_f32_e32 v38, v38, v50
	v_add_f32_e32 v53, v53, v49
	v_cndmask_b32_e64 v45, 0, v45, s[18:19]
	v_sub_f32_e32 v39, v39, v50
	v_mul_f32_e32 v38, 0x3fb8aa3b, v38
	v_add_f32_e32 v53, v53, v44
	v_exp_f32_e32 v38, v38
	v_mul_f32_e32 v39, 0x3fb8aa3b, v39
	v_sub_f32_e32 v36, v36, v50
	v_add_f32_e32 v53, v53, v45
	v_cndmask_b32_e64 v43, 0, v41, s[22:23]
	v_exp_f32_e32 v39, v39
	v_mul_f32_e32 v36, 0x3fb8aa3b, v36
	v_sub_f32_e32 v37, v37, v50
	v_add_f32_e32 v53, v53, v42
	v_exp_f32_e32 v36, v36
	v_mul_f32_e32 v37, 0x3fb8aa3b, v37
	v_add_f32_e32 v53, v53, v43
	v_sub_f32_e32 v34, v34, v50
	v_cndmask_b32_e64 v41, 0, v59, s[26:27]
	v_exp_f32_e32 v37, v37
	v_add_f32_e32 v53, v53, v40
	v_mul_f32_e32 v34, 0x3fb8aa3b, v34
	v_sub_f32_e32 v35, v35, v50
	v_cndmask_b32_e64 v38, 0, v38, s[28:29]
	v_add_f32_e32 v53, v53, v41
	v_exp_f32_e32 v34, v34
	v_mul_f32_e32 v35, 0x3fb8aa3b, v35
	v_cndmask_b32_e64 v39, 0, v39, s[30:31]
	v_add_f32_e32 v53, v53, v38
	v_exp_f32_e32 v35, v35
	v_cndmask_b32_e64 v36, 0, v36, s[34:35]
	v_add_f32_e32 v53, v53, v39
	v_cndmask_b32_e64 v37, 0, v37, s[36:37]
	v_add_f32_e32 v53, v53, v36
	v_add_f32_e32 v53, v53, v37
	v_cndmask_b32_e32 v34, 0, v34, vcc
	v_add_f32_e32 v53, v53, v34
	v_cndmask_b32_e64 v35, 0, v35, s[4:5]
	v_add_f32_e32 v53, v53, v35
	ds_bpermute_b32 v51, v51, v53
	v_cmp_gt_u32_e32 vcc, 16, v55
	s_waitcnt lgkmcnt(0)
	s_barrier
	v_add_f32_e32 v51, v53, v51
	ds_bpermute_b32 v53, v58, v51
	s_and_saveexec_b64 s[4:5], vcc
	s_cbranch_execz .LBB933_15
; %bb.14:
	s_waitcnt lgkmcnt(0)
	v_add_f32_e32 v51, v51, v53
	v_lshlrev_b32_e32 v52, 2, v52
	ds_write2st64_b32 v52, v50, v51 offset1:1
.LBB933_15:
	s_or_b64 exec, exec, s[4:5]
	v_lshlrev_b32_e32 v51, 2, v56
	s_load_dword s7, s[0:1], 0x94
	s_waitcnt lgkmcnt(0)
	s_barrier
	ds_read2_b32 v[52:53], v51 offset1:16
	ds_read2_b32 v[58:59], v51 offset0:32 offset1:48
	ds_read2_b32 v[62:63], v51 offset0:64 offset1:80
	s_mul_i32 s8, s33, 6
	s_waitcnt lgkmcnt(2)
	v_max3_f32 v50, v52, s40, v53
	s_waitcnt lgkmcnt(1)
	v_max3_f32 v50, v50, v58, v59
	v_sub_f32_e32 v52, v52, v50
	v_mul_f32_e32 v52, 0x3fb8aa3b, v52
	v_exp_f32_e32 v55, v52
	v_sub_f32_e32 v52, v53, v50
	v_mul_f32_e32 v52, 0x3fb8aa3b, v52
	v_exp_f32_e32 v61, v52
	;; [unrolled: 3-line block ×3, first 2 shown]
	ds_read2_b32 v[52:53], v51 offset0:96 offset1:112
	v_sub_f32_e32 v51, v59, v50
	v_mul_f32_e32 v51, 0x3fb8aa3b, v51
	v_exp_f32_e32 v59, v51
	s_waitcnt lgkmcnt(1)
	v_fma_f32 v51, v55, v62, 0
	v_fmac_f32_e32 v51, v61, v63
	s_waitcnt lgkmcnt(0)
	v_fmac_f32_e32 v51, v58, v52
	v_fmac_f32_e32 v51, v59, v53
	v_add_f32_e32 v52, 0x358637bd, v51
	v_div_scale_f32 v53, s[4:5], v52, v52, 1.0
	v_rcp_f32_e32 v62, v53
	s_barrier
	v_fma_f32 v63, -v53, v62, 1.0
	v_fmac_f32_e32 v62, v63, v62
	v_div_scale_f32 v63, vcc, 1.0, v52, 1.0
	v_mul_f32_e32 v64, v63, v62
	v_fma_f32 v65, -v53, v64, v63
	v_fmac_f32_e32 v64, v65, v62
	v_fma_f32 v53, -v53, v64, v63
	v_div_fmas_f32 v53, v53, v62, v64
	v_cmp_eq_u32_e32 vcc, 1, v57
	v_div_fixup_f32 v52, v53, v52, 1.0
	s_nop 0
	v_cndmask_b32_e32 v53, v55, v61, vcc
	v_cmp_eq_u32_e32 vcc, 2, v57
	s_nop 1
	v_cndmask_b32_e32 v53, v53, v58, vcc
	v_cmp_eq_u32_e32 vcc, 3, v57
	s_nop 1
	v_cndmask_b32_e32 v53, v53, v59, vcc
	v_mul_f32_e32 v52, v53, v52
	v_pk_mul_f32 v[48:49], v[52:53], v[48:49] op_sel_hi:[0,1]
	v_pk_mul_f32 v[46:47], v[52:53], v[46:47] op_sel_hi:[0,1]
	v_cvt_f16_f32_e32 v53, v48
	v_cvt_f16_f32_e32 v49, v49
	;; [unrolled: 1-line block ×4, first 2 shown]
	v_pk_mul_f32 v[42:43], v[52:53], v[42:43] op_sel_hi:[0,1]
	v_pk_mul_f32 v[44:45], v[52:53], v[44:45] op_sel_hi:[0,1]
	v_pack_b32_f16 v49, v53, v49
	v_cvt_f16_f32_e32 v44, v44
	v_cvt_f16_f32_e32 v45, v45
	v_cvt_f16_f32_e32 v53, v42
	v_cvt_f16_f32_e32 v43, v43
	v_pack_b32_f16 v48, v46, v47
	v_lshlrev_b32_e32 v47, 3, v60
	v_lshlrev_b32_e32 v46, 5, v56
	;; [unrolled: 1-line block ×3, first 2 shown]
	v_or3_b32 v55, v42, v46, v47
	v_pack_b32_f16 v42, v44, v45
	v_pack_b32_f16 v43, v53, v43
	v_pk_mul_f32 v[38:39], v[52:53], v[38:39] op_sel_hi:[0,1]
	v_pk_mul_f32 v[40:41], v[52:53], v[40:41] op_sel_hi:[0,1]
	;; [unrolled: 1-line block ×4, first 2 shown]
	ds_write2st64_b64 v55, v[48:49], v[42:43] offset1:1
	v_cvt_f16_f32_e32 v40, v40
	v_cvt_f16_f32_e32 v41, v41
	;; [unrolled: 1-line block ×8, first 2 shown]
	v_pack_b32_f16 v34, v40, v41
	v_pack_b32_f16 v35, v38, v39
	;; [unrolled: 1-line block ×4, first 2 shown]
	v_cmp_gt_u32_e32 vcc, 6, v0
	ds_write2st64_b64 v55, v[34:35], v[36:37] offset0:2 offset1:3
	s_and_saveexec_b64 s[4:5], vcc
	s_cbranch_execz .LBB933_17
; %bb.16:
	s_mov_b32 s49, 0
	v_mov_b32_e32 v57, 0
	v_lshl_add_u64 v[34:35], s[48:49], 0, v[56:57]
	v_mov_b32_e32 v36, s8
	v_mad_u64_u32 v[34:35], s[10:11], s2, v36, v[34:35]
	s_mul_i32 s3, s3, s8
	v_mov_b32_e32 v36, s6
	v_mov_b32_e32 v37, v57
	s_load_dwordx4 s[12:15], s[0:1], 0x58
	v_add_u32_e32 v38, s3, v35
	v_mad_u64_u32 v[34:35], s[10:11], v34, s7, v[36:37]
	v_mov_b32_e32 v36, v35
	v_mad_u64_u32 v[36:37], s[10:11], v38, s7, v[36:37]
	v_mov_b32_e32 v35, v36
	v_lshlrev_b64 v[34:35], 2, v[34:35]
	s_waitcnt lgkmcnt(0)
	v_lshl_add_u64 v[36:37], s[14:15], 0, v[34:35]
	v_lshl_add_u64 v[34:35], s[12:13], 0, v[34:35]
	global_store_dword v[36:37], v50, off
	global_store_dword v[34:35], v51, off
.LBB933_17:
	s_or_b64 exec, exec, s[4:5]
	s_waitcnt vmcnt(7)
	v_cvt_pk_f32_fp8_e32 v[34:35], v6
	v_cvt_pk_f32_fp8_sdwa v[36:37], v6 src0_sel:WORD_1
	v_lshl_or_b32 v50, v60, 9, v46
	s_waitcnt lgkmcnt(0)
	s_barrier
	v_cvt_pk_f32_fp8_e32 v[38:39], v7
	v_cvt_pkrtz_f16_f32 v6, v34, v35
	v_cvt_pk_f32_fp8_sdwa v[40:41], v7 src0_sel:WORD_1
	v_cvt_pkrtz_f16_f32 v7, v36, v37
	ds_read_b128 v[34:37], v50
	v_cvt_pkrtz_f16_f32 v46, v38, v39
	v_cvt_pkrtz_f16_f32 v47, v40, v41
	ds_read_b128 v[38:41], v50 offset:16
	v_cvt_pk_f32_fp8_e32 v[48:49], v8
	v_cvt_pk_f32_fp8_sdwa v[52:53], v8 src0_sel:WORD_1
	s_waitcnt lgkmcnt(1)
	v_mfma_f32_16x16x16_f16 v[42:45], v[6:7], v[34:35], 0
	s_waitcnt vmcnt(6)
	v_cvt_pk_f32_fp8_e32 v[58:59], v4
	v_cvt_pkrtz_f16_f32 v6, v48, v49
	v_cvt_pkrtz_f16_f32 v7, v52, v53
	v_cvt_pk_f32_fp8_e32 v[48:49], v9
	v_mfma_f32_16x16x16_f16 v[42:45], v[46:47], v[36:37], v[42:45]
	v_cvt_pk_f32_fp8_sdwa v[46:47], v9 src0_sel:WORD_1
	v_cvt_pk_f32_fp8_sdwa v[62:63], v4 src0_sel:WORD_1
	v_cvt_pkrtz_f16_f32 v48, v48, v49
	s_waitcnt lgkmcnt(0)
	v_mfma_f32_16x16x16_f16 v[6:9], v[6:7], v[38:39], v[42:45]
	v_cvt_pkrtz_f16_f32 v49, v46, v47
	s_waitcnt vmcnt(5)
	v_cvt_pk_f32_fp8_sdwa v[66:67], v28 src0_sel:WORD_1
	s_waitcnt vmcnt(4)
	v_cvt_pk_f32_fp8_sdwa v[68:69], v24 src0_sel:WORD_1
	v_cvt_pk_f32_fp8_e32 v[42:43], v2
	v_mfma_f32_16x16x16_f16 v[46:49], v[48:49], v[40:41], v[6:9]
	s_waitcnt vmcnt(3)
	v_cvt_pk_f32_fp8_sdwa v[70:71], v32 src0_sel:WORD_1
	s_load_dword s4, s[42:43], 0x0
	v_cvt_pk_f32_fp8_sdwa v[6:7], v2 src0_sel:WORD_1
	v_cvt_pk_f32_fp8_e32 v[8:9], v3
	v_cvt_pkrtz_f16_f32 v2, v42, v43
	v_cvt_pk_f32_fp8_sdwa v[42:43], v3 src0_sel:WORD_1
	v_cvt_pkrtz_f16_f32 v3, v6, v7
	v_cvt_pkrtz_f16_f32 v52, v8, v9
	ds_read_b128 v[6:9], v50 offset:2048
	v_cvt_pkrtz_f16_f32 v53, v42, v43
	ds_read_b128 v[42:45], v50 offset:2064
	s_waitcnt lgkmcnt(0)
	v_mfma_f32_16x16x16_f16 v[46:49], v[2:3], v[6:7], v[46:49]
	v_cvt_pkrtz_f16_f32 v2, v58, v59
	v_cvt_pkrtz_f16_f32 v3, v62, v63
	v_cvt_pk_f32_fp8_e32 v[58:59], v5
	v_mfma_f32_16x16x16_f16 v[46:49], v[52:53], v[8:9], v[46:49]
	v_cvt_pk_f32_fp8_sdwa v[52:53], v5 src0_sel:WORD_1
	s_mov_b32 s3, 0
	v_cvt_pkrtz_f16_f32 v58, v58, v59
	v_mfma_f32_16x16x16_f16 v[2:5], v[2:3], v[42:43], v[46:49]
	v_cvt_pkrtz_f16_f32 v59, v52, v53
	v_cmp_gt_u32_e32 vcc, 64, v0
	s_nop 0
	v_cvt_pk_f32_fp8_e32 v[46:47], v26
	v_mfma_f32_16x16x16_f16 v[62:65], v[58:59], v[44:45], v[2:5]
	v_cvt_pk_f32_fp8_e32 v[58:59], v28
	s_nop 1
	v_cvt_pk_f32_fp8_sdwa v[2:3], v26 src0_sel:WORD_1
	v_cvt_pk_f32_fp8_e32 v[4:5], v27
	v_cvt_pkrtz_f16_f32 v26, v46, v47
	v_cvt_pk_f32_fp8_sdwa v[46:47], v27 src0_sel:WORD_1
	v_cvt_pkrtz_f16_f32 v27, v2, v3
	v_cvt_pkrtz_f16_f32 v52, v4, v5
	ds_read_b128 v[2:5], v50 offset:4096
	v_cvt_pkrtz_f16_f32 v53, v46, v47
	ds_read_b128 v[46:49], v50 offset:4112
	s_waitcnt lgkmcnt(1)
	v_mfma_f32_16x16x16_f16 v[62:65], v[26:27], v[2:3], v[62:65]
	v_cvt_pkrtz_f16_f32 v26, v58, v59
	v_cvt_pkrtz_f16_f32 v27, v66, v67
	v_cvt_pk_f32_fp8_e32 v[58:59], v29
	v_mfma_f32_16x16x16_f16 v[62:65], v[52:53], v[4:5], v[62:65]
	v_cvt_pk_f32_fp8_sdwa v[52:53], v29 src0_sel:WORD_1
	v_cvt_pk_f32_fp8_e32 v[66:67], v24
	v_cvt_pkrtz_f16_f32 v58, v58, v59
	s_waitcnt lgkmcnt(0)
	v_mfma_f32_16x16x16_f16 v[26:29], v[26:27], v[46:47], v[62:65]
	v_cvt_pkrtz_f16_f32 v59, v52, v53
	v_cvt_pk_f32_fp8_e32 v[52:53], v22
	s_nop 0
	v_mfma_f32_16x16x16_f16 v[62:65], v[58:59], v[48:49], v[26:29]
	s_nop 2
	v_cvt_pk_f32_fp8_sdwa v[26:27], v22 src0_sel:WORD_1
	v_cvt_pk_f32_fp8_e32 v[28:29], v23
	v_cvt_pkrtz_f16_f32 v22, v52, v53
	v_cvt_pk_f32_fp8_sdwa v[52:53], v23 src0_sel:WORD_1
	v_cvt_pkrtz_f16_f32 v23, v26, v27
	v_cvt_pkrtz_f16_f32 v58, v28, v29
	ds_read_b128 v[26:29], v50 offset:6144
	v_cvt_pkrtz_f16_f32 v59, v52, v53
	s_waitcnt lgkmcnt(0)
	v_mfma_f32_16x16x16_f16 v[62:65], v[22:23], v[26:27], v[62:65]
	ds_read_b128 v[50:53], v50 offset:6160
	v_cvt_pkrtz_f16_f32 v22, v66, v67
	v_cvt_pkrtz_f16_f32 v23, v68, v69
	v_cvt_pk_f32_fp8_e32 v[66:67], v25
	v_mfma_f32_16x16x16_f16 v[62:65], v[58:59], v[28:29], v[62:65]
	v_cvt_pk_f32_fp8_sdwa v[58:59], v25 src0_sel:WORD_1
	v_cvt_pk_f32_fp8_e32 v[68:69], v32
	v_cvt_pkrtz_f16_f32 v66, v66, v67
	s_waitcnt lgkmcnt(0)
	v_mfma_f32_16x16x16_f16 v[22:25], v[22:23], v[50:51], v[62:65]
	v_cvt_pkrtz_f16_f32 v67, v58, v59
	v_cvt_pk_f32_fp8_e32 v[58:59], v30
	s_nop 0
	v_cvt_pk_f32_fp8_sdwa v[62:63], v30 src0_sel:WORD_1
	v_cvt_pk_f32_fp8_e32 v[64:65], v31
	v_cvt_pkrtz_f16_f32 v58, v58, v59
	v_cvt_pk_f32_fp8_sdwa v[30:31], v31 src0_sel:WORD_1
	v_cvt_pkrtz_f16_f32 v59, v62, v63
	v_mfma_f32_16x16x16_f16 v[22:25], v[66:67], v[52:53], v[22:25]
	v_cvt_pkrtz_f16_f32 v66, v64, v65
	v_cvt_pkrtz_f16_f32 v67, v30, v31
	;; [unrolled: 1-line block ×3, first 2 shown]
	v_mfma_f32_16x16x16_f16 v[62:65], v[58:59], v[34:35], 0
	v_cvt_pkrtz_f16_f32 v31, v70, v71
	v_cvt_pk_f32_fp8_e32 v[58:59], v33
	s_barrier
	v_mfma_f32_16x16x16_f16 v[34:37], v[66:67], v[36:37], v[62:65]
	v_cvt_pkrtz_f16_f32 v58, v58, v59
	s_nop 1
	v_cvt_pk_f32_fp8_sdwa v[62:63], v33 src0_sel:WORD_1
	v_mfma_f32_16x16x16_f16 v[30:33], v[30:31], v[38:39], v[34:37]
	s_waitcnt vmcnt(2)
	v_cvt_pk_f32_fp8_e32 v[38:39], v19
	v_cvt_pkrtz_f16_f32 v59, v62, v63
	v_cvt_pk_f32_fp8_e32 v[34:35], v18
	v_cvt_pk_f32_fp8_sdwa v[36:37], v18 src0_sel:WORD_1
	v_cvt_pk_f32_fp8_sdwa v[18:19], v19 src0_sel:WORD_1
	v_mfma_f32_16x16x16_f16 v[30:33], v[58:59], v[40:41], v[30:33]
	v_cvt_pkrtz_f16_f32 v34, v34, v35
	v_cvt_pkrtz_f16_f32 v35, v36, v37
	;; [unrolled: 1-line block ×3, first 2 shown]
	v_cvt_pk_f32_fp8_e32 v[38:39], v20
	v_cvt_pk_f32_fp8_sdwa v[40:41], v20 src0_sel:WORD_1
	v_cvt_pkrtz_f16_f32 v37, v18, v19
	v_mfma_f32_16x16x16_f16 v[30:33], v[34:35], v[6:7], v[30:33]
	v_cvt_pkrtz_f16_f32 v18, v38, v39
	v_cvt_pkrtz_f16_f32 v19, v40, v41
	v_cvt_pk_f32_fp8_e32 v[34:35], v21
	v_cvt_pk_f32_fp8_sdwa v[20:21], v21 src0_sel:WORD_1
	v_mfma_f32_16x16x16_f16 v[6:9], v[36:37], v[8:9], v[30:33]
	s_nop 2
	v_cvt_pkrtz_f16_f32 v30, v34, v35
	v_cvt_pkrtz_f16_f32 v31, v20, v21
	v_mfma_f32_16x16x16_f16 v[6:9], v[18:19], v[42:43], v[6:9]
	s_waitcnt vmcnt(1)
	v_cvt_pk_f32_fp8_e32 v[18:19], v14
	v_cvt_pk_f32_fp8_sdwa v[20:21], v14 src0_sel:WORD_1
	v_cvt_pk_f32_fp8_sdwa v[32:33], v16 src0_sel:WORD_1
	v_mfma_f32_16x16x16_f16 v[6:9], v[30:31], v[44:45], v[6:9]
	v_cvt_pk_f32_fp8_e32 v[30:31], v15
	v_cvt_pkrtz_f16_f32 v18, v18, v19
	v_cvt_pkrtz_f16_f32 v19, v20, v21
	v_cvt_pk_f32_fp8_sdwa v[14:15], v15 src0_sel:WORD_1
	v_cvt_pkrtz_f16_f32 v20, v30, v31
	v_cvt_pk_f32_fp8_e32 v[30:31], v16
	v_mfma_f32_16x16x16_f16 v[6:9], v[18:19], v[2:3], v[6:9]
	v_cvt_pkrtz_f16_f32 v21, v14, v15
	v_cvt_pkrtz_f16_f32 v14, v30, v31
	;; [unrolled: 1-line block ×3, first 2 shown]
	v_cvt_pk_f32_fp8_e32 v[18:19], v17
	v_cvt_pk_f32_fp8_sdwa v[16:17], v17 src0_sel:WORD_1
	v_mfma_f32_16x16x16_f16 v[2:5], v[20:21], v[4:5], v[6:9]
	s_waitcnt vmcnt(0)
	v_cvt_pk_f32_fp8_sdwa v[20:21], v12 src0_sel:WORD_1
	s_nop 0
	v_cvt_pkrtz_f16_f32 v8, v18, v19
	v_cvt_pkrtz_f16_f32 v9, v16, v17
	v_mfma_f32_16x16x16_f16 v[2:5], v[14:15], v[46:47], v[2:5]
	v_cvt_pk_f32_fp8_e32 v[16:17], v10
	v_cvt_pk_f32_fp8_sdwa v[18:19], v10 src0_sel:WORD_1
	v_pk_mul_f32 v[6:7], v[24:25], s[4:5] op_sel_hi:[1,0]
	v_mfma_f32_16x16x16_f16 v[2:5], v[8:9], v[48:49], v[2:5]
	v_cvt_pk_f32_fp8_e32 v[8:9], v11
	v_cvt_pkrtz_f16_f32 v16, v16, v17
	v_cvt_pkrtz_f16_f32 v17, v18, v19
	v_cvt_pk_f32_fp8_sdwa v[10:11], v11 src0_sel:WORD_1
	v_cvt_pkrtz_f16_f32 v8, v8, v9
	v_cvt_pk_f32_fp8_e32 v[18:19], v12
	v_mfma_f32_16x16x16_f16 v[2:5], v[16:17], v[26:27], v[2:5]
	v_cvt_pkrtz_f16_f32 v9, v10, v11
	v_cvt_pkrtz_f16_f32 v10, v18, v19
	;; [unrolled: 1-line block ×3, first 2 shown]
	v_cvt_pk_f32_fp8_e32 v[16:17], v13
	v_cvt_pk_f32_fp8_sdwa v[12:13], v13 src0_sel:WORD_1
	v_mfma_f32_16x16x16_f16 v[2:5], v[8:9], v[28:29], v[2:5]
	v_pk_mul_f32 v[14:15], v[22:23], s[4:5] op_sel_hi:[1,0]
	v_cvt_pkrtz_f16_f32 v8, v16, v17
	v_cvt_pkrtz_f16_f32 v9, v12, v13
	v_mfma_f32_16x16x16_f16 v[2:5], v[10:11], v[50:51], v[2:5]
	v_cvt_f16_f32_e32 v14, v14
	v_cvt_f16_f32_e32 v10, v15
	;; [unrolled: 1-line block ×3, first 2 shown]
	v_mfma_f32_16x16x16_f16 v[2:5], v[8:9], v[52:53], v[2:5]
	v_cvt_f16_f32_e32 v7, v7
	s_nop 5
	v_pk_mul_f32 v[4:5], v[4:5], s[4:5] op_sel_hi:[1,0]
	v_pk_mul_f32 v[2:3], v[2:3], s[4:5] op_sel_hi:[1,0]
	v_cvt_f16_f32_e32 v11, v4
	v_cvt_f16_f32_e32 v8, v2
	;; [unrolled: 1-line block ×4, first 2 shown]
	v_pack_b32_f16 v2, v14, v10
	v_pack_b32_f16 v3, v6, v7
	;; [unrolled: 1-line block ×4, first 2 shown]
	ds_write2st64_b64 v55, v[2:3], v[4:5] offset1:1
	s_waitcnt lgkmcnt(0)
	s_barrier
	s_and_saveexec_b64 s[4:5], vcc
	s_cbranch_execz .LBB933_20
; %bb.18:
	s_load_dwordx2 s[4:5], s[0:1], 0x68
	s_lshl_b32 s0, s7, 7
	s_mul_i32 s1, s8, s2
	v_lshlrev_b32_e32 v4, 6, v56
	s_mul_hi_u32 s9, s1, s0
	s_mul_i32 s8, s1, s0
	v_lshl_or_b32 v0, v0, 10, v4
	s_lshl_b64 s[8:9], s[8:9], 1
	v_lshlrev_b32_e32 v3, 5, v60
	v_and_b32_e32 v1, 16, v1
	v_and_b32_e32 v0, 0x1a00, v0
	s_waitcnt lgkmcnt(0)
	s_add_u32 s1, s4, s8
	v_or3_b32 v3, v0, v3, v1
	s_addc_u32 s4, s5, s9
	s_lshl_b32 s2, s6, 7
	s_lshl_b64 s[2:3], s[2:3], 1
	ds_read_b128 v[4:7], v3
	s_add_u32 s2, s1, s2
	s_addc_u32 s3, s4, s3
	v_mov_b32_e32 v55, 0
	v_add_u32_e32 v8, s48, v60
	v_or_b32_e32 v2, 4, v60
	v_lshl_add_u64 v[0:1], s[2:3], 0, v[54:55]
	v_mad_u64_u32 v[8:9], s[2:3], v8, s0, 0
	v_lshl_add_u64 v[8:9], v[8:9], 1, v[0:1]
	v_cmp_gt_u32_e32 vcc, 6, v2
	s_waitcnt lgkmcnt(0)
	global_store_dwordx4 v[8:9], v[4:7], off
	s_and_b64 exec, exec, vcc
	s_cbranch_execz .LBB933_20
; %bb.19:
	ds_read_b128 v[4:7], v3 offset:128
	v_add_u32_e32 v2, s48, v2
	v_mad_u64_u32 v[2:3], s[0:1], v2, s0, 0
	v_lshl_add_u64 v[0:1], v[2:3], 1, v[0:1]
	s_waitcnt lgkmcnt(0)
	global_store_dwordx4 v[0:1], v[4:7], off
.LBB933_20:
	s_endpgm
	.section	.rodata,"a",@progbits
	.p2align	6, 0x0
	.amdhsa_kernel _Z39paged_attention_ll4mi_QKV_mfma16_kernelIDF16_hLN4vllm18Fp8KVCacheDataTypeE1EhLi16ELi128ELi256ELb1ELi6EEvPKT_PKT0_S7_ifPKiS9_S9_iPKfiiiPfSC_PS2_PT2_iSB_SB_
		.amdhsa_group_segment_fixed_size 8192
		.amdhsa_private_segment_fixed_size 0
		.amdhsa_kernarg_size 400
		.amdhsa_user_sgpr_count 2
		.amdhsa_user_sgpr_dispatch_ptr 0
		.amdhsa_user_sgpr_queue_ptr 0
		.amdhsa_user_sgpr_kernarg_segment_ptr 1
		.amdhsa_user_sgpr_dispatch_id 0
		.amdhsa_user_sgpr_kernarg_preload_length 0
		.amdhsa_user_sgpr_kernarg_preload_offset 0
		.amdhsa_user_sgpr_private_segment_size 0
		.amdhsa_uses_dynamic_stack 0
		.amdhsa_enable_private_segment 0
		.amdhsa_system_sgpr_workgroup_id_x 1
		.amdhsa_system_sgpr_workgroup_id_y 1
		.amdhsa_system_sgpr_workgroup_id_z 1
		.amdhsa_system_sgpr_workgroup_info 0
		.amdhsa_system_vgpr_workitem_id 0
		.amdhsa_next_free_vgpr 76
		.amdhsa_next_free_sgpr 50
		.amdhsa_accum_offset 76
		.amdhsa_reserve_vcc 1
		.amdhsa_float_round_mode_32 0
		.amdhsa_float_round_mode_16_64 0
		.amdhsa_float_denorm_mode_32 3
		.amdhsa_float_denorm_mode_16_64 3
		.amdhsa_dx10_clamp 1
		.amdhsa_ieee_mode 1
		.amdhsa_fp16_overflow 0
		.amdhsa_tg_split 0
		.amdhsa_exception_fp_ieee_invalid_op 0
		.amdhsa_exception_fp_denorm_src 0
		.amdhsa_exception_fp_ieee_div_zero 0
		.amdhsa_exception_fp_ieee_overflow 0
		.amdhsa_exception_fp_ieee_underflow 0
		.amdhsa_exception_fp_ieee_inexact 0
		.amdhsa_exception_int_div_zero 0
	.end_amdhsa_kernel
	.section	.text._Z39paged_attention_ll4mi_QKV_mfma16_kernelIDF16_hLN4vllm18Fp8KVCacheDataTypeE1EhLi16ELi128ELi256ELb1ELi6EEvPKT_PKT0_S7_ifPKiS9_S9_iPKfiiiPfSC_PS2_PT2_iSB_SB_,"axG",@progbits,_Z39paged_attention_ll4mi_QKV_mfma16_kernelIDF16_hLN4vllm18Fp8KVCacheDataTypeE1EhLi16ELi128ELi256ELb1ELi6EEvPKT_PKT0_S7_ifPKiS9_S9_iPKfiiiPfSC_PS2_PT2_iSB_SB_,comdat
.Lfunc_end933:
	.size	_Z39paged_attention_ll4mi_QKV_mfma16_kernelIDF16_hLN4vllm18Fp8KVCacheDataTypeE1EhLi16ELi128ELi256ELb1ELi6EEvPKT_PKT0_S7_ifPKiS9_S9_iPKfiiiPfSC_PS2_PT2_iSB_SB_, .Lfunc_end933-_Z39paged_attention_ll4mi_QKV_mfma16_kernelIDF16_hLN4vllm18Fp8KVCacheDataTypeE1EhLi16ELi128ELi256ELb1ELi6EEvPKT_PKT0_S7_ifPKiS9_S9_iPKfiiiPfSC_PS2_PT2_iSB_SB_
                                        ; -- End function
	.section	.AMDGPU.csdata,"",@progbits
; Kernel info:
; codeLenInByte = 6292
; NumSgprs: 56
; NumVgprs: 76
; NumAgprs: 0
; TotalNumVgprs: 76
; ScratchSize: 0
; MemoryBound: 0
; FloatMode: 240
; IeeeMode: 1
; LDSByteSize: 8192 bytes/workgroup (compile time only)
; SGPRBlocks: 6
; VGPRBlocks: 9
; NumSGPRsForWavesPerEU: 56
; NumVGPRsForWavesPerEU: 76
; AccumOffset: 76
; Occupancy: 6
; WaveLimiterHint : 1
; COMPUTE_PGM_RSRC2:SCRATCH_EN: 0
; COMPUTE_PGM_RSRC2:USER_SGPR: 2
; COMPUTE_PGM_RSRC2:TRAP_HANDLER: 0
; COMPUTE_PGM_RSRC2:TGID_X_EN: 1
; COMPUTE_PGM_RSRC2:TGID_Y_EN: 1
; COMPUTE_PGM_RSRC2:TGID_Z_EN: 1
; COMPUTE_PGM_RSRC2:TIDIG_COMP_CNT: 0
; COMPUTE_PGM_RSRC3_GFX90A:ACCUM_OFFSET: 18
; COMPUTE_PGM_RSRC3_GFX90A:TG_SPLIT: 0
	.section	.text._Z39paged_attention_ll4mi_QKV_mfma16_kernelIDF16_hLN4vllm18Fp8KVCacheDataTypeE1EhLi16ELi128ELi256ELb1ELi7EEvPKT_PKT0_S7_ifPKiS9_S9_iPKfiiiPfSC_PS2_PT2_iSB_SB_,"axG",@progbits,_Z39paged_attention_ll4mi_QKV_mfma16_kernelIDF16_hLN4vllm18Fp8KVCacheDataTypeE1EhLi16ELi128ELi256ELb1ELi7EEvPKT_PKT0_S7_ifPKiS9_S9_iPKfiiiPfSC_PS2_PT2_iSB_SB_,comdat
	.protected	_Z39paged_attention_ll4mi_QKV_mfma16_kernelIDF16_hLN4vllm18Fp8KVCacheDataTypeE1EhLi16ELi128ELi256ELb1ELi7EEvPKT_PKT0_S7_ifPKiS9_S9_iPKfiiiPfSC_PS2_PT2_iSB_SB_ ; -- Begin function _Z39paged_attention_ll4mi_QKV_mfma16_kernelIDF16_hLN4vllm18Fp8KVCacheDataTypeE1EhLi16ELi128ELi256ELb1ELi7EEvPKT_PKT0_S7_ifPKiS9_S9_iPKfiiiPfSC_PS2_PT2_iSB_SB_
	.globl	_Z39paged_attention_ll4mi_QKV_mfma16_kernelIDF16_hLN4vllm18Fp8KVCacheDataTypeE1EhLi16ELi128ELi256ELb1ELi7EEvPKT_PKT0_S7_ifPKiS9_S9_iPKfiiiPfSC_PS2_PT2_iSB_SB_
	.p2align	8
	.type	_Z39paged_attention_ll4mi_QKV_mfma16_kernelIDF16_hLN4vllm18Fp8KVCacheDataTypeE1EhLi16ELi128ELi256ELb1ELi7EEvPKT_PKT0_S7_ifPKiS9_S9_iPKfiiiPfSC_PS2_PT2_iSB_SB_,@function
_Z39paged_attention_ll4mi_QKV_mfma16_kernelIDF16_hLN4vllm18Fp8KVCacheDataTypeE1EhLi16ELi128ELi256ELb1ELi7EEvPKT_PKT0_S7_ifPKiS9_S9_iPKfiiiPfSC_PS2_PT2_iSB_SB_: ; @_Z39paged_attention_ll4mi_QKV_mfma16_kernelIDF16_hLN4vllm18Fp8KVCacheDataTypeE1EhLi16ELi128ELi256ELb1ELi7EEvPKT_PKT0_S7_ifPKiS9_S9_iPKfiiiPfSC_PS2_PT2_iSB_SB_
; %bb.0:
	s_load_dwordx2 s[10:11], s[0:1], 0x30
	s_mov_b32 s6, s3
	s_mov_b64 s[8:9], 0
	s_waitcnt lgkmcnt(0)
	s_cmp_lg_u64 s[10:11], 0
	s_cselect_b64 s[12:13], -1, 0
	s_and_b64 vcc, exec, s[12:13]
	s_cbranch_vccz .LBB934_7
; %bb.1:
	s_add_i32 s14, s2, 1
	s_mov_b32 s15, 0
	s_lshl_b64 s[16:17], s[14:15], 2
	s_add_u32 s16, s10, s16
	s_mov_b32 s3, s15
	s_addc_u32 s17, s11, s17
	s_lshl_b64 s[14:15], s[2:3], 2
	s_add_u32 s14, s10, s14
	s_addc_u32 s15, s11, s15
	s_load_dword s5, s[16:17], 0x0
	s_load_dword s7, s[14:15], 0x0
	s_waitcnt lgkmcnt(0)
	s_sub_i32 s5, s5, s7
	s_cmp_eq_u32 s5, 1
	s_cselect_b64 s[14:15], -1, 0
	s_andn2_b64 vcc, exec, s[8:9]
	s_cbranch_vccnz .LBB934_3
.LBB934_2:
	s_mov_b32 s3, 0
	s_mov_b64 s[14:15], -1
.LBB934_3:
	s_andn2_b64 vcc, exec, s[14:15]
	s_cbranch_vccnz .LBB934_20
; %bb.4:
	s_load_dwordx2 s[8:9], s[0:1], 0x28
	s_lshl_b64 s[16:17], s[2:3], 2
	s_waitcnt lgkmcnt(0)
	s_add_u32 s8, s8, s16
	s_addc_u32 s9, s9, s17
	s_load_dword s7, s[8:9], 0x0
	s_lshl_b32 s18, s6, 8
	s_waitcnt lgkmcnt(0)
	s_cmp_ge_i32 s18, s7
	s_cbranch_scc1 .LBB934_20
; %bb.5:
	s_load_dwordx2 s[8:9], s[0:1], 0x20
	s_load_dword s5, s[0:1], 0x38
	s_add_i32 s14, s7, 15
	s_ashr_i32 s15, s14, 31
	v_and_b32_e32 v1, 0xcf, v0
	s_lshr_b32 s15, s15, 28
	v_add_u32_e32 v1, s18, v1
	s_add_i32 s14, s14, s15
	v_ashrrev_i32_e32 v2, 31, v1
	s_ashr_i32 s19, s14, 4
	v_lshrrev_b32_e32 v4, 28, v2
	s_add_i32 s19, s19, -1
	s_waitcnt lgkmcnt(0)
	s_mul_i32 s14, s2, s5
	s_mov_b32 s15, 0
	v_add_u32_e32 v2, v1, v4
	s_lshl_b64 s[14:15], s[14:15], 2
	v_ashrrev_i32_e32 v2, 4, v2
	v_mov_b32_e32 v5, s19
	v_cmp_gt_i32_e32 vcc, s7, v1
	s_add_u32 s8, s8, s14
	s_addc_u32 s9, s9, s15
	v_cndmask_b32_e32 v2, v5, v2, vcc
	v_ashrrev_i32_e32 v3, 31, v2
	v_lshl_add_u64 v[6:7], v[2:3], 2, s[8:9]
	v_or_b32_e32 v2, 16, v1
	v_add_u32_e32 v3, v2, v4
	v_ashrrev_i32_e32 v3, 4, v3
	v_cmp_gt_i32_e32 vcc, s7, v2
	s_load_dwordx2 s[14:15], s[0:1], 0x8
	s_nop 0
	v_cndmask_b32_e32 v2, v5, v3, vcc
	v_ashrrev_i32_e32 v3, 31, v2
	v_lshl_add_u64 v[8:9], v[2:3], 2, s[8:9]
	v_or_b32_e32 v2, 32, v1
	v_add_u32_e32 v3, v2, v4
	v_ashrrev_i32_e32 v3, 4, v3
	v_cmp_gt_i32_e32 vcc, s7, v2
	v_or_b32_e32 v1, 48, v1
	s_nop 0
	v_cndmask_b32_e32 v2, v5, v3, vcc
	v_ashrrev_i32_e32 v3, 31, v2
	v_lshl_add_u64 v[12:13], v[2:3], 2, s[8:9]
	v_add_u32_e32 v2, v1, v4
	v_ashrrev_i32_e32 v2, 4, v2
	v_cmp_gt_i32_e32 vcc, s7, v1
	s_nop 1
	v_cndmask_b32_e32 v2, v5, v2, vcc
	v_ashrrev_i32_e32 v3, 31, v2
	v_lshl_add_u64 v[14:15], v[2:3], 2, s[8:9]
	global_load_dword v4, v[6:7], off
	global_load_dword v3, v[8:9], off
	;; [unrolled: 1-line block ×4, first 2 shown]
	s_andn2_b64 vcc, exec, s[12:13]
	s_cbranch_vccnz .LBB934_8
; %bb.6:
	s_add_u32 s10, s10, s16
	s_addc_u32 s11, s11, s17
	s_load_dword s5, s[10:11], 0x0
	s_branch .LBB934_9
.LBB934_7:
	s_mov_b64 s[14:15], 0
	s_branch .LBB934_2
.LBB934_8:
	s_mov_b32 s5, s2
.LBB934_9:
	s_load_dwordx2 s[10:11], s[0:1], 0x10
	s_load_dwordx4 s[44:47], s[0:1], 0x48
	v_lshrrev_b32_e32 v57, 6, v0
	v_bfe_u32 v60, v0, 4, 2
	v_and_b32_e32 v56, 15, v0
	v_lshl_or_b32 v5, v57, 2, v60
	v_lshlrev_b32_e32 v1, 3, v56
	s_mul_i32 s48, s4, 7
	v_cmp_gt_u32_e32 vcc, 7, v5
	v_lshlrev_b32_e32 v54, 1, v1
	v_lshlrev_b32_e32 v1, 4, v0
	s_and_saveexec_b64 s[12:13], vcc
	s_cbranch_execz .LBB934_11
; %bb.10:
	s_load_dwordx2 s[16:17], s[0:1], 0x0
	s_waitcnt lgkmcnt(0)
	s_ashr_i32 s20, s44, 31
	s_mul_hi_u32 s21, s5, s44
	s_mul_i32 s20, s5, s20
	s_add_i32 s21, s21, s20
	s_mul_i32 s20, s5, s44
	s_lshl_b64 s[20:21], s[20:21], 1
	s_add_u32 s16, s16, s20
	v_add_lshl_u32 v6, v5, s48, 7
	s_addc_u32 s17, s17, s21
	v_ashrrev_i32_e32 v7, 31, v6
	v_lshl_add_u64 v[6:7], v[6:7], 1, s[16:17]
	v_mov_b32_e32 v55, 0
	v_lshl_add_u64 v[6:7], v[6:7], 0, v[54:55]
	global_load_dwordx4 v[6:9], v[6:7], off
	v_lshlrev_b32_e32 v12, 8, v0
	v_lshlrev_b32_e32 v11, 8, v56
	v_and_b32_e32 v12, 0x600, v12
	s_movk_i32 s5, 0x800
	v_and_or_b32 v11, v11, s5, v12
	v_lshlrev_b32_e32 v5, 5, v5
	v_and_b32_e32 v12, 16, v1
	v_or3_b32 v5, v11, v5, v12
	s_waitcnt vmcnt(0)
	ds_write_b128 v5, v[6:9]
.LBB934_11:
	s_or_b64 exec, exec, s[12:13]
	s_waitcnt lgkmcnt(0)
	s_mul_i32 s12, s4, s46
	s_add_u32 s4, s14, s12
	s_addc_u32 s5, s15, 0
	v_and_b32_e32 v58, 0xf0, v1
	v_mov_b32_e32 v59, 0
	v_and_b32_e32 v34, 48, v0
	v_lshl_add_u64 v[12:13], s[4:5], 0, v[58:59]
	v_lshlrev_b32_e32 v58, 4, v34
	s_waitcnt vmcnt(3)
	v_mad_i64_i32 v[4:5], s[4:5], v4, s45, v[12:13]
	v_lshl_add_u64 v[4:5], v[4:5], 0, v[58:59]
	s_barrier
	global_load_dwordx4 v[50:53], v[4:5], off
	global_load_dwordx4 v[46:49], v[4:5], off offset:1024
	s_waitcnt vmcnt(4)
	v_mad_i64_i32 v[4:5], s[4:5], v3, s45, v[12:13]
	s_waitcnt vmcnt(3)
	v_mad_i64_i32 v[2:3], s[4:5], v2, s45, v[12:13]
	v_lshl_add_u64 v[4:5], v[4:5], 0, v[58:59]
	v_lshl_add_u64 v[14:15], v[2:3], 0, v[58:59]
	s_waitcnt vmcnt(2)
	v_mad_i64_i32 v[10:11], s[4:5], v10, s45, v[12:13]
	global_load_dwordx4 v[36:39], v[4:5], off
	global_load_dwordx4 v[6:9], v[4:5], off offset:1024
	s_nop 0
	global_load_dwordx4 v[2:5], v[14:15], off
	global_load_dwordx4 v[42:45], v[14:15], off offset:1024
	v_lshl_add_u64 v[14:15], v[10:11], 0, v[58:59]
	global_load_dwordx4 v[22:25], v[14:15], off
	global_load_dwordx4 v[10:13], v[14:15], off offset:1024
	v_mul_lo_u16_e32 v14, 37, v56
	v_mov_b32_e32 v15, 7
	v_mul_lo_u16_sdwa v14, v14, v15 dst_sel:DWORD dst_unused:UNUSED_PAD src0_sel:BYTE_1 src1_sel:DWORD
	v_sub_u16_e32 v14, v56, v14
	v_mov_b32_e32 v15, 5
	v_lshlrev_b32_sdwa v14, v15, v14 dst_sel:DWORD dst_unused:UNUSED_PAD src0_sel:DWORD src1_sel:BYTE_0
	v_lshl_add_u32 v14, v60, 9, v14
	ds_read_b128 v[30:33], v14
	ds_read_b128 v[26:29], v14 offset:16
	ds_read_b128 v[18:21], v14 offset:2048
	;; [unrolled: 1-line block ×3, first 2 shown]
	v_and_b32_e32 v55, 63, v0
	v_cmp_gt_u32_e32 vcc, 7, v56
	v_mov_b32_e32 v61, 0
	s_and_saveexec_b64 s[4:5], vcc
	s_cbranch_execz .LBB934_13
; %bb.12:
	s_load_dwordx2 s[14:15], s[0:1], 0x40
	v_add_u32_e32 v40, s48, v56
	v_ashrrev_i32_e32 v41, 31, v40
	s_waitcnt lgkmcnt(0)
	v_lshl_add_u64 v[40:41], v[40:41], 2, s[14:15]
	global_load_dword v61, v[40:41], off
.LBB934_13:
	s_or_b64 exec, exec, s[4:5]
	v_or_b32_e32 v58, s18, v34
	v_ashrrev_i32_e32 v34, 4, v58
	v_mov_b32_e32 v63, s19
	v_cmp_gt_i32_e32 vcc, s7, v58
	s_waitcnt vmcnt(7)
	v_cvt_pk_f32_fp8_e32 v[40:41], v50
	v_cvt_pk_f32_fp8_sdwa v[64:65], v50 src0_sel:WORD_1
	v_cndmask_b32_e32 v34, v63, v34, vcc
	v_ashrrev_i32_e32 v35, 31, v34
	v_lshl_add_u64 v[34:35], v[34:35], 2, s[8:9]
	global_load_dword v62, v[34:35], off
	v_or_b32_e32 v34, 64, v58
	v_ashrrev_i32_e32 v35, 4, v34
	v_cmp_gt_i32_e32 vcc, s7, v34
	v_or_b32_e32 v66, 0x80, v58
	v_ashrrev_i32_e32 v67, 4, v66
	v_cndmask_b32_e32 v34, v63, v35, vcc
	v_cmp_gt_i32_e32 vcc, s7, v66
	v_cvt_pkrtz_f16_f32 v40, v40, v41
	v_cvt_pkrtz_f16_f32 v41, v64, v65
	v_cndmask_b32_e32 v50, v63, v67, vcc
	v_cvt_pk_f32_fp8_e32 v[64:65], v51
	v_cvt_pk_f32_fp8_sdwa v[66:67], v51 src0_sel:WORD_1
	v_ashrrev_i32_e32 v51, 31, v50
	v_lshl_add_u64 v[68:69], v[50:51], 2, s[8:9]
	v_cvt_pkrtz_f16_f32 v50, v64, v65
	v_cvt_pkrtz_f16_f32 v51, v66, v67
	s_waitcnt lgkmcnt(3)
	v_mfma_f32_16x16x16_f16 v[64:67], v[40:41], v[30:31], 0
	v_cvt_pk_f32_fp8_e32 v[40:41], v52
	v_cvt_pk_f32_fp8_sdwa v[70:71], v52 src0_sel:WORD_1
	s_waitcnt vmcnt(7)
	v_cvt_pk_f32_fp8_e32 v[72:73], v46
	v_mfma_f32_16x16x16_f16 v[64:67], v[50:51], v[32:33], v[64:67]
	v_cvt_pk_f32_fp8_e32 v[50:51], v53
	v_cvt_pkrtz_f16_f32 v40, v40, v41
	v_cvt_pkrtz_f16_f32 v41, v70, v71
	v_cvt_pk_f32_fp8_sdwa v[52:53], v53 src0_sel:WORD_1
	v_cvt_pkrtz_f16_f32 v70, v50, v51
	v_cvt_pk_f32_fp8_sdwa v[74:75], v46 src0_sel:WORD_1
	v_ashrrev_i32_e32 v35, 31, v34
	v_cvt_pkrtz_f16_f32 v71, v52, v53
	s_waitcnt lgkmcnt(2)
	v_mfma_f32_16x16x16_f16 v[50:53], v[40:41], v[26:27], v[64:67]
	v_cvt_pkrtz_f16_f32 v40, v72, v73
	v_cvt_pkrtz_f16_f32 v41, v74, v75
	v_or_b32_e32 v58, 0xc0, v58
	v_cvt_pk_f32_fp8_e32 v[64:65], v47
	v_cvt_pk_f32_fp8_sdwa v[46:47], v47 src0_sel:WORD_1
	v_mfma_f32_16x16x16_f16 v[50:53], v[70:71], v[28:29], v[50:53]
	v_lshl_add_u64 v[34:35], v[34:35], 2, s[8:9]
	v_cvt_pkrtz_f16_f32 v64, v64, v65
	v_cvt_pkrtz_f16_f32 v65, v46, v47
	s_waitcnt lgkmcnt(1)
	v_mfma_f32_16x16x16_f16 v[50:53], v[40:41], v[18:19], v[50:53]
	v_ashrrev_i32_e32 v66, 4, v58
	v_cmp_gt_i32_e32 vcc, s7, v58
	v_cvt_pk_f32_fp8_e32 v[46:47], v48
	s_waitcnt vmcnt(6)
	v_cvt_pk_f32_fp8_sdwa v[70:71], v36 src0_sel:WORD_1
	v_cndmask_b32_e32 v40, v63, v66, vcc
	v_mfma_f32_16x16x16_f16 v[64:67], v[64:65], v[20:21], v[50:53]
	v_ashrrev_i32_e32 v41, 31, v40
	v_lshl_add_u64 v[40:41], v[40:41], 2, s[8:9]
	v_cvt_pkrtz_f16_f32 v46, v46, v47
	global_load_dword v53, v[34:35], off
	global_load_dword v63, v[40:41], off
	v_cvt_pk_f32_fp8_sdwa v[50:51], v48 src0_sel:WORD_1
	v_cvt_pk_f32_fp8_e32 v[34:35], v49
	v_cvt_pk_f32_fp8_sdwa v[48:49], v49 src0_sel:WORD_1
	s_add_u32 s46, s10, s12
	v_cvt_pkrtz_f16_f32 v47, v50, v51
	v_cvt_pkrtz_f16_f32 v34, v34, v35
	;; [unrolled: 1-line block ×3, first 2 shown]
	s_waitcnt lgkmcnt(0)
	v_mfma_f32_16x16x16_f16 v[46:49], v[46:47], v[14:15], v[64:67]
	v_cvt_pk_f32_fp8_e32 v[50:51], v36
	s_nop 1
	global_load_dword v64, v[68:69], off
	v_cvt_pk_f32_fp8_e32 v[66:67], v37
	s_waitcnt vmcnt(8)
	v_cvt_pk_f32_fp8_e32 v[68:69], v6
	v_cvt_pkrtz_f16_f32 v50, v50, v51
	v_cvt_pkrtz_f16_f32 v51, v70, v71
	v_cvt_pk_f32_fp8_sdwa v[70:71], v37 src0_sel:WORD_1
	v_cvt_pkrtz_f16_f32 v40, v66, v67
	v_mfma_f32_16x16x16_f16 v[34:37], v[34:35], v[16:17], v[46:49]
	v_cvt_pk_f32_fp8_sdwa v[66:67], v38 src0_sel:WORD_1
	v_cvt_pkrtz_f16_f32 v41, v70, v71
	v_cvt_pk_f32_fp8_sdwa v[70:71], v6 src0_sel:WORD_1
	v_mfma_f32_16x16x16_f16 v[46:49], v[50:51], v[30:31], 0
	v_cvt_pk_f32_fp8_e32 v[50:51], v38
	v_lshl_or_b32 v52, v57, 4, v56
	s_waitcnt vmcnt(6)
	v_cvt_pk_f32_fp8_e32 v[72:73], v43
	v_mfma_f32_16x16x16_f16 v[46:49], v[40:41], v[32:33], v[46:49]
	v_cvt_pk_f32_fp8_e32 v[40:41], v39
	v_cvt_pkrtz_f16_f32 v50, v50, v51
	v_cvt_pkrtz_f16_f32 v51, v66, v67
	v_cvt_pk_f32_fp8_sdwa v[38:39], v39 src0_sel:WORD_1
	v_cvt_pkrtz_f16_f32 v66, v40, v41
	s_addc_u32 s47, s11, 0
	v_lshlrev_b32_e32 v58, 4, v52
	v_cvt_pkrtz_f16_f32 v67, v38, v39
	v_mfma_f32_16x16x16_f16 v[38:41], v[50:51], v[26:27], v[46:49]
	v_cvt_pk_f32_fp8_sdwa v[50:51], v2 src0_sel:WORD_1
	s_nop 1
	v_cvt_pkrtz_f16_f32 v46, v68, v69
	v_cvt_pkrtz_f16_f32 v47, v70, v71
	v_cvt_pk_f32_fp8_e32 v[48:49], v7
	v_cvt_pk_f32_fp8_sdwa v[6:7], v7 src0_sel:WORD_1
	v_mfma_f32_16x16x16_f16 v[38:41], v[66:67], v[28:29], v[38:41]
	v_lshl_add_u64 v[70:71], s[46:47], 0, v[58:59]
	v_cvt_pkrtz_f16_f32 v48, v48, v49
	v_cvt_pkrtz_f16_f32 v49, v6, v7
	v_mfma_f32_16x16x16_f16 v[38:41], v[46:47], v[18:19], v[38:41]
	v_cvt_pk_f32_fp8_e32 v[6:7], v8
	v_cvt_pk_f32_fp8_sdwa v[46:47], v8 src0_sel:WORD_1
	v_or_b32_e32 v58, 0x400, v58
	v_mfma_f32_16x16x16_f16 v[38:41], v[48:49], v[20:21], v[38:41]
	v_cvt_pk_f32_fp8_e32 v[48:49], v9
	v_cvt_pkrtz_f16_f32 v6, v6, v7
	v_cvt_pkrtz_f16_f32 v7, v46, v47
	v_cvt_pk_f32_fp8_sdwa v[8:9], v9 src0_sel:WORD_1
	v_cvt_pkrtz_f16_f32 v46, v48, v49
	v_cvt_pk_f32_fp8_e32 v[48:49], v2
	v_cvt_pkrtz_f16_f32 v47, v8, v9
	v_mfma_f32_16x16x16_f16 v[6:9], v[6:7], v[14:15], v[38:41]
	v_cvt_pkrtz_f16_f32 v48, v48, v49
	v_cvt_pkrtz_f16_f32 v49, v50, v51
	v_cvt_pk_f32_fp8_e32 v[50:51], v3
	v_cvt_pk_f32_fp8_sdwa v[2:3], v3 src0_sel:WORD_1
	v_mfma_f32_16x16x16_f16 v[38:41], v[46:47], v[16:17], v[6:9]
	v_cvt_pkrtz_f16_f32 v46, v50, v51
	v_cvt_pkrtz_f16_f32 v47, v2, v3
	v_mfma_f32_16x16x16_f16 v[6:9], v[48:49], v[30:31], 0
	v_cvt_pk_f32_fp8_e32 v[2:3], v4
	v_cvt_pk_f32_fp8_sdwa v[48:49], v4 src0_sel:WORD_1
	s_waitcnt vmcnt(3)
	v_mad_i64_i32 v[50:51], s[4:5], v62, s45, v[70:71]
	v_cvt_pkrtz_f16_f32 v2, v2, v3
	v_cvt_pkrtz_f16_f32 v3, v48, v49
	v_mfma_f32_16x16x16_f16 v[6:9], v[46:47], v[32:33], v[6:9]
	v_cvt_pk_f32_fp8_e32 v[46:47], v5
	v_cvt_pk_f32_fp8_sdwa v[4:5], v5 src0_sel:WORD_1
	s_waitcnt vmcnt(2)
	v_mad_i64_i32 v[66:67], s[4:5], v53, s45, v[70:71]
	v_cvt_pkrtz_f16_f32 v46, v46, v47
	v_cvt_pkrtz_f16_f32 v47, v4, v5
	v_mfma_f32_16x16x16_f16 v[2:5], v[2:3], v[26:27], v[6:9]
	s_nop 2
	v_cvt_pk_f32_fp8_e32 v[6:7], v42
	v_cvt_pk_f32_fp8_sdwa v[8:9], v42 src0_sel:WORD_1
	v_cvt_pk_f32_fp8_sdwa v[42:43], v43 src0_sel:WORD_1
	v_mfma_f32_16x16x16_f16 v[46:49], v[46:47], v[28:29], v[2:5]
	v_cvt_pkrtz_f16_f32 v68, v6, v7
	v_cvt_pkrtz_f16_f32 v69, v8, v9
	global_load_dwordx4 v[6:9], v[50:51], off
	global_load_dwordx4 v[2:5], v[66:67], off
	v_cvt_pkrtz_f16_f32 v66, v72, v73
	v_cvt_pkrtz_f16_f32 v67, v42, v43
	v_mfma_f32_16x16x16_f16 v[48:51], v[68:69], v[18:19], v[46:49]
	v_cvt_pk_f32_fp8_e32 v[42:43], v44
	v_cvt_pk_f32_fp8_sdwa v[72:73], v44 src0_sel:WORD_1
	s_waitcnt vmcnt(2)
	v_mad_i64_i32 v[46:47], s[4:5], v64, s45, v[70:71]
	v_mfma_f32_16x16x16_f16 v[66:69], v[66:67], v[20:21], v[48:51]
	v_cvt_pkrtz_f16_f32 v42, v42, v43
	v_cvt_pkrtz_f16_f32 v43, v72, v73
	v_cvt_pk_f32_fp8_sdwa v[72:73], v22 src0_sel:WORD_1
	v_cvt_pk_f32_fp8_e32 v[50:51], v45
	v_cvt_pk_f32_fp8_sdwa v[44:45], v45 src0_sel:WORD_1
	v_mad_i64_i32 v[48:49], s[4:5], v63, s45, v[70:71]
	v_cvt_pkrtz_f16_f32 v50, v50, v51
	v_cvt_pkrtz_f16_f32 v51, v44, v45
	v_mfma_f32_16x16x16_f16 v[42:45], v[42:43], v[14:15], v[66:69]
	v_cvt_pk_f32_fp8_e32 v[70:71], v22
	s_load_dword s4, s[0:1], 0x1c
	s_load_dwordx4 s[40:43], s[0:1], 0x80
	s_load_dword s33, s[0:1], 0x98
	s_waitcnt lgkmcnt(0)
	s_load_dword s5, s[40:41], 0x0
	v_mfma_f32_16x16x16_f16 v[66:69], v[50:51], v[16:17], v[42:45]
	s_mov_b32 s40, 0xff7fffff
	s_nop 1
	v_cvt_pk_f32_fp8_e32 v[42:43], v23
	v_cvt_pkrtz_f16_f32 v44, v70, v71
	v_cvt_pkrtz_f16_f32 v45, v72, v73
	v_cvt_pk_f32_fp8_sdwa v[22:23], v23 src0_sel:WORD_1
	v_cvt_pkrtz_f16_f32 v50, v42, v43
	v_cvt_pk_f32_fp8_e32 v[70:71], v24
	v_cvt_pk_f32_fp8_sdwa v[72:73], v24 src0_sel:WORD_1
	v_cvt_pkrtz_f16_f32 v51, v22, v23
	v_mfma_f32_16x16x16_f16 v[42:45], v[44:45], v[30:31], 0
	v_cvt_pkrtz_f16_f32 v30, v70, v71
	v_cvt_pkrtz_f16_f32 v31, v72, v73
	v_cvt_pk_f32_fp8_e32 v[70:71], v25
	v_cvt_pk_f32_fp8_sdwa v[72:73], v25 src0_sel:WORD_1
	v_mfma_f32_16x16x16_f16 v[22:25], v[50:51], v[32:33], v[42:45]
	v_mov_b32_e32 v32, s4
	s_waitcnt lgkmcnt(0)
	v_mul_f32_e32 v50, s5, v32
	v_pk_mul_f32 v[32:33], v[50:51], v[34:35] op_sel_hi:[0,1]
	v_cvt_pkrtz_f16_f32 v42, v70, v71
	v_cvt_pkrtz_f16_f32 v43, v72, v73
	v_mfma_f32_16x16x16_f16 v[22:25], v[30:31], v[26:27], v[22:25]
	v_pk_mul_f32 v[30:31], v[50:51], v[36:37] op_sel_hi:[0,1]
	v_cvt_pk_f32_fp8_e32 v[26:27], v11
	v_cvt_pk_f32_fp8_sdwa v[70:71], v12 src0_sel:WORD_1
	v_mfma_f32_16x16x16_f16 v[34:37], v[42:43], v[28:29], v[22:25]
	v_pk_mul_f32 v[40:41], v[50:51], v[40:41] op_sel_hi:[0,1]
	v_cvt_pkrtz_f16_f32 v44, v26, v27
	s_nop 0
	v_cvt_pk_f32_fp8_e32 v[22:23], v10
	v_cvt_pk_f32_fp8_sdwa v[24:25], v10 src0_sel:WORD_1
	v_cvt_pk_f32_fp8_sdwa v[10:11], v11 src0_sel:WORD_1
	v_cvt_pkrtz_f16_f32 v42, v22, v23
	v_cvt_pkrtz_f16_f32 v43, v24, v25
	;; [unrolled: 1-line block ×3, first 2 shown]
	v_cvt_pk_f32_fp8_e32 v[10:11], v12
	v_mfma_f32_16x16x16_f16 v[34:37], v[42:43], v[18:19], v[34:37]
	global_load_dwordx4 v[26:29], v[46:47], off
	global_load_dwordx4 v[22:25], v[48:49], off
	v_cvt_pkrtz_f16_f32 v18, v10, v11
	v_cvt_pkrtz_f16_f32 v19, v70, v71
	v_cvt_pk_f32_fp8_e32 v[42:43], v13
	v_cvt_pk_f32_fp8_sdwa v[46:47], v13 src0_sel:WORD_1
	v_mfma_f32_16x16x16_f16 v[10:13], v[44:45], v[20:21], v[34:37]
	v_pk_mul_f32 v[44:45], v[50:51], v[38:39] op_sel_hi:[0,1]
	v_cvt_pkrtz_f16_f32 v20, v42, v43
	v_cvt_pkrtz_f16_f32 v21, v46, v47
	v_mfma_f32_16x16x16_f16 v[10:13], v[18:19], v[14:15], v[10:13]
	v_pk_mul_f32 v[38:39], v[50:51], v[68:69] op_sel_hi:[0,1]
	v_pk_mul_f32 v[42:43], v[50:51], v[66:67] op_sel_hi:[0,1]
	v_mfma_f32_16x16x16_f16 v[10:13], v[20:21], v[16:17], v[10:13]
	s_nop 6
	v_pk_mul_f32 v[36:37], v[50:51], v[10:11] op_sel_hi:[0,1]
	v_and_b32_e32 v10, 0xc0, v0
	v_add_u32_e32 v10, s18, v10
	v_lshl_or_b32 v10, v60, 2, v10
	v_or_b32_e32 v11, 1, v10
	v_pk_mul_f32 v[34:35], v[50:51], v[12:13] op_sel_hi:[0,1]
	v_subrev_u32_e32 v12, s7, v11
	v_add_u32_e32 v14, 1, v12
	v_add_u32_e32 v15, 2, v12
	v_cvt_f32_i32_e32 v13, v12
	v_cvt_f32_i32_e32 v14, v14
	;; [unrolled: 1-line block ×3, first 2 shown]
	v_add_u32_e32 v16, 3, v12
	v_fma_f32 v18, v61, v13, v32
	v_fmac_f32_e32 v33, v61, v14
	v_fma_f32 v48, v61, v15, v30
	v_add_u32_e32 v13, 16, v12
	v_add_u32_e32 v14, 17, v12
	;; [unrolled: 1-line block ×3, first 2 shown]
	v_cvt_f32_i32_e32 v16, v16
	v_cvt_f32_i32_e32 v13, v13
	;; [unrolled: 1-line block ×4, first 2 shown]
	v_fmac_f32_e32 v31, v61, v16
	v_add_u32_e32 v16, 19, v12
	v_fma_f32 v44, v61, v13, v44
	v_fmac_f32_e32 v45, v61, v14
	v_fma_f32 v40, v61, v15, v40
	v_add_u32_e32 v13, 32, v12
	v_add_u32_e32 v14, 33, v12
	;; [unrolled: 1-line block ×3, first 2 shown]
	v_cvt_f32_i32_e32 v16, v16
	v_cvt_f32_i32_e32 v13, v13
	;; [unrolled: 1-line block ×4, first 2 shown]
	v_fmac_f32_e32 v41, v61, v16
	v_add_u32_e32 v16, 35, v12
	v_fma_f32 v42, v61, v13, v42
	v_fmac_f32_e32 v43, v61, v14
	v_fma_f32 v38, v61, v15, v38
	v_add_u32_e32 v13, 48, v12
	v_add_u32_e32 v14, 49, v12
	;; [unrolled: 1-line block ×4, first 2 shown]
	v_cvt_f32_i32_e32 v12, v12
	v_cvt_f32_i32_e32 v13, v13
	;; [unrolled: 1-line block ×3, first 2 shown]
	v_cmp_gt_i32_e64 s[8:9], s7, v10
	v_fmac_f32_e32 v35, v61, v12
	v_mov_b32_e32 v12, 0xff7fffff
	v_cmp_gt_i32_e64 s[10:11], s7, v11
	v_fma_f32 v36, v61, v13, v36
	v_cndmask_b32_e64 v13, v12, v18, s[8:9]
	v_cndmask_b32_e64 v11, v12, v33, s[10:11]
	v_fmac_f32_e32 v37, v61, v14
	v_max3_f32 v11, v13, s40, v11
	v_or_b32_e32 v13, 2, v10
	v_or_b32_e32 v14, 3, v10
	v_cmp_gt_i32_e64 s[12:13], s7, v13
	v_cmp_gt_i32_e64 s[14:15], s7, v14
	v_cvt_f32_i32_e32 v16, v16
	v_cndmask_b32_e64 v13, v12, v48, s[12:13]
	v_cndmask_b32_e64 v14, v12, v31, s[14:15]
	v_max3_f32 v11, v11, v13, v14
	v_or_b32_e32 v13, 16, v10
	v_or_b32_e32 v14, 17, v10
	v_cmp_gt_i32_e64 s[16:17], s7, v13
	v_cmp_gt_i32_e64 s[18:19], s7, v14
	v_fmac_f32_e32 v39, v61, v16
	v_cndmask_b32_e64 v13, v12, v44, s[16:17]
	v_cndmask_b32_e64 v14, v12, v45, s[18:19]
	v_max3_f32 v11, v11, v13, v14
	v_or_b32_e32 v13, 18, v10
	v_or_b32_e32 v14, 19, v10
	v_cmp_gt_i32_e64 s[20:21], s7, v13
	v_cmp_gt_i32_e64 s[22:23], s7, v14
	v_cvt_f32_i32_e32 v15, v15
	v_cndmask_b32_e64 v13, v12, v40, s[20:21]
	v_cndmask_b32_e64 v14, v12, v41, s[22:23]
	v_max3_f32 v11, v11, v13, v14
	v_or_b32_e32 v13, 32, v10
	v_or_b32_e32 v14, 33, v10
	v_cmp_gt_i32_e64 s[24:25], s7, v13
	v_cmp_gt_i32_e64 s[26:27], s7, v14
	v_fma_f32 v34, v61, v15, v34
	v_cndmask_b32_e64 v13, v12, v42, s[24:25]
	v_cndmask_b32_e64 v14, v12, v43, s[26:27]
	v_max3_f32 v11, v11, v13, v14
	v_or_b32_e32 v13, 34, v10
	v_or_b32_e32 v14, 35, v10
	v_cmp_gt_i32_e64 s[28:29], s7, v13
	v_cmp_gt_i32_e64 s[30:31], s7, v14
	s_nop 0
	v_cndmask_b32_e64 v13, v12, v38, s[28:29]
	v_cndmask_b32_e64 v14, v12, v39, s[30:31]
	v_max3_f32 v11, v11, v13, v14
	v_or_b32_e32 v13, 48, v10
	v_or_b32_e32 v14, 49, v10
	v_cmp_gt_i32_e64 s[34:35], s7, v13
	v_cmp_gt_i32_e64 s[36:37], s7, v14
	s_nop 0
	v_cndmask_b32_e64 v13, v12, v36, s[34:35]
	v_cndmask_b32_e64 v14, v12, v37, s[36:37]
	v_max3_f32 v11, v11, v13, v14
	v_or_b32_e32 v13, 50, v10
	v_or_b32_e32 v10, 51, v10
	v_cmp_gt_i32_e32 vcc, s7, v13
	v_cmp_gt_i32_e64 s[4:5], s7, v10
	s_nop 0
	v_cndmask_b32_e32 v13, v12, v34, vcc
	v_cndmask_b32_e64 v10, v12, v35, s[4:5]
	v_max3_f32 v14, v11, v13, v10
	v_mbcnt_lo_u32_b32 v10, -1, 0
	v_mbcnt_hi_u32_b32 v15, -1, v10
	v_and_b32_e32 v10, 64, v15
	v_add_u32_e32 v16, 64, v10
	v_xor_b32_e32 v10, 32, v15
	v_cmp_lt_i32_e64 s[38:39], v10, v16
	s_nop 1
	v_cndmask_b32_e64 v10, v15, v10, s[38:39]
	v_lshlrev_b32_e32 v51, 2, v10
	ds_bpermute_b32 v17, v51, v14
	v_lshl_add_u64 v[10:11], s[46:47], 0, v[58:59]
	v_mad_i64_i32 v[12:13], s[38:39], v62, s45, v[10:11]
	s_waitcnt lgkmcnt(0)
	v_max_f32_e32 v17, v17, v17
	v_max_f32_e32 v19, v14, v17
	v_xor_b32_e32 v14, 16, v15
	v_cmp_lt_i32_e64 s[38:39], v14, v16
	s_nop 1
	v_cndmask_b32_e64 v14, v15, v14, s[38:39]
	v_lshlrev_b32_e32 v58, 2, v14
	ds_bpermute_b32 v20, v58, v19
	v_mad_i64_i32 v[14:15], s[38:39], v53, s45, v[10:11]
	v_mad_i64_i32 v[16:17], s[38:39], v64, s45, v[10:11]
	s_waitcnt lgkmcnt(0)
	v_max_f32_e32 v20, v20, v20
	v_max_f32_e32 v50, v19, v20
	v_sub_f32_e32 v18, v18, v50
	v_sub_f32_e32 v19, v33, v50
	v_mul_f32_e32 v18, 0x3fb8aa3b, v18
	v_mul_f32_e32 v19, 0x3fb8aa3b, v19
	v_exp_f32_e32 v18, v18
	v_exp_f32_e32 v19, v19
	v_sub_f32_e32 v49, v31, v50
	v_mad_i64_i32 v[10:11], s[38:39], v63, s45, v[10:11]
	v_cndmask_b32_e64 v46, 0, v18, s[8:9]
	v_cndmask_b32_e64 v47, 0, v19, s[10:11]
	global_load_dwordx4 v[30:33], v[12:13], off
	global_load_dwordx4 v[18:21], v[14:15], off
	v_sub_f32_e32 v12, v48, v50
	v_mul_f32_e32 v12, 0x3fb8aa3b, v12
	v_exp_f32_e32 v48, v12
	global_load_dwordx4 v[14:17], v[16:17], off
	s_nop 0
	global_load_dwordx4 v[10:13], v[10:11], off
	v_sub_f32_e32 v40, v40, v50
	v_sub_f32_e32 v42, v42, v50
	v_mul_f32_e32 v40, 0x3fb8aa3b, v40
	v_mul_f32_e32 v42, 0x3fb8aa3b, v42
	v_exp_f32_e32 v40, v40
	v_exp_f32_e32 v53, v42
	v_mul_f32_e32 v49, 0x3fb8aa3b, v49
	v_sub_f32_e32 v44, v44, v50
	v_exp_f32_e32 v49, v49
	v_mul_f32_e32 v44, 0x3fb8aa3b, v44
	v_sub_f32_e32 v45, v45, v50
	v_sub_f32_e32 v42, v43, v50
	v_exp_f32_e32 v44, v44
	v_mul_f32_e32 v45, 0x3fb8aa3b, v45
	v_mul_f32_e32 v42, 0x3fb8aa3b, v42
	v_exp_f32_e32 v45, v45
	v_sub_f32_e32 v41, v41, v50
	v_exp_f32_e32 v59, v42
	v_cndmask_b32_e64 v42, 0, v40, s[20:21]
	v_cndmask_b32_e64 v40, 0, v53, s[24:25]
	v_add_f32_e32 v53, 0, v46
	v_cndmask_b32_e64 v48, 0, v48, s[12:13]
	v_mul_f32_e32 v41, 0x3fb8aa3b, v41
	v_add_f32_e32 v53, v53, v47
	v_cndmask_b32_e64 v49, 0, v49, s[14:15]
	v_exp_f32_e32 v41, v41
	v_add_f32_e32 v53, v53, v48
	v_cndmask_b32_e64 v44, 0, v44, s[16:17]
	v_sub_f32_e32 v38, v38, v50
	v_add_f32_e32 v53, v53, v49
	v_cndmask_b32_e64 v45, 0, v45, s[18:19]
	v_sub_f32_e32 v39, v39, v50
	v_mul_f32_e32 v38, 0x3fb8aa3b, v38
	v_add_f32_e32 v53, v53, v44
	v_exp_f32_e32 v38, v38
	v_mul_f32_e32 v39, 0x3fb8aa3b, v39
	v_sub_f32_e32 v36, v36, v50
	v_add_f32_e32 v53, v53, v45
	v_cndmask_b32_e64 v43, 0, v41, s[22:23]
	v_exp_f32_e32 v39, v39
	v_mul_f32_e32 v36, 0x3fb8aa3b, v36
	v_sub_f32_e32 v37, v37, v50
	v_add_f32_e32 v53, v53, v42
	v_exp_f32_e32 v36, v36
	v_mul_f32_e32 v37, 0x3fb8aa3b, v37
	v_add_f32_e32 v53, v53, v43
	v_sub_f32_e32 v34, v34, v50
	v_cndmask_b32_e64 v41, 0, v59, s[26:27]
	v_exp_f32_e32 v37, v37
	v_add_f32_e32 v53, v53, v40
	v_mul_f32_e32 v34, 0x3fb8aa3b, v34
	v_sub_f32_e32 v35, v35, v50
	v_cndmask_b32_e64 v38, 0, v38, s[28:29]
	v_add_f32_e32 v53, v53, v41
	v_exp_f32_e32 v34, v34
	v_mul_f32_e32 v35, 0x3fb8aa3b, v35
	v_cndmask_b32_e64 v39, 0, v39, s[30:31]
	v_add_f32_e32 v53, v53, v38
	v_exp_f32_e32 v35, v35
	v_cndmask_b32_e64 v36, 0, v36, s[34:35]
	v_add_f32_e32 v53, v53, v39
	v_cndmask_b32_e64 v37, 0, v37, s[36:37]
	v_add_f32_e32 v53, v53, v36
	v_add_f32_e32 v53, v53, v37
	v_cndmask_b32_e32 v34, 0, v34, vcc
	v_add_f32_e32 v53, v53, v34
	v_cndmask_b32_e64 v35, 0, v35, s[4:5]
	v_add_f32_e32 v53, v53, v35
	ds_bpermute_b32 v51, v51, v53
	v_cmp_gt_u32_e32 vcc, 16, v55
	s_waitcnt lgkmcnt(0)
	s_barrier
	v_add_f32_e32 v51, v53, v51
	ds_bpermute_b32 v53, v58, v51
	s_and_saveexec_b64 s[4:5], vcc
	s_cbranch_execz .LBB934_15
; %bb.14:
	s_waitcnt lgkmcnt(0)
	v_add_f32_e32 v51, v51, v53
	v_lshlrev_b32_e32 v52, 2, v52
	ds_write2st64_b32 v52, v50, v51 offset1:1
.LBB934_15:
	s_or_b64 exec, exec, s[4:5]
	v_lshlrev_b32_e32 v51, 2, v56
	s_load_dword s7, s[0:1], 0x94
	s_waitcnt lgkmcnt(0)
	s_barrier
	ds_read2_b32 v[52:53], v51 offset1:16
	ds_read2_b32 v[58:59], v51 offset0:32 offset1:48
	ds_read2_b32 v[62:63], v51 offset0:64 offset1:80
	s_mul_i32 s8, s33, 7
	s_waitcnt lgkmcnt(2)
	v_max3_f32 v50, v52, s40, v53
	s_waitcnt lgkmcnt(1)
	v_max3_f32 v50, v50, v58, v59
	v_sub_f32_e32 v52, v52, v50
	v_mul_f32_e32 v52, 0x3fb8aa3b, v52
	v_exp_f32_e32 v55, v52
	v_sub_f32_e32 v52, v53, v50
	v_mul_f32_e32 v52, 0x3fb8aa3b, v52
	v_exp_f32_e32 v61, v52
	;; [unrolled: 3-line block ×3, first 2 shown]
	ds_read2_b32 v[52:53], v51 offset0:96 offset1:112
	v_sub_f32_e32 v51, v59, v50
	v_mul_f32_e32 v51, 0x3fb8aa3b, v51
	v_exp_f32_e32 v59, v51
	s_waitcnt lgkmcnt(1)
	v_fma_f32 v51, v55, v62, 0
	v_fmac_f32_e32 v51, v61, v63
	s_waitcnt lgkmcnt(0)
	v_fmac_f32_e32 v51, v58, v52
	v_fmac_f32_e32 v51, v59, v53
	v_add_f32_e32 v52, 0x358637bd, v51
	v_div_scale_f32 v53, s[4:5], v52, v52, 1.0
	v_rcp_f32_e32 v62, v53
	s_barrier
	v_fma_f32 v63, -v53, v62, 1.0
	v_fmac_f32_e32 v62, v63, v62
	v_div_scale_f32 v63, vcc, 1.0, v52, 1.0
	v_mul_f32_e32 v64, v63, v62
	v_fma_f32 v65, -v53, v64, v63
	v_fmac_f32_e32 v64, v65, v62
	v_fma_f32 v53, -v53, v64, v63
	v_div_fmas_f32 v53, v53, v62, v64
	v_cmp_eq_u32_e32 vcc, 1, v57
	v_div_fixup_f32 v52, v53, v52, 1.0
	s_nop 0
	v_cndmask_b32_e32 v53, v55, v61, vcc
	v_cmp_eq_u32_e32 vcc, 2, v57
	s_nop 1
	v_cndmask_b32_e32 v53, v53, v58, vcc
	v_cmp_eq_u32_e32 vcc, 3, v57
	s_nop 1
	v_cndmask_b32_e32 v53, v53, v59, vcc
	v_mul_f32_e32 v52, v53, v52
	v_pk_mul_f32 v[48:49], v[52:53], v[48:49] op_sel_hi:[0,1]
	v_pk_mul_f32 v[46:47], v[52:53], v[46:47] op_sel_hi:[0,1]
	v_cvt_f16_f32_e32 v53, v48
	v_cvt_f16_f32_e32 v49, v49
	;; [unrolled: 1-line block ×4, first 2 shown]
	v_pk_mul_f32 v[42:43], v[52:53], v[42:43] op_sel_hi:[0,1]
	v_pk_mul_f32 v[44:45], v[52:53], v[44:45] op_sel_hi:[0,1]
	v_pack_b32_f16 v49, v53, v49
	v_cvt_f16_f32_e32 v44, v44
	v_cvt_f16_f32_e32 v45, v45
	;; [unrolled: 1-line block ×4, first 2 shown]
	v_pack_b32_f16 v48, v46, v47
	v_lshlrev_b32_e32 v47, 3, v60
	v_lshlrev_b32_e32 v46, 5, v56
	;; [unrolled: 1-line block ×3, first 2 shown]
	v_or3_b32 v55, v42, v46, v47
	v_pack_b32_f16 v42, v44, v45
	v_pack_b32_f16 v43, v53, v43
	v_pk_mul_f32 v[38:39], v[52:53], v[38:39] op_sel_hi:[0,1]
	v_pk_mul_f32 v[40:41], v[52:53], v[40:41] op_sel_hi:[0,1]
	;; [unrolled: 1-line block ×4, first 2 shown]
	ds_write2st64_b64 v55, v[48:49], v[42:43] offset1:1
	v_cvt_f16_f32_e32 v40, v40
	v_cvt_f16_f32_e32 v41, v41
	v_cvt_f16_f32_e32 v38, v38
	v_cvt_f16_f32_e32 v39, v39
	v_cvt_f16_f32_e32 v36, v36
	v_cvt_f16_f32_e32 v37, v37
	v_cvt_f16_f32_e32 v42, v34
	v_cvt_f16_f32_e32 v43, v35
	v_pack_b32_f16 v34, v40, v41
	v_pack_b32_f16 v35, v38, v39
	;; [unrolled: 1-line block ×4, first 2 shown]
	v_cmp_gt_u32_e32 vcc, 7, v0
	ds_write2st64_b64 v55, v[34:35], v[36:37] offset0:2 offset1:3
	s_and_saveexec_b64 s[4:5], vcc
	s_cbranch_execz .LBB934_17
; %bb.16:
	s_mov_b32 s49, 0
	v_mov_b32_e32 v57, 0
	v_lshl_add_u64 v[34:35], s[48:49], 0, v[56:57]
	v_mov_b32_e32 v36, s8
	v_mad_u64_u32 v[34:35], s[10:11], s2, v36, v[34:35]
	s_mul_i32 s3, s3, s8
	v_mov_b32_e32 v36, s6
	v_mov_b32_e32 v37, v57
	s_load_dwordx4 s[12:15], s[0:1], 0x58
	v_add_u32_e32 v38, s3, v35
	v_mad_u64_u32 v[34:35], s[10:11], v34, s7, v[36:37]
	v_mov_b32_e32 v36, v35
	v_mad_u64_u32 v[36:37], s[10:11], v38, s7, v[36:37]
	v_mov_b32_e32 v35, v36
	v_lshlrev_b64 v[34:35], 2, v[34:35]
	s_waitcnt lgkmcnt(0)
	v_lshl_add_u64 v[36:37], s[14:15], 0, v[34:35]
	v_lshl_add_u64 v[34:35], s[12:13], 0, v[34:35]
	global_store_dword v[36:37], v50, off
	global_store_dword v[34:35], v51, off
.LBB934_17:
	s_or_b64 exec, exec, s[4:5]
	s_waitcnt vmcnt(7)
	v_cvt_pk_f32_fp8_e32 v[34:35], v6
	v_cvt_pk_f32_fp8_sdwa v[36:37], v6 src0_sel:WORD_1
	v_lshl_or_b32 v50, v60, 9, v46
	s_waitcnt lgkmcnt(0)
	s_barrier
	v_cvt_pk_f32_fp8_e32 v[38:39], v7
	v_cvt_pkrtz_f16_f32 v6, v34, v35
	v_cvt_pk_f32_fp8_sdwa v[40:41], v7 src0_sel:WORD_1
	v_cvt_pkrtz_f16_f32 v7, v36, v37
	ds_read_b128 v[34:37], v50
	v_cvt_pkrtz_f16_f32 v46, v38, v39
	v_cvt_pkrtz_f16_f32 v47, v40, v41
	ds_read_b128 v[38:41], v50 offset:16
	v_cvt_pk_f32_fp8_e32 v[48:49], v8
	v_cvt_pk_f32_fp8_sdwa v[52:53], v8 src0_sel:WORD_1
	s_waitcnt lgkmcnt(1)
	v_mfma_f32_16x16x16_f16 v[42:45], v[6:7], v[34:35], 0
	s_waitcnt vmcnt(6)
	v_cvt_pk_f32_fp8_e32 v[58:59], v4
	v_cvt_pkrtz_f16_f32 v6, v48, v49
	v_cvt_pkrtz_f16_f32 v7, v52, v53
	v_cvt_pk_f32_fp8_e32 v[48:49], v9
	v_mfma_f32_16x16x16_f16 v[42:45], v[46:47], v[36:37], v[42:45]
	v_cvt_pk_f32_fp8_sdwa v[46:47], v9 src0_sel:WORD_1
	v_cvt_pk_f32_fp8_sdwa v[62:63], v4 src0_sel:WORD_1
	v_cvt_pkrtz_f16_f32 v48, v48, v49
	s_waitcnt lgkmcnt(0)
	v_mfma_f32_16x16x16_f16 v[6:9], v[6:7], v[38:39], v[42:45]
	v_cvt_pkrtz_f16_f32 v49, v46, v47
	s_waitcnt vmcnt(5)
	v_cvt_pk_f32_fp8_sdwa v[66:67], v28 src0_sel:WORD_1
	s_waitcnt vmcnt(4)
	v_cvt_pk_f32_fp8_sdwa v[68:69], v24 src0_sel:WORD_1
	v_cvt_pk_f32_fp8_e32 v[42:43], v2
	v_mfma_f32_16x16x16_f16 v[46:49], v[48:49], v[40:41], v[6:9]
	s_waitcnt vmcnt(3)
	v_cvt_pk_f32_fp8_sdwa v[70:71], v32 src0_sel:WORD_1
	s_load_dword s4, s[42:43], 0x0
	v_cvt_pk_f32_fp8_sdwa v[6:7], v2 src0_sel:WORD_1
	v_cvt_pk_f32_fp8_e32 v[8:9], v3
	v_cvt_pkrtz_f16_f32 v2, v42, v43
	v_cvt_pk_f32_fp8_sdwa v[42:43], v3 src0_sel:WORD_1
	v_cvt_pkrtz_f16_f32 v3, v6, v7
	v_cvt_pkrtz_f16_f32 v52, v8, v9
	ds_read_b128 v[6:9], v50 offset:2048
	v_cvt_pkrtz_f16_f32 v53, v42, v43
	ds_read_b128 v[42:45], v50 offset:2064
	s_waitcnt lgkmcnt(0)
	v_mfma_f32_16x16x16_f16 v[46:49], v[2:3], v[6:7], v[46:49]
	v_cvt_pkrtz_f16_f32 v2, v58, v59
	v_cvt_pkrtz_f16_f32 v3, v62, v63
	v_cvt_pk_f32_fp8_e32 v[58:59], v5
	v_mfma_f32_16x16x16_f16 v[46:49], v[52:53], v[8:9], v[46:49]
	v_cvt_pk_f32_fp8_sdwa v[52:53], v5 src0_sel:WORD_1
	s_mov_b32 s3, 0
	v_cvt_pkrtz_f16_f32 v58, v58, v59
	v_mfma_f32_16x16x16_f16 v[2:5], v[2:3], v[42:43], v[46:49]
	v_cvt_pkrtz_f16_f32 v59, v52, v53
	v_cmp_gt_u32_e32 vcc, 64, v0
	s_nop 0
	v_cvt_pk_f32_fp8_e32 v[46:47], v26
	v_mfma_f32_16x16x16_f16 v[62:65], v[58:59], v[44:45], v[2:5]
	v_cvt_pk_f32_fp8_e32 v[58:59], v28
	s_nop 1
	v_cvt_pk_f32_fp8_sdwa v[2:3], v26 src0_sel:WORD_1
	v_cvt_pk_f32_fp8_e32 v[4:5], v27
	v_cvt_pkrtz_f16_f32 v26, v46, v47
	v_cvt_pk_f32_fp8_sdwa v[46:47], v27 src0_sel:WORD_1
	v_cvt_pkrtz_f16_f32 v27, v2, v3
	v_cvt_pkrtz_f16_f32 v52, v4, v5
	ds_read_b128 v[2:5], v50 offset:4096
	v_cvt_pkrtz_f16_f32 v53, v46, v47
	ds_read_b128 v[46:49], v50 offset:4112
	s_waitcnt lgkmcnt(1)
	v_mfma_f32_16x16x16_f16 v[62:65], v[26:27], v[2:3], v[62:65]
	v_cvt_pkrtz_f16_f32 v26, v58, v59
	v_cvt_pkrtz_f16_f32 v27, v66, v67
	v_cvt_pk_f32_fp8_e32 v[58:59], v29
	v_mfma_f32_16x16x16_f16 v[62:65], v[52:53], v[4:5], v[62:65]
	v_cvt_pk_f32_fp8_sdwa v[52:53], v29 src0_sel:WORD_1
	v_cvt_pk_f32_fp8_e32 v[66:67], v24
	v_cvt_pkrtz_f16_f32 v58, v58, v59
	s_waitcnt lgkmcnt(0)
	v_mfma_f32_16x16x16_f16 v[26:29], v[26:27], v[46:47], v[62:65]
	v_cvt_pkrtz_f16_f32 v59, v52, v53
	v_cvt_pk_f32_fp8_e32 v[52:53], v22
	s_nop 0
	v_mfma_f32_16x16x16_f16 v[62:65], v[58:59], v[48:49], v[26:29]
	s_nop 2
	v_cvt_pk_f32_fp8_sdwa v[26:27], v22 src0_sel:WORD_1
	v_cvt_pk_f32_fp8_e32 v[28:29], v23
	v_cvt_pkrtz_f16_f32 v22, v52, v53
	v_cvt_pk_f32_fp8_sdwa v[52:53], v23 src0_sel:WORD_1
	v_cvt_pkrtz_f16_f32 v23, v26, v27
	v_cvt_pkrtz_f16_f32 v58, v28, v29
	ds_read_b128 v[26:29], v50 offset:6144
	v_cvt_pkrtz_f16_f32 v59, v52, v53
	s_waitcnt lgkmcnt(0)
	v_mfma_f32_16x16x16_f16 v[62:65], v[22:23], v[26:27], v[62:65]
	ds_read_b128 v[50:53], v50 offset:6160
	v_cvt_pkrtz_f16_f32 v22, v66, v67
	v_cvt_pkrtz_f16_f32 v23, v68, v69
	v_cvt_pk_f32_fp8_e32 v[66:67], v25
	v_mfma_f32_16x16x16_f16 v[62:65], v[58:59], v[28:29], v[62:65]
	v_cvt_pk_f32_fp8_sdwa v[58:59], v25 src0_sel:WORD_1
	v_cvt_pk_f32_fp8_e32 v[68:69], v32
	v_cvt_pkrtz_f16_f32 v66, v66, v67
	s_waitcnt lgkmcnt(0)
	v_mfma_f32_16x16x16_f16 v[22:25], v[22:23], v[50:51], v[62:65]
	v_cvt_pkrtz_f16_f32 v67, v58, v59
	v_cvt_pk_f32_fp8_e32 v[58:59], v30
	s_nop 0
	v_cvt_pk_f32_fp8_sdwa v[62:63], v30 src0_sel:WORD_1
	v_cvt_pk_f32_fp8_e32 v[64:65], v31
	v_cvt_pkrtz_f16_f32 v58, v58, v59
	v_cvt_pk_f32_fp8_sdwa v[30:31], v31 src0_sel:WORD_1
	v_cvt_pkrtz_f16_f32 v59, v62, v63
	v_mfma_f32_16x16x16_f16 v[22:25], v[66:67], v[52:53], v[22:25]
	v_cvt_pkrtz_f16_f32 v66, v64, v65
	v_cvt_pkrtz_f16_f32 v67, v30, v31
	;; [unrolled: 1-line block ×3, first 2 shown]
	v_mfma_f32_16x16x16_f16 v[62:65], v[58:59], v[34:35], 0
	v_cvt_pkrtz_f16_f32 v31, v70, v71
	v_cvt_pk_f32_fp8_e32 v[58:59], v33
	s_barrier
	v_mfma_f32_16x16x16_f16 v[34:37], v[66:67], v[36:37], v[62:65]
	v_cvt_pkrtz_f16_f32 v58, v58, v59
	s_nop 1
	v_cvt_pk_f32_fp8_sdwa v[62:63], v33 src0_sel:WORD_1
	v_mfma_f32_16x16x16_f16 v[30:33], v[30:31], v[38:39], v[34:37]
	s_waitcnt vmcnt(2)
	v_cvt_pk_f32_fp8_e32 v[38:39], v19
	v_cvt_pkrtz_f16_f32 v59, v62, v63
	v_cvt_pk_f32_fp8_e32 v[34:35], v18
	v_cvt_pk_f32_fp8_sdwa v[36:37], v18 src0_sel:WORD_1
	v_cvt_pk_f32_fp8_sdwa v[18:19], v19 src0_sel:WORD_1
	v_mfma_f32_16x16x16_f16 v[30:33], v[58:59], v[40:41], v[30:33]
	v_cvt_pkrtz_f16_f32 v34, v34, v35
	v_cvt_pkrtz_f16_f32 v35, v36, v37
	;; [unrolled: 1-line block ×3, first 2 shown]
	v_cvt_pk_f32_fp8_e32 v[38:39], v20
	v_cvt_pk_f32_fp8_sdwa v[40:41], v20 src0_sel:WORD_1
	v_cvt_pkrtz_f16_f32 v37, v18, v19
	v_mfma_f32_16x16x16_f16 v[30:33], v[34:35], v[6:7], v[30:33]
	v_cvt_pkrtz_f16_f32 v18, v38, v39
	v_cvt_pkrtz_f16_f32 v19, v40, v41
	v_cvt_pk_f32_fp8_e32 v[34:35], v21
	v_cvt_pk_f32_fp8_sdwa v[20:21], v21 src0_sel:WORD_1
	v_mfma_f32_16x16x16_f16 v[6:9], v[36:37], v[8:9], v[30:33]
	s_nop 2
	v_cvt_pkrtz_f16_f32 v30, v34, v35
	v_cvt_pkrtz_f16_f32 v31, v20, v21
	v_mfma_f32_16x16x16_f16 v[6:9], v[18:19], v[42:43], v[6:9]
	s_waitcnt vmcnt(1)
	v_cvt_pk_f32_fp8_e32 v[18:19], v14
	v_cvt_pk_f32_fp8_sdwa v[20:21], v14 src0_sel:WORD_1
	v_cvt_pk_f32_fp8_sdwa v[32:33], v16 src0_sel:WORD_1
	v_mfma_f32_16x16x16_f16 v[6:9], v[30:31], v[44:45], v[6:9]
	v_cvt_pk_f32_fp8_e32 v[30:31], v15
	v_cvt_pkrtz_f16_f32 v18, v18, v19
	v_cvt_pkrtz_f16_f32 v19, v20, v21
	v_cvt_pk_f32_fp8_sdwa v[14:15], v15 src0_sel:WORD_1
	v_cvt_pkrtz_f16_f32 v20, v30, v31
	v_cvt_pk_f32_fp8_e32 v[30:31], v16
	v_mfma_f32_16x16x16_f16 v[6:9], v[18:19], v[2:3], v[6:9]
	v_cvt_pkrtz_f16_f32 v21, v14, v15
	v_cvt_pkrtz_f16_f32 v14, v30, v31
	;; [unrolled: 1-line block ×3, first 2 shown]
	v_cvt_pk_f32_fp8_e32 v[18:19], v17
	v_cvt_pk_f32_fp8_sdwa v[16:17], v17 src0_sel:WORD_1
	v_mfma_f32_16x16x16_f16 v[2:5], v[20:21], v[4:5], v[6:9]
	s_waitcnt vmcnt(0)
	v_cvt_pk_f32_fp8_sdwa v[20:21], v12 src0_sel:WORD_1
	s_nop 0
	v_cvt_pkrtz_f16_f32 v8, v18, v19
	v_cvt_pkrtz_f16_f32 v9, v16, v17
	v_mfma_f32_16x16x16_f16 v[2:5], v[14:15], v[46:47], v[2:5]
	v_cvt_pk_f32_fp8_e32 v[16:17], v10
	v_cvt_pk_f32_fp8_sdwa v[18:19], v10 src0_sel:WORD_1
	v_pk_mul_f32 v[6:7], v[24:25], s[4:5] op_sel_hi:[1,0]
	v_mfma_f32_16x16x16_f16 v[2:5], v[8:9], v[48:49], v[2:5]
	v_cvt_pk_f32_fp8_e32 v[8:9], v11
	v_cvt_pkrtz_f16_f32 v16, v16, v17
	v_cvt_pkrtz_f16_f32 v17, v18, v19
	v_cvt_pk_f32_fp8_sdwa v[10:11], v11 src0_sel:WORD_1
	v_cvt_pkrtz_f16_f32 v8, v8, v9
	v_cvt_pk_f32_fp8_e32 v[18:19], v12
	v_mfma_f32_16x16x16_f16 v[2:5], v[16:17], v[26:27], v[2:5]
	v_cvt_pkrtz_f16_f32 v9, v10, v11
	v_cvt_pkrtz_f16_f32 v10, v18, v19
	;; [unrolled: 1-line block ×3, first 2 shown]
	v_cvt_pk_f32_fp8_e32 v[16:17], v13
	v_cvt_pk_f32_fp8_sdwa v[12:13], v13 src0_sel:WORD_1
	v_mfma_f32_16x16x16_f16 v[2:5], v[8:9], v[28:29], v[2:5]
	v_pk_mul_f32 v[14:15], v[22:23], s[4:5] op_sel_hi:[1,0]
	v_cvt_pkrtz_f16_f32 v8, v16, v17
	v_cvt_pkrtz_f16_f32 v9, v12, v13
	v_mfma_f32_16x16x16_f16 v[2:5], v[10:11], v[50:51], v[2:5]
	v_cvt_f16_f32_e32 v14, v14
	v_cvt_f16_f32_e32 v10, v15
	;; [unrolled: 1-line block ×3, first 2 shown]
	v_mfma_f32_16x16x16_f16 v[2:5], v[8:9], v[52:53], v[2:5]
	v_cvt_f16_f32_e32 v7, v7
	s_nop 5
	v_pk_mul_f32 v[4:5], v[4:5], s[4:5] op_sel_hi:[1,0]
	v_pk_mul_f32 v[2:3], v[2:3], s[4:5] op_sel_hi:[1,0]
	v_cvt_f16_f32_e32 v11, v4
	v_cvt_f16_f32_e32 v8, v2
	;; [unrolled: 1-line block ×4, first 2 shown]
	v_pack_b32_f16 v2, v14, v10
	v_pack_b32_f16 v3, v6, v7
	;; [unrolled: 1-line block ×4, first 2 shown]
	ds_write2st64_b64 v55, v[2:3], v[4:5] offset1:1
	s_waitcnt lgkmcnt(0)
	s_barrier
	s_and_saveexec_b64 s[4:5], vcc
	s_cbranch_execz .LBB934_20
; %bb.18:
	s_load_dwordx2 s[4:5], s[0:1], 0x68
	s_lshl_b32 s0, s7, 7
	s_mul_i32 s1, s8, s2
	v_lshlrev_b32_e32 v3, 6, v56
	s_mul_hi_u32 s9, s1, s0
	s_mul_i32 s8, s1, s0
	v_lshl_or_b32 v0, v0, 10, v3
	s_lshl_b64 s[8:9], s[8:9], 1
	v_lshlrev_b32_e32 v2, 5, v60
	v_and_b32_e32 v1, 16, v1
	v_and_b32_e32 v0, 0x1a00, v0
	s_waitcnt lgkmcnt(0)
	s_add_u32 s1, s4, s8
	v_or3_b32 v2, v0, v2, v1
	s_addc_u32 s4, s5, s9
	s_lshl_b32 s2, s6, 7
	s_lshl_b64 s[2:3], s[2:3], 1
	ds_read_b128 v[4:7], v2
	s_add_u32 s2, s1, s2
	s_addc_u32 s3, s4, s3
	v_mov_b32_e32 v55, 0
	v_add_u32_e32 v3, s48, v60
	v_lshl_add_u64 v[0:1], s[2:3], 0, v[54:55]
	v_mad_u64_u32 v[8:9], s[2:3], v3, s0, 0
	v_lshl_add_u64 v[8:9], v[8:9], 1, v[0:1]
	v_cmp_ne_u32_e32 vcc, 3, v60
	s_waitcnt lgkmcnt(0)
	global_store_dwordx4 v[8:9], v[4:7], off
	s_and_b64 exec, exec, vcc
	s_cbranch_execz .LBB934_20
; %bb.19:
	ds_read_b128 v[2:5], v2 offset:128
	v_add3_u32 v6, s48, v60, 4
	v_mad_u64_u32 v[6:7], s[0:1], v6, s0, 0
	v_lshl_add_u64 v[0:1], v[6:7], 1, v[0:1]
	s_waitcnt lgkmcnt(0)
	global_store_dwordx4 v[0:1], v[2:5], off
.LBB934_20:
	s_endpgm
	.section	.rodata,"a",@progbits
	.p2align	6, 0x0
	.amdhsa_kernel _Z39paged_attention_ll4mi_QKV_mfma16_kernelIDF16_hLN4vllm18Fp8KVCacheDataTypeE1EhLi16ELi128ELi256ELb1ELi7EEvPKT_PKT0_S7_ifPKiS9_S9_iPKfiiiPfSC_PS2_PT2_iSB_SB_
		.amdhsa_group_segment_fixed_size 8192
		.amdhsa_private_segment_fixed_size 0
		.amdhsa_kernarg_size 400
		.amdhsa_user_sgpr_count 2
		.amdhsa_user_sgpr_dispatch_ptr 0
		.amdhsa_user_sgpr_queue_ptr 0
		.amdhsa_user_sgpr_kernarg_segment_ptr 1
		.amdhsa_user_sgpr_dispatch_id 0
		.amdhsa_user_sgpr_kernarg_preload_length 0
		.amdhsa_user_sgpr_kernarg_preload_offset 0
		.amdhsa_user_sgpr_private_segment_size 0
		.amdhsa_uses_dynamic_stack 0
		.amdhsa_enable_private_segment 0
		.amdhsa_system_sgpr_workgroup_id_x 1
		.amdhsa_system_sgpr_workgroup_id_y 1
		.amdhsa_system_sgpr_workgroup_id_z 1
		.amdhsa_system_sgpr_workgroup_info 0
		.amdhsa_system_vgpr_workitem_id 0
		.amdhsa_next_free_vgpr 76
		.amdhsa_next_free_sgpr 50
		.amdhsa_accum_offset 76
		.amdhsa_reserve_vcc 1
		.amdhsa_float_round_mode_32 0
		.amdhsa_float_round_mode_16_64 0
		.amdhsa_float_denorm_mode_32 3
		.amdhsa_float_denorm_mode_16_64 3
		.amdhsa_dx10_clamp 1
		.amdhsa_ieee_mode 1
		.amdhsa_fp16_overflow 0
		.amdhsa_tg_split 0
		.amdhsa_exception_fp_ieee_invalid_op 0
		.amdhsa_exception_fp_denorm_src 0
		.amdhsa_exception_fp_ieee_div_zero 0
		.amdhsa_exception_fp_ieee_overflow 0
		.amdhsa_exception_fp_ieee_underflow 0
		.amdhsa_exception_fp_ieee_inexact 0
		.amdhsa_exception_int_div_zero 0
	.end_amdhsa_kernel
	.section	.text._Z39paged_attention_ll4mi_QKV_mfma16_kernelIDF16_hLN4vllm18Fp8KVCacheDataTypeE1EhLi16ELi128ELi256ELb1ELi7EEvPKT_PKT0_S7_ifPKiS9_S9_iPKfiiiPfSC_PS2_PT2_iSB_SB_,"axG",@progbits,_Z39paged_attention_ll4mi_QKV_mfma16_kernelIDF16_hLN4vllm18Fp8KVCacheDataTypeE1EhLi16ELi128ELi256ELb1ELi7EEvPKT_PKT0_S7_ifPKiS9_S9_iPKfiiiPfSC_PS2_PT2_iSB_SB_,comdat
.Lfunc_end934:
	.size	_Z39paged_attention_ll4mi_QKV_mfma16_kernelIDF16_hLN4vllm18Fp8KVCacheDataTypeE1EhLi16ELi128ELi256ELb1ELi7EEvPKT_PKT0_S7_ifPKiS9_S9_iPKfiiiPfSC_PS2_PT2_iSB_SB_, .Lfunc_end934-_Z39paged_attention_ll4mi_QKV_mfma16_kernelIDF16_hLN4vllm18Fp8KVCacheDataTypeE1EhLi16ELi128ELi256ELb1ELi7EEvPKT_PKT0_S7_ifPKiS9_S9_iPKfiiiPfSC_PS2_PT2_iSB_SB_
                                        ; -- End function
	.section	.AMDGPU.csdata,"",@progbits
; Kernel info:
; codeLenInByte = 6292
; NumSgprs: 56
; NumVgprs: 76
; NumAgprs: 0
; TotalNumVgprs: 76
; ScratchSize: 0
; MemoryBound: 0
; FloatMode: 240
; IeeeMode: 1
; LDSByteSize: 8192 bytes/workgroup (compile time only)
; SGPRBlocks: 6
; VGPRBlocks: 9
; NumSGPRsForWavesPerEU: 56
; NumVGPRsForWavesPerEU: 76
; AccumOffset: 76
; Occupancy: 6
; WaveLimiterHint : 1
; COMPUTE_PGM_RSRC2:SCRATCH_EN: 0
; COMPUTE_PGM_RSRC2:USER_SGPR: 2
; COMPUTE_PGM_RSRC2:TRAP_HANDLER: 0
; COMPUTE_PGM_RSRC2:TGID_X_EN: 1
; COMPUTE_PGM_RSRC2:TGID_Y_EN: 1
; COMPUTE_PGM_RSRC2:TGID_Z_EN: 1
; COMPUTE_PGM_RSRC2:TIDIG_COMP_CNT: 0
; COMPUTE_PGM_RSRC3_GFX90A:ACCUM_OFFSET: 18
; COMPUTE_PGM_RSRC3_GFX90A:TG_SPLIT: 0
	.section	.text._Z39paged_attention_ll4mi_QKV_mfma16_kernelIDF16_hLN4vllm18Fp8KVCacheDataTypeE1EhLi16ELi128ELi256ELb1ELi8EEvPKT_PKT0_S7_ifPKiS9_S9_iPKfiiiPfSC_PS2_PT2_iSB_SB_,"axG",@progbits,_Z39paged_attention_ll4mi_QKV_mfma16_kernelIDF16_hLN4vllm18Fp8KVCacheDataTypeE1EhLi16ELi128ELi256ELb1ELi8EEvPKT_PKT0_S7_ifPKiS9_S9_iPKfiiiPfSC_PS2_PT2_iSB_SB_,comdat
	.protected	_Z39paged_attention_ll4mi_QKV_mfma16_kernelIDF16_hLN4vllm18Fp8KVCacheDataTypeE1EhLi16ELi128ELi256ELb1ELi8EEvPKT_PKT0_S7_ifPKiS9_S9_iPKfiiiPfSC_PS2_PT2_iSB_SB_ ; -- Begin function _Z39paged_attention_ll4mi_QKV_mfma16_kernelIDF16_hLN4vllm18Fp8KVCacheDataTypeE1EhLi16ELi128ELi256ELb1ELi8EEvPKT_PKT0_S7_ifPKiS9_S9_iPKfiiiPfSC_PS2_PT2_iSB_SB_
	.globl	_Z39paged_attention_ll4mi_QKV_mfma16_kernelIDF16_hLN4vllm18Fp8KVCacheDataTypeE1EhLi16ELi128ELi256ELb1ELi8EEvPKT_PKT0_S7_ifPKiS9_S9_iPKfiiiPfSC_PS2_PT2_iSB_SB_
	.p2align	8
	.type	_Z39paged_attention_ll4mi_QKV_mfma16_kernelIDF16_hLN4vllm18Fp8KVCacheDataTypeE1EhLi16ELi128ELi256ELb1ELi8EEvPKT_PKT0_S7_ifPKiS9_S9_iPKfiiiPfSC_PS2_PT2_iSB_SB_,@function
_Z39paged_attention_ll4mi_QKV_mfma16_kernelIDF16_hLN4vllm18Fp8KVCacheDataTypeE1EhLi16ELi128ELi256ELb1ELi8EEvPKT_PKT0_S7_ifPKiS9_S9_iPKfiiiPfSC_PS2_PT2_iSB_SB_: ; @_Z39paged_attention_ll4mi_QKV_mfma16_kernelIDF16_hLN4vllm18Fp8KVCacheDataTypeE1EhLi16ELi128ELi256ELb1ELi8EEvPKT_PKT0_S7_ifPKiS9_S9_iPKfiiiPfSC_PS2_PT2_iSB_SB_
; %bb.0:
	s_load_dwordx2 s[8:9], s[0:1], 0x30
	s_mov_b32 s10, s3
	s_mov_b64 s[6:7], 0
	s_waitcnt lgkmcnt(0)
	s_cmp_lg_u64 s[8:9], 0
	s_cselect_b64 s[12:13], -1, 0
	s_and_b64 vcc, exec, s[12:13]
	s_cbranch_vccz .LBB935_7
; %bb.1:
	s_add_i32 s14, s2, 1
	s_mov_b32 s15, 0
	s_lshl_b64 s[16:17], s[14:15], 2
	s_add_u32 s16, s8, s16
	s_mov_b32 s3, s15
	s_addc_u32 s17, s9, s17
	s_lshl_b64 s[14:15], s[2:3], 2
	s_add_u32 s14, s8, s14
	s_addc_u32 s15, s9, s15
	s_load_dword s5, s[16:17], 0x0
	s_load_dword s11, s[14:15], 0x0
	s_waitcnt lgkmcnt(0)
	s_sub_i32 s5, s5, s11
	s_cmp_eq_u32 s5, 1
	s_cselect_b64 s[14:15], -1, 0
	s_andn2_b64 vcc, exec, s[6:7]
	s_cbranch_vccnz .LBB935_3
.LBB935_2:
	s_mov_b32 s3, 0
	s_mov_b64 s[14:15], -1
.LBB935_3:
	s_andn2_b64 vcc, exec, s[14:15]
	s_cbranch_vccnz .LBB935_19
; %bb.4:
	s_load_dwordx2 s[6:7], s[0:1], 0x28
	s_lshl_b64 s[14:15], s[2:3], 2
	s_waitcnt lgkmcnt(0)
	s_add_u32 s6, s6, s14
	s_addc_u32 s7, s7, s15
	s_load_dword s33, s[6:7], 0x0
	s_lshl_b32 s18, s10, 8
	s_waitcnt lgkmcnt(0)
	s_cmp_ge_i32 s18, s33
	s_cbranch_scc1 .LBB935_19
; %bb.5:
	s_load_dwordx2 s[6:7], s[0:1], 0x20
	s_load_dword s5, s[0:1], 0x38
	s_add_i32 s11, s33, 15
	s_ashr_i32 s16, s11, 31
	v_and_b32_e32 v1, 0xcf, v0
	s_lshr_b32 s16, s16, 28
	v_add_u32_e32 v1, s18, v1
	s_add_i32 s11, s11, s16
	v_ashrrev_i32_e32 v2, 31, v1
	s_ashr_i32 s19, s11, 4
	v_lshrrev_b32_e32 v4, 28, v2
	s_add_i32 s19, s19, -1
	s_waitcnt lgkmcnt(0)
	s_mul_i32 s16, s2, s5
	s_mov_b32 s17, 0
	v_add_u32_e32 v2, v1, v4
	s_lshl_b64 s[16:17], s[16:17], 2
	v_ashrrev_i32_e32 v2, 4, v2
	v_mov_b32_e32 v5, s19
	v_cmp_gt_i32_e32 vcc, s33, v1
	s_add_u32 s6, s6, s16
	s_addc_u32 s7, s7, s17
	v_cndmask_b32_e32 v2, v5, v2, vcc
	v_ashrrev_i32_e32 v3, 31, v2
	v_lshl_add_u64 v[6:7], v[2:3], 2, s[6:7]
	v_or_b32_e32 v2, 16, v1
	v_add_u32_e32 v3, v2, v4
	v_ashrrev_i32_e32 v3, 4, v3
	v_cmp_gt_i32_e32 vcc, s33, v2
	s_load_dwordx2 s[16:17], s[0:1], 0x8
	s_nop 0
	v_cndmask_b32_e32 v2, v5, v3, vcc
	v_ashrrev_i32_e32 v3, 31, v2
	v_lshl_add_u64 v[8:9], v[2:3], 2, s[6:7]
	v_or_b32_e32 v2, 32, v1
	v_add_u32_e32 v3, v2, v4
	v_ashrrev_i32_e32 v3, 4, v3
	v_cmp_gt_i32_e32 vcc, s33, v2
	v_or_b32_e32 v1, 48, v1
	s_nop 0
	v_cndmask_b32_e32 v2, v5, v3, vcc
	v_ashrrev_i32_e32 v3, 31, v2
	v_lshl_add_u64 v[10:11], v[2:3], 2, s[6:7]
	v_add_u32_e32 v2, v1, v4
	v_ashrrev_i32_e32 v2, 4, v2
	v_cmp_gt_i32_e32 vcc, s33, v1
	s_nop 1
	v_cndmask_b32_e32 v2, v5, v2, vcc
	v_ashrrev_i32_e32 v3, 31, v2
	v_lshl_add_u64 v[12:13], v[2:3], 2, s[6:7]
	global_load_dword v4, v[6:7], off
	global_load_dword v3, v[8:9], off
	;; [unrolled: 1-line block ×4, first 2 shown]
	s_andn2_b64 vcc, exec, s[12:13]
	s_cbranch_vccnz .LBB935_8
; %bb.6:
	s_add_u32 s8, s8, s14
	s_addc_u32 s9, s9, s15
	s_load_dword s5, s[8:9], 0x0
	s_branch .LBB935_9
.LBB935_7:
	s_mov_b64 s[14:15], 0
	s_branch .LBB935_2
.LBB935_8:
	s_mov_b32 s5, s2
.LBB935_9:
	s_load_dwordx2 s[8:9], s[0:1], 0x10
	s_load_dwordx4 s[44:47], s[0:1], 0x48
	v_and_b32_e32 v60, 15, v0
	v_lshlrev_b32_e32 v5, 3, v60
	s_movk_i32 s12, 0x80
	v_lshrrev_b32_e32 v62, 6, v0
	v_bfe_u32 v1, v0, 4, 2
	s_lshl_b32 s11, s4, 3
	v_cmp_gt_u32_e32 vcc, s12, v0
	v_lshlrev_b32_e32 v54, 1, v5
	v_lshlrev_b32_e32 v61, 4, v0
	s_and_saveexec_b64 s[12:13], vcc
	s_cbranch_execz .LBB935_11
; %bb.10:
	s_load_dwordx2 s[14:15], s[0:1], 0x0
	s_waitcnt lgkmcnt(0)
	s_ashr_i32 s20, s44, 31
	s_mul_hi_u32 s21, s5, s44
	s_mul_i32 s20, s5, s20
	s_add_i32 s21, s21, s20
	s_mul_i32 s20, s5, s44
	v_lshl_or_b32 v5, v62, 2, v1
	s_lshl_b64 s[20:21], s[20:21], 1
	s_add_u32 s14, s14, s20
	v_add_lshl_u32 v6, v5, s11, 7
	s_addc_u32 s15, s15, s21
	v_ashrrev_i32_e32 v7, 31, v6
	v_lshl_add_u64 v[6:7], v[6:7], 1, s[14:15]
	v_mov_b32_e32 v55, 0
	v_lshl_add_u64 v[6:7], v[6:7], 0, v[54:55]
	global_load_dwordx4 v[6:9], v[6:7], off
	v_lshlrev_b32_e32 v11, 8, v0
	v_lshlrev_b32_e32 v10, 8, v60
	v_and_b32_e32 v11, 0x600, v11
	s_movk_i32 s5, 0x800
	v_and_or_b32 v10, v10, s5, v11
	v_lshlrev_b32_e32 v5, 5, v5
	v_and_b32_e32 v11, 16, v61
	v_or3_b32 v5, v10, v5, v11
	s_waitcnt vmcnt(0)
	ds_write_b128 v5, v[6:9]
.LBB935_11:
	s_or_b64 exec, exec, s[12:13]
	s_waitcnt lgkmcnt(0)
	s_mul_i32 s12, s4, s46
	s_add_u32 s4, s16, s12
	s_addc_u32 s5, s17, 0
	v_and_b32_e32 v56, 0xf0, v61
	v_mov_b32_e32 v57, 0
	v_and_b32_e32 v46, 48, v0
	v_lshl_add_u64 v[20:21], s[4:5], 0, v[56:57]
	v_lshlrev_b32_e32 v56, 4, v46
	s_waitcnt vmcnt(3)
	v_mad_i64_i32 v[4:5], s[4:5], v4, s45, v[20:21]
	v_lshl_add_u64 v[4:5], v[4:5], 0, v[56:57]
	s_barrier
	global_load_dwordx4 v[42:45], v[4:5], off
	global_load_dwordx4 v[14:17], v[4:5], off offset:1024
	s_waitcnt vmcnt(4)
	v_mad_i64_i32 v[4:5], s[4:5], v3, s45, v[20:21]
	s_waitcnt vmcnt(3)
	v_mad_i64_i32 v[2:3], s[4:5], v2, s45, v[20:21]
	;; [unrolled: 2-line block ×3, first 2 shown]
	v_lshl_add_u64 v[4:5], v[4:5], 0, v[56:57]
	v_lshl_add_u64 v[22:23], v[2:3], 0, v[56:57]
	;; [unrolled: 1-line block ×3, first 2 shown]
	global_load_dwordx4 v[10:13], v[4:5], off
	global_load_dwordx4 v[6:9], v[4:5], off offset:1024
	s_nop 0
	global_load_dwordx4 v[2:5], v[22:23], off
	global_load_dwordx4 v[50:53], v[22:23], off offset:1024
	global_load_dwordx4 v[34:37], v[18:19], off
	s_nop 0
	global_load_dwordx4 v[22:25], v[18:19], off offset:1024
	v_and_b32_e32 v18, 7, v0
	v_lshlrev_b32_e32 v18, 5, v18
	v_lshl_or_b32 v18, v1, 9, v18
	ds_read_b128 v[38:41], v18
	ds_read_b128 v[30:33], v18 offset:16
	ds_read_b128 v[26:29], v18 offset:2048
	;; [unrolled: 1-line block ×3, first 2 shown]
	v_and_b32_e32 v55, 63, v0
	v_cmp_gt_u32_e32 vcc, 8, v60
	v_mov_b32_e32 v63, 0
	s_and_saveexec_b64 s[4:5], vcc
	s_cbranch_execz .LBB935_13
; %bb.12:
	s_load_dwordx2 s[14:15], s[0:1], 0x40
	v_or_b32_e32 v48, s11, v60
	v_ashrrev_i32_e32 v49, 31, v48
	s_waitcnt lgkmcnt(0)
	v_lshl_add_u64 v[48:49], v[48:49], 2, s[14:15]
	global_load_dword v63, v[48:49], off
.LBB935_13:
	s_or_b64 exec, exec, s[4:5]
	s_waitcnt vmcnt(7)
	v_cvt_pk_f32_fp8_e32 v[58:59], v42
	v_cvt_pk_f32_fp8_sdwa v[66:67], v42 src0_sel:WORD_1
	v_cvt_pk_f32_fp8_e32 v[68:69], v43
	v_cvt_pk_f32_fp8_sdwa v[42:43], v43 src0_sel:WORD_1
	v_cvt_pkrtz_f16_f32 v58, v58, v59
	v_cvt_pkrtz_f16_f32 v59, v66, v67
	;; [unrolled: 1-line block ×3, first 2 shown]
	v_cvt_pk_f32_fp8_e32 v[72:73], v44
	v_cvt_pk_f32_fp8_sdwa v[74:75], v44 src0_sel:WORD_1
	v_cvt_pkrtz_f16_f32 v71, v42, v43
	s_waitcnt lgkmcnt(3)
	v_mfma_f32_16x16x16_f16 v[66:69], v[58:59], v[38:39], 0
	v_or_b32_e32 v56, s18, v46
	v_ashrrev_i32_e32 v46, 4, v56
	v_mov_b32_e32 v65, s19
	v_cmp_gt_i32_e32 vcc, s33, v56
	v_cvt_pkrtz_f16_f32 v58, v72, v73
	v_cvt_pkrtz_f16_f32 v59, v74, v75
	v_cvt_pk_f32_fp8_e32 v[72:73], v45
	v_cvt_pk_f32_fp8_sdwa v[74:75], v45 src0_sel:WORD_1
	v_cndmask_b32_e32 v46, v65, v46, vcc
	v_mfma_f32_16x16x16_f16 v[42:45], v[70:71], v[40:41], v[66:69]
	v_ashrrev_i32_e32 v47, 31, v46
	v_lshl_add_u64 v[46:47], v[46:47], 2, s[6:7]
	global_load_dword v64, v[46:47], off
	v_or_b32_e32 v46, 64, v56
	v_cvt_pkrtz_f16_f32 v66, v72, v73
	v_cvt_pkrtz_f16_f32 v67, v74, v75
	v_ashrrev_i32_e32 v47, 4, v46
	v_cmp_gt_i32_e32 vcc, s33, v46
	s_waitcnt lgkmcnt(2)
	v_mfma_f32_16x16x16_f16 v[42:45], v[58:59], v[30:31], v[42:45]
	s_waitcnt vmcnt(7)
	v_cvt_pk_f32_fp8_sdwa v[70:71], v14 src0_sel:WORD_1
	v_cndmask_b32_e32 v46, v65, v47, vcc
	v_ashrrev_i32_e32 v47, 31, v46
	v_lshl_add_u64 v[48:49], v[46:47], 2, s[6:7]
	v_or_b32_e32 v46, 0x80, v56
	v_mfma_f32_16x16x16_f16 v[42:45], v[66:67], v[32:33], v[42:45]
	global_load_dword v66, v[48:49], off
	v_ashrrev_i32_e32 v47, 4, v46
	v_cmp_gt_i32_e32 vcc, s33, v46
	v_or_b32_e32 v56, 0xc0, v56
	v_ashrrev_i32_e32 v68, 4, v56
	v_cndmask_b32_e32 v46, v65, v47, vcc
	v_cmp_gt_i32_e32 vcc, s33, v56
	v_ashrrev_i32_e32 v47, 31, v46
	v_lshl_add_u64 v[46:47], v[46:47], 2, s[6:7]
	v_cndmask_b32_e32 v58, v65, v68, vcc
	v_cvt_pk_f32_fp8_e32 v[68:69], v14
	v_ashrrev_i32_e32 v59, 31, v58
	v_lshl_add_u64 v[58:59], v[58:59], 2, s[6:7]
	v_cvt_pk_f32_fp8_sdwa v[72:73], v16 src0_sel:WORD_1
	v_cvt_pkrtz_f16_f32 v68, v68, v69
	v_cvt_pkrtz_f16_f32 v69, v70, v71
	v_cvt_pk_f32_fp8_e32 v[70:71], v16
	v_cvt_pk_f32_fp8_sdwa v[74:75], v17 src0_sel:WORD_1
	s_waitcnt lgkmcnt(1)
	v_mfma_f32_16x16x16_f16 v[42:45], v[68:69], v[26:27], v[42:45]
	global_load_dword v68, v[58:59], off
	global_load_dword v67, v[46:47], off
	v_cvt_pk_f32_fp8_e32 v[48:49], v15
	v_cvt_pk_f32_fp8_sdwa v[14:15], v15 src0_sel:WORD_1
	v_cvt_pkrtz_f16_f32 v70, v70, v71
	v_cvt_pkrtz_f16_f32 v71, v72, v73
	;; [unrolled: 1-line block ×4, first 2 shown]
	v_cvt_pk_f32_fp8_e32 v[72:73], v17
	s_waitcnt vmcnt(9)
	v_cvt_pk_f32_fp8_e32 v[46:47], v10
	v_mfma_f32_16x16x16_f16 v[14:17], v[48:49], v[28:29], v[42:45]
	v_cvt_pk_f32_fp8_sdwa v[48:49], v10 src0_sel:WORD_1
	s_nop 1
	v_cvt_pkrtz_f16_f32 v42, v72, v73
	v_cvt_pkrtz_f16_f32 v43, v74, v75
	s_waitcnt lgkmcnt(0)
	v_mfma_f32_16x16x16_f16 v[14:17], v[70:71], v[18:19], v[14:17]
	v_cvt_pk_f32_fp8_sdwa v[58:59], v12 src0_sel:WORD_1
	v_cvt_pk_f32_fp8_sdwa v[70:71], v13 src0_sel:WORD_1
	s_add_u32 s4, s8, s12
	v_mfma_f32_16x16x16_f16 v[42:45], v[42:43], v[20:21], v[14:17]
	v_lshl_or_b32 v65, v62, 4, v60
	s_waitcnt vmcnt(7)
	v_cvt_pk_f32_fp8_e32 v[72:73], v5
	s_addc_u32 s5, s9, 0
	v_cvt_pk_f32_fp8_e32 v[14:15], v11
	v_cvt_pkrtz_f16_f32 v16, v46, v47
	v_cvt_pkrtz_f16_f32 v17, v48, v49
	v_cvt_pk_f32_fp8_sdwa v[10:11], v11 src0_sel:WORD_1
	v_cvt_pkrtz_f16_f32 v46, v14, v15
	v_cvt_pk_f32_fp8_e32 v[48:49], v12
	v_mfma_f32_16x16x16_f16 v[14:17], v[16:17], v[38:39], 0
	v_cvt_pkrtz_f16_f32 v47, v10, v11
	v_cvt_pkrtz_f16_f32 v48, v48, v49
	;; [unrolled: 1-line block ×3, first 2 shown]
	v_cvt_pk_f32_fp8_e32 v[58:59], v13
	v_mfma_f32_16x16x16_f16 v[10:13], v[46:47], v[40:41], v[14:17]
	v_cvt_pk_f32_fp8_sdwa v[46:47], v6 src0_sel:WORD_1
	v_lshlrev_b32_e32 v56, 4, v65
	s_nop 0
	v_cvt_pkrtz_f16_f32 v14, v58, v59
	v_cvt_pkrtz_f16_f32 v15, v70, v71
	v_mfma_f32_16x16x16_f16 v[10:13], v[48:49], v[30:31], v[10:13]
	v_cvt_pk_f32_fp8_e32 v[16:17], v6
	v_cvt_pk_f32_fp8_sdwa v[48:49], v8 src0_sel:WORD_1
	v_lshl_add_u64 v[58:59], s[4:5], 0, v[56:57]
	v_mfma_f32_16x16x16_f16 v[10:13], v[14:15], v[32:33], v[10:13]
	v_cvt_pk_f32_fp8_e32 v[14:15], v7
	v_cvt_pkrtz_f16_f32 v16, v16, v17
	v_cvt_pkrtz_f16_f32 v17, v46, v47
	v_cvt_pk_f32_fp8_sdwa v[6:7], v7 src0_sel:WORD_1
	v_cvt_pkrtz_f16_f32 v14, v14, v15
	v_cvt_pk_f32_fp8_e32 v[46:47], v8
	v_mfma_f32_16x16x16_f16 v[10:13], v[16:17], v[26:27], v[10:13]
	v_cvt_pkrtz_f16_f32 v15, v6, v7
	v_cvt_pkrtz_f16_f32 v16, v46, v47
	;; [unrolled: 1-line block ×3, first 2 shown]
	v_cvt_pk_f32_fp8_e32 v[46:47], v9
	v_cvt_pk_f32_fp8_sdwa v[48:49], v9 src0_sel:WORD_1
	v_mfma_f32_16x16x16_f16 v[6:9], v[14:15], v[28:29], v[10:13]
	v_cvt_pk_f32_fp8_sdwa v[14:15], v2 src0_sel:WORD_1
	s_waitcnt vmcnt(2)
	v_mad_i64_i32 v[70:71], s[6:7], v66, s45, v[58:59]
	v_cvt_pkrtz_f16_f32 v10, v46, v47
	v_cvt_pkrtz_f16_f32 v11, v48, v49
	v_mfma_f32_16x16x16_f16 v[6:9], v[16:17], v[18:19], v[6:9]
	v_cvt_pk_f32_fp8_e32 v[12:13], v2
	v_cvt_pk_f32_fp8_sdwa v[78:79], v52 src0_sel:WORD_1
	v_or_b32_e32 v56, 0x400, v56
	v_mfma_f32_16x16x16_f16 v[46:49], v[10:11], v[20:21], v[6:9]
	v_mad_i64_i32 v[10:11], s[6:7], v64, s45, v[58:59]
	s_waitcnt vmcnt(0)
	v_mad_i64_i32 v[74:75], s[6:7], v67, s45, v[58:59]
	v_cvt_pkrtz_f16_f32 v6, v12, v13
	v_cvt_pkrtz_f16_f32 v7, v14, v15
	v_cvt_pk_f32_fp8_e32 v[8:9], v3
	v_cvt_pk_f32_fp8_sdwa v[2:3], v3 src0_sel:WORD_1
	v_cvt_pk_f32_fp8_sdwa v[14:15], v4 src0_sel:WORD_1
	v_mad_i64_i32 v[58:59], s[6:7], v68, s45, v[58:59]
	v_cvt_pkrtz_f16_f32 v12, v8, v9
	v_cvt_pkrtz_f16_f32 v13, v2, v3
	v_cvt_pk_f32_fp8_e32 v[2:3], v4
	v_mfma_f32_16x16x16_f16 v[6:9], v[6:7], v[38:39], 0
	v_cvt_pk_f32_fp8_sdwa v[4:5], v5 src0_sel:WORD_1
	v_cvt_pkrtz_f16_f32 v2, v2, v3
	v_cvt_pkrtz_f16_f32 v3, v14, v15
	v_mfma_f32_16x16x16_f16 v[6:9], v[12:13], v[40:41], v[6:9]
	global_load_dwordx4 v[14:17], v[10:11], off
	s_nop 0
	global_load_dwordx4 v[10:13], v[70:71], off
	v_cvt_pkrtz_f16_f32 v70, v72, v73
	v_cvt_pkrtz_f16_f32 v71, v4, v5
	v_mfma_f32_16x16x16_f16 v[2:5], v[2:3], v[30:31], v[6:9]
	s_nop 2
	v_cvt_pk_f32_fp8_e32 v[6:7], v50
	v_cvt_pk_f32_fp8_sdwa v[8:9], v50 src0_sel:WORD_1
	v_mfma_f32_16x16x16_f16 v[2:5], v[70:71], v[32:33], v[2:5]
	v_cvt_pkrtz_f16_f32 v6, v6, v7
	v_cvt_pkrtz_f16_f32 v7, v8, v9
	v_cvt_pk_f32_fp8_e32 v[8:9], v51
	v_cvt_pk_f32_fp8_sdwa v[50:51], v51 src0_sel:WORD_1
	v_mfma_f32_16x16x16_f16 v[70:73], v[6:7], v[26:27], v[2:5]
	v_cvt_pkrtz_f16_f32 v76, v8, v9
	v_cvt_pkrtz_f16_f32 v77, v50, v51
	v_cvt_pk_f32_fp8_e32 v[50:51], v52
	global_load_dwordx4 v[6:9], v[74:75], off
	global_load_dwordx4 v[2:5], v[58:59], off
	v_cvt_pkrtz_f16_f32 v75, v78, v79
	v_cvt_pk_f32_fp8_e32 v[58:59], v53
	v_cvt_pkrtz_f16_f32 v74, v50, v51
	v_cvt_pk_f32_fp8_sdwa v[78:79], v53 src0_sel:WORD_1
	v_mfma_f32_16x16x16_f16 v[50:53], v[76:77], v[28:29], v[70:73]
	v_cvt_pkrtz_f16_f32 v58, v58, v59
	v_cvt_pk_f32_fp8_sdwa v[76:77], v36 src0_sel:WORD_1
	v_cvt_pkrtz_f16_f32 v59, v78, v79
	v_mfma_f32_16x16x16_f16 v[50:53], v[74:75], v[18:19], v[50:53]
	v_cvt_pk_f32_fp8_e32 v[70:71], v34
	v_cvt_pk_f32_fp8_sdwa v[72:73], v34 src0_sel:WORD_1
	v_cvt_pk_f32_fp8_e32 v[74:75], v36
	v_mfma_f32_16x16x16_f16 v[50:53], v[58:59], v[20:21], v[50:53]
	v_cvt_pk_f32_fp8_e32 v[58:59], v35
	v_cvt_pkrtz_f16_f32 v70, v70, v71
	v_cvt_pkrtz_f16_f32 v71, v72, v73
	v_cvt_pk_f32_fp8_sdwa v[34:35], v35 src0_sel:WORD_1
	v_cvt_pkrtz_f16_f32 v58, v58, v59
	v_mfma_f32_16x16x16_f16 v[70:73], v[70:71], v[38:39], 0
	v_cvt_pkrtz_f16_f32 v59, v34, v35
	v_cvt_pkrtz_f16_f32 v38, v74, v75
	;; [unrolled: 1-line block ×3, first 2 shown]
	v_cvt_pk_f32_fp8_e32 v[74:75], v37
	v_cvt_pk_f32_fp8_sdwa v[76:77], v37 src0_sel:WORD_1
	v_mfma_f32_16x16x16_f16 v[34:37], v[58:59], v[40:41], v[70:73]
	s_load_dword s6, s[0:1], 0x1c
	s_load_dwordx4 s[40:43], s[0:1], 0x80
	v_cvt_pkrtz_f16_f32 v58, v74, v75
	v_cvt_pkrtz_f16_f32 v59, v76, v77
	v_mfma_f32_16x16x16_f16 v[34:37], v[38:39], v[30:31], v[34:37]
	s_load_dword s44, s[0:1], 0x98
	s_waitcnt lgkmcnt(0)
	s_load_dword s7, s[40:41], 0x0
	v_cvt_pk_f32_fp8_sdwa v[38:39], v22 src0_sel:WORD_1
	v_mfma_f32_16x16x16_f16 v[32:35], v[58:59], v[32:33], v[34:37]
	v_mov_b32_e32 v40, s6
	s_mov_b32 s40, 0xff7fffff
	s_waitcnt lgkmcnt(0)
	v_mul_f32_e32 v70, s7, v40
	v_cvt_pk_f32_fp8_e32 v[36:37], v22
	v_pk_mul_f32 v[30:31], v[70:71], v[42:43] op_sel_hi:[0,1]
	v_cvt_pk_f32_fp8_e32 v[42:43], v23
	v_cvt_pk_f32_fp8_sdwa v[22:23], v23 src0_sel:WORD_1
	v_cvt_pkrtz_f16_f32 v36, v36, v37
	v_cvt_pkrtz_f16_f32 v37, v38, v39
	v_pk_mul_f32 v[40:41], v[70:71], v[44:45] op_sel_hi:[0,1]
	v_cvt_pkrtz_f16_f32 v38, v42, v43
	v_cvt_pkrtz_f16_f32 v39, v22, v23
	v_cvt_pk_f32_fp8_e32 v[42:43], v24
	v_cvt_pk_f32_fp8_sdwa v[44:45], v24 src0_sel:WORD_1
	v_mfma_f32_16x16x16_f16 v[32:35], v[36:37], v[26:27], v[32:35]
	v_lshl_add_u64 v[22:23], s[4:5], 0, v[56:57]
	v_cvt_pkrtz_f16_f32 v36, v42, v43
	v_cvt_pkrtz_f16_f32 v37, v44, v45
	v_cvt_pk_f32_fp8_e32 v[42:43], v25
	v_cvt_pk_f32_fp8_sdwa v[56:57], v25 src0_sel:WORD_1
	v_mfma_f32_16x16x16_f16 v[24:27], v[38:39], v[28:29], v[32:35]
	v_pk_mul_f32 v[44:45], v[70:71], v[48:49] op_sel_hi:[0,1]
	v_cvt_pkrtz_f16_f32 v28, v42, v43
	v_cvt_pkrtz_f16_f32 v29, v56, v57
	v_mfma_f32_16x16x16_f16 v[24:27], v[36:37], v[18:19], v[24:27]
	v_pk_mul_f32 v[42:43], v[70:71], v[50:51] op_sel_hi:[0,1]
	v_pk_mul_f32 v[46:47], v[70:71], v[46:47] op_sel_hi:[0,1]
	v_pk_mul_f32 v[38:39], v[70:71], v[52:53] op_sel_hi:[0,1]
	v_mfma_f32_16x16x16_f16 v[18:21], v[28:29], v[20:21], v[24:27]
	s_nop 6
	v_pk_mul_f32 v[36:37], v[70:71], v[18:19] op_sel_hi:[0,1]
	v_and_b32_e32 v18, 0xc0, v0
	v_add_u32_e32 v18, s18, v18
	v_lshl_or_b32 v18, v1, 2, v18
	v_or_b32_e32 v19, 1, v18
	v_pk_mul_f32 v[34:35], v[70:71], v[20:21] op_sel_hi:[0,1]
	v_subrev_u32_e32 v20, s33, v19
	v_add_u32_e32 v24, 1, v20
	v_add_u32_e32 v25, 2, v20
	v_cvt_f32_i32_e32 v21, v20
	v_cvt_f32_i32_e32 v24, v24
	;; [unrolled: 1-line block ×3, first 2 shown]
	v_add_u32_e32 v26, 3, v20
	v_fma_f32 v50, v63, v21, v30
	v_fmac_f32_e32 v31, v63, v24
	v_fma_f32 v40, v63, v25, v40
	v_add_u32_e32 v21, 16, v20
	v_add_u32_e32 v24, 17, v20
	;; [unrolled: 1-line block ×3, first 2 shown]
	v_cvt_f32_i32_e32 v26, v26
	v_cvt_f32_i32_e32 v21, v21
	;; [unrolled: 1-line block ×4, first 2 shown]
	v_fmac_f32_e32 v41, v63, v26
	v_add_u32_e32 v26, 19, v20
	v_fma_f32 v52, v63, v21, v46
	v_fmac_f32_e32 v47, v63, v24
	v_fma_f32 v44, v63, v25, v44
	v_add_u32_e32 v21, 32, v20
	v_add_u32_e32 v24, 33, v20
	;; [unrolled: 1-line block ×3, first 2 shown]
	v_cvt_f32_i32_e32 v26, v26
	v_cvt_f32_i32_e32 v21, v21
	;; [unrolled: 1-line block ×4, first 2 shown]
	v_fmac_f32_e32 v45, v63, v26
	v_add_u32_e32 v26, 35, v20
	v_fma_f32 v42, v63, v21, v42
	v_fmac_f32_e32 v43, v63, v24
	v_fma_f32 v38, v63, v25, v38
	v_add_u32_e32 v21, 48, v20
	v_add_u32_e32 v24, 49, v20
	;; [unrolled: 1-line block ×4, first 2 shown]
	v_cvt_f32_i32_e32 v20, v20
	v_cvt_f32_i32_e32 v21, v21
	;; [unrolled: 1-line block ×3, first 2 shown]
	v_cmp_gt_i32_e64 s[12:13], s33, v18
	v_fmac_f32_e32 v35, v63, v20
	v_mov_b32_e32 v20, 0xff7fffff
	v_cmp_gt_i32_e64 s[14:15], s33, v19
	v_fma_f32 v36, v63, v21, v36
	v_cndmask_b32_e64 v21, v20, v50, s[12:13]
	v_cndmask_b32_e64 v19, v20, v31, s[14:15]
	v_fmac_f32_e32 v37, v63, v24
	v_max3_f32 v19, v21, s40, v19
	v_or_b32_e32 v21, 2, v18
	v_or_b32_e32 v24, 3, v18
	v_cmp_gt_i32_e64 s[16:17], s33, v21
	v_cmp_gt_i32_e64 s[18:19], s33, v24
	v_cvt_f32_i32_e32 v26, v26
	v_cndmask_b32_e64 v21, v20, v40, s[16:17]
	v_cndmask_b32_e64 v24, v20, v41, s[18:19]
	v_max3_f32 v19, v19, v21, v24
	v_or_b32_e32 v21, 16, v18
	v_or_b32_e32 v24, 17, v18
	v_cmp_gt_i32_e64 s[20:21], s33, v21
	v_cmp_gt_i32_e64 s[22:23], s33, v24
	v_fmac_f32_e32 v39, v63, v26
	v_cndmask_b32_e64 v21, v20, v52, s[20:21]
	v_cndmask_b32_e64 v24, v20, v47, s[22:23]
	v_max3_f32 v19, v19, v21, v24
	v_or_b32_e32 v21, 18, v18
	v_or_b32_e32 v24, 19, v18
	v_cmp_gt_i32_e64 s[24:25], s33, v21
	v_cmp_gt_i32_e64 s[26:27], s33, v24
	v_cvt_f32_i32_e32 v25, v25
	v_cndmask_b32_e64 v21, v20, v44, s[24:25]
	v_cndmask_b32_e64 v24, v20, v45, s[26:27]
	v_max3_f32 v19, v19, v21, v24
	v_or_b32_e32 v21, 32, v18
	v_or_b32_e32 v24, 33, v18
	v_cmp_gt_i32_e64 s[28:29], s33, v21
	v_cmp_gt_i32_e64 s[30:31], s33, v24
	v_fma_f32 v34, v63, v25, v34
	v_cndmask_b32_e64 v21, v20, v42, s[28:29]
	v_cndmask_b32_e64 v24, v20, v43, s[30:31]
	v_max3_f32 v19, v19, v21, v24
	v_or_b32_e32 v21, 34, v18
	v_or_b32_e32 v24, 35, v18
	v_cmp_gt_i32_e64 s[34:35], s33, v21
	v_cmp_gt_i32_e64 s[36:37], s33, v24
	s_nop 0
	v_cndmask_b32_e64 v21, v20, v38, s[34:35]
	v_cndmask_b32_e64 v24, v20, v39, s[36:37]
	v_max3_f32 v19, v19, v21, v24
	v_or_b32_e32 v21, 48, v18
	v_or_b32_e32 v24, 49, v18
	v_cmp_gt_i32_e64 s[6:7], s33, v21
	v_cmp_gt_i32_e64 s[8:9], s33, v24
	s_nop 0
	v_cndmask_b32_e64 v21, v20, v36, s[6:7]
	v_cndmask_b32_e64 v24, v20, v37, s[8:9]
	v_max3_f32 v19, v19, v21, v24
	v_or_b32_e32 v21, 50, v18
	v_or_b32_e32 v18, 51, v18
	v_cmp_gt_i32_e32 vcc, s33, v21
	v_cmp_gt_i32_e64 s[4:5], s33, v18
	s_nop 0
	v_cndmask_b32_e32 v21, v20, v34, vcc
	v_cndmask_b32_e64 v18, v20, v35, s[4:5]
	v_max3_f32 v24, v19, v21, v18
	v_mbcnt_lo_u32_b32 v18, -1, 0
	v_mbcnt_hi_u32_b32 v25, -1, v18
	v_and_b32_e32 v18, 64, v25
	v_add_u32_e32 v26, 64, v18
	v_xor_b32_e32 v18, 32, v25
	v_cmp_lt_i32_e64 s[38:39], v18, v26
	s_nop 1
	v_cndmask_b32_e64 v18, v25, v18, s[38:39]
	v_lshlrev_b32_e32 v53, 2, v18
	ds_bpermute_b32 v27, v53, v24
	v_mad_i64_i32 v[18:19], s[38:39], v64, s45, v[22:23]
	v_mad_i64_i32 v[20:21], s[38:39], v66, s45, v[22:23]
	s_waitcnt lgkmcnt(0)
	v_max_f32_e32 v27, v27, v27
	v_max_f32_e32 v27, v24, v27
	v_xor_b32_e32 v24, 16, v25
	v_cmp_lt_i32_e64 s[38:39], v24, v26
	s_nop 1
	v_cndmask_b32_e64 v24, v25, v24, s[38:39]
	v_lshlrev_b32_e32 v56, 2, v24
	ds_bpermute_b32 v26, v56, v27
	v_mad_i64_i32 v[24:25], s[38:39], v67, s45, v[22:23]
	v_mad_i64_i32 v[48:49], s[38:39], v68, s45, v[22:23]
	s_waitcnt lgkmcnt(0)
	v_max_f32_e32 v22, v26, v26
	v_max_f32_e32 v46, v27, v22
	v_sub_f32_e32 v22, v31, v46
	global_load_dwordx4 v[30:33], v[18:19], off
	global_load_dwordx4 v[26:29], v[20:21], off
	v_sub_f32_e32 v18, v50, v46
	v_mul_f32_e32 v18, 0x3fb8aa3b, v18
	v_exp_f32_e32 v50, v18
	v_mul_f32_e32 v18, 0x3fb8aa3b, v22
	v_exp_f32_e32 v51, v18
	v_sub_f32_e32 v18, v40, v46
	v_mul_f32_e32 v18, 0x3fb8aa3b, v18
	v_exp_f32_e32 v40, v18
	v_sub_f32_e32 v18, v41, v46
	v_mul_f32_e32 v18, 0x3fb8aa3b, v18
	v_exp_f32_e32 v41, v18
	global_load_dwordx4 v[22:25], v[24:25], off
	s_nop 0
	global_load_dwordx4 v[18:21], v[48:49], off
	v_sub_f32_e32 v42, v42, v46
	v_sub_f32_e32 v38, v38, v46
	v_mul_f32_e32 v42, 0x3fb8aa3b, v42
	v_mul_f32_e32 v38, 0x3fb8aa3b, v38
	v_cndmask_b32_e64 v49, 0, v51, s[14:15]
	v_cndmask_b32_e64 v51, 0, v41, s[18:19]
	v_sub_f32_e32 v41, v47, v46
	v_exp_f32_e32 v42, v42
	v_exp_f32_e32 v47, v38
	v_cndmask_b32_e64 v48, 0, v50, s[12:13]
	v_cndmask_b32_e64 v50, 0, v40, s[16:17]
	v_sub_f32_e32 v40, v52, v46
	v_mul_f32_e32 v40, 0x3fb8aa3b, v40
	v_sub_f32_e32 v38, v39, v46
	v_exp_f32_e32 v40, v40
	v_mul_f32_e32 v41, 0x3fb8aa3b, v41
	v_sub_f32_e32 v44, v44, v46
	v_mul_f32_e32 v38, 0x3fb8aa3b, v38
	v_exp_f32_e32 v41, v41
	v_mul_f32_e32 v44, 0x3fb8aa3b, v44
	v_sub_f32_e32 v45, v45, v46
	v_exp_f32_e32 v52, v38
	v_cndmask_b32_e64 v38, 0, v42, s[28:29]
	v_cndmask_b32_e64 v42, 0, v47, s[34:35]
	v_add_f32_e32 v47, 0, v48
	v_exp_f32_e32 v44, v44
	v_mul_f32_e32 v45, 0x3fb8aa3b, v45
	v_add_f32_e32 v47, v47, v49
	v_exp_f32_e32 v45, v45
	v_sub_f32_e32 v43, v43, v46
	v_add_f32_e32 v47, v47, v50
	v_cndmask_b32_e64 v40, 0, v40, s[20:21]
	v_mul_f32_e32 v43, 0x3fb8aa3b, v43
	v_add_f32_e32 v47, v47, v51
	v_cndmask_b32_e64 v41, 0, v41, s[22:23]
	v_exp_f32_e32 v43, v43
	v_add_f32_e32 v47, v47, v40
	v_cndmask_b32_e64 v44, 0, v44, s[24:25]
	v_add_f32_e32 v47, v47, v41
	v_sub_f32_e32 v36, v36, v46
	v_cndmask_b32_e64 v45, 0, v45, s[26:27]
	v_add_f32_e32 v47, v47, v44
	v_mul_f32_e32 v36, 0x3fb8aa3b, v36
	v_sub_f32_e32 v37, v37, v46
	v_add_f32_e32 v47, v47, v45
	v_exp_f32_e32 v36, v36
	v_mul_f32_e32 v37, 0x3fb8aa3b, v37
	v_sub_f32_e32 v34, v34, v46
	v_cndmask_b32_e64 v39, 0, v43, s[30:31]
	v_add_f32_e32 v47, v47, v38
	v_exp_f32_e32 v37, v37
	v_mul_f32_e32 v34, 0x3fb8aa3b, v34
	v_sub_f32_e32 v35, v35, v46
	v_add_f32_e32 v47, v47, v39
	v_exp_f32_e32 v34, v34
	v_mul_f32_e32 v35, 0x3fb8aa3b, v35
	v_cndmask_b32_e64 v43, 0, v52, s[36:37]
	v_add_f32_e32 v47, v47, v42
	v_exp_f32_e32 v35, v35
	v_add_f32_e32 v47, v47, v43
	v_cndmask_b32_e64 v36, 0, v36, s[6:7]
	v_add_f32_e32 v47, v47, v36
	v_cndmask_b32_e64 v37, 0, v37, s[8:9]
	v_add_f32_e32 v47, v47, v37
	v_cndmask_b32_e32 v34, 0, v34, vcc
	v_add_f32_e32 v47, v47, v34
	v_cndmask_b32_e64 v35, 0, v35, s[4:5]
	v_add_f32_e32 v47, v47, v35
	ds_bpermute_b32 v52, v53, v47
	v_cmp_gt_u32_e32 vcc, 16, v55
	s_waitcnt lgkmcnt(0)
	s_barrier
	v_add_f32_e32 v47, v47, v52
	ds_bpermute_b32 v52, v56, v47
	s_and_saveexec_b64 s[4:5], vcc
	s_cbranch_execz .LBB935_15
; %bb.14:
	s_waitcnt lgkmcnt(0)
	v_add_f32_e32 v47, v47, v52
	v_lshlrev_b32_e32 v52, 2, v65
	ds_write2st64_b32 v52, v46, v47 offset1:1
.LBB935_15:
	s_or_b64 exec, exec, s[4:5]
	v_lshlrev_b32_e32 v47, 2, v60
	s_load_dword s6, s[0:1], 0x94
	s_waitcnt lgkmcnt(0)
	s_barrier
	ds_read2_b32 v[52:53], v47 offset1:16
	ds_read2_b32 v[56:57], v47 offset0:32 offset1:48
	ds_read2_b32 v[58:59], v47 offset0:64 offset1:80
	s_lshl_b32 s7, s44, 3
	s_waitcnt lgkmcnt(2)
	v_max3_f32 v46, v52, s40, v53
	s_waitcnt lgkmcnt(1)
	v_max3_f32 v46, v46, v56, v57
	v_sub_f32_e32 v52, v52, v46
	v_mul_f32_e32 v52, 0x3fb8aa3b, v52
	v_exp_f32_e32 v55, v52
	v_sub_f32_e32 v52, v53, v46
	v_mul_f32_e32 v52, 0x3fb8aa3b, v52
	v_exp_f32_e32 v63, v52
	;; [unrolled: 3-line block ×3, first 2 shown]
	ds_read2_b32 v[52:53], v47 offset0:96 offset1:112
	v_sub_f32_e32 v47, v57, v46
	v_mul_f32_e32 v47, 0x3fb8aa3b, v47
	v_exp_f32_e32 v57, v47
	s_waitcnt lgkmcnt(1)
	v_fma_f32 v47, v55, v58, 0
	v_fmac_f32_e32 v47, v63, v59
	s_waitcnt lgkmcnt(0)
	v_fmac_f32_e32 v47, v56, v52
	v_fmac_f32_e32 v47, v57, v53
	v_add_f32_e32 v52, 0x358637bd, v47
	v_div_scale_f32 v53, s[4:5], v52, v52, 1.0
	v_rcp_f32_e32 v58, v53
	s_barrier
	v_fma_f32 v59, -v53, v58, 1.0
	v_fmac_f32_e32 v58, v59, v58
	v_div_scale_f32 v59, vcc, 1.0, v52, 1.0
	v_mul_f32_e32 v64, v59, v58
	v_fma_f32 v65, -v53, v64, v59
	v_fmac_f32_e32 v64, v65, v58
	v_fma_f32 v53, -v53, v64, v59
	v_div_fmas_f32 v53, v53, v58, v64
	v_cmp_eq_u32_e32 vcc, 1, v62
	v_div_fixup_f32 v52, v53, v52, 1.0
	s_nop 0
	v_cndmask_b32_e32 v53, v55, v63, vcc
	v_cmp_eq_u32_e32 vcc, 2, v62
	s_nop 1
	v_cndmask_b32_e32 v53, v53, v56, vcc
	v_cmp_eq_u32_e32 vcc, 3, v62
	s_nop 1
	v_cndmask_b32_e32 v53, v53, v57, vcc
	v_mul_f32_e32 v52, v53, v52
	v_pk_mul_f32 v[50:51], v[52:53], v[50:51] op_sel_hi:[0,1]
	v_pk_mul_f32 v[48:49], v[52:53], v[48:49] op_sel_hi:[0,1]
	v_cvt_f16_f32_e32 v53, v50
	v_cvt_f16_f32_e32 v48, v48
	;; [unrolled: 1-line block ×4, first 2 shown]
	v_pk_mul_f32 v[44:45], v[52:53], v[44:45] op_sel_hi:[0,1]
	v_pk_mul_f32 v[40:41], v[52:53], v[40:41] op_sel_hi:[0,1]
	v_cvt_f16_f32_e32 v40, v40
	v_cvt_f16_f32_e32 v41, v41
	v_cvt_f16_f32_e32 v44, v44
	v_cvt_f16_f32_e32 v45, v45
	v_pack_b32_f16 v50, v48, v49
	v_pack_b32_f16 v51, v53, v51
	v_lshlrev_b32_e32 v49, 3, v1
	v_lshlrev_b32_e32 v48, 5, v60
	;; [unrolled: 1-line block ×3, first 2 shown]
	v_or3_b32 v55, v53, v48, v49
	v_pack_b32_f16 v40, v40, v41
	v_pack_b32_f16 v41, v44, v45
	ds_write2st64_b64 v55, v[50:51], v[40:41] offset1:1
	v_pk_mul_f32 v[40:41], v[52:53], v[42:43] op_sel_hi:[0,1]
	v_pk_mul_f32 v[38:39], v[52:53], v[38:39] op_sel_hi:[0,1]
	;; [unrolled: 1-line block ×4, first 2 shown]
	v_cvt_f16_f32_e32 v38, v38
	v_cvt_f16_f32_e32 v39, v39
	v_cvt_f16_f32_e32 v40, v40
	v_cvt_f16_f32_e32 v41, v41
	v_cvt_f16_f32_e32 v36, v36
	v_cvt_f16_f32_e32 v37, v37
	v_cvt_f16_f32_e32 v42, v34
	v_cvt_f16_f32_e32 v43, v35
	v_pack_b32_f16 v34, v38, v39
	v_pack_b32_f16 v35, v40, v41
	;; [unrolled: 1-line block ×4, first 2 shown]
	v_cmp_gt_u32_e32 vcc, 8, v0
	ds_write2st64_b64 v55, v[34:35], v[36:37] offset0:2 offset1:3
	s_and_saveexec_b64 s[4:5], vcc
	s_cbranch_execz .LBB935_17
; %bb.16:
	v_or_b32_e32 v34, s11, v0
	v_mov_b32_e32 v35, 0
	v_mov_b32_e32 v36, s7
	v_mad_u64_u32 v[36:37], s[8:9], s2, v36, v[34:35]
	v_mov_b32_e32 v34, s10
	s_load_dwordx4 s[12:15], s[0:1], 0x58
	s_mul_i32 s3, s3, s7
	v_mad_u64_u32 v[34:35], s[8:9], v36, s6, v[34:35]
	v_add_u32_e32 v37, s3, v37
	v_mov_b32_e32 v36, v35
	v_mad_u64_u32 v[36:37], s[8:9], v37, s6, v[36:37]
	v_mov_b32_e32 v35, v36
	v_lshlrev_b64 v[34:35], 2, v[34:35]
	s_waitcnt lgkmcnt(0)
	v_lshl_add_u64 v[36:37], s[14:15], 0, v[34:35]
	v_lshl_add_u64 v[34:35], s[12:13], 0, v[34:35]
	global_store_dword v[36:37], v46, off
	global_store_dword v[34:35], v47, off
.LBB935_17:
	s_or_b64 exec, exec, s[4:5]
	s_waitcnt vmcnt(7)
	v_cvt_pk_f32_fp8_e32 v[34:35], v14
	v_cvt_pk_f32_fp8_sdwa v[36:37], v14 src0_sel:WORD_1
	v_lshl_or_b32 v50, v1, 9, v48
	s_waitcnt lgkmcnt(0)
	s_barrier
	v_cvt_pk_f32_fp8_e32 v[38:39], v15
	v_cvt_pkrtz_f16_f32 v14, v34, v35
	v_cvt_pk_f32_fp8_sdwa v[40:41], v15 src0_sel:WORD_1
	v_cvt_pkrtz_f16_f32 v15, v36, v37
	ds_read_b128 v[34:37], v50
	v_cvt_pkrtz_f16_f32 v46, v38, v39
	v_cvt_pkrtz_f16_f32 v47, v40, v41
	ds_read_b128 v[38:41], v50 offset:16
	v_cvt_pk_f32_fp8_e32 v[48:49], v16
	v_cvt_pk_f32_fp8_sdwa v[52:53], v16 src0_sel:WORD_1
	s_waitcnt lgkmcnt(1)
	v_mfma_f32_16x16x16_f16 v[42:45], v[14:15], v[34:35], 0
	s_waitcnt vmcnt(6)
	v_cvt_pk_f32_fp8_e32 v[56:57], v12
	v_cvt_pkrtz_f16_f32 v14, v48, v49
	v_cvt_pkrtz_f16_f32 v15, v52, v53
	v_cvt_pk_f32_fp8_e32 v[48:49], v17
	v_mfma_f32_16x16x16_f16 v[42:45], v[46:47], v[36:37], v[42:45]
	v_cvt_pk_f32_fp8_sdwa v[46:47], v17 src0_sel:WORD_1
	v_cvt_pk_f32_fp8_sdwa v[58:59], v12 src0_sel:WORD_1
	v_cvt_pkrtz_f16_f32 v48, v48, v49
	s_waitcnt lgkmcnt(0)
	v_mfma_f32_16x16x16_f16 v[14:17], v[14:15], v[38:39], v[42:45]
	v_cvt_pkrtz_f16_f32 v49, v46, v47
	s_waitcnt vmcnt(5)
	v_cvt_pk_f32_fp8_e32 v[62:63], v8
	v_cvt_pk_f32_fp8_sdwa v[64:65], v8 src0_sel:WORD_1
	v_cvt_pk_f32_fp8_e32 v[42:43], v10
	v_mfma_f32_16x16x16_f16 v[46:49], v[48:49], v[40:41], v[14:17]
	s_waitcnt vmcnt(4)
	v_cvt_pk_f32_fp8_sdwa v[66:67], v4 src0_sel:WORD_1
	s_load_dword s4, s[42:43], 0x0
	v_cvt_pk_f32_fp8_sdwa v[14:15], v10 src0_sel:WORD_1
	v_cvt_pk_f32_fp8_e32 v[16:17], v11
	v_cvt_pkrtz_f16_f32 v10, v42, v43
	v_cvt_pk_f32_fp8_sdwa v[42:43], v11 src0_sel:WORD_1
	v_cvt_pkrtz_f16_f32 v11, v14, v15
	v_cvt_pkrtz_f16_f32 v52, v16, v17
	ds_read_b128 v[14:17], v50 offset:2048
	v_cvt_pkrtz_f16_f32 v53, v42, v43
	ds_read_b128 v[42:45], v50 offset:2064
	s_waitcnt lgkmcnt(0)
	v_mfma_f32_16x16x16_f16 v[46:49], v[10:11], v[14:15], v[46:49]
	v_cvt_pkrtz_f16_f32 v10, v56, v57
	v_cvt_pkrtz_f16_f32 v11, v58, v59
	v_cvt_pk_f32_fp8_e32 v[56:57], v13
	v_mfma_f32_16x16x16_f16 v[46:49], v[52:53], v[16:17], v[46:49]
	v_cvt_pk_f32_fp8_sdwa v[52:53], v13 src0_sel:WORD_1
	s_mov_b32 s3, 0
	v_cvt_pkrtz_f16_f32 v56, v56, v57
	v_mfma_f32_16x16x16_f16 v[10:13], v[10:11], v[42:43], v[46:49]
	v_cvt_pkrtz_f16_f32 v57, v52, v53
	v_cmp_gt_u32_e32 vcc, 64, v0
	s_nop 0
	v_cvt_pk_f32_fp8_e32 v[46:47], v6
	v_mfma_f32_16x16x16_f16 v[56:59], v[56:57], v[44:45], v[10:13]
	s_nop 2
	v_cvt_pk_f32_fp8_sdwa v[10:11], v6 src0_sel:WORD_1
	v_cvt_pk_f32_fp8_e32 v[12:13], v7
	v_cvt_pkrtz_f16_f32 v6, v46, v47
	v_cvt_pk_f32_fp8_sdwa v[46:47], v7 src0_sel:WORD_1
	v_cvt_pkrtz_f16_f32 v7, v10, v11
	v_cvt_pkrtz_f16_f32 v52, v12, v13
	ds_read_b128 v[10:13], v50 offset:4096
	v_cvt_pkrtz_f16_f32 v53, v46, v47
	ds_read_b128 v[46:49], v50 offset:4112
	s_waitcnt lgkmcnt(1)
	v_mfma_f32_16x16x16_f16 v[56:59], v[6:7], v[10:11], v[56:59]
	v_cvt_pkrtz_f16_f32 v6, v62, v63
	v_cvt_pkrtz_f16_f32 v7, v64, v65
	v_cvt_pk_f32_fp8_e32 v[62:63], v9
	v_mfma_f32_16x16x16_f16 v[56:59], v[52:53], v[12:13], v[56:59]
	v_cvt_pk_f32_fp8_sdwa v[52:53], v9 src0_sel:WORD_1
	v_cvt_pk_f32_fp8_e32 v[64:65], v4
	v_cvt_pkrtz_f16_f32 v62, v62, v63
	s_waitcnt lgkmcnt(0)
	v_mfma_f32_16x16x16_f16 v[6:9], v[6:7], v[46:47], v[56:59]
	v_cvt_pkrtz_f16_f32 v63, v52, v53
	v_cvt_pk_f32_fp8_e32 v[52:53], v2
	s_nop 0
	v_mfma_f32_16x16x16_f16 v[56:59], v[62:63], v[48:49], v[6:9]
	s_nop 2
	v_cvt_pk_f32_fp8_sdwa v[6:7], v2 src0_sel:WORD_1
	v_cvt_pk_f32_fp8_e32 v[8:9], v3
	v_cvt_pkrtz_f16_f32 v2, v52, v53
	v_cvt_pk_f32_fp8_sdwa v[52:53], v3 src0_sel:WORD_1
	v_cvt_pkrtz_f16_f32 v3, v6, v7
	v_cvt_pkrtz_f16_f32 v62, v8, v9
	ds_read_b128 v[6:9], v50 offset:6144
	v_cvt_pkrtz_f16_f32 v63, v52, v53
	s_waitcnt lgkmcnt(0)
	v_mfma_f32_16x16x16_f16 v[56:59], v[2:3], v[6:7], v[56:59]
	ds_read_b128 v[50:53], v50 offset:6160
	v_cvt_pkrtz_f16_f32 v2, v64, v65
	v_cvt_pkrtz_f16_f32 v3, v66, v67
	v_mfma_f32_16x16x16_f16 v[56:59], v[62:63], v[8:9], v[56:59]
	v_cvt_pk_f32_fp8_e32 v[64:65], v5
	v_cvt_pk_f32_fp8_sdwa v[62:63], v5 src0_sel:WORD_1
	s_waitcnt vmcnt(3)
	v_cvt_pk_f32_fp8_sdwa v[66:67], v32 src0_sel:WORD_1
	s_waitcnt lgkmcnt(0)
	v_mfma_f32_16x16x16_f16 v[2:5], v[2:3], v[50:51], v[56:59]
	v_cvt_pkrtz_f16_f32 v64, v64, v65
	v_cvt_pkrtz_f16_f32 v65, v62, v63
	v_cvt_pk_f32_fp8_e32 v[62:63], v31
	v_cvt_pk_f32_fp8_e32 v[56:57], v30
	v_cvt_pk_f32_fp8_sdwa v[58:59], v30 src0_sel:WORD_1
	v_cvt_pk_f32_fp8_sdwa v[30:31], v31 src0_sel:WORD_1
	v_mfma_f32_16x16x16_f16 v[2:5], v[64:65], v[52:53], v[2:5]
	v_cvt_pkrtz_f16_f32 v56, v56, v57
	v_cvt_pkrtz_f16_f32 v57, v58, v59
	;; [unrolled: 1-line block ×3, first 2 shown]
	v_cvt_pk_f32_fp8_e32 v[64:65], v32
	v_cvt_pkrtz_f16_f32 v63, v30, v31
	v_mfma_f32_16x16x16_f16 v[56:59], v[56:57], v[34:35], 0
	v_cvt_pkrtz_f16_f32 v30, v64, v65
	v_cvt_pkrtz_f16_f32 v31, v66, v67
	v_cvt_pk_f32_fp8_e32 v[64:65], v33
	v_mfma_f32_16x16x16_f16 v[34:37], v[62:63], v[36:37], v[56:59]
	s_barrier
	s_nop 1
	v_cvt_pk_f32_fp8_sdwa v[56:57], v33 src0_sel:WORD_1
	v_cvt_pkrtz_f16_f32 v58, v64, v65
	v_mfma_f32_16x16x16_f16 v[30:33], v[30:31], v[38:39], v[34:37]
	s_waitcnt vmcnt(2)
	v_cvt_pk_f32_fp8_e32 v[38:39], v27
	v_cvt_pkrtz_f16_f32 v59, v56, v57
	v_cvt_pk_f32_fp8_e32 v[34:35], v26
	v_cvt_pk_f32_fp8_sdwa v[36:37], v26 src0_sel:WORD_1
	v_cvt_pk_f32_fp8_sdwa v[26:27], v27 src0_sel:WORD_1
	v_mfma_f32_16x16x16_f16 v[30:33], v[58:59], v[40:41], v[30:33]
	v_cvt_pkrtz_f16_f32 v34, v34, v35
	v_cvt_pkrtz_f16_f32 v35, v36, v37
	;; [unrolled: 1-line block ×3, first 2 shown]
	v_cvt_pk_f32_fp8_e32 v[38:39], v28
	v_cvt_pk_f32_fp8_sdwa v[40:41], v28 src0_sel:WORD_1
	v_cvt_pkrtz_f16_f32 v37, v26, v27
	v_mfma_f32_16x16x16_f16 v[30:33], v[34:35], v[14:15], v[30:33]
	v_cvt_pkrtz_f16_f32 v26, v38, v39
	v_cvt_pkrtz_f16_f32 v27, v40, v41
	v_cvt_pk_f32_fp8_e32 v[34:35], v29
	v_cvt_pk_f32_fp8_sdwa v[28:29], v29 src0_sel:WORD_1
	v_mfma_f32_16x16x16_f16 v[14:17], v[36:37], v[16:17], v[30:33]
	s_nop 2
	v_cvt_pkrtz_f16_f32 v30, v34, v35
	v_cvt_pkrtz_f16_f32 v31, v28, v29
	v_mfma_f32_16x16x16_f16 v[14:17], v[26:27], v[42:43], v[14:17]
	s_waitcnt vmcnt(1)
	v_cvt_pk_f32_fp8_e32 v[26:27], v22
	v_cvt_pk_f32_fp8_sdwa v[28:29], v22 src0_sel:WORD_1
	v_cvt_pk_f32_fp8_sdwa v[32:33], v24 src0_sel:WORD_1
	v_mfma_f32_16x16x16_f16 v[14:17], v[30:31], v[44:45], v[14:17]
	v_cvt_pk_f32_fp8_e32 v[30:31], v23
	v_cvt_pkrtz_f16_f32 v26, v26, v27
	v_cvt_pkrtz_f16_f32 v27, v28, v29
	v_cvt_pk_f32_fp8_sdwa v[22:23], v23 src0_sel:WORD_1
	v_cvt_pkrtz_f16_f32 v28, v30, v31
	v_cvt_pk_f32_fp8_e32 v[30:31], v24
	v_mfma_f32_16x16x16_f16 v[14:17], v[26:27], v[10:11], v[14:17]
	v_cvt_pkrtz_f16_f32 v29, v22, v23
	v_cvt_pkrtz_f16_f32 v22, v30, v31
	;; [unrolled: 1-line block ×3, first 2 shown]
	v_cvt_pk_f32_fp8_e32 v[26:27], v25
	v_cvt_pk_f32_fp8_sdwa v[24:25], v25 src0_sel:WORD_1
	v_mfma_f32_16x16x16_f16 v[10:13], v[28:29], v[12:13], v[14:17]
	s_nop 2
	v_pk_mul_f32 v[14:15], v[4:5], s[4:5] op_sel_hi:[1,0]
	v_cvt_pkrtz_f16_f32 v4, v26, v27
	v_cvt_pkrtz_f16_f32 v5, v24, v25
	v_mfma_f32_16x16x16_f16 v[10:13], v[22:23], v[46:47], v[10:13]
	s_waitcnt vmcnt(0)
	v_cvt_pk_f32_fp8_e32 v[22:23], v18
	v_cvt_pk_f32_fp8_sdwa v[24:25], v18 src0_sel:WORD_1
	v_pk_mul_f32 v[16:17], v[2:3], s[4:5] op_sel_hi:[1,0]
	v_mfma_f32_16x16x16_f16 v[2:5], v[4:5], v[48:49], v[10:13]
	s_nop 2
	v_cvt_pk_f32_fp8_e32 v[10:11], v19
	v_cvt_pkrtz_f16_f32 v12, v22, v23
	v_cvt_pkrtz_f16_f32 v13, v24, v25
	v_cvt_pk_f32_fp8_sdwa v[18:19], v19 src0_sel:WORD_1
	v_cvt_pkrtz_f16_f32 v10, v10, v11
	v_cvt_pk_f32_fp8_e32 v[22:23], v20
	v_cvt_pk_f32_fp8_sdwa v[24:25], v20 src0_sel:WORD_1
	v_cvt_pkrtz_f16_f32 v11, v18, v19
	v_mfma_f32_16x16x16_f16 v[2:5], v[12:13], v[6:7], v[2:5]
	v_cvt_pkrtz_f16_f32 v6, v22, v23
	v_cvt_pkrtz_f16_f32 v7, v24, v25
	v_cvt_pk_f32_fp8_e32 v[12:13], v21
	v_cvt_pk_f32_fp8_sdwa v[18:19], v21 src0_sel:WORD_1
	v_mfma_f32_16x16x16_f16 v[2:5], v[10:11], v[8:9], v[2:5]
	v_cvt_f16_f32_e32 v10, v16
	v_cvt_pkrtz_f16_f32 v8, v12, v13
	v_cvt_pkrtz_f16_f32 v9, v18, v19
	v_mfma_f32_16x16x16_f16 v[2:5], v[6:7], v[50:51], v[2:5]
	v_cvt_f16_f32_e32 v6, v17
	v_cvt_f16_f32_e32 v7, v14
	;; [unrolled: 1-line block ×3, first 2 shown]
	v_mfma_f32_16x16x16_f16 v[2:5], v[8:9], v[52:53], v[2:5]
	s_nop 6
	v_pk_mul_f32 v[4:5], v[4:5], s[4:5] op_sel_hi:[1,0]
	v_pk_mul_f32 v[2:3], v[2:3], s[4:5] op_sel_hi:[1,0]
	v_cvt_f16_f32_e32 v12, v4
	v_cvt_f16_f32_e32 v8, v2
	;; [unrolled: 1-line block ×4, first 2 shown]
	v_pack_b32_f16 v2, v10, v6
	v_pack_b32_f16 v3, v7, v11
	;; [unrolled: 1-line block ×4, first 2 shown]
	ds_write2st64_b64 v55, v[2:3], v[4:5] offset1:1
	s_waitcnt lgkmcnt(0)
	s_barrier
	s_and_saveexec_b64 s[4:5], vcc
	s_cbranch_execz .LBB935_19
; %bb.18:
	s_load_dwordx2 s[0:1], s[0:1], 0x68
	s_lshl_b32 s6, s6, 7
	s_mul_i32 s2, s7, s2
	s_mul_hi_u32 s5, s2, s6
	s_mul_i32 s4, s2, s6
	v_lshlrev_b32_e32 v4, 6, v60
	s_lshl_b64 s[4:5], s[4:5], 1
	v_lshl_or_b32 v0, v0, 10, v4
	s_waitcnt lgkmcnt(0)
	s_add_u32 s4, s0, s4
	v_lshlrev_b32_e32 v2, 5, v1
	v_and_b32_e32 v3, 16, v61
	v_and_b32_e32 v0, 0x1a00, v0
	s_addc_u32 s5, s1, s5
	s_lshl_b32 s2, s10, 7
	v_or3_b32 v0, v0, v2, v3
	s_lshl_b64 s[0:1], s[2:3], 1
	ds_read_b128 v[2:5], v0
	ds_read_b128 v[6:9], v0 offset:128
	s_add_u32 s0, s4, s0
	s_addc_u32 s1, s5, s1
	v_mov_b32_e32 v55, 0
	v_or_b32_e32 v12, s11, v1
	v_lshl_add_u64 v[10:11], s[0:1], 0, v[54:55]
	v_mad_u64_u32 v[0:1], s[0:1], v12, s6, 0
	v_lshl_add_u64 v[0:1], v[0:1], 1, v[10:11]
	s_waitcnt lgkmcnt(1)
	global_store_dwordx4 v[0:1], v[2:5], off
	v_or_b32_e32 v0, 4, v12
	v_mad_u64_u32 v[0:1], s[0:1], v0, s6, 0
	v_lshl_add_u64 v[0:1], v[0:1], 1, v[10:11]
	s_waitcnt lgkmcnt(0)
	global_store_dwordx4 v[0:1], v[6:9], off
.LBB935_19:
	s_endpgm
	.section	.rodata,"a",@progbits
	.p2align	6, 0x0
	.amdhsa_kernel _Z39paged_attention_ll4mi_QKV_mfma16_kernelIDF16_hLN4vllm18Fp8KVCacheDataTypeE1EhLi16ELi128ELi256ELb1ELi8EEvPKT_PKT0_S7_ifPKiS9_S9_iPKfiiiPfSC_PS2_PT2_iSB_SB_
		.amdhsa_group_segment_fixed_size 8192
		.amdhsa_private_segment_fixed_size 0
		.amdhsa_kernarg_size 400
		.amdhsa_user_sgpr_count 2
		.amdhsa_user_sgpr_dispatch_ptr 0
		.amdhsa_user_sgpr_queue_ptr 0
		.amdhsa_user_sgpr_kernarg_segment_ptr 1
		.amdhsa_user_sgpr_dispatch_id 0
		.amdhsa_user_sgpr_kernarg_preload_length 0
		.amdhsa_user_sgpr_kernarg_preload_offset 0
		.amdhsa_user_sgpr_private_segment_size 0
		.amdhsa_uses_dynamic_stack 0
		.amdhsa_enable_private_segment 0
		.amdhsa_system_sgpr_workgroup_id_x 1
		.amdhsa_system_sgpr_workgroup_id_y 1
		.amdhsa_system_sgpr_workgroup_id_z 1
		.amdhsa_system_sgpr_workgroup_info 0
		.amdhsa_system_vgpr_workitem_id 0
		.amdhsa_next_free_vgpr 80
		.amdhsa_next_free_sgpr 48
		.amdhsa_accum_offset 80
		.amdhsa_reserve_vcc 1
		.amdhsa_float_round_mode_32 0
		.amdhsa_float_round_mode_16_64 0
		.amdhsa_float_denorm_mode_32 3
		.amdhsa_float_denorm_mode_16_64 3
		.amdhsa_dx10_clamp 1
		.amdhsa_ieee_mode 1
		.amdhsa_fp16_overflow 0
		.amdhsa_tg_split 0
		.amdhsa_exception_fp_ieee_invalid_op 0
		.amdhsa_exception_fp_denorm_src 0
		.amdhsa_exception_fp_ieee_div_zero 0
		.amdhsa_exception_fp_ieee_overflow 0
		.amdhsa_exception_fp_ieee_underflow 0
		.amdhsa_exception_fp_ieee_inexact 0
		.amdhsa_exception_int_div_zero 0
	.end_amdhsa_kernel
	.section	.text._Z39paged_attention_ll4mi_QKV_mfma16_kernelIDF16_hLN4vllm18Fp8KVCacheDataTypeE1EhLi16ELi128ELi256ELb1ELi8EEvPKT_PKT0_S7_ifPKiS9_S9_iPKfiiiPfSC_PS2_PT2_iSB_SB_,"axG",@progbits,_Z39paged_attention_ll4mi_QKV_mfma16_kernelIDF16_hLN4vllm18Fp8KVCacheDataTypeE1EhLi16ELi128ELi256ELb1ELi8EEvPKT_PKT0_S7_ifPKiS9_S9_iPKfiiiPfSC_PS2_PT2_iSB_SB_,comdat
.Lfunc_end935:
	.size	_Z39paged_attention_ll4mi_QKV_mfma16_kernelIDF16_hLN4vllm18Fp8KVCacheDataTypeE1EhLi16ELi128ELi256ELb1ELi8EEvPKT_PKT0_S7_ifPKiS9_S9_iPKfiiiPfSC_PS2_PT2_iSB_SB_, .Lfunc_end935-_Z39paged_attention_ll4mi_QKV_mfma16_kernelIDF16_hLN4vllm18Fp8KVCacheDataTypeE1EhLi16ELi128ELi256ELb1ELi8EEvPKT_PKT0_S7_ifPKiS9_S9_iPKfiiiPfSC_PS2_PT2_iSB_SB_
                                        ; -- End function
	.section	.AMDGPU.csdata,"",@progbits
; Kernel info:
; codeLenInByte = 6236
; NumSgprs: 54
; NumVgprs: 80
; NumAgprs: 0
; TotalNumVgprs: 80
; ScratchSize: 0
; MemoryBound: 0
; FloatMode: 240
; IeeeMode: 1
; LDSByteSize: 8192 bytes/workgroup (compile time only)
; SGPRBlocks: 6
; VGPRBlocks: 9
; NumSGPRsForWavesPerEU: 54
; NumVGPRsForWavesPerEU: 80
; AccumOffset: 80
; Occupancy: 6
; WaveLimiterHint : 1
; COMPUTE_PGM_RSRC2:SCRATCH_EN: 0
; COMPUTE_PGM_RSRC2:USER_SGPR: 2
; COMPUTE_PGM_RSRC2:TRAP_HANDLER: 0
; COMPUTE_PGM_RSRC2:TGID_X_EN: 1
; COMPUTE_PGM_RSRC2:TGID_Y_EN: 1
; COMPUTE_PGM_RSRC2:TGID_Z_EN: 1
; COMPUTE_PGM_RSRC2:TIDIG_COMP_CNT: 0
; COMPUTE_PGM_RSRC3_GFX90A:ACCUM_OFFSET: 19
; COMPUTE_PGM_RSRC3_GFX90A:TG_SPLIT: 0
	.section	.text._Z39paged_attention_ll4mi_QKV_mfma16_kernelIDF16_hLN4vllm18Fp8KVCacheDataTypeE1EhLi16ELi128ELi256ELb1ELi9EEvPKT_PKT0_S7_ifPKiS9_S9_iPKfiiiPfSC_PS2_PT2_iSB_SB_,"axG",@progbits,_Z39paged_attention_ll4mi_QKV_mfma16_kernelIDF16_hLN4vllm18Fp8KVCacheDataTypeE1EhLi16ELi128ELi256ELb1ELi9EEvPKT_PKT0_S7_ifPKiS9_S9_iPKfiiiPfSC_PS2_PT2_iSB_SB_,comdat
	.protected	_Z39paged_attention_ll4mi_QKV_mfma16_kernelIDF16_hLN4vllm18Fp8KVCacheDataTypeE1EhLi16ELi128ELi256ELb1ELi9EEvPKT_PKT0_S7_ifPKiS9_S9_iPKfiiiPfSC_PS2_PT2_iSB_SB_ ; -- Begin function _Z39paged_attention_ll4mi_QKV_mfma16_kernelIDF16_hLN4vllm18Fp8KVCacheDataTypeE1EhLi16ELi128ELi256ELb1ELi9EEvPKT_PKT0_S7_ifPKiS9_S9_iPKfiiiPfSC_PS2_PT2_iSB_SB_
	.globl	_Z39paged_attention_ll4mi_QKV_mfma16_kernelIDF16_hLN4vllm18Fp8KVCacheDataTypeE1EhLi16ELi128ELi256ELb1ELi9EEvPKT_PKT0_S7_ifPKiS9_S9_iPKfiiiPfSC_PS2_PT2_iSB_SB_
	.p2align	8
	.type	_Z39paged_attention_ll4mi_QKV_mfma16_kernelIDF16_hLN4vllm18Fp8KVCacheDataTypeE1EhLi16ELi128ELi256ELb1ELi9EEvPKT_PKT0_S7_ifPKiS9_S9_iPKfiiiPfSC_PS2_PT2_iSB_SB_,@function
_Z39paged_attention_ll4mi_QKV_mfma16_kernelIDF16_hLN4vllm18Fp8KVCacheDataTypeE1EhLi16ELi128ELi256ELb1ELi9EEvPKT_PKT0_S7_ifPKiS9_S9_iPKfiiiPfSC_PS2_PT2_iSB_SB_: ; @_Z39paged_attention_ll4mi_QKV_mfma16_kernelIDF16_hLN4vllm18Fp8KVCacheDataTypeE1EhLi16ELi128ELi256ELb1ELi9EEvPKT_PKT0_S7_ifPKiS9_S9_iPKfiiiPfSC_PS2_PT2_iSB_SB_
; %bb.0:
	s_load_dwordx2 s[10:11], s[0:1], 0x30
	s_mov_b32 s6, s3
	s_mov_b64 s[8:9], 0
	s_waitcnt lgkmcnt(0)
	s_cmp_lg_u64 s[10:11], 0
	s_cselect_b64 s[12:13], -1, 0
	s_and_b64 vcc, exec, s[12:13]
	s_cbranch_vccz .LBB936_7
; %bb.1:
	s_add_i32 s14, s2, 1
	s_mov_b32 s15, 0
	s_lshl_b64 s[16:17], s[14:15], 2
	s_add_u32 s16, s10, s16
	s_mov_b32 s3, s15
	s_addc_u32 s17, s11, s17
	s_lshl_b64 s[14:15], s[2:3], 2
	s_add_u32 s14, s10, s14
	s_addc_u32 s15, s11, s15
	s_load_dword s5, s[16:17], 0x0
	s_load_dword s7, s[14:15], 0x0
	s_waitcnt lgkmcnt(0)
	s_sub_i32 s5, s5, s7
	s_cmp_eq_u32 s5, 1
	s_cselect_b64 s[14:15], -1, 0
	s_andn2_b64 vcc, exec, s[8:9]
	s_cbranch_vccnz .LBB936_3
.LBB936_2:
	s_mov_b32 s3, 0
	s_mov_b64 s[14:15], -1
.LBB936_3:
	s_andn2_b64 vcc, exec, s[14:15]
	s_cbranch_vccnz .LBB936_20
; %bb.4:
	s_load_dwordx2 s[8:9], s[0:1], 0x28
	s_lshl_b64 s[14:15], s[2:3], 2
	s_waitcnt lgkmcnt(0)
	s_add_u32 s8, s8, s14
	s_addc_u32 s9, s9, s15
	s_load_dword s7, s[8:9], 0x0
	s_lshl_b32 s18, s6, 8
	s_waitcnt lgkmcnt(0)
	s_cmp_ge_i32 s18, s7
	s_cbranch_scc1 .LBB936_20
; %bb.5:
	s_load_dwordx2 s[8:9], s[0:1], 0x20
	s_load_dword s5, s[0:1], 0x38
	s_add_i32 s16, s7, 15
	s_ashr_i32 s17, s16, 31
	v_and_b32_e32 v1, 0xcf, v0
	s_lshr_b32 s17, s17, 28
	v_add_u32_e32 v1, s18, v1
	s_add_i32 s16, s16, s17
	v_ashrrev_i32_e32 v2, 31, v1
	s_ashr_i32 s19, s16, 4
	v_lshrrev_b32_e32 v4, 28, v2
	s_add_i32 s19, s19, -1
	s_waitcnt lgkmcnt(0)
	s_mul_i32 s16, s2, s5
	s_mov_b32 s17, 0
	v_add_u32_e32 v2, v1, v4
	s_lshl_b64 s[16:17], s[16:17], 2
	v_ashrrev_i32_e32 v2, 4, v2
	v_mov_b32_e32 v5, s19
	v_cmp_gt_i32_e32 vcc, s7, v1
	s_add_u32 s8, s8, s16
	s_addc_u32 s9, s9, s17
	v_cndmask_b32_e32 v2, v5, v2, vcc
	v_ashrrev_i32_e32 v3, 31, v2
	v_lshl_add_u64 v[6:7], v[2:3], 2, s[8:9]
	v_or_b32_e32 v2, 16, v1
	v_add_u32_e32 v3, v2, v4
	v_ashrrev_i32_e32 v3, 4, v3
	v_cmp_gt_i32_e32 vcc, s7, v2
	s_load_dwordx2 s[16:17], s[0:1], 0x8
	s_nop 0
	v_cndmask_b32_e32 v2, v5, v3, vcc
	v_ashrrev_i32_e32 v3, 31, v2
	v_lshl_add_u64 v[8:9], v[2:3], 2, s[8:9]
	v_or_b32_e32 v2, 32, v1
	v_add_u32_e32 v3, v2, v4
	v_ashrrev_i32_e32 v3, 4, v3
	v_cmp_gt_i32_e32 vcc, s7, v2
	v_or_b32_e32 v1, 48, v1
	s_nop 0
	v_cndmask_b32_e32 v2, v5, v3, vcc
	v_ashrrev_i32_e32 v3, 31, v2
	v_lshl_add_u64 v[12:13], v[2:3], 2, s[8:9]
	v_add_u32_e32 v2, v1, v4
	v_ashrrev_i32_e32 v2, 4, v2
	v_cmp_gt_i32_e32 vcc, s7, v1
	s_nop 1
	v_cndmask_b32_e32 v2, v5, v2, vcc
	v_ashrrev_i32_e32 v3, 31, v2
	v_lshl_add_u64 v[14:15], v[2:3], 2, s[8:9]
	global_load_dword v4, v[6:7], off
	global_load_dword v3, v[8:9], off
	;; [unrolled: 1-line block ×4, first 2 shown]
	s_andn2_b64 vcc, exec, s[12:13]
	s_cbranch_vccnz .LBB936_8
; %bb.6:
	s_add_u32 s10, s10, s14
	s_addc_u32 s11, s11, s15
	s_load_dword s5, s[10:11], 0x0
	s_branch .LBB936_9
.LBB936_7:
	s_mov_b64 s[14:15], 0
	s_branch .LBB936_2
.LBB936_8:
	s_mov_b32 s5, s2
.LBB936_9:
	s_load_dwordx2 s[10:11], s[0:1], 0x10
	s_load_dwordx4 s[44:47], s[0:1], 0x48
	v_lshrrev_b32_e32 v57, 6, v0
	v_bfe_u32 v60, v0, 4, 2
	v_and_b32_e32 v56, 15, v0
	v_lshl_or_b32 v5, v57, 2, v60
	v_lshlrev_b32_e32 v1, 3, v56
	s_mul_i32 s48, s4, 9
	v_cmp_gt_u32_e32 vcc, 9, v5
	v_lshlrev_b32_e32 v54, 1, v1
	v_lshlrev_b32_e32 v1, 4, v0
	s_and_saveexec_b64 s[12:13], vcc
	s_cbranch_execz .LBB936_11
; %bb.10:
	s_load_dwordx2 s[14:15], s[0:1], 0x0
	s_waitcnt lgkmcnt(0)
	s_ashr_i32 s20, s44, 31
	s_mul_hi_u32 s21, s5, s44
	s_mul_i32 s20, s5, s20
	s_add_i32 s21, s21, s20
	s_mul_i32 s20, s5, s44
	s_lshl_b64 s[20:21], s[20:21], 1
	s_add_u32 s14, s14, s20
	v_add_lshl_u32 v6, v5, s48, 7
	s_addc_u32 s15, s15, s21
	v_ashrrev_i32_e32 v7, 31, v6
	v_lshl_add_u64 v[6:7], v[6:7], 1, s[14:15]
	v_mov_b32_e32 v55, 0
	v_lshl_add_u64 v[6:7], v[6:7], 0, v[54:55]
	global_load_dwordx4 v[6:9], v[6:7], off
	v_lshlrev_b32_e32 v12, 8, v0
	v_lshlrev_b32_e32 v11, 8, v56
	v_and_b32_e32 v12, 0x600, v12
	s_movk_i32 s5, 0x800
	v_and_or_b32 v11, v11, s5, v12
	v_lshlrev_b32_e32 v5, 5, v5
	v_and_b32_e32 v12, 16, v1
	v_or3_b32 v5, v11, v5, v12
	s_waitcnt vmcnt(0)
	ds_write_b128 v5, v[6:9]
.LBB936_11:
	s_or_b64 exec, exec, s[12:13]
	s_waitcnt lgkmcnt(0)
	s_mul_i32 s12, s4, s46
	s_add_u32 s4, s16, s12
	s_addc_u32 s5, s17, 0
	v_and_b32_e32 v58, 0xf0, v1
	v_mov_b32_e32 v59, 0
	v_and_b32_e32 v34, 48, v0
	v_lshl_add_u64 v[12:13], s[4:5], 0, v[58:59]
	v_lshlrev_b32_e32 v58, 4, v34
	s_waitcnt vmcnt(3)
	v_mad_i64_i32 v[4:5], s[4:5], v4, s45, v[12:13]
	v_lshl_add_u64 v[4:5], v[4:5], 0, v[58:59]
	s_barrier
	global_load_dwordx4 v[50:53], v[4:5], off
	global_load_dwordx4 v[46:49], v[4:5], off offset:1024
	s_waitcnt vmcnt(4)
	v_mad_i64_i32 v[4:5], s[4:5], v3, s45, v[12:13]
	s_waitcnt vmcnt(3)
	v_mad_i64_i32 v[2:3], s[4:5], v2, s45, v[12:13]
	v_lshl_add_u64 v[4:5], v[4:5], 0, v[58:59]
	v_lshl_add_u64 v[14:15], v[2:3], 0, v[58:59]
	s_waitcnt vmcnt(2)
	v_mad_i64_i32 v[10:11], s[4:5], v10, s45, v[12:13]
	global_load_dwordx4 v[36:39], v[4:5], off
	global_load_dwordx4 v[6:9], v[4:5], off offset:1024
	s_nop 0
	global_load_dwordx4 v[2:5], v[14:15], off
	global_load_dwordx4 v[42:45], v[14:15], off offset:1024
	v_lshl_add_u64 v[14:15], v[10:11], 0, v[58:59]
	global_load_dwordx4 v[26:29], v[14:15], off
	global_load_dwordx4 v[10:13], v[14:15], off offset:1024
	v_add_u32_e32 v14, -9, v56
	v_cmp_gt_u32_e32 vcc, 9, v56
	v_and_b32_e32 v55, 63, v0
	v_mov_b32_e32 v61, 0
	v_cndmask_b32_e32 v14, v14, v56, vcc
	v_lshlrev_b32_e32 v14, 5, v14
	v_lshl_add_u32 v14, v60, 9, v14
	ds_read_b128 v[30:33], v14
	ds_read_b128 v[22:25], v14 offset:16
	ds_read_b128 v[18:21], v14 offset:2048
	;; [unrolled: 1-line block ×3, first 2 shown]
	s_and_saveexec_b64 s[4:5], vcc
	s_cbranch_execz .LBB936_13
; %bb.12:
	s_load_dwordx2 s[14:15], s[0:1], 0x40
	v_add_u32_e32 v40, s48, v56
	v_ashrrev_i32_e32 v41, 31, v40
	s_waitcnt lgkmcnt(0)
	v_lshl_add_u64 v[40:41], v[40:41], 2, s[14:15]
	global_load_dword v61, v[40:41], off
.LBB936_13:
	s_or_b64 exec, exec, s[4:5]
	v_or_b32_e32 v58, s18, v34
	v_ashrrev_i32_e32 v34, 4, v58
	v_mov_b32_e32 v63, s19
	v_cmp_gt_i32_e32 vcc, s7, v58
	s_waitcnt vmcnt(7)
	v_cvt_pk_f32_fp8_e32 v[40:41], v50
	v_cvt_pk_f32_fp8_sdwa v[64:65], v50 src0_sel:WORD_1
	v_cndmask_b32_e32 v34, v63, v34, vcc
	v_ashrrev_i32_e32 v35, 31, v34
	v_lshl_add_u64 v[34:35], v[34:35], 2, s[8:9]
	global_load_dword v62, v[34:35], off
	v_or_b32_e32 v34, 64, v58
	v_ashrrev_i32_e32 v35, 4, v34
	v_cmp_gt_i32_e32 vcc, s7, v34
	v_or_b32_e32 v66, 0x80, v58
	v_ashrrev_i32_e32 v67, 4, v66
	v_cndmask_b32_e32 v34, v63, v35, vcc
	v_cmp_gt_i32_e32 vcc, s7, v66
	v_cvt_pkrtz_f16_f32 v40, v40, v41
	v_cvt_pkrtz_f16_f32 v41, v64, v65
	v_cndmask_b32_e32 v50, v63, v67, vcc
	v_cvt_pk_f32_fp8_e32 v[64:65], v51
	v_cvt_pk_f32_fp8_sdwa v[66:67], v51 src0_sel:WORD_1
	v_ashrrev_i32_e32 v51, 31, v50
	v_lshl_add_u64 v[68:69], v[50:51], 2, s[8:9]
	v_cvt_pkrtz_f16_f32 v50, v64, v65
	v_cvt_pkrtz_f16_f32 v51, v66, v67
	s_waitcnt lgkmcnt(3)
	v_mfma_f32_16x16x16_f16 v[64:67], v[40:41], v[30:31], 0
	v_cvt_pk_f32_fp8_e32 v[40:41], v52
	v_cvt_pk_f32_fp8_sdwa v[70:71], v52 src0_sel:WORD_1
	s_waitcnt vmcnt(7)
	v_cvt_pk_f32_fp8_e32 v[72:73], v46
	v_mfma_f32_16x16x16_f16 v[64:67], v[50:51], v[32:33], v[64:67]
	v_cvt_pk_f32_fp8_e32 v[50:51], v53
	v_cvt_pkrtz_f16_f32 v40, v40, v41
	v_cvt_pkrtz_f16_f32 v41, v70, v71
	v_cvt_pk_f32_fp8_sdwa v[52:53], v53 src0_sel:WORD_1
	v_cvt_pkrtz_f16_f32 v70, v50, v51
	v_cvt_pk_f32_fp8_sdwa v[74:75], v46 src0_sel:WORD_1
	v_ashrrev_i32_e32 v35, 31, v34
	v_cvt_pkrtz_f16_f32 v71, v52, v53
	s_waitcnt lgkmcnt(2)
	v_mfma_f32_16x16x16_f16 v[50:53], v[40:41], v[22:23], v[64:67]
	v_cvt_pkrtz_f16_f32 v40, v72, v73
	v_cvt_pkrtz_f16_f32 v41, v74, v75
	v_or_b32_e32 v58, 0xc0, v58
	v_cvt_pk_f32_fp8_e32 v[64:65], v47
	v_cvt_pk_f32_fp8_sdwa v[46:47], v47 src0_sel:WORD_1
	v_mfma_f32_16x16x16_f16 v[50:53], v[70:71], v[24:25], v[50:53]
	v_lshl_add_u64 v[34:35], v[34:35], 2, s[8:9]
	v_cvt_pkrtz_f16_f32 v64, v64, v65
	v_cvt_pkrtz_f16_f32 v65, v46, v47
	s_waitcnt lgkmcnt(1)
	v_mfma_f32_16x16x16_f16 v[50:53], v[40:41], v[18:19], v[50:53]
	v_ashrrev_i32_e32 v66, 4, v58
	v_cmp_gt_i32_e32 vcc, s7, v58
	v_cvt_pk_f32_fp8_e32 v[46:47], v48
	s_waitcnt vmcnt(6)
	v_cvt_pk_f32_fp8_sdwa v[70:71], v36 src0_sel:WORD_1
	v_cndmask_b32_e32 v40, v63, v66, vcc
	v_mfma_f32_16x16x16_f16 v[64:67], v[64:65], v[20:21], v[50:53]
	v_ashrrev_i32_e32 v41, 31, v40
	v_lshl_add_u64 v[40:41], v[40:41], 2, s[8:9]
	v_cvt_pkrtz_f16_f32 v46, v46, v47
	global_load_dword v53, v[34:35], off
	global_load_dword v63, v[40:41], off
	v_cvt_pk_f32_fp8_sdwa v[50:51], v48 src0_sel:WORD_1
	v_cvt_pk_f32_fp8_e32 v[34:35], v49
	v_cvt_pk_f32_fp8_sdwa v[48:49], v49 src0_sel:WORD_1
	s_add_u32 s46, s10, s12
	v_cvt_pkrtz_f16_f32 v47, v50, v51
	v_cvt_pkrtz_f16_f32 v34, v34, v35
	;; [unrolled: 1-line block ×3, first 2 shown]
	s_waitcnt lgkmcnt(0)
	v_mfma_f32_16x16x16_f16 v[46:49], v[46:47], v[14:15], v[64:67]
	v_cvt_pk_f32_fp8_e32 v[50:51], v36
	s_nop 1
	global_load_dword v64, v[68:69], off
	v_cvt_pk_f32_fp8_e32 v[66:67], v37
	s_waitcnt vmcnt(8)
	v_cvt_pk_f32_fp8_e32 v[68:69], v6
	v_cvt_pkrtz_f16_f32 v50, v50, v51
	v_cvt_pkrtz_f16_f32 v51, v70, v71
	v_cvt_pk_f32_fp8_sdwa v[70:71], v37 src0_sel:WORD_1
	v_cvt_pkrtz_f16_f32 v40, v66, v67
	v_mfma_f32_16x16x16_f16 v[34:37], v[34:35], v[16:17], v[46:49]
	v_cvt_pk_f32_fp8_sdwa v[66:67], v38 src0_sel:WORD_1
	v_cvt_pkrtz_f16_f32 v41, v70, v71
	v_cvt_pk_f32_fp8_sdwa v[70:71], v6 src0_sel:WORD_1
	v_mfma_f32_16x16x16_f16 v[46:49], v[50:51], v[30:31], 0
	v_cvt_pk_f32_fp8_e32 v[50:51], v38
	v_lshl_or_b32 v52, v57, 4, v56
	s_waitcnt vmcnt(6)
	v_cvt_pk_f32_fp8_e32 v[72:73], v43
	v_mfma_f32_16x16x16_f16 v[46:49], v[40:41], v[32:33], v[46:49]
	v_cvt_pk_f32_fp8_e32 v[40:41], v39
	v_cvt_pkrtz_f16_f32 v50, v50, v51
	v_cvt_pkrtz_f16_f32 v51, v66, v67
	v_cvt_pk_f32_fp8_sdwa v[38:39], v39 src0_sel:WORD_1
	v_cvt_pkrtz_f16_f32 v66, v40, v41
	s_addc_u32 s47, s11, 0
	v_lshlrev_b32_e32 v58, 4, v52
	v_cvt_pkrtz_f16_f32 v67, v38, v39
	v_mfma_f32_16x16x16_f16 v[38:41], v[50:51], v[22:23], v[46:49]
	v_cvt_pk_f32_fp8_sdwa v[50:51], v2 src0_sel:WORD_1
	s_nop 1
	v_cvt_pkrtz_f16_f32 v46, v68, v69
	v_cvt_pkrtz_f16_f32 v47, v70, v71
	v_cvt_pk_f32_fp8_e32 v[48:49], v7
	v_cvt_pk_f32_fp8_sdwa v[6:7], v7 src0_sel:WORD_1
	v_mfma_f32_16x16x16_f16 v[38:41], v[66:67], v[24:25], v[38:41]
	v_lshl_add_u64 v[70:71], s[46:47], 0, v[58:59]
	v_cvt_pkrtz_f16_f32 v48, v48, v49
	v_cvt_pkrtz_f16_f32 v49, v6, v7
	v_mfma_f32_16x16x16_f16 v[38:41], v[46:47], v[18:19], v[38:41]
	v_cvt_pk_f32_fp8_e32 v[6:7], v8
	v_cvt_pk_f32_fp8_sdwa v[46:47], v8 src0_sel:WORD_1
	v_or_b32_e32 v58, 0x400, v58
	v_mfma_f32_16x16x16_f16 v[38:41], v[48:49], v[20:21], v[38:41]
	v_cvt_pk_f32_fp8_e32 v[48:49], v9
	v_cvt_pkrtz_f16_f32 v6, v6, v7
	v_cvt_pkrtz_f16_f32 v7, v46, v47
	v_cvt_pk_f32_fp8_sdwa v[8:9], v9 src0_sel:WORD_1
	v_cvt_pkrtz_f16_f32 v46, v48, v49
	v_cvt_pk_f32_fp8_e32 v[48:49], v2
	v_cvt_pkrtz_f16_f32 v47, v8, v9
	v_mfma_f32_16x16x16_f16 v[6:9], v[6:7], v[14:15], v[38:41]
	v_cvt_pkrtz_f16_f32 v48, v48, v49
	v_cvt_pkrtz_f16_f32 v49, v50, v51
	v_cvt_pk_f32_fp8_e32 v[50:51], v3
	v_cvt_pk_f32_fp8_sdwa v[2:3], v3 src0_sel:WORD_1
	v_mfma_f32_16x16x16_f16 v[38:41], v[46:47], v[16:17], v[6:9]
	v_cvt_pkrtz_f16_f32 v46, v50, v51
	v_cvt_pkrtz_f16_f32 v47, v2, v3
	v_mfma_f32_16x16x16_f16 v[6:9], v[48:49], v[30:31], 0
	v_cvt_pk_f32_fp8_e32 v[2:3], v4
	v_cvt_pk_f32_fp8_sdwa v[48:49], v4 src0_sel:WORD_1
	s_waitcnt vmcnt(3)
	v_mad_i64_i32 v[50:51], s[4:5], v62, s45, v[70:71]
	v_cvt_pkrtz_f16_f32 v2, v2, v3
	v_cvt_pkrtz_f16_f32 v3, v48, v49
	v_mfma_f32_16x16x16_f16 v[6:9], v[46:47], v[32:33], v[6:9]
	v_cvt_pk_f32_fp8_e32 v[46:47], v5
	v_cvt_pk_f32_fp8_sdwa v[4:5], v5 src0_sel:WORD_1
	s_waitcnt vmcnt(2)
	v_mad_i64_i32 v[66:67], s[4:5], v53, s45, v[70:71]
	v_cvt_pkrtz_f16_f32 v46, v46, v47
	v_cvt_pkrtz_f16_f32 v47, v4, v5
	v_mfma_f32_16x16x16_f16 v[2:5], v[2:3], v[22:23], v[6:9]
	s_nop 2
	v_cvt_pk_f32_fp8_e32 v[6:7], v42
	v_cvt_pk_f32_fp8_sdwa v[8:9], v42 src0_sel:WORD_1
	v_cvt_pk_f32_fp8_sdwa v[42:43], v43 src0_sel:WORD_1
	v_mfma_f32_16x16x16_f16 v[46:49], v[46:47], v[24:25], v[2:5]
	v_cvt_pkrtz_f16_f32 v68, v6, v7
	v_cvt_pkrtz_f16_f32 v69, v8, v9
	global_load_dwordx4 v[6:9], v[50:51], off
	global_load_dwordx4 v[2:5], v[66:67], off
	v_cvt_pkrtz_f16_f32 v66, v72, v73
	v_cvt_pkrtz_f16_f32 v67, v42, v43
	v_mfma_f32_16x16x16_f16 v[48:51], v[68:69], v[18:19], v[46:49]
	v_cvt_pk_f32_fp8_e32 v[42:43], v44
	v_cvt_pk_f32_fp8_sdwa v[72:73], v44 src0_sel:WORD_1
	s_waitcnt vmcnt(2)
	v_mad_i64_i32 v[46:47], s[4:5], v64, s45, v[70:71]
	v_mfma_f32_16x16x16_f16 v[66:69], v[66:67], v[20:21], v[48:51]
	v_cvt_pkrtz_f16_f32 v42, v42, v43
	v_cvt_pkrtz_f16_f32 v43, v72, v73
	v_cvt_pk_f32_fp8_sdwa v[72:73], v26 src0_sel:WORD_1
	v_cvt_pk_f32_fp8_e32 v[50:51], v45
	v_cvt_pk_f32_fp8_sdwa v[44:45], v45 src0_sel:WORD_1
	v_mad_i64_i32 v[48:49], s[4:5], v63, s45, v[70:71]
	v_cvt_pkrtz_f16_f32 v50, v50, v51
	v_cvt_pkrtz_f16_f32 v51, v44, v45
	v_mfma_f32_16x16x16_f16 v[42:45], v[42:43], v[14:15], v[66:69]
	v_cvt_pk_f32_fp8_e32 v[70:71], v26
	s_load_dword s4, s[0:1], 0x1c
	s_load_dwordx4 s[40:43], s[0:1], 0x80
	s_load_dword s33, s[0:1], 0x98
	s_waitcnt lgkmcnt(0)
	s_load_dword s5, s[40:41], 0x0
	v_mfma_f32_16x16x16_f16 v[66:69], v[50:51], v[16:17], v[42:45]
	s_mov_b32 s40, 0xff7fffff
	s_nop 1
	v_cvt_pk_f32_fp8_e32 v[42:43], v27
	v_cvt_pkrtz_f16_f32 v44, v70, v71
	v_cvt_pkrtz_f16_f32 v45, v72, v73
	v_cvt_pk_f32_fp8_sdwa v[26:27], v27 src0_sel:WORD_1
	v_cvt_pkrtz_f16_f32 v50, v42, v43
	v_cvt_pk_f32_fp8_e32 v[70:71], v28
	v_cvt_pk_f32_fp8_sdwa v[72:73], v28 src0_sel:WORD_1
	v_cvt_pkrtz_f16_f32 v51, v26, v27
	v_mfma_f32_16x16x16_f16 v[42:45], v[44:45], v[30:31], 0
	v_cvt_pkrtz_f16_f32 v30, v70, v71
	v_cvt_pkrtz_f16_f32 v31, v72, v73
	v_cvt_pk_f32_fp8_e32 v[70:71], v29
	v_cvt_pk_f32_fp8_sdwa v[72:73], v29 src0_sel:WORD_1
	v_mfma_f32_16x16x16_f16 v[26:29], v[50:51], v[32:33], v[42:45]
	v_mov_b32_e32 v32, s4
	s_waitcnt lgkmcnt(0)
	v_mul_f32_e32 v50, s5, v32
	v_pk_mul_f32 v[32:33], v[50:51], v[34:35] op_sel_hi:[0,1]
	v_cvt_pkrtz_f16_f32 v42, v70, v71
	v_cvt_pkrtz_f16_f32 v43, v72, v73
	v_mfma_f32_16x16x16_f16 v[26:29], v[30:31], v[22:23], v[26:29]
	v_pk_mul_f32 v[30:31], v[50:51], v[36:37] op_sel_hi:[0,1]
	v_cvt_pk_f32_fp8_e32 v[22:23], v10
	v_cvt_pk_f32_fp8_sdwa v[70:71], v12 src0_sel:WORD_1
	v_mfma_f32_16x16x16_f16 v[34:37], v[42:43], v[24:25], v[26:29]
	v_cvt_pk_f32_fp8_sdwa v[24:25], v10 src0_sel:WORD_1
	v_cvt_pkrtz_f16_f32 v42, v22, v23
	v_pk_mul_f32 v[40:41], v[50:51], v[40:41] op_sel_hi:[0,1]
	v_cvt_pk_f32_fp8_e32 v[26:27], v11
	v_cvt_pk_f32_fp8_sdwa v[10:11], v11 src0_sel:WORD_1
	v_cvt_pkrtz_f16_f32 v43, v24, v25
	v_cvt_pkrtz_f16_f32 v44, v26, v27
	;; [unrolled: 1-line block ×3, first 2 shown]
	v_cvt_pk_f32_fp8_e32 v[10:11], v12
	v_mfma_f32_16x16x16_f16 v[34:37], v[42:43], v[18:19], v[34:37]
	global_load_dwordx4 v[26:29], v[46:47], off
	global_load_dwordx4 v[22:25], v[48:49], off
	v_cvt_pkrtz_f16_f32 v19, v70, v71
	v_cvt_pkrtz_f16_f32 v18, v10, v11
	v_cvt_pk_f32_fp8_e32 v[42:43], v13
	v_cvt_pk_f32_fp8_sdwa v[46:47], v13 src0_sel:WORD_1
	v_mfma_f32_16x16x16_f16 v[10:13], v[44:45], v[20:21], v[34:37]
	v_pk_mul_f32 v[44:45], v[50:51], v[38:39] op_sel_hi:[0,1]
	v_cvt_pkrtz_f16_f32 v20, v42, v43
	v_cvt_pkrtz_f16_f32 v21, v46, v47
	v_mfma_f32_16x16x16_f16 v[10:13], v[18:19], v[14:15], v[10:13]
	v_pk_mul_f32 v[38:39], v[50:51], v[68:69] op_sel_hi:[0,1]
	v_pk_mul_f32 v[42:43], v[50:51], v[66:67] op_sel_hi:[0,1]
	v_mfma_f32_16x16x16_f16 v[10:13], v[20:21], v[16:17], v[10:13]
	s_nop 6
	v_pk_mul_f32 v[36:37], v[50:51], v[10:11] op_sel_hi:[0,1]
	v_and_b32_e32 v10, 0xc0, v0
	v_add_u32_e32 v10, s18, v10
	v_lshl_or_b32 v10, v60, 2, v10
	v_or_b32_e32 v11, 1, v10
	v_pk_mul_f32 v[34:35], v[50:51], v[12:13] op_sel_hi:[0,1]
	v_subrev_u32_e32 v12, s7, v11
	v_add_u32_e32 v14, 1, v12
	v_add_u32_e32 v15, 2, v12
	v_cvt_f32_i32_e32 v13, v12
	v_cvt_f32_i32_e32 v14, v14
	;; [unrolled: 1-line block ×3, first 2 shown]
	v_add_u32_e32 v16, 3, v12
	v_fma_f32 v18, v61, v13, v32
	v_fmac_f32_e32 v33, v61, v14
	v_fma_f32 v48, v61, v15, v30
	v_add_u32_e32 v13, 16, v12
	v_add_u32_e32 v14, 17, v12
	;; [unrolled: 1-line block ×3, first 2 shown]
	v_cvt_f32_i32_e32 v16, v16
	v_cvt_f32_i32_e32 v13, v13
	;; [unrolled: 1-line block ×4, first 2 shown]
	v_fmac_f32_e32 v31, v61, v16
	v_add_u32_e32 v16, 19, v12
	v_fma_f32 v44, v61, v13, v44
	v_fmac_f32_e32 v45, v61, v14
	v_fma_f32 v40, v61, v15, v40
	v_add_u32_e32 v13, 32, v12
	v_add_u32_e32 v14, 33, v12
	;; [unrolled: 1-line block ×3, first 2 shown]
	v_cvt_f32_i32_e32 v16, v16
	v_cvt_f32_i32_e32 v13, v13
	v_cvt_f32_i32_e32 v14, v14
	v_cvt_f32_i32_e32 v15, v15
	v_fmac_f32_e32 v41, v61, v16
	v_add_u32_e32 v16, 35, v12
	v_fma_f32 v42, v61, v13, v42
	v_fmac_f32_e32 v43, v61, v14
	v_fma_f32 v38, v61, v15, v38
	v_add_u32_e32 v13, 48, v12
	v_add_u32_e32 v14, 49, v12
	;; [unrolled: 1-line block ×4, first 2 shown]
	v_cvt_f32_i32_e32 v12, v12
	v_cvt_f32_i32_e32 v13, v13
	v_cvt_f32_i32_e32 v14, v14
	v_cmp_gt_i32_e64 s[8:9], s7, v10
	v_fmac_f32_e32 v35, v61, v12
	v_mov_b32_e32 v12, 0xff7fffff
	v_cmp_gt_i32_e64 s[10:11], s7, v11
	v_fma_f32 v36, v61, v13, v36
	v_cndmask_b32_e64 v13, v12, v18, s[8:9]
	v_cndmask_b32_e64 v11, v12, v33, s[10:11]
	v_fmac_f32_e32 v37, v61, v14
	v_max3_f32 v11, v13, s40, v11
	v_or_b32_e32 v13, 2, v10
	v_or_b32_e32 v14, 3, v10
	v_cmp_gt_i32_e64 s[12:13], s7, v13
	v_cmp_gt_i32_e64 s[14:15], s7, v14
	v_cvt_f32_i32_e32 v16, v16
	v_cndmask_b32_e64 v13, v12, v48, s[12:13]
	v_cndmask_b32_e64 v14, v12, v31, s[14:15]
	v_max3_f32 v11, v11, v13, v14
	v_or_b32_e32 v13, 16, v10
	v_or_b32_e32 v14, 17, v10
	v_cmp_gt_i32_e64 s[16:17], s7, v13
	v_cmp_gt_i32_e64 s[18:19], s7, v14
	v_fmac_f32_e32 v39, v61, v16
	v_cndmask_b32_e64 v13, v12, v44, s[16:17]
	v_cndmask_b32_e64 v14, v12, v45, s[18:19]
	v_max3_f32 v11, v11, v13, v14
	v_or_b32_e32 v13, 18, v10
	v_or_b32_e32 v14, 19, v10
	v_cmp_gt_i32_e64 s[20:21], s7, v13
	v_cmp_gt_i32_e64 s[22:23], s7, v14
	v_cvt_f32_i32_e32 v15, v15
	v_cndmask_b32_e64 v13, v12, v40, s[20:21]
	v_cndmask_b32_e64 v14, v12, v41, s[22:23]
	v_max3_f32 v11, v11, v13, v14
	v_or_b32_e32 v13, 32, v10
	v_or_b32_e32 v14, 33, v10
	v_cmp_gt_i32_e64 s[24:25], s7, v13
	v_cmp_gt_i32_e64 s[26:27], s7, v14
	v_fma_f32 v34, v61, v15, v34
	v_cndmask_b32_e64 v13, v12, v42, s[24:25]
	v_cndmask_b32_e64 v14, v12, v43, s[26:27]
	v_max3_f32 v11, v11, v13, v14
	v_or_b32_e32 v13, 34, v10
	v_or_b32_e32 v14, 35, v10
	v_cmp_gt_i32_e64 s[28:29], s7, v13
	v_cmp_gt_i32_e64 s[30:31], s7, v14
	s_nop 0
	v_cndmask_b32_e64 v13, v12, v38, s[28:29]
	v_cndmask_b32_e64 v14, v12, v39, s[30:31]
	v_max3_f32 v11, v11, v13, v14
	v_or_b32_e32 v13, 48, v10
	v_or_b32_e32 v14, 49, v10
	v_cmp_gt_i32_e64 s[34:35], s7, v13
	v_cmp_gt_i32_e64 s[36:37], s7, v14
	s_nop 0
	v_cndmask_b32_e64 v13, v12, v36, s[34:35]
	v_cndmask_b32_e64 v14, v12, v37, s[36:37]
	v_max3_f32 v11, v11, v13, v14
	v_or_b32_e32 v13, 50, v10
	v_or_b32_e32 v10, 51, v10
	v_cmp_gt_i32_e32 vcc, s7, v13
	v_cmp_gt_i32_e64 s[4:5], s7, v10
	s_nop 0
	v_cndmask_b32_e32 v13, v12, v34, vcc
	v_cndmask_b32_e64 v10, v12, v35, s[4:5]
	v_max3_f32 v14, v11, v13, v10
	v_mbcnt_lo_u32_b32 v10, -1, 0
	v_mbcnt_hi_u32_b32 v15, -1, v10
	v_and_b32_e32 v10, 64, v15
	v_add_u32_e32 v16, 64, v10
	v_xor_b32_e32 v10, 32, v15
	v_cmp_lt_i32_e64 s[38:39], v10, v16
	s_nop 1
	v_cndmask_b32_e64 v10, v15, v10, s[38:39]
	v_lshlrev_b32_e32 v51, 2, v10
	ds_bpermute_b32 v17, v51, v14
	v_lshl_add_u64 v[10:11], s[46:47], 0, v[58:59]
	v_mad_i64_i32 v[12:13], s[38:39], v62, s45, v[10:11]
	s_waitcnt lgkmcnt(0)
	v_max_f32_e32 v17, v17, v17
	v_max_f32_e32 v19, v14, v17
	v_xor_b32_e32 v14, 16, v15
	v_cmp_lt_i32_e64 s[38:39], v14, v16
	s_nop 1
	v_cndmask_b32_e64 v14, v15, v14, s[38:39]
	v_lshlrev_b32_e32 v58, 2, v14
	ds_bpermute_b32 v20, v58, v19
	v_mad_i64_i32 v[14:15], s[38:39], v53, s45, v[10:11]
	v_mad_i64_i32 v[16:17], s[38:39], v64, s45, v[10:11]
	s_waitcnt lgkmcnt(0)
	v_max_f32_e32 v20, v20, v20
	v_max_f32_e32 v50, v19, v20
	v_sub_f32_e32 v18, v18, v50
	v_sub_f32_e32 v19, v33, v50
	v_mul_f32_e32 v18, 0x3fb8aa3b, v18
	v_mul_f32_e32 v19, 0x3fb8aa3b, v19
	v_exp_f32_e32 v18, v18
	v_exp_f32_e32 v19, v19
	v_sub_f32_e32 v49, v31, v50
	v_mad_i64_i32 v[10:11], s[38:39], v63, s45, v[10:11]
	v_cndmask_b32_e64 v46, 0, v18, s[8:9]
	v_cndmask_b32_e64 v47, 0, v19, s[10:11]
	global_load_dwordx4 v[30:33], v[12:13], off
	global_load_dwordx4 v[18:21], v[14:15], off
	v_sub_f32_e32 v12, v48, v50
	v_mul_f32_e32 v12, 0x3fb8aa3b, v12
	v_exp_f32_e32 v48, v12
	global_load_dwordx4 v[14:17], v[16:17], off
	s_nop 0
	global_load_dwordx4 v[10:13], v[10:11], off
	v_sub_f32_e32 v40, v40, v50
	v_sub_f32_e32 v42, v42, v50
	v_mul_f32_e32 v40, 0x3fb8aa3b, v40
	v_mul_f32_e32 v42, 0x3fb8aa3b, v42
	v_exp_f32_e32 v40, v40
	v_exp_f32_e32 v53, v42
	v_mul_f32_e32 v49, 0x3fb8aa3b, v49
	v_sub_f32_e32 v44, v44, v50
	v_exp_f32_e32 v49, v49
	v_mul_f32_e32 v44, 0x3fb8aa3b, v44
	v_sub_f32_e32 v45, v45, v50
	v_sub_f32_e32 v42, v43, v50
	v_exp_f32_e32 v44, v44
	v_mul_f32_e32 v45, 0x3fb8aa3b, v45
	v_mul_f32_e32 v42, 0x3fb8aa3b, v42
	v_exp_f32_e32 v45, v45
	v_sub_f32_e32 v41, v41, v50
	v_exp_f32_e32 v59, v42
	v_cndmask_b32_e64 v42, 0, v40, s[20:21]
	v_cndmask_b32_e64 v40, 0, v53, s[24:25]
	v_add_f32_e32 v53, 0, v46
	v_cndmask_b32_e64 v48, 0, v48, s[12:13]
	v_mul_f32_e32 v41, 0x3fb8aa3b, v41
	v_add_f32_e32 v53, v53, v47
	v_cndmask_b32_e64 v49, 0, v49, s[14:15]
	v_exp_f32_e32 v41, v41
	v_add_f32_e32 v53, v53, v48
	v_cndmask_b32_e64 v44, 0, v44, s[16:17]
	v_sub_f32_e32 v38, v38, v50
	v_add_f32_e32 v53, v53, v49
	v_cndmask_b32_e64 v45, 0, v45, s[18:19]
	v_sub_f32_e32 v39, v39, v50
	v_mul_f32_e32 v38, 0x3fb8aa3b, v38
	v_add_f32_e32 v53, v53, v44
	v_exp_f32_e32 v38, v38
	v_mul_f32_e32 v39, 0x3fb8aa3b, v39
	v_sub_f32_e32 v36, v36, v50
	v_add_f32_e32 v53, v53, v45
	v_cndmask_b32_e64 v43, 0, v41, s[22:23]
	v_exp_f32_e32 v39, v39
	v_mul_f32_e32 v36, 0x3fb8aa3b, v36
	v_sub_f32_e32 v37, v37, v50
	v_add_f32_e32 v53, v53, v42
	v_exp_f32_e32 v36, v36
	v_mul_f32_e32 v37, 0x3fb8aa3b, v37
	v_add_f32_e32 v53, v53, v43
	v_sub_f32_e32 v34, v34, v50
	v_cndmask_b32_e64 v41, 0, v59, s[26:27]
	v_exp_f32_e32 v37, v37
	v_add_f32_e32 v53, v53, v40
	v_mul_f32_e32 v34, 0x3fb8aa3b, v34
	v_sub_f32_e32 v35, v35, v50
	v_cndmask_b32_e64 v38, 0, v38, s[28:29]
	v_add_f32_e32 v53, v53, v41
	v_exp_f32_e32 v34, v34
	v_mul_f32_e32 v35, 0x3fb8aa3b, v35
	v_cndmask_b32_e64 v39, 0, v39, s[30:31]
	v_add_f32_e32 v53, v53, v38
	v_exp_f32_e32 v35, v35
	v_cndmask_b32_e64 v36, 0, v36, s[34:35]
	v_add_f32_e32 v53, v53, v39
	v_cndmask_b32_e64 v37, 0, v37, s[36:37]
	v_add_f32_e32 v53, v53, v36
	v_add_f32_e32 v53, v53, v37
	v_cndmask_b32_e32 v34, 0, v34, vcc
	v_add_f32_e32 v53, v53, v34
	v_cndmask_b32_e64 v35, 0, v35, s[4:5]
	v_add_f32_e32 v53, v53, v35
	ds_bpermute_b32 v51, v51, v53
	v_cmp_gt_u32_e64 s[4:5], 16, v55
	s_waitcnt lgkmcnt(0)
	s_barrier
	v_add_f32_e32 v51, v53, v51
	ds_bpermute_b32 v53, v58, v51
	s_and_saveexec_b64 s[8:9], s[4:5]
	s_cbranch_execz .LBB936_15
; %bb.14:
	s_waitcnt lgkmcnt(0)
	v_add_f32_e32 v51, v51, v53
	v_lshlrev_b32_e32 v52, 2, v52
	ds_write2st64_b32 v52, v50, v51 offset1:1
.LBB936_15:
	s_or_b64 exec, exec, s[8:9]
	v_lshlrev_b32_e32 v51, 2, v56
	s_load_dword s7, s[0:1], 0x94
	s_waitcnt lgkmcnt(0)
	s_barrier
	ds_read2_b32 v[52:53], v51 offset1:16
	ds_read2_b32 v[58:59], v51 offset0:32 offset1:48
	ds_read2_b32 v[62:63], v51 offset0:64 offset1:80
	s_mul_i32 s10, s33, 9
	s_waitcnt lgkmcnt(2)
	v_max3_f32 v50, v52, s40, v53
	s_waitcnt lgkmcnt(1)
	v_max3_f32 v50, v50, v58, v59
	v_sub_f32_e32 v52, v52, v50
	v_mul_f32_e32 v52, 0x3fb8aa3b, v52
	v_exp_f32_e32 v55, v52
	v_sub_f32_e32 v52, v53, v50
	v_mul_f32_e32 v52, 0x3fb8aa3b, v52
	v_exp_f32_e32 v61, v52
	;; [unrolled: 3-line block ×3, first 2 shown]
	ds_read2_b32 v[52:53], v51 offset0:96 offset1:112
	v_sub_f32_e32 v51, v59, v50
	v_mul_f32_e32 v51, 0x3fb8aa3b, v51
	v_exp_f32_e32 v59, v51
	s_waitcnt lgkmcnt(1)
	v_fma_f32 v51, v55, v62, 0
	v_fmac_f32_e32 v51, v61, v63
	s_waitcnt lgkmcnt(0)
	v_fmac_f32_e32 v51, v58, v52
	v_fmac_f32_e32 v51, v59, v53
	v_add_f32_e32 v52, 0x358637bd, v51
	v_div_scale_f32 v53, s[8:9], v52, v52, 1.0
	v_rcp_f32_e32 v62, v53
	s_barrier
	v_fma_f32 v63, -v53, v62, 1.0
	v_fmac_f32_e32 v62, v63, v62
	v_div_scale_f32 v63, vcc, 1.0, v52, 1.0
	v_mul_f32_e32 v64, v63, v62
	v_fma_f32 v65, -v53, v64, v63
	v_fmac_f32_e32 v64, v65, v62
	v_fma_f32 v53, -v53, v64, v63
	v_div_fmas_f32 v53, v53, v62, v64
	v_cmp_eq_u32_e32 vcc, 1, v57
	v_div_fixup_f32 v52, v53, v52, 1.0
	s_nop 0
	v_cndmask_b32_e32 v53, v55, v61, vcc
	v_cmp_eq_u32_e32 vcc, 2, v57
	s_nop 1
	v_cndmask_b32_e32 v53, v53, v58, vcc
	v_cmp_eq_u32_e32 vcc, 3, v57
	s_nop 1
	v_cndmask_b32_e32 v53, v53, v59, vcc
	v_mul_f32_e32 v52, v53, v52
	v_pk_mul_f32 v[48:49], v[52:53], v[48:49] op_sel_hi:[0,1]
	v_pk_mul_f32 v[46:47], v[52:53], v[46:47] op_sel_hi:[0,1]
	v_cvt_f16_f32_e32 v53, v48
	v_cvt_f16_f32_e32 v49, v49
	;; [unrolled: 1-line block ×4, first 2 shown]
	v_pk_mul_f32 v[42:43], v[52:53], v[42:43] op_sel_hi:[0,1]
	v_pk_mul_f32 v[44:45], v[52:53], v[44:45] op_sel_hi:[0,1]
	v_pack_b32_f16 v49, v53, v49
	v_cvt_f16_f32_e32 v44, v44
	v_cvt_f16_f32_e32 v45, v45
	;; [unrolled: 1-line block ×4, first 2 shown]
	v_pack_b32_f16 v48, v46, v47
	v_lshlrev_b32_e32 v47, 3, v60
	v_lshlrev_b32_e32 v46, 5, v56
	;; [unrolled: 1-line block ×3, first 2 shown]
	v_or3_b32 v55, v42, v46, v47
	v_pack_b32_f16 v42, v44, v45
	v_pack_b32_f16 v43, v53, v43
	v_pk_mul_f32 v[38:39], v[52:53], v[38:39] op_sel_hi:[0,1]
	v_pk_mul_f32 v[40:41], v[52:53], v[40:41] op_sel_hi:[0,1]
	;; [unrolled: 1-line block ×4, first 2 shown]
	ds_write2st64_b64 v55, v[48:49], v[42:43] offset1:1
	v_cvt_f16_f32_e32 v40, v40
	v_cvt_f16_f32_e32 v41, v41
	;; [unrolled: 1-line block ×8, first 2 shown]
	v_pack_b32_f16 v34, v40, v41
	v_pack_b32_f16 v35, v38, v39
	;; [unrolled: 1-line block ×4, first 2 shown]
	v_cmp_gt_u32_e32 vcc, 9, v0
	ds_write2st64_b64 v55, v[34:35], v[36:37] offset0:2 offset1:3
	s_and_saveexec_b64 s[8:9], vcc
	s_cbranch_execz .LBB936_17
; %bb.16:
	s_mov_b32 s49, 0
	v_mov_b32_e32 v57, 0
	v_lshl_add_u64 v[34:35], s[48:49], 0, v[56:57]
	v_mov_b32_e32 v36, s10
	v_mad_u64_u32 v[34:35], s[16:17], s2, v36, v[34:35]
	s_mul_i32 s3, s3, s10
	v_mov_b32_e32 v36, s6
	v_mov_b32_e32 v37, v57
	s_load_dwordx4 s[12:15], s[0:1], 0x58
	v_add_u32_e32 v38, s3, v35
	v_mad_u64_u32 v[34:35], s[16:17], v34, s7, v[36:37]
	v_mov_b32_e32 v36, v35
	v_mad_u64_u32 v[36:37], s[16:17], v38, s7, v[36:37]
	v_mov_b32_e32 v35, v36
	v_lshlrev_b64 v[34:35], 2, v[34:35]
	s_waitcnt lgkmcnt(0)
	v_lshl_add_u64 v[36:37], s[14:15], 0, v[34:35]
	v_lshl_add_u64 v[34:35], s[12:13], 0, v[34:35]
	global_store_dword v[36:37], v50, off
	global_store_dword v[34:35], v51, off
.LBB936_17:
	s_or_b64 exec, exec, s[8:9]
	s_waitcnt vmcnt(7)
	v_cvt_pk_f32_fp8_e32 v[34:35], v6
	v_cvt_pk_f32_fp8_sdwa v[36:37], v6 src0_sel:WORD_1
	v_lshl_or_b32 v50, v60, 9, v46
	s_waitcnt lgkmcnt(0)
	s_barrier
	v_cvt_pk_f32_fp8_e32 v[38:39], v7
	v_cvt_pkrtz_f16_f32 v6, v34, v35
	v_cvt_pk_f32_fp8_sdwa v[40:41], v7 src0_sel:WORD_1
	v_cvt_pkrtz_f16_f32 v7, v36, v37
	ds_read_b128 v[34:37], v50
	v_cvt_pkrtz_f16_f32 v46, v38, v39
	v_cvt_pkrtz_f16_f32 v47, v40, v41
	ds_read_b128 v[38:41], v50 offset:16
	v_cvt_pk_f32_fp8_e32 v[48:49], v8
	v_cvt_pk_f32_fp8_sdwa v[52:53], v8 src0_sel:WORD_1
	s_waitcnt lgkmcnt(1)
	v_mfma_f32_16x16x16_f16 v[42:45], v[6:7], v[34:35], 0
	s_waitcnt vmcnt(6)
	v_cvt_pk_f32_fp8_e32 v[58:59], v4
	v_cvt_pkrtz_f16_f32 v6, v48, v49
	v_cvt_pkrtz_f16_f32 v7, v52, v53
	v_cvt_pk_f32_fp8_e32 v[48:49], v9
	v_mfma_f32_16x16x16_f16 v[42:45], v[46:47], v[36:37], v[42:45]
	v_cvt_pk_f32_fp8_sdwa v[46:47], v9 src0_sel:WORD_1
	v_cvt_pk_f32_fp8_sdwa v[62:63], v4 src0_sel:WORD_1
	v_cvt_pkrtz_f16_f32 v48, v48, v49
	s_waitcnt lgkmcnt(0)
	v_mfma_f32_16x16x16_f16 v[6:9], v[6:7], v[38:39], v[42:45]
	v_cvt_pkrtz_f16_f32 v49, v46, v47
	s_waitcnt vmcnt(5)
	v_cvt_pk_f32_fp8_sdwa v[66:67], v28 src0_sel:WORD_1
	s_waitcnt vmcnt(4)
	v_cvt_pk_f32_fp8_sdwa v[68:69], v24 src0_sel:WORD_1
	v_cvt_pk_f32_fp8_e32 v[42:43], v2
	v_mfma_f32_16x16x16_f16 v[46:49], v[48:49], v[40:41], v[6:9]
	s_waitcnt vmcnt(3)
	v_cvt_pk_f32_fp8_sdwa v[70:71], v32 src0_sel:WORD_1
	s_load_dword s8, s[42:43], 0x0
	v_cvt_pk_f32_fp8_sdwa v[6:7], v2 src0_sel:WORD_1
	v_cvt_pk_f32_fp8_e32 v[8:9], v3
	v_cvt_pkrtz_f16_f32 v2, v42, v43
	v_cvt_pk_f32_fp8_sdwa v[42:43], v3 src0_sel:WORD_1
	v_cvt_pkrtz_f16_f32 v3, v6, v7
	v_cvt_pkrtz_f16_f32 v52, v8, v9
	ds_read_b128 v[6:9], v50 offset:2048
	v_cvt_pkrtz_f16_f32 v53, v42, v43
	ds_read_b128 v[42:45], v50 offset:2064
	s_waitcnt lgkmcnt(0)
	v_mfma_f32_16x16x16_f16 v[46:49], v[2:3], v[6:7], v[46:49]
	v_cvt_pkrtz_f16_f32 v2, v58, v59
	v_cvt_pkrtz_f16_f32 v3, v62, v63
	v_cvt_pk_f32_fp8_e32 v[58:59], v5
	v_mfma_f32_16x16x16_f16 v[46:49], v[52:53], v[8:9], v[46:49]
	v_cvt_pk_f32_fp8_sdwa v[52:53], v5 src0_sel:WORD_1
	s_mov_b32 s3, 0
	v_cvt_pkrtz_f16_f32 v58, v58, v59
	v_mfma_f32_16x16x16_f16 v[2:5], v[2:3], v[42:43], v[46:49]
	v_cvt_pkrtz_f16_f32 v59, v52, v53
	v_cmp_gt_u32_e32 vcc, 64, v0
	s_nop 0
	v_cvt_pk_f32_fp8_e32 v[46:47], v26
	v_mfma_f32_16x16x16_f16 v[62:65], v[58:59], v[44:45], v[2:5]
	v_cvt_pk_f32_fp8_e32 v[58:59], v28
	s_nop 1
	v_cvt_pk_f32_fp8_sdwa v[2:3], v26 src0_sel:WORD_1
	v_cvt_pk_f32_fp8_e32 v[4:5], v27
	v_cvt_pkrtz_f16_f32 v26, v46, v47
	v_cvt_pk_f32_fp8_sdwa v[46:47], v27 src0_sel:WORD_1
	v_cvt_pkrtz_f16_f32 v27, v2, v3
	v_cvt_pkrtz_f16_f32 v52, v4, v5
	ds_read_b128 v[2:5], v50 offset:4096
	v_cvt_pkrtz_f16_f32 v53, v46, v47
	ds_read_b128 v[46:49], v50 offset:4112
	s_waitcnt lgkmcnt(1)
	v_mfma_f32_16x16x16_f16 v[62:65], v[26:27], v[2:3], v[62:65]
	v_cvt_pkrtz_f16_f32 v26, v58, v59
	v_cvt_pkrtz_f16_f32 v27, v66, v67
	v_cvt_pk_f32_fp8_e32 v[58:59], v29
	v_mfma_f32_16x16x16_f16 v[62:65], v[52:53], v[4:5], v[62:65]
	v_cvt_pk_f32_fp8_sdwa v[52:53], v29 src0_sel:WORD_1
	v_cvt_pk_f32_fp8_e32 v[66:67], v24
	v_cvt_pkrtz_f16_f32 v58, v58, v59
	s_waitcnt lgkmcnt(0)
	v_mfma_f32_16x16x16_f16 v[26:29], v[26:27], v[46:47], v[62:65]
	v_cvt_pkrtz_f16_f32 v59, v52, v53
	v_cvt_pk_f32_fp8_e32 v[52:53], v22
	s_nop 0
	v_mfma_f32_16x16x16_f16 v[62:65], v[58:59], v[48:49], v[26:29]
	s_nop 2
	v_cvt_pk_f32_fp8_sdwa v[26:27], v22 src0_sel:WORD_1
	v_cvt_pk_f32_fp8_e32 v[28:29], v23
	v_cvt_pkrtz_f16_f32 v22, v52, v53
	v_cvt_pk_f32_fp8_sdwa v[52:53], v23 src0_sel:WORD_1
	v_cvt_pkrtz_f16_f32 v23, v26, v27
	v_cvt_pkrtz_f16_f32 v58, v28, v29
	ds_read_b128 v[26:29], v50 offset:6144
	v_cvt_pkrtz_f16_f32 v59, v52, v53
	s_waitcnt lgkmcnt(0)
	v_mfma_f32_16x16x16_f16 v[62:65], v[22:23], v[26:27], v[62:65]
	ds_read_b128 v[50:53], v50 offset:6160
	v_cvt_pkrtz_f16_f32 v22, v66, v67
	v_cvt_pkrtz_f16_f32 v23, v68, v69
	v_cvt_pk_f32_fp8_e32 v[66:67], v25
	v_mfma_f32_16x16x16_f16 v[62:65], v[58:59], v[28:29], v[62:65]
	v_cvt_pk_f32_fp8_sdwa v[58:59], v25 src0_sel:WORD_1
	v_cvt_pk_f32_fp8_e32 v[68:69], v32
	v_cvt_pkrtz_f16_f32 v66, v66, v67
	s_waitcnt lgkmcnt(0)
	v_mfma_f32_16x16x16_f16 v[22:25], v[22:23], v[50:51], v[62:65]
	v_cvt_pkrtz_f16_f32 v67, v58, v59
	v_cvt_pk_f32_fp8_e32 v[58:59], v30
	s_nop 0
	v_cvt_pk_f32_fp8_sdwa v[62:63], v30 src0_sel:WORD_1
	v_cvt_pk_f32_fp8_e32 v[64:65], v31
	v_cvt_pkrtz_f16_f32 v58, v58, v59
	v_cvt_pk_f32_fp8_sdwa v[30:31], v31 src0_sel:WORD_1
	v_cvt_pkrtz_f16_f32 v59, v62, v63
	v_mfma_f32_16x16x16_f16 v[22:25], v[66:67], v[52:53], v[22:25]
	v_cvt_pkrtz_f16_f32 v66, v64, v65
	v_cvt_pkrtz_f16_f32 v67, v30, v31
	;; [unrolled: 1-line block ×3, first 2 shown]
	v_mfma_f32_16x16x16_f16 v[62:65], v[58:59], v[34:35], 0
	v_cvt_pkrtz_f16_f32 v31, v70, v71
	v_cvt_pk_f32_fp8_e32 v[58:59], v33
	s_barrier
	v_mfma_f32_16x16x16_f16 v[34:37], v[66:67], v[36:37], v[62:65]
	v_cvt_pkrtz_f16_f32 v58, v58, v59
	s_nop 1
	v_cvt_pk_f32_fp8_sdwa v[62:63], v33 src0_sel:WORD_1
	v_mfma_f32_16x16x16_f16 v[30:33], v[30:31], v[38:39], v[34:37]
	s_waitcnt vmcnt(2)
	v_cvt_pk_f32_fp8_e32 v[38:39], v19
	v_cvt_pkrtz_f16_f32 v59, v62, v63
	v_cvt_pk_f32_fp8_e32 v[34:35], v18
	v_cvt_pk_f32_fp8_sdwa v[36:37], v18 src0_sel:WORD_1
	v_cvt_pk_f32_fp8_sdwa v[18:19], v19 src0_sel:WORD_1
	v_mfma_f32_16x16x16_f16 v[30:33], v[58:59], v[40:41], v[30:33]
	v_cvt_pkrtz_f16_f32 v34, v34, v35
	v_cvt_pkrtz_f16_f32 v35, v36, v37
	;; [unrolled: 1-line block ×3, first 2 shown]
	v_cvt_pk_f32_fp8_e32 v[38:39], v20
	v_cvt_pk_f32_fp8_sdwa v[40:41], v20 src0_sel:WORD_1
	v_cvt_pkrtz_f16_f32 v37, v18, v19
	v_mfma_f32_16x16x16_f16 v[30:33], v[34:35], v[6:7], v[30:33]
	v_cvt_pkrtz_f16_f32 v18, v38, v39
	v_cvt_pkrtz_f16_f32 v19, v40, v41
	v_cvt_pk_f32_fp8_e32 v[34:35], v21
	v_cvt_pk_f32_fp8_sdwa v[20:21], v21 src0_sel:WORD_1
	v_mfma_f32_16x16x16_f16 v[6:9], v[36:37], v[8:9], v[30:33]
	s_nop 2
	v_cvt_pkrtz_f16_f32 v30, v34, v35
	v_cvt_pkrtz_f16_f32 v31, v20, v21
	v_mfma_f32_16x16x16_f16 v[6:9], v[18:19], v[42:43], v[6:9]
	s_waitcnt vmcnt(1)
	v_cvt_pk_f32_fp8_e32 v[18:19], v14
	v_cvt_pk_f32_fp8_sdwa v[20:21], v14 src0_sel:WORD_1
	v_cvt_pk_f32_fp8_sdwa v[32:33], v16 src0_sel:WORD_1
	v_mfma_f32_16x16x16_f16 v[6:9], v[30:31], v[44:45], v[6:9]
	v_cvt_pk_f32_fp8_e32 v[30:31], v15
	v_cvt_pkrtz_f16_f32 v18, v18, v19
	v_cvt_pkrtz_f16_f32 v19, v20, v21
	v_cvt_pk_f32_fp8_sdwa v[14:15], v15 src0_sel:WORD_1
	v_cvt_pkrtz_f16_f32 v20, v30, v31
	v_cvt_pk_f32_fp8_e32 v[30:31], v16
	v_mfma_f32_16x16x16_f16 v[6:9], v[18:19], v[2:3], v[6:9]
	v_cvt_pkrtz_f16_f32 v21, v14, v15
	v_cvt_pkrtz_f16_f32 v14, v30, v31
	;; [unrolled: 1-line block ×3, first 2 shown]
	v_cvt_pk_f32_fp8_e32 v[18:19], v17
	v_cvt_pk_f32_fp8_sdwa v[16:17], v17 src0_sel:WORD_1
	v_mfma_f32_16x16x16_f16 v[2:5], v[20:21], v[4:5], v[6:9]
	s_waitcnt vmcnt(0)
	v_cvt_pk_f32_fp8_sdwa v[20:21], v12 src0_sel:WORD_1
	s_nop 0
	v_cvt_pkrtz_f16_f32 v8, v18, v19
	v_cvt_pkrtz_f16_f32 v9, v16, v17
	v_mfma_f32_16x16x16_f16 v[2:5], v[14:15], v[46:47], v[2:5]
	v_cvt_pk_f32_fp8_e32 v[16:17], v10
	v_cvt_pk_f32_fp8_sdwa v[18:19], v10 src0_sel:WORD_1
	v_pk_mul_f32 v[6:7], v[24:25], s[8:9] op_sel_hi:[1,0]
	v_mfma_f32_16x16x16_f16 v[2:5], v[8:9], v[48:49], v[2:5]
	v_cvt_pk_f32_fp8_e32 v[8:9], v11
	v_cvt_pkrtz_f16_f32 v16, v16, v17
	v_cvt_pkrtz_f16_f32 v17, v18, v19
	v_cvt_pk_f32_fp8_sdwa v[10:11], v11 src0_sel:WORD_1
	v_cvt_pkrtz_f16_f32 v8, v8, v9
	v_cvt_pk_f32_fp8_e32 v[18:19], v12
	v_mfma_f32_16x16x16_f16 v[2:5], v[16:17], v[26:27], v[2:5]
	v_cvt_pkrtz_f16_f32 v9, v10, v11
	v_cvt_pkrtz_f16_f32 v10, v18, v19
	;; [unrolled: 1-line block ×3, first 2 shown]
	v_cvt_pk_f32_fp8_e32 v[16:17], v13
	v_cvt_pk_f32_fp8_sdwa v[12:13], v13 src0_sel:WORD_1
	v_mfma_f32_16x16x16_f16 v[2:5], v[8:9], v[28:29], v[2:5]
	v_pk_mul_f32 v[14:15], v[22:23], s[8:9] op_sel_hi:[1,0]
	v_cvt_pkrtz_f16_f32 v8, v16, v17
	v_cvt_pkrtz_f16_f32 v9, v12, v13
	v_mfma_f32_16x16x16_f16 v[2:5], v[10:11], v[50:51], v[2:5]
	v_cvt_f16_f32_e32 v14, v14
	v_cvt_f16_f32_e32 v10, v15
	;; [unrolled: 1-line block ×3, first 2 shown]
	v_mfma_f32_16x16x16_f16 v[2:5], v[8:9], v[52:53], v[2:5]
	v_cvt_f16_f32_e32 v7, v7
	s_nop 5
	v_pk_mul_f32 v[4:5], v[4:5], s[8:9] op_sel_hi:[1,0]
	v_pk_mul_f32 v[2:3], v[2:3], s[8:9] op_sel_hi:[1,0]
	v_cvt_f16_f32_e32 v11, v4
	v_cvt_f16_f32_e32 v8, v2
	;; [unrolled: 1-line block ×4, first 2 shown]
	v_pack_b32_f16 v2, v14, v10
	v_pack_b32_f16 v3, v6, v7
	;; [unrolled: 1-line block ×4, first 2 shown]
	ds_write2st64_b64 v55, v[2:3], v[4:5] offset1:1
	s_waitcnt lgkmcnt(0)
	s_barrier
	s_and_saveexec_b64 s[8:9], vcc
	s_cbranch_execz .LBB936_20
; %bb.18:
	s_load_dwordx2 s[8:9], s[0:1], 0x68
	s_lshl_b32 s0, s7, 7
	s_mul_i32 s1, s10, s2
	v_lshlrev_b32_e32 v3, 6, v56
	s_mul_hi_u32 s11, s1, s0
	s_mul_i32 s10, s1, s0
	v_lshl_or_b32 v0, v0, 10, v3
	s_lshl_b64 s[10:11], s[10:11], 1
	v_lshlrev_b32_e32 v2, 5, v60
	v_and_b32_e32 v1, 16, v1
	v_and_b32_e32 v0, 0x1a00, v0
	s_waitcnt lgkmcnt(0)
	s_add_u32 s1, s8, s10
	v_or3_b32 v2, v0, v2, v1
	s_addc_u32 s7, s9, s11
	s_lshl_b32 s2, s6, 7
	s_lshl_b64 s[2:3], s[2:3], 1
	ds_read_b128 v[4:7], v2 offset:128
	ds_read_b128 v[8:11], v2
	s_add_u32 s2, s1, s2
	s_addc_u32 s3, s7, s3
	v_mov_b32_e32 v55, 0
	v_add_u32_e32 v3, s48, v60
	v_lshl_add_u64 v[0:1], s[2:3], 0, v[54:55]
	v_mad_u64_u32 v[12:13], s[2:3], v3, s0, 0
	v_lshl_add_u64 v[12:13], v[12:13], 1, v[0:1]
	v_add_u32_e32 v3, 4, v3
	s_waitcnt lgkmcnt(0)
	global_store_dwordx4 v[12:13], v[8:11], off
	s_nop 1
	v_mad_u64_u32 v[8:9], s[2:3], v3, s0, 0
	v_lshl_add_u64 v[8:9], v[8:9], 1, v[0:1]
	global_store_dwordx4 v[8:9], v[4:7], off
	s_and_b64 exec, exec, s[4:5]
	s_cbranch_execz .LBB936_20
; %bb.19:
	ds_read_b128 v[2:5], v2 offset:256
	v_add3_u32 v6, s48, v60, 8
	v_mad_u64_u32 v[6:7], s[0:1], v6, s0, 0
	v_lshl_add_u64 v[0:1], v[6:7], 1, v[0:1]
	s_waitcnt lgkmcnt(0)
	global_store_dwordx4 v[0:1], v[2:5], off
.LBB936_20:
	s_endpgm
	.section	.rodata,"a",@progbits
	.p2align	6, 0x0
	.amdhsa_kernel _Z39paged_attention_ll4mi_QKV_mfma16_kernelIDF16_hLN4vllm18Fp8KVCacheDataTypeE1EhLi16ELi128ELi256ELb1ELi9EEvPKT_PKT0_S7_ifPKiS9_S9_iPKfiiiPfSC_PS2_PT2_iSB_SB_
		.amdhsa_group_segment_fixed_size 8192
		.amdhsa_private_segment_fixed_size 0
		.amdhsa_kernarg_size 400
		.amdhsa_user_sgpr_count 2
		.amdhsa_user_sgpr_dispatch_ptr 0
		.amdhsa_user_sgpr_queue_ptr 0
		.amdhsa_user_sgpr_kernarg_segment_ptr 1
		.amdhsa_user_sgpr_dispatch_id 0
		.amdhsa_user_sgpr_kernarg_preload_length 0
		.amdhsa_user_sgpr_kernarg_preload_offset 0
		.amdhsa_user_sgpr_private_segment_size 0
		.amdhsa_uses_dynamic_stack 0
		.amdhsa_enable_private_segment 0
		.amdhsa_system_sgpr_workgroup_id_x 1
		.amdhsa_system_sgpr_workgroup_id_y 1
		.amdhsa_system_sgpr_workgroup_id_z 1
		.amdhsa_system_sgpr_workgroup_info 0
		.amdhsa_system_vgpr_workitem_id 0
		.amdhsa_next_free_vgpr 76
		.amdhsa_next_free_sgpr 50
		.amdhsa_accum_offset 76
		.amdhsa_reserve_vcc 1
		.amdhsa_float_round_mode_32 0
		.amdhsa_float_round_mode_16_64 0
		.amdhsa_float_denorm_mode_32 3
		.amdhsa_float_denorm_mode_16_64 3
		.amdhsa_dx10_clamp 1
		.amdhsa_ieee_mode 1
		.amdhsa_fp16_overflow 0
		.amdhsa_tg_split 0
		.amdhsa_exception_fp_ieee_invalid_op 0
		.amdhsa_exception_fp_denorm_src 0
		.amdhsa_exception_fp_ieee_div_zero 0
		.amdhsa_exception_fp_ieee_overflow 0
		.amdhsa_exception_fp_ieee_underflow 0
		.amdhsa_exception_fp_ieee_inexact 0
		.amdhsa_exception_int_div_zero 0
	.end_amdhsa_kernel
	.section	.text._Z39paged_attention_ll4mi_QKV_mfma16_kernelIDF16_hLN4vllm18Fp8KVCacheDataTypeE1EhLi16ELi128ELi256ELb1ELi9EEvPKT_PKT0_S7_ifPKiS9_S9_iPKfiiiPfSC_PS2_PT2_iSB_SB_,"axG",@progbits,_Z39paged_attention_ll4mi_QKV_mfma16_kernelIDF16_hLN4vllm18Fp8KVCacheDataTypeE1EhLi16ELi128ELi256ELb1ELi9EEvPKT_PKT0_S7_ifPKiS9_S9_iPKfiiiPfSC_PS2_PT2_iSB_SB_,comdat
.Lfunc_end936:
	.size	_Z39paged_attention_ll4mi_QKV_mfma16_kernelIDF16_hLN4vllm18Fp8KVCacheDataTypeE1EhLi16ELi128ELi256ELb1ELi9EEvPKT_PKT0_S7_ifPKiS9_S9_iPKfiiiPfSC_PS2_PT2_iSB_SB_, .Lfunc_end936-_Z39paged_attention_ll4mi_QKV_mfma16_kernelIDF16_hLN4vllm18Fp8KVCacheDataTypeE1EhLi16ELi128ELi256ELb1ELi9EEvPKT_PKT0_S7_ifPKiS9_S9_iPKfiiiPfSC_PS2_PT2_iSB_SB_
                                        ; -- End function
	.section	.AMDGPU.csdata,"",@progbits
; Kernel info:
; codeLenInByte = 6308
; NumSgprs: 56
; NumVgprs: 76
; NumAgprs: 0
; TotalNumVgprs: 76
; ScratchSize: 0
; MemoryBound: 0
; FloatMode: 240
; IeeeMode: 1
; LDSByteSize: 8192 bytes/workgroup (compile time only)
; SGPRBlocks: 6
; VGPRBlocks: 9
; NumSGPRsForWavesPerEU: 56
; NumVGPRsForWavesPerEU: 76
; AccumOffset: 76
; Occupancy: 6
; WaveLimiterHint : 1
; COMPUTE_PGM_RSRC2:SCRATCH_EN: 0
; COMPUTE_PGM_RSRC2:USER_SGPR: 2
; COMPUTE_PGM_RSRC2:TRAP_HANDLER: 0
; COMPUTE_PGM_RSRC2:TGID_X_EN: 1
; COMPUTE_PGM_RSRC2:TGID_Y_EN: 1
; COMPUTE_PGM_RSRC2:TGID_Z_EN: 1
; COMPUTE_PGM_RSRC2:TIDIG_COMP_CNT: 0
; COMPUTE_PGM_RSRC3_GFX90A:ACCUM_OFFSET: 18
; COMPUTE_PGM_RSRC3_GFX90A:TG_SPLIT: 0
	.section	.text._Z39paged_attention_ll4mi_QKV_mfma16_kernelIDF16_hLN4vllm18Fp8KVCacheDataTypeE1EhLi16ELi128ELi256ELb1ELi10EEvPKT_PKT0_S7_ifPKiS9_S9_iPKfiiiPfSC_PS2_PT2_iSB_SB_,"axG",@progbits,_Z39paged_attention_ll4mi_QKV_mfma16_kernelIDF16_hLN4vllm18Fp8KVCacheDataTypeE1EhLi16ELi128ELi256ELb1ELi10EEvPKT_PKT0_S7_ifPKiS9_S9_iPKfiiiPfSC_PS2_PT2_iSB_SB_,comdat
	.protected	_Z39paged_attention_ll4mi_QKV_mfma16_kernelIDF16_hLN4vllm18Fp8KVCacheDataTypeE1EhLi16ELi128ELi256ELb1ELi10EEvPKT_PKT0_S7_ifPKiS9_S9_iPKfiiiPfSC_PS2_PT2_iSB_SB_ ; -- Begin function _Z39paged_attention_ll4mi_QKV_mfma16_kernelIDF16_hLN4vllm18Fp8KVCacheDataTypeE1EhLi16ELi128ELi256ELb1ELi10EEvPKT_PKT0_S7_ifPKiS9_S9_iPKfiiiPfSC_PS2_PT2_iSB_SB_
	.globl	_Z39paged_attention_ll4mi_QKV_mfma16_kernelIDF16_hLN4vllm18Fp8KVCacheDataTypeE1EhLi16ELi128ELi256ELb1ELi10EEvPKT_PKT0_S7_ifPKiS9_S9_iPKfiiiPfSC_PS2_PT2_iSB_SB_
	.p2align	8
	.type	_Z39paged_attention_ll4mi_QKV_mfma16_kernelIDF16_hLN4vllm18Fp8KVCacheDataTypeE1EhLi16ELi128ELi256ELb1ELi10EEvPKT_PKT0_S7_ifPKiS9_S9_iPKfiiiPfSC_PS2_PT2_iSB_SB_,@function
_Z39paged_attention_ll4mi_QKV_mfma16_kernelIDF16_hLN4vllm18Fp8KVCacheDataTypeE1EhLi16ELi128ELi256ELb1ELi10EEvPKT_PKT0_S7_ifPKiS9_S9_iPKfiiiPfSC_PS2_PT2_iSB_SB_: ; @_Z39paged_attention_ll4mi_QKV_mfma16_kernelIDF16_hLN4vllm18Fp8KVCacheDataTypeE1EhLi16ELi128ELi256ELb1ELi10EEvPKT_PKT0_S7_ifPKiS9_S9_iPKfiiiPfSC_PS2_PT2_iSB_SB_
; %bb.0:
	s_load_dwordx2 s[10:11], s[0:1], 0x30
	s_mov_b32 s6, s3
	s_mov_b64 s[8:9], 0
	s_waitcnt lgkmcnt(0)
	s_cmp_lg_u64 s[10:11], 0
	s_cselect_b64 s[12:13], -1, 0
	s_and_b64 vcc, exec, s[12:13]
	s_cbranch_vccz .LBB937_7
; %bb.1:
	s_add_i32 s14, s2, 1
	s_mov_b32 s15, 0
	s_lshl_b64 s[16:17], s[14:15], 2
	s_add_u32 s16, s10, s16
	s_mov_b32 s3, s15
	s_addc_u32 s17, s11, s17
	s_lshl_b64 s[14:15], s[2:3], 2
	s_add_u32 s14, s10, s14
	s_addc_u32 s15, s11, s15
	s_load_dword s5, s[16:17], 0x0
	s_load_dword s7, s[14:15], 0x0
	s_waitcnt lgkmcnt(0)
	s_sub_i32 s5, s5, s7
	s_cmp_eq_u32 s5, 1
	s_cselect_b64 s[14:15], -1, 0
	s_andn2_b64 vcc, exec, s[8:9]
	s_cbranch_vccnz .LBB937_3
.LBB937_2:
	s_mov_b32 s3, 0
	s_mov_b64 s[14:15], -1
.LBB937_3:
	s_andn2_b64 vcc, exec, s[14:15]
	s_cbranch_vccnz .LBB937_20
; %bb.4:
	s_load_dwordx2 s[8:9], s[0:1], 0x28
	s_lshl_b64 s[14:15], s[2:3], 2
	s_waitcnt lgkmcnt(0)
	s_add_u32 s8, s8, s14
	s_addc_u32 s9, s9, s15
	s_load_dword s7, s[8:9], 0x0
	s_lshl_b32 s18, s6, 8
	s_waitcnt lgkmcnt(0)
	s_cmp_ge_i32 s18, s7
	s_cbranch_scc1 .LBB937_20
; %bb.5:
	s_load_dwordx2 s[8:9], s[0:1], 0x20
	s_load_dword s5, s[0:1], 0x38
	s_add_i32 s16, s7, 15
	s_ashr_i32 s17, s16, 31
	v_and_b32_e32 v1, 0xcf, v0
	s_lshr_b32 s17, s17, 28
	v_add_u32_e32 v1, s18, v1
	s_add_i32 s16, s16, s17
	v_ashrrev_i32_e32 v2, 31, v1
	s_ashr_i32 s19, s16, 4
	v_lshrrev_b32_e32 v4, 28, v2
	s_add_i32 s19, s19, -1
	s_waitcnt lgkmcnt(0)
	s_mul_i32 s16, s2, s5
	s_mov_b32 s17, 0
	v_add_u32_e32 v2, v1, v4
	s_lshl_b64 s[16:17], s[16:17], 2
	v_ashrrev_i32_e32 v2, 4, v2
	v_mov_b32_e32 v5, s19
	v_cmp_gt_i32_e32 vcc, s7, v1
	s_add_u32 s8, s8, s16
	s_addc_u32 s9, s9, s17
	v_cndmask_b32_e32 v2, v5, v2, vcc
	v_ashrrev_i32_e32 v3, 31, v2
	v_lshl_add_u64 v[6:7], v[2:3], 2, s[8:9]
	v_or_b32_e32 v2, 16, v1
	v_add_u32_e32 v3, v2, v4
	v_ashrrev_i32_e32 v3, 4, v3
	v_cmp_gt_i32_e32 vcc, s7, v2
	s_load_dwordx2 s[16:17], s[0:1], 0x8
	s_nop 0
	v_cndmask_b32_e32 v2, v5, v3, vcc
	v_ashrrev_i32_e32 v3, 31, v2
	v_lshl_add_u64 v[8:9], v[2:3], 2, s[8:9]
	v_or_b32_e32 v2, 32, v1
	v_add_u32_e32 v3, v2, v4
	v_ashrrev_i32_e32 v3, 4, v3
	v_cmp_gt_i32_e32 vcc, s7, v2
	v_or_b32_e32 v1, 48, v1
	s_nop 0
	v_cndmask_b32_e32 v2, v5, v3, vcc
	v_ashrrev_i32_e32 v3, 31, v2
	v_lshl_add_u64 v[12:13], v[2:3], 2, s[8:9]
	v_add_u32_e32 v2, v1, v4
	v_ashrrev_i32_e32 v2, 4, v2
	v_cmp_gt_i32_e32 vcc, s7, v1
	s_nop 1
	v_cndmask_b32_e32 v2, v5, v2, vcc
	v_ashrrev_i32_e32 v3, 31, v2
	v_lshl_add_u64 v[14:15], v[2:3], 2, s[8:9]
	global_load_dword v4, v[6:7], off
	global_load_dword v3, v[8:9], off
	;; [unrolled: 1-line block ×4, first 2 shown]
	s_andn2_b64 vcc, exec, s[12:13]
	s_cbranch_vccnz .LBB937_8
; %bb.6:
	s_add_u32 s10, s10, s14
	s_addc_u32 s11, s11, s15
	s_load_dword s5, s[10:11], 0x0
	s_branch .LBB937_9
.LBB937_7:
	s_mov_b64 s[14:15], 0
	s_branch .LBB937_2
.LBB937_8:
	s_mov_b32 s5, s2
.LBB937_9:
	s_load_dwordx2 s[10:11], s[0:1], 0x10
	s_load_dwordx4 s[44:47], s[0:1], 0x48
	v_lshrrev_b32_e32 v57, 6, v0
	v_bfe_u32 v60, v0, 4, 2
	v_and_b32_e32 v56, 15, v0
	v_lshl_or_b32 v5, v57, 2, v60
	v_lshlrev_b32_e32 v1, 3, v56
	s_mul_i32 s48, s4, 10
	v_cmp_gt_u32_e32 vcc, 10, v5
	v_lshlrev_b32_e32 v54, 1, v1
	v_lshlrev_b32_e32 v1, 4, v0
	s_and_saveexec_b64 s[12:13], vcc
	s_cbranch_execz .LBB937_11
; %bb.10:
	s_load_dwordx2 s[14:15], s[0:1], 0x0
	s_waitcnt lgkmcnt(0)
	s_ashr_i32 s20, s44, 31
	s_mul_hi_u32 s21, s5, s44
	s_mul_i32 s20, s5, s20
	s_add_i32 s21, s21, s20
	s_mul_i32 s20, s5, s44
	s_lshl_b64 s[20:21], s[20:21], 1
	s_add_u32 s14, s14, s20
	v_add_lshl_u32 v6, v5, s48, 7
	s_addc_u32 s15, s15, s21
	v_ashrrev_i32_e32 v7, 31, v6
	v_lshl_add_u64 v[6:7], v[6:7], 1, s[14:15]
	v_mov_b32_e32 v55, 0
	v_lshl_add_u64 v[6:7], v[6:7], 0, v[54:55]
	global_load_dwordx4 v[6:9], v[6:7], off
	v_lshlrev_b32_e32 v12, 8, v0
	v_lshlrev_b32_e32 v11, 8, v56
	v_and_b32_e32 v12, 0x600, v12
	s_movk_i32 s5, 0x800
	v_and_or_b32 v11, v11, s5, v12
	v_lshlrev_b32_e32 v5, 5, v5
	v_and_b32_e32 v12, 16, v1
	v_or3_b32 v5, v11, v5, v12
	s_waitcnt vmcnt(0)
	ds_write_b128 v5, v[6:9]
.LBB937_11:
	s_or_b64 exec, exec, s[12:13]
	s_waitcnt lgkmcnt(0)
	s_mul_i32 s12, s4, s46
	s_add_u32 s4, s16, s12
	s_addc_u32 s5, s17, 0
	v_and_b32_e32 v58, 0xf0, v1
	v_mov_b32_e32 v59, 0
	v_and_b32_e32 v34, 48, v0
	v_lshl_add_u64 v[12:13], s[4:5], 0, v[58:59]
	v_lshlrev_b32_e32 v58, 4, v34
	s_waitcnt vmcnt(3)
	v_mad_i64_i32 v[4:5], s[4:5], v4, s45, v[12:13]
	v_lshl_add_u64 v[4:5], v[4:5], 0, v[58:59]
	s_barrier
	global_load_dwordx4 v[50:53], v[4:5], off
	global_load_dwordx4 v[46:49], v[4:5], off offset:1024
	s_waitcnt vmcnt(4)
	v_mad_i64_i32 v[4:5], s[4:5], v3, s45, v[12:13]
	s_waitcnt vmcnt(3)
	v_mad_i64_i32 v[2:3], s[4:5], v2, s45, v[12:13]
	v_lshl_add_u64 v[4:5], v[4:5], 0, v[58:59]
	v_lshl_add_u64 v[14:15], v[2:3], 0, v[58:59]
	s_waitcnt vmcnt(2)
	v_mad_i64_i32 v[10:11], s[4:5], v10, s45, v[12:13]
	global_load_dwordx4 v[36:39], v[4:5], off
	global_load_dwordx4 v[6:9], v[4:5], off offset:1024
	s_nop 0
	global_load_dwordx4 v[2:5], v[14:15], off
	global_load_dwordx4 v[42:45], v[14:15], off offset:1024
	v_lshl_add_u64 v[14:15], v[10:11], 0, v[58:59]
	global_load_dwordx4 v[26:29], v[14:15], off
	global_load_dwordx4 v[10:13], v[14:15], off offset:1024
	v_add_u32_e32 v14, -10, v56
	v_cmp_gt_u32_e32 vcc, 10, v56
	v_and_b32_e32 v55, 63, v0
	v_mov_b32_e32 v61, 0
	v_cndmask_b32_e32 v14, v14, v56, vcc
	v_lshlrev_b32_e32 v14, 5, v14
	v_lshl_add_u32 v14, v60, 9, v14
	ds_read_b128 v[30:33], v14
	ds_read_b128 v[22:25], v14 offset:16
	ds_read_b128 v[18:21], v14 offset:2048
	;; [unrolled: 1-line block ×3, first 2 shown]
	s_and_saveexec_b64 s[4:5], vcc
	s_cbranch_execz .LBB937_13
; %bb.12:
	s_load_dwordx2 s[14:15], s[0:1], 0x40
	v_add_u32_e32 v40, s48, v56
	v_ashrrev_i32_e32 v41, 31, v40
	s_waitcnt lgkmcnt(0)
	v_lshl_add_u64 v[40:41], v[40:41], 2, s[14:15]
	global_load_dword v61, v[40:41], off
.LBB937_13:
	s_or_b64 exec, exec, s[4:5]
	v_or_b32_e32 v58, s18, v34
	v_ashrrev_i32_e32 v34, 4, v58
	v_mov_b32_e32 v63, s19
	v_cmp_gt_i32_e32 vcc, s7, v58
	s_waitcnt vmcnt(7)
	v_cvt_pk_f32_fp8_e32 v[40:41], v50
	v_cvt_pk_f32_fp8_sdwa v[64:65], v50 src0_sel:WORD_1
	v_cndmask_b32_e32 v34, v63, v34, vcc
	v_ashrrev_i32_e32 v35, 31, v34
	v_lshl_add_u64 v[34:35], v[34:35], 2, s[8:9]
	global_load_dword v62, v[34:35], off
	v_or_b32_e32 v34, 64, v58
	v_ashrrev_i32_e32 v35, 4, v34
	v_cmp_gt_i32_e32 vcc, s7, v34
	v_or_b32_e32 v66, 0x80, v58
	v_ashrrev_i32_e32 v67, 4, v66
	v_cndmask_b32_e32 v34, v63, v35, vcc
	v_cmp_gt_i32_e32 vcc, s7, v66
	v_cvt_pkrtz_f16_f32 v40, v40, v41
	v_cvt_pkrtz_f16_f32 v41, v64, v65
	v_cndmask_b32_e32 v50, v63, v67, vcc
	v_cvt_pk_f32_fp8_e32 v[64:65], v51
	v_cvt_pk_f32_fp8_sdwa v[66:67], v51 src0_sel:WORD_1
	v_ashrrev_i32_e32 v51, 31, v50
	v_lshl_add_u64 v[68:69], v[50:51], 2, s[8:9]
	v_cvt_pkrtz_f16_f32 v50, v64, v65
	v_cvt_pkrtz_f16_f32 v51, v66, v67
	s_waitcnt lgkmcnt(3)
	v_mfma_f32_16x16x16_f16 v[64:67], v[40:41], v[30:31], 0
	v_cvt_pk_f32_fp8_e32 v[40:41], v52
	v_cvt_pk_f32_fp8_sdwa v[70:71], v52 src0_sel:WORD_1
	s_waitcnt vmcnt(7)
	v_cvt_pk_f32_fp8_e32 v[72:73], v46
	v_mfma_f32_16x16x16_f16 v[64:67], v[50:51], v[32:33], v[64:67]
	v_cvt_pk_f32_fp8_e32 v[50:51], v53
	v_cvt_pkrtz_f16_f32 v40, v40, v41
	v_cvt_pkrtz_f16_f32 v41, v70, v71
	v_cvt_pk_f32_fp8_sdwa v[52:53], v53 src0_sel:WORD_1
	v_cvt_pkrtz_f16_f32 v70, v50, v51
	v_cvt_pk_f32_fp8_sdwa v[74:75], v46 src0_sel:WORD_1
	v_ashrrev_i32_e32 v35, 31, v34
	v_cvt_pkrtz_f16_f32 v71, v52, v53
	s_waitcnt lgkmcnt(2)
	v_mfma_f32_16x16x16_f16 v[50:53], v[40:41], v[22:23], v[64:67]
	v_cvt_pkrtz_f16_f32 v40, v72, v73
	v_cvt_pkrtz_f16_f32 v41, v74, v75
	v_or_b32_e32 v58, 0xc0, v58
	v_cvt_pk_f32_fp8_e32 v[64:65], v47
	v_cvt_pk_f32_fp8_sdwa v[46:47], v47 src0_sel:WORD_1
	v_mfma_f32_16x16x16_f16 v[50:53], v[70:71], v[24:25], v[50:53]
	v_lshl_add_u64 v[34:35], v[34:35], 2, s[8:9]
	v_cvt_pkrtz_f16_f32 v64, v64, v65
	v_cvt_pkrtz_f16_f32 v65, v46, v47
	s_waitcnt lgkmcnt(1)
	v_mfma_f32_16x16x16_f16 v[50:53], v[40:41], v[18:19], v[50:53]
	v_ashrrev_i32_e32 v66, 4, v58
	v_cmp_gt_i32_e32 vcc, s7, v58
	v_cvt_pk_f32_fp8_e32 v[46:47], v48
	s_waitcnt vmcnt(6)
	v_cvt_pk_f32_fp8_sdwa v[70:71], v36 src0_sel:WORD_1
	v_cndmask_b32_e32 v40, v63, v66, vcc
	v_mfma_f32_16x16x16_f16 v[64:67], v[64:65], v[20:21], v[50:53]
	v_ashrrev_i32_e32 v41, 31, v40
	v_lshl_add_u64 v[40:41], v[40:41], 2, s[8:9]
	v_cvt_pkrtz_f16_f32 v46, v46, v47
	global_load_dword v53, v[34:35], off
	global_load_dword v63, v[40:41], off
	v_cvt_pk_f32_fp8_sdwa v[50:51], v48 src0_sel:WORD_1
	v_cvt_pk_f32_fp8_e32 v[34:35], v49
	v_cvt_pk_f32_fp8_sdwa v[48:49], v49 src0_sel:WORD_1
	s_add_u32 s46, s10, s12
	v_cvt_pkrtz_f16_f32 v47, v50, v51
	v_cvt_pkrtz_f16_f32 v34, v34, v35
	;; [unrolled: 1-line block ×3, first 2 shown]
	s_waitcnt lgkmcnt(0)
	v_mfma_f32_16x16x16_f16 v[46:49], v[46:47], v[14:15], v[64:67]
	v_cvt_pk_f32_fp8_e32 v[50:51], v36
	s_nop 1
	global_load_dword v64, v[68:69], off
	v_cvt_pk_f32_fp8_e32 v[66:67], v37
	s_waitcnt vmcnt(8)
	v_cvt_pk_f32_fp8_e32 v[68:69], v6
	v_cvt_pkrtz_f16_f32 v50, v50, v51
	v_cvt_pkrtz_f16_f32 v51, v70, v71
	v_cvt_pk_f32_fp8_sdwa v[70:71], v37 src0_sel:WORD_1
	v_cvt_pkrtz_f16_f32 v40, v66, v67
	v_mfma_f32_16x16x16_f16 v[34:37], v[34:35], v[16:17], v[46:49]
	v_cvt_pk_f32_fp8_sdwa v[66:67], v38 src0_sel:WORD_1
	v_cvt_pkrtz_f16_f32 v41, v70, v71
	v_cvt_pk_f32_fp8_sdwa v[70:71], v6 src0_sel:WORD_1
	v_mfma_f32_16x16x16_f16 v[46:49], v[50:51], v[30:31], 0
	v_cvt_pk_f32_fp8_e32 v[50:51], v38
	v_lshl_or_b32 v52, v57, 4, v56
	s_waitcnt vmcnt(6)
	v_cvt_pk_f32_fp8_e32 v[72:73], v43
	v_mfma_f32_16x16x16_f16 v[46:49], v[40:41], v[32:33], v[46:49]
	v_cvt_pk_f32_fp8_e32 v[40:41], v39
	v_cvt_pkrtz_f16_f32 v50, v50, v51
	v_cvt_pkrtz_f16_f32 v51, v66, v67
	v_cvt_pk_f32_fp8_sdwa v[38:39], v39 src0_sel:WORD_1
	v_cvt_pkrtz_f16_f32 v66, v40, v41
	s_addc_u32 s47, s11, 0
	v_lshlrev_b32_e32 v58, 4, v52
	v_cvt_pkrtz_f16_f32 v67, v38, v39
	v_mfma_f32_16x16x16_f16 v[38:41], v[50:51], v[22:23], v[46:49]
	v_cvt_pk_f32_fp8_sdwa v[50:51], v2 src0_sel:WORD_1
	s_nop 1
	v_cvt_pkrtz_f16_f32 v46, v68, v69
	v_cvt_pkrtz_f16_f32 v47, v70, v71
	v_cvt_pk_f32_fp8_e32 v[48:49], v7
	v_cvt_pk_f32_fp8_sdwa v[6:7], v7 src0_sel:WORD_1
	v_mfma_f32_16x16x16_f16 v[38:41], v[66:67], v[24:25], v[38:41]
	v_lshl_add_u64 v[70:71], s[46:47], 0, v[58:59]
	v_cvt_pkrtz_f16_f32 v48, v48, v49
	v_cvt_pkrtz_f16_f32 v49, v6, v7
	v_mfma_f32_16x16x16_f16 v[38:41], v[46:47], v[18:19], v[38:41]
	v_cvt_pk_f32_fp8_e32 v[6:7], v8
	v_cvt_pk_f32_fp8_sdwa v[46:47], v8 src0_sel:WORD_1
	v_or_b32_e32 v58, 0x400, v58
	v_mfma_f32_16x16x16_f16 v[38:41], v[48:49], v[20:21], v[38:41]
	v_cvt_pk_f32_fp8_e32 v[48:49], v9
	v_cvt_pkrtz_f16_f32 v6, v6, v7
	v_cvt_pkrtz_f16_f32 v7, v46, v47
	v_cvt_pk_f32_fp8_sdwa v[8:9], v9 src0_sel:WORD_1
	v_cvt_pkrtz_f16_f32 v46, v48, v49
	v_cvt_pk_f32_fp8_e32 v[48:49], v2
	v_cvt_pkrtz_f16_f32 v47, v8, v9
	v_mfma_f32_16x16x16_f16 v[6:9], v[6:7], v[14:15], v[38:41]
	v_cvt_pkrtz_f16_f32 v48, v48, v49
	v_cvt_pkrtz_f16_f32 v49, v50, v51
	v_cvt_pk_f32_fp8_e32 v[50:51], v3
	v_cvt_pk_f32_fp8_sdwa v[2:3], v3 src0_sel:WORD_1
	v_mfma_f32_16x16x16_f16 v[38:41], v[46:47], v[16:17], v[6:9]
	v_cvt_pkrtz_f16_f32 v46, v50, v51
	v_cvt_pkrtz_f16_f32 v47, v2, v3
	v_mfma_f32_16x16x16_f16 v[6:9], v[48:49], v[30:31], 0
	v_cvt_pk_f32_fp8_e32 v[2:3], v4
	v_cvt_pk_f32_fp8_sdwa v[48:49], v4 src0_sel:WORD_1
	s_waitcnt vmcnt(3)
	v_mad_i64_i32 v[50:51], s[4:5], v62, s45, v[70:71]
	v_cvt_pkrtz_f16_f32 v2, v2, v3
	v_cvt_pkrtz_f16_f32 v3, v48, v49
	v_mfma_f32_16x16x16_f16 v[6:9], v[46:47], v[32:33], v[6:9]
	v_cvt_pk_f32_fp8_e32 v[46:47], v5
	v_cvt_pk_f32_fp8_sdwa v[4:5], v5 src0_sel:WORD_1
	s_waitcnt vmcnt(2)
	v_mad_i64_i32 v[66:67], s[4:5], v53, s45, v[70:71]
	v_cvt_pkrtz_f16_f32 v46, v46, v47
	v_cvt_pkrtz_f16_f32 v47, v4, v5
	v_mfma_f32_16x16x16_f16 v[2:5], v[2:3], v[22:23], v[6:9]
	s_nop 2
	v_cvt_pk_f32_fp8_e32 v[6:7], v42
	v_cvt_pk_f32_fp8_sdwa v[8:9], v42 src0_sel:WORD_1
	v_cvt_pk_f32_fp8_sdwa v[42:43], v43 src0_sel:WORD_1
	v_mfma_f32_16x16x16_f16 v[46:49], v[46:47], v[24:25], v[2:5]
	v_cvt_pkrtz_f16_f32 v68, v6, v7
	v_cvt_pkrtz_f16_f32 v69, v8, v9
	global_load_dwordx4 v[6:9], v[50:51], off
	global_load_dwordx4 v[2:5], v[66:67], off
	v_cvt_pkrtz_f16_f32 v66, v72, v73
	v_cvt_pkrtz_f16_f32 v67, v42, v43
	v_mfma_f32_16x16x16_f16 v[48:51], v[68:69], v[18:19], v[46:49]
	v_cvt_pk_f32_fp8_e32 v[42:43], v44
	v_cvt_pk_f32_fp8_sdwa v[72:73], v44 src0_sel:WORD_1
	s_waitcnt vmcnt(2)
	v_mad_i64_i32 v[46:47], s[4:5], v64, s45, v[70:71]
	v_mfma_f32_16x16x16_f16 v[66:69], v[66:67], v[20:21], v[48:51]
	v_cvt_pkrtz_f16_f32 v42, v42, v43
	v_cvt_pkrtz_f16_f32 v43, v72, v73
	v_cvt_pk_f32_fp8_sdwa v[72:73], v26 src0_sel:WORD_1
	v_cvt_pk_f32_fp8_e32 v[50:51], v45
	v_cvt_pk_f32_fp8_sdwa v[44:45], v45 src0_sel:WORD_1
	v_mad_i64_i32 v[48:49], s[4:5], v63, s45, v[70:71]
	v_cvt_pkrtz_f16_f32 v50, v50, v51
	v_cvt_pkrtz_f16_f32 v51, v44, v45
	v_mfma_f32_16x16x16_f16 v[42:45], v[42:43], v[14:15], v[66:69]
	v_cvt_pk_f32_fp8_e32 v[70:71], v26
	s_load_dword s4, s[0:1], 0x1c
	s_load_dwordx4 s[40:43], s[0:1], 0x80
	s_load_dword s33, s[0:1], 0x98
	s_waitcnt lgkmcnt(0)
	s_load_dword s5, s[40:41], 0x0
	v_mfma_f32_16x16x16_f16 v[66:69], v[50:51], v[16:17], v[42:45]
	s_mov_b32 s40, 0xff7fffff
	s_nop 1
	v_cvt_pk_f32_fp8_e32 v[42:43], v27
	v_cvt_pkrtz_f16_f32 v44, v70, v71
	v_cvt_pkrtz_f16_f32 v45, v72, v73
	v_cvt_pk_f32_fp8_sdwa v[26:27], v27 src0_sel:WORD_1
	v_cvt_pkrtz_f16_f32 v50, v42, v43
	v_cvt_pk_f32_fp8_e32 v[70:71], v28
	v_cvt_pk_f32_fp8_sdwa v[72:73], v28 src0_sel:WORD_1
	v_cvt_pkrtz_f16_f32 v51, v26, v27
	v_mfma_f32_16x16x16_f16 v[42:45], v[44:45], v[30:31], 0
	v_cvt_pkrtz_f16_f32 v30, v70, v71
	v_cvt_pkrtz_f16_f32 v31, v72, v73
	v_cvt_pk_f32_fp8_e32 v[70:71], v29
	v_cvt_pk_f32_fp8_sdwa v[72:73], v29 src0_sel:WORD_1
	v_mfma_f32_16x16x16_f16 v[26:29], v[50:51], v[32:33], v[42:45]
	v_mov_b32_e32 v32, s4
	s_waitcnt lgkmcnt(0)
	v_mul_f32_e32 v50, s5, v32
	v_pk_mul_f32 v[32:33], v[50:51], v[34:35] op_sel_hi:[0,1]
	v_cvt_pkrtz_f16_f32 v42, v70, v71
	v_cvt_pkrtz_f16_f32 v43, v72, v73
	v_mfma_f32_16x16x16_f16 v[26:29], v[30:31], v[22:23], v[26:29]
	v_pk_mul_f32 v[30:31], v[50:51], v[36:37] op_sel_hi:[0,1]
	v_cvt_pk_f32_fp8_e32 v[22:23], v10
	v_cvt_pk_f32_fp8_sdwa v[70:71], v12 src0_sel:WORD_1
	v_mfma_f32_16x16x16_f16 v[34:37], v[42:43], v[24:25], v[26:29]
	v_cvt_pk_f32_fp8_sdwa v[24:25], v10 src0_sel:WORD_1
	v_cvt_pkrtz_f16_f32 v42, v22, v23
	v_pk_mul_f32 v[40:41], v[50:51], v[40:41] op_sel_hi:[0,1]
	v_cvt_pk_f32_fp8_e32 v[26:27], v11
	v_cvt_pk_f32_fp8_sdwa v[10:11], v11 src0_sel:WORD_1
	v_cvt_pkrtz_f16_f32 v43, v24, v25
	v_cvt_pkrtz_f16_f32 v44, v26, v27
	v_cvt_pkrtz_f16_f32 v45, v10, v11
	v_cvt_pk_f32_fp8_e32 v[10:11], v12
	v_mfma_f32_16x16x16_f16 v[34:37], v[42:43], v[18:19], v[34:37]
	global_load_dwordx4 v[26:29], v[46:47], off
	global_load_dwordx4 v[22:25], v[48:49], off
	v_cvt_pkrtz_f16_f32 v19, v70, v71
	v_cvt_pkrtz_f16_f32 v18, v10, v11
	v_cvt_pk_f32_fp8_e32 v[42:43], v13
	v_cvt_pk_f32_fp8_sdwa v[46:47], v13 src0_sel:WORD_1
	v_mfma_f32_16x16x16_f16 v[10:13], v[44:45], v[20:21], v[34:37]
	v_pk_mul_f32 v[44:45], v[50:51], v[38:39] op_sel_hi:[0,1]
	v_cvt_pkrtz_f16_f32 v20, v42, v43
	v_cvt_pkrtz_f16_f32 v21, v46, v47
	v_mfma_f32_16x16x16_f16 v[10:13], v[18:19], v[14:15], v[10:13]
	v_pk_mul_f32 v[38:39], v[50:51], v[68:69] op_sel_hi:[0,1]
	v_pk_mul_f32 v[42:43], v[50:51], v[66:67] op_sel_hi:[0,1]
	v_mfma_f32_16x16x16_f16 v[10:13], v[20:21], v[16:17], v[10:13]
	s_nop 6
	v_pk_mul_f32 v[36:37], v[50:51], v[10:11] op_sel_hi:[0,1]
	v_and_b32_e32 v10, 0xc0, v0
	v_add_u32_e32 v10, s18, v10
	v_lshl_or_b32 v10, v60, 2, v10
	v_or_b32_e32 v11, 1, v10
	v_pk_mul_f32 v[34:35], v[50:51], v[12:13] op_sel_hi:[0,1]
	v_subrev_u32_e32 v12, s7, v11
	v_add_u32_e32 v14, 1, v12
	v_add_u32_e32 v15, 2, v12
	v_cvt_f32_i32_e32 v13, v12
	v_cvt_f32_i32_e32 v14, v14
	;; [unrolled: 1-line block ×3, first 2 shown]
	v_add_u32_e32 v16, 3, v12
	v_fma_f32 v18, v61, v13, v32
	v_fmac_f32_e32 v33, v61, v14
	v_fma_f32 v48, v61, v15, v30
	v_add_u32_e32 v13, 16, v12
	v_add_u32_e32 v14, 17, v12
	v_add_u32_e32 v15, 18, v12
	v_cvt_f32_i32_e32 v16, v16
	v_cvt_f32_i32_e32 v13, v13
	;; [unrolled: 1-line block ×4, first 2 shown]
	v_fmac_f32_e32 v31, v61, v16
	v_add_u32_e32 v16, 19, v12
	v_fma_f32 v44, v61, v13, v44
	v_fmac_f32_e32 v45, v61, v14
	v_fma_f32 v40, v61, v15, v40
	v_add_u32_e32 v13, 32, v12
	v_add_u32_e32 v14, 33, v12
	;; [unrolled: 1-line block ×3, first 2 shown]
	v_cvt_f32_i32_e32 v16, v16
	v_cvt_f32_i32_e32 v13, v13
	;; [unrolled: 1-line block ×4, first 2 shown]
	v_fmac_f32_e32 v41, v61, v16
	v_add_u32_e32 v16, 35, v12
	v_fma_f32 v42, v61, v13, v42
	v_fmac_f32_e32 v43, v61, v14
	v_fma_f32 v38, v61, v15, v38
	v_add_u32_e32 v13, 48, v12
	v_add_u32_e32 v14, 49, v12
	;; [unrolled: 1-line block ×4, first 2 shown]
	v_cvt_f32_i32_e32 v12, v12
	v_cvt_f32_i32_e32 v13, v13
	;; [unrolled: 1-line block ×3, first 2 shown]
	v_cmp_gt_i32_e64 s[8:9], s7, v10
	v_fmac_f32_e32 v35, v61, v12
	v_mov_b32_e32 v12, 0xff7fffff
	v_cmp_gt_i32_e64 s[10:11], s7, v11
	v_fma_f32 v36, v61, v13, v36
	v_cndmask_b32_e64 v13, v12, v18, s[8:9]
	v_cndmask_b32_e64 v11, v12, v33, s[10:11]
	v_fmac_f32_e32 v37, v61, v14
	v_max3_f32 v11, v13, s40, v11
	v_or_b32_e32 v13, 2, v10
	v_or_b32_e32 v14, 3, v10
	v_cmp_gt_i32_e64 s[12:13], s7, v13
	v_cmp_gt_i32_e64 s[14:15], s7, v14
	v_cvt_f32_i32_e32 v16, v16
	v_cndmask_b32_e64 v13, v12, v48, s[12:13]
	v_cndmask_b32_e64 v14, v12, v31, s[14:15]
	v_max3_f32 v11, v11, v13, v14
	v_or_b32_e32 v13, 16, v10
	v_or_b32_e32 v14, 17, v10
	v_cmp_gt_i32_e64 s[16:17], s7, v13
	v_cmp_gt_i32_e64 s[18:19], s7, v14
	v_fmac_f32_e32 v39, v61, v16
	v_cndmask_b32_e64 v13, v12, v44, s[16:17]
	v_cndmask_b32_e64 v14, v12, v45, s[18:19]
	v_max3_f32 v11, v11, v13, v14
	v_or_b32_e32 v13, 18, v10
	v_or_b32_e32 v14, 19, v10
	v_cmp_gt_i32_e64 s[20:21], s7, v13
	v_cmp_gt_i32_e64 s[22:23], s7, v14
	v_cvt_f32_i32_e32 v15, v15
	v_cndmask_b32_e64 v13, v12, v40, s[20:21]
	v_cndmask_b32_e64 v14, v12, v41, s[22:23]
	v_max3_f32 v11, v11, v13, v14
	v_or_b32_e32 v13, 32, v10
	v_or_b32_e32 v14, 33, v10
	v_cmp_gt_i32_e64 s[24:25], s7, v13
	v_cmp_gt_i32_e64 s[26:27], s7, v14
	v_fma_f32 v34, v61, v15, v34
	v_cndmask_b32_e64 v13, v12, v42, s[24:25]
	v_cndmask_b32_e64 v14, v12, v43, s[26:27]
	v_max3_f32 v11, v11, v13, v14
	v_or_b32_e32 v13, 34, v10
	v_or_b32_e32 v14, 35, v10
	v_cmp_gt_i32_e64 s[28:29], s7, v13
	v_cmp_gt_i32_e64 s[30:31], s7, v14
	s_nop 0
	v_cndmask_b32_e64 v13, v12, v38, s[28:29]
	v_cndmask_b32_e64 v14, v12, v39, s[30:31]
	v_max3_f32 v11, v11, v13, v14
	v_or_b32_e32 v13, 48, v10
	v_or_b32_e32 v14, 49, v10
	v_cmp_gt_i32_e64 s[34:35], s7, v13
	v_cmp_gt_i32_e64 s[36:37], s7, v14
	s_nop 0
	v_cndmask_b32_e64 v13, v12, v36, s[34:35]
	v_cndmask_b32_e64 v14, v12, v37, s[36:37]
	v_max3_f32 v11, v11, v13, v14
	v_or_b32_e32 v13, 50, v10
	v_or_b32_e32 v10, 51, v10
	v_cmp_gt_i32_e32 vcc, s7, v13
	v_cmp_gt_i32_e64 s[4:5], s7, v10
	s_nop 0
	v_cndmask_b32_e32 v13, v12, v34, vcc
	v_cndmask_b32_e64 v10, v12, v35, s[4:5]
	v_max3_f32 v14, v11, v13, v10
	v_mbcnt_lo_u32_b32 v10, -1, 0
	v_mbcnt_hi_u32_b32 v15, -1, v10
	v_and_b32_e32 v10, 64, v15
	v_add_u32_e32 v16, 64, v10
	v_xor_b32_e32 v10, 32, v15
	v_cmp_lt_i32_e64 s[38:39], v10, v16
	s_nop 1
	v_cndmask_b32_e64 v10, v15, v10, s[38:39]
	v_lshlrev_b32_e32 v51, 2, v10
	ds_bpermute_b32 v17, v51, v14
	v_lshl_add_u64 v[10:11], s[46:47], 0, v[58:59]
	v_mad_i64_i32 v[12:13], s[38:39], v62, s45, v[10:11]
	s_waitcnt lgkmcnt(0)
	v_max_f32_e32 v17, v17, v17
	v_max_f32_e32 v19, v14, v17
	v_xor_b32_e32 v14, 16, v15
	v_cmp_lt_i32_e64 s[38:39], v14, v16
	s_nop 1
	v_cndmask_b32_e64 v14, v15, v14, s[38:39]
	v_lshlrev_b32_e32 v58, 2, v14
	ds_bpermute_b32 v20, v58, v19
	v_mad_i64_i32 v[14:15], s[38:39], v53, s45, v[10:11]
	v_mad_i64_i32 v[16:17], s[38:39], v64, s45, v[10:11]
	s_waitcnt lgkmcnt(0)
	v_max_f32_e32 v20, v20, v20
	v_max_f32_e32 v50, v19, v20
	v_sub_f32_e32 v18, v18, v50
	v_sub_f32_e32 v19, v33, v50
	v_mul_f32_e32 v18, 0x3fb8aa3b, v18
	v_mul_f32_e32 v19, 0x3fb8aa3b, v19
	v_exp_f32_e32 v18, v18
	v_exp_f32_e32 v19, v19
	v_sub_f32_e32 v49, v31, v50
	v_mad_i64_i32 v[10:11], s[38:39], v63, s45, v[10:11]
	v_cndmask_b32_e64 v46, 0, v18, s[8:9]
	v_cndmask_b32_e64 v47, 0, v19, s[10:11]
	global_load_dwordx4 v[30:33], v[12:13], off
	global_load_dwordx4 v[18:21], v[14:15], off
	v_sub_f32_e32 v12, v48, v50
	v_mul_f32_e32 v12, 0x3fb8aa3b, v12
	v_exp_f32_e32 v48, v12
	global_load_dwordx4 v[14:17], v[16:17], off
	s_nop 0
	global_load_dwordx4 v[10:13], v[10:11], off
	v_sub_f32_e32 v40, v40, v50
	v_sub_f32_e32 v42, v42, v50
	v_mul_f32_e32 v40, 0x3fb8aa3b, v40
	v_mul_f32_e32 v42, 0x3fb8aa3b, v42
	v_exp_f32_e32 v40, v40
	v_exp_f32_e32 v53, v42
	v_mul_f32_e32 v49, 0x3fb8aa3b, v49
	v_sub_f32_e32 v44, v44, v50
	v_exp_f32_e32 v49, v49
	v_mul_f32_e32 v44, 0x3fb8aa3b, v44
	v_sub_f32_e32 v45, v45, v50
	v_sub_f32_e32 v42, v43, v50
	v_exp_f32_e32 v44, v44
	v_mul_f32_e32 v45, 0x3fb8aa3b, v45
	v_mul_f32_e32 v42, 0x3fb8aa3b, v42
	v_exp_f32_e32 v45, v45
	v_sub_f32_e32 v41, v41, v50
	v_exp_f32_e32 v59, v42
	v_cndmask_b32_e64 v42, 0, v40, s[20:21]
	v_cndmask_b32_e64 v40, 0, v53, s[24:25]
	v_add_f32_e32 v53, 0, v46
	v_cndmask_b32_e64 v48, 0, v48, s[12:13]
	v_mul_f32_e32 v41, 0x3fb8aa3b, v41
	v_add_f32_e32 v53, v53, v47
	v_cndmask_b32_e64 v49, 0, v49, s[14:15]
	v_exp_f32_e32 v41, v41
	v_add_f32_e32 v53, v53, v48
	v_cndmask_b32_e64 v44, 0, v44, s[16:17]
	v_sub_f32_e32 v38, v38, v50
	v_add_f32_e32 v53, v53, v49
	v_cndmask_b32_e64 v45, 0, v45, s[18:19]
	v_sub_f32_e32 v39, v39, v50
	v_mul_f32_e32 v38, 0x3fb8aa3b, v38
	v_add_f32_e32 v53, v53, v44
	v_exp_f32_e32 v38, v38
	v_mul_f32_e32 v39, 0x3fb8aa3b, v39
	v_sub_f32_e32 v36, v36, v50
	v_add_f32_e32 v53, v53, v45
	v_cndmask_b32_e64 v43, 0, v41, s[22:23]
	v_exp_f32_e32 v39, v39
	v_mul_f32_e32 v36, 0x3fb8aa3b, v36
	v_sub_f32_e32 v37, v37, v50
	v_add_f32_e32 v53, v53, v42
	v_exp_f32_e32 v36, v36
	v_mul_f32_e32 v37, 0x3fb8aa3b, v37
	v_add_f32_e32 v53, v53, v43
	v_sub_f32_e32 v34, v34, v50
	v_cndmask_b32_e64 v41, 0, v59, s[26:27]
	v_exp_f32_e32 v37, v37
	v_add_f32_e32 v53, v53, v40
	v_mul_f32_e32 v34, 0x3fb8aa3b, v34
	v_sub_f32_e32 v35, v35, v50
	v_cndmask_b32_e64 v38, 0, v38, s[28:29]
	v_add_f32_e32 v53, v53, v41
	v_exp_f32_e32 v34, v34
	v_mul_f32_e32 v35, 0x3fb8aa3b, v35
	v_cndmask_b32_e64 v39, 0, v39, s[30:31]
	v_add_f32_e32 v53, v53, v38
	v_exp_f32_e32 v35, v35
	v_cndmask_b32_e64 v36, 0, v36, s[34:35]
	v_add_f32_e32 v53, v53, v39
	v_cndmask_b32_e64 v37, 0, v37, s[36:37]
	v_add_f32_e32 v53, v53, v36
	v_add_f32_e32 v53, v53, v37
	v_cndmask_b32_e32 v34, 0, v34, vcc
	v_add_f32_e32 v53, v53, v34
	v_cndmask_b32_e64 v35, 0, v35, s[4:5]
	v_add_f32_e32 v53, v53, v35
	ds_bpermute_b32 v51, v51, v53
	v_cmp_gt_u32_e32 vcc, 16, v55
	s_waitcnt lgkmcnt(0)
	s_barrier
	v_add_f32_e32 v51, v53, v51
	ds_bpermute_b32 v53, v58, v51
	s_and_saveexec_b64 s[4:5], vcc
	s_cbranch_execz .LBB937_15
; %bb.14:
	s_waitcnt lgkmcnt(0)
	v_add_f32_e32 v51, v51, v53
	v_lshlrev_b32_e32 v52, 2, v52
	ds_write2st64_b32 v52, v50, v51 offset1:1
.LBB937_15:
	s_or_b64 exec, exec, s[4:5]
	v_lshlrev_b32_e32 v51, 2, v56
	s_load_dword s7, s[0:1], 0x94
	s_waitcnt lgkmcnt(0)
	s_barrier
	ds_read2_b32 v[52:53], v51 offset1:16
	ds_read2_b32 v[58:59], v51 offset0:32 offset1:48
	ds_read2_b32 v[62:63], v51 offset0:64 offset1:80
	s_mul_i32 s8, s33, 10
	s_waitcnt lgkmcnt(2)
	v_max3_f32 v50, v52, s40, v53
	s_waitcnt lgkmcnt(1)
	v_max3_f32 v50, v50, v58, v59
	v_sub_f32_e32 v52, v52, v50
	v_mul_f32_e32 v52, 0x3fb8aa3b, v52
	v_exp_f32_e32 v55, v52
	v_sub_f32_e32 v52, v53, v50
	v_mul_f32_e32 v52, 0x3fb8aa3b, v52
	v_exp_f32_e32 v61, v52
	v_sub_f32_e32 v52, v58, v50
	v_mul_f32_e32 v52, 0x3fb8aa3b, v52
	v_exp_f32_e32 v58, v52
	ds_read2_b32 v[52:53], v51 offset0:96 offset1:112
	v_sub_f32_e32 v51, v59, v50
	v_mul_f32_e32 v51, 0x3fb8aa3b, v51
	v_exp_f32_e32 v59, v51
	s_waitcnt lgkmcnt(1)
	v_fma_f32 v51, v55, v62, 0
	v_fmac_f32_e32 v51, v61, v63
	s_waitcnt lgkmcnt(0)
	v_fmac_f32_e32 v51, v58, v52
	v_fmac_f32_e32 v51, v59, v53
	v_add_f32_e32 v52, 0x358637bd, v51
	v_div_scale_f32 v53, s[4:5], v52, v52, 1.0
	v_rcp_f32_e32 v62, v53
	s_barrier
	v_fma_f32 v63, -v53, v62, 1.0
	v_fmac_f32_e32 v62, v63, v62
	v_div_scale_f32 v63, vcc, 1.0, v52, 1.0
	v_mul_f32_e32 v64, v63, v62
	v_fma_f32 v65, -v53, v64, v63
	v_fmac_f32_e32 v64, v65, v62
	v_fma_f32 v53, -v53, v64, v63
	v_div_fmas_f32 v53, v53, v62, v64
	v_cmp_eq_u32_e32 vcc, 1, v57
	v_div_fixup_f32 v52, v53, v52, 1.0
	s_nop 0
	v_cndmask_b32_e32 v53, v55, v61, vcc
	v_cmp_eq_u32_e32 vcc, 2, v57
	s_nop 1
	v_cndmask_b32_e32 v53, v53, v58, vcc
	v_cmp_eq_u32_e32 vcc, 3, v57
	s_nop 1
	v_cndmask_b32_e32 v53, v53, v59, vcc
	v_mul_f32_e32 v52, v53, v52
	v_pk_mul_f32 v[48:49], v[52:53], v[48:49] op_sel_hi:[0,1]
	v_pk_mul_f32 v[46:47], v[52:53], v[46:47] op_sel_hi:[0,1]
	v_cvt_f16_f32_e32 v53, v48
	v_cvt_f16_f32_e32 v49, v49
	;; [unrolled: 1-line block ×4, first 2 shown]
	v_pk_mul_f32 v[42:43], v[52:53], v[42:43] op_sel_hi:[0,1]
	v_pk_mul_f32 v[44:45], v[52:53], v[44:45] op_sel_hi:[0,1]
	v_pack_b32_f16 v49, v53, v49
	v_cvt_f16_f32_e32 v44, v44
	v_cvt_f16_f32_e32 v45, v45
	;; [unrolled: 1-line block ×4, first 2 shown]
	v_pack_b32_f16 v48, v46, v47
	v_lshlrev_b32_e32 v47, 3, v60
	v_lshlrev_b32_e32 v46, 5, v56
	;; [unrolled: 1-line block ×3, first 2 shown]
	v_or3_b32 v55, v42, v46, v47
	v_pack_b32_f16 v42, v44, v45
	v_pack_b32_f16 v43, v53, v43
	v_pk_mul_f32 v[38:39], v[52:53], v[38:39] op_sel_hi:[0,1]
	v_pk_mul_f32 v[40:41], v[52:53], v[40:41] op_sel_hi:[0,1]
	v_pk_mul_f32 v[34:35], v[52:53], v[34:35] op_sel_hi:[0,1]
	v_pk_mul_f32 v[36:37], v[52:53], v[36:37] op_sel_hi:[0,1]
	ds_write2st64_b64 v55, v[48:49], v[42:43] offset1:1
	v_cvt_f16_f32_e32 v40, v40
	v_cvt_f16_f32_e32 v41, v41
	;; [unrolled: 1-line block ×8, first 2 shown]
	v_pack_b32_f16 v34, v40, v41
	v_pack_b32_f16 v35, v38, v39
	;; [unrolled: 1-line block ×4, first 2 shown]
	v_cmp_gt_u32_e32 vcc, 10, v0
	ds_write2st64_b64 v55, v[34:35], v[36:37] offset0:2 offset1:3
	s_and_saveexec_b64 s[4:5], vcc
	s_cbranch_execz .LBB937_17
; %bb.16:
	s_mov_b32 s49, 0
	v_mov_b32_e32 v57, 0
	v_lshl_add_u64 v[34:35], s[48:49], 0, v[56:57]
	v_mov_b32_e32 v36, s8
	v_mad_u64_u32 v[34:35], s[10:11], s2, v36, v[34:35]
	s_mul_i32 s3, s3, s8
	v_mov_b32_e32 v36, s6
	v_mov_b32_e32 v37, v57
	s_load_dwordx4 s[12:15], s[0:1], 0x58
	v_add_u32_e32 v38, s3, v35
	v_mad_u64_u32 v[34:35], s[10:11], v34, s7, v[36:37]
	v_mov_b32_e32 v36, v35
	v_mad_u64_u32 v[36:37], s[10:11], v38, s7, v[36:37]
	v_mov_b32_e32 v35, v36
	v_lshlrev_b64 v[34:35], 2, v[34:35]
	s_waitcnt lgkmcnt(0)
	v_lshl_add_u64 v[36:37], s[14:15], 0, v[34:35]
	v_lshl_add_u64 v[34:35], s[12:13], 0, v[34:35]
	global_store_dword v[36:37], v50, off
	global_store_dword v[34:35], v51, off
.LBB937_17:
	s_or_b64 exec, exec, s[4:5]
	s_waitcnt vmcnt(7)
	v_cvt_pk_f32_fp8_e32 v[34:35], v6
	v_cvt_pk_f32_fp8_sdwa v[36:37], v6 src0_sel:WORD_1
	v_lshl_or_b32 v50, v60, 9, v46
	s_waitcnt lgkmcnt(0)
	s_barrier
	v_cvt_pk_f32_fp8_e32 v[38:39], v7
	v_cvt_pkrtz_f16_f32 v6, v34, v35
	v_cvt_pk_f32_fp8_sdwa v[40:41], v7 src0_sel:WORD_1
	v_cvt_pkrtz_f16_f32 v7, v36, v37
	ds_read_b128 v[34:37], v50
	v_cvt_pkrtz_f16_f32 v46, v38, v39
	v_cvt_pkrtz_f16_f32 v47, v40, v41
	ds_read_b128 v[38:41], v50 offset:16
	v_cvt_pk_f32_fp8_e32 v[48:49], v8
	v_cvt_pk_f32_fp8_sdwa v[52:53], v8 src0_sel:WORD_1
	s_waitcnt lgkmcnt(1)
	v_mfma_f32_16x16x16_f16 v[42:45], v[6:7], v[34:35], 0
	s_waitcnt vmcnt(6)
	v_cvt_pk_f32_fp8_e32 v[58:59], v4
	v_cvt_pkrtz_f16_f32 v6, v48, v49
	v_cvt_pkrtz_f16_f32 v7, v52, v53
	v_cvt_pk_f32_fp8_e32 v[48:49], v9
	v_mfma_f32_16x16x16_f16 v[42:45], v[46:47], v[36:37], v[42:45]
	v_cvt_pk_f32_fp8_sdwa v[46:47], v9 src0_sel:WORD_1
	v_cvt_pk_f32_fp8_sdwa v[62:63], v4 src0_sel:WORD_1
	v_cvt_pkrtz_f16_f32 v48, v48, v49
	s_waitcnt lgkmcnt(0)
	v_mfma_f32_16x16x16_f16 v[6:9], v[6:7], v[38:39], v[42:45]
	v_cvt_pkrtz_f16_f32 v49, v46, v47
	s_waitcnt vmcnt(5)
	v_cvt_pk_f32_fp8_sdwa v[66:67], v28 src0_sel:WORD_1
	s_waitcnt vmcnt(4)
	v_cvt_pk_f32_fp8_sdwa v[68:69], v24 src0_sel:WORD_1
	v_cvt_pk_f32_fp8_e32 v[42:43], v2
	v_mfma_f32_16x16x16_f16 v[46:49], v[48:49], v[40:41], v[6:9]
	s_waitcnt vmcnt(3)
	v_cvt_pk_f32_fp8_sdwa v[70:71], v32 src0_sel:WORD_1
	s_load_dword s4, s[42:43], 0x0
	v_cvt_pk_f32_fp8_sdwa v[6:7], v2 src0_sel:WORD_1
	v_cvt_pk_f32_fp8_e32 v[8:9], v3
	v_cvt_pkrtz_f16_f32 v2, v42, v43
	v_cvt_pk_f32_fp8_sdwa v[42:43], v3 src0_sel:WORD_1
	v_cvt_pkrtz_f16_f32 v3, v6, v7
	v_cvt_pkrtz_f16_f32 v52, v8, v9
	ds_read_b128 v[6:9], v50 offset:2048
	v_cvt_pkrtz_f16_f32 v53, v42, v43
	ds_read_b128 v[42:45], v50 offset:2064
	s_waitcnt lgkmcnt(0)
	v_mfma_f32_16x16x16_f16 v[46:49], v[2:3], v[6:7], v[46:49]
	v_cvt_pkrtz_f16_f32 v2, v58, v59
	v_cvt_pkrtz_f16_f32 v3, v62, v63
	v_cvt_pk_f32_fp8_e32 v[58:59], v5
	v_mfma_f32_16x16x16_f16 v[46:49], v[52:53], v[8:9], v[46:49]
	v_cvt_pk_f32_fp8_sdwa v[52:53], v5 src0_sel:WORD_1
	s_mov_b32 s3, 0
	v_cvt_pkrtz_f16_f32 v58, v58, v59
	v_mfma_f32_16x16x16_f16 v[2:5], v[2:3], v[42:43], v[46:49]
	v_cvt_pkrtz_f16_f32 v59, v52, v53
	v_cmp_gt_u32_e32 vcc, 64, v0
	s_nop 0
	v_cvt_pk_f32_fp8_e32 v[46:47], v26
	v_mfma_f32_16x16x16_f16 v[62:65], v[58:59], v[44:45], v[2:5]
	v_cvt_pk_f32_fp8_e32 v[58:59], v28
	s_nop 1
	v_cvt_pk_f32_fp8_sdwa v[2:3], v26 src0_sel:WORD_1
	v_cvt_pk_f32_fp8_e32 v[4:5], v27
	v_cvt_pkrtz_f16_f32 v26, v46, v47
	v_cvt_pk_f32_fp8_sdwa v[46:47], v27 src0_sel:WORD_1
	v_cvt_pkrtz_f16_f32 v27, v2, v3
	v_cvt_pkrtz_f16_f32 v52, v4, v5
	ds_read_b128 v[2:5], v50 offset:4096
	v_cvt_pkrtz_f16_f32 v53, v46, v47
	ds_read_b128 v[46:49], v50 offset:4112
	s_waitcnt lgkmcnt(1)
	v_mfma_f32_16x16x16_f16 v[62:65], v[26:27], v[2:3], v[62:65]
	v_cvt_pkrtz_f16_f32 v26, v58, v59
	v_cvt_pkrtz_f16_f32 v27, v66, v67
	v_cvt_pk_f32_fp8_e32 v[58:59], v29
	v_mfma_f32_16x16x16_f16 v[62:65], v[52:53], v[4:5], v[62:65]
	v_cvt_pk_f32_fp8_sdwa v[52:53], v29 src0_sel:WORD_1
	v_cvt_pk_f32_fp8_e32 v[66:67], v24
	v_cvt_pkrtz_f16_f32 v58, v58, v59
	s_waitcnt lgkmcnt(0)
	v_mfma_f32_16x16x16_f16 v[26:29], v[26:27], v[46:47], v[62:65]
	v_cvt_pkrtz_f16_f32 v59, v52, v53
	v_cvt_pk_f32_fp8_e32 v[52:53], v22
	s_nop 0
	v_mfma_f32_16x16x16_f16 v[62:65], v[58:59], v[48:49], v[26:29]
	s_nop 2
	v_cvt_pk_f32_fp8_sdwa v[26:27], v22 src0_sel:WORD_1
	v_cvt_pk_f32_fp8_e32 v[28:29], v23
	v_cvt_pkrtz_f16_f32 v22, v52, v53
	v_cvt_pk_f32_fp8_sdwa v[52:53], v23 src0_sel:WORD_1
	v_cvt_pkrtz_f16_f32 v23, v26, v27
	v_cvt_pkrtz_f16_f32 v58, v28, v29
	ds_read_b128 v[26:29], v50 offset:6144
	v_cvt_pkrtz_f16_f32 v59, v52, v53
	s_waitcnt lgkmcnt(0)
	v_mfma_f32_16x16x16_f16 v[62:65], v[22:23], v[26:27], v[62:65]
	ds_read_b128 v[50:53], v50 offset:6160
	v_cvt_pkrtz_f16_f32 v22, v66, v67
	v_cvt_pkrtz_f16_f32 v23, v68, v69
	v_cvt_pk_f32_fp8_e32 v[66:67], v25
	v_mfma_f32_16x16x16_f16 v[62:65], v[58:59], v[28:29], v[62:65]
	v_cvt_pk_f32_fp8_sdwa v[58:59], v25 src0_sel:WORD_1
	v_cvt_pk_f32_fp8_e32 v[68:69], v32
	v_cvt_pkrtz_f16_f32 v66, v66, v67
	s_waitcnt lgkmcnt(0)
	v_mfma_f32_16x16x16_f16 v[22:25], v[22:23], v[50:51], v[62:65]
	v_cvt_pkrtz_f16_f32 v67, v58, v59
	v_cvt_pk_f32_fp8_e32 v[58:59], v30
	s_nop 0
	v_cvt_pk_f32_fp8_sdwa v[62:63], v30 src0_sel:WORD_1
	v_cvt_pk_f32_fp8_e32 v[64:65], v31
	v_cvt_pkrtz_f16_f32 v58, v58, v59
	v_cvt_pk_f32_fp8_sdwa v[30:31], v31 src0_sel:WORD_1
	v_cvt_pkrtz_f16_f32 v59, v62, v63
	v_mfma_f32_16x16x16_f16 v[22:25], v[66:67], v[52:53], v[22:25]
	v_cvt_pkrtz_f16_f32 v66, v64, v65
	v_cvt_pkrtz_f16_f32 v67, v30, v31
	;; [unrolled: 1-line block ×3, first 2 shown]
	v_mfma_f32_16x16x16_f16 v[62:65], v[58:59], v[34:35], 0
	v_cvt_pkrtz_f16_f32 v31, v70, v71
	v_cvt_pk_f32_fp8_e32 v[58:59], v33
	s_barrier
	v_mfma_f32_16x16x16_f16 v[34:37], v[66:67], v[36:37], v[62:65]
	v_cvt_pkrtz_f16_f32 v58, v58, v59
	s_nop 1
	v_cvt_pk_f32_fp8_sdwa v[62:63], v33 src0_sel:WORD_1
	v_mfma_f32_16x16x16_f16 v[30:33], v[30:31], v[38:39], v[34:37]
	s_waitcnt vmcnt(2)
	v_cvt_pk_f32_fp8_e32 v[38:39], v19
	v_cvt_pkrtz_f16_f32 v59, v62, v63
	v_cvt_pk_f32_fp8_e32 v[34:35], v18
	v_cvt_pk_f32_fp8_sdwa v[36:37], v18 src0_sel:WORD_1
	v_cvt_pk_f32_fp8_sdwa v[18:19], v19 src0_sel:WORD_1
	v_mfma_f32_16x16x16_f16 v[30:33], v[58:59], v[40:41], v[30:33]
	v_cvt_pkrtz_f16_f32 v34, v34, v35
	v_cvt_pkrtz_f16_f32 v35, v36, v37
	;; [unrolled: 1-line block ×3, first 2 shown]
	v_cvt_pk_f32_fp8_e32 v[38:39], v20
	v_cvt_pk_f32_fp8_sdwa v[40:41], v20 src0_sel:WORD_1
	v_cvt_pkrtz_f16_f32 v37, v18, v19
	v_mfma_f32_16x16x16_f16 v[30:33], v[34:35], v[6:7], v[30:33]
	v_cvt_pkrtz_f16_f32 v18, v38, v39
	v_cvt_pkrtz_f16_f32 v19, v40, v41
	v_cvt_pk_f32_fp8_e32 v[34:35], v21
	v_cvt_pk_f32_fp8_sdwa v[20:21], v21 src0_sel:WORD_1
	v_mfma_f32_16x16x16_f16 v[6:9], v[36:37], v[8:9], v[30:33]
	s_nop 2
	v_cvt_pkrtz_f16_f32 v30, v34, v35
	v_cvt_pkrtz_f16_f32 v31, v20, v21
	v_mfma_f32_16x16x16_f16 v[6:9], v[18:19], v[42:43], v[6:9]
	s_waitcnt vmcnt(1)
	v_cvt_pk_f32_fp8_e32 v[18:19], v14
	v_cvt_pk_f32_fp8_sdwa v[20:21], v14 src0_sel:WORD_1
	v_cvt_pk_f32_fp8_sdwa v[32:33], v16 src0_sel:WORD_1
	v_mfma_f32_16x16x16_f16 v[6:9], v[30:31], v[44:45], v[6:9]
	v_cvt_pk_f32_fp8_e32 v[30:31], v15
	v_cvt_pkrtz_f16_f32 v18, v18, v19
	v_cvt_pkrtz_f16_f32 v19, v20, v21
	v_cvt_pk_f32_fp8_sdwa v[14:15], v15 src0_sel:WORD_1
	v_cvt_pkrtz_f16_f32 v20, v30, v31
	v_cvt_pk_f32_fp8_e32 v[30:31], v16
	v_mfma_f32_16x16x16_f16 v[6:9], v[18:19], v[2:3], v[6:9]
	v_cvt_pkrtz_f16_f32 v21, v14, v15
	v_cvt_pkrtz_f16_f32 v14, v30, v31
	v_cvt_pkrtz_f16_f32 v15, v32, v33
	v_cvt_pk_f32_fp8_e32 v[18:19], v17
	v_cvt_pk_f32_fp8_sdwa v[16:17], v17 src0_sel:WORD_1
	v_mfma_f32_16x16x16_f16 v[2:5], v[20:21], v[4:5], v[6:9]
	s_waitcnt vmcnt(0)
	v_cvt_pk_f32_fp8_sdwa v[20:21], v12 src0_sel:WORD_1
	s_nop 0
	v_cvt_pkrtz_f16_f32 v8, v18, v19
	v_cvt_pkrtz_f16_f32 v9, v16, v17
	v_mfma_f32_16x16x16_f16 v[2:5], v[14:15], v[46:47], v[2:5]
	v_cvt_pk_f32_fp8_e32 v[16:17], v10
	v_cvt_pk_f32_fp8_sdwa v[18:19], v10 src0_sel:WORD_1
	v_pk_mul_f32 v[6:7], v[24:25], s[4:5] op_sel_hi:[1,0]
	v_mfma_f32_16x16x16_f16 v[2:5], v[8:9], v[48:49], v[2:5]
	v_cvt_pk_f32_fp8_e32 v[8:9], v11
	v_cvt_pkrtz_f16_f32 v16, v16, v17
	v_cvt_pkrtz_f16_f32 v17, v18, v19
	v_cvt_pk_f32_fp8_sdwa v[10:11], v11 src0_sel:WORD_1
	v_cvt_pkrtz_f16_f32 v8, v8, v9
	v_cvt_pk_f32_fp8_e32 v[18:19], v12
	v_mfma_f32_16x16x16_f16 v[2:5], v[16:17], v[26:27], v[2:5]
	v_cvt_pkrtz_f16_f32 v9, v10, v11
	v_cvt_pkrtz_f16_f32 v10, v18, v19
	;; [unrolled: 1-line block ×3, first 2 shown]
	v_cvt_pk_f32_fp8_e32 v[16:17], v13
	v_cvt_pk_f32_fp8_sdwa v[12:13], v13 src0_sel:WORD_1
	v_mfma_f32_16x16x16_f16 v[2:5], v[8:9], v[28:29], v[2:5]
	v_pk_mul_f32 v[14:15], v[22:23], s[4:5] op_sel_hi:[1,0]
	v_cvt_pkrtz_f16_f32 v8, v16, v17
	v_cvt_pkrtz_f16_f32 v9, v12, v13
	v_mfma_f32_16x16x16_f16 v[2:5], v[10:11], v[50:51], v[2:5]
	v_cvt_f16_f32_e32 v14, v14
	v_cvt_f16_f32_e32 v10, v15
	;; [unrolled: 1-line block ×3, first 2 shown]
	v_mfma_f32_16x16x16_f16 v[2:5], v[8:9], v[52:53], v[2:5]
	v_cvt_f16_f32_e32 v7, v7
	s_nop 5
	v_pk_mul_f32 v[4:5], v[4:5], s[4:5] op_sel_hi:[1,0]
	v_pk_mul_f32 v[2:3], v[2:3], s[4:5] op_sel_hi:[1,0]
	v_cvt_f16_f32_e32 v11, v4
	v_cvt_f16_f32_e32 v8, v2
	;; [unrolled: 1-line block ×4, first 2 shown]
	v_pack_b32_f16 v2, v14, v10
	v_pack_b32_f16 v3, v6, v7
	v_pack_b32_f16 v4, v8, v9
	v_pack_b32_f16 v5, v11, v5
	ds_write2st64_b64 v55, v[2:3], v[4:5] offset1:1
	s_waitcnt lgkmcnt(0)
	s_barrier
	s_and_saveexec_b64 s[4:5], vcc
	s_cbranch_execz .LBB937_20
; %bb.18:
	s_load_dwordx2 s[4:5], s[0:1], 0x68
	s_lshl_b32 s0, s7, 7
	s_mul_i32 s1, s8, s2
	v_lshlrev_b32_e32 v3, 6, v56
	s_mul_hi_u32 s9, s1, s0
	s_mul_i32 s8, s1, s0
	v_lshl_or_b32 v0, v0, 10, v3
	s_lshl_b64 s[8:9], s[8:9], 1
	v_lshlrev_b32_e32 v2, 5, v60
	v_and_b32_e32 v1, 16, v1
	v_and_b32_e32 v0, 0x1a00, v0
	s_waitcnt lgkmcnt(0)
	s_add_u32 s1, s4, s8
	v_or3_b32 v2, v0, v2, v1
	s_addc_u32 s4, s5, s9
	s_lshl_b32 s2, s6, 7
	s_lshl_b64 s[2:3], s[2:3], 1
	ds_read_b128 v[4:7], v2 offset:128
	ds_read_b128 v[8:11], v2
	s_add_u32 s2, s1, s2
	s_addc_u32 s3, s4, s3
	v_mov_b32_e32 v55, 0
	v_add_u32_e32 v14, s48, v60
	v_lshl_add_u64 v[0:1], s[2:3], 0, v[54:55]
	v_mad_u64_u32 v[12:13], s[2:3], v14, s0, 0
	v_lshl_add_u64 v[12:13], v[12:13], 1, v[0:1]
	s_waitcnt lgkmcnt(0)
	global_store_dwordx4 v[12:13], v[8:11], off
	v_or_b32_e32 v3, 8, v60
	v_cmp_gt_u32_e32 vcc, 10, v3
	v_add_u32_e32 v8, 4, v14
	v_mad_u64_u32 v[8:9], s[2:3], v8, s0, 0
	v_lshl_add_u64 v[8:9], v[8:9], 1, v[0:1]
	global_store_dwordx4 v[8:9], v[4:7], off
	s_and_b64 exec, exec, vcc
	s_cbranch_execz .LBB937_20
; %bb.19:
	ds_read_b128 v[4:7], v2 offset:256
	v_add_u32_e32 v2, s48, v3
	v_mad_u64_u32 v[2:3], s[0:1], v2, s0, 0
	v_lshl_add_u64 v[0:1], v[2:3], 1, v[0:1]
	s_waitcnt lgkmcnt(0)
	global_store_dwordx4 v[0:1], v[4:7], off
.LBB937_20:
	s_endpgm
	.section	.rodata,"a",@progbits
	.p2align	6, 0x0
	.amdhsa_kernel _Z39paged_attention_ll4mi_QKV_mfma16_kernelIDF16_hLN4vllm18Fp8KVCacheDataTypeE1EhLi16ELi128ELi256ELb1ELi10EEvPKT_PKT0_S7_ifPKiS9_S9_iPKfiiiPfSC_PS2_PT2_iSB_SB_
		.amdhsa_group_segment_fixed_size 8192
		.amdhsa_private_segment_fixed_size 0
		.amdhsa_kernarg_size 400
		.amdhsa_user_sgpr_count 2
		.amdhsa_user_sgpr_dispatch_ptr 0
		.amdhsa_user_sgpr_queue_ptr 0
		.amdhsa_user_sgpr_kernarg_segment_ptr 1
		.amdhsa_user_sgpr_dispatch_id 0
		.amdhsa_user_sgpr_kernarg_preload_length 0
		.amdhsa_user_sgpr_kernarg_preload_offset 0
		.amdhsa_user_sgpr_private_segment_size 0
		.amdhsa_uses_dynamic_stack 0
		.amdhsa_enable_private_segment 0
		.amdhsa_system_sgpr_workgroup_id_x 1
		.amdhsa_system_sgpr_workgroup_id_y 1
		.amdhsa_system_sgpr_workgroup_id_z 1
		.amdhsa_system_sgpr_workgroup_info 0
		.amdhsa_system_vgpr_workitem_id 0
		.amdhsa_next_free_vgpr 76
		.amdhsa_next_free_sgpr 50
		.amdhsa_accum_offset 76
		.amdhsa_reserve_vcc 1
		.amdhsa_float_round_mode_32 0
		.amdhsa_float_round_mode_16_64 0
		.amdhsa_float_denorm_mode_32 3
		.amdhsa_float_denorm_mode_16_64 3
		.amdhsa_dx10_clamp 1
		.amdhsa_ieee_mode 1
		.amdhsa_fp16_overflow 0
		.amdhsa_tg_split 0
		.amdhsa_exception_fp_ieee_invalid_op 0
		.amdhsa_exception_fp_denorm_src 0
		.amdhsa_exception_fp_ieee_div_zero 0
		.amdhsa_exception_fp_ieee_overflow 0
		.amdhsa_exception_fp_ieee_underflow 0
		.amdhsa_exception_fp_ieee_inexact 0
		.amdhsa_exception_int_div_zero 0
	.end_amdhsa_kernel
	.section	.text._Z39paged_attention_ll4mi_QKV_mfma16_kernelIDF16_hLN4vllm18Fp8KVCacheDataTypeE1EhLi16ELi128ELi256ELb1ELi10EEvPKT_PKT0_S7_ifPKiS9_S9_iPKfiiiPfSC_PS2_PT2_iSB_SB_,"axG",@progbits,_Z39paged_attention_ll4mi_QKV_mfma16_kernelIDF16_hLN4vllm18Fp8KVCacheDataTypeE1EhLi16ELi128ELi256ELb1ELi10EEvPKT_PKT0_S7_ifPKiS9_S9_iPKfiiiPfSC_PS2_PT2_iSB_SB_,comdat
.Lfunc_end937:
	.size	_Z39paged_attention_ll4mi_QKV_mfma16_kernelIDF16_hLN4vllm18Fp8KVCacheDataTypeE1EhLi16ELi128ELi256ELb1ELi10EEvPKT_PKT0_S7_ifPKiS9_S9_iPKfiiiPfSC_PS2_PT2_iSB_SB_, .Lfunc_end937-_Z39paged_attention_ll4mi_QKV_mfma16_kernelIDF16_hLN4vllm18Fp8KVCacheDataTypeE1EhLi16ELi128ELi256ELb1ELi10EEvPKT_PKT0_S7_ifPKiS9_S9_iPKfiiiPfSC_PS2_PT2_iSB_SB_
                                        ; -- End function
	.section	.AMDGPU.csdata,"",@progbits
; Kernel info:
; codeLenInByte = 6304
; NumSgprs: 56
; NumVgprs: 76
; NumAgprs: 0
; TotalNumVgprs: 76
; ScratchSize: 0
; MemoryBound: 0
; FloatMode: 240
; IeeeMode: 1
; LDSByteSize: 8192 bytes/workgroup (compile time only)
; SGPRBlocks: 6
; VGPRBlocks: 9
; NumSGPRsForWavesPerEU: 56
; NumVGPRsForWavesPerEU: 76
; AccumOffset: 76
; Occupancy: 6
; WaveLimiterHint : 1
; COMPUTE_PGM_RSRC2:SCRATCH_EN: 0
; COMPUTE_PGM_RSRC2:USER_SGPR: 2
; COMPUTE_PGM_RSRC2:TRAP_HANDLER: 0
; COMPUTE_PGM_RSRC2:TGID_X_EN: 1
; COMPUTE_PGM_RSRC2:TGID_Y_EN: 1
; COMPUTE_PGM_RSRC2:TGID_Z_EN: 1
; COMPUTE_PGM_RSRC2:TIDIG_COMP_CNT: 0
; COMPUTE_PGM_RSRC3_GFX90A:ACCUM_OFFSET: 18
; COMPUTE_PGM_RSRC3_GFX90A:TG_SPLIT: 0
	.section	.text._Z39paged_attention_ll4mi_QKV_mfma16_kernelIDF16_hLN4vllm18Fp8KVCacheDataTypeE1EhLi16ELi128ELi256ELb1ELi11EEvPKT_PKT0_S7_ifPKiS9_S9_iPKfiiiPfSC_PS2_PT2_iSB_SB_,"axG",@progbits,_Z39paged_attention_ll4mi_QKV_mfma16_kernelIDF16_hLN4vllm18Fp8KVCacheDataTypeE1EhLi16ELi128ELi256ELb1ELi11EEvPKT_PKT0_S7_ifPKiS9_S9_iPKfiiiPfSC_PS2_PT2_iSB_SB_,comdat
	.protected	_Z39paged_attention_ll4mi_QKV_mfma16_kernelIDF16_hLN4vllm18Fp8KVCacheDataTypeE1EhLi16ELi128ELi256ELb1ELi11EEvPKT_PKT0_S7_ifPKiS9_S9_iPKfiiiPfSC_PS2_PT2_iSB_SB_ ; -- Begin function _Z39paged_attention_ll4mi_QKV_mfma16_kernelIDF16_hLN4vllm18Fp8KVCacheDataTypeE1EhLi16ELi128ELi256ELb1ELi11EEvPKT_PKT0_S7_ifPKiS9_S9_iPKfiiiPfSC_PS2_PT2_iSB_SB_
	.globl	_Z39paged_attention_ll4mi_QKV_mfma16_kernelIDF16_hLN4vllm18Fp8KVCacheDataTypeE1EhLi16ELi128ELi256ELb1ELi11EEvPKT_PKT0_S7_ifPKiS9_S9_iPKfiiiPfSC_PS2_PT2_iSB_SB_
	.p2align	8
	.type	_Z39paged_attention_ll4mi_QKV_mfma16_kernelIDF16_hLN4vllm18Fp8KVCacheDataTypeE1EhLi16ELi128ELi256ELb1ELi11EEvPKT_PKT0_S7_ifPKiS9_S9_iPKfiiiPfSC_PS2_PT2_iSB_SB_,@function
_Z39paged_attention_ll4mi_QKV_mfma16_kernelIDF16_hLN4vllm18Fp8KVCacheDataTypeE1EhLi16ELi128ELi256ELb1ELi11EEvPKT_PKT0_S7_ifPKiS9_S9_iPKfiiiPfSC_PS2_PT2_iSB_SB_: ; @_Z39paged_attention_ll4mi_QKV_mfma16_kernelIDF16_hLN4vllm18Fp8KVCacheDataTypeE1EhLi16ELi128ELi256ELb1ELi11EEvPKT_PKT0_S7_ifPKiS9_S9_iPKfiiiPfSC_PS2_PT2_iSB_SB_
; %bb.0:
	s_load_dwordx2 s[10:11], s[0:1], 0x30
	s_mov_b32 s6, s3
	s_mov_b64 s[8:9], 0
	s_waitcnt lgkmcnt(0)
	s_cmp_lg_u64 s[10:11], 0
	s_cselect_b64 s[12:13], -1, 0
	s_and_b64 vcc, exec, s[12:13]
	s_cbranch_vccz .LBB938_7
; %bb.1:
	s_add_i32 s14, s2, 1
	s_mov_b32 s15, 0
	s_lshl_b64 s[16:17], s[14:15], 2
	s_add_u32 s16, s10, s16
	s_mov_b32 s3, s15
	s_addc_u32 s17, s11, s17
	s_lshl_b64 s[14:15], s[2:3], 2
	s_add_u32 s14, s10, s14
	s_addc_u32 s15, s11, s15
	s_load_dword s5, s[16:17], 0x0
	s_load_dword s7, s[14:15], 0x0
	s_waitcnt lgkmcnt(0)
	s_sub_i32 s5, s5, s7
	s_cmp_eq_u32 s5, 1
	s_cselect_b64 s[14:15], -1, 0
	s_andn2_b64 vcc, exec, s[8:9]
	s_cbranch_vccnz .LBB938_3
.LBB938_2:
	s_mov_b32 s3, 0
	s_mov_b64 s[14:15], -1
.LBB938_3:
	s_andn2_b64 vcc, exec, s[14:15]
	s_cbranch_vccnz .LBB938_20
; %bb.4:
	s_load_dwordx2 s[8:9], s[0:1], 0x28
	s_lshl_b64 s[14:15], s[2:3], 2
	s_waitcnt lgkmcnt(0)
	s_add_u32 s8, s8, s14
	s_addc_u32 s9, s9, s15
	s_load_dword s7, s[8:9], 0x0
	s_lshl_b32 s18, s6, 8
	s_waitcnt lgkmcnt(0)
	s_cmp_ge_i32 s18, s7
	s_cbranch_scc1 .LBB938_20
; %bb.5:
	s_load_dwordx2 s[8:9], s[0:1], 0x20
	s_load_dword s5, s[0:1], 0x38
	s_add_i32 s16, s7, 15
	s_ashr_i32 s17, s16, 31
	v_and_b32_e32 v1, 0xcf, v0
	s_lshr_b32 s17, s17, 28
	v_add_u32_e32 v1, s18, v1
	s_add_i32 s16, s16, s17
	v_ashrrev_i32_e32 v2, 31, v1
	s_ashr_i32 s19, s16, 4
	v_lshrrev_b32_e32 v4, 28, v2
	s_add_i32 s19, s19, -1
	s_waitcnt lgkmcnt(0)
	s_mul_i32 s16, s2, s5
	s_mov_b32 s17, 0
	v_add_u32_e32 v2, v1, v4
	s_lshl_b64 s[16:17], s[16:17], 2
	v_ashrrev_i32_e32 v2, 4, v2
	v_mov_b32_e32 v5, s19
	v_cmp_gt_i32_e32 vcc, s7, v1
	s_add_u32 s8, s8, s16
	s_addc_u32 s9, s9, s17
	v_cndmask_b32_e32 v2, v5, v2, vcc
	v_ashrrev_i32_e32 v3, 31, v2
	v_lshl_add_u64 v[6:7], v[2:3], 2, s[8:9]
	v_or_b32_e32 v2, 16, v1
	v_add_u32_e32 v3, v2, v4
	v_ashrrev_i32_e32 v3, 4, v3
	v_cmp_gt_i32_e32 vcc, s7, v2
	s_load_dwordx2 s[16:17], s[0:1], 0x8
	s_nop 0
	v_cndmask_b32_e32 v2, v5, v3, vcc
	v_ashrrev_i32_e32 v3, 31, v2
	v_lshl_add_u64 v[8:9], v[2:3], 2, s[8:9]
	v_or_b32_e32 v2, 32, v1
	v_add_u32_e32 v3, v2, v4
	v_ashrrev_i32_e32 v3, 4, v3
	v_cmp_gt_i32_e32 vcc, s7, v2
	v_or_b32_e32 v1, 48, v1
	s_nop 0
	v_cndmask_b32_e32 v2, v5, v3, vcc
	v_ashrrev_i32_e32 v3, 31, v2
	v_lshl_add_u64 v[12:13], v[2:3], 2, s[8:9]
	v_add_u32_e32 v2, v1, v4
	v_ashrrev_i32_e32 v2, 4, v2
	v_cmp_gt_i32_e32 vcc, s7, v1
	s_nop 1
	v_cndmask_b32_e32 v2, v5, v2, vcc
	v_ashrrev_i32_e32 v3, 31, v2
	v_lshl_add_u64 v[14:15], v[2:3], 2, s[8:9]
	global_load_dword v4, v[6:7], off
	global_load_dword v3, v[8:9], off
	global_load_dword v2, v[12:13], off
	global_load_dword v10, v[14:15], off
	s_andn2_b64 vcc, exec, s[12:13]
	s_cbranch_vccnz .LBB938_8
; %bb.6:
	s_add_u32 s10, s10, s14
	s_addc_u32 s11, s11, s15
	s_load_dword s5, s[10:11], 0x0
	s_branch .LBB938_9
.LBB938_7:
	s_mov_b64 s[14:15], 0
	s_branch .LBB938_2
.LBB938_8:
	s_mov_b32 s5, s2
.LBB938_9:
	s_load_dwordx2 s[10:11], s[0:1], 0x10
	s_load_dwordx4 s[44:47], s[0:1], 0x48
	v_lshrrev_b32_e32 v57, 6, v0
	v_bfe_u32 v60, v0, 4, 2
	v_and_b32_e32 v56, 15, v0
	v_lshl_or_b32 v5, v57, 2, v60
	v_lshlrev_b32_e32 v1, 3, v56
	s_mul_i32 s48, s4, 11
	v_cmp_gt_u32_e32 vcc, 11, v5
	v_lshlrev_b32_e32 v54, 1, v1
	v_lshlrev_b32_e32 v1, 4, v0
	s_and_saveexec_b64 s[12:13], vcc
	s_cbranch_execz .LBB938_11
; %bb.10:
	s_load_dwordx2 s[14:15], s[0:1], 0x0
	s_waitcnt lgkmcnt(0)
	s_ashr_i32 s20, s44, 31
	s_mul_hi_u32 s21, s5, s44
	s_mul_i32 s20, s5, s20
	s_add_i32 s21, s21, s20
	s_mul_i32 s20, s5, s44
	s_lshl_b64 s[20:21], s[20:21], 1
	s_add_u32 s14, s14, s20
	v_add_lshl_u32 v6, v5, s48, 7
	s_addc_u32 s15, s15, s21
	v_ashrrev_i32_e32 v7, 31, v6
	v_lshl_add_u64 v[6:7], v[6:7], 1, s[14:15]
	v_mov_b32_e32 v55, 0
	v_lshl_add_u64 v[6:7], v[6:7], 0, v[54:55]
	global_load_dwordx4 v[6:9], v[6:7], off
	v_lshlrev_b32_e32 v12, 8, v0
	v_lshlrev_b32_e32 v11, 8, v56
	v_and_b32_e32 v12, 0x600, v12
	s_movk_i32 s5, 0x800
	v_and_or_b32 v11, v11, s5, v12
	v_lshlrev_b32_e32 v5, 5, v5
	v_and_b32_e32 v12, 16, v1
	v_or3_b32 v5, v11, v5, v12
	s_waitcnt vmcnt(0)
	ds_write_b128 v5, v[6:9]
.LBB938_11:
	s_or_b64 exec, exec, s[12:13]
	s_waitcnt lgkmcnt(0)
	s_mul_i32 s12, s4, s46
	s_add_u32 s4, s16, s12
	s_addc_u32 s5, s17, 0
	v_and_b32_e32 v58, 0xf0, v1
	v_mov_b32_e32 v59, 0
	v_and_b32_e32 v34, 48, v0
	v_lshl_add_u64 v[12:13], s[4:5], 0, v[58:59]
	v_lshlrev_b32_e32 v58, 4, v34
	s_waitcnt vmcnt(3)
	v_mad_i64_i32 v[4:5], s[4:5], v4, s45, v[12:13]
	v_lshl_add_u64 v[4:5], v[4:5], 0, v[58:59]
	s_barrier
	global_load_dwordx4 v[50:53], v[4:5], off
	global_load_dwordx4 v[46:49], v[4:5], off offset:1024
	s_waitcnt vmcnt(4)
	v_mad_i64_i32 v[4:5], s[4:5], v3, s45, v[12:13]
	s_waitcnt vmcnt(3)
	v_mad_i64_i32 v[2:3], s[4:5], v2, s45, v[12:13]
	v_lshl_add_u64 v[4:5], v[4:5], 0, v[58:59]
	v_lshl_add_u64 v[14:15], v[2:3], 0, v[58:59]
	s_waitcnt vmcnt(2)
	v_mad_i64_i32 v[10:11], s[4:5], v10, s45, v[12:13]
	global_load_dwordx4 v[36:39], v[4:5], off
	global_load_dwordx4 v[6:9], v[4:5], off offset:1024
	s_nop 0
	global_load_dwordx4 v[2:5], v[14:15], off
	global_load_dwordx4 v[42:45], v[14:15], off offset:1024
	v_lshl_add_u64 v[14:15], v[10:11], 0, v[58:59]
	global_load_dwordx4 v[26:29], v[14:15], off
	global_load_dwordx4 v[10:13], v[14:15], off offset:1024
	v_add_u32_e32 v14, -11, v56
	v_cmp_gt_u32_e32 vcc, 11, v56
	v_and_b32_e32 v55, 63, v0
	v_mov_b32_e32 v61, 0
	v_cndmask_b32_e32 v14, v14, v56, vcc
	v_lshlrev_b32_e32 v14, 5, v14
	v_lshl_add_u32 v14, v60, 9, v14
	ds_read_b128 v[30:33], v14
	ds_read_b128 v[22:25], v14 offset:16
	ds_read_b128 v[18:21], v14 offset:2048
	;; [unrolled: 1-line block ×3, first 2 shown]
	s_and_saveexec_b64 s[4:5], vcc
	s_cbranch_execz .LBB938_13
; %bb.12:
	s_load_dwordx2 s[14:15], s[0:1], 0x40
	v_add_u32_e32 v40, s48, v56
	v_ashrrev_i32_e32 v41, 31, v40
	s_waitcnt lgkmcnt(0)
	v_lshl_add_u64 v[40:41], v[40:41], 2, s[14:15]
	global_load_dword v61, v[40:41], off
.LBB938_13:
	s_or_b64 exec, exec, s[4:5]
	v_or_b32_e32 v58, s18, v34
	v_ashrrev_i32_e32 v34, 4, v58
	v_mov_b32_e32 v63, s19
	v_cmp_gt_i32_e32 vcc, s7, v58
	s_waitcnt vmcnt(7)
	v_cvt_pk_f32_fp8_e32 v[40:41], v50
	v_cvt_pk_f32_fp8_sdwa v[64:65], v50 src0_sel:WORD_1
	v_cndmask_b32_e32 v34, v63, v34, vcc
	v_ashrrev_i32_e32 v35, 31, v34
	v_lshl_add_u64 v[34:35], v[34:35], 2, s[8:9]
	global_load_dword v62, v[34:35], off
	v_or_b32_e32 v34, 64, v58
	v_ashrrev_i32_e32 v35, 4, v34
	v_cmp_gt_i32_e32 vcc, s7, v34
	v_or_b32_e32 v66, 0x80, v58
	v_ashrrev_i32_e32 v67, 4, v66
	v_cndmask_b32_e32 v34, v63, v35, vcc
	v_cmp_gt_i32_e32 vcc, s7, v66
	v_cvt_pkrtz_f16_f32 v40, v40, v41
	v_cvt_pkrtz_f16_f32 v41, v64, v65
	v_cndmask_b32_e32 v50, v63, v67, vcc
	v_cvt_pk_f32_fp8_e32 v[64:65], v51
	v_cvt_pk_f32_fp8_sdwa v[66:67], v51 src0_sel:WORD_1
	v_ashrrev_i32_e32 v51, 31, v50
	v_lshl_add_u64 v[68:69], v[50:51], 2, s[8:9]
	v_cvt_pkrtz_f16_f32 v50, v64, v65
	v_cvt_pkrtz_f16_f32 v51, v66, v67
	s_waitcnt lgkmcnt(3)
	v_mfma_f32_16x16x16_f16 v[64:67], v[40:41], v[30:31], 0
	v_cvt_pk_f32_fp8_e32 v[40:41], v52
	v_cvt_pk_f32_fp8_sdwa v[70:71], v52 src0_sel:WORD_1
	s_waitcnt vmcnt(7)
	v_cvt_pk_f32_fp8_e32 v[72:73], v46
	v_mfma_f32_16x16x16_f16 v[64:67], v[50:51], v[32:33], v[64:67]
	v_cvt_pk_f32_fp8_e32 v[50:51], v53
	v_cvt_pkrtz_f16_f32 v40, v40, v41
	v_cvt_pkrtz_f16_f32 v41, v70, v71
	v_cvt_pk_f32_fp8_sdwa v[52:53], v53 src0_sel:WORD_1
	v_cvt_pkrtz_f16_f32 v70, v50, v51
	v_cvt_pk_f32_fp8_sdwa v[74:75], v46 src0_sel:WORD_1
	v_ashrrev_i32_e32 v35, 31, v34
	v_cvt_pkrtz_f16_f32 v71, v52, v53
	s_waitcnt lgkmcnt(2)
	v_mfma_f32_16x16x16_f16 v[50:53], v[40:41], v[22:23], v[64:67]
	v_cvt_pkrtz_f16_f32 v40, v72, v73
	v_cvt_pkrtz_f16_f32 v41, v74, v75
	v_or_b32_e32 v58, 0xc0, v58
	v_cvt_pk_f32_fp8_e32 v[64:65], v47
	v_cvt_pk_f32_fp8_sdwa v[46:47], v47 src0_sel:WORD_1
	v_mfma_f32_16x16x16_f16 v[50:53], v[70:71], v[24:25], v[50:53]
	v_lshl_add_u64 v[34:35], v[34:35], 2, s[8:9]
	v_cvt_pkrtz_f16_f32 v64, v64, v65
	v_cvt_pkrtz_f16_f32 v65, v46, v47
	s_waitcnt lgkmcnt(1)
	v_mfma_f32_16x16x16_f16 v[50:53], v[40:41], v[18:19], v[50:53]
	v_ashrrev_i32_e32 v66, 4, v58
	v_cmp_gt_i32_e32 vcc, s7, v58
	v_cvt_pk_f32_fp8_e32 v[46:47], v48
	s_waitcnt vmcnt(6)
	v_cvt_pk_f32_fp8_sdwa v[70:71], v36 src0_sel:WORD_1
	v_cndmask_b32_e32 v40, v63, v66, vcc
	v_mfma_f32_16x16x16_f16 v[64:67], v[64:65], v[20:21], v[50:53]
	v_ashrrev_i32_e32 v41, 31, v40
	v_lshl_add_u64 v[40:41], v[40:41], 2, s[8:9]
	v_cvt_pkrtz_f16_f32 v46, v46, v47
	global_load_dword v53, v[34:35], off
	global_load_dword v63, v[40:41], off
	v_cvt_pk_f32_fp8_sdwa v[50:51], v48 src0_sel:WORD_1
	v_cvt_pk_f32_fp8_e32 v[34:35], v49
	v_cvt_pk_f32_fp8_sdwa v[48:49], v49 src0_sel:WORD_1
	s_add_u32 s46, s10, s12
	v_cvt_pkrtz_f16_f32 v47, v50, v51
	v_cvt_pkrtz_f16_f32 v34, v34, v35
	;; [unrolled: 1-line block ×3, first 2 shown]
	s_waitcnt lgkmcnt(0)
	v_mfma_f32_16x16x16_f16 v[46:49], v[46:47], v[14:15], v[64:67]
	v_cvt_pk_f32_fp8_e32 v[50:51], v36
	s_nop 1
	global_load_dword v64, v[68:69], off
	v_cvt_pk_f32_fp8_e32 v[66:67], v37
	s_waitcnt vmcnt(8)
	v_cvt_pk_f32_fp8_e32 v[68:69], v6
	v_cvt_pkrtz_f16_f32 v50, v50, v51
	v_cvt_pkrtz_f16_f32 v51, v70, v71
	v_cvt_pk_f32_fp8_sdwa v[70:71], v37 src0_sel:WORD_1
	v_cvt_pkrtz_f16_f32 v40, v66, v67
	v_mfma_f32_16x16x16_f16 v[34:37], v[34:35], v[16:17], v[46:49]
	v_cvt_pk_f32_fp8_sdwa v[66:67], v38 src0_sel:WORD_1
	v_cvt_pkrtz_f16_f32 v41, v70, v71
	v_cvt_pk_f32_fp8_sdwa v[70:71], v6 src0_sel:WORD_1
	v_mfma_f32_16x16x16_f16 v[46:49], v[50:51], v[30:31], 0
	v_cvt_pk_f32_fp8_e32 v[50:51], v38
	v_lshl_or_b32 v52, v57, 4, v56
	s_waitcnt vmcnt(6)
	v_cvt_pk_f32_fp8_e32 v[72:73], v43
	v_mfma_f32_16x16x16_f16 v[46:49], v[40:41], v[32:33], v[46:49]
	v_cvt_pk_f32_fp8_e32 v[40:41], v39
	v_cvt_pkrtz_f16_f32 v50, v50, v51
	v_cvt_pkrtz_f16_f32 v51, v66, v67
	v_cvt_pk_f32_fp8_sdwa v[38:39], v39 src0_sel:WORD_1
	v_cvt_pkrtz_f16_f32 v66, v40, v41
	s_addc_u32 s47, s11, 0
	v_lshlrev_b32_e32 v58, 4, v52
	v_cvt_pkrtz_f16_f32 v67, v38, v39
	v_mfma_f32_16x16x16_f16 v[38:41], v[50:51], v[22:23], v[46:49]
	v_cvt_pk_f32_fp8_sdwa v[50:51], v2 src0_sel:WORD_1
	s_nop 1
	v_cvt_pkrtz_f16_f32 v46, v68, v69
	v_cvt_pkrtz_f16_f32 v47, v70, v71
	v_cvt_pk_f32_fp8_e32 v[48:49], v7
	v_cvt_pk_f32_fp8_sdwa v[6:7], v7 src0_sel:WORD_1
	v_mfma_f32_16x16x16_f16 v[38:41], v[66:67], v[24:25], v[38:41]
	v_lshl_add_u64 v[70:71], s[46:47], 0, v[58:59]
	v_cvt_pkrtz_f16_f32 v48, v48, v49
	v_cvt_pkrtz_f16_f32 v49, v6, v7
	v_mfma_f32_16x16x16_f16 v[38:41], v[46:47], v[18:19], v[38:41]
	v_cvt_pk_f32_fp8_e32 v[6:7], v8
	v_cvt_pk_f32_fp8_sdwa v[46:47], v8 src0_sel:WORD_1
	v_or_b32_e32 v58, 0x400, v58
	v_mfma_f32_16x16x16_f16 v[38:41], v[48:49], v[20:21], v[38:41]
	v_cvt_pk_f32_fp8_e32 v[48:49], v9
	v_cvt_pkrtz_f16_f32 v6, v6, v7
	v_cvt_pkrtz_f16_f32 v7, v46, v47
	v_cvt_pk_f32_fp8_sdwa v[8:9], v9 src0_sel:WORD_1
	v_cvt_pkrtz_f16_f32 v46, v48, v49
	v_cvt_pk_f32_fp8_e32 v[48:49], v2
	v_cvt_pkrtz_f16_f32 v47, v8, v9
	v_mfma_f32_16x16x16_f16 v[6:9], v[6:7], v[14:15], v[38:41]
	v_cvt_pkrtz_f16_f32 v48, v48, v49
	v_cvt_pkrtz_f16_f32 v49, v50, v51
	v_cvt_pk_f32_fp8_e32 v[50:51], v3
	v_cvt_pk_f32_fp8_sdwa v[2:3], v3 src0_sel:WORD_1
	v_mfma_f32_16x16x16_f16 v[38:41], v[46:47], v[16:17], v[6:9]
	v_cvt_pkrtz_f16_f32 v46, v50, v51
	v_cvt_pkrtz_f16_f32 v47, v2, v3
	v_mfma_f32_16x16x16_f16 v[6:9], v[48:49], v[30:31], 0
	v_cvt_pk_f32_fp8_e32 v[2:3], v4
	v_cvt_pk_f32_fp8_sdwa v[48:49], v4 src0_sel:WORD_1
	s_waitcnt vmcnt(3)
	v_mad_i64_i32 v[50:51], s[4:5], v62, s45, v[70:71]
	v_cvt_pkrtz_f16_f32 v2, v2, v3
	v_cvt_pkrtz_f16_f32 v3, v48, v49
	v_mfma_f32_16x16x16_f16 v[6:9], v[46:47], v[32:33], v[6:9]
	v_cvt_pk_f32_fp8_e32 v[46:47], v5
	v_cvt_pk_f32_fp8_sdwa v[4:5], v5 src0_sel:WORD_1
	s_waitcnt vmcnt(2)
	v_mad_i64_i32 v[66:67], s[4:5], v53, s45, v[70:71]
	v_cvt_pkrtz_f16_f32 v46, v46, v47
	v_cvt_pkrtz_f16_f32 v47, v4, v5
	v_mfma_f32_16x16x16_f16 v[2:5], v[2:3], v[22:23], v[6:9]
	s_nop 2
	v_cvt_pk_f32_fp8_e32 v[6:7], v42
	v_cvt_pk_f32_fp8_sdwa v[8:9], v42 src0_sel:WORD_1
	v_cvt_pk_f32_fp8_sdwa v[42:43], v43 src0_sel:WORD_1
	v_mfma_f32_16x16x16_f16 v[46:49], v[46:47], v[24:25], v[2:5]
	v_cvt_pkrtz_f16_f32 v68, v6, v7
	v_cvt_pkrtz_f16_f32 v69, v8, v9
	global_load_dwordx4 v[6:9], v[50:51], off
	global_load_dwordx4 v[2:5], v[66:67], off
	v_cvt_pkrtz_f16_f32 v66, v72, v73
	v_cvt_pkrtz_f16_f32 v67, v42, v43
	v_mfma_f32_16x16x16_f16 v[48:51], v[68:69], v[18:19], v[46:49]
	v_cvt_pk_f32_fp8_e32 v[42:43], v44
	v_cvt_pk_f32_fp8_sdwa v[72:73], v44 src0_sel:WORD_1
	s_waitcnt vmcnt(2)
	v_mad_i64_i32 v[46:47], s[4:5], v64, s45, v[70:71]
	v_mfma_f32_16x16x16_f16 v[66:69], v[66:67], v[20:21], v[48:51]
	v_cvt_pkrtz_f16_f32 v42, v42, v43
	v_cvt_pkrtz_f16_f32 v43, v72, v73
	v_cvt_pk_f32_fp8_sdwa v[72:73], v26 src0_sel:WORD_1
	v_cvt_pk_f32_fp8_e32 v[50:51], v45
	v_cvt_pk_f32_fp8_sdwa v[44:45], v45 src0_sel:WORD_1
	v_mad_i64_i32 v[48:49], s[4:5], v63, s45, v[70:71]
	v_cvt_pkrtz_f16_f32 v50, v50, v51
	v_cvt_pkrtz_f16_f32 v51, v44, v45
	v_mfma_f32_16x16x16_f16 v[42:45], v[42:43], v[14:15], v[66:69]
	v_cvt_pk_f32_fp8_e32 v[70:71], v26
	s_load_dword s4, s[0:1], 0x1c
	s_load_dwordx4 s[40:43], s[0:1], 0x80
	s_load_dword s33, s[0:1], 0x98
	s_waitcnt lgkmcnt(0)
	s_load_dword s5, s[40:41], 0x0
	v_mfma_f32_16x16x16_f16 v[66:69], v[50:51], v[16:17], v[42:45]
	s_mov_b32 s40, 0xff7fffff
	s_nop 1
	v_cvt_pk_f32_fp8_e32 v[42:43], v27
	v_cvt_pkrtz_f16_f32 v44, v70, v71
	v_cvt_pkrtz_f16_f32 v45, v72, v73
	v_cvt_pk_f32_fp8_sdwa v[26:27], v27 src0_sel:WORD_1
	v_cvt_pkrtz_f16_f32 v50, v42, v43
	v_cvt_pk_f32_fp8_e32 v[70:71], v28
	v_cvt_pk_f32_fp8_sdwa v[72:73], v28 src0_sel:WORD_1
	v_cvt_pkrtz_f16_f32 v51, v26, v27
	v_mfma_f32_16x16x16_f16 v[42:45], v[44:45], v[30:31], 0
	v_cvt_pkrtz_f16_f32 v30, v70, v71
	v_cvt_pkrtz_f16_f32 v31, v72, v73
	v_cvt_pk_f32_fp8_e32 v[70:71], v29
	v_cvt_pk_f32_fp8_sdwa v[72:73], v29 src0_sel:WORD_1
	v_mfma_f32_16x16x16_f16 v[26:29], v[50:51], v[32:33], v[42:45]
	v_mov_b32_e32 v32, s4
	s_waitcnt lgkmcnt(0)
	v_mul_f32_e32 v50, s5, v32
	v_pk_mul_f32 v[32:33], v[50:51], v[34:35] op_sel_hi:[0,1]
	v_cvt_pkrtz_f16_f32 v42, v70, v71
	v_cvt_pkrtz_f16_f32 v43, v72, v73
	v_mfma_f32_16x16x16_f16 v[26:29], v[30:31], v[22:23], v[26:29]
	v_pk_mul_f32 v[30:31], v[50:51], v[36:37] op_sel_hi:[0,1]
	v_cvt_pk_f32_fp8_e32 v[22:23], v10
	v_cvt_pk_f32_fp8_sdwa v[70:71], v12 src0_sel:WORD_1
	v_mfma_f32_16x16x16_f16 v[34:37], v[42:43], v[24:25], v[26:29]
	v_cvt_pk_f32_fp8_sdwa v[24:25], v10 src0_sel:WORD_1
	v_cvt_pkrtz_f16_f32 v42, v22, v23
	v_pk_mul_f32 v[40:41], v[50:51], v[40:41] op_sel_hi:[0,1]
	v_cvt_pk_f32_fp8_e32 v[26:27], v11
	v_cvt_pk_f32_fp8_sdwa v[10:11], v11 src0_sel:WORD_1
	v_cvt_pkrtz_f16_f32 v43, v24, v25
	v_cvt_pkrtz_f16_f32 v44, v26, v27
	;; [unrolled: 1-line block ×3, first 2 shown]
	v_cvt_pk_f32_fp8_e32 v[10:11], v12
	v_mfma_f32_16x16x16_f16 v[34:37], v[42:43], v[18:19], v[34:37]
	global_load_dwordx4 v[26:29], v[46:47], off
	global_load_dwordx4 v[22:25], v[48:49], off
	v_cvt_pkrtz_f16_f32 v19, v70, v71
	v_cvt_pkrtz_f16_f32 v18, v10, v11
	v_cvt_pk_f32_fp8_e32 v[42:43], v13
	v_cvt_pk_f32_fp8_sdwa v[46:47], v13 src0_sel:WORD_1
	v_mfma_f32_16x16x16_f16 v[10:13], v[44:45], v[20:21], v[34:37]
	v_pk_mul_f32 v[44:45], v[50:51], v[38:39] op_sel_hi:[0,1]
	v_cvt_pkrtz_f16_f32 v20, v42, v43
	v_cvt_pkrtz_f16_f32 v21, v46, v47
	v_mfma_f32_16x16x16_f16 v[10:13], v[18:19], v[14:15], v[10:13]
	v_pk_mul_f32 v[38:39], v[50:51], v[68:69] op_sel_hi:[0,1]
	v_pk_mul_f32 v[42:43], v[50:51], v[66:67] op_sel_hi:[0,1]
	v_mfma_f32_16x16x16_f16 v[10:13], v[20:21], v[16:17], v[10:13]
	s_nop 6
	v_pk_mul_f32 v[36:37], v[50:51], v[10:11] op_sel_hi:[0,1]
	v_and_b32_e32 v10, 0xc0, v0
	v_add_u32_e32 v10, s18, v10
	v_lshl_or_b32 v10, v60, 2, v10
	v_or_b32_e32 v11, 1, v10
	v_pk_mul_f32 v[34:35], v[50:51], v[12:13] op_sel_hi:[0,1]
	v_subrev_u32_e32 v12, s7, v11
	v_add_u32_e32 v14, 1, v12
	v_add_u32_e32 v15, 2, v12
	v_cvt_f32_i32_e32 v13, v12
	v_cvt_f32_i32_e32 v14, v14
	;; [unrolled: 1-line block ×3, first 2 shown]
	v_add_u32_e32 v16, 3, v12
	v_fma_f32 v18, v61, v13, v32
	v_fmac_f32_e32 v33, v61, v14
	v_fma_f32 v48, v61, v15, v30
	v_add_u32_e32 v13, 16, v12
	v_add_u32_e32 v14, 17, v12
	;; [unrolled: 1-line block ×3, first 2 shown]
	v_cvt_f32_i32_e32 v16, v16
	v_cvt_f32_i32_e32 v13, v13
	v_cvt_f32_i32_e32 v14, v14
	v_cvt_f32_i32_e32 v15, v15
	v_fmac_f32_e32 v31, v61, v16
	v_add_u32_e32 v16, 19, v12
	v_fma_f32 v44, v61, v13, v44
	v_fmac_f32_e32 v45, v61, v14
	v_fma_f32 v40, v61, v15, v40
	v_add_u32_e32 v13, 32, v12
	v_add_u32_e32 v14, 33, v12
	v_add_u32_e32 v15, 34, v12
	v_cvt_f32_i32_e32 v16, v16
	v_cvt_f32_i32_e32 v13, v13
	;; [unrolled: 1-line block ×4, first 2 shown]
	v_fmac_f32_e32 v41, v61, v16
	v_add_u32_e32 v16, 35, v12
	v_fma_f32 v42, v61, v13, v42
	v_fmac_f32_e32 v43, v61, v14
	v_fma_f32 v38, v61, v15, v38
	v_add_u32_e32 v13, 48, v12
	v_add_u32_e32 v14, 49, v12
	;; [unrolled: 1-line block ×4, first 2 shown]
	v_cvt_f32_i32_e32 v12, v12
	v_cvt_f32_i32_e32 v13, v13
	;; [unrolled: 1-line block ×3, first 2 shown]
	v_cmp_gt_i32_e64 s[8:9], s7, v10
	v_fmac_f32_e32 v35, v61, v12
	v_mov_b32_e32 v12, 0xff7fffff
	v_cmp_gt_i32_e64 s[10:11], s7, v11
	v_fma_f32 v36, v61, v13, v36
	v_cndmask_b32_e64 v13, v12, v18, s[8:9]
	v_cndmask_b32_e64 v11, v12, v33, s[10:11]
	v_fmac_f32_e32 v37, v61, v14
	v_max3_f32 v11, v13, s40, v11
	v_or_b32_e32 v13, 2, v10
	v_or_b32_e32 v14, 3, v10
	v_cmp_gt_i32_e64 s[12:13], s7, v13
	v_cmp_gt_i32_e64 s[14:15], s7, v14
	v_cvt_f32_i32_e32 v16, v16
	v_cndmask_b32_e64 v13, v12, v48, s[12:13]
	v_cndmask_b32_e64 v14, v12, v31, s[14:15]
	v_max3_f32 v11, v11, v13, v14
	v_or_b32_e32 v13, 16, v10
	v_or_b32_e32 v14, 17, v10
	v_cmp_gt_i32_e64 s[16:17], s7, v13
	v_cmp_gt_i32_e64 s[18:19], s7, v14
	v_fmac_f32_e32 v39, v61, v16
	v_cndmask_b32_e64 v13, v12, v44, s[16:17]
	v_cndmask_b32_e64 v14, v12, v45, s[18:19]
	v_max3_f32 v11, v11, v13, v14
	v_or_b32_e32 v13, 18, v10
	v_or_b32_e32 v14, 19, v10
	v_cmp_gt_i32_e64 s[20:21], s7, v13
	v_cmp_gt_i32_e64 s[22:23], s7, v14
	v_cvt_f32_i32_e32 v15, v15
	v_cndmask_b32_e64 v13, v12, v40, s[20:21]
	v_cndmask_b32_e64 v14, v12, v41, s[22:23]
	v_max3_f32 v11, v11, v13, v14
	v_or_b32_e32 v13, 32, v10
	v_or_b32_e32 v14, 33, v10
	v_cmp_gt_i32_e64 s[24:25], s7, v13
	v_cmp_gt_i32_e64 s[26:27], s7, v14
	v_fma_f32 v34, v61, v15, v34
	v_cndmask_b32_e64 v13, v12, v42, s[24:25]
	v_cndmask_b32_e64 v14, v12, v43, s[26:27]
	v_max3_f32 v11, v11, v13, v14
	v_or_b32_e32 v13, 34, v10
	v_or_b32_e32 v14, 35, v10
	v_cmp_gt_i32_e64 s[28:29], s7, v13
	v_cmp_gt_i32_e64 s[30:31], s7, v14
	s_nop 0
	v_cndmask_b32_e64 v13, v12, v38, s[28:29]
	v_cndmask_b32_e64 v14, v12, v39, s[30:31]
	v_max3_f32 v11, v11, v13, v14
	v_or_b32_e32 v13, 48, v10
	v_or_b32_e32 v14, 49, v10
	v_cmp_gt_i32_e64 s[34:35], s7, v13
	v_cmp_gt_i32_e64 s[36:37], s7, v14
	s_nop 0
	v_cndmask_b32_e64 v13, v12, v36, s[34:35]
	v_cndmask_b32_e64 v14, v12, v37, s[36:37]
	v_max3_f32 v11, v11, v13, v14
	v_or_b32_e32 v13, 50, v10
	v_or_b32_e32 v10, 51, v10
	v_cmp_gt_i32_e32 vcc, s7, v13
	v_cmp_gt_i32_e64 s[4:5], s7, v10
	s_nop 0
	v_cndmask_b32_e32 v13, v12, v34, vcc
	v_cndmask_b32_e64 v10, v12, v35, s[4:5]
	v_max3_f32 v14, v11, v13, v10
	v_mbcnt_lo_u32_b32 v10, -1, 0
	v_mbcnt_hi_u32_b32 v15, -1, v10
	v_and_b32_e32 v10, 64, v15
	v_add_u32_e32 v16, 64, v10
	v_xor_b32_e32 v10, 32, v15
	v_cmp_lt_i32_e64 s[38:39], v10, v16
	s_nop 1
	v_cndmask_b32_e64 v10, v15, v10, s[38:39]
	v_lshlrev_b32_e32 v51, 2, v10
	ds_bpermute_b32 v17, v51, v14
	v_lshl_add_u64 v[10:11], s[46:47], 0, v[58:59]
	v_mad_i64_i32 v[12:13], s[38:39], v62, s45, v[10:11]
	s_waitcnt lgkmcnt(0)
	v_max_f32_e32 v17, v17, v17
	v_max_f32_e32 v19, v14, v17
	v_xor_b32_e32 v14, 16, v15
	v_cmp_lt_i32_e64 s[38:39], v14, v16
	s_nop 1
	v_cndmask_b32_e64 v14, v15, v14, s[38:39]
	v_lshlrev_b32_e32 v58, 2, v14
	ds_bpermute_b32 v20, v58, v19
	v_mad_i64_i32 v[14:15], s[38:39], v53, s45, v[10:11]
	v_mad_i64_i32 v[16:17], s[38:39], v64, s45, v[10:11]
	s_waitcnt lgkmcnt(0)
	v_max_f32_e32 v20, v20, v20
	v_max_f32_e32 v50, v19, v20
	v_sub_f32_e32 v18, v18, v50
	v_sub_f32_e32 v19, v33, v50
	v_mul_f32_e32 v18, 0x3fb8aa3b, v18
	v_mul_f32_e32 v19, 0x3fb8aa3b, v19
	v_exp_f32_e32 v18, v18
	v_exp_f32_e32 v19, v19
	v_sub_f32_e32 v49, v31, v50
	v_mad_i64_i32 v[10:11], s[38:39], v63, s45, v[10:11]
	v_cndmask_b32_e64 v46, 0, v18, s[8:9]
	v_cndmask_b32_e64 v47, 0, v19, s[10:11]
	global_load_dwordx4 v[30:33], v[12:13], off
	global_load_dwordx4 v[18:21], v[14:15], off
	v_sub_f32_e32 v12, v48, v50
	v_mul_f32_e32 v12, 0x3fb8aa3b, v12
	v_exp_f32_e32 v48, v12
	global_load_dwordx4 v[14:17], v[16:17], off
	s_nop 0
	global_load_dwordx4 v[10:13], v[10:11], off
	v_sub_f32_e32 v40, v40, v50
	v_sub_f32_e32 v42, v42, v50
	v_mul_f32_e32 v40, 0x3fb8aa3b, v40
	v_mul_f32_e32 v42, 0x3fb8aa3b, v42
	v_exp_f32_e32 v40, v40
	v_exp_f32_e32 v53, v42
	v_mul_f32_e32 v49, 0x3fb8aa3b, v49
	v_sub_f32_e32 v44, v44, v50
	v_exp_f32_e32 v49, v49
	v_mul_f32_e32 v44, 0x3fb8aa3b, v44
	v_sub_f32_e32 v45, v45, v50
	v_sub_f32_e32 v42, v43, v50
	v_exp_f32_e32 v44, v44
	v_mul_f32_e32 v45, 0x3fb8aa3b, v45
	v_mul_f32_e32 v42, 0x3fb8aa3b, v42
	v_exp_f32_e32 v45, v45
	v_sub_f32_e32 v41, v41, v50
	v_exp_f32_e32 v59, v42
	v_cndmask_b32_e64 v42, 0, v40, s[20:21]
	v_cndmask_b32_e64 v40, 0, v53, s[24:25]
	v_add_f32_e32 v53, 0, v46
	v_cndmask_b32_e64 v48, 0, v48, s[12:13]
	v_mul_f32_e32 v41, 0x3fb8aa3b, v41
	v_add_f32_e32 v53, v53, v47
	v_cndmask_b32_e64 v49, 0, v49, s[14:15]
	v_exp_f32_e32 v41, v41
	v_add_f32_e32 v53, v53, v48
	v_cndmask_b32_e64 v44, 0, v44, s[16:17]
	v_sub_f32_e32 v38, v38, v50
	v_add_f32_e32 v53, v53, v49
	v_cndmask_b32_e64 v45, 0, v45, s[18:19]
	v_sub_f32_e32 v39, v39, v50
	v_mul_f32_e32 v38, 0x3fb8aa3b, v38
	v_add_f32_e32 v53, v53, v44
	v_exp_f32_e32 v38, v38
	v_mul_f32_e32 v39, 0x3fb8aa3b, v39
	v_sub_f32_e32 v36, v36, v50
	v_add_f32_e32 v53, v53, v45
	v_cndmask_b32_e64 v43, 0, v41, s[22:23]
	v_exp_f32_e32 v39, v39
	v_mul_f32_e32 v36, 0x3fb8aa3b, v36
	v_sub_f32_e32 v37, v37, v50
	v_add_f32_e32 v53, v53, v42
	v_exp_f32_e32 v36, v36
	v_mul_f32_e32 v37, 0x3fb8aa3b, v37
	v_add_f32_e32 v53, v53, v43
	v_sub_f32_e32 v34, v34, v50
	v_cndmask_b32_e64 v41, 0, v59, s[26:27]
	v_exp_f32_e32 v37, v37
	v_add_f32_e32 v53, v53, v40
	v_mul_f32_e32 v34, 0x3fb8aa3b, v34
	v_sub_f32_e32 v35, v35, v50
	v_cndmask_b32_e64 v38, 0, v38, s[28:29]
	v_add_f32_e32 v53, v53, v41
	v_exp_f32_e32 v34, v34
	v_mul_f32_e32 v35, 0x3fb8aa3b, v35
	v_cndmask_b32_e64 v39, 0, v39, s[30:31]
	v_add_f32_e32 v53, v53, v38
	v_exp_f32_e32 v35, v35
	v_cndmask_b32_e64 v36, 0, v36, s[34:35]
	v_add_f32_e32 v53, v53, v39
	v_cndmask_b32_e64 v37, 0, v37, s[36:37]
	v_add_f32_e32 v53, v53, v36
	v_add_f32_e32 v53, v53, v37
	v_cndmask_b32_e32 v34, 0, v34, vcc
	v_add_f32_e32 v53, v53, v34
	v_cndmask_b32_e64 v35, 0, v35, s[4:5]
	v_add_f32_e32 v53, v53, v35
	ds_bpermute_b32 v51, v51, v53
	v_cmp_gt_u32_e32 vcc, 16, v55
	s_waitcnt lgkmcnt(0)
	s_barrier
	v_add_f32_e32 v51, v53, v51
	ds_bpermute_b32 v53, v58, v51
	s_and_saveexec_b64 s[4:5], vcc
	s_cbranch_execz .LBB938_15
; %bb.14:
	s_waitcnt lgkmcnt(0)
	v_add_f32_e32 v51, v51, v53
	v_lshlrev_b32_e32 v52, 2, v52
	ds_write2st64_b32 v52, v50, v51 offset1:1
.LBB938_15:
	s_or_b64 exec, exec, s[4:5]
	v_lshlrev_b32_e32 v51, 2, v56
	s_load_dword s7, s[0:1], 0x94
	s_waitcnt lgkmcnt(0)
	s_barrier
	ds_read2_b32 v[52:53], v51 offset1:16
	ds_read2_b32 v[58:59], v51 offset0:32 offset1:48
	ds_read2_b32 v[62:63], v51 offset0:64 offset1:80
	s_mul_i32 s8, s33, 11
	s_waitcnt lgkmcnt(2)
	v_max3_f32 v50, v52, s40, v53
	s_waitcnt lgkmcnt(1)
	v_max3_f32 v50, v50, v58, v59
	v_sub_f32_e32 v52, v52, v50
	v_mul_f32_e32 v52, 0x3fb8aa3b, v52
	v_exp_f32_e32 v55, v52
	v_sub_f32_e32 v52, v53, v50
	v_mul_f32_e32 v52, 0x3fb8aa3b, v52
	v_exp_f32_e32 v61, v52
	;; [unrolled: 3-line block ×3, first 2 shown]
	ds_read2_b32 v[52:53], v51 offset0:96 offset1:112
	v_sub_f32_e32 v51, v59, v50
	v_mul_f32_e32 v51, 0x3fb8aa3b, v51
	v_exp_f32_e32 v59, v51
	s_waitcnt lgkmcnt(1)
	v_fma_f32 v51, v55, v62, 0
	v_fmac_f32_e32 v51, v61, v63
	s_waitcnt lgkmcnt(0)
	v_fmac_f32_e32 v51, v58, v52
	v_fmac_f32_e32 v51, v59, v53
	v_add_f32_e32 v52, 0x358637bd, v51
	v_div_scale_f32 v53, s[4:5], v52, v52, 1.0
	v_rcp_f32_e32 v62, v53
	s_barrier
	v_fma_f32 v63, -v53, v62, 1.0
	v_fmac_f32_e32 v62, v63, v62
	v_div_scale_f32 v63, vcc, 1.0, v52, 1.0
	v_mul_f32_e32 v64, v63, v62
	v_fma_f32 v65, -v53, v64, v63
	v_fmac_f32_e32 v64, v65, v62
	v_fma_f32 v53, -v53, v64, v63
	v_div_fmas_f32 v53, v53, v62, v64
	v_cmp_eq_u32_e32 vcc, 1, v57
	v_div_fixup_f32 v52, v53, v52, 1.0
	s_nop 0
	v_cndmask_b32_e32 v53, v55, v61, vcc
	v_cmp_eq_u32_e32 vcc, 2, v57
	s_nop 1
	v_cndmask_b32_e32 v53, v53, v58, vcc
	v_cmp_eq_u32_e32 vcc, 3, v57
	s_nop 1
	v_cndmask_b32_e32 v53, v53, v59, vcc
	v_mul_f32_e32 v52, v53, v52
	v_pk_mul_f32 v[48:49], v[52:53], v[48:49] op_sel_hi:[0,1]
	v_pk_mul_f32 v[46:47], v[52:53], v[46:47] op_sel_hi:[0,1]
	v_cvt_f16_f32_e32 v53, v48
	v_cvt_f16_f32_e32 v49, v49
	;; [unrolled: 1-line block ×4, first 2 shown]
	v_pk_mul_f32 v[42:43], v[52:53], v[42:43] op_sel_hi:[0,1]
	v_pk_mul_f32 v[44:45], v[52:53], v[44:45] op_sel_hi:[0,1]
	v_pack_b32_f16 v49, v53, v49
	v_cvt_f16_f32_e32 v44, v44
	v_cvt_f16_f32_e32 v45, v45
	;; [unrolled: 1-line block ×4, first 2 shown]
	v_pack_b32_f16 v48, v46, v47
	v_lshlrev_b32_e32 v47, 3, v60
	v_lshlrev_b32_e32 v46, 5, v56
	v_lshlrev_b32_e32 v42, 11, v57
	v_or3_b32 v55, v42, v46, v47
	v_pack_b32_f16 v42, v44, v45
	v_pack_b32_f16 v43, v53, v43
	v_pk_mul_f32 v[38:39], v[52:53], v[38:39] op_sel_hi:[0,1]
	v_pk_mul_f32 v[40:41], v[52:53], v[40:41] op_sel_hi:[0,1]
	;; [unrolled: 1-line block ×4, first 2 shown]
	ds_write2st64_b64 v55, v[48:49], v[42:43] offset1:1
	v_cvt_f16_f32_e32 v40, v40
	v_cvt_f16_f32_e32 v41, v41
	;; [unrolled: 1-line block ×8, first 2 shown]
	v_pack_b32_f16 v34, v40, v41
	v_pack_b32_f16 v35, v38, v39
	;; [unrolled: 1-line block ×4, first 2 shown]
	v_cmp_gt_u32_e32 vcc, 11, v0
	ds_write2st64_b64 v55, v[34:35], v[36:37] offset0:2 offset1:3
	s_and_saveexec_b64 s[4:5], vcc
	s_cbranch_execz .LBB938_17
; %bb.16:
	s_mov_b32 s49, 0
	v_mov_b32_e32 v57, 0
	v_lshl_add_u64 v[34:35], s[48:49], 0, v[56:57]
	v_mov_b32_e32 v36, s8
	v_mad_u64_u32 v[34:35], s[10:11], s2, v36, v[34:35]
	s_mul_i32 s3, s3, s8
	v_mov_b32_e32 v36, s6
	v_mov_b32_e32 v37, v57
	s_load_dwordx4 s[12:15], s[0:1], 0x58
	v_add_u32_e32 v38, s3, v35
	v_mad_u64_u32 v[34:35], s[10:11], v34, s7, v[36:37]
	v_mov_b32_e32 v36, v35
	v_mad_u64_u32 v[36:37], s[10:11], v38, s7, v[36:37]
	v_mov_b32_e32 v35, v36
	v_lshlrev_b64 v[34:35], 2, v[34:35]
	s_waitcnt lgkmcnt(0)
	v_lshl_add_u64 v[36:37], s[14:15], 0, v[34:35]
	v_lshl_add_u64 v[34:35], s[12:13], 0, v[34:35]
	global_store_dword v[36:37], v50, off
	global_store_dword v[34:35], v51, off
.LBB938_17:
	s_or_b64 exec, exec, s[4:5]
	s_waitcnt vmcnt(7)
	v_cvt_pk_f32_fp8_e32 v[34:35], v6
	v_cvt_pk_f32_fp8_sdwa v[36:37], v6 src0_sel:WORD_1
	v_lshl_or_b32 v50, v60, 9, v46
	s_waitcnt lgkmcnt(0)
	s_barrier
	v_cvt_pk_f32_fp8_e32 v[38:39], v7
	v_cvt_pkrtz_f16_f32 v6, v34, v35
	v_cvt_pk_f32_fp8_sdwa v[40:41], v7 src0_sel:WORD_1
	v_cvt_pkrtz_f16_f32 v7, v36, v37
	ds_read_b128 v[34:37], v50
	v_cvt_pkrtz_f16_f32 v46, v38, v39
	v_cvt_pkrtz_f16_f32 v47, v40, v41
	ds_read_b128 v[38:41], v50 offset:16
	v_cvt_pk_f32_fp8_e32 v[48:49], v8
	v_cvt_pk_f32_fp8_sdwa v[52:53], v8 src0_sel:WORD_1
	s_waitcnt lgkmcnt(1)
	v_mfma_f32_16x16x16_f16 v[42:45], v[6:7], v[34:35], 0
	s_waitcnt vmcnt(6)
	v_cvt_pk_f32_fp8_e32 v[58:59], v4
	v_cvt_pkrtz_f16_f32 v6, v48, v49
	v_cvt_pkrtz_f16_f32 v7, v52, v53
	v_cvt_pk_f32_fp8_e32 v[48:49], v9
	v_mfma_f32_16x16x16_f16 v[42:45], v[46:47], v[36:37], v[42:45]
	v_cvt_pk_f32_fp8_sdwa v[46:47], v9 src0_sel:WORD_1
	v_cvt_pk_f32_fp8_sdwa v[62:63], v4 src0_sel:WORD_1
	v_cvt_pkrtz_f16_f32 v48, v48, v49
	s_waitcnt lgkmcnt(0)
	v_mfma_f32_16x16x16_f16 v[6:9], v[6:7], v[38:39], v[42:45]
	v_cvt_pkrtz_f16_f32 v49, v46, v47
	s_waitcnt vmcnt(5)
	v_cvt_pk_f32_fp8_sdwa v[66:67], v28 src0_sel:WORD_1
	s_waitcnt vmcnt(4)
	v_cvt_pk_f32_fp8_sdwa v[68:69], v24 src0_sel:WORD_1
	v_cvt_pk_f32_fp8_e32 v[42:43], v2
	v_mfma_f32_16x16x16_f16 v[46:49], v[48:49], v[40:41], v[6:9]
	s_waitcnt vmcnt(3)
	v_cvt_pk_f32_fp8_sdwa v[70:71], v32 src0_sel:WORD_1
	s_load_dword s4, s[42:43], 0x0
	v_cvt_pk_f32_fp8_sdwa v[6:7], v2 src0_sel:WORD_1
	v_cvt_pk_f32_fp8_e32 v[8:9], v3
	v_cvt_pkrtz_f16_f32 v2, v42, v43
	v_cvt_pk_f32_fp8_sdwa v[42:43], v3 src0_sel:WORD_1
	v_cvt_pkrtz_f16_f32 v3, v6, v7
	v_cvt_pkrtz_f16_f32 v52, v8, v9
	ds_read_b128 v[6:9], v50 offset:2048
	v_cvt_pkrtz_f16_f32 v53, v42, v43
	ds_read_b128 v[42:45], v50 offset:2064
	s_waitcnt lgkmcnt(0)
	v_mfma_f32_16x16x16_f16 v[46:49], v[2:3], v[6:7], v[46:49]
	v_cvt_pkrtz_f16_f32 v2, v58, v59
	v_cvt_pkrtz_f16_f32 v3, v62, v63
	v_cvt_pk_f32_fp8_e32 v[58:59], v5
	v_mfma_f32_16x16x16_f16 v[46:49], v[52:53], v[8:9], v[46:49]
	v_cvt_pk_f32_fp8_sdwa v[52:53], v5 src0_sel:WORD_1
	s_mov_b32 s3, 0
	v_cvt_pkrtz_f16_f32 v58, v58, v59
	v_mfma_f32_16x16x16_f16 v[2:5], v[2:3], v[42:43], v[46:49]
	v_cvt_pkrtz_f16_f32 v59, v52, v53
	v_cmp_gt_u32_e32 vcc, 64, v0
	s_nop 0
	v_cvt_pk_f32_fp8_e32 v[46:47], v26
	v_mfma_f32_16x16x16_f16 v[62:65], v[58:59], v[44:45], v[2:5]
	v_cvt_pk_f32_fp8_e32 v[58:59], v28
	s_nop 1
	v_cvt_pk_f32_fp8_sdwa v[2:3], v26 src0_sel:WORD_1
	v_cvt_pk_f32_fp8_e32 v[4:5], v27
	v_cvt_pkrtz_f16_f32 v26, v46, v47
	v_cvt_pk_f32_fp8_sdwa v[46:47], v27 src0_sel:WORD_1
	v_cvt_pkrtz_f16_f32 v27, v2, v3
	v_cvt_pkrtz_f16_f32 v52, v4, v5
	ds_read_b128 v[2:5], v50 offset:4096
	v_cvt_pkrtz_f16_f32 v53, v46, v47
	ds_read_b128 v[46:49], v50 offset:4112
	s_waitcnt lgkmcnt(1)
	v_mfma_f32_16x16x16_f16 v[62:65], v[26:27], v[2:3], v[62:65]
	v_cvt_pkrtz_f16_f32 v26, v58, v59
	v_cvt_pkrtz_f16_f32 v27, v66, v67
	v_cvt_pk_f32_fp8_e32 v[58:59], v29
	v_mfma_f32_16x16x16_f16 v[62:65], v[52:53], v[4:5], v[62:65]
	v_cvt_pk_f32_fp8_sdwa v[52:53], v29 src0_sel:WORD_1
	v_cvt_pk_f32_fp8_e32 v[66:67], v24
	v_cvt_pkrtz_f16_f32 v58, v58, v59
	s_waitcnt lgkmcnt(0)
	v_mfma_f32_16x16x16_f16 v[26:29], v[26:27], v[46:47], v[62:65]
	v_cvt_pkrtz_f16_f32 v59, v52, v53
	v_cvt_pk_f32_fp8_e32 v[52:53], v22
	s_nop 0
	v_mfma_f32_16x16x16_f16 v[62:65], v[58:59], v[48:49], v[26:29]
	s_nop 2
	v_cvt_pk_f32_fp8_sdwa v[26:27], v22 src0_sel:WORD_1
	v_cvt_pk_f32_fp8_e32 v[28:29], v23
	v_cvt_pkrtz_f16_f32 v22, v52, v53
	v_cvt_pk_f32_fp8_sdwa v[52:53], v23 src0_sel:WORD_1
	v_cvt_pkrtz_f16_f32 v23, v26, v27
	v_cvt_pkrtz_f16_f32 v58, v28, v29
	ds_read_b128 v[26:29], v50 offset:6144
	v_cvt_pkrtz_f16_f32 v59, v52, v53
	s_waitcnt lgkmcnt(0)
	v_mfma_f32_16x16x16_f16 v[62:65], v[22:23], v[26:27], v[62:65]
	ds_read_b128 v[50:53], v50 offset:6160
	v_cvt_pkrtz_f16_f32 v22, v66, v67
	v_cvt_pkrtz_f16_f32 v23, v68, v69
	v_cvt_pk_f32_fp8_e32 v[66:67], v25
	v_mfma_f32_16x16x16_f16 v[62:65], v[58:59], v[28:29], v[62:65]
	v_cvt_pk_f32_fp8_sdwa v[58:59], v25 src0_sel:WORD_1
	v_cvt_pk_f32_fp8_e32 v[68:69], v32
	v_cvt_pkrtz_f16_f32 v66, v66, v67
	s_waitcnt lgkmcnt(0)
	v_mfma_f32_16x16x16_f16 v[22:25], v[22:23], v[50:51], v[62:65]
	v_cvt_pkrtz_f16_f32 v67, v58, v59
	v_cvt_pk_f32_fp8_e32 v[58:59], v30
	s_nop 0
	v_cvt_pk_f32_fp8_sdwa v[62:63], v30 src0_sel:WORD_1
	v_cvt_pk_f32_fp8_e32 v[64:65], v31
	v_cvt_pkrtz_f16_f32 v58, v58, v59
	v_cvt_pk_f32_fp8_sdwa v[30:31], v31 src0_sel:WORD_1
	v_cvt_pkrtz_f16_f32 v59, v62, v63
	v_mfma_f32_16x16x16_f16 v[22:25], v[66:67], v[52:53], v[22:25]
	v_cvt_pkrtz_f16_f32 v66, v64, v65
	v_cvt_pkrtz_f16_f32 v67, v30, v31
	;; [unrolled: 1-line block ×3, first 2 shown]
	v_mfma_f32_16x16x16_f16 v[62:65], v[58:59], v[34:35], 0
	v_cvt_pkrtz_f16_f32 v31, v70, v71
	v_cvt_pk_f32_fp8_e32 v[58:59], v33
	s_barrier
	v_mfma_f32_16x16x16_f16 v[34:37], v[66:67], v[36:37], v[62:65]
	v_cvt_pkrtz_f16_f32 v58, v58, v59
	s_nop 1
	v_cvt_pk_f32_fp8_sdwa v[62:63], v33 src0_sel:WORD_1
	v_mfma_f32_16x16x16_f16 v[30:33], v[30:31], v[38:39], v[34:37]
	s_waitcnt vmcnt(2)
	v_cvt_pk_f32_fp8_e32 v[38:39], v19
	v_cvt_pkrtz_f16_f32 v59, v62, v63
	v_cvt_pk_f32_fp8_e32 v[34:35], v18
	v_cvt_pk_f32_fp8_sdwa v[36:37], v18 src0_sel:WORD_1
	v_cvt_pk_f32_fp8_sdwa v[18:19], v19 src0_sel:WORD_1
	v_mfma_f32_16x16x16_f16 v[30:33], v[58:59], v[40:41], v[30:33]
	v_cvt_pkrtz_f16_f32 v34, v34, v35
	v_cvt_pkrtz_f16_f32 v35, v36, v37
	;; [unrolled: 1-line block ×3, first 2 shown]
	v_cvt_pk_f32_fp8_e32 v[38:39], v20
	v_cvt_pk_f32_fp8_sdwa v[40:41], v20 src0_sel:WORD_1
	v_cvt_pkrtz_f16_f32 v37, v18, v19
	v_mfma_f32_16x16x16_f16 v[30:33], v[34:35], v[6:7], v[30:33]
	v_cvt_pkrtz_f16_f32 v18, v38, v39
	v_cvt_pkrtz_f16_f32 v19, v40, v41
	v_cvt_pk_f32_fp8_e32 v[34:35], v21
	v_cvt_pk_f32_fp8_sdwa v[20:21], v21 src0_sel:WORD_1
	v_mfma_f32_16x16x16_f16 v[6:9], v[36:37], v[8:9], v[30:33]
	s_nop 2
	v_cvt_pkrtz_f16_f32 v30, v34, v35
	v_cvt_pkrtz_f16_f32 v31, v20, v21
	v_mfma_f32_16x16x16_f16 v[6:9], v[18:19], v[42:43], v[6:9]
	s_waitcnt vmcnt(1)
	v_cvt_pk_f32_fp8_e32 v[18:19], v14
	v_cvt_pk_f32_fp8_sdwa v[20:21], v14 src0_sel:WORD_1
	v_cvt_pk_f32_fp8_sdwa v[32:33], v16 src0_sel:WORD_1
	v_mfma_f32_16x16x16_f16 v[6:9], v[30:31], v[44:45], v[6:9]
	v_cvt_pk_f32_fp8_e32 v[30:31], v15
	v_cvt_pkrtz_f16_f32 v18, v18, v19
	v_cvt_pkrtz_f16_f32 v19, v20, v21
	v_cvt_pk_f32_fp8_sdwa v[14:15], v15 src0_sel:WORD_1
	v_cvt_pkrtz_f16_f32 v20, v30, v31
	v_cvt_pk_f32_fp8_e32 v[30:31], v16
	v_mfma_f32_16x16x16_f16 v[6:9], v[18:19], v[2:3], v[6:9]
	v_cvt_pkrtz_f16_f32 v21, v14, v15
	v_cvt_pkrtz_f16_f32 v14, v30, v31
	;; [unrolled: 1-line block ×3, first 2 shown]
	v_cvt_pk_f32_fp8_e32 v[18:19], v17
	v_cvt_pk_f32_fp8_sdwa v[16:17], v17 src0_sel:WORD_1
	v_mfma_f32_16x16x16_f16 v[2:5], v[20:21], v[4:5], v[6:9]
	s_waitcnt vmcnt(0)
	v_cvt_pk_f32_fp8_sdwa v[20:21], v12 src0_sel:WORD_1
	s_nop 0
	v_cvt_pkrtz_f16_f32 v8, v18, v19
	v_cvt_pkrtz_f16_f32 v9, v16, v17
	v_mfma_f32_16x16x16_f16 v[2:5], v[14:15], v[46:47], v[2:5]
	v_cvt_pk_f32_fp8_e32 v[16:17], v10
	v_cvt_pk_f32_fp8_sdwa v[18:19], v10 src0_sel:WORD_1
	v_pk_mul_f32 v[6:7], v[24:25], s[4:5] op_sel_hi:[1,0]
	v_mfma_f32_16x16x16_f16 v[2:5], v[8:9], v[48:49], v[2:5]
	v_cvt_pk_f32_fp8_e32 v[8:9], v11
	v_cvt_pkrtz_f16_f32 v16, v16, v17
	v_cvt_pkrtz_f16_f32 v17, v18, v19
	v_cvt_pk_f32_fp8_sdwa v[10:11], v11 src0_sel:WORD_1
	v_cvt_pkrtz_f16_f32 v8, v8, v9
	v_cvt_pk_f32_fp8_e32 v[18:19], v12
	v_mfma_f32_16x16x16_f16 v[2:5], v[16:17], v[26:27], v[2:5]
	v_cvt_pkrtz_f16_f32 v9, v10, v11
	v_cvt_pkrtz_f16_f32 v10, v18, v19
	;; [unrolled: 1-line block ×3, first 2 shown]
	v_cvt_pk_f32_fp8_e32 v[16:17], v13
	v_cvt_pk_f32_fp8_sdwa v[12:13], v13 src0_sel:WORD_1
	v_mfma_f32_16x16x16_f16 v[2:5], v[8:9], v[28:29], v[2:5]
	v_pk_mul_f32 v[14:15], v[22:23], s[4:5] op_sel_hi:[1,0]
	v_cvt_pkrtz_f16_f32 v8, v16, v17
	v_cvt_pkrtz_f16_f32 v9, v12, v13
	v_mfma_f32_16x16x16_f16 v[2:5], v[10:11], v[50:51], v[2:5]
	v_cvt_f16_f32_e32 v14, v14
	v_cvt_f16_f32_e32 v10, v15
	;; [unrolled: 1-line block ×3, first 2 shown]
	v_mfma_f32_16x16x16_f16 v[2:5], v[8:9], v[52:53], v[2:5]
	v_cvt_f16_f32_e32 v7, v7
	s_nop 5
	v_pk_mul_f32 v[4:5], v[4:5], s[4:5] op_sel_hi:[1,0]
	v_pk_mul_f32 v[2:3], v[2:3], s[4:5] op_sel_hi:[1,0]
	v_cvt_f16_f32_e32 v11, v4
	v_cvt_f16_f32_e32 v8, v2
	;; [unrolled: 1-line block ×4, first 2 shown]
	v_pack_b32_f16 v2, v14, v10
	v_pack_b32_f16 v3, v6, v7
	;; [unrolled: 1-line block ×4, first 2 shown]
	ds_write2st64_b64 v55, v[2:3], v[4:5] offset1:1
	s_waitcnt lgkmcnt(0)
	s_barrier
	s_and_saveexec_b64 s[4:5], vcc
	s_cbranch_execz .LBB938_20
; %bb.18:
	s_load_dwordx2 s[4:5], s[0:1], 0x68
	s_lshl_b32 s0, s7, 7
	s_mul_i32 s1, s8, s2
	v_lshlrev_b32_e32 v3, 6, v56
	s_mul_hi_u32 s9, s1, s0
	s_mul_i32 s8, s1, s0
	v_lshl_or_b32 v0, v0, 10, v3
	s_lshl_b64 s[8:9], s[8:9], 1
	v_lshlrev_b32_e32 v2, 5, v60
	v_and_b32_e32 v1, 16, v1
	v_and_b32_e32 v0, 0x1a00, v0
	s_waitcnt lgkmcnt(0)
	s_add_u32 s1, s4, s8
	v_or3_b32 v2, v0, v2, v1
	s_addc_u32 s4, s5, s9
	s_lshl_b32 s2, s6, 7
	s_lshl_b64 s[2:3], s[2:3], 1
	ds_read_b128 v[4:7], v2 offset:128
	ds_read_b128 v[8:11], v2
	s_add_u32 s2, s1, s2
	s_addc_u32 s3, s4, s3
	v_mov_b32_e32 v55, 0
	v_add_u32_e32 v3, s48, v60
	v_lshl_add_u64 v[0:1], s[2:3], 0, v[54:55]
	v_mad_u64_u32 v[12:13], s[2:3], v3, s0, 0
	v_lshl_add_u64 v[12:13], v[12:13], 1, v[0:1]
	v_add_u32_e32 v3, 4, v3
	s_waitcnt lgkmcnt(0)
	global_store_dwordx4 v[12:13], v[8:11], off
	v_cmp_ne_u32_e32 vcc, 3, v60
	s_nop 0
	v_mad_u64_u32 v[8:9], s[2:3], v3, s0, 0
	v_lshl_add_u64 v[8:9], v[8:9], 1, v[0:1]
	global_store_dwordx4 v[8:9], v[4:7], off
	s_and_b64 exec, exec, vcc
	s_cbranch_execz .LBB938_20
; %bb.19:
	ds_read_b128 v[2:5], v2 offset:256
	v_add3_u32 v6, s48, v60, 8
	v_mad_u64_u32 v[6:7], s[0:1], v6, s0, 0
	v_lshl_add_u64 v[0:1], v[6:7], 1, v[0:1]
	s_waitcnt lgkmcnt(0)
	global_store_dwordx4 v[0:1], v[2:5], off
.LBB938_20:
	s_endpgm
	.section	.rodata,"a",@progbits
	.p2align	6, 0x0
	.amdhsa_kernel _Z39paged_attention_ll4mi_QKV_mfma16_kernelIDF16_hLN4vllm18Fp8KVCacheDataTypeE1EhLi16ELi128ELi256ELb1ELi11EEvPKT_PKT0_S7_ifPKiS9_S9_iPKfiiiPfSC_PS2_PT2_iSB_SB_
		.amdhsa_group_segment_fixed_size 8192
		.amdhsa_private_segment_fixed_size 0
		.amdhsa_kernarg_size 400
		.amdhsa_user_sgpr_count 2
		.amdhsa_user_sgpr_dispatch_ptr 0
		.amdhsa_user_sgpr_queue_ptr 0
		.amdhsa_user_sgpr_kernarg_segment_ptr 1
		.amdhsa_user_sgpr_dispatch_id 0
		.amdhsa_user_sgpr_kernarg_preload_length 0
		.amdhsa_user_sgpr_kernarg_preload_offset 0
		.amdhsa_user_sgpr_private_segment_size 0
		.amdhsa_uses_dynamic_stack 0
		.amdhsa_enable_private_segment 0
		.amdhsa_system_sgpr_workgroup_id_x 1
		.amdhsa_system_sgpr_workgroup_id_y 1
		.amdhsa_system_sgpr_workgroup_id_z 1
		.amdhsa_system_sgpr_workgroup_info 0
		.amdhsa_system_vgpr_workitem_id 0
		.amdhsa_next_free_vgpr 76
		.amdhsa_next_free_sgpr 50
		.amdhsa_accum_offset 76
		.amdhsa_reserve_vcc 1
		.amdhsa_float_round_mode_32 0
		.amdhsa_float_round_mode_16_64 0
		.amdhsa_float_denorm_mode_32 3
		.amdhsa_float_denorm_mode_16_64 3
		.amdhsa_dx10_clamp 1
		.amdhsa_ieee_mode 1
		.amdhsa_fp16_overflow 0
		.amdhsa_tg_split 0
		.amdhsa_exception_fp_ieee_invalid_op 0
		.amdhsa_exception_fp_denorm_src 0
		.amdhsa_exception_fp_ieee_div_zero 0
		.amdhsa_exception_fp_ieee_overflow 0
		.amdhsa_exception_fp_ieee_underflow 0
		.amdhsa_exception_fp_ieee_inexact 0
		.amdhsa_exception_int_div_zero 0
	.end_amdhsa_kernel
	.section	.text._Z39paged_attention_ll4mi_QKV_mfma16_kernelIDF16_hLN4vllm18Fp8KVCacheDataTypeE1EhLi16ELi128ELi256ELb1ELi11EEvPKT_PKT0_S7_ifPKiS9_S9_iPKfiiiPfSC_PS2_PT2_iSB_SB_,"axG",@progbits,_Z39paged_attention_ll4mi_QKV_mfma16_kernelIDF16_hLN4vllm18Fp8KVCacheDataTypeE1EhLi16ELi128ELi256ELb1ELi11EEvPKT_PKT0_S7_ifPKiS9_S9_iPKfiiiPfSC_PS2_PT2_iSB_SB_,comdat
.Lfunc_end938:
	.size	_Z39paged_attention_ll4mi_QKV_mfma16_kernelIDF16_hLN4vllm18Fp8KVCacheDataTypeE1EhLi16ELi128ELi256ELb1ELi11EEvPKT_PKT0_S7_ifPKiS9_S9_iPKfiiiPfSC_PS2_PT2_iSB_SB_, .Lfunc_end938-_Z39paged_attention_ll4mi_QKV_mfma16_kernelIDF16_hLN4vllm18Fp8KVCacheDataTypeE1EhLi16ELi128ELi256ELb1ELi11EEvPKT_PKT0_S7_ifPKiS9_S9_iPKfiiiPfSC_PS2_PT2_iSB_SB_
                                        ; -- End function
	.section	.AMDGPU.csdata,"",@progbits
; Kernel info:
; codeLenInByte = 6308
; NumSgprs: 56
; NumVgprs: 76
; NumAgprs: 0
; TotalNumVgprs: 76
; ScratchSize: 0
; MemoryBound: 0
; FloatMode: 240
; IeeeMode: 1
; LDSByteSize: 8192 bytes/workgroup (compile time only)
; SGPRBlocks: 6
; VGPRBlocks: 9
; NumSGPRsForWavesPerEU: 56
; NumVGPRsForWavesPerEU: 76
; AccumOffset: 76
; Occupancy: 6
; WaveLimiterHint : 1
; COMPUTE_PGM_RSRC2:SCRATCH_EN: 0
; COMPUTE_PGM_RSRC2:USER_SGPR: 2
; COMPUTE_PGM_RSRC2:TRAP_HANDLER: 0
; COMPUTE_PGM_RSRC2:TGID_X_EN: 1
; COMPUTE_PGM_RSRC2:TGID_Y_EN: 1
; COMPUTE_PGM_RSRC2:TGID_Z_EN: 1
; COMPUTE_PGM_RSRC2:TIDIG_COMP_CNT: 0
; COMPUTE_PGM_RSRC3_GFX90A:ACCUM_OFFSET: 18
; COMPUTE_PGM_RSRC3_GFX90A:TG_SPLIT: 0
	.section	.text._Z39paged_attention_ll4mi_QKV_mfma16_kernelIDF16_hLN4vllm18Fp8KVCacheDataTypeE1EhLi16ELi128ELi256ELb1ELi12EEvPKT_PKT0_S7_ifPKiS9_S9_iPKfiiiPfSC_PS2_PT2_iSB_SB_,"axG",@progbits,_Z39paged_attention_ll4mi_QKV_mfma16_kernelIDF16_hLN4vllm18Fp8KVCacheDataTypeE1EhLi16ELi128ELi256ELb1ELi12EEvPKT_PKT0_S7_ifPKiS9_S9_iPKfiiiPfSC_PS2_PT2_iSB_SB_,comdat
	.protected	_Z39paged_attention_ll4mi_QKV_mfma16_kernelIDF16_hLN4vllm18Fp8KVCacheDataTypeE1EhLi16ELi128ELi256ELb1ELi12EEvPKT_PKT0_S7_ifPKiS9_S9_iPKfiiiPfSC_PS2_PT2_iSB_SB_ ; -- Begin function _Z39paged_attention_ll4mi_QKV_mfma16_kernelIDF16_hLN4vllm18Fp8KVCacheDataTypeE1EhLi16ELi128ELi256ELb1ELi12EEvPKT_PKT0_S7_ifPKiS9_S9_iPKfiiiPfSC_PS2_PT2_iSB_SB_
	.globl	_Z39paged_attention_ll4mi_QKV_mfma16_kernelIDF16_hLN4vllm18Fp8KVCacheDataTypeE1EhLi16ELi128ELi256ELb1ELi12EEvPKT_PKT0_S7_ifPKiS9_S9_iPKfiiiPfSC_PS2_PT2_iSB_SB_
	.p2align	8
	.type	_Z39paged_attention_ll4mi_QKV_mfma16_kernelIDF16_hLN4vllm18Fp8KVCacheDataTypeE1EhLi16ELi128ELi256ELb1ELi12EEvPKT_PKT0_S7_ifPKiS9_S9_iPKfiiiPfSC_PS2_PT2_iSB_SB_,@function
_Z39paged_attention_ll4mi_QKV_mfma16_kernelIDF16_hLN4vllm18Fp8KVCacheDataTypeE1EhLi16ELi128ELi256ELb1ELi12EEvPKT_PKT0_S7_ifPKiS9_S9_iPKfiiiPfSC_PS2_PT2_iSB_SB_: ; @_Z39paged_attention_ll4mi_QKV_mfma16_kernelIDF16_hLN4vllm18Fp8KVCacheDataTypeE1EhLi16ELi128ELi256ELb1ELi12EEvPKT_PKT0_S7_ifPKiS9_S9_iPKfiiiPfSC_PS2_PT2_iSB_SB_
; %bb.0:
	s_load_dwordx2 s[10:11], s[0:1], 0x30
	s_mov_b32 s6, s3
	s_mov_b64 s[8:9], 0
	s_waitcnt lgkmcnt(0)
	s_cmp_lg_u64 s[10:11], 0
	s_cselect_b64 s[12:13], -1, 0
	s_and_b64 vcc, exec, s[12:13]
	s_cbranch_vccz .LBB939_7
; %bb.1:
	s_add_i32 s14, s2, 1
	s_mov_b32 s15, 0
	s_lshl_b64 s[16:17], s[14:15], 2
	s_add_u32 s16, s10, s16
	s_mov_b32 s3, s15
	s_addc_u32 s17, s11, s17
	s_lshl_b64 s[14:15], s[2:3], 2
	s_add_u32 s14, s10, s14
	s_addc_u32 s15, s11, s15
	s_load_dword s5, s[16:17], 0x0
	s_load_dword s7, s[14:15], 0x0
	s_waitcnt lgkmcnt(0)
	s_sub_i32 s5, s5, s7
	s_cmp_eq_u32 s5, 1
	s_cselect_b64 s[14:15], -1, 0
	s_andn2_b64 vcc, exec, s[8:9]
	s_cbranch_vccnz .LBB939_3
.LBB939_2:
	s_mov_b32 s3, 0
	s_mov_b64 s[14:15], -1
.LBB939_3:
	s_andn2_b64 vcc, exec, s[14:15]
	s_cbranch_vccnz .LBB939_19
; %bb.4:
	s_load_dwordx2 s[8:9], s[0:1], 0x28
	s_lshl_b64 s[14:15], s[2:3], 2
	s_waitcnt lgkmcnt(0)
	s_add_u32 s8, s8, s14
	s_addc_u32 s9, s9, s15
	s_load_dword s7, s[8:9], 0x0
	s_lshl_b32 s18, s6, 8
	s_waitcnt lgkmcnt(0)
	s_cmp_ge_i32 s18, s7
	s_cbranch_scc1 .LBB939_19
; %bb.5:
	s_load_dwordx2 s[8:9], s[0:1], 0x20
	s_load_dword s5, s[0:1], 0x38
	s_add_i32 s16, s7, 15
	s_ashr_i32 s17, s16, 31
	v_and_b32_e32 v1, 0xcf, v0
	s_lshr_b32 s17, s17, 28
	v_add_u32_e32 v1, s18, v1
	s_add_i32 s16, s16, s17
	v_ashrrev_i32_e32 v2, 31, v1
	s_ashr_i32 s19, s16, 4
	v_lshrrev_b32_e32 v4, 28, v2
	s_add_i32 s19, s19, -1
	s_waitcnt lgkmcnt(0)
	s_mul_i32 s16, s2, s5
	s_mov_b32 s17, 0
	v_add_u32_e32 v2, v1, v4
	s_lshl_b64 s[16:17], s[16:17], 2
	v_ashrrev_i32_e32 v2, 4, v2
	v_mov_b32_e32 v5, s19
	v_cmp_gt_i32_e32 vcc, s7, v1
	s_add_u32 s8, s8, s16
	s_addc_u32 s9, s9, s17
	v_cndmask_b32_e32 v2, v5, v2, vcc
	v_ashrrev_i32_e32 v3, 31, v2
	v_lshl_add_u64 v[6:7], v[2:3], 2, s[8:9]
	v_or_b32_e32 v2, 16, v1
	v_add_u32_e32 v3, v2, v4
	v_ashrrev_i32_e32 v3, 4, v3
	v_cmp_gt_i32_e32 vcc, s7, v2
	s_load_dwordx2 s[16:17], s[0:1], 0x8
	s_nop 0
	v_cndmask_b32_e32 v2, v5, v3, vcc
	v_ashrrev_i32_e32 v3, 31, v2
	v_lshl_add_u64 v[8:9], v[2:3], 2, s[8:9]
	v_or_b32_e32 v2, 32, v1
	v_add_u32_e32 v3, v2, v4
	v_ashrrev_i32_e32 v3, 4, v3
	v_cmp_gt_i32_e32 vcc, s7, v2
	v_or_b32_e32 v1, 48, v1
	s_nop 0
	v_cndmask_b32_e32 v2, v5, v3, vcc
	v_ashrrev_i32_e32 v3, 31, v2
	v_lshl_add_u64 v[12:13], v[2:3], 2, s[8:9]
	v_add_u32_e32 v2, v1, v4
	v_ashrrev_i32_e32 v2, 4, v2
	v_cmp_gt_i32_e32 vcc, s7, v1
	s_nop 1
	v_cndmask_b32_e32 v2, v5, v2, vcc
	v_ashrrev_i32_e32 v3, 31, v2
	v_lshl_add_u64 v[14:15], v[2:3], 2, s[8:9]
	global_load_dword v4, v[6:7], off
	global_load_dword v3, v[8:9], off
	;; [unrolled: 1-line block ×4, first 2 shown]
	s_andn2_b64 vcc, exec, s[12:13]
	s_cbranch_vccnz .LBB939_8
; %bb.6:
	s_add_u32 s10, s10, s14
	s_addc_u32 s11, s11, s15
	s_load_dword s5, s[10:11], 0x0
	s_branch .LBB939_9
.LBB939_7:
	s_mov_b64 s[14:15], 0
	s_branch .LBB939_2
.LBB939_8:
	s_mov_b32 s5, s2
.LBB939_9:
	s_load_dwordx2 s[10:11], s[0:1], 0x10
	s_load_dwordx4 s[44:47], s[0:1], 0x48
	v_and_b32_e32 v56, 15, v0
	v_lshlrev_b32_e32 v5, 3, v56
	s_movk_i32 s12, 0xc0
	v_lshrrev_b32_e32 v57, 6, v0
	v_bfe_u32 v1, v0, 4, 2
	s_mul_i32 s48, s4, 12
	v_cmp_gt_u32_e32 vcc, s12, v0
	v_lshlrev_b32_e32 v54, 1, v5
	v_lshlrev_b32_e32 v60, 4, v0
	s_and_saveexec_b64 s[12:13], vcc
	s_cbranch_execz .LBB939_11
; %bb.10:
	s_load_dwordx2 s[14:15], s[0:1], 0x0
	s_waitcnt lgkmcnt(0)
	s_ashr_i32 s20, s44, 31
	s_mul_hi_u32 s21, s5, s44
	s_mul_i32 s20, s5, s20
	s_add_i32 s21, s21, s20
	s_mul_i32 s20, s5, s44
	v_lshl_or_b32 v5, v57, 2, v1
	s_lshl_b64 s[20:21], s[20:21], 1
	s_add_u32 s14, s14, s20
	v_add_lshl_u32 v6, v5, s48, 7
	s_addc_u32 s15, s15, s21
	v_ashrrev_i32_e32 v7, 31, v6
	v_lshl_add_u64 v[6:7], v[6:7], 1, s[14:15]
	v_mov_b32_e32 v55, 0
	v_lshl_add_u64 v[6:7], v[6:7], 0, v[54:55]
	global_load_dwordx4 v[6:9], v[6:7], off
	v_lshlrev_b32_e32 v12, 8, v0
	v_lshlrev_b32_e32 v11, 8, v56
	v_and_b32_e32 v12, 0x600, v12
	s_movk_i32 s5, 0x800
	v_and_or_b32 v11, v11, s5, v12
	v_lshlrev_b32_e32 v5, 5, v5
	v_and_b32_e32 v12, 16, v60
	v_or3_b32 v5, v11, v5, v12
	s_waitcnt vmcnt(0)
	ds_write_b128 v5, v[6:9]
.LBB939_11:
	s_or_b64 exec, exec, s[12:13]
	s_waitcnt lgkmcnt(0)
	s_mul_i32 s12, s4, s46
	s_add_u32 s4, s16, s12
	s_addc_u32 s5, s17, 0
	v_and_b32_e32 v58, 0xf0, v60
	v_mov_b32_e32 v59, 0
	v_and_b32_e32 v34, 48, v0
	v_lshl_add_u64 v[12:13], s[4:5], 0, v[58:59]
	v_lshlrev_b32_e32 v58, 4, v34
	s_waitcnt vmcnt(3)
	v_mad_i64_i32 v[4:5], s[4:5], v4, s45, v[12:13]
	v_lshl_add_u64 v[4:5], v[4:5], 0, v[58:59]
	s_barrier
	global_load_dwordx4 v[50:53], v[4:5], off
	global_load_dwordx4 v[46:49], v[4:5], off offset:1024
	s_waitcnt vmcnt(4)
	v_mad_i64_i32 v[4:5], s[4:5], v3, s45, v[12:13]
	s_waitcnt vmcnt(3)
	v_mad_i64_i32 v[2:3], s[4:5], v2, s45, v[12:13]
	v_lshl_add_u64 v[4:5], v[4:5], 0, v[58:59]
	v_lshl_add_u64 v[14:15], v[2:3], 0, v[58:59]
	s_waitcnt vmcnt(2)
	v_mad_i64_i32 v[10:11], s[4:5], v10, s45, v[12:13]
	global_load_dwordx4 v[36:39], v[4:5], off
	global_load_dwordx4 v[6:9], v[4:5], off offset:1024
	s_nop 0
	global_load_dwordx4 v[2:5], v[14:15], off
	global_load_dwordx4 v[42:45], v[14:15], off offset:1024
	v_lshl_add_u64 v[14:15], v[10:11], 0, v[58:59]
	global_load_dwordx4 v[26:29], v[14:15], off
	global_load_dwordx4 v[10:13], v[14:15], off offset:1024
	v_add_u32_e32 v14, -12, v56
	v_cmp_gt_u32_e32 vcc, 12, v56
	v_and_b32_e32 v55, 63, v0
	v_mov_b32_e32 v61, 0
	v_cndmask_b32_e32 v14, v14, v56, vcc
	v_lshlrev_b32_e32 v14, 5, v14
	v_lshl_add_u32 v14, v1, 9, v14
	ds_read_b128 v[30:33], v14
	ds_read_b128 v[22:25], v14 offset:16
	ds_read_b128 v[18:21], v14 offset:2048
	;; [unrolled: 1-line block ×3, first 2 shown]
	s_and_saveexec_b64 s[4:5], vcc
	s_cbranch_execz .LBB939_13
; %bb.12:
	s_load_dwordx2 s[14:15], s[0:1], 0x40
	v_add_u32_e32 v40, s48, v56
	v_ashrrev_i32_e32 v41, 31, v40
	s_waitcnt lgkmcnt(0)
	v_lshl_add_u64 v[40:41], v[40:41], 2, s[14:15]
	global_load_dword v61, v[40:41], off
.LBB939_13:
	s_or_b64 exec, exec, s[4:5]
	v_or_b32_e32 v58, s18, v34
	v_ashrrev_i32_e32 v34, 4, v58
	v_mov_b32_e32 v63, s19
	v_cmp_gt_i32_e32 vcc, s7, v58
	s_waitcnt vmcnt(7)
	v_cvt_pk_f32_fp8_e32 v[40:41], v50
	v_cvt_pk_f32_fp8_sdwa v[64:65], v50 src0_sel:WORD_1
	v_cndmask_b32_e32 v34, v63, v34, vcc
	v_ashrrev_i32_e32 v35, 31, v34
	v_lshl_add_u64 v[34:35], v[34:35], 2, s[8:9]
	global_load_dword v62, v[34:35], off
	v_or_b32_e32 v34, 64, v58
	v_ashrrev_i32_e32 v35, 4, v34
	v_cmp_gt_i32_e32 vcc, s7, v34
	v_or_b32_e32 v66, 0x80, v58
	v_ashrrev_i32_e32 v67, 4, v66
	v_cndmask_b32_e32 v34, v63, v35, vcc
	v_cmp_gt_i32_e32 vcc, s7, v66
	v_cvt_pkrtz_f16_f32 v40, v40, v41
	v_cvt_pkrtz_f16_f32 v41, v64, v65
	v_cndmask_b32_e32 v50, v63, v67, vcc
	v_cvt_pk_f32_fp8_e32 v[64:65], v51
	v_cvt_pk_f32_fp8_sdwa v[66:67], v51 src0_sel:WORD_1
	v_ashrrev_i32_e32 v51, 31, v50
	v_lshl_add_u64 v[68:69], v[50:51], 2, s[8:9]
	v_cvt_pkrtz_f16_f32 v50, v64, v65
	v_cvt_pkrtz_f16_f32 v51, v66, v67
	s_waitcnt lgkmcnt(3)
	v_mfma_f32_16x16x16_f16 v[64:67], v[40:41], v[30:31], 0
	v_cvt_pk_f32_fp8_e32 v[40:41], v52
	v_cvt_pk_f32_fp8_sdwa v[70:71], v52 src0_sel:WORD_1
	s_waitcnt vmcnt(7)
	v_cvt_pk_f32_fp8_e32 v[72:73], v46
	v_mfma_f32_16x16x16_f16 v[64:67], v[50:51], v[32:33], v[64:67]
	v_cvt_pk_f32_fp8_e32 v[50:51], v53
	v_cvt_pkrtz_f16_f32 v40, v40, v41
	v_cvt_pkrtz_f16_f32 v41, v70, v71
	v_cvt_pk_f32_fp8_sdwa v[52:53], v53 src0_sel:WORD_1
	v_cvt_pkrtz_f16_f32 v70, v50, v51
	v_cvt_pk_f32_fp8_sdwa v[74:75], v46 src0_sel:WORD_1
	v_ashrrev_i32_e32 v35, 31, v34
	v_cvt_pkrtz_f16_f32 v71, v52, v53
	s_waitcnt lgkmcnt(2)
	v_mfma_f32_16x16x16_f16 v[50:53], v[40:41], v[22:23], v[64:67]
	v_cvt_pkrtz_f16_f32 v40, v72, v73
	v_cvt_pkrtz_f16_f32 v41, v74, v75
	v_or_b32_e32 v58, 0xc0, v58
	v_cvt_pk_f32_fp8_e32 v[64:65], v47
	v_cvt_pk_f32_fp8_sdwa v[46:47], v47 src0_sel:WORD_1
	v_mfma_f32_16x16x16_f16 v[50:53], v[70:71], v[24:25], v[50:53]
	v_lshl_add_u64 v[34:35], v[34:35], 2, s[8:9]
	v_cvt_pkrtz_f16_f32 v64, v64, v65
	v_cvt_pkrtz_f16_f32 v65, v46, v47
	s_waitcnt lgkmcnt(1)
	v_mfma_f32_16x16x16_f16 v[50:53], v[40:41], v[18:19], v[50:53]
	v_ashrrev_i32_e32 v66, 4, v58
	v_cmp_gt_i32_e32 vcc, s7, v58
	v_cvt_pk_f32_fp8_e32 v[46:47], v48
	s_waitcnt vmcnt(6)
	v_cvt_pk_f32_fp8_sdwa v[70:71], v36 src0_sel:WORD_1
	v_cndmask_b32_e32 v40, v63, v66, vcc
	v_mfma_f32_16x16x16_f16 v[64:67], v[64:65], v[20:21], v[50:53]
	v_ashrrev_i32_e32 v41, 31, v40
	v_lshl_add_u64 v[40:41], v[40:41], 2, s[8:9]
	v_cvt_pkrtz_f16_f32 v46, v46, v47
	global_load_dword v53, v[34:35], off
	global_load_dword v63, v[40:41], off
	v_cvt_pk_f32_fp8_sdwa v[50:51], v48 src0_sel:WORD_1
	v_cvt_pk_f32_fp8_e32 v[34:35], v49
	v_cvt_pk_f32_fp8_sdwa v[48:49], v49 src0_sel:WORD_1
	s_add_u32 s46, s10, s12
	v_cvt_pkrtz_f16_f32 v47, v50, v51
	v_cvt_pkrtz_f16_f32 v34, v34, v35
	;; [unrolled: 1-line block ×3, first 2 shown]
	s_waitcnt lgkmcnt(0)
	v_mfma_f32_16x16x16_f16 v[46:49], v[46:47], v[14:15], v[64:67]
	v_cvt_pk_f32_fp8_e32 v[50:51], v36
	s_nop 1
	global_load_dword v64, v[68:69], off
	v_cvt_pk_f32_fp8_e32 v[66:67], v37
	s_waitcnt vmcnt(8)
	v_cvt_pk_f32_fp8_e32 v[68:69], v6
	v_cvt_pkrtz_f16_f32 v50, v50, v51
	v_cvt_pkrtz_f16_f32 v51, v70, v71
	v_cvt_pk_f32_fp8_sdwa v[70:71], v37 src0_sel:WORD_1
	v_cvt_pkrtz_f16_f32 v40, v66, v67
	v_mfma_f32_16x16x16_f16 v[34:37], v[34:35], v[16:17], v[46:49]
	v_cvt_pk_f32_fp8_sdwa v[66:67], v38 src0_sel:WORD_1
	v_cvt_pkrtz_f16_f32 v41, v70, v71
	v_cvt_pk_f32_fp8_sdwa v[70:71], v6 src0_sel:WORD_1
	v_mfma_f32_16x16x16_f16 v[46:49], v[50:51], v[30:31], 0
	v_cvt_pk_f32_fp8_e32 v[50:51], v38
	v_lshl_or_b32 v52, v57, 4, v56
	s_waitcnt vmcnt(6)
	v_cvt_pk_f32_fp8_e32 v[72:73], v43
	v_mfma_f32_16x16x16_f16 v[46:49], v[40:41], v[32:33], v[46:49]
	v_cvt_pk_f32_fp8_e32 v[40:41], v39
	v_cvt_pkrtz_f16_f32 v50, v50, v51
	v_cvt_pkrtz_f16_f32 v51, v66, v67
	v_cvt_pk_f32_fp8_sdwa v[38:39], v39 src0_sel:WORD_1
	v_cvt_pkrtz_f16_f32 v66, v40, v41
	s_addc_u32 s47, s11, 0
	v_lshlrev_b32_e32 v58, 4, v52
	v_cvt_pkrtz_f16_f32 v67, v38, v39
	v_mfma_f32_16x16x16_f16 v[38:41], v[50:51], v[22:23], v[46:49]
	v_cvt_pk_f32_fp8_sdwa v[50:51], v2 src0_sel:WORD_1
	s_nop 1
	v_cvt_pkrtz_f16_f32 v46, v68, v69
	v_cvt_pkrtz_f16_f32 v47, v70, v71
	v_cvt_pk_f32_fp8_e32 v[48:49], v7
	v_cvt_pk_f32_fp8_sdwa v[6:7], v7 src0_sel:WORD_1
	v_mfma_f32_16x16x16_f16 v[38:41], v[66:67], v[24:25], v[38:41]
	v_lshl_add_u64 v[70:71], s[46:47], 0, v[58:59]
	v_cvt_pkrtz_f16_f32 v48, v48, v49
	v_cvt_pkrtz_f16_f32 v49, v6, v7
	v_mfma_f32_16x16x16_f16 v[38:41], v[46:47], v[18:19], v[38:41]
	v_cvt_pk_f32_fp8_e32 v[6:7], v8
	v_cvt_pk_f32_fp8_sdwa v[46:47], v8 src0_sel:WORD_1
	v_or_b32_e32 v58, 0x400, v58
	v_mfma_f32_16x16x16_f16 v[38:41], v[48:49], v[20:21], v[38:41]
	v_cvt_pk_f32_fp8_e32 v[48:49], v9
	v_cvt_pkrtz_f16_f32 v6, v6, v7
	v_cvt_pkrtz_f16_f32 v7, v46, v47
	v_cvt_pk_f32_fp8_sdwa v[8:9], v9 src0_sel:WORD_1
	v_cvt_pkrtz_f16_f32 v46, v48, v49
	v_cvt_pk_f32_fp8_e32 v[48:49], v2
	v_cvt_pkrtz_f16_f32 v47, v8, v9
	v_mfma_f32_16x16x16_f16 v[6:9], v[6:7], v[14:15], v[38:41]
	v_cvt_pkrtz_f16_f32 v48, v48, v49
	v_cvt_pkrtz_f16_f32 v49, v50, v51
	v_cvt_pk_f32_fp8_e32 v[50:51], v3
	v_cvt_pk_f32_fp8_sdwa v[2:3], v3 src0_sel:WORD_1
	v_mfma_f32_16x16x16_f16 v[38:41], v[46:47], v[16:17], v[6:9]
	v_cvt_pkrtz_f16_f32 v46, v50, v51
	v_cvt_pkrtz_f16_f32 v47, v2, v3
	v_mfma_f32_16x16x16_f16 v[6:9], v[48:49], v[30:31], 0
	v_cvt_pk_f32_fp8_e32 v[2:3], v4
	v_cvt_pk_f32_fp8_sdwa v[48:49], v4 src0_sel:WORD_1
	s_waitcnt vmcnt(3)
	v_mad_i64_i32 v[50:51], s[4:5], v62, s45, v[70:71]
	v_cvt_pkrtz_f16_f32 v2, v2, v3
	v_cvt_pkrtz_f16_f32 v3, v48, v49
	v_mfma_f32_16x16x16_f16 v[6:9], v[46:47], v[32:33], v[6:9]
	v_cvt_pk_f32_fp8_e32 v[46:47], v5
	v_cvt_pk_f32_fp8_sdwa v[4:5], v5 src0_sel:WORD_1
	s_waitcnt vmcnt(2)
	v_mad_i64_i32 v[66:67], s[4:5], v53, s45, v[70:71]
	v_cvt_pkrtz_f16_f32 v46, v46, v47
	v_cvt_pkrtz_f16_f32 v47, v4, v5
	v_mfma_f32_16x16x16_f16 v[2:5], v[2:3], v[22:23], v[6:9]
	s_nop 2
	v_cvt_pk_f32_fp8_e32 v[6:7], v42
	v_cvt_pk_f32_fp8_sdwa v[8:9], v42 src0_sel:WORD_1
	v_cvt_pk_f32_fp8_sdwa v[42:43], v43 src0_sel:WORD_1
	v_mfma_f32_16x16x16_f16 v[46:49], v[46:47], v[24:25], v[2:5]
	v_cvt_pkrtz_f16_f32 v68, v6, v7
	v_cvt_pkrtz_f16_f32 v69, v8, v9
	global_load_dwordx4 v[6:9], v[50:51], off
	global_load_dwordx4 v[2:5], v[66:67], off
	v_cvt_pkrtz_f16_f32 v66, v72, v73
	v_cvt_pkrtz_f16_f32 v67, v42, v43
	v_mfma_f32_16x16x16_f16 v[48:51], v[68:69], v[18:19], v[46:49]
	v_cvt_pk_f32_fp8_e32 v[42:43], v44
	v_cvt_pk_f32_fp8_sdwa v[72:73], v44 src0_sel:WORD_1
	s_waitcnt vmcnt(2)
	v_mad_i64_i32 v[46:47], s[4:5], v64, s45, v[70:71]
	v_mfma_f32_16x16x16_f16 v[66:69], v[66:67], v[20:21], v[48:51]
	v_cvt_pkrtz_f16_f32 v42, v42, v43
	v_cvt_pkrtz_f16_f32 v43, v72, v73
	v_cvt_pk_f32_fp8_sdwa v[72:73], v26 src0_sel:WORD_1
	v_cvt_pk_f32_fp8_e32 v[50:51], v45
	v_cvt_pk_f32_fp8_sdwa v[44:45], v45 src0_sel:WORD_1
	v_mad_i64_i32 v[48:49], s[4:5], v63, s45, v[70:71]
	v_cvt_pkrtz_f16_f32 v50, v50, v51
	v_cvt_pkrtz_f16_f32 v51, v44, v45
	v_mfma_f32_16x16x16_f16 v[42:45], v[42:43], v[14:15], v[66:69]
	v_cvt_pk_f32_fp8_e32 v[70:71], v26
	s_load_dword s4, s[0:1], 0x1c
	s_load_dwordx4 s[40:43], s[0:1], 0x80
	s_load_dword s33, s[0:1], 0x98
	s_waitcnt lgkmcnt(0)
	s_load_dword s5, s[40:41], 0x0
	v_mfma_f32_16x16x16_f16 v[66:69], v[50:51], v[16:17], v[42:45]
	s_mov_b32 s40, 0xff7fffff
	s_nop 1
	v_cvt_pk_f32_fp8_e32 v[42:43], v27
	v_cvt_pkrtz_f16_f32 v44, v70, v71
	v_cvt_pkrtz_f16_f32 v45, v72, v73
	v_cvt_pk_f32_fp8_sdwa v[26:27], v27 src0_sel:WORD_1
	v_cvt_pkrtz_f16_f32 v50, v42, v43
	v_cvt_pk_f32_fp8_e32 v[70:71], v28
	v_cvt_pk_f32_fp8_sdwa v[72:73], v28 src0_sel:WORD_1
	v_cvt_pkrtz_f16_f32 v51, v26, v27
	v_mfma_f32_16x16x16_f16 v[42:45], v[44:45], v[30:31], 0
	v_cvt_pkrtz_f16_f32 v30, v70, v71
	v_cvt_pkrtz_f16_f32 v31, v72, v73
	v_cvt_pk_f32_fp8_e32 v[70:71], v29
	v_cvt_pk_f32_fp8_sdwa v[72:73], v29 src0_sel:WORD_1
	v_mfma_f32_16x16x16_f16 v[26:29], v[50:51], v[32:33], v[42:45]
	v_mov_b32_e32 v32, s4
	s_waitcnt lgkmcnt(0)
	v_mul_f32_e32 v50, s5, v32
	v_pk_mul_f32 v[32:33], v[50:51], v[34:35] op_sel_hi:[0,1]
	v_cvt_pkrtz_f16_f32 v42, v70, v71
	v_cvt_pkrtz_f16_f32 v43, v72, v73
	v_mfma_f32_16x16x16_f16 v[26:29], v[30:31], v[22:23], v[26:29]
	v_pk_mul_f32 v[30:31], v[50:51], v[36:37] op_sel_hi:[0,1]
	v_cvt_pk_f32_fp8_e32 v[22:23], v10
	v_cvt_pk_f32_fp8_sdwa v[70:71], v12 src0_sel:WORD_1
	v_mfma_f32_16x16x16_f16 v[34:37], v[42:43], v[24:25], v[26:29]
	v_cvt_pk_f32_fp8_sdwa v[24:25], v10 src0_sel:WORD_1
	v_cvt_pkrtz_f16_f32 v42, v22, v23
	v_pk_mul_f32 v[40:41], v[50:51], v[40:41] op_sel_hi:[0,1]
	v_cvt_pk_f32_fp8_e32 v[26:27], v11
	v_cvt_pk_f32_fp8_sdwa v[10:11], v11 src0_sel:WORD_1
	v_cvt_pkrtz_f16_f32 v43, v24, v25
	v_cvt_pkrtz_f16_f32 v44, v26, v27
	;; [unrolled: 1-line block ×3, first 2 shown]
	v_cvt_pk_f32_fp8_e32 v[10:11], v12
	v_mfma_f32_16x16x16_f16 v[34:37], v[42:43], v[18:19], v[34:37]
	global_load_dwordx4 v[26:29], v[46:47], off
	global_load_dwordx4 v[22:25], v[48:49], off
	v_cvt_pkrtz_f16_f32 v19, v70, v71
	v_cvt_pkrtz_f16_f32 v18, v10, v11
	v_cvt_pk_f32_fp8_e32 v[42:43], v13
	v_cvt_pk_f32_fp8_sdwa v[46:47], v13 src0_sel:WORD_1
	v_mfma_f32_16x16x16_f16 v[10:13], v[44:45], v[20:21], v[34:37]
	v_pk_mul_f32 v[44:45], v[50:51], v[38:39] op_sel_hi:[0,1]
	v_cvt_pkrtz_f16_f32 v20, v42, v43
	v_cvt_pkrtz_f16_f32 v21, v46, v47
	v_mfma_f32_16x16x16_f16 v[10:13], v[18:19], v[14:15], v[10:13]
	v_pk_mul_f32 v[38:39], v[50:51], v[68:69] op_sel_hi:[0,1]
	v_pk_mul_f32 v[42:43], v[50:51], v[66:67] op_sel_hi:[0,1]
	v_mfma_f32_16x16x16_f16 v[10:13], v[20:21], v[16:17], v[10:13]
	s_nop 6
	v_pk_mul_f32 v[36:37], v[50:51], v[10:11] op_sel_hi:[0,1]
	v_and_b32_e32 v10, 0xc0, v0
	v_add_u32_e32 v10, s18, v10
	v_lshl_or_b32 v10, v1, 2, v10
	v_or_b32_e32 v11, 1, v10
	v_pk_mul_f32 v[34:35], v[50:51], v[12:13] op_sel_hi:[0,1]
	v_subrev_u32_e32 v12, s7, v11
	v_add_u32_e32 v14, 1, v12
	v_add_u32_e32 v15, 2, v12
	v_cvt_f32_i32_e32 v13, v12
	v_cvt_f32_i32_e32 v14, v14
	;; [unrolled: 1-line block ×3, first 2 shown]
	v_add_u32_e32 v16, 3, v12
	v_fma_f32 v18, v61, v13, v32
	v_fmac_f32_e32 v33, v61, v14
	v_fma_f32 v48, v61, v15, v30
	v_add_u32_e32 v13, 16, v12
	v_add_u32_e32 v14, 17, v12
	;; [unrolled: 1-line block ×3, first 2 shown]
	v_cvt_f32_i32_e32 v16, v16
	v_cvt_f32_i32_e32 v13, v13
	;; [unrolled: 1-line block ×4, first 2 shown]
	v_fmac_f32_e32 v31, v61, v16
	v_add_u32_e32 v16, 19, v12
	v_fma_f32 v44, v61, v13, v44
	v_fmac_f32_e32 v45, v61, v14
	v_fma_f32 v40, v61, v15, v40
	v_add_u32_e32 v13, 32, v12
	v_add_u32_e32 v14, 33, v12
	;; [unrolled: 1-line block ×3, first 2 shown]
	v_cvt_f32_i32_e32 v16, v16
	v_cvt_f32_i32_e32 v13, v13
	;; [unrolled: 1-line block ×4, first 2 shown]
	v_fmac_f32_e32 v41, v61, v16
	v_add_u32_e32 v16, 35, v12
	v_fma_f32 v42, v61, v13, v42
	v_fmac_f32_e32 v43, v61, v14
	v_fma_f32 v38, v61, v15, v38
	v_add_u32_e32 v13, 48, v12
	v_add_u32_e32 v14, 49, v12
	v_add_u32_e32 v15, 50, v12
	v_add_u32_e32 v12, 51, v12
	v_cvt_f32_i32_e32 v12, v12
	v_cvt_f32_i32_e32 v13, v13
	v_cvt_f32_i32_e32 v14, v14
	v_cmp_gt_i32_e64 s[8:9], s7, v10
	v_fmac_f32_e32 v35, v61, v12
	v_mov_b32_e32 v12, 0xff7fffff
	v_cmp_gt_i32_e64 s[10:11], s7, v11
	v_fma_f32 v36, v61, v13, v36
	v_cndmask_b32_e64 v13, v12, v18, s[8:9]
	v_cndmask_b32_e64 v11, v12, v33, s[10:11]
	v_fmac_f32_e32 v37, v61, v14
	v_max3_f32 v11, v13, s40, v11
	v_or_b32_e32 v13, 2, v10
	v_or_b32_e32 v14, 3, v10
	v_cmp_gt_i32_e64 s[12:13], s7, v13
	v_cmp_gt_i32_e64 s[14:15], s7, v14
	v_cvt_f32_i32_e32 v16, v16
	v_cndmask_b32_e64 v13, v12, v48, s[12:13]
	v_cndmask_b32_e64 v14, v12, v31, s[14:15]
	v_max3_f32 v11, v11, v13, v14
	v_or_b32_e32 v13, 16, v10
	v_or_b32_e32 v14, 17, v10
	v_cmp_gt_i32_e64 s[16:17], s7, v13
	v_cmp_gt_i32_e64 s[18:19], s7, v14
	v_fmac_f32_e32 v39, v61, v16
	v_cndmask_b32_e64 v13, v12, v44, s[16:17]
	v_cndmask_b32_e64 v14, v12, v45, s[18:19]
	v_max3_f32 v11, v11, v13, v14
	v_or_b32_e32 v13, 18, v10
	v_or_b32_e32 v14, 19, v10
	v_cmp_gt_i32_e64 s[20:21], s7, v13
	v_cmp_gt_i32_e64 s[22:23], s7, v14
	v_cvt_f32_i32_e32 v15, v15
	v_cndmask_b32_e64 v13, v12, v40, s[20:21]
	v_cndmask_b32_e64 v14, v12, v41, s[22:23]
	v_max3_f32 v11, v11, v13, v14
	v_or_b32_e32 v13, 32, v10
	v_or_b32_e32 v14, 33, v10
	v_cmp_gt_i32_e64 s[24:25], s7, v13
	v_cmp_gt_i32_e64 s[26:27], s7, v14
	v_fma_f32 v34, v61, v15, v34
	v_cndmask_b32_e64 v13, v12, v42, s[24:25]
	v_cndmask_b32_e64 v14, v12, v43, s[26:27]
	v_max3_f32 v11, v11, v13, v14
	v_or_b32_e32 v13, 34, v10
	v_or_b32_e32 v14, 35, v10
	v_cmp_gt_i32_e64 s[28:29], s7, v13
	v_cmp_gt_i32_e64 s[30:31], s7, v14
	s_nop 0
	v_cndmask_b32_e64 v13, v12, v38, s[28:29]
	v_cndmask_b32_e64 v14, v12, v39, s[30:31]
	v_max3_f32 v11, v11, v13, v14
	v_or_b32_e32 v13, 48, v10
	v_or_b32_e32 v14, 49, v10
	v_cmp_gt_i32_e64 s[34:35], s7, v13
	v_cmp_gt_i32_e64 s[36:37], s7, v14
	s_nop 0
	v_cndmask_b32_e64 v13, v12, v36, s[34:35]
	v_cndmask_b32_e64 v14, v12, v37, s[36:37]
	v_max3_f32 v11, v11, v13, v14
	v_or_b32_e32 v13, 50, v10
	v_or_b32_e32 v10, 51, v10
	v_cmp_gt_i32_e32 vcc, s7, v13
	v_cmp_gt_i32_e64 s[4:5], s7, v10
	s_nop 0
	v_cndmask_b32_e32 v13, v12, v34, vcc
	v_cndmask_b32_e64 v10, v12, v35, s[4:5]
	v_max3_f32 v14, v11, v13, v10
	v_mbcnt_lo_u32_b32 v10, -1, 0
	v_mbcnt_hi_u32_b32 v15, -1, v10
	v_and_b32_e32 v10, 64, v15
	v_add_u32_e32 v16, 64, v10
	v_xor_b32_e32 v10, 32, v15
	v_cmp_lt_i32_e64 s[38:39], v10, v16
	s_nop 1
	v_cndmask_b32_e64 v10, v15, v10, s[38:39]
	v_lshlrev_b32_e32 v51, 2, v10
	ds_bpermute_b32 v17, v51, v14
	v_lshl_add_u64 v[10:11], s[46:47], 0, v[58:59]
	v_mad_i64_i32 v[12:13], s[38:39], v62, s45, v[10:11]
	s_waitcnt lgkmcnt(0)
	v_max_f32_e32 v17, v17, v17
	v_max_f32_e32 v19, v14, v17
	v_xor_b32_e32 v14, 16, v15
	v_cmp_lt_i32_e64 s[38:39], v14, v16
	s_nop 1
	v_cndmask_b32_e64 v14, v15, v14, s[38:39]
	v_lshlrev_b32_e32 v58, 2, v14
	ds_bpermute_b32 v20, v58, v19
	v_mad_i64_i32 v[14:15], s[38:39], v53, s45, v[10:11]
	v_mad_i64_i32 v[16:17], s[38:39], v64, s45, v[10:11]
	s_waitcnt lgkmcnt(0)
	v_max_f32_e32 v20, v20, v20
	v_max_f32_e32 v50, v19, v20
	v_sub_f32_e32 v18, v18, v50
	v_sub_f32_e32 v19, v33, v50
	v_mul_f32_e32 v18, 0x3fb8aa3b, v18
	v_mul_f32_e32 v19, 0x3fb8aa3b, v19
	v_exp_f32_e32 v18, v18
	v_exp_f32_e32 v19, v19
	v_sub_f32_e32 v49, v31, v50
	v_mad_i64_i32 v[10:11], s[38:39], v63, s45, v[10:11]
	v_cndmask_b32_e64 v46, 0, v18, s[8:9]
	v_cndmask_b32_e64 v47, 0, v19, s[10:11]
	global_load_dwordx4 v[30:33], v[12:13], off
	global_load_dwordx4 v[18:21], v[14:15], off
	v_sub_f32_e32 v12, v48, v50
	v_mul_f32_e32 v12, 0x3fb8aa3b, v12
	v_exp_f32_e32 v48, v12
	global_load_dwordx4 v[14:17], v[16:17], off
	s_nop 0
	global_load_dwordx4 v[10:13], v[10:11], off
	v_sub_f32_e32 v40, v40, v50
	v_sub_f32_e32 v42, v42, v50
	v_mul_f32_e32 v40, 0x3fb8aa3b, v40
	v_mul_f32_e32 v42, 0x3fb8aa3b, v42
	v_exp_f32_e32 v40, v40
	v_exp_f32_e32 v53, v42
	v_mul_f32_e32 v49, 0x3fb8aa3b, v49
	v_sub_f32_e32 v44, v44, v50
	v_exp_f32_e32 v49, v49
	v_mul_f32_e32 v44, 0x3fb8aa3b, v44
	v_sub_f32_e32 v45, v45, v50
	v_sub_f32_e32 v42, v43, v50
	v_exp_f32_e32 v44, v44
	v_mul_f32_e32 v45, 0x3fb8aa3b, v45
	v_mul_f32_e32 v42, 0x3fb8aa3b, v42
	v_exp_f32_e32 v45, v45
	v_sub_f32_e32 v41, v41, v50
	v_exp_f32_e32 v59, v42
	v_cndmask_b32_e64 v42, 0, v40, s[20:21]
	v_cndmask_b32_e64 v40, 0, v53, s[24:25]
	v_add_f32_e32 v53, 0, v46
	v_cndmask_b32_e64 v48, 0, v48, s[12:13]
	v_mul_f32_e32 v41, 0x3fb8aa3b, v41
	v_add_f32_e32 v53, v53, v47
	v_cndmask_b32_e64 v49, 0, v49, s[14:15]
	v_exp_f32_e32 v41, v41
	v_add_f32_e32 v53, v53, v48
	v_cndmask_b32_e64 v44, 0, v44, s[16:17]
	v_sub_f32_e32 v38, v38, v50
	v_add_f32_e32 v53, v53, v49
	v_cndmask_b32_e64 v45, 0, v45, s[18:19]
	v_sub_f32_e32 v39, v39, v50
	v_mul_f32_e32 v38, 0x3fb8aa3b, v38
	v_add_f32_e32 v53, v53, v44
	v_exp_f32_e32 v38, v38
	v_mul_f32_e32 v39, 0x3fb8aa3b, v39
	v_sub_f32_e32 v36, v36, v50
	v_add_f32_e32 v53, v53, v45
	v_cndmask_b32_e64 v43, 0, v41, s[22:23]
	v_exp_f32_e32 v39, v39
	v_mul_f32_e32 v36, 0x3fb8aa3b, v36
	v_sub_f32_e32 v37, v37, v50
	v_add_f32_e32 v53, v53, v42
	v_exp_f32_e32 v36, v36
	v_mul_f32_e32 v37, 0x3fb8aa3b, v37
	v_add_f32_e32 v53, v53, v43
	v_sub_f32_e32 v34, v34, v50
	v_cndmask_b32_e64 v41, 0, v59, s[26:27]
	v_exp_f32_e32 v37, v37
	v_add_f32_e32 v53, v53, v40
	v_mul_f32_e32 v34, 0x3fb8aa3b, v34
	v_sub_f32_e32 v35, v35, v50
	v_cndmask_b32_e64 v38, 0, v38, s[28:29]
	v_add_f32_e32 v53, v53, v41
	v_exp_f32_e32 v34, v34
	v_mul_f32_e32 v35, 0x3fb8aa3b, v35
	v_cndmask_b32_e64 v39, 0, v39, s[30:31]
	v_add_f32_e32 v53, v53, v38
	v_exp_f32_e32 v35, v35
	v_cndmask_b32_e64 v36, 0, v36, s[34:35]
	v_add_f32_e32 v53, v53, v39
	v_cndmask_b32_e64 v37, 0, v37, s[36:37]
	v_add_f32_e32 v53, v53, v36
	v_add_f32_e32 v53, v53, v37
	v_cndmask_b32_e32 v34, 0, v34, vcc
	v_add_f32_e32 v53, v53, v34
	v_cndmask_b32_e64 v35, 0, v35, s[4:5]
	v_add_f32_e32 v53, v53, v35
	ds_bpermute_b32 v51, v51, v53
	v_cmp_gt_u32_e32 vcc, 16, v55
	s_waitcnt lgkmcnt(0)
	s_barrier
	v_add_f32_e32 v51, v53, v51
	ds_bpermute_b32 v53, v58, v51
	s_and_saveexec_b64 s[4:5], vcc
	s_cbranch_execz .LBB939_15
; %bb.14:
	s_waitcnt lgkmcnt(0)
	v_add_f32_e32 v51, v51, v53
	v_lshlrev_b32_e32 v52, 2, v52
	ds_write2st64_b32 v52, v50, v51 offset1:1
.LBB939_15:
	s_or_b64 exec, exec, s[4:5]
	v_lshlrev_b32_e32 v51, 2, v56
	s_load_dword s7, s[0:1], 0x94
	s_waitcnt lgkmcnt(0)
	s_barrier
	ds_read2_b32 v[52:53], v51 offset1:16
	ds_read2_b32 v[58:59], v51 offset0:32 offset1:48
	ds_read2_b32 v[62:63], v51 offset0:64 offset1:80
	s_mul_i32 s8, s33, 12
	s_waitcnt lgkmcnt(2)
	v_max3_f32 v50, v52, s40, v53
	s_waitcnt lgkmcnt(1)
	v_max3_f32 v50, v50, v58, v59
	v_sub_f32_e32 v52, v52, v50
	v_mul_f32_e32 v52, 0x3fb8aa3b, v52
	v_exp_f32_e32 v55, v52
	v_sub_f32_e32 v52, v53, v50
	v_mul_f32_e32 v52, 0x3fb8aa3b, v52
	v_exp_f32_e32 v61, v52
	;; [unrolled: 3-line block ×3, first 2 shown]
	ds_read2_b32 v[52:53], v51 offset0:96 offset1:112
	v_sub_f32_e32 v51, v59, v50
	v_mul_f32_e32 v51, 0x3fb8aa3b, v51
	v_exp_f32_e32 v59, v51
	s_waitcnt lgkmcnt(1)
	v_fma_f32 v51, v55, v62, 0
	v_fmac_f32_e32 v51, v61, v63
	s_waitcnt lgkmcnt(0)
	v_fmac_f32_e32 v51, v58, v52
	v_fmac_f32_e32 v51, v59, v53
	v_add_f32_e32 v52, 0x358637bd, v51
	v_div_scale_f32 v53, s[4:5], v52, v52, 1.0
	v_rcp_f32_e32 v62, v53
	s_barrier
	v_fma_f32 v63, -v53, v62, 1.0
	v_fmac_f32_e32 v62, v63, v62
	v_div_scale_f32 v63, vcc, 1.0, v52, 1.0
	v_mul_f32_e32 v64, v63, v62
	v_fma_f32 v65, -v53, v64, v63
	v_fmac_f32_e32 v64, v65, v62
	v_fma_f32 v53, -v53, v64, v63
	v_div_fmas_f32 v53, v53, v62, v64
	v_cmp_eq_u32_e32 vcc, 1, v57
	v_div_fixup_f32 v52, v53, v52, 1.0
	s_nop 0
	v_cndmask_b32_e32 v53, v55, v61, vcc
	v_cmp_eq_u32_e32 vcc, 2, v57
	s_nop 1
	v_cndmask_b32_e32 v53, v53, v58, vcc
	v_cmp_eq_u32_e32 vcc, 3, v57
	s_nop 1
	v_cndmask_b32_e32 v53, v53, v59, vcc
	v_mul_f32_e32 v52, v53, v52
	v_pk_mul_f32 v[48:49], v[52:53], v[48:49] op_sel_hi:[0,1]
	v_pk_mul_f32 v[46:47], v[52:53], v[46:47] op_sel_hi:[0,1]
	v_cvt_f16_f32_e32 v53, v48
	v_cvt_f16_f32_e32 v49, v49
	;; [unrolled: 1-line block ×4, first 2 shown]
	v_pk_mul_f32 v[42:43], v[52:53], v[42:43] op_sel_hi:[0,1]
	v_pk_mul_f32 v[44:45], v[52:53], v[44:45] op_sel_hi:[0,1]
	v_pack_b32_f16 v49, v53, v49
	v_cvt_f16_f32_e32 v44, v44
	v_cvt_f16_f32_e32 v45, v45
	;; [unrolled: 1-line block ×4, first 2 shown]
	v_pack_b32_f16 v48, v46, v47
	v_lshlrev_b32_e32 v47, 3, v1
	v_lshlrev_b32_e32 v46, 5, v56
	;; [unrolled: 1-line block ×3, first 2 shown]
	v_or3_b32 v55, v42, v46, v47
	v_pack_b32_f16 v42, v44, v45
	v_pack_b32_f16 v43, v53, v43
	v_pk_mul_f32 v[38:39], v[52:53], v[38:39] op_sel_hi:[0,1]
	v_pk_mul_f32 v[40:41], v[52:53], v[40:41] op_sel_hi:[0,1]
	;; [unrolled: 1-line block ×4, first 2 shown]
	ds_write2st64_b64 v55, v[48:49], v[42:43] offset1:1
	v_cvt_f16_f32_e32 v40, v40
	v_cvt_f16_f32_e32 v41, v41
	;; [unrolled: 1-line block ×8, first 2 shown]
	v_pack_b32_f16 v34, v40, v41
	v_pack_b32_f16 v35, v38, v39
	;; [unrolled: 1-line block ×4, first 2 shown]
	v_cmp_gt_u32_e32 vcc, 12, v0
	ds_write2st64_b64 v55, v[34:35], v[36:37] offset0:2 offset1:3
	s_and_saveexec_b64 s[4:5], vcc
	s_cbranch_execz .LBB939_17
; %bb.16:
	s_mov_b32 s49, 0
	v_mov_b32_e32 v57, 0
	v_lshl_add_u64 v[34:35], s[48:49], 0, v[56:57]
	v_mov_b32_e32 v36, s8
	v_mad_u64_u32 v[34:35], s[10:11], s2, v36, v[34:35]
	s_mul_i32 s3, s3, s8
	v_mov_b32_e32 v36, s6
	v_mov_b32_e32 v37, v57
	s_load_dwordx4 s[12:15], s[0:1], 0x58
	v_add_u32_e32 v38, s3, v35
	v_mad_u64_u32 v[34:35], s[10:11], v34, s7, v[36:37]
	v_mov_b32_e32 v36, v35
	v_mad_u64_u32 v[36:37], s[10:11], v38, s7, v[36:37]
	v_mov_b32_e32 v35, v36
	v_lshlrev_b64 v[34:35], 2, v[34:35]
	s_waitcnt lgkmcnt(0)
	v_lshl_add_u64 v[36:37], s[14:15], 0, v[34:35]
	v_lshl_add_u64 v[34:35], s[12:13], 0, v[34:35]
	global_store_dword v[36:37], v50, off
	global_store_dword v[34:35], v51, off
.LBB939_17:
	s_or_b64 exec, exec, s[4:5]
	s_waitcnt vmcnt(7)
	v_cvt_pk_f32_fp8_e32 v[34:35], v6
	v_cvt_pk_f32_fp8_sdwa v[36:37], v6 src0_sel:WORD_1
	v_lshl_or_b32 v50, v1, 9, v46
	s_waitcnt lgkmcnt(0)
	s_barrier
	v_cvt_pk_f32_fp8_e32 v[38:39], v7
	v_cvt_pkrtz_f16_f32 v6, v34, v35
	v_cvt_pk_f32_fp8_sdwa v[40:41], v7 src0_sel:WORD_1
	v_cvt_pkrtz_f16_f32 v7, v36, v37
	ds_read_b128 v[34:37], v50
	v_cvt_pkrtz_f16_f32 v46, v38, v39
	v_cvt_pkrtz_f16_f32 v47, v40, v41
	ds_read_b128 v[38:41], v50 offset:16
	v_cvt_pk_f32_fp8_e32 v[48:49], v8
	v_cvt_pk_f32_fp8_sdwa v[52:53], v8 src0_sel:WORD_1
	s_waitcnt lgkmcnt(1)
	v_mfma_f32_16x16x16_f16 v[42:45], v[6:7], v[34:35], 0
	s_waitcnt vmcnt(6)
	v_cvt_pk_f32_fp8_e32 v[58:59], v4
	v_cvt_pkrtz_f16_f32 v6, v48, v49
	v_cvt_pkrtz_f16_f32 v7, v52, v53
	v_cvt_pk_f32_fp8_e32 v[48:49], v9
	v_mfma_f32_16x16x16_f16 v[42:45], v[46:47], v[36:37], v[42:45]
	v_cvt_pk_f32_fp8_sdwa v[46:47], v9 src0_sel:WORD_1
	v_cvt_pk_f32_fp8_sdwa v[62:63], v4 src0_sel:WORD_1
	v_cvt_pkrtz_f16_f32 v48, v48, v49
	s_waitcnt lgkmcnt(0)
	v_mfma_f32_16x16x16_f16 v[6:9], v[6:7], v[38:39], v[42:45]
	v_cvt_pkrtz_f16_f32 v49, v46, v47
	s_waitcnt vmcnt(5)
	v_cvt_pk_f32_fp8_sdwa v[66:67], v28 src0_sel:WORD_1
	s_waitcnt vmcnt(4)
	v_cvt_pk_f32_fp8_sdwa v[68:69], v24 src0_sel:WORD_1
	v_cvt_pk_f32_fp8_e32 v[42:43], v2
	v_mfma_f32_16x16x16_f16 v[46:49], v[48:49], v[40:41], v[6:9]
	s_waitcnt vmcnt(3)
	v_cvt_pk_f32_fp8_sdwa v[70:71], v32 src0_sel:WORD_1
	s_load_dword s4, s[42:43], 0x0
	v_cvt_pk_f32_fp8_sdwa v[6:7], v2 src0_sel:WORD_1
	v_cvt_pk_f32_fp8_e32 v[8:9], v3
	v_cvt_pkrtz_f16_f32 v2, v42, v43
	v_cvt_pk_f32_fp8_sdwa v[42:43], v3 src0_sel:WORD_1
	v_cvt_pkrtz_f16_f32 v3, v6, v7
	v_cvt_pkrtz_f16_f32 v52, v8, v9
	ds_read_b128 v[6:9], v50 offset:2048
	v_cvt_pkrtz_f16_f32 v53, v42, v43
	ds_read_b128 v[42:45], v50 offset:2064
	s_waitcnt lgkmcnt(0)
	v_mfma_f32_16x16x16_f16 v[46:49], v[2:3], v[6:7], v[46:49]
	v_cvt_pkrtz_f16_f32 v2, v58, v59
	v_cvt_pkrtz_f16_f32 v3, v62, v63
	v_cvt_pk_f32_fp8_e32 v[58:59], v5
	v_mfma_f32_16x16x16_f16 v[46:49], v[52:53], v[8:9], v[46:49]
	v_cvt_pk_f32_fp8_sdwa v[52:53], v5 src0_sel:WORD_1
	s_mov_b32 s3, 0
	v_cvt_pkrtz_f16_f32 v58, v58, v59
	v_mfma_f32_16x16x16_f16 v[2:5], v[2:3], v[42:43], v[46:49]
	v_cvt_pkrtz_f16_f32 v59, v52, v53
	v_cmp_gt_u32_e32 vcc, 64, v0
	s_nop 0
	v_cvt_pk_f32_fp8_e32 v[46:47], v26
	v_mfma_f32_16x16x16_f16 v[62:65], v[58:59], v[44:45], v[2:5]
	v_cvt_pk_f32_fp8_e32 v[58:59], v28
	s_nop 1
	v_cvt_pk_f32_fp8_sdwa v[2:3], v26 src0_sel:WORD_1
	v_cvt_pk_f32_fp8_e32 v[4:5], v27
	v_cvt_pkrtz_f16_f32 v26, v46, v47
	v_cvt_pk_f32_fp8_sdwa v[46:47], v27 src0_sel:WORD_1
	v_cvt_pkrtz_f16_f32 v27, v2, v3
	v_cvt_pkrtz_f16_f32 v52, v4, v5
	ds_read_b128 v[2:5], v50 offset:4096
	v_cvt_pkrtz_f16_f32 v53, v46, v47
	ds_read_b128 v[46:49], v50 offset:4112
	s_waitcnt lgkmcnt(1)
	v_mfma_f32_16x16x16_f16 v[62:65], v[26:27], v[2:3], v[62:65]
	v_cvt_pkrtz_f16_f32 v26, v58, v59
	v_cvt_pkrtz_f16_f32 v27, v66, v67
	v_cvt_pk_f32_fp8_e32 v[58:59], v29
	v_mfma_f32_16x16x16_f16 v[62:65], v[52:53], v[4:5], v[62:65]
	v_cvt_pk_f32_fp8_sdwa v[52:53], v29 src0_sel:WORD_1
	v_cvt_pk_f32_fp8_e32 v[66:67], v24
	v_cvt_pkrtz_f16_f32 v58, v58, v59
	s_waitcnt lgkmcnt(0)
	v_mfma_f32_16x16x16_f16 v[26:29], v[26:27], v[46:47], v[62:65]
	v_cvt_pkrtz_f16_f32 v59, v52, v53
	v_cvt_pk_f32_fp8_e32 v[52:53], v22
	s_nop 0
	v_mfma_f32_16x16x16_f16 v[62:65], v[58:59], v[48:49], v[26:29]
	s_nop 2
	v_cvt_pk_f32_fp8_sdwa v[26:27], v22 src0_sel:WORD_1
	v_cvt_pk_f32_fp8_e32 v[28:29], v23
	v_cvt_pkrtz_f16_f32 v22, v52, v53
	v_cvt_pk_f32_fp8_sdwa v[52:53], v23 src0_sel:WORD_1
	v_cvt_pkrtz_f16_f32 v23, v26, v27
	v_cvt_pkrtz_f16_f32 v58, v28, v29
	ds_read_b128 v[26:29], v50 offset:6144
	v_cvt_pkrtz_f16_f32 v59, v52, v53
	s_waitcnt lgkmcnt(0)
	v_mfma_f32_16x16x16_f16 v[62:65], v[22:23], v[26:27], v[62:65]
	ds_read_b128 v[50:53], v50 offset:6160
	v_cvt_pkrtz_f16_f32 v22, v66, v67
	v_cvt_pkrtz_f16_f32 v23, v68, v69
	v_cvt_pk_f32_fp8_e32 v[66:67], v25
	v_mfma_f32_16x16x16_f16 v[62:65], v[58:59], v[28:29], v[62:65]
	v_cvt_pk_f32_fp8_sdwa v[58:59], v25 src0_sel:WORD_1
	v_cvt_pk_f32_fp8_e32 v[68:69], v32
	v_cvt_pkrtz_f16_f32 v66, v66, v67
	s_waitcnt lgkmcnt(0)
	v_mfma_f32_16x16x16_f16 v[22:25], v[22:23], v[50:51], v[62:65]
	v_cvt_pkrtz_f16_f32 v67, v58, v59
	v_cvt_pk_f32_fp8_e32 v[58:59], v30
	s_nop 0
	v_cvt_pk_f32_fp8_sdwa v[62:63], v30 src0_sel:WORD_1
	v_cvt_pk_f32_fp8_e32 v[64:65], v31
	v_cvt_pkrtz_f16_f32 v58, v58, v59
	v_cvt_pk_f32_fp8_sdwa v[30:31], v31 src0_sel:WORD_1
	v_cvt_pkrtz_f16_f32 v59, v62, v63
	v_mfma_f32_16x16x16_f16 v[22:25], v[66:67], v[52:53], v[22:25]
	v_cvt_pkrtz_f16_f32 v66, v64, v65
	v_cvt_pkrtz_f16_f32 v67, v30, v31
	;; [unrolled: 1-line block ×3, first 2 shown]
	v_mfma_f32_16x16x16_f16 v[62:65], v[58:59], v[34:35], 0
	v_cvt_pkrtz_f16_f32 v31, v70, v71
	v_cvt_pk_f32_fp8_e32 v[58:59], v33
	s_barrier
	v_mfma_f32_16x16x16_f16 v[34:37], v[66:67], v[36:37], v[62:65]
	v_cvt_pkrtz_f16_f32 v58, v58, v59
	s_nop 1
	v_cvt_pk_f32_fp8_sdwa v[62:63], v33 src0_sel:WORD_1
	v_mfma_f32_16x16x16_f16 v[30:33], v[30:31], v[38:39], v[34:37]
	s_waitcnt vmcnt(2)
	v_cvt_pk_f32_fp8_e32 v[38:39], v19
	v_cvt_pkrtz_f16_f32 v59, v62, v63
	v_cvt_pk_f32_fp8_e32 v[34:35], v18
	v_cvt_pk_f32_fp8_sdwa v[36:37], v18 src0_sel:WORD_1
	v_cvt_pk_f32_fp8_sdwa v[18:19], v19 src0_sel:WORD_1
	v_mfma_f32_16x16x16_f16 v[30:33], v[58:59], v[40:41], v[30:33]
	v_cvt_pkrtz_f16_f32 v34, v34, v35
	v_cvt_pkrtz_f16_f32 v35, v36, v37
	;; [unrolled: 1-line block ×3, first 2 shown]
	v_cvt_pk_f32_fp8_e32 v[38:39], v20
	v_cvt_pk_f32_fp8_sdwa v[40:41], v20 src0_sel:WORD_1
	v_cvt_pkrtz_f16_f32 v37, v18, v19
	v_mfma_f32_16x16x16_f16 v[30:33], v[34:35], v[6:7], v[30:33]
	v_cvt_pkrtz_f16_f32 v18, v38, v39
	v_cvt_pkrtz_f16_f32 v19, v40, v41
	v_cvt_pk_f32_fp8_e32 v[34:35], v21
	v_cvt_pk_f32_fp8_sdwa v[20:21], v21 src0_sel:WORD_1
	v_mfma_f32_16x16x16_f16 v[6:9], v[36:37], v[8:9], v[30:33]
	s_nop 2
	v_cvt_pkrtz_f16_f32 v30, v34, v35
	v_cvt_pkrtz_f16_f32 v31, v20, v21
	v_mfma_f32_16x16x16_f16 v[6:9], v[18:19], v[42:43], v[6:9]
	s_waitcnt vmcnt(1)
	v_cvt_pk_f32_fp8_e32 v[18:19], v14
	v_cvt_pk_f32_fp8_sdwa v[20:21], v14 src0_sel:WORD_1
	v_cvt_pk_f32_fp8_sdwa v[32:33], v16 src0_sel:WORD_1
	v_mfma_f32_16x16x16_f16 v[6:9], v[30:31], v[44:45], v[6:9]
	v_cvt_pk_f32_fp8_e32 v[30:31], v15
	v_cvt_pkrtz_f16_f32 v18, v18, v19
	v_cvt_pkrtz_f16_f32 v19, v20, v21
	v_cvt_pk_f32_fp8_sdwa v[14:15], v15 src0_sel:WORD_1
	v_cvt_pkrtz_f16_f32 v20, v30, v31
	v_cvt_pk_f32_fp8_e32 v[30:31], v16
	v_mfma_f32_16x16x16_f16 v[6:9], v[18:19], v[2:3], v[6:9]
	v_cvt_pkrtz_f16_f32 v21, v14, v15
	v_cvt_pkrtz_f16_f32 v14, v30, v31
	v_cvt_pkrtz_f16_f32 v15, v32, v33
	v_cvt_pk_f32_fp8_e32 v[18:19], v17
	v_cvt_pk_f32_fp8_sdwa v[16:17], v17 src0_sel:WORD_1
	v_mfma_f32_16x16x16_f16 v[2:5], v[20:21], v[4:5], v[6:9]
	s_waitcnt vmcnt(0)
	v_cvt_pk_f32_fp8_sdwa v[20:21], v12 src0_sel:WORD_1
	s_nop 0
	v_cvt_pkrtz_f16_f32 v8, v18, v19
	v_cvt_pkrtz_f16_f32 v9, v16, v17
	v_mfma_f32_16x16x16_f16 v[2:5], v[14:15], v[46:47], v[2:5]
	v_cvt_pk_f32_fp8_e32 v[16:17], v10
	v_cvt_pk_f32_fp8_sdwa v[18:19], v10 src0_sel:WORD_1
	v_pk_mul_f32 v[6:7], v[24:25], s[4:5] op_sel_hi:[1,0]
	v_mfma_f32_16x16x16_f16 v[2:5], v[8:9], v[48:49], v[2:5]
	v_cvt_pk_f32_fp8_e32 v[8:9], v11
	v_cvt_pkrtz_f16_f32 v16, v16, v17
	v_cvt_pkrtz_f16_f32 v17, v18, v19
	v_cvt_pk_f32_fp8_sdwa v[10:11], v11 src0_sel:WORD_1
	v_cvt_pkrtz_f16_f32 v8, v8, v9
	v_cvt_pk_f32_fp8_e32 v[18:19], v12
	v_mfma_f32_16x16x16_f16 v[2:5], v[16:17], v[26:27], v[2:5]
	v_cvt_pkrtz_f16_f32 v9, v10, v11
	v_cvt_pkrtz_f16_f32 v10, v18, v19
	;; [unrolled: 1-line block ×3, first 2 shown]
	v_cvt_pk_f32_fp8_e32 v[16:17], v13
	v_cvt_pk_f32_fp8_sdwa v[12:13], v13 src0_sel:WORD_1
	v_mfma_f32_16x16x16_f16 v[2:5], v[8:9], v[28:29], v[2:5]
	v_pk_mul_f32 v[14:15], v[22:23], s[4:5] op_sel_hi:[1,0]
	v_cvt_pkrtz_f16_f32 v8, v16, v17
	v_cvt_pkrtz_f16_f32 v9, v12, v13
	v_mfma_f32_16x16x16_f16 v[2:5], v[10:11], v[50:51], v[2:5]
	v_cvt_f16_f32_e32 v14, v14
	v_cvt_f16_f32_e32 v10, v15
	;; [unrolled: 1-line block ×3, first 2 shown]
	v_mfma_f32_16x16x16_f16 v[2:5], v[8:9], v[52:53], v[2:5]
	v_cvt_f16_f32_e32 v7, v7
	s_nop 5
	v_pk_mul_f32 v[4:5], v[4:5], s[4:5] op_sel_hi:[1,0]
	v_pk_mul_f32 v[2:3], v[2:3], s[4:5] op_sel_hi:[1,0]
	v_cvt_f16_f32_e32 v11, v4
	v_cvt_f16_f32_e32 v8, v2
	;; [unrolled: 1-line block ×4, first 2 shown]
	v_pack_b32_f16 v2, v14, v10
	v_pack_b32_f16 v3, v6, v7
	;; [unrolled: 1-line block ×4, first 2 shown]
	ds_write2st64_b64 v55, v[2:3], v[4:5] offset1:1
	s_waitcnt lgkmcnt(0)
	s_barrier
	s_and_saveexec_b64 s[4:5], vcc
	s_cbranch_execz .LBB939_19
; %bb.18:
	s_load_dwordx2 s[0:1], s[0:1], 0x68
	s_lshl_b32 s7, s7, 7
	s_mul_i32 s2, s8, s2
	s_mul_hi_u32 s5, s2, s7
	s_mul_i32 s4, s2, s7
	s_lshl_b64 s[4:5], s[4:5], 1
	v_lshlrev_b32_e32 v4, 6, v56
	s_waitcnt lgkmcnt(0)
	s_add_u32 s4, s0, s4
	v_lshl_or_b32 v0, v0, 10, v4
	s_addc_u32 s5, s1, s5
	s_lshl_b32 s2, s6, 7
	v_lshlrev_b32_e32 v2, 5, v1
	v_and_b32_e32 v3, 16, v60
	v_and_b32_e32 v0, 0x1a00, v0
	s_lshl_b64 s[0:1], s[2:3], 1
	v_or3_b32 v0, v0, v2, v3
	s_add_u32 s0, s4, s0
	ds_read_b128 v[2:5], v0
	ds_read_b128 v[6:9], v0 offset:128
	ds_read_b128 v[10:13], v0 offset:256
	s_addc_u32 s1, s5, s1
	v_or_b32_e32 v16, s48, v1
	v_mov_b32_e32 v55, 0
	v_lshl_add_u64 v[0:1], s[0:1], 0, v[54:55]
	v_mad_u64_u32 v[14:15], s[0:1], v16, s7, 0
	v_lshl_add_u64 v[14:15], v[14:15], 1, v[0:1]
	s_waitcnt lgkmcnt(2)
	global_store_dwordx4 v[14:15], v[2:5], off
	s_nop 1
	v_add_u32_e32 v2, 4, v16
	v_mad_u64_u32 v[2:3], s[0:1], v2, s7, 0
	v_lshl_add_u64 v[2:3], v[2:3], 1, v[0:1]
	s_waitcnt lgkmcnt(1)
	global_store_dwordx4 v[2:3], v[6:9], off
	v_add_u32_e32 v2, 8, v16
	v_mad_u64_u32 v[2:3], s[0:1], v2, s7, 0
	v_lshl_add_u64 v[0:1], v[2:3], 1, v[0:1]
	s_waitcnt lgkmcnt(0)
	global_store_dwordx4 v[0:1], v[10:13], off
.LBB939_19:
	s_endpgm
	.section	.rodata,"a",@progbits
	.p2align	6, 0x0
	.amdhsa_kernel _Z39paged_attention_ll4mi_QKV_mfma16_kernelIDF16_hLN4vllm18Fp8KVCacheDataTypeE1EhLi16ELi128ELi256ELb1ELi12EEvPKT_PKT0_S7_ifPKiS9_S9_iPKfiiiPfSC_PS2_PT2_iSB_SB_
		.amdhsa_group_segment_fixed_size 8192
		.amdhsa_private_segment_fixed_size 0
		.amdhsa_kernarg_size 400
		.amdhsa_user_sgpr_count 2
		.amdhsa_user_sgpr_dispatch_ptr 0
		.amdhsa_user_sgpr_queue_ptr 0
		.amdhsa_user_sgpr_kernarg_segment_ptr 1
		.amdhsa_user_sgpr_dispatch_id 0
		.amdhsa_user_sgpr_kernarg_preload_length 0
		.amdhsa_user_sgpr_kernarg_preload_offset 0
		.amdhsa_user_sgpr_private_segment_size 0
		.amdhsa_uses_dynamic_stack 0
		.amdhsa_enable_private_segment 0
		.amdhsa_system_sgpr_workgroup_id_x 1
		.amdhsa_system_sgpr_workgroup_id_y 1
		.amdhsa_system_sgpr_workgroup_id_z 1
		.amdhsa_system_sgpr_workgroup_info 0
		.amdhsa_system_vgpr_workitem_id 0
		.amdhsa_next_free_vgpr 76
		.amdhsa_next_free_sgpr 50
		.amdhsa_accum_offset 76
		.amdhsa_reserve_vcc 1
		.amdhsa_float_round_mode_32 0
		.amdhsa_float_round_mode_16_64 0
		.amdhsa_float_denorm_mode_32 3
		.amdhsa_float_denorm_mode_16_64 3
		.amdhsa_dx10_clamp 1
		.amdhsa_ieee_mode 1
		.amdhsa_fp16_overflow 0
		.amdhsa_tg_split 0
		.amdhsa_exception_fp_ieee_invalid_op 0
		.amdhsa_exception_fp_denorm_src 0
		.amdhsa_exception_fp_ieee_div_zero 0
		.amdhsa_exception_fp_ieee_overflow 0
		.amdhsa_exception_fp_ieee_underflow 0
		.amdhsa_exception_fp_ieee_inexact 0
		.amdhsa_exception_int_div_zero 0
	.end_amdhsa_kernel
	.section	.text._Z39paged_attention_ll4mi_QKV_mfma16_kernelIDF16_hLN4vllm18Fp8KVCacheDataTypeE1EhLi16ELi128ELi256ELb1ELi12EEvPKT_PKT0_S7_ifPKiS9_S9_iPKfiiiPfSC_PS2_PT2_iSB_SB_,"axG",@progbits,_Z39paged_attention_ll4mi_QKV_mfma16_kernelIDF16_hLN4vllm18Fp8KVCacheDataTypeE1EhLi16ELi128ELi256ELb1ELi12EEvPKT_PKT0_S7_ifPKiS9_S9_iPKfiiiPfSC_PS2_PT2_iSB_SB_,comdat
.Lfunc_end939:
	.size	_Z39paged_attention_ll4mi_QKV_mfma16_kernelIDF16_hLN4vllm18Fp8KVCacheDataTypeE1EhLi16ELi128ELi256ELb1ELi12EEvPKT_PKT0_S7_ifPKiS9_S9_iPKfiiiPfSC_PS2_PT2_iSB_SB_, .Lfunc_end939-_Z39paged_attention_ll4mi_QKV_mfma16_kernelIDF16_hLN4vllm18Fp8KVCacheDataTypeE1EhLi16ELi128ELi256ELb1ELi12EEvPKT_PKT0_S7_ifPKiS9_S9_iPKfiiiPfSC_PS2_PT2_iSB_SB_
                                        ; -- End function
	.section	.AMDGPU.csdata,"",@progbits
; Kernel info:
; codeLenInByte = 6300
; NumSgprs: 56
; NumVgprs: 76
; NumAgprs: 0
; TotalNumVgprs: 76
; ScratchSize: 0
; MemoryBound: 0
; FloatMode: 240
; IeeeMode: 1
; LDSByteSize: 8192 bytes/workgroup (compile time only)
; SGPRBlocks: 6
; VGPRBlocks: 9
; NumSGPRsForWavesPerEU: 56
; NumVGPRsForWavesPerEU: 76
; AccumOffset: 76
; Occupancy: 6
; WaveLimiterHint : 1
; COMPUTE_PGM_RSRC2:SCRATCH_EN: 0
; COMPUTE_PGM_RSRC2:USER_SGPR: 2
; COMPUTE_PGM_RSRC2:TRAP_HANDLER: 0
; COMPUTE_PGM_RSRC2:TGID_X_EN: 1
; COMPUTE_PGM_RSRC2:TGID_Y_EN: 1
; COMPUTE_PGM_RSRC2:TGID_Z_EN: 1
; COMPUTE_PGM_RSRC2:TIDIG_COMP_CNT: 0
; COMPUTE_PGM_RSRC3_GFX90A:ACCUM_OFFSET: 18
; COMPUTE_PGM_RSRC3_GFX90A:TG_SPLIT: 0
	.section	.text._Z39paged_attention_ll4mi_QKV_mfma16_kernelIDF16_hLN4vllm18Fp8KVCacheDataTypeE1EhLi16ELi128ELi256ELb1ELi13EEvPKT_PKT0_S7_ifPKiS9_S9_iPKfiiiPfSC_PS2_PT2_iSB_SB_,"axG",@progbits,_Z39paged_attention_ll4mi_QKV_mfma16_kernelIDF16_hLN4vllm18Fp8KVCacheDataTypeE1EhLi16ELi128ELi256ELb1ELi13EEvPKT_PKT0_S7_ifPKiS9_S9_iPKfiiiPfSC_PS2_PT2_iSB_SB_,comdat
	.protected	_Z39paged_attention_ll4mi_QKV_mfma16_kernelIDF16_hLN4vllm18Fp8KVCacheDataTypeE1EhLi16ELi128ELi256ELb1ELi13EEvPKT_PKT0_S7_ifPKiS9_S9_iPKfiiiPfSC_PS2_PT2_iSB_SB_ ; -- Begin function _Z39paged_attention_ll4mi_QKV_mfma16_kernelIDF16_hLN4vllm18Fp8KVCacheDataTypeE1EhLi16ELi128ELi256ELb1ELi13EEvPKT_PKT0_S7_ifPKiS9_S9_iPKfiiiPfSC_PS2_PT2_iSB_SB_
	.globl	_Z39paged_attention_ll4mi_QKV_mfma16_kernelIDF16_hLN4vllm18Fp8KVCacheDataTypeE1EhLi16ELi128ELi256ELb1ELi13EEvPKT_PKT0_S7_ifPKiS9_S9_iPKfiiiPfSC_PS2_PT2_iSB_SB_
	.p2align	8
	.type	_Z39paged_attention_ll4mi_QKV_mfma16_kernelIDF16_hLN4vllm18Fp8KVCacheDataTypeE1EhLi16ELi128ELi256ELb1ELi13EEvPKT_PKT0_S7_ifPKiS9_S9_iPKfiiiPfSC_PS2_PT2_iSB_SB_,@function
_Z39paged_attention_ll4mi_QKV_mfma16_kernelIDF16_hLN4vllm18Fp8KVCacheDataTypeE1EhLi16ELi128ELi256ELb1ELi13EEvPKT_PKT0_S7_ifPKiS9_S9_iPKfiiiPfSC_PS2_PT2_iSB_SB_: ; @_Z39paged_attention_ll4mi_QKV_mfma16_kernelIDF16_hLN4vllm18Fp8KVCacheDataTypeE1EhLi16ELi128ELi256ELb1ELi13EEvPKT_PKT0_S7_ifPKiS9_S9_iPKfiiiPfSC_PS2_PT2_iSB_SB_
; %bb.0:
	s_load_dwordx2 s[10:11], s[0:1], 0x30
	s_mov_b32 s6, s3
	s_mov_b64 s[8:9], 0
	s_waitcnt lgkmcnt(0)
	s_cmp_lg_u64 s[10:11], 0
	s_cselect_b64 s[12:13], -1, 0
	s_and_b64 vcc, exec, s[12:13]
	s_cbranch_vccz .LBB940_7
; %bb.1:
	s_add_i32 s14, s2, 1
	s_mov_b32 s15, 0
	s_lshl_b64 s[16:17], s[14:15], 2
	s_add_u32 s16, s10, s16
	s_mov_b32 s3, s15
	s_addc_u32 s17, s11, s17
	s_lshl_b64 s[14:15], s[2:3], 2
	s_add_u32 s14, s10, s14
	s_addc_u32 s15, s11, s15
	s_load_dword s5, s[16:17], 0x0
	s_load_dword s7, s[14:15], 0x0
	s_waitcnt lgkmcnt(0)
	s_sub_i32 s5, s5, s7
	s_cmp_eq_u32 s5, 1
	s_cselect_b64 s[14:15], -1, 0
	s_andn2_b64 vcc, exec, s[8:9]
	s_cbranch_vccnz .LBB940_3
.LBB940_2:
	s_mov_b32 s3, 0
	s_mov_b64 s[14:15], -1
.LBB940_3:
	s_andn2_b64 vcc, exec, s[14:15]
	s_cbranch_vccnz .LBB940_20
; %bb.4:
	s_load_dwordx2 s[8:9], s[0:1], 0x28
	s_lshl_b64 s[14:15], s[2:3], 2
	s_waitcnt lgkmcnt(0)
	s_add_u32 s8, s8, s14
	s_addc_u32 s9, s9, s15
	s_load_dword s7, s[8:9], 0x0
	s_lshl_b32 s18, s6, 8
	s_waitcnt lgkmcnt(0)
	s_cmp_ge_i32 s18, s7
	s_cbranch_scc1 .LBB940_20
; %bb.5:
	s_load_dwordx2 s[8:9], s[0:1], 0x20
	s_load_dword s5, s[0:1], 0x38
	s_add_i32 s16, s7, 15
	s_ashr_i32 s17, s16, 31
	v_and_b32_e32 v1, 0xcf, v0
	s_lshr_b32 s17, s17, 28
	v_add_u32_e32 v1, s18, v1
	s_add_i32 s16, s16, s17
	v_ashrrev_i32_e32 v2, 31, v1
	s_ashr_i32 s19, s16, 4
	v_lshrrev_b32_e32 v4, 28, v2
	s_add_i32 s19, s19, -1
	s_waitcnt lgkmcnt(0)
	s_mul_i32 s16, s2, s5
	s_mov_b32 s17, 0
	v_add_u32_e32 v2, v1, v4
	s_lshl_b64 s[16:17], s[16:17], 2
	v_ashrrev_i32_e32 v2, 4, v2
	v_mov_b32_e32 v5, s19
	v_cmp_gt_i32_e32 vcc, s7, v1
	s_add_u32 s8, s8, s16
	s_addc_u32 s9, s9, s17
	v_cndmask_b32_e32 v2, v5, v2, vcc
	v_ashrrev_i32_e32 v3, 31, v2
	v_lshl_add_u64 v[6:7], v[2:3], 2, s[8:9]
	v_or_b32_e32 v2, 16, v1
	v_add_u32_e32 v3, v2, v4
	v_ashrrev_i32_e32 v3, 4, v3
	v_cmp_gt_i32_e32 vcc, s7, v2
	s_load_dwordx2 s[16:17], s[0:1], 0x8
	s_nop 0
	v_cndmask_b32_e32 v2, v5, v3, vcc
	v_ashrrev_i32_e32 v3, 31, v2
	v_lshl_add_u64 v[8:9], v[2:3], 2, s[8:9]
	v_or_b32_e32 v2, 32, v1
	v_add_u32_e32 v3, v2, v4
	v_ashrrev_i32_e32 v3, 4, v3
	v_cmp_gt_i32_e32 vcc, s7, v2
	v_or_b32_e32 v1, 48, v1
	s_nop 0
	v_cndmask_b32_e32 v2, v5, v3, vcc
	v_ashrrev_i32_e32 v3, 31, v2
	v_lshl_add_u64 v[12:13], v[2:3], 2, s[8:9]
	v_add_u32_e32 v2, v1, v4
	v_ashrrev_i32_e32 v2, 4, v2
	v_cmp_gt_i32_e32 vcc, s7, v1
	s_nop 1
	v_cndmask_b32_e32 v2, v5, v2, vcc
	v_ashrrev_i32_e32 v3, 31, v2
	v_lshl_add_u64 v[14:15], v[2:3], 2, s[8:9]
	global_load_dword v4, v[6:7], off
	global_load_dword v3, v[8:9], off
	;; [unrolled: 1-line block ×4, first 2 shown]
	s_andn2_b64 vcc, exec, s[12:13]
	s_cbranch_vccnz .LBB940_8
; %bb.6:
	s_add_u32 s10, s10, s14
	s_addc_u32 s11, s11, s15
	s_load_dword s5, s[10:11], 0x0
	s_branch .LBB940_9
.LBB940_7:
	s_mov_b64 s[14:15], 0
	s_branch .LBB940_2
.LBB940_8:
	s_mov_b32 s5, s2
.LBB940_9:
	s_load_dwordx2 s[10:11], s[0:1], 0x10
	s_load_dwordx4 s[44:47], s[0:1], 0x48
	v_lshrrev_b32_e32 v57, 6, v0
	v_bfe_u32 v60, v0, 4, 2
	v_and_b32_e32 v56, 15, v0
	v_lshl_or_b32 v5, v57, 2, v60
	v_lshlrev_b32_e32 v1, 3, v56
	s_mul_i32 s48, s4, 13
	v_cmp_gt_u32_e32 vcc, 13, v5
	v_lshlrev_b32_e32 v54, 1, v1
	v_lshlrev_b32_e32 v1, 4, v0
	s_and_saveexec_b64 s[12:13], vcc
	s_cbranch_execz .LBB940_11
; %bb.10:
	s_load_dwordx2 s[14:15], s[0:1], 0x0
	s_waitcnt lgkmcnt(0)
	s_ashr_i32 s20, s44, 31
	s_mul_hi_u32 s21, s5, s44
	s_mul_i32 s20, s5, s20
	s_add_i32 s21, s21, s20
	s_mul_i32 s20, s5, s44
	s_lshl_b64 s[20:21], s[20:21], 1
	s_add_u32 s14, s14, s20
	v_add_lshl_u32 v6, v5, s48, 7
	s_addc_u32 s15, s15, s21
	v_ashrrev_i32_e32 v7, 31, v6
	v_lshl_add_u64 v[6:7], v[6:7], 1, s[14:15]
	v_mov_b32_e32 v55, 0
	v_lshl_add_u64 v[6:7], v[6:7], 0, v[54:55]
	global_load_dwordx4 v[6:9], v[6:7], off
	v_lshlrev_b32_e32 v12, 8, v0
	v_lshlrev_b32_e32 v11, 8, v56
	v_and_b32_e32 v12, 0x600, v12
	s_movk_i32 s5, 0x800
	v_and_or_b32 v11, v11, s5, v12
	v_lshlrev_b32_e32 v5, 5, v5
	v_and_b32_e32 v12, 16, v1
	v_or3_b32 v5, v11, v5, v12
	s_waitcnt vmcnt(0)
	ds_write_b128 v5, v[6:9]
.LBB940_11:
	s_or_b64 exec, exec, s[12:13]
	s_waitcnt lgkmcnt(0)
	s_mul_i32 s12, s4, s46
	s_add_u32 s4, s16, s12
	s_addc_u32 s5, s17, 0
	v_and_b32_e32 v58, 0xf0, v1
	v_mov_b32_e32 v59, 0
	v_and_b32_e32 v34, 48, v0
	v_lshl_add_u64 v[12:13], s[4:5], 0, v[58:59]
	v_lshlrev_b32_e32 v58, 4, v34
	s_waitcnt vmcnt(3)
	v_mad_i64_i32 v[4:5], s[4:5], v4, s45, v[12:13]
	v_lshl_add_u64 v[4:5], v[4:5], 0, v[58:59]
	s_barrier
	global_load_dwordx4 v[50:53], v[4:5], off
	global_load_dwordx4 v[46:49], v[4:5], off offset:1024
	s_waitcnt vmcnt(4)
	v_mad_i64_i32 v[4:5], s[4:5], v3, s45, v[12:13]
	s_waitcnt vmcnt(3)
	v_mad_i64_i32 v[2:3], s[4:5], v2, s45, v[12:13]
	v_lshl_add_u64 v[4:5], v[4:5], 0, v[58:59]
	v_lshl_add_u64 v[14:15], v[2:3], 0, v[58:59]
	s_waitcnt vmcnt(2)
	v_mad_i64_i32 v[10:11], s[4:5], v10, s45, v[12:13]
	global_load_dwordx4 v[36:39], v[4:5], off
	global_load_dwordx4 v[6:9], v[4:5], off offset:1024
	s_nop 0
	global_load_dwordx4 v[2:5], v[14:15], off
	global_load_dwordx4 v[42:45], v[14:15], off offset:1024
	v_lshl_add_u64 v[14:15], v[10:11], 0, v[58:59]
	global_load_dwordx4 v[26:29], v[14:15], off
	global_load_dwordx4 v[10:13], v[14:15], off offset:1024
	v_add_u32_e32 v14, -13, v56
	v_cmp_gt_u32_e32 vcc, 13, v56
	v_and_b32_e32 v55, 63, v0
	v_mov_b32_e32 v61, 0
	v_cndmask_b32_e32 v14, v14, v56, vcc
	v_lshlrev_b32_e32 v14, 5, v14
	v_lshl_add_u32 v14, v60, 9, v14
	ds_read_b128 v[30:33], v14
	ds_read_b128 v[22:25], v14 offset:16
	ds_read_b128 v[18:21], v14 offset:2048
	;; [unrolled: 1-line block ×3, first 2 shown]
	s_and_saveexec_b64 s[4:5], vcc
	s_cbranch_execz .LBB940_13
; %bb.12:
	s_load_dwordx2 s[14:15], s[0:1], 0x40
	v_add_u32_e32 v40, s48, v56
	v_ashrrev_i32_e32 v41, 31, v40
	s_waitcnt lgkmcnt(0)
	v_lshl_add_u64 v[40:41], v[40:41], 2, s[14:15]
	global_load_dword v61, v[40:41], off
.LBB940_13:
	s_or_b64 exec, exec, s[4:5]
	v_or_b32_e32 v58, s18, v34
	v_ashrrev_i32_e32 v34, 4, v58
	v_mov_b32_e32 v63, s19
	v_cmp_gt_i32_e32 vcc, s7, v58
	s_waitcnt vmcnt(7)
	v_cvt_pk_f32_fp8_e32 v[40:41], v50
	v_cvt_pk_f32_fp8_sdwa v[64:65], v50 src0_sel:WORD_1
	v_cndmask_b32_e32 v34, v63, v34, vcc
	v_ashrrev_i32_e32 v35, 31, v34
	v_lshl_add_u64 v[34:35], v[34:35], 2, s[8:9]
	global_load_dword v62, v[34:35], off
	v_or_b32_e32 v34, 64, v58
	v_ashrrev_i32_e32 v35, 4, v34
	v_cmp_gt_i32_e32 vcc, s7, v34
	v_or_b32_e32 v66, 0x80, v58
	v_ashrrev_i32_e32 v67, 4, v66
	v_cndmask_b32_e32 v34, v63, v35, vcc
	v_cmp_gt_i32_e32 vcc, s7, v66
	v_cvt_pkrtz_f16_f32 v40, v40, v41
	v_cvt_pkrtz_f16_f32 v41, v64, v65
	v_cndmask_b32_e32 v50, v63, v67, vcc
	v_cvt_pk_f32_fp8_e32 v[64:65], v51
	v_cvt_pk_f32_fp8_sdwa v[66:67], v51 src0_sel:WORD_1
	v_ashrrev_i32_e32 v51, 31, v50
	v_lshl_add_u64 v[68:69], v[50:51], 2, s[8:9]
	v_cvt_pkrtz_f16_f32 v50, v64, v65
	v_cvt_pkrtz_f16_f32 v51, v66, v67
	s_waitcnt lgkmcnt(3)
	v_mfma_f32_16x16x16_f16 v[64:67], v[40:41], v[30:31], 0
	v_cvt_pk_f32_fp8_e32 v[40:41], v52
	v_cvt_pk_f32_fp8_sdwa v[70:71], v52 src0_sel:WORD_1
	s_waitcnt vmcnt(7)
	v_cvt_pk_f32_fp8_e32 v[72:73], v46
	v_mfma_f32_16x16x16_f16 v[64:67], v[50:51], v[32:33], v[64:67]
	v_cvt_pk_f32_fp8_e32 v[50:51], v53
	v_cvt_pkrtz_f16_f32 v40, v40, v41
	v_cvt_pkrtz_f16_f32 v41, v70, v71
	v_cvt_pk_f32_fp8_sdwa v[52:53], v53 src0_sel:WORD_1
	v_cvt_pkrtz_f16_f32 v70, v50, v51
	v_cvt_pk_f32_fp8_sdwa v[74:75], v46 src0_sel:WORD_1
	v_ashrrev_i32_e32 v35, 31, v34
	v_cvt_pkrtz_f16_f32 v71, v52, v53
	s_waitcnt lgkmcnt(2)
	v_mfma_f32_16x16x16_f16 v[50:53], v[40:41], v[22:23], v[64:67]
	v_cvt_pkrtz_f16_f32 v40, v72, v73
	v_cvt_pkrtz_f16_f32 v41, v74, v75
	v_or_b32_e32 v58, 0xc0, v58
	v_cvt_pk_f32_fp8_e32 v[64:65], v47
	v_cvt_pk_f32_fp8_sdwa v[46:47], v47 src0_sel:WORD_1
	v_mfma_f32_16x16x16_f16 v[50:53], v[70:71], v[24:25], v[50:53]
	v_lshl_add_u64 v[34:35], v[34:35], 2, s[8:9]
	v_cvt_pkrtz_f16_f32 v64, v64, v65
	v_cvt_pkrtz_f16_f32 v65, v46, v47
	s_waitcnt lgkmcnt(1)
	v_mfma_f32_16x16x16_f16 v[50:53], v[40:41], v[18:19], v[50:53]
	v_ashrrev_i32_e32 v66, 4, v58
	v_cmp_gt_i32_e32 vcc, s7, v58
	v_cvt_pk_f32_fp8_e32 v[46:47], v48
	s_waitcnt vmcnt(6)
	v_cvt_pk_f32_fp8_sdwa v[70:71], v36 src0_sel:WORD_1
	v_cndmask_b32_e32 v40, v63, v66, vcc
	v_mfma_f32_16x16x16_f16 v[64:67], v[64:65], v[20:21], v[50:53]
	v_ashrrev_i32_e32 v41, 31, v40
	v_lshl_add_u64 v[40:41], v[40:41], 2, s[8:9]
	v_cvt_pkrtz_f16_f32 v46, v46, v47
	global_load_dword v53, v[34:35], off
	global_load_dword v63, v[40:41], off
	v_cvt_pk_f32_fp8_sdwa v[50:51], v48 src0_sel:WORD_1
	v_cvt_pk_f32_fp8_e32 v[34:35], v49
	v_cvt_pk_f32_fp8_sdwa v[48:49], v49 src0_sel:WORD_1
	s_add_u32 s46, s10, s12
	v_cvt_pkrtz_f16_f32 v47, v50, v51
	v_cvt_pkrtz_f16_f32 v34, v34, v35
	;; [unrolled: 1-line block ×3, first 2 shown]
	s_waitcnt lgkmcnt(0)
	v_mfma_f32_16x16x16_f16 v[46:49], v[46:47], v[14:15], v[64:67]
	v_cvt_pk_f32_fp8_e32 v[50:51], v36
	s_nop 1
	global_load_dword v64, v[68:69], off
	v_cvt_pk_f32_fp8_e32 v[66:67], v37
	s_waitcnt vmcnt(8)
	v_cvt_pk_f32_fp8_e32 v[68:69], v6
	v_cvt_pkrtz_f16_f32 v50, v50, v51
	v_cvt_pkrtz_f16_f32 v51, v70, v71
	v_cvt_pk_f32_fp8_sdwa v[70:71], v37 src0_sel:WORD_1
	v_cvt_pkrtz_f16_f32 v40, v66, v67
	v_mfma_f32_16x16x16_f16 v[34:37], v[34:35], v[16:17], v[46:49]
	v_cvt_pk_f32_fp8_sdwa v[66:67], v38 src0_sel:WORD_1
	v_cvt_pkrtz_f16_f32 v41, v70, v71
	v_cvt_pk_f32_fp8_sdwa v[70:71], v6 src0_sel:WORD_1
	v_mfma_f32_16x16x16_f16 v[46:49], v[50:51], v[30:31], 0
	v_cvt_pk_f32_fp8_e32 v[50:51], v38
	v_lshl_or_b32 v52, v57, 4, v56
	s_waitcnt vmcnt(6)
	v_cvt_pk_f32_fp8_e32 v[72:73], v43
	v_mfma_f32_16x16x16_f16 v[46:49], v[40:41], v[32:33], v[46:49]
	v_cvt_pk_f32_fp8_e32 v[40:41], v39
	v_cvt_pkrtz_f16_f32 v50, v50, v51
	v_cvt_pkrtz_f16_f32 v51, v66, v67
	v_cvt_pk_f32_fp8_sdwa v[38:39], v39 src0_sel:WORD_1
	v_cvt_pkrtz_f16_f32 v66, v40, v41
	s_addc_u32 s47, s11, 0
	v_lshlrev_b32_e32 v58, 4, v52
	v_cvt_pkrtz_f16_f32 v67, v38, v39
	v_mfma_f32_16x16x16_f16 v[38:41], v[50:51], v[22:23], v[46:49]
	v_cvt_pk_f32_fp8_sdwa v[50:51], v2 src0_sel:WORD_1
	s_nop 1
	v_cvt_pkrtz_f16_f32 v46, v68, v69
	v_cvt_pkrtz_f16_f32 v47, v70, v71
	v_cvt_pk_f32_fp8_e32 v[48:49], v7
	v_cvt_pk_f32_fp8_sdwa v[6:7], v7 src0_sel:WORD_1
	v_mfma_f32_16x16x16_f16 v[38:41], v[66:67], v[24:25], v[38:41]
	v_lshl_add_u64 v[70:71], s[46:47], 0, v[58:59]
	v_cvt_pkrtz_f16_f32 v48, v48, v49
	v_cvt_pkrtz_f16_f32 v49, v6, v7
	v_mfma_f32_16x16x16_f16 v[38:41], v[46:47], v[18:19], v[38:41]
	v_cvt_pk_f32_fp8_e32 v[6:7], v8
	v_cvt_pk_f32_fp8_sdwa v[46:47], v8 src0_sel:WORD_1
	v_or_b32_e32 v58, 0x400, v58
	v_mfma_f32_16x16x16_f16 v[38:41], v[48:49], v[20:21], v[38:41]
	v_cvt_pk_f32_fp8_e32 v[48:49], v9
	v_cvt_pkrtz_f16_f32 v6, v6, v7
	v_cvt_pkrtz_f16_f32 v7, v46, v47
	v_cvt_pk_f32_fp8_sdwa v[8:9], v9 src0_sel:WORD_1
	v_cvt_pkrtz_f16_f32 v46, v48, v49
	v_cvt_pk_f32_fp8_e32 v[48:49], v2
	v_cvt_pkrtz_f16_f32 v47, v8, v9
	v_mfma_f32_16x16x16_f16 v[6:9], v[6:7], v[14:15], v[38:41]
	v_cvt_pkrtz_f16_f32 v48, v48, v49
	v_cvt_pkrtz_f16_f32 v49, v50, v51
	v_cvt_pk_f32_fp8_e32 v[50:51], v3
	v_cvt_pk_f32_fp8_sdwa v[2:3], v3 src0_sel:WORD_1
	v_mfma_f32_16x16x16_f16 v[38:41], v[46:47], v[16:17], v[6:9]
	v_cvt_pkrtz_f16_f32 v46, v50, v51
	v_cvt_pkrtz_f16_f32 v47, v2, v3
	v_mfma_f32_16x16x16_f16 v[6:9], v[48:49], v[30:31], 0
	v_cvt_pk_f32_fp8_e32 v[2:3], v4
	v_cvt_pk_f32_fp8_sdwa v[48:49], v4 src0_sel:WORD_1
	s_waitcnt vmcnt(3)
	v_mad_i64_i32 v[50:51], s[4:5], v62, s45, v[70:71]
	v_cvt_pkrtz_f16_f32 v2, v2, v3
	v_cvt_pkrtz_f16_f32 v3, v48, v49
	v_mfma_f32_16x16x16_f16 v[6:9], v[46:47], v[32:33], v[6:9]
	v_cvt_pk_f32_fp8_e32 v[46:47], v5
	v_cvt_pk_f32_fp8_sdwa v[4:5], v5 src0_sel:WORD_1
	s_waitcnt vmcnt(2)
	v_mad_i64_i32 v[66:67], s[4:5], v53, s45, v[70:71]
	v_cvt_pkrtz_f16_f32 v46, v46, v47
	v_cvt_pkrtz_f16_f32 v47, v4, v5
	v_mfma_f32_16x16x16_f16 v[2:5], v[2:3], v[22:23], v[6:9]
	s_nop 2
	v_cvt_pk_f32_fp8_e32 v[6:7], v42
	v_cvt_pk_f32_fp8_sdwa v[8:9], v42 src0_sel:WORD_1
	v_cvt_pk_f32_fp8_sdwa v[42:43], v43 src0_sel:WORD_1
	v_mfma_f32_16x16x16_f16 v[46:49], v[46:47], v[24:25], v[2:5]
	v_cvt_pkrtz_f16_f32 v68, v6, v7
	v_cvt_pkrtz_f16_f32 v69, v8, v9
	global_load_dwordx4 v[6:9], v[50:51], off
	global_load_dwordx4 v[2:5], v[66:67], off
	v_cvt_pkrtz_f16_f32 v66, v72, v73
	v_cvt_pkrtz_f16_f32 v67, v42, v43
	v_mfma_f32_16x16x16_f16 v[48:51], v[68:69], v[18:19], v[46:49]
	v_cvt_pk_f32_fp8_e32 v[42:43], v44
	v_cvt_pk_f32_fp8_sdwa v[72:73], v44 src0_sel:WORD_1
	s_waitcnt vmcnt(2)
	v_mad_i64_i32 v[46:47], s[4:5], v64, s45, v[70:71]
	v_mfma_f32_16x16x16_f16 v[66:69], v[66:67], v[20:21], v[48:51]
	v_cvt_pkrtz_f16_f32 v42, v42, v43
	v_cvt_pkrtz_f16_f32 v43, v72, v73
	v_cvt_pk_f32_fp8_sdwa v[72:73], v26 src0_sel:WORD_1
	v_cvt_pk_f32_fp8_e32 v[50:51], v45
	v_cvt_pk_f32_fp8_sdwa v[44:45], v45 src0_sel:WORD_1
	v_mad_i64_i32 v[48:49], s[4:5], v63, s45, v[70:71]
	v_cvt_pkrtz_f16_f32 v50, v50, v51
	v_cvt_pkrtz_f16_f32 v51, v44, v45
	v_mfma_f32_16x16x16_f16 v[42:45], v[42:43], v[14:15], v[66:69]
	v_cvt_pk_f32_fp8_e32 v[70:71], v26
	s_load_dword s4, s[0:1], 0x1c
	s_load_dwordx4 s[40:43], s[0:1], 0x80
	s_load_dword s33, s[0:1], 0x98
	s_waitcnt lgkmcnt(0)
	s_load_dword s5, s[40:41], 0x0
	v_mfma_f32_16x16x16_f16 v[66:69], v[50:51], v[16:17], v[42:45]
	s_mov_b32 s40, 0xff7fffff
	s_nop 1
	v_cvt_pk_f32_fp8_e32 v[42:43], v27
	v_cvt_pkrtz_f16_f32 v44, v70, v71
	v_cvt_pkrtz_f16_f32 v45, v72, v73
	v_cvt_pk_f32_fp8_sdwa v[26:27], v27 src0_sel:WORD_1
	v_cvt_pkrtz_f16_f32 v50, v42, v43
	v_cvt_pk_f32_fp8_e32 v[70:71], v28
	v_cvt_pk_f32_fp8_sdwa v[72:73], v28 src0_sel:WORD_1
	v_cvt_pkrtz_f16_f32 v51, v26, v27
	v_mfma_f32_16x16x16_f16 v[42:45], v[44:45], v[30:31], 0
	v_cvt_pkrtz_f16_f32 v30, v70, v71
	v_cvt_pkrtz_f16_f32 v31, v72, v73
	v_cvt_pk_f32_fp8_e32 v[70:71], v29
	v_cvt_pk_f32_fp8_sdwa v[72:73], v29 src0_sel:WORD_1
	v_mfma_f32_16x16x16_f16 v[26:29], v[50:51], v[32:33], v[42:45]
	v_mov_b32_e32 v32, s4
	s_waitcnt lgkmcnt(0)
	v_mul_f32_e32 v50, s5, v32
	v_pk_mul_f32 v[32:33], v[50:51], v[34:35] op_sel_hi:[0,1]
	v_cvt_pkrtz_f16_f32 v42, v70, v71
	v_cvt_pkrtz_f16_f32 v43, v72, v73
	v_mfma_f32_16x16x16_f16 v[26:29], v[30:31], v[22:23], v[26:29]
	v_pk_mul_f32 v[30:31], v[50:51], v[36:37] op_sel_hi:[0,1]
	v_cvt_pk_f32_fp8_e32 v[22:23], v10
	v_cvt_pk_f32_fp8_sdwa v[70:71], v12 src0_sel:WORD_1
	v_mfma_f32_16x16x16_f16 v[34:37], v[42:43], v[24:25], v[26:29]
	v_cvt_pk_f32_fp8_sdwa v[24:25], v10 src0_sel:WORD_1
	v_cvt_pkrtz_f16_f32 v42, v22, v23
	v_pk_mul_f32 v[40:41], v[50:51], v[40:41] op_sel_hi:[0,1]
	v_cvt_pk_f32_fp8_e32 v[26:27], v11
	v_cvt_pk_f32_fp8_sdwa v[10:11], v11 src0_sel:WORD_1
	v_cvt_pkrtz_f16_f32 v43, v24, v25
	v_cvt_pkrtz_f16_f32 v44, v26, v27
	;; [unrolled: 1-line block ×3, first 2 shown]
	v_cvt_pk_f32_fp8_e32 v[10:11], v12
	v_mfma_f32_16x16x16_f16 v[34:37], v[42:43], v[18:19], v[34:37]
	global_load_dwordx4 v[26:29], v[46:47], off
	global_load_dwordx4 v[22:25], v[48:49], off
	v_cvt_pkrtz_f16_f32 v19, v70, v71
	v_cvt_pkrtz_f16_f32 v18, v10, v11
	v_cvt_pk_f32_fp8_e32 v[42:43], v13
	v_cvt_pk_f32_fp8_sdwa v[46:47], v13 src0_sel:WORD_1
	v_mfma_f32_16x16x16_f16 v[10:13], v[44:45], v[20:21], v[34:37]
	v_pk_mul_f32 v[44:45], v[50:51], v[38:39] op_sel_hi:[0,1]
	v_cvt_pkrtz_f16_f32 v20, v42, v43
	v_cvt_pkrtz_f16_f32 v21, v46, v47
	v_mfma_f32_16x16x16_f16 v[10:13], v[18:19], v[14:15], v[10:13]
	v_pk_mul_f32 v[38:39], v[50:51], v[68:69] op_sel_hi:[0,1]
	v_pk_mul_f32 v[42:43], v[50:51], v[66:67] op_sel_hi:[0,1]
	v_mfma_f32_16x16x16_f16 v[10:13], v[20:21], v[16:17], v[10:13]
	s_nop 6
	v_pk_mul_f32 v[36:37], v[50:51], v[10:11] op_sel_hi:[0,1]
	v_and_b32_e32 v10, 0xc0, v0
	v_add_u32_e32 v10, s18, v10
	v_lshl_or_b32 v10, v60, 2, v10
	v_or_b32_e32 v11, 1, v10
	v_pk_mul_f32 v[34:35], v[50:51], v[12:13] op_sel_hi:[0,1]
	v_subrev_u32_e32 v12, s7, v11
	v_add_u32_e32 v14, 1, v12
	v_add_u32_e32 v15, 2, v12
	v_cvt_f32_i32_e32 v13, v12
	v_cvt_f32_i32_e32 v14, v14
	v_cvt_f32_i32_e32 v15, v15
	v_add_u32_e32 v16, 3, v12
	v_fma_f32 v18, v61, v13, v32
	v_fmac_f32_e32 v33, v61, v14
	v_fma_f32 v48, v61, v15, v30
	v_add_u32_e32 v13, 16, v12
	v_add_u32_e32 v14, 17, v12
	;; [unrolled: 1-line block ×3, first 2 shown]
	v_cvt_f32_i32_e32 v16, v16
	v_cvt_f32_i32_e32 v13, v13
	;; [unrolled: 1-line block ×4, first 2 shown]
	v_fmac_f32_e32 v31, v61, v16
	v_add_u32_e32 v16, 19, v12
	v_fma_f32 v44, v61, v13, v44
	v_fmac_f32_e32 v45, v61, v14
	v_fma_f32 v40, v61, v15, v40
	v_add_u32_e32 v13, 32, v12
	v_add_u32_e32 v14, 33, v12
	;; [unrolled: 1-line block ×3, first 2 shown]
	v_cvt_f32_i32_e32 v16, v16
	v_cvt_f32_i32_e32 v13, v13
	;; [unrolled: 1-line block ×4, first 2 shown]
	v_fmac_f32_e32 v41, v61, v16
	v_add_u32_e32 v16, 35, v12
	v_fma_f32 v42, v61, v13, v42
	v_fmac_f32_e32 v43, v61, v14
	v_fma_f32 v38, v61, v15, v38
	v_add_u32_e32 v13, 48, v12
	v_add_u32_e32 v14, 49, v12
	;; [unrolled: 1-line block ×4, first 2 shown]
	v_cvt_f32_i32_e32 v12, v12
	v_cvt_f32_i32_e32 v13, v13
	v_cvt_f32_i32_e32 v14, v14
	v_cmp_gt_i32_e64 s[8:9], s7, v10
	v_fmac_f32_e32 v35, v61, v12
	v_mov_b32_e32 v12, 0xff7fffff
	v_cmp_gt_i32_e64 s[10:11], s7, v11
	v_fma_f32 v36, v61, v13, v36
	v_cndmask_b32_e64 v13, v12, v18, s[8:9]
	v_cndmask_b32_e64 v11, v12, v33, s[10:11]
	v_fmac_f32_e32 v37, v61, v14
	v_max3_f32 v11, v13, s40, v11
	v_or_b32_e32 v13, 2, v10
	v_or_b32_e32 v14, 3, v10
	v_cmp_gt_i32_e64 s[12:13], s7, v13
	v_cmp_gt_i32_e64 s[14:15], s7, v14
	v_cvt_f32_i32_e32 v16, v16
	v_cndmask_b32_e64 v13, v12, v48, s[12:13]
	v_cndmask_b32_e64 v14, v12, v31, s[14:15]
	v_max3_f32 v11, v11, v13, v14
	v_or_b32_e32 v13, 16, v10
	v_or_b32_e32 v14, 17, v10
	v_cmp_gt_i32_e64 s[16:17], s7, v13
	v_cmp_gt_i32_e64 s[18:19], s7, v14
	v_fmac_f32_e32 v39, v61, v16
	v_cndmask_b32_e64 v13, v12, v44, s[16:17]
	v_cndmask_b32_e64 v14, v12, v45, s[18:19]
	v_max3_f32 v11, v11, v13, v14
	v_or_b32_e32 v13, 18, v10
	v_or_b32_e32 v14, 19, v10
	v_cmp_gt_i32_e64 s[20:21], s7, v13
	v_cmp_gt_i32_e64 s[22:23], s7, v14
	v_cvt_f32_i32_e32 v15, v15
	v_cndmask_b32_e64 v13, v12, v40, s[20:21]
	v_cndmask_b32_e64 v14, v12, v41, s[22:23]
	v_max3_f32 v11, v11, v13, v14
	v_or_b32_e32 v13, 32, v10
	v_or_b32_e32 v14, 33, v10
	v_cmp_gt_i32_e64 s[24:25], s7, v13
	v_cmp_gt_i32_e64 s[26:27], s7, v14
	v_fma_f32 v34, v61, v15, v34
	v_cndmask_b32_e64 v13, v12, v42, s[24:25]
	v_cndmask_b32_e64 v14, v12, v43, s[26:27]
	v_max3_f32 v11, v11, v13, v14
	v_or_b32_e32 v13, 34, v10
	v_or_b32_e32 v14, 35, v10
	v_cmp_gt_i32_e64 s[28:29], s7, v13
	v_cmp_gt_i32_e64 s[30:31], s7, v14
	s_nop 0
	v_cndmask_b32_e64 v13, v12, v38, s[28:29]
	v_cndmask_b32_e64 v14, v12, v39, s[30:31]
	v_max3_f32 v11, v11, v13, v14
	v_or_b32_e32 v13, 48, v10
	v_or_b32_e32 v14, 49, v10
	v_cmp_gt_i32_e64 s[34:35], s7, v13
	v_cmp_gt_i32_e64 s[36:37], s7, v14
	s_nop 0
	v_cndmask_b32_e64 v13, v12, v36, s[34:35]
	v_cndmask_b32_e64 v14, v12, v37, s[36:37]
	v_max3_f32 v11, v11, v13, v14
	v_or_b32_e32 v13, 50, v10
	v_or_b32_e32 v10, 51, v10
	v_cmp_gt_i32_e32 vcc, s7, v13
	v_cmp_gt_i32_e64 s[4:5], s7, v10
	s_nop 0
	v_cndmask_b32_e32 v13, v12, v34, vcc
	v_cndmask_b32_e64 v10, v12, v35, s[4:5]
	v_max3_f32 v14, v11, v13, v10
	v_mbcnt_lo_u32_b32 v10, -1, 0
	v_mbcnt_hi_u32_b32 v15, -1, v10
	v_and_b32_e32 v10, 64, v15
	v_add_u32_e32 v16, 64, v10
	v_xor_b32_e32 v10, 32, v15
	v_cmp_lt_i32_e64 s[38:39], v10, v16
	s_nop 1
	v_cndmask_b32_e64 v10, v15, v10, s[38:39]
	v_lshlrev_b32_e32 v51, 2, v10
	ds_bpermute_b32 v17, v51, v14
	v_lshl_add_u64 v[10:11], s[46:47], 0, v[58:59]
	v_mad_i64_i32 v[12:13], s[38:39], v62, s45, v[10:11]
	s_waitcnt lgkmcnt(0)
	v_max_f32_e32 v17, v17, v17
	v_max_f32_e32 v19, v14, v17
	v_xor_b32_e32 v14, 16, v15
	v_cmp_lt_i32_e64 s[38:39], v14, v16
	s_nop 1
	v_cndmask_b32_e64 v14, v15, v14, s[38:39]
	v_lshlrev_b32_e32 v58, 2, v14
	ds_bpermute_b32 v20, v58, v19
	v_mad_i64_i32 v[14:15], s[38:39], v53, s45, v[10:11]
	v_mad_i64_i32 v[16:17], s[38:39], v64, s45, v[10:11]
	s_waitcnt lgkmcnt(0)
	v_max_f32_e32 v20, v20, v20
	v_max_f32_e32 v50, v19, v20
	v_sub_f32_e32 v18, v18, v50
	v_sub_f32_e32 v19, v33, v50
	v_mul_f32_e32 v18, 0x3fb8aa3b, v18
	v_mul_f32_e32 v19, 0x3fb8aa3b, v19
	v_exp_f32_e32 v18, v18
	v_exp_f32_e32 v19, v19
	v_sub_f32_e32 v49, v31, v50
	v_mad_i64_i32 v[10:11], s[38:39], v63, s45, v[10:11]
	v_cndmask_b32_e64 v46, 0, v18, s[8:9]
	v_cndmask_b32_e64 v47, 0, v19, s[10:11]
	global_load_dwordx4 v[30:33], v[12:13], off
	global_load_dwordx4 v[18:21], v[14:15], off
	v_sub_f32_e32 v12, v48, v50
	v_mul_f32_e32 v12, 0x3fb8aa3b, v12
	v_exp_f32_e32 v48, v12
	global_load_dwordx4 v[14:17], v[16:17], off
	s_nop 0
	global_load_dwordx4 v[10:13], v[10:11], off
	v_sub_f32_e32 v40, v40, v50
	v_sub_f32_e32 v42, v42, v50
	v_mul_f32_e32 v40, 0x3fb8aa3b, v40
	v_mul_f32_e32 v42, 0x3fb8aa3b, v42
	v_exp_f32_e32 v40, v40
	v_exp_f32_e32 v53, v42
	v_mul_f32_e32 v49, 0x3fb8aa3b, v49
	v_sub_f32_e32 v44, v44, v50
	v_exp_f32_e32 v49, v49
	v_mul_f32_e32 v44, 0x3fb8aa3b, v44
	v_sub_f32_e32 v45, v45, v50
	v_sub_f32_e32 v42, v43, v50
	v_exp_f32_e32 v44, v44
	v_mul_f32_e32 v45, 0x3fb8aa3b, v45
	v_mul_f32_e32 v42, 0x3fb8aa3b, v42
	v_exp_f32_e32 v45, v45
	v_sub_f32_e32 v41, v41, v50
	v_exp_f32_e32 v59, v42
	v_cndmask_b32_e64 v42, 0, v40, s[20:21]
	v_cndmask_b32_e64 v40, 0, v53, s[24:25]
	v_add_f32_e32 v53, 0, v46
	v_cndmask_b32_e64 v48, 0, v48, s[12:13]
	v_mul_f32_e32 v41, 0x3fb8aa3b, v41
	v_add_f32_e32 v53, v53, v47
	v_cndmask_b32_e64 v49, 0, v49, s[14:15]
	v_exp_f32_e32 v41, v41
	v_add_f32_e32 v53, v53, v48
	v_cndmask_b32_e64 v44, 0, v44, s[16:17]
	v_sub_f32_e32 v38, v38, v50
	v_add_f32_e32 v53, v53, v49
	v_cndmask_b32_e64 v45, 0, v45, s[18:19]
	v_sub_f32_e32 v39, v39, v50
	v_mul_f32_e32 v38, 0x3fb8aa3b, v38
	v_add_f32_e32 v53, v53, v44
	v_exp_f32_e32 v38, v38
	v_mul_f32_e32 v39, 0x3fb8aa3b, v39
	v_sub_f32_e32 v36, v36, v50
	v_add_f32_e32 v53, v53, v45
	v_cndmask_b32_e64 v43, 0, v41, s[22:23]
	v_exp_f32_e32 v39, v39
	v_mul_f32_e32 v36, 0x3fb8aa3b, v36
	v_sub_f32_e32 v37, v37, v50
	v_add_f32_e32 v53, v53, v42
	v_exp_f32_e32 v36, v36
	v_mul_f32_e32 v37, 0x3fb8aa3b, v37
	v_add_f32_e32 v53, v53, v43
	v_sub_f32_e32 v34, v34, v50
	v_cndmask_b32_e64 v41, 0, v59, s[26:27]
	v_exp_f32_e32 v37, v37
	v_add_f32_e32 v53, v53, v40
	v_mul_f32_e32 v34, 0x3fb8aa3b, v34
	v_sub_f32_e32 v35, v35, v50
	v_cndmask_b32_e64 v38, 0, v38, s[28:29]
	v_add_f32_e32 v53, v53, v41
	v_exp_f32_e32 v34, v34
	v_mul_f32_e32 v35, 0x3fb8aa3b, v35
	v_cndmask_b32_e64 v39, 0, v39, s[30:31]
	v_add_f32_e32 v53, v53, v38
	v_exp_f32_e32 v35, v35
	v_cndmask_b32_e64 v36, 0, v36, s[34:35]
	v_add_f32_e32 v53, v53, v39
	v_cndmask_b32_e64 v37, 0, v37, s[36:37]
	v_add_f32_e32 v53, v53, v36
	v_add_f32_e32 v53, v53, v37
	v_cndmask_b32_e32 v34, 0, v34, vcc
	v_add_f32_e32 v53, v53, v34
	v_cndmask_b32_e64 v35, 0, v35, s[4:5]
	v_add_f32_e32 v53, v53, v35
	ds_bpermute_b32 v51, v51, v53
	v_cmp_gt_u32_e64 s[4:5], 16, v55
	s_waitcnt lgkmcnt(0)
	s_barrier
	v_add_f32_e32 v51, v53, v51
	ds_bpermute_b32 v53, v58, v51
	s_and_saveexec_b64 s[8:9], s[4:5]
	s_cbranch_execz .LBB940_15
; %bb.14:
	s_waitcnt lgkmcnt(0)
	v_add_f32_e32 v51, v51, v53
	v_lshlrev_b32_e32 v52, 2, v52
	ds_write2st64_b32 v52, v50, v51 offset1:1
.LBB940_15:
	s_or_b64 exec, exec, s[8:9]
	v_lshlrev_b32_e32 v51, 2, v56
	s_load_dword s7, s[0:1], 0x94
	s_waitcnt lgkmcnt(0)
	s_barrier
	ds_read2_b32 v[52:53], v51 offset1:16
	ds_read2_b32 v[58:59], v51 offset0:32 offset1:48
	ds_read2_b32 v[62:63], v51 offset0:64 offset1:80
	s_mul_i32 s10, s33, 13
	s_waitcnt lgkmcnt(2)
	v_max3_f32 v50, v52, s40, v53
	s_waitcnt lgkmcnt(1)
	v_max3_f32 v50, v50, v58, v59
	v_sub_f32_e32 v52, v52, v50
	v_mul_f32_e32 v52, 0x3fb8aa3b, v52
	v_exp_f32_e32 v55, v52
	v_sub_f32_e32 v52, v53, v50
	v_mul_f32_e32 v52, 0x3fb8aa3b, v52
	v_exp_f32_e32 v61, v52
	;; [unrolled: 3-line block ×3, first 2 shown]
	ds_read2_b32 v[52:53], v51 offset0:96 offset1:112
	v_sub_f32_e32 v51, v59, v50
	v_mul_f32_e32 v51, 0x3fb8aa3b, v51
	v_exp_f32_e32 v59, v51
	s_waitcnt lgkmcnt(1)
	v_fma_f32 v51, v55, v62, 0
	v_fmac_f32_e32 v51, v61, v63
	s_waitcnt lgkmcnt(0)
	v_fmac_f32_e32 v51, v58, v52
	v_fmac_f32_e32 v51, v59, v53
	v_add_f32_e32 v52, 0x358637bd, v51
	v_div_scale_f32 v53, s[8:9], v52, v52, 1.0
	v_rcp_f32_e32 v62, v53
	s_barrier
	v_fma_f32 v63, -v53, v62, 1.0
	v_fmac_f32_e32 v62, v63, v62
	v_div_scale_f32 v63, vcc, 1.0, v52, 1.0
	v_mul_f32_e32 v64, v63, v62
	v_fma_f32 v65, -v53, v64, v63
	v_fmac_f32_e32 v64, v65, v62
	v_fma_f32 v53, -v53, v64, v63
	v_div_fmas_f32 v53, v53, v62, v64
	v_cmp_eq_u32_e32 vcc, 1, v57
	v_div_fixup_f32 v52, v53, v52, 1.0
	s_nop 0
	v_cndmask_b32_e32 v53, v55, v61, vcc
	v_cmp_eq_u32_e32 vcc, 2, v57
	s_nop 1
	v_cndmask_b32_e32 v53, v53, v58, vcc
	v_cmp_eq_u32_e32 vcc, 3, v57
	s_nop 1
	v_cndmask_b32_e32 v53, v53, v59, vcc
	v_mul_f32_e32 v52, v53, v52
	v_pk_mul_f32 v[48:49], v[52:53], v[48:49] op_sel_hi:[0,1]
	v_pk_mul_f32 v[46:47], v[52:53], v[46:47] op_sel_hi:[0,1]
	v_cvt_f16_f32_e32 v53, v48
	v_cvt_f16_f32_e32 v49, v49
	;; [unrolled: 1-line block ×4, first 2 shown]
	v_pk_mul_f32 v[42:43], v[52:53], v[42:43] op_sel_hi:[0,1]
	v_pk_mul_f32 v[44:45], v[52:53], v[44:45] op_sel_hi:[0,1]
	v_pack_b32_f16 v49, v53, v49
	v_cvt_f16_f32_e32 v44, v44
	v_cvt_f16_f32_e32 v45, v45
	;; [unrolled: 1-line block ×4, first 2 shown]
	v_pack_b32_f16 v48, v46, v47
	v_lshlrev_b32_e32 v47, 3, v60
	v_lshlrev_b32_e32 v46, 5, v56
	;; [unrolled: 1-line block ×3, first 2 shown]
	v_or3_b32 v55, v42, v46, v47
	v_pack_b32_f16 v42, v44, v45
	v_pack_b32_f16 v43, v53, v43
	v_pk_mul_f32 v[38:39], v[52:53], v[38:39] op_sel_hi:[0,1]
	v_pk_mul_f32 v[40:41], v[52:53], v[40:41] op_sel_hi:[0,1]
	;; [unrolled: 1-line block ×4, first 2 shown]
	ds_write2st64_b64 v55, v[48:49], v[42:43] offset1:1
	v_cvt_f16_f32_e32 v40, v40
	v_cvt_f16_f32_e32 v41, v41
	;; [unrolled: 1-line block ×8, first 2 shown]
	v_pack_b32_f16 v34, v40, v41
	v_pack_b32_f16 v35, v38, v39
	;; [unrolled: 1-line block ×4, first 2 shown]
	v_cmp_gt_u32_e32 vcc, 13, v0
	ds_write2st64_b64 v55, v[34:35], v[36:37] offset0:2 offset1:3
	s_and_saveexec_b64 s[8:9], vcc
	s_cbranch_execz .LBB940_17
; %bb.16:
	s_mov_b32 s49, 0
	v_mov_b32_e32 v57, 0
	v_lshl_add_u64 v[34:35], s[48:49], 0, v[56:57]
	v_mov_b32_e32 v36, s10
	v_mad_u64_u32 v[34:35], s[16:17], s2, v36, v[34:35]
	s_mul_i32 s3, s3, s10
	v_mov_b32_e32 v36, s6
	v_mov_b32_e32 v37, v57
	s_load_dwordx4 s[12:15], s[0:1], 0x58
	v_add_u32_e32 v38, s3, v35
	v_mad_u64_u32 v[34:35], s[16:17], v34, s7, v[36:37]
	v_mov_b32_e32 v36, v35
	v_mad_u64_u32 v[36:37], s[16:17], v38, s7, v[36:37]
	v_mov_b32_e32 v35, v36
	v_lshlrev_b64 v[34:35], 2, v[34:35]
	s_waitcnt lgkmcnt(0)
	v_lshl_add_u64 v[36:37], s[14:15], 0, v[34:35]
	v_lshl_add_u64 v[34:35], s[12:13], 0, v[34:35]
	global_store_dword v[36:37], v50, off
	global_store_dword v[34:35], v51, off
.LBB940_17:
	s_or_b64 exec, exec, s[8:9]
	s_waitcnt vmcnt(7)
	v_cvt_pk_f32_fp8_e32 v[34:35], v6
	v_cvt_pk_f32_fp8_sdwa v[36:37], v6 src0_sel:WORD_1
	v_lshl_or_b32 v50, v60, 9, v46
	s_waitcnt lgkmcnt(0)
	s_barrier
	v_cvt_pk_f32_fp8_e32 v[38:39], v7
	v_cvt_pkrtz_f16_f32 v6, v34, v35
	v_cvt_pk_f32_fp8_sdwa v[40:41], v7 src0_sel:WORD_1
	v_cvt_pkrtz_f16_f32 v7, v36, v37
	ds_read_b128 v[34:37], v50
	v_cvt_pkrtz_f16_f32 v46, v38, v39
	v_cvt_pkrtz_f16_f32 v47, v40, v41
	ds_read_b128 v[38:41], v50 offset:16
	v_cvt_pk_f32_fp8_e32 v[48:49], v8
	v_cvt_pk_f32_fp8_sdwa v[52:53], v8 src0_sel:WORD_1
	s_waitcnt lgkmcnt(1)
	v_mfma_f32_16x16x16_f16 v[42:45], v[6:7], v[34:35], 0
	s_waitcnt vmcnt(6)
	v_cvt_pk_f32_fp8_e32 v[58:59], v4
	v_cvt_pkrtz_f16_f32 v6, v48, v49
	v_cvt_pkrtz_f16_f32 v7, v52, v53
	v_cvt_pk_f32_fp8_e32 v[48:49], v9
	v_mfma_f32_16x16x16_f16 v[42:45], v[46:47], v[36:37], v[42:45]
	v_cvt_pk_f32_fp8_sdwa v[46:47], v9 src0_sel:WORD_1
	v_cvt_pk_f32_fp8_sdwa v[62:63], v4 src0_sel:WORD_1
	v_cvt_pkrtz_f16_f32 v48, v48, v49
	s_waitcnt lgkmcnt(0)
	v_mfma_f32_16x16x16_f16 v[6:9], v[6:7], v[38:39], v[42:45]
	v_cvt_pkrtz_f16_f32 v49, v46, v47
	s_waitcnt vmcnt(5)
	v_cvt_pk_f32_fp8_sdwa v[66:67], v28 src0_sel:WORD_1
	s_waitcnt vmcnt(4)
	v_cvt_pk_f32_fp8_sdwa v[68:69], v24 src0_sel:WORD_1
	v_cvt_pk_f32_fp8_e32 v[42:43], v2
	v_mfma_f32_16x16x16_f16 v[46:49], v[48:49], v[40:41], v[6:9]
	s_waitcnt vmcnt(3)
	v_cvt_pk_f32_fp8_sdwa v[70:71], v32 src0_sel:WORD_1
	s_load_dword s8, s[42:43], 0x0
	v_cvt_pk_f32_fp8_sdwa v[6:7], v2 src0_sel:WORD_1
	v_cvt_pk_f32_fp8_e32 v[8:9], v3
	v_cvt_pkrtz_f16_f32 v2, v42, v43
	v_cvt_pk_f32_fp8_sdwa v[42:43], v3 src0_sel:WORD_1
	v_cvt_pkrtz_f16_f32 v3, v6, v7
	v_cvt_pkrtz_f16_f32 v52, v8, v9
	ds_read_b128 v[6:9], v50 offset:2048
	v_cvt_pkrtz_f16_f32 v53, v42, v43
	ds_read_b128 v[42:45], v50 offset:2064
	s_waitcnt lgkmcnt(0)
	v_mfma_f32_16x16x16_f16 v[46:49], v[2:3], v[6:7], v[46:49]
	v_cvt_pkrtz_f16_f32 v2, v58, v59
	v_cvt_pkrtz_f16_f32 v3, v62, v63
	v_cvt_pk_f32_fp8_e32 v[58:59], v5
	v_mfma_f32_16x16x16_f16 v[46:49], v[52:53], v[8:9], v[46:49]
	v_cvt_pk_f32_fp8_sdwa v[52:53], v5 src0_sel:WORD_1
	s_mov_b32 s3, 0
	v_cvt_pkrtz_f16_f32 v58, v58, v59
	v_mfma_f32_16x16x16_f16 v[2:5], v[2:3], v[42:43], v[46:49]
	v_cvt_pkrtz_f16_f32 v59, v52, v53
	v_cmp_gt_u32_e32 vcc, 64, v0
	s_nop 0
	v_cvt_pk_f32_fp8_e32 v[46:47], v26
	v_mfma_f32_16x16x16_f16 v[62:65], v[58:59], v[44:45], v[2:5]
	v_cvt_pk_f32_fp8_e32 v[58:59], v28
	s_nop 1
	v_cvt_pk_f32_fp8_sdwa v[2:3], v26 src0_sel:WORD_1
	v_cvt_pk_f32_fp8_e32 v[4:5], v27
	v_cvt_pkrtz_f16_f32 v26, v46, v47
	v_cvt_pk_f32_fp8_sdwa v[46:47], v27 src0_sel:WORD_1
	v_cvt_pkrtz_f16_f32 v27, v2, v3
	v_cvt_pkrtz_f16_f32 v52, v4, v5
	ds_read_b128 v[2:5], v50 offset:4096
	v_cvt_pkrtz_f16_f32 v53, v46, v47
	ds_read_b128 v[46:49], v50 offset:4112
	s_waitcnt lgkmcnt(1)
	v_mfma_f32_16x16x16_f16 v[62:65], v[26:27], v[2:3], v[62:65]
	v_cvt_pkrtz_f16_f32 v26, v58, v59
	v_cvt_pkrtz_f16_f32 v27, v66, v67
	v_cvt_pk_f32_fp8_e32 v[58:59], v29
	v_mfma_f32_16x16x16_f16 v[62:65], v[52:53], v[4:5], v[62:65]
	v_cvt_pk_f32_fp8_sdwa v[52:53], v29 src0_sel:WORD_1
	v_cvt_pk_f32_fp8_e32 v[66:67], v24
	v_cvt_pkrtz_f16_f32 v58, v58, v59
	s_waitcnt lgkmcnt(0)
	v_mfma_f32_16x16x16_f16 v[26:29], v[26:27], v[46:47], v[62:65]
	v_cvt_pkrtz_f16_f32 v59, v52, v53
	v_cvt_pk_f32_fp8_e32 v[52:53], v22
	s_nop 0
	v_mfma_f32_16x16x16_f16 v[62:65], v[58:59], v[48:49], v[26:29]
	s_nop 2
	v_cvt_pk_f32_fp8_sdwa v[26:27], v22 src0_sel:WORD_1
	v_cvt_pk_f32_fp8_e32 v[28:29], v23
	v_cvt_pkrtz_f16_f32 v22, v52, v53
	v_cvt_pk_f32_fp8_sdwa v[52:53], v23 src0_sel:WORD_1
	v_cvt_pkrtz_f16_f32 v23, v26, v27
	v_cvt_pkrtz_f16_f32 v58, v28, v29
	ds_read_b128 v[26:29], v50 offset:6144
	v_cvt_pkrtz_f16_f32 v59, v52, v53
	s_waitcnt lgkmcnt(0)
	v_mfma_f32_16x16x16_f16 v[62:65], v[22:23], v[26:27], v[62:65]
	ds_read_b128 v[50:53], v50 offset:6160
	v_cvt_pkrtz_f16_f32 v22, v66, v67
	v_cvt_pkrtz_f16_f32 v23, v68, v69
	v_cvt_pk_f32_fp8_e32 v[66:67], v25
	v_mfma_f32_16x16x16_f16 v[62:65], v[58:59], v[28:29], v[62:65]
	v_cvt_pk_f32_fp8_sdwa v[58:59], v25 src0_sel:WORD_1
	v_cvt_pk_f32_fp8_e32 v[68:69], v32
	v_cvt_pkrtz_f16_f32 v66, v66, v67
	s_waitcnt lgkmcnt(0)
	v_mfma_f32_16x16x16_f16 v[22:25], v[22:23], v[50:51], v[62:65]
	v_cvt_pkrtz_f16_f32 v67, v58, v59
	v_cvt_pk_f32_fp8_e32 v[58:59], v30
	s_nop 0
	v_cvt_pk_f32_fp8_sdwa v[62:63], v30 src0_sel:WORD_1
	v_cvt_pk_f32_fp8_e32 v[64:65], v31
	v_cvt_pkrtz_f16_f32 v58, v58, v59
	v_cvt_pk_f32_fp8_sdwa v[30:31], v31 src0_sel:WORD_1
	v_cvt_pkrtz_f16_f32 v59, v62, v63
	v_mfma_f32_16x16x16_f16 v[22:25], v[66:67], v[52:53], v[22:25]
	v_cvt_pkrtz_f16_f32 v66, v64, v65
	v_cvt_pkrtz_f16_f32 v67, v30, v31
	;; [unrolled: 1-line block ×3, first 2 shown]
	v_mfma_f32_16x16x16_f16 v[62:65], v[58:59], v[34:35], 0
	v_cvt_pkrtz_f16_f32 v31, v70, v71
	v_cvt_pk_f32_fp8_e32 v[58:59], v33
	s_barrier
	v_mfma_f32_16x16x16_f16 v[34:37], v[66:67], v[36:37], v[62:65]
	v_cvt_pkrtz_f16_f32 v58, v58, v59
	s_nop 1
	v_cvt_pk_f32_fp8_sdwa v[62:63], v33 src0_sel:WORD_1
	v_mfma_f32_16x16x16_f16 v[30:33], v[30:31], v[38:39], v[34:37]
	s_waitcnt vmcnt(2)
	v_cvt_pk_f32_fp8_e32 v[38:39], v19
	v_cvt_pkrtz_f16_f32 v59, v62, v63
	v_cvt_pk_f32_fp8_e32 v[34:35], v18
	v_cvt_pk_f32_fp8_sdwa v[36:37], v18 src0_sel:WORD_1
	v_cvt_pk_f32_fp8_sdwa v[18:19], v19 src0_sel:WORD_1
	v_mfma_f32_16x16x16_f16 v[30:33], v[58:59], v[40:41], v[30:33]
	v_cvt_pkrtz_f16_f32 v34, v34, v35
	v_cvt_pkrtz_f16_f32 v35, v36, v37
	;; [unrolled: 1-line block ×3, first 2 shown]
	v_cvt_pk_f32_fp8_e32 v[38:39], v20
	v_cvt_pk_f32_fp8_sdwa v[40:41], v20 src0_sel:WORD_1
	v_cvt_pkrtz_f16_f32 v37, v18, v19
	v_mfma_f32_16x16x16_f16 v[30:33], v[34:35], v[6:7], v[30:33]
	v_cvt_pkrtz_f16_f32 v18, v38, v39
	v_cvt_pkrtz_f16_f32 v19, v40, v41
	v_cvt_pk_f32_fp8_e32 v[34:35], v21
	v_cvt_pk_f32_fp8_sdwa v[20:21], v21 src0_sel:WORD_1
	v_mfma_f32_16x16x16_f16 v[6:9], v[36:37], v[8:9], v[30:33]
	s_nop 2
	v_cvt_pkrtz_f16_f32 v30, v34, v35
	v_cvt_pkrtz_f16_f32 v31, v20, v21
	v_mfma_f32_16x16x16_f16 v[6:9], v[18:19], v[42:43], v[6:9]
	s_waitcnt vmcnt(1)
	v_cvt_pk_f32_fp8_e32 v[18:19], v14
	v_cvt_pk_f32_fp8_sdwa v[20:21], v14 src0_sel:WORD_1
	v_cvt_pk_f32_fp8_sdwa v[32:33], v16 src0_sel:WORD_1
	v_mfma_f32_16x16x16_f16 v[6:9], v[30:31], v[44:45], v[6:9]
	v_cvt_pk_f32_fp8_e32 v[30:31], v15
	v_cvt_pkrtz_f16_f32 v18, v18, v19
	v_cvt_pkrtz_f16_f32 v19, v20, v21
	v_cvt_pk_f32_fp8_sdwa v[14:15], v15 src0_sel:WORD_1
	v_cvt_pkrtz_f16_f32 v20, v30, v31
	v_cvt_pk_f32_fp8_e32 v[30:31], v16
	v_mfma_f32_16x16x16_f16 v[6:9], v[18:19], v[2:3], v[6:9]
	v_cvt_pkrtz_f16_f32 v21, v14, v15
	v_cvt_pkrtz_f16_f32 v14, v30, v31
	;; [unrolled: 1-line block ×3, first 2 shown]
	v_cvt_pk_f32_fp8_e32 v[18:19], v17
	v_cvt_pk_f32_fp8_sdwa v[16:17], v17 src0_sel:WORD_1
	v_mfma_f32_16x16x16_f16 v[2:5], v[20:21], v[4:5], v[6:9]
	s_waitcnt vmcnt(0)
	v_cvt_pk_f32_fp8_sdwa v[20:21], v12 src0_sel:WORD_1
	s_nop 0
	v_cvt_pkrtz_f16_f32 v8, v18, v19
	v_cvt_pkrtz_f16_f32 v9, v16, v17
	v_mfma_f32_16x16x16_f16 v[2:5], v[14:15], v[46:47], v[2:5]
	v_cvt_pk_f32_fp8_e32 v[16:17], v10
	v_cvt_pk_f32_fp8_sdwa v[18:19], v10 src0_sel:WORD_1
	v_pk_mul_f32 v[6:7], v[24:25], s[8:9] op_sel_hi:[1,0]
	v_mfma_f32_16x16x16_f16 v[2:5], v[8:9], v[48:49], v[2:5]
	v_cvt_pk_f32_fp8_e32 v[8:9], v11
	v_cvt_pkrtz_f16_f32 v16, v16, v17
	v_cvt_pkrtz_f16_f32 v17, v18, v19
	v_cvt_pk_f32_fp8_sdwa v[10:11], v11 src0_sel:WORD_1
	v_cvt_pkrtz_f16_f32 v8, v8, v9
	v_cvt_pk_f32_fp8_e32 v[18:19], v12
	v_mfma_f32_16x16x16_f16 v[2:5], v[16:17], v[26:27], v[2:5]
	v_cvt_pkrtz_f16_f32 v9, v10, v11
	v_cvt_pkrtz_f16_f32 v10, v18, v19
	;; [unrolled: 1-line block ×3, first 2 shown]
	v_cvt_pk_f32_fp8_e32 v[16:17], v13
	v_cvt_pk_f32_fp8_sdwa v[12:13], v13 src0_sel:WORD_1
	v_mfma_f32_16x16x16_f16 v[2:5], v[8:9], v[28:29], v[2:5]
	v_pk_mul_f32 v[14:15], v[22:23], s[8:9] op_sel_hi:[1,0]
	v_cvt_pkrtz_f16_f32 v8, v16, v17
	v_cvt_pkrtz_f16_f32 v9, v12, v13
	v_mfma_f32_16x16x16_f16 v[2:5], v[10:11], v[50:51], v[2:5]
	v_cvt_f16_f32_e32 v14, v14
	v_cvt_f16_f32_e32 v10, v15
	;; [unrolled: 1-line block ×3, first 2 shown]
	v_mfma_f32_16x16x16_f16 v[2:5], v[8:9], v[52:53], v[2:5]
	v_cvt_f16_f32_e32 v7, v7
	s_nop 5
	v_pk_mul_f32 v[4:5], v[4:5], s[8:9] op_sel_hi:[1,0]
	v_pk_mul_f32 v[2:3], v[2:3], s[8:9] op_sel_hi:[1,0]
	v_cvt_f16_f32_e32 v11, v4
	v_cvt_f16_f32_e32 v8, v2
	;; [unrolled: 1-line block ×4, first 2 shown]
	v_pack_b32_f16 v2, v14, v10
	v_pack_b32_f16 v3, v6, v7
	;; [unrolled: 1-line block ×4, first 2 shown]
	ds_write2st64_b64 v55, v[2:3], v[4:5] offset1:1
	s_waitcnt lgkmcnt(0)
	s_barrier
	s_and_saveexec_b64 s[8:9], vcc
	s_cbranch_execz .LBB940_20
; %bb.18:
	s_load_dwordx2 s[8:9], s[0:1], 0x68
	s_lshl_b32 s0, s7, 7
	s_mul_i32 s1, s10, s2
	v_lshlrev_b32_e32 v3, 6, v56
	s_mul_hi_u32 s11, s1, s0
	s_mul_i32 s10, s1, s0
	v_lshl_or_b32 v0, v0, 10, v3
	s_lshl_b64 s[10:11], s[10:11], 1
	v_lshlrev_b32_e32 v2, 5, v60
	v_and_b32_e32 v1, 16, v1
	v_and_b32_e32 v0, 0x1a00, v0
	s_waitcnt lgkmcnt(0)
	s_add_u32 s1, s8, s10
	v_or3_b32 v2, v0, v2, v1
	s_addc_u32 s7, s9, s11
	s_lshl_b32 s2, s6, 7
	ds_read_b128 v[4:7], v2 offset:256
	s_lshl_b64 s[2:3], s[2:3], 1
	ds_read_b128 v[8:11], v2 offset:128
	ds_read_b128 v[12:15], v2
	s_add_u32 s2, s1, s2
	s_addc_u32 s3, s7, s3
	v_mov_b32_e32 v55, 0
	v_add_u32_e32 v3, s48, v60
	v_lshl_add_u64 v[0:1], s[2:3], 0, v[54:55]
	v_mad_u64_u32 v[16:17], s[2:3], v3, s0, 0
	v_lshl_add_u64 v[16:17], v[16:17], 1, v[0:1]
	s_waitcnt lgkmcnt(0)
	global_store_dwordx4 v[16:17], v[12:15], off
	s_nop 1
	v_add_u32_e32 v12, 4, v3
	v_mad_u64_u32 v[12:13], s[2:3], v12, s0, 0
	v_lshl_add_u64 v[12:13], v[12:13], 1, v[0:1]
	v_add_u32_e32 v3, 8, v3
	global_store_dwordx4 v[12:13], v[8:11], off
	s_nop 1
	v_mad_u64_u32 v[8:9], s[2:3], v3, s0, 0
	v_lshl_add_u64 v[8:9], v[8:9], 1, v[0:1]
	global_store_dwordx4 v[8:9], v[4:7], off
	s_and_b64 exec, exec, s[4:5]
	s_cbranch_execz .LBB940_20
; %bb.19:
	ds_read_b128 v[2:5], v2 offset:384
	v_add3_u32 v6, s48, v60, 12
	v_mad_u64_u32 v[6:7], s[0:1], v6, s0, 0
	v_lshl_add_u64 v[0:1], v[6:7], 1, v[0:1]
	s_waitcnt lgkmcnt(0)
	global_store_dwordx4 v[0:1], v[2:5], off
.LBB940_20:
	s_endpgm
	.section	.rodata,"a",@progbits
	.p2align	6, 0x0
	.amdhsa_kernel _Z39paged_attention_ll4mi_QKV_mfma16_kernelIDF16_hLN4vllm18Fp8KVCacheDataTypeE1EhLi16ELi128ELi256ELb1ELi13EEvPKT_PKT0_S7_ifPKiS9_S9_iPKfiiiPfSC_PS2_PT2_iSB_SB_
		.amdhsa_group_segment_fixed_size 8192
		.amdhsa_private_segment_fixed_size 0
		.amdhsa_kernarg_size 400
		.amdhsa_user_sgpr_count 2
		.amdhsa_user_sgpr_dispatch_ptr 0
		.amdhsa_user_sgpr_queue_ptr 0
		.amdhsa_user_sgpr_kernarg_segment_ptr 1
		.amdhsa_user_sgpr_dispatch_id 0
		.amdhsa_user_sgpr_kernarg_preload_length 0
		.amdhsa_user_sgpr_kernarg_preload_offset 0
		.amdhsa_user_sgpr_private_segment_size 0
		.amdhsa_uses_dynamic_stack 0
		.amdhsa_enable_private_segment 0
		.amdhsa_system_sgpr_workgroup_id_x 1
		.amdhsa_system_sgpr_workgroup_id_y 1
		.amdhsa_system_sgpr_workgroup_id_z 1
		.amdhsa_system_sgpr_workgroup_info 0
		.amdhsa_system_vgpr_workitem_id 0
		.amdhsa_next_free_vgpr 76
		.amdhsa_next_free_sgpr 50
		.amdhsa_accum_offset 76
		.amdhsa_reserve_vcc 1
		.amdhsa_float_round_mode_32 0
		.amdhsa_float_round_mode_16_64 0
		.amdhsa_float_denorm_mode_32 3
		.amdhsa_float_denorm_mode_16_64 3
		.amdhsa_dx10_clamp 1
		.amdhsa_ieee_mode 1
		.amdhsa_fp16_overflow 0
		.amdhsa_tg_split 0
		.amdhsa_exception_fp_ieee_invalid_op 0
		.amdhsa_exception_fp_denorm_src 0
		.amdhsa_exception_fp_ieee_div_zero 0
		.amdhsa_exception_fp_ieee_overflow 0
		.amdhsa_exception_fp_ieee_underflow 0
		.amdhsa_exception_fp_ieee_inexact 0
		.amdhsa_exception_int_div_zero 0
	.end_amdhsa_kernel
	.section	.text._Z39paged_attention_ll4mi_QKV_mfma16_kernelIDF16_hLN4vllm18Fp8KVCacheDataTypeE1EhLi16ELi128ELi256ELb1ELi13EEvPKT_PKT0_S7_ifPKiS9_S9_iPKfiiiPfSC_PS2_PT2_iSB_SB_,"axG",@progbits,_Z39paged_attention_ll4mi_QKV_mfma16_kernelIDF16_hLN4vllm18Fp8KVCacheDataTypeE1EhLi16ELi128ELi256ELb1ELi13EEvPKT_PKT0_S7_ifPKiS9_S9_iPKfiiiPfSC_PS2_PT2_iSB_SB_,comdat
.Lfunc_end940:
	.size	_Z39paged_attention_ll4mi_QKV_mfma16_kernelIDF16_hLN4vllm18Fp8KVCacheDataTypeE1EhLi16ELi128ELi256ELb1ELi13EEvPKT_PKT0_S7_ifPKiS9_S9_iPKfiiiPfSC_PS2_PT2_iSB_SB_, .Lfunc_end940-_Z39paged_attention_ll4mi_QKV_mfma16_kernelIDF16_hLN4vllm18Fp8KVCacheDataTypeE1EhLi16ELi128ELi256ELb1ELi13EEvPKT_PKT0_S7_ifPKiS9_S9_iPKfiiiPfSC_PS2_PT2_iSB_SB_
                                        ; -- End function
	.section	.AMDGPU.csdata,"",@progbits
; Kernel info:
; codeLenInByte = 6348
; NumSgprs: 56
; NumVgprs: 76
; NumAgprs: 0
; TotalNumVgprs: 76
; ScratchSize: 0
; MemoryBound: 0
; FloatMode: 240
; IeeeMode: 1
; LDSByteSize: 8192 bytes/workgroup (compile time only)
; SGPRBlocks: 6
; VGPRBlocks: 9
; NumSGPRsForWavesPerEU: 56
; NumVGPRsForWavesPerEU: 76
; AccumOffset: 76
; Occupancy: 6
; WaveLimiterHint : 1
; COMPUTE_PGM_RSRC2:SCRATCH_EN: 0
; COMPUTE_PGM_RSRC2:USER_SGPR: 2
; COMPUTE_PGM_RSRC2:TRAP_HANDLER: 0
; COMPUTE_PGM_RSRC2:TGID_X_EN: 1
; COMPUTE_PGM_RSRC2:TGID_Y_EN: 1
; COMPUTE_PGM_RSRC2:TGID_Z_EN: 1
; COMPUTE_PGM_RSRC2:TIDIG_COMP_CNT: 0
; COMPUTE_PGM_RSRC3_GFX90A:ACCUM_OFFSET: 18
; COMPUTE_PGM_RSRC3_GFX90A:TG_SPLIT: 0
	.section	.text._Z39paged_attention_ll4mi_QKV_mfma16_kernelIDF16_hLN4vllm18Fp8KVCacheDataTypeE1EhLi16ELi128ELi256ELb1ELi14EEvPKT_PKT0_S7_ifPKiS9_S9_iPKfiiiPfSC_PS2_PT2_iSB_SB_,"axG",@progbits,_Z39paged_attention_ll4mi_QKV_mfma16_kernelIDF16_hLN4vllm18Fp8KVCacheDataTypeE1EhLi16ELi128ELi256ELb1ELi14EEvPKT_PKT0_S7_ifPKiS9_S9_iPKfiiiPfSC_PS2_PT2_iSB_SB_,comdat
	.protected	_Z39paged_attention_ll4mi_QKV_mfma16_kernelIDF16_hLN4vllm18Fp8KVCacheDataTypeE1EhLi16ELi128ELi256ELb1ELi14EEvPKT_PKT0_S7_ifPKiS9_S9_iPKfiiiPfSC_PS2_PT2_iSB_SB_ ; -- Begin function _Z39paged_attention_ll4mi_QKV_mfma16_kernelIDF16_hLN4vllm18Fp8KVCacheDataTypeE1EhLi16ELi128ELi256ELb1ELi14EEvPKT_PKT0_S7_ifPKiS9_S9_iPKfiiiPfSC_PS2_PT2_iSB_SB_
	.globl	_Z39paged_attention_ll4mi_QKV_mfma16_kernelIDF16_hLN4vllm18Fp8KVCacheDataTypeE1EhLi16ELi128ELi256ELb1ELi14EEvPKT_PKT0_S7_ifPKiS9_S9_iPKfiiiPfSC_PS2_PT2_iSB_SB_
	.p2align	8
	.type	_Z39paged_attention_ll4mi_QKV_mfma16_kernelIDF16_hLN4vllm18Fp8KVCacheDataTypeE1EhLi16ELi128ELi256ELb1ELi14EEvPKT_PKT0_S7_ifPKiS9_S9_iPKfiiiPfSC_PS2_PT2_iSB_SB_,@function
_Z39paged_attention_ll4mi_QKV_mfma16_kernelIDF16_hLN4vllm18Fp8KVCacheDataTypeE1EhLi16ELi128ELi256ELb1ELi14EEvPKT_PKT0_S7_ifPKiS9_S9_iPKfiiiPfSC_PS2_PT2_iSB_SB_: ; @_Z39paged_attention_ll4mi_QKV_mfma16_kernelIDF16_hLN4vllm18Fp8KVCacheDataTypeE1EhLi16ELi128ELi256ELb1ELi14EEvPKT_PKT0_S7_ifPKiS9_S9_iPKfiiiPfSC_PS2_PT2_iSB_SB_
; %bb.0:
	s_load_dwordx2 s[10:11], s[0:1], 0x30
	s_mov_b32 s6, s3
	s_mov_b64 s[8:9], 0
	s_waitcnt lgkmcnt(0)
	s_cmp_lg_u64 s[10:11], 0
	s_cselect_b64 s[12:13], -1, 0
	s_and_b64 vcc, exec, s[12:13]
	s_cbranch_vccz .LBB941_7
; %bb.1:
	s_add_i32 s14, s2, 1
	s_mov_b32 s15, 0
	s_lshl_b64 s[16:17], s[14:15], 2
	s_add_u32 s16, s10, s16
	s_mov_b32 s3, s15
	s_addc_u32 s17, s11, s17
	s_lshl_b64 s[14:15], s[2:3], 2
	s_add_u32 s14, s10, s14
	s_addc_u32 s15, s11, s15
	s_load_dword s5, s[16:17], 0x0
	s_load_dword s7, s[14:15], 0x0
	s_waitcnt lgkmcnt(0)
	s_sub_i32 s5, s5, s7
	s_cmp_eq_u32 s5, 1
	s_cselect_b64 s[14:15], -1, 0
	s_andn2_b64 vcc, exec, s[8:9]
	s_cbranch_vccnz .LBB941_3
.LBB941_2:
	s_mov_b32 s3, 0
	s_mov_b64 s[14:15], -1
.LBB941_3:
	s_andn2_b64 vcc, exec, s[14:15]
	s_cbranch_vccnz .LBB941_20
; %bb.4:
	s_load_dwordx2 s[8:9], s[0:1], 0x28
	s_lshl_b64 s[14:15], s[2:3], 2
	s_waitcnt lgkmcnt(0)
	s_add_u32 s8, s8, s14
	s_addc_u32 s9, s9, s15
	s_load_dword s7, s[8:9], 0x0
	s_lshl_b32 s18, s6, 8
	s_waitcnt lgkmcnt(0)
	s_cmp_ge_i32 s18, s7
	s_cbranch_scc1 .LBB941_20
; %bb.5:
	s_load_dwordx2 s[8:9], s[0:1], 0x20
	s_load_dword s5, s[0:1], 0x38
	s_add_i32 s16, s7, 15
	s_ashr_i32 s17, s16, 31
	v_and_b32_e32 v1, 0xcf, v0
	s_lshr_b32 s17, s17, 28
	v_add_u32_e32 v1, s18, v1
	s_add_i32 s16, s16, s17
	v_ashrrev_i32_e32 v2, 31, v1
	s_ashr_i32 s19, s16, 4
	v_lshrrev_b32_e32 v4, 28, v2
	s_add_i32 s19, s19, -1
	s_waitcnt lgkmcnt(0)
	s_mul_i32 s16, s2, s5
	s_mov_b32 s17, 0
	v_add_u32_e32 v2, v1, v4
	s_lshl_b64 s[16:17], s[16:17], 2
	v_ashrrev_i32_e32 v2, 4, v2
	v_mov_b32_e32 v5, s19
	v_cmp_gt_i32_e32 vcc, s7, v1
	s_add_u32 s8, s8, s16
	s_addc_u32 s9, s9, s17
	v_cndmask_b32_e32 v2, v5, v2, vcc
	v_ashrrev_i32_e32 v3, 31, v2
	v_lshl_add_u64 v[6:7], v[2:3], 2, s[8:9]
	v_or_b32_e32 v2, 16, v1
	v_add_u32_e32 v3, v2, v4
	v_ashrrev_i32_e32 v3, 4, v3
	v_cmp_gt_i32_e32 vcc, s7, v2
	s_load_dwordx2 s[16:17], s[0:1], 0x8
	s_nop 0
	v_cndmask_b32_e32 v2, v5, v3, vcc
	v_ashrrev_i32_e32 v3, 31, v2
	v_lshl_add_u64 v[8:9], v[2:3], 2, s[8:9]
	v_or_b32_e32 v2, 32, v1
	v_add_u32_e32 v3, v2, v4
	v_ashrrev_i32_e32 v3, 4, v3
	v_cmp_gt_i32_e32 vcc, s7, v2
	v_or_b32_e32 v1, 48, v1
	s_nop 0
	v_cndmask_b32_e32 v2, v5, v3, vcc
	v_ashrrev_i32_e32 v3, 31, v2
	v_lshl_add_u64 v[12:13], v[2:3], 2, s[8:9]
	v_add_u32_e32 v2, v1, v4
	v_ashrrev_i32_e32 v2, 4, v2
	v_cmp_gt_i32_e32 vcc, s7, v1
	s_nop 1
	v_cndmask_b32_e32 v2, v5, v2, vcc
	v_ashrrev_i32_e32 v3, 31, v2
	v_lshl_add_u64 v[14:15], v[2:3], 2, s[8:9]
	global_load_dword v4, v[6:7], off
	global_load_dword v3, v[8:9], off
	;; [unrolled: 1-line block ×4, first 2 shown]
	s_andn2_b64 vcc, exec, s[12:13]
	s_cbranch_vccnz .LBB941_8
; %bb.6:
	s_add_u32 s10, s10, s14
	s_addc_u32 s11, s11, s15
	s_load_dword s5, s[10:11], 0x0
	s_branch .LBB941_9
.LBB941_7:
	s_mov_b64 s[14:15], 0
	s_branch .LBB941_2
.LBB941_8:
	s_mov_b32 s5, s2
.LBB941_9:
	s_load_dwordx2 s[10:11], s[0:1], 0x10
	s_load_dwordx4 s[44:47], s[0:1], 0x48
	v_lshrrev_b32_e32 v57, 6, v0
	v_bfe_u32 v60, v0, 4, 2
	v_and_b32_e32 v56, 15, v0
	v_lshl_or_b32 v5, v57, 2, v60
	v_lshlrev_b32_e32 v1, 3, v56
	s_mul_i32 s48, s4, 14
	v_cmp_gt_u32_e32 vcc, 14, v5
	v_lshlrev_b32_e32 v54, 1, v1
	v_lshlrev_b32_e32 v1, 4, v0
	s_and_saveexec_b64 s[12:13], vcc
	s_cbranch_execz .LBB941_11
; %bb.10:
	s_load_dwordx2 s[14:15], s[0:1], 0x0
	s_waitcnt lgkmcnt(0)
	s_ashr_i32 s20, s44, 31
	s_mul_hi_u32 s21, s5, s44
	s_mul_i32 s20, s5, s20
	s_add_i32 s21, s21, s20
	s_mul_i32 s20, s5, s44
	s_lshl_b64 s[20:21], s[20:21], 1
	s_add_u32 s14, s14, s20
	v_add_lshl_u32 v6, v5, s48, 7
	s_addc_u32 s15, s15, s21
	v_ashrrev_i32_e32 v7, 31, v6
	v_lshl_add_u64 v[6:7], v[6:7], 1, s[14:15]
	v_mov_b32_e32 v55, 0
	v_lshl_add_u64 v[6:7], v[6:7], 0, v[54:55]
	global_load_dwordx4 v[6:9], v[6:7], off
	v_lshlrev_b32_e32 v12, 8, v0
	v_lshlrev_b32_e32 v11, 8, v56
	v_and_b32_e32 v12, 0x600, v12
	s_movk_i32 s5, 0x800
	v_and_or_b32 v11, v11, s5, v12
	v_lshlrev_b32_e32 v5, 5, v5
	v_and_b32_e32 v12, 16, v1
	v_or3_b32 v5, v11, v5, v12
	s_waitcnt vmcnt(0)
	ds_write_b128 v5, v[6:9]
.LBB941_11:
	s_or_b64 exec, exec, s[12:13]
	s_waitcnt lgkmcnt(0)
	s_mul_i32 s12, s4, s46
	s_add_u32 s4, s16, s12
	s_addc_u32 s5, s17, 0
	v_and_b32_e32 v58, 0xf0, v1
	v_mov_b32_e32 v59, 0
	v_and_b32_e32 v34, 48, v0
	v_lshl_add_u64 v[12:13], s[4:5], 0, v[58:59]
	v_lshlrev_b32_e32 v58, 4, v34
	s_waitcnt vmcnt(3)
	v_mad_i64_i32 v[4:5], s[4:5], v4, s45, v[12:13]
	v_lshl_add_u64 v[4:5], v[4:5], 0, v[58:59]
	s_barrier
	global_load_dwordx4 v[50:53], v[4:5], off
	global_load_dwordx4 v[46:49], v[4:5], off offset:1024
	s_waitcnt vmcnt(4)
	v_mad_i64_i32 v[4:5], s[4:5], v3, s45, v[12:13]
	s_waitcnt vmcnt(3)
	v_mad_i64_i32 v[2:3], s[4:5], v2, s45, v[12:13]
	v_lshl_add_u64 v[4:5], v[4:5], 0, v[58:59]
	v_lshl_add_u64 v[14:15], v[2:3], 0, v[58:59]
	s_waitcnt vmcnt(2)
	v_mad_i64_i32 v[10:11], s[4:5], v10, s45, v[12:13]
	global_load_dwordx4 v[36:39], v[4:5], off
	global_load_dwordx4 v[6:9], v[4:5], off offset:1024
	s_nop 0
	global_load_dwordx4 v[2:5], v[14:15], off
	global_load_dwordx4 v[42:45], v[14:15], off offset:1024
	v_lshl_add_u64 v[14:15], v[10:11], 0, v[58:59]
	global_load_dwordx4 v[26:29], v[14:15], off
	global_load_dwordx4 v[10:13], v[14:15], off offset:1024
	v_add_u32_e32 v14, -14, v56
	v_cmp_gt_u32_e32 vcc, 14, v56
	v_and_b32_e32 v55, 63, v0
	v_mov_b32_e32 v61, 0
	v_cndmask_b32_e32 v14, v14, v56, vcc
	v_lshlrev_b32_e32 v14, 5, v14
	v_lshl_add_u32 v14, v60, 9, v14
	ds_read_b128 v[30:33], v14
	ds_read_b128 v[22:25], v14 offset:16
	ds_read_b128 v[18:21], v14 offset:2048
	;; [unrolled: 1-line block ×3, first 2 shown]
	s_and_saveexec_b64 s[4:5], vcc
	s_cbranch_execz .LBB941_13
; %bb.12:
	s_load_dwordx2 s[14:15], s[0:1], 0x40
	v_add_u32_e32 v40, s48, v56
	v_ashrrev_i32_e32 v41, 31, v40
	s_waitcnt lgkmcnt(0)
	v_lshl_add_u64 v[40:41], v[40:41], 2, s[14:15]
	global_load_dword v61, v[40:41], off
.LBB941_13:
	s_or_b64 exec, exec, s[4:5]
	v_or_b32_e32 v58, s18, v34
	v_ashrrev_i32_e32 v34, 4, v58
	v_mov_b32_e32 v63, s19
	v_cmp_gt_i32_e32 vcc, s7, v58
	s_waitcnt vmcnt(7)
	v_cvt_pk_f32_fp8_e32 v[40:41], v50
	v_cvt_pk_f32_fp8_sdwa v[64:65], v50 src0_sel:WORD_1
	v_cndmask_b32_e32 v34, v63, v34, vcc
	v_ashrrev_i32_e32 v35, 31, v34
	v_lshl_add_u64 v[34:35], v[34:35], 2, s[8:9]
	global_load_dword v62, v[34:35], off
	v_or_b32_e32 v34, 64, v58
	v_ashrrev_i32_e32 v35, 4, v34
	v_cmp_gt_i32_e32 vcc, s7, v34
	v_or_b32_e32 v66, 0x80, v58
	v_ashrrev_i32_e32 v67, 4, v66
	v_cndmask_b32_e32 v34, v63, v35, vcc
	v_cmp_gt_i32_e32 vcc, s7, v66
	v_cvt_pkrtz_f16_f32 v40, v40, v41
	v_cvt_pkrtz_f16_f32 v41, v64, v65
	v_cndmask_b32_e32 v50, v63, v67, vcc
	v_cvt_pk_f32_fp8_e32 v[64:65], v51
	v_cvt_pk_f32_fp8_sdwa v[66:67], v51 src0_sel:WORD_1
	v_ashrrev_i32_e32 v51, 31, v50
	v_lshl_add_u64 v[68:69], v[50:51], 2, s[8:9]
	v_cvt_pkrtz_f16_f32 v50, v64, v65
	v_cvt_pkrtz_f16_f32 v51, v66, v67
	s_waitcnt lgkmcnt(3)
	v_mfma_f32_16x16x16_f16 v[64:67], v[40:41], v[30:31], 0
	v_cvt_pk_f32_fp8_e32 v[40:41], v52
	v_cvt_pk_f32_fp8_sdwa v[70:71], v52 src0_sel:WORD_1
	s_waitcnt vmcnt(7)
	v_cvt_pk_f32_fp8_e32 v[72:73], v46
	v_mfma_f32_16x16x16_f16 v[64:67], v[50:51], v[32:33], v[64:67]
	v_cvt_pk_f32_fp8_e32 v[50:51], v53
	v_cvt_pkrtz_f16_f32 v40, v40, v41
	v_cvt_pkrtz_f16_f32 v41, v70, v71
	v_cvt_pk_f32_fp8_sdwa v[52:53], v53 src0_sel:WORD_1
	v_cvt_pkrtz_f16_f32 v70, v50, v51
	v_cvt_pk_f32_fp8_sdwa v[74:75], v46 src0_sel:WORD_1
	v_ashrrev_i32_e32 v35, 31, v34
	v_cvt_pkrtz_f16_f32 v71, v52, v53
	s_waitcnt lgkmcnt(2)
	v_mfma_f32_16x16x16_f16 v[50:53], v[40:41], v[22:23], v[64:67]
	v_cvt_pkrtz_f16_f32 v40, v72, v73
	v_cvt_pkrtz_f16_f32 v41, v74, v75
	v_or_b32_e32 v58, 0xc0, v58
	v_cvt_pk_f32_fp8_e32 v[64:65], v47
	v_cvt_pk_f32_fp8_sdwa v[46:47], v47 src0_sel:WORD_1
	v_mfma_f32_16x16x16_f16 v[50:53], v[70:71], v[24:25], v[50:53]
	v_lshl_add_u64 v[34:35], v[34:35], 2, s[8:9]
	v_cvt_pkrtz_f16_f32 v64, v64, v65
	v_cvt_pkrtz_f16_f32 v65, v46, v47
	s_waitcnt lgkmcnt(1)
	v_mfma_f32_16x16x16_f16 v[50:53], v[40:41], v[18:19], v[50:53]
	v_ashrrev_i32_e32 v66, 4, v58
	v_cmp_gt_i32_e32 vcc, s7, v58
	v_cvt_pk_f32_fp8_e32 v[46:47], v48
	s_waitcnt vmcnt(6)
	v_cvt_pk_f32_fp8_sdwa v[70:71], v36 src0_sel:WORD_1
	v_cndmask_b32_e32 v40, v63, v66, vcc
	v_mfma_f32_16x16x16_f16 v[64:67], v[64:65], v[20:21], v[50:53]
	v_ashrrev_i32_e32 v41, 31, v40
	v_lshl_add_u64 v[40:41], v[40:41], 2, s[8:9]
	v_cvt_pkrtz_f16_f32 v46, v46, v47
	global_load_dword v53, v[34:35], off
	global_load_dword v63, v[40:41], off
	v_cvt_pk_f32_fp8_sdwa v[50:51], v48 src0_sel:WORD_1
	v_cvt_pk_f32_fp8_e32 v[34:35], v49
	v_cvt_pk_f32_fp8_sdwa v[48:49], v49 src0_sel:WORD_1
	s_add_u32 s46, s10, s12
	v_cvt_pkrtz_f16_f32 v47, v50, v51
	v_cvt_pkrtz_f16_f32 v34, v34, v35
	;; [unrolled: 1-line block ×3, first 2 shown]
	s_waitcnt lgkmcnt(0)
	v_mfma_f32_16x16x16_f16 v[46:49], v[46:47], v[14:15], v[64:67]
	v_cvt_pk_f32_fp8_e32 v[50:51], v36
	s_nop 1
	global_load_dword v64, v[68:69], off
	v_cvt_pk_f32_fp8_e32 v[66:67], v37
	s_waitcnt vmcnt(8)
	v_cvt_pk_f32_fp8_e32 v[68:69], v6
	v_cvt_pkrtz_f16_f32 v50, v50, v51
	v_cvt_pkrtz_f16_f32 v51, v70, v71
	v_cvt_pk_f32_fp8_sdwa v[70:71], v37 src0_sel:WORD_1
	v_cvt_pkrtz_f16_f32 v40, v66, v67
	v_mfma_f32_16x16x16_f16 v[34:37], v[34:35], v[16:17], v[46:49]
	v_cvt_pk_f32_fp8_sdwa v[66:67], v38 src0_sel:WORD_1
	v_cvt_pkrtz_f16_f32 v41, v70, v71
	v_cvt_pk_f32_fp8_sdwa v[70:71], v6 src0_sel:WORD_1
	v_mfma_f32_16x16x16_f16 v[46:49], v[50:51], v[30:31], 0
	v_cvt_pk_f32_fp8_e32 v[50:51], v38
	v_lshl_or_b32 v52, v57, 4, v56
	s_waitcnt vmcnt(6)
	v_cvt_pk_f32_fp8_e32 v[72:73], v43
	v_mfma_f32_16x16x16_f16 v[46:49], v[40:41], v[32:33], v[46:49]
	v_cvt_pk_f32_fp8_e32 v[40:41], v39
	v_cvt_pkrtz_f16_f32 v50, v50, v51
	v_cvt_pkrtz_f16_f32 v51, v66, v67
	v_cvt_pk_f32_fp8_sdwa v[38:39], v39 src0_sel:WORD_1
	v_cvt_pkrtz_f16_f32 v66, v40, v41
	s_addc_u32 s47, s11, 0
	v_lshlrev_b32_e32 v58, 4, v52
	v_cvt_pkrtz_f16_f32 v67, v38, v39
	v_mfma_f32_16x16x16_f16 v[38:41], v[50:51], v[22:23], v[46:49]
	v_cvt_pk_f32_fp8_sdwa v[50:51], v2 src0_sel:WORD_1
	s_nop 1
	v_cvt_pkrtz_f16_f32 v46, v68, v69
	v_cvt_pkrtz_f16_f32 v47, v70, v71
	v_cvt_pk_f32_fp8_e32 v[48:49], v7
	v_cvt_pk_f32_fp8_sdwa v[6:7], v7 src0_sel:WORD_1
	v_mfma_f32_16x16x16_f16 v[38:41], v[66:67], v[24:25], v[38:41]
	v_lshl_add_u64 v[70:71], s[46:47], 0, v[58:59]
	v_cvt_pkrtz_f16_f32 v48, v48, v49
	v_cvt_pkrtz_f16_f32 v49, v6, v7
	v_mfma_f32_16x16x16_f16 v[38:41], v[46:47], v[18:19], v[38:41]
	v_cvt_pk_f32_fp8_e32 v[6:7], v8
	v_cvt_pk_f32_fp8_sdwa v[46:47], v8 src0_sel:WORD_1
	v_or_b32_e32 v58, 0x400, v58
	v_mfma_f32_16x16x16_f16 v[38:41], v[48:49], v[20:21], v[38:41]
	v_cvt_pk_f32_fp8_e32 v[48:49], v9
	v_cvt_pkrtz_f16_f32 v6, v6, v7
	v_cvt_pkrtz_f16_f32 v7, v46, v47
	v_cvt_pk_f32_fp8_sdwa v[8:9], v9 src0_sel:WORD_1
	v_cvt_pkrtz_f16_f32 v46, v48, v49
	v_cvt_pk_f32_fp8_e32 v[48:49], v2
	v_cvt_pkrtz_f16_f32 v47, v8, v9
	v_mfma_f32_16x16x16_f16 v[6:9], v[6:7], v[14:15], v[38:41]
	v_cvt_pkrtz_f16_f32 v48, v48, v49
	v_cvt_pkrtz_f16_f32 v49, v50, v51
	v_cvt_pk_f32_fp8_e32 v[50:51], v3
	v_cvt_pk_f32_fp8_sdwa v[2:3], v3 src0_sel:WORD_1
	v_mfma_f32_16x16x16_f16 v[38:41], v[46:47], v[16:17], v[6:9]
	v_cvt_pkrtz_f16_f32 v46, v50, v51
	v_cvt_pkrtz_f16_f32 v47, v2, v3
	v_mfma_f32_16x16x16_f16 v[6:9], v[48:49], v[30:31], 0
	v_cvt_pk_f32_fp8_e32 v[2:3], v4
	v_cvt_pk_f32_fp8_sdwa v[48:49], v4 src0_sel:WORD_1
	s_waitcnt vmcnt(3)
	v_mad_i64_i32 v[50:51], s[4:5], v62, s45, v[70:71]
	v_cvt_pkrtz_f16_f32 v2, v2, v3
	v_cvt_pkrtz_f16_f32 v3, v48, v49
	v_mfma_f32_16x16x16_f16 v[6:9], v[46:47], v[32:33], v[6:9]
	v_cvt_pk_f32_fp8_e32 v[46:47], v5
	v_cvt_pk_f32_fp8_sdwa v[4:5], v5 src0_sel:WORD_1
	s_waitcnt vmcnt(2)
	v_mad_i64_i32 v[66:67], s[4:5], v53, s45, v[70:71]
	v_cvt_pkrtz_f16_f32 v46, v46, v47
	v_cvt_pkrtz_f16_f32 v47, v4, v5
	v_mfma_f32_16x16x16_f16 v[2:5], v[2:3], v[22:23], v[6:9]
	s_nop 2
	v_cvt_pk_f32_fp8_e32 v[6:7], v42
	v_cvt_pk_f32_fp8_sdwa v[8:9], v42 src0_sel:WORD_1
	v_cvt_pk_f32_fp8_sdwa v[42:43], v43 src0_sel:WORD_1
	v_mfma_f32_16x16x16_f16 v[46:49], v[46:47], v[24:25], v[2:5]
	v_cvt_pkrtz_f16_f32 v68, v6, v7
	v_cvt_pkrtz_f16_f32 v69, v8, v9
	global_load_dwordx4 v[6:9], v[50:51], off
	global_load_dwordx4 v[2:5], v[66:67], off
	v_cvt_pkrtz_f16_f32 v66, v72, v73
	v_cvt_pkrtz_f16_f32 v67, v42, v43
	v_mfma_f32_16x16x16_f16 v[48:51], v[68:69], v[18:19], v[46:49]
	v_cvt_pk_f32_fp8_e32 v[42:43], v44
	v_cvt_pk_f32_fp8_sdwa v[72:73], v44 src0_sel:WORD_1
	s_waitcnt vmcnt(2)
	v_mad_i64_i32 v[46:47], s[4:5], v64, s45, v[70:71]
	v_mfma_f32_16x16x16_f16 v[66:69], v[66:67], v[20:21], v[48:51]
	v_cvt_pkrtz_f16_f32 v42, v42, v43
	v_cvt_pkrtz_f16_f32 v43, v72, v73
	v_cvt_pk_f32_fp8_sdwa v[72:73], v26 src0_sel:WORD_1
	v_cvt_pk_f32_fp8_e32 v[50:51], v45
	v_cvt_pk_f32_fp8_sdwa v[44:45], v45 src0_sel:WORD_1
	v_mad_i64_i32 v[48:49], s[4:5], v63, s45, v[70:71]
	v_cvt_pkrtz_f16_f32 v50, v50, v51
	v_cvt_pkrtz_f16_f32 v51, v44, v45
	v_mfma_f32_16x16x16_f16 v[42:45], v[42:43], v[14:15], v[66:69]
	v_cvt_pk_f32_fp8_e32 v[70:71], v26
	s_load_dword s4, s[0:1], 0x1c
	s_load_dwordx4 s[40:43], s[0:1], 0x80
	s_load_dword s33, s[0:1], 0x98
	s_waitcnt lgkmcnt(0)
	s_load_dword s5, s[40:41], 0x0
	v_mfma_f32_16x16x16_f16 v[66:69], v[50:51], v[16:17], v[42:45]
	s_mov_b32 s40, 0xff7fffff
	s_nop 1
	v_cvt_pk_f32_fp8_e32 v[42:43], v27
	v_cvt_pkrtz_f16_f32 v44, v70, v71
	v_cvt_pkrtz_f16_f32 v45, v72, v73
	v_cvt_pk_f32_fp8_sdwa v[26:27], v27 src0_sel:WORD_1
	v_cvt_pkrtz_f16_f32 v50, v42, v43
	v_cvt_pk_f32_fp8_e32 v[70:71], v28
	v_cvt_pk_f32_fp8_sdwa v[72:73], v28 src0_sel:WORD_1
	v_cvt_pkrtz_f16_f32 v51, v26, v27
	v_mfma_f32_16x16x16_f16 v[42:45], v[44:45], v[30:31], 0
	v_cvt_pkrtz_f16_f32 v30, v70, v71
	v_cvt_pkrtz_f16_f32 v31, v72, v73
	v_cvt_pk_f32_fp8_e32 v[70:71], v29
	v_cvt_pk_f32_fp8_sdwa v[72:73], v29 src0_sel:WORD_1
	v_mfma_f32_16x16x16_f16 v[26:29], v[50:51], v[32:33], v[42:45]
	v_mov_b32_e32 v32, s4
	s_waitcnt lgkmcnt(0)
	v_mul_f32_e32 v50, s5, v32
	v_pk_mul_f32 v[32:33], v[50:51], v[34:35] op_sel_hi:[0,1]
	v_cvt_pkrtz_f16_f32 v42, v70, v71
	v_cvt_pkrtz_f16_f32 v43, v72, v73
	v_mfma_f32_16x16x16_f16 v[26:29], v[30:31], v[22:23], v[26:29]
	v_pk_mul_f32 v[30:31], v[50:51], v[36:37] op_sel_hi:[0,1]
	v_cvt_pk_f32_fp8_e32 v[22:23], v10
	v_cvt_pk_f32_fp8_sdwa v[70:71], v12 src0_sel:WORD_1
	v_mfma_f32_16x16x16_f16 v[34:37], v[42:43], v[24:25], v[26:29]
	v_cvt_pk_f32_fp8_sdwa v[24:25], v10 src0_sel:WORD_1
	v_cvt_pkrtz_f16_f32 v42, v22, v23
	v_pk_mul_f32 v[40:41], v[50:51], v[40:41] op_sel_hi:[0,1]
	v_cvt_pk_f32_fp8_e32 v[26:27], v11
	v_cvt_pk_f32_fp8_sdwa v[10:11], v11 src0_sel:WORD_1
	v_cvt_pkrtz_f16_f32 v43, v24, v25
	v_cvt_pkrtz_f16_f32 v44, v26, v27
	;; [unrolled: 1-line block ×3, first 2 shown]
	v_cvt_pk_f32_fp8_e32 v[10:11], v12
	v_mfma_f32_16x16x16_f16 v[34:37], v[42:43], v[18:19], v[34:37]
	global_load_dwordx4 v[26:29], v[46:47], off
	global_load_dwordx4 v[22:25], v[48:49], off
	v_cvt_pkrtz_f16_f32 v19, v70, v71
	v_cvt_pkrtz_f16_f32 v18, v10, v11
	v_cvt_pk_f32_fp8_e32 v[42:43], v13
	v_cvt_pk_f32_fp8_sdwa v[46:47], v13 src0_sel:WORD_1
	v_mfma_f32_16x16x16_f16 v[10:13], v[44:45], v[20:21], v[34:37]
	v_pk_mul_f32 v[44:45], v[50:51], v[38:39] op_sel_hi:[0,1]
	v_cvt_pkrtz_f16_f32 v20, v42, v43
	v_cvt_pkrtz_f16_f32 v21, v46, v47
	v_mfma_f32_16x16x16_f16 v[10:13], v[18:19], v[14:15], v[10:13]
	v_pk_mul_f32 v[38:39], v[50:51], v[68:69] op_sel_hi:[0,1]
	v_pk_mul_f32 v[42:43], v[50:51], v[66:67] op_sel_hi:[0,1]
	v_mfma_f32_16x16x16_f16 v[10:13], v[20:21], v[16:17], v[10:13]
	s_nop 6
	v_pk_mul_f32 v[36:37], v[50:51], v[10:11] op_sel_hi:[0,1]
	v_and_b32_e32 v10, 0xc0, v0
	v_add_u32_e32 v10, s18, v10
	v_lshl_or_b32 v10, v60, 2, v10
	v_or_b32_e32 v11, 1, v10
	v_pk_mul_f32 v[34:35], v[50:51], v[12:13] op_sel_hi:[0,1]
	v_subrev_u32_e32 v12, s7, v11
	v_add_u32_e32 v14, 1, v12
	v_add_u32_e32 v15, 2, v12
	v_cvt_f32_i32_e32 v13, v12
	v_cvt_f32_i32_e32 v14, v14
	;; [unrolled: 1-line block ×3, first 2 shown]
	v_add_u32_e32 v16, 3, v12
	v_fma_f32 v18, v61, v13, v32
	v_fmac_f32_e32 v33, v61, v14
	v_fma_f32 v48, v61, v15, v30
	v_add_u32_e32 v13, 16, v12
	v_add_u32_e32 v14, 17, v12
	;; [unrolled: 1-line block ×3, first 2 shown]
	v_cvt_f32_i32_e32 v16, v16
	v_cvt_f32_i32_e32 v13, v13
	;; [unrolled: 1-line block ×4, first 2 shown]
	v_fmac_f32_e32 v31, v61, v16
	v_add_u32_e32 v16, 19, v12
	v_fma_f32 v44, v61, v13, v44
	v_fmac_f32_e32 v45, v61, v14
	v_fma_f32 v40, v61, v15, v40
	v_add_u32_e32 v13, 32, v12
	v_add_u32_e32 v14, 33, v12
	;; [unrolled: 1-line block ×3, first 2 shown]
	v_cvt_f32_i32_e32 v16, v16
	v_cvt_f32_i32_e32 v13, v13
	;; [unrolled: 1-line block ×4, first 2 shown]
	v_fmac_f32_e32 v41, v61, v16
	v_add_u32_e32 v16, 35, v12
	v_fma_f32 v42, v61, v13, v42
	v_fmac_f32_e32 v43, v61, v14
	v_fma_f32 v38, v61, v15, v38
	v_add_u32_e32 v13, 48, v12
	v_add_u32_e32 v14, 49, v12
	;; [unrolled: 1-line block ×4, first 2 shown]
	v_cvt_f32_i32_e32 v12, v12
	v_cvt_f32_i32_e32 v13, v13
	;; [unrolled: 1-line block ×3, first 2 shown]
	v_cmp_gt_i32_e64 s[8:9], s7, v10
	v_fmac_f32_e32 v35, v61, v12
	v_mov_b32_e32 v12, 0xff7fffff
	v_cmp_gt_i32_e64 s[10:11], s7, v11
	v_fma_f32 v36, v61, v13, v36
	v_cndmask_b32_e64 v13, v12, v18, s[8:9]
	v_cndmask_b32_e64 v11, v12, v33, s[10:11]
	v_fmac_f32_e32 v37, v61, v14
	v_max3_f32 v11, v13, s40, v11
	v_or_b32_e32 v13, 2, v10
	v_or_b32_e32 v14, 3, v10
	v_cmp_gt_i32_e64 s[12:13], s7, v13
	v_cmp_gt_i32_e64 s[14:15], s7, v14
	v_cvt_f32_i32_e32 v16, v16
	v_cndmask_b32_e64 v13, v12, v48, s[12:13]
	v_cndmask_b32_e64 v14, v12, v31, s[14:15]
	v_max3_f32 v11, v11, v13, v14
	v_or_b32_e32 v13, 16, v10
	v_or_b32_e32 v14, 17, v10
	v_cmp_gt_i32_e64 s[16:17], s7, v13
	v_cmp_gt_i32_e64 s[18:19], s7, v14
	v_fmac_f32_e32 v39, v61, v16
	v_cndmask_b32_e64 v13, v12, v44, s[16:17]
	v_cndmask_b32_e64 v14, v12, v45, s[18:19]
	v_max3_f32 v11, v11, v13, v14
	v_or_b32_e32 v13, 18, v10
	v_or_b32_e32 v14, 19, v10
	v_cmp_gt_i32_e64 s[20:21], s7, v13
	v_cmp_gt_i32_e64 s[22:23], s7, v14
	v_cvt_f32_i32_e32 v15, v15
	v_cndmask_b32_e64 v13, v12, v40, s[20:21]
	v_cndmask_b32_e64 v14, v12, v41, s[22:23]
	v_max3_f32 v11, v11, v13, v14
	v_or_b32_e32 v13, 32, v10
	v_or_b32_e32 v14, 33, v10
	v_cmp_gt_i32_e64 s[24:25], s7, v13
	v_cmp_gt_i32_e64 s[26:27], s7, v14
	v_fma_f32 v34, v61, v15, v34
	v_cndmask_b32_e64 v13, v12, v42, s[24:25]
	v_cndmask_b32_e64 v14, v12, v43, s[26:27]
	v_max3_f32 v11, v11, v13, v14
	v_or_b32_e32 v13, 34, v10
	v_or_b32_e32 v14, 35, v10
	v_cmp_gt_i32_e64 s[28:29], s7, v13
	v_cmp_gt_i32_e64 s[30:31], s7, v14
	s_nop 0
	v_cndmask_b32_e64 v13, v12, v38, s[28:29]
	v_cndmask_b32_e64 v14, v12, v39, s[30:31]
	v_max3_f32 v11, v11, v13, v14
	v_or_b32_e32 v13, 48, v10
	v_or_b32_e32 v14, 49, v10
	v_cmp_gt_i32_e64 s[34:35], s7, v13
	v_cmp_gt_i32_e64 s[36:37], s7, v14
	s_nop 0
	v_cndmask_b32_e64 v13, v12, v36, s[34:35]
	v_cndmask_b32_e64 v14, v12, v37, s[36:37]
	v_max3_f32 v11, v11, v13, v14
	v_or_b32_e32 v13, 50, v10
	v_or_b32_e32 v10, 51, v10
	v_cmp_gt_i32_e32 vcc, s7, v13
	v_cmp_gt_i32_e64 s[4:5], s7, v10
	s_nop 0
	v_cndmask_b32_e32 v13, v12, v34, vcc
	v_cndmask_b32_e64 v10, v12, v35, s[4:5]
	v_max3_f32 v14, v11, v13, v10
	v_mbcnt_lo_u32_b32 v10, -1, 0
	v_mbcnt_hi_u32_b32 v15, -1, v10
	v_and_b32_e32 v10, 64, v15
	v_add_u32_e32 v16, 64, v10
	v_xor_b32_e32 v10, 32, v15
	v_cmp_lt_i32_e64 s[38:39], v10, v16
	s_nop 1
	v_cndmask_b32_e64 v10, v15, v10, s[38:39]
	v_lshlrev_b32_e32 v51, 2, v10
	ds_bpermute_b32 v17, v51, v14
	v_lshl_add_u64 v[10:11], s[46:47], 0, v[58:59]
	v_mad_i64_i32 v[12:13], s[38:39], v62, s45, v[10:11]
	s_waitcnt lgkmcnt(0)
	v_max_f32_e32 v17, v17, v17
	v_max_f32_e32 v19, v14, v17
	v_xor_b32_e32 v14, 16, v15
	v_cmp_lt_i32_e64 s[38:39], v14, v16
	s_nop 1
	v_cndmask_b32_e64 v14, v15, v14, s[38:39]
	v_lshlrev_b32_e32 v58, 2, v14
	ds_bpermute_b32 v20, v58, v19
	v_mad_i64_i32 v[14:15], s[38:39], v53, s45, v[10:11]
	v_mad_i64_i32 v[16:17], s[38:39], v64, s45, v[10:11]
	s_waitcnt lgkmcnt(0)
	v_max_f32_e32 v20, v20, v20
	v_max_f32_e32 v50, v19, v20
	v_sub_f32_e32 v18, v18, v50
	v_sub_f32_e32 v19, v33, v50
	v_mul_f32_e32 v18, 0x3fb8aa3b, v18
	v_mul_f32_e32 v19, 0x3fb8aa3b, v19
	v_exp_f32_e32 v18, v18
	v_exp_f32_e32 v19, v19
	v_sub_f32_e32 v49, v31, v50
	v_mad_i64_i32 v[10:11], s[38:39], v63, s45, v[10:11]
	v_cndmask_b32_e64 v46, 0, v18, s[8:9]
	v_cndmask_b32_e64 v47, 0, v19, s[10:11]
	global_load_dwordx4 v[30:33], v[12:13], off
	global_load_dwordx4 v[18:21], v[14:15], off
	v_sub_f32_e32 v12, v48, v50
	v_mul_f32_e32 v12, 0x3fb8aa3b, v12
	v_exp_f32_e32 v48, v12
	global_load_dwordx4 v[14:17], v[16:17], off
	s_nop 0
	global_load_dwordx4 v[10:13], v[10:11], off
	v_sub_f32_e32 v40, v40, v50
	v_sub_f32_e32 v42, v42, v50
	v_mul_f32_e32 v40, 0x3fb8aa3b, v40
	v_mul_f32_e32 v42, 0x3fb8aa3b, v42
	v_exp_f32_e32 v40, v40
	v_exp_f32_e32 v53, v42
	v_mul_f32_e32 v49, 0x3fb8aa3b, v49
	v_sub_f32_e32 v44, v44, v50
	v_exp_f32_e32 v49, v49
	v_mul_f32_e32 v44, 0x3fb8aa3b, v44
	v_sub_f32_e32 v45, v45, v50
	v_sub_f32_e32 v42, v43, v50
	v_exp_f32_e32 v44, v44
	v_mul_f32_e32 v45, 0x3fb8aa3b, v45
	v_mul_f32_e32 v42, 0x3fb8aa3b, v42
	v_exp_f32_e32 v45, v45
	v_sub_f32_e32 v41, v41, v50
	v_exp_f32_e32 v59, v42
	v_cndmask_b32_e64 v42, 0, v40, s[20:21]
	v_cndmask_b32_e64 v40, 0, v53, s[24:25]
	v_add_f32_e32 v53, 0, v46
	v_cndmask_b32_e64 v48, 0, v48, s[12:13]
	v_mul_f32_e32 v41, 0x3fb8aa3b, v41
	v_add_f32_e32 v53, v53, v47
	v_cndmask_b32_e64 v49, 0, v49, s[14:15]
	v_exp_f32_e32 v41, v41
	v_add_f32_e32 v53, v53, v48
	v_cndmask_b32_e64 v44, 0, v44, s[16:17]
	v_sub_f32_e32 v38, v38, v50
	v_add_f32_e32 v53, v53, v49
	v_cndmask_b32_e64 v45, 0, v45, s[18:19]
	v_sub_f32_e32 v39, v39, v50
	v_mul_f32_e32 v38, 0x3fb8aa3b, v38
	v_add_f32_e32 v53, v53, v44
	v_exp_f32_e32 v38, v38
	v_mul_f32_e32 v39, 0x3fb8aa3b, v39
	v_sub_f32_e32 v36, v36, v50
	v_add_f32_e32 v53, v53, v45
	v_cndmask_b32_e64 v43, 0, v41, s[22:23]
	v_exp_f32_e32 v39, v39
	v_mul_f32_e32 v36, 0x3fb8aa3b, v36
	v_sub_f32_e32 v37, v37, v50
	v_add_f32_e32 v53, v53, v42
	v_exp_f32_e32 v36, v36
	v_mul_f32_e32 v37, 0x3fb8aa3b, v37
	v_add_f32_e32 v53, v53, v43
	v_sub_f32_e32 v34, v34, v50
	v_cndmask_b32_e64 v41, 0, v59, s[26:27]
	v_exp_f32_e32 v37, v37
	v_add_f32_e32 v53, v53, v40
	v_mul_f32_e32 v34, 0x3fb8aa3b, v34
	v_sub_f32_e32 v35, v35, v50
	v_cndmask_b32_e64 v38, 0, v38, s[28:29]
	v_add_f32_e32 v53, v53, v41
	v_exp_f32_e32 v34, v34
	v_mul_f32_e32 v35, 0x3fb8aa3b, v35
	v_cndmask_b32_e64 v39, 0, v39, s[30:31]
	v_add_f32_e32 v53, v53, v38
	v_exp_f32_e32 v35, v35
	v_cndmask_b32_e64 v36, 0, v36, s[34:35]
	v_add_f32_e32 v53, v53, v39
	v_cndmask_b32_e64 v37, 0, v37, s[36:37]
	v_add_f32_e32 v53, v53, v36
	v_add_f32_e32 v53, v53, v37
	v_cndmask_b32_e32 v34, 0, v34, vcc
	v_add_f32_e32 v53, v53, v34
	v_cndmask_b32_e64 v35, 0, v35, s[4:5]
	v_add_f32_e32 v53, v53, v35
	ds_bpermute_b32 v51, v51, v53
	v_cmp_gt_u32_e32 vcc, 16, v55
	s_waitcnt lgkmcnt(0)
	s_barrier
	v_add_f32_e32 v51, v53, v51
	ds_bpermute_b32 v53, v58, v51
	s_and_saveexec_b64 s[4:5], vcc
	s_cbranch_execz .LBB941_15
; %bb.14:
	s_waitcnt lgkmcnt(0)
	v_add_f32_e32 v51, v51, v53
	v_lshlrev_b32_e32 v52, 2, v52
	ds_write2st64_b32 v52, v50, v51 offset1:1
.LBB941_15:
	s_or_b64 exec, exec, s[4:5]
	v_lshlrev_b32_e32 v51, 2, v56
	s_load_dword s7, s[0:1], 0x94
	s_waitcnt lgkmcnt(0)
	s_barrier
	ds_read2_b32 v[52:53], v51 offset1:16
	ds_read2_b32 v[58:59], v51 offset0:32 offset1:48
	ds_read2_b32 v[62:63], v51 offset0:64 offset1:80
	s_mul_i32 s8, s33, 14
	s_waitcnt lgkmcnt(2)
	v_max3_f32 v50, v52, s40, v53
	s_waitcnt lgkmcnt(1)
	v_max3_f32 v50, v50, v58, v59
	v_sub_f32_e32 v52, v52, v50
	v_mul_f32_e32 v52, 0x3fb8aa3b, v52
	v_exp_f32_e32 v55, v52
	v_sub_f32_e32 v52, v53, v50
	v_mul_f32_e32 v52, 0x3fb8aa3b, v52
	v_exp_f32_e32 v61, v52
	;; [unrolled: 3-line block ×3, first 2 shown]
	ds_read2_b32 v[52:53], v51 offset0:96 offset1:112
	v_sub_f32_e32 v51, v59, v50
	v_mul_f32_e32 v51, 0x3fb8aa3b, v51
	v_exp_f32_e32 v59, v51
	s_waitcnt lgkmcnt(1)
	v_fma_f32 v51, v55, v62, 0
	v_fmac_f32_e32 v51, v61, v63
	s_waitcnt lgkmcnt(0)
	v_fmac_f32_e32 v51, v58, v52
	v_fmac_f32_e32 v51, v59, v53
	v_add_f32_e32 v52, 0x358637bd, v51
	v_div_scale_f32 v53, s[4:5], v52, v52, 1.0
	v_rcp_f32_e32 v62, v53
	s_barrier
	v_fma_f32 v63, -v53, v62, 1.0
	v_fmac_f32_e32 v62, v63, v62
	v_div_scale_f32 v63, vcc, 1.0, v52, 1.0
	v_mul_f32_e32 v64, v63, v62
	v_fma_f32 v65, -v53, v64, v63
	v_fmac_f32_e32 v64, v65, v62
	v_fma_f32 v53, -v53, v64, v63
	v_div_fmas_f32 v53, v53, v62, v64
	v_cmp_eq_u32_e32 vcc, 1, v57
	v_div_fixup_f32 v52, v53, v52, 1.0
	s_nop 0
	v_cndmask_b32_e32 v53, v55, v61, vcc
	v_cmp_eq_u32_e32 vcc, 2, v57
	s_nop 1
	v_cndmask_b32_e32 v53, v53, v58, vcc
	v_cmp_eq_u32_e32 vcc, 3, v57
	s_nop 1
	v_cndmask_b32_e32 v53, v53, v59, vcc
	v_mul_f32_e32 v52, v53, v52
	v_pk_mul_f32 v[48:49], v[52:53], v[48:49] op_sel_hi:[0,1]
	v_pk_mul_f32 v[46:47], v[52:53], v[46:47] op_sel_hi:[0,1]
	v_cvt_f16_f32_e32 v53, v48
	v_cvt_f16_f32_e32 v49, v49
	;; [unrolled: 1-line block ×4, first 2 shown]
	v_pk_mul_f32 v[42:43], v[52:53], v[42:43] op_sel_hi:[0,1]
	v_pk_mul_f32 v[44:45], v[52:53], v[44:45] op_sel_hi:[0,1]
	v_pack_b32_f16 v49, v53, v49
	v_cvt_f16_f32_e32 v44, v44
	v_cvt_f16_f32_e32 v45, v45
	;; [unrolled: 1-line block ×4, first 2 shown]
	v_pack_b32_f16 v48, v46, v47
	v_lshlrev_b32_e32 v47, 3, v60
	v_lshlrev_b32_e32 v46, 5, v56
	;; [unrolled: 1-line block ×3, first 2 shown]
	v_or3_b32 v55, v42, v46, v47
	v_pack_b32_f16 v42, v44, v45
	v_pack_b32_f16 v43, v53, v43
	v_pk_mul_f32 v[38:39], v[52:53], v[38:39] op_sel_hi:[0,1]
	v_pk_mul_f32 v[40:41], v[52:53], v[40:41] op_sel_hi:[0,1]
	;; [unrolled: 1-line block ×4, first 2 shown]
	ds_write2st64_b64 v55, v[48:49], v[42:43] offset1:1
	v_cvt_f16_f32_e32 v40, v40
	v_cvt_f16_f32_e32 v41, v41
	;; [unrolled: 1-line block ×8, first 2 shown]
	v_pack_b32_f16 v34, v40, v41
	v_pack_b32_f16 v35, v38, v39
	;; [unrolled: 1-line block ×4, first 2 shown]
	v_cmp_gt_u32_e32 vcc, 14, v0
	ds_write2st64_b64 v55, v[34:35], v[36:37] offset0:2 offset1:3
	s_and_saveexec_b64 s[4:5], vcc
	s_cbranch_execz .LBB941_17
; %bb.16:
	s_mov_b32 s49, 0
	v_mov_b32_e32 v57, 0
	v_lshl_add_u64 v[34:35], s[48:49], 0, v[56:57]
	v_mov_b32_e32 v36, s8
	v_mad_u64_u32 v[34:35], s[10:11], s2, v36, v[34:35]
	s_mul_i32 s3, s3, s8
	v_mov_b32_e32 v36, s6
	v_mov_b32_e32 v37, v57
	s_load_dwordx4 s[12:15], s[0:1], 0x58
	v_add_u32_e32 v38, s3, v35
	v_mad_u64_u32 v[34:35], s[10:11], v34, s7, v[36:37]
	v_mov_b32_e32 v36, v35
	v_mad_u64_u32 v[36:37], s[10:11], v38, s7, v[36:37]
	v_mov_b32_e32 v35, v36
	v_lshlrev_b64 v[34:35], 2, v[34:35]
	s_waitcnt lgkmcnt(0)
	v_lshl_add_u64 v[36:37], s[14:15], 0, v[34:35]
	v_lshl_add_u64 v[34:35], s[12:13], 0, v[34:35]
	global_store_dword v[36:37], v50, off
	global_store_dword v[34:35], v51, off
.LBB941_17:
	s_or_b64 exec, exec, s[4:5]
	s_waitcnt vmcnt(7)
	v_cvt_pk_f32_fp8_e32 v[34:35], v6
	v_cvt_pk_f32_fp8_sdwa v[36:37], v6 src0_sel:WORD_1
	v_lshl_or_b32 v50, v60, 9, v46
	s_waitcnt lgkmcnt(0)
	s_barrier
	v_cvt_pk_f32_fp8_e32 v[38:39], v7
	v_cvt_pkrtz_f16_f32 v6, v34, v35
	v_cvt_pk_f32_fp8_sdwa v[40:41], v7 src0_sel:WORD_1
	v_cvt_pkrtz_f16_f32 v7, v36, v37
	ds_read_b128 v[34:37], v50
	v_cvt_pkrtz_f16_f32 v46, v38, v39
	v_cvt_pkrtz_f16_f32 v47, v40, v41
	ds_read_b128 v[38:41], v50 offset:16
	v_cvt_pk_f32_fp8_e32 v[48:49], v8
	v_cvt_pk_f32_fp8_sdwa v[52:53], v8 src0_sel:WORD_1
	s_waitcnt lgkmcnt(1)
	v_mfma_f32_16x16x16_f16 v[42:45], v[6:7], v[34:35], 0
	s_waitcnt vmcnt(6)
	v_cvt_pk_f32_fp8_e32 v[58:59], v4
	v_cvt_pkrtz_f16_f32 v6, v48, v49
	v_cvt_pkrtz_f16_f32 v7, v52, v53
	v_cvt_pk_f32_fp8_e32 v[48:49], v9
	v_mfma_f32_16x16x16_f16 v[42:45], v[46:47], v[36:37], v[42:45]
	v_cvt_pk_f32_fp8_sdwa v[46:47], v9 src0_sel:WORD_1
	v_cvt_pk_f32_fp8_sdwa v[62:63], v4 src0_sel:WORD_1
	v_cvt_pkrtz_f16_f32 v48, v48, v49
	s_waitcnt lgkmcnt(0)
	v_mfma_f32_16x16x16_f16 v[6:9], v[6:7], v[38:39], v[42:45]
	v_cvt_pkrtz_f16_f32 v49, v46, v47
	s_waitcnt vmcnt(5)
	v_cvt_pk_f32_fp8_sdwa v[66:67], v28 src0_sel:WORD_1
	s_waitcnt vmcnt(4)
	v_cvt_pk_f32_fp8_sdwa v[68:69], v24 src0_sel:WORD_1
	v_cvt_pk_f32_fp8_e32 v[42:43], v2
	v_mfma_f32_16x16x16_f16 v[46:49], v[48:49], v[40:41], v[6:9]
	s_waitcnt vmcnt(3)
	v_cvt_pk_f32_fp8_sdwa v[70:71], v32 src0_sel:WORD_1
	s_load_dword s4, s[42:43], 0x0
	v_cvt_pk_f32_fp8_sdwa v[6:7], v2 src0_sel:WORD_1
	v_cvt_pk_f32_fp8_e32 v[8:9], v3
	v_cvt_pkrtz_f16_f32 v2, v42, v43
	v_cvt_pk_f32_fp8_sdwa v[42:43], v3 src0_sel:WORD_1
	v_cvt_pkrtz_f16_f32 v3, v6, v7
	v_cvt_pkrtz_f16_f32 v52, v8, v9
	ds_read_b128 v[6:9], v50 offset:2048
	v_cvt_pkrtz_f16_f32 v53, v42, v43
	ds_read_b128 v[42:45], v50 offset:2064
	s_waitcnt lgkmcnt(0)
	v_mfma_f32_16x16x16_f16 v[46:49], v[2:3], v[6:7], v[46:49]
	v_cvt_pkrtz_f16_f32 v2, v58, v59
	v_cvt_pkrtz_f16_f32 v3, v62, v63
	v_cvt_pk_f32_fp8_e32 v[58:59], v5
	v_mfma_f32_16x16x16_f16 v[46:49], v[52:53], v[8:9], v[46:49]
	v_cvt_pk_f32_fp8_sdwa v[52:53], v5 src0_sel:WORD_1
	s_mov_b32 s3, 0
	v_cvt_pkrtz_f16_f32 v58, v58, v59
	v_mfma_f32_16x16x16_f16 v[2:5], v[2:3], v[42:43], v[46:49]
	v_cvt_pkrtz_f16_f32 v59, v52, v53
	v_cmp_gt_u32_e32 vcc, 64, v0
	s_nop 0
	v_cvt_pk_f32_fp8_e32 v[46:47], v26
	v_mfma_f32_16x16x16_f16 v[62:65], v[58:59], v[44:45], v[2:5]
	v_cvt_pk_f32_fp8_e32 v[58:59], v28
	s_nop 1
	v_cvt_pk_f32_fp8_sdwa v[2:3], v26 src0_sel:WORD_1
	v_cvt_pk_f32_fp8_e32 v[4:5], v27
	v_cvt_pkrtz_f16_f32 v26, v46, v47
	v_cvt_pk_f32_fp8_sdwa v[46:47], v27 src0_sel:WORD_1
	v_cvt_pkrtz_f16_f32 v27, v2, v3
	v_cvt_pkrtz_f16_f32 v52, v4, v5
	ds_read_b128 v[2:5], v50 offset:4096
	v_cvt_pkrtz_f16_f32 v53, v46, v47
	ds_read_b128 v[46:49], v50 offset:4112
	s_waitcnt lgkmcnt(1)
	v_mfma_f32_16x16x16_f16 v[62:65], v[26:27], v[2:3], v[62:65]
	v_cvt_pkrtz_f16_f32 v26, v58, v59
	v_cvt_pkrtz_f16_f32 v27, v66, v67
	v_cvt_pk_f32_fp8_e32 v[58:59], v29
	v_mfma_f32_16x16x16_f16 v[62:65], v[52:53], v[4:5], v[62:65]
	v_cvt_pk_f32_fp8_sdwa v[52:53], v29 src0_sel:WORD_1
	v_cvt_pk_f32_fp8_e32 v[66:67], v24
	v_cvt_pkrtz_f16_f32 v58, v58, v59
	s_waitcnt lgkmcnt(0)
	v_mfma_f32_16x16x16_f16 v[26:29], v[26:27], v[46:47], v[62:65]
	v_cvt_pkrtz_f16_f32 v59, v52, v53
	v_cvt_pk_f32_fp8_e32 v[52:53], v22
	s_nop 0
	v_mfma_f32_16x16x16_f16 v[62:65], v[58:59], v[48:49], v[26:29]
	s_nop 2
	v_cvt_pk_f32_fp8_sdwa v[26:27], v22 src0_sel:WORD_1
	v_cvt_pk_f32_fp8_e32 v[28:29], v23
	v_cvt_pkrtz_f16_f32 v22, v52, v53
	v_cvt_pk_f32_fp8_sdwa v[52:53], v23 src0_sel:WORD_1
	v_cvt_pkrtz_f16_f32 v23, v26, v27
	v_cvt_pkrtz_f16_f32 v58, v28, v29
	ds_read_b128 v[26:29], v50 offset:6144
	v_cvt_pkrtz_f16_f32 v59, v52, v53
	s_waitcnt lgkmcnt(0)
	v_mfma_f32_16x16x16_f16 v[62:65], v[22:23], v[26:27], v[62:65]
	ds_read_b128 v[50:53], v50 offset:6160
	v_cvt_pkrtz_f16_f32 v22, v66, v67
	v_cvt_pkrtz_f16_f32 v23, v68, v69
	v_cvt_pk_f32_fp8_e32 v[66:67], v25
	v_mfma_f32_16x16x16_f16 v[62:65], v[58:59], v[28:29], v[62:65]
	v_cvt_pk_f32_fp8_sdwa v[58:59], v25 src0_sel:WORD_1
	v_cvt_pk_f32_fp8_e32 v[68:69], v32
	v_cvt_pkrtz_f16_f32 v66, v66, v67
	s_waitcnt lgkmcnt(0)
	v_mfma_f32_16x16x16_f16 v[22:25], v[22:23], v[50:51], v[62:65]
	v_cvt_pkrtz_f16_f32 v67, v58, v59
	v_cvt_pk_f32_fp8_e32 v[58:59], v30
	s_nop 0
	v_cvt_pk_f32_fp8_sdwa v[62:63], v30 src0_sel:WORD_1
	v_cvt_pk_f32_fp8_e32 v[64:65], v31
	v_cvt_pkrtz_f16_f32 v58, v58, v59
	v_cvt_pk_f32_fp8_sdwa v[30:31], v31 src0_sel:WORD_1
	v_cvt_pkrtz_f16_f32 v59, v62, v63
	v_mfma_f32_16x16x16_f16 v[22:25], v[66:67], v[52:53], v[22:25]
	v_cvt_pkrtz_f16_f32 v66, v64, v65
	v_cvt_pkrtz_f16_f32 v67, v30, v31
	;; [unrolled: 1-line block ×3, first 2 shown]
	v_mfma_f32_16x16x16_f16 v[62:65], v[58:59], v[34:35], 0
	v_cvt_pkrtz_f16_f32 v31, v70, v71
	v_cvt_pk_f32_fp8_e32 v[58:59], v33
	s_barrier
	v_mfma_f32_16x16x16_f16 v[34:37], v[66:67], v[36:37], v[62:65]
	v_cvt_pkrtz_f16_f32 v58, v58, v59
	s_nop 1
	v_cvt_pk_f32_fp8_sdwa v[62:63], v33 src0_sel:WORD_1
	v_mfma_f32_16x16x16_f16 v[30:33], v[30:31], v[38:39], v[34:37]
	s_waitcnt vmcnt(2)
	v_cvt_pk_f32_fp8_e32 v[38:39], v19
	v_cvt_pkrtz_f16_f32 v59, v62, v63
	v_cvt_pk_f32_fp8_e32 v[34:35], v18
	v_cvt_pk_f32_fp8_sdwa v[36:37], v18 src0_sel:WORD_1
	v_cvt_pk_f32_fp8_sdwa v[18:19], v19 src0_sel:WORD_1
	v_mfma_f32_16x16x16_f16 v[30:33], v[58:59], v[40:41], v[30:33]
	v_cvt_pkrtz_f16_f32 v34, v34, v35
	v_cvt_pkrtz_f16_f32 v35, v36, v37
	;; [unrolled: 1-line block ×3, first 2 shown]
	v_cvt_pk_f32_fp8_e32 v[38:39], v20
	v_cvt_pk_f32_fp8_sdwa v[40:41], v20 src0_sel:WORD_1
	v_cvt_pkrtz_f16_f32 v37, v18, v19
	v_mfma_f32_16x16x16_f16 v[30:33], v[34:35], v[6:7], v[30:33]
	v_cvt_pkrtz_f16_f32 v18, v38, v39
	v_cvt_pkrtz_f16_f32 v19, v40, v41
	v_cvt_pk_f32_fp8_e32 v[34:35], v21
	v_cvt_pk_f32_fp8_sdwa v[20:21], v21 src0_sel:WORD_1
	v_mfma_f32_16x16x16_f16 v[6:9], v[36:37], v[8:9], v[30:33]
	s_nop 2
	v_cvt_pkrtz_f16_f32 v30, v34, v35
	v_cvt_pkrtz_f16_f32 v31, v20, v21
	v_mfma_f32_16x16x16_f16 v[6:9], v[18:19], v[42:43], v[6:9]
	s_waitcnt vmcnt(1)
	v_cvt_pk_f32_fp8_e32 v[18:19], v14
	v_cvt_pk_f32_fp8_sdwa v[20:21], v14 src0_sel:WORD_1
	v_cvt_pk_f32_fp8_sdwa v[32:33], v16 src0_sel:WORD_1
	v_mfma_f32_16x16x16_f16 v[6:9], v[30:31], v[44:45], v[6:9]
	v_cvt_pk_f32_fp8_e32 v[30:31], v15
	v_cvt_pkrtz_f16_f32 v18, v18, v19
	v_cvt_pkrtz_f16_f32 v19, v20, v21
	v_cvt_pk_f32_fp8_sdwa v[14:15], v15 src0_sel:WORD_1
	v_cvt_pkrtz_f16_f32 v20, v30, v31
	v_cvt_pk_f32_fp8_e32 v[30:31], v16
	v_mfma_f32_16x16x16_f16 v[6:9], v[18:19], v[2:3], v[6:9]
	v_cvt_pkrtz_f16_f32 v21, v14, v15
	v_cvt_pkrtz_f16_f32 v14, v30, v31
	;; [unrolled: 1-line block ×3, first 2 shown]
	v_cvt_pk_f32_fp8_e32 v[18:19], v17
	v_cvt_pk_f32_fp8_sdwa v[16:17], v17 src0_sel:WORD_1
	v_mfma_f32_16x16x16_f16 v[2:5], v[20:21], v[4:5], v[6:9]
	s_waitcnt vmcnt(0)
	v_cvt_pk_f32_fp8_sdwa v[20:21], v12 src0_sel:WORD_1
	s_nop 0
	v_cvt_pkrtz_f16_f32 v8, v18, v19
	v_cvt_pkrtz_f16_f32 v9, v16, v17
	v_mfma_f32_16x16x16_f16 v[2:5], v[14:15], v[46:47], v[2:5]
	v_cvt_pk_f32_fp8_e32 v[16:17], v10
	v_cvt_pk_f32_fp8_sdwa v[18:19], v10 src0_sel:WORD_1
	v_pk_mul_f32 v[6:7], v[24:25], s[4:5] op_sel_hi:[1,0]
	v_mfma_f32_16x16x16_f16 v[2:5], v[8:9], v[48:49], v[2:5]
	v_cvt_pk_f32_fp8_e32 v[8:9], v11
	v_cvt_pkrtz_f16_f32 v16, v16, v17
	v_cvt_pkrtz_f16_f32 v17, v18, v19
	v_cvt_pk_f32_fp8_sdwa v[10:11], v11 src0_sel:WORD_1
	v_cvt_pkrtz_f16_f32 v8, v8, v9
	v_cvt_pk_f32_fp8_e32 v[18:19], v12
	v_mfma_f32_16x16x16_f16 v[2:5], v[16:17], v[26:27], v[2:5]
	v_cvt_pkrtz_f16_f32 v9, v10, v11
	v_cvt_pkrtz_f16_f32 v10, v18, v19
	;; [unrolled: 1-line block ×3, first 2 shown]
	v_cvt_pk_f32_fp8_e32 v[16:17], v13
	v_cvt_pk_f32_fp8_sdwa v[12:13], v13 src0_sel:WORD_1
	v_mfma_f32_16x16x16_f16 v[2:5], v[8:9], v[28:29], v[2:5]
	v_pk_mul_f32 v[14:15], v[22:23], s[4:5] op_sel_hi:[1,0]
	v_cvt_pkrtz_f16_f32 v8, v16, v17
	v_cvt_pkrtz_f16_f32 v9, v12, v13
	v_mfma_f32_16x16x16_f16 v[2:5], v[10:11], v[50:51], v[2:5]
	v_cvt_f16_f32_e32 v14, v14
	v_cvt_f16_f32_e32 v10, v15
	;; [unrolled: 1-line block ×3, first 2 shown]
	v_mfma_f32_16x16x16_f16 v[2:5], v[8:9], v[52:53], v[2:5]
	v_cvt_f16_f32_e32 v7, v7
	s_nop 5
	v_pk_mul_f32 v[4:5], v[4:5], s[4:5] op_sel_hi:[1,0]
	v_pk_mul_f32 v[2:3], v[2:3], s[4:5] op_sel_hi:[1,0]
	v_cvt_f16_f32_e32 v11, v4
	v_cvt_f16_f32_e32 v8, v2
	v_cvt_f16_f32_e32 v9, v3
	v_cvt_f16_f32_e32 v5, v5
	v_pack_b32_f16 v2, v14, v10
	v_pack_b32_f16 v3, v6, v7
	;; [unrolled: 1-line block ×4, first 2 shown]
	ds_write2st64_b64 v55, v[2:3], v[4:5] offset1:1
	s_waitcnt lgkmcnt(0)
	s_barrier
	s_and_saveexec_b64 s[4:5], vcc
	s_cbranch_execz .LBB941_20
; %bb.18:
	s_load_dwordx2 s[4:5], s[0:1], 0x68
	s_lshl_b32 s0, s7, 7
	s_mul_i32 s1, s8, s2
	v_lshlrev_b32_e32 v3, 6, v56
	s_mul_hi_u32 s9, s1, s0
	s_mul_i32 s8, s1, s0
	v_lshl_or_b32 v0, v0, 10, v3
	s_lshl_b64 s[8:9], s[8:9], 1
	v_lshlrev_b32_e32 v2, 5, v60
	v_and_b32_e32 v1, 16, v1
	v_and_b32_e32 v0, 0x1a00, v0
	s_waitcnt lgkmcnt(0)
	s_add_u32 s1, s4, s8
	v_or3_b32 v2, v0, v2, v1
	s_addc_u32 s4, s5, s9
	s_lshl_b32 s2, s6, 7
	ds_read_b128 v[4:7], v2 offset:256
	s_lshl_b64 s[2:3], s[2:3], 1
	ds_read_b128 v[8:11], v2 offset:128
	ds_read_b128 v[12:15], v2
	s_add_u32 s2, s1, s2
	s_addc_u32 s3, s4, s3
	v_mov_b32_e32 v55, 0
	v_add_u32_e32 v18, s48, v60
	v_lshl_add_u64 v[0:1], s[2:3], 0, v[54:55]
	v_mad_u64_u32 v[16:17], s[2:3], v18, s0, 0
	v_lshl_add_u64 v[16:17], v[16:17], 1, v[0:1]
	s_waitcnt lgkmcnt(0)
	global_store_dwordx4 v[16:17], v[12:15], off
	v_or_b32_e32 v3, 12, v60
	v_cmp_gt_u32_e32 vcc, 14, v3
	v_add_u32_e32 v12, 4, v18
	v_mad_u64_u32 v[12:13], s[2:3], v12, s0, 0
	v_lshl_add_u64 v[12:13], v[12:13], 1, v[0:1]
	global_store_dwordx4 v[12:13], v[8:11], off
	s_nop 1
	v_add_u32_e32 v8, 8, v18
	v_mad_u64_u32 v[8:9], s[2:3], v8, s0, 0
	v_lshl_add_u64 v[8:9], v[8:9], 1, v[0:1]
	global_store_dwordx4 v[8:9], v[4:7], off
	s_and_b64 exec, exec, vcc
	s_cbranch_execz .LBB941_20
; %bb.19:
	ds_read_b128 v[4:7], v2 offset:384
	v_add_u32_e32 v2, s48, v3
	v_mad_u64_u32 v[2:3], s[0:1], v2, s0, 0
	v_lshl_add_u64 v[0:1], v[2:3], 1, v[0:1]
	s_waitcnt lgkmcnt(0)
	global_store_dwordx4 v[0:1], v[4:7], off
.LBB941_20:
	s_endpgm
	.section	.rodata,"a",@progbits
	.p2align	6, 0x0
	.amdhsa_kernel _Z39paged_attention_ll4mi_QKV_mfma16_kernelIDF16_hLN4vllm18Fp8KVCacheDataTypeE1EhLi16ELi128ELi256ELb1ELi14EEvPKT_PKT0_S7_ifPKiS9_S9_iPKfiiiPfSC_PS2_PT2_iSB_SB_
		.amdhsa_group_segment_fixed_size 8192
		.amdhsa_private_segment_fixed_size 0
		.amdhsa_kernarg_size 400
		.amdhsa_user_sgpr_count 2
		.amdhsa_user_sgpr_dispatch_ptr 0
		.amdhsa_user_sgpr_queue_ptr 0
		.amdhsa_user_sgpr_kernarg_segment_ptr 1
		.amdhsa_user_sgpr_dispatch_id 0
		.amdhsa_user_sgpr_kernarg_preload_length 0
		.amdhsa_user_sgpr_kernarg_preload_offset 0
		.amdhsa_user_sgpr_private_segment_size 0
		.amdhsa_uses_dynamic_stack 0
		.amdhsa_enable_private_segment 0
		.amdhsa_system_sgpr_workgroup_id_x 1
		.amdhsa_system_sgpr_workgroup_id_y 1
		.amdhsa_system_sgpr_workgroup_id_z 1
		.amdhsa_system_sgpr_workgroup_info 0
		.amdhsa_system_vgpr_workitem_id 0
		.amdhsa_next_free_vgpr 76
		.amdhsa_next_free_sgpr 50
		.amdhsa_accum_offset 76
		.amdhsa_reserve_vcc 1
		.amdhsa_float_round_mode_32 0
		.amdhsa_float_round_mode_16_64 0
		.amdhsa_float_denorm_mode_32 3
		.amdhsa_float_denorm_mode_16_64 3
		.amdhsa_dx10_clamp 1
		.amdhsa_ieee_mode 1
		.amdhsa_fp16_overflow 0
		.amdhsa_tg_split 0
		.amdhsa_exception_fp_ieee_invalid_op 0
		.amdhsa_exception_fp_denorm_src 0
		.amdhsa_exception_fp_ieee_div_zero 0
		.amdhsa_exception_fp_ieee_overflow 0
		.amdhsa_exception_fp_ieee_underflow 0
		.amdhsa_exception_fp_ieee_inexact 0
		.amdhsa_exception_int_div_zero 0
	.end_amdhsa_kernel
	.section	.text._Z39paged_attention_ll4mi_QKV_mfma16_kernelIDF16_hLN4vllm18Fp8KVCacheDataTypeE1EhLi16ELi128ELi256ELb1ELi14EEvPKT_PKT0_S7_ifPKiS9_S9_iPKfiiiPfSC_PS2_PT2_iSB_SB_,"axG",@progbits,_Z39paged_attention_ll4mi_QKV_mfma16_kernelIDF16_hLN4vllm18Fp8KVCacheDataTypeE1EhLi16ELi128ELi256ELb1ELi14EEvPKT_PKT0_S7_ifPKiS9_S9_iPKfiiiPfSC_PS2_PT2_iSB_SB_,comdat
.Lfunc_end941:
	.size	_Z39paged_attention_ll4mi_QKV_mfma16_kernelIDF16_hLN4vllm18Fp8KVCacheDataTypeE1EhLi16ELi128ELi256ELb1ELi14EEvPKT_PKT0_S7_ifPKiS9_S9_iPKfiiiPfSC_PS2_PT2_iSB_SB_, .Lfunc_end941-_Z39paged_attention_ll4mi_QKV_mfma16_kernelIDF16_hLN4vllm18Fp8KVCacheDataTypeE1EhLi16ELi128ELi256ELb1ELi14EEvPKT_PKT0_S7_ifPKiS9_S9_iPKfiiiPfSC_PS2_PT2_iSB_SB_
                                        ; -- End function
	.section	.AMDGPU.csdata,"",@progbits
; Kernel info:
; codeLenInByte = 6344
; NumSgprs: 56
; NumVgprs: 76
; NumAgprs: 0
; TotalNumVgprs: 76
; ScratchSize: 0
; MemoryBound: 0
; FloatMode: 240
; IeeeMode: 1
; LDSByteSize: 8192 bytes/workgroup (compile time only)
; SGPRBlocks: 6
; VGPRBlocks: 9
; NumSGPRsForWavesPerEU: 56
; NumVGPRsForWavesPerEU: 76
; AccumOffset: 76
; Occupancy: 6
; WaveLimiterHint : 1
; COMPUTE_PGM_RSRC2:SCRATCH_EN: 0
; COMPUTE_PGM_RSRC2:USER_SGPR: 2
; COMPUTE_PGM_RSRC2:TRAP_HANDLER: 0
; COMPUTE_PGM_RSRC2:TGID_X_EN: 1
; COMPUTE_PGM_RSRC2:TGID_Y_EN: 1
; COMPUTE_PGM_RSRC2:TGID_Z_EN: 1
; COMPUTE_PGM_RSRC2:TIDIG_COMP_CNT: 0
; COMPUTE_PGM_RSRC3_GFX90A:ACCUM_OFFSET: 18
; COMPUTE_PGM_RSRC3_GFX90A:TG_SPLIT: 0
	.section	.text._Z39paged_attention_ll4mi_QKV_mfma16_kernelIDF16_hLN4vllm18Fp8KVCacheDataTypeE1EhLi16ELi128ELi256ELb1ELi15EEvPKT_PKT0_S7_ifPKiS9_S9_iPKfiiiPfSC_PS2_PT2_iSB_SB_,"axG",@progbits,_Z39paged_attention_ll4mi_QKV_mfma16_kernelIDF16_hLN4vllm18Fp8KVCacheDataTypeE1EhLi16ELi128ELi256ELb1ELi15EEvPKT_PKT0_S7_ifPKiS9_S9_iPKfiiiPfSC_PS2_PT2_iSB_SB_,comdat
	.protected	_Z39paged_attention_ll4mi_QKV_mfma16_kernelIDF16_hLN4vllm18Fp8KVCacheDataTypeE1EhLi16ELi128ELi256ELb1ELi15EEvPKT_PKT0_S7_ifPKiS9_S9_iPKfiiiPfSC_PS2_PT2_iSB_SB_ ; -- Begin function _Z39paged_attention_ll4mi_QKV_mfma16_kernelIDF16_hLN4vllm18Fp8KVCacheDataTypeE1EhLi16ELi128ELi256ELb1ELi15EEvPKT_PKT0_S7_ifPKiS9_S9_iPKfiiiPfSC_PS2_PT2_iSB_SB_
	.globl	_Z39paged_attention_ll4mi_QKV_mfma16_kernelIDF16_hLN4vllm18Fp8KVCacheDataTypeE1EhLi16ELi128ELi256ELb1ELi15EEvPKT_PKT0_S7_ifPKiS9_S9_iPKfiiiPfSC_PS2_PT2_iSB_SB_
	.p2align	8
	.type	_Z39paged_attention_ll4mi_QKV_mfma16_kernelIDF16_hLN4vllm18Fp8KVCacheDataTypeE1EhLi16ELi128ELi256ELb1ELi15EEvPKT_PKT0_S7_ifPKiS9_S9_iPKfiiiPfSC_PS2_PT2_iSB_SB_,@function
_Z39paged_attention_ll4mi_QKV_mfma16_kernelIDF16_hLN4vllm18Fp8KVCacheDataTypeE1EhLi16ELi128ELi256ELb1ELi15EEvPKT_PKT0_S7_ifPKiS9_S9_iPKfiiiPfSC_PS2_PT2_iSB_SB_: ; @_Z39paged_attention_ll4mi_QKV_mfma16_kernelIDF16_hLN4vllm18Fp8KVCacheDataTypeE1EhLi16ELi128ELi256ELb1ELi15EEvPKT_PKT0_S7_ifPKiS9_S9_iPKfiiiPfSC_PS2_PT2_iSB_SB_
; %bb.0:
	s_load_dwordx2 s[10:11], s[0:1], 0x30
	s_mov_b32 s6, s3
	s_mov_b64 s[8:9], 0
	s_waitcnt lgkmcnt(0)
	s_cmp_lg_u64 s[10:11], 0
	s_cselect_b64 s[12:13], -1, 0
	s_and_b64 vcc, exec, s[12:13]
	s_cbranch_vccz .LBB942_7
; %bb.1:
	s_add_i32 s14, s2, 1
	s_mov_b32 s15, 0
	s_lshl_b64 s[16:17], s[14:15], 2
	s_add_u32 s16, s10, s16
	s_mov_b32 s3, s15
	s_addc_u32 s17, s11, s17
	s_lshl_b64 s[14:15], s[2:3], 2
	s_add_u32 s14, s10, s14
	s_addc_u32 s15, s11, s15
	s_load_dword s5, s[16:17], 0x0
	s_load_dword s7, s[14:15], 0x0
	s_waitcnt lgkmcnt(0)
	s_sub_i32 s5, s5, s7
	s_cmp_eq_u32 s5, 1
	s_cselect_b64 s[14:15], -1, 0
	s_andn2_b64 vcc, exec, s[8:9]
	s_cbranch_vccnz .LBB942_3
.LBB942_2:
	s_mov_b32 s3, 0
	s_mov_b64 s[14:15], -1
.LBB942_3:
	s_andn2_b64 vcc, exec, s[14:15]
	s_cbranch_vccnz .LBB942_20
; %bb.4:
	s_load_dwordx2 s[8:9], s[0:1], 0x28
	s_lshl_b64 s[14:15], s[2:3], 2
	s_waitcnt lgkmcnt(0)
	s_add_u32 s8, s8, s14
	s_addc_u32 s9, s9, s15
	s_load_dword s7, s[8:9], 0x0
	s_lshl_b32 s18, s6, 8
	s_waitcnt lgkmcnt(0)
	s_cmp_ge_i32 s18, s7
	s_cbranch_scc1 .LBB942_20
; %bb.5:
	s_load_dwordx2 s[8:9], s[0:1], 0x20
	s_load_dword s5, s[0:1], 0x38
	s_add_i32 s16, s7, 15
	s_ashr_i32 s17, s16, 31
	v_and_b32_e32 v1, 0xcf, v0
	s_lshr_b32 s17, s17, 28
	v_add_u32_e32 v1, s18, v1
	s_add_i32 s16, s16, s17
	v_ashrrev_i32_e32 v2, 31, v1
	s_ashr_i32 s19, s16, 4
	v_lshrrev_b32_e32 v4, 28, v2
	s_add_i32 s19, s19, -1
	s_waitcnt lgkmcnt(0)
	s_mul_i32 s16, s2, s5
	s_mov_b32 s17, 0
	v_add_u32_e32 v2, v1, v4
	s_lshl_b64 s[16:17], s[16:17], 2
	v_ashrrev_i32_e32 v2, 4, v2
	v_mov_b32_e32 v5, s19
	v_cmp_gt_i32_e32 vcc, s7, v1
	s_add_u32 s8, s8, s16
	s_addc_u32 s9, s9, s17
	v_cndmask_b32_e32 v2, v5, v2, vcc
	v_ashrrev_i32_e32 v3, 31, v2
	v_lshl_add_u64 v[6:7], v[2:3], 2, s[8:9]
	v_or_b32_e32 v2, 16, v1
	v_add_u32_e32 v3, v2, v4
	v_ashrrev_i32_e32 v3, 4, v3
	v_cmp_gt_i32_e32 vcc, s7, v2
	s_load_dwordx2 s[16:17], s[0:1], 0x8
	s_nop 0
	v_cndmask_b32_e32 v2, v5, v3, vcc
	v_ashrrev_i32_e32 v3, 31, v2
	v_lshl_add_u64 v[8:9], v[2:3], 2, s[8:9]
	v_or_b32_e32 v2, 32, v1
	v_add_u32_e32 v3, v2, v4
	v_ashrrev_i32_e32 v3, 4, v3
	v_cmp_gt_i32_e32 vcc, s7, v2
	v_or_b32_e32 v1, 48, v1
	s_nop 0
	v_cndmask_b32_e32 v2, v5, v3, vcc
	v_ashrrev_i32_e32 v3, 31, v2
	v_lshl_add_u64 v[12:13], v[2:3], 2, s[8:9]
	v_add_u32_e32 v2, v1, v4
	v_ashrrev_i32_e32 v2, 4, v2
	v_cmp_gt_i32_e32 vcc, s7, v1
	s_nop 1
	v_cndmask_b32_e32 v2, v5, v2, vcc
	v_ashrrev_i32_e32 v3, 31, v2
	v_lshl_add_u64 v[14:15], v[2:3], 2, s[8:9]
	global_load_dword v4, v[6:7], off
	global_load_dword v3, v[8:9], off
	;; [unrolled: 1-line block ×4, first 2 shown]
	s_andn2_b64 vcc, exec, s[12:13]
	s_cbranch_vccnz .LBB942_8
; %bb.6:
	s_add_u32 s10, s10, s14
	s_addc_u32 s11, s11, s15
	s_load_dword s5, s[10:11], 0x0
	s_branch .LBB942_9
.LBB942_7:
	s_mov_b64 s[14:15], 0
	s_branch .LBB942_2
.LBB942_8:
	s_mov_b32 s5, s2
.LBB942_9:
	s_load_dwordx2 s[10:11], s[0:1], 0x10
	s_load_dwordx4 s[44:47], s[0:1], 0x48
	v_lshrrev_b32_e32 v57, 6, v0
	v_bfe_u32 v60, v0, 4, 2
	v_and_b32_e32 v56, 15, v0
	v_lshl_or_b32 v5, v57, 2, v60
	v_lshlrev_b32_e32 v1, 3, v56
	s_mul_i32 s48, s4, 15
	v_cmp_gt_u32_e32 vcc, 15, v5
	v_lshlrev_b32_e32 v54, 1, v1
	v_lshlrev_b32_e32 v1, 4, v0
	s_and_saveexec_b64 s[12:13], vcc
	s_cbranch_execz .LBB942_11
; %bb.10:
	s_load_dwordx2 s[14:15], s[0:1], 0x0
	s_waitcnt lgkmcnt(0)
	s_ashr_i32 s20, s44, 31
	s_mul_hi_u32 s21, s5, s44
	s_mul_i32 s20, s5, s20
	s_add_i32 s21, s21, s20
	s_mul_i32 s20, s5, s44
	s_lshl_b64 s[20:21], s[20:21], 1
	s_add_u32 s14, s14, s20
	v_add_lshl_u32 v6, v5, s48, 7
	s_addc_u32 s15, s15, s21
	v_ashrrev_i32_e32 v7, 31, v6
	v_lshl_add_u64 v[6:7], v[6:7], 1, s[14:15]
	v_mov_b32_e32 v55, 0
	v_lshl_add_u64 v[6:7], v[6:7], 0, v[54:55]
	global_load_dwordx4 v[6:9], v[6:7], off
	v_lshlrev_b32_e32 v12, 8, v0
	v_lshlrev_b32_e32 v11, 8, v56
	v_and_b32_e32 v12, 0x600, v12
	s_movk_i32 s5, 0x800
	v_and_or_b32 v11, v11, s5, v12
	v_lshlrev_b32_e32 v5, 5, v5
	v_and_b32_e32 v12, 16, v1
	v_or3_b32 v5, v11, v5, v12
	s_waitcnt vmcnt(0)
	ds_write_b128 v5, v[6:9]
.LBB942_11:
	s_or_b64 exec, exec, s[12:13]
	s_waitcnt lgkmcnt(0)
	s_mul_i32 s12, s4, s46
	s_add_u32 s4, s16, s12
	v_mov_b32_e32 v59, 0
	s_addc_u32 s5, s17, 0
	v_and_b32_e32 v58, 0xf0, v1
	v_and_b32_e32 v34, 48, v0
	v_lshl_add_u64 v[12:13], s[4:5], 0, v[58:59]
	v_lshlrev_b32_e32 v58, 4, v34
	s_waitcnt vmcnt(3)
	v_mad_i64_i32 v[4:5], s[4:5], v4, s45, v[12:13]
	v_lshl_add_u64 v[4:5], v[4:5], 0, v[58:59]
	s_barrier
	global_load_dwordx4 v[50:53], v[4:5], off
	global_load_dwordx4 v[46:49], v[4:5], off offset:1024
	s_waitcnt vmcnt(4)
	v_mad_i64_i32 v[4:5], s[4:5], v3, s45, v[12:13]
	s_waitcnt vmcnt(3)
	v_mad_i64_i32 v[2:3], s[4:5], v2, s45, v[12:13]
	;; [unrolled: 2-line block ×3, first 2 shown]
	v_lshl_add_u64 v[4:5], v[4:5], 0, v[58:59]
	v_lshl_add_u64 v[14:15], v[2:3], 0, v[58:59]
	v_lshl_add_u64 v[10:11], v[10:11], 0, v[58:59]
	global_load_dwordx4 v[36:39], v[4:5], off
	global_load_dwordx4 v[6:9], v[4:5], off offset:1024
	s_nop 0
	global_load_dwordx4 v[2:5], v[14:15], off
	global_load_dwordx4 v[42:45], v[14:15], off offset:1024
	global_load_dwordx4 v[26:29], v[10:11], off
	s_nop 0
	global_load_dwordx4 v[14:17], v[10:11], off offset:1024
	v_cmp_ne_u32_e32 vcc, 15, v56
	v_and_b32_e32 v55, 63, v0
	v_mov_b32_e32 v61, 0
	v_cndmask_b32_e32 v10, 0, v56, vcc
	v_lshlrev_b32_e32 v10, 5, v10
	v_lshl_or_b32 v10, v60, 9, v10
	ds_read_b128 v[30:33], v10
	ds_read_b128 v[22:25], v10 offset:16
	ds_read_b128 v[18:21], v10 offset:2048
	;; [unrolled: 1-line block ×3, first 2 shown]
	s_and_saveexec_b64 s[4:5], vcc
	s_cbranch_execz .LBB942_13
; %bb.12:
	s_load_dwordx2 s[14:15], s[0:1], 0x40
	v_add_u32_e32 v40, s48, v56
	v_ashrrev_i32_e32 v41, 31, v40
	s_waitcnt lgkmcnt(0)
	v_lshl_add_u64 v[40:41], v[40:41], 2, s[14:15]
	global_load_dword v61, v[40:41], off
.LBB942_13:
	s_or_b64 exec, exec, s[4:5]
	v_or_b32_e32 v58, s18, v34
	v_ashrrev_i32_e32 v34, 4, v58
	v_mov_b32_e32 v63, s19
	v_cmp_gt_i32_e32 vcc, s7, v58
	s_waitcnt vmcnt(7)
	v_cvt_pk_f32_fp8_e32 v[40:41], v50
	v_cvt_pk_f32_fp8_sdwa v[64:65], v50 src0_sel:WORD_1
	v_cndmask_b32_e32 v34, v63, v34, vcc
	v_ashrrev_i32_e32 v35, 31, v34
	v_lshl_add_u64 v[34:35], v[34:35], 2, s[8:9]
	global_load_dword v62, v[34:35], off
	v_or_b32_e32 v34, 64, v58
	v_ashrrev_i32_e32 v35, 4, v34
	v_cmp_gt_i32_e32 vcc, s7, v34
	v_or_b32_e32 v66, 0x80, v58
	v_ashrrev_i32_e32 v67, 4, v66
	v_cndmask_b32_e32 v34, v63, v35, vcc
	v_cmp_gt_i32_e32 vcc, s7, v66
	v_cvt_pkrtz_f16_f32 v40, v40, v41
	v_cvt_pkrtz_f16_f32 v41, v64, v65
	v_cndmask_b32_e32 v50, v63, v67, vcc
	v_cvt_pk_f32_fp8_e32 v[64:65], v51
	v_cvt_pk_f32_fp8_sdwa v[66:67], v51 src0_sel:WORD_1
	v_ashrrev_i32_e32 v51, 31, v50
	v_lshl_add_u64 v[68:69], v[50:51], 2, s[8:9]
	v_cvt_pkrtz_f16_f32 v50, v64, v65
	v_cvt_pkrtz_f16_f32 v51, v66, v67
	s_waitcnt lgkmcnt(3)
	v_mfma_f32_16x16x16_f16 v[64:67], v[40:41], v[30:31], 0
	v_cvt_pk_f32_fp8_e32 v[40:41], v52
	v_cvt_pk_f32_fp8_sdwa v[70:71], v52 src0_sel:WORD_1
	s_waitcnt vmcnt(7)
	v_cvt_pk_f32_fp8_e32 v[72:73], v46
	v_mfma_f32_16x16x16_f16 v[64:67], v[50:51], v[32:33], v[64:67]
	v_cvt_pk_f32_fp8_e32 v[50:51], v53
	v_cvt_pkrtz_f16_f32 v40, v40, v41
	v_cvt_pkrtz_f16_f32 v41, v70, v71
	v_cvt_pk_f32_fp8_sdwa v[52:53], v53 src0_sel:WORD_1
	v_cvt_pkrtz_f16_f32 v70, v50, v51
	v_cvt_pk_f32_fp8_sdwa v[74:75], v46 src0_sel:WORD_1
	v_ashrrev_i32_e32 v35, 31, v34
	v_cvt_pkrtz_f16_f32 v71, v52, v53
	s_waitcnt lgkmcnt(2)
	v_mfma_f32_16x16x16_f16 v[50:53], v[40:41], v[22:23], v[64:67]
	v_cvt_pkrtz_f16_f32 v40, v72, v73
	v_cvt_pkrtz_f16_f32 v41, v74, v75
	v_or_b32_e32 v58, 0xc0, v58
	v_cvt_pk_f32_fp8_e32 v[64:65], v47
	v_cvt_pk_f32_fp8_sdwa v[46:47], v47 src0_sel:WORD_1
	v_mfma_f32_16x16x16_f16 v[50:53], v[70:71], v[24:25], v[50:53]
	v_lshl_add_u64 v[34:35], v[34:35], 2, s[8:9]
	v_cvt_pkrtz_f16_f32 v64, v64, v65
	v_cvt_pkrtz_f16_f32 v65, v46, v47
	s_waitcnt lgkmcnt(1)
	v_mfma_f32_16x16x16_f16 v[50:53], v[40:41], v[18:19], v[50:53]
	v_ashrrev_i32_e32 v66, 4, v58
	v_cmp_gt_i32_e32 vcc, s7, v58
	v_cvt_pk_f32_fp8_e32 v[46:47], v48
	s_waitcnt vmcnt(6)
	v_cvt_pk_f32_fp8_sdwa v[70:71], v36 src0_sel:WORD_1
	v_cndmask_b32_e32 v40, v63, v66, vcc
	v_mfma_f32_16x16x16_f16 v[64:67], v[64:65], v[20:21], v[50:53]
	v_ashrrev_i32_e32 v41, 31, v40
	v_lshl_add_u64 v[40:41], v[40:41], 2, s[8:9]
	v_cvt_pkrtz_f16_f32 v46, v46, v47
	global_load_dword v53, v[34:35], off
	global_load_dword v63, v[40:41], off
	v_cvt_pk_f32_fp8_sdwa v[50:51], v48 src0_sel:WORD_1
	v_cvt_pk_f32_fp8_e32 v[34:35], v49
	v_cvt_pk_f32_fp8_sdwa v[48:49], v49 src0_sel:WORD_1
	s_add_u32 s46, s10, s12
	v_cvt_pkrtz_f16_f32 v47, v50, v51
	v_cvt_pkrtz_f16_f32 v34, v34, v35
	;; [unrolled: 1-line block ×3, first 2 shown]
	s_waitcnt lgkmcnt(0)
	v_mfma_f32_16x16x16_f16 v[46:49], v[46:47], v[10:11], v[64:67]
	v_cvt_pk_f32_fp8_e32 v[50:51], v36
	s_nop 1
	global_load_dword v64, v[68:69], off
	v_cvt_pk_f32_fp8_e32 v[66:67], v37
	s_waitcnt vmcnt(8)
	v_cvt_pk_f32_fp8_e32 v[68:69], v6
	v_cvt_pkrtz_f16_f32 v50, v50, v51
	v_cvt_pkrtz_f16_f32 v51, v70, v71
	v_cvt_pk_f32_fp8_sdwa v[70:71], v37 src0_sel:WORD_1
	v_cvt_pkrtz_f16_f32 v40, v66, v67
	v_mfma_f32_16x16x16_f16 v[34:37], v[34:35], v[12:13], v[46:49]
	v_cvt_pk_f32_fp8_sdwa v[66:67], v38 src0_sel:WORD_1
	v_cvt_pkrtz_f16_f32 v41, v70, v71
	v_cvt_pk_f32_fp8_sdwa v[70:71], v6 src0_sel:WORD_1
	v_mfma_f32_16x16x16_f16 v[46:49], v[50:51], v[30:31], 0
	v_cvt_pk_f32_fp8_e32 v[50:51], v38
	v_lshl_or_b32 v52, v57, 4, v56
	s_waitcnt vmcnt(6)
	v_cvt_pk_f32_fp8_e32 v[72:73], v43
	v_mfma_f32_16x16x16_f16 v[46:49], v[40:41], v[32:33], v[46:49]
	v_cvt_pk_f32_fp8_e32 v[40:41], v39
	v_cvt_pkrtz_f16_f32 v50, v50, v51
	v_cvt_pkrtz_f16_f32 v51, v66, v67
	v_cvt_pk_f32_fp8_sdwa v[38:39], v39 src0_sel:WORD_1
	v_cvt_pkrtz_f16_f32 v66, v40, v41
	s_addc_u32 s47, s11, 0
	v_lshlrev_b32_e32 v58, 4, v52
	v_cvt_pkrtz_f16_f32 v67, v38, v39
	v_mfma_f32_16x16x16_f16 v[38:41], v[50:51], v[22:23], v[46:49]
	v_cvt_pk_f32_fp8_sdwa v[50:51], v2 src0_sel:WORD_1
	s_nop 1
	v_cvt_pkrtz_f16_f32 v46, v68, v69
	v_cvt_pkrtz_f16_f32 v47, v70, v71
	v_cvt_pk_f32_fp8_e32 v[48:49], v7
	v_cvt_pk_f32_fp8_sdwa v[6:7], v7 src0_sel:WORD_1
	v_mfma_f32_16x16x16_f16 v[38:41], v[66:67], v[24:25], v[38:41]
	v_lshl_add_u64 v[70:71], s[46:47], 0, v[58:59]
	v_cvt_pkrtz_f16_f32 v48, v48, v49
	v_cvt_pkrtz_f16_f32 v49, v6, v7
	v_mfma_f32_16x16x16_f16 v[38:41], v[46:47], v[18:19], v[38:41]
	v_cvt_pk_f32_fp8_e32 v[6:7], v8
	v_cvt_pk_f32_fp8_sdwa v[46:47], v8 src0_sel:WORD_1
	v_or_b32_e32 v58, 0x400, v58
	v_mfma_f32_16x16x16_f16 v[38:41], v[48:49], v[20:21], v[38:41]
	v_cvt_pk_f32_fp8_e32 v[48:49], v9
	v_cvt_pkrtz_f16_f32 v6, v6, v7
	v_cvt_pkrtz_f16_f32 v7, v46, v47
	v_cvt_pk_f32_fp8_sdwa v[8:9], v9 src0_sel:WORD_1
	v_cvt_pkrtz_f16_f32 v46, v48, v49
	v_cvt_pk_f32_fp8_e32 v[48:49], v2
	v_cvt_pkrtz_f16_f32 v47, v8, v9
	v_mfma_f32_16x16x16_f16 v[6:9], v[6:7], v[10:11], v[38:41]
	v_cvt_pkrtz_f16_f32 v48, v48, v49
	v_cvt_pkrtz_f16_f32 v49, v50, v51
	v_cvt_pk_f32_fp8_e32 v[50:51], v3
	v_cvt_pk_f32_fp8_sdwa v[2:3], v3 src0_sel:WORD_1
	v_mfma_f32_16x16x16_f16 v[38:41], v[46:47], v[12:13], v[6:9]
	v_cvt_pkrtz_f16_f32 v46, v50, v51
	v_cvt_pkrtz_f16_f32 v47, v2, v3
	v_mfma_f32_16x16x16_f16 v[6:9], v[48:49], v[30:31], 0
	v_cvt_pk_f32_fp8_e32 v[2:3], v4
	v_cvt_pk_f32_fp8_sdwa v[48:49], v4 src0_sel:WORD_1
	s_waitcnt vmcnt(3)
	v_mad_i64_i32 v[50:51], s[4:5], v62, s45, v[70:71]
	v_cvt_pkrtz_f16_f32 v2, v2, v3
	v_cvt_pkrtz_f16_f32 v3, v48, v49
	v_mfma_f32_16x16x16_f16 v[6:9], v[46:47], v[32:33], v[6:9]
	v_cvt_pk_f32_fp8_e32 v[46:47], v5
	v_cvt_pk_f32_fp8_sdwa v[4:5], v5 src0_sel:WORD_1
	s_waitcnt vmcnt(2)
	v_mad_i64_i32 v[66:67], s[4:5], v53, s45, v[70:71]
	v_cvt_pkrtz_f16_f32 v46, v46, v47
	v_cvt_pkrtz_f16_f32 v47, v4, v5
	v_mfma_f32_16x16x16_f16 v[2:5], v[2:3], v[22:23], v[6:9]
	s_nop 2
	v_cvt_pk_f32_fp8_e32 v[6:7], v42
	v_cvt_pk_f32_fp8_sdwa v[8:9], v42 src0_sel:WORD_1
	v_cvt_pk_f32_fp8_sdwa v[42:43], v43 src0_sel:WORD_1
	v_mfma_f32_16x16x16_f16 v[46:49], v[46:47], v[24:25], v[2:5]
	v_cvt_pkrtz_f16_f32 v68, v6, v7
	v_cvt_pkrtz_f16_f32 v69, v8, v9
	global_load_dwordx4 v[6:9], v[50:51], off
	global_load_dwordx4 v[2:5], v[66:67], off
	v_cvt_pkrtz_f16_f32 v66, v72, v73
	v_cvt_pkrtz_f16_f32 v67, v42, v43
	v_mfma_f32_16x16x16_f16 v[48:51], v[68:69], v[18:19], v[46:49]
	v_cvt_pk_f32_fp8_e32 v[42:43], v44
	v_cvt_pk_f32_fp8_sdwa v[72:73], v44 src0_sel:WORD_1
	s_waitcnt vmcnt(2)
	v_mad_i64_i32 v[46:47], s[4:5], v64, s45, v[70:71]
	v_mfma_f32_16x16x16_f16 v[66:69], v[66:67], v[20:21], v[48:51]
	v_cvt_pkrtz_f16_f32 v42, v42, v43
	v_cvt_pkrtz_f16_f32 v43, v72, v73
	v_cvt_pk_f32_fp8_sdwa v[72:73], v26 src0_sel:WORD_1
	v_cvt_pk_f32_fp8_e32 v[50:51], v45
	v_cvt_pk_f32_fp8_sdwa v[44:45], v45 src0_sel:WORD_1
	v_mad_i64_i32 v[48:49], s[4:5], v63, s45, v[70:71]
	v_cvt_pkrtz_f16_f32 v50, v50, v51
	v_cvt_pkrtz_f16_f32 v51, v44, v45
	v_mfma_f32_16x16x16_f16 v[42:45], v[42:43], v[10:11], v[66:69]
	v_cvt_pk_f32_fp8_e32 v[70:71], v26
	s_load_dword s4, s[0:1], 0x1c
	s_load_dwordx4 s[40:43], s[0:1], 0x80
	s_load_dword s33, s[0:1], 0x98
	s_waitcnt lgkmcnt(0)
	s_load_dword s5, s[40:41], 0x0
	v_mfma_f32_16x16x16_f16 v[66:69], v[50:51], v[12:13], v[42:45]
	s_mov_b32 s40, 0xff7fffff
	s_nop 1
	v_cvt_pk_f32_fp8_e32 v[42:43], v27
	v_cvt_pkrtz_f16_f32 v44, v70, v71
	v_cvt_pkrtz_f16_f32 v45, v72, v73
	v_cvt_pk_f32_fp8_sdwa v[26:27], v27 src0_sel:WORD_1
	v_cvt_pkrtz_f16_f32 v50, v42, v43
	v_cvt_pk_f32_fp8_e32 v[70:71], v28
	v_cvt_pk_f32_fp8_sdwa v[72:73], v28 src0_sel:WORD_1
	v_cvt_pkrtz_f16_f32 v51, v26, v27
	v_mfma_f32_16x16x16_f16 v[42:45], v[44:45], v[30:31], 0
	v_cvt_pkrtz_f16_f32 v30, v70, v71
	v_cvt_pkrtz_f16_f32 v31, v72, v73
	v_cvt_pk_f32_fp8_e32 v[70:71], v29
	v_cvt_pk_f32_fp8_sdwa v[72:73], v29 src0_sel:WORD_1
	v_mfma_f32_16x16x16_f16 v[26:29], v[50:51], v[32:33], v[42:45]
	v_mov_b32_e32 v32, s4
	s_waitcnt lgkmcnt(0)
	v_mul_f32_e32 v50, s5, v32
	v_pk_mul_f32 v[32:33], v[50:51], v[34:35] op_sel_hi:[0,1]
	v_cvt_pkrtz_f16_f32 v42, v70, v71
	v_cvt_pkrtz_f16_f32 v43, v72, v73
	v_mfma_f32_16x16x16_f16 v[26:29], v[30:31], v[22:23], v[26:29]
	v_pk_mul_f32 v[30:31], v[50:51], v[36:37] op_sel_hi:[0,1]
	v_cvt_pk_f32_fp8_e32 v[22:23], v14
	v_cvt_pk_f32_fp8_sdwa v[70:71], v16 src0_sel:WORD_1
	v_mfma_f32_16x16x16_f16 v[34:37], v[42:43], v[24:25], v[26:29]
	v_cvt_pk_f32_fp8_sdwa v[24:25], v14 src0_sel:WORD_1
	v_cvt_pkrtz_f16_f32 v42, v22, v23
	v_pk_mul_f32 v[40:41], v[50:51], v[40:41] op_sel_hi:[0,1]
	v_cvt_pk_f32_fp8_e32 v[26:27], v15
	v_cvt_pk_f32_fp8_sdwa v[14:15], v15 src0_sel:WORD_1
	v_cvt_pkrtz_f16_f32 v43, v24, v25
	v_cvt_pkrtz_f16_f32 v44, v26, v27
	;; [unrolled: 1-line block ×3, first 2 shown]
	v_cvt_pk_f32_fp8_e32 v[14:15], v16
	v_mfma_f32_16x16x16_f16 v[34:37], v[42:43], v[18:19], v[34:37]
	global_load_dwordx4 v[26:29], v[46:47], off
	global_load_dwordx4 v[22:25], v[48:49], off
	v_cvt_pkrtz_f16_f32 v19, v70, v71
	v_cvt_pkrtz_f16_f32 v18, v14, v15
	v_cvt_pk_f32_fp8_e32 v[42:43], v17
	v_cvt_pk_f32_fp8_sdwa v[46:47], v17 src0_sel:WORD_1
	v_mfma_f32_16x16x16_f16 v[14:17], v[44:45], v[20:21], v[34:37]
	v_pk_mul_f32 v[44:45], v[50:51], v[38:39] op_sel_hi:[0,1]
	v_cvt_pkrtz_f16_f32 v20, v42, v43
	v_cvt_pkrtz_f16_f32 v21, v46, v47
	v_mfma_f32_16x16x16_f16 v[14:17], v[18:19], v[10:11], v[14:17]
	v_pk_mul_f32 v[38:39], v[50:51], v[68:69] op_sel_hi:[0,1]
	v_pk_mul_f32 v[42:43], v[50:51], v[66:67] op_sel_hi:[0,1]
	v_mfma_f32_16x16x16_f16 v[10:13], v[20:21], v[12:13], v[14:17]
	s_nop 6
	v_pk_mul_f32 v[36:37], v[50:51], v[10:11] op_sel_hi:[0,1]
	v_and_b32_e32 v10, 0xc0, v0
	v_add_u32_e32 v10, s18, v10
	v_lshl_or_b32 v10, v60, 2, v10
	v_or_b32_e32 v11, 1, v10
	v_pk_mul_f32 v[34:35], v[50:51], v[12:13] op_sel_hi:[0,1]
	v_subrev_u32_e32 v12, s7, v11
	v_add_u32_e32 v14, 1, v12
	v_add_u32_e32 v15, 2, v12
	v_cvt_f32_i32_e32 v13, v12
	v_cvt_f32_i32_e32 v14, v14
	;; [unrolled: 1-line block ×3, first 2 shown]
	v_add_u32_e32 v16, 3, v12
	v_fma_f32 v18, v61, v13, v32
	v_fmac_f32_e32 v33, v61, v14
	v_fma_f32 v48, v61, v15, v30
	v_add_u32_e32 v13, 16, v12
	v_add_u32_e32 v14, 17, v12
	v_add_u32_e32 v15, 18, v12
	v_cvt_f32_i32_e32 v16, v16
	v_cvt_f32_i32_e32 v13, v13
	;; [unrolled: 1-line block ×4, first 2 shown]
	v_fmac_f32_e32 v31, v61, v16
	v_add_u32_e32 v16, 19, v12
	v_fma_f32 v44, v61, v13, v44
	v_fmac_f32_e32 v45, v61, v14
	v_fma_f32 v40, v61, v15, v40
	v_add_u32_e32 v13, 32, v12
	v_add_u32_e32 v14, 33, v12
	;; [unrolled: 1-line block ×3, first 2 shown]
	v_cvt_f32_i32_e32 v16, v16
	v_cvt_f32_i32_e32 v13, v13
	;; [unrolled: 1-line block ×4, first 2 shown]
	v_fmac_f32_e32 v41, v61, v16
	v_add_u32_e32 v16, 35, v12
	v_fma_f32 v42, v61, v13, v42
	v_fmac_f32_e32 v43, v61, v14
	v_fma_f32 v38, v61, v15, v38
	v_add_u32_e32 v13, 48, v12
	v_add_u32_e32 v14, 49, v12
	;; [unrolled: 1-line block ×4, first 2 shown]
	v_cvt_f32_i32_e32 v12, v12
	v_cvt_f32_i32_e32 v13, v13
	;; [unrolled: 1-line block ×3, first 2 shown]
	v_cmp_gt_i32_e64 s[8:9], s7, v10
	v_fmac_f32_e32 v35, v61, v12
	v_mov_b32_e32 v12, 0xff7fffff
	v_cmp_gt_i32_e64 s[10:11], s7, v11
	v_fma_f32 v36, v61, v13, v36
	v_cndmask_b32_e64 v13, v12, v18, s[8:9]
	v_cndmask_b32_e64 v11, v12, v33, s[10:11]
	v_fmac_f32_e32 v37, v61, v14
	v_max3_f32 v11, v13, s40, v11
	v_or_b32_e32 v13, 2, v10
	v_or_b32_e32 v14, 3, v10
	v_cmp_gt_i32_e64 s[12:13], s7, v13
	v_cmp_gt_i32_e64 s[14:15], s7, v14
	v_cvt_f32_i32_e32 v16, v16
	v_cndmask_b32_e64 v13, v12, v48, s[12:13]
	v_cndmask_b32_e64 v14, v12, v31, s[14:15]
	v_max3_f32 v11, v11, v13, v14
	v_or_b32_e32 v13, 16, v10
	v_or_b32_e32 v14, 17, v10
	v_cmp_gt_i32_e64 s[16:17], s7, v13
	v_cmp_gt_i32_e64 s[18:19], s7, v14
	v_fmac_f32_e32 v39, v61, v16
	v_cndmask_b32_e64 v13, v12, v44, s[16:17]
	v_cndmask_b32_e64 v14, v12, v45, s[18:19]
	v_max3_f32 v11, v11, v13, v14
	v_or_b32_e32 v13, 18, v10
	v_or_b32_e32 v14, 19, v10
	v_cmp_gt_i32_e64 s[20:21], s7, v13
	v_cmp_gt_i32_e64 s[22:23], s7, v14
	v_cvt_f32_i32_e32 v15, v15
	v_cndmask_b32_e64 v13, v12, v40, s[20:21]
	v_cndmask_b32_e64 v14, v12, v41, s[22:23]
	v_max3_f32 v11, v11, v13, v14
	v_or_b32_e32 v13, 32, v10
	v_or_b32_e32 v14, 33, v10
	v_cmp_gt_i32_e64 s[24:25], s7, v13
	v_cmp_gt_i32_e64 s[26:27], s7, v14
	v_fma_f32 v34, v61, v15, v34
	v_cndmask_b32_e64 v13, v12, v42, s[24:25]
	v_cndmask_b32_e64 v14, v12, v43, s[26:27]
	v_max3_f32 v11, v11, v13, v14
	v_or_b32_e32 v13, 34, v10
	v_or_b32_e32 v14, 35, v10
	v_cmp_gt_i32_e64 s[28:29], s7, v13
	v_cmp_gt_i32_e64 s[30:31], s7, v14
	s_nop 0
	v_cndmask_b32_e64 v13, v12, v38, s[28:29]
	v_cndmask_b32_e64 v14, v12, v39, s[30:31]
	v_max3_f32 v11, v11, v13, v14
	v_or_b32_e32 v13, 48, v10
	v_or_b32_e32 v14, 49, v10
	v_cmp_gt_i32_e64 s[34:35], s7, v13
	v_cmp_gt_i32_e64 s[36:37], s7, v14
	s_nop 0
	v_cndmask_b32_e64 v13, v12, v36, s[34:35]
	v_cndmask_b32_e64 v14, v12, v37, s[36:37]
	v_max3_f32 v11, v11, v13, v14
	v_or_b32_e32 v13, 50, v10
	v_or_b32_e32 v10, 51, v10
	v_cmp_gt_i32_e32 vcc, s7, v13
	v_cmp_gt_i32_e64 s[4:5], s7, v10
	s_nop 0
	v_cndmask_b32_e32 v13, v12, v34, vcc
	v_cndmask_b32_e64 v10, v12, v35, s[4:5]
	v_max3_f32 v14, v11, v13, v10
	v_mbcnt_lo_u32_b32 v10, -1, 0
	v_mbcnt_hi_u32_b32 v15, -1, v10
	v_and_b32_e32 v10, 64, v15
	v_add_u32_e32 v16, 64, v10
	v_xor_b32_e32 v10, 32, v15
	v_cmp_lt_i32_e64 s[38:39], v10, v16
	s_nop 1
	v_cndmask_b32_e64 v10, v15, v10, s[38:39]
	v_lshlrev_b32_e32 v51, 2, v10
	ds_bpermute_b32 v17, v51, v14
	v_lshl_add_u64 v[10:11], s[46:47], 0, v[58:59]
	v_mad_i64_i32 v[12:13], s[38:39], v62, s45, v[10:11]
	s_waitcnt lgkmcnt(0)
	v_max_f32_e32 v17, v17, v17
	v_max_f32_e32 v19, v14, v17
	v_xor_b32_e32 v14, 16, v15
	v_cmp_lt_i32_e64 s[38:39], v14, v16
	s_nop 1
	v_cndmask_b32_e64 v14, v15, v14, s[38:39]
	v_lshlrev_b32_e32 v58, 2, v14
	ds_bpermute_b32 v20, v58, v19
	v_mad_i64_i32 v[14:15], s[38:39], v53, s45, v[10:11]
	v_mad_i64_i32 v[16:17], s[38:39], v64, s45, v[10:11]
	s_waitcnt lgkmcnt(0)
	v_max_f32_e32 v20, v20, v20
	v_max_f32_e32 v50, v19, v20
	v_sub_f32_e32 v18, v18, v50
	v_sub_f32_e32 v19, v33, v50
	v_mul_f32_e32 v18, 0x3fb8aa3b, v18
	v_mul_f32_e32 v19, 0x3fb8aa3b, v19
	v_exp_f32_e32 v18, v18
	v_exp_f32_e32 v19, v19
	v_sub_f32_e32 v49, v31, v50
	v_mad_i64_i32 v[10:11], s[38:39], v63, s45, v[10:11]
	v_cndmask_b32_e64 v46, 0, v18, s[8:9]
	v_cndmask_b32_e64 v47, 0, v19, s[10:11]
	global_load_dwordx4 v[30:33], v[12:13], off
	global_load_dwordx4 v[18:21], v[14:15], off
	v_sub_f32_e32 v12, v48, v50
	v_mul_f32_e32 v12, 0x3fb8aa3b, v12
	v_exp_f32_e32 v48, v12
	global_load_dwordx4 v[14:17], v[16:17], off
	s_nop 0
	global_load_dwordx4 v[10:13], v[10:11], off
	v_sub_f32_e32 v40, v40, v50
	v_sub_f32_e32 v42, v42, v50
	v_mul_f32_e32 v40, 0x3fb8aa3b, v40
	v_mul_f32_e32 v42, 0x3fb8aa3b, v42
	v_exp_f32_e32 v40, v40
	v_exp_f32_e32 v53, v42
	v_mul_f32_e32 v49, 0x3fb8aa3b, v49
	v_sub_f32_e32 v44, v44, v50
	v_exp_f32_e32 v49, v49
	v_mul_f32_e32 v44, 0x3fb8aa3b, v44
	v_sub_f32_e32 v45, v45, v50
	v_sub_f32_e32 v42, v43, v50
	v_exp_f32_e32 v44, v44
	v_mul_f32_e32 v45, 0x3fb8aa3b, v45
	v_mul_f32_e32 v42, 0x3fb8aa3b, v42
	v_exp_f32_e32 v45, v45
	v_sub_f32_e32 v41, v41, v50
	v_exp_f32_e32 v59, v42
	v_cndmask_b32_e64 v42, 0, v40, s[20:21]
	v_cndmask_b32_e64 v40, 0, v53, s[24:25]
	v_add_f32_e32 v53, 0, v46
	v_cndmask_b32_e64 v48, 0, v48, s[12:13]
	v_mul_f32_e32 v41, 0x3fb8aa3b, v41
	v_add_f32_e32 v53, v53, v47
	v_cndmask_b32_e64 v49, 0, v49, s[14:15]
	v_exp_f32_e32 v41, v41
	v_add_f32_e32 v53, v53, v48
	v_cndmask_b32_e64 v44, 0, v44, s[16:17]
	v_sub_f32_e32 v38, v38, v50
	v_add_f32_e32 v53, v53, v49
	v_cndmask_b32_e64 v45, 0, v45, s[18:19]
	v_sub_f32_e32 v39, v39, v50
	v_mul_f32_e32 v38, 0x3fb8aa3b, v38
	v_add_f32_e32 v53, v53, v44
	v_exp_f32_e32 v38, v38
	v_mul_f32_e32 v39, 0x3fb8aa3b, v39
	v_sub_f32_e32 v36, v36, v50
	v_add_f32_e32 v53, v53, v45
	v_cndmask_b32_e64 v43, 0, v41, s[22:23]
	v_exp_f32_e32 v39, v39
	v_mul_f32_e32 v36, 0x3fb8aa3b, v36
	v_sub_f32_e32 v37, v37, v50
	v_add_f32_e32 v53, v53, v42
	v_exp_f32_e32 v36, v36
	v_mul_f32_e32 v37, 0x3fb8aa3b, v37
	v_add_f32_e32 v53, v53, v43
	v_sub_f32_e32 v34, v34, v50
	v_cndmask_b32_e64 v41, 0, v59, s[26:27]
	v_exp_f32_e32 v37, v37
	v_add_f32_e32 v53, v53, v40
	v_mul_f32_e32 v34, 0x3fb8aa3b, v34
	v_sub_f32_e32 v35, v35, v50
	v_cndmask_b32_e64 v38, 0, v38, s[28:29]
	v_add_f32_e32 v53, v53, v41
	v_exp_f32_e32 v34, v34
	v_mul_f32_e32 v35, 0x3fb8aa3b, v35
	v_cndmask_b32_e64 v39, 0, v39, s[30:31]
	v_add_f32_e32 v53, v53, v38
	v_exp_f32_e32 v35, v35
	v_cndmask_b32_e64 v36, 0, v36, s[34:35]
	v_add_f32_e32 v53, v53, v39
	v_cndmask_b32_e64 v37, 0, v37, s[36:37]
	v_add_f32_e32 v53, v53, v36
	v_add_f32_e32 v53, v53, v37
	v_cndmask_b32_e32 v34, 0, v34, vcc
	v_add_f32_e32 v53, v53, v34
	v_cndmask_b32_e64 v35, 0, v35, s[4:5]
	v_add_f32_e32 v53, v53, v35
	ds_bpermute_b32 v51, v51, v53
	v_cmp_gt_u32_e32 vcc, 16, v55
	s_waitcnt lgkmcnt(0)
	s_barrier
	v_add_f32_e32 v51, v53, v51
	ds_bpermute_b32 v53, v58, v51
	s_and_saveexec_b64 s[4:5], vcc
	s_cbranch_execz .LBB942_15
; %bb.14:
	s_waitcnt lgkmcnt(0)
	v_add_f32_e32 v51, v51, v53
	v_lshlrev_b32_e32 v52, 2, v52
	ds_write2st64_b32 v52, v50, v51 offset1:1
.LBB942_15:
	s_or_b64 exec, exec, s[4:5]
	v_lshlrev_b32_e32 v51, 2, v56
	s_load_dword s7, s[0:1], 0x94
	s_waitcnt lgkmcnt(0)
	s_barrier
	ds_read2_b32 v[52:53], v51 offset1:16
	ds_read2_b32 v[58:59], v51 offset0:32 offset1:48
	ds_read2_b32 v[62:63], v51 offset0:64 offset1:80
	s_mul_i32 s8, s33, 15
	s_waitcnt lgkmcnt(2)
	v_max3_f32 v50, v52, s40, v53
	s_waitcnt lgkmcnt(1)
	v_max3_f32 v50, v50, v58, v59
	v_sub_f32_e32 v52, v52, v50
	v_mul_f32_e32 v52, 0x3fb8aa3b, v52
	v_exp_f32_e32 v55, v52
	v_sub_f32_e32 v52, v53, v50
	v_mul_f32_e32 v52, 0x3fb8aa3b, v52
	v_exp_f32_e32 v61, v52
	;; [unrolled: 3-line block ×3, first 2 shown]
	ds_read2_b32 v[52:53], v51 offset0:96 offset1:112
	v_sub_f32_e32 v51, v59, v50
	v_mul_f32_e32 v51, 0x3fb8aa3b, v51
	v_exp_f32_e32 v59, v51
	s_waitcnt lgkmcnt(1)
	v_fma_f32 v51, v55, v62, 0
	v_fmac_f32_e32 v51, v61, v63
	s_waitcnt lgkmcnt(0)
	v_fmac_f32_e32 v51, v58, v52
	v_fmac_f32_e32 v51, v59, v53
	v_add_f32_e32 v52, 0x358637bd, v51
	v_div_scale_f32 v53, s[4:5], v52, v52, 1.0
	v_rcp_f32_e32 v62, v53
	s_barrier
	v_fma_f32 v63, -v53, v62, 1.0
	v_fmac_f32_e32 v62, v63, v62
	v_div_scale_f32 v63, vcc, 1.0, v52, 1.0
	v_mul_f32_e32 v64, v63, v62
	v_fma_f32 v65, -v53, v64, v63
	v_fmac_f32_e32 v64, v65, v62
	v_fma_f32 v53, -v53, v64, v63
	v_div_fmas_f32 v53, v53, v62, v64
	v_cmp_eq_u32_e32 vcc, 1, v57
	v_div_fixup_f32 v52, v53, v52, 1.0
	s_nop 0
	v_cndmask_b32_e32 v53, v55, v61, vcc
	v_cmp_eq_u32_e32 vcc, 2, v57
	s_nop 1
	v_cndmask_b32_e32 v53, v53, v58, vcc
	v_cmp_eq_u32_e32 vcc, 3, v57
	s_nop 1
	v_cndmask_b32_e32 v53, v53, v59, vcc
	v_mul_f32_e32 v52, v53, v52
	v_pk_mul_f32 v[48:49], v[52:53], v[48:49] op_sel_hi:[0,1]
	v_pk_mul_f32 v[46:47], v[52:53], v[46:47] op_sel_hi:[0,1]
	v_cvt_f16_f32_e32 v53, v48
	v_cvt_f16_f32_e32 v49, v49
	;; [unrolled: 1-line block ×4, first 2 shown]
	v_pk_mul_f32 v[42:43], v[52:53], v[42:43] op_sel_hi:[0,1]
	v_pk_mul_f32 v[44:45], v[52:53], v[44:45] op_sel_hi:[0,1]
	v_pack_b32_f16 v49, v53, v49
	v_cvt_f16_f32_e32 v44, v44
	v_cvt_f16_f32_e32 v45, v45
	;; [unrolled: 1-line block ×4, first 2 shown]
	v_pack_b32_f16 v48, v46, v47
	v_lshlrev_b32_e32 v47, 3, v60
	v_lshlrev_b32_e32 v46, 5, v56
	;; [unrolled: 1-line block ×3, first 2 shown]
	v_or3_b32 v55, v42, v46, v47
	v_pack_b32_f16 v42, v44, v45
	v_pack_b32_f16 v43, v53, v43
	v_pk_mul_f32 v[38:39], v[52:53], v[38:39] op_sel_hi:[0,1]
	v_pk_mul_f32 v[40:41], v[52:53], v[40:41] op_sel_hi:[0,1]
	;; [unrolled: 1-line block ×4, first 2 shown]
	ds_write2st64_b64 v55, v[48:49], v[42:43] offset1:1
	v_cvt_f16_f32_e32 v40, v40
	v_cvt_f16_f32_e32 v41, v41
	;; [unrolled: 1-line block ×8, first 2 shown]
	v_pack_b32_f16 v34, v40, v41
	v_pack_b32_f16 v35, v38, v39
	;; [unrolled: 1-line block ×4, first 2 shown]
	v_cmp_gt_u32_e32 vcc, 15, v0
	ds_write2st64_b64 v55, v[34:35], v[36:37] offset0:2 offset1:3
	s_and_saveexec_b64 s[4:5], vcc
	s_cbranch_execz .LBB942_17
; %bb.16:
	s_mov_b32 s49, 0
	v_mov_b32_e32 v57, 0
	v_lshl_add_u64 v[34:35], s[48:49], 0, v[56:57]
	v_mov_b32_e32 v36, s8
	v_mad_u64_u32 v[34:35], s[10:11], s2, v36, v[34:35]
	s_mul_i32 s3, s3, s8
	v_mov_b32_e32 v36, s6
	v_mov_b32_e32 v37, v57
	s_load_dwordx4 s[12:15], s[0:1], 0x58
	v_add_u32_e32 v38, s3, v35
	v_mad_u64_u32 v[34:35], s[10:11], v34, s7, v[36:37]
	v_mov_b32_e32 v36, v35
	v_mad_u64_u32 v[36:37], s[10:11], v38, s7, v[36:37]
	v_mov_b32_e32 v35, v36
	v_lshlrev_b64 v[34:35], 2, v[34:35]
	s_waitcnt lgkmcnt(0)
	v_lshl_add_u64 v[36:37], s[14:15], 0, v[34:35]
	v_lshl_add_u64 v[34:35], s[12:13], 0, v[34:35]
	global_store_dword v[36:37], v50, off
	global_store_dword v[34:35], v51, off
.LBB942_17:
	s_or_b64 exec, exec, s[4:5]
	s_waitcnt vmcnt(7)
	v_cvt_pk_f32_fp8_e32 v[34:35], v6
	v_cvt_pk_f32_fp8_sdwa v[36:37], v6 src0_sel:WORD_1
	v_lshl_or_b32 v50, v60, 9, v46
	s_waitcnt lgkmcnt(0)
	s_barrier
	v_cvt_pk_f32_fp8_e32 v[38:39], v7
	v_cvt_pkrtz_f16_f32 v6, v34, v35
	v_cvt_pk_f32_fp8_sdwa v[40:41], v7 src0_sel:WORD_1
	v_cvt_pkrtz_f16_f32 v7, v36, v37
	ds_read_b128 v[34:37], v50
	v_cvt_pkrtz_f16_f32 v46, v38, v39
	v_cvt_pkrtz_f16_f32 v47, v40, v41
	ds_read_b128 v[38:41], v50 offset:16
	v_cvt_pk_f32_fp8_e32 v[48:49], v8
	v_cvt_pk_f32_fp8_sdwa v[52:53], v8 src0_sel:WORD_1
	s_waitcnt lgkmcnt(1)
	v_mfma_f32_16x16x16_f16 v[42:45], v[6:7], v[34:35], 0
	s_waitcnt vmcnt(6)
	v_cvt_pk_f32_fp8_e32 v[58:59], v4
	v_cvt_pkrtz_f16_f32 v6, v48, v49
	v_cvt_pkrtz_f16_f32 v7, v52, v53
	v_cvt_pk_f32_fp8_e32 v[48:49], v9
	v_mfma_f32_16x16x16_f16 v[42:45], v[46:47], v[36:37], v[42:45]
	v_cvt_pk_f32_fp8_sdwa v[46:47], v9 src0_sel:WORD_1
	v_cvt_pk_f32_fp8_sdwa v[62:63], v4 src0_sel:WORD_1
	v_cvt_pkrtz_f16_f32 v48, v48, v49
	s_waitcnt lgkmcnt(0)
	v_mfma_f32_16x16x16_f16 v[6:9], v[6:7], v[38:39], v[42:45]
	v_cvt_pkrtz_f16_f32 v49, v46, v47
	s_waitcnt vmcnt(5)
	v_cvt_pk_f32_fp8_sdwa v[66:67], v28 src0_sel:WORD_1
	s_waitcnt vmcnt(4)
	v_cvt_pk_f32_fp8_sdwa v[68:69], v24 src0_sel:WORD_1
	v_cvt_pk_f32_fp8_e32 v[42:43], v2
	v_mfma_f32_16x16x16_f16 v[46:49], v[48:49], v[40:41], v[6:9]
	s_waitcnt vmcnt(3)
	v_cvt_pk_f32_fp8_sdwa v[70:71], v32 src0_sel:WORD_1
	s_load_dword s4, s[42:43], 0x0
	v_cvt_pk_f32_fp8_sdwa v[6:7], v2 src0_sel:WORD_1
	v_cvt_pk_f32_fp8_e32 v[8:9], v3
	v_cvt_pkrtz_f16_f32 v2, v42, v43
	v_cvt_pk_f32_fp8_sdwa v[42:43], v3 src0_sel:WORD_1
	v_cvt_pkrtz_f16_f32 v3, v6, v7
	v_cvt_pkrtz_f16_f32 v52, v8, v9
	ds_read_b128 v[6:9], v50 offset:2048
	v_cvt_pkrtz_f16_f32 v53, v42, v43
	ds_read_b128 v[42:45], v50 offset:2064
	s_waitcnt lgkmcnt(0)
	v_mfma_f32_16x16x16_f16 v[46:49], v[2:3], v[6:7], v[46:49]
	v_cvt_pkrtz_f16_f32 v2, v58, v59
	v_cvt_pkrtz_f16_f32 v3, v62, v63
	v_cvt_pk_f32_fp8_e32 v[58:59], v5
	v_mfma_f32_16x16x16_f16 v[46:49], v[52:53], v[8:9], v[46:49]
	v_cvt_pk_f32_fp8_sdwa v[52:53], v5 src0_sel:WORD_1
	s_mov_b32 s3, 0
	v_cvt_pkrtz_f16_f32 v58, v58, v59
	v_mfma_f32_16x16x16_f16 v[2:5], v[2:3], v[42:43], v[46:49]
	v_cvt_pkrtz_f16_f32 v59, v52, v53
	v_cmp_gt_u32_e32 vcc, 64, v0
	s_nop 0
	v_cvt_pk_f32_fp8_e32 v[46:47], v26
	v_mfma_f32_16x16x16_f16 v[62:65], v[58:59], v[44:45], v[2:5]
	v_cvt_pk_f32_fp8_e32 v[58:59], v28
	s_nop 1
	v_cvt_pk_f32_fp8_sdwa v[2:3], v26 src0_sel:WORD_1
	v_cvt_pk_f32_fp8_e32 v[4:5], v27
	v_cvt_pkrtz_f16_f32 v26, v46, v47
	v_cvt_pk_f32_fp8_sdwa v[46:47], v27 src0_sel:WORD_1
	v_cvt_pkrtz_f16_f32 v27, v2, v3
	v_cvt_pkrtz_f16_f32 v52, v4, v5
	ds_read_b128 v[2:5], v50 offset:4096
	v_cvt_pkrtz_f16_f32 v53, v46, v47
	ds_read_b128 v[46:49], v50 offset:4112
	s_waitcnt lgkmcnt(1)
	v_mfma_f32_16x16x16_f16 v[62:65], v[26:27], v[2:3], v[62:65]
	v_cvt_pkrtz_f16_f32 v26, v58, v59
	v_cvt_pkrtz_f16_f32 v27, v66, v67
	v_cvt_pk_f32_fp8_e32 v[58:59], v29
	v_mfma_f32_16x16x16_f16 v[62:65], v[52:53], v[4:5], v[62:65]
	v_cvt_pk_f32_fp8_sdwa v[52:53], v29 src0_sel:WORD_1
	v_cvt_pk_f32_fp8_e32 v[66:67], v24
	v_cvt_pkrtz_f16_f32 v58, v58, v59
	s_waitcnt lgkmcnt(0)
	v_mfma_f32_16x16x16_f16 v[26:29], v[26:27], v[46:47], v[62:65]
	v_cvt_pkrtz_f16_f32 v59, v52, v53
	v_cvt_pk_f32_fp8_e32 v[52:53], v22
	s_nop 0
	v_mfma_f32_16x16x16_f16 v[62:65], v[58:59], v[48:49], v[26:29]
	s_nop 2
	v_cvt_pk_f32_fp8_sdwa v[26:27], v22 src0_sel:WORD_1
	v_cvt_pk_f32_fp8_e32 v[28:29], v23
	v_cvt_pkrtz_f16_f32 v22, v52, v53
	v_cvt_pk_f32_fp8_sdwa v[52:53], v23 src0_sel:WORD_1
	v_cvt_pkrtz_f16_f32 v23, v26, v27
	v_cvt_pkrtz_f16_f32 v58, v28, v29
	ds_read_b128 v[26:29], v50 offset:6144
	v_cvt_pkrtz_f16_f32 v59, v52, v53
	s_waitcnt lgkmcnt(0)
	v_mfma_f32_16x16x16_f16 v[62:65], v[22:23], v[26:27], v[62:65]
	ds_read_b128 v[50:53], v50 offset:6160
	v_cvt_pkrtz_f16_f32 v22, v66, v67
	v_cvt_pkrtz_f16_f32 v23, v68, v69
	v_cvt_pk_f32_fp8_e32 v[66:67], v25
	v_mfma_f32_16x16x16_f16 v[62:65], v[58:59], v[28:29], v[62:65]
	v_cvt_pk_f32_fp8_sdwa v[58:59], v25 src0_sel:WORD_1
	v_cvt_pk_f32_fp8_e32 v[68:69], v32
	v_cvt_pkrtz_f16_f32 v66, v66, v67
	s_waitcnt lgkmcnt(0)
	v_mfma_f32_16x16x16_f16 v[22:25], v[22:23], v[50:51], v[62:65]
	v_cvt_pkrtz_f16_f32 v67, v58, v59
	v_cvt_pk_f32_fp8_e32 v[58:59], v30
	s_nop 0
	v_cvt_pk_f32_fp8_sdwa v[62:63], v30 src0_sel:WORD_1
	v_cvt_pk_f32_fp8_e32 v[64:65], v31
	v_cvt_pkrtz_f16_f32 v58, v58, v59
	v_cvt_pk_f32_fp8_sdwa v[30:31], v31 src0_sel:WORD_1
	v_cvt_pkrtz_f16_f32 v59, v62, v63
	v_mfma_f32_16x16x16_f16 v[22:25], v[66:67], v[52:53], v[22:25]
	v_cvt_pkrtz_f16_f32 v66, v64, v65
	v_cvt_pkrtz_f16_f32 v67, v30, v31
	;; [unrolled: 1-line block ×3, first 2 shown]
	v_mfma_f32_16x16x16_f16 v[62:65], v[58:59], v[34:35], 0
	v_cvt_pkrtz_f16_f32 v31, v70, v71
	v_cvt_pk_f32_fp8_e32 v[58:59], v33
	s_barrier
	v_mfma_f32_16x16x16_f16 v[34:37], v[66:67], v[36:37], v[62:65]
	v_cvt_pkrtz_f16_f32 v58, v58, v59
	s_nop 1
	v_cvt_pk_f32_fp8_sdwa v[62:63], v33 src0_sel:WORD_1
	v_mfma_f32_16x16x16_f16 v[30:33], v[30:31], v[38:39], v[34:37]
	s_waitcnt vmcnt(2)
	v_cvt_pk_f32_fp8_e32 v[38:39], v19
	v_cvt_pkrtz_f16_f32 v59, v62, v63
	v_cvt_pk_f32_fp8_e32 v[34:35], v18
	v_cvt_pk_f32_fp8_sdwa v[36:37], v18 src0_sel:WORD_1
	v_cvt_pk_f32_fp8_sdwa v[18:19], v19 src0_sel:WORD_1
	v_mfma_f32_16x16x16_f16 v[30:33], v[58:59], v[40:41], v[30:33]
	v_cvt_pkrtz_f16_f32 v34, v34, v35
	v_cvt_pkrtz_f16_f32 v35, v36, v37
	;; [unrolled: 1-line block ×3, first 2 shown]
	v_cvt_pk_f32_fp8_e32 v[38:39], v20
	v_cvt_pk_f32_fp8_sdwa v[40:41], v20 src0_sel:WORD_1
	v_cvt_pkrtz_f16_f32 v37, v18, v19
	v_mfma_f32_16x16x16_f16 v[30:33], v[34:35], v[6:7], v[30:33]
	v_cvt_pkrtz_f16_f32 v18, v38, v39
	v_cvt_pkrtz_f16_f32 v19, v40, v41
	v_cvt_pk_f32_fp8_e32 v[34:35], v21
	v_cvt_pk_f32_fp8_sdwa v[20:21], v21 src0_sel:WORD_1
	v_mfma_f32_16x16x16_f16 v[6:9], v[36:37], v[8:9], v[30:33]
	s_nop 2
	v_cvt_pkrtz_f16_f32 v30, v34, v35
	v_cvt_pkrtz_f16_f32 v31, v20, v21
	v_mfma_f32_16x16x16_f16 v[6:9], v[18:19], v[42:43], v[6:9]
	s_waitcnt vmcnt(1)
	v_cvt_pk_f32_fp8_e32 v[18:19], v14
	v_cvt_pk_f32_fp8_sdwa v[20:21], v14 src0_sel:WORD_1
	v_cvt_pk_f32_fp8_sdwa v[32:33], v16 src0_sel:WORD_1
	v_mfma_f32_16x16x16_f16 v[6:9], v[30:31], v[44:45], v[6:9]
	v_cvt_pk_f32_fp8_e32 v[30:31], v15
	v_cvt_pkrtz_f16_f32 v18, v18, v19
	v_cvt_pkrtz_f16_f32 v19, v20, v21
	v_cvt_pk_f32_fp8_sdwa v[14:15], v15 src0_sel:WORD_1
	v_cvt_pkrtz_f16_f32 v20, v30, v31
	v_cvt_pk_f32_fp8_e32 v[30:31], v16
	v_mfma_f32_16x16x16_f16 v[6:9], v[18:19], v[2:3], v[6:9]
	v_cvt_pkrtz_f16_f32 v21, v14, v15
	v_cvt_pkrtz_f16_f32 v14, v30, v31
	;; [unrolled: 1-line block ×3, first 2 shown]
	v_cvt_pk_f32_fp8_e32 v[18:19], v17
	v_cvt_pk_f32_fp8_sdwa v[16:17], v17 src0_sel:WORD_1
	v_mfma_f32_16x16x16_f16 v[2:5], v[20:21], v[4:5], v[6:9]
	s_waitcnt vmcnt(0)
	v_cvt_pk_f32_fp8_sdwa v[20:21], v12 src0_sel:WORD_1
	s_nop 0
	v_cvt_pkrtz_f16_f32 v8, v18, v19
	v_cvt_pkrtz_f16_f32 v9, v16, v17
	v_mfma_f32_16x16x16_f16 v[2:5], v[14:15], v[46:47], v[2:5]
	v_cvt_pk_f32_fp8_e32 v[16:17], v10
	v_cvt_pk_f32_fp8_sdwa v[18:19], v10 src0_sel:WORD_1
	v_pk_mul_f32 v[6:7], v[24:25], s[4:5] op_sel_hi:[1,0]
	v_mfma_f32_16x16x16_f16 v[2:5], v[8:9], v[48:49], v[2:5]
	v_cvt_pk_f32_fp8_e32 v[8:9], v11
	v_cvt_pkrtz_f16_f32 v16, v16, v17
	v_cvt_pkrtz_f16_f32 v17, v18, v19
	v_cvt_pk_f32_fp8_sdwa v[10:11], v11 src0_sel:WORD_1
	v_cvt_pkrtz_f16_f32 v8, v8, v9
	v_cvt_pk_f32_fp8_e32 v[18:19], v12
	v_mfma_f32_16x16x16_f16 v[2:5], v[16:17], v[26:27], v[2:5]
	v_cvt_pkrtz_f16_f32 v9, v10, v11
	v_cvt_pkrtz_f16_f32 v10, v18, v19
	v_cvt_pkrtz_f16_f32 v11, v20, v21
	v_cvt_pk_f32_fp8_e32 v[16:17], v13
	v_cvt_pk_f32_fp8_sdwa v[12:13], v13 src0_sel:WORD_1
	v_mfma_f32_16x16x16_f16 v[2:5], v[8:9], v[28:29], v[2:5]
	v_pk_mul_f32 v[14:15], v[22:23], s[4:5] op_sel_hi:[1,0]
	v_cvt_pkrtz_f16_f32 v8, v16, v17
	v_cvt_pkrtz_f16_f32 v9, v12, v13
	v_mfma_f32_16x16x16_f16 v[2:5], v[10:11], v[50:51], v[2:5]
	v_cvt_f16_f32_e32 v14, v14
	v_cvt_f16_f32_e32 v10, v15
	;; [unrolled: 1-line block ×3, first 2 shown]
	v_mfma_f32_16x16x16_f16 v[2:5], v[8:9], v[52:53], v[2:5]
	v_cvt_f16_f32_e32 v7, v7
	s_nop 5
	v_pk_mul_f32 v[4:5], v[4:5], s[4:5] op_sel_hi:[1,0]
	v_pk_mul_f32 v[2:3], v[2:3], s[4:5] op_sel_hi:[1,0]
	v_cvt_f16_f32_e32 v11, v4
	v_cvt_f16_f32_e32 v8, v2
	;; [unrolled: 1-line block ×4, first 2 shown]
	v_pack_b32_f16 v2, v14, v10
	v_pack_b32_f16 v3, v6, v7
	;; [unrolled: 1-line block ×4, first 2 shown]
	ds_write2st64_b64 v55, v[2:3], v[4:5] offset1:1
	s_waitcnt lgkmcnt(0)
	s_barrier
	s_and_saveexec_b64 s[4:5], vcc
	s_cbranch_execz .LBB942_20
; %bb.18:
	s_load_dwordx2 s[4:5], s[0:1], 0x68
	s_lshl_b32 s0, s7, 7
	s_mul_i32 s1, s8, s2
	v_lshlrev_b32_e32 v3, 6, v56
	s_mul_hi_u32 s9, s1, s0
	s_mul_i32 s8, s1, s0
	v_lshl_or_b32 v0, v0, 10, v3
	s_lshl_b64 s[8:9], s[8:9], 1
	v_lshlrev_b32_e32 v2, 5, v60
	v_and_b32_e32 v1, 16, v1
	v_and_b32_e32 v0, 0x1a00, v0
	s_waitcnt lgkmcnt(0)
	s_add_u32 s1, s4, s8
	v_or3_b32 v2, v0, v2, v1
	s_addc_u32 s4, s5, s9
	s_lshl_b32 s2, s6, 7
	ds_read_b128 v[4:7], v2 offset:256
	s_lshl_b64 s[2:3], s[2:3], 1
	ds_read_b128 v[8:11], v2 offset:128
	ds_read_b128 v[12:15], v2
	s_add_u32 s2, s1, s2
	s_addc_u32 s3, s4, s3
	v_mov_b32_e32 v55, 0
	v_add_u32_e32 v3, s48, v60
	v_lshl_add_u64 v[0:1], s[2:3], 0, v[54:55]
	v_mad_u64_u32 v[16:17], s[2:3], v3, s0, 0
	v_lshl_add_u64 v[16:17], v[16:17], 1, v[0:1]
	s_waitcnt lgkmcnt(0)
	global_store_dwordx4 v[16:17], v[12:15], off
	v_cmp_ne_u32_e32 vcc, 3, v60
	s_nop 0
	v_add_u32_e32 v12, 4, v3
	v_mad_u64_u32 v[12:13], s[2:3], v12, s0, 0
	v_lshl_add_u64 v[12:13], v[12:13], 1, v[0:1]
	v_add_u32_e32 v3, 8, v3
	global_store_dwordx4 v[12:13], v[8:11], off
	s_nop 1
	v_mad_u64_u32 v[8:9], s[2:3], v3, s0, 0
	v_lshl_add_u64 v[8:9], v[8:9], 1, v[0:1]
	global_store_dwordx4 v[8:9], v[4:7], off
	s_and_b64 exec, exec, vcc
	s_cbranch_execz .LBB942_20
; %bb.19:
	ds_read_b128 v[2:5], v2 offset:384
	v_add3_u32 v6, s48, v60, 12
	v_mad_u64_u32 v[6:7], s[0:1], v6, s0, 0
	v_lshl_add_u64 v[0:1], v[6:7], 1, v[0:1]
	s_waitcnt lgkmcnt(0)
	global_store_dwordx4 v[0:1], v[2:5], off
.LBB942_20:
	s_endpgm
	.section	.rodata,"a",@progbits
	.p2align	6, 0x0
	.amdhsa_kernel _Z39paged_attention_ll4mi_QKV_mfma16_kernelIDF16_hLN4vllm18Fp8KVCacheDataTypeE1EhLi16ELi128ELi256ELb1ELi15EEvPKT_PKT0_S7_ifPKiS9_S9_iPKfiiiPfSC_PS2_PT2_iSB_SB_
		.amdhsa_group_segment_fixed_size 8192
		.amdhsa_private_segment_fixed_size 0
		.amdhsa_kernarg_size 400
		.amdhsa_user_sgpr_count 2
		.amdhsa_user_sgpr_dispatch_ptr 0
		.amdhsa_user_sgpr_queue_ptr 0
		.amdhsa_user_sgpr_kernarg_segment_ptr 1
		.amdhsa_user_sgpr_dispatch_id 0
		.amdhsa_user_sgpr_kernarg_preload_length 0
		.amdhsa_user_sgpr_kernarg_preload_offset 0
		.amdhsa_user_sgpr_private_segment_size 0
		.amdhsa_uses_dynamic_stack 0
		.amdhsa_enable_private_segment 0
		.amdhsa_system_sgpr_workgroup_id_x 1
		.amdhsa_system_sgpr_workgroup_id_y 1
		.amdhsa_system_sgpr_workgroup_id_z 1
		.amdhsa_system_sgpr_workgroup_info 0
		.amdhsa_system_vgpr_workitem_id 0
		.amdhsa_next_free_vgpr 76
		.amdhsa_next_free_sgpr 50
		.amdhsa_accum_offset 76
		.amdhsa_reserve_vcc 1
		.amdhsa_float_round_mode_32 0
		.amdhsa_float_round_mode_16_64 0
		.amdhsa_float_denorm_mode_32 3
		.amdhsa_float_denorm_mode_16_64 3
		.amdhsa_dx10_clamp 1
		.amdhsa_ieee_mode 1
		.amdhsa_fp16_overflow 0
		.amdhsa_tg_split 0
		.amdhsa_exception_fp_ieee_invalid_op 0
		.amdhsa_exception_fp_denorm_src 0
		.amdhsa_exception_fp_ieee_div_zero 0
		.amdhsa_exception_fp_ieee_overflow 0
		.amdhsa_exception_fp_ieee_underflow 0
		.amdhsa_exception_fp_ieee_inexact 0
		.amdhsa_exception_int_div_zero 0
	.end_amdhsa_kernel
	.section	.text._Z39paged_attention_ll4mi_QKV_mfma16_kernelIDF16_hLN4vllm18Fp8KVCacheDataTypeE1EhLi16ELi128ELi256ELb1ELi15EEvPKT_PKT0_S7_ifPKiS9_S9_iPKfiiiPfSC_PS2_PT2_iSB_SB_,"axG",@progbits,_Z39paged_attention_ll4mi_QKV_mfma16_kernelIDF16_hLN4vllm18Fp8KVCacheDataTypeE1EhLi16ELi128ELi256ELb1ELi15EEvPKT_PKT0_S7_ifPKiS9_S9_iPKfiiiPfSC_PS2_PT2_iSB_SB_,comdat
.Lfunc_end942:
	.size	_Z39paged_attention_ll4mi_QKV_mfma16_kernelIDF16_hLN4vllm18Fp8KVCacheDataTypeE1EhLi16ELi128ELi256ELb1ELi15EEvPKT_PKT0_S7_ifPKiS9_S9_iPKfiiiPfSC_PS2_PT2_iSB_SB_, .Lfunc_end942-_Z39paged_attention_ll4mi_QKV_mfma16_kernelIDF16_hLN4vllm18Fp8KVCacheDataTypeE1EhLi16ELi128ELi256ELb1ELi15EEvPKT_PKT0_S7_ifPKiS9_S9_iPKfiiiPfSC_PS2_PT2_iSB_SB_
                                        ; -- End function
	.section	.AMDGPU.csdata,"",@progbits
; Kernel info:
; codeLenInByte = 6348
; NumSgprs: 56
; NumVgprs: 76
; NumAgprs: 0
; TotalNumVgprs: 76
; ScratchSize: 0
; MemoryBound: 0
; FloatMode: 240
; IeeeMode: 1
; LDSByteSize: 8192 bytes/workgroup (compile time only)
; SGPRBlocks: 6
; VGPRBlocks: 9
; NumSGPRsForWavesPerEU: 56
; NumVGPRsForWavesPerEU: 76
; AccumOffset: 76
; Occupancy: 6
; WaveLimiterHint : 1
; COMPUTE_PGM_RSRC2:SCRATCH_EN: 0
; COMPUTE_PGM_RSRC2:USER_SGPR: 2
; COMPUTE_PGM_RSRC2:TRAP_HANDLER: 0
; COMPUTE_PGM_RSRC2:TGID_X_EN: 1
; COMPUTE_PGM_RSRC2:TGID_Y_EN: 1
; COMPUTE_PGM_RSRC2:TGID_Z_EN: 1
; COMPUTE_PGM_RSRC2:TIDIG_COMP_CNT: 0
; COMPUTE_PGM_RSRC3_GFX90A:ACCUM_OFFSET: 18
; COMPUTE_PGM_RSRC3_GFX90A:TG_SPLIT: 0
	.section	.text._Z39paged_attention_ll4mi_QKV_mfma16_kernelIDF16_hLN4vllm18Fp8KVCacheDataTypeE1EhLi16ELi128ELi256ELb1ELi16EEvPKT_PKT0_S7_ifPKiS9_S9_iPKfiiiPfSC_PS2_PT2_iSB_SB_,"axG",@progbits,_Z39paged_attention_ll4mi_QKV_mfma16_kernelIDF16_hLN4vllm18Fp8KVCacheDataTypeE1EhLi16ELi128ELi256ELb1ELi16EEvPKT_PKT0_S7_ifPKiS9_S9_iPKfiiiPfSC_PS2_PT2_iSB_SB_,comdat
	.protected	_Z39paged_attention_ll4mi_QKV_mfma16_kernelIDF16_hLN4vllm18Fp8KVCacheDataTypeE1EhLi16ELi128ELi256ELb1ELi16EEvPKT_PKT0_S7_ifPKiS9_S9_iPKfiiiPfSC_PS2_PT2_iSB_SB_ ; -- Begin function _Z39paged_attention_ll4mi_QKV_mfma16_kernelIDF16_hLN4vllm18Fp8KVCacheDataTypeE1EhLi16ELi128ELi256ELb1ELi16EEvPKT_PKT0_S7_ifPKiS9_S9_iPKfiiiPfSC_PS2_PT2_iSB_SB_
	.globl	_Z39paged_attention_ll4mi_QKV_mfma16_kernelIDF16_hLN4vllm18Fp8KVCacheDataTypeE1EhLi16ELi128ELi256ELb1ELi16EEvPKT_PKT0_S7_ifPKiS9_S9_iPKfiiiPfSC_PS2_PT2_iSB_SB_
	.p2align	8
	.type	_Z39paged_attention_ll4mi_QKV_mfma16_kernelIDF16_hLN4vllm18Fp8KVCacheDataTypeE1EhLi16ELi128ELi256ELb1ELi16EEvPKT_PKT0_S7_ifPKiS9_S9_iPKfiiiPfSC_PS2_PT2_iSB_SB_,@function
_Z39paged_attention_ll4mi_QKV_mfma16_kernelIDF16_hLN4vllm18Fp8KVCacheDataTypeE1EhLi16ELi128ELi256ELb1ELi16EEvPKT_PKT0_S7_ifPKiS9_S9_iPKfiiiPfSC_PS2_PT2_iSB_SB_: ; @_Z39paged_attention_ll4mi_QKV_mfma16_kernelIDF16_hLN4vllm18Fp8KVCacheDataTypeE1EhLi16ELi128ELi256ELb1ELi16EEvPKT_PKT0_S7_ifPKiS9_S9_iPKfiiiPfSC_PS2_PT2_iSB_SB_
; %bb.0:
	s_load_dwordx2 s[14:15], s[0:1], 0x30
	s_mov_b32 s30, s3
	s_mov_b64 s[6:7], 0
	s_waitcnt lgkmcnt(0)
	s_cmp_lg_u64 s[14:15], 0
	s_cselect_b64 s[16:17], -1, 0
	s_and_b64 vcc, exec, s[16:17]
	s_cbranch_vccz .LBB943_7
; %bb.1:
	s_add_i32 s8, s2, 1
	s_mov_b32 s9, 0
	s_lshl_b64 s[10:11], s[8:9], 2
	s_add_u32 s10, s14, s10
	s_mov_b32 s3, s9
	s_addc_u32 s11, s15, s11
	s_lshl_b64 s[8:9], s[2:3], 2
	s_add_u32 s8, s14, s8
	s_addc_u32 s9, s15, s9
	s_load_dword s5, s[10:11], 0x0
	s_load_dword s12, s[8:9], 0x0
	s_waitcnt lgkmcnt(0)
	s_sub_i32 s5, s5, s12
	s_cmp_eq_u32 s5, 1
	s_cselect_b64 s[8:9], -1, 0
	s_andn2_b64 vcc, exec, s[6:7]
	s_cbranch_vccnz .LBB943_3
.LBB943_2:
	s_mov_b32 s3, 0
	s_mov_b64 s[8:9], -1
.LBB943_3:
	s_andn2_b64 vcc, exec, s[8:9]
	s_cbranch_vccnz .LBB943_17
; %bb.4:
	s_load_dwordx2 s[6:7], s[0:1], 0x28
	s_lshl_b64 s[18:19], s[2:3], 2
	s_waitcnt lgkmcnt(0)
	s_add_u32 s6, s6, s18
	s_addc_u32 s7, s7, s19
	s_load_dword s5, s[6:7], 0x0
	s_lshl_b32 s20, s30, 8
	s_waitcnt lgkmcnt(0)
	s_cmp_ge_i32 s20, s5
	s_cbranch_scc1 .LBB943_17
; %bb.5:
	s_load_dwordx2 s[6:7], s[0:1], 0x20
	s_load_dword s8, s[0:1], 0x38
	s_add_i32 s9, s5, 15
	s_ashr_i32 s10, s9, 31
	v_and_b32_e32 v1, 0xcf, v0
	s_lshr_b32 s10, s10, 28
	v_add_u32_e32 v1, s20, v1
	s_add_i32 s9, s9, s10
	v_ashrrev_i32_e32 v2, 31, v1
	s_ashr_i32 s21, s9, 4
	v_lshrrev_b32_e32 v10, 28, v2
	s_add_i32 s21, s21, -1
	s_waitcnt lgkmcnt(0)
	s_mul_i32 s8, s2, s8
	s_mov_b32 s9, 0
	v_add_u32_e32 v2, v1, v10
	s_lshl_b64 s[8:9], s[8:9], 2
	v_ashrrev_i32_e32 v2, 4, v2
	v_mov_b32_e32 v11, s21
	v_cmp_gt_i32_e32 vcc, s5, v1
	s_add_u32 s6, s6, s8
	s_addc_u32 s7, s7, s9
	v_cndmask_b32_e32 v2, v11, v2, vcc
	v_ashrrev_i32_e32 v3, 31, v2
	v_lshl_add_u64 v[4:5], v[2:3], 2, s[6:7]
	v_or_b32_e32 v2, 16, v1
	v_add_u32_e32 v3, v2, v10
	v_ashrrev_i32_e32 v3, 4, v3
	v_cmp_gt_i32_e32 vcc, s5, v2
	s_nop 1
	v_cndmask_b32_e32 v2, v11, v3, vcc
	v_ashrrev_i32_e32 v3, 31, v2
	v_lshl_add_u64 v[6:7], v[2:3], 2, s[6:7]
	v_or_b32_e32 v2, 32, v1
	v_add_u32_e32 v3, v2, v10
	v_ashrrev_i32_e32 v3, 4, v3
	v_cmp_gt_i32_e32 vcc, s5, v2
	v_or_b32_e32 v1, 48, v1
	s_nop 0
	v_cndmask_b32_e32 v2, v11, v3, vcc
	v_ashrrev_i32_e32 v3, 31, v2
	v_lshl_add_u64 v[8:9], v[2:3], 2, s[6:7]
	v_add_u32_e32 v2, v1, v10
	v_ashrrev_i32_e32 v2, 4, v2
	v_cmp_gt_i32_e32 vcc, s5, v1
	s_nop 1
	v_cndmask_b32_e32 v2, v11, v2, vcc
	v_ashrrev_i32_e32 v3, 31, v2
	v_lshl_add_u64 v[10:11], v[2:3], 2, s[6:7]
	global_load_dword v3, v[4:5], off
	global_load_dword v2, v[6:7], off
	global_load_dword v36, v[8:9], off
	global_load_dword v37, v[10:11], off
	s_load_dwordx2 s[12:13], s[0:1], 0x40
	s_load_dwordx4 s[8:11], s[0:1], 0x8
	s_andn2_b64 vcc, exec, s[16:17]
	s_cbranch_vccnz .LBB943_8
; %bb.6:
	s_add_u32 s14, s14, s18
	s_addc_u32 s15, s15, s19
	s_load_dword s16, s[14:15], 0x0
	s_branch .LBB943_9
.LBB943_7:
	s_mov_b64 s[8:9], 0
	s_branch .LBB943_2
.LBB943_8:
	s_mov_b32 s16, s2
.LBB943_9:
	s_load_dwordx4 s[44:47], s[0:1], 0x48
	v_and_b32_e32 v56, 15, v0
	v_lshlrev_b32_e32 v4, 3, v56
	s_movk_i32 s14, 0x100
	v_lshrrev_b32_e32 v58, 6, v0
	v_and_b32_e32 v59, 63, v0
	v_bfe_u32 v1, v0, 4, 2
	s_lshl_b32 s31, s4, 4
	v_cmp_gt_u32_e32 vcc, s14, v0
	v_lshlrev_b32_e32 v54, 1, v4
	v_lshlrev_b32_e32 v57, 4, v0
	s_and_saveexec_b64 s[14:15], vcc
	s_cbranch_execz .LBB943_11
; %bb.10:
	s_load_dwordx2 s[18:19], s[0:1], 0x0
	s_waitcnt lgkmcnt(0)
	s_ashr_i32 s17, s44, 31
	s_mul_hi_u32 s22, s16, s44
	s_mul_i32 s17, s16, s17
	s_add_i32 s17, s22, s17
	s_mul_i32 s16, s16, s44
	v_lshl_or_b32 v8, v58, 2, v1
	s_lshl_b64 s[16:17], s[16:17], 1
	s_add_u32 s16, s18, s16
	v_add_lshl_u32 v4, v8, s31, 7
	s_addc_u32 s17, s19, s17
	v_ashrrev_i32_e32 v5, 31, v4
	v_lshl_add_u64 v[4:5], v[4:5], 1, s[16:17]
	v_mov_b32_e32 v55, 0
	v_lshl_add_u64 v[4:5], v[4:5], 0, v[54:55]
	global_load_dwordx4 v[4:7], v[4:5], off
	v_lshlrev_b32_e32 v10, 8, v0
	v_lshlrev_b32_e32 v9, 8, v56
	v_and_b32_e32 v10, 0x600, v10
	s_movk_i32 s16, 0x800
	v_and_or_b32 v9, v9, s16, v10
	v_lshlrev_b32_e32 v8, 5, v8
	v_and_b32_e32 v10, 16, v57
	v_or3_b32 v8, v9, v8, v10
	s_waitcnt vmcnt(0)
	ds_write_b128 v8, v[4:7]
.LBB943_11:
	s_or_b64 exec, exec, s[14:15]
	s_waitcnt lgkmcnt(0)
	s_mul_i32 s14, s4, s46
	s_add_u32 s8, s8, s14
	s_addc_u32 s9, s9, 0
	v_and_b32_e32 v52, 0xf0, v57
	v_mov_b32_e32 v53, 0
	v_and_b32_e32 v6, 48, v0
	v_lshl_add_u64 v[30:31], s[8:9], 0, v[52:53]
	v_lshlrev_b32_e32 v52, 4, v6
	s_waitcnt vmcnt(3)
	v_mad_i64_i32 v[4:5], s[8:9], v3, s45, v[30:31]
	v_lshl_add_u64 v[4:5], v[4:5], 0, v[52:53]
	s_load_dword s33, s[0:1], 0x98
	s_load_dwordx4 s[40:43], s[0:1], 0x80
	s_waitcnt lgkmcnt(0)
	s_barrier
	global_load_dwordx4 v[26:29], v[4:5], off
	global_load_dwordx4 v[22:25], v[4:5], off offset:1024
	s_waitcnt vmcnt(4)
	v_mad_i64_i32 v[2:3], s[8:9], v2, s45, v[30:31]
	v_lshl_add_u64 v[32:33], v[2:3], 0, v[52:53]
	global_load_dwordx4 v[18:21], v[32:33], off
	v_or_b32_e32 v50, s31, v56
	v_lshlrev_b32_e32 v60, 5, v56
	v_ashrrev_i32_e32 v51, 31, v50
	v_or_b32_e32 v38, s20, v6
	v_mov_b32_e32 v42, s21
	v_lshl_or_b32 v55, v1, 9, v60
	v_lshl_add_u64 v[34:35], v[50:51], 2, s[12:13]
	v_ashrrev_i32_e32 v39, 4, v38
	v_cmp_gt_i32_e32 vcc, s5, v38
	ds_read_b128 v[14:17], v55
	ds_read_b128 v[10:13], v55 offset:16
	ds_read_b128 v[6:9], v55 offset:2048
	;; [unrolled: 1-line block ×3, first 2 shown]
	v_or_b32_e32 v43, 64, v38
	v_or_b32_e32 v46, 0x80, v38
	;; [unrolled: 1-line block ×3, first 2 shown]
	global_load_dword v63, v[34:35], off
	v_cndmask_b32_e32 v34, v42, v39, vcc
	global_load_dwordx4 v[38:41], v[32:33], off offset:1024
	v_ashrrev_i32_e32 v49, 4, v43
	v_cmp_gt_i32_e32 vcc, s5, v43
	v_ashrrev_i32_e32 v51, 4, v46
	s_waitcnt vmcnt(6)
	v_mad_i64_i32 v[44:45], s[8:9], v36, s45, v[30:31]
	s_waitcnt vmcnt(5)
	v_mad_i64_i32 v[30:31], s[8:9], v37, s45, v[30:31]
	v_cndmask_b32_e32 v32, v42, v49, vcc
	v_cmp_gt_i32_e32 vcc, s5, v46
	v_ashrrev_i32_e32 v48, 4, v47
	v_ashrrev_i32_e32 v35, 31, v34
	v_cndmask_b32_e32 v64, v42, v51, vcc
	v_cmp_gt_i32_e32 vcc, s5, v47
	v_lshl_add_u64 v[36:37], v[44:45], 0, v[52:53]
	v_ashrrev_i32_e32 v33, 31, v32
	v_lshl_add_u64 v[30:31], v[30:31], 0, v[52:53]
	v_cndmask_b32_e32 v70, v42, v48, vcc
	v_lshl_add_u64 v[72:73], v[34:35], 2, s[6:7]
	v_lshl_add_u64 v[74:75], v[32:33], 2, s[6:7]
	global_load_dwordx4 v[46:49], v[36:37], off
	global_load_dwordx4 v[42:45], v[36:37], off offset:1024
	s_nop 0
	global_load_dwordx4 v[34:37], v[30:31], off
	s_nop 0
	global_load_dwordx4 v[30:33], v[30:31], off offset:1024
	v_ashrrev_i32_e32 v65, 31, v64
	v_lshl_add_u64 v[76:77], v[64:65], 2, s[6:7]
	v_ashrrev_i32_e32 v71, 31, v70
	s_add_u32 s46, s10, s14
	v_lshl_or_b32 v51, v58, 4, v56
	s_addc_u32 s47, s11, 0
	v_lshlrev_b32_e32 v52, 4, v51
	s_load_dword s4, s[0:1], 0x1c
	s_waitcnt vmcnt(8)
	v_cvt_pk_f32_fp8_e32 v[64:65], v26
	v_cvt_pk_f32_fp8_sdwa v[66:67], v26 src0_sel:WORD_1
	v_cvt_pk_f32_fp8_e32 v[68:69], v27
	v_cvt_pk_f32_fp8_sdwa v[78:79], v27 src0_sel:WORD_1
	v_cvt_pkrtz_f16_f32 v64, v64, v65
	v_cvt_pkrtz_f16_f32 v65, v66, v67
	v_cvt_pk_f32_fp8_e32 v[80:81], v28
	v_cvt_pk_f32_fp8_sdwa v[82:83], v28 src0_sel:WORD_1
	v_cvt_pk_f32_fp8_e32 v[84:85], v29
	v_cvt_pk_f32_fp8_sdwa v[86:87], v29 src0_sel:WORD_1
	s_waitcnt vmcnt(6)
	v_cvt_pk_f32_fp8_e32 v[26:27], v18
	v_cvt_pk_f32_fp8_sdwa v[28:29], v18 src0_sel:WORD_1
	v_cvt_pk_f32_fp8_e32 v[88:89], v22
	v_cvt_pk_f32_fp8_sdwa v[90:91], v22 src0_sel:WORD_1
	v_cvt_pkrtz_f16_f32 v66, v26, v27
	v_cvt_pkrtz_f16_f32 v67, v28, v29
	s_waitcnt lgkmcnt(0)
	v_mfma_f32_16x16x16_f16 v[26:29], v[64:65], v[14:15], 0
	v_cvt_pkrtz_f16_f32 v64, v68, v69
	v_cvt_pkrtz_f16_f32 v65, v78, v79
	;; [unrolled: 1-line block ×4, first 2 shown]
	v_mfma_f32_16x16x16_f16 v[26:29], v[64:65], v[16:17], v[26:29]
	global_load_dword v64, v[72:73], off
	v_cvt_pkrtz_f16_f32 v82, v84, v85
	v_cvt_pkrtz_f16_f32 v83, v86, v87
	v_mfma_f32_16x16x16_f16 v[26:29], v[78:79], v[10:11], v[26:29]
	v_cvt_pk_f32_fp8_e32 v[92:93], v23
	v_cvt_pk_f32_fp8_sdwa v[22:23], v23 src0_sel:WORD_1
	v_cvt_pkrtz_f16_f32 v84, v88, v89
	v_cvt_pkrtz_f16_f32 v85, v90, v91
	v_mfma_f32_16x16x16_f16 v[26:29], v[82:83], v[12:13], v[26:29]
	v_cvt_pk_f32_fp8_e32 v[80:81], v24
	v_cvt_pk_f32_fp8_sdwa v[72:73], v24 src0_sel:WORD_1
	v_cvt_pkrtz_f16_f32 v86, v92, v93
	v_cvt_pkrtz_f16_f32 v87, v22, v23
	v_cvt_pk_f32_fp8_e32 v[78:79], v25
	v_cvt_pk_f32_fp8_sdwa v[82:83], v25 src0_sel:WORD_1
	v_mfma_f32_16x16x16_f16 v[22:25], v[84:85], v[6:7], v[26:29]
	s_nop 2
	v_cvt_pk_f32_fp8_e32 v[26:27], v19
	v_cvt_pkrtz_f16_f32 v28, v80, v81
	v_cvt_pkrtz_f16_f32 v29, v72, v73
	v_cvt_pk_f32_fp8_sdwa v[18:19], v19 src0_sel:WORD_1
	v_mfma_f32_16x16x16_f16 v[22:25], v[86:87], v[8:9], v[22:25]
	v_cvt_pkrtz_f16_f32 v26, v26, v27
	v_cvt_pkrtz_f16_f32 v72, v78, v79
	;; [unrolled: 1-line block ×3, first 2 shown]
	v_mfma_f32_16x16x16_f16 v[66:69], v[66:67], v[14:15], 0
	v_cvt_pk_f32_fp8_e32 v[18:19], v20
	v_cvt_pkrtz_f16_f32 v73, v82, v83
	v_cvt_pkrtz_f16_f32 v18, v18, v19
	v_mfma_f32_16x16x16_f16 v[22:25], v[28:29], v[2:3], v[22:25]
	v_lshl_add_u64 v[28:29], v[70:71], 2, s[6:7]
	v_cvt_pk_f32_fp8_sdwa v[70:71], v20 src0_sel:WORD_1
	global_load_dword v65, v[74:75], off
	global_load_dword v61, v[76:77], off
	;; [unrolled: 1-line block ×3, first 2 shown]
	v_mfma_f32_16x16x16_f16 v[26:29], v[26:27], v[16:17], v[66:69]
	v_cvt_pkrtz_f16_f32 v19, v70, v71
	s_waitcnt vmcnt(8)
	v_cvt_pk_f32_fp8_sdwa v[70:71], v38 src0_sel:WORD_1
	v_cvt_pk_f32_fp8_e32 v[66:67], v21
	v_cvt_pk_f32_fp8_sdwa v[20:21], v21 src0_sel:WORD_1
	v_cvt_pk_f32_fp8_e32 v[68:69], v38
	v_mfma_f32_16x16x16_f16 v[22:25], v[72:73], v[4:5], v[22:25]
	v_cvt_pkrtz_f16_f32 v66, v66, v67
	v_cvt_pkrtz_f16_f32 v67, v20, v21
	v_mfma_f32_16x16x16_f16 v[18:21], v[18:19], v[10:11], v[26:29]
	s_nop 2
	v_cvt_pkrtz_f16_f32 v26, v68, v69
	v_cvt_pkrtz_f16_f32 v27, v70, v71
	v_cvt_pk_f32_fp8_e32 v[28:29], v39
	v_cvt_pk_f32_fp8_sdwa v[38:39], v39 src0_sel:WORD_1
	v_mfma_f32_16x16x16_f16 v[18:21], v[66:67], v[12:13], v[18:21]
	s_waitcnt vmcnt(7)
	v_cvt_pk_f32_fp8_sdwa v[66:67], v46 src0_sel:WORD_1
	v_cvt_pkrtz_f16_f32 v28, v28, v29
	v_cvt_pkrtz_f16_f32 v29, v38, v39
	v_mfma_f32_16x16x16_f16 v[18:21], v[26:27], v[6:7], v[18:21]
	v_cvt_pk_f32_fp8_e32 v[26:27], v40
	v_cvt_pk_f32_fp8_sdwa v[38:39], v40 src0_sel:WORD_1
	v_cvt_pk_f32_fp8_sdwa v[68:69], v48 src0_sel:WORD_1
	v_mfma_f32_16x16x16_f16 v[18:21], v[28:29], v[8:9], v[18:21]
	v_cvt_pkrtz_f16_f32 v26, v26, v27
	v_cvt_pkrtz_f16_f32 v27, v38, v39
	v_cvt_pk_f32_fp8_e32 v[28:29], v41
	v_cvt_pk_f32_fp8_sdwa v[38:39], v41 src0_sel:WORD_1
	v_cvt_pk_f32_fp8_e32 v[40:41], v46
	v_mfma_f32_16x16x16_f16 v[18:21], v[26:27], v[2:3], v[18:21]
	v_cvt_pkrtz_f16_f32 v28, v28, v29
	v_cvt_pkrtz_f16_f32 v29, v38, v39
	;; [unrolled: 1-line block ×4, first 2 shown]
	v_cvt_pk_f32_fp8_e32 v[38:39], v47
	v_cvt_pk_f32_fp8_sdwa v[40:41], v47 src0_sel:WORD_1
	v_mfma_f32_16x16x16_f16 v[18:21], v[28:29], v[4:5], v[18:21]
	v_cvt_pk_f32_fp8_e32 v[66:67], v48
	v_cvt_pkrtz_f16_f32 v38, v38, v39
	v_cvt_pkrtz_f16_f32 v39, v40, v41
	v_mfma_f32_16x16x16_f16 v[26:29], v[26:27], v[14:15], 0
	v_lshl_add_u64 v[46:47], s[46:47], 0, v[52:53]
	s_waitcnt vmcnt(5)
	v_cvt_pk_f32_fp8_sdwa v[70:71], v37 src0_sel:WORD_1
	v_or_b32_e32 v52, 0x400, v52
	v_mfma_f32_16x16x16_f16 v[38:41], v[38:39], v[16:17], v[26:29]
	s_nop 2
	v_cvt_pkrtz_f16_f32 v28, v66, v67
	v_cvt_pkrtz_f16_f32 v29, v68, v69
	v_cvt_pk_f32_fp8_e32 v[66:67], v49
	v_cvt_pk_f32_fp8_sdwa v[48:49], v49 src0_sel:WORD_1
	v_mfma_f32_16x16x16_f16 v[38:41], v[28:29], v[10:11], v[38:41]
	v_cvt_pkrtz_f16_f32 v66, v66, v67
	v_cvt_pkrtz_f16_f32 v67, v48, v49
	v_cvt_pk_f32_fp8_e32 v[28:29], v42
	v_cvt_pk_f32_fp8_sdwa v[48:49], v42 src0_sel:WORD_1
	v_mfma_f32_16x16x16_f16 v[38:41], v[66:67], v[12:13], v[38:41]
	v_cvt_pk_f32_fp8_e32 v[66:67], v43
	v_cvt_pkrtz_f16_f32 v28, v28, v29
	v_cvt_pkrtz_f16_f32 v29, v48, v49
	v_cvt_pk_f32_fp8_sdwa v[42:43], v43 src0_sel:WORD_1
	v_cvt_pkrtz_f16_f32 v48, v66, v67
	v_cvt_pk_f32_fp8_e32 v[66:67], v44
	v_cvt_pk_f32_fp8_sdwa v[68:69], v44 src0_sel:WORD_1
	v_cvt_pkrtz_f16_f32 v49, v42, v43
	v_mfma_f32_16x16x16_f16 v[38:41], v[28:29], v[6:7], v[38:41]
	s_waitcnt vmcnt(3)
	v_mad_i64_i32 v[26:27], s[6:7], v64, s45, v[46:47]
	s_load_dword s6, s[40:41], 0x0
	v_cvt_pkrtz_f16_f32 v28, v66, v67
	v_cvt_pkrtz_f16_f32 v29, v68, v69
	v_cvt_pk_f32_fp8_e32 v[42:43], v45
	v_cvt_pk_f32_fp8_sdwa v[44:45], v45 src0_sel:WORD_1
	v_mfma_f32_16x16x16_f16 v[38:41], v[48:49], v[8:9], v[38:41]
	v_mov_b32_e32 v48, s4
	v_cvt_pkrtz_f16_f32 v42, v42, v43
	v_cvt_pkrtz_f16_f32 v43, v44, v45
	v_mfma_f32_16x16x16_f16 v[38:41], v[28:29], v[2:3], v[38:41]
	s_waitcnt lgkmcnt(0)
	v_mul_f32_e32 v28, s6, v48
	v_cvt_pk_f32_fp8_e32 v[44:45], v34
	v_cvt_pk_f32_fp8_sdwa v[48:49], v34 src0_sel:WORD_1
	v_mfma_f32_16x16x16_f16 v[66:69], v[42:43], v[4:5], v[38:41]
	s_mov_b32 s40, 0xff7fffff
	s_nop 1
	v_cvt_pk_f32_fp8_e32 v[38:39], v35
	v_cvt_pkrtz_f16_f32 v40, v44, v45
	v_cvt_pkrtz_f16_f32 v41, v48, v49
	v_cvt_pk_f32_fp8_sdwa v[34:35], v35 src0_sel:WORD_1
	v_cvt_pkrtz_f16_f32 v42, v38, v39
	v_cvt_pk_f32_fp8_e32 v[44:45], v36
	v_cvt_pk_f32_fp8_sdwa v[48:49], v36 src0_sel:WORD_1
	v_cvt_pkrtz_f16_f32 v43, v34, v35
	v_mfma_f32_16x16x16_f16 v[38:41], v[40:41], v[14:15], 0
	v_cvt_pkrtz_f16_f32 v44, v44, v45
	v_cvt_pkrtz_f16_f32 v45, v48, v49
	v_cvt_pk_f32_fp8_e32 v[48:49], v37
	v_mfma_f32_16x16x16_f16 v[34:37], v[42:43], v[16:17], v[38:41]
	v_pk_mul_f32 v[14:15], v[28:29], v[24:25] op_sel_hi:[0,1]
	v_cvt_pkrtz_f16_f32 v25, v70, v71
	v_cvt_pkrtz_f16_f32 v24, v48, v49
	v_mfma_f32_16x16x16_f16 v[34:37], v[44:45], v[10:11], v[34:37]
	v_pk_mul_f32 v[16:17], v[28:29], v[22:23] op_sel_hi:[0,1]
	v_cvt_pk_f32_fp8_e32 v[22:23], v30
	v_cvt_pk_f32_fp8_sdwa v[38:39], v30 src0_sel:WORD_1
	v_mfma_f32_16x16x16_f16 v[10:13], v[24:25], v[12:13], v[34:37]
	v_cvt_pk_f32_fp8_e32 v[24:25], v31
	v_cvt_pkrtz_f16_f32 v22, v22, v23
	v_cvt_pkrtz_f16_f32 v23, v38, v39
	v_cvt_pk_f32_fp8_sdwa v[30:31], v31 src0_sel:WORD_1
	v_cvt_pkrtz_f16_f32 v24, v24, v25
	v_cvt_pk_f32_fp8_e32 v[34:35], v32
	v_cvt_pk_f32_fp8_sdwa v[36:37], v32 src0_sel:WORD_1
	v_cvt_pkrtz_f16_f32 v25, v30, v31
	v_mfma_f32_16x16x16_f16 v[10:13], v[22:23], v[6:7], v[10:13]
	v_cvt_pkrtz_f16_f32 v22, v34, v35
	v_cvt_pkrtz_f16_f32 v23, v36, v37
	v_cvt_pk_f32_fp8_e32 v[30:31], v33
	v_cvt_pk_f32_fp8_sdwa v[32:33], v33 src0_sel:WORD_1
	v_mfma_f32_16x16x16_f16 v[6:9], v[24:25], v[8:9], v[10:13]
	v_pk_mul_f32 v[40:41], v[28:29], v[20:21] op_sel_hi:[0,1]
	v_pk_mul_f32 v[44:45], v[28:29], v[18:19] op_sel_hi:[0,1]
	;; [unrolled: 1-line block ×3, first 2 shown]
	v_cvt_pkrtz_f16_f32 v10, v30, v31
	v_cvt_pkrtz_f16_f32 v11, v32, v33
	v_mfma_f32_16x16x16_f16 v[6:9], v[22:23], v[2:3], v[6:9]
	v_pk_mul_f32 v[42:43], v[28:29], v[66:67] op_sel_hi:[0,1]
	v_mfma_f32_16x16x16_f16 v[2:5], v[10:11], v[4:5], v[6:9]
	s_nop 6
	v_pk_mul_f32 v[36:37], v[28:29], v[2:3] op_sel_hi:[0,1]
	v_and_b32_e32 v2, 0xc0, v0
	v_add_u32_e32 v2, s20, v2
	v_lshl_or_b32 v2, v1, 2, v2
	v_or_b32_e32 v3, 1, v2
	v_pk_mul_f32 v[34:35], v[28:29], v[4:5] op_sel_hi:[0,1]
	v_subrev_u32_e32 v4, s5, v3
	v_add_u32_e32 v6, 1, v4
	v_add_u32_e32 v7, 2, v4
	v_cvt_f32_i32_e32 v5, v4
	v_cvt_f32_i32_e32 v6, v6
	;; [unrolled: 1-line block ×3, first 2 shown]
	v_add_u32_e32 v8, 3, v4
	v_fma_f32 v9, v63, v5, v16
	v_fmac_f32_e32 v17, v63, v6
	v_fma_f32 v14, v63, v7, v14
	v_add_u32_e32 v5, 16, v4
	v_add_u32_e32 v6, 17, v4
	;; [unrolled: 1-line block ×3, first 2 shown]
	v_cvt_f32_i32_e32 v8, v8
	v_cvt_f32_i32_e32 v5, v5
	;; [unrolled: 1-line block ×4, first 2 shown]
	v_fmac_f32_e32 v15, v63, v8
	v_add_u32_e32 v8, 19, v4
	v_fma_f32 v44, v63, v5, v44
	v_fmac_f32_e32 v45, v63, v6
	v_fma_f32 v40, v63, v7, v40
	v_add_u32_e32 v5, 32, v4
	v_add_u32_e32 v6, 33, v4
	;; [unrolled: 1-line block ×3, first 2 shown]
	v_cvt_f32_i32_e32 v8, v8
	v_cvt_f32_i32_e32 v5, v5
	;; [unrolled: 1-line block ×4, first 2 shown]
	v_fmac_f32_e32 v41, v63, v8
	v_add_u32_e32 v8, 35, v4
	v_fma_f32 v42, v63, v5, v42
	v_fmac_f32_e32 v43, v63, v6
	v_fma_f32 v38, v63, v7, v38
	v_add_u32_e32 v5, 48, v4
	v_add_u32_e32 v6, 49, v4
	;; [unrolled: 1-line block ×4, first 2 shown]
	v_cvt_f32_i32_e32 v4, v4
	v_cvt_f32_i32_e32 v5, v5
	;; [unrolled: 1-line block ×3, first 2 shown]
	v_cmp_gt_i32_e64 s[34:35], s5, v2
	v_fmac_f32_e32 v35, v63, v4
	v_mov_b32_e32 v4, 0xff7fffff
	v_cmp_gt_i32_e64 s[36:37], s5, v3
	v_fma_f32 v36, v63, v5, v36
	v_cndmask_b32_e64 v5, v4, v9, s[34:35]
	v_cndmask_b32_e64 v3, v4, v17, s[36:37]
	v_fmac_f32_e32 v37, v63, v6
	v_max3_f32 v3, v5, s40, v3
	v_or_b32_e32 v5, 2, v2
	v_or_b32_e32 v6, 3, v2
	v_cmp_gt_i32_e64 s[12:13], s5, v5
	v_cmp_gt_i32_e64 s[18:19], s5, v6
	v_cvt_f32_i32_e32 v8, v8
	v_cndmask_b32_e64 v5, v4, v14, s[12:13]
	v_cndmask_b32_e64 v6, v4, v15, s[18:19]
	v_max3_f32 v3, v3, v5, v6
	v_or_b32_e32 v5, 16, v2
	v_or_b32_e32 v6, 17, v2
	v_cmp_gt_i32_e64 s[24:25], s5, v5
	v_cmp_gt_i32_e64 s[28:29], s5, v6
	v_fmac_f32_e32 v39, v63, v8
	v_cndmask_b32_e64 v5, v4, v44, s[24:25]
	v_cndmask_b32_e64 v6, v4, v45, s[28:29]
	v_max3_f32 v3, v3, v5, v6
	v_or_b32_e32 v5, 18, v2
	v_or_b32_e32 v6, 19, v2
	v_cmp_gt_i32_e64 s[8:9], s5, v5
	v_cmp_gt_i32_e64 s[14:15], s5, v6
	v_cvt_f32_i32_e32 v7, v7
	v_cndmask_b32_e64 v5, v4, v40, s[8:9]
	v_cndmask_b32_e64 v6, v4, v41, s[14:15]
	v_max3_f32 v3, v3, v5, v6
	v_or_b32_e32 v5, 32, v2
	v_or_b32_e32 v6, 33, v2
	v_cmp_gt_i32_e64 s[20:21], s5, v5
	v_cmp_gt_i32_e64 s[26:27], s5, v6
	v_fma_f32 v34, v63, v7, v34
	v_cndmask_b32_e64 v5, v4, v42, s[20:21]
	v_cndmask_b32_e64 v6, v4, v43, s[26:27]
	v_max3_f32 v3, v3, v5, v6
	v_or_b32_e32 v5, 34, v2
	v_or_b32_e32 v6, 35, v2
	v_cmp_gt_i32_e64 s[6:7], s5, v5
	v_cmp_gt_i32_e64 s[10:11], s5, v6
	s_nop 0
	v_cndmask_b32_e64 v5, v4, v38, s[6:7]
	v_cndmask_b32_e64 v6, v4, v39, s[10:11]
	v_max3_f32 v3, v3, v5, v6
	v_or_b32_e32 v5, 48, v2
	v_or_b32_e32 v6, 49, v2
	v_cmp_gt_i32_e64 s[16:17], s5, v5
	v_cmp_gt_i32_e64 s[22:23], s5, v6
	s_nop 0
	v_cndmask_b32_e64 v5, v4, v36, s[16:17]
	v_cndmask_b32_e64 v6, v4, v37, s[22:23]
	v_max3_f32 v3, v3, v5, v6
	v_or_b32_e32 v5, 50, v2
	v_or_b32_e32 v2, 51, v2
	v_cmp_gt_i32_e32 vcc, s5, v5
	v_cmp_gt_i32_e64 s[4:5], s5, v2
	s_nop 0
	v_cndmask_b32_e32 v5, v4, v34, vcc
	v_cndmask_b32_e64 v2, v4, v35, s[4:5]
	v_max3_f32 v4, v3, v5, v2
	v_mbcnt_lo_u32_b32 v2, -1, 0
	v_mbcnt_hi_u32_b32 v5, -1, v2
	v_and_b32_e32 v2, 64, v5
	v_add_u32_e32 v6, 64, v2
	v_xor_b32_e32 v2, 32, v5
	v_cmp_lt_i32_e64 s[38:39], v2, v6
	s_nop 1
	v_cndmask_b32_e64 v2, v5, v2, s[38:39]
	v_lshlrev_b32_e32 v66, 2, v2
	ds_bpermute_b32 v7, v66, v4
	s_waitcnt vmcnt(2)
	v_mad_i64_i32 v[2:3], s[38:39], v65, s45, v[46:47]
	global_load_dwordx4 v[30:33], v[26:27], off
	s_nop 0
	global_load_dwordx4 v[26:29], v[2:3], off
	s_waitcnt lgkmcnt(0)
	v_max_f32_e32 v2, v7, v7
	v_max_f32_e32 v7, v4, v2
	v_xor_b32_e32 v2, 16, v5
	v_cmp_lt_i32_e64 s[38:39], v2, v6
	s_nop 1
	v_cndmask_b32_e64 v2, v5, v2, s[38:39]
	v_lshlrev_b32_e32 v67, 2, v2
	ds_bpermute_b32 v6, v67, v7
	s_waitcnt vmcnt(3)
	v_mad_i64_i32 v[2:3], s[38:39], v61, s45, v[46:47]
	s_waitcnt vmcnt(2)
	v_mad_i64_i32 v[4:5], s[38:39], v62, s45, v[46:47]
	s_waitcnt lgkmcnt(0)
	v_max_f32_e32 v6, v6, v6
	v_max_f32_e32 v63, v7, v6
	global_load_dwordx4 v[22:25], v[2:3], off
	global_load_dwordx4 v[10:13], v[4:5], off
	v_sub_f32_e32 v2, v9, v63
	v_mul_f32_e32 v2, 0x3fb8aa3b, v2
	v_exp_f32_e32 v4, v2
	v_sub_f32_e32 v2, v17, v63
	v_mul_f32_e32 v2, 0x3fb8aa3b, v2
	v_exp_f32_e32 v5, v2
	v_lshl_add_u64 v[2:3], s[46:47], 0, v[52:53]
	v_sub_f32_e32 v8, v14, v63
	v_cndmask_b32_e64 v46, 0, v4, s[34:35]
	v_cndmask_b32_e64 v47, 0, v5, s[36:37]
	v_mad_i64_i32 v[4:5], s[34:35], v64, s45, v[2:3]
	v_mad_i64_i32 v[6:7], s[34:35], v65, s45, v[2:3]
	v_mul_f32_e32 v8, 0x3fb8aa3b, v8
	v_exp_f32_e32 v49, v8
	global_load_dwordx4 v[18:21], v[4:5], off
	s_nop 0
	global_load_dwordx4 v[6:9], v[6:7], off
	v_mad_i64_i32 v[4:5], s[34:35], v61, s45, v[2:3]
	v_mad_i64_i32 v[2:3], s[34:35], v62, s45, v[2:3]
	v_sub_f32_e32 v48, v15, v63
	global_load_dwordx4 v[14:17], v[4:5], off
	s_nop 0
	global_load_dwordx4 v[2:5], v[2:3], off
	v_mul_f32_e32 v48, 0x3fb8aa3b, v48
	v_exp_f32_e32 v52, v48
	v_sub_f32_e32 v40, v40, v63
	v_sub_f32_e32 v42, v42, v63
	v_mul_f32_e32 v40, 0x3fb8aa3b, v40
	v_mul_f32_e32 v42, 0x3fb8aa3b, v42
	v_cndmask_b32_e64 v48, 0, v49, s[12:13]
	v_cndmask_b32_e64 v49, 0, v52, s[18:19]
	v_exp_f32_e32 v40, v40
	v_exp_f32_e32 v52, v42
	v_sub_f32_e32 v44, v44, v63
	v_mul_f32_e32 v44, 0x3fb8aa3b, v44
	v_sub_f32_e32 v45, v45, v63
	v_sub_f32_e32 v42, v43, v63
	v_exp_f32_e32 v44, v44
	v_mul_f32_e32 v45, 0x3fb8aa3b, v45
	v_mul_f32_e32 v42, 0x3fb8aa3b, v42
	v_exp_f32_e32 v45, v45
	v_sub_f32_e32 v41, v41, v63
	v_exp_f32_e32 v53, v42
	v_cndmask_b32_e64 v42, 0, v40, s[8:9]
	v_cndmask_b32_e64 v40, 0, v52, s[20:21]
	v_add_f32_e32 v52, 0, v46
	v_mul_f32_e32 v41, 0x3fb8aa3b, v41
	v_add_f32_e32 v52, v52, v47
	v_exp_f32_e32 v41, v41
	v_add_f32_e32 v52, v52, v48
	v_cndmask_b32_e64 v44, 0, v44, s[24:25]
	v_sub_f32_e32 v38, v38, v63
	v_add_f32_e32 v52, v52, v49
	v_cndmask_b32_e64 v45, 0, v45, s[28:29]
	v_sub_f32_e32 v39, v39, v63
	v_mul_f32_e32 v38, 0x3fb8aa3b, v38
	v_add_f32_e32 v52, v52, v44
	v_exp_f32_e32 v38, v38
	v_mul_f32_e32 v39, 0x3fb8aa3b, v39
	v_sub_f32_e32 v36, v36, v63
	v_add_f32_e32 v52, v52, v45
	v_cndmask_b32_e64 v43, 0, v41, s[14:15]
	v_exp_f32_e32 v39, v39
	v_mul_f32_e32 v36, 0x3fb8aa3b, v36
	v_sub_f32_e32 v37, v37, v63
	v_add_f32_e32 v52, v52, v42
	v_exp_f32_e32 v36, v36
	v_mul_f32_e32 v37, 0x3fb8aa3b, v37
	v_add_f32_e32 v52, v52, v43
	v_sub_f32_e32 v34, v34, v63
	v_cndmask_b32_e64 v41, 0, v53, s[26:27]
	v_exp_f32_e32 v37, v37
	v_add_f32_e32 v52, v52, v40
	v_mul_f32_e32 v34, 0x3fb8aa3b, v34
	v_sub_f32_e32 v35, v35, v63
	v_cndmask_b32_e64 v38, 0, v38, s[6:7]
	v_add_f32_e32 v52, v52, v41
	v_exp_f32_e32 v34, v34
	v_mul_f32_e32 v35, 0x3fb8aa3b, v35
	v_cndmask_b32_e64 v39, 0, v39, s[10:11]
	v_add_f32_e32 v52, v52, v38
	v_exp_f32_e32 v35, v35
	v_cndmask_b32_e64 v36, 0, v36, s[16:17]
	v_add_f32_e32 v52, v52, v39
	v_cndmask_b32_e64 v37, 0, v37, s[22:23]
	v_add_f32_e32 v52, v52, v36
	v_add_f32_e32 v52, v52, v37
	v_cndmask_b32_e32 v34, 0, v34, vcc
	v_add_f32_e32 v52, v52, v34
	v_cndmask_b32_e64 v35, 0, v35, s[4:5]
	v_add_f32_e32 v52, v52, v35
	ds_bpermute_b32 v53, v66, v52
	v_cmp_gt_u32_e32 vcc, 16, v59
	s_waitcnt lgkmcnt(0)
	s_barrier
	v_add_f32_e32 v52, v52, v53
	ds_bpermute_b32 v53, v67, v52
	s_and_saveexec_b64 s[4:5], vcc
	s_cbranch_execz .LBB943_13
; %bb.12:
	s_waitcnt lgkmcnt(0)
	v_add_f32_e32 v52, v52, v53
	v_lshlrev_b32_e32 v51, 2, v51
	ds_write2st64_b32 v51, v63, v52 offset1:1
.LBB943_13:
	s_or_b64 exec, exec, s[4:5]
	v_lshlrev_b32_e32 v51, 2, v56
	s_load_dword s6, s[0:1], 0x94
	s_waitcnt lgkmcnt(0)
	s_barrier
	ds_read2_b32 v[62:63], v51 offset1:16
	ds_read2_b32 v[64:65], v51 offset0:32 offset1:48
	ds_read2_b32 v[66:67], v51 offset0:64 offset1:80
	s_lshl_b32 s7, s33, 4
	s_waitcnt lgkmcnt(2)
	v_max3_f32 v52, v62, s40, v63
	s_waitcnt lgkmcnt(1)
	v_max3_f32 v52, v52, v64, v65
	v_sub_f32_e32 v53, v62, v52
	v_mul_f32_e32 v53, 0x3fb8aa3b, v53
	v_exp_f32_e32 v59, v53
	v_sub_f32_e32 v53, v63, v52
	v_mul_f32_e32 v53, 0x3fb8aa3b, v53
	v_exp_f32_e32 v61, v53
	v_sub_f32_e32 v53, v64, v52
	v_mul_f32_e32 v53, 0x3fb8aa3b, v53
	ds_read2_b32 v[62:63], v51 offset0:96 offset1:112
	v_sub_f32_e32 v51, v65, v52
	v_exp_f32_e32 v64, v53
	v_mul_f32_e32 v51, 0x3fb8aa3b, v51
	v_exp_f32_e32 v51, v51
	s_waitcnt lgkmcnt(1)
	v_fma_f32 v53, v59, v66, 0
	v_fmac_f32_e32 v53, v61, v67
	s_waitcnt lgkmcnt(0)
	v_fmac_f32_e32 v53, v64, v62
	v_fmac_f32_e32 v53, v51, v63
	v_add_f32_e32 v62, 0x358637bd, v53
	v_div_scale_f32 v63, s[4:5], v62, v62, 1.0
	v_rcp_f32_e32 v65, v63
	s_barrier
	v_fma_f32 v66, -v63, v65, 1.0
	v_fmac_f32_e32 v65, v66, v65
	v_div_scale_f32 v66, vcc, 1.0, v62, 1.0
	v_mul_f32_e32 v67, v66, v65
	v_fma_f32 v68, -v63, v67, v66
	v_fmac_f32_e32 v67, v68, v65
	v_fma_f32 v63, -v63, v67, v66
	v_div_fmas_f32 v63, v63, v65, v67
	v_cmp_eq_u32_e32 vcc, 1, v58
	v_div_fixup_f32 v62, v63, v62, 1.0
	s_nop 0
	v_cndmask_b32_e32 v59, v59, v61, vcc
	v_cmp_eq_u32_e32 vcc, 2, v58
	s_nop 1
	v_cndmask_b32_e32 v59, v59, v64, vcc
	v_cmp_eq_u32_e32 vcc, 3, v58
	s_nop 1
	v_cndmask_b32_e32 v51, v59, v51, vcc
	v_mul_f32_e32 v62, v51, v62
	v_pk_mul_f32 v[48:49], v[62:63], v[48:49] op_sel_hi:[0,1]
	v_pk_mul_f32 v[46:47], v[62:63], v[46:47] op_sel_hi:[0,1]
	v_cvt_f16_f32_e32 v46, v46
	v_cvt_f16_f32_e32 v47, v47
	;; [unrolled: 1-line block ×4, first 2 shown]
	v_pk_mul_f32 v[42:43], v[62:63], v[42:43] op_sel_hi:[0,1]
	v_pk_mul_f32 v[44:45], v[62:63], v[44:45] op_sel_hi:[0,1]
	v_pack_b32_f16 v46, v46, v47
	v_pack_b32_f16 v47, v48, v49
	v_cvt_f16_f32_e32 v44, v44
	v_cvt_f16_f32_e32 v45, v45
	v_cvt_f16_f32_e32 v49, v42
	v_cvt_f16_f32_e32 v43, v43
	v_lshlrev_b32_e32 v48, 3, v1
	v_lshlrev_b32_e32 v42, 11, v58
	v_or3_b32 v58, v42, v60, v48
	v_pack_b32_f16 v42, v44, v45
	v_pack_b32_f16 v43, v49, v43
	v_pk_mul_f32 v[38:39], v[62:63], v[38:39] op_sel_hi:[0,1]
	v_pk_mul_f32 v[40:41], v[62:63], v[40:41] op_sel_hi:[0,1]
	;; [unrolled: 1-line block ×4, first 2 shown]
	ds_write2st64_b64 v58, v[46:47], v[42:43] offset1:1
	v_cvt_f16_f32_e32 v40, v40
	v_cvt_f16_f32_e32 v41, v41
	;; [unrolled: 1-line block ×8, first 2 shown]
	v_pack_b32_f16 v34, v40, v41
	v_pack_b32_f16 v35, v38, v39
	;; [unrolled: 1-line block ×4, first 2 shown]
	v_cmp_gt_u32_e32 vcc, 16, v0
	ds_write2st64_b64 v58, v[34:35], v[36:37] offset0:2 offset1:3
	s_and_saveexec_b64 s[4:5], vcc
	s_cbranch_execz .LBB943_15
; %bb.14:
	v_mov_b32_e32 v51, 0
	v_mov_b32_e32 v34, s7
	s_mul_i32 s3, s3, s7
	v_mad_u64_u32 v[34:35], s[12:13], s2, v34, v[50:51]
	v_mov_b32_e32 v50, s30
	s_load_dwordx4 s[8:11], s[0:1], 0x58
	v_add_u32_e32 v37, s3, v35
	v_mad_u64_u32 v[34:35], s[12:13], v34, s6, v[50:51]
	v_mov_b32_e32 v36, v35
	v_mad_u64_u32 v[36:37], s[12:13], v37, s6, v[36:37]
	v_mov_b32_e32 v35, v36
	v_lshlrev_b64 v[34:35], 2, v[34:35]
	s_waitcnt lgkmcnt(0)
	v_lshl_add_u64 v[36:37], s[10:11], 0, v[34:35]
	v_lshl_add_u64 v[34:35], s[8:9], 0, v[34:35]
	global_store_dword v[36:37], v52, off
	global_store_dword v[34:35], v53, off
.LBB943_15:
	s_or_b64 exec, exec, s[4:5]
	s_waitcnt vmcnt(7)
	v_cvt_pk_f32_fp8_e32 v[34:35], v30
	v_cvt_pk_f32_fp8_sdwa v[36:37], v30 src0_sel:WORD_1
	s_waitcnt lgkmcnt(0)
	s_barrier
	v_cvt_pk_f32_fp8_e32 v[38:39], v31
	v_cvt_pkrtz_f16_f32 v30, v34, v35
	v_cvt_pk_f32_fp8_sdwa v[40:41], v31 src0_sel:WORD_1
	v_cvt_pkrtz_f16_f32 v31, v36, v37
	ds_read_b128 v[34:37], v55
	v_cvt_pkrtz_f16_f32 v46, v38, v39
	v_cvt_pkrtz_f16_f32 v47, v40, v41
	ds_read_b128 v[38:41], v55 offset:16
	v_cvt_pk_f32_fp8_e32 v[48:49], v32
	v_cvt_pk_f32_fp8_sdwa v[50:51], v32 src0_sel:WORD_1
	s_waitcnt lgkmcnt(1)
	v_mfma_f32_16x16x16_f16 v[42:45], v[30:31], v[34:35], 0
	s_waitcnt vmcnt(6)
	v_cvt_pk_f32_fp8_e32 v[52:53], v28
	v_cvt_pkrtz_f16_f32 v30, v48, v49
	v_cvt_pkrtz_f16_f32 v31, v50, v51
	v_cvt_pk_f32_fp8_e32 v[48:49], v33
	v_mfma_f32_16x16x16_f16 v[42:45], v[46:47], v[36:37], v[42:45]
	v_cvt_pk_f32_fp8_sdwa v[46:47], v33 src0_sel:WORD_1
	v_cvt_pk_f32_fp8_sdwa v[60:61], v28 src0_sel:WORD_1
	v_cvt_pkrtz_f16_f32 v48, v48, v49
	s_waitcnt lgkmcnt(0)
	v_mfma_f32_16x16x16_f16 v[30:33], v[30:31], v[38:39], v[42:45]
	v_cvt_pkrtz_f16_f32 v49, v46, v47
	s_waitcnt vmcnt(5)
	v_cvt_pk_f32_fp8_e32 v[62:63], v24
	v_cvt_pk_f32_fp8_sdwa v[64:65], v24 src0_sel:WORD_1
	v_cvt_pk_f32_fp8_e32 v[42:43], v26
	v_mfma_f32_16x16x16_f16 v[46:49], v[48:49], v[40:41], v[30:33]
	s_waitcnt vmcnt(4)
	v_cvt_pk_f32_fp8_e32 v[66:67], v12
	v_cvt_pk_f32_fp8_sdwa v[68:69], v12 src0_sel:WORD_1
	v_cvt_pk_f32_fp8_sdwa v[30:31], v26 src0_sel:WORD_1
	v_cvt_pk_f32_fp8_e32 v[32:33], v27
	v_cvt_pkrtz_f16_f32 v26, v42, v43
	v_cvt_pk_f32_fp8_sdwa v[42:43], v27 src0_sel:WORD_1
	v_cvt_pkrtz_f16_f32 v27, v30, v31
	v_cvt_pkrtz_f16_f32 v50, v32, v33
	ds_read_b128 v[30:33], v55 offset:2048
	v_cvt_pkrtz_f16_f32 v51, v42, v43
	ds_read_b128 v[42:45], v55 offset:2064
	s_waitcnt lgkmcnt(1)
	v_mfma_f32_16x16x16_f16 v[46:49], v[26:27], v[30:31], v[46:49]
	v_cvt_pkrtz_f16_f32 v26, v52, v53
	v_cvt_pkrtz_f16_f32 v27, v60, v61
	v_cvt_pk_f32_fp8_e32 v[52:53], v29
	v_mfma_f32_16x16x16_f16 v[46:49], v[50:51], v[32:33], v[46:49]
	v_cvt_pk_f32_fp8_sdwa v[50:51], v29 src0_sel:WORD_1
	s_load_dword s4, s[42:43], 0x0
	v_cvt_pkrtz_f16_f32 v52, v52, v53
	s_waitcnt lgkmcnt(0)
	v_mfma_f32_16x16x16_f16 v[26:29], v[26:27], v[42:43], v[46:49]
	v_cvt_pkrtz_f16_f32 v53, v50, v51
	s_mov_b32 s3, 0
	v_cmp_gt_u32_e32 vcc, 64, v0
	v_cvt_pk_f32_fp8_e32 v[46:47], v22
	v_mfma_f32_16x16x16_f16 v[50:53], v[52:53], v[44:45], v[26:29]
	s_nop 2
	v_cvt_pk_f32_fp8_sdwa v[26:27], v22 src0_sel:WORD_1
	v_cvt_pk_f32_fp8_e32 v[28:29], v23
	v_cvt_pkrtz_f16_f32 v22, v46, v47
	v_cvt_pk_f32_fp8_sdwa v[46:47], v23 src0_sel:WORD_1
	v_cvt_pkrtz_f16_f32 v23, v26, v27
	v_cvt_pkrtz_f16_f32 v60, v28, v29
	ds_read_b128 v[26:29], v55 offset:4096
	v_cvt_pkrtz_f16_f32 v61, v46, v47
	ds_read_b128 v[46:49], v55 offset:4112
	s_waitcnt lgkmcnt(1)
	v_mfma_f32_16x16x16_f16 v[50:53], v[22:23], v[26:27], v[50:53]
	v_cvt_pkrtz_f16_f32 v22, v62, v63
	v_cvt_pkrtz_f16_f32 v23, v64, v65
	v_cvt_pk_f32_fp8_e32 v[62:63], v25
	v_mfma_f32_16x16x16_f16 v[50:53], v[60:61], v[28:29], v[50:53]
	v_cvt_pk_f32_fp8_sdwa v[60:61], v25 src0_sel:WORD_1
	v_cvt_pkrtz_f16_f32 v62, v62, v63
	s_waitcnt lgkmcnt(0)
	v_mfma_f32_16x16x16_f16 v[22:25], v[22:23], v[46:47], v[50:53]
	v_cvt_pkrtz_f16_f32 v63, v60, v61
	s_nop 1
	v_cvt_pk_f32_fp8_e32 v[50:51], v10
	v_mfma_f32_16x16x16_f16 v[60:63], v[62:63], v[48:49], v[22:25]
	s_nop 2
	v_cvt_pk_f32_fp8_sdwa v[22:23], v10 src0_sel:WORD_1
	v_cvt_pk_f32_fp8_e32 v[24:25], v11
	v_cvt_pkrtz_f16_f32 v10, v50, v51
	v_cvt_pk_f32_fp8_sdwa v[50:51], v11 src0_sel:WORD_1
	v_cvt_pkrtz_f16_f32 v11, v22, v23
	v_cvt_pkrtz_f16_f32 v64, v24, v25
	ds_read_b128 v[22:25], v55 offset:6144
	v_cvt_pkrtz_f16_f32 v65, v50, v51
	ds_read_b128 v[50:53], v55 offset:6160
	s_waitcnt lgkmcnt(1)
	v_mfma_f32_16x16x16_f16 v[60:63], v[10:11], v[22:23], v[60:63]
	v_cvt_pkrtz_f16_f32 v10, v66, v67
	v_cvt_pkrtz_f16_f32 v11, v68, v69
	v_cvt_pk_f32_fp8_e32 v[66:67], v13
	v_mfma_f32_16x16x16_f16 v[60:63], v[64:65], v[24:25], v[60:63]
	v_cvt_pk_f32_fp8_sdwa v[64:65], v13 src0_sel:WORD_1
	s_waitcnt vmcnt(3)
	v_cvt_pk_f32_fp8_sdwa v[68:69], v20 src0_sel:WORD_1
	v_cvt_pkrtz_f16_f32 v66, v66, v67
	s_waitcnt lgkmcnt(0)
	v_mfma_f32_16x16x16_f16 v[10:13], v[10:11], v[50:51], v[60:63]
	v_cvt_pkrtz_f16_f32 v67, v64, v65
	v_cvt_pk_f32_fp8_e32 v[64:65], v19
	s_nop 0
	v_cvt_pk_f32_fp8_e32 v[60:61], v18
	v_cvt_pk_f32_fp8_sdwa v[62:63], v18 src0_sel:WORD_1
	v_cvt_pk_f32_fp8_sdwa v[18:19], v19 src0_sel:WORD_1
	v_mfma_f32_16x16x16_f16 v[10:13], v[66:67], v[52:53], v[10:13]
	v_cvt_pkrtz_f16_f32 v60, v60, v61
	v_cvt_pkrtz_f16_f32 v61, v62, v63
	v_cvt_pkrtz_f16_f32 v64, v64, v65
	v_cvt_pk_f32_fp8_e32 v[66:67], v20
	v_cvt_pkrtz_f16_f32 v65, v18, v19
	v_mfma_f32_16x16x16_f16 v[60:63], v[60:61], v[34:35], 0
	v_cvt_pkrtz_f16_f32 v18, v66, v67
	v_cvt_pkrtz_f16_f32 v19, v68, v69
	v_cvt_pk_f32_fp8_e32 v[66:67], v21
	v_mfma_f32_16x16x16_f16 v[34:37], v[64:65], v[36:37], v[60:63]
	v_pk_mul_f32 v[12:13], v[12:13], s[4:5] op_sel_hi:[1,0]
	v_pk_mul_f32 v[10:11], v[10:11], s[4:5] op_sel_hi:[1,0]
	s_barrier
	v_cvt_pk_f32_fp8_sdwa v[60:61], v21 src0_sel:WORD_1
	v_cvt_pkrtz_f16_f32 v62, v66, v67
	v_mfma_f32_16x16x16_f16 v[18:21], v[18:19], v[38:39], v[34:37]
	s_waitcnt vmcnt(2)
	v_cvt_pk_f32_fp8_e32 v[38:39], v7
	v_cvt_pkrtz_f16_f32 v63, v60, v61
	v_cvt_pk_f32_fp8_e32 v[34:35], v6
	v_cvt_pk_f32_fp8_sdwa v[36:37], v6 src0_sel:WORD_1
	v_cvt_pk_f32_fp8_sdwa v[6:7], v7 src0_sel:WORD_1
	v_mfma_f32_16x16x16_f16 v[18:21], v[62:63], v[40:41], v[18:21]
	v_cvt_pkrtz_f16_f32 v34, v34, v35
	v_cvt_pkrtz_f16_f32 v35, v36, v37
	;; [unrolled: 1-line block ×3, first 2 shown]
	v_cvt_pk_f32_fp8_e32 v[38:39], v8
	v_cvt_pk_f32_fp8_sdwa v[40:41], v8 src0_sel:WORD_1
	v_cvt_pkrtz_f16_f32 v37, v6, v7
	v_mfma_f32_16x16x16_f16 v[18:21], v[34:35], v[30:31], v[18:21]
	v_cvt_pkrtz_f16_f32 v30, v38, v39
	v_cvt_pkrtz_f16_f32 v31, v40, v41
	v_cvt_pk_f32_fp8_e32 v[34:35], v9
	v_cvt_pk_f32_fp8_sdwa v[38:39], v9 src0_sel:WORD_1
	v_mfma_f32_16x16x16_f16 v[6:9], v[36:37], v[32:33], v[18:21]
	s_waitcnt vmcnt(1)
	v_cvt_pk_f32_fp8_sdwa v[32:33], v16 src0_sel:WORD_1
	s_nop 0
	v_cvt_pkrtz_f16_f32 v18, v34, v35
	v_cvt_pkrtz_f16_f32 v19, v38, v39
	v_mfma_f32_16x16x16_f16 v[6:9], v[30:31], v[42:43], v[6:9]
	v_cvt_pk_f32_fp8_e32 v[20:21], v14
	v_cvt_pk_f32_fp8_sdwa v[30:31], v14 src0_sel:WORD_1
	v_cvt_pkrtz_f16_f32 v20, v20, v21
	v_mfma_f32_16x16x16_f16 v[6:9], v[18:19], v[44:45], v[6:9]
	v_cvt_pk_f32_fp8_e32 v[18:19], v15
	v_cvt_pkrtz_f16_f32 v21, v30, v31
	v_cvt_pk_f32_fp8_sdwa v[14:15], v15 src0_sel:WORD_1
	v_cvt_pk_f32_fp8_e32 v[30:31], v16
	v_cvt_pkrtz_f16_f32 v18, v18, v19
	v_mfma_f32_16x16x16_f16 v[6:9], v[20:21], v[26:27], v[6:9]
	v_cvt_pkrtz_f16_f32 v19, v14, v15
	v_cvt_pkrtz_f16_f32 v14, v30, v31
	;; [unrolled: 1-line block ×3, first 2 shown]
	v_cvt_pk_f32_fp8_e32 v[20:21], v17
	v_cvt_pk_f32_fp8_sdwa v[16:17], v17 src0_sel:WORD_1
	v_mfma_f32_16x16x16_f16 v[6:9], v[18:19], v[28:29], v[6:9]
	v_cvt_pkrtz_f16_f32 v18, v20, v21
	v_cvt_pkrtz_f16_f32 v19, v16, v17
	v_mfma_f32_16x16x16_f16 v[6:9], v[14:15], v[46:47], v[6:9]
	s_waitcnt vmcnt(0)
	v_cvt_pk_f32_fp8_e32 v[14:15], v2
	v_cvt_pk_f32_fp8_sdwa v[16:17], v2 src0_sel:WORD_1
	v_cvt_pk_f32_fp8_sdwa v[20:21], v4 src0_sel:WORD_1
	v_mfma_f32_16x16x16_f16 v[6:9], v[18:19], v[48:49], v[6:9]
	v_cvt_pk_f32_fp8_e32 v[18:19], v3
	v_cvt_pkrtz_f16_f32 v14, v14, v15
	v_cvt_pkrtz_f16_f32 v15, v16, v17
	v_cvt_pk_f32_fp8_sdwa v[2:3], v3 src0_sel:WORD_1
	v_cvt_pkrtz_f16_f32 v16, v18, v19
	v_cvt_pk_f32_fp8_e32 v[18:19], v4
	v_mfma_f32_16x16x16_f16 v[6:9], v[14:15], v[22:23], v[6:9]
	v_cvt_pkrtz_f16_f32 v17, v2, v3
	v_cvt_pkrtz_f16_f32 v14, v18, v19
	;; [unrolled: 1-line block ×3, first 2 shown]
	v_cvt_pk_f32_fp8_e32 v[18:19], v5
	v_cvt_pk_f32_fp8_sdwa v[20:21], v5 src0_sel:WORD_1
	v_mfma_f32_16x16x16_f16 v[2:5], v[16:17], v[24:25], v[6:9]
	s_nop 2
	v_cvt_pkrtz_f16_f32 v6, v18, v19
	v_cvt_pkrtz_f16_f32 v7, v20, v21
	v_mfma_f32_16x16x16_f16 v[2:5], v[14:15], v[50:51], v[2:5]
	v_cvt_f16_f32_e32 v8, v10
	v_cvt_f16_f32_e32 v9, v11
	;; [unrolled: 1-line block ×3, first 2 shown]
	v_mfma_f32_16x16x16_f16 v[2:5], v[6:7], v[52:53], v[2:5]
	v_cvt_f16_f32_e32 v11, v13
	s_nop 5
	v_pk_mul_f32 v[4:5], v[4:5], s[4:5] op_sel_hi:[1,0]
	v_pk_mul_f32 v[2:3], v[2:3], s[4:5] op_sel_hi:[1,0]
	v_cvt_f16_f32_e32 v12, v4
	v_cvt_f16_f32_e32 v6, v2
	;; [unrolled: 1-line block ×4, first 2 shown]
	v_pack_b32_f16 v2, v8, v9
	v_pack_b32_f16 v3, v10, v11
	v_pack_b32_f16 v4, v6, v7
	v_pack_b32_f16 v5, v12, v5
	ds_write2st64_b64 v58, v[2:3], v[4:5] offset1:1
	s_waitcnt lgkmcnt(0)
	s_barrier
	s_and_saveexec_b64 s[4:5], vcc
	s_cbranch_execz .LBB943_17
; %bb.16:
	s_load_dwordx2 s[0:1], s[0:1], 0x68
	s_lshl_b32 s6, s6, 7
	s_mul_i32 s2, s7, s2
	s_mul_hi_u32 s5, s2, s6
	s_mul_i32 s4, s2, s6
	s_lshl_b64 s[4:5], s[4:5], 1
	s_waitcnt lgkmcnt(0)
	s_add_u32 s4, s0, s4
	v_lshlrev_b32_e32 v4, 6, v56
	s_addc_u32 s5, s1, s5
	s_lshl_b32 s2, s30, 7
	v_lshl_or_b32 v0, v0, 10, v4
	s_lshl_b64 s[0:1], s[2:3], 1
	v_lshlrev_b32_e32 v2, 5, v1
	v_and_b32_e32 v3, 16, v57
	v_and_b32_e32 v0, 0x1a00, v0
	s_add_u32 s0, s4, s0
	v_or3_b32 v0, v0, v2, v3
	s_addc_u32 s1, s5, s1
	v_mov_b32_e32 v55, 0
	v_or_b32_e32 v20, s31, v1
	ds_read_b128 v[2:5], v0
	ds_read_b128 v[6:9], v0 offset:128
	ds_read_b128 v[10:13], v0 offset:256
	;; [unrolled: 1-line block ×3, first 2 shown]
	v_lshl_add_u64 v[18:19], s[0:1], 0, v[54:55]
	v_mad_u64_u32 v[0:1], s[0:1], v20, s6, 0
	v_lshl_add_u64 v[0:1], v[0:1], 1, v[18:19]
	s_waitcnt lgkmcnt(3)
	global_store_dwordx4 v[0:1], v[2:5], off
	v_or_b32_e32 v0, 4, v20
	v_mad_u64_u32 v[0:1], s[0:1], v0, s6, 0
	v_lshl_add_u64 v[0:1], v[0:1], 1, v[18:19]
	s_waitcnt lgkmcnt(2)
	global_store_dwordx4 v[0:1], v[6:9], off
	v_or_b32_e32 v0, 8, v20
	v_mad_u64_u32 v[0:1], s[0:1], v0, s6, 0
	v_lshl_add_u64 v[0:1], v[0:1], 1, v[18:19]
	s_waitcnt lgkmcnt(1)
	global_store_dwordx4 v[0:1], v[10:13], off
	v_or_b32_e32 v0, 12, v20
	v_mad_u64_u32 v[0:1], s[0:1], v0, s6, 0
	v_lshl_add_u64 v[0:1], v[0:1], 1, v[18:19]
	s_waitcnt lgkmcnt(0)
	global_store_dwordx4 v[0:1], v[14:17], off
.LBB943_17:
	s_endpgm
	.section	.rodata,"a",@progbits
	.p2align	6, 0x0
	.amdhsa_kernel _Z39paged_attention_ll4mi_QKV_mfma16_kernelIDF16_hLN4vllm18Fp8KVCacheDataTypeE1EhLi16ELi128ELi256ELb1ELi16EEvPKT_PKT0_S7_ifPKiS9_S9_iPKfiiiPfSC_PS2_PT2_iSB_SB_
		.amdhsa_group_segment_fixed_size 8192
		.amdhsa_private_segment_fixed_size 0
		.amdhsa_kernarg_size 400
		.amdhsa_user_sgpr_count 2
		.amdhsa_user_sgpr_dispatch_ptr 0
		.amdhsa_user_sgpr_queue_ptr 0
		.amdhsa_user_sgpr_kernarg_segment_ptr 1
		.amdhsa_user_sgpr_dispatch_id 0
		.amdhsa_user_sgpr_kernarg_preload_length 0
		.amdhsa_user_sgpr_kernarg_preload_offset 0
		.amdhsa_user_sgpr_private_segment_size 0
		.amdhsa_uses_dynamic_stack 0
		.amdhsa_enable_private_segment 0
		.amdhsa_system_sgpr_workgroup_id_x 1
		.amdhsa_system_sgpr_workgroup_id_y 1
		.amdhsa_system_sgpr_workgroup_id_z 1
		.amdhsa_system_sgpr_workgroup_info 0
		.amdhsa_system_vgpr_workitem_id 0
		.amdhsa_next_free_vgpr 94
		.amdhsa_next_free_sgpr 48
		.amdhsa_accum_offset 96
		.amdhsa_reserve_vcc 1
		.amdhsa_float_round_mode_32 0
		.amdhsa_float_round_mode_16_64 0
		.amdhsa_float_denorm_mode_32 3
		.amdhsa_float_denorm_mode_16_64 3
		.amdhsa_dx10_clamp 1
		.amdhsa_ieee_mode 1
		.amdhsa_fp16_overflow 0
		.amdhsa_tg_split 0
		.amdhsa_exception_fp_ieee_invalid_op 0
		.amdhsa_exception_fp_denorm_src 0
		.amdhsa_exception_fp_ieee_div_zero 0
		.amdhsa_exception_fp_ieee_overflow 0
		.amdhsa_exception_fp_ieee_underflow 0
		.amdhsa_exception_fp_ieee_inexact 0
		.amdhsa_exception_int_div_zero 0
	.end_amdhsa_kernel
	.section	.text._Z39paged_attention_ll4mi_QKV_mfma16_kernelIDF16_hLN4vllm18Fp8KVCacheDataTypeE1EhLi16ELi128ELi256ELb1ELi16EEvPKT_PKT0_S7_ifPKiS9_S9_iPKfiiiPfSC_PS2_PT2_iSB_SB_,"axG",@progbits,_Z39paged_attention_ll4mi_QKV_mfma16_kernelIDF16_hLN4vllm18Fp8KVCacheDataTypeE1EhLi16ELi128ELi256ELb1ELi16EEvPKT_PKT0_S7_ifPKiS9_S9_iPKfiiiPfSC_PS2_PT2_iSB_SB_,comdat
.Lfunc_end943:
	.size	_Z39paged_attention_ll4mi_QKV_mfma16_kernelIDF16_hLN4vllm18Fp8KVCacheDataTypeE1EhLi16ELi128ELi256ELb1ELi16EEvPKT_PKT0_S7_ifPKiS9_S9_iPKfiiiPfSC_PS2_PT2_iSB_SB_, .Lfunc_end943-_Z39paged_attention_ll4mi_QKV_mfma16_kernelIDF16_hLN4vllm18Fp8KVCacheDataTypeE1EhLi16ELi128ELi256ELb1ELi16EEvPKT_PKT0_S7_ifPKiS9_S9_iPKfiiiPfSC_PS2_PT2_iSB_SB_
                                        ; -- End function
	.section	.AMDGPU.csdata,"",@progbits
; Kernel info:
; codeLenInByte = 6268
; NumSgprs: 54
; NumVgprs: 94
; NumAgprs: 0
; TotalNumVgprs: 94
; ScratchSize: 0
; MemoryBound: 0
; FloatMode: 240
; IeeeMode: 1
; LDSByteSize: 8192 bytes/workgroup (compile time only)
; SGPRBlocks: 6
; VGPRBlocks: 11
; NumSGPRsForWavesPerEU: 54
; NumVGPRsForWavesPerEU: 94
; AccumOffset: 96
; Occupancy: 5
; WaveLimiterHint : 1
; COMPUTE_PGM_RSRC2:SCRATCH_EN: 0
; COMPUTE_PGM_RSRC2:USER_SGPR: 2
; COMPUTE_PGM_RSRC2:TRAP_HANDLER: 0
; COMPUTE_PGM_RSRC2:TGID_X_EN: 1
; COMPUTE_PGM_RSRC2:TGID_Y_EN: 1
; COMPUTE_PGM_RSRC2:TGID_Z_EN: 1
; COMPUTE_PGM_RSRC2:TIDIG_COMP_CNT: 0
; COMPUTE_PGM_RSRC3_GFX90A:ACCUM_OFFSET: 23
; COMPUTE_PGM_RSRC3_GFX90A:TG_SPLIT: 0
	.section	.text._Z39paged_attention_ll4mi_QKV_mfma16_kernelIDF16_hLN4vllm18Fp8KVCacheDataTypeE1EhLi16ELi128ELi256ELb1ELi1EEvPKT_PKT0_S7_ifPKiS9_S9_iPKfiiiPfSC_PS2_PT2_iSB_SB_,"axG",@progbits,_Z39paged_attention_ll4mi_QKV_mfma16_kernelIDF16_hLN4vllm18Fp8KVCacheDataTypeE1EhLi16ELi128ELi256ELb1ELi1EEvPKT_PKT0_S7_ifPKiS9_S9_iPKfiiiPfSC_PS2_PT2_iSB_SB_,comdat
	.protected	_Z39paged_attention_ll4mi_QKV_mfma16_kernelIDF16_hLN4vllm18Fp8KVCacheDataTypeE1EhLi16ELi128ELi256ELb1ELi1EEvPKT_PKT0_S7_ifPKiS9_S9_iPKfiiiPfSC_PS2_PT2_iSB_SB_ ; -- Begin function _Z39paged_attention_ll4mi_QKV_mfma16_kernelIDF16_hLN4vllm18Fp8KVCacheDataTypeE1EhLi16ELi128ELi256ELb1ELi1EEvPKT_PKT0_S7_ifPKiS9_S9_iPKfiiiPfSC_PS2_PT2_iSB_SB_
	.globl	_Z39paged_attention_ll4mi_QKV_mfma16_kernelIDF16_hLN4vllm18Fp8KVCacheDataTypeE1EhLi16ELi128ELi256ELb1ELi1EEvPKT_PKT0_S7_ifPKiS9_S9_iPKfiiiPfSC_PS2_PT2_iSB_SB_
	.p2align	8
	.type	_Z39paged_attention_ll4mi_QKV_mfma16_kernelIDF16_hLN4vllm18Fp8KVCacheDataTypeE1EhLi16ELi128ELi256ELb1ELi1EEvPKT_PKT0_S7_ifPKiS9_S9_iPKfiiiPfSC_PS2_PT2_iSB_SB_,@function
_Z39paged_attention_ll4mi_QKV_mfma16_kernelIDF16_hLN4vllm18Fp8KVCacheDataTypeE1EhLi16ELi128ELi256ELb1ELi1EEvPKT_PKT0_S7_ifPKiS9_S9_iPKfiiiPfSC_PS2_PT2_iSB_SB_: ; @_Z39paged_attention_ll4mi_QKV_mfma16_kernelIDF16_hLN4vllm18Fp8KVCacheDataTypeE1EhLi16ELi128ELi256ELb1ELi1EEvPKT_PKT0_S7_ifPKiS9_S9_iPKfiiiPfSC_PS2_PT2_iSB_SB_
; %bb.0:
	s_load_dwordx2 s[8:9], s[0:1], 0x30
	s_mov_b32 s33, s3
	s_mov_b64 s[6:7], 0
	s_waitcnt lgkmcnt(0)
	s_cmp_lg_u64 s[8:9], 0
	s_cselect_b64 s[10:11], -1, 0
	s_and_b64 vcc, exec, s[10:11]
	s_cbranch_vccz .LBB944_7
; %bb.1:
	s_add_i32 s12, s2, 1
	s_mov_b32 s13, 0
	s_lshl_b64 s[14:15], s[12:13], 2
	s_add_u32 s14, s8, s14
	s_mov_b32 s3, s13
	s_addc_u32 s15, s9, s15
	s_lshl_b64 s[12:13], s[2:3], 2
	s_add_u32 s12, s8, s12
	s_addc_u32 s13, s9, s13
	s_load_dword s5, s[14:15], 0x0
	s_load_dword s16, s[12:13], 0x0
	s_waitcnt lgkmcnt(0)
	s_sub_i32 s5, s5, s16
	s_cmp_eq_u32 s5, 1
	s_cselect_b64 s[12:13], -1, 0
	s_andn2_b64 vcc, exec, s[6:7]
	s_cbranch_vccnz .LBB944_3
.LBB944_2:
	s_mov_b32 s3, 0
	s_mov_b64 s[12:13], -1
.LBB944_3:
	s_andn2_b64 vcc, exec, s[12:13]
	s_cbranch_vccnz .LBB944_19
; %bb.4:
	s_load_dwordx2 s[6:7], s[0:1], 0x28
	s_lshl_b64 s[12:13], s[2:3], 2
	s_waitcnt lgkmcnt(0)
	s_add_u32 s6, s6, s12
	s_addc_u32 s7, s7, s13
	s_load_dword s38, s[6:7], 0x0
	s_lshl_b32 s16, s33, 8
	s_waitcnt lgkmcnt(0)
	s_cmp_ge_i32 s16, s38
	s_cbranch_scc1 .LBB944_19
; %bb.5:
	s_load_dwordx2 s[6:7], s[0:1], 0x20
	s_load_dword s5, s[0:1], 0x38
	s_add_i32 s14, s38, 15
	s_ashr_i32 s15, s14, 31
	v_and_b32_e32 v1, 0xcf, v0
	s_lshr_b32 s15, s15, 28
	v_add_u32_e32 v1, s16, v1
	s_add_i32 s14, s14, s15
	v_ashrrev_i32_e32 v2, 31, v1
	s_ashr_i32 s17, s14, 4
	v_lshrrev_b32_e32 v4, 28, v2
	s_add_i32 s17, s17, -1
	s_waitcnt lgkmcnt(0)
	s_mul_i32 s14, s2, s5
	s_mov_b32 s15, 0
	v_add_u32_e32 v2, v1, v4
	s_lshl_b64 s[14:15], s[14:15], 2
	v_ashrrev_i32_e32 v2, 4, v2
	v_mov_b32_e32 v5, s17
	v_cmp_gt_i32_e32 vcc, s38, v1
	s_add_u32 s6, s6, s14
	s_addc_u32 s7, s7, s15
	v_cndmask_b32_e32 v2, v5, v2, vcc
	v_ashrrev_i32_e32 v3, 31, v2
	v_lshl_add_u64 v[6:7], v[2:3], 2, s[6:7]
	v_or_b32_e32 v2, 16, v1
	v_add_u32_e32 v3, v2, v4
	v_ashrrev_i32_e32 v3, 4, v3
	v_cmp_gt_i32_e32 vcc, s38, v2
	s_load_dwordx2 s[14:15], s[0:1], 0x8
	s_nop 0
	v_cndmask_b32_e32 v2, v5, v3, vcc
	v_ashrrev_i32_e32 v3, 31, v2
	v_lshl_add_u64 v[8:9], v[2:3], 2, s[6:7]
	v_or_b32_e32 v2, 32, v1
	v_add_u32_e32 v3, v2, v4
	v_ashrrev_i32_e32 v3, 4, v3
	v_cmp_gt_i32_e32 vcc, s38, v2
	v_or_b32_e32 v1, 48, v1
	s_nop 0
	v_cndmask_b32_e32 v2, v5, v3, vcc
	v_ashrrev_i32_e32 v3, 31, v2
	v_lshl_add_u64 v[10:11], v[2:3], 2, s[6:7]
	v_add_u32_e32 v2, v1, v4
	v_ashrrev_i32_e32 v2, 4, v2
	v_cmp_gt_i32_e32 vcc, s38, v1
	s_nop 1
	v_cndmask_b32_e32 v2, v5, v2, vcc
	v_ashrrev_i32_e32 v3, 31, v2
	v_lshl_add_u64 v[12:13], v[2:3], 2, s[6:7]
	global_load_dword v4, v[6:7], off
	global_load_dword v3, v[8:9], off
	;; [unrolled: 1-line block ×4, first 2 shown]
	s_andn2_b64 vcc, exec, s[10:11]
	s_cbranch_vccnz .LBB944_8
; %bb.6:
	s_add_u32 s8, s8, s12
	s_addc_u32 s9, s9, s13
	s_load_dword s5, s[8:9], 0x0
	s_branch .LBB944_9
.LBB944_7:
	s_mov_b64 s[12:13], 0
	s_branch .LBB944_2
.LBB944_8:
	s_mov_b32 s5, s2
.LBB944_9:
	s_load_dwordx2 s[8:9], s[0:1], 0x10
	s_load_dwordx4 s[44:47], s[0:1], 0x48
	v_lshrrev_b32_e32 v59, 6, v0
	v_bfe_u32 v56, v0, 4, 2
	v_and_b32_e32 v57, 15, v0
	v_lshl_or_b32 v1, v59, 2, v56
	v_lshlrev_b32_e32 v5, 3, v57
	v_cmp_eq_u32_e32 vcc, 0, v1
	v_lshlrev_b32_e32 v1, 1, v5
	v_lshlrev_b32_e32 v58, 4, v0
	s_and_saveexec_b64 s[10:11], vcc
	s_cbranch_execz .LBB944_11
; %bb.10:
	s_load_dwordx2 s[12:13], s[0:1], 0x0
	s_waitcnt lgkmcnt(0)
	s_ashr_i32 s18, s44, 31
	s_mul_hi_u32 s19, s5, s44
	s_mul_i32 s18, s5, s18
	s_add_i32 s19, s19, s18
	s_mul_i32 s18, s5, s44
	s_lshl_b64 s[18:19], s[18:19], 1
	s_add_u32 s5, s12, s18
	s_addc_u32 s18, s13, s19
	s_lshl_b32 s12, s4, 7
	s_ashr_i32 s13, s12, 31
	s_lshl_b64 s[12:13], s[12:13], 1
	s_add_u32 s12, s5, s12
	s_addc_u32 s13, s18, s13
	global_load_dwordx4 v[6:9], v1, s[12:13]
	v_lshlrev_b32_e32 v5, 8, v0
	v_lshlrev_b32_e32 v10, 8, v57
	v_and_b32_e32 v5, 0x600, v5
	v_and_b32_e32 v10, 0x800, v10
	;; [unrolled: 1-line block ×3, first 2 shown]
	v_or3_b32 v5, v10, v5, v11
	s_waitcnt vmcnt(0)
	ds_write_b128 v5, v[6:9]
.LBB944_11:
	s_or_b64 exec, exec, s[10:11]
	s_waitcnt lgkmcnt(0)
	s_mul_i32 s12, s4, s46
	s_add_u32 s10, s14, s12
	s_addc_u32 s11, s15, 0
	v_and_b32_e32 v54, 0xf0, v58
	v_mov_b32_e32 v55, 0
	v_and_b32_e32 v50, 48, v0
	v_lshl_add_u64 v[20:21], s[10:11], 0, v[54:55]
	v_lshlrev_b32_e32 v54, 4, v50
	s_waitcnt vmcnt(3)
	v_mad_i64_i32 v[4:5], s[10:11], v4, s45, v[20:21]
	v_lshl_add_u64 v[4:5], v[4:5], 0, v[54:55]
	s_barrier
	global_load_dwordx4 v[46:49], v[4:5], off
	global_load_dwordx4 v[14:17], v[4:5], off offset:1024
	s_waitcnt vmcnt(4)
	v_mad_i64_i32 v[4:5], s[10:11], v3, s45, v[20:21]
	s_waitcnt vmcnt(3)
	v_mad_i64_i32 v[2:3], s[10:11], v2, s45, v[20:21]
	;; [unrolled: 2-line block ×3, first 2 shown]
	v_lshl_add_u64 v[4:5], v[4:5], 0, v[54:55]
	v_lshl_add_u64 v[22:23], v[2:3], 0, v[54:55]
	;; [unrolled: 1-line block ×3, first 2 shown]
	global_load_dwordx4 v[10:13], v[4:5], off
	global_load_dwordx4 v[6:9], v[4:5], off offset:1024
	s_nop 0
	global_load_dwordx4 v[2:5], v[22:23], off
	global_load_dwordx4 v[42:45], v[22:23], off offset:1024
	global_load_dwordx4 v[34:37], v[18:19], off
	s_nop 0
	global_load_dwordx4 v[22:25], v[18:19], off offset:1024
	v_lshlrev_b32_e32 v18, 9, v56
	ds_read_b128 v[38:41], v18
	ds_read_b128 v[30:33], v18 offset:16
	ds_read_b128 v[26:29], v18 offset:2048
	;; [unrolled: 1-line block ×3, first 2 shown]
	v_and_b32_e32 v60, 63, v0
	v_cmp_eq_u32_e32 vcc, 0, v57
	v_mov_b32_e32 v61, 0
	s_and_saveexec_b64 s[10:11], vcc
	s_cbranch_execz .LBB944_13
; %bb.12:
	s_load_dwordx2 s[14:15], s[0:1], 0x40
	s_ashr_i32 s5, s4, 31
	s_lshl_b64 s[18:19], s[4:5], 2
	s_waitcnt lgkmcnt(0)
	s_add_u32 s14, s14, s18
	s_addc_u32 s15, s15, s19
	s_load_dword s5, s[14:15], 0x0
	s_waitcnt lgkmcnt(0)
	v_mov_b32_e32 v61, s5
.LBB944_13:
	s_or_b64 exec, exec, s[10:11]
	s_waitcnt vmcnt(7)
	v_cvt_pk_f32_fp8_e32 v[64:65], v46
	v_cvt_pk_f32_fp8_sdwa v[66:67], v46 src0_sel:WORD_1
	v_cvt_pk_f32_fp8_e32 v[68:69], v47
	v_cvt_pk_f32_fp8_sdwa v[46:47], v47 src0_sel:WORD_1
	v_cvt_pkrtz_f16_f32 v64, v64, v65
	v_cvt_pkrtz_f16_f32 v65, v66, v67
	;; [unrolled: 1-line block ×3, first 2 shown]
	v_cvt_pk_f32_fp8_e32 v[70:71], v48
	v_cvt_pk_f32_fp8_sdwa v[72:73], v48 src0_sel:WORD_1
	v_cvt_pkrtz_f16_f32 v69, v46, v47
	s_waitcnt lgkmcnt(3)
	v_mfma_f32_16x16x16_f16 v[64:67], v[64:65], v[38:39], 0
	v_or_b32_e32 v54, s16, v50
	v_ashrrev_i32_e32 v50, 4, v54
	v_mov_b32_e32 v63, s17
	v_cmp_gt_i32_e32 vcc, s38, v54
	v_cvt_pkrtz_f16_f32 v70, v70, v71
	v_cvt_pkrtz_f16_f32 v71, v72, v73
	v_cvt_pk_f32_fp8_e32 v[72:73], v49
	v_cvt_pk_f32_fp8_sdwa v[74:75], v49 src0_sel:WORD_1
	v_cndmask_b32_e32 v50, v63, v50, vcc
	v_mfma_f32_16x16x16_f16 v[46:49], v[68:69], v[40:41], v[64:67]
	v_ashrrev_i32_e32 v51, 31, v50
	v_lshl_add_u64 v[50:51], v[50:51], 2, s[6:7]
	s_load_dword s5, s[0:1], 0x1c
	s_load_dwordx4 s[40:43], s[0:1], 0x80
	global_load_dword v62, v[50:51], off
	v_or_b32_e32 v50, 64, v54
	v_cvt_pkrtz_f16_f32 v64, v72, v73
	v_cvt_pkrtz_f16_f32 v65, v74, v75
	v_ashrrev_i32_e32 v51, 4, v50
	v_cmp_gt_i32_e32 vcc, s38, v50
	s_waitcnt lgkmcnt(0)
	v_mfma_f32_16x16x16_f16 v[46:49], v[70:71], v[30:31], v[46:49]
	s_waitcnt vmcnt(7)
	v_cvt_pk_f32_fp8_e32 v[68:69], v14
	v_cndmask_b32_e32 v50, v63, v51, vcc
	v_ashrrev_i32_e32 v51, 31, v50
	v_lshl_add_u64 v[52:53], v[50:51], 2, s[6:7]
	v_mfma_f32_16x16x16_f16 v[46:49], v[64:65], v[32:33], v[46:49]
	global_load_dword v64, v[52:53], off
	v_or_b32_e32 v50, 0x80, v54
	v_ashrrev_i32_e32 v51, 4, v50
	v_cmp_gt_i32_e32 vcc, s38, v50
	v_or_b32_e32 v54, 0xc0, v54
	v_ashrrev_i32_e32 v66, 4, v54
	v_cndmask_b32_e32 v50, v63, v51, vcc
	v_cmp_gt_i32_e32 vcc, s38, v54
	v_ashrrev_i32_e32 v51, 31, v50
	v_lshl_add_u64 v[50:51], v[50:51], 2, s[6:7]
	v_cndmask_b32_e32 v66, v63, v66, vcc
	v_ashrrev_i32_e32 v67, 31, v66
	v_lshl_add_u64 v[66:67], v[66:67], 2, s[6:7]
	global_load_dword v66, v[66:67], off
	v_cvt_pk_f32_fp8_sdwa v[70:71], v14 src0_sel:WORD_1
	global_load_dword v65, v[50:51], off
	v_cvt_pk_f32_fp8_e32 v[52:53], v15
	v_cvt_pkrtz_f16_f32 v68, v68, v69
	v_cvt_pkrtz_f16_f32 v69, v70, v71
	v_cvt_pk_f32_fp8_sdwa v[14:15], v15 src0_sel:WORD_1
	v_cvt_pkrtz_f16_f32 v52, v52, v53
	v_cvt_pk_f32_fp8_e32 v[70:71], v16
	v_cvt_pk_f32_fp8_sdwa v[72:73], v16 src0_sel:WORD_1
	v_cvt_pkrtz_f16_f32 v53, v14, v15
	v_mfma_f32_16x16x16_f16 v[46:49], v[68:69], v[26:27], v[46:49]
	v_cvt_pkrtz_f16_f32 v68, v70, v71
	v_cvt_pkrtz_f16_f32 v69, v72, v73
	v_cvt_pk_f32_fp8_e32 v[70:71], v17
	v_cvt_pk_f32_fp8_sdwa v[72:73], v17 src0_sel:WORD_1
	v_mfma_f32_16x16x16_f16 v[14:17], v[52:53], v[28:29], v[46:49]
	s_waitcnt vmcnt(9)
	v_cvt_pk_f32_fp8_e32 v[50:51], v10
	v_cvt_pk_f32_fp8_sdwa v[52:53], v10 src0_sel:WORD_1
	s_add_u32 s6, s8, s12
	v_cvt_pkrtz_f16_f32 v46, v70, v71
	v_cvt_pkrtz_f16_f32 v47, v72, v73
	v_mfma_f32_16x16x16_f16 v[14:17], v[68:69], v[18:19], v[14:17]
	v_cvt_pk_f32_fp8_sdwa v[68:69], v12 src0_sel:WORD_1
	v_cvt_pk_f32_fp8_sdwa v[70:71], v13 src0_sel:WORD_1
	v_lshl_or_b32 v63, v59, 4, v57
	v_mfma_f32_16x16x16_f16 v[46:49], v[46:47], v[20:21], v[14:17]
	s_waitcnt vmcnt(7)
	v_cvt_pk_f32_fp8_e32 v[72:73], v5
	s_addc_u32 s7, s9, 0
	v_lshlrev_b32_e32 v54, 4, v63
	v_cvt_pk_f32_fp8_e32 v[14:15], v11
	v_cvt_pkrtz_f16_f32 v16, v50, v51
	v_cvt_pkrtz_f16_f32 v17, v52, v53
	v_cvt_pk_f32_fp8_sdwa v[10:11], v11 src0_sel:WORD_1
	v_cvt_pkrtz_f16_f32 v50, v14, v15
	v_cvt_pk_f32_fp8_e32 v[52:53], v12
	v_mfma_f32_16x16x16_f16 v[14:17], v[16:17], v[38:39], 0
	v_cvt_pkrtz_f16_f32 v51, v10, v11
	v_cvt_pkrtz_f16_f32 v52, v52, v53
	;; [unrolled: 1-line block ×3, first 2 shown]
	v_cvt_pk_f32_fp8_e32 v[68:69], v13
	v_mfma_f32_16x16x16_f16 v[10:13], v[50:51], v[40:41], v[14:17]
	v_cvt_pk_f32_fp8_sdwa v[50:51], v6 src0_sel:WORD_1
	s_waitcnt vmcnt(6)
	v_cvt_pk_f32_fp8_sdwa v[78:79], v44 src0_sel:WORD_1
	v_cvt_pkrtz_f16_f32 v14, v68, v69
	v_cvt_pkrtz_f16_f32 v15, v70, v71
	v_mfma_f32_16x16x16_f16 v[10:13], v[52:53], v[30:31], v[10:13]
	v_cvt_pk_f32_fp8_e32 v[16:17], v6
	v_cvt_pk_f32_fp8_sdwa v[52:53], v8 src0_sel:WORD_1
	v_lshl_add_u64 v[68:69], s[6:7], 0, v[54:55]
	v_mfma_f32_16x16x16_f16 v[10:13], v[14:15], v[32:33], v[10:13]
	v_cvt_pk_f32_fp8_e32 v[14:15], v7
	v_cvt_pkrtz_f16_f32 v16, v16, v17
	v_cvt_pkrtz_f16_f32 v17, v50, v51
	v_cvt_pk_f32_fp8_sdwa v[6:7], v7 src0_sel:WORD_1
	v_cvt_pkrtz_f16_f32 v14, v14, v15
	v_cvt_pk_f32_fp8_e32 v[50:51], v8
	v_mfma_f32_16x16x16_f16 v[10:13], v[16:17], v[26:27], v[10:13]
	v_cvt_pkrtz_f16_f32 v15, v6, v7
	v_cvt_pkrtz_f16_f32 v16, v50, v51
	;; [unrolled: 1-line block ×3, first 2 shown]
	v_cvt_pk_f32_fp8_e32 v[50:51], v9
	v_cvt_pk_f32_fp8_sdwa v[52:53], v9 src0_sel:WORD_1
	v_mfma_f32_16x16x16_f16 v[6:9], v[14:15], v[28:29], v[10:13]
	v_cvt_pk_f32_fp8_sdwa v[14:15], v2 src0_sel:WORD_1
	s_waitcnt vmcnt(2)
	v_mad_i64_i32 v[70:71], s[8:9], v64, s45, v[68:69]
	v_cvt_pkrtz_f16_f32 v10, v50, v51
	v_cvt_pkrtz_f16_f32 v11, v52, v53
	v_mfma_f32_16x16x16_f16 v[6:9], v[16:17], v[18:19], v[6:9]
	v_cvt_pk_f32_fp8_e32 v[12:13], v2
	v_or_b32_e32 v54, 0x400, v54
	s_waitcnt vmcnt(1)
	v_mad_i64_i32 v[74:75], s[8:9], v66, s45, v[68:69]
	v_mfma_f32_16x16x16_f16 v[50:53], v[10:11], v[20:21], v[6:9]
	v_mad_i64_i32 v[10:11], s[8:9], v62, s45, v[68:69]
	s_nop 1
	v_cvt_pkrtz_f16_f32 v6, v12, v13
	v_cvt_pkrtz_f16_f32 v7, v14, v15
	v_cvt_pk_f32_fp8_e32 v[8:9], v3
	v_cvt_pk_f32_fp8_sdwa v[2:3], v3 src0_sel:WORD_1
	v_cvt_pk_f32_fp8_sdwa v[14:15], v4 src0_sel:WORD_1
	v_cvt_pkrtz_f16_f32 v12, v8, v9
	v_cvt_pkrtz_f16_f32 v13, v2, v3
	v_cvt_pk_f32_fp8_e32 v[2:3], v4
	v_mfma_f32_16x16x16_f16 v[6:9], v[6:7], v[38:39], 0
	v_cvt_pk_f32_fp8_sdwa v[4:5], v5 src0_sel:WORD_1
	v_cvt_pkrtz_f16_f32 v2, v2, v3
	v_cvt_pkrtz_f16_f32 v3, v14, v15
	v_mfma_f32_16x16x16_f16 v[6:9], v[12:13], v[40:41], v[6:9]
	global_load_dwordx4 v[14:17], v[10:11], off
	s_nop 0
	global_load_dwordx4 v[10:13], v[70:71], off
	v_cvt_pkrtz_f16_f32 v70, v72, v73
	v_cvt_pkrtz_f16_f32 v71, v4, v5
	v_mfma_f32_16x16x16_f16 v[2:5], v[2:3], v[30:31], v[6:9]
	s_waitcnt vmcnt(2)
	v_mad_i64_i32 v[72:73], s[8:9], v65, s45, v[68:69]
	s_nop 0
	v_cvt_pk_f32_fp8_e32 v[6:7], v42
	v_cvt_pk_f32_fp8_sdwa v[8:9], v42 src0_sel:WORD_1
	v_mfma_f32_16x16x16_f16 v[2:5], v[70:71], v[32:33], v[2:5]
	v_cvt_pkrtz_f16_f32 v6, v6, v7
	v_cvt_pkrtz_f16_f32 v7, v8, v9
	v_cvt_pk_f32_fp8_e32 v[8:9], v43
	v_cvt_pk_f32_fp8_sdwa v[42:43], v43 src0_sel:WORD_1
	v_mfma_f32_16x16x16_f16 v[68:71], v[6:7], v[26:27], v[2:5]
	v_cvt_pkrtz_f16_f32 v76, v8, v9
	v_cvt_pkrtz_f16_f32 v77, v42, v43
	v_cvt_pk_f32_fp8_e32 v[42:43], v44
	global_load_dwordx4 v[6:9], v[72:73], off
	global_load_dwordx4 v[2:5], v[74:75], off
	v_cvt_pkrtz_f16_f32 v73, v78, v79
	v_cvt_pk_f32_fp8_e32 v[74:75], v45
	v_cvt_pkrtz_f16_f32 v72, v42, v43
	v_cvt_pk_f32_fp8_sdwa v[78:79], v45 src0_sel:WORD_1
	v_mfma_f32_16x16x16_f16 v[42:45], v[76:77], v[28:29], v[68:71]
	v_cvt_pk_f32_fp8_sdwa v[76:77], v36 src0_sel:WORD_1
	s_load_dword s8, s[40:41], 0x0
	s_nop 0
	v_cvt_pkrtz_f16_f32 v68, v74, v75
	v_cvt_pkrtz_f16_f32 v69, v78, v79
	v_mfma_f32_16x16x16_f16 v[42:45], v[72:73], v[18:19], v[42:45]
	v_cvt_pk_f32_fp8_e32 v[72:73], v34
	v_cvt_pk_f32_fp8_sdwa v[74:75], v34 src0_sel:WORD_1
	v_mfma_f32_16x16x16_f16 v[68:71], v[68:69], v[20:21], v[42:45]
	s_nop 3
	v_cvt_pk_f32_fp8_e32 v[42:43], v35
	v_cvt_pkrtz_f16_f32 v44, v72, v73
	v_cvt_pkrtz_f16_f32 v45, v74, v75
	v_cvt_pk_f32_fp8_sdwa v[34:35], v35 src0_sel:WORD_1
	v_cvt_pkrtz_f16_f32 v72, v42, v43
	v_cvt_pk_f32_fp8_e32 v[74:75], v36
	v_mfma_f32_16x16x16_f16 v[42:45], v[44:45], v[38:39], 0
	v_cvt_pkrtz_f16_f32 v73, v34, v35
	v_cvt_pkrtz_f16_f32 v38, v74, v75
	;; [unrolled: 1-line block ×3, first 2 shown]
	v_cvt_pk_f32_fp8_e32 v[74:75], v37
	v_cvt_pk_f32_fp8_sdwa v[76:77], v37 src0_sel:WORD_1
	v_mfma_f32_16x16x16_f16 v[34:37], v[72:73], v[40:41], v[42:45]
	v_cvt_pkrtz_f16_f32 v40, v74, v75
	v_cvt_pkrtz_f16_f32 v41, v76, v77
	v_mfma_f32_16x16x16_f16 v[34:37], v[38:39], v[30:31], v[34:37]
	v_cvt_pk_f32_fp8_sdwa v[38:39], v22 src0_sel:WORD_1
	v_mov_b32_e32 v42, s5
	s_waitcnt lgkmcnt(0)
	v_mul_f32_e32 v72, s8, v42
	v_mfma_f32_16x16x16_f16 v[32:35], v[40:41], v[32:33], v[34:37]
	v_cvt_pk_f32_fp8_e32 v[40:41], v23
	v_cvt_pk_f32_fp8_sdwa v[42:43], v24 src0_sel:WORD_1
	v_cvt_pk_f32_fp8_sdwa v[44:45], v25 src0_sel:WORD_1
	v_cvt_pk_f32_fp8_e32 v[36:37], v22
	v_cvt_pk_f32_fp8_sdwa v[22:23], v23 src0_sel:WORD_1
	v_pk_mul_f32 v[48:49], v[72:73], v[48:49] op_sel_hi:[0,1]
	v_pk_mul_f32 v[30:31], v[72:73], v[46:47] op_sel_hi:[0,1]
	v_cvt_pkrtz_f16_f32 v36, v36, v37
	v_cvt_pkrtz_f16_f32 v37, v38, v39
	;; [unrolled: 1-line block ×4, first 2 shown]
	v_cvt_pk_f32_fp8_e32 v[40:41], v24
	v_mfma_f32_16x16x16_f16 v[32:35], v[36:37], v[26:27], v[32:35]
	v_cvt_pkrtz_f16_f32 v37, v42, v43
	v_cvt_pkrtz_f16_f32 v36, v40, v41
	v_cvt_pk_f32_fp8_e32 v[42:43], v25
	v_mfma_f32_16x16x16_f16 v[24:27], v[38:39], v[28:29], v[32:35]
	v_cvt_pkrtz_f16_f32 v29, v44, v45
	v_pk_mul_f32 v[40:41], v[72:73], v[52:53] op_sel_hi:[0,1]
	v_cvt_pkrtz_f16_f32 v28, v42, v43
	v_mfma_f32_16x16x16_f16 v[24:27], v[36:37], v[18:19], v[24:27]
	v_pk_mul_f32 v[44:45], v[72:73], v[50:51] op_sel_hi:[0,1]
	v_pk_mul_f32 v[38:39], v[72:73], v[70:71] op_sel_hi:[0,1]
	;; [unrolled: 1-line block ×3, first 2 shown]
	v_mfma_f32_16x16x16_f16 v[18:21], v[28:29], v[20:21], v[24:27]
	s_mov_b32 s5, 0xff7fffff
	v_lshl_add_u64 v[22:23], s[6:7], 0, v[54:55]
	s_nop 4
	v_pk_mul_f32 v[36:37], v[72:73], v[18:19] op_sel_hi:[0,1]
	v_and_b32_e32 v18, 0xc0, v0
	v_add_u32_e32 v18, s16, v18
	v_lshl_or_b32 v18, v56, 2, v18
	v_or_b32_e32 v19, 1, v18
	v_pk_mul_f32 v[34:35], v[72:73], v[20:21] op_sel_hi:[0,1]
	v_subrev_u32_e32 v20, s38, v19
	v_add_u32_e32 v24, 1, v20
	v_add_u32_e32 v25, 2, v20
	v_cvt_f32_i32_e32 v21, v20
	v_cvt_f32_i32_e32 v24, v24
	;; [unrolled: 1-line block ×3, first 2 shown]
	v_add_u32_e32 v26, 3, v20
	v_fma_f32 v28, v61, v21, v30
	v_fmac_f32_e32 v31, v61, v24
	v_fma_f32 v29, v61, v25, v48
	v_add_u32_e32 v21, 16, v20
	v_add_u32_e32 v24, 17, v20
	;; [unrolled: 1-line block ×3, first 2 shown]
	v_cvt_f32_i32_e32 v26, v26
	v_cvt_f32_i32_e32 v21, v21
	;; [unrolled: 1-line block ×4, first 2 shown]
	v_fmac_f32_e32 v49, v61, v26
	v_add_u32_e32 v26, 19, v20
	v_fma_f32 v44, v61, v21, v44
	v_fmac_f32_e32 v45, v61, v24
	v_fma_f32 v40, v61, v25, v40
	v_add_u32_e32 v21, 32, v20
	v_add_u32_e32 v24, 33, v20
	;; [unrolled: 1-line block ×3, first 2 shown]
	v_cvt_f32_i32_e32 v26, v26
	v_cvt_f32_i32_e32 v21, v21
	;; [unrolled: 1-line block ×4, first 2 shown]
	v_fmac_f32_e32 v41, v61, v26
	v_add_u32_e32 v26, 35, v20
	v_fma_f32 v42, v61, v21, v42
	v_fmac_f32_e32 v43, v61, v24
	v_fma_f32 v38, v61, v25, v38
	v_add_u32_e32 v21, 48, v20
	v_add_u32_e32 v24, 49, v20
	;; [unrolled: 1-line block ×4, first 2 shown]
	v_cvt_f32_i32_e32 v20, v20
	v_cvt_f32_i32_e32 v21, v21
	;; [unrolled: 1-line block ×3, first 2 shown]
	v_cmp_gt_i32_e64 s[36:37], s38, v18
	v_fmac_f32_e32 v35, v61, v20
	v_mov_b32_e32 v20, 0xff7fffff
	v_cmp_gt_i32_e64 s[24:25], s38, v19
	v_fma_f32 v36, v61, v21, v36
	v_cndmask_b32_e64 v21, v20, v28, s[36:37]
	v_cndmask_b32_e64 v19, v20, v31, s[24:25]
	v_fmac_f32_e32 v37, v61, v24
	v_max3_f32 v19, v21, s5, v19
	v_or_b32_e32 v21, 2, v18
	v_or_b32_e32 v24, 3, v18
	v_cmp_gt_i32_e64 s[28:29], s38, v21
	v_cmp_gt_i32_e64 s[34:35], s38, v24
	v_cvt_f32_i32_e32 v26, v26
	v_cndmask_b32_e64 v21, v20, v29, s[28:29]
	v_cndmask_b32_e64 v24, v20, v49, s[34:35]
	v_max3_f32 v19, v19, v21, v24
	v_or_b32_e32 v21, 16, v18
	v_or_b32_e32 v24, 17, v18
	v_cmp_gt_i32_e64 s[18:19], s38, v21
	v_cmp_gt_i32_e64 s[22:23], s38, v24
	v_fmac_f32_e32 v39, v61, v26
	v_cndmask_b32_e64 v21, v20, v44, s[18:19]
	v_cndmask_b32_e64 v24, v20, v45, s[22:23]
	v_max3_f32 v19, v19, v21, v24
	v_or_b32_e32 v21, 18, v18
	v_or_b32_e32 v24, 19, v18
	v_cmp_gt_i32_e64 s[26:27], s38, v21
	v_cmp_gt_i32_e64 s[30:31], s38, v24
	v_cvt_f32_i32_e32 v25, v25
	v_cndmask_b32_e64 v21, v20, v40, s[26:27]
	v_cndmask_b32_e64 v24, v20, v41, s[30:31]
	v_max3_f32 v19, v19, v21, v24
	v_or_b32_e32 v21, 32, v18
	v_or_b32_e32 v24, 33, v18
	v_cmp_gt_i32_e64 s[12:13], s38, v21
	v_cmp_gt_i32_e64 s[14:15], s38, v24
	v_fma_f32 v34, v61, v25, v34
	v_cndmask_b32_e64 v21, v20, v42, s[12:13]
	v_cndmask_b32_e64 v24, v20, v43, s[14:15]
	v_max3_f32 v19, v19, v21, v24
	v_or_b32_e32 v21, 34, v18
	v_or_b32_e32 v24, 35, v18
	v_cmp_gt_i32_e64 s[16:17], s38, v21
	v_cmp_gt_i32_e64 s[20:21], s38, v24
	s_nop 0
	v_cndmask_b32_e64 v21, v20, v38, s[16:17]
	v_cndmask_b32_e64 v24, v20, v39, s[20:21]
	v_max3_f32 v19, v19, v21, v24
	v_or_b32_e32 v21, 48, v18
	v_or_b32_e32 v24, 49, v18
	v_cmp_gt_i32_e64 s[8:9], s38, v21
	v_cmp_gt_i32_e64 s[10:11], s38, v24
	s_nop 0
	v_cndmask_b32_e64 v21, v20, v36, s[8:9]
	v_cndmask_b32_e64 v24, v20, v37, s[10:11]
	v_max3_f32 v19, v19, v21, v24
	v_or_b32_e32 v21, 50, v18
	v_or_b32_e32 v18, 51, v18
	v_cmp_gt_i32_e32 vcc, s38, v21
	v_cmp_gt_i32_e64 s[6:7], s38, v18
	s_nop 0
	v_cndmask_b32_e32 v21, v20, v34, vcc
	v_cndmask_b32_e64 v18, v20, v35, s[6:7]
	v_max3_f32 v24, v19, v21, v18
	v_mbcnt_lo_u32_b32 v18, -1, 0
	v_mbcnt_hi_u32_b32 v25, -1, v18
	v_and_b32_e32 v18, 64, v25
	v_add_u32_e32 v26, 64, v18
	v_xor_b32_e32 v18, 32, v25
	v_cmp_lt_i32_e64 s[38:39], v18, v26
	s_nop 1
	v_cndmask_b32_e64 v18, v25, v18, s[38:39]
	v_lshlrev_b32_e32 v51, 2, v18
	ds_bpermute_b32 v27, v51, v24
	v_mad_i64_i32 v[18:19], s[38:39], v62, s45, v[22:23]
	v_mad_i64_i32 v[20:21], s[38:39], v64, s45, v[22:23]
	s_waitcnt lgkmcnt(0)
	v_max_f32_e32 v27, v27, v27
	v_max_f32_e32 v24, v24, v27
	v_xor_b32_e32 v27, 16, v25
	v_cmp_lt_i32_e64 s[38:39], v27, v26
	s_nop 1
	v_cndmask_b32_e64 v25, v25, v27, s[38:39]
	v_lshlrev_b32_e32 v54, 2, v25
	ds_bpermute_b32 v25, v54, v24
	v_mad_i64_i32 v[26:27], s[38:39], v65, s45, v[22:23]
	v_mad_i64_i32 v[52:53], s[38:39], v66, s45, v[22:23]
	s_waitcnt lgkmcnt(0)
	v_max_f32_e32 v22, v25, v25
	v_max_f32_e32 v50, v24, v22
	v_sub_f32_e32 v46, v31, v50
	global_load_dwordx4 v[30:33], v[18:19], off
	global_load_dwordx4 v[22:25], v[20:21], off
	v_sub_f32_e32 v18, v28, v50
	v_mul_f32_e32 v18, 0x3fb8aa3b, v18
	v_mul_f32_e32 v19, 0x3fb8aa3b, v46
	v_exp_f32_e32 v18, v18
	v_exp_f32_e32 v47, v19
	v_sub_f32_e32 v19, v29, v50
	v_mul_f32_e32 v19, 0x3fb8aa3b, v19
	v_exp_f32_e32 v48, v19
	v_sub_f32_e32 v19, v49, v50
	v_mul_f32_e32 v19, 0x3fb8aa3b, v19
	v_exp_f32_e32 v49, v19
	v_cndmask_b32_e64 v46, 0, v18, s[36:37]
	global_load_dwordx4 v[26:29], v[26:27], off
	s_nop 0
	global_load_dwordx4 v[18:21], v[52:53], off
	v_sub_f32_e32 v44, v44, v50
	v_sub_f32_e32 v40, v40, v50
	v_mul_f32_e32 v44, 0x3fb8aa3b, v44
	v_mul_f32_e32 v40, 0x3fb8aa3b, v40
	v_exp_f32_e32 v44, v44
	v_exp_f32_e32 v52, v40
	v_sub_f32_e32 v45, v45, v50
	v_sub_f32_e32 v40, v41, v50
	v_sub_f32_e32 v42, v42, v50
	v_sub_f32_e32 v38, v38, v50
	v_mul_f32_e32 v45, 0x3fb8aa3b, v45
	v_mul_f32_e32 v40, 0x3fb8aa3b, v40
	;; [unrolled: 1-line block ×4, first 2 shown]
	v_exp_f32_e32 v45, v45
	v_exp_f32_e32 v53, v40
	v_cndmask_b32_e64 v40, 0, v44, s[18:19]
	v_cndmask_b32_e64 v44, 0, v52, s[26:27]
	v_exp_f32_e32 v42, v42
	v_exp_f32_e32 v52, v38
	v_sub_f32_e32 v38, v39, v50
	v_mul_f32_e32 v38, 0x3fb8aa3b, v38
	v_cndmask_b32_e64 v47, 0, v47, s[24:25]
	v_cndmask_b32_e64 v41, 0, v45, s[22:23]
	v_cndmask_b32_e64 v45, 0, v53, s[30:31]
	v_exp_f32_e32 v53, v38
	v_cndmask_b32_e64 v38, 0, v42, s[12:13]
	v_cndmask_b32_e64 v42, 0, v52, s[16:17]
	v_add_f32_e32 v52, 0, v46
	v_cndmask_b32_e64 v48, 0, v48, s[28:29]
	v_add_f32_e32 v52, v52, v47
	v_cndmask_b32_e64 v49, 0, v49, s[34:35]
	v_sub_f32_e32 v43, v43, v50
	v_add_f32_e32 v52, v52, v48
	v_mul_f32_e32 v43, 0x3fb8aa3b, v43
	v_add_f32_e32 v52, v52, v49
	v_exp_f32_e32 v43, v43
	v_add_f32_e32 v52, v52, v40
	v_add_f32_e32 v52, v52, v41
	v_sub_f32_e32 v36, v36, v50
	v_add_f32_e32 v52, v52, v44
	v_mul_f32_e32 v36, 0x3fb8aa3b, v36
	v_sub_f32_e32 v37, v37, v50
	v_add_f32_e32 v52, v52, v45
	v_exp_f32_e32 v36, v36
	v_mul_f32_e32 v37, 0x3fb8aa3b, v37
	v_sub_f32_e32 v34, v34, v50
	v_cndmask_b32_e64 v39, 0, v43, s[14:15]
	v_add_f32_e32 v52, v52, v38
	v_exp_f32_e32 v37, v37
	v_mul_f32_e32 v34, 0x3fb8aa3b, v34
	v_sub_f32_e32 v35, v35, v50
	v_add_f32_e32 v52, v52, v39
	v_exp_f32_e32 v34, v34
	v_mul_f32_e32 v35, 0x3fb8aa3b, v35
	v_cndmask_b32_e64 v43, 0, v53, s[20:21]
	v_add_f32_e32 v52, v52, v42
	v_exp_f32_e32 v35, v35
	v_add_f32_e32 v52, v52, v43
	v_cndmask_b32_e64 v36, 0, v36, s[8:9]
	v_add_f32_e32 v52, v52, v36
	v_cndmask_b32_e64 v37, 0, v37, s[10:11]
	v_add_f32_e32 v52, v52, v37
	v_cndmask_b32_e32 v34, 0, v34, vcc
	v_add_f32_e32 v52, v52, v34
	v_cndmask_b32_e64 v35, 0, v35, s[6:7]
	v_add_f32_e32 v52, v52, v35
	ds_bpermute_b32 v51, v51, v52
	v_cmp_lt_u32_e64 s[6:7], 15, v60
	v_cmp_gt_u32_e32 vcc, 16, v60
	s_waitcnt lgkmcnt(0)
	s_barrier
	v_add_f32_e32 v51, v52, v51
	ds_bpermute_b32 v52, v54, v51
	s_waitcnt lgkmcnt(0)
	s_and_saveexec_b64 s[8:9], vcc
	s_cbranch_execz .LBB944_15
; %bb.14:
	v_add_f32_e32 v51, v51, v52
	v_lshlrev_b32_e32 v52, 2, v63
	ds_write2st64_b32 v52, v50, v51 offset1:1
.LBB944_15:
	s_or_b64 exec, exec, s[8:9]
	v_lshlrev_b32_e32 v51, 2, v57
	s_load_dwordx2 s[8:9], s[0:1], 0x94
	s_waitcnt lgkmcnt(0)
	s_barrier
	ds_read2_b32 v[52:53], v51 offset1:16
	ds_read2_b32 v[54:55], v51 offset0:32 offset1:48
	ds_read2_b32 v[60:61], v51 offset0:64 offset1:80
	s_waitcnt lgkmcnt(2)
	v_max3_f32 v50, v52, s5, v53
	s_waitcnt lgkmcnt(1)
	v_max3_f32 v50, v50, v54, v55
	v_sub_f32_e32 v52, v52, v50
	v_mul_f32_e32 v52, 0x3fb8aa3b, v52
	v_exp_f32_e32 v62, v52
	v_sub_f32_e32 v52, v53, v50
	v_mul_f32_e32 v52, 0x3fb8aa3b, v52
	v_exp_f32_e32 v63, v52
	;; [unrolled: 3-line block ×3, first 2 shown]
	ds_read2_b32 v[52:53], v51 offset0:96 offset1:112
	v_sub_f32_e32 v51, v55, v50
	v_mul_f32_e32 v51, 0x3fb8aa3b, v51
	v_exp_f32_e32 v55, v51
	s_waitcnt lgkmcnt(1)
	v_fma_f32 v51, v62, v60, 0
	v_fmac_f32_e32 v51, v63, v61
	s_waitcnt lgkmcnt(0)
	v_fmac_f32_e32 v51, v54, v52
	v_fmac_f32_e32 v51, v55, v53
	v_add_f32_e32 v53, 0x358637bd, v51
	v_div_scale_f32 v60, s[10:11], v53, v53, 1.0
	v_rcp_f32_e32 v61, v60
	s_barrier
	v_fma_f32 v64, -v60, v61, 1.0
	v_fmac_f32_e32 v61, v64, v61
	v_div_scale_f32 v64, vcc, 1.0, v53, 1.0
	v_mul_f32_e32 v65, v64, v61
	v_fma_f32 v66, -v60, v65, v64
	v_fmac_f32_e32 v65, v66, v61
	v_fma_f32 v60, -v60, v65, v64
	v_div_fmas_f32 v60, v60, v61, v65
	v_cmp_eq_u32_e32 vcc, 1, v59
	v_div_fixup_f32 v53, v60, v53, 1.0
	v_mov_b32_e32 v52, 0
	v_cndmask_b32_e32 v60, v62, v63, vcc
	v_cmp_eq_u32_e32 vcc, 2, v59
	s_nop 1
	v_cndmask_b32_e32 v54, v60, v54, vcc
	v_cmp_eq_u32_e32 vcc, 3, v59
	s_nop 1
	v_cndmask_b32_e32 v54, v54, v55, vcc
	v_mul_f32_e32 v60, v54, v53
	v_pk_mul_f32 v[48:49], v[60:61], v[48:49] op_sel_hi:[0,1]
	v_pk_mul_f32 v[46:47], v[60:61], v[46:47] op_sel_hi:[0,1]
	v_cvt_f16_f32_e32 v46, v46
	v_cvt_f16_f32_e32 v47, v47
	;; [unrolled: 1-line block ×4, first 2 shown]
	v_pk_mul_f32 v[44:45], v[60:61], v[44:45] op_sel_hi:[0,1]
	v_pk_mul_f32 v[40:41], v[60:61], v[40:41] op_sel_hi:[0,1]
	v_cvt_f16_f32_e32 v40, v40
	v_cvt_f16_f32_e32 v41, v41
	;; [unrolled: 1-line block ×4, first 2 shown]
	v_pack_b32_f16 v48, v46, v47
	v_pack_b32_f16 v49, v53, v49
	v_lshlrev_b32_e32 v47, 3, v56
	v_lshlrev_b32_e32 v46, 5, v57
	v_lshlrev_b32_e32 v53, 11, v59
	v_or3_b32 v54, v53, v46, v47
	v_pack_b32_f16 v40, v40, v41
	v_pack_b32_f16 v41, v44, v45
	ds_write2st64_b64 v54, v[48:49], v[40:41] offset1:1
	v_pk_mul_f32 v[40:41], v[60:61], v[42:43] op_sel_hi:[0,1]
	v_pk_mul_f32 v[38:39], v[60:61], v[38:39] op_sel_hi:[0,1]
	;; [unrolled: 1-line block ×4, first 2 shown]
	v_cvt_f16_f32_e32 v38, v38
	v_cvt_f16_f32_e32 v39, v39
	;; [unrolled: 1-line block ×8, first 2 shown]
	v_pack_b32_f16 v34, v38, v39
	v_pack_b32_f16 v35, v40, v41
	v_pack_b32_f16 v36, v36, v37
	v_pack_b32_f16 v37, v42, v43
	v_cmp_eq_u32_e32 vcc, 0, v0
	ds_write2st64_b64 v54, v[34:35], v[36:37] offset0:2 offset1:3
	s_and_saveexec_b64 s[10:11], vcc
	s_cbranch_execz .LBB944_17
; %bb.16:
	s_mul_i32 s3, s3, s9
	s_mul_hi_u32 s5, s2, s9
	s_add_i32 s5, s5, s3
	s_mul_i32 s3, s2, s9
	s_add_u32 s3, s3, s4
	s_addc_u32 s5, s5, 0
	s_load_dwordx4 s[12:15], s[0:1], 0x58
	s_mul_i32 s5, s5, s8
	s_mul_hi_u32 s16, s3, s8
	s_add_i32 s5, s16, s5
	s_mul_i32 s3, s3, s8
	s_add_u32 s16, s3, s33
	s_addc_u32 s17, s5, 0
	s_lshl_b64 s[16:17], s[16:17], 2
	s_waitcnt lgkmcnt(0)
	s_add_u32 s14, s14, s16
	s_addc_u32 s15, s15, s17
	s_add_u32 s12, s12, s16
	s_addc_u32 s13, s13, s17
	global_store_dword v52, v50, s[14:15]
	global_store_dword v52, v51, s[12:13]
.LBB944_17:
	s_or_b64 exec, exec, s[10:11]
	s_waitcnt vmcnt(7)
	v_cvt_pk_f32_fp8_e32 v[34:35], v14
	v_cvt_pk_f32_fp8_sdwa v[36:37], v14 src0_sel:WORD_1
	v_lshl_or_b32 v50, v56, 9, v46
	s_waitcnt lgkmcnt(0)
	s_barrier
	v_cvt_pk_f32_fp8_e32 v[38:39], v15
	v_cvt_pkrtz_f16_f32 v14, v34, v35
	v_cvt_pk_f32_fp8_sdwa v[40:41], v15 src0_sel:WORD_1
	v_cvt_pkrtz_f16_f32 v15, v36, v37
	ds_read_b128 v[34:37], v50
	v_cvt_pkrtz_f16_f32 v46, v38, v39
	v_cvt_pkrtz_f16_f32 v47, v40, v41
	ds_read_b128 v[38:41], v50 offset:16
	v_cvt_pk_f32_fp8_e32 v[48:49], v16
	v_cvt_pk_f32_fp8_sdwa v[52:53], v16 src0_sel:WORD_1
	s_waitcnt lgkmcnt(1)
	v_mfma_f32_16x16x16_f16 v[42:45], v[14:15], v[34:35], 0
	s_waitcnt vmcnt(6)
	v_cvt_pk_f32_fp8_e32 v[60:61], v12
	v_cvt_pkrtz_f16_f32 v14, v48, v49
	v_cvt_pkrtz_f16_f32 v15, v52, v53
	v_cvt_pk_f32_fp8_e32 v[48:49], v17
	v_mfma_f32_16x16x16_f16 v[42:45], v[46:47], v[36:37], v[42:45]
	v_cvt_pk_f32_fp8_sdwa v[46:47], v17 src0_sel:WORD_1
	v_cvt_pk_f32_fp8_sdwa v[62:63], v12 src0_sel:WORD_1
	v_cvt_pkrtz_f16_f32 v48, v48, v49
	s_waitcnt lgkmcnt(0)
	v_mfma_f32_16x16x16_f16 v[14:17], v[14:15], v[38:39], v[42:45]
	v_cvt_pkrtz_f16_f32 v49, v46, v47
	s_waitcnt vmcnt(5)
	v_cvt_pk_f32_fp8_e32 v[64:65], v8
	v_cvt_pk_f32_fp8_sdwa v[66:67], v8 src0_sel:WORD_1
	v_cvt_pk_f32_fp8_e32 v[42:43], v10
	v_mfma_f32_16x16x16_f16 v[46:49], v[48:49], v[40:41], v[14:17]
	s_waitcnt vmcnt(4)
	v_cvt_pk_f32_fp8_sdwa v[68:69], v4 src0_sel:WORD_1
	s_load_dword s10, s[42:43], 0x0
	v_cvt_pk_f32_fp8_sdwa v[14:15], v10 src0_sel:WORD_1
	v_cvt_pk_f32_fp8_e32 v[16:17], v11
	v_cvt_pkrtz_f16_f32 v10, v42, v43
	v_cvt_pk_f32_fp8_sdwa v[42:43], v11 src0_sel:WORD_1
	v_cvt_pkrtz_f16_f32 v11, v14, v15
	v_cvt_pkrtz_f16_f32 v52, v16, v17
	ds_read_b128 v[14:17], v50 offset:2048
	v_cvt_pkrtz_f16_f32 v53, v42, v43
	ds_read_b128 v[42:45], v50 offset:2064
	s_waitcnt lgkmcnt(0)
	v_mfma_f32_16x16x16_f16 v[46:49], v[10:11], v[14:15], v[46:49]
	v_cvt_pkrtz_f16_f32 v10, v60, v61
	v_cvt_pkrtz_f16_f32 v11, v62, v63
	v_cvt_pk_f32_fp8_e32 v[60:61], v13
	v_mfma_f32_16x16x16_f16 v[46:49], v[52:53], v[16:17], v[46:49]
	v_cvt_pk_f32_fp8_sdwa v[52:53], v13 src0_sel:WORD_1
	v_cmp_gt_u32_e32 vcc, 64, v0
	v_cvt_pkrtz_f16_f32 v60, v60, v61
	v_mfma_f32_16x16x16_f16 v[10:13], v[10:11], v[42:43], v[46:49]
	v_cvt_pkrtz_f16_f32 v61, v52, v53
	s_xor_b64 s[6:7], s[6:7], -1
	s_mov_b32 s3, 0
	v_cvt_pk_f32_fp8_e32 v[46:47], v6
	v_mfma_f32_16x16x16_f16 v[60:63], v[60:61], v[44:45], v[10:13]
	s_and_b64 s[6:7], vcc, s[6:7]
	s_nop 1
	v_cvt_pk_f32_fp8_sdwa v[10:11], v6 src0_sel:WORD_1
	v_cvt_pk_f32_fp8_e32 v[12:13], v7
	v_cvt_pkrtz_f16_f32 v6, v46, v47
	v_cvt_pk_f32_fp8_sdwa v[46:47], v7 src0_sel:WORD_1
	v_cvt_pkrtz_f16_f32 v7, v10, v11
	v_cvt_pkrtz_f16_f32 v52, v12, v13
	ds_read_b128 v[10:13], v50 offset:4096
	v_cvt_pkrtz_f16_f32 v53, v46, v47
	ds_read_b128 v[46:49], v50 offset:4112
	s_waitcnt lgkmcnt(1)
	v_mfma_f32_16x16x16_f16 v[60:63], v[6:7], v[10:11], v[60:63]
	v_cvt_pkrtz_f16_f32 v6, v64, v65
	v_cvt_pkrtz_f16_f32 v7, v66, v67
	v_cvt_pk_f32_fp8_e32 v[64:65], v9
	v_mfma_f32_16x16x16_f16 v[60:63], v[52:53], v[12:13], v[60:63]
	v_cvt_pk_f32_fp8_sdwa v[52:53], v9 src0_sel:WORD_1
	v_cvt_pk_f32_fp8_e32 v[66:67], v4
	v_cvt_pkrtz_f16_f32 v64, v64, v65
	s_waitcnt lgkmcnt(0)
	v_mfma_f32_16x16x16_f16 v[6:9], v[6:7], v[46:47], v[60:63]
	v_cvt_pkrtz_f16_f32 v65, v52, v53
	v_cvt_pk_f32_fp8_e32 v[52:53], v2
	s_nop 0
	v_mfma_f32_16x16x16_f16 v[60:63], v[64:65], v[48:49], v[6:9]
	s_nop 2
	v_cvt_pk_f32_fp8_sdwa v[6:7], v2 src0_sel:WORD_1
	v_cvt_pk_f32_fp8_e32 v[8:9], v3
	v_cvt_pkrtz_f16_f32 v2, v52, v53
	v_cvt_pk_f32_fp8_sdwa v[52:53], v3 src0_sel:WORD_1
	v_cvt_pkrtz_f16_f32 v3, v6, v7
	v_cvt_pkrtz_f16_f32 v64, v8, v9
	ds_read_b128 v[6:9], v50 offset:6144
	v_cvt_pkrtz_f16_f32 v65, v52, v53
	s_waitcnt lgkmcnt(0)
	v_mfma_f32_16x16x16_f16 v[60:63], v[2:3], v[6:7], v[60:63]
	ds_read_b128 v[50:53], v50 offset:6160
	v_cvt_pkrtz_f16_f32 v2, v66, v67
	v_cvt_pkrtz_f16_f32 v3, v68, v69
	v_mfma_f32_16x16x16_f16 v[60:63], v[64:65], v[8:9], v[60:63]
	v_cvt_pk_f32_fp8_e32 v[66:67], v5
	v_cvt_pk_f32_fp8_sdwa v[64:65], v5 src0_sel:WORD_1
	s_waitcnt vmcnt(3)
	v_cvt_pk_f32_fp8_sdwa v[68:69], v32 src0_sel:WORD_1
	s_waitcnt lgkmcnt(0)
	v_mfma_f32_16x16x16_f16 v[2:5], v[2:3], v[50:51], v[60:63]
	v_cvt_pkrtz_f16_f32 v66, v66, v67
	v_cvt_pkrtz_f16_f32 v67, v64, v65
	v_cvt_pk_f32_fp8_e32 v[64:65], v31
	v_cvt_pk_f32_fp8_e32 v[60:61], v30
	v_cvt_pk_f32_fp8_sdwa v[62:63], v30 src0_sel:WORD_1
	v_cvt_pk_f32_fp8_sdwa v[30:31], v31 src0_sel:WORD_1
	v_mfma_f32_16x16x16_f16 v[2:5], v[66:67], v[52:53], v[2:5]
	v_cvt_pkrtz_f16_f32 v60, v60, v61
	v_cvt_pkrtz_f16_f32 v61, v62, v63
	;; [unrolled: 1-line block ×3, first 2 shown]
	v_cvt_pk_f32_fp8_e32 v[66:67], v32
	v_cvt_pkrtz_f16_f32 v65, v30, v31
	v_mfma_f32_16x16x16_f16 v[60:63], v[60:61], v[34:35], 0
	v_cvt_pkrtz_f16_f32 v30, v66, v67
	v_cvt_pkrtz_f16_f32 v31, v68, v69
	v_cvt_pk_f32_fp8_e32 v[66:67], v33
	v_mfma_f32_16x16x16_f16 v[34:37], v[64:65], v[36:37], v[60:63]
	s_barrier
	s_nop 1
	v_cvt_pk_f32_fp8_sdwa v[60:61], v33 src0_sel:WORD_1
	v_cvt_pkrtz_f16_f32 v62, v66, v67
	v_mfma_f32_16x16x16_f16 v[30:33], v[30:31], v[38:39], v[34:37]
	s_waitcnt vmcnt(2)
	v_cvt_pk_f32_fp8_e32 v[38:39], v23
	v_cvt_pkrtz_f16_f32 v63, v60, v61
	v_cvt_pk_f32_fp8_e32 v[34:35], v22
	v_cvt_pk_f32_fp8_sdwa v[36:37], v22 src0_sel:WORD_1
	v_cvt_pk_f32_fp8_sdwa v[22:23], v23 src0_sel:WORD_1
	v_mfma_f32_16x16x16_f16 v[30:33], v[62:63], v[40:41], v[30:33]
	v_cvt_pkrtz_f16_f32 v34, v34, v35
	v_cvt_pkrtz_f16_f32 v35, v36, v37
	;; [unrolled: 1-line block ×3, first 2 shown]
	v_cvt_pk_f32_fp8_e32 v[38:39], v24
	v_cvt_pk_f32_fp8_sdwa v[40:41], v24 src0_sel:WORD_1
	v_cvt_pkrtz_f16_f32 v37, v22, v23
	v_mfma_f32_16x16x16_f16 v[30:33], v[34:35], v[14:15], v[30:33]
	v_cvt_pkrtz_f16_f32 v22, v38, v39
	v_cvt_pkrtz_f16_f32 v23, v40, v41
	v_cvt_pk_f32_fp8_e32 v[34:35], v25
	v_cvt_pk_f32_fp8_sdwa v[24:25], v25 src0_sel:WORD_1
	v_mfma_f32_16x16x16_f16 v[14:17], v[36:37], v[16:17], v[30:33]
	s_nop 2
	v_cvt_pkrtz_f16_f32 v30, v34, v35
	v_cvt_pkrtz_f16_f32 v31, v24, v25
	v_mfma_f32_16x16x16_f16 v[14:17], v[22:23], v[42:43], v[14:17]
	s_waitcnt vmcnt(1)
	v_cvt_pk_f32_fp8_e32 v[22:23], v26
	v_cvt_pk_f32_fp8_sdwa v[24:25], v26 src0_sel:WORD_1
	v_cvt_pk_f32_fp8_sdwa v[32:33], v28 src0_sel:WORD_1
	v_mfma_f32_16x16x16_f16 v[14:17], v[30:31], v[44:45], v[14:17]
	v_cvt_pk_f32_fp8_e32 v[30:31], v27
	v_cvt_pkrtz_f16_f32 v22, v22, v23
	v_cvt_pkrtz_f16_f32 v23, v24, v25
	v_cvt_pk_f32_fp8_sdwa v[24:25], v27 src0_sel:WORD_1
	v_cvt_pkrtz_f16_f32 v26, v30, v31
	v_cvt_pk_f32_fp8_e32 v[30:31], v28
	v_mfma_f32_16x16x16_f16 v[14:17], v[22:23], v[10:11], v[14:17]
	v_cvt_pkrtz_f16_f32 v27, v24, v25
	v_cvt_pkrtz_f16_f32 v22, v30, v31
	;; [unrolled: 1-line block ×3, first 2 shown]
	v_cvt_pk_f32_fp8_e32 v[24:25], v29
	v_cvt_pk_f32_fp8_sdwa v[28:29], v29 src0_sel:WORD_1
	v_mfma_f32_16x16x16_f16 v[10:13], v[26:27], v[12:13], v[14:17]
	s_nop 2
	v_pk_mul_f32 v[14:15], v[4:5], s[10:11] op_sel_hi:[1,0]
	v_cvt_pkrtz_f16_f32 v4, v24, v25
	v_cvt_pkrtz_f16_f32 v5, v28, v29
	v_mfma_f32_16x16x16_f16 v[10:13], v[22:23], v[46:47], v[10:13]
	s_waitcnt vmcnt(0)
	v_cvt_pk_f32_fp8_e32 v[22:23], v18
	v_cvt_pk_f32_fp8_sdwa v[24:25], v18 src0_sel:WORD_1
	v_pk_mul_f32 v[16:17], v[2:3], s[10:11] op_sel_hi:[1,0]
	v_mfma_f32_16x16x16_f16 v[2:5], v[4:5], v[48:49], v[10:13]
	s_nop 2
	v_cvt_pk_f32_fp8_e32 v[10:11], v19
	v_cvt_pkrtz_f16_f32 v12, v22, v23
	v_cvt_pkrtz_f16_f32 v13, v24, v25
	v_cvt_pk_f32_fp8_sdwa v[18:19], v19 src0_sel:WORD_1
	v_cvt_pkrtz_f16_f32 v10, v10, v11
	v_cvt_pk_f32_fp8_e32 v[22:23], v20
	v_cvt_pk_f32_fp8_sdwa v[24:25], v20 src0_sel:WORD_1
	v_cvt_pkrtz_f16_f32 v11, v18, v19
	v_mfma_f32_16x16x16_f16 v[2:5], v[12:13], v[6:7], v[2:5]
	v_cvt_pkrtz_f16_f32 v6, v22, v23
	v_cvt_pkrtz_f16_f32 v7, v24, v25
	v_cvt_pk_f32_fp8_e32 v[12:13], v21
	v_cvt_pk_f32_fp8_sdwa v[18:19], v21 src0_sel:WORD_1
	v_mfma_f32_16x16x16_f16 v[2:5], v[10:11], v[8:9], v[2:5]
	v_cvt_f16_f32_e32 v10, v16
	v_cvt_pkrtz_f16_f32 v8, v12, v13
	v_cvt_pkrtz_f16_f32 v9, v18, v19
	v_mfma_f32_16x16x16_f16 v[2:5], v[6:7], v[50:51], v[2:5]
	v_cvt_f16_f32_e32 v6, v17
	v_cvt_f16_f32_e32 v7, v14
	;; [unrolled: 1-line block ×3, first 2 shown]
	v_mfma_f32_16x16x16_f16 v[2:5], v[8:9], v[52:53], v[2:5]
	s_nop 6
	v_pk_mul_f32 v[4:5], v[4:5], s[10:11] op_sel_hi:[1,0]
	v_pk_mul_f32 v[2:3], v[2:3], s[10:11] op_sel_hi:[1,0]
	v_cvt_f16_f32_e32 v12, v4
	v_cvt_f16_f32_e32 v8, v2
	;; [unrolled: 1-line block ×4, first 2 shown]
	v_pack_b32_f16 v2, v10, v6
	v_pack_b32_f16 v3, v7, v11
	;; [unrolled: 1-line block ×4, first 2 shown]
	ds_write2st64_b64 v54, v[2:3], v[4:5] offset1:1
	s_waitcnt lgkmcnt(0)
	s_barrier
	s_and_saveexec_b64 s[10:11], s[6:7]
	s_cbranch_execz .LBB944_19
; %bb.18:
	s_load_dwordx2 s[0:1], s[0:1], 0x68
	s_mul_i32 s2, s9, s2
	s_lshl_b32 s5, s8, 7
	s_mul_hi_u32 s7, s2, s5
	s_mul_i32 s6, s2, s5
	v_lshlrev_b32_e32 v4, 6, v57
	s_lshl_b64 s[6:7], s[6:7], 1
	v_lshl_or_b32 v0, v0, 10, v4
	s_waitcnt lgkmcnt(0)
	s_add_u32 s6, s0, s6
	v_lshlrev_b32_e32 v2, 5, v56
	v_and_b32_e32 v3, 16, v58
	v_and_b32_e32 v0, 0x1a00, v0
	s_addc_u32 s7, s1, s7
	s_lshl_b32 s2, s33, 7
	v_or3_b32 v0, v0, v2, v3
	s_lshl_b64 s[0:1], s[2:3], 1
	ds_read_b128 v[2:5], v0
	s_add_u32 s2, s6, s0
	s_addc_u32 s3, s7, s1
	s_mul_hi_u32 s1, s5, s4
	s_mul_i32 s0, s5, s4
	s_lshl_b64 s[0:1], s[0:1], 1
	s_add_u32 s0, s2, s0
	s_addc_u32 s1, s3, s1
	s_waitcnt lgkmcnt(0)
	global_store_dwordx4 v1, v[2:5], s[0:1]
.LBB944_19:
	s_endpgm
	.section	.rodata,"a",@progbits
	.p2align	6, 0x0
	.amdhsa_kernel _Z39paged_attention_ll4mi_QKV_mfma16_kernelIDF16_hLN4vllm18Fp8KVCacheDataTypeE1EhLi16ELi128ELi256ELb1ELi1EEvPKT_PKT0_S7_ifPKiS9_S9_iPKfiiiPfSC_PS2_PT2_iSB_SB_
		.amdhsa_group_segment_fixed_size 8192
		.amdhsa_private_segment_fixed_size 0
		.amdhsa_kernarg_size 400
		.amdhsa_user_sgpr_count 2
		.amdhsa_user_sgpr_dispatch_ptr 0
		.amdhsa_user_sgpr_queue_ptr 0
		.amdhsa_user_sgpr_kernarg_segment_ptr 1
		.amdhsa_user_sgpr_dispatch_id 0
		.amdhsa_user_sgpr_kernarg_preload_length 0
		.amdhsa_user_sgpr_kernarg_preload_offset 0
		.amdhsa_user_sgpr_private_segment_size 0
		.amdhsa_uses_dynamic_stack 0
		.amdhsa_enable_private_segment 0
		.amdhsa_system_sgpr_workgroup_id_x 1
		.amdhsa_system_sgpr_workgroup_id_y 1
		.amdhsa_system_sgpr_workgroup_id_z 1
		.amdhsa_system_sgpr_workgroup_info 0
		.amdhsa_system_vgpr_workitem_id 0
		.amdhsa_next_free_vgpr 80
		.amdhsa_next_free_sgpr 48
		.amdhsa_accum_offset 80
		.amdhsa_reserve_vcc 1
		.amdhsa_float_round_mode_32 0
		.amdhsa_float_round_mode_16_64 0
		.amdhsa_float_denorm_mode_32 3
		.amdhsa_float_denorm_mode_16_64 3
		.amdhsa_dx10_clamp 1
		.amdhsa_ieee_mode 1
		.amdhsa_fp16_overflow 0
		.amdhsa_tg_split 0
		.amdhsa_exception_fp_ieee_invalid_op 0
		.amdhsa_exception_fp_denorm_src 0
		.amdhsa_exception_fp_ieee_div_zero 0
		.amdhsa_exception_fp_ieee_overflow 0
		.amdhsa_exception_fp_ieee_underflow 0
		.amdhsa_exception_fp_ieee_inexact 0
		.amdhsa_exception_int_div_zero 0
	.end_amdhsa_kernel
	.section	.text._Z39paged_attention_ll4mi_QKV_mfma16_kernelIDF16_hLN4vllm18Fp8KVCacheDataTypeE1EhLi16ELi128ELi256ELb1ELi1EEvPKT_PKT0_S7_ifPKiS9_S9_iPKfiiiPfSC_PS2_PT2_iSB_SB_,"axG",@progbits,_Z39paged_attention_ll4mi_QKV_mfma16_kernelIDF16_hLN4vllm18Fp8KVCacheDataTypeE1EhLi16ELi128ELi256ELb1ELi1EEvPKT_PKT0_S7_ifPKiS9_S9_iPKfiiiPfSC_PS2_PT2_iSB_SB_,comdat
.Lfunc_end944:
	.size	_Z39paged_attention_ll4mi_QKV_mfma16_kernelIDF16_hLN4vllm18Fp8KVCacheDataTypeE1EhLi16ELi128ELi256ELb1ELi1EEvPKT_PKT0_S7_ifPKiS9_S9_iPKfiiiPfSC_PS2_PT2_iSB_SB_, .Lfunc_end944-_Z39paged_attention_ll4mi_QKV_mfma16_kernelIDF16_hLN4vllm18Fp8KVCacheDataTypeE1EhLi16ELi128ELi256ELb1ELi1EEvPKT_PKT0_S7_ifPKiS9_S9_iPKfiiiPfSC_PS2_PT2_iSB_SB_
                                        ; -- End function
	.section	.AMDGPU.csdata,"",@progbits
; Kernel info:
; codeLenInByte = 6140
; NumSgprs: 54
; NumVgprs: 80
; NumAgprs: 0
; TotalNumVgprs: 80
; ScratchSize: 0
; MemoryBound: 0
; FloatMode: 240
; IeeeMode: 1
; LDSByteSize: 8192 bytes/workgroup (compile time only)
; SGPRBlocks: 6
; VGPRBlocks: 9
; NumSGPRsForWavesPerEU: 54
; NumVGPRsForWavesPerEU: 80
; AccumOffset: 80
; Occupancy: 6
; WaveLimiterHint : 1
; COMPUTE_PGM_RSRC2:SCRATCH_EN: 0
; COMPUTE_PGM_RSRC2:USER_SGPR: 2
; COMPUTE_PGM_RSRC2:TRAP_HANDLER: 0
; COMPUTE_PGM_RSRC2:TGID_X_EN: 1
; COMPUTE_PGM_RSRC2:TGID_Y_EN: 1
; COMPUTE_PGM_RSRC2:TGID_Z_EN: 1
; COMPUTE_PGM_RSRC2:TIDIG_COMP_CNT: 0
; COMPUTE_PGM_RSRC3_GFX90A:ACCUM_OFFSET: 19
; COMPUTE_PGM_RSRC3_GFX90A:TG_SPLIT: 0
	.section	.text._Z39paged_attention_ll4mi_QKV_mfma16_kernelIDF16_hLN4vllm18Fp8KVCacheDataTypeE1EhLi16ELi128ELi256ELb1ELi2EEvPKT_PKT0_S7_ifPKiS9_S9_iPKfiiiPfSC_PS2_PT2_iSB_SB_,"axG",@progbits,_Z39paged_attention_ll4mi_QKV_mfma16_kernelIDF16_hLN4vllm18Fp8KVCacheDataTypeE1EhLi16ELi128ELi256ELb1ELi2EEvPKT_PKT0_S7_ifPKiS9_S9_iPKfiiiPfSC_PS2_PT2_iSB_SB_,comdat
	.protected	_Z39paged_attention_ll4mi_QKV_mfma16_kernelIDF16_hLN4vllm18Fp8KVCacheDataTypeE1EhLi16ELi128ELi256ELb1ELi2EEvPKT_PKT0_S7_ifPKiS9_S9_iPKfiiiPfSC_PS2_PT2_iSB_SB_ ; -- Begin function _Z39paged_attention_ll4mi_QKV_mfma16_kernelIDF16_hLN4vllm18Fp8KVCacheDataTypeE1EhLi16ELi128ELi256ELb1ELi2EEvPKT_PKT0_S7_ifPKiS9_S9_iPKfiiiPfSC_PS2_PT2_iSB_SB_
	.globl	_Z39paged_attention_ll4mi_QKV_mfma16_kernelIDF16_hLN4vllm18Fp8KVCacheDataTypeE1EhLi16ELi128ELi256ELb1ELi2EEvPKT_PKT0_S7_ifPKiS9_S9_iPKfiiiPfSC_PS2_PT2_iSB_SB_
	.p2align	8
	.type	_Z39paged_attention_ll4mi_QKV_mfma16_kernelIDF16_hLN4vllm18Fp8KVCacheDataTypeE1EhLi16ELi128ELi256ELb1ELi2EEvPKT_PKT0_S7_ifPKiS9_S9_iPKfiiiPfSC_PS2_PT2_iSB_SB_,@function
_Z39paged_attention_ll4mi_QKV_mfma16_kernelIDF16_hLN4vllm18Fp8KVCacheDataTypeE1EhLi16ELi128ELi256ELb1ELi2EEvPKT_PKT0_S7_ifPKiS9_S9_iPKfiiiPfSC_PS2_PT2_iSB_SB_: ; @_Z39paged_attention_ll4mi_QKV_mfma16_kernelIDF16_hLN4vllm18Fp8KVCacheDataTypeE1EhLi16ELi128ELi256ELb1ELi2EEvPKT_PKT0_S7_ifPKiS9_S9_iPKfiiiPfSC_PS2_PT2_iSB_SB_
; %bb.0:
	s_load_dwordx2 s[8:9], s[0:1], 0x30
	s_mov_b32 s10, s3
	s_mov_b64 s[6:7], 0
	s_waitcnt lgkmcnt(0)
	s_cmp_lg_u64 s[8:9], 0
	s_cselect_b64 s[12:13], -1, 0
	s_and_b64 vcc, exec, s[12:13]
	s_cbranch_vccz .LBB945_7
; %bb.1:
	s_add_i32 s14, s2, 1
	s_mov_b32 s15, 0
	s_lshl_b64 s[16:17], s[14:15], 2
	s_add_u32 s16, s8, s16
	s_mov_b32 s3, s15
	s_addc_u32 s17, s9, s17
	s_lshl_b64 s[14:15], s[2:3], 2
	s_add_u32 s14, s8, s14
	s_addc_u32 s15, s9, s15
	s_load_dword s5, s[16:17], 0x0
	s_load_dword s11, s[14:15], 0x0
	s_waitcnt lgkmcnt(0)
	s_sub_i32 s5, s5, s11
	s_cmp_eq_u32 s5, 1
	s_cselect_b64 s[14:15], -1, 0
	s_andn2_b64 vcc, exec, s[6:7]
	s_cbranch_vccnz .LBB945_3
.LBB945_2:
	s_mov_b32 s3, 0
	s_mov_b64 s[14:15], -1
.LBB945_3:
	s_andn2_b64 vcc, exec, s[14:15]
	s_cbranch_vccnz .LBB945_19
; %bb.4:
	s_load_dwordx2 s[6:7], s[0:1], 0x28
	s_lshl_b64 s[14:15], s[2:3], 2
	s_waitcnt lgkmcnt(0)
	s_add_u32 s6, s6, s14
	s_addc_u32 s7, s7, s15
	s_load_dword s33, s[6:7], 0x0
	s_lshl_b32 s18, s10, 8
	s_waitcnt lgkmcnt(0)
	s_cmp_ge_i32 s18, s33
	s_cbranch_scc1 .LBB945_19
; %bb.5:
	s_load_dwordx2 s[6:7], s[0:1], 0x20
	s_load_dword s5, s[0:1], 0x38
	s_add_i32 s11, s33, 15
	s_ashr_i32 s16, s11, 31
	v_and_b32_e32 v1, 0xcf, v0
	s_lshr_b32 s16, s16, 28
	v_add_u32_e32 v1, s18, v1
	s_add_i32 s11, s11, s16
	v_ashrrev_i32_e32 v2, 31, v1
	s_ashr_i32 s19, s11, 4
	v_lshrrev_b32_e32 v4, 28, v2
	s_add_i32 s19, s19, -1
	s_waitcnt lgkmcnt(0)
	s_mul_i32 s16, s2, s5
	s_mov_b32 s17, 0
	v_add_u32_e32 v2, v1, v4
	s_lshl_b64 s[16:17], s[16:17], 2
	v_ashrrev_i32_e32 v2, 4, v2
	v_mov_b32_e32 v5, s19
	v_cmp_gt_i32_e32 vcc, s33, v1
	s_add_u32 s6, s6, s16
	s_addc_u32 s7, s7, s17
	v_cndmask_b32_e32 v2, v5, v2, vcc
	v_ashrrev_i32_e32 v3, 31, v2
	v_lshl_add_u64 v[6:7], v[2:3], 2, s[6:7]
	v_or_b32_e32 v2, 16, v1
	v_add_u32_e32 v3, v2, v4
	v_ashrrev_i32_e32 v3, 4, v3
	v_cmp_gt_i32_e32 vcc, s33, v2
	s_load_dwordx2 s[16:17], s[0:1], 0x8
	s_nop 0
	v_cndmask_b32_e32 v2, v5, v3, vcc
	v_ashrrev_i32_e32 v3, 31, v2
	v_lshl_add_u64 v[8:9], v[2:3], 2, s[6:7]
	v_or_b32_e32 v2, 32, v1
	v_add_u32_e32 v3, v2, v4
	v_ashrrev_i32_e32 v3, 4, v3
	v_cmp_gt_i32_e32 vcc, s33, v2
	v_or_b32_e32 v1, 48, v1
	s_nop 0
	v_cndmask_b32_e32 v2, v5, v3, vcc
	v_ashrrev_i32_e32 v3, 31, v2
	v_lshl_add_u64 v[10:11], v[2:3], 2, s[6:7]
	v_add_u32_e32 v2, v1, v4
	v_ashrrev_i32_e32 v2, 4, v2
	v_cmp_gt_i32_e32 vcc, s33, v1
	s_nop 1
	v_cndmask_b32_e32 v2, v5, v2, vcc
	v_ashrrev_i32_e32 v3, 31, v2
	v_lshl_add_u64 v[12:13], v[2:3], 2, s[6:7]
	global_load_dword v4, v[6:7], off
	global_load_dword v3, v[8:9], off
	;; [unrolled: 1-line block ×4, first 2 shown]
	s_andn2_b64 vcc, exec, s[12:13]
	s_cbranch_vccnz .LBB945_8
; %bb.6:
	s_add_u32 s8, s8, s14
	s_addc_u32 s9, s9, s15
	s_load_dword s5, s[8:9], 0x0
	s_branch .LBB945_9
.LBB945_7:
	s_mov_b64 s[14:15], 0
	s_branch .LBB945_2
.LBB945_8:
	s_mov_b32 s5, s2
.LBB945_9:
	s_load_dwordx2 s[8:9], s[0:1], 0x10
	s_load_dwordx4 s[44:47], s[0:1], 0x48
	v_lshrrev_b32_e32 v62, 6, v0
	v_bfe_u32 v1, v0, 4, 2
	v_and_b32_e32 v60, 15, v0
	v_lshl_or_b32 v5, v62, 2, v1
	v_lshlrev_b32_e32 v6, 3, v60
	s_lshl_b32 s11, s4, 1
	v_cmp_gt_u32_e32 vcc, 2, v5
	v_lshlrev_b32_e32 v54, 1, v6
	v_lshlrev_b32_e32 v61, 4, v0
	s_and_saveexec_b64 s[12:13], vcc
	s_cbranch_execz .LBB945_11
; %bb.10:
	s_load_dwordx2 s[14:15], s[0:1], 0x0
	s_waitcnt lgkmcnt(0)
	s_ashr_i32 s20, s44, 31
	s_mul_hi_u32 s21, s5, s44
	s_mul_i32 s20, s5, s20
	s_add_i32 s21, s21, s20
	s_mul_i32 s20, s5, s44
	s_lshl_b64 s[20:21], s[20:21], 1
	s_add_u32 s14, s14, s20
	v_add_lshl_u32 v6, v1, s11, 7
	s_addc_u32 s15, s15, s21
	v_ashrrev_i32_e32 v7, 31, v6
	v_lshl_add_u64 v[6:7], v[6:7], 1, s[14:15]
	v_mov_b32_e32 v55, 0
	v_lshl_add_u64 v[6:7], v[6:7], 0, v[54:55]
	global_load_dwordx4 v[6:9], v[6:7], off
	v_lshlrev_b32_e32 v11, 8, v0
	v_lshlrev_b32_e32 v10, 8, v60
	v_and_b32_e32 v11, 0x600, v11
	s_movk_i32 s5, 0x800
	v_and_or_b32 v10, v10, s5, v11
	v_lshlrev_b32_e32 v5, 5, v5
	v_and_b32_e32 v11, 16, v61
	v_or3_b32 v5, v10, v5, v11
	s_waitcnt vmcnt(0)
	ds_write_b128 v5, v[6:9]
.LBB945_11:
	s_or_b64 exec, exec, s[12:13]
	s_waitcnt lgkmcnt(0)
	s_mul_i32 s12, s4, s46
	s_add_u32 s4, s16, s12
	s_addc_u32 s5, s17, 0
	v_and_b32_e32 v56, 0xf0, v61
	v_mov_b32_e32 v57, 0
	v_and_b32_e32 v46, 48, v0
	v_lshl_add_u64 v[20:21], s[4:5], 0, v[56:57]
	v_lshlrev_b32_e32 v56, 4, v46
	s_waitcnt vmcnt(3)
	v_mad_i64_i32 v[4:5], s[4:5], v4, s45, v[20:21]
	v_lshl_add_u64 v[4:5], v[4:5], 0, v[56:57]
	s_barrier
	global_load_dwordx4 v[42:45], v[4:5], off
	global_load_dwordx4 v[14:17], v[4:5], off offset:1024
	s_waitcnt vmcnt(4)
	v_mad_i64_i32 v[4:5], s[4:5], v3, s45, v[20:21]
	s_waitcnt vmcnt(3)
	v_mad_i64_i32 v[2:3], s[4:5], v2, s45, v[20:21]
	;; [unrolled: 2-line block ×3, first 2 shown]
	v_lshl_add_u64 v[4:5], v[4:5], 0, v[56:57]
	v_lshl_add_u64 v[22:23], v[2:3], 0, v[56:57]
	;; [unrolled: 1-line block ×3, first 2 shown]
	global_load_dwordx4 v[10:13], v[4:5], off
	global_load_dwordx4 v[6:9], v[4:5], off offset:1024
	s_nop 0
	global_load_dwordx4 v[2:5], v[22:23], off
	global_load_dwordx4 v[50:53], v[22:23], off offset:1024
	global_load_dwordx4 v[34:37], v[18:19], off
	s_nop 0
	global_load_dwordx4 v[22:25], v[18:19], off offset:1024
	v_and_b32_e32 v18, 1, v0
	v_lshlrev_b32_e32 v18, 5, v18
	v_lshl_or_b32 v18, v1, 9, v18
	ds_read_b128 v[38:41], v18
	ds_read_b128 v[30:33], v18 offset:16
	ds_read_b128 v[26:29], v18 offset:2048
	ds_read_b128 v[18:21], v18 offset:2064
	v_and_b32_e32 v55, 63, v0
	v_cmp_gt_u32_e32 vcc, 2, v60
	v_mov_b32_e32 v63, 0
	s_and_saveexec_b64 s[4:5], vcc
	s_cbranch_execz .LBB945_13
; %bb.12:
	s_load_dwordx2 s[14:15], s[0:1], 0x40
	v_or_b32_e32 v48, s11, v60
	v_ashrrev_i32_e32 v49, 31, v48
	s_waitcnt lgkmcnt(0)
	v_lshl_add_u64 v[48:49], v[48:49], 2, s[14:15]
	global_load_dword v63, v[48:49], off
.LBB945_13:
	s_or_b64 exec, exec, s[4:5]
	s_waitcnt vmcnt(7)
	v_cvt_pk_f32_fp8_e32 v[58:59], v42
	v_cvt_pk_f32_fp8_sdwa v[66:67], v42 src0_sel:WORD_1
	v_cvt_pk_f32_fp8_e32 v[68:69], v43
	v_cvt_pk_f32_fp8_sdwa v[42:43], v43 src0_sel:WORD_1
	v_cvt_pkrtz_f16_f32 v58, v58, v59
	v_cvt_pkrtz_f16_f32 v59, v66, v67
	;; [unrolled: 1-line block ×3, first 2 shown]
	v_cvt_pk_f32_fp8_e32 v[72:73], v44
	v_cvt_pk_f32_fp8_sdwa v[74:75], v44 src0_sel:WORD_1
	v_cvt_pkrtz_f16_f32 v71, v42, v43
	s_waitcnt lgkmcnt(3)
	v_mfma_f32_16x16x16_f16 v[66:69], v[58:59], v[38:39], 0
	v_or_b32_e32 v56, s18, v46
	v_ashrrev_i32_e32 v46, 4, v56
	v_mov_b32_e32 v65, s19
	v_cmp_gt_i32_e32 vcc, s33, v56
	v_cvt_pkrtz_f16_f32 v58, v72, v73
	v_cvt_pkrtz_f16_f32 v59, v74, v75
	v_cvt_pk_f32_fp8_e32 v[72:73], v45
	v_cvt_pk_f32_fp8_sdwa v[74:75], v45 src0_sel:WORD_1
	v_cndmask_b32_e32 v46, v65, v46, vcc
	v_mfma_f32_16x16x16_f16 v[42:45], v[70:71], v[40:41], v[66:69]
	v_ashrrev_i32_e32 v47, 31, v46
	v_lshl_add_u64 v[46:47], v[46:47], 2, s[6:7]
	global_load_dword v64, v[46:47], off
	v_or_b32_e32 v46, 64, v56
	v_cvt_pkrtz_f16_f32 v66, v72, v73
	v_cvt_pkrtz_f16_f32 v67, v74, v75
	v_ashrrev_i32_e32 v47, 4, v46
	v_cmp_gt_i32_e32 vcc, s33, v46
	s_waitcnt lgkmcnt(2)
	v_mfma_f32_16x16x16_f16 v[42:45], v[58:59], v[30:31], v[42:45]
	s_waitcnt vmcnt(7)
	v_cvt_pk_f32_fp8_sdwa v[70:71], v14 src0_sel:WORD_1
	v_cndmask_b32_e32 v46, v65, v47, vcc
	v_ashrrev_i32_e32 v47, 31, v46
	v_lshl_add_u64 v[48:49], v[46:47], 2, s[6:7]
	v_or_b32_e32 v46, 0x80, v56
	v_mfma_f32_16x16x16_f16 v[42:45], v[66:67], v[32:33], v[42:45]
	global_load_dword v66, v[48:49], off
	v_ashrrev_i32_e32 v47, 4, v46
	v_cmp_gt_i32_e32 vcc, s33, v46
	v_or_b32_e32 v56, 0xc0, v56
	v_ashrrev_i32_e32 v68, 4, v56
	v_cndmask_b32_e32 v46, v65, v47, vcc
	v_cmp_gt_i32_e32 vcc, s33, v56
	v_ashrrev_i32_e32 v47, 31, v46
	v_lshl_add_u64 v[46:47], v[46:47], 2, s[6:7]
	v_cndmask_b32_e32 v58, v65, v68, vcc
	v_cvt_pk_f32_fp8_e32 v[68:69], v14
	v_ashrrev_i32_e32 v59, 31, v58
	v_lshl_add_u64 v[58:59], v[58:59], 2, s[6:7]
	v_cvt_pk_f32_fp8_sdwa v[72:73], v16 src0_sel:WORD_1
	v_cvt_pkrtz_f16_f32 v68, v68, v69
	v_cvt_pkrtz_f16_f32 v69, v70, v71
	v_cvt_pk_f32_fp8_e32 v[70:71], v16
	v_cvt_pk_f32_fp8_sdwa v[74:75], v17 src0_sel:WORD_1
	s_waitcnt lgkmcnt(1)
	v_mfma_f32_16x16x16_f16 v[42:45], v[68:69], v[26:27], v[42:45]
	global_load_dword v68, v[58:59], off
	global_load_dword v67, v[46:47], off
	v_cvt_pk_f32_fp8_e32 v[48:49], v15
	v_cvt_pk_f32_fp8_sdwa v[14:15], v15 src0_sel:WORD_1
	v_cvt_pkrtz_f16_f32 v70, v70, v71
	v_cvt_pkrtz_f16_f32 v71, v72, v73
	;; [unrolled: 1-line block ×4, first 2 shown]
	v_cvt_pk_f32_fp8_e32 v[72:73], v17
	s_waitcnt vmcnt(9)
	v_cvt_pk_f32_fp8_e32 v[46:47], v10
	v_mfma_f32_16x16x16_f16 v[14:17], v[48:49], v[28:29], v[42:45]
	v_cvt_pk_f32_fp8_sdwa v[48:49], v10 src0_sel:WORD_1
	s_nop 1
	v_cvt_pkrtz_f16_f32 v42, v72, v73
	v_cvt_pkrtz_f16_f32 v43, v74, v75
	s_waitcnt lgkmcnt(0)
	v_mfma_f32_16x16x16_f16 v[14:17], v[70:71], v[18:19], v[14:17]
	v_cvt_pk_f32_fp8_sdwa v[58:59], v12 src0_sel:WORD_1
	v_cvt_pk_f32_fp8_sdwa v[70:71], v13 src0_sel:WORD_1
	s_add_u32 s4, s8, s12
	v_mfma_f32_16x16x16_f16 v[42:45], v[42:43], v[20:21], v[14:17]
	v_lshl_or_b32 v65, v62, 4, v60
	s_waitcnt vmcnt(7)
	v_cvt_pk_f32_fp8_e32 v[72:73], v5
	s_addc_u32 s5, s9, 0
	v_cvt_pk_f32_fp8_e32 v[14:15], v11
	v_cvt_pkrtz_f16_f32 v16, v46, v47
	v_cvt_pkrtz_f16_f32 v17, v48, v49
	v_cvt_pk_f32_fp8_sdwa v[10:11], v11 src0_sel:WORD_1
	v_cvt_pkrtz_f16_f32 v46, v14, v15
	v_cvt_pk_f32_fp8_e32 v[48:49], v12
	v_mfma_f32_16x16x16_f16 v[14:17], v[16:17], v[38:39], 0
	v_cvt_pkrtz_f16_f32 v47, v10, v11
	v_cvt_pkrtz_f16_f32 v48, v48, v49
	;; [unrolled: 1-line block ×3, first 2 shown]
	v_cvt_pk_f32_fp8_e32 v[58:59], v13
	v_mfma_f32_16x16x16_f16 v[10:13], v[46:47], v[40:41], v[14:17]
	v_cvt_pk_f32_fp8_sdwa v[46:47], v6 src0_sel:WORD_1
	v_lshlrev_b32_e32 v56, 4, v65
	s_nop 0
	v_cvt_pkrtz_f16_f32 v14, v58, v59
	v_cvt_pkrtz_f16_f32 v15, v70, v71
	v_mfma_f32_16x16x16_f16 v[10:13], v[48:49], v[30:31], v[10:13]
	v_cvt_pk_f32_fp8_e32 v[16:17], v6
	v_cvt_pk_f32_fp8_sdwa v[48:49], v8 src0_sel:WORD_1
	v_lshl_add_u64 v[58:59], s[4:5], 0, v[56:57]
	v_mfma_f32_16x16x16_f16 v[10:13], v[14:15], v[32:33], v[10:13]
	v_cvt_pk_f32_fp8_e32 v[14:15], v7
	v_cvt_pkrtz_f16_f32 v16, v16, v17
	v_cvt_pkrtz_f16_f32 v17, v46, v47
	v_cvt_pk_f32_fp8_sdwa v[6:7], v7 src0_sel:WORD_1
	v_cvt_pkrtz_f16_f32 v14, v14, v15
	v_cvt_pk_f32_fp8_e32 v[46:47], v8
	v_mfma_f32_16x16x16_f16 v[10:13], v[16:17], v[26:27], v[10:13]
	v_cvt_pkrtz_f16_f32 v15, v6, v7
	v_cvt_pkrtz_f16_f32 v16, v46, v47
	;; [unrolled: 1-line block ×3, first 2 shown]
	v_cvt_pk_f32_fp8_e32 v[46:47], v9
	v_cvt_pk_f32_fp8_sdwa v[48:49], v9 src0_sel:WORD_1
	v_mfma_f32_16x16x16_f16 v[6:9], v[14:15], v[28:29], v[10:13]
	v_cvt_pk_f32_fp8_sdwa v[14:15], v2 src0_sel:WORD_1
	s_waitcnt vmcnt(2)
	v_mad_i64_i32 v[70:71], s[6:7], v66, s45, v[58:59]
	v_cvt_pkrtz_f16_f32 v10, v46, v47
	v_cvt_pkrtz_f16_f32 v11, v48, v49
	v_mfma_f32_16x16x16_f16 v[6:9], v[16:17], v[18:19], v[6:9]
	v_cvt_pk_f32_fp8_e32 v[12:13], v2
	v_cvt_pk_f32_fp8_sdwa v[78:79], v52 src0_sel:WORD_1
	v_or_b32_e32 v56, 0x400, v56
	v_mfma_f32_16x16x16_f16 v[46:49], v[10:11], v[20:21], v[6:9]
	v_mad_i64_i32 v[10:11], s[6:7], v64, s45, v[58:59]
	s_waitcnt vmcnt(0)
	v_mad_i64_i32 v[74:75], s[6:7], v67, s45, v[58:59]
	v_cvt_pkrtz_f16_f32 v6, v12, v13
	v_cvt_pkrtz_f16_f32 v7, v14, v15
	v_cvt_pk_f32_fp8_e32 v[8:9], v3
	v_cvt_pk_f32_fp8_sdwa v[2:3], v3 src0_sel:WORD_1
	v_cvt_pk_f32_fp8_sdwa v[14:15], v4 src0_sel:WORD_1
	v_mad_i64_i32 v[58:59], s[6:7], v68, s45, v[58:59]
	v_cvt_pkrtz_f16_f32 v12, v8, v9
	v_cvt_pkrtz_f16_f32 v13, v2, v3
	v_cvt_pk_f32_fp8_e32 v[2:3], v4
	v_mfma_f32_16x16x16_f16 v[6:9], v[6:7], v[38:39], 0
	v_cvt_pk_f32_fp8_sdwa v[4:5], v5 src0_sel:WORD_1
	v_cvt_pkrtz_f16_f32 v2, v2, v3
	v_cvt_pkrtz_f16_f32 v3, v14, v15
	v_mfma_f32_16x16x16_f16 v[6:9], v[12:13], v[40:41], v[6:9]
	global_load_dwordx4 v[14:17], v[10:11], off
	s_nop 0
	global_load_dwordx4 v[10:13], v[70:71], off
	v_cvt_pkrtz_f16_f32 v70, v72, v73
	v_cvt_pkrtz_f16_f32 v71, v4, v5
	v_mfma_f32_16x16x16_f16 v[2:5], v[2:3], v[30:31], v[6:9]
	s_nop 2
	v_cvt_pk_f32_fp8_e32 v[6:7], v50
	v_cvt_pk_f32_fp8_sdwa v[8:9], v50 src0_sel:WORD_1
	v_mfma_f32_16x16x16_f16 v[2:5], v[70:71], v[32:33], v[2:5]
	v_cvt_pkrtz_f16_f32 v6, v6, v7
	v_cvt_pkrtz_f16_f32 v7, v8, v9
	v_cvt_pk_f32_fp8_e32 v[8:9], v51
	v_cvt_pk_f32_fp8_sdwa v[50:51], v51 src0_sel:WORD_1
	v_mfma_f32_16x16x16_f16 v[70:73], v[6:7], v[26:27], v[2:5]
	v_cvt_pkrtz_f16_f32 v76, v8, v9
	v_cvt_pkrtz_f16_f32 v77, v50, v51
	v_cvt_pk_f32_fp8_e32 v[50:51], v52
	global_load_dwordx4 v[6:9], v[74:75], off
	global_load_dwordx4 v[2:5], v[58:59], off
	v_cvt_pkrtz_f16_f32 v75, v78, v79
	v_cvt_pk_f32_fp8_e32 v[58:59], v53
	v_cvt_pkrtz_f16_f32 v74, v50, v51
	v_cvt_pk_f32_fp8_sdwa v[78:79], v53 src0_sel:WORD_1
	v_mfma_f32_16x16x16_f16 v[50:53], v[76:77], v[28:29], v[70:73]
	v_cvt_pkrtz_f16_f32 v58, v58, v59
	v_cvt_pk_f32_fp8_sdwa v[76:77], v36 src0_sel:WORD_1
	v_cvt_pkrtz_f16_f32 v59, v78, v79
	v_mfma_f32_16x16x16_f16 v[50:53], v[74:75], v[18:19], v[50:53]
	v_cvt_pk_f32_fp8_e32 v[70:71], v34
	v_cvt_pk_f32_fp8_sdwa v[72:73], v34 src0_sel:WORD_1
	v_cvt_pk_f32_fp8_e32 v[74:75], v36
	v_mfma_f32_16x16x16_f16 v[50:53], v[58:59], v[20:21], v[50:53]
	v_cvt_pk_f32_fp8_e32 v[58:59], v35
	v_cvt_pkrtz_f16_f32 v70, v70, v71
	v_cvt_pkrtz_f16_f32 v71, v72, v73
	v_cvt_pk_f32_fp8_sdwa v[34:35], v35 src0_sel:WORD_1
	v_cvt_pkrtz_f16_f32 v58, v58, v59
	v_mfma_f32_16x16x16_f16 v[70:73], v[70:71], v[38:39], 0
	v_cvt_pkrtz_f16_f32 v59, v34, v35
	v_cvt_pkrtz_f16_f32 v38, v74, v75
	;; [unrolled: 1-line block ×3, first 2 shown]
	v_cvt_pk_f32_fp8_e32 v[74:75], v37
	v_cvt_pk_f32_fp8_sdwa v[76:77], v37 src0_sel:WORD_1
	v_mfma_f32_16x16x16_f16 v[34:37], v[58:59], v[40:41], v[70:73]
	s_load_dword s6, s[0:1], 0x1c
	s_load_dwordx4 s[40:43], s[0:1], 0x80
	v_cvt_pkrtz_f16_f32 v58, v74, v75
	v_cvt_pkrtz_f16_f32 v59, v76, v77
	v_mfma_f32_16x16x16_f16 v[34:37], v[38:39], v[30:31], v[34:37]
	s_load_dword s44, s[0:1], 0x98
	s_waitcnt lgkmcnt(0)
	s_load_dword s7, s[40:41], 0x0
	v_cvt_pk_f32_fp8_sdwa v[38:39], v22 src0_sel:WORD_1
	v_mfma_f32_16x16x16_f16 v[32:35], v[58:59], v[32:33], v[34:37]
	v_mov_b32_e32 v40, s6
	s_mov_b32 s40, 0xff7fffff
	s_waitcnt lgkmcnt(0)
	v_mul_f32_e32 v70, s7, v40
	v_cvt_pk_f32_fp8_e32 v[36:37], v22
	v_pk_mul_f32 v[30:31], v[70:71], v[42:43] op_sel_hi:[0,1]
	v_cvt_pk_f32_fp8_e32 v[42:43], v23
	v_cvt_pk_f32_fp8_sdwa v[22:23], v23 src0_sel:WORD_1
	v_cvt_pkrtz_f16_f32 v36, v36, v37
	v_cvt_pkrtz_f16_f32 v37, v38, v39
	v_pk_mul_f32 v[40:41], v[70:71], v[44:45] op_sel_hi:[0,1]
	v_cvt_pkrtz_f16_f32 v38, v42, v43
	v_cvt_pkrtz_f16_f32 v39, v22, v23
	v_cvt_pk_f32_fp8_e32 v[42:43], v24
	v_cvt_pk_f32_fp8_sdwa v[44:45], v24 src0_sel:WORD_1
	v_mfma_f32_16x16x16_f16 v[32:35], v[36:37], v[26:27], v[32:35]
	v_lshl_add_u64 v[22:23], s[4:5], 0, v[56:57]
	v_cvt_pkrtz_f16_f32 v36, v42, v43
	v_cvt_pkrtz_f16_f32 v37, v44, v45
	v_cvt_pk_f32_fp8_e32 v[42:43], v25
	v_cvt_pk_f32_fp8_sdwa v[56:57], v25 src0_sel:WORD_1
	v_mfma_f32_16x16x16_f16 v[24:27], v[38:39], v[28:29], v[32:35]
	v_pk_mul_f32 v[44:45], v[70:71], v[48:49] op_sel_hi:[0,1]
	v_cvt_pkrtz_f16_f32 v28, v42, v43
	v_cvt_pkrtz_f16_f32 v29, v56, v57
	v_mfma_f32_16x16x16_f16 v[24:27], v[36:37], v[18:19], v[24:27]
	v_pk_mul_f32 v[42:43], v[70:71], v[50:51] op_sel_hi:[0,1]
	v_pk_mul_f32 v[46:47], v[70:71], v[46:47] op_sel_hi:[0,1]
	;; [unrolled: 1-line block ×3, first 2 shown]
	v_mfma_f32_16x16x16_f16 v[18:21], v[28:29], v[20:21], v[24:27]
	s_nop 6
	v_pk_mul_f32 v[36:37], v[70:71], v[18:19] op_sel_hi:[0,1]
	v_and_b32_e32 v18, 0xc0, v0
	v_add_u32_e32 v18, s18, v18
	v_lshl_or_b32 v18, v1, 2, v18
	v_or_b32_e32 v19, 1, v18
	v_pk_mul_f32 v[34:35], v[70:71], v[20:21] op_sel_hi:[0,1]
	v_subrev_u32_e32 v20, s33, v19
	v_add_u32_e32 v24, 1, v20
	v_add_u32_e32 v25, 2, v20
	v_cvt_f32_i32_e32 v21, v20
	v_cvt_f32_i32_e32 v24, v24
	;; [unrolled: 1-line block ×3, first 2 shown]
	v_add_u32_e32 v26, 3, v20
	v_fma_f32 v50, v63, v21, v30
	v_fmac_f32_e32 v31, v63, v24
	v_fma_f32 v40, v63, v25, v40
	v_add_u32_e32 v21, 16, v20
	v_add_u32_e32 v24, 17, v20
	;; [unrolled: 1-line block ×3, first 2 shown]
	v_cvt_f32_i32_e32 v26, v26
	v_cvt_f32_i32_e32 v21, v21
	;; [unrolled: 1-line block ×4, first 2 shown]
	v_fmac_f32_e32 v41, v63, v26
	v_add_u32_e32 v26, 19, v20
	v_fma_f32 v52, v63, v21, v46
	v_fmac_f32_e32 v47, v63, v24
	v_fma_f32 v44, v63, v25, v44
	v_add_u32_e32 v21, 32, v20
	v_add_u32_e32 v24, 33, v20
	;; [unrolled: 1-line block ×3, first 2 shown]
	v_cvt_f32_i32_e32 v26, v26
	v_cvt_f32_i32_e32 v21, v21
	;; [unrolled: 1-line block ×4, first 2 shown]
	v_fmac_f32_e32 v45, v63, v26
	v_add_u32_e32 v26, 35, v20
	v_fma_f32 v42, v63, v21, v42
	v_fmac_f32_e32 v43, v63, v24
	v_fma_f32 v38, v63, v25, v38
	v_add_u32_e32 v21, 48, v20
	v_add_u32_e32 v24, 49, v20
	;; [unrolled: 1-line block ×4, first 2 shown]
	v_cvt_f32_i32_e32 v20, v20
	v_cvt_f32_i32_e32 v21, v21
	;; [unrolled: 1-line block ×3, first 2 shown]
	v_cmp_gt_i32_e64 s[12:13], s33, v18
	v_fmac_f32_e32 v35, v63, v20
	v_mov_b32_e32 v20, 0xff7fffff
	v_cmp_gt_i32_e64 s[14:15], s33, v19
	v_fma_f32 v36, v63, v21, v36
	v_cndmask_b32_e64 v21, v20, v50, s[12:13]
	v_cndmask_b32_e64 v19, v20, v31, s[14:15]
	v_fmac_f32_e32 v37, v63, v24
	v_max3_f32 v19, v21, s40, v19
	v_or_b32_e32 v21, 2, v18
	v_or_b32_e32 v24, 3, v18
	v_cmp_gt_i32_e64 s[16:17], s33, v21
	v_cmp_gt_i32_e64 s[18:19], s33, v24
	v_cvt_f32_i32_e32 v26, v26
	v_cndmask_b32_e64 v21, v20, v40, s[16:17]
	v_cndmask_b32_e64 v24, v20, v41, s[18:19]
	v_max3_f32 v19, v19, v21, v24
	v_or_b32_e32 v21, 16, v18
	v_or_b32_e32 v24, 17, v18
	v_cmp_gt_i32_e64 s[20:21], s33, v21
	v_cmp_gt_i32_e64 s[22:23], s33, v24
	v_fmac_f32_e32 v39, v63, v26
	v_cndmask_b32_e64 v21, v20, v52, s[20:21]
	v_cndmask_b32_e64 v24, v20, v47, s[22:23]
	v_max3_f32 v19, v19, v21, v24
	v_or_b32_e32 v21, 18, v18
	v_or_b32_e32 v24, 19, v18
	v_cmp_gt_i32_e64 s[24:25], s33, v21
	v_cmp_gt_i32_e64 s[26:27], s33, v24
	v_cvt_f32_i32_e32 v25, v25
	v_cndmask_b32_e64 v21, v20, v44, s[24:25]
	v_cndmask_b32_e64 v24, v20, v45, s[26:27]
	v_max3_f32 v19, v19, v21, v24
	v_or_b32_e32 v21, 32, v18
	v_or_b32_e32 v24, 33, v18
	v_cmp_gt_i32_e64 s[28:29], s33, v21
	v_cmp_gt_i32_e64 s[30:31], s33, v24
	v_fma_f32 v34, v63, v25, v34
	v_cndmask_b32_e64 v21, v20, v42, s[28:29]
	v_cndmask_b32_e64 v24, v20, v43, s[30:31]
	v_max3_f32 v19, v19, v21, v24
	v_or_b32_e32 v21, 34, v18
	v_or_b32_e32 v24, 35, v18
	v_cmp_gt_i32_e64 s[34:35], s33, v21
	v_cmp_gt_i32_e64 s[36:37], s33, v24
	s_nop 0
	v_cndmask_b32_e64 v21, v20, v38, s[34:35]
	v_cndmask_b32_e64 v24, v20, v39, s[36:37]
	v_max3_f32 v19, v19, v21, v24
	v_or_b32_e32 v21, 48, v18
	v_or_b32_e32 v24, 49, v18
	v_cmp_gt_i32_e64 s[6:7], s33, v21
	v_cmp_gt_i32_e64 s[8:9], s33, v24
	s_nop 0
	v_cndmask_b32_e64 v21, v20, v36, s[6:7]
	v_cndmask_b32_e64 v24, v20, v37, s[8:9]
	v_max3_f32 v19, v19, v21, v24
	v_or_b32_e32 v21, 50, v18
	v_or_b32_e32 v18, 51, v18
	v_cmp_gt_i32_e32 vcc, s33, v21
	v_cmp_gt_i32_e64 s[4:5], s33, v18
	s_nop 0
	v_cndmask_b32_e32 v21, v20, v34, vcc
	v_cndmask_b32_e64 v18, v20, v35, s[4:5]
	v_max3_f32 v24, v19, v21, v18
	v_mbcnt_lo_u32_b32 v18, -1, 0
	v_mbcnt_hi_u32_b32 v25, -1, v18
	v_and_b32_e32 v18, 64, v25
	v_add_u32_e32 v26, 64, v18
	v_xor_b32_e32 v18, 32, v25
	v_cmp_lt_i32_e64 s[38:39], v18, v26
	s_nop 1
	v_cndmask_b32_e64 v18, v25, v18, s[38:39]
	v_lshlrev_b32_e32 v53, 2, v18
	ds_bpermute_b32 v27, v53, v24
	v_mad_i64_i32 v[18:19], s[38:39], v64, s45, v[22:23]
	v_mad_i64_i32 v[20:21], s[38:39], v66, s45, v[22:23]
	s_waitcnt lgkmcnt(0)
	v_max_f32_e32 v27, v27, v27
	v_max_f32_e32 v27, v24, v27
	v_xor_b32_e32 v24, 16, v25
	v_cmp_lt_i32_e64 s[38:39], v24, v26
	s_nop 1
	v_cndmask_b32_e64 v24, v25, v24, s[38:39]
	v_lshlrev_b32_e32 v56, 2, v24
	ds_bpermute_b32 v26, v56, v27
	v_mad_i64_i32 v[24:25], s[38:39], v67, s45, v[22:23]
	v_mad_i64_i32 v[48:49], s[38:39], v68, s45, v[22:23]
	s_waitcnt lgkmcnt(0)
	v_max_f32_e32 v22, v26, v26
	v_max_f32_e32 v46, v27, v22
	v_sub_f32_e32 v22, v31, v46
	global_load_dwordx4 v[30:33], v[18:19], off
	global_load_dwordx4 v[26:29], v[20:21], off
	v_sub_f32_e32 v18, v50, v46
	v_mul_f32_e32 v18, 0x3fb8aa3b, v18
	v_exp_f32_e32 v50, v18
	v_mul_f32_e32 v18, 0x3fb8aa3b, v22
	v_exp_f32_e32 v51, v18
	v_sub_f32_e32 v18, v40, v46
	v_mul_f32_e32 v18, 0x3fb8aa3b, v18
	v_exp_f32_e32 v40, v18
	v_sub_f32_e32 v18, v41, v46
	v_mul_f32_e32 v18, 0x3fb8aa3b, v18
	v_exp_f32_e32 v41, v18
	global_load_dwordx4 v[22:25], v[24:25], off
	s_nop 0
	global_load_dwordx4 v[18:21], v[48:49], off
	v_sub_f32_e32 v42, v42, v46
	v_sub_f32_e32 v38, v38, v46
	v_mul_f32_e32 v42, 0x3fb8aa3b, v42
	v_mul_f32_e32 v38, 0x3fb8aa3b, v38
	v_cndmask_b32_e64 v49, 0, v51, s[14:15]
	v_cndmask_b32_e64 v51, 0, v41, s[18:19]
	v_sub_f32_e32 v41, v47, v46
	v_exp_f32_e32 v42, v42
	v_exp_f32_e32 v47, v38
	v_cndmask_b32_e64 v48, 0, v50, s[12:13]
	v_cndmask_b32_e64 v50, 0, v40, s[16:17]
	v_sub_f32_e32 v40, v52, v46
	v_mul_f32_e32 v40, 0x3fb8aa3b, v40
	v_sub_f32_e32 v38, v39, v46
	v_exp_f32_e32 v40, v40
	v_mul_f32_e32 v41, 0x3fb8aa3b, v41
	v_sub_f32_e32 v44, v44, v46
	v_mul_f32_e32 v38, 0x3fb8aa3b, v38
	v_exp_f32_e32 v41, v41
	v_mul_f32_e32 v44, 0x3fb8aa3b, v44
	v_sub_f32_e32 v45, v45, v46
	v_exp_f32_e32 v52, v38
	v_cndmask_b32_e64 v38, 0, v42, s[28:29]
	v_cndmask_b32_e64 v42, 0, v47, s[34:35]
	v_add_f32_e32 v47, 0, v48
	v_exp_f32_e32 v44, v44
	v_mul_f32_e32 v45, 0x3fb8aa3b, v45
	v_add_f32_e32 v47, v47, v49
	v_exp_f32_e32 v45, v45
	v_sub_f32_e32 v43, v43, v46
	v_add_f32_e32 v47, v47, v50
	v_cndmask_b32_e64 v40, 0, v40, s[20:21]
	v_mul_f32_e32 v43, 0x3fb8aa3b, v43
	v_add_f32_e32 v47, v47, v51
	v_cndmask_b32_e64 v41, 0, v41, s[22:23]
	v_exp_f32_e32 v43, v43
	v_add_f32_e32 v47, v47, v40
	v_cndmask_b32_e64 v44, 0, v44, s[24:25]
	v_add_f32_e32 v47, v47, v41
	v_sub_f32_e32 v36, v36, v46
	v_cndmask_b32_e64 v45, 0, v45, s[26:27]
	v_add_f32_e32 v47, v47, v44
	v_mul_f32_e32 v36, 0x3fb8aa3b, v36
	v_sub_f32_e32 v37, v37, v46
	v_add_f32_e32 v47, v47, v45
	v_exp_f32_e32 v36, v36
	v_mul_f32_e32 v37, 0x3fb8aa3b, v37
	v_sub_f32_e32 v34, v34, v46
	v_cndmask_b32_e64 v39, 0, v43, s[30:31]
	v_add_f32_e32 v47, v47, v38
	v_exp_f32_e32 v37, v37
	v_mul_f32_e32 v34, 0x3fb8aa3b, v34
	v_sub_f32_e32 v35, v35, v46
	v_add_f32_e32 v47, v47, v39
	v_exp_f32_e32 v34, v34
	v_mul_f32_e32 v35, 0x3fb8aa3b, v35
	v_cndmask_b32_e64 v43, 0, v52, s[36:37]
	v_add_f32_e32 v47, v47, v42
	v_exp_f32_e32 v35, v35
	v_add_f32_e32 v47, v47, v43
	v_cndmask_b32_e64 v36, 0, v36, s[6:7]
	v_add_f32_e32 v47, v47, v36
	v_cndmask_b32_e64 v37, 0, v37, s[8:9]
	v_add_f32_e32 v47, v47, v37
	v_cndmask_b32_e32 v34, 0, v34, vcc
	v_add_f32_e32 v47, v47, v34
	v_cndmask_b32_e64 v35, 0, v35, s[4:5]
	v_add_f32_e32 v47, v47, v35
	ds_bpermute_b32 v52, v53, v47
	v_cmp_gt_u32_e32 vcc, 16, v55
	s_waitcnt lgkmcnt(0)
	s_barrier
	v_add_f32_e32 v47, v47, v52
	ds_bpermute_b32 v52, v56, v47
	s_and_saveexec_b64 s[4:5], vcc
	s_cbranch_execz .LBB945_15
; %bb.14:
	s_waitcnt lgkmcnt(0)
	v_add_f32_e32 v47, v47, v52
	v_lshlrev_b32_e32 v52, 2, v65
	ds_write2st64_b32 v52, v46, v47 offset1:1
.LBB945_15:
	s_or_b64 exec, exec, s[4:5]
	v_lshlrev_b32_e32 v47, 2, v60
	s_load_dword s6, s[0:1], 0x94
	s_waitcnt lgkmcnt(0)
	s_barrier
	ds_read2_b32 v[52:53], v47 offset1:16
	ds_read2_b32 v[56:57], v47 offset0:32 offset1:48
	ds_read2_b32 v[58:59], v47 offset0:64 offset1:80
	s_lshl_b32 s7, s44, 1
	s_waitcnt lgkmcnt(2)
	v_max3_f32 v46, v52, s40, v53
	s_waitcnt lgkmcnt(1)
	v_max3_f32 v46, v46, v56, v57
	v_sub_f32_e32 v52, v52, v46
	v_mul_f32_e32 v52, 0x3fb8aa3b, v52
	v_exp_f32_e32 v63, v52
	v_sub_f32_e32 v52, v53, v46
	v_mul_f32_e32 v52, 0x3fb8aa3b, v52
	v_exp_f32_e32 v64, v52
	;; [unrolled: 3-line block ×3, first 2 shown]
	ds_read2_b32 v[52:53], v47 offset0:96 offset1:112
	v_sub_f32_e32 v47, v57, v46
	v_mul_f32_e32 v47, 0x3fb8aa3b, v47
	v_exp_f32_e32 v57, v47
	s_waitcnt lgkmcnt(1)
	v_fma_f32 v47, v63, v58, 0
	v_fmac_f32_e32 v47, v64, v59
	s_waitcnt lgkmcnt(0)
	v_fmac_f32_e32 v47, v56, v52
	v_fmac_f32_e32 v47, v57, v53
	v_add_f32_e32 v52, 0x358637bd, v47
	v_div_scale_f32 v53, s[4:5], v52, v52, 1.0
	v_rcp_f32_e32 v58, v53
	s_barrier
	v_fma_f32 v59, -v53, v58, 1.0
	v_fmac_f32_e32 v58, v59, v58
	v_div_scale_f32 v59, vcc, 1.0, v52, 1.0
	v_mul_f32_e32 v65, v59, v58
	v_fma_f32 v66, -v53, v65, v59
	v_fmac_f32_e32 v65, v66, v58
	v_fma_f32 v53, -v53, v65, v59
	v_div_fmas_f32 v53, v53, v58, v65
	v_cmp_eq_u32_e32 vcc, 1, v62
	v_div_fixup_f32 v52, v53, v52, 1.0
	s_nop 0
	v_cndmask_b32_e32 v53, v63, v64, vcc
	v_cmp_eq_u32_e32 vcc, 2, v62
	s_nop 1
	v_cndmask_b32_e32 v53, v53, v56, vcc
	v_cmp_eq_u32_e32 vcc, 3, v62
	s_nop 1
	v_cndmask_b32_e32 v53, v53, v57, vcc
	v_mul_f32_e32 v52, v53, v52
	v_pk_mul_f32 v[50:51], v[52:53], v[50:51] op_sel_hi:[0,1]
	v_pk_mul_f32 v[48:49], v[52:53], v[48:49] op_sel_hi:[0,1]
	v_cvt_f16_f32_e32 v53, v50
	v_cvt_f16_f32_e32 v48, v48
	;; [unrolled: 1-line block ×4, first 2 shown]
	v_pk_mul_f32 v[44:45], v[52:53], v[44:45] op_sel_hi:[0,1]
	v_pk_mul_f32 v[40:41], v[52:53], v[40:41] op_sel_hi:[0,1]
	v_cvt_f16_f32_e32 v40, v40
	v_cvt_f16_f32_e32 v41, v41
	;; [unrolled: 1-line block ×4, first 2 shown]
	v_pack_b32_f16 v50, v48, v49
	v_pack_b32_f16 v51, v53, v51
	v_lshlrev_b32_e32 v49, 3, v1
	v_lshlrev_b32_e32 v48, 5, v60
	;; [unrolled: 1-line block ×3, first 2 shown]
	v_or3_b32 v56, v53, v48, v49
	v_pack_b32_f16 v40, v40, v41
	v_pack_b32_f16 v41, v44, v45
	ds_write2st64_b64 v56, v[50:51], v[40:41] offset1:1
	v_pk_mul_f32 v[40:41], v[52:53], v[42:43] op_sel_hi:[0,1]
	v_pk_mul_f32 v[38:39], v[52:53], v[38:39] op_sel_hi:[0,1]
	v_pk_mul_f32 v[34:35], v[52:53], v[34:35] op_sel_hi:[0,1]
	v_pk_mul_f32 v[36:37], v[52:53], v[36:37] op_sel_hi:[0,1]
	v_cvt_f16_f32_e32 v38, v38
	v_cvt_f16_f32_e32 v39, v39
	;; [unrolled: 1-line block ×8, first 2 shown]
	v_pack_b32_f16 v34, v38, v39
	v_pack_b32_f16 v35, v40, v41
	;; [unrolled: 1-line block ×4, first 2 shown]
	v_cmp_gt_u32_e32 vcc, 2, v0
	ds_write2st64_b64 v56, v[34:35], v[36:37] offset0:2 offset1:3
	s_and_saveexec_b64 s[4:5], vcc
	s_cbranch_execz .LBB945_17
; %bb.16:
	v_or_b32_e32 v34, s11, v0
	v_mov_b32_e32 v35, 0
	v_mov_b32_e32 v36, s7
	v_mad_u64_u32 v[36:37], s[8:9], s2, v36, v[34:35]
	v_mov_b32_e32 v34, s10
	s_load_dwordx4 s[12:15], s[0:1], 0x58
	s_mul_i32 s3, s3, s7
	v_mad_u64_u32 v[34:35], s[8:9], v36, s6, v[34:35]
	v_add_u32_e32 v37, s3, v37
	v_mov_b32_e32 v36, v35
	v_mad_u64_u32 v[36:37], s[8:9], v37, s6, v[36:37]
	v_mov_b32_e32 v35, v36
	v_lshlrev_b64 v[34:35], 2, v[34:35]
	s_waitcnt lgkmcnt(0)
	v_lshl_add_u64 v[36:37], s[14:15], 0, v[34:35]
	v_lshl_add_u64 v[34:35], s[12:13], 0, v[34:35]
	global_store_dword v[36:37], v46, off
	global_store_dword v[34:35], v47, off
.LBB945_17:
	s_or_b64 exec, exec, s[4:5]
	s_waitcnt vmcnt(7)
	v_cvt_pk_f32_fp8_e32 v[34:35], v14
	v_cvt_pk_f32_fp8_sdwa v[36:37], v14 src0_sel:WORD_1
	v_lshl_or_b32 v50, v1, 9, v48
	s_waitcnt lgkmcnt(0)
	s_barrier
	v_cvt_pk_f32_fp8_e32 v[38:39], v15
	v_cvt_pkrtz_f16_f32 v14, v34, v35
	v_cvt_pk_f32_fp8_sdwa v[40:41], v15 src0_sel:WORD_1
	v_cvt_pkrtz_f16_f32 v15, v36, v37
	ds_read_b128 v[34:37], v50
	v_cvt_pkrtz_f16_f32 v46, v38, v39
	v_cvt_pkrtz_f16_f32 v47, v40, v41
	ds_read_b128 v[38:41], v50 offset:16
	v_cvt_pk_f32_fp8_e32 v[48:49], v16
	v_cvt_pk_f32_fp8_sdwa v[52:53], v16 src0_sel:WORD_1
	s_waitcnt lgkmcnt(1)
	v_mfma_f32_16x16x16_f16 v[42:45], v[14:15], v[34:35], 0
	s_waitcnt vmcnt(6)
	v_cvt_pk_f32_fp8_e32 v[58:59], v12
	v_cvt_pkrtz_f16_f32 v14, v48, v49
	v_cvt_pkrtz_f16_f32 v15, v52, v53
	v_cvt_pk_f32_fp8_e32 v[48:49], v17
	v_mfma_f32_16x16x16_f16 v[42:45], v[46:47], v[36:37], v[42:45]
	v_cvt_pk_f32_fp8_sdwa v[46:47], v17 src0_sel:WORD_1
	v_cvt_pk_f32_fp8_sdwa v[62:63], v12 src0_sel:WORD_1
	v_cvt_pkrtz_f16_f32 v48, v48, v49
	s_waitcnt lgkmcnt(0)
	v_mfma_f32_16x16x16_f16 v[14:17], v[14:15], v[38:39], v[42:45]
	v_cvt_pkrtz_f16_f32 v49, v46, v47
	s_waitcnt vmcnt(5)
	v_cvt_pk_f32_fp8_sdwa v[66:67], v8 src0_sel:WORD_1
	s_waitcnt vmcnt(4)
	v_cvt_pk_f32_fp8_sdwa v[68:69], v4 src0_sel:WORD_1
	v_cvt_pk_f32_fp8_e32 v[42:43], v10
	v_mfma_f32_16x16x16_f16 v[46:49], v[48:49], v[40:41], v[14:17]
	s_waitcnt vmcnt(3)
	v_cvt_pk_f32_fp8_sdwa v[70:71], v32 src0_sel:WORD_1
	s_load_dword s4, s[42:43], 0x0
	v_cvt_pk_f32_fp8_sdwa v[14:15], v10 src0_sel:WORD_1
	v_cvt_pk_f32_fp8_e32 v[16:17], v11
	v_cvt_pkrtz_f16_f32 v10, v42, v43
	v_cvt_pk_f32_fp8_sdwa v[42:43], v11 src0_sel:WORD_1
	v_cvt_pkrtz_f16_f32 v11, v14, v15
	v_cvt_pkrtz_f16_f32 v52, v16, v17
	ds_read_b128 v[14:17], v50 offset:2048
	v_cvt_pkrtz_f16_f32 v53, v42, v43
	ds_read_b128 v[42:45], v50 offset:2064
	s_waitcnt lgkmcnt(0)
	v_mfma_f32_16x16x16_f16 v[46:49], v[10:11], v[14:15], v[46:49]
	v_cvt_pkrtz_f16_f32 v10, v58, v59
	v_cvt_pkrtz_f16_f32 v11, v62, v63
	v_cvt_pk_f32_fp8_e32 v[58:59], v13
	v_mfma_f32_16x16x16_f16 v[46:49], v[52:53], v[16:17], v[46:49]
	v_cvt_pk_f32_fp8_sdwa v[52:53], v13 src0_sel:WORD_1
	v_cmp_gt_u32_e32 vcc, 64, v0
	v_cvt_pkrtz_f16_f32 v58, v58, v59
	v_mfma_f32_16x16x16_f16 v[10:13], v[10:11], v[42:43], v[46:49]
	v_cvt_pkrtz_f16_f32 v59, v52, v53
	s_mov_b32 s3, 0
	s_nop 0
	v_cvt_pk_f32_fp8_e32 v[46:47], v6
	v_mfma_f32_16x16x16_f16 v[62:65], v[58:59], v[44:45], v[10:13]
	v_cvt_pk_f32_fp8_e32 v[58:59], v8
	s_nop 1
	v_cvt_pk_f32_fp8_sdwa v[10:11], v6 src0_sel:WORD_1
	v_cvt_pk_f32_fp8_e32 v[12:13], v7
	v_cvt_pkrtz_f16_f32 v6, v46, v47
	v_cvt_pk_f32_fp8_sdwa v[46:47], v7 src0_sel:WORD_1
	v_cvt_pkrtz_f16_f32 v7, v10, v11
	v_cvt_pkrtz_f16_f32 v52, v12, v13
	ds_read_b128 v[10:13], v50 offset:4096
	v_cvt_pkrtz_f16_f32 v53, v46, v47
	ds_read_b128 v[46:49], v50 offset:4112
	s_waitcnt lgkmcnt(1)
	v_mfma_f32_16x16x16_f16 v[62:65], v[6:7], v[10:11], v[62:65]
	v_cvt_pkrtz_f16_f32 v6, v58, v59
	v_cvt_pkrtz_f16_f32 v7, v66, v67
	v_cvt_pk_f32_fp8_e32 v[58:59], v9
	v_mfma_f32_16x16x16_f16 v[62:65], v[52:53], v[12:13], v[62:65]
	v_cvt_pk_f32_fp8_sdwa v[52:53], v9 src0_sel:WORD_1
	v_cvt_pk_f32_fp8_e32 v[66:67], v4
	v_cvt_pkrtz_f16_f32 v58, v58, v59
	s_waitcnt lgkmcnt(0)
	v_mfma_f32_16x16x16_f16 v[6:9], v[6:7], v[46:47], v[62:65]
	v_cvt_pkrtz_f16_f32 v59, v52, v53
	v_cvt_pk_f32_fp8_e32 v[52:53], v2
	s_nop 0
	v_mfma_f32_16x16x16_f16 v[62:65], v[58:59], v[48:49], v[6:9]
	s_nop 2
	v_cvt_pk_f32_fp8_sdwa v[6:7], v2 src0_sel:WORD_1
	v_cvt_pk_f32_fp8_e32 v[8:9], v3
	v_cvt_pkrtz_f16_f32 v2, v52, v53
	v_cvt_pk_f32_fp8_sdwa v[52:53], v3 src0_sel:WORD_1
	v_cvt_pkrtz_f16_f32 v3, v6, v7
	v_cvt_pkrtz_f16_f32 v58, v8, v9
	ds_read_b128 v[6:9], v50 offset:6144
	v_cvt_pkrtz_f16_f32 v59, v52, v53
	s_waitcnt lgkmcnt(0)
	v_mfma_f32_16x16x16_f16 v[62:65], v[2:3], v[6:7], v[62:65]
	ds_read_b128 v[50:53], v50 offset:6160
	v_cvt_pkrtz_f16_f32 v2, v66, v67
	v_cvt_pkrtz_f16_f32 v3, v68, v69
	v_cvt_pk_f32_fp8_e32 v[66:67], v5
	v_mfma_f32_16x16x16_f16 v[62:65], v[58:59], v[8:9], v[62:65]
	v_cvt_pk_f32_fp8_sdwa v[58:59], v5 src0_sel:WORD_1
	v_cvt_pk_f32_fp8_e32 v[68:69], v32
	v_cvt_pkrtz_f16_f32 v66, v66, v67
	s_waitcnt lgkmcnt(0)
	v_mfma_f32_16x16x16_f16 v[2:5], v[2:3], v[50:51], v[62:65]
	v_cvt_pkrtz_f16_f32 v67, v58, v59
	v_cvt_pk_f32_fp8_e32 v[58:59], v30
	s_nop 0
	v_cvt_pk_f32_fp8_sdwa v[62:63], v30 src0_sel:WORD_1
	v_cvt_pk_f32_fp8_e32 v[64:65], v31
	v_cvt_pkrtz_f16_f32 v58, v58, v59
	v_cvt_pk_f32_fp8_sdwa v[30:31], v31 src0_sel:WORD_1
	v_cvt_pkrtz_f16_f32 v59, v62, v63
	v_mfma_f32_16x16x16_f16 v[2:5], v[66:67], v[52:53], v[2:5]
	v_cvt_pkrtz_f16_f32 v66, v64, v65
	v_cvt_pkrtz_f16_f32 v67, v30, v31
	;; [unrolled: 1-line block ×3, first 2 shown]
	v_mfma_f32_16x16x16_f16 v[62:65], v[58:59], v[34:35], 0
	v_cvt_pkrtz_f16_f32 v31, v70, v71
	v_cvt_pk_f32_fp8_e32 v[58:59], v33
	s_barrier
	v_mfma_f32_16x16x16_f16 v[34:37], v[66:67], v[36:37], v[62:65]
	v_cvt_pkrtz_f16_f32 v58, v58, v59
	s_nop 1
	v_cvt_pk_f32_fp8_sdwa v[62:63], v33 src0_sel:WORD_1
	v_mfma_f32_16x16x16_f16 v[30:33], v[30:31], v[38:39], v[34:37]
	s_waitcnt vmcnt(2)
	v_cvt_pk_f32_fp8_e32 v[38:39], v27
	v_cvt_pkrtz_f16_f32 v59, v62, v63
	v_cvt_pk_f32_fp8_e32 v[34:35], v26
	v_cvt_pk_f32_fp8_sdwa v[36:37], v26 src0_sel:WORD_1
	v_cvt_pk_f32_fp8_sdwa v[26:27], v27 src0_sel:WORD_1
	v_mfma_f32_16x16x16_f16 v[30:33], v[58:59], v[40:41], v[30:33]
	v_cvt_pkrtz_f16_f32 v34, v34, v35
	v_cvt_pkrtz_f16_f32 v35, v36, v37
	v_cvt_pkrtz_f16_f32 v36, v38, v39
	v_cvt_pk_f32_fp8_e32 v[38:39], v28
	v_cvt_pk_f32_fp8_sdwa v[40:41], v28 src0_sel:WORD_1
	v_cvt_pkrtz_f16_f32 v37, v26, v27
	v_mfma_f32_16x16x16_f16 v[30:33], v[34:35], v[14:15], v[30:33]
	v_cvt_pkrtz_f16_f32 v26, v38, v39
	v_cvt_pkrtz_f16_f32 v27, v40, v41
	v_cvt_pk_f32_fp8_e32 v[34:35], v29
	v_cvt_pk_f32_fp8_sdwa v[28:29], v29 src0_sel:WORD_1
	v_mfma_f32_16x16x16_f16 v[14:17], v[36:37], v[16:17], v[30:33]
	s_nop 2
	v_cvt_pkrtz_f16_f32 v30, v34, v35
	v_cvt_pkrtz_f16_f32 v31, v28, v29
	v_mfma_f32_16x16x16_f16 v[14:17], v[26:27], v[42:43], v[14:17]
	s_waitcnt vmcnt(1)
	v_cvt_pk_f32_fp8_e32 v[26:27], v22
	v_cvt_pk_f32_fp8_sdwa v[28:29], v22 src0_sel:WORD_1
	v_cvt_pk_f32_fp8_sdwa v[32:33], v24 src0_sel:WORD_1
	v_mfma_f32_16x16x16_f16 v[14:17], v[30:31], v[44:45], v[14:17]
	v_cvt_pk_f32_fp8_e32 v[30:31], v23
	v_cvt_pkrtz_f16_f32 v26, v26, v27
	v_cvt_pkrtz_f16_f32 v27, v28, v29
	v_cvt_pk_f32_fp8_sdwa v[22:23], v23 src0_sel:WORD_1
	v_cvt_pkrtz_f16_f32 v28, v30, v31
	v_cvt_pk_f32_fp8_e32 v[30:31], v24
	v_mfma_f32_16x16x16_f16 v[14:17], v[26:27], v[10:11], v[14:17]
	v_cvt_pkrtz_f16_f32 v29, v22, v23
	v_cvt_pkrtz_f16_f32 v22, v30, v31
	;; [unrolled: 1-line block ×3, first 2 shown]
	v_cvt_pk_f32_fp8_e32 v[26:27], v25
	v_cvt_pk_f32_fp8_sdwa v[24:25], v25 src0_sel:WORD_1
	v_mfma_f32_16x16x16_f16 v[10:13], v[28:29], v[12:13], v[14:17]
	s_nop 2
	v_pk_mul_f32 v[14:15], v[4:5], s[4:5] op_sel_hi:[1,0]
	v_cvt_pkrtz_f16_f32 v4, v26, v27
	v_cvt_pkrtz_f16_f32 v5, v24, v25
	v_mfma_f32_16x16x16_f16 v[10:13], v[22:23], v[46:47], v[10:13]
	s_waitcnt vmcnt(0)
	v_cvt_pk_f32_fp8_e32 v[22:23], v18
	v_cvt_pk_f32_fp8_sdwa v[24:25], v18 src0_sel:WORD_1
	v_pk_mul_f32 v[16:17], v[2:3], s[4:5] op_sel_hi:[1,0]
	v_mfma_f32_16x16x16_f16 v[2:5], v[4:5], v[48:49], v[10:13]
	s_nop 2
	v_cvt_pk_f32_fp8_e32 v[10:11], v19
	v_cvt_pkrtz_f16_f32 v12, v22, v23
	v_cvt_pkrtz_f16_f32 v13, v24, v25
	v_cvt_pk_f32_fp8_sdwa v[18:19], v19 src0_sel:WORD_1
	v_cvt_pkrtz_f16_f32 v10, v10, v11
	v_cvt_pk_f32_fp8_e32 v[22:23], v20
	v_cvt_pk_f32_fp8_sdwa v[24:25], v20 src0_sel:WORD_1
	v_cvt_pkrtz_f16_f32 v11, v18, v19
	v_mfma_f32_16x16x16_f16 v[2:5], v[12:13], v[6:7], v[2:5]
	v_cvt_pkrtz_f16_f32 v6, v22, v23
	v_cvt_pkrtz_f16_f32 v7, v24, v25
	v_cvt_pk_f32_fp8_e32 v[12:13], v21
	v_cvt_pk_f32_fp8_sdwa v[18:19], v21 src0_sel:WORD_1
	v_mfma_f32_16x16x16_f16 v[2:5], v[10:11], v[8:9], v[2:5]
	v_cvt_f16_f32_e32 v10, v16
	v_cvt_pkrtz_f16_f32 v8, v12, v13
	v_cvt_pkrtz_f16_f32 v9, v18, v19
	v_mfma_f32_16x16x16_f16 v[2:5], v[6:7], v[50:51], v[2:5]
	v_cvt_f16_f32_e32 v6, v17
	v_cvt_f16_f32_e32 v7, v14
	;; [unrolled: 1-line block ×3, first 2 shown]
	v_mfma_f32_16x16x16_f16 v[2:5], v[8:9], v[52:53], v[2:5]
	s_nop 6
	v_pk_mul_f32 v[4:5], v[4:5], s[4:5] op_sel_hi:[1,0]
	v_pk_mul_f32 v[2:3], v[2:3], s[4:5] op_sel_hi:[1,0]
	v_cvt_f16_f32_e32 v12, v4
	v_cvt_f16_f32_e32 v8, v2
	;; [unrolled: 1-line block ×4, first 2 shown]
	v_cmp_gt_u32_e64 s[4:5], 32, v55
	v_pack_b32_f16 v2, v10, v6
	v_pack_b32_f16 v3, v7, v11
	;; [unrolled: 1-line block ×4, first 2 shown]
	s_and_b64 s[4:5], vcc, s[4:5]
	ds_write2st64_b64 v56, v[2:3], v[4:5] offset1:1
	s_waitcnt lgkmcnt(0)
	s_barrier
	s_and_saveexec_b64 s[8:9], s[4:5]
	s_cbranch_execz .LBB945_19
; %bb.18:
	s_load_dwordx2 s[0:1], s[0:1], 0x68
	s_mul_i32 s2, s7, s2
	s_lshl_b32 s6, s6, 7
	v_lshlrev_b32_e32 v4, 6, v60
	s_mul_hi_u32 s5, s2, s6
	s_mul_i32 s4, s2, s6
	v_lshl_or_b32 v0, v0, 10, v4
	s_lshl_b64 s[4:5], s[4:5], 1
	v_lshlrev_b32_e32 v2, 5, v1
	v_and_b32_e32 v3, 16, v61
	v_and_b32_e32 v0, 0x1a00, v0
	s_waitcnt lgkmcnt(0)
	s_add_u32 s4, s0, s4
	v_or3_b32 v0, v0, v2, v3
	s_addc_u32 s5, s1, s5
	s_lshl_b32 s2, s10, 7
	ds_read_b128 v[2:5], v0
	s_lshl_b64 s[0:1], s[2:3], 1
	s_add_u32 s0, s4, s0
	v_or_b32_e32 v0, s11, v1
	s_addc_u32 s1, s5, s1
	v_mad_u64_u32 v[0:1], s[2:3], s6, v0, 0
	v_lshl_add_u64 v[0:1], v[0:1], 1, s[0:1]
	v_mov_b32_e32 v55, 0
	v_lshl_add_u64 v[0:1], v[0:1], 0, v[54:55]
	s_waitcnt lgkmcnt(0)
	global_store_dwordx4 v[0:1], v[2:5], off
.LBB945_19:
	s_endpgm
	.section	.rodata,"a",@progbits
	.p2align	6, 0x0
	.amdhsa_kernel _Z39paged_attention_ll4mi_QKV_mfma16_kernelIDF16_hLN4vllm18Fp8KVCacheDataTypeE1EhLi16ELi128ELi256ELb1ELi2EEvPKT_PKT0_S7_ifPKiS9_S9_iPKfiiiPfSC_PS2_PT2_iSB_SB_
		.amdhsa_group_segment_fixed_size 8192
		.amdhsa_private_segment_fixed_size 0
		.amdhsa_kernarg_size 400
		.amdhsa_user_sgpr_count 2
		.amdhsa_user_sgpr_dispatch_ptr 0
		.amdhsa_user_sgpr_queue_ptr 0
		.amdhsa_user_sgpr_kernarg_segment_ptr 1
		.amdhsa_user_sgpr_dispatch_id 0
		.amdhsa_user_sgpr_kernarg_preload_length 0
		.amdhsa_user_sgpr_kernarg_preload_offset 0
		.amdhsa_user_sgpr_private_segment_size 0
		.amdhsa_uses_dynamic_stack 0
		.amdhsa_enable_private_segment 0
		.amdhsa_system_sgpr_workgroup_id_x 1
		.amdhsa_system_sgpr_workgroup_id_y 1
		.amdhsa_system_sgpr_workgroup_id_z 1
		.amdhsa_system_sgpr_workgroup_info 0
		.amdhsa_system_vgpr_workitem_id 0
		.amdhsa_next_free_vgpr 80
		.amdhsa_next_free_sgpr 48
		.amdhsa_accum_offset 80
		.amdhsa_reserve_vcc 1
		.amdhsa_float_round_mode_32 0
		.amdhsa_float_round_mode_16_64 0
		.amdhsa_float_denorm_mode_32 3
		.amdhsa_float_denorm_mode_16_64 3
		.amdhsa_dx10_clamp 1
		.amdhsa_ieee_mode 1
		.amdhsa_fp16_overflow 0
		.amdhsa_tg_split 0
		.amdhsa_exception_fp_ieee_invalid_op 0
		.amdhsa_exception_fp_denorm_src 0
		.amdhsa_exception_fp_ieee_div_zero 0
		.amdhsa_exception_fp_ieee_overflow 0
		.amdhsa_exception_fp_ieee_underflow 0
		.amdhsa_exception_fp_ieee_inexact 0
		.amdhsa_exception_int_div_zero 0
	.end_amdhsa_kernel
	.section	.text._Z39paged_attention_ll4mi_QKV_mfma16_kernelIDF16_hLN4vllm18Fp8KVCacheDataTypeE1EhLi16ELi128ELi256ELb1ELi2EEvPKT_PKT0_S7_ifPKiS9_S9_iPKfiiiPfSC_PS2_PT2_iSB_SB_,"axG",@progbits,_Z39paged_attention_ll4mi_QKV_mfma16_kernelIDF16_hLN4vllm18Fp8KVCacheDataTypeE1EhLi16ELi128ELi256ELb1ELi2EEvPKT_PKT0_S7_ifPKiS9_S9_iPKfiiiPfSC_PS2_PT2_iSB_SB_,comdat
.Lfunc_end945:
	.size	_Z39paged_attention_ll4mi_QKV_mfma16_kernelIDF16_hLN4vllm18Fp8KVCacheDataTypeE1EhLi16ELi128ELi256ELb1ELi2EEvPKT_PKT0_S7_ifPKiS9_S9_iPKfiiiPfSC_PS2_PT2_iSB_SB_, .Lfunc_end945-_Z39paged_attention_ll4mi_QKV_mfma16_kernelIDF16_hLN4vllm18Fp8KVCacheDataTypeE1EhLi16ELi128ELi256ELb1ELi2EEvPKT_PKT0_S7_ifPKiS9_S9_iPKfiiiPfSC_PS2_PT2_iSB_SB_
                                        ; -- End function
	.section	.AMDGPU.csdata,"",@progbits
; Kernel info:
; codeLenInByte = 6208
; NumSgprs: 54
; NumVgprs: 80
; NumAgprs: 0
; TotalNumVgprs: 80
; ScratchSize: 0
; MemoryBound: 0
; FloatMode: 240
; IeeeMode: 1
; LDSByteSize: 8192 bytes/workgroup (compile time only)
; SGPRBlocks: 6
; VGPRBlocks: 9
; NumSGPRsForWavesPerEU: 54
; NumVGPRsForWavesPerEU: 80
; AccumOffset: 80
; Occupancy: 6
; WaveLimiterHint : 1
; COMPUTE_PGM_RSRC2:SCRATCH_EN: 0
; COMPUTE_PGM_RSRC2:USER_SGPR: 2
; COMPUTE_PGM_RSRC2:TRAP_HANDLER: 0
; COMPUTE_PGM_RSRC2:TGID_X_EN: 1
; COMPUTE_PGM_RSRC2:TGID_Y_EN: 1
; COMPUTE_PGM_RSRC2:TGID_Z_EN: 1
; COMPUTE_PGM_RSRC2:TIDIG_COMP_CNT: 0
; COMPUTE_PGM_RSRC3_GFX90A:ACCUM_OFFSET: 19
; COMPUTE_PGM_RSRC3_GFX90A:TG_SPLIT: 0
	.section	.text._Z39paged_attention_ll4mi_QKV_mfma16_kernelIDF16_hLN4vllm18Fp8KVCacheDataTypeE1EhLi16ELi128ELi256ELb1ELi3EEvPKT_PKT0_S7_ifPKiS9_S9_iPKfiiiPfSC_PS2_PT2_iSB_SB_,"axG",@progbits,_Z39paged_attention_ll4mi_QKV_mfma16_kernelIDF16_hLN4vllm18Fp8KVCacheDataTypeE1EhLi16ELi128ELi256ELb1ELi3EEvPKT_PKT0_S7_ifPKiS9_S9_iPKfiiiPfSC_PS2_PT2_iSB_SB_,comdat
	.protected	_Z39paged_attention_ll4mi_QKV_mfma16_kernelIDF16_hLN4vllm18Fp8KVCacheDataTypeE1EhLi16ELi128ELi256ELb1ELi3EEvPKT_PKT0_S7_ifPKiS9_S9_iPKfiiiPfSC_PS2_PT2_iSB_SB_ ; -- Begin function _Z39paged_attention_ll4mi_QKV_mfma16_kernelIDF16_hLN4vllm18Fp8KVCacheDataTypeE1EhLi16ELi128ELi256ELb1ELi3EEvPKT_PKT0_S7_ifPKiS9_S9_iPKfiiiPfSC_PS2_PT2_iSB_SB_
	.globl	_Z39paged_attention_ll4mi_QKV_mfma16_kernelIDF16_hLN4vllm18Fp8KVCacheDataTypeE1EhLi16ELi128ELi256ELb1ELi3EEvPKT_PKT0_S7_ifPKiS9_S9_iPKfiiiPfSC_PS2_PT2_iSB_SB_
	.p2align	8
	.type	_Z39paged_attention_ll4mi_QKV_mfma16_kernelIDF16_hLN4vllm18Fp8KVCacheDataTypeE1EhLi16ELi128ELi256ELb1ELi3EEvPKT_PKT0_S7_ifPKiS9_S9_iPKfiiiPfSC_PS2_PT2_iSB_SB_,@function
_Z39paged_attention_ll4mi_QKV_mfma16_kernelIDF16_hLN4vllm18Fp8KVCacheDataTypeE1EhLi16ELi128ELi256ELb1ELi3EEvPKT_PKT0_S7_ifPKiS9_S9_iPKfiiiPfSC_PS2_PT2_iSB_SB_: ; @_Z39paged_attention_ll4mi_QKV_mfma16_kernelIDF16_hLN4vllm18Fp8KVCacheDataTypeE1EhLi16ELi128ELi256ELb1ELi3EEvPKT_PKT0_S7_ifPKiS9_S9_iPKfiiiPfSC_PS2_PT2_iSB_SB_
; %bb.0:
	s_load_dwordx2 s[10:11], s[0:1], 0x30
	s_mov_b32 s6, s3
	s_mov_b64 s[8:9], 0
	s_waitcnt lgkmcnt(0)
	s_cmp_lg_u64 s[10:11], 0
	s_cselect_b64 s[12:13], -1, 0
	s_and_b64 vcc, exec, s[12:13]
	s_cbranch_vccz .LBB946_7
; %bb.1:
	s_add_i32 s14, s2, 1
	s_mov_b32 s15, 0
	s_lshl_b64 s[16:17], s[14:15], 2
	s_add_u32 s16, s10, s16
	s_mov_b32 s3, s15
	s_addc_u32 s17, s11, s17
	s_lshl_b64 s[14:15], s[2:3], 2
	s_add_u32 s14, s10, s14
	s_addc_u32 s15, s11, s15
	s_load_dword s5, s[16:17], 0x0
	s_load_dword s7, s[14:15], 0x0
	s_waitcnt lgkmcnt(0)
	s_sub_i32 s5, s5, s7
	s_cmp_eq_u32 s5, 1
	s_cselect_b64 s[14:15], -1, 0
	s_andn2_b64 vcc, exec, s[8:9]
	s_cbranch_vccnz .LBB946_3
.LBB946_2:
	s_mov_b32 s3, 0
	s_mov_b64 s[14:15], -1
.LBB946_3:
	s_andn2_b64 vcc, exec, s[14:15]
	s_cbranch_vccnz .LBB946_19
; %bb.4:
	s_load_dwordx2 s[8:9], s[0:1], 0x28
	s_lshl_b64 s[16:17], s[2:3], 2
	s_waitcnt lgkmcnt(0)
	s_add_u32 s8, s8, s16
	s_addc_u32 s9, s9, s17
	s_load_dword s7, s[8:9], 0x0
	s_lshl_b32 s18, s6, 8
	s_waitcnt lgkmcnt(0)
	s_cmp_ge_i32 s18, s7
	s_cbranch_scc1 .LBB946_19
; %bb.5:
	s_load_dwordx2 s[8:9], s[0:1], 0x20
	s_load_dword s5, s[0:1], 0x38
	s_add_i32 s14, s7, 15
	s_ashr_i32 s15, s14, 31
	v_and_b32_e32 v1, 0xcf, v0
	s_lshr_b32 s15, s15, 28
	v_add_u32_e32 v1, s18, v1
	s_add_i32 s14, s14, s15
	v_ashrrev_i32_e32 v2, 31, v1
	s_ashr_i32 s19, s14, 4
	v_lshrrev_b32_e32 v4, 28, v2
	s_add_i32 s19, s19, -1
	s_waitcnt lgkmcnt(0)
	s_mul_i32 s14, s2, s5
	s_mov_b32 s15, 0
	v_add_u32_e32 v2, v1, v4
	s_lshl_b64 s[14:15], s[14:15], 2
	v_ashrrev_i32_e32 v2, 4, v2
	v_mov_b32_e32 v5, s19
	v_cmp_gt_i32_e32 vcc, s7, v1
	s_add_u32 s8, s8, s14
	s_addc_u32 s9, s9, s15
	v_cndmask_b32_e32 v2, v5, v2, vcc
	v_ashrrev_i32_e32 v3, 31, v2
	v_lshl_add_u64 v[6:7], v[2:3], 2, s[8:9]
	v_or_b32_e32 v2, 16, v1
	v_add_u32_e32 v3, v2, v4
	v_ashrrev_i32_e32 v3, 4, v3
	v_cmp_gt_i32_e32 vcc, s7, v2
	s_load_dwordx2 s[14:15], s[0:1], 0x8
	s_nop 0
	v_cndmask_b32_e32 v2, v5, v3, vcc
	v_ashrrev_i32_e32 v3, 31, v2
	v_lshl_add_u64 v[8:9], v[2:3], 2, s[8:9]
	v_or_b32_e32 v2, 32, v1
	v_add_u32_e32 v3, v2, v4
	v_ashrrev_i32_e32 v3, 4, v3
	v_cmp_gt_i32_e32 vcc, s7, v2
	v_or_b32_e32 v1, 48, v1
	s_nop 0
	v_cndmask_b32_e32 v2, v5, v3, vcc
	v_ashrrev_i32_e32 v3, 31, v2
	v_lshl_add_u64 v[12:13], v[2:3], 2, s[8:9]
	v_add_u32_e32 v2, v1, v4
	v_ashrrev_i32_e32 v2, 4, v2
	v_cmp_gt_i32_e32 vcc, s7, v1
	s_nop 1
	v_cndmask_b32_e32 v2, v5, v2, vcc
	v_ashrrev_i32_e32 v3, 31, v2
	v_lshl_add_u64 v[14:15], v[2:3], 2, s[8:9]
	global_load_dword v4, v[6:7], off
	global_load_dword v3, v[8:9], off
	;; [unrolled: 1-line block ×4, first 2 shown]
	s_andn2_b64 vcc, exec, s[12:13]
	s_cbranch_vccnz .LBB946_8
; %bb.6:
	s_add_u32 s10, s10, s16
	s_addc_u32 s11, s11, s17
	s_load_dword s5, s[10:11], 0x0
	s_branch .LBB946_9
.LBB946_7:
	s_mov_b64 s[14:15], 0
	s_branch .LBB946_2
.LBB946_8:
	s_mov_b32 s5, s2
.LBB946_9:
	s_load_dwordx2 s[10:11], s[0:1], 0x10
	s_load_dwordx4 s[44:47], s[0:1], 0x48
	v_lshrrev_b32_e32 v57, 6, v0
	v_bfe_u32 v60, v0, 4, 2
	v_and_b32_e32 v56, 15, v0
	s_mul_i32 s48, s4, 3
	v_lshl_or_b32 v5, v57, 2, v60
	v_lshlrev_b32_e32 v6, 3, v56
	v_add_u32_e32 v1, s48, v60
	v_cmp_gt_u32_e32 vcc, 3, v5
	v_lshlrev_b32_e32 v54, 1, v6
	v_lshlrev_b32_e32 v61, 4, v0
	s_and_saveexec_b64 s[12:13], vcc
	s_cbranch_execz .LBB946_11
; %bb.10:
	s_load_dwordx2 s[16:17], s[0:1], 0x0
	s_waitcnt lgkmcnt(0)
	s_ashr_i32 s20, s44, 31
	s_mul_hi_u32 s21, s5, s44
	s_mul_i32 s20, s5, s20
	s_add_i32 s21, s21, s20
	s_mul_i32 s20, s5, s44
	s_lshl_b64 s[20:21], s[20:21], 1
	s_add_u32 s16, s16, s20
	v_lshlrev_b32_e32 v6, 7, v1
	s_addc_u32 s17, s17, s21
	v_ashrrev_i32_e32 v7, 31, v6
	v_lshl_add_u64 v[6:7], v[6:7], 1, s[16:17]
	v_mov_b32_e32 v55, 0
	v_lshl_add_u64 v[6:7], v[6:7], 0, v[54:55]
	global_load_dwordx4 v[6:9], v[6:7], off
	v_lshlrev_b32_e32 v12, 8, v0
	v_lshlrev_b32_e32 v11, 8, v56
	v_and_b32_e32 v12, 0x600, v12
	s_movk_i32 s5, 0x800
	v_and_or_b32 v11, v11, s5, v12
	v_lshlrev_b32_e32 v5, 5, v5
	v_and_b32_e32 v12, 16, v61
	v_or3_b32 v5, v11, v5, v12
	s_waitcnt vmcnt(0)
	ds_write_b128 v5, v[6:9]
.LBB946_11:
	s_or_b64 exec, exec, s[12:13]
	s_waitcnt lgkmcnt(0)
	s_mul_i32 s12, s4, s46
	s_add_u32 s4, s14, s12
	s_addc_u32 s5, s15, 0
	v_and_b32_e32 v58, 0xf0, v61
	v_mov_b32_e32 v59, 0
	v_and_b32_e32 v34, 48, v0
	v_lshl_add_u64 v[12:13], s[4:5], 0, v[58:59]
	v_lshlrev_b32_e32 v58, 4, v34
	s_waitcnt vmcnt(3)
	v_mad_i64_i32 v[4:5], s[4:5], v4, s45, v[12:13]
	v_lshl_add_u64 v[4:5], v[4:5], 0, v[58:59]
	s_barrier
	global_load_dwordx4 v[50:53], v[4:5], off
	global_load_dwordx4 v[46:49], v[4:5], off offset:1024
	s_waitcnt vmcnt(4)
	v_mad_i64_i32 v[4:5], s[4:5], v3, s45, v[12:13]
	s_waitcnt vmcnt(3)
	v_mad_i64_i32 v[2:3], s[4:5], v2, s45, v[12:13]
	v_lshl_add_u64 v[4:5], v[4:5], 0, v[58:59]
	v_lshl_add_u64 v[14:15], v[2:3], 0, v[58:59]
	s_waitcnt vmcnt(2)
	v_mad_i64_i32 v[10:11], s[4:5], v10, s45, v[12:13]
	global_load_dwordx4 v[36:39], v[4:5], off
	global_load_dwordx4 v[6:9], v[4:5], off offset:1024
	s_nop 0
	global_load_dwordx4 v[2:5], v[14:15], off
	global_load_dwordx4 v[42:45], v[14:15], off offset:1024
	v_lshl_add_u64 v[14:15], v[10:11], 0, v[58:59]
	global_load_dwordx4 v[22:25], v[14:15], off
	global_load_dwordx4 v[10:13], v[14:15], off offset:1024
	v_mul_lo_u16_e32 v14, 0x56, v56
	v_mov_b32_e32 v15, 3
	v_mul_lo_u16_sdwa v14, v14, v15 dst_sel:DWORD dst_unused:UNUSED_PAD src0_sel:BYTE_1 src1_sel:DWORD
	v_sub_u16_e32 v14, v56, v14
	v_mov_b32_e32 v15, 5
	v_lshlrev_b32_sdwa v14, v15, v14 dst_sel:DWORD dst_unused:UNUSED_PAD src0_sel:DWORD src1_sel:BYTE_0
	v_lshl_add_u32 v14, v60, 9, v14
	ds_read_b128 v[30:33], v14
	ds_read_b128 v[26:29], v14 offset:16
	ds_read_b128 v[18:21], v14 offset:2048
	ds_read_b128 v[14:17], v14 offset:2064
	v_and_b32_e32 v55, 63, v0
	v_cmp_gt_u32_e32 vcc, 3, v56
	v_mov_b32_e32 v62, 0
	s_and_saveexec_b64 s[4:5], vcc
	s_cbranch_execz .LBB946_13
; %bb.12:
	s_load_dwordx2 s[14:15], s[0:1], 0x40
	v_add_u32_e32 v40, s48, v56
	v_ashrrev_i32_e32 v41, 31, v40
	s_waitcnt lgkmcnt(0)
	v_lshl_add_u64 v[40:41], v[40:41], 2, s[14:15]
	global_load_dword v62, v[40:41], off
.LBB946_13:
	s_or_b64 exec, exec, s[4:5]
	v_or_b32_e32 v58, s18, v34
	v_ashrrev_i32_e32 v34, 4, v58
	v_mov_b32_e32 v76, s19
	v_cmp_gt_i32_e32 vcc, s7, v58
	s_waitcnt vmcnt(7)
	v_cvt_pk_f32_fp8_e32 v[40:41], v50
	v_cvt_pk_f32_fp8_sdwa v[64:65], v50 src0_sel:WORD_1
	v_cndmask_b32_e32 v34, v76, v34, vcc
	v_ashrrev_i32_e32 v35, 31, v34
	v_lshl_add_u64 v[34:35], v[34:35], 2, s[8:9]
	global_load_dword v63, v[34:35], off
	v_or_b32_e32 v34, 64, v58
	v_ashrrev_i32_e32 v35, 4, v34
	v_cmp_gt_i32_e32 vcc, s7, v34
	v_or_b32_e32 v66, 0x80, v58
	v_ashrrev_i32_e32 v67, 4, v66
	v_cndmask_b32_e32 v34, v76, v35, vcc
	v_cmp_gt_i32_e32 vcc, s7, v66
	v_cvt_pkrtz_f16_f32 v40, v40, v41
	v_cvt_pkrtz_f16_f32 v41, v64, v65
	v_cndmask_b32_e32 v50, v76, v67, vcc
	v_cvt_pk_f32_fp8_e32 v[64:65], v51
	v_cvt_pk_f32_fp8_sdwa v[66:67], v51 src0_sel:WORD_1
	v_ashrrev_i32_e32 v51, 31, v50
	v_lshl_add_u64 v[68:69], v[50:51], 2, s[8:9]
	v_cvt_pkrtz_f16_f32 v50, v64, v65
	v_cvt_pkrtz_f16_f32 v51, v66, v67
	s_waitcnt lgkmcnt(3)
	v_mfma_f32_16x16x16_f16 v[64:67], v[40:41], v[30:31], 0
	v_cvt_pk_f32_fp8_e32 v[40:41], v52
	v_cvt_pk_f32_fp8_sdwa v[70:71], v52 src0_sel:WORD_1
	s_waitcnt vmcnt(7)
	v_cvt_pk_f32_fp8_e32 v[72:73], v46
	v_mfma_f32_16x16x16_f16 v[64:67], v[50:51], v[32:33], v[64:67]
	v_cvt_pk_f32_fp8_e32 v[50:51], v53
	v_cvt_pkrtz_f16_f32 v40, v40, v41
	v_cvt_pkrtz_f16_f32 v41, v70, v71
	v_cvt_pk_f32_fp8_sdwa v[52:53], v53 src0_sel:WORD_1
	v_cvt_pkrtz_f16_f32 v70, v50, v51
	v_cvt_pk_f32_fp8_sdwa v[74:75], v46 src0_sel:WORD_1
	v_ashrrev_i32_e32 v35, 31, v34
	v_cvt_pkrtz_f16_f32 v71, v52, v53
	s_waitcnt lgkmcnt(2)
	v_mfma_f32_16x16x16_f16 v[50:53], v[40:41], v[26:27], v[64:67]
	v_cvt_pkrtz_f16_f32 v40, v72, v73
	v_cvt_pkrtz_f16_f32 v41, v74, v75
	v_or_b32_e32 v58, 0xc0, v58
	v_cvt_pk_f32_fp8_e32 v[64:65], v47
	v_cvt_pk_f32_fp8_sdwa v[46:47], v47 src0_sel:WORD_1
	v_mfma_f32_16x16x16_f16 v[50:53], v[70:71], v[28:29], v[50:53]
	v_lshl_add_u64 v[34:35], v[34:35], 2, s[8:9]
	v_cvt_pkrtz_f16_f32 v64, v64, v65
	v_cvt_pkrtz_f16_f32 v65, v46, v47
	s_waitcnt lgkmcnt(1)
	v_mfma_f32_16x16x16_f16 v[50:53], v[40:41], v[18:19], v[50:53]
	v_ashrrev_i32_e32 v66, 4, v58
	v_cmp_gt_i32_e32 vcc, s7, v58
	v_cvt_pk_f32_fp8_e32 v[46:47], v48
	s_waitcnt vmcnt(6)
	v_cvt_pk_f32_fp8_sdwa v[70:71], v36 src0_sel:WORD_1
	v_cndmask_b32_e32 v40, v76, v66, vcc
	v_mfma_f32_16x16x16_f16 v[64:67], v[64:65], v[20:21], v[50:53]
	v_cvt_pkrtz_f16_f32 v46, v46, v47
	v_ashrrev_i32_e32 v41, 31, v40
	v_lshl_add_u64 v[40:41], v[40:41], 2, s[8:9]
	global_load_dword v53, v[34:35], off
	v_cvt_pk_f32_fp8_sdwa v[50:51], v48 src0_sel:WORD_1
	v_cvt_pk_f32_fp8_e32 v[34:35], v49
	v_cvt_pk_f32_fp8_sdwa v[48:49], v49 src0_sel:WORD_1
	s_add_u32 s46, s10, s12
	v_cvt_pkrtz_f16_f32 v47, v50, v51
	v_cvt_pkrtz_f16_f32 v34, v34, v35
	;; [unrolled: 1-line block ×3, first 2 shown]
	s_waitcnt lgkmcnt(0)
	v_mfma_f32_16x16x16_f16 v[46:49], v[46:47], v[14:15], v[64:67]
	v_cvt_pk_f32_fp8_e32 v[50:51], v36
	s_nop 1
	global_load_dword v65, v[68:69], off
	global_load_dword v64, v[40:41], off
	v_cvt_pk_f32_fp8_e32 v[66:67], v37
	v_cvt_pkrtz_f16_f32 v50, v50, v51
	v_cvt_pkrtz_f16_f32 v51, v70, v71
	v_cvt_pk_f32_fp8_sdwa v[70:71], v37 src0_sel:WORD_1
	v_cvt_pkrtz_f16_f32 v40, v66, v67
	v_mfma_f32_16x16x16_f16 v[34:37], v[34:35], v[16:17], v[46:49]
	v_cvt_pk_f32_fp8_sdwa v[66:67], v38 src0_sel:WORD_1
	v_cvt_pkrtz_f16_f32 v41, v70, v71
	s_waitcnt vmcnt(8)
	v_cvt_pk_f32_fp8_e32 v[68:69], v6
	v_mfma_f32_16x16x16_f16 v[46:49], v[50:51], v[30:31], 0
	v_cvt_pk_f32_fp8_e32 v[50:51], v38
	v_cvt_pk_f32_fp8_sdwa v[70:71], v6 src0_sel:WORD_1
	v_lshl_or_b32 v52, v57, 4, v56
	v_mfma_f32_16x16x16_f16 v[46:49], v[40:41], v[32:33], v[46:49]
	v_cvt_pk_f32_fp8_e32 v[40:41], v39
	v_cvt_pkrtz_f16_f32 v50, v50, v51
	v_cvt_pkrtz_f16_f32 v51, v66, v67
	v_cvt_pk_f32_fp8_sdwa v[38:39], v39 src0_sel:WORD_1
	v_cvt_pkrtz_f16_f32 v66, v40, v41
	s_waitcnt vmcnt(6)
	v_cvt_pk_f32_fp8_e32 v[72:73], v43
	s_addc_u32 s47, s11, 0
	v_cvt_pkrtz_f16_f32 v67, v38, v39
	v_mfma_f32_16x16x16_f16 v[38:41], v[50:51], v[26:27], v[46:49]
	v_cvt_pk_f32_fp8_sdwa v[50:51], v2 src0_sel:WORD_1
	v_lshlrev_b32_e32 v58, 4, v52
	s_nop 0
	v_cvt_pkrtz_f16_f32 v46, v68, v69
	v_cvt_pkrtz_f16_f32 v47, v70, v71
	v_cvt_pk_f32_fp8_e32 v[48:49], v7
	v_cvt_pk_f32_fp8_sdwa v[6:7], v7 src0_sel:WORD_1
	v_mfma_f32_16x16x16_f16 v[38:41], v[66:67], v[28:29], v[38:41]
	v_lshl_add_u64 v[70:71], s[46:47], 0, v[58:59]
	v_cvt_pkrtz_f16_f32 v48, v48, v49
	v_cvt_pkrtz_f16_f32 v49, v6, v7
	v_mfma_f32_16x16x16_f16 v[38:41], v[46:47], v[18:19], v[38:41]
	v_cvt_pk_f32_fp8_e32 v[6:7], v8
	v_cvt_pk_f32_fp8_sdwa v[46:47], v8 src0_sel:WORD_1
	v_or_b32_e32 v58, 0x400, v58
	v_mfma_f32_16x16x16_f16 v[38:41], v[48:49], v[20:21], v[38:41]
	v_cvt_pk_f32_fp8_e32 v[48:49], v9
	v_cvt_pkrtz_f16_f32 v6, v6, v7
	v_cvt_pkrtz_f16_f32 v7, v46, v47
	v_cvt_pk_f32_fp8_sdwa v[8:9], v9 src0_sel:WORD_1
	v_cvt_pkrtz_f16_f32 v46, v48, v49
	v_cvt_pk_f32_fp8_e32 v[48:49], v2
	v_cvt_pkrtz_f16_f32 v47, v8, v9
	v_mfma_f32_16x16x16_f16 v[6:9], v[6:7], v[14:15], v[38:41]
	v_cvt_pkrtz_f16_f32 v48, v48, v49
	v_cvt_pkrtz_f16_f32 v49, v50, v51
	v_cvt_pk_f32_fp8_e32 v[50:51], v3
	v_cvt_pk_f32_fp8_sdwa v[2:3], v3 src0_sel:WORD_1
	v_mfma_f32_16x16x16_f16 v[38:41], v[46:47], v[16:17], v[6:9]
	v_cvt_pkrtz_f16_f32 v46, v50, v51
	v_cvt_pkrtz_f16_f32 v47, v2, v3
	v_mfma_f32_16x16x16_f16 v[6:9], v[48:49], v[30:31], 0
	v_cvt_pk_f32_fp8_e32 v[2:3], v4
	v_cvt_pk_f32_fp8_sdwa v[48:49], v4 src0_sel:WORD_1
	s_waitcnt vmcnt(3)
	v_mad_i64_i32 v[50:51], s[4:5], v63, s45, v[70:71]
	v_cvt_pkrtz_f16_f32 v2, v2, v3
	v_cvt_pkrtz_f16_f32 v3, v48, v49
	v_mfma_f32_16x16x16_f16 v[6:9], v[46:47], v[32:33], v[6:9]
	v_cvt_pk_f32_fp8_e32 v[46:47], v5
	v_cvt_pk_f32_fp8_sdwa v[4:5], v5 src0_sel:WORD_1
	s_waitcnt vmcnt(2)
	v_mad_i64_i32 v[66:67], s[4:5], v53, s45, v[70:71]
	v_cvt_pkrtz_f16_f32 v46, v46, v47
	v_cvt_pkrtz_f16_f32 v47, v4, v5
	v_mfma_f32_16x16x16_f16 v[2:5], v[2:3], v[26:27], v[6:9]
	s_nop 2
	v_cvt_pk_f32_fp8_e32 v[6:7], v42
	v_cvt_pk_f32_fp8_sdwa v[8:9], v42 src0_sel:WORD_1
	v_cvt_pk_f32_fp8_sdwa v[42:43], v43 src0_sel:WORD_1
	v_mfma_f32_16x16x16_f16 v[46:49], v[46:47], v[28:29], v[2:5]
	v_cvt_pkrtz_f16_f32 v68, v6, v7
	v_cvt_pkrtz_f16_f32 v69, v8, v9
	global_load_dwordx4 v[6:9], v[50:51], off
	global_load_dwordx4 v[2:5], v[66:67], off
	v_cvt_pkrtz_f16_f32 v66, v72, v73
	v_cvt_pkrtz_f16_f32 v67, v42, v43
	v_mfma_f32_16x16x16_f16 v[48:51], v[68:69], v[18:19], v[46:49]
	v_cvt_pk_f32_fp8_e32 v[42:43], v44
	v_cvt_pk_f32_fp8_sdwa v[72:73], v44 src0_sel:WORD_1
	s_waitcnt vmcnt(3)
	v_mad_i64_i32 v[46:47], s[4:5], v65, s45, v[70:71]
	v_mfma_f32_16x16x16_f16 v[66:69], v[66:67], v[20:21], v[48:51]
	v_cvt_pkrtz_f16_f32 v42, v42, v43
	v_cvt_pkrtz_f16_f32 v43, v72, v73
	v_cvt_pk_f32_fp8_sdwa v[72:73], v22 src0_sel:WORD_1
	v_cvt_pk_f32_fp8_e32 v[50:51], v45
	v_cvt_pk_f32_fp8_sdwa v[44:45], v45 src0_sel:WORD_1
	s_waitcnt vmcnt(2)
	v_mad_i64_i32 v[48:49], s[4:5], v64, s45, v[70:71]
	v_cvt_pkrtz_f16_f32 v50, v50, v51
	v_cvt_pkrtz_f16_f32 v51, v44, v45
	v_mfma_f32_16x16x16_f16 v[42:45], v[42:43], v[14:15], v[66:69]
	v_cvt_pk_f32_fp8_e32 v[70:71], v22
	s_load_dword s4, s[0:1], 0x1c
	s_load_dwordx4 s[40:43], s[0:1], 0x80
	s_load_dword s33, s[0:1], 0x98
	s_waitcnt lgkmcnt(0)
	s_load_dword s5, s[40:41], 0x0
	v_mfma_f32_16x16x16_f16 v[66:69], v[50:51], v[16:17], v[42:45]
	s_mov_b32 s40, 0xff7fffff
	s_nop 1
	v_cvt_pk_f32_fp8_e32 v[42:43], v23
	v_cvt_pkrtz_f16_f32 v44, v70, v71
	v_cvt_pkrtz_f16_f32 v45, v72, v73
	v_cvt_pk_f32_fp8_sdwa v[22:23], v23 src0_sel:WORD_1
	v_cvt_pkrtz_f16_f32 v50, v42, v43
	v_cvt_pk_f32_fp8_e32 v[70:71], v24
	v_cvt_pk_f32_fp8_sdwa v[72:73], v24 src0_sel:WORD_1
	v_cvt_pkrtz_f16_f32 v51, v22, v23
	v_mfma_f32_16x16x16_f16 v[42:45], v[44:45], v[30:31], 0
	v_cvt_pkrtz_f16_f32 v30, v70, v71
	v_cvt_pkrtz_f16_f32 v31, v72, v73
	v_cvt_pk_f32_fp8_e32 v[70:71], v25
	v_cvt_pk_f32_fp8_sdwa v[72:73], v25 src0_sel:WORD_1
	v_mfma_f32_16x16x16_f16 v[22:25], v[50:51], v[32:33], v[42:45]
	v_mov_b32_e32 v32, s4
	s_waitcnt lgkmcnt(0)
	v_mul_f32_e32 v50, s5, v32
	v_pk_mul_f32 v[32:33], v[50:51], v[34:35] op_sel_hi:[0,1]
	v_cvt_pkrtz_f16_f32 v42, v70, v71
	v_cvt_pkrtz_f16_f32 v43, v72, v73
	v_mfma_f32_16x16x16_f16 v[22:25], v[30:31], v[26:27], v[22:25]
	v_pk_mul_f32 v[30:31], v[50:51], v[36:37] op_sel_hi:[0,1]
	v_cvt_pk_f32_fp8_e32 v[26:27], v11
	v_cvt_pk_f32_fp8_sdwa v[70:71], v12 src0_sel:WORD_1
	v_mfma_f32_16x16x16_f16 v[34:37], v[42:43], v[28:29], v[22:25]
	v_pk_mul_f32 v[40:41], v[50:51], v[40:41] op_sel_hi:[0,1]
	v_cvt_pkrtz_f16_f32 v44, v26, v27
	s_nop 0
	v_cvt_pk_f32_fp8_e32 v[22:23], v10
	v_cvt_pk_f32_fp8_sdwa v[24:25], v10 src0_sel:WORD_1
	v_cvt_pk_f32_fp8_sdwa v[10:11], v11 src0_sel:WORD_1
	v_cvt_pkrtz_f16_f32 v42, v22, v23
	v_cvt_pkrtz_f16_f32 v43, v24, v25
	;; [unrolled: 1-line block ×3, first 2 shown]
	v_cvt_pk_f32_fp8_e32 v[10:11], v12
	v_mfma_f32_16x16x16_f16 v[34:37], v[42:43], v[18:19], v[34:37]
	global_load_dwordx4 v[26:29], v[46:47], off
	global_load_dwordx4 v[22:25], v[48:49], off
	v_cvt_pkrtz_f16_f32 v18, v10, v11
	v_cvt_pkrtz_f16_f32 v19, v70, v71
	v_cvt_pk_f32_fp8_e32 v[42:43], v13
	v_cvt_pk_f32_fp8_sdwa v[46:47], v13 src0_sel:WORD_1
	v_mfma_f32_16x16x16_f16 v[10:13], v[44:45], v[20:21], v[34:37]
	v_pk_mul_f32 v[44:45], v[50:51], v[38:39] op_sel_hi:[0,1]
	v_cvt_pkrtz_f16_f32 v20, v42, v43
	v_cvt_pkrtz_f16_f32 v21, v46, v47
	v_mfma_f32_16x16x16_f16 v[10:13], v[18:19], v[14:15], v[10:13]
	v_pk_mul_f32 v[38:39], v[50:51], v[68:69] op_sel_hi:[0,1]
	v_pk_mul_f32 v[42:43], v[50:51], v[66:67] op_sel_hi:[0,1]
	v_mfma_f32_16x16x16_f16 v[10:13], v[20:21], v[16:17], v[10:13]
	s_nop 6
	v_pk_mul_f32 v[36:37], v[50:51], v[10:11] op_sel_hi:[0,1]
	v_and_b32_e32 v10, 0xc0, v0
	v_add_u32_e32 v10, s18, v10
	v_lshl_or_b32 v10, v60, 2, v10
	v_or_b32_e32 v11, 1, v10
	v_pk_mul_f32 v[34:35], v[50:51], v[12:13] op_sel_hi:[0,1]
	v_subrev_u32_e32 v12, s7, v11
	v_add_u32_e32 v14, 1, v12
	v_add_u32_e32 v15, 2, v12
	v_cvt_f32_i32_e32 v13, v12
	v_cvt_f32_i32_e32 v14, v14
	;; [unrolled: 1-line block ×3, first 2 shown]
	v_add_u32_e32 v16, 3, v12
	v_fma_f32 v18, v62, v13, v32
	v_fmac_f32_e32 v33, v62, v14
	v_fma_f32 v48, v62, v15, v30
	v_add_u32_e32 v13, 16, v12
	v_add_u32_e32 v14, 17, v12
	;; [unrolled: 1-line block ×3, first 2 shown]
	v_cvt_f32_i32_e32 v16, v16
	v_cvt_f32_i32_e32 v13, v13
	;; [unrolled: 1-line block ×4, first 2 shown]
	v_fmac_f32_e32 v31, v62, v16
	v_add_u32_e32 v16, 19, v12
	v_fma_f32 v44, v62, v13, v44
	v_fmac_f32_e32 v45, v62, v14
	v_fma_f32 v40, v62, v15, v40
	v_add_u32_e32 v13, 32, v12
	v_add_u32_e32 v14, 33, v12
	;; [unrolled: 1-line block ×3, first 2 shown]
	v_cvt_f32_i32_e32 v16, v16
	v_cvt_f32_i32_e32 v13, v13
	;; [unrolled: 1-line block ×4, first 2 shown]
	v_fmac_f32_e32 v41, v62, v16
	v_add_u32_e32 v16, 35, v12
	v_fma_f32 v42, v62, v13, v42
	v_fmac_f32_e32 v43, v62, v14
	v_fma_f32 v38, v62, v15, v38
	v_add_u32_e32 v13, 48, v12
	v_add_u32_e32 v14, 49, v12
	;; [unrolled: 1-line block ×4, first 2 shown]
	v_cvt_f32_i32_e32 v12, v12
	v_cvt_f32_i32_e32 v13, v13
	;; [unrolled: 1-line block ×3, first 2 shown]
	v_cmp_gt_i32_e64 s[8:9], s7, v10
	v_fmac_f32_e32 v35, v62, v12
	v_mov_b32_e32 v12, 0xff7fffff
	v_cmp_gt_i32_e64 s[10:11], s7, v11
	v_fma_f32 v36, v62, v13, v36
	v_cndmask_b32_e64 v13, v12, v18, s[8:9]
	v_cndmask_b32_e64 v11, v12, v33, s[10:11]
	v_fmac_f32_e32 v37, v62, v14
	v_max3_f32 v11, v13, s40, v11
	v_or_b32_e32 v13, 2, v10
	v_or_b32_e32 v14, 3, v10
	v_cmp_gt_i32_e64 s[12:13], s7, v13
	v_cmp_gt_i32_e64 s[14:15], s7, v14
	v_cvt_f32_i32_e32 v16, v16
	v_cndmask_b32_e64 v13, v12, v48, s[12:13]
	v_cndmask_b32_e64 v14, v12, v31, s[14:15]
	v_max3_f32 v11, v11, v13, v14
	v_or_b32_e32 v13, 16, v10
	v_or_b32_e32 v14, 17, v10
	v_cmp_gt_i32_e64 s[16:17], s7, v13
	v_cmp_gt_i32_e64 s[18:19], s7, v14
	v_fmac_f32_e32 v39, v62, v16
	v_cndmask_b32_e64 v13, v12, v44, s[16:17]
	v_cndmask_b32_e64 v14, v12, v45, s[18:19]
	v_max3_f32 v11, v11, v13, v14
	v_or_b32_e32 v13, 18, v10
	v_or_b32_e32 v14, 19, v10
	v_cmp_gt_i32_e64 s[20:21], s7, v13
	v_cmp_gt_i32_e64 s[22:23], s7, v14
	v_cvt_f32_i32_e32 v15, v15
	v_cndmask_b32_e64 v13, v12, v40, s[20:21]
	v_cndmask_b32_e64 v14, v12, v41, s[22:23]
	v_max3_f32 v11, v11, v13, v14
	v_or_b32_e32 v13, 32, v10
	v_or_b32_e32 v14, 33, v10
	v_cmp_gt_i32_e64 s[24:25], s7, v13
	v_cmp_gt_i32_e64 s[26:27], s7, v14
	v_fma_f32 v34, v62, v15, v34
	v_cndmask_b32_e64 v13, v12, v42, s[24:25]
	v_cndmask_b32_e64 v14, v12, v43, s[26:27]
	v_max3_f32 v11, v11, v13, v14
	v_or_b32_e32 v13, 34, v10
	v_or_b32_e32 v14, 35, v10
	v_cmp_gt_i32_e64 s[28:29], s7, v13
	v_cmp_gt_i32_e64 s[30:31], s7, v14
	s_nop 0
	v_cndmask_b32_e64 v13, v12, v38, s[28:29]
	v_cndmask_b32_e64 v14, v12, v39, s[30:31]
	v_max3_f32 v11, v11, v13, v14
	v_or_b32_e32 v13, 48, v10
	v_or_b32_e32 v14, 49, v10
	v_cmp_gt_i32_e64 s[34:35], s7, v13
	v_cmp_gt_i32_e64 s[36:37], s7, v14
	s_nop 0
	v_cndmask_b32_e64 v13, v12, v36, s[34:35]
	v_cndmask_b32_e64 v14, v12, v37, s[36:37]
	v_max3_f32 v11, v11, v13, v14
	v_or_b32_e32 v13, 50, v10
	v_or_b32_e32 v10, 51, v10
	v_cmp_gt_i32_e32 vcc, s7, v13
	v_cmp_gt_i32_e64 s[4:5], s7, v10
	s_nop 0
	v_cndmask_b32_e32 v13, v12, v34, vcc
	v_cndmask_b32_e64 v10, v12, v35, s[4:5]
	v_max3_f32 v14, v11, v13, v10
	v_mbcnt_lo_u32_b32 v10, -1, 0
	v_mbcnt_hi_u32_b32 v15, -1, v10
	v_and_b32_e32 v10, 64, v15
	v_add_u32_e32 v16, 64, v10
	v_xor_b32_e32 v10, 32, v15
	v_cmp_lt_i32_e64 s[38:39], v10, v16
	s_nop 1
	v_cndmask_b32_e64 v10, v15, v10, s[38:39]
	v_lshlrev_b32_e32 v51, 2, v10
	ds_bpermute_b32 v17, v51, v14
	v_lshl_add_u64 v[10:11], s[46:47], 0, v[58:59]
	v_mad_i64_i32 v[12:13], s[38:39], v63, s45, v[10:11]
	s_waitcnt lgkmcnt(0)
	v_max_f32_e32 v17, v17, v17
	v_max_f32_e32 v19, v14, v17
	v_xor_b32_e32 v14, 16, v15
	v_cmp_lt_i32_e64 s[38:39], v14, v16
	s_nop 1
	v_cndmask_b32_e64 v14, v15, v14, s[38:39]
	v_lshlrev_b32_e32 v58, 2, v14
	ds_bpermute_b32 v20, v58, v19
	v_mad_i64_i32 v[14:15], s[38:39], v53, s45, v[10:11]
	v_mad_i64_i32 v[16:17], s[38:39], v65, s45, v[10:11]
	s_waitcnt lgkmcnt(0)
	v_max_f32_e32 v20, v20, v20
	v_max_f32_e32 v50, v19, v20
	v_sub_f32_e32 v18, v18, v50
	v_sub_f32_e32 v19, v33, v50
	v_mul_f32_e32 v18, 0x3fb8aa3b, v18
	v_mul_f32_e32 v19, 0x3fb8aa3b, v19
	v_exp_f32_e32 v18, v18
	v_exp_f32_e32 v19, v19
	v_sub_f32_e32 v49, v31, v50
	v_mad_i64_i32 v[10:11], s[38:39], v64, s45, v[10:11]
	v_cndmask_b32_e64 v46, 0, v18, s[8:9]
	v_cndmask_b32_e64 v47, 0, v19, s[10:11]
	global_load_dwordx4 v[30:33], v[12:13], off
	global_load_dwordx4 v[18:21], v[14:15], off
	v_sub_f32_e32 v12, v48, v50
	v_mul_f32_e32 v12, 0x3fb8aa3b, v12
	v_exp_f32_e32 v48, v12
	global_load_dwordx4 v[14:17], v[16:17], off
	s_nop 0
	global_load_dwordx4 v[10:13], v[10:11], off
	v_sub_f32_e32 v40, v40, v50
	v_sub_f32_e32 v42, v42, v50
	v_mul_f32_e32 v40, 0x3fb8aa3b, v40
	v_mul_f32_e32 v42, 0x3fb8aa3b, v42
	v_exp_f32_e32 v40, v40
	v_exp_f32_e32 v53, v42
	v_mul_f32_e32 v49, 0x3fb8aa3b, v49
	v_sub_f32_e32 v44, v44, v50
	v_exp_f32_e32 v49, v49
	v_mul_f32_e32 v44, 0x3fb8aa3b, v44
	v_sub_f32_e32 v45, v45, v50
	v_sub_f32_e32 v42, v43, v50
	v_exp_f32_e32 v44, v44
	v_mul_f32_e32 v45, 0x3fb8aa3b, v45
	v_mul_f32_e32 v42, 0x3fb8aa3b, v42
	v_exp_f32_e32 v45, v45
	v_sub_f32_e32 v41, v41, v50
	v_exp_f32_e32 v59, v42
	v_cndmask_b32_e64 v42, 0, v40, s[20:21]
	v_cndmask_b32_e64 v40, 0, v53, s[24:25]
	v_add_f32_e32 v53, 0, v46
	v_cndmask_b32_e64 v48, 0, v48, s[12:13]
	v_mul_f32_e32 v41, 0x3fb8aa3b, v41
	v_add_f32_e32 v53, v53, v47
	v_cndmask_b32_e64 v49, 0, v49, s[14:15]
	v_exp_f32_e32 v41, v41
	v_add_f32_e32 v53, v53, v48
	v_cndmask_b32_e64 v44, 0, v44, s[16:17]
	v_sub_f32_e32 v38, v38, v50
	v_add_f32_e32 v53, v53, v49
	v_cndmask_b32_e64 v45, 0, v45, s[18:19]
	v_sub_f32_e32 v39, v39, v50
	v_mul_f32_e32 v38, 0x3fb8aa3b, v38
	v_add_f32_e32 v53, v53, v44
	v_exp_f32_e32 v38, v38
	v_mul_f32_e32 v39, 0x3fb8aa3b, v39
	v_sub_f32_e32 v36, v36, v50
	v_add_f32_e32 v53, v53, v45
	v_cndmask_b32_e64 v43, 0, v41, s[22:23]
	v_exp_f32_e32 v39, v39
	v_mul_f32_e32 v36, 0x3fb8aa3b, v36
	v_sub_f32_e32 v37, v37, v50
	v_add_f32_e32 v53, v53, v42
	v_exp_f32_e32 v36, v36
	v_mul_f32_e32 v37, 0x3fb8aa3b, v37
	v_add_f32_e32 v53, v53, v43
	v_sub_f32_e32 v34, v34, v50
	v_cndmask_b32_e64 v41, 0, v59, s[26:27]
	v_exp_f32_e32 v37, v37
	v_add_f32_e32 v53, v53, v40
	v_mul_f32_e32 v34, 0x3fb8aa3b, v34
	v_sub_f32_e32 v35, v35, v50
	v_cndmask_b32_e64 v38, 0, v38, s[28:29]
	v_add_f32_e32 v53, v53, v41
	v_exp_f32_e32 v34, v34
	v_mul_f32_e32 v35, 0x3fb8aa3b, v35
	v_cndmask_b32_e64 v39, 0, v39, s[30:31]
	v_add_f32_e32 v53, v53, v38
	v_exp_f32_e32 v35, v35
	v_cndmask_b32_e64 v36, 0, v36, s[34:35]
	v_add_f32_e32 v53, v53, v39
	v_cndmask_b32_e64 v37, 0, v37, s[36:37]
	v_add_f32_e32 v53, v53, v36
	v_add_f32_e32 v53, v53, v37
	v_cndmask_b32_e32 v34, 0, v34, vcc
	v_add_f32_e32 v53, v53, v34
	v_cndmask_b32_e64 v35, 0, v35, s[4:5]
	v_add_f32_e32 v53, v53, v35
	ds_bpermute_b32 v51, v51, v53
	v_cmp_gt_u32_e32 vcc, 16, v55
	s_waitcnt lgkmcnt(0)
	s_barrier
	v_add_f32_e32 v51, v53, v51
	ds_bpermute_b32 v53, v58, v51
	s_and_saveexec_b64 s[4:5], vcc
	s_cbranch_execz .LBB946_15
; %bb.14:
	s_waitcnt lgkmcnt(0)
	v_add_f32_e32 v51, v51, v53
	v_lshlrev_b32_e32 v52, 2, v52
	ds_write2st64_b32 v52, v50, v51 offset1:1
.LBB946_15:
	s_or_b64 exec, exec, s[4:5]
	v_lshlrev_b32_e32 v51, 2, v56
	s_load_dword s7, s[0:1], 0x94
	s_waitcnt lgkmcnt(0)
	s_barrier
	ds_read2_b32 v[52:53], v51 offset1:16
	ds_read2_b32 v[58:59], v51 offset0:32 offset1:48
	ds_read2_b32 v[62:63], v51 offset0:64 offset1:80
	s_mul_i32 s8, s33, 3
	s_waitcnt lgkmcnt(2)
	v_max3_f32 v50, v52, s40, v53
	s_waitcnt lgkmcnt(1)
	v_max3_f32 v50, v50, v58, v59
	v_sub_f32_e32 v52, v52, v50
	v_mul_f32_e32 v52, 0x3fb8aa3b, v52
	v_exp_f32_e32 v55, v52
	v_sub_f32_e32 v52, v53, v50
	v_mul_f32_e32 v52, 0x3fb8aa3b, v52
	v_exp_f32_e32 v64, v52
	;; [unrolled: 3-line block ×3, first 2 shown]
	ds_read2_b32 v[52:53], v51 offset0:96 offset1:112
	v_sub_f32_e32 v51, v59, v50
	v_mul_f32_e32 v51, 0x3fb8aa3b, v51
	v_exp_f32_e32 v59, v51
	s_waitcnt lgkmcnt(1)
	v_fma_f32 v51, v55, v62, 0
	v_fmac_f32_e32 v51, v64, v63
	s_waitcnt lgkmcnt(0)
	v_fmac_f32_e32 v51, v58, v52
	v_fmac_f32_e32 v51, v59, v53
	v_add_f32_e32 v52, 0x358637bd, v51
	v_div_scale_f32 v53, s[4:5], v52, v52, 1.0
	v_rcp_f32_e32 v62, v53
	s_barrier
	v_fma_f32 v63, -v53, v62, 1.0
	v_fmac_f32_e32 v62, v63, v62
	v_div_scale_f32 v63, vcc, 1.0, v52, 1.0
	v_mul_f32_e32 v65, v63, v62
	v_fma_f32 v66, -v53, v65, v63
	v_fmac_f32_e32 v65, v66, v62
	v_fma_f32 v53, -v53, v65, v63
	v_div_fmas_f32 v53, v53, v62, v65
	v_cmp_eq_u32_e32 vcc, 1, v57
	v_div_fixup_f32 v52, v53, v52, 1.0
	s_nop 0
	v_cndmask_b32_e32 v53, v55, v64, vcc
	v_cmp_eq_u32_e32 vcc, 2, v57
	s_nop 1
	v_cndmask_b32_e32 v53, v53, v58, vcc
	v_cmp_eq_u32_e32 vcc, 3, v57
	s_nop 1
	v_cndmask_b32_e32 v53, v53, v59, vcc
	v_mul_f32_e32 v52, v53, v52
	v_pk_mul_f32 v[48:49], v[52:53], v[48:49] op_sel_hi:[0,1]
	v_pk_mul_f32 v[46:47], v[52:53], v[46:47] op_sel_hi:[0,1]
	v_cvt_f16_f32_e32 v53, v48
	v_cvt_f16_f32_e32 v49, v49
	;; [unrolled: 1-line block ×4, first 2 shown]
	v_pk_mul_f32 v[42:43], v[52:53], v[42:43] op_sel_hi:[0,1]
	v_pk_mul_f32 v[44:45], v[52:53], v[44:45] op_sel_hi:[0,1]
	v_pack_b32_f16 v49, v53, v49
	v_cvt_f16_f32_e32 v44, v44
	v_cvt_f16_f32_e32 v45, v45
	;; [unrolled: 1-line block ×4, first 2 shown]
	v_pack_b32_f16 v48, v46, v47
	v_lshlrev_b32_e32 v47, 3, v60
	v_lshlrev_b32_e32 v46, 5, v56
	v_lshlrev_b32_e32 v42, 11, v57
	v_or3_b32 v55, v42, v46, v47
	v_pack_b32_f16 v42, v44, v45
	v_pack_b32_f16 v43, v53, v43
	v_pk_mul_f32 v[38:39], v[52:53], v[38:39] op_sel_hi:[0,1]
	v_pk_mul_f32 v[40:41], v[52:53], v[40:41] op_sel_hi:[0,1]
	;; [unrolled: 1-line block ×4, first 2 shown]
	ds_write2st64_b64 v55, v[48:49], v[42:43] offset1:1
	v_cvt_f16_f32_e32 v40, v40
	v_cvt_f16_f32_e32 v41, v41
	;; [unrolled: 1-line block ×8, first 2 shown]
	v_pack_b32_f16 v34, v40, v41
	v_pack_b32_f16 v35, v38, v39
	;; [unrolled: 1-line block ×4, first 2 shown]
	v_cmp_gt_u32_e32 vcc, 3, v0
	ds_write2st64_b64 v55, v[34:35], v[36:37] offset0:2 offset1:3
	s_and_saveexec_b64 s[4:5], vcc
	s_cbranch_execz .LBB946_17
; %bb.16:
	s_mov_b32 s49, 0
	v_mov_b32_e32 v57, 0
	v_lshl_add_u64 v[34:35], s[48:49], 0, v[56:57]
	v_mov_b32_e32 v36, s8
	v_mad_u64_u32 v[34:35], s[10:11], s2, v36, v[34:35]
	s_mul_i32 s3, s3, s8
	v_mov_b32_e32 v36, s6
	v_mov_b32_e32 v37, v57
	s_load_dwordx4 s[12:15], s[0:1], 0x58
	v_add_u32_e32 v38, s3, v35
	v_mad_u64_u32 v[34:35], s[10:11], v34, s7, v[36:37]
	v_mov_b32_e32 v36, v35
	v_mad_u64_u32 v[36:37], s[10:11], v38, s7, v[36:37]
	v_mov_b32_e32 v35, v36
	v_lshlrev_b64 v[34:35], 2, v[34:35]
	s_waitcnt lgkmcnt(0)
	v_lshl_add_u64 v[36:37], s[14:15], 0, v[34:35]
	v_lshl_add_u64 v[34:35], s[12:13], 0, v[34:35]
	global_store_dword v[36:37], v50, off
	global_store_dword v[34:35], v51, off
.LBB946_17:
	s_or_b64 exec, exec, s[4:5]
	s_waitcnt vmcnt(7)
	v_cvt_pk_f32_fp8_e32 v[34:35], v6
	v_cvt_pk_f32_fp8_sdwa v[36:37], v6 src0_sel:WORD_1
	v_lshl_or_b32 v50, v60, 9, v46
	s_waitcnt lgkmcnt(0)
	s_barrier
	v_cvt_pk_f32_fp8_e32 v[38:39], v7
	v_cvt_pkrtz_f16_f32 v6, v34, v35
	v_cvt_pk_f32_fp8_sdwa v[40:41], v7 src0_sel:WORD_1
	v_cvt_pkrtz_f16_f32 v7, v36, v37
	ds_read_b128 v[34:37], v50
	v_cvt_pkrtz_f16_f32 v46, v38, v39
	v_cvt_pkrtz_f16_f32 v47, v40, v41
	ds_read_b128 v[38:41], v50 offset:16
	v_cvt_pk_f32_fp8_e32 v[48:49], v8
	v_cvt_pk_f32_fp8_sdwa v[52:53], v8 src0_sel:WORD_1
	s_waitcnt lgkmcnt(1)
	v_mfma_f32_16x16x16_f16 v[42:45], v[6:7], v[34:35], 0
	s_waitcnt vmcnt(6)
	v_cvt_pk_f32_fp8_e32 v[58:59], v4
	v_cvt_pkrtz_f16_f32 v6, v48, v49
	v_cvt_pkrtz_f16_f32 v7, v52, v53
	v_cvt_pk_f32_fp8_e32 v[48:49], v9
	v_mfma_f32_16x16x16_f16 v[42:45], v[46:47], v[36:37], v[42:45]
	v_cvt_pk_f32_fp8_sdwa v[46:47], v9 src0_sel:WORD_1
	v_cvt_pk_f32_fp8_sdwa v[62:63], v4 src0_sel:WORD_1
	v_cvt_pkrtz_f16_f32 v48, v48, v49
	s_waitcnt lgkmcnt(0)
	v_mfma_f32_16x16x16_f16 v[6:9], v[6:7], v[38:39], v[42:45]
	v_cvt_pkrtz_f16_f32 v49, v46, v47
	s_waitcnt vmcnt(5)
	v_cvt_pk_f32_fp8_sdwa v[66:67], v28 src0_sel:WORD_1
	s_waitcnt vmcnt(4)
	v_cvt_pk_f32_fp8_sdwa v[68:69], v24 src0_sel:WORD_1
	v_cvt_pk_f32_fp8_e32 v[42:43], v2
	v_mfma_f32_16x16x16_f16 v[46:49], v[48:49], v[40:41], v[6:9]
	s_waitcnt vmcnt(3)
	v_cvt_pk_f32_fp8_sdwa v[70:71], v32 src0_sel:WORD_1
	s_load_dword s4, s[42:43], 0x0
	v_cvt_pk_f32_fp8_sdwa v[6:7], v2 src0_sel:WORD_1
	v_cvt_pk_f32_fp8_e32 v[8:9], v3
	v_cvt_pkrtz_f16_f32 v2, v42, v43
	v_cvt_pk_f32_fp8_sdwa v[42:43], v3 src0_sel:WORD_1
	v_cvt_pkrtz_f16_f32 v3, v6, v7
	v_cvt_pkrtz_f16_f32 v52, v8, v9
	ds_read_b128 v[6:9], v50 offset:2048
	v_cvt_pkrtz_f16_f32 v53, v42, v43
	ds_read_b128 v[42:45], v50 offset:2064
	s_waitcnt lgkmcnt(0)
	v_mfma_f32_16x16x16_f16 v[46:49], v[2:3], v[6:7], v[46:49]
	v_cvt_pkrtz_f16_f32 v2, v58, v59
	v_cvt_pkrtz_f16_f32 v3, v62, v63
	v_cvt_pk_f32_fp8_e32 v[58:59], v5
	v_mfma_f32_16x16x16_f16 v[46:49], v[52:53], v[8:9], v[46:49]
	v_cvt_pk_f32_fp8_sdwa v[52:53], v5 src0_sel:WORD_1
	v_cmp_gt_u32_e32 vcc, 64, v0
	v_cvt_pkrtz_f16_f32 v58, v58, v59
	v_mfma_f32_16x16x16_f16 v[2:5], v[2:3], v[42:43], v[46:49]
	v_cvt_pkrtz_f16_f32 v59, v52, v53
	s_mov_b32 s3, 0
	s_nop 0
	v_cvt_pk_f32_fp8_e32 v[46:47], v26
	v_mfma_f32_16x16x16_f16 v[62:65], v[58:59], v[44:45], v[2:5]
	v_cvt_pk_f32_fp8_e32 v[58:59], v28
	s_nop 1
	v_cvt_pk_f32_fp8_sdwa v[2:3], v26 src0_sel:WORD_1
	v_cvt_pk_f32_fp8_e32 v[4:5], v27
	v_cvt_pkrtz_f16_f32 v26, v46, v47
	v_cvt_pk_f32_fp8_sdwa v[46:47], v27 src0_sel:WORD_1
	v_cvt_pkrtz_f16_f32 v27, v2, v3
	v_cvt_pkrtz_f16_f32 v52, v4, v5
	ds_read_b128 v[2:5], v50 offset:4096
	v_cvt_pkrtz_f16_f32 v53, v46, v47
	ds_read_b128 v[46:49], v50 offset:4112
	s_waitcnt lgkmcnt(1)
	v_mfma_f32_16x16x16_f16 v[62:65], v[26:27], v[2:3], v[62:65]
	v_cvt_pkrtz_f16_f32 v26, v58, v59
	v_cvt_pkrtz_f16_f32 v27, v66, v67
	v_cvt_pk_f32_fp8_e32 v[58:59], v29
	v_mfma_f32_16x16x16_f16 v[62:65], v[52:53], v[4:5], v[62:65]
	v_cvt_pk_f32_fp8_sdwa v[52:53], v29 src0_sel:WORD_1
	v_cvt_pk_f32_fp8_e32 v[66:67], v24
	v_cvt_pkrtz_f16_f32 v58, v58, v59
	s_waitcnt lgkmcnt(0)
	v_mfma_f32_16x16x16_f16 v[26:29], v[26:27], v[46:47], v[62:65]
	v_cvt_pkrtz_f16_f32 v59, v52, v53
	v_cvt_pk_f32_fp8_e32 v[52:53], v22
	s_nop 0
	v_mfma_f32_16x16x16_f16 v[62:65], v[58:59], v[48:49], v[26:29]
	s_nop 2
	v_cvt_pk_f32_fp8_sdwa v[26:27], v22 src0_sel:WORD_1
	v_cvt_pk_f32_fp8_e32 v[28:29], v23
	v_cvt_pkrtz_f16_f32 v22, v52, v53
	v_cvt_pk_f32_fp8_sdwa v[52:53], v23 src0_sel:WORD_1
	v_cvt_pkrtz_f16_f32 v23, v26, v27
	v_cvt_pkrtz_f16_f32 v58, v28, v29
	ds_read_b128 v[26:29], v50 offset:6144
	v_cvt_pkrtz_f16_f32 v59, v52, v53
	s_waitcnt lgkmcnt(0)
	v_mfma_f32_16x16x16_f16 v[62:65], v[22:23], v[26:27], v[62:65]
	ds_read_b128 v[50:53], v50 offset:6160
	v_cvt_pkrtz_f16_f32 v22, v66, v67
	v_cvt_pkrtz_f16_f32 v23, v68, v69
	v_cvt_pk_f32_fp8_e32 v[66:67], v25
	v_mfma_f32_16x16x16_f16 v[62:65], v[58:59], v[28:29], v[62:65]
	v_cvt_pk_f32_fp8_sdwa v[58:59], v25 src0_sel:WORD_1
	v_cvt_pk_f32_fp8_e32 v[68:69], v32
	v_cvt_pkrtz_f16_f32 v66, v66, v67
	s_waitcnt lgkmcnt(0)
	v_mfma_f32_16x16x16_f16 v[22:25], v[22:23], v[50:51], v[62:65]
	v_cvt_pkrtz_f16_f32 v67, v58, v59
	v_cvt_pk_f32_fp8_e32 v[58:59], v30
	s_nop 0
	v_cvt_pk_f32_fp8_sdwa v[62:63], v30 src0_sel:WORD_1
	v_cvt_pk_f32_fp8_e32 v[64:65], v31
	v_cvt_pkrtz_f16_f32 v58, v58, v59
	v_cvt_pk_f32_fp8_sdwa v[30:31], v31 src0_sel:WORD_1
	v_cvt_pkrtz_f16_f32 v59, v62, v63
	v_mfma_f32_16x16x16_f16 v[22:25], v[66:67], v[52:53], v[22:25]
	v_cvt_pkrtz_f16_f32 v66, v64, v65
	v_cvt_pkrtz_f16_f32 v67, v30, v31
	;; [unrolled: 1-line block ×3, first 2 shown]
	v_mfma_f32_16x16x16_f16 v[62:65], v[58:59], v[34:35], 0
	v_cvt_pkrtz_f16_f32 v31, v70, v71
	v_cvt_pk_f32_fp8_e32 v[58:59], v33
	s_barrier
	v_mfma_f32_16x16x16_f16 v[34:37], v[66:67], v[36:37], v[62:65]
	v_cvt_pkrtz_f16_f32 v58, v58, v59
	s_nop 1
	v_cvt_pk_f32_fp8_sdwa v[62:63], v33 src0_sel:WORD_1
	v_mfma_f32_16x16x16_f16 v[30:33], v[30:31], v[38:39], v[34:37]
	s_waitcnt vmcnt(2)
	v_cvt_pk_f32_fp8_e32 v[38:39], v19
	v_cvt_pkrtz_f16_f32 v59, v62, v63
	v_cvt_pk_f32_fp8_e32 v[34:35], v18
	v_cvt_pk_f32_fp8_sdwa v[36:37], v18 src0_sel:WORD_1
	v_cvt_pk_f32_fp8_sdwa v[18:19], v19 src0_sel:WORD_1
	v_mfma_f32_16x16x16_f16 v[30:33], v[58:59], v[40:41], v[30:33]
	v_cvt_pkrtz_f16_f32 v34, v34, v35
	v_cvt_pkrtz_f16_f32 v35, v36, v37
	;; [unrolled: 1-line block ×3, first 2 shown]
	v_cvt_pk_f32_fp8_e32 v[38:39], v20
	v_cvt_pk_f32_fp8_sdwa v[40:41], v20 src0_sel:WORD_1
	v_cvt_pkrtz_f16_f32 v37, v18, v19
	v_mfma_f32_16x16x16_f16 v[30:33], v[34:35], v[6:7], v[30:33]
	v_cvt_pkrtz_f16_f32 v18, v38, v39
	v_cvt_pkrtz_f16_f32 v19, v40, v41
	v_cvt_pk_f32_fp8_e32 v[34:35], v21
	v_cvt_pk_f32_fp8_sdwa v[20:21], v21 src0_sel:WORD_1
	v_mfma_f32_16x16x16_f16 v[6:9], v[36:37], v[8:9], v[30:33]
	s_nop 2
	v_cvt_pkrtz_f16_f32 v30, v34, v35
	v_cvt_pkrtz_f16_f32 v31, v20, v21
	v_mfma_f32_16x16x16_f16 v[6:9], v[18:19], v[42:43], v[6:9]
	s_waitcnt vmcnt(1)
	v_cvt_pk_f32_fp8_e32 v[18:19], v14
	v_cvt_pk_f32_fp8_sdwa v[20:21], v14 src0_sel:WORD_1
	v_cvt_pk_f32_fp8_sdwa v[32:33], v16 src0_sel:WORD_1
	v_mfma_f32_16x16x16_f16 v[6:9], v[30:31], v[44:45], v[6:9]
	v_cvt_pk_f32_fp8_e32 v[30:31], v15
	v_cvt_pkrtz_f16_f32 v18, v18, v19
	v_cvt_pkrtz_f16_f32 v19, v20, v21
	v_cvt_pk_f32_fp8_sdwa v[14:15], v15 src0_sel:WORD_1
	v_cvt_pkrtz_f16_f32 v20, v30, v31
	v_cvt_pk_f32_fp8_e32 v[30:31], v16
	v_mfma_f32_16x16x16_f16 v[6:9], v[18:19], v[2:3], v[6:9]
	v_cvt_pkrtz_f16_f32 v21, v14, v15
	v_cvt_pkrtz_f16_f32 v14, v30, v31
	;; [unrolled: 1-line block ×3, first 2 shown]
	v_cvt_pk_f32_fp8_e32 v[18:19], v17
	v_cvt_pk_f32_fp8_sdwa v[16:17], v17 src0_sel:WORD_1
	v_mfma_f32_16x16x16_f16 v[2:5], v[20:21], v[4:5], v[6:9]
	s_waitcnt vmcnt(0)
	v_cvt_pk_f32_fp8_sdwa v[20:21], v12 src0_sel:WORD_1
	s_nop 0
	v_cvt_pkrtz_f16_f32 v8, v18, v19
	v_cvt_pkrtz_f16_f32 v9, v16, v17
	v_mfma_f32_16x16x16_f16 v[2:5], v[14:15], v[46:47], v[2:5]
	v_cvt_pk_f32_fp8_e32 v[16:17], v10
	v_cvt_pk_f32_fp8_sdwa v[18:19], v10 src0_sel:WORD_1
	v_pk_mul_f32 v[6:7], v[24:25], s[4:5] op_sel_hi:[1,0]
	v_mfma_f32_16x16x16_f16 v[2:5], v[8:9], v[48:49], v[2:5]
	v_cvt_pk_f32_fp8_e32 v[8:9], v11
	v_cvt_pkrtz_f16_f32 v16, v16, v17
	v_cvt_pkrtz_f16_f32 v17, v18, v19
	v_cvt_pk_f32_fp8_sdwa v[10:11], v11 src0_sel:WORD_1
	v_cvt_pkrtz_f16_f32 v8, v8, v9
	v_cvt_pk_f32_fp8_e32 v[18:19], v12
	v_mfma_f32_16x16x16_f16 v[2:5], v[16:17], v[26:27], v[2:5]
	v_cvt_pkrtz_f16_f32 v9, v10, v11
	v_cvt_pkrtz_f16_f32 v10, v18, v19
	;; [unrolled: 1-line block ×3, first 2 shown]
	v_cvt_pk_f32_fp8_e32 v[16:17], v13
	v_cvt_pk_f32_fp8_sdwa v[12:13], v13 src0_sel:WORD_1
	v_mfma_f32_16x16x16_f16 v[2:5], v[8:9], v[28:29], v[2:5]
	v_pk_mul_f32 v[14:15], v[22:23], s[4:5] op_sel_hi:[1,0]
	v_cvt_pkrtz_f16_f32 v8, v16, v17
	v_cvt_pkrtz_f16_f32 v9, v12, v13
	v_mfma_f32_16x16x16_f16 v[2:5], v[10:11], v[50:51], v[2:5]
	v_cvt_f16_f32_e32 v14, v14
	v_cvt_f16_f32_e32 v10, v15
	v_cvt_f16_f32_e32 v6, v6
	v_mfma_f32_16x16x16_f16 v[2:5], v[8:9], v[52:53], v[2:5]
	v_cvt_f16_f32_e32 v7, v7
	s_nop 5
	v_pk_mul_f32 v[4:5], v[4:5], s[4:5] op_sel_hi:[1,0]
	v_pk_mul_f32 v[2:3], v[2:3], s[4:5] op_sel_hi:[1,0]
	v_cvt_f16_f32_e32 v11, v4
	v_cvt_f16_f32_e32 v8, v2
	v_cvt_f16_f32_e32 v9, v3
	v_cvt_f16_f32_e32 v5, v5
	v_cmp_ne_u32_e64 s[4:5], 3, v60
	v_pack_b32_f16 v2, v14, v10
	v_pack_b32_f16 v3, v6, v7
	v_pack_b32_f16 v4, v8, v9
	v_pack_b32_f16 v5, v11, v5
	s_and_b64 s[4:5], vcc, s[4:5]
	ds_write2st64_b64 v55, v[2:3], v[4:5] offset1:1
	s_waitcnt lgkmcnt(0)
	s_barrier
	s_and_saveexec_b64 s[10:11], s[4:5]
	s_cbranch_execz .LBB946_19
; %bb.18:
	s_load_dwordx2 s[0:1], s[0:1], 0x68
	s_mul_i32 s2, s8, s2
	s_lshl_b32 s7, s7, 7
	v_lshlrev_b32_e32 v4, 6, v56
	s_mul_hi_u32 s5, s2, s7
	s_mul_i32 s4, s2, s7
	v_lshl_or_b32 v0, v0, 10, v4
	s_lshl_b64 s[4:5], s[4:5], 1
	v_lshlrev_b32_e32 v2, 5, v60
	v_and_b32_e32 v3, 16, v61
	v_and_b32_e32 v0, 0x1a00, v0
	s_waitcnt lgkmcnt(0)
	s_add_u32 s4, s0, s4
	v_or3_b32 v0, v0, v2, v3
	s_addc_u32 s5, s1, s5
	s_lshl_b32 s2, s6, 7
	ds_read_b128 v[2:5], v0
	s_lshl_b64 s[0:1], s[2:3], 1
	s_add_u32 s0, s4, s0
	s_addc_u32 s1, s5, s1
	v_mad_u64_u32 v[0:1], s[2:3], s7, v1, 0
	v_lshl_add_u64 v[0:1], v[0:1], 1, s[0:1]
	v_mov_b32_e32 v55, 0
	v_lshl_add_u64 v[0:1], v[0:1], 0, v[54:55]
	s_waitcnt lgkmcnt(0)
	global_store_dwordx4 v[0:1], v[2:5], off
.LBB946_19:
	s_endpgm
	.section	.rodata,"a",@progbits
	.p2align	6, 0x0
	.amdhsa_kernel _Z39paged_attention_ll4mi_QKV_mfma16_kernelIDF16_hLN4vllm18Fp8KVCacheDataTypeE1EhLi16ELi128ELi256ELb1ELi3EEvPKT_PKT0_S7_ifPKiS9_S9_iPKfiiiPfSC_PS2_PT2_iSB_SB_
		.amdhsa_group_segment_fixed_size 8192
		.amdhsa_private_segment_fixed_size 0
		.amdhsa_kernarg_size 400
		.amdhsa_user_sgpr_count 2
		.amdhsa_user_sgpr_dispatch_ptr 0
		.amdhsa_user_sgpr_queue_ptr 0
		.amdhsa_user_sgpr_kernarg_segment_ptr 1
		.amdhsa_user_sgpr_dispatch_id 0
		.amdhsa_user_sgpr_kernarg_preload_length 0
		.amdhsa_user_sgpr_kernarg_preload_offset 0
		.amdhsa_user_sgpr_private_segment_size 0
		.amdhsa_uses_dynamic_stack 0
		.amdhsa_enable_private_segment 0
		.amdhsa_system_sgpr_workgroup_id_x 1
		.amdhsa_system_sgpr_workgroup_id_y 1
		.amdhsa_system_sgpr_workgroup_id_z 1
		.amdhsa_system_sgpr_workgroup_info 0
		.amdhsa_system_vgpr_workitem_id 0
		.amdhsa_next_free_vgpr 77
		.amdhsa_next_free_sgpr 50
		.amdhsa_accum_offset 80
		.amdhsa_reserve_vcc 1
		.amdhsa_float_round_mode_32 0
		.amdhsa_float_round_mode_16_64 0
		.amdhsa_float_denorm_mode_32 3
		.amdhsa_float_denorm_mode_16_64 3
		.amdhsa_dx10_clamp 1
		.amdhsa_ieee_mode 1
		.amdhsa_fp16_overflow 0
		.amdhsa_tg_split 0
		.amdhsa_exception_fp_ieee_invalid_op 0
		.amdhsa_exception_fp_denorm_src 0
		.amdhsa_exception_fp_ieee_div_zero 0
		.amdhsa_exception_fp_ieee_overflow 0
		.amdhsa_exception_fp_ieee_underflow 0
		.amdhsa_exception_fp_ieee_inexact 0
		.amdhsa_exception_int_div_zero 0
	.end_amdhsa_kernel
	.section	.text._Z39paged_attention_ll4mi_QKV_mfma16_kernelIDF16_hLN4vllm18Fp8KVCacheDataTypeE1EhLi16ELi128ELi256ELb1ELi3EEvPKT_PKT0_S7_ifPKiS9_S9_iPKfiiiPfSC_PS2_PT2_iSB_SB_,"axG",@progbits,_Z39paged_attention_ll4mi_QKV_mfma16_kernelIDF16_hLN4vllm18Fp8KVCacheDataTypeE1EhLi16ELi128ELi256ELb1ELi3EEvPKT_PKT0_S7_ifPKiS9_S9_iPKfiiiPfSC_PS2_PT2_iSB_SB_,comdat
.Lfunc_end946:
	.size	_Z39paged_attention_ll4mi_QKV_mfma16_kernelIDF16_hLN4vllm18Fp8KVCacheDataTypeE1EhLi16ELi128ELi256ELb1ELi3EEvPKT_PKT0_S7_ifPKiS9_S9_iPKfiiiPfSC_PS2_PT2_iSB_SB_, .Lfunc_end946-_Z39paged_attention_ll4mi_QKV_mfma16_kernelIDF16_hLN4vllm18Fp8KVCacheDataTypeE1EhLi16ELi128ELi256ELb1ELi3EEvPKT_PKT0_S7_ifPKiS9_S9_iPKfiiiPfSC_PS2_PT2_iSB_SB_
                                        ; -- End function
	.section	.AMDGPU.csdata,"",@progbits
; Kernel info:
; codeLenInByte = 6252
; NumSgprs: 56
; NumVgprs: 77
; NumAgprs: 0
; TotalNumVgprs: 77
; ScratchSize: 0
; MemoryBound: 0
; FloatMode: 240
; IeeeMode: 1
; LDSByteSize: 8192 bytes/workgroup (compile time only)
; SGPRBlocks: 6
; VGPRBlocks: 9
; NumSGPRsForWavesPerEU: 56
; NumVGPRsForWavesPerEU: 77
; AccumOffset: 80
; Occupancy: 6
; WaveLimiterHint : 1
; COMPUTE_PGM_RSRC2:SCRATCH_EN: 0
; COMPUTE_PGM_RSRC2:USER_SGPR: 2
; COMPUTE_PGM_RSRC2:TRAP_HANDLER: 0
; COMPUTE_PGM_RSRC2:TGID_X_EN: 1
; COMPUTE_PGM_RSRC2:TGID_Y_EN: 1
; COMPUTE_PGM_RSRC2:TGID_Z_EN: 1
; COMPUTE_PGM_RSRC2:TIDIG_COMP_CNT: 0
; COMPUTE_PGM_RSRC3_GFX90A:ACCUM_OFFSET: 19
; COMPUTE_PGM_RSRC3_GFX90A:TG_SPLIT: 0
	.section	.text._Z39paged_attention_ll4mi_QKV_mfma16_kernelIDF16_hLN4vllm18Fp8KVCacheDataTypeE1EhLi16ELi128ELi256ELb1ELi4EEvPKT_PKT0_S7_ifPKiS9_S9_iPKfiiiPfSC_PS2_PT2_iSB_SB_,"axG",@progbits,_Z39paged_attention_ll4mi_QKV_mfma16_kernelIDF16_hLN4vllm18Fp8KVCacheDataTypeE1EhLi16ELi128ELi256ELb1ELi4EEvPKT_PKT0_S7_ifPKiS9_S9_iPKfiiiPfSC_PS2_PT2_iSB_SB_,comdat
	.protected	_Z39paged_attention_ll4mi_QKV_mfma16_kernelIDF16_hLN4vllm18Fp8KVCacheDataTypeE1EhLi16ELi128ELi256ELb1ELi4EEvPKT_PKT0_S7_ifPKiS9_S9_iPKfiiiPfSC_PS2_PT2_iSB_SB_ ; -- Begin function _Z39paged_attention_ll4mi_QKV_mfma16_kernelIDF16_hLN4vllm18Fp8KVCacheDataTypeE1EhLi16ELi128ELi256ELb1ELi4EEvPKT_PKT0_S7_ifPKiS9_S9_iPKfiiiPfSC_PS2_PT2_iSB_SB_
	.globl	_Z39paged_attention_ll4mi_QKV_mfma16_kernelIDF16_hLN4vllm18Fp8KVCacheDataTypeE1EhLi16ELi128ELi256ELb1ELi4EEvPKT_PKT0_S7_ifPKiS9_S9_iPKfiiiPfSC_PS2_PT2_iSB_SB_
	.p2align	8
	.type	_Z39paged_attention_ll4mi_QKV_mfma16_kernelIDF16_hLN4vllm18Fp8KVCacheDataTypeE1EhLi16ELi128ELi256ELb1ELi4EEvPKT_PKT0_S7_ifPKiS9_S9_iPKfiiiPfSC_PS2_PT2_iSB_SB_,@function
_Z39paged_attention_ll4mi_QKV_mfma16_kernelIDF16_hLN4vllm18Fp8KVCacheDataTypeE1EhLi16ELi128ELi256ELb1ELi4EEvPKT_PKT0_S7_ifPKiS9_S9_iPKfiiiPfSC_PS2_PT2_iSB_SB_: ; @_Z39paged_attention_ll4mi_QKV_mfma16_kernelIDF16_hLN4vllm18Fp8KVCacheDataTypeE1EhLi16ELi128ELi256ELb1ELi4EEvPKT_PKT0_S7_ifPKiS9_S9_iPKfiiiPfSC_PS2_PT2_iSB_SB_
; %bb.0:
	s_load_dwordx2 s[8:9], s[0:1], 0x30
	s_mov_b32 s12, s3
	s_mov_b64 s[6:7], 0
	s_waitcnt lgkmcnt(0)
	s_cmp_lg_u64 s[8:9], 0
	s_cselect_b64 s[10:11], -1, 0
	s_and_b64 vcc, exec, s[10:11]
	s_cbranch_vccz .LBB947_7
; %bb.1:
	s_add_i32 s14, s2, 1
	s_mov_b32 s15, 0
	s_lshl_b64 s[16:17], s[14:15], 2
	s_add_u32 s16, s8, s16
	s_mov_b32 s3, s15
	s_addc_u32 s17, s9, s17
	s_lshl_b64 s[14:15], s[2:3], 2
	s_add_u32 s14, s8, s14
	s_addc_u32 s15, s9, s15
	s_load_dword s5, s[16:17], 0x0
	s_load_dword s13, s[14:15], 0x0
	s_waitcnt lgkmcnt(0)
	s_sub_i32 s5, s5, s13
	s_cmp_eq_u32 s5, 1
	s_cselect_b64 s[14:15], -1, 0
	s_andn2_b64 vcc, exec, s[6:7]
	s_cbranch_vccnz .LBB947_3
.LBB947_2:
	s_mov_b32 s3, 0
	s_mov_b64 s[14:15], -1
.LBB947_3:
	s_andn2_b64 vcc, exec, s[14:15]
	s_cbranch_vccnz .LBB947_19
; %bb.4:
	s_load_dwordx2 s[6:7], s[0:1], 0x28
	s_lshl_b64 s[14:15], s[2:3], 2
	s_waitcnt lgkmcnt(0)
	s_add_u32 s6, s6, s14
	s_addc_u32 s7, s7, s15
	s_load_dword s33, s[6:7], 0x0
	s_lshl_b32 s18, s12, 8
	s_waitcnt lgkmcnt(0)
	s_cmp_ge_i32 s18, s33
	s_cbranch_scc1 .LBB947_19
; %bb.5:
	s_load_dwordx2 s[6:7], s[0:1], 0x20
	s_load_dword s5, s[0:1], 0x38
	s_add_i32 s13, s33, 15
	s_ashr_i32 s16, s13, 31
	v_and_b32_e32 v1, 0xcf, v0
	s_lshr_b32 s16, s16, 28
	v_add_u32_e32 v1, s18, v1
	s_add_i32 s13, s13, s16
	v_ashrrev_i32_e32 v2, 31, v1
	s_ashr_i32 s19, s13, 4
	v_lshrrev_b32_e32 v4, 28, v2
	s_add_i32 s19, s19, -1
	s_waitcnt lgkmcnt(0)
	s_mul_i32 s16, s2, s5
	s_mov_b32 s17, 0
	v_add_u32_e32 v2, v1, v4
	s_lshl_b64 s[16:17], s[16:17], 2
	v_ashrrev_i32_e32 v2, 4, v2
	v_mov_b32_e32 v5, s19
	v_cmp_gt_i32_e32 vcc, s33, v1
	s_add_u32 s6, s6, s16
	s_addc_u32 s7, s7, s17
	v_cndmask_b32_e32 v2, v5, v2, vcc
	v_ashrrev_i32_e32 v3, 31, v2
	v_lshl_add_u64 v[6:7], v[2:3], 2, s[6:7]
	v_or_b32_e32 v2, 16, v1
	v_add_u32_e32 v3, v2, v4
	v_ashrrev_i32_e32 v3, 4, v3
	v_cmp_gt_i32_e32 vcc, s33, v2
	s_load_dwordx2 s[16:17], s[0:1], 0x8
	s_nop 0
	v_cndmask_b32_e32 v2, v5, v3, vcc
	v_ashrrev_i32_e32 v3, 31, v2
	v_lshl_add_u64 v[8:9], v[2:3], 2, s[6:7]
	v_or_b32_e32 v2, 32, v1
	v_add_u32_e32 v3, v2, v4
	v_ashrrev_i32_e32 v3, 4, v3
	v_cmp_gt_i32_e32 vcc, s33, v2
	v_or_b32_e32 v1, 48, v1
	s_nop 0
	v_cndmask_b32_e32 v2, v5, v3, vcc
	v_ashrrev_i32_e32 v3, 31, v2
	v_lshl_add_u64 v[10:11], v[2:3], 2, s[6:7]
	v_add_u32_e32 v2, v1, v4
	v_ashrrev_i32_e32 v2, 4, v2
	v_cmp_gt_i32_e32 vcc, s33, v1
	s_nop 1
	v_cndmask_b32_e32 v2, v5, v2, vcc
	v_ashrrev_i32_e32 v3, 31, v2
	v_lshl_add_u64 v[12:13], v[2:3], 2, s[6:7]
	global_load_dword v4, v[6:7], off
	global_load_dword v3, v[8:9], off
	;; [unrolled: 1-line block ×4, first 2 shown]
	s_andn2_b64 vcc, exec, s[10:11]
	s_cbranch_vccnz .LBB947_8
; %bb.6:
	s_add_u32 s8, s8, s14
	s_addc_u32 s9, s9, s15
	s_load_dword s5, s[8:9], 0x0
	s_branch .LBB947_9
.LBB947_7:
	s_mov_b64 s[14:15], 0
	s_branch .LBB947_2
.LBB947_8:
	s_mov_b32 s5, s2
.LBB947_9:
	s_load_dwordx2 s[8:9], s[0:1], 0x10
	s_load_dwordx4 s[44:47], s[0:1], 0x48
	v_and_b32_e32 v60, 15, v0
	v_bfe_u32 v63, v0, 4, 2
	s_lshl_b32 s13, s4, 2
	v_lshlrev_b32_e32 v5, 3, v60
	v_lshrrev_b32_e32 v64, 6, v0
	v_or_b32_e32 v1, s13, v63
	v_cmp_gt_u32_e64 s[14:15], 64, v0
	v_lshlrev_b32_e32 v54, 1, v5
	v_lshlrev_b32_e32 v61, 5, v63
	;; [unrolled: 1-line block ×3, first 2 shown]
	s_and_saveexec_b64 s[10:11], s[14:15]
	s_cbranch_execz .LBB947_11
; %bb.10:
	s_load_dwordx2 s[20:21], s[0:1], 0x0
	s_waitcnt lgkmcnt(0)
	s_ashr_i32 s22, s44, 31
	s_mul_hi_u32 s23, s5, s44
	s_mul_i32 s22, s5, s22
	s_add_i32 s23, s23, s22
	s_mul_i32 s22, s5, s44
	s_lshl_b64 s[22:23], s[22:23], 1
	s_add_u32 s20, s20, s22
	v_lshlrev_b32_e32 v6, 7, v1
	s_addc_u32 s21, s21, s23
	v_ashrrev_i32_e32 v7, 31, v6
	v_lshl_add_u64 v[6:7], v[6:7], 1, s[20:21]
	v_mov_b32_e32 v55, 0
	v_lshl_add_u64 v[6:7], v[6:7], 0, v[54:55]
	global_load_dwordx4 v[6:9], v[6:7], off
	v_lshlrev_b32_e32 v10, 8, v0
	v_lshlrev_b32_e32 v5, 8, v60
	v_and_b32_e32 v10, 0x600, v10
	s_movk_i32 s5, 0x800
	v_and_or_b32 v5, v5, s5, v10
	v_lshl_or_b32 v10, v64, 7, v61
	v_and_b32_e32 v11, 16, v62
	v_or3_b32 v5, v5, v10, v11
	s_waitcnt vmcnt(0)
	ds_write_b128 v5, v[6:9]
.LBB947_11:
	s_or_b64 exec, exec, s[10:11]
	s_waitcnt lgkmcnt(0)
	s_mul_i32 s10, s4, s46
	s_add_u32 s4, s16, s10
	s_addc_u32 s5, s17, 0
	v_and_b32_e32 v56, 0xf0, v62
	v_mov_b32_e32 v57, 0
	v_and_b32_e32 v46, 48, v0
	v_lshl_add_u64 v[20:21], s[4:5], 0, v[56:57]
	v_lshlrev_b32_e32 v56, 4, v46
	s_waitcnt vmcnt(3)
	v_mad_i64_i32 v[4:5], s[4:5], v4, s45, v[20:21]
	v_lshl_add_u64 v[4:5], v[4:5], 0, v[56:57]
	s_barrier
	global_load_dwordx4 v[42:45], v[4:5], off
	global_load_dwordx4 v[14:17], v[4:5], off offset:1024
	s_waitcnt vmcnt(4)
	v_mad_i64_i32 v[4:5], s[4:5], v3, s45, v[20:21]
	s_waitcnt vmcnt(3)
	v_mad_i64_i32 v[2:3], s[4:5], v2, s45, v[20:21]
	s_waitcnt vmcnt(2)
	v_mad_i64_i32 v[18:19], s[4:5], v18, s45, v[20:21]
	v_lshl_add_u64 v[4:5], v[4:5], 0, v[56:57]
	v_lshl_add_u64 v[22:23], v[2:3], 0, v[56:57]
	;; [unrolled: 1-line block ×3, first 2 shown]
	global_load_dwordx4 v[10:13], v[4:5], off
	global_load_dwordx4 v[6:9], v[4:5], off offset:1024
	s_nop 0
	global_load_dwordx4 v[2:5], v[22:23], off
	global_load_dwordx4 v[50:53], v[22:23], off offset:1024
	global_load_dwordx4 v[34:37], v[18:19], off
	s_nop 0
	global_load_dwordx4 v[22:25], v[18:19], off offset:1024
	v_and_b32_e32 v18, 3, v0
	v_lshlrev_b32_e32 v18, 5, v18
	v_lshl_or_b32 v18, v63, 9, v18
	ds_read_b128 v[38:41], v18
	ds_read_b128 v[30:33], v18 offset:16
	ds_read_b128 v[26:29], v18 offset:2048
	;; [unrolled: 1-line block ×3, first 2 shown]
	v_and_b32_e32 v55, 63, v0
	v_cmp_gt_u32_e32 vcc, 4, v60
	v_mov_b32_e32 v65, 0
	s_and_saveexec_b64 s[4:5], vcc
	s_cbranch_execz .LBB947_13
; %bb.12:
	s_load_dwordx2 s[16:17], s[0:1], 0x40
	v_or_b32_e32 v48, s13, v60
	v_ashrrev_i32_e32 v49, 31, v48
	s_waitcnt lgkmcnt(0)
	v_lshl_add_u64 v[48:49], v[48:49], 2, s[16:17]
	global_load_dword v65, v[48:49], off
.LBB947_13:
	s_or_b64 exec, exec, s[4:5]
	s_waitcnt vmcnt(7)
	v_cvt_pk_f32_fp8_e32 v[58:59], v42
	v_cvt_pk_f32_fp8_sdwa v[68:69], v42 src0_sel:WORD_1
	v_cvt_pk_f32_fp8_e32 v[70:71], v43
	v_cvt_pk_f32_fp8_sdwa v[42:43], v43 src0_sel:WORD_1
	v_cvt_pkrtz_f16_f32 v58, v58, v59
	v_cvt_pkrtz_f16_f32 v59, v68, v69
	;; [unrolled: 1-line block ×3, first 2 shown]
	v_cvt_pk_f32_fp8_e32 v[74:75], v44
	v_cvt_pk_f32_fp8_sdwa v[76:77], v44 src0_sel:WORD_1
	v_cvt_pkrtz_f16_f32 v73, v42, v43
	s_waitcnt lgkmcnt(3)
	v_mfma_f32_16x16x16_f16 v[68:71], v[58:59], v[38:39], 0
	v_or_b32_e32 v56, s18, v46
	v_ashrrev_i32_e32 v46, 4, v56
	v_mov_b32_e32 v67, s19
	v_cmp_gt_i32_e32 vcc, s33, v56
	v_cvt_pkrtz_f16_f32 v58, v74, v75
	v_cvt_pkrtz_f16_f32 v59, v76, v77
	v_cvt_pk_f32_fp8_e32 v[74:75], v45
	v_cvt_pk_f32_fp8_sdwa v[76:77], v45 src0_sel:WORD_1
	v_cndmask_b32_e32 v46, v67, v46, vcc
	v_mfma_f32_16x16x16_f16 v[42:45], v[72:73], v[40:41], v[68:71]
	v_ashrrev_i32_e32 v47, 31, v46
	v_lshl_add_u64 v[46:47], v[46:47], 2, s[6:7]
	global_load_dword v66, v[46:47], off
	v_or_b32_e32 v46, 64, v56
	v_cvt_pkrtz_f16_f32 v68, v74, v75
	v_cvt_pkrtz_f16_f32 v69, v76, v77
	v_ashrrev_i32_e32 v47, 4, v46
	v_cmp_gt_i32_e32 vcc, s33, v46
	s_waitcnt lgkmcnt(2)
	v_mfma_f32_16x16x16_f16 v[42:45], v[58:59], v[30:31], v[42:45]
	s_waitcnt vmcnt(7)
	v_cvt_pk_f32_fp8_sdwa v[72:73], v14 src0_sel:WORD_1
	v_cndmask_b32_e32 v46, v67, v47, vcc
	v_ashrrev_i32_e32 v47, 31, v46
	v_lshl_add_u64 v[48:49], v[46:47], 2, s[6:7]
	v_or_b32_e32 v46, 0x80, v56
	v_mfma_f32_16x16x16_f16 v[42:45], v[68:69], v[32:33], v[42:45]
	global_load_dword v68, v[48:49], off
	v_ashrrev_i32_e32 v47, 4, v46
	v_cmp_gt_i32_e32 vcc, s33, v46
	v_or_b32_e32 v56, 0xc0, v56
	v_ashrrev_i32_e32 v70, 4, v56
	v_cndmask_b32_e32 v46, v67, v47, vcc
	v_cmp_gt_i32_e32 vcc, s33, v56
	v_ashrrev_i32_e32 v47, 31, v46
	v_lshl_add_u64 v[46:47], v[46:47], 2, s[6:7]
	v_cndmask_b32_e32 v58, v67, v70, vcc
	v_cvt_pk_f32_fp8_e32 v[70:71], v14
	v_ashrrev_i32_e32 v59, 31, v58
	v_lshl_add_u64 v[58:59], v[58:59], 2, s[6:7]
	v_cvt_pk_f32_fp8_sdwa v[74:75], v16 src0_sel:WORD_1
	v_cvt_pkrtz_f16_f32 v70, v70, v71
	v_cvt_pkrtz_f16_f32 v71, v72, v73
	v_cvt_pk_f32_fp8_e32 v[72:73], v16
	v_cvt_pk_f32_fp8_sdwa v[76:77], v17 src0_sel:WORD_1
	s_waitcnt lgkmcnt(1)
	v_mfma_f32_16x16x16_f16 v[42:45], v[70:71], v[26:27], v[42:45]
	global_load_dword v70, v[58:59], off
	global_load_dword v69, v[46:47], off
	v_cvt_pk_f32_fp8_e32 v[48:49], v15
	v_cvt_pk_f32_fp8_sdwa v[14:15], v15 src0_sel:WORD_1
	v_cvt_pkrtz_f16_f32 v72, v72, v73
	v_cvt_pkrtz_f16_f32 v73, v74, v75
	;; [unrolled: 1-line block ×4, first 2 shown]
	v_cvt_pk_f32_fp8_e32 v[74:75], v17
	s_waitcnt vmcnt(9)
	v_cvt_pk_f32_fp8_e32 v[46:47], v10
	v_mfma_f32_16x16x16_f16 v[14:17], v[48:49], v[28:29], v[42:45]
	v_cvt_pk_f32_fp8_sdwa v[48:49], v10 src0_sel:WORD_1
	s_nop 1
	v_cvt_pkrtz_f16_f32 v42, v74, v75
	v_cvt_pkrtz_f16_f32 v43, v76, v77
	s_waitcnt lgkmcnt(0)
	v_mfma_f32_16x16x16_f16 v[14:17], v[72:73], v[18:19], v[14:17]
	v_cvt_pk_f32_fp8_sdwa v[58:59], v12 src0_sel:WORD_1
	v_cvt_pk_f32_fp8_sdwa v[72:73], v13 src0_sel:WORD_1
	s_add_u32 s4, s8, s10
	v_mfma_f32_16x16x16_f16 v[42:45], v[42:43], v[20:21], v[14:17]
	v_lshl_or_b32 v67, v64, 4, v60
	s_waitcnt vmcnt(7)
	v_cvt_pk_f32_fp8_e32 v[74:75], v5
	s_addc_u32 s5, s9, 0
	v_cvt_pk_f32_fp8_e32 v[14:15], v11
	v_cvt_pkrtz_f16_f32 v16, v46, v47
	v_cvt_pkrtz_f16_f32 v17, v48, v49
	v_cvt_pk_f32_fp8_sdwa v[10:11], v11 src0_sel:WORD_1
	v_cvt_pkrtz_f16_f32 v46, v14, v15
	v_cvt_pk_f32_fp8_e32 v[48:49], v12
	v_mfma_f32_16x16x16_f16 v[14:17], v[16:17], v[38:39], 0
	v_cvt_pkrtz_f16_f32 v47, v10, v11
	v_cvt_pkrtz_f16_f32 v48, v48, v49
	;; [unrolled: 1-line block ×3, first 2 shown]
	v_cvt_pk_f32_fp8_e32 v[58:59], v13
	v_mfma_f32_16x16x16_f16 v[10:13], v[46:47], v[40:41], v[14:17]
	v_cvt_pk_f32_fp8_sdwa v[46:47], v6 src0_sel:WORD_1
	v_lshlrev_b32_e32 v56, 4, v67
	s_nop 0
	v_cvt_pkrtz_f16_f32 v14, v58, v59
	v_cvt_pkrtz_f16_f32 v15, v72, v73
	v_mfma_f32_16x16x16_f16 v[10:13], v[48:49], v[30:31], v[10:13]
	v_cvt_pk_f32_fp8_e32 v[16:17], v6
	v_cvt_pk_f32_fp8_sdwa v[48:49], v8 src0_sel:WORD_1
	v_lshl_add_u64 v[58:59], s[4:5], 0, v[56:57]
	v_mfma_f32_16x16x16_f16 v[10:13], v[14:15], v[32:33], v[10:13]
	v_cvt_pk_f32_fp8_e32 v[14:15], v7
	v_cvt_pkrtz_f16_f32 v16, v16, v17
	v_cvt_pkrtz_f16_f32 v17, v46, v47
	v_cvt_pk_f32_fp8_sdwa v[6:7], v7 src0_sel:WORD_1
	v_cvt_pkrtz_f16_f32 v14, v14, v15
	v_cvt_pk_f32_fp8_e32 v[46:47], v8
	v_mfma_f32_16x16x16_f16 v[10:13], v[16:17], v[26:27], v[10:13]
	v_cvt_pkrtz_f16_f32 v15, v6, v7
	v_cvt_pkrtz_f16_f32 v16, v46, v47
	;; [unrolled: 1-line block ×3, first 2 shown]
	v_cvt_pk_f32_fp8_e32 v[46:47], v9
	v_cvt_pk_f32_fp8_sdwa v[48:49], v9 src0_sel:WORD_1
	v_mfma_f32_16x16x16_f16 v[6:9], v[14:15], v[28:29], v[10:13]
	v_cvt_pk_f32_fp8_sdwa v[14:15], v2 src0_sel:WORD_1
	s_waitcnt vmcnt(2)
	v_mad_i64_i32 v[72:73], s[6:7], v68, s45, v[58:59]
	v_cvt_pkrtz_f16_f32 v10, v46, v47
	v_cvt_pkrtz_f16_f32 v11, v48, v49
	v_mfma_f32_16x16x16_f16 v[6:9], v[16:17], v[18:19], v[6:9]
	v_cvt_pk_f32_fp8_e32 v[12:13], v2
	v_cvt_pk_f32_fp8_sdwa v[80:81], v52 src0_sel:WORD_1
	v_or_b32_e32 v56, 0x400, v56
	v_mfma_f32_16x16x16_f16 v[46:49], v[10:11], v[20:21], v[6:9]
	v_mad_i64_i32 v[10:11], s[6:7], v66, s45, v[58:59]
	s_mov_b32 s46, 0xff7fffff
	s_nop 0
	v_cvt_pkrtz_f16_f32 v6, v12, v13
	v_cvt_pkrtz_f16_f32 v7, v14, v15
	v_cvt_pk_f32_fp8_e32 v[8:9], v3
	v_cvt_pk_f32_fp8_sdwa v[2:3], v3 src0_sel:WORD_1
	v_cvt_pk_f32_fp8_sdwa v[14:15], v4 src0_sel:WORD_1
	v_cvt_pkrtz_f16_f32 v12, v8, v9
	v_cvt_pkrtz_f16_f32 v13, v2, v3
	v_cvt_pk_f32_fp8_e32 v[2:3], v4
	v_mfma_f32_16x16x16_f16 v[6:9], v[6:7], v[38:39], 0
	v_cvt_pk_f32_fp8_sdwa v[4:5], v5 src0_sel:WORD_1
	s_waitcnt vmcnt(0)
	v_mad_i64_i32 v[76:77], s[6:7], v69, s45, v[58:59]
	v_cvt_pkrtz_f16_f32 v2, v2, v3
	v_cvt_pkrtz_f16_f32 v3, v14, v15
	v_mfma_f32_16x16x16_f16 v[6:9], v[12:13], v[40:41], v[6:9]
	global_load_dwordx4 v[14:17], v[10:11], off
	s_nop 0
	global_load_dwordx4 v[10:13], v[72:73], off
	v_cvt_pkrtz_f16_f32 v72, v74, v75
	v_cvt_pkrtz_f16_f32 v73, v4, v5
	v_mfma_f32_16x16x16_f16 v[2:5], v[2:3], v[30:31], v[6:9]
	v_mad_i64_i32 v[58:59], s[6:7], v70, s45, v[58:59]
	s_nop 1
	v_cvt_pk_f32_fp8_e32 v[6:7], v50
	v_cvt_pk_f32_fp8_sdwa v[8:9], v50 src0_sel:WORD_1
	v_mfma_f32_16x16x16_f16 v[2:5], v[72:73], v[32:33], v[2:5]
	v_cvt_pkrtz_f16_f32 v6, v6, v7
	v_cvt_pkrtz_f16_f32 v7, v8, v9
	v_cvt_pk_f32_fp8_e32 v[8:9], v51
	v_cvt_pk_f32_fp8_sdwa v[50:51], v51 src0_sel:WORD_1
	v_mfma_f32_16x16x16_f16 v[72:75], v[6:7], v[26:27], v[2:5]
	v_cvt_pkrtz_f16_f32 v78, v8, v9
	v_cvt_pkrtz_f16_f32 v79, v50, v51
	v_cvt_pk_f32_fp8_e32 v[50:51], v52
	global_load_dwordx4 v[6:9], v[76:77], off
	global_load_dwordx4 v[2:5], v[58:59], off
	v_cvt_pkrtz_f16_f32 v77, v80, v81
	v_cvt_pk_f32_fp8_e32 v[58:59], v53
	v_cvt_pkrtz_f16_f32 v76, v50, v51
	v_cvt_pk_f32_fp8_sdwa v[80:81], v53 src0_sel:WORD_1
	v_mfma_f32_16x16x16_f16 v[50:53], v[78:79], v[28:29], v[72:75]
	v_cvt_pkrtz_f16_f32 v58, v58, v59
	v_cvt_pk_f32_fp8_sdwa v[78:79], v36 src0_sel:WORD_1
	v_cvt_pkrtz_f16_f32 v59, v80, v81
	v_mfma_f32_16x16x16_f16 v[50:53], v[76:77], v[18:19], v[50:53]
	v_cvt_pk_f32_fp8_e32 v[72:73], v34
	v_cvt_pk_f32_fp8_sdwa v[74:75], v34 src0_sel:WORD_1
	v_cvt_pk_f32_fp8_e32 v[76:77], v36
	v_mfma_f32_16x16x16_f16 v[50:53], v[58:59], v[20:21], v[50:53]
	v_cvt_pk_f32_fp8_e32 v[58:59], v35
	v_cvt_pkrtz_f16_f32 v72, v72, v73
	v_cvt_pkrtz_f16_f32 v73, v74, v75
	v_cvt_pk_f32_fp8_sdwa v[34:35], v35 src0_sel:WORD_1
	v_cvt_pkrtz_f16_f32 v58, v58, v59
	v_mfma_f32_16x16x16_f16 v[72:75], v[72:73], v[38:39], 0
	v_cvt_pkrtz_f16_f32 v59, v34, v35
	v_cvt_pkrtz_f16_f32 v38, v76, v77
	;; [unrolled: 1-line block ×3, first 2 shown]
	v_cvt_pk_f32_fp8_e32 v[76:77], v37
	v_cvt_pk_f32_fp8_sdwa v[78:79], v37 src0_sel:WORD_1
	v_mfma_f32_16x16x16_f16 v[34:37], v[58:59], v[40:41], v[72:75]
	s_load_dword s6, s[0:1], 0x1c
	s_load_dwordx4 s[40:43], s[0:1], 0x80
	v_cvt_pkrtz_f16_f32 v58, v76, v77
	v_cvt_pkrtz_f16_f32 v59, v78, v79
	v_mfma_f32_16x16x16_f16 v[34:37], v[38:39], v[30:31], v[34:37]
	s_load_dword s44, s[0:1], 0x98
	s_waitcnt lgkmcnt(0)
	s_load_dword s7, s[40:41], 0x0
	v_cvt_pk_f32_fp8_sdwa v[38:39], v22 src0_sel:WORD_1
	v_mfma_f32_16x16x16_f16 v[32:35], v[58:59], v[32:33], v[34:37]
	v_mov_b32_e32 v40, s6
	s_waitcnt lgkmcnt(0)
	v_mul_f32_e32 v72, s7, v40
	v_cvt_pk_f32_fp8_e32 v[36:37], v22
	v_pk_mul_f32 v[30:31], v[72:73], v[42:43] op_sel_hi:[0,1]
	v_cvt_pk_f32_fp8_e32 v[42:43], v23
	v_cvt_pk_f32_fp8_sdwa v[22:23], v23 src0_sel:WORD_1
	v_cvt_pkrtz_f16_f32 v36, v36, v37
	v_cvt_pkrtz_f16_f32 v37, v38, v39
	v_pk_mul_f32 v[40:41], v[72:73], v[44:45] op_sel_hi:[0,1]
	v_cvt_pkrtz_f16_f32 v38, v42, v43
	v_cvt_pkrtz_f16_f32 v39, v22, v23
	v_cvt_pk_f32_fp8_e32 v[42:43], v24
	v_cvt_pk_f32_fp8_sdwa v[44:45], v24 src0_sel:WORD_1
	v_mfma_f32_16x16x16_f16 v[32:35], v[36:37], v[26:27], v[32:35]
	v_lshl_add_u64 v[22:23], s[4:5], 0, v[56:57]
	v_cvt_pkrtz_f16_f32 v36, v42, v43
	v_cvt_pkrtz_f16_f32 v37, v44, v45
	v_cvt_pk_f32_fp8_e32 v[42:43], v25
	v_cvt_pk_f32_fp8_sdwa v[56:57], v25 src0_sel:WORD_1
	v_mfma_f32_16x16x16_f16 v[24:27], v[38:39], v[28:29], v[32:35]
	v_pk_mul_f32 v[44:45], v[72:73], v[48:49] op_sel_hi:[0,1]
	v_cvt_pkrtz_f16_f32 v28, v42, v43
	v_cvt_pkrtz_f16_f32 v29, v56, v57
	v_mfma_f32_16x16x16_f16 v[24:27], v[36:37], v[18:19], v[24:27]
	v_pk_mul_f32 v[42:43], v[72:73], v[50:51] op_sel_hi:[0,1]
	v_pk_mul_f32 v[46:47], v[72:73], v[46:47] op_sel_hi:[0,1]
	;; [unrolled: 1-line block ×3, first 2 shown]
	v_mfma_f32_16x16x16_f16 v[18:21], v[28:29], v[20:21], v[24:27]
	s_nop 6
	v_pk_mul_f32 v[36:37], v[72:73], v[18:19] op_sel_hi:[0,1]
	v_and_b32_e32 v18, 0xc0, v0
	v_add_u32_e32 v18, s18, v18
	v_lshl_or_b32 v18, v63, 2, v18
	v_or_b32_e32 v19, 1, v18
	v_pk_mul_f32 v[34:35], v[72:73], v[20:21] op_sel_hi:[0,1]
	v_subrev_u32_e32 v20, s33, v19
	v_add_u32_e32 v24, 1, v20
	v_add_u32_e32 v25, 2, v20
	v_cvt_f32_i32_e32 v21, v20
	v_cvt_f32_i32_e32 v24, v24
	;; [unrolled: 1-line block ×3, first 2 shown]
	v_add_u32_e32 v26, 3, v20
	v_fma_f32 v50, v65, v21, v30
	v_fmac_f32_e32 v31, v65, v24
	v_fma_f32 v40, v65, v25, v40
	v_add_u32_e32 v21, 16, v20
	v_add_u32_e32 v24, 17, v20
	v_add_u32_e32 v25, 18, v20
	v_cvt_f32_i32_e32 v26, v26
	v_cvt_f32_i32_e32 v21, v21
	;; [unrolled: 1-line block ×4, first 2 shown]
	v_fmac_f32_e32 v41, v65, v26
	v_add_u32_e32 v26, 19, v20
	v_fma_f32 v52, v65, v21, v46
	v_fmac_f32_e32 v47, v65, v24
	v_fma_f32 v44, v65, v25, v44
	v_add_u32_e32 v21, 32, v20
	v_add_u32_e32 v24, 33, v20
	;; [unrolled: 1-line block ×3, first 2 shown]
	v_cvt_f32_i32_e32 v26, v26
	v_cvt_f32_i32_e32 v21, v21
	;; [unrolled: 1-line block ×4, first 2 shown]
	v_fmac_f32_e32 v45, v65, v26
	v_add_u32_e32 v26, 35, v20
	v_fma_f32 v42, v65, v21, v42
	v_fmac_f32_e32 v43, v65, v24
	v_fma_f32 v38, v65, v25, v38
	v_add_u32_e32 v21, 48, v20
	v_add_u32_e32 v24, 49, v20
	;; [unrolled: 1-line block ×4, first 2 shown]
	v_cvt_f32_i32_e32 v20, v20
	v_cvt_f32_i32_e32 v21, v21
	;; [unrolled: 1-line block ×3, first 2 shown]
	v_cmp_gt_i32_e64 s[4:5], s33, v18
	v_fmac_f32_e32 v35, v65, v20
	v_mov_b32_e32 v20, 0xff7fffff
	v_cmp_gt_i32_e64 s[16:17], s33, v19
	v_fma_f32 v36, v65, v21, v36
	v_cndmask_b32_e64 v21, v20, v50, s[4:5]
	v_cndmask_b32_e64 v19, v20, v31, s[16:17]
	v_fmac_f32_e32 v37, v65, v24
	v_max3_f32 v19, v21, s46, v19
	v_or_b32_e32 v21, 2, v18
	v_or_b32_e32 v24, 3, v18
	v_cmp_gt_i32_e64 s[18:19], s33, v21
	v_cmp_gt_i32_e64 s[20:21], s33, v24
	v_cvt_f32_i32_e32 v26, v26
	v_cndmask_b32_e64 v21, v20, v40, s[18:19]
	v_cndmask_b32_e64 v24, v20, v41, s[20:21]
	v_max3_f32 v19, v19, v21, v24
	v_or_b32_e32 v21, 16, v18
	v_or_b32_e32 v24, 17, v18
	v_cmp_gt_i32_e64 s[22:23], s33, v21
	v_cmp_gt_i32_e64 s[24:25], s33, v24
	v_fmac_f32_e32 v39, v65, v26
	v_cndmask_b32_e64 v21, v20, v52, s[22:23]
	v_cndmask_b32_e64 v24, v20, v47, s[24:25]
	v_max3_f32 v19, v19, v21, v24
	v_or_b32_e32 v21, 18, v18
	v_or_b32_e32 v24, 19, v18
	v_cmp_gt_i32_e64 s[26:27], s33, v21
	v_cmp_gt_i32_e64 s[28:29], s33, v24
	v_cvt_f32_i32_e32 v25, v25
	v_cndmask_b32_e64 v21, v20, v44, s[26:27]
	v_cndmask_b32_e64 v24, v20, v45, s[28:29]
	v_max3_f32 v19, v19, v21, v24
	v_or_b32_e32 v21, 32, v18
	v_or_b32_e32 v24, 33, v18
	v_cmp_gt_i32_e64 s[30:31], s33, v21
	v_cmp_gt_i32_e64 s[34:35], s33, v24
	v_fma_f32 v34, v65, v25, v34
	v_cndmask_b32_e64 v21, v20, v42, s[30:31]
	v_cndmask_b32_e64 v24, v20, v43, s[34:35]
	v_max3_f32 v19, v19, v21, v24
	v_or_b32_e32 v21, 34, v18
	v_or_b32_e32 v24, 35, v18
	v_cmp_gt_i32_e64 s[36:37], s33, v21
	v_cmp_gt_i32_e64 s[38:39], s33, v24
	s_nop 0
	v_cndmask_b32_e64 v21, v20, v38, s[36:37]
	v_cndmask_b32_e64 v24, v20, v39, s[38:39]
	v_max3_f32 v19, v19, v21, v24
	v_or_b32_e32 v21, 48, v18
	v_or_b32_e32 v24, 49, v18
	v_cmp_gt_i32_e64 s[8:9], s33, v21
	v_cmp_gt_i32_e64 s[10:11], s33, v24
	s_nop 0
	v_cndmask_b32_e64 v21, v20, v36, s[8:9]
	v_cndmask_b32_e64 v24, v20, v37, s[10:11]
	v_max3_f32 v19, v19, v21, v24
	v_or_b32_e32 v21, 50, v18
	v_or_b32_e32 v18, 51, v18
	v_cmp_gt_i32_e32 vcc, s33, v21
	v_cmp_gt_i32_e64 s[6:7], s33, v18
	s_nop 0
	v_cndmask_b32_e32 v21, v20, v34, vcc
	v_cndmask_b32_e64 v18, v20, v35, s[6:7]
	v_max3_f32 v24, v19, v21, v18
	v_mbcnt_lo_u32_b32 v18, -1, 0
	v_mbcnt_hi_u32_b32 v25, -1, v18
	v_and_b32_e32 v18, 64, v25
	v_add_u32_e32 v26, 64, v18
	v_xor_b32_e32 v18, 32, v25
	v_cmp_lt_i32_e64 s[40:41], v18, v26
	s_nop 1
	v_cndmask_b32_e64 v18, v25, v18, s[40:41]
	v_lshlrev_b32_e32 v53, 2, v18
	ds_bpermute_b32 v27, v53, v24
	v_mad_i64_i32 v[18:19], s[40:41], v66, s45, v[22:23]
	v_mad_i64_i32 v[20:21], s[40:41], v68, s45, v[22:23]
	s_waitcnt lgkmcnt(0)
	v_max_f32_e32 v27, v27, v27
	v_max_f32_e32 v27, v24, v27
	v_xor_b32_e32 v24, 16, v25
	v_cmp_lt_i32_e64 s[40:41], v24, v26
	s_nop 1
	v_cndmask_b32_e64 v24, v25, v24, s[40:41]
	v_lshlrev_b32_e32 v56, 2, v24
	ds_bpermute_b32 v26, v56, v27
	v_mad_i64_i32 v[24:25], s[40:41], v69, s45, v[22:23]
	v_mad_i64_i32 v[48:49], s[40:41], v70, s45, v[22:23]
	s_waitcnt lgkmcnt(0)
	v_max_f32_e32 v22, v26, v26
	v_max_f32_e32 v46, v27, v22
	v_sub_f32_e32 v22, v31, v46
	global_load_dwordx4 v[30:33], v[18:19], off
	global_load_dwordx4 v[26:29], v[20:21], off
	v_sub_f32_e32 v18, v50, v46
	v_mul_f32_e32 v18, 0x3fb8aa3b, v18
	v_exp_f32_e32 v50, v18
	v_mul_f32_e32 v18, 0x3fb8aa3b, v22
	v_exp_f32_e32 v51, v18
	v_sub_f32_e32 v18, v40, v46
	v_mul_f32_e32 v18, 0x3fb8aa3b, v18
	v_exp_f32_e32 v40, v18
	v_sub_f32_e32 v18, v41, v46
	v_mul_f32_e32 v18, 0x3fb8aa3b, v18
	v_exp_f32_e32 v41, v18
	global_load_dwordx4 v[22:25], v[24:25], off
	s_nop 0
	global_load_dwordx4 v[18:21], v[48:49], off
	v_sub_f32_e32 v42, v42, v46
	v_sub_f32_e32 v38, v38, v46
	v_mul_f32_e32 v42, 0x3fb8aa3b, v42
	v_mul_f32_e32 v38, 0x3fb8aa3b, v38
	v_cndmask_b32_e64 v49, 0, v51, s[16:17]
	v_cndmask_b32_e64 v51, 0, v41, s[20:21]
	v_sub_f32_e32 v41, v47, v46
	v_exp_f32_e32 v42, v42
	v_exp_f32_e32 v47, v38
	v_cndmask_b32_e64 v48, 0, v50, s[4:5]
	v_cndmask_b32_e64 v50, 0, v40, s[18:19]
	v_sub_f32_e32 v40, v52, v46
	v_mul_f32_e32 v40, 0x3fb8aa3b, v40
	v_sub_f32_e32 v38, v39, v46
	v_exp_f32_e32 v40, v40
	v_mul_f32_e32 v41, 0x3fb8aa3b, v41
	v_sub_f32_e32 v44, v44, v46
	v_mul_f32_e32 v38, 0x3fb8aa3b, v38
	v_exp_f32_e32 v41, v41
	v_mul_f32_e32 v44, 0x3fb8aa3b, v44
	v_sub_f32_e32 v45, v45, v46
	v_exp_f32_e32 v52, v38
	v_cndmask_b32_e64 v38, 0, v42, s[30:31]
	v_cndmask_b32_e64 v42, 0, v47, s[36:37]
	v_add_f32_e32 v47, 0, v48
	v_exp_f32_e32 v44, v44
	v_mul_f32_e32 v45, 0x3fb8aa3b, v45
	v_add_f32_e32 v47, v47, v49
	v_exp_f32_e32 v45, v45
	v_sub_f32_e32 v43, v43, v46
	v_add_f32_e32 v47, v47, v50
	v_cndmask_b32_e64 v40, 0, v40, s[22:23]
	v_mul_f32_e32 v43, 0x3fb8aa3b, v43
	v_add_f32_e32 v47, v47, v51
	v_cndmask_b32_e64 v41, 0, v41, s[24:25]
	v_exp_f32_e32 v43, v43
	v_add_f32_e32 v47, v47, v40
	v_cndmask_b32_e64 v44, 0, v44, s[26:27]
	v_add_f32_e32 v47, v47, v41
	v_sub_f32_e32 v36, v36, v46
	v_cndmask_b32_e64 v45, 0, v45, s[28:29]
	v_add_f32_e32 v47, v47, v44
	v_mul_f32_e32 v36, 0x3fb8aa3b, v36
	v_sub_f32_e32 v37, v37, v46
	v_add_f32_e32 v47, v47, v45
	v_exp_f32_e32 v36, v36
	v_mul_f32_e32 v37, 0x3fb8aa3b, v37
	v_sub_f32_e32 v34, v34, v46
	v_cndmask_b32_e64 v39, 0, v43, s[34:35]
	v_add_f32_e32 v47, v47, v38
	v_exp_f32_e32 v37, v37
	v_mul_f32_e32 v34, 0x3fb8aa3b, v34
	v_sub_f32_e32 v35, v35, v46
	v_add_f32_e32 v47, v47, v39
	v_exp_f32_e32 v34, v34
	v_mul_f32_e32 v35, 0x3fb8aa3b, v35
	v_cndmask_b32_e64 v43, 0, v52, s[38:39]
	v_add_f32_e32 v47, v47, v42
	v_exp_f32_e32 v35, v35
	v_add_f32_e32 v47, v47, v43
	v_cndmask_b32_e64 v36, 0, v36, s[8:9]
	v_add_f32_e32 v47, v47, v36
	v_cndmask_b32_e64 v37, 0, v37, s[10:11]
	v_add_f32_e32 v47, v47, v37
	v_cndmask_b32_e32 v34, 0, v34, vcc
	v_add_f32_e32 v47, v47, v34
	v_cndmask_b32_e64 v35, 0, v35, s[6:7]
	v_add_f32_e32 v47, v47, v35
	ds_bpermute_b32 v52, v53, v47
	v_cmp_gt_u32_e32 vcc, 16, v55
	s_waitcnt lgkmcnt(0)
	s_barrier
	v_add_f32_e32 v47, v47, v52
	ds_bpermute_b32 v52, v56, v47
	s_and_saveexec_b64 s[4:5], vcc
	s_cbranch_execz .LBB947_15
; %bb.14:
	s_waitcnt lgkmcnt(0)
	v_add_f32_e32 v47, v47, v52
	v_lshlrev_b32_e32 v52, 2, v67
	ds_write2st64_b32 v52, v46, v47 offset1:1
.LBB947_15:
	s_or_b64 exec, exec, s[4:5]
	v_lshlrev_b32_e32 v47, 2, v60
	s_load_dword s6, s[0:1], 0x94
	s_waitcnt lgkmcnt(0)
	s_barrier
	ds_read2_b32 v[52:53], v47 offset1:16
	ds_read2_b32 v[56:57], v47 offset0:32 offset1:48
	ds_read2_b32 v[58:59], v47 offset0:64 offset1:80
	s_lshl_b32 s7, s44, 2
	s_waitcnt lgkmcnt(2)
	v_max3_f32 v46, v52, s46, v53
	s_waitcnt lgkmcnt(1)
	v_max3_f32 v46, v46, v56, v57
	v_sub_f32_e32 v52, v52, v46
	v_mul_f32_e32 v52, 0x3fb8aa3b, v52
	v_exp_f32_e32 v55, v52
	v_sub_f32_e32 v52, v53, v46
	v_mul_f32_e32 v52, 0x3fb8aa3b, v52
	v_exp_f32_e32 v65, v52
	;; [unrolled: 3-line block ×3, first 2 shown]
	ds_read2_b32 v[52:53], v47 offset0:96 offset1:112
	v_sub_f32_e32 v47, v57, v46
	v_mul_f32_e32 v47, 0x3fb8aa3b, v47
	v_exp_f32_e32 v57, v47
	s_waitcnt lgkmcnt(1)
	v_fma_f32 v47, v55, v58, 0
	v_fmac_f32_e32 v47, v65, v59
	s_waitcnt lgkmcnt(0)
	v_fmac_f32_e32 v47, v56, v52
	v_fmac_f32_e32 v47, v57, v53
	v_add_f32_e32 v52, 0x358637bd, v47
	v_div_scale_f32 v53, s[4:5], v52, v52, 1.0
	v_rcp_f32_e32 v58, v53
	s_barrier
	v_fma_f32 v59, -v53, v58, 1.0
	v_fmac_f32_e32 v58, v59, v58
	v_div_scale_f32 v59, vcc, 1.0, v52, 1.0
	v_mul_f32_e32 v66, v59, v58
	v_fma_f32 v67, -v53, v66, v59
	v_fmac_f32_e32 v66, v67, v58
	v_fma_f32 v53, -v53, v66, v59
	v_div_fmas_f32 v53, v53, v58, v66
	v_cmp_eq_u32_e32 vcc, 1, v64
	v_div_fixup_f32 v52, v53, v52, 1.0
	s_nop 0
	v_cndmask_b32_e32 v53, v55, v65, vcc
	v_cmp_eq_u32_e32 vcc, 2, v64
	s_nop 1
	v_cndmask_b32_e32 v53, v53, v56, vcc
	v_cmp_eq_u32_e32 vcc, 3, v64
	s_nop 1
	v_cndmask_b32_e32 v53, v53, v57, vcc
	v_mul_f32_e32 v52, v53, v52
	v_pk_mul_f32 v[50:51], v[52:53], v[50:51] op_sel_hi:[0,1]
	v_pk_mul_f32 v[48:49], v[52:53], v[48:49] op_sel_hi:[0,1]
	v_cvt_f16_f32_e32 v53, v50
	v_cvt_f16_f32_e32 v48, v48
	;; [unrolled: 1-line block ×4, first 2 shown]
	v_pk_mul_f32 v[44:45], v[52:53], v[44:45] op_sel_hi:[0,1]
	v_pk_mul_f32 v[40:41], v[52:53], v[40:41] op_sel_hi:[0,1]
	v_cvt_f16_f32_e32 v40, v40
	v_cvt_f16_f32_e32 v41, v41
	;; [unrolled: 1-line block ×4, first 2 shown]
	v_pack_b32_f16 v50, v48, v49
	v_pack_b32_f16 v51, v53, v51
	v_lshlrev_b32_e32 v49, 3, v63
	v_lshlrev_b32_e32 v48, 5, v60
	;; [unrolled: 1-line block ×3, first 2 shown]
	v_or3_b32 v55, v53, v48, v49
	v_pack_b32_f16 v40, v40, v41
	v_pack_b32_f16 v41, v44, v45
	ds_write2st64_b64 v55, v[50:51], v[40:41] offset1:1
	v_pk_mul_f32 v[40:41], v[52:53], v[42:43] op_sel_hi:[0,1]
	v_pk_mul_f32 v[38:39], v[52:53], v[38:39] op_sel_hi:[0,1]
	;; [unrolled: 1-line block ×4, first 2 shown]
	v_cvt_f16_f32_e32 v38, v38
	v_cvt_f16_f32_e32 v39, v39
	;; [unrolled: 1-line block ×8, first 2 shown]
	v_pack_b32_f16 v34, v38, v39
	v_pack_b32_f16 v35, v40, v41
	;; [unrolled: 1-line block ×4, first 2 shown]
	v_cmp_gt_u32_e32 vcc, 4, v0
	ds_write2st64_b64 v55, v[34:35], v[36:37] offset0:2 offset1:3
	s_and_saveexec_b64 s[4:5], vcc
	s_cbranch_execz .LBB947_17
; %bb.16:
	v_or_b32_e32 v34, s13, v0
	v_mov_b32_e32 v35, 0
	v_mov_b32_e32 v36, s7
	v_mad_u64_u32 v[36:37], s[16:17], s2, v36, v[34:35]
	v_mov_b32_e32 v34, s12
	s_load_dwordx4 s[8:11], s[0:1], 0x58
	s_mul_i32 s3, s3, s7
	v_mad_u64_u32 v[34:35], s[16:17], v36, s6, v[34:35]
	v_add_u32_e32 v37, s3, v37
	v_mov_b32_e32 v36, v35
	v_mad_u64_u32 v[36:37], s[16:17], v37, s6, v[36:37]
	v_mov_b32_e32 v35, v36
	v_lshlrev_b64 v[34:35], 2, v[34:35]
	s_waitcnt lgkmcnt(0)
	v_lshl_add_u64 v[36:37], s[10:11], 0, v[34:35]
	v_lshl_add_u64 v[34:35], s[8:9], 0, v[34:35]
	global_store_dword v[36:37], v46, off
	global_store_dword v[34:35], v47, off
.LBB947_17:
	s_or_b64 exec, exec, s[4:5]
	s_waitcnt vmcnt(7)
	v_cvt_pk_f32_fp8_e32 v[34:35], v14
	v_cvt_pk_f32_fp8_sdwa v[36:37], v14 src0_sel:WORD_1
	v_lshl_or_b32 v50, v63, 9, v48
	s_waitcnt lgkmcnt(0)
	s_barrier
	v_cvt_pk_f32_fp8_e32 v[38:39], v15
	v_cvt_pkrtz_f16_f32 v14, v34, v35
	v_cvt_pk_f32_fp8_sdwa v[40:41], v15 src0_sel:WORD_1
	v_cvt_pkrtz_f16_f32 v15, v36, v37
	ds_read_b128 v[34:37], v50
	v_cvt_pkrtz_f16_f32 v46, v38, v39
	v_cvt_pkrtz_f16_f32 v47, v40, v41
	ds_read_b128 v[38:41], v50 offset:16
	v_cvt_pk_f32_fp8_e32 v[48:49], v16
	v_cvt_pk_f32_fp8_sdwa v[52:53], v16 src0_sel:WORD_1
	s_waitcnt lgkmcnt(1)
	v_mfma_f32_16x16x16_f16 v[42:45], v[14:15], v[34:35], 0
	s_waitcnt vmcnt(6)
	v_cvt_pk_f32_fp8_e32 v[56:57], v12
	v_cvt_pkrtz_f16_f32 v14, v48, v49
	v_cvt_pkrtz_f16_f32 v15, v52, v53
	v_cvt_pk_f32_fp8_e32 v[48:49], v17
	v_mfma_f32_16x16x16_f16 v[42:45], v[46:47], v[36:37], v[42:45]
	v_cvt_pk_f32_fp8_sdwa v[46:47], v17 src0_sel:WORD_1
	v_cvt_pk_f32_fp8_sdwa v[58:59], v12 src0_sel:WORD_1
	v_cvt_pkrtz_f16_f32 v48, v48, v49
	s_waitcnt lgkmcnt(0)
	v_mfma_f32_16x16x16_f16 v[14:17], v[14:15], v[38:39], v[42:45]
	v_cvt_pkrtz_f16_f32 v49, v46, v47
	s_waitcnt vmcnt(5)
	v_cvt_pk_f32_fp8_e32 v[64:65], v8
	v_cvt_pk_f32_fp8_sdwa v[66:67], v8 src0_sel:WORD_1
	v_cvt_pk_f32_fp8_e32 v[42:43], v10
	v_mfma_f32_16x16x16_f16 v[46:49], v[48:49], v[40:41], v[14:17]
	s_waitcnt vmcnt(4)
	v_cvt_pk_f32_fp8_sdwa v[68:69], v4 src0_sel:WORD_1
	s_load_dword s4, s[42:43], 0x0
	v_cvt_pk_f32_fp8_sdwa v[14:15], v10 src0_sel:WORD_1
	v_cvt_pk_f32_fp8_e32 v[16:17], v11
	v_cvt_pkrtz_f16_f32 v10, v42, v43
	v_cvt_pk_f32_fp8_sdwa v[42:43], v11 src0_sel:WORD_1
	v_cvt_pkrtz_f16_f32 v11, v14, v15
	v_cvt_pkrtz_f16_f32 v52, v16, v17
	ds_read_b128 v[14:17], v50 offset:2048
	v_cvt_pkrtz_f16_f32 v53, v42, v43
	ds_read_b128 v[42:45], v50 offset:2064
	s_waitcnt lgkmcnt(0)
	v_mfma_f32_16x16x16_f16 v[46:49], v[10:11], v[14:15], v[46:49]
	v_cvt_pkrtz_f16_f32 v10, v56, v57
	v_cvt_pkrtz_f16_f32 v11, v58, v59
	v_cvt_pk_f32_fp8_e32 v[56:57], v13
	v_mfma_f32_16x16x16_f16 v[46:49], v[52:53], v[16:17], v[46:49]
	v_cvt_pk_f32_fp8_sdwa v[52:53], v13 src0_sel:WORD_1
	s_mov_b32 s3, 0
	v_cvt_pkrtz_f16_f32 v56, v56, v57
	v_mfma_f32_16x16x16_f16 v[10:13], v[10:11], v[42:43], v[46:49]
	v_cvt_pkrtz_f16_f32 v57, v52, v53
	s_nop 1
	v_cvt_pk_f32_fp8_e32 v[46:47], v6
	v_mfma_f32_16x16x16_f16 v[56:59], v[56:57], v[44:45], v[10:13]
	s_nop 2
	v_cvt_pk_f32_fp8_sdwa v[10:11], v6 src0_sel:WORD_1
	v_cvt_pk_f32_fp8_e32 v[12:13], v7
	v_cvt_pkrtz_f16_f32 v6, v46, v47
	v_cvt_pk_f32_fp8_sdwa v[46:47], v7 src0_sel:WORD_1
	v_cvt_pkrtz_f16_f32 v7, v10, v11
	v_cvt_pkrtz_f16_f32 v52, v12, v13
	ds_read_b128 v[10:13], v50 offset:4096
	v_cvt_pkrtz_f16_f32 v53, v46, v47
	ds_read_b128 v[46:49], v50 offset:4112
	s_waitcnt lgkmcnt(1)
	v_mfma_f32_16x16x16_f16 v[56:59], v[6:7], v[10:11], v[56:59]
	v_cvt_pkrtz_f16_f32 v6, v64, v65
	v_cvt_pkrtz_f16_f32 v7, v66, v67
	v_cvt_pk_f32_fp8_e32 v[64:65], v9
	v_mfma_f32_16x16x16_f16 v[56:59], v[52:53], v[12:13], v[56:59]
	v_cvt_pk_f32_fp8_sdwa v[52:53], v9 src0_sel:WORD_1
	v_cvt_pk_f32_fp8_e32 v[66:67], v4
	v_cvt_pkrtz_f16_f32 v64, v64, v65
	s_waitcnt lgkmcnt(0)
	v_mfma_f32_16x16x16_f16 v[6:9], v[6:7], v[46:47], v[56:59]
	v_cvt_pkrtz_f16_f32 v65, v52, v53
	v_cvt_pk_f32_fp8_e32 v[52:53], v2
	s_nop 0
	v_mfma_f32_16x16x16_f16 v[56:59], v[64:65], v[48:49], v[6:9]
	s_nop 2
	v_cvt_pk_f32_fp8_sdwa v[6:7], v2 src0_sel:WORD_1
	v_cvt_pk_f32_fp8_e32 v[8:9], v3
	v_cvt_pkrtz_f16_f32 v2, v52, v53
	v_cvt_pk_f32_fp8_sdwa v[52:53], v3 src0_sel:WORD_1
	v_cvt_pkrtz_f16_f32 v3, v6, v7
	v_cvt_pkrtz_f16_f32 v64, v8, v9
	ds_read_b128 v[6:9], v50 offset:6144
	v_cvt_pkrtz_f16_f32 v65, v52, v53
	s_waitcnt lgkmcnt(0)
	v_mfma_f32_16x16x16_f16 v[56:59], v[2:3], v[6:7], v[56:59]
	ds_read_b128 v[50:53], v50 offset:6160
	v_cvt_pkrtz_f16_f32 v2, v66, v67
	v_cvt_pkrtz_f16_f32 v3, v68, v69
	v_mfma_f32_16x16x16_f16 v[56:59], v[64:65], v[8:9], v[56:59]
	v_cvt_pk_f32_fp8_e32 v[66:67], v5
	v_cvt_pk_f32_fp8_sdwa v[64:65], v5 src0_sel:WORD_1
	s_waitcnt vmcnt(3)
	v_cvt_pk_f32_fp8_sdwa v[68:69], v32 src0_sel:WORD_1
	s_waitcnt lgkmcnt(0)
	v_mfma_f32_16x16x16_f16 v[2:5], v[2:3], v[50:51], v[56:59]
	v_cvt_pkrtz_f16_f32 v66, v66, v67
	v_cvt_pkrtz_f16_f32 v67, v64, v65
	v_cvt_pk_f32_fp8_e32 v[64:65], v31
	v_cvt_pk_f32_fp8_e32 v[56:57], v30
	v_cvt_pk_f32_fp8_sdwa v[58:59], v30 src0_sel:WORD_1
	v_cvt_pk_f32_fp8_sdwa v[30:31], v31 src0_sel:WORD_1
	v_mfma_f32_16x16x16_f16 v[2:5], v[66:67], v[52:53], v[2:5]
	v_cvt_pkrtz_f16_f32 v56, v56, v57
	v_cvt_pkrtz_f16_f32 v57, v58, v59
	;; [unrolled: 1-line block ×3, first 2 shown]
	v_cvt_pk_f32_fp8_e32 v[66:67], v32
	v_cvt_pkrtz_f16_f32 v65, v30, v31
	v_mfma_f32_16x16x16_f16 v[56:59], v[56:57], v[34:35], 0
	v_cvt_pkrtz_f16_f32 v30, v66, v67
	v_cvt_pkrtz_f16_f32 v31, v68, v69
	v_cvt_pk_f32_fp8_e32 v[66:67], v33
	v_mfma_f32_16x16x16_f16 v[34:37], v[64:65], v[36:37], v[56:59]
	s_barrier
	s_nop 1
	v_cvt_pk_f32_fp8_sdwa v[56:57], v33 src0_sel:WORD_1
	v_cvt_pkrtz_f16_f32 v58, v66, v67
	v_mfma_f32_16x16x16_f16 v[30:33], v[30:31], v[38:39], v[34:37]
	s_waitcnt vmcnt(2)
	v_cvt_pk_f32_fp8_e32 v[38:39], v27
	v_cvt_pkrtz_f16_f32 v59, v56, v57
	v_cvt_pk_f32_fp8_e32 v[34:35], v26
	v_cvt_pk_f32_fp8_sdwa v[36:37], v26 src0_sel:WORD_1
	v_cvt_pk_f32_fp8_sdwa v[26:27], v27 src0_sel:WORD_1
	v_mfma_f32_16x16x16_f16 v[30:33], v[58:59], v[40:41], v[30:33]
	v_cvt_pkrtz_f16_f32 v34, v34, v35
	v_cvt_pkrtz_f16_f32 v35, v36, v37
	;; [unrolled: 1-line block ×3, first 2 shown]
	v_cvt_pk_f32_fp8_e32 v[38:39], v28
	v_cvt_pk_f32_fp8_sdwa v[40:41], v28 src0_sel:WORD_1
	v_cvt_pkrtz_f16_f32 v37, v26, v27
	v_mfma_f32_16x16x16_f16 v[30:33], v[34:35], v[14:15], v[30:33]
	v_cvt_pkrtz_f16_f32 v26, v38, v39
	v_cvt_pkrtz_f16_f32 v27, v40, v41
	v_cvt_pk_f32_fp8_e32 v[34:35], v29
	v_cvt_pk_f32_fp8_sdwa v[28:29], v29 src0_sel:WORD_1
	v_mfma_f32_16x16x16_f16 v[14:17], v[36:37], v[16:17], v[30:33]
	s_nop 2
	v_cvt_pkrtz_f16_f32 v30, v34, v35
	v_cvt_pkrtz_f16_f32 v31, v28, v29
	v_mfma_f32_16x16x16_f16 v[14:17], v[26:27], v[42:43], v[14:17]
	s_waitcnt vmcnt(1)
	v_cvt_pk_f32_fp8_e32 v[26:27], v22
	v_cvt_pk_f32_fp8_sdwa v[28:29], v22 src0_sel:WORD_1
	v_cvt_pk_f32_fp8_sdwa v[32:33], v24 src0_sel:WORD_1
	v_mfma_f32_16x16x16_f16 v[14:17], v[30:31], v[44:45], v[14:17]
	v_cvt_pk_f32_fp8_e32 v[30:31], v23
	v_cvt_pkrtz_f16_f32 v26, v26, v27
	v_cvt_pkrtz_f16_f32 v27, v28, v29
	v_cvt_pk_f32_fp8_sdwa v[22:23], v23 src0_sel:WORD_1
	v_cvt_pkrtz_f16_f32 v28, v30, v31
	v_cvt_pk_f32_fp8_e32 v[30:31], v24
	v_mfma_f32_16x16x16_f16 v[14:17], v[26:27], v[10:11], v[14:17]
	v_cvt_pkrtz_f16_f32 v29, v22, v23
	v_cvt_pkrtz_f16_f32 v22, v30, v31
	;; [unrolled: 1-line block ×3, first 2 shown]
	v_cvt_pk_f32_fp8_e32 v[26:27], v25
	v_cvt_pk_f32_fp8_sdwa v[24:25], v25 src0_sel:WORD_1
	v_mfma_f32_16x16x16_f16 v[10:13], v[28:29], v[12:13], v[14:17]
	s_nop 2
	v_pk_mul_f32 v[14:15], v[4:5], s[4:5] op_sel_hi:[1,0]
	v_cvt_pkrtz_f16_f32 v4, v26, v27
	v_cvt_pkrtz_f16_f32 v5, v24, v25
	v_mfma_f32_16x16x16_f16 v[10:13], v[22:23], v[46:47], v[10:13]
	s_waitcnt vmcnt(0)
	v_cvt_pk_f32_fp8_e32 v[22:23], v18
	v_cvt_pk_f32_fp8_sdwa v[24:25], v18 src0_sel:WORD_1
	v_pk_mul_f32 v[16:17], v[2:3], s[4:5] op_sel_hi:[1,0]
	v_mfma_f32_16x16x16_f16 v[2:5], v[4:5], v[48:49], v[10:13]
	s_nop 2
	v_cvt_pk_f32_fp8_e32 v[10:11], v19
	v_cvt_pkrtz_f16_f32 v12, v22, v23
	v_cvt_pkrtz_f16_f32 v13, v24, v25
	v_cvt_pk_f32_fp8_sdwa v[18:19], v19 src0_sel:WORD_1
	v_cvt_pkrtz_f16_f32 v10, v10, v11
	v_cvt_pk_f32_fp8_e32 v[22:23], v20
	v_cvt_pk_f32_fp8_sdwa v[24:25], v20 src0_sel:WORD_1
	v_cvt_pkrtz_f16_f32 v11, v18, v19
	v_mfma_f32_16x16x16_f16 v[2:5], v[12:13], v[6:7], v[2:5]
	v_cvt_pkrtz_f16_f32 v6, v22, v23
	v_cvt_pkrtz_f16_f32 v7, v24, v25
	v_cvt_pk_f32_fp8_e32 v[12:13], v21
	v_cvt_pk_f32_fp8_sdwa v[18:19], v21 src0_sel:WORD_1
	v_mfma_f32_16x16x16_f16 v[2:5], v[10:11], v[8:9], v[2:5]
	v_cvt_f16_f32_e32 v10, v16
	v_cvt_pkrtz_f16_f32 v8, v12, v13
	v_cvt_pkrtz_f16_f32 v9, v18, v19
	v_mfma_f32_16x16x16_f16 v[2:5], v[6:7], v[50:51], v[2:5]
	v_cvt_f16_f32_e32 v6, v17
	v_cvt_f16_f32_e32 v7, v14
	;; [unrolled: 1-line block ×3, first 2 shown]
	v_mfma_f32_16x16x16_f16 v[2:5], v[8:9], v[52:53], v[2:5]
	s_nop 6
	v_pk_mul_f32 v[4:5], v[4:5], s[4:5] op_sel_hi:[1,0]
	v_pk_mul_f32 v[2:3], v[2:3], s[4:5] op_sel_hi:[1,0]
	v_cvt_f16_f32_e32 v12, v4
	v_cvt_f16_f32_e32 v8, v2
	;; [unrolled: 1-line block ×4, first 2 shown]
	v_pack_b32_f16 v2, v10, v6
	v_pack_b32_f16 v3, v7, v11
	;; [unrolled: 1-line block ×4, first 2 shown]
	ds_write2st64_b64 v55, v[2:3], v[4:5] offset1:1
	s_waitcnt lgkmcnt(0)
	s_barrier
	s_and_saveexec_b64 s[4:5], s[14:15]
	s_cbranch_execz .LBB947_19
; %bb.18:
	s_load_dwordx2 s[0:1], s[0:1], 0x68
	s_lshl_b32 s6, s6, 7
	s_mul_i32 s2, s7, s2
	v_lshlrev_b32_e32 v3, 6, v60
	s_mul_hi_u32 s5, s2, s6
	s_mul_i32 s4, s2, s6
	v_lshl_or_b32 v0, v0, 10, v3
	s_lshl_b64 s[4:5], s[4:5], 1
	v_and_b32_e32 v2, 16, v62
	v_and_b32_e32 v0, 0x1a00, v0
	s_waitcnt lgkmcnt(0)
	s_add_u32 s4, s0, s4
	v_or3_b32 v0, v0, v61, v2
	s_addc_u32 s5, s1, s5
	s_lshl_b32 s2, s12, 7
	ds_read_b128 v[2:5], v0
	s_lshl_b64 s[0:1], s[2:3], 1
	s_add_u32 s0, s4, s0
	s_addc_u32 s1, s5, s1
	v_mad_u64_u32 v[0:1], s[2:3], s6, v1, 0
	v_lshl_add_u64 v[0:1], v[0:1], 1, s[0:1]
	v_mov_b32_e32 v55, 0
	v_lshl_add_u64 v[0:1], v[0:1], 0, v[54:55]
	s_waitcnt lgkmcnt(0)
	global_store_dwordx4 v[0:1], v[2:5], off
.LBB947_19:
	s_endpgm
	.section	.rodata,"a",@progbits
	.p2align	6, 0x0
	.amdhsa_kernel _Z39paged_attention_ll4mi_QKV_mfma16_kernelIDF16_hLN4vllm18Fp8KVCacheDataTypeE1EhLi16ELi128ELi256ELb1ELi4EEvPKT_PKT0_S7_ifPKiS9_S9_iPKfiiiPfSC_PS2_PT2_iSB_SB_
		.amdhsa_group_segment_fixed_size 8192
		.amdhsa_private_segment_fixed_size 0
		.amdhsa_kernarg_size 400
		.amdhsa_user_sgpr_count 2
		.amdhsa_user_sgpr_dispatch_ptr 0
		.amdhsa_user_sgpr_queue_ptr 0
		.amdhsa_user_sgpr_kernarg_segment_ptr 1
		.amdhsa_user_sgpr_dispatch_id 0
		.amdhsa_user_sgpr_kernarg_preload_length 0
		.amdhsa_user_sgpr_kernarg_preload_offset 0
		.amdhsa_user_sgpr_private_segment_size 0
		.amdhsa_uses_dynamic_stack 0
		.amdhsa_enable_private_segment 0
		.amdhsa_system_sgpr_workgroup_id_x 1
		.amdhsa_system_sgpr_workgroup_id_y 1
		.amdhsa_system_sgpr_workgroup_id_z 1
		.amdhsa_system_sgpr_workgroup_info 0
		.amdhsa_system_vgpr_workitem_id 0
		.amdhsa_next_free_vgpr 82
		.amdhsa_next_free_sgpr 48
		.amdhsa_accum_offset 84
		.amdhsa_reserve_vcc 1
		.amdhsa_float_round_mode_32 0
		.amdhsa_float_round_mode_16_64 0
		.amdhsa_float_denorm_mode_32 3
		.amdhsa_float_denorm_mode_16_64 3
		.amdhsa_dx10_clamp 1
		.amdhsa_ieee_mode 1
		.amdhsa_fp16_overflow 0
		.amdhsa_tg_split 0
		.amdhsa_exception_fp_ieee_invalid_op 0
		.amdhsa_exception_fp_denorm_src 0
		.amdhsa_exception_fp_ieee_div_zero 0
		.amdhsa_exception_fp_ieee_overflow 0
		.amdhsa_exception_fp_ieee_underflow 0
		.amdhsa_exception_fp_ieee_inexact 0
		.amdhsa_exception_int_div_zero 0
	.end_amdhsa_kernel
	.section	.text._Z39paged_attention_ll4mi_QKV_mfma16_kernelIDF16_hLN4vllm18Fp8KVCacheDataTypeE1EhLi16ELi128ELi256ELb1ELi4EEvPKT_PKT0_S7_ifPKiS9_S9_iPKfiiiPfSC_PS2_PT2_iSB_SB_,"axG",@progbits,_Z39paged_attention_ll4mi_QKV_mfma16_kernelIDF16_hLN4vllm18Fp8KVCacheDataTypeE1EhLi16ELi128ELi256ELb1ELi4EEvPKT_PKT0_S7_ifPKiS9_S9_iPKfiiiPfSC_PS2_PT2_iSB_SB_,comdat
.Lfunc_end947:
	.size	_Z39paged_attention_ll4mi_QKV_mfma16_kernelIDF16_hLN4vllm18Fp8KVCacheDataTypeE1EhLi16ELi128ELi256ELb1ELi4EEvPKT_PKT0_S7_ifPKiS9_S9_iPKfiiiPfSC_PS2_PT2_iSB_SB_, .Lfunc_end947-_Z39paged_attention_ll4mi_QKV_mfma16_kernelIDF16_hLN4vllm18Fp8KVCacheDataTypeE1EhLi16ELi128ELi256ELb1ELi4EEvPKT_PKT0_S7_ifPKiS9_S9_iPKfiiiPfSC_PS2_PT2_iSB_SB_
                                        ; -- End function
	.section	.AMDGPU.csdata,"",@progbits
; Kernel info:
; codeLenInByte = 6188
; NumSgprs: 54
; NumVgprs: 82
; NumAgprs: 0
; TotalNumVgprs: 82
; ScratchSize: 0
; MemoryBound: 0
; FloatMode: 240
; IeeeMode: 1
; LDSByteSize: 8192 bytes/workgroup (compile time only)
; SGPRBlocks: 6
; VGPRBlocks: 10
; NumSGPRsForWavesPerEU: 54
; NumVGPRsForWavesPerEU: 82
; AccumOffset: 84
; Occupancy: 5
; WaveLimiterHint : 1
; COMPUTE_PGM_RSRC2:SCRATCH_EN: 0
; COMPUTE_PGM_RSRC2:USER_SGPR: 2
; COMPUTE_PGM_RSRC2:TRAP_HANDLER: 0
; COMPUTE_PGM_RSRC2:TGID_X_EN: 1
; COMPUTE_PGM_RSRC2:TGID_Y_EN: 1
; COMPUTE_PGM_RSRC2:TGID_Z_EN: 1
; COMPUTE_PGM_RSRC2:TIDIG_COMP_CNT: 0
; COMPUTE_PGM_RSRC3_GFX90A:ACCUM_OFFSET: 20
; COMPUTE_PGM_RSRC3_GFX90A:TG_SPLIT: 0
	.section	.text._Z38paged_attention_ll4mi_QKV_mfma4_kernelIDF16_hLN4vllm18Fp8KVCacheDataTypeE1EhLi16ELi128ELi256ELb0ELi1EEvPKT_PKT0_S7_ifPKiS9_S9_iPKfiiiPfSC_PS2_PT2_iSB_SB_,"axG",@progbits,_Z38paged_attention_ll4mi_QKV_mfma4_kernelIDF16_hLN4vllm18Fp8KVCacheDataTypeE1EhLi16ELi128ELi256ELb0ELi1EEvPKT_PKT0_S7_ifPKiS9_S9_iPKfiiiPfSC_PS2_PT2_iSB_SB_,comdat
	.protected	_Z38paged_attention_ll4mi_QKV_mfma4_kernelIDF16_hLN4vllm18Fp8KVCacheDataTypeE1EhLi16ELi128ELi256ELb0ELi1EEvPKT_PKT0_S7_ifPKiS9_S9_iPKfiiiPfSC_PS2_PT2_iSB_SB_ ; -- Begin function _Z38paged_attention_ll4mi_QKV_mfma4_kernelIDF16_hLN4vllm18Fp8KVCacheDataTypeE1EhLi16ELi128ELi256ELb0ELi1EEvPKT_PKT0_S7_ifPKiS9_S9_iPKfiiiPfSC_PS2_PT2_iSB_SB_
	.globl	_Z38paged_attention_ll4mi_QKV_mfma4_kernelIDF16_hLN4vllm18Fp8KVCacheDataTypeE1EhLi16ELi128ELi256ELb0ELi1EEvPKT_PKT0_S7_ifPKiS9_S9_iPKfiiiPfSC_PS2_PT2_iSB_SB_
	.p2align	8
	.type	_Z38paged_attention_ll4mi_QKV_mfma4_kernelIDF16_hLN4vllm18Fp8KVCacheDataTypeE1EhLi16ELi128ELi256ELb0ELi1EEvPKT_PKT0_S7_ifPKiS9_S9_iPKfiiiPfSC_PS2_PT2_iSB_SB_,@function
_Z38paged_attention_ll4mi_QKV_mfma4_kernelIDF16_hLN4vllm18Fp8KVCacheDataTypeE1EhLi16ELi128ELi256ELb0ELi1EEvPKT_PKT0_S7_ifPKiS9_S9_iPKfiiiPfSC_PS2_PT2_iSB_SB_: ; @_Z38paged_attention_ll4mi_QKV_mfma4_kernelIDF16_hLN4vllm18Fp8KVCacheDataTypeE1EhLi16ELi128ELi256ELb0ELi1EEvPKT_PKT0_S7_ifPKiS9_S9_iPKfiiiPfSC_PS2_PT2_iSB_SB_
; %bb.0:
	s_load_dwordx2 s[20:21], s[0:1], 0x30
	s_mov_b32 s24, s3
	s_mov_b64 s[6:7], 0
	s_waitcnt lgkmcnt(0)
	s_cmp_lg_u64 s[20:21], 0
	s_cselect_b64 s[22:23], -1, 0
	s_and_b64 vcc, exec, s[22:23]
	s_cbranch_vccz .LBB948_10
; %bb.1:
	s_add_i32 s8, s2, 1
	s_mov_b32 s9, 0
	s_lshl_b64 s[10:11], s[8:9], 2
	s_add_u32 s10, s20, s10
	s_mov_b32 s3, s9
	s_addc_u32 s11, s21, s11
	s_lshl_b64 s[8:9], s[2:3], 2
	s_add_u32 s8, s20, s8
	s_addc_u32 s9, s21, s9
	s_load_dword s5, s[10:11], 0x0
	s_load_dword s12, s[8:9], 0x0
	s_waitcnt lgkmcnt(0)
	s_sub_i32 s5, s5, s12
	s_cmp_eq_u32 s5, 1
	s_cselect_b64 s[8:9], -1, 0
	s_andn2_b64 vcc, exec, s[6:7]
	s_cbranch_vccnz .LBB948_3
.LBB948_2:
	s_mov_b32 s3, 0
	s_mov_b64 s[8:9], -1
.LBB948_3:
	s_andn2_b64 vcc, exec, s[8:9]
	s_cbranch_vccnz .LBB948_25
; %bb.4:
	s_load_dword s5, s[0:1], 0x9c
	s_load_dwordx2 s[6:7], s[0:1], 0x28
	s_add_u32 s28, s0, 0x90
	s_addc_u32 s29, s1, 0
	s_lshl_b64 s[34:35], s[2:3], 2
	s_waitcnt lgkmcnt(0)
	s_and_b32 s5, s5, 0xffff
	s_add_u32 s6, s6, s34
	s_addc_u32 s7, s7, s35
	s_load_dword s3, s[6:7], 0x0
	s_mul_i32 s10, s24, s5
	s_waitcnt lgkmcnt(0)
	s_cmp_ge_i32 s10, s3
	s_cbranch_scc1 .LBB948_25
; %bb.5:
	v_and_b32_e32 v1, 0xc0, v0
	v_add_u32_e32 v4, s10, v1
	v_lshrrev_b32_e32 v38, 6, v0
	v_cmp_le_i32_e64 s[6:7], s3, v4
                                        ; implicit-def: $sgpr25
                                        ; implicit-def: $sgpr11
	s_and_saveexec_b64 s[8:9], s[6:7]
	s_xor_b64 s[8:9], exec, s[8:9]
	s_cbranch_execz .LBB948_7
; %bb.6:
	v_mul_u32_u24_e32 v1, 20, v38
	v_or_b32_e32 v1, 0x1400, v1
	v_mov_b32_e32 v2, 0x1450
	v_mov_b32_e32 v3, 0xff7fffff
	v_mad_u32_u24 v2, v38, 20, v2
	ds_write2_b32 v1, v3, v3 offset1:1
	v_mov_b32_e32 v1, 0
	ds_write2_b32 v2, v1, v1 offset1:1
	v_mov_b32_e32 v2, 0x1408
	v_mov_b32_e32 v4, 0x1458
	s_mov_b32 s11, 0xff7fffff
	s_mov_b32 s25, 0
	v_mad_u32_u24 v2, v38, 20, v2
	v_mad_u32_u24 v4, v38, 20, v4
	ds_write2_b32 v2, v3, v3 offset1:1
	ds_write2_b32 v4, v1, v1 offset1:1
                                        ; implicit-def: $vgpr4
.LBB948_7:
	s_or_saveexec_b64 s[30:31], s[8:9]
	s_load_dwordx2 s[26:27], s[0:1], 0x68
	s_load_dwordx4 s[16:19], s[0:1], 0x58
	s_load_dword s5, s[28:29], 0x4
	s_load_dwordx4 s[12:15], s[0:1], 0x80
	v_and_b32_e32 v1, 63, v0
	v_and_b32_e32 v39, 3, v0
	v_mov_b32_e32 v37, s25
	v_mov_b32_e32 v40, s11
	;; [unrolled: 1-line block ×5, first 2 shown]
                                        ; implicit-def: $vgpr26_vgpr27
                                        ; implicit-def: $vgpr18_vgpr19
                                        ; implicit-def: $vgpr22_vgpr23
                                        ; implicit-def: $vgpr30_vgpr31
                                        ; implicit-def: $vgpr10_vgpr11
                                        ; implicit-def: $vgpr2_vgpr3
                                        ; implicit-def: $vgpr6_vgpr7
                                        ; implicit-def: $vgpr14_vgpr15
	s_xor_b64 exec, exec, s[30:31]
	s_cbranch_execz .LBB948_17
; %bb.8:
	s_load_dwordx2 s[8:9], s[0:1], 0x20
	s_load_dword s11, s[0:1], 0x38
	s_add_i32 s25, s3, 15
	s_ashr_i32 s33, s25, 31
	s_lshr_b32 s33, s33, 28
	v_add_u32_e32 v36, s10, v0
	s_add_i32 s25, s25, s33
	v_ashrrev_i32_e32 v2, 31, v36
	s_ashr_i32 s25, s25, 4
	v_lshrrev_b32_e32 v2, 28, v2
	s_add_i32 s25, s25, -1
	s_waitcnt lgkmcnt(0)
	s_mul_i32 s36, s2, s11
	s_mov_b32 s37, 0
	v_add_u32_e32 v2, v36, v2
	s_lshl_b64 s[36:37], s[36:37], 2
	v_ashrrev_i32_e32 v2, 4, v2
	v_mov_b32_e32 v3, s25
	v_cmp_gt_i32_e32 vcc, s3, v36
	s_add_u32 s8, s8, s36
	s_addc_u32 s9, s9, s37
	v_cndmask_b32_e32 v2, v3, v2, vcc
	v_ashrrev_i32_e32 v3, 31, v2
	v_lshl_add_u64 v[10:11], v[2:3], 2, s[8:9]
	v_ashrrev_i32_e32 v2, 31, v4
	v_lshrrev_b32_e32 v2, 28, v2
	v_add_u32_e32 v2, v4, v2
	v_ashrrev_i32_e32 v6, 4, v2
	v_min_i32_e32 v2, s25, v6
	v_ashrrev_i32_e32 v3, 31, v2
	v_lshl_add_u64 v[4:5], v[2:3], 2, s[8:9]
	v_add_u32_e32 v2, 1, v6
	v_min_i32_e32 v2, s25, v2
	v_ashrrev_i32_e32 v3, 31, v2
	v_lshl_add_u64 v[12:13], v[2:3], 2, s[8:9]
	v_add_u32_e32 v2, 2, v6
	;; [unrolled: 4-line block ×3, first 2 shown]
	v_min_i32_e32 v2, s25, v2
	v_ashrrev_i32_e32 v3, 31, v2
	v_lshl_add_u64 v[16:17], v[2:3], 2, s[8:9]
	global_load_dword v2, v[10:11], off
	global_load_dword v6, v[4:5], off
	;; [unrolled: 1-line block ×5, first 2 shown]
	s_load_dwordx4 s[8:11], s[0:1], 0x8
	s_andn2_b64 vcc, exec, s[22:23]
	s_cbranch_vccnz .LBB948_11
; %bb.9:
	s_add_u32 s20, s20, s34
	s_addc_u32 s21, s21, s35
	s_load_dword s25, s[20:21], 0x0
	s_branch .LBB948_12
.LBB948_10:
	s_mov_b64 s[8:9], 0
	s_branch .LBB948_2
.LBB948_11:
	s_mov_b32 s25, s2
.LBB948_12:
	s_load_dwordx4 s[20:23], s[0:1], 0x48
	v_cmp_eq_u32_e32 vcc, 0, v39
	s_mov_b32 s37, 0
	v_mov_b32_e32 v37, 0
	v_mov_b32_e32 v5, 0
	;; [unrolled: 1-line block ×6, first 2 shown]
	s_and_saveexec_b64 s[34:35], vcc
	s_cbranch_execz .LBB948_14
; %bb.13:
	s_load_dwordx2 s[38:39], s[0:1], 0x0
	s_waitcnt lgkmcnt(0)
	s_ashr_i32 s23, s20, 31
	s_mul_hi_u32 s33, s25, s20
	s_mul_i32 s23, s25, s23
	s_add_i32 s41, s33, s23
	s_mul_i32 s40, s25, s20
	s_lshl_b64 s[40:41], s[40:41], 1
	s_add_u32 s20, s38, s40
	s_addc_u32 s23, s39, s41
	s_lshl_b32 s36, s4, 7
	s_lshl_b64 s[36:37], s[36:37], 1
	s_add_u32 s36, s20, s36
	s_addc_u32 s37, s23, s37
	v_lshlrev_b32_e32 v3, 2, v1
	global_load_dwordx4 v[14:17], v3, s[36:37]
	v_mov_b32_e32 v37, 1.0
.LBB948_14:
	s_or_b64 exec, exec, s[34:35]
	s_waitcnt lgkmcnt(0)
	s_mul_i32 s20, s4, s22
	s_add_u32 s8, s20, s8
	s_addc_u32 s9, 0, s9
	v_mov_b64_e32 v[10:11], s[8:9]
	v_lshlrev_b32_e32 v4, 4, v0
	s_waitcnt vmcnt(4)
	v_mad_i64_i32 v[2:3], s[8:9], v2, s21, v[10:11]
	v_and_b32_e32 v4, 0xf0, v4
	v_lshl_add_u64 v[2:3], v[2:3], 0, v[4:5]
	global_load_dwordx4 v[10:13], v[2:3], off
	global_load_dwordx4 v[18:21], v[2:3], off offset:256
	s_waitcnt vmcnt(5)
	v_mul_hi_i32 v4, v6, s21
	s_waitcnt vmcnt(4)
	v_mul_hi_i32 v22, v7, s21
	;; [unrolled: 2-line block ×4, first 2 shown]
	v_ashrrev_i32_e32 v4, 31, v4
	v_ashrrev_i32_e32 v22, 31, v22
	;; [unrolled: 1-line block ×4, first 2 shown]
	v_mov_b32_e32 v23, v5
	v_mov_b32_e32 v25, v5
	;; [unrolled: 1-line block ×3, first 2 shown]
	v_lshrrev_b32_e32 v22, 29, v22
	v_lshrrev_b32_e32 v24, 29, v24
	;; [unrolled: 1-line block ×3, first 2 shown]
	s_add_u32 s8, s10, s20
	v_lshrrev_b32_e32 v4, 29, v4
	v_mad_i64_i32 v[22:23], s[22:23], v7, s21, v[22:23]
	v_mad_i64_i32 v[24:25], s[22:23], v8, s21, v[24:25]
	;; [unrolled: 1-line block ×3, first 2 shown]
	s_addc_u32 s9, s11, 0
	v_mad_i64_i32 v[6:7], s[10:11], v6, s21, v[4:5]
	v_and_b32_e32 v22, -8, v22
	v_and_b32_e32 v24, -8, v24
	;; [unrolled: 1-line block ×4, first 2 shown]
	v_lshl_add_u64 v[22:23], s[8:9], 0, v[22:23]
	v_lshl_add_u64 v[24:25], s[8:9], 0, v[24:25]
	;; [unrolled: 1-line block ×3, first 2 shown]
	v_lshlrev_b32_e32 v4, 4, v1
	v_lshl_add_u64 v[6:7], s[8:9], 0, v[6:7]
	v_lshl_add_u64 v[26:27], v[22:23], 0, v[4:5]
	v_lshl_add_u64 v[48:49], v[24:25], 0, v[4:5]
	v_lshl_add_u64 v[34:35], v[8:9], 0, v[4:5]
	v_lshl_add_u64 v[50:51], v[6:7], 0, v[4:5]
	s_load_dword s0, s[0:1], 0x1c
	v_cmp_eq_u32_e32 vcc, 1, v39
	s_load_dword s1, s[12:13], 0x0
	s_waitcnt vmcnt(1)
	v_cvt_pk_f32_fp8_e32 v[4:5], v10
	v_cvt_pk_f32_fp8_sdwa v[6:7], v10 src0_sel:WORD_1
	v_cvt_pk_f32_fp8_e32 v[8:9], v11
	v_cvt_pk_f32_fp8_sdwa v[10:11], v11 src0_sel:WORD_1
	v_cvt_pkrtz_f16_f32 v52, v4, v5
	v_cvt_pkrtz_f16_f32 v53, v6, v7
	global_load_dwordx4 v[4:7], v[2:3], off offset:512
	v_cvt_pkrtz_f16_f32 v54, v8, v9
	v_cvt_pkrtz_f16_f32 v55, v10, v11
	global_load_dwordx4 v[8:11], v[2:3], off offset:768
	v_cvt_pk_f32_fp8_e32 v[22:23], v12
	v_cvt_pk_f32_fp8_sdwa v[24:25], v12 src0_sel:WORD_1
	v_cvt_pk_f32_fp8_e32 v[28:29], v13
	v_cvt_pk_f32_fp8_sdwa v[12:13], v13 src0_sel:WORD_1
	v_cvt_pkrtz_f16_f32 v56, v22, v23
	v_cvt_pkrtz_f16_f32 v57, v24, v25
	global_load_dwordx4 v[22:25], v[2:3], off offset:1024
	s_waitcnt vmcnt(3)
	v_cvt_pk_f32_fp8_e32 v[30:31], v18
	v_cvt_pk_f32_fp8_sdwa v[32:33], v18 src0_sel:WORD_1
	v_cvt_pkrtz_f16_f32 v28, v28, v29
	v_cvt_pkrtz_f16_f32 v29, v12, v13
	;; [unrolled: 1-line block ×4, first 2 shown]
	global_load_dwordx4 v[30:33], v[2:3], off offset:1280
	v_cvt_pk_f32_fp8_e32 v[40:41], v19
	v_cvt_pk_f32_fp8_e32 v[42:43], v20
	v_cvt_pk_f32_fp8_sdwa v[44:45], v20 src0_sel:WORD_1
	v_cvt_pk_f32_fp8_e32 v[46:47], v21
	v_cvt_pkrtz_f16_f32 v58, v40, v41
	v_cvt_pkrtz_f16_f32 v60, v42, v43
	global_load_dwordx4 v[40:43], v[2:3], off offset:1536
	v_cvt_pkrtz_f16_f32 v61, v44, v45
	v_cvt_pkrtz_f16_f32 v62, v46, v47
	global_load_dwordx4 v[44:47], v[2:3], off offset:1792
	v_mfma_f32_4x4x4_16b_f16 a[0:3], v[14:15], v[52:53], 0 cbsz:4
	v_cvt_pk_f32_fp8_sdwa v[18:19], v19 src0_sel:WORD_1
	v_cvt_pk_f32_fp8_sdwa v[20:21], v21 src0_sel:WORD_1
	v_mfma_f32_4x4x4_16b_f16 a[0:3], v[16:17], v[54:55], a[0:3] cbsz:4
	v_cvt_pkrtz_f16_f32 v59, v18, v19
	s_nop 0
	v_mfma_f32_4x4x4_16b_f16 a[0:3], v[14:15], v[56:57], a[0:3] cbsz:4 abid:1
	v_cvt_pkrtz_f16_f32 v63, v20, v21
	s_waitcnt vmcnt(5)
	v_cvt_pk_f32_fp8_e32 v[18:19], v4
	v_mfma_f32_4x4x4_16b_f16 a[0:3], v[16:17], v[28:29], a[0:3] cbsz:4 abid:1
	v_cvt_pk_f32_fp8_sdwa v[20:21], v4 src0_sel:WORD_1
	v_cvt_pk_f32_fp8_sdwa v[28:29], v6 src0_sel:WORD_1
	v_mfma_f32_4x4x4_16b_f16 a[0:3], v[14:15], v[12:13], a[0:3] cbsz:4 abid:2
	v_cvt_pkrtz_f16_f32 v52, v18, v19
	v_cvt_pk_f32_fp8_e32 v[18:19], v5
	v_mfma_f32_4x4x4_16b_f16 a[0:3], v[16:17], v[58:59], a[0:3] cbsz:4 abid:2
	v_cvt_pk_f32_fp8_sdwa v[4:5], v5 src0_sel:WORD_1
	v_cvt_pkrtz_f16_f32 v53, v20, v21
	v_mfma_f32_4x4x4_16b_f16 a[0:3], v[14:15], v[60:61], a[0:3] cbsz:4 abid:3
	v_cvt_pkrtz_f16_f32 v12, v18, v19
	v_cvt_pkrtz_f16_f32 v13, v4, v5
	v_mfma_f32_4x4x4_16b_f16 a[0:3], v[16:17], v[62:63], a[0:3] cbsz:4 abid:3
	global_load_dwordx4 v[18:21], v[26:27], off
	global_load_dwordx4 v[2:5], v[26:27], off offset:1024
	v_cvt_pk_f32_fp8_e32 v[26:27], v6
	v_mfma_f32_4x4x4_16b_f16 a[0:3], v[14:15], v[52:53], a[0:3] cbsz:4 abid:4
	s_waitcnt vmcnt(6)
	v_cvt_pk_f32_fp8_e32 v[52:53], v9
	v_cvt_pk_f32_fp8_sdwa v[54:55], v11 src0_sel:WORD_1
	v_mfma_f32_4x4x4_16b_f16 a[0:3], v[16:17], v[12:13], a[0:3] cbsz:4 abid:4
	v_cvt_pk_f32_fp8_e32 v[12:13], v7
	v_cvt_pk_f32_fp8_sdwa v[6:7], v7 src0_sel:WORD_1
	v_cvt_pkrtz_f16_f32 v26, v26, v27
	v_cvt_pkrtz_f16_f32 v27, v28, v29
	;; [unrolled: 1-line block ×4, first 2 shown]
	v_mfma_f32_4x4x4_16b_f16 a[0:3], v[14:15], v[26:27], a[0:3] cbsz:4 abid:5
	v_cvt_pk_f32_fp8_e32 v[6:7], v8
	global_load_dwordx4 v[26:29], v[50:51], off
	v_mfma_f32_4x4x4_16b_f16 a[0:3], v[16:17], v[12:13], a[0:3] cbsz:4 abid:5
	v_cvt_pk_f32_fp8_sdwa v[12:13], v8 src0_sel:WORD_1
	v_cvt_pk_f32_fp8_sdwa v[8:9], v9 src0_sel:WORD_1
	v_cvt_pkrtz_f16_f32 v6, v6, v7
	v_cvt_pkrtz_f16_f32 v7, v12, v13
	;; [unrolled: 1-line block ×3, first 2 shown]
	s_nop 0
	v_mfma_f32_4x4x4_16b_f16 a[0:3], v[14:15], v[6:7], a[0:3] cbsz:4 abid:6
	v_cvt_pk_f32_fp8_e32 v[6:7], v10
	v_cvt_pk_f32_fp8_sdwa v[8:9], v10 src0_sel:WORD_1
	v_cvt_pkrtz_f16_f32 v12, v52, v53
	v_cvt_pk_f32_fp8_e32 v[52:53], v11
	v_cvt_pkrtz_f16_f32 v6, v6, v7
	v_mfma_f32_4x4x4_16b_f16 a[0:3], v[16:17], v[12:13], a[0:3] cbsz:4 abid:6
	global_load_dwordx4 v[10:13], v[50:51], off offset:1024
	v_cvt_pkrtz_f16_f32 v7, v8, v9
	v_cvt_pkrtz_f16_f32 v8, v52, v53
	;; [unrolled: 1-line block ×3, first 2 shown]
	v_mfma_f32_4x4x4_16b_f16 a[0:3], v[14:15], v[6:7], a[0:3] cbsz:4 abid:7
	s_waitcnt vmcnt(7)
	v_cvt_pk_f32_fp8_e32 v[6:7], v22
	v_cvt_pk_f32_fp8_e32 v[50:51], v23
	v_mfma_f32_4x4x4_16b_f16 a[0:3], v[16:17], v[8:9], a[0:3] cbsz:4 abid:7
	v_cvt_pk_f32_fp8_sdwa v[8:9], v22 src0_sel:WORD_1
	v_cvt_pk_f32_fp8_sdwa v[22:23], v23 src0_sel:WORD_1
	v_cvt_pkrtz_f16_f32 v6, v6, v7
	v_cvt_pk_f32_fp8_sdwa v[52:53], v25 src0_sel:WORD_1
	v_cvt_pkrtz_f16_f32 v7, v8, v9
	v_cvt_pkrtz_f16_f32 v8, v50, v51
	;; [unrolled: 1-line block ×3, first 2 shown]
	v_mfma_f32_4x4x4_16b_f16 a[0:3], v[14:15], v[6:7], a[0:3] cbsz:4 abid:8
	v_cvt_pk_f32_fp8_e32 v[6:7], v24
	v_cvt_pk_f32_fp8_e32 v[50:51], v25
	v_mfma_f32_4x4x4_16b_f16 a[0:3], v[16:17], v[8:9], a[0:3] cbsz:4 abid:8
	v_cvt_pk_f32_fp8_sdwa v[8:9], v24 src0_sel:WORD_1
	v_cvt_pkrtz_f16_f32 v6, v6, v7
	global_load_dwordx4 v[22:25], v[48:49], off
	v_cvt_pkrtz_f16_f32 v7, v8, v9
	v_cvt_pkrtz_f16_f32 v8, v50, v51
	s_nop 0
	v_mfma_f32_4x4x4_16b_f16 a[0:3], v[14:15], v[6:7], a[0:3] cbsz:4 abid:9
	v_cvt_pkrtz_f16_f32 v9, v52, v53
	s_waitcnt vmcnt(7)
	v_cvt_pk_f32_fp8_e32 v[6:7], v30
	v_cvt_pk_f32_fp8_e32 v[50:51], v31
	v_mfma_f32_4x4x4_16b_f16 a[0:3], v[16:17], v[8:9], a[0:3] cbsz:4 abid:9
	v_cvt_pk_f32_fp8_sdwa v[8:9], v30 src0_sel:WORD_1
	v_cvt_pk_f32_fp8_sdwa v[30:31], v31 src0_sel:WORD_1
	v_cvt_pkrtz_f16_f32 v52, v6, v7
	v_cvt_pkrtz_f16_f32 v53, v8, v9
	global_load_dwordx4 v[6:9], v[48:49], off offset:1024
	s_nop 0
	v_mfma_f32_4x4x4_16b_f16 a[0:3], v[14:15], v[52:53], a[0:3] cbsz:4 abid:10
	v_cvt_pkrtz_f16_f32 v48, v50, v51
	v_cvt_pkrtz_f16_f32 v49, v30, v31
	v_cvt_pk_f32_fp8_e32 v[30:31], v32
	v_cvt_pk_f32_fp8_e32 v[50:51], v33
	v_mfma_f32_4x4x4_16b_f16 a[0:3], v[16:17], v[48:49], a[0:3] cbsz:4 abid:10
	v_cvt_pk_f32_fp8_sdwa v[48:49], v32 src0_sel:WORD_1
	v_cvt_pk_f32_fp8_sdwa v[32:33], v33 src0_sel:WORD_1
	v_cvt_pkrtz_f16_f32 v30, v30, v31
	v_cvt_pkrtz_f16_f32 v31, v48, v49
	;; [unrolled: 1-line block ×3, first 2 shown]
	s_nop 0
	v_mfma_f32_4x4x4_16b_f16 a[0:3], v[14:15], v[30:31], a[0:3] cbsz:4 abid:11
	s_waitcnt vmcnt(7)
	v_cvt_pk_f32_fp8_e32 v[30:31], v40
	v_cvt_pk_f32_fp8_sdwa v[32:33], v40 src0_sel:WORD_1
	v_cvt_pkrtz_f16_f32 v48, v50, v51
	v_cvt_pkrtz_f16_f32 v30, v30, v31
	s_nop 0
	v_mfma_f32_4x4x4_16b_f16 a[0:3], v[16:17], v[48:49], a[0:3] cbsz:4 abid:11
	v_cvt_pk_f32_fp8_e32 v[48:49], v41
	v_cvt_pk_f32_fp8_sdwa v[40:41], v41 src0_sel:WORD_1
	v_cvt_pkrtz_f16_f32 v31, v32, v33
	v_cvt_pkrtz_f16_f32 v32, v48, v49
	s_nop 0
	v_mfma_f32_4x4x4_16b_f16 a[0:3], v[14:15], v[30:31], a[0:3] cbsz:4 abid:12
	v_cvt_pkrtz_f16_f32 v33, v40, v41
	v_cvt_pk_f32_fp8_e32 v[30:31], v42
	v_cvt_pk_f32_fp8_e32 v[40:41], v43
	v_mfma_f32_4x4x4_16b_f16 a[0:3], v[16:17], v[32:33], a[0:3] cbsz:4 abid:12
	v_cvt_pk_f32_fp8_sdwa v[32:33], v42 src0_sel:WORD_1
	v_cvt_pk_f32_fp8_sdwa v[42:43], v43 src0_sel:WORD_1
	v_cvt_pkrtz_f16_f32 v30, v30, v31
	v_cvt_pkrtz_f16_f32 v31, v32, v33
	;; [unrolled: 1-line block ×3, first 2 shown]
	s_nop 0
	v_mfma_f32_4x4x4_16b_f16 a[0:3], v[14:15], v[30:31], a[0:3] cbsz:4 abid:13
	v_cvt_pkrtz_f16_f32 v33, v42, v43
	s_waitcnt vmcnt(6)
	v_cvt_pk_f32_fp8_e32 v[30:31], v44
	v_cvt_pk_f32_fp8_e32 v[40:41], v45
	v_mfma_f32_4x4x4_16b_f16 a[0:3], v[16:17], v[32:33], a[0:3] cbsz:4 abid:13
	v_cvt_pk_f32_fp8_sdwa v[32:33], v44 src0_sel:WORD_1
	v_cvt_pk_f32_fp8_sdwa v[42:43], v45 src0_sel:WORD_1
	v_cvt_pkrtz_f16_f32 v30, v30, v31
	v_cvt_pkrtz_f16_f32 v31, v32, v33
	;; [unrolled: 1-line block ×3, first 2 shown]
	s_nop 0
	v_mfma_f32_4x4x4_16b_f16 a[0:3], v[14:15], v[30:31], a[0:3] cbsz:4 abid:14
	v_cvt_pk_f32_fp8_e32 v[30:31], v46
	v_cvt_pk_f32_fp8_sdwa v[40:41], v46 src0_sel:WORD_1
	v_cvt_pkrtz_f16_f32 v33, v42, v43
	v_cvt_pkrtz_f16_f32 v30, v30, v31
	s_nop 0
	v_mfma_f32_4x4x4_16b_f16 a[0:3], v[16:17], v[32:33], a[0:3] cbsz:4 abid:14
	v_cvt_pk_f32_fp8_e32 v[32:33], v47
	v_cvt_pkrtz_f16_f32 v31, v40, v41
	v_cvt_pk_f32_fp8_sdwa v[40:41], v47 src0_sel:WORD_1
	v_cvt_pkrtz_f16_f32 v32, v32, v33
	v_mfma_f32_4x4x4_16b_f16 a[0:3], v[14:15], v[30:31], a[0:3] cbsz:4 abid:15
	v_cvt_pkrtz_f16_f32 v33, v40, v41
	s_waitcnt lgkmcnt(0)
	v_mov_b32_e32 v14, s0
	v_mul_f32_e32 v40, s1, v14
	v_mfma_f32_4x4x4_16b_f16 a[0:3], v[16:17], v[32:33], a[0:3] cbsz:4 abid:15
	s_nop 4
	v_accvgpr_read_b32 v15, a1
	v_accvgpr_read_b32 v14, a0
	v_pk_mul_f32 v[42:43], v[14:15], v[40:41] op_sel_hi:[1,0]
	global_load_dwordx4 v[30:33], v[34:35], off
	global_load_dwordx4 v[14:17], v[34:35], off offset:1024
	v_accvgpr_read_b32 v35, a3
	v_accvgpr_read_b32 v34, a2
	v_pk_mul_f32 v[34:35], v[34:35], v[40:41] op_sel_hi:[1,0]
	v_mfma_f32_4x4x1_16b_f32 a[0:3], v42, v37, 0
	v_cndmask_b32_e64 v37, 0, 1.0, vcc
	v_cmp_eq_u32_e32 vcc, 2, v39
	v_mov_b32_e32 v41, 0xff7fffff
	v_mfma_f32_4x4x1_16b_f32 a[0:3], v43, v37, a[0:3]
	v_cndmask_b32_e64 v37, 0, 1.0, vcc
	v_cmp_eq_u32_e32 vcc, 3, v39
	s_nop 0
	v_mfma_f32_4x4x1_16b_f32 a[0:3], v34, v37, a[0:3]
	v_cndmask_b32_e64 v34, 0, 1.0, vcc
	s_nop 1
	v_mfma_f32_4x4x1_16b_f32 a[0:3], v35, v34, a[0:3]
	v_and_b32_e32 v34, -4, v36
	v_cmp_gt_i32_e32 vcc, s3, v34
	v_or_b32_e32 v36, 3, v36
	v_cmp_gt_i32_e64 s[10:11], s3, v36
	v_accvgpr_read_b32 v37, a0
	v_max_f32_e32 v40, v37, v37
	v_max_f32_e32 v40, 0xff7fffff, v40
	v_accvgpr_read_b32 v42, a1
	v_cndmask_b32_e32 v40, v41, v40, vcc
	v_or_b32_e32 v41, 1, v34
	v_max_f32_e32 v43, v42, v42
	v_max_f32_e32 v43, v40, v43
	v_cmp_gt_i32_e64 s[0:1], s3, v41
	v_accvgpr_read_b32 v41, a2
	v_or_b32_e32 v34, 2, v34
	v_cndmask_b32_e64 v40, v40, v43, s[0:1]
	v_max_f32_e32 v43, v41, v41
	v_max_f32_e32 v43, v40, v43
	v_cmp_gt_i32_e64 s[8:9], s3, v34
	v_lshlrev_b32_e32 v35, 2, v0
	v_and_or_b32 v35, v35, 48, v39
	v_cndmask_b32_e64 v34, v40, v43, s[8:9]
	v_accvgpr_read_b32 v43, a3
	v_max_f32_e32 v40, v43, v43
	v_max_f32_e32 v40, v34, v40
	v_cndmask_b32_e64 v34, v34, v40, s[10:11]
	;;#ASMSTART
	v_nop
 v_nop
 v_max_f32_dpp v34, v34, v34 row_ror:4
	;;#ASMEND
	v_lshlrev_b32_e32 v44, 2, v35
	;;#ASMSTART
	v_nop
 v_nop
 v_max_f32_dpp v34, v34, v34 row_ror:8
	;;#ASMEND
	ds_bpermute_b32 v34, v44, v34
	s_waitcnt lgkmcnt(0)
	;;#ASMSTART
	v_nop
 v_nop
 v_max_f32_dpp v34, v34, v34 row_ror:4
	;;#ASMEND
	s_nop 0
	;;#ASMSTART
	v_nop
 v_nop
 v_max_f32_dpp v40, v34, v34 row_ror:8
	;;#ASMEND
	s_nop 0
	v_sub_f32_e32 v34, v37, v40
	v_mul_f32_e32 v34, 0x3fb8aa3b, v34
	v_sub_f32_e32 v35, v42, v40
	v_exp_f32_e32 v34, v34
	v_mul_f32_e32 v35, 0x3fb8aa3b, v35
	v_sub_f32_e32 v37, v41, v40
	v_exp_f32_e32 v35, v35
	;; [unrolled: 3-line block ×3, first 2 shown]
	v_mul_f32_e32 v41, 0x3fb8aa3b, v41
	v_exp_f32_e32 v41, v41
	v_cndmask_b32_e32 v34, 0, v34, vcc
	v_add_f32_e32 v36, 0, v34
	v_cndmask_b32_e64 v35, 0, v35, s[0:1]
	v_add_f32_e32 v42, v36, v35
	v_cndmask_b32_e64 v36, 0, v37, s[8:9]
	;; [unrolled: 2-line block ×3, first 2 shown]
	v_add_f32_e32 v41, v42, v37
	;;#ASMSTART
	v_nop
 v_nop
 v_add_f32_dpp v41, v41, v41 row_ror:4
	;;#ASMEND
	v_cmp_gt_u32_e32 vcc, 4, v1
	;;#ASMSTART
	v_nop
 v_nop
 v_add_f32_dpp v41, v41, v41 row_ror:8
	;;#ASMEND
	ds_bpermute_b32 v41, v44, v41
	s_waitcnt lgkmcnt(0)
	;;#ASMSTART
	v_nop
 v_nop
 v_add_f32_dpp v41, v41, v41 row_ror:4
	;;#ASMEND
	s_nop 0
	;;#ASMSTART
	v_nop
 v_nop
 v_add_f32_dpp v41, v41, v41 row_ror:8
	;;#ASMEND
	s_and_saveexec_b64 s[0:1], vcc
	s_cbranch_execz .LBB948_16
; %bb.15:
	v_mul_u32_u24_e32 v42, 20, v38
	v_lshl_add_u32 v42, v39, 2, v42
	v_add_u32_e32 v42, 0x1400, v42
	ds_write2_b32 v42, v40, v41 offset1:20
.LBB948_16:
	s_or_b64 exec, exec, s[0:1]
.LBB948_17:
	s_or_b64 exec, exec, s[30:31]
	s_waitcnt lgkmcnt(0)
	s_barrier
	s_load_dword s0, s[28:29], 0x8
	v_lshlrev_b32_e32 v41, 2, v39
	v_add_u32_e32 v42, 0x1400, v41
	ds_read2_b32 v[44:45], v42 offset1:5
	ds_read2_b32 v[46:47], v42 offset0:10 offset1:15
	s_mul_i32 s1, s5, s2
	s_waitcnt lgkmcnt(0)
	s_mul_i32 s0, s1, s0
	s_mov_b32 s1, 0xff7fffff
	v_max3_f32 v41, v44, s1, v45
	v_max3_f32 v41, v41, v46, v47
	v_sub_f32_e32 v43, v44, v41
	v_sub_f32_e32 v44, v45, v41
	v_mul_f32_e32 v44, 0x3fb8aa3b, v44
	ds_read2_b32 v[48:49], v42 offset0:20 offset1:25
	v_mul_f32_e32 v43, 0x3fb8aa3b, v43
	v_exp_f32_e32 v51, v44
	ds_read2_b32 v[44:45], v42 offset0:30 offset1:35
	v_sub_f32_e32 v42, v46, v41
	v_exp_f32_e32 v50, v43
	v_mul_f32_e32 v42, 0x3fb8aa3b, v42
	v_exp_f32_e32 v46, v42
	v_sub_f32_e32 v42, v47, v41
	v_mul_f32_e32 v42, 0x3fb8aa3b, v42
	v_exp_f32_e32 v47, v42
	s_waitcnt lgkmcnt(1)
	v_fma_f32 v42, v50, v48, 0
	v_fmac_f32_e32 v42, v51, v49
	s_waitcnt lgkmcnt(0)
	v_fmac_f32_e32 v42, v46, v44
	v_mov_b32_e32 v43, 0
	v_fmac_f32_e32 v42, v47, v45
	s_mov_b32 s1, 0
	v_cmp_eq_u32_e32 vcc, 0, v39
	s_and_saveexec_b64 s[2:3], vcc
	s_cbranch_execz .LBB948_19
; %bb.18:
	s_lshl_b64 s[8:9], s[0:1], 2
	s_add_u32 s12, s16, s8
	s_mov_b32 s25, s1
	s_addc_u32 s13, s17, s9
	s_lshl_b64 s[10:11], s[24:25], 2
	s_add_u32 s12, s12, s10
	s_addc_u32 s13, s13, s11
	s_add_u32 s8, s18, s8
	s_addc_u32 s9, s19, s9
	s_add_u32 s16, s8, s10
	s_addc_u32 s17, s9, s11
	s_mul_i32 s8, s5, s4
	s_mov_b32 s9, s1
	s_lshl_b64 s[8:9], s[8:9], 2
	s_add_u32 s10, s12, s8
	s_addc_u32 s11, s13, s9
	s_add_u32 s8, s16, s8
	s_addc_u32 s9, s17, s9
	global_store_dword v43, v41, s[8:9]
	global_store_dword v43, v42, s[10:11]
.LBB948_19:
	s_or_b64 exec, exec, s[2:3]
	v_lshlrev_b32_e32 v38, 3, v38
	s_and_saveexec_b64 s[2:3], s[6:7]
	s_xor_b64 s[2:3], exec, s[2:3]
	s_cbranch_execz .LBB948_21
; %bb.20:
	s_mov_b32 s6, 0
	s_mov_b32 s7, s6
	s_waitcnt vmcnt(6)
	v_mad_u32_u24 v4, v1, 40, v38
	v_mov_b64_e32 v[2:3], s[6:7]
	ds_write2st64_b64 v4, v[2:3], v[2:3] offset1:5
                                        ; implicit-def: $vgpr37
                                        ; implicit-def: $vgpr35
                                        ; implicit-def: $vgpr40
                                        ; implicit-def: $vgpr26_vgpr27
                                        ; implicit-def: $vgpr18_vgpr19
                                        ; implicit-def: $vgpr22_vgpr23
                                        ; implicit-def: $vgpr30_vgpr31
                                        ; implicit-def: $vgpr10_vgpr11
                                        ; implicit-def: $vgpr2_vgpr3
                                        ; implicit-def: $vgpr6_vgpr7
                                        ; implicit-def: $vgpr14_vgpr15
                                        ; implicit-def: $vgpr41
                                        ; implicit-def: $vgpr42
                                        ; implicit-def: $vgpr38
.LBB948_21:
	s_andn2_saveexec_b64 s[2:3], s[2:3]
	s_cbranch_execz .LBB948_23
; %bb.22:
	v_add_f32_e32 v39, 0x358637bd, v42
	v_div_scale_f32 v42, s[6:7], v39, v39, 1.0
	v_rcp_f32_e32 v43, v42
	v_sub_f32_e32 v40, v40, v41
	v_mul_f32_e32 v40, 0x3fb8aa3b, v40
	v_exp_f32_e32 v40, v40
	v_fma_f32 v41, -v42, v43, 1.0
	v_fmac_f32_e32 v43, v41, v43
	v_div_scale_f32 v41, vcc, 1.0, v39, 1.0
	v_mul_f32_e32 v44, v41, v43
	v_fma_f32 v45, -v42, v44, v41
	v_fmac_f32_e32 v44, v45, v43
	v_fma_f32 v41, -v42, v44, v41
	v_div_fmas_f32 v41, v41, v43, v44
	v_div_fixup_f32 v39, v41, v39, 1.0
	v_mul_f32_e32 v40, v40, v39
	v_pk_mul_f32 v[36:37], v[36:37], v[40:41] op_sel_hi:[1,0]
	v_pk_mul_f32 v[34:35], v[34:35], v[40:41] op_sel_hi:[1,0]
	v_cvt_f16_f32_e32 v36, v36
	v_cvt_f16_f32_e32 v34, v34
	;; [unrolled: 1-line block ×4, first 2 shown]
	s_waitcnt vmcnt(5)
	v_cvt_pk_f32_fp8_sdwa v[40:41], v26 src0_sel:WORD_1
	v_cvt_pk_f32_fp8_e32 v[42:43], v27
	v_pack_b32_f16 v34, v34, v35
	v_pack_b32_f16 v35, v36, v37
	v_cvt_pk_f32_fp8_e32 v[36:37], v26
	v_cvt_pk_f32_fp8_sdwa v[26:27], v27 src0_sel:WORD_1
	s_load_dword s6, s[14:15], 0x0
	v_cvt_pkrtz_f16_f32 v36, v36, v37
	v_cvt_pkrtz_f16_f32 v37, v40, v41
	v_cvt_pkrtz_f16_f32 v40, v42, v43
	v_cvt_pkrtz_f16_f32 v41, v26, v27
	v_mfma_f32_4x4x4_16b_f16 a[0:3], v[34:35], v[36:37], 0 cbsz:4
	v_cvt_pk_f32_fp8_e32 v[26:27], v28
	v_cvt_pk_f32_fp8_sdwa v[36:37], v28 src0_sel:WORD_1
	v_mfma_f32_4x4x4_16b_f16 a[0:3], v[34:35], v[40:41], a[0:3] cbsz:4 abid:1
	v_cvt_pk_f32_fp8_e32 v[40:41], v29
	v_cvt_pk_f32_fp8_sdwa v[28:29], v29 src0_sel:WORD_1
	v_cvt_pkrtz_f16_f32 v26, v26, v27
	v_cvt_pkrtz_f16_f32 v27, v36, v37
	v_cvt_pkrtz_f16_f32 v36, v40, v41
	v_cvt_pkrtz_f16_f32 v37, v28, v29
	v_mfma_f32_4x4x4_16b_f16 a[0:3], v[34:35], v[26:27], a[0:3] cbsz:4 abid:2
	v_cvt_pk_f32_fp8_e32 v[26:27], v18
	v_cvt_pk_f32_fp8_sdwa v[28:29], v18 src0_sel:WORD_1
	v_mfma_f32_4x4x4_16b_f16 a[0:3], v[34:35], v[36:37], a[0:3] cbsz:4 abid:3
	v_cvt_pk_f32_fp8_e32 v[36:37], v19
	v_cvt_pk_f32_fp8_sdwa v[18:19], v19 src0_sel:WORD_1
	v_cvt_pkrtz_f16_f32 v26, v26, v27
	v_cvt_pkrtz_f16_f32 v27, v28, v29
	v_cvt_pkrtz_f16_f32 v28, v36, v37
	v_cvt_pkrtz_f16_f32 v29, v18, v19
	v_mfma_f32_4x4x4_16b_f16 a[0:3], v[34:35], v[26:27], a[0:3] cbsz:4 abid:4
	;; [unrolled: 10-line block ×3, first 2 shown]
	s_waitcnt vmcnt(3)
	v_cvt_pk_f32_fp8_e32 v[18:19], v22
	v_cvt_pk_f32_fp8_sdwa v[20:21], v22 src0_sel:WORD_1
	v_mfma_f32_4x4x4_16b_f16 a[0:3], v[34:35], v[26:27], a[0:3] cbsz:4 abid:7
	v_cvt_pk_f32_fp8_e32 v[26:27], v23
	v_cvt_pk_f32_fp8_sdwa v[22:23], v23 src0_sel:WORD_1
	v_cvt_pkrtz_f16_f32 v18, v18, v19
	v_cvt_pkrtz_f16_f32 v19, v20, v21
	;; [unrolled: 1-line block ×4, first 2 shown]
	v_mfma_f32_4x4x4_16b_f16 a[0:3], v[34:35], v[18:19], a[0:3] cbsz:4 abid:8
	v_cvt_pk_f32_fp8_e32 v[18:19], v24
	v_cvt_pk_f32_fp8_e32 v[22:23], v25
	v_mfma_f32_4x4x4_16b_f16 a[0:3], v[34:35], v[20:21], a[0:3] cbsz:4 abid:9
	v_cvt_pk_f32_fp8_sdwa v[20:21], v24 src0_sel:WORD_1
	v_cvt_pk_f32_fp8_sdwa v[24:25], v25 src0_sel:WORD_1
	v_cvt_pkrtz_f16_f32 v18, v18, v19
	v_cvt_pkrtz_f16_f32 v19, v20, v21
	;; [unrolled: 1-line block ×3, first 2 shown]
	s_nop 0
	v_mfma_f32_4x4x4_16b_f16 a[0:3], v[34:35], v[18:19], a[0:3] cbsz:4 abid:10
	v_cvt_pkrtz_f16_f32 v21, v24, v25
	s_waitcnt vmcnt(1)
	v_cvt_pk_f32_fp8_e32 v[18:19], v30
	v_cvt_pk_f32_fp8_e32 v[22:23], v31
	v_mfma_f32_4x4x4_16b_f16 a[0:3], v[34:35], v[20:21], a[0:3] cbsz:4 abid:11
	v_cvt_pk_f32_fp8_sdwa v[20:21], v30 src0_sel:WORD_1
	v_cvt_pk_f32_fp8_sdwa v[24:25], v31 src0_sel:WORD_1
	v_cvt_pkrtz_f16_f32 v18, v18, v19
	v_cvt_pkrtz_f16_f32 v19, v20, v21
	;; [unrolled: 1-line block ×3, first 2 shown]
	s_nop 0
	v_mfma_f32_4x4x4_16b_f16 a[0:3], v[34:35], v[18:19], a[0:3] cbsz:4 abid:12
	v_cvt_pkrtz_f16_f32 v21, v24, v25
	v_cvt_pk_f32_fp8_e32 v[18:19], v32
	v_cvt_pk_f32_fp8_e32 v[22:23], v33
	v_mfma_f32_4x4x4_16b_f16 a[0:3], v[34:35], v[20:21], a[0:3] cbsz:4 abid:13
	v_cvt_pk_f32_fp8_sdwa v[20:21], v32 src0_sel:WORD_1
	v_cvt_pk_f32_fp8_sdwa v[24:25], v33 src0_sel:WORD_1
	v_cvt_pkrtz_f16_f32 v18, v18, v19
	v_cvt_pkrtz_f16_f32 v19, v20, v21
	v_cvt_pkrtz_f16_f32 v20, v22, v23
	s_nop 0
	v_mfma_f32_4x4x4_16b_f16 a[0:3], v[34:35], v[18:19], a[0:3] cbsz:4 abid:14
	v_cvt_pkrtz_f16_f32 v21, v24, v25
	v_cvt_pk_f32_fp8_sdwa v[22:23], v10 src0_sel:WORD_1
	v_cvt_pk_f32_fp8_e32 v[24:25], v11
	v_mfma_f32_4x4x4_16b_f16 a[0:3], v[34:35], v[20:21], a[0:3] cbsz:4 abid:15
	s_nop 4
	v_accvgpr_read_b32 v19, a1
	v_accvgpr_read_b32 v18, a0
	s_waitcnt lgkmcnt(0)
	v_pk_mul_f32 v[18:19], v[18:19], s[6:7] op_sel_hi:[1,0]
	s_nop 0
	v_cvt_f16_f32_e32 v20, v18
	v_cvt_f16_f32_e32 v21, v19
	v_accvgpr_read_b32 v19, a3
	v_accvgpr_read_b32 v18, a2
	v_pk_mul_f32 v[18:19], v[18:19], s[6:7] op_sel_hi:[1,0]
	v_pack_b32_f16 v20, v20, v21
	v_cvt_f16_f32_e32 v21, v18
	v_cvt_f16_f32_e32 v26, v19
	v_cvt_pk_f32_fp8_e32 v[18:19], v10
	v_cvt_pk_f32_fp8_sdwa v[10:11], v11 src0_sel:WORD_1
	v_pack_b32_f16 v21, v21, v26
	v_cvt_pkrtz_f16_f32 v18, v18, v19
	v_cvt_pkrtz_f16_f32 v19, v22, v23
	;; [unrolled: 1-line block ×4, first 2 shown]
	v_mfma_f32_4x4x4_16b_f16 a[0:3], v[34:35], v[18:19], 0 cbsz:4
	v_cvt_pk_f32_fp8_e32 v[10:11], v12
	v_cvt_pk_f32_fp8_sdwa v[18:19], v12 src0_sel:WORD_1
	v_mfma_f32_4x4x4_16b_f16 a[0:3], v[34:35], v[22:23], a[0:3] cbsz:4 abid:1
	v_cvt_pk_f32_fp8_e32 v[22:23], v13
	v_cvt_pk_f32_fp8_sdwa v[12:13], v13 src0_sel:WORD_1
	v_cvt_pkrtz_f16_f32 v10, v10, v11
	v_cvt_pkrtz_f16_f32 v11, v18, v19
	v_cvt_pkrtz_f16_f32 v18, v22, v23
	v_cvt_pkrtz_f16_f32 v19, v12, v13
	v_mfma_f32_4x4x4_16b_f16 a[0:3], v[34:35], v[10:11], a[0:3] cbsz:4 abid:2
	v_cvt_pk_f32_fp8_e32 v[10:11], v2
	v_cvt_pk_f32_fp8_sdwa v[12:13], v2 src0_sel:WORD_1
	v_mfma_f32_4x4x4_16b_f16 a[0:3], v[34:35], v[18:19], a[0:3] cbsz:4 abid:3
	v_cvt_pk_f32_fp8_e32 v[18:19], v3
	v_cvt_pk_f32_fp8_sdwa v[2:3], v3 src0_sel:WORD_1
	v_cvt_pkrtz_f16_f32 v10, v10, v11
	v_cvt_pkrtz_f16_f32 v11, v12, v13
	v_cvt_pkrtz_f16_f32 v12, v18, v19
	v_cvt_pkrtz_f16_f32 v13, v2, v3
	v_mfma_f32_4x4x4_16b_f16 a[0:3], v[34:35], v[10:11], a[0:3] cbsz:4 abid:4
	;; [unrolled: 10-line block ×4, first 2 shown]
	v_cvt_pk_f32_fp8_e32 v[2:3], v8
	v_cvt_pk_f32_fp8_e32 v[6:7], v9
	v_mfma_f32_4x4x4_16b_f16 a[0:3], v[34:35], v[4:5], a[0:3] cbsz:4 abid:9
	v_cvt_pk_f32_fp8_sdwa v[4:5], v8 src0_sel:WORD_1
	v_cvt_pk_f32_fp8_sdwa v[8:9], v9 src0_sel:WORD_1
	v_cvt_pkrtz_f16_f32 v2, v2, v3
	v_cvt_pkrtz_f16_f32 v3, v4, v5
	;; [unrolled: 1-line block ×3, first 2 shown]
	s_nop 0
	v_mfma_f32_4x4x4_16b_f16 a[0:3], v[34:35], v[2:3], a[0:3] cbsz:4 abid:10
	v_cvt_pkrtz_f16_f32 v5, v8, v9
	s_waitcnt vmcnt(0)
	v_cvt_pk_f32_fp8_e32 v[2:3], v14
	v_cvt_pk_f32_fp8_e32 v[6:7], v15
	v_mfma_f32_4x4x4_16b_f16 a[0:3], v[34:35], v[4:5], a[0:3] cbsz:4 abid:11
	v_cvt_pk_f32_fp8_sdwa v[4:5], v14 src0_sel:WORD_1
	v_cvt_pk_f32_fp8_sdwa v[8:9], v15 src0_sel:WORD_1
	v_cvt_pkrtz_f16_f32 v2, v2, v3
	v_cvt_pkrtz_f16_f32 v3, v4, v5
	;; [unrolled: 1-line block ×3, first 2 shown]
	s_nop 0
	v_mfma_f32_4x4x4_16b_f16 a[0:3], v[34:35], v[2:3], a[0:3] cbsz:4 abid:12
	v_cvt_pkrtz_f16_f32 v5, v8, v9
	v_cvt_pk_f32_fp8_e32 v[2:3], v16
	v_cvt_pk_f32_fp8_e32 v[6:7], v17
	v_mfma_f32_4x4x4_16b_f16 a[0:3], v[34:35], v[4:5], a[0:3] cbsz:4 abid:13
	v_cvt_pk_f32_fp8_sdwa v[4:5], v16 src0_sel:WORD_1
	v_cvt_pk_f32_fp8_sdwa v[8:9], v17 src0_sel:WORD_1
	v_cvt_pkrtz_f16_f32 v2, v2, v3
	v_cvt_pkrtz_f16_f32 v3, v4, v5
	v_cvt_pkrtz_f16_f32 v4, v6, v7
	s_nop 0
	v_mfma_f32_4x4x4_16b_f16 a[0:3], v[34:35], v[2:3], a[0:3] cbsz:4 abid:14
	v_cvt_pkrtz_f16_f32 v5, v8, v9
	v_mad_u32_u24 v7, v1, 40, v38
	s_nop 0
	v_mfma_f32_4x4x4_16b_f16 a[0:3], v[34:35], v[4:5], a[0:3] cbsz:4 abid:15
	s_nop 4
	v_accvgpr_read_b32 v5, a1
	v_accvgpr_read_b32 v3, a3
	;; [unrolled: 1-line block ×4, first 2 shown]
	v_pk_mul_f32 v[2:3], v[2:3], s[6:7] op_sel_hi:[1,0]
	v_pk_mul_f32 v[4:5], v[4:5], s[6:7] op_sel_hi:[1,0]
	v_cvt_f16_f32_e32 v6, v2
	v_cvt_f16_f32_e32 v4, v4
	;; [unrolled: 1-line block ×4, first 2 shown]
	v_pack_b32_f16 v2, v4, v5
	v_pack_b32_f16 v3, v6, v3
	ds_write2st64_b64 v7, v[20:21], v[2:3] offset1:5
.LBB948_23:
	s_or_b64 exec, exec, s[2:3]
	v_cmp_gt_u32_e32 vcc, 64, v0
	s_waitcnt lgkmcnt(0)
	s_barrier
	s_and_saveexec_b64 s[2:3], vcc
	s_cbranch_execz .LBB948_25
; %bb.24:
	s_waitcnt vmcnt(6)
	v_mov_b32_e32 v2, 0xa00
	v_mad_u32_u24 v2, v1, 40, v2
	s_waitcnt vmcnt(2)
	v_mov_b32_e32 v6, 0xa10
	ds_read2_b64 v[2:5], v2 offset1:1
	s_waitcnt lgkmcnt(0)
	v_mad_u32_u24 v3, v1, 40, v6
	ds_read2_b64 v[6:9], v3 offset1:1
	v_mul_u32_u24_e32 v1, 40, v1
	s_lshl_b32 s0, s0, 7
	v_pk_add_f16 v2, v2, 0
	s_lshl_b64 s[2:3], s[0:1], 1
	v_pk_add_f16 v2, v2, v4
	s_add_u32 s2, s26, s2
	s_waitcnt lgkmcnt(0)
	v_pk_add_f16 v2, v2, v6
	s_addc_u32 s3, s27, s3
	v_pk_add_f16 v10, v2, v8
	ds_read2_b64 v[2:5], v1 offset1:1
	ds_read2_b64 v[6:9], v1 offset0:2 offset1:3
	s_lshl_b32 s0, s24, 7
	s_lshl_b64 s[0:1], s[0:1], 1
	s_add_u32 s0, s2, s0
	s_waitcnt lgkmcnt(1)
	v_pk_add_f16 v2, v2, 0
	s_mul_i32 s4, s4, s5
	v_pk_add_f16 v2, v2, v4
	s_addc_u32 s1, s3, s1
	v_lshl_or_b32 v0, s4, 7, v0
	v_mov_b32_e32 v1, 0
	s_waitcnt lgkmcnt(0)
	v_pk_add_f16 v2, v2, v6
	v_lshl_add_u64 v[0:1], v[0:1], 1, s[0:1]
	v_pk_add_f16 v2, v2, v8
	global_store_short v[0:1], v2, off
	global_store_short v[0:1], v10, off offset:128
.LBB948_25:
	s_endpgm
	.section	.rodata,"a",@progbits
	.p2align	6, 0x0
	.amdhsa_kernel _Z38paged_attention_ll4mi_QKV_mfma4_kernelIDF16_hLN4vllm18Fp8KVCacheDataTypeE1EhLi16ELi128ELi256ELb0ELi1EEvPKT_PKT0_S7_ifPKiS9_S9_iPKfiiiPfSC_PS2_PT2_iSB_SB_
		.amdhsa_group_segment_fixed_size 5280
		.amdhsa_private_segment_fixed_size 0
		.amdhsa_kernarg_size 400
		.amdhsa_user_sgpr_count 2
		.amdhsa_user_sgpr_dispatch_ptr 0
		.amdhsa_user_sgpr_queue_ptr 0
		.amdhsa_user_sgpr_kernarg_segment_ptr 1
		.amdhsa_user_sgpr_dispatch_id 0
		.amdhsa_user_sgpr_kernarg_preload_length 0
		.amdhsa_user_sgpr_kernarg_preload_offset 0
		.amdhsa_user_sgpr_private_segment_size 0
		.amdhsa_uses_dynamic_stack 0
		.amdhsa_enable_private_segment 0
		.amdhsa_system_sgpr_workgroup_id_x 1
		.amdhsa_system_sgpr_workgroup_id_y 1
		.amdhsa_system_sgpr_workgroup_id_z 1
		.amdhsa_system_sgpr_workgroup_info 0
		.amdhsa_system_vgpr_workitem_id 0
		.amdhsa_next_free_vgpr 68
		.amdhsa_next_free_sgpr 42
		.amdhsa_accum_offset 64
		.amdhsa_reserve_vcc 1
		.amdhsa_float_round_mode_32 0
		.amdhsa_float_round_mode_16_64 0
		.amdhsa_float_denorm_mode_32 3
		.amdhsa_float_denorm_mode_16_64 3
		.amdhsa_dx10_clamp 1
		.amdhsa_ieee_mode 1
		.amdhsa_fp16_overflow 0
		.amdhsa_tg_split 0
		.amdhsa_exception_fp_ieee_invalid_op 0
		.amdhsa_exception_fp_denorm_src 0
		.amdhsa_exception_fp_ieee_div_zero 0
		.amdhsa_exception_fp_ieee_overflow 0
		.amdhsa_exception_fp_ieee_underflow 0
		.amdhsa_exception_fp_ieee_inexact 0
		.amdhsa_exception_int_div_zero 0
	.end_amdhsa_kernel
	.section	.text._Z38paged_attention_ll4mi_QKV_mfma4_kernelIDF16_hLN4vllm18Fp8KVCacheDataTypeE1EhLi16ELi128ELi256ELb0ELi1EEvPKT_PKT0_S7_ifPKiS9_S9_iPKfiiiPfSC_PS2_PT2_iSB_SB_,"axG",@progbits,_Z38paged_attention_ll4mi_QKV_mfma4_kernelIDF16_hLN4vllm18Fp8KVCacheDataTypeE1EhLi16ELi128ELi256ELb0ELi1EEvPKT_PKT0_S7_ifPKiS9_S9_iPKfiiiPfSC_PS2_PT2_iSB_SB_,comdat
.Lfunc_end948:
	.size	_Z38paged_attention_ll4mi_QKV_mfma4_kernelIDF16_hLN4vllm18Fp8KVCacheDataTypeE1EhLi16ELi128ELi256ELb0ELi1EEvPKT_PKT0_S7_ifPKiS9_S9_iPKfiiiPfSC_PS2_PT2_iSB_SB_, .Lfunc_end948-_Z38paged_attention_ll4mi_QKV_mfma4_kernelIDF16_hLN4vllm18Fp8KVCacheDataTypeE1EhLi16ELi128ELi256ELb0ELi1EEvPKT_PKT0_S7_ifPKiS9_S9_iPKfiiiPfSC_PS2_PT2_iSB_SB_
                                        ; -- End function
	.section	.AMDGPU.csdata,"",@progbits
; Kernel info:
; codeLenInByte = 5324
; NumSgprs: 48
; NumVgprs: 64
; NumAgprs: 4
; TotalNumVgprs: 68
; ScratchSize: 0
; MemoryBound: 0
; FloatMode: 240
; IeeeMode: 1
; LDSByteSize: 5280 bytes/workgroup (compile time only)
; SGPRBlocks: 5
; VGPRBlocks: 8
; NumSGPRsForWavesPerEU: 48
; NumVGPRsForWavesPerEU: 68
; AccumOffset: 64
; Occupancy: 7
; WaveLimiterHint : 1
; COMPUTE_PGM_RSRC2:SCRATCH_EN: 0
; COMPUTE_PGM_RSRC2:USER_SGPR: 2
; COMPUTE_PGM_RSRC2:TRAP_HANDLER: 0
; COMPUTE_PGM_RSRC2:TGID_X_EN: 1
; COMPUTE_PGM_RSRC2:TGID_Y_EN: 1
; COMPUTE_PGM_RSRC2:TGID_Z_EN: 1
; COMPUTE_PGM_RSRC2:TIDIG_COMP_CNT: 0
; COMPUTE_PGM_RSRC3_GFX90A:ACCUM_OFFSET: 15
; COMPUTE_PGM_RSRC3_GFX90A:TG_SPLIT: 0
	.section	.text._Z38paged_attention_ll4mi_QKV_mfma4_kernelIDF16_hLN4vllm18Fp8KVCacheDataTypeE1EhLi16ELi128ELi256ELb0ELi2EEvPKT_PKT0_S7_ifPKiS9_S9_iPKfiiiPfSC_PS2_PT2_iSB_SB_,"axG",@progbits,_Z38paged_attention_ll4mi_QKV_mfma4_kernelIDF16_hLN4vllm18Fp8KVCacheDataTypeE1EhLi16ELi128ELi256ELb0ELi2EEvPKT_PKT0_S7_ifPKiS9_S9_iPKfiiiPfSC_PS2_PT2_iSB_SB_,comdat
	.protected	_Z38paged_attention_ll4mi_QKV_mfma4_kernelIDF16_hLN4vllm18Fp8KVCacheDataTypeE1EhLi16ELi128ELi256ELb0ELi2EEvPKT_PKT0_S7_ifPKiS9_S9_iPKfiiiPfSC_PS2_PT2_iSB_SB_ ; -- Begin function _Z38paged_attention_ll4mi_QKV_mfma4_kernelIDF16_hLN4vllm18Fp8KVCacheDataTypeE1EhLi16ELi128ELi256ELb0ELi2EEvPKT_PKT0_S7_ifPKiS9_S9_iPKfiiiPfSC_PS2_PT2_iSB_SB_
	.globl	_Z38paged_attention_ll4mi_QKV_mfma4_kernelIDF16_hLN4vllm18Fp8KVCacheDataTypeE1EhLi16ELi128ELi256ELb0ELi2EEvPKT_PKT0_S7_ifPKiS9_S9_iPKfiiiPfSC_PS2_PT2_iSB_SB_
	.p2align	8
	.type	_Z38paged_attention_ll4mi_QKV_mfma4_kernelIDF16_hLN4vllm18Fp8KVCacheDataTypeE1EhLi16ELi128ELi256ELb0ELi2EEvPKT_PKT0_S7_ifPKiS9_S9_iPKfiiiPfSC_PS2_PT2_iSB_SB_,@function
_Z38paged_attention_ll4mi_QKV_mfma4_kernelIDF16_hLN4vllm18Fp8KVCacheDataTypeE1EhLi16ELi128ELi256ELb0ELi2EEvPKT_PKT0_S7_ifPKiS9_S9_iPKfiiiPfSC_PS2_PT2_iSB_SB_: ; @_Z38paged_attention_ll4mi_QKV_mfma4_kernelIDF16_hLN4vllm18Fp8KVCacheDataTypeE1EhLi16ELi128ELi256ELb0ELi2EEvPKT_PKT0_S7_ifPKiS9_S9_iPKfiiiPfSC_PS2_PT2_iSB_SB_
; %bb.0:
	s_load_dwordx2 s[20:21], s[0:1], 0x30
	s_mov_b32 s24, s3
	s_mov_b64 s[6:7], 0
	s_waitcnt lgkmcnt(0)
	s_cmp_lg_u64 s[20:21], 0
	s_cselect_b64 s[22:23], -1, 0
	s_and_b64 vcc, exec, s[22:23]
	s_cbranch_vccz .LBB949_10
; %bb.1:
	s_add_i32 s8, s2, 1
	s_mov_b32 s9, 0
	s_lshl_b64 s[10:11], s[8:9], 2
	s_add_u32 s10, s20, s10
	s_mov_b32 s3, s9
	s_addc_u32 s11, s21, s11
	s_lshl_b64 s[8:9], s[2:3], 2
	s_add_u32 s8, s20, s8
	s_addc_u32 s9, s21, s9
	s_load_dword s5, s[10:11], 0x0
	s_load_dword s12, s[8:9], 0x0
	s_waitcnt lgkmcnt(0)
	s_sub_i32 s5, s5, s12
	s_cmp_eq_u32 s5, 1
	s_cselect_b64 s[8:9], -1, 0
	s_andn2_b64 vcc, exec, s[6:7]
	s_cbranch_vccnz .LBB949_3
.LBB949_2:
	s_mov_b32 s3, 0
	s_mov_b64 s[8:9], -1
.LBB949_3:
	s_andn2_b64 vcc, exec, s[8:9]
	s_cbranch_vccnz .LBB949_25
; %bb.4:
	s_load_dword s5, s[0:1], 0x9c
	s_load_dwordx2 s[6:7], s[0:1], 0x28
	s_add_u32 s28, s0, 0x90
	s_addc_u32 s29, s1, 0
	s_lshl_b64 s[34:35], s[2:3], 2
	s_waitcnt lgkmcnt(0)
	s_and_b32 s5, s5, 0xffff
	s_add_u32 s6, s6, s34
	s_addc_u32 s7, s7, s35
	s_load_dword s3, s[6:7], 0x0
	s_mul_i32 s10, s24, s5
	s_waitcnt lgkmcnt(0)
	s_cmp_ge_i32 s10, s3
	s_cbranch_scc1 .LBB949_25
; %bb.5:
	v_and_b32_e32 v1, 0xc0, v0
	v_add_u32_e32 v4, s10, v1
	v_lshrrev_b32_e32 v38, 6, v0
	v_cmp_le_i32_e64 s[6:7], s3, v4
                                        ; implicit-def: $sgpr25
                                        ; implicit-def: $sgpr11
	s_and_saveexec_b64 s[8:9], s[6:7]
	s_xor_b64 s[8:9], exec, s[8:9]
	s_cbranch_execz .LBB949_7
; %bb.6:
	v_mul_u32_u24_e32 v1, 20, v38
	v_or_b32_e32 v1, 0x1400, v1
	v_mov_b32_e32 v2, 0x1450
	v_mov_b32_e32 v3, 0xff7fffff
	v_mad_u32_u24 v2, v38, 20, v2
	ds_write2_b32 v1, v3, v3 offset1:1
	v_mov_b32_e32 v1, 0
	ds_write2_b32 v2, v1, v1 offset1:1
	v_mov_b32_e32 v2, 0x1408
	v_mov_b32_e32 v4, 0x1458
	s_mov_b32 s11, 0xff7fffff
	s_mov_b32 s25, 0
	v_mad_u32_u24 v2, v38, 20, v2
	v_mad_u32_u24 v4, v38, 20, v4
	ds_write2_b32 v2, v3, v3 offset1:1
	ds_write2_b32 v4, v1, v1 offset1:1
                                        ; implicit-def: $vgpr4
.LBB949_7:
	s_or_saveexec_b64 s[30:31], s[8:9]
	s_load_dwordx2 s[26:27], s[0:1], 0x68
	s_load_dwordx4 s[16:19], s[0:1], 0x58
	s_load_dword s5, s[28:29], 0x4
	s_load_dwordx4 s[12:15], s[0:1], 0x80
	v_and_b32_e32 v1, 63, v0
	v_and_b32_e32 v39, 3, v0
	v_mov_b32_e32 v37, s25
	v_mov_b32_e32 v40, s11
	;; [unrolled: 1-line block ×5, first 2 shown]
                                        ; implicit-def: $vgpr26_vgpr27
                                        ; implicit-def: $vgpr18_vgpr19
                                        ; implicit-def: $vgpr22_vgpr23
                                        ; implicit-def: $vgpr30_vgpr31
                                        ; implicit-def: $vgpr10_vgpr11
                                        ; implicit-def: $vgpr2_vgpr3
                                        ; implicit-def: $vgpr6_vgpr7
                                        ; implicit-def: $vgpr14_vgpr15
	s_xor_b64 exec, exec, s[30:31]
	s_cbranch_execz .LBB949_17
; %bb.8:
	s_load_dwordx2 s[8:9], s[0:1], 0x20
	s_load_dword s11, s[0:1], 0x38
	s_add_i32 s25, s3, 15
	s_ashr_i32 s33, s25, 31
	s_lshr_b32 s33, s33, 28
	v_add_u32_e32 v40, s10, v0
	s_add_i32 s25, s25, s33
	v_ashrrev_i32_e32 v2, 31, v40
	s_ashr_i32 s25, s25, 4
	v_lshrrev_b32_e32 v2, 28, v2
	s_add_i32 s25, s25, -1
	s_waitcnt lgkmcnt(0)
	s_mul_i32 s36, s2, s11
	s_mov_b32 s37, 0
	v_add_u32_e32 v2, v40, v2
	s_lshl_b64 s[36:37], s[36:37], 2
	v_ashrrev_i32_e32 v2, 4, v2
	v_mov_b32_e32 v3, s25
	v_cmp_gt_i32_e32 vcc, s3, v40
	s_add_u32 s8, s8, s36
	s_addc_u32 s9, s9, s37
	v_cndmask_b32_e32 v2, v3, v2, vcc
	v_ashrrev_i32_e32 v3, 31, v2
	v_lshl_add_u64 v[10:11], v[2:3], 2, s[8:9]
	v_ashrrev_i32_e32 v2, 31, v4
	v_lshrrev_b32_e32 v2, 28, v2
	v_add_u32_e32 v2, v4, v2
	v_ashrrev_i32_e32 v6, 4, v2
	v_min_i32_e32 v2, s25, v6
	v_ashrrev_i32_e32 v3, 31, v2
	v_lshl_add_u64 v[4:5], v[2:3], 2, s[8:9]
	v_add_u32_e32 v2, 1, v6
	v_min_i32_e32 v2, s25, v2
	v_ashrrev_i32_e32 v3, 31, v2
	v_lshl_add_u64 v[12:13], v[2:3], 2, s[8:9]
	v_add_u32_e32 v2, 2, v6
	;; [unrolled: 4-line block ×3, first 2 shown]
	v_min_i32_e32 v2, s25, v2
	v_ashrrev_i32_e32 v3, 31, v2
	v_lshl_add_u64 v[16:17], v[2:3], 2, s[8:9]
	global_load_dword v2, v[10:11], off
	global_load_dword v6, v[4:5], off
	;; [unrolled: 1-line block ×5, first 2 shown]
	s_load_dwordx4 s[8:11], s[0:1], 0x8
	s_andn2_b64 vcc, exec, s[22:23]
	s_cbranch_vccnz .LBB949_11
; %bb.9:
	s_add_u32 s20, s20, s34
	s_addc_u32 s21, s21, s35
	s_load_dword s25, s[20:21], 0x0
	s_branch .LBB949_12
.LBB949_10:
	s_mov_b64 s[8:9], 0
	s_branch .LBB949_2
.LBB949_11:
	s_mov_b32 s25, s2
.LBB949_12:
	s_load_dwordx4 s[20:23], s[0:1], 0x48
	v_cmp_gt_u32_e32 vcc, 2, v39
	s_mov_b32 s37, 0
	v_mov_b32_e32 v5, 0
	v_mov_b32_e32 v34, 0
	;; [unrolled: 1-line block ×5, first 2 shown]
	s_and_saveexec_b64 s[34:35], vcc
	s_cbranch_execz .LBB949_14
; %bb.13:
	s_load_dwordx2 s[38:39], s[0:1], 0x0
	s_waitcnt lgkmcnt(0)
	s_ashr_i32 s23, s20, 31
	s_mul_hi_u32 s33, s25, s20
	s_mul_i32 s23, s25, s23
	s_add_i32 s41, s33, s23
	s_mul_i32 s40, s25, s20
	s_lshl_b64 s[40:41], s[40:41], 1
	s_add_u32 s20, s38, s40
	s_addc_u32 s23, s39, s41
	s_lshl_b32 s36, s4, 8
	s_lshl_b64 s[36:37], s[36:37], 1
	v_lshlrev_b32_e32 v3, 2, v1
	s_add_u32 s36, s20, s36
	v_and_b32_e32 v3, 0xf0, v3
	s_addc_u32 s37, s23, s37
	v_lshl_or_b32 v3, v39, 8, v3
	global_load_dwordx4 v[34:37], v3, s[36:37]
.LBB949_14:
	s_or_b64 exec, exec, s[34:35]
	s_waitcnt lgkmcnt(0)
	s_mul_i32 s20, s4, s22
	s_add_u32 s8, s20, s8
	s_addc_u32 s9, 0, s9
	v_mov_b64_e32 v[10:11], s[8:9]
	v_lshlrev_b32_e32 v4, 4, v0
	s_waitcnt vmcnt(4)
	v_mad_i64_i32 v[2:3], s[8:9], v2, s21, v[10:11]
	v_and_b32_e32 v4, 0xf0, v4
	v_lshl_add_u64 v[2:3], v[2:3], 0, v[4:5]
	global_load_dwordx4 v[10:13], v[2:3], off
	global_load_dwordx4 v[16:19], v[2:3], off offset:256
	s_waitcnt vmcnt(5)
	v_mul_hi_i32 v4, v6, s21
	s_waitcnt vmcnt(4)
	v_mul_hi_i32 v14, v7, s21
	;; [unrolled: 2-line block ×4, first 2 shown]
	v_ashrrev_i32_e32 v4, 31, v4
	v_ashrrev_i32_e32 v14, 31, v14
	;; [unrolled: 1-line block ×4, first 2 shown]
	v_mov_b32_e32 v15, v5
	v_mov_b32_e32 v21, v5
	;; [unrolled: 1-line block ×3, first 2 shown]
	v_lshrrev_b32_e32 v14, 29, v14
	v_lshrrev_b32_e32 v20, 29, v20
	v_lshrrev_b32_e32 v22, 29, v22
	s_add_u32 s8, s10, s20
	v_lshrrev_b32_e32 v4, 29, v4
	v_mad_i64_i32 v[14:15], s[22:23], v7, s21, v[14:15]
	v_mad_i64_i32 v[20:21], s[22:23], v8, s21, v[20:21]
	;; [unrolled: 1-line block ×3, first 2 shown]
	s_addc_u32 s9, s11, 0
	v_mad_i64_i32 v[6:7], s[10:11], v6, s21, v[4:5]
	v_and_b32_e32 v14, -8, v14
	v_and_b32_e32 v20, -8, v20
	;; [unrolled: 1-line block ×4, first 2 shown]
	v_lshl_add_u64 v[14:15], s[8:9], 0, v[14:15]
	v_lshl_add_u64 v[20:21], s[8:9], 0, v[20:21]
	;; [unrolled: 1-line block ×3, first 2 shown]
	v_lshlrev_b32_e32 v4, 4, v1
	v_lshl_add_u64 v[6:7], s[8:9], 0, v[6:7]
	v_lshl_add_u64 v[26:27], v[14:15], 0, v[4:5]
	;; [unrolled: 1-line block ×5, first 2 shown]
	s_load_dword s0, s[0:1], 0x1c
	v_cmp_eq_u32_e32 vcc, 0, v39
	s_load_dword s1, s[12:13], 0x0
	v_mov_b32_e32 v41, 0xff7fffff
	s_waitcnt vmcnt(1)
	v_cvt_pk_f32_fp8_e32 v[4:5], v10
	v_cvt_pk_f32_fp8_sdwa v[6:7], v10 src0_sel:WORD_1
	v_cvt_pk_f32_fp8_e32 v[8:9], v11
	v_cvt_pk_f32_fp8_sdwa v[10:11], v11 src0_sel:WORD_1
	v_cvt_pkrtz_f16_f32 v48, v4, v5
	v_cvt_pkrtz_f16_f32 v49, v6, v7
	global_load_dwordx4 v[4:7], v[2:3], off offset:512
	v_cvt_pkrtz_f16_f32 v54, v8, v9
	v_cvt_pkrtz_f16_f32 v55, v10, v11
	global_load_dwordx4 v[8:11], v[2:3], off offset:768
	v_cvt_pk_f32_fp8_e32 v[20:21], v12
	v_cvt_pk_f32_fp8_sdwa v[22:23], v12 src0_sel:WORD_1
	v_cvt_pk_f32_fp8_e32 v[24:25], v13
	v_cvt_pk_f32_fp8_sdwa v[12:13], v13 src0_sel:WORD_1
	v_cvt_pkrtz_f16_f32 v20, v20, v21
	v_cvt_pkrtz_f16_f32 v21, v22, v23
	;; [unrolled: 1-line block ×3, first 2 shown]
	global_load_dwordx4 v[22:25], v[2:3], off offset:1024
	s_waitcnt vmcnt(3)
	v_cvt_pk_f32_fp8_e32 v[28:29], v16
	v_cvt_pk_f32_fp8_sdwa v[30:31], v16 src0_sel:WORD_1
	v_cvt_pk_f32_fp8_e32 v[32:33], v17
	v_cvt_pkrtz_f16_f32 v57, v12, v13
	v_cvt_pkrtz_f16_f32 v12, v28, v29
	;; [unrolled: 1-line block ×4, first 2 shown]
	global_load_dwordx4 v[30:33], v[2:3], off offset:1280
	v_cvt_pk_f32_fp8_sdwa v[16:17], v17 src0_sel:WORD_1
	v_cvt_pk_f32_fp8_e32 v[42:43], v18
	v_cvt_pk_f32_fp8_sdwa v[44:45], v18 src0_sel:WORD_1
	v_mfma_f32_4x4x4_16b_f16 a[0:3], v[34:35], v[48:49], 0 cbsz:4
	v_cvt_pkrtz_f16_f32 v29, v16, v17
	v_cvt_pkrtz_f16_f32 v16, v42, v43
	;; [unrolled: 1-line block ×3, first 2 shown]
	v_cvt_pk_f32_fp8_e32 v[46:47], v19
	v_mfma_f32_4x4x4_16b_f16 a[0:3], v[36:37], v[54:55], a[0:3] cbsz:4
	v_cvt_pk_f32_fp8_sdwa v[18:19], v19 src0_sel:WORD_1
	v_cvt_pkrtz_f16_f32 v58, v46, v47
	v_mfma_f32_4x4x4_16b_f16 a[0:3], v[34:35], v[20:21], a[0:3] cbsz:4 abid:1
	v_cvt_pkrtz_f16_f32 v59, v18, v19
	global_load_dwordx4 v[46:49], v[2:3], off offset:1792
	v_mfma_f32_4x4x4_16b_f16 a[0:3], v[36:37], v[56:57], a[0:3] cbsz:4 abid:1
	s_waitcnt vmcnt(4)
	v_cvt_pk_f32_fp8_sdwa v[42:43], v4 src0_sel:WORD_1
	v_cvt_pk_f32_fp8_e32 v[18:19], v4
	v_mfma_f32_4x4x4_16b_f16 a[0:3], v[34:35], v[12:13], a[0:3] cbsz:4 abid:2
	s_waitcnt vmcnt(3)
	v_cvt_pk_f32_fp8_sdwa v[54:55], v11 src0_sel:WORD_1
	v_cvt_pkrtz_f16_f32 v61, v42, v43
	global_load_dwordx4 v[42:45], v[2:3], off offset:1536
	v_mfma_f32_4x4x4_16b_f16 a[0:3], v[36:37], v[28:29], a[0:3] cbsz:4 abid:2
	v_cvt_pkrtz_f16_f32 v60, v18, v19
	v_cvt_pk_f32_fp8_e32 v[18:19], v5
	v_cvt_pk_f32_fp8_sdwa v[4:5], v5 src0_sel:WORD_1
	v_mfma_f32_4x4x4_16b_f16 a[0:3], v[34:35], v[16:17], a[0:3] cbsz:4 abid:3
	v_cvt_pk_f32_fp8_e32 v[16:17], v6
	v_cvt_pkrtz_f16_f32 v12, v18, v19
	v_mfma_f32_4x4x4_16b_f16 a[0:3], v[36:37], v[58:59], a[0:3] cbsz:4 abid:3
	v_cvt_pkrtz_f16_f32 v13, v4, v5
	global_load_dwordx4 v[18:21], v[26:27], off
	global_load_dwordx4 v[2:5], v[26:27], off offset:1024
	v_mfma_f32_4x4x4_16b_f16 a[0:3], v[34:35], v[60:61], a[0:3] cbsz:4 abid:4
	v_cvt_pk_f32_fp8_sdwa v[26:27], v6 src0_sel:WORD_1
	v_cvt_pkrtz_f16_f32 v16, v16, v17
	v_mfma_f32_4x4x4_16b_f16 a[0:3], v[36:37], v[12:13], a[0:3] cbsz:4 abid:4
	v_cvt_pk_f32_fp8_e32 v[12:13], v7
	v_cvt_pk_f32_fp8_sdwa v[6:7], v7 src0_sel:WORD_1
	v_cvt_pkrtz_f16_f32 v17, v26, v27
	v_cvt_pk_f32_fp8_sdwa v[26:27], v8 src0_sel:WORD_1
	v_cvt_pkrtz_f16_f32 v12, v12, v13
	v_mfma_f32_4x4x4_16b_f16 a[0:3], v[34:35], v[16:17], a[0:3] cbsz:4 abid:5
	v_cvt_pk_f32_fp8_e32 v[16:17], v8
	v_cvt_pkrtz_f16_f32 v13, v6, v7
	v_cvt_pkrtz_f16_f32 v7, v26, v27
	global_load_dwordx4 v[26:29], v[52:53], off
	v_mfma_f32_4x4x4_16b_f16 a[0:3], v[36:37], v[12:13], a[0:3] cbsz:4 abid:5
	v_cvt_pk_f32_fp8_e32 v[12:13], v9
	v_cvt_pk_f32_fp8_sdwa v[8:9], v9 src0_sel:WORD_1
	v_cvt_pkrtz_f16_f32 v6, v16, v17
	v_cvt_pk_f32_fp8_e32 v[16:17], v11
	v_cvt_pkrtz_f16_f32 v12, v12, v13
	v_mfma_f32_4x4x4_16b_f16 a[0:3], v[34:35], v[6:7], a[0:3] cbsz:4 abid:6
	v_cvt_pkrtz_f16_f32 v13, v8, v9
	v_cvt_pk_f32_fp8_e32 v[6:7], v10
	v_cvt_pk_f32_fp8_sdwa v[8:9], v10 src0_sel:WORD_1
	v_mfma_f32_4x4x4_16b_f16 a[0:3], v[36:37], v[12:13], a[0:3] cbsz:4 abid:6
	global_load_dwordx4 v[10:13], v[52:53], off offset:1024
	v_cvt_pkrtz_f16_f32 v6, v6, v7
	v_cvt_pkrtz_f16_f32 v7, v8, v9
	;; [unrolled: 1-line block ×4, first 2 shown]
	v_mfma_f32_4x4x4_16b_f16 a[0:3], v[34:35], v[6:7], a[0:3] cbsz:4 abid:7
	s_waitcnt vmcnt(7)
	v_cvt_pk_f32_fp8_e32 v[6:7], v22
	v_cvt_pk_f32_fp8_e32 v[16:17], v23
	v_mfma_f32_4x4x4_16b_f16 a[0:3], v[36:37], v[8:9], a[0:3] cbsz:4 abid:7
	v_cvt_pk_f32_fp8_sdwa v[8:9], v22 src0_sel:WORD_1
	v_cvt_pk_f32_fp8_sdwa v[22:23], v23 src0_sel:WORD_1
	v_cvt_pkrtz_f16_f32 v6, v6, v7
	v_cvt_pk_f32_fp8_sdwa v[52:53], v25 src0_sel:WORD_1
	v_cvt_pkrtz_f16_f32 v7, v8, v9
	v_cvt_pkrtz_f16_f32 v8, v16, v17
	;; [unrolled: 1-line block ×3, first 2 shown]
	v_mfma_f32_4x4x4_16b_f16 a[0:3], v[34:35], v[6:7], a[0:3] cbsz:4 abid:8
	v_cvt_pk_f32_fp8_e32 v[6:7], v24
	v_cvt_pk_f32_fp8_e32 v[16:17], v25
	v_mfma_f32_4x4x4_16b_f16 a[0:3], v[36:37], v[8:9], a[0:3] cbsz:4 abid:8
	v_cvt_pk_f32_fp8_sdwa v[8:9], v24 src0_sel:WORD_1
	v_cvt_pkrtz_f16_f32 v6, v6, v7
	global_load_dwordx4 v[22:25], v[50:51], off
	v_cvt_pkrtz_f16_f32 v7, v8, v9
	v_cvt_pkrtz_f16_f32 v8, v16, v17
	s_nop 0
	v_mfma_f32_4x4x4_16b_f16 a[0:3], v[34:35], v[6:7], a[0:3] cbsz:4 abid:9
	v_cvt_pkrtz_f16_f32 v9, v52, v53
	s_waitcnt vmcnt(7)
	v_cvt_pk_f32_fp8_e32 v[6:7], v30
	v_cvt_pk_f32_fp8_e32 v[16:17], v31
	v_mfma_f32_4x4x4_16b_f16 a[0:3], v[36:37], v[8:9], a[0:3] cbsz:4 abid:9
	v_cvt_pk_f32_fp8_sdwa v[8:9], v30 src0_sel:WORD_1
	v_cvt_pk_f32_fp8_sdwa v[52:53], v31 src0_sel:WORD_1
	v_cvt_pkrtz_f16_f32 v30, v6, v7
	v_cvt_pkrtz_f16_f32 v16, v16, v17
	;; [unrolled: 1-line block ×3, first 2 shown]
	global_load_dwordx4 v[6:9], v[50:51], off offset:1024
	v_cvt_pkrtz_f16_f32 v17, v52, v53
	v_mfma_f32_4x4x4_16b_f16 a[0:3], v[34:35], v[30:31], a[0:3] cbsz:4 abid:10
	v_cvt_pk_f32_fp8_sdwa v[30:31], v32 src0_sel:WORD_1
	v_cvt_pk_f32_fp8_e32 v[50:51], v33
	v_mfma_f32_4x4x4_16b_f16 a[0:3], v[36:37], v[16:17], a[0:3] cbsz:4 abid:10
	v_cvt_pk_f32_fp8_e32 v[16:17], v32
	v_cvt_pk_f32_fp8_sdwa v[32:33], v33 src0_sel:WORD_1
	s_waitcnt vmcnt(6)
	v_cvt_pk_f32_fp8_e32 v[52:53], v45
	v_cvt_pkrtz_f16_f32 v16, v16, v17
	v_cvt_pkrtz_f16_f32 v17, v30, v31
	;; [unrolled: 1-line block ×4, first 2 shown]
	v_mfma_f32_4x4x4_16b_f16 a[0:3], v[34:35], v[16:17], a[0:3] cbsz:4 abid:11
	v_cvt_pk_f32_fp8_e32 v[16:17], v42
	v_cvt_pk_f32_fp8_e32 v[50:51], v43
	v_mfma_f32_4x4x4_16b_f16 a[0:3], v[36:37], v[30:31], a[0:3] cbsz:4 abid:11
	v_cvt_pk_f32_fp8_sdwa v[30:31], v42 src0_sel:WORD_1
	v_cvt_pkrtz_f16_f32 v16, v16, v17
	v_cvt_pk_f32_fp8_sdwa v[42:43], v43 src0_sel:WORD_1
	v_cvt_pkrtz_f16_f32 v50, v50, v51
	v_cvt_pkrtz_f16_f32 v17, v30, v31
	global_load_dwordx4 v[30:33], v[14:15], off
	v_cvt_pkrtz_f16_f32 v51, v42, v43
	v_mfma_f32_4x4x4_16b_f16 a[0:3], v[34:35], v[16:17], a[0:3] cbsz:4 abid:12
	global_load_dwordx4 v[14:17], v[14:15], off offset:1024
	v_cvt_pk_f32_fp8_e32 v[42:43], v44
	v_mfma_f32_4x4x4_16b_f16 a[0:3], v[36:37], v[50:51], a[0:3] cbsz:4 abid:12
	v_cvt_pk_f32_fp8_sdwa v[50:51], v44 src0_sel:WORD_1
	v_cvt_pk_f32_fp8_sdwa v[44:45], v45 src0_sel:WORD_1
	v_cvt_pkrtz_f16_f32 v42, v42, v43
	v_cvt_pkrtz_f16_f32 v43, v50, v51
	v_cvt_pkrtz_f16_f32 v51, v44, v45
	s_nop 0
	v_mfma_f32_4x4x4_16b_f16 a[0:3], v[34:35], v[42:43], a[0:3] cbsz:4 abid:13
	v_cvt_pk_f32_fp8_e32 v[42:43], v46
	v_cvt_pk_f32_fp8_sdwa v[44:45], v46 src0_sel:WORD_1
	v_cvt_pkrtz_f16_f32 v50, v52, v53
	v_cvt_pkrtz_f16_f32 v42, v42, v43
	s_nop 0
	v_mfma_f32_4x4x4_16b_f16 a[0:3], v[36:37], v[50:51], a[0:3] cbsz:4 abid:13
	v_cvt_pk_f32_fp8_e32 v[50:51], v47
	v_cvt_pk_f32_fp8_sdwa v[46:47], v47 src0_sel:WORD_1
	v_cvt_pkrtz_f16_f32 v43, v44, v45
	v_cvt_pkrtz_f16_f32 v44, v50, v51
	s_nop 0
	v_mfma_f32_4x4x4_16b_f16 a[0:3], v[34:35], v[42:43], a[0:3] cbsz:4 abid:14
	v_cvt_pkrtz_f16_f32 v45, v46, v47
	v_cvt_pk_f32_fp8_e32 v[42:43], v48
	v_cvt_pk_f32_fp8_e32 v[46:47], v49
	v_mfma_f32_4x4x4_16b_f16 a[0:3], v[36:37], v[44:45], a[0:3] cbsz:4 abid:14
	v_cvt_pk_f32_fp8_sdwa v[44:45], v48 src0_sel:WORD_1
	v_cvt_pk_f32_fp8_sdwa v[48:49], v49 src0_sel:WORD_1
	v_cvt_pkrtz_f16_f32 v42, v42, v43
	v_cvt_pkrtz_f16_f32 v43, v44, v45
	;; [unrolled: 1-line block ×3, first 2 shown]
	s_nop 0
	v_mfma_f32_4x4x4_16b_f16 a[0:3], v[34:35], v[42:43], a[0:3] cbsz:4 abid:15
	v_cvt_pkrtz_f16_f32 v45, v48, v49
	s_waitcnt lgkmcnt(0)
	v_mov_b32_e32 v34, s0
	v_mfma_f32_4x4x4_16b_f16 a[0:3], v[36:37], v[44:45], a[0:3] cbsz:4 abid:15
	v_mul_f32_e32 v36, s1, v34
	s_nop 3
	v_accvgpr_read_b32 v43, a1
	v_accvgpr_read_b32 v42, a0
	v_pk_mul_f32 v[42:43], v[42:43], v[36:37] op_sel_hi:[1,0]
	v_accvgpr_read_b32 v35, a3
	v_accvgpr_read_b32 v34, a2
	v_pk_mul_f32 v[34:35], v[34:35], v[36:37] op_sel_hi:[1,0]
	v_cndmask_b32_e64 v36, 0, 1.0, vcc
	v_cmp_eq_u32_e32 vcc, 1, v39
	s_nop 0
	v_mfma_f32_4x4x1_16b_f32 a[0:3], v42, v36, 0
	v_cndmask_b32_e64 v36, 0, 1.0, vcc
	v_cmp_eq_u32_e32 vcc, 2, v39
	s_nop 0
	v_mfma_f32_4x4x1_16b_f32 a[0:3], v43, v36, a[0:3]
	;; [unrolled: 4-line block ×3, first 2 shown]
	v_cndmask_b32_e64 v34, 0, 1.0, vcc
	s_nop 1
	v_mfma_f32_4x4x1_16b_f32 a[0:3], v35, v34, a[0:3]
	v_and_b32_e32 v34, -4, v40
	v_cmp_gt_i32_e32 vcc, s3, v34
	v_lshlrev_b32_e32 v35, 2, v0
	v_and_or_b32 v35, v35, 48, v39
	v_accvgpr_read_b32 v36, a0
	v_max_f32_e32 v37, v36, v36
	v_max_f32_e32 v37, 0xff7fffff, v37
	v_accvgpr_read_b32 v42, a1
	v_cndmask_b32_e32 v37, v41, v37, vcc
	v_or_b32_e32 v41, 1, v34
	v_max_f32_e32 v43, v42, v42
	v_max_f32_e32 v43, v37, v43
	v_cmp_gt_i32_e64 s[0:1], s3, v41
	v_accvgpr_read_b32 v41, a2
	v_or_b32_e32 v34, 2, v34
	v_cndmask_b32_e64 v37, v37, v43, s[0:1]
	v_max_f32_e32 v43, v41, v41
	v_max_f32_e32 v43, v37, v43
	v_cmp_gt_i32_e64 s[8:9], s3, v34
	v_lshlrev_b32_e32 v44, 2, v35
	s_nop 0
	v_cndmask_b32_e64 v34, v37, v43, s[8:9]
	v_accvgpr_read_b32 v43, a3
	v_or_b32_e32 v37, 3, v40
	v_max_f32_e32 v40, v43, v43
	v_max_f32_e32 v40, v34, v40
	v_cmp_gt_i32_e64 s[10:11], s3, v37
	s_nop 1
	v_cndmask_b32_e64 v34, v34, v40, s[10:11]
	;;#ASMSTART
	v_nop
 v_nop
 v_max_f32_dpp v34, v34, v34 row_ror:4
	;;#ASMEND
	s_nop 0
	;;#ASMSTART
	v_nop
 v_nop
 v_max_f32_dpp v34, v34, v34 row_ror:8
	;;#ASMEND
	ds_bpermute_b32 v34, v44, v34
	s_waitcnt lgkmcnt(0)
	;;#ASMSTART
	v_nop
 v_nop
 v_max_f32_dpp v34, v34, v34 row_ror:4
	;;#ASMEND
	s_nop 0
	;;#ASMSTART
	v_nop
 v_nop
 v_max_f32_dpp v40, v34, v34 row_ror:8
	;;#ASMEND
	s_nop 0
	v_sub_f32_e32 v34, v36, v40
	v_mul_f32_e32 v34, 0x3fb8aa3b, v34
	v_sub_f32_e32 v35, v42, v40
	v_exp_f32_e32 v34, v34
	v_mul_f32_e32 v35, 0x3fb8aa3b, v35
	v_sub_f32_e32 v37, v41, v40
	v_exp_f32_e32 v35, v35
	;; [unrolled: 3-line block ×3, first 2 shown]
	v_mul_f32_e32 v41, 0x3fb8aa3b, v41
	v_exp_f32_e32 v41, v41
	v_cndmask_b32_e32 v34, 0, v34, vcc
	v_add_f32_e32 v36, 0, v34
	v_cndmask_b32_e64 v35, 0, v35, s[0:1]
	v_add_f32_e32 v42, v36, v35
	v_cndmask_b32_e64 v36, 0, v37, s[8:9]
	;; [unrolled: 2-line block ×3, first 2 shown]
	v_add_f32_e32 v41, v42, v37
	;;#ASMSTART
	v_nop
 v_nop
 v_add_f32_dpp v41, v41, v41 row_ror:4
	;;#ASMEND
	v_cmp_gt_u32_e32 vcc, 4, v1
	;;#ASMSTART
	v_nop
 v_nop
 v_add_f32_dpp v41, v41, v41 row_ror:8
	;;#ASMEND
	ds_bpermute_b32 v41, v44, v41
	s_waitcnt lgkmcnt(0)
	;;#ASMSTART
	v_nop
 v_nop
 v_add_f32_dpp v41, v41, v41 row_ror:4
	;;#ASMEND
	s_nop 0
	;;#ASMSTART
	v_nop
 v_nop
 v_add_f32_dpp v41, v41, v41 row_ror:8
	;;#ASMEND
	s_and_saveexec_b64 s[0:1], vcc
	s_cbranch_execz .LBB949_16
; %bb.15:
	v_mul_u32_u24_e32 v42, 20, v38
	v_lshl_add_u32 v42, v39, 2, v42
	v_add_u32_e32 v42, 0x1400, v42
	ds_write2_b32 v42, v40, v41 offset1:20
.LBB949_16:
	s_or_b64 exec, exec, s[0:1]
.LBB949_17:
	s_or_b64 exec, exec, s[30:31]
	s_waitcnt lgkmcnt(0)
	s_barrier
	s_load_dword s0, s[28:29], 0x8
	v_lshlrev_b32_e32 v41, 2, v39
	v_add_u32_e32 v48, 0x1400, v41
	ds_read2_b32 v[42:43], v48 offset1:5
	ds_read2_b32 v[44:45], v48 offset0:10 offset1:15
	s_mul_i32 s1, s2, s5
	s_waitcnt lgkmcnt(0)
	s_mul_i32 s1, s1, s0
	s_lshl_b32 s0, s1, 1
	s_mov_b32 s1, 0xff7fffff
	v_max3_f32 v41, v42, s1, v43
	v_max3_f32 v41, v41, v44, v45
	v_sub_f32_e32 v42, v42, v41
	ds_read2_b32 v[46:47], v48 offset0:20 offset1:25
	v_mul_f32_e32 v42, 0x3fb8aa3b, v42
	v_sub_f32_e32 v43, v43, v41
	v_exp_f32_e32 v42, v42
	v_mul_f32_e32 v43, 0x3fb8aa3b, v43
	v_sub_f32_e32 v44, v44, v41
	v_exp_f32_e32 v43, v43
	ds_read2_b32 v[48:49], v48 offset0:30 offset1:35
	v_mul_f32_e32 v44, 0x3fb8aa3b, v44
	v_sub_f32_e32 v45, v45, v41
	v_exp_f32_e32 v44, v44
	v_mul_f32_e32 v45, 0x3fb8aa3b, v45
	v_exp_f32_e32 v45, v45
	s_waitcnt lgkmcnt(1)
	v_fma_f32 v42, v42, v46, 0
	v_fmac_f32_e32 v42, v43, v47
	s_waitcnt lgkmcnt(0)
	v_fmac_f32_e32 v42, v44, v48
	s_lshl_b32 s8, s4, 1
	v_fmac_f32_e32 v42, v45, v49
	v_cmp_gt_u32_e32 vcc, 2, v39
	s_and_saveexec_b64 s[2:3], vcc
	s_cbranch_execz .LBB949_19
; %bb.18:
	s_mov_b32 s1, 0
	s_lshl_b64 s[10:11], s[0:1], 2
	s_add_u32 s4, s16, s10
	s_mov_b32 s25, s1
	s_addc_u32 s9, s17, s11
	s_lshl_b64 s[12:13], s[24:25], 2
	s_add_u32 s16, s4, s12
	s_addc_u32 s17, s9, s13
	s_add_u32 s1, s18, s10
	s_addc_u32 s4, s19, s11
	v_or_b32_e32 v39, s8, v39
	s_add_u32 s10, s1, s12
	v_mul_lo_u32 v44, s5, v39
	v_mov_b32_e32 v45, 0
	s_addc_u32 s11, s4, s13
	v_lshlrev_b64 v[44:45], 2, v[44:45]
	v_lshl_add_u64 v[46:47], s[16:17], 0, v[44:45]
	v_lshl_add_u64 v[44:45], s[10:11], 0, v[44:45]
	global_store_dword v[44:45], v41, off
	global_store_dword v[46:47], v42, off
.LBB949_19:
	s_or_b64 exec, exec, s[2:3]
	v_lshlrev_b32_e32 v38, 3, v38
	s_and_saveexec_b64 s[2:3], s[6:7]
	s_xor_b64 s[2:3], exec, s[2:3]
	s_cbranch_execz .LBB949_21
; %bb.20:
	s_mov_b32 s6, 0
	s_mov_b32 s7, s6
	s_waitcnt vmcnt(6)
	v_mad_u32_u24 v4, v1, 40, v38
	v_mov_b64_e32 v[2:3], s[6:7]
	ds_write2st64_b64 v4, v[2:3], v[2:3] offset1:5
                                        ; implicit-def: $vgpr37
                                        ; implicit-def: $vgpr35
                                        ; implicit-def: $vgpr40
                                        ; implicit-def: $vgpr26_vgpr27
                                        ; implicit-def: $vgpr18_vgpr19
                                        ; implicit-def: $vgpr22_vgpr23
                                        ; implicit-def: $vgpr30_vgpr31
                                        ; implicit-def: $vgpr10_vgpr11
                                        ; implicit-def: $vgpr2_vgpr3
                                        ; implicit-def: $vgpr6_vgpr7
                                        ; implicit-def: $vgpr14_vgpr15
                                        ; implicit-def: $vgpr41
                                        ; implicit-def: $vgpr42
                                        ; implicit-def: $vgpr38
.LBB949_21:
	s_andn2_saveexec_b64 s[2:3], s[2:3]
	s_cbranch_execz .LBB949_23
; %bb.22:
	v_add_f32_e32 v39, 0x358637bd, v42
	v_div_scale_f32 v42, s[6:7], v39, v39, 1.0
	v_rcp_f32_e32 v43, v42
	v_sub_f32_e32 v40, v40, v41
	v_mul_f32_e32 v40, 0x3fb8aa3b, v40
	v_exp_f32_e32 v40, v40
	v_fma_f32 v41, -v42, v43, 1.0
	v_fmac_f32_e32 v43, v41, v43
	v_div_scale_f32 v41, vcc, 1.0, v39, 1.0
	v_mul_f32_e32 v44, v41, v43
	v_fma_f32 v45, -v42, v44, v41
	v_fmac_f32_e32 v44, v45, v43
	v_fma_f32 v41, -v42, v44, v41
	v_div_fmas_f32 v41, v41, v43, v44
	v_div_fixup_f32 v39, v41, v39, 1.0
	v_mul_f32_e32 v40, v40, v39
	v_pk_mul_f32 v[36:37], v[36:37], v[40:41] op_sel_hi:[1,0]
	v_pk_mul_f32 v[34:35], v[34:35], v[40:41] op_sel_hi:[1,0]
	v_cvt_f16_f32_e32 v36, v36
	v_cvt_f16_f32_e32 v34, v34
	;; [unrolled: 1-line block ×4, first 2 shown]
	s_waitcnt vmcnt(5)
	v_cvt_pk_f32_fp8_sdwa v[40:41], v26 src0_sel:WORD_1
	v_cvt_pk_f32_fp8_e32 v[42:43], v27
	v_pack_b32_f16 v34, v34, v35
	v_pack_b32_f16 v35, v36, v37
	v_cvt_pk_f32_fp8_e32 v[36:37], v26
	v_cvt_pk_f32_fp8_sdwa v[26:27], v27 src0_sel:WORD_1
	s_load_dword s4, s[14:15], 0x0
	v_cvt_pkrtz_f16_f32 v36, v36, v37
	v_cvt_pkrtz_f16_f32 v37, v40, v41
	;; [unrolled: 1-line block ×4, first 2 shown]
	v_mfma_f32_4x4x4_16b_f16 a[0:3], v[34:35], v[36:37], 0 cbsz:4
	v_cvt_pk_f32_fp8_e32 v[26:27], v28
	v_cvt_pk_f32_fp8_sdwa v[36:37], v28 src0_sel:WORD_1
	v_mfma_f32_4x4x4_16b_f16 a[0:3], v[34:35], v[40:41], a[0:3] cbsz:4 abid:1
	v_cvt_pk_f32_fp8_e32 v[40:41], v29
	v_cvt_pk_f32_fp8_sdwa v[28:29], v29 src0_sel:WORD_1
	v_cvt_pkrtz_f16_f32 v26, v26, v27
	v_cvt_pkrtz_f16_f32 v27, v36, v37
	v_cvt_pkrtz_f16_f32 v36, v40, v41
	v_cvt_pkrtz_f16_f32 v37, v28, v29
	v_mfma_f32_4x4x4_16b_f16 a[0:3], v[34:35], v[26:27], a[0:3] cbsz:4 abid:2
	v_cvt_pk_f32_fp8_e32 v[26:27], v18
	v_cvt_pk_f32_fp8_sdwa v[28:29], v18 src0_sel:WORD_1
	v_mfma_f32_4x4x4_16b_f16 a[0:3], v[34:35], v[36:37], a[0:3] cbsz:4 abid:3
	v_cvt_pk_f32_fp8_e32 v[36:37], v19
	v_cvt_pk_f32_fp8_sdwa v[18:19], v19 src0_sel:WORD_1
	v_cvt_pkrtz_f16_f32 v26, v26, v27
	v_cvt_pkrtz_f16_f32 v27, v28, v29
	v_cvt_pkrtz_f16_f32 v28, v36, v37
	v_cvt_pkrtz_f16_f32 v29, v18, v19
	v_mfma_f32_4x4x4_16b_f16 a[0:3], v[34:35], v[26:27], a[0:3] cbsz:4 abid:4
	;; [unrolled: 10-line block ×3, first 2 shown]
	s_waitcnt vmcnt(3)
	v_cvt_pk_f32_fp8_e32 v[18:19], v22
	v_cvt_pk_f32_fp8_sdwa v[20:21], v22 src0_sel:WORD_1
	v_mfma_f32_4x4x4_16b_f16 a[0:3], v[34:35], v[26:27], a[0:3] cbsz:4 abid:7
	v_cvt_pk_f32_fp8_e32 v[26:27], v23
	v_cvt_pk_f32_fp8_sdwa v[22:23], v23 src0_sel:WORD_1
	v_cvt_pkrtz_f16_f32 v18, v18, v19
	v_cvt_pkrtz_f16_f32 v19, v20, v21
	;; [unrolled: 1-line block ×4, first 2 shown]
	v_mfma_f32_4x4x4_16b_f16 a[0:3], v[34:35], v[18:19], a[0:3] cbsz:4 abid:8
	v_cvt_pk_f32_fp8_e32 v[18:19], v24
	v_cvt_pk_f32_fp8_e32 v[22:23], v25
	v_mfma_f32_4x4x4_16b_f16 a[0:3], v[34:35], v[20:21], a[0:3] cbsz:4 abid:9
	v_cvt_pk_f32_fp8_sdwa v[20:21], v24 src0_sel:WORD_1
	v_cvt_pk_f32_fp8_sdwa v[24:25], v25 src0_sel:WORD_1
	v_cvt_pkrtz_f16_f32 v18, v18, v19
	v_cvt_pkrtz_f16_f32 v19, v20, v21
	;; [unrolled: 1-line block ×3, first 2 shown]
	s_nop 0
	v_mfma_f32_4x4x4_16b_f16 a[0:3], v[34:35], v[18:19], a[0:3] cbsz:4 abid:10
	v_cvt_pkrtz_f16_f32 v21, v24, v25
	s_waitcnt vmcnt(1)
	v_cvt_pk_f32_fp8_e32 v[18:19], v30
	v_cvt_pk_f32_fp8_e32 v[22:23], v31
	v_mfma_f32_4x4x4_16b_f16 a[0:3], v[34:35], v[20:21], a[0:3] cbsz:4 abid:11
	v_cvt_pk_f32_fp8_sdwa v[20:21], v30 src0_sel:WORD_1
	v_cvt_pk_f32_fp8_sdwa v[24:25], v31 src0_sel:WORD_1
	v_cvt_pkrtz_f16_f32 v18, v18, v19
	v_cvt_pkrtz_f16_f32 v19, v20, v21
	;; [unrolled: 1-line block ×3, first 2 shown]
	s_nop 0
	v_mfma_f32_4x4x4_16b_f16 a[0:3], v[34:35], v[18:19], a[0:3] cbsz:4 abid:12
	v_cvt_pkrtz_f16_f32 v21, v24, v25
	v_cvt_pk_f32_fp8_e32 v[18:19], v32
	v_cvt_pk_f32_fp8_e32 v[22:23], v33
	v_mfma_f32_4x4x4_16b_f16 a[0:3], v[34:35], v[20:21], a[0:3] cbsz:4 abid:13
	v_cvt_pk_f32_fp8_sdwa v[20:21], v32 src0_sel:WORD_1
	v_cvt_pk_f32_fp8_sdwa v[24:25], v33 src0_sel:WORD_1
	v_cvt_pkrtz_f16_f32 v18, v18, v19
	v_cvt_pkrtz_f16_f32 v19, v20, v21
	;; [unrolled: 1-line block ×3, first 2 shown]
	s_nop 0
	v_mfma_f32_4x4x4_16b_f16 a[0:3], v[34:35], v[18:19], a[0:3] cbsz:4 abid:14
	v_cvt_pkrtz_f16_f32 v21, v24, v25
	v_cvt_pk_f32_fp8_sdwa v[22:23], v10 src0_sel:WORD_1
	v_cvt_pk_f32_fp8_e32 v[24:25], v11
	v_mfma_f32_4x4x4_16b_f16 a[0:3], v[34:35], v[20:21], a[0:3] cbsz:4 abid:15
	s_nop 4
	v_accvgpr_read_b32 v19, a1
	v_accvgpr_read_b32 v18, a0
	s_waitcnt lgkmcnt(0)
	v_pk_mul_f32 v[18:19], v[18:19], s[4:5] op_sel_hi:[1,0]
	s_nop 0
	v_cvt_f16_f32_e32 v20, v18
	v_cvt_f16_f32_e32 v21, v19
	v_accvgpr_read_b32 v19, a3
	v_accvgpr_read_b32 v18, a2
	v_pk_mul_f32 v[18:19], v[18:19], s[4:5] op_sel_hi:[1,0]
	v_pack_b32_f16 v20, v20, v21
	v_cvt_f16_f32_e32 v21, v18
	v_cvt_f16_f32_e32 v26, v19
	v_cvt_pk_f32_fp8_e32 v[18:19], v10
	v_cvt_pk_f32_fp8_sdwa v[10:11], v11 src0_sel:WORD_1
	v_pack_b32_f16 v21, v21, v26
	v_cvt_pkrtz_f16_f32 v18, v18, v19
	v_cvt_pkrtz_f16_f32 v19, v22, v23
	;; [unrolled: 1-line block ×4, first 2 shown]
	v_mfma_f32_4x4x4_16b_f16 a[0:3], v[34:35], v[18:19], 0 cbsz:4
	v_cvt_pk_f32_fp8_e32 v[10:11], v12
	v_cvt_pk_f32_fp8_sdwa v[18:19], v12 src0_sel:WORD_1
	v_mfma_f32_4x4x4_16b_f16 a[0:3], v[34:35], v[22:23], a[0:3] cbsz:4 abid:1
	v_cvt_pk_f32_fp8_e32 v[22:23], v13
	v_cvt_pk_f32_fp8_sdwa v[12:13], v13 src0_sel:WORD_1
	v_cvt_pkrtz_f16_f32 v10, v10, v11
	v_cvt_pkrtz_f16_f32 v11, v18, v19
	v_cvt_pkrtz_f16_f32 v18, v22, v23
	v_cvt_pkrtz_f16_f32 v19, v12, v13
	v_mfma_f32_4x4x4_16b_f16 a[0:3], v[34:35], v[10:11], a[0:3] cbsz:4 abid:2
	v_cvt_pk_f32_fp8_e32 v[10:11], v2
	v_cvt_pk_f32_fp8_sdwa v[12:13], v2 src0_sel:WORD_1
	v_mfma_f32_4x4x4_16b_f16 a[0:3], v[34:35], v[18:19], a[0:3] cbsz:4 abid:3
	v_cvt_pk_f32_fp8_e32 v[18:19], v3
	v_cvt_pk_f32_fp8_sdwa v[2:3], v3 src0_sel:WORD_1
	v_cvt_pkrtz_f16_f32 v10, v10, v11
	v_cvt_pkrtz_f16_f32 v11, v12, v13
	v_cvt_pkrtz_f16_f32 v12, v18, v19
	v_cvt_pkrtz_f16_f32 v13, v2, v3
	v_mfma_f32_4x4x4_16b_f16 a[0:3], v[34:35], v[10:11], a[0:3] cbsz:4 abid:4
	v_cvt_pk_f32_fp8_e32 v[2:3], v4
	v_cvt_pk_f32_fp8_sdwa v[10:11], v4 src0_sel:WORD_1
	v_mfma_f32_4x4x4_16b_f16 a[0:3], v[34:35], v[12:13], a[0:3] cbsz:4 abid:5
	v_cvt_pk_f32_fp8_e32 v[12:13], v5
	v_cvt_pk_f32_fp8_sdwa v[4:5], v5 src0_sel:WORD_1
	v_cvt_pkrtz_f16_f32 v2, v2, v3
	v_cvt_pkrtz_f16_f32 v3, v10, v11
	v_cvt_pkrtz_f16_f32 v10, v12, v13
	v_cvt_pkrtz_f16_f32 v11, v4, v5
	v_mfma_f32_4x4x4_16b_f16 a[0:3], v[34:35], v[2:3], a[0:3] cbsz:4 abid:6
	v_cvt_pk_f32_fp8_e32 v[2:3], v6
	v_cvt_pk_f32_fp8_sdwa v[4:5], v6 src0_sel:WORD_1
	v_mfma_f32_4x4x4_16b_f16 a[0:3], v[34:35], v[10:11], a[0:3] cbsz:4 abid:7
	v_cvt_pk_f32_fp8_e32 v[10:11], v7
	v_cvt_pk_f32_fp8_sdwa v[6:7], v7 src0_sel:WORD_1
	v_cvt_pkrtz_f16_f32 v2, v2, v3
	v_cvt_pkrtz_f16_f32 v3, v4, v5
	v_cvt_pkrtz_f16_f32 v4, v10, v11
	v_cvt_pkrtz_f16_f32 v5, v6, v7
	v_mfma_f32_4x4x4_16b_f16 a[0:3], v[34:35], v[2:3], a[0:3] cbsz:4 abid:8
	v_cvt_pk_f32_fp8_e32 v[2:3], v8
	v_cvt_pk_f32_fp8_e32 v[6:7], v9
	v_mfma_f32_4x4x4_16b_f16 a[0:3], v[34:35], v[4:5], a[0:3] cbsz:4 abid:9
	v_cvt_pk_f32_fp8_sdwa v[4:5], v8 src0_sel:WORD_1
	v_cvt_pk_f32_fp8_sdwa v[8:9], v9 src0_sel:WORD_1
	v_cvt_pkrtz_f16_f32 v2, v2, v3
	v_cvt_pkrtz_f16_f32 v3, v4, v5
	;; [unrolled: 1-line block ×3, first 2 shown]
	s_nop 0
	v_mfma_f32_4x4x4_16b_f16 a[0:3], v[34:35], v[2:3], a[0:3] cbsz:4 abid:10
	v_cvt_pkrtz_f16_f32 v5, v8, v9
	s_waitcnt vmcnt(0)
	v_cvt_pk_f32_fp8_e32 v[2:3], v14
	v_cvt_pk_f32_fp8_e32 v[6:7], v15
	v_mfma_f32_4x4x4_16b_f16 a[0:3], v[34:35], v[4:5], a[0:3] cbsz:4 abid:11
	v_cvt_pk_f32_fp8_sdwa v[4:5], v14 src0_sel:WORD_1
	v_cvt_pk_f32_fp8_sdwa v[8:9], v15 src0_sel:WORD_1
	v_cvt_pkrtz_f16_f32 v2, v2, v3
	v_cvt_pkrtz_f16_f32 v3, v4, v5
	v_cvt_pkrtz_f16_f32 v4, v6, v7
	s_nop 0
	v_mfma_f32_4x4x4_16b_f16 a[0:3], v[34:35], v[2:3], a[0:3] cbsz:4 abid:12
	v_cvt_pkrtz_f16_f32 v5, v8, v9
	v_cvt_pk_f32_fp8_e32 v[2:3], v16
	v_cvt_pk_f32_fp8_e32 v[6:7], v17
	v_mfma_f32_4x4x4_16b_f16 a[0:3], v[34:35], v[4:5], a[0:3] cbsz:4 abid:13
	v_cvt_pk_f32_fp8_sdwa v[4:5], v16 src0_sel:WORD_1
	v_cvt_pk_f32_fp8_sdwa v[8:9], v17 src0_sel:WORD_1
	v_cvt_pkrtz_f16_f32 v2, v2, v3
	v_cvt_pkrtz_f16_f32 v3, v4, v5
	;; [unrolled: 1-line block ×3, first 2 shown]
	s_nop 0
	v_mfma_f32_4x4x4_16b_f16 a[0:3], v[34:35], v[2:3], a[0:3] cbsz:4 abid:14
	v_cvt_pkrtz_f16_f32 v5, v8, v9
	v_mad_u32_u24 v7, v1, 40, v38
	s_nop 0
	v_mfma_f32_4x4x4_16b_f16 a[0:3], v[34:35], v[4:5], a[0:3] cbsz:4 abid:15
	s_nop 4
	v_accvgpr_read_b32 v5, a1
	v_accvgpr_read_b32 v3, a3
	;; [unrolled: 1-line block ×4, first 2 shown]
	v_pk_mul_f32 v[2:3], v[2:3], s[4:5] op_sel_hi:[1,0]
	v_pk_mul_f32 v[4:5], v[4:5], s[4:5] op_sel_hi:[1,0]
	v_cvt_f16_f32_e32 v6, v2
	v_cvt_f16_f32_e32 v4, v4
	;; [unrolled: 1-line block ×4, first 2 shown]
	v_pack_b32_f16 v2, v4, v5
	v_pack_b32_f16 v3, v6, v3
	ds_write2st64_b64 v7, v[20:21], v[2:3] offset1:5
.LBB949_23:
	s_or_b64 exec, exec, s[2:3]
	v_cmp_gt_u32_e32 vcc, 64, v0
	s_waitcnt lgkmcnt(0)
	s_barrier
	s_and_saveexec_b64 s[2:3], vcc
	s_cbranch_execz .LBB949_25
; %bb.24:
	s_waitcnt vmcnt(2)
	v_mul_u32_u24_e32 v6, 40, v1
	ds_read2_b64 v[2:5], v6 offset1:1
	s_mov_b32 s1, 0
	s_waitcnt lgkmcnt(0)
	v_mov_b32_e32 v3, 0xa00
	s_lshl_b32 s0, s0, 7
	ds_read2_b64 v[6:9], v6 offset0:2 offset1:3
	v_mad_u32_u24 v3, v1, 40, v3
	v_pk_add_f16 v2, v2, 0
	s_lshl_b64 s[2:3], s[0:1], 1
	s_waitcnt lgkmcnt(0)
	v_pk_add_f16 v7, v2, v4
	v_mov_b32_e32 v9, 0xa10
	ds_read2_b64 v[2:5], v3 offset1:1
	s_add_u32 s2, s26, s2
	v_mad_u32_u24 v1, v1, 40, v9
	ds_read2_b64 v[10:13], v1 offset1:1
	s_addc_u32 s3, s27, s3
	s_lshl_b32 s0, s24, 7
	s_lshl_b64 s[0:1], s[0:1], 1
	s_add_u32 s0, s2, s0
	v_pk_add_f16 v1, v7, v6
	s_addc_u32 s1, s3, s1
	s_lshl_b32 s2, s5, 7
	v_pk_add_f16 v6, v1, v8
	s_waitcnt lgkmcnt(1)
	v_pk_add_f16 v1, v2, 0
	s_mul_i32 s3, s2, s8
	v_pk_add_f16 v1, v1, v4
	v_or_b32_e32 v2, s3, v0
	v_mov_b32_e32 v3, 0
	s_add_i32 s3, s3, s2
	s_waitcnt lgkmcnt(0)
	v_pk_add_f16 v1, v1, v10
	v_lshl_add_u64 v[4:5], v[2:3], 1, s[0:1]
	v_or_b32_e32 v2, s3, v0
	v_pk_add_f16 v7, v1, v12
	v_lshl_add_u64 v[0:1], v[2:3], 1, s[0:1]
	global_store_short v[4:5], v6, off
	global_store_short_d16_hi v[0:1], v6, off
	global_store_short v[4:5], v7, off offset:128
	global_store_short_d16_hi v[0:1], v7, off offset:128
.LBB949_25:
	s_endpgm
	.section	.rodata,"a",@progbits
	.p2align	6, 0x0
	.amdhsa_kernel _Z38paged_attention_ll4mi_QKV_mfma4_kernelIDF16_hLN4vllm18Fp8KVCacheDataTypeE1EhLi16ELi128ELi256ELb0ELi2EEvPKT_PKT0_S7_ifPKiS9_S9_iPKfiiiPfSC_PS2_PT2_iSB_SB_
		.amdhsa_group_segment_fixed_size 5280
		.amdhsa_private_segment_fixed_size 0
		.amdhsa_kernarg_size 400
		.amdhsa_user_sgpr_count 2
		.amdhsa_user_sgpr_dispatch_ptr 0
		.amdhsa_user_sgpr_queue_ptr 0
		.amdhsa_user_sgpr_kernarg_segment_ptr 1
		.amdhsa_user_sgpr_dispatch_id 0
		.amdhsa_user_sgpr_kernarg_preload_length 0
		.amdhsa_user_sgpr_kernarg_preload_offset 0
		.amdhsa_user_sgpr_private_segment_size 0
		.amdhsa_uses_dynamic_stack 0
		.amdhsa_enable_private_segment 0
		.amdhsa_system_sgpr_workgroup_id_x 1
		.amdhsa_system_sgpr_workgroup_id_y 1
		.amdhsa_system_sgpr_workgroup_id_z 1
		.amdhsa_system_sgpr_workgroup_info 0
		.amdhsa_system_vgpr_workitem_id 0
		.amdhsa_next_free_vgpr 68
		.amdhsa_next_free_sgpr 42
		.amdhsa_accum_offset 64
		.amdhsa_reserve_vcc 1
		.amdhsa_float_round_mode_32 0
		.amdhsa_float_round_mode_16_64 0
		.amdhsa_float_denorm_mode_32 3
		.amdhsa_float_denorm_mode_16_64 3
		.amdhsa_dx10_clamp 1
		.amdhsa_ieee_mode 1
		.amdhsa_fp16_overflow 0
		.amdhsa_tg_split 0
		.amdhsa_exception_fp_ieee_invalid_op 0
		.amdhsa_exception_fp_denorm_src 0
		.amdhsa_exception_fp_ieee_div_zero 0
		.amdhsa_exception_fp_ieee_overflow 0
		.amdhsa_exception_fp_ieee_underflow 0
		.amdhsa_exception_fp_ieee_inexact 0
		.amdhsa_exception_int_div_zero 0
	.end_amdhsa_kernel
	.section	.text._Z38paged_attention_ll4mi_QKV_mfma4_kernelIDF16_hLN4vllm18Fp8KVCacheDataTypeE1EhLi16ELi128ELi256ELb0ELi2EEvPKT_PKT0_S7_ifPKiS9_S9_iPKfiiiPfSC_PS2_PT2_iSB_SB_,"axG",@progbits,_Z38paged_attention_ll4mi_QKV_mfma4_kernelIDF16_hLN4vllm18Fp8KVCacheDataTypeE1EhLi16ELi128ELi256ELb0ELi2EEvPKT_PKT0_S7_ifPKiS9_S9_iPKfiiiPfSC_PS2_PT2_iSB_SB_,comdat
.Lfunc_end949:
	.size	_Z38paged_attention_ll4mi_QKV_mfma4_kernelIDF16_hLN4vllm18Fp8KVCacheDataTypeE1EhLi16ELi128ELi256ELb0ELi2EEvPKT_PKT0_S7_ifPKiS9_S9_iPKfiiiPfSC_PS2_PT2_iSB_SB_, .Lfunc_end949-_Z38paged_attention_ll4mi_QKV_mfma4_kernelIDF16_hLN4vllm18Fp8KVCacheDataTypeE1EhLi16ELi128ELi256ELb0ELi2EEvPKT_PKT0_S7_ifPKiS9_S9_iPKfiiiPfSC_PS2_PT2_iSB_SB_
                                        ; -- End function
	.section	.AMDGPU.csdata,"",@progbits
; Kernel info:
; codeLenInByte = 5388
; NumSgprs: 48
; NumVgprs: 62
; NumAgprs: 4
; TotalNumVgprs: 68
; ScratchSize: 0
; MemoryBound: 0
; FloatMode: 240
; IeeeMode: 1
; LDSByteSize: 5280 bytes/workgroup (compile time only)
; SGPRBlocks: 5
; VGPRBlocks: 8
; NumSGPRsForWavesPerEU: 48
; NumVGPRsForWavesPerEU: 68
; AccumOffset: 64
; Occupancy: 7
; WaveLimiterHint : 1
; COMPUTE_PGM_RSRC2:SCRATCH_EN: 0
; COMPUTE_PGM_RSRC2:USER_SGPR: 2
; COMPUTE_PGM_RSRC2:TRAP_HANDLER: 0
; COMPUTE_PGM_RSRC2:TGID_X_EN: 1
; COMPUTE_PGM_RSRC2:TGID_Y_EN: 1
; COMPUTE_PGM_RSRC2:TGID_Z_EN: 1
; COMPUTE_PGM_RSRC2:TIDIG_COMP_CNT: 0
; COMPUTE_PGM_RSRC3_GFX90A:ACCUM_OFFSET: 15
; COMPUTE_PGM_RSRC3_GFX90A:TG_SPLIT: 0
	.section	.text._Z38paged_attention_ll4mi_QKV_mfma4_kernelIDF16_hLN4vllm18Fp8KVCacheDataTypeE1EhLi16ELi128ELi256ELb0ELi3EEvPKT_PKT0_S7_ifPKiS9_S9_iPKfiiiPfSC_PS2_PT2_iSB_SB_,"axG",@progbits,_Z38paged_attention_ll4mi_QKV_mfma4_kernelIDF16_hLN4vllm18Fp8KVCacheDataTypeE1EhLi16ELi128ELi256ELb0ELi3EEvPKT_PKT0_S7_ifPKiS9_S9_iPKfiiiPfSC_PS2_PT2_iSB_SB_,comdat
	.protected	_Z38paged_attention_ll4mi_QKV_mfma4_kernelIDF16_hLN4vllm18Fp8KVCacheDataTypeE1EhLi16ELi128ELi256ELb0ELi3EEvPKT_PKT0_S7_ifPKiS9_S9_iPKfiiiPfSC_PS2_PT2_iSB_SB_ ; -- Begin function _Z38paged_attention_ll4mi_QKV_mfma4_kernelIDF16_hLN4vllm18Fp8KVCacheDataTypeE1EhLi16ELi128ELi256ELb0ELi3EEvPKT_PKT0_S7_ifPKiS9_S9_iPKfiiiPfSC_PS2_PT2_iSB_SB_
	.globl	_Z38paged_attention_ll4mi_QKV_mfma4_kernelIDF16_hLN4vllm18Fp8KVCacheDataTypeE1EhLi16ELi128ELi256ELb0ELi3EEvPKT_PKT0_S7_ifPKiS9_S9_iPKfiiiPfSC_PS2_PT2_iSB_SB_
	.p2align	8
	.type	_Z38paged_attention_ll4mi_QKV_mfma4_kernelIDF16_hLN4vllm18Fp8KVCacheDataTypeE1EhLi16ELi128ELi256ELb0ELi3EEvPKT_PKT0_S7_ifPKiS9_S9_iPKfiiiPfSC_PS2_PT2_iSB_SB_,@function
_Z38paged_attention_ll4mi_QKV_mfma4_kernelIDF16_hLN4vllm18Fp8KVCacheDataTypeE1EhLi16ELi128ELi256ELb0ELi3EEvPKT_PKT0_S7_ifPKiS9_S9_iPKfiiiPfSC_PS2_PT2_iSB_SB_: ; @_Z38paged_attention_ll4mi_QKV_mfma4_kernelIDF16_hLN4vllm18Fp8KVCacheDataTypeE1EhLi16ELi128ELi256ELb0ELi3EEvPKT_PKT0_S7_ifPKiS9_S9_iPKfiiiPfSC_PS2_PT2_iSB_SB_
; %bb.0:
	s_load_dwordx2 s[20:21], s[0:1], 0x30
	s_mov_b32 s24, s3
	s_mov_b64 s[6:7], 0
	s_waitcnt lgkmcnt(0)
	s_cmp_lg_u64 s[20:21], 0
	s_cselect_b64 s[22:23], -1, 0
	s_and_b64 vcc, exec, s[22:23]
	s_cbranch_vccz .LBB950_10
; %bb.1:
	s_add_i32 s8, s2, 1
	s_mov_b32 s9, 0
	s_lshl_b64 s[10:11], s[8:9], 2
	s_add_u32 s10, s20, s10
	s_mov_b32 s3, s9
	s_addc_u32 s11, s21, s11
	s_lshl_b64 s[8:9], s[2:3], 2
	s_add_u32 s8, s20, s8
	s_addc_u32 s9, s21, s9
	s_load_dword s5, s[10:11], 0x0
	s_load_dword s12, s[8:9], 0x0
	s_waitcnt lgkmcnt(0)
	s_sub_i32 s5, s5, s12
	s_cmp_eq_u32 s5, 1
	s_cselect_b64 s[8:9], -1, 0
	s_andn2_b64 vcc, exec, s[6:7]
	s_cbranch_vccnz .LBB950_3
.LBB950_2:
	s_mov_b32 s3, 0
	s_mov_b64 s[8:9], -1
.LBB950_3:
	s_andn2_b64 vcc, exec, s[8:9]
	s_cbranch_vccnz .LBB950_25
; %bb.4:
	s_load_dword s5, s[0:1], 0x9c
	s_load_dwordx2 s[6:7], s[0:1], 0x28
	s_add_u32 s28, s0, 0x90
	s_addc_u32 s29, s1, 0
	s_lshl_b64 s[34:35], s[2:3], 2
	s_waitcnt lgkmcnt(0)
	s_and_b32 s5, s5, 0xffff
	s_add_u32 s6, s6, s34
	s_addc_u32 s7, s7, s35
	s_load_dword s3, s[6:7], 0x0
	s_mul_i32 s10, s24, s5
	s_waitcnt lgkmcnt(0)
	s_cmp_ge_i32 s10, s3
	s_cbranch_scc1 .LBB950_25
; %bb.5:
	v_and_b32_e32 v1, 0xc0, v0
	v_add_u32_e32 v4, s10, v1
	v_lshrrev_b32_e32 v38, 6, v0
	v_cmp_le_i32_e64 s[6:7], s3, v4
                                        ; implicit-def: $sgpr25
                                        ; implicit-def: $sgpr11
	s_and_saveexec_b64 s[8:9], s[6:7]
	s_xor_b64 s[8:9], exec, s[8:9]
	s_cbranch_execz .LBB950_7
; %bb.6:
	v_mul_u32_u24_e32 v1, 20, v38
	v_or_b32_e32 v1, 0x1400, v1
	v_mov_b32_e32 v2, 0x1450
	v_mov_b32_e32 v3, 0xff7fffff
	v_mad_u32_u24 v2, v38, 20, v2
	ds_write2_b32 v1, v3, v3 offset1:1
	v_mov_b32_e32 v1, 0
	ds_write2_b32 v2, v1, v1 offset1:1
	v_mov_b32_e32 v2, 0x1408
	v_mov_b32_e32 v4, 0x1458
	s_mov_b32 s11, 0xff7fffff
	s_mov_b32 s25, 0
	v_mad_u32_u24 v2, v38, 20, v2
	v_mad_u32_u24 v4, v38, 20, v4
	ds_write2_b32 v2, v3, v3 offset1:1
	ds_write2_b32 v4, v1, v1 offset1:1
                                        ; implicit-def: $vgpr4
.LBB950_7:
	s_or_saveexec_b64 s[30:31], s[8:9]
	s_load_dwordx2 s[26:27], s[0:1], 0x68
	s_load_dwordx4 s[16:19], s[0:1], 0x58
	s_load_dword s5, s[28:29], 0x4
	s_load_dwordx4 s[12:15], s[0:1], 0x80
	v_and_b32_e32 v1, 63, v0
	v_and_b32_e32 v39, 3, v0
	v_mov_b32_e32 v37, s25
	v_mov_b32_e32 v40, s11
	;; [unrolled: 1-line block ×5, first 2 shown]
                                        ; implicit-def: $vgpr26_vgpr27
                                        ; implicit-def: $vgpr18_vgpr19
                                        ; implicit-def: $vgpr22_vgpr23
                                        ; implicit-def: $vgpr30_vgpr31
                                        ; implicit-def: $vgpr10_vgpr11
                                        ; implicit-def: $vgpr2_vgpr3
                                        ; implicit-def: $vgpr6_vgpr7
                                        ; implicit-def: $vgpr14_vgpr15
	s_xor_b64 exec, exec, s[30:31]
	s_cbranch_execz .LBB950_17
; %bb.8:
	s_load_dwordx2 s[8:9], s[0:1], 0x20
	s_load_dword s11, s[0:1], 0x38
	s_add_i32 s25, s3, 15
	s_ashr_i32 s33, s25, 31
	s_lshr_b32 s33, s33, 28
	v_add_u32_e32 v36, s10, v0
	s_add_i32 s25, s25, s33
	v_ashrrev_i32_e32 v2, 31, v36
	s_ashr_i32 s25, s25, 4
	v_lshrrev_b32_e32 v2, 28, v2
	s_add_i32 s25, s25, -1
	s_waitcnt lgkmcnt(0)
	s_mul_i32 s36, s2, s11
	s_mov_b32 s37, 0
	v_add_u32_e32 v2, v36, v2
	s_lshl_b64 s[36:37], s[36:37], 2
	v_ashrrev_i32_e32 v2, 4, v2
	v_mov_b32_e32 v3, s25
	v_cmp_gt_i32_e32 vcc, s3, v36
	s_add_u32 s8, s8, s36
	s_addc_u32 s9, s9, s37
	v_cndmask_b32_e32 v2, v3, v2, vcc
	v_ashrrev_i32_e32 v3, 31, v2
	v_lshl_add_u64 v[10:11], v[2:3], 2, s[8:9]
	v_ashrrev_i32_e32 v2, 31, v4
	v_lshrrev_b32_e32 v2, 28, v2
	v_add_u32_e32 v2, v4, v2
	v_ashrrev_i32_e32 v6, 4, v2
	v_min_i32_e32 v2, s25, v6
	v_ashrrev_i32_e32 v3, 31, v2
	v_lshl_add_u64 v[4:5], v[2:3], 2, s[8:9]
	v_add_u32_e32 v2, 1, v6
	v_min_i32_e32 v2, s25, v2
	v_ashrrev_i32_e32 v3, 31, v2
	v_lshl_add_u64 v[12:13], v[2:3], 2, s[8:9]
	v_add_u32_e32 v2, 2, v6
	;; [unrolled: 4-line block ×3, first 2 shown]
	v_min_i32_e32 v2, s25, v2
	v_ashrrev_i32_e32 v3, 31, v2
	v_lshl_add_u64 v[16:17], v[2:3], 2, s[8:9]
	global_load_dword v2, v[10:11], off
	global_load_dword v6, v[4:5], off
	;; [unrolled: 1-line block ×5, first 2 shown]
	s_load_dwordx4 s[8:11], s[0:1], 0x8
	s_andn2_b64 vcc, exec, s[22:23]
	s_cbranch_vccnz .LBB950_11
; %bb.9:
	s_add_u32 s20, s20, s34
	s_addc_u32 s21, s21, s35
	s_load_dword s25, s[20:21], 0x0
	s_branch .LBB950_12
.LBB950_10:
	s_mov_b64 s[8:9], 0
	s_branch .LBB950_2
.LBB950_11:
	s_mov_b32 s25, s2
.LBB950_12:
	s_load_dwordx4 s[20:23], s[0:1], 0x48
	v_cmp_ne_u32_e32 vcc, 3, v39
	s_mov_b32 s37, 0
	v_mov_b32_e32 v37, 1.0
	v_mov_b32_e32 v5, 0
	v_mov_b32_e32 v14, 0
	;; [unrolled: 1-line block ×5, first 2 shown]
	s_and_saveexec_b64 s[34:35], vcc
	s_cbranch_execz .LBB950_14
; %bb.13:
	s_load_dwordx2 s[38:39], s[0:1], 0x0
	s_waitcnt lgkmcnt(0)
	s_ashr_i32 s23, s20, 31
	s_mul_hi_u32 s33, s25, s20
	s_mul_i32 s23, s25, s23
	s_add_i32 s41, s33, s23
	s_mul_i32 s40, s25, s20
	s_lshl_b64 s[40:41], s[40:41], 1
	s_add_u32 s20, s38, s40
	s_mul_i32 s36, s4, 0x180
	s_addc_u32 s23, s39, s41
	s_lshl_b64 s[36:37], s[36:37], 1
	v_lshlrev_b32_e32 v3, 2, v1
	s_add_u32 s36, s20, s36
	v_and_b32_e32 v3, 0xf0, v3
	s_addc_u32 s37, s23, s37
	v_lshl_or_b32 v3, v39, 8, v3
	global_load_dwordx4 v[14:17], v3, s[36:37]
	v_mov_b32_e32 v37, 0
.LBB950_14:
	s_or_b64 exec, exec, s[34:35]
	s_waitcnt lgkmcnt(0)
	s_mul_i32 s20, s4, s22
	s_add_u32 s8, s20, s8
	s_addc_u32 s9, 0, s9
	v_mov_b64_e32 v[10:11], s[8:9]
	v_lshlrev_b32_e32 v4, 4, v0
	s_waitcnt vmcnt(4)
	v_mad_i64_i32 v[2:3], s[8:9], v2, s21, v[10:11]
	v_and_b32_e32 v4, 0xf0, v4
	v_lshl_add_u64 v[2:3], v[2:3], 0, v[4:5]
	global_load_dwordx4 v[10:13], v[2:3], off
	global_load_dwordx4 v[18:21], v[2:3], off offset:256
	s_waitcnt vmcnt(5)
	v_mul_hi_i32 v4, v6, s21
	s_waitcnt vmcnt(4)
	v_mul_hi_i32 v22, v7, s21
	;; [unrolled: 2-line block ×4, first 2 shown]
	v_ashrrev_i32_e32 v4, 31, v4
	v_ashrrev_i32_e32 v22, 31, v22
	;; [unrolled: 1-line block ×4, first 2 shown]
	v_mov_b32_e32 v23, v5
	v_mov_b32_e32 v25, v5
	;; [unrolled: 1-line block ×3, first 2 shown]
	v_lshrrev_b32_e32 v22, 29, v22
	v_lshrrev_b32_e32 v24, 29, v24
	;; [unrolled: 1-line block ×3, first 2 shown]
	s_add_u32 s8, s10, s20
	v_lshrrev_b32_e32 v4, 29, v4
	v_mad_i64_i32 v[22:23], s[22:23], v7, s21, v[22:23]
	v_mad_i64_i32 v[24:25], s[22:23], v8, s21, v[24:25]
	;; [unrolled: 1-line block ×3, first 2 shown]
	s_addc_u32 s9, s11, 0
	v_mad_i64_i32 v[6:7], s[10:11], v6, s21, v[4:5]
	v_and_b32_e32 v22, -8, v22
	v_and_b32_e32 v24, -8, v24
	;; [unrolled: 1-line block ×4, first 2 shown]
	v_lshl_add_u64 v[22:23], s[8:9], 0, v[22:23]
	v_lshl_add_u64 v[24:25], s[8:9], 0, v[24:25]
	;; [unrolled: 1-line block ×3, first 2 shown]
	v_lshlrev_b32_e32 v4, 4, v1
	v_lshl_add_u64 v[6:7], s[8:9], 0, v[6:7]
	v_lshl_add_u64 v[26:27], v[22:23], 0, v[4:5]
	v_lshl_add_u64 v[48:49], v[24:25], 0, v[4:5]
	v_lshl_add_u64 v[34:35], v[8:9], 0, v[4:5]
	v_lshl_add_u64 v[50:51], v[6:7], 0, v[4:5]
	s_load_dword s0, s[0:1], 0x1c
	v_cmp_eq_u32_e32 vcc, 0, v39
	s_load_dword s1, s[12:13], 0x0
	s_waitcnt vmcnt(1)
	v_cvt_pk_f32_fp8_e32 v[4:5], v10
	v_cvt_pk_f32_fp8_sdwa v[6:7], v10 src0_sel:WORD_1
	v_cvt_pk_f32_fp8_e32 v[8:9], v11
	v_cvt_pk_f32_fp8_sdwa v[10:11], v11 src0_sel:WORD_1
	v_cvt_pkrtz_f16_f32 v52, v4, v5
	v_cvt_pkrtz_f16_f32 v53, v6, v7
	global_load_dwordx4 v[4:7], v[2:3], off offset:512
	v_cvt_pkrtz_f16_f32 v54, v8, v9
	v_cvt_pkrtz_f16_f32 v55, v10, v11
	global_load_dwordx4 v[8:11], v[2:3], off offset:768
	v_cvt_pk_f32_fp8_e32 v[22:23], v12
	v_cvt_pk_f32_fp8_sdwa v[24:25], v12 src0_sel:WORD_1
	v_cvt_pk_f32_fp8_e32 v[28:29], v13
	v_cvt_pk_f32_fp8_sdwa v[12:13], v13 src0_sel:WORD_1
	v_cvt_pkrtz_f16_f32 v56, v22, v23
	v_cvt_pkrtz_f16_f32 v57, v24, v25
	global_load_dwordx4 v[22:25], v[2:3], off offset:1024
	s_waitcnt vmcnt(3)
	v_cvt_pk_f32_fp8_e32 v[30:31], v18
	v_cvt_pk_f32_fp8_sdwa v[32:33], v18 src0_sel:WORD_1
	v_cvt_pkrtz_f16_f32 v28, v28, v29
	v_cvt_pkrtz_f16_f32 v29, v12, v13
	v_cvt_pkrtz_f16_f32 v12, v30, v31
	v_cvt_pkrtz_f16_f32 v13, v32, v33
	global_load_dwordx4 v[30:33], v[2:3], off offset:1280
	v_cvt_pk_f32_fp8_e32 v[40:41], v19
	v_cvt_pk_f32_fp8_e32 v[42:43], v20
	v_cvt_pk_f32_fp8_sdwa v[44:45], v20 src0_sel:WORD_1
	v_cvt_pk_f32_fp8_e32 v[46:47], v21
	v_cvt_pkrtz_f16_f32 v58, v40, v41
	v_cvt_pkrtz_f16_f32 v60, v42, v43
	global_load_dwordx4 v[40:43], v[2:3], off offset:1536
	v_cvt_pkrtz_f16_f32 v61, v44, v45
	v_cvt_pkrtz_f16_f32 v62, v46, v47
	global_load_dwordx4 v[44:47], v[2:3], off offset:1792
	v_mfma_f32_4x4x4_16b_f16 a[0:3], v[14:15], v[52:53], 0 cbsz:4
	v_cvt_pk_f32_fp8_sdwa v[18:19], v19 src0_sel:WORD_1
	v_cvt_pk_f32_fp8_sdwa v[20:21], v21 src0_sel:WORD_1
	v_mfma_f32_4x4x4_16b_f16 a[0:3], v[16:17], v[54:55], a[0:3] cbsz:4
	v_cvt_pkrtz_f16_f32 v59, v18, v19
	s_nop 0
	v_mfma_f32_4x4x4_16b_f16 a[0:3], v[14:15], v[56:57], a[0:3] cbsz:4 abid:1
	v_cvt_pkrtz_f16_f32 v63, v20, v21
	s_waitcnt vmcnt(5)
	v_cvt_pk_f32_fp8_e32 v[18:19], v4
	v_mfma_f32_4x4x4_16b_f16 a[0:3], v[16:17], v[28:29], a[0:3] cbsz:4 abid:1
	v_cvt_pk_f32_fp8_sdwa v[20:21], v4 src0_sel:WORD_1
	v_cvt_pk_f32_fp8_sdwa v[28:29], v6 src0_sel:WORD_1
	v_mfma_f32_4x4x4_16b_f16 a[0:3], v[14:15], v[12:13], a[0:3] cbsz:4 abid:2
	v_cvt_pkrtz_f16_f32 v52, v18, v19
	v_cvt_pk_f32_fp8_e32 v[18:19], v5
	v_mfma_f32_4x4x4_16b_f16 a[0:3], v[16:17], v[58:59], a[0:3] cbsz:4 abid:2
	v_cvt_pk_f32_fp8_sdwa v[4:5], v5 src0_sel:WORD_1
	v_cvt_pkrtz_f16_f32 v53, v20, v21
	v_mfma_f32_4x4x4_16b_f16 a[0:3], v[14:15], v[60:61], a[0:3] cbsz:4 abid:3
	v_cvt_pkrtz_f16_f32 v12, v18, v19
	v_cvt_pkrtz_f16_f32 v13, v4, v5
	v_mfma_f32_4x4x4_16b_f16 a[0:3], v[16:17], v[62:63], a[0:3] cbsz:4 abid:3
	global_load_dwordx4 v[18:21], v[26:27], off
	global_load_dwordx4 v[2:5], v[26:27], off offset:1024
	v_cvt_pk_f32_fp8_e32 v[26:27], v6
	v_mfma_f32_4x4x4_16b_f16 a[0:3], v[14:15], v[52:53], a[0:3] cbsz:4 abid:4
	s_waitcnt vmcnt(6)
	v_cvt_pk_f32_fp8_e32 v[52:53], v9
	v_cvt_pk_f32_fp8_sdwa v[54:55], v11 src0_sel:WORD_1
	v_mfma_f32_4x4x4_16b_f16 a[0:3], v[16:17], v[12:13], a[0:3] cbsz:4 abid:4
	v_cvt_pk_f32_fp8_e32 v[12:13], v7
	v_cvt_pk_f32_fp8_sdwa v[6:7], v7 src0_sel:WORD_1
	v_cvt_pkrtz_f16_f32 v26, v26, v27
	v_cvt_pkrtz_f16_f32 v27, v28, v29
	;; [unrolled: 1-line block ×4, first 2 shown]
	v_mfma_f32_4x4x4_16b_f16 a[0:3], v[14:15], v[26:27], a[0:3] cbsz:4 abid:5
	v_cvt_pk_f32_fp8_e32 v[6:7], v8
	global_load_dwordx4 v[26:29], v[50:51], off
	v_mfma_f32_4x4x4_16b_f16 a[0:3], v[16:17], v[12:13], a[0:3] cbsz:4 abid:5
	v_cvt_pk_f32_fp8_sdwa v[12:13], v8 src0_sel:WORD_1
	v_cvt_pk_f32_fp8_sdwa v[8:9], v9 src0_sel:WORD_1
	v_cvt_pkrtz_f16_f32 v6, v6, v7
	v_cvt_pkrtz_f16_f32 v7, v12, v13
	;; [unrolled: 1-line block ×3, first 2 shown]
	s_nop 0
	v_mfma_f32_4x4x4_16b_f16 a[0:3], v[14:15], v[6:7], a[0:3] cbsz:4 abid:6
	v_cvt_pk_f32_fp8_e32 v[6:7], v10
	v_cvt_pk_f32_fp8_sdwa v[8:9], v10 src0_sel:WORD_1
	v_cvt_pkrtz_f16_f32 v12, v52, v53
	v_cvt_pk_f32_fp8_e32 v[52:53], v11
	v_cvt_pkrtz_f16_f32 v6, v6, v7
	v_mfma_f32_4x4x4_16b_f16 a[0:3], v[16:17], v[12:13], a[0:3] cbsz:4 abid:6
	global_load_dwordx4 v[10:13], v[50:51], off offset:1024
	v_cvt_pkrtz_f16_f32 v7, v8, v9
	v_cvt_pkrtz_f16_f32 v8, v52, v53
	;; [unrolled: 1-line block ×3, first 2 shown]
	v_mfma_f32_4x4x4_16b_f16 a[0:3], v[14:15], v[6:7], a[0:3] cbsz:4 abid:7
	s_waitcnt vmcnt(7)
	v_cvt_pk_f32_fp8_e32 v[6:7], v22
	v_cvt_pk_f32_fp8_e32 v[50:51], v23
	v_mfma_f32_4x4x4_16b_f16 a[0:3], v[16:17], v[8:9], a[0:3] cbsz:4 abid:7
	v_cvt_pk_f32_fp8_sdwa v[8:9], v22 src0_sel:WORD_1
	v_cvt_pk_f32_fp8_sdwa v[22:23], v23 src0_sel:WORD_1
	v_cvt_pkrtz_f16_f32 v6, v6, v7
	v_cvt_pk_f32_fp8_sdwa v[52:53], v25 src0_sel:WORD_1
	v_cvt_pkrtz_f16_f32 v7, v8, v9
	v_cvt_pkrtz_f16_f32 v8, v50, v51
	;; [unrolled: 1-line block ×3, first 2 shown]
	v_mfma_f32_4x4x4_16b_f16 a[0:3], v[14:15], v[6:7], a[0:3] cbsz:4 abid:8
	v_cvt_pk_f32_fp8_e32 v[6:7], v24
	v_cvt_pk_f32_fp8_e32 v[50:51], v25
	v_mfma_f32_4x4x4_16b_f16 a[0:3], v[16:17], v[8:9], a[0:3] cbsz:4 abid:8
	v_cvt_pk_f32_fp8_sdwa v[8:9], v24 src0_sel:WORD_1
	v_cvt_pkrtz_f16_f32 v6, v6, v7
	global_load_dwordx4 v[22:25], v[48:49], off
	v_cvt_pkrtz_f16_f32 v7, v8, v9
	v_cvt_pkrtz_f16_f32 v8, v50, v51
	s_nop 0
	v_mfma_f32_4x4x4_16b_f16 a[0:3], v[14:15], v[6:7], a[0:3] cbsz:4 abid:9
	v_cvt_pkrtz_f16_f32 v9, v52, v53
	s_waitcnt vmcnt(7)
	v_cvt_pk_f32_fp8_e32 v[6:7], v30
	v_cvt_pk_f32_fp8_e32 v[50:51], v31
	v_mfma_f32_4x4x4_16b_f16 a[0:3], v[16:17], v[8:9], a[0:3] cbsz:4 abid:9
	v_cvt_pk_f32_fp8_sdwa v[8:9], v30 src0_sel:WORD_1
	v_cvt_pk_f32_fp8_sdwa v[52:53], v31 src0_sel:WORD_1
	v_cvt_pkrtz_f16_f32 v30, v6, v7
	v_cvt_pkrtz_f16_f32 v31, v8, v9
	global_load_dwordx4 v[6:9], v[48:49], off offset:1024
	s_nop 0
	v_mfma_f32_4x4x4_16b_f16 a[0:3], v[14:15], v[30:31], a[0:3] cbsz:4 abid:10
	v_cvt_pkrtz_f16_f32 v48, v50, v51
	v_cvt_pkrtz_f16_f32 v49, v52, v53
	v_cvt_pk_f32_fp8_e32 v[30:31], v32
	v_cvt_pk_f32_fp8_e32 v[50:51], v33
	v_mfma_f32_4x4x4_16b_f16 a[0:3], v[16:17], v[48:49], a[0:3] cbsz:4 abid:10
	v_cvt_pk_f32_fp8_sdwa v[48:49], v32 src0_sel:WORD_1
	v_cvt_pk_f32_fp8_sdwa v[32:33], v33 src0_sel:WORD_1
	v_cvt_pkrtz_f16_f32 v30, v30, v31
	v_cvt_pkrtz_f16_f32 v31, v48, v49
	;; [unrolled: 1-line block ×3, first 2 shown]
	s_nop 0
	v_mfma_f32_4x4x4_16b_f16 a[0:3], v[14:15], v[30:31], a[0:3] cbsz:4 abid:11
	s_waitcnt vmcnt(7)
	v_cvt_pk_f32_fp8_e32 v[30:31], v40
	v_cvt_pk_f32_fp8_sdwa v[32:33], v40 src0_sel:WORD_1
	v_cvt_pkrtz_f16_f32 v48, v50, v51
	v_cvt_pkrtz_f16_f32 v30, v30, v31
	s_nop 0
	v_mfma_f32_4x4x4_16b_f16 a[0:3], v[16:17], v[48:49], a[0:3] cbsz:4 abid:11
	v_cvt_pk_f32_fp8_e32 v[48:49], v41
	v_cvt_pk_f32_fp8_sdwa v[40:41], v41 src0_sel:WORD_1
	v_cvt_pkrtz_f16_f32 v31, v32, v33
	v_cvt_pkrtz_f16_f32 v32, v48, v49
	s_nop 0
	v_mfma_f32_4x4x4_16b_f16 a[0:3], v[14:15], v[30:31], a[0:3] cbsz:4 abid:12
	v_cvt_pkrtz_f16_f32 v33, v40, v41
	v_cvt_pk_f32_fp8_e32 v[30:31], v42
	v_cvt_pk_f32_fp8_e32 v[40:41], v43
	v_mfma_f32_4x4x4_16b_f16 a[0:3], v[16:17], v[32:33], a[0:3] cbsz:4 abid:12
	v_cvt_pk_f32_fp8_sdwa v[32:33], v42 src0_sel:WORD_1
	v_cvt_pk_f32_fp8_sdwa v[42:43], v43 src0_sel:WORD_1
	v_cvt_pkrtz_f16_f32 v30, v30, v31
	v_cvt_pkrtz_f16_f32 v31, v32, v33
	;; [unrolled: 1-line block ×3, first 2 shown]
	s_nop 0
	v_mfma_f32_4x4x4_16b_f16 a[0:3], v[14:15], v[30:31], a[0:3] cbsz:4 abid:13
	v_cvt_pkrtz_f16_f32 v33, v42, v43
	s_waitcnt vmcnt(6)
	v_cvt_pk_f32_fp8_e32 v[30:31], v44
	v_cvt_pk_f32_fp8_e32 v[40:41], v45
	v_mfma_f32_4x4x4_16b_f16 a[0:3], v[16:17], v[32:33], a[0:3] cbsz:4 abid:13
	v_cvt_pk_f32_fp8_sdwa v[32:33], v44 src0_sel:WORD_1
	v_cvt_pk_f32_fp8_sdwa v[42:43], v45 src0_sel:WORD_1
	v_cvt_pkrtz_f16_f32 v30, v30, v31
	v_cvt_pkrtz_f16_f32 v31, v32, v33
	;; [unrolled: 1-line block ×3, first 2 shown]
	s_nop 0
	v_mfma_f32_4x4x4_16b_f16 a[0:3], v[14:15], v[30:31], a[0:3] cbsz:4 abid:14
	v_cvt_pkrtz_f16_f32 v33, v42, v43
	v_cvt_pk_f32_fp8_e32 v[30:31], v46
	v_cvt_pk_f32_fp8_e32 v[40:41], v47
	v_mfma_f32_4x4x4_16b_f16 a[0:3], v[16:17], v[32:33], a[0:3] cbsz:4 abid:14
	v_cvt_pk_f32_fp8_sdwa v[32:33], v46 src0_sel:WORD_1
	v_cvt_pk_f32_fp8_sdwa v[42:43], v47 src0_sel:WORD_1
	v_cvt_pkrtz_f16_f32 v30, v30, v31
	v_cvt_pkrtz_f16_f32 v31, v32, v33
	v_cvt_pkrtz_f16_f32 v32, v40, v41
	s_nop 0
	v_mfma_f32_4x4x4_16b_f16 a[0:3], v[14:15], v[30:31], a[0:3] cbsz:4 abid:15
	v_cvt_pkrtz_f16_f32 v33, v42, v43
	s_waitcnt lgkmcnt(0)
	v_mov_b32_e32 v14, s0
	v_mfma_f32_4x4x4_16b_f16 a[0:3], v[16:17], v[32:33], a[0:3] cbsz:4 abid:15
	v_mul_f32_e32 v16, s1, v14
	s_nop 3
	v_accvgpr_read_b32 v31, a1
	v_accvgpr_read_b32 v30, a0
	v_pk_mul_f32 v[30:31], v[30:31], v[16:17] op_sel_hi:[1,0]
	v_accvgpr_read_b32 v15, a3
	v_accvgpr_read_b32 v14, a2
	v_pk_mul_f32 v[40:41], v[14:15], v[16:17] op_sel_hi:[1,0]
	v_cndmask_b32_e64 v14, 0, 1.0, vcc
	v_cmp_eq_u32_e32 vcc, 1, v39
	s_nop 0
	v_mfma_f32_4x4x1_16b_f32 a[0:3], v30, v14, 0
	v_cndmask_b32_e64 v14, 0, 1.0, vcc
	v_cmp_eq_u32_e32 vcc, 2, v39
	s_nop 0
	v_mfma_f32_4x4x1_16b_f32 a[0:3], v31, v14, a[0:3]
	v_cndmask_b32_e64 v14, 0, 1.0, vcc
	s_nop 1
	v_mfma_f32_4x4x1_16b_f32 a[0:3], v40, v14, a[0:3]
	global_load_dwordx4 v[30:33], v[34:35], off
	global_load_dwordx4 v[14:17], v[34:35], off offset:1024
	v_mfma_f32_4x4x1_16b_f32 a[0:3], v41, v37, a[0:3]
	v_and_b32_e32 v34, -4, v36
	v_mov_b32_e32 v41, 0xff7fffff
	v_cmp_gt_i32_e32 vcc, s3, v34
	v_or_b32_e32 v36, 3, v36
	v_accvgpr_read_b32 v37, a0
	v_max_f32_e32 v40, v37, v37
	v_max_f32_e32 v40, 0xff7fffff, v40
	v_accvgpr_read_b32 v42, a1
	v_cndmask_b32_e32 v40, v41, v40, vcc
	v_or_b32_e32 v41, 1, v34
	v_max_f32_e32 v43, v42, v42
	v_max_f32_e32 v43, v40, v43
	v_cmp_gt_i32_e64 s[0:1], s3, v41
	v_accvgpr_read_b32 v41, a2
	v_or_b32_e32 v34, 2, v34
	v_cndmask_b32_e64 v40, v40, v43, s[0:1]
	v_max_f32_e32 v43, v41, v41
	v_max_f32_e32 v43, v40, v43
	v_cmp_gt_i32_e64 s[8:9], s3, v34
	v_cmp_gt_i32_e64 s[10:11], s3, v36
	v_lshlrev_b32_e32 v35, 2, v0
	v_cndmask_b32_e64 v34, v40, v43, s[8:9]
	v_accvgpr_read_b32 v43, a3
	v_max_f32_e32 v40, v43, v43
	v_max_f32_e32 v40, v34, v40
	v_cndmask_b32_e64 v34, v34, v40, s[10:11]
	v_and_or_b32 v35, v35, 48, v39
	;;#ASMSTART
	v_nop
 v_nop
 v_max_f32_dpp v34, v34, v34 row_ror:4
	;;#ASMEND
	v_lshlrev_b32_e32 v44, 2, v35
	;;#ASMSTART
	v_nop
 v_nop
 v_max_f32_dpp v34, v34, v34 row_ror:8
	;;#ASMEND
	ds_bpermute_b32 v34, v44, v34
	s_waitcnt lgkmcnt(0)
	;;#ASMSTART
	v_nop
 v_nop
 v_max_f32_dpp v34, v34, v34 row_ror:4
	;;#ASMEND
	s_nop 0
	;;#ASMSTART
	v_nop
 v_nop
 v_max_f32_dpp v40, v34, v34 row_ror:8
	;;#ASMEND
	s_nop 0
	v_sub_f32_e32 v34, v37, v40
	v_mul_f32_e32 v34, 0x3fb8aa3b, v34
	v_sub_f32_e32 v35, v42, v40
	v_exp_f32_e32 v34, v34
	v_mul_f32_e32 v35, 0x3fb8aa3b, v35
	v_sub_f32_e32 v37, v41, v40
	v_exp_f32_e32 v35, v35
	;; [unrolled: 3-line block ×3, first 2 shown]
	v_mul_f32_e32 v41, 0x3fb8aa3b, v41
	v_exp_f32_e32 v41, v41
	v_cndmask_b32_e32 v34, 0, v34, vcc
	v_add_f32_e32 v36, 0, v34
	v_cndmask_b32_e64 v35, 0, v35, s[0:1]
	v_add_f32_e32 v42, v36, v35
	v_cndmask_b32_e64 v36, 0, v37, s[8:9]
	;; [unrolled: 2-line block ×3, first 2 shown]
	v_add_f32_e32 v41, v42, v37
	;;#ASMSTART
	v_nop
 v_nop
 v_add_f32_dpp v41, v41, v41 row_ror:4
	;;#ASMEND
	v_cmp_gt_u32_e32 vcc, 4, v1
	;;#ASMSTART
	v_nop
 v_nop
 v_add_f32_dpp v41, v41, v41 row_ror:8
	;;#ASMEND
	ds_bpermute_b32 v41, v44, v41
	s_waitcnt lgkmcnt(0)
	;;#ASMSTART
	v_nop
 v_nop
 v_add_f32_dpp v41, v41, v41 row_ror:4
	;;#ASMEND
	s_nop 0
	;;#ASMSTART
	v_nop
 v_nop
 v_add_f32_dpp v41, v41, v41 row_ror:8
	;;#ASMEND
	s_and_saveexec_b64 s[0:1], vcc
	s_cbranch_execz .LBB950_16
; %bb.15:
	v_mul_u32_u24_e32 v42, 20, v38
	v_lshl_add_u32 v42, v39, 2, v42
	v_add_u32_e32 v42, 0x1400, v42
	ds_write2_b32 v42, v40, v41 offset1:20
.LBB950_16:
	s_or_b64 exec, exec, s[0:1]
.LBB950_17:
	s_or_b64 exec, exec, s[30:31]
	s_waitcnt lgkmcnt(0)
	s_barrier
	s_load_dword s0, s[28:29], 0x8
	v_lshlrev_b32_e32 v41, 2, v39
	v_add_u32_e32 v48, 0x1400, v41
	ds_read2_b32 v[42:43], v48 offset1:5
	ds_read2_b32 v[44:45], v48 offset0:10 offset1:15
	s_mul_i32 s1, s2, s5
	s_waitcnt lgkmcnt(0)
	s_mul_i32 s0, s1, s0
	s_mov_b32 s1, 0xff7fffff
	v_max3_f32 v41, v42, s1, v43
	v_max3_f32 v41, v41, v44, v45
	v_sub_f32_e32 v42, v42, v41
	ds_read2_b32 v[46:47], v48 offset0:20 offset1:25
	v_mul_f32_e32 v42, 0x3fb8aa3b, v42
	v_sub_f32_e32 v43, v43, v41
	v_exp_f32_e32 v42, v42
	v_mul_f32_e32 v43, 0x3fb8aa3b, v43
	v_sub_f32_e32 v44, v44, v41
	v_exp_f32_e32 v43, v43
	ds_read2_b32 v[48:49], v48 offset0:30 offset1:35
	v_mul_f32_e32 v44, 0x3fb8aa3b, v44
	v_sub_f32_e32 v45, v45, v41
	v_exp_f32_e32 v44, v44
	v_mul_f32_e32 v45, 0x3fb8aa3b, v45
	v_exp_f32_e32 v45, v45
	s_waitcnt lgkmcnt(1)
	v_fma_f32 v42, v42, v46, 0
	v_fmac_f32_e32 v42, v43, v47
	s_waitcnt lgkmcnt(0)
	v_fmac_f32_e32 v42, v44, v48
	s_mul_i32 s8, s4, 3
	s_mul_i32 s0, s0, 3
	v_fmac_f32_e32 v42, v45, v49
	v_cmp_ne_u32_e32 vcc, 3, v39
	s_and_saveexec_b64 s[2:3], vcc
	s_cbranch_execz .LBB950_19
; %bb.18:
	s_mov_b32 s1, 0
	s_lshl_b64 s[10:11], s[0:1], 2
	s_add_u32 s4, s16, s10
	s_mov_b32 s25, s1
	s_addc_u32 s9, s17, s11
	s_lshl_b64 s[12:13], s[24:25], 2
	s_add_u32 s16, s4, s12
	s_addc_u32 s17, s9, s13
	s_add_u32 s1, s18, s10
	s_addc_u32 s4, s19, s11
	v_add_u32_e32 v39, s8, v39
	s_add_u32 s10, s1, s12
	v_mul_lo_u32 v44, s5, v39
	v_mov_b32_e32 v45, 0
	s_addc_u32 s11, s4, s13
	v_lshlrev_b64 v[44:45], 2, v[44:45]
	v_lshl_add_u64 v[46:47], s[16:17], 0, v[44:45]
	v_lshl_add_u64 v[44:45], s[10:11], 0, v[44:45]
	global_store_dword v[44:45], v41, off
	global_store_dword v[46:47], v42, off
.LBB950_19:
	s_or_b64 exec, exec, s[2:3]
	v_lshlrev_b32_e32 v38, 3, v38
	s_and_saveexec_b64 s[2:3], s[6:7]
	s_xor_b64 s[2:3], exec, s[2:3]
	s_cbranch_execz .LBB950_21
; %bb.20:
	s_mov_b32 s6, 0
	s_mov_b32 s7, s6
	s_waitcnt vmcnt(6)
	v_mad_u32_u24 v4, v1, 40, v38
	v_mov_b64_e32 v[2:3], s[6:7]
	ds_write2st64_b64 v4, v[2:3], v[2:3] offset1:5
                                        ; implicit-def: $vgpr37
                                        ; implicit-def: $vgpr35
                                        ; implicit-def: $vgpr40
                                        ; implicit-def: $vgpr26_vgpr27
                                        ; implicit-def: $vgpr18_vgpr19
                                        ; implicit-def: $vgpr22_vgpr23
                                        ; implicit-def: $vgpr30_vgpr31
                                        ; implicit-def: $vgpr10_vgpr11
                                        ; implicit-def: $vgpr2_vgpr3
                                        ; implicit-def: $vgpr6_vgpr7
                                        ; implicit-def: $vgpr14_vgpr15
                                        ; implicit-def: $vgpr41
                                        ; implicit-def: $vgpr42
                                        ; implicit-def: $vgpr38
.LBB950_21:
	s_andn2_saveexec_b64 s[2:3], s[2:3]
	s_cbranch_execz .LBB950_23
; %bb.22:
	v_add_f32_e32 v39, 0x358637bd, v42
	v_div_scale_f32 v42, s[6:7], v39, v39, 1.0
	v_rcp_f32_e32 v43, v42
	v_sub_f32_e32 v40, v40, v41
	v_mul_f32_e32 v40, 0x3fb8aa3b, v40
	v_exp_f32_e32 v40, v40
	v_fma_f32 v41, -v42, v43, 1.0
	v_fmac_f32_e32 v43, v41, v43
	v_div_scale_f32 v41, vcc, 1.0, v39, 1.0
	v_mul_f32_e32 v44, v41, v43
	v_fma_f32 v45, -v42, v44, v41
	v_fmac_f32_e32 v44, v45, v43
	v_fma_f32 v41, -v42, v44, v41
	v_div_fmas_f32 v41, v41, v43, v44
	v_div_fixup_f32 v39, v41, v39, 1.0
	v_mul_f32_e32 v40, v40, v39
	v_pk_mul_f32 v[36:37], v[36:37], v[40:41] op_sel_hi:[1,0]
	v_pk_mul_f32 v[34:35], v[34:35], v[40:41] op_sel_hi:[1,0]
	v_cvt_f16_f32_e32 v36, v36
	v_cvt_f16_f32_e32 v34, v34
	;; [unrolled: 1-line block ×4, first 2 shown]
	s_waitcnt vmcnt(5)
	v_cvt_pk_f32_fp8_sdwa v[40:41], v26 src0_sel:WORD_1
	v_cvt_pk_f32_fp8_e32 v[42:43], v27
	v_pack_b32_f16 v34, v34, v35
	v_pack_b32_f16 v35, v36, v37
	v_cvt_pk_f32_fp8_e32 v[36:37], v26
	v_cvt_pk_f32_fp8_sdwa v[26:27], v27 src0_sel:WORD_1
	s_load_dword s4, s[14:15], 0x0
	v_cvt_pkrtz_f16_f32 v36, v36, v37
	v_cvt_pkrtz_f16_f32 v37, v40, v41
	;; [unrolled: 1-line block ×4, first 2 shown]
	v_mfma_f32_4x4x4_16b_f16 a[0:3], v[34:35], v[36:37], 0 cbsz:4
	v_cvt_pk_f32_fp8_e32 v[26:27], v28
	v_cvt_pk_f32_fp8_sdwa v[36:37], v28 src0_sel:WORD_1
	v_mfma_f32_4x4x4_16b_f16 a[0:3], v[34:35], v[40:41], a[0:3] cbsz:4 abid:1
	v_cvt_pk_f32_fp8_e32 v[40:41], v29
	v_cvt_pk_f32_fp8_sdwa v[28:29], v29 src0_sel:WORD_1
	v_cvt_pkrtz_f16_f32 v26, v26, v27
	v_cvt_pkrtz_f16_f32 v27, v36, v37
	v_cvt_pkrtz_f16_f32 v36, v40, v41
	v_cvt_pkrtz_f16_f32 v37, v28, v29
	v_mfma_f32_4x4x4_16b_f16 a[0:3], v[34:35], v[26:27], a[0:3] cbsz:4 abid:2
	v_cvt_pk_f32_fp8_e32 v[26:27], v18
	v_cvt_pk_f32_fp8_sdwa v[28:29], v18 src0_sel:WORD_1
	v_mfma_f32_4x4x4_16b_f16 a[0:3], v[34:35], v[36:37], a[0:3] cbsz:4 abid:3
	v_cvt_pk_f32_fp8_e32 v[36:37], v19
	v_cvt_pk_f32_fp8_sdwa v[18:19], v19 src0_sel:WORD_1
	v_cvt_pkrtz_f16_f32 v26, v26, v27
	v_cvt_pkrtz_f16_f32 v27, v28, v29
	v_cvt_pkrtz_f16_f32 v28, v36, v37
	v_cvt_pkrtz_f16_f32 v29, v18, v19
	v_mfma_f32_4x4x4_16b_f16 a[0:3], v[34:35], v[26:27], a[0:3] cbsz:4 abid:4
	;; [unrolled: 10-line block ×3, first 2 shown]
	s_waitcnt vmcnt(3)
	v_cvt_pk_f32_fp8_e32 v[18:19], v22
	v_cvt_pk_f32_fp8_sdwa v[20:21], v22 src0_sel:WORD_1
	v_mfma_f32_4x4x4_16b_f16 a[0:3], v[34:35], v[26:27], a[0:3] cbsz:4 abid:7
	v_cvt_pk_f32_fp8_e32 v[26:27], v23
	v_cvt_pk_f32_fp8_sdwa v[22:23], v23 src0_sel:WORD_1
	v_cvt_pkrtz_f16_f32 v18, v18, v19
	v_cvt_pkrtz_f16_f32 v19, v20, v21
	;; [unrolled: 1-line block ×4, first 2 shown]
	v_mfma_f32_4x4x4_16b_f16 a[0:3], v[34:35], v[18:19], a[0:3] cbsz:4 abid:8
	v_cvt_pk_f32_fp8_e32 v[18:19], v24
	v_cvt_pk_f32_fp8_e32 v[22:23], v25
	v_mfma_f32_4x4x4_16b_f16 a[0:3], v[34:35], v[20:21], a[0:3] cbsz:4 abid:9
	v_cvt_pk_f32_fp8_sdwa v[20:21], v24 src0_sel:WORD_1
	v_cvt_pk_f32_fp8_sdwa v[24:25], v25 src0_sel:WORD_1
	v_cvt_pkrtz_f16_f32 v18, v18, v19
	v_cvt_pkrtz_f16_f32 v19, v20, v21
	;; [unrolled: 1-line block ×3, first 2 shown]
	s_nop 0
	v_mfma_f32_4x4x4_16b_f16 a[0:3], v[34:35], v[18:19], a[0:3] cbsz:4 abid:10
	v_cvt_pkrtz_f16_f32 v21, v24, v25
	s_waitcnt vmcnt(1)
	v_cvt_pk_f32_fp8_e32 v[18:19], v30
	v_cvt_pk_f32_fp8_e32 v[22:23], v31
	v_mfma_f32_4x4x4_16b_f16 a[0:3], v[34:35], v[20:21], a[0:3] cbsz:4 abid:11
	v_cvt_pk_f32_fp8_sdwa v[20:21], v30 src0_sel:WORD_1
	v_cvt_pk_f32_fp8_sdwa v[24:25], v31 src0_sel:WORD_1
	v_cvt_pkrtz_f16_f32 v18, v18, v19
	v_cvt_pkrtz_f16_f32 v19, v20, v21
	;; [unrolled: 1-line block ×3, first 2 shown]
	s_nop 0
	v_mfma_f32_4x4x4_16b_f16 a[0:3], v[34:35], v[18:19], a[0:3] cbsz:4 abid:12
	v_cvt_pkrtz_f16_f32 v21, v24, v25
	v_cvt_pk_f32_fp8_e32 v[18:19], v32
	v_cvt_pk_f32_fp8_e32 v[22:23], v33
	v_mfma_f32_4x4x4_16b_f16 a[0:3], v[34:35], v[20:21], a[0:3] cbsz:4 abid:13
	v_cvt_pk_f32_fp8_sdwa v[20:21], v32 src0_sel:WORD_1
	v_cvt_pk_f32_fp8_sdwa v[24:25], v33 src0_sel:WORD_1
	v_cvt_pkrtz_f16_f32 v18, v18, v19
	v_cvt_pkrtz_f16_f32 v19, v20, v21
	;; [unrolled: 1-line block ×3, first 2 shown]
	s_nop 0
	v_mfma_f32_4x4x4_16b_f16 a[0:3], v[34:35], v[18:19], a[0:3] cbsz:4 abid:14
	v_cvt_pkrtz_f16_f32 v21, v24, v25
	v_cvt_pk_f32_fp8_sdwa v[22:23], v10 src0_sel:WORD_1
	v_cvt_pk_f32_fp8_e32 v[24:25], v11
	v_mfma_f32_4x4x4_16b_f16 a[0:3], v[34:35], v[20:21], a[0:3] cbsz:4 abid:15
	s_nop 4
	v_accvgpr_read_b32 v19, a1
	v_accvgpr_read_b32 v18, a0
	s_waitcnt lgkmcnt(0)
	v_pk_mul_f32 v[18:19], v[18:19], s[4:5] op_sel_hi:[1,0]
	s_nop 0
	v_cvt_f16_f32_e32 v20, v18
	v_cvt_f16_f32_e32 v21, v19
	v_accvgpr_read_b32 v19, a3
	v_accvgpr_read_b32 v18, a2
	v_pk_mul_f32 v[18:19], v[18:19], s[4:5] op_sel_hi:[1,0]
	v_pack_b32_f16 v20, v20, v21
	v_cvt_f16_f32_e32 v21, v18
	v_cvt_f16_f32_e32 v26, v19
	v_cvt_pk_f32_fp8_e32 v[18:19], v10
	v_cvt_pk_f32_fp8_sdwa v[10:11], v11 src0_sel:WORD_1
	v_pack_b32_f16 v21, v21, v26
	v_cvt_pkrtz_f16_f32 v18, v18, v19
	v_cvt_pkrtz_f16_f32 v19, v22, v23
	;; [unrolled: 1-line block ×4, first 2 shown]
	v_mfma_f32_4x4x4_16b_f16 a[0:3], v[34:35], v[18:19], 0 cbsz:4
	v_cvt_pk_f32_fp8_e32 v[10:11], v12
	v_cvt_pk_f32_fp8_sdwa v[18:19], v12 src0_sel:WORD_1
	v_mfma_f32_4x4x4_16b_f16 a[0:3], v[34:35], v[22:23], a[0:3] cbsz:4 abid:1
	v_cvt_pk_f32_fp8_e32 v[22:23], v13
	v_cvt_pk_f32_fp8_sdwa v[12:13], v13 src0_sel:WORD_1
	v_cvt_pkrtz_f16_f32 v10, v10, v11
	v_cvt_pkrtz_f16_f32 v11, v18, v19
	v_cvt_pkrtz_f16_f32 v18, v22, v23
	v_cvt_pkrtz_f16_f32 v19, v12, v13
	v_mfma_f32_4x4x4_16b_f16 a[0:3], v[34:35], v[10:11], a[0:3] cbsz:4 abid:2
	v_cvt_pk_f32_fp8_e32 v[10:11], v2
	v_cvt_pk_f32_fp8_sdwa v[12:13], v2 src0_sel:WORD_1
	v_mfma_f32_4x4x4_16b_f16 a[0:3], v[34:35], v[18:19], a[0:3] cbsz:4 abid:3
	v_cvt_pk_f32_fp8_e32 v[18:19], v3
	v_cvt_pk_f32_fp8_sdwa v[2:3], v3 src0_sel:WORD_1
	v_cvt_pkrtz_f16_f32 v10, v10, v11
	v_cvt_pkrtz_f16_f32 v11, v12, v13
	v_cvt_pkrtz_f16_f32 v12, v18, v19
	v_cvt_pkrtz_f16_f32 v13, v2, v3
	v_mfma_f32_4x4x4_16b_f16 a[0:3], v[34:35], v[10:11], a[0:3] cbsz:4 abid:4
	;; [unrolled: 10-line block ×4, first 2 shown]
	v_cvt_pk_f32_fp8_e32 v[2:3], v8
	v_cvt_pk_f32_fp8_e32 v[6:7], v9
	v_mfma_f32_4x4x4_16b_f16 a[0:3], v[34:35], v[4:5], a[0:3] cbsz:4 abid:9
	v_cvt_pk_f32_fp8_sdwa v[4:5], v8 src0_sel:WORD_1
	v_cvt_pk_f32_fp8_sdwa v[8:9], v9 src0_sel:WORD_1
	v_cvt_pkrtz_f16_f32 v2, v2, v3
	v_cvt_pkrtz_f16_f32 v3, v4, v5
	;; [unrolled: 1-line block ×3, first 2 shown]
	s_nop 0
	v_mfma_f32_4x4x4_16b_f16 a[0:3], v[34:35], v[2:3], a[0:3] cbsz:4 abid:10
	v_cvt_pkrtz_f16_f32 v5, v8, v9
	s_waitcnt vmcnt(0)
	v_cvt_pk_f32_fp8_e32 v[2:3], v14
	v_cvt_pk_f32_fp8_e32 v[6:7], v15
	v_mfma_f32_4x4x4_16b_f16 a[0:3], v[34:35], v[4:5], a[0:3] cbsz:4 abid:11
	v_cvt_pk_f32_fp8_sdwa v[4:5], v14 src0_sel:WORD_1
	v_cvt_pk_f32_fp8_sdwa v[8:9], v15 src0_sel:WORD_1
	v_cvt_pkrtz_f16_f32 v2, v2, v3
	v_cvt_pkrtz_f16_f32 v3, v4, v5
	;; [unrolled: 1-line block ×3, first 2 shown]
	s_nop 0
	v_mfma_f32_4x4x4_16b_f16 a[0:3], v[34:35], v[2:3], a[0:3] cbsz:4 abid:12
	v_cvt_pkrtz_f16_f32 v5, v8, v9
	v_cvt_pk_f32_fp8_e32 v[2:3], v16
	v_cvt_pk_f32_fp8_e32 v[6:7], v17
	v_mfma_f32_4x4x4_16b_f16 a[0:3], v[34:35], v[4:5], a[0:3] cbsz:4 abid:13
	v_cvt_pk_f32_fp8_sdwa v[4:5], v16 src0_sel:WORD_1
	v_cvt_pk_f32_fp8_sdwa v[8:9], v17 src0_sel:WORD_1
	v_cvt_pkrtz_f16_f32 v2, v2, v3
	v_cvt_pkrtz_f16_f32 v3, v4, v5
	;; [unrolled: 1-line block ×3, first 2 shown]
	s_nop 0
	v_mfma_f32_4x4x4_16b_f16 a[0:3], v[34:35], v[2:3], a[0:3] cbsz:4 abid:14
	v_cvt_pkrtz_f16_f32 v5, v8, v9
	v_mad_u32_u24 v7, v1, 40, v38
	s_nop 0
	v_mfma_f32_4x4x4_16b_f16 a[0:3], v[34:35], v[4:5], a[0:3] cbsz:4 abid:15
	s_nop 4
	v_accvgpr_read_b32 v5, a1
	v_accvgpr_read_b32 v3, a3
	;; [unrolled: 1-line block ×4, first 2 shown]
	v_pk_mul_f32 v[2:3], v[2:3], s[4:5] op_sel_hi:[1,0]
	v_pk_mul_f32 v[4:5], v[4:5], s[4:5] op_sel_hi:[1,0]
	v_cvt_f16_f32_e32 v6, v2
	v_cvt_f16_f32_e32 v4, v4
	v_cvt_f16_f32_e32 v5, v5
	v_cvt_f16_f32_e32 v3, v3
	v_pack_b32_f16 v2, v4, v5
	v_pack_b32_f16 v3, v6, v3
	ds_write2st64_b64 v7, v[20:21], v[2:3] offset1:5
.LBB950_23:
	s_or_b64 exec, exec, s[2:3]
	v_cmp_gt_u32_e32 vcc, 64, v0
	s_waitcnt lgkmcnt(0)
	s_barrier
	s_and_saveexec_b64 s[2:3], vcc
	s_cbranch_execz .LBB950_25
; %bb.24:
	s_waitcnt vmcnt(2)
	v_mul_u32_u24_e32 v6, 40, v1
	ds_read2_b64 v[2:5], v6 offset1:1
	ds_read2_b64 v[6:9], v6 offset0:2 offset1:3
	s_mov_b32 s1, 0
	s_lshl_b32 s0, s0, 7
	s_lshl_b64 s[2:3], s[0:1], 1
	s_waitcnt lgkmcnt(1)
	v_pk_add_f16 v2, v2, 0
	v_pk_add_f16 v3, v3, 0
	;; [unrolled: 1-line block ×4, first 2 shown]
	s_waitcnt lgkmcnt(0)
	v_pk_add_f16 v2, v2, v6
	v_pk_add_f16 v6, v3, v7
	;; [unrolled: 1-line block ×3, first 2 shown]
	v_mov_b32_e32 v2, 0xa00
	v_mad_u32_u24 v2, v1, 40, v2
	ds_read2_b64 v[2:5], v2 offset1:1
	v_pk_add_f16 v11, v6, v9
	v_mov_b32_e32 v6, 0xa10
	v_mad_u32_u24 v1, v1, 40, v6
	ds_read2_b64 v[6:9], v1 offset1:1
	s_add_u32 s2, s26, s2
	s_addc_u32 s3, s27, s3
	s_lshl_b32 s0, s24, 7
	s_lshl_b64 s[0:1], s[0:1], 1
	s_waitcnt lgkmcnt(1)
	v_pk_add_f16 v1, v2, 0
	v_pk_add_f16 v2, v3, 0
	s_add_u32 s0, s2, s0
	v_pk_add_f16 v2, v2, v5
	s_addc_u32 s1, s3, s1
	s_lshl_b32 s2, s5, 7
	s_waitcnt lgkmcnt(0)
	v_pk_add_f16 v2, v2, v7
	s_mul_i32 s3, s2, s8
	v_pk_add_f16 v9, v2, v9
	v_or_b32_e32 v2, s3, v0
	v_mov_b32_e32 v3, 0
	s_add_i32 s3, s3, s2
	v_pk_add_f16 v1, v1, v4
	v_lshl_add_u64 v[4:5], v[2:3], 1, s[0:1]
	v_or_b32_e32 v2, s3, v0
	s_add_i32 s3, s3, s2
	v_pk_add_f16 v1, v1, v6
	v_lshl_add_u64 v[6:7], v[2:3], 1, s[0:1]
	v_or_b32_e32 v2, s3, v0
	v_pk_add_f16 v8, v1, v8
	v_lshl_add_u64 v[0:1], v[2:3], 1, s[0:1]
	global_store_short v[4:5], v10, off
	global_store_short_d16_hi v[6:7], v10, off
	global_store_short v[0:1], v11, off
	global_store_short v[4:5], v8, off offset:128
	global_store_short_d16_hi v[6:7], v8, off offset:128
	global_store_short v[0:1], v9, off offset:128
.LBB950_25:
	s_endpgm
	.section	.rodata,"a",@progbits
	.p2align	6, 0x0
	.amdhsa_kernel _Z38paged_attention_ll4mi_QKV_mfma4_kernelIDF16_hLN4vllm18Fp8KVCacheDataTypeE1EhLi16ELi128ELi256ELb0ELi3EEvPKT_PKT0_S7_ifPKiS9_S9_iPKfiiiPfSC_PS2_PT2_iSB_SB_
		.amdhsa_group_segment_fixed_size 5280
		.amdhsa_private_segment_fixed_size 0
		.amdhsa_kernarg_size 400
		.amdhsa_user_sgpr_count 2
		.amdhsa_user_sgpr_dispatch_ptr 0
		.amdhsa_user_sgpr_queue_ptr 0
		.amdhsa_user_sgpr_kernarg_segment_ptr 1
		.amdhsa_user_sgpr_dispatch_id 0
		.amdhsa_user_sgpr_kernarg_preload_length 0
		.amdhsa_user_sgpr_kernarg_preload_offset 0
		.amdhsa_user_sgpr_private_segment_size 0
		.amdhsa_uses_dynamic_stack 0
		.amdhsa_enable_private_segment 0
		.amdhsa_system_sgpr_workgroup_id_x 1
		.amdhsa_system_sgpr_workgroup_id_y 1
		.amdhsa_system_sgpr_workgroup_id_z 1
		.amdhsa_system_sgpr_workgroup_info 0
		.amdhsa_system_vgpr_workitem_id 0
		.amdhsa_next_free_vgpr 68
		.amdhsa_next_free_sgpr 42
		.amdhsa_accum_offset 64
		.amdhsa_reserve_vcc 1
		.amdhsa_float_round_mode_32 0
		.amdhsa_float_round_mode_16_64 0
		.amdhsa_float_denorm_mode_32 3
		.amdhsa_float_denorm_mode_16_64 3
		.amdhsa_dx10_clamp 1
		.amdhsa_ieee_mode 1
		.amdhsa_fp16_overflow 0
		.amdhsa_tg_split 0
		.amdhsa_exception_fp_ieee_invalid_op 0
		.amdhsa_exception_fp_denorm_src 0
		.amdhsa_exception_fp_ieee_div_zero 0
		.amdhsa_exception_fp_ieee_overflow 0
		.amdhsa_exception_fp_ieee_underflow 0
		.amdhsa_exception_fp_ieee_inexact 0
		.amdhsa_exception_int_div_zero 0
	.end_amdhsa_kernel
	.section	.text._Z38paged_attention_ll4mi_QKV_mfma4_kernelIDF16_hLN4vllm18Fp8KVCacheDataTypeE1EhLi16ELi128ELi256ELb0ELi3EEvPKT_PKT0_S7_ifPKiS9_S9_iPKfiiiPfSC_PS2_PT2_iSB_SB_,"axG",@progbits,_Z38paged_attention_ll4mi_QKV_mfma4_kernelIDF16_hLN4vllm18Fp8KVCacheDataTypeE1EhLi16ELi128ELi256ELb0ELi3EEvPKT_PKT0_S7_ifPKiS9_S9_iPKfiiiPfSC_PS2_PT2_iSB_SB_,comdat
.Lfunc_end950:
	.size	_Z38paged_attention_ll4mi_QKV_mfma4_kernelIDF16_hLN4vllm18Fp8KVCacheDataTypeE1EhLi16ELi128ELi256ELb0ELi3EEvPKT_PKT0_S7_ifPKiS9_S9_iPKfiiiPfSC_PS2_PT2_iSB_SB_, .Lfunc_end950-_Z38paged_attention_ll4mi_QKV_mfma4_kernelIDF16_hLN4vllm18Fp8KVCacheDataTypeE1EhLi16ELi128ELi256ELb0ELi3EEvPKT_PKT0_S7_ifPKiS9_S9_iPKfiiiPfSC_PS2_PT2_iSB_SB_
                                        ; -- End function
	.section	.AMDGPU.csdata,"",@progbits
; Kernel info:
; codeLenInByte = 5492
; NumSgprs: 48
; NumVgprs: 64
; NumAgprs: 4
; TotalNumVgprs: 68
; ScratchSize: 0
; MemoryBound: 0
; FloatMode: 240
; IeeeMode: 1
; LDSByteSize: 5280 bytes/workgroup (compile time only)
; SGPRBlocks: 5
; VGPRBlocks: 8
; NumSGPRsForWavesPerEU: 48
; NumVGPRsForWavesPerEU: 68
; AccumOffset: 64
; Occupancy: 7
; WaveLimiterHint : 1
; COMPUTE_PGM_RSRC2:SCRATCH_EN: 0
; COMPUTE_PGM_RSRC2:USER_SGPR: 2
; COMPUTE_PGM_RSRC2:TRAP_HANDLER: 0
; COMPUTE_PGM_RSRC2:TGID_X_EN: 1
; COMPUTE_PGM_RSRC2:TGID_Y_EN: 1
; COMPUTE_PGM_RSRC2:TGID_Z_EN: 1
; COMPUTE_PGM_RSRC2:TIDIG_COMP_CNT: 0
; COMPUTE_PGM_RSRC3_GFX90A:ACCUM_OFFSET: 15
; COMPUTE_PGM_RSRC3_GFX90A:TG_SPLIT: 0
	.section	.text._Z38paged_attention_ll4mi_QKV_mfma4_kernelIDF16_hLN4vllm18Fp8KVCacheDataTypeE1EhLi16ELi128ELi256ELb0ELi4EEvPKT_PKT0_S7_ifPKiS9_S9_iPKfiiiPfSC_PS2_PT2_iSB_SB_,"axG",@progbits,_Z38paged_attention_ll4mi_QKV_mfma4_kernelIDF16_hLN4vllm18Fp8KVCacheDataTypeE1EhLi16ELi128ELi256ELb0ELi4EEvPKT_PKT0_S7_ifPKiS9_S9_iPKfiiiPfSC_PS2_PT2_iSB_SB_,comdat
	.protected	_Z38paged_attention_ll4mi_QKV_mfma4_kernelIDF16_hLN4vllm18Fp8KVCacheDataTypeE1EhLi16ELi128ELi256ELb0ELi4EEvPKT_PKT0_S7_ifPKiS9_S9_iPKfiiiPfSC_PS2_PT2_iSB_SB_ ; -- Begin function _Z38paged_attention_ll4mi_QKV_mfma4_kernelIDF16_hLN4vllm18Fp8KVCacheDataTypeE1EhLi16ELi128ELi256ELb0ELi4EEvPKT_PKT0_S7_ifPKiS9_S9_iPKfiiiPfSC_PS2_PT2_iSB_SB_
	.globl	_Z38paged_attention_ll4mi_QKV_mfma4_kernelIDF16_hLN4vllm18Fp8KVCacheDataTypeE1EhLi16ELi128ELi256ELb0ELi4EEvPKT_PKT0_S7_ifPKiS9_S9_iPKfiiiPfSC_PS2_PT2_iSB_SB_
	.p2align	8
	.type	_Z38paged_attention_ll4mi_QKV_mfma4_kernelIDF16_hLN4vllm18Fp8KVCacheDataTypeE1EhLi16ELi128ELi256ELb0ELi4EEvPKT_PKT0_S7_ifPKiS9_S9_iPKfiiiPfSC_PS2_PT2_iSB_SB_,@function
_Z38paged_attention_ll4mi_QKV_mfma4_kernelIDF16_hLN4vllm18Fp8KVCacheDataTypeE1EhLi16ELi128ELi256ELb0ELi4EEvPKT_PKT0_S7_ifPKiS9_S9_iPKfiiiPfSC_PS2_PT2_iSB_SB_: ; @_Z38paged_attention_ll4mi_QKV_mfma4_kernelIDF16_hLN4vllm18Fp8KVCacheDataTypeE1EhLi16ELi128ELi256ELb0ELi4EEvPKT_PKT0_S7_ifPKiS9_S9_iPKfiiiPfSC_PS2_PT2_iSB_SB_
; %bb.0:
	s_load_dwordx2 s[8:9], s[0:1], 0x30
	s_mov_b32 s24, s3
	s_mov_b64 s[6:7], 0
	s_waitcnt lgkmcnt(0)
	s_cmp_lg_u64 s[8:9], 0
	s_cselect_b64 s[10:11], -1, 0
	s_and_b64 vcc, exec, s[10:11]
	s_cbranch_vccz .LBB951_20
; %bb.1:
	s_add_i32 s12, s2, 1
	s_mov_b32 s13, 0
	s_lshl_b64 s[14:15], s[12:13], 2
	s_add_u32 s14, s8, s14
	s_mov_b32 s3, s13
	s_addc_u32 s15, s9, s15
	s_lshl_b64 s[12:13], s[2:3], 2
	s_add_u32 s12, s8, s12
	s_addc_u32 s13, s9, s13
	s_load_dword s5, s[14:15], 0x0
	s_load_dword s16, s[12:13], 0x0
	s_mov_b64 s[34:35], s[2:3]
	s_waitcnt lgkmcnt(0)
	s_sub_i32 s5, s5, s16
	s_cmp_eq_u32 s5, 1
	s_cselect_b64 s[12:13], -1, 0
	s_andn2_b64 vcc, exec, s[6:7]
	s_cbranch_vccnz .LBB951_3
.LBB951_2:
	s_mov_b32 s3, 0
	s_mov_b64 s[12:13], -1
	s_mov_b64 s[34:35], s[2:3]
.LBB951_3:
	s_andn2_b64 vcc, exec, s[12:13]
	s_cbranch_vccnz .LBB951_19
; %bb.4:
	s_load_dword s3, s[0:1], 0x9c
	s_load_dwordx2 s[6:7], s[0:1], 0x28
	s_add_u32 s28, s0, 0x90
	s_addc_u32 s29, s1, 0
	s_lshl_b64 s[38:39], s[34:35], 2
	s_waitcnt lgkmcnt(0)
	s_and_b32 s5, s3, 0xffff
	s_add_u32 s6, s6, s38
	s_addc_u32 s7, s7, s39
	s_load_dword s3, s[6:7], 0x0
	s_mul_i32 s20, s24, s5
	s_waitcnt lgkmcnt(0)
	s_cmp_ge_i32 s20, s3
	s_cbranch_scc1 .LBB951_19
; %bb.5:
	v_and_b32_e32 v1, 0xc0, v0
	v_add_u32_e32 v4, s20, v1
	v_lshrrev_b32_e32 v42, 6, v0
	v_cmp_le_i32_e64 s[6:7], s3, v4
                                        ; implicit-def: $sgpr22
                                        ; implicit-def: $sgpr21
	s_and_saveexec_b64 s[12:13], s[6:7]
	s_xor_b64 s[12:13], exec, s[12:13]
	s_cbranch_execz .LBB951_7
; %bb.6:
	v_mul_u32_u24_e32 v1, 20, v42
	v_or_b32_e32 v1, 0x1400, v1
	v_mov_b32_e32 v2, 0x1450
	v_mov_b32_e32 v3, 0xff7fffff
	v_mad_u32_u24 v2, v42, 20, v2
	ds_write2_b32 v1, v3, v3 offset1:1
	v_mov_b32_e32 v1, 0
	ds_write2_b32 v2, v1, v1 offset1:1
	v_mov_b32_e32 v2, 0x1408
	v_mov_b32_e32 v4, 0x1458
	s_mov_b32 s21, 0xff7fffff
	s_mov_b32 s22, 0
	v_mad_u32_u24 v2, v42, 20, v2
	v_mad_u32_u24 v4, v42, 20, v4
	ds_write2_b32 v2, v3, v3 offset1:1
	ds_write2_b32 v4, v1, v1 offset1:1
                                        ; implicit-def: $vgpr4
.LBB951_7:
	s_or_saveexec_b64 s[30:31], s[12:13]
	s_load_dwordx2 s[26:27], s[0:1], 0x68
	s_load_dwordx4 s[16:19], s[0:1], 0x58
	s_load_dword s5, s[28:29], 0x4
	s_load_dwordx4 s[12:15], s[0:1], 0x80
	v_and_b32_e32 v1, 63, v0
	v_and_b32_e32 v43, 3, v0
	v_mov_b32_e32 v37, s22
	v_mov_b32_e32 v39, s21
	;; [unrolled: 1-line block ×5, first 2 shown]
                                        ; implicit-def: $vgpr30_vgpr31
                                        ; implicit-def: $vgpr18_vgpr19
                                        ; implicit-def: $vgpr22_vgpr23
                                        ; implicit-def: $vgpr26_vgpr27
                                        ; implicit-def: $vgpr14_vgpr15
                                        ; implicit-def: $vgpr2_vgpr3
                                        ; implicit-def: $vgpr6_vgpr7
                                        ; implicit-def: $vgpr10_vgpr11
	s_xor_b64 exec, exec, s[30:31]
	s_cbranch_execz .LBB951_13
; %bb.8:
	s_load_dwordx2 s[22:23], s[0:1], 0x20
	s_load_dword s21, s[0:1], 0x38
	s_add_i32 s25, s3, 15
	s_ashr_i32 s33, s25, 31
	s_lshr_b32 s33, s33, 28
	v_add_u32_e32 v44, s20, v0
	s_add_i32 s25, s25, s33
	v_ashrrev_i32_e32 v2, 31, v44
	s_ashr_i32 s25, s25, 4
	v_lshrrev_b32_e32 v2, 28, v2
	s_add_i32 s25, s25, -1
	s_waitcnt lgkmcnt(0)
	s_mul_i32 s40, s2, s21
	s_mov_b32 s41, 0
	v_add_u32_e32 v2, v44, v2
	s_lshl_b64 s[36:37], s[40:41], 2
	v_ashrrev_i32_e32 v2, 4, v2
	v_mov_b32_e32 v3, s25
	v_cmp_gt_i32_e32 vcc, s3, v44
	s_add_u32 s22, s22, s36
	s_addc_u32 s23, s23, s37
	v_cndmask_b32_e32 v2, v3, v2, vcc
	v_ashrrev_i32_e32 v3, 31, v2
	v_lshl_add_u64 v[8:9], v[2:3], 2, s[22:23]
	v_ashrrev_i32_e32 v2, 31, v4
	v_lshrrev_b32_e32 v2, 28, v2
	v_add_u32_e32 v2, v4, v2
	v_ashrrev_i32_e32 v4, 4, v2
	v_min_i32_e32 v2, s25, v4
	v_ashrrev_i32_e32 v3, 31, v2
	v_lshl_add_u64 v[10:11], v[2:3], 2, s[22:23]
	v_add_u32_e32 v2, 1, v4
	v_min_i32_e32 v2, s25, v2
	v_ashrrev_i32_e32 v3, 31, v2
	v_lshl_add_u64 v[12:13], v[2:3], 2, s[22:23]
	v_add_u32_e32 v2, 2, v4
	v_min_i32_e32 v2, s25, v2
	v_ashrrev_i32_e32 v3, 31, v2
	v_lshl_add_u64 v[14:15], v[2:3], 2, s[22:23]
	v_add_u32_e32 v2, 3, v4
	v_min_i32_e32 v2, s25, v2
	v_ashrrev_i32_e32 v3, 31, v2
	v_lshl_add_u64 v[16:17], v[2:3], 2, s[22:23]
	global_load_dword v6, v[8:9], off
	global_load_dword v2, v[10:11], off
	;; [unrolled: 1-line block ×5, first 2 shown]
	s_load_dwordx4 s[20:23], s[0:1], 0x0
	s_load_dwordx2 s[36:37], s[0:1], 0x10
	s_andn2_b64 vcc, exec, s[10:11]
	s_cbranch_vccnz .LBB951_10
; %bb.9:
	s_add_u32 s8, s8, s38
	s_addc_u32 s9, s9, s39
	s_load_dword s40, s[8:9], 0x0
	s_waitcnt lgkmcnt(0)
	s_mov_b64 s[34:35], s[40:41]
.LBB951_10:
	s_load_dwordx4 s[8:11], s[0:1], 0x48
	s_waitcnt lgkmcnt(0)
	s_load_dword s11, s[0:1], 0x1c
                                        ; kill: killed $sgpr0 killed $sgpr1
	v_mov_b32_e32 v15, 0
	v_mov_b32_e32 v19, v15
	;; [unrolled: 1-line block ×3, first 2 shown]
	s_ashr_i32 s1, s8, 31
	s_mul_hi_u32 s25, s34, s8
	s_mul_i32 s1, s34, s1
	s_mul_i32 s33, s35, s8
	s_add_i32 s1, s25, s1
	s_mul_i32 s0, s34, s8
	s_add_i32 s1, s1, s33
	s_lshl_b64 s[0:1], s[0:1], 1
	s_add_u32 s8, s20, s0
	s_addc_u32 s20, s21, s1
	s_lshl_b32 s40, s4, 9
	s_lshl_b64 s[0:1], s[40:41], 1
	s_add_u32 s0, s8, s0
	s_addc_u32 s1, s20, s1
	s_mul_i32 s8, s4, s10
	s_add_u32 s20, s8, s22
	s_addc_u32 s21, 0, s23
	v_mov_b64_e32 v[8:9], s[20:21]
	s_waitcnt vmcnt(4)
	v_mad_i64_i32 v[6:7], s[20:21], v6, s9, v[8:9]
	v_lshlrev_b32_e32 v8, 4, v0
	v_and_b32_e32 v14, 0xf0, v8
	v_lshl_add_u64 v[16:17], v[6:7], 0, v[14:15]
	v_lshlrev_b32_e32 v14, 2, v1
	v_and_b32_e32 v14, 0xf0, v14
	v_lshl_or_b32 v14, v43, 8, v14
	global_load_dwordx4 v[10:13], v[16:17], off
	global_load_dwordx4 v[6:9], v[16:17], off offset:256
	global_load_dwordx4 v[34:37], v14, s[0:1]
	global_load_dwordx4 v[24:27], v[16:17], off offset:512
	global_load_dwordx4 v[46:49], v[16:17], off offset:768
	;; [unrolled: 1-line block ×6, first 2 shown]
	s_waitcnt vmcnt(11)
	v_mul_hi_i32 v18, v3, s9
	s_waitcnt vmcnt(10)
	v_mul_hi_i32 v20, v4, s9
	;; [unrolled: 2-line block ×3, first 2 shown]
	v_ashrrev_i32_e32 v18, 31, v18
	v_ashrrev_i32_e32 v20, 31, v20
	;; [unrolled: 1-line block ×3, first 2 shown]
	v_mov_b32_e32 v23, v15
	v_mul_hi_i32 v14, v2, s9
	v_lshrrev_b32_e32 v18, 29, v18
	v_lshrrev_b32_e32 v20, 29, v20
	;; [unrolled: 1-line block ×3, first 2 shown]
	v_ashrrev_i32_e32 v14, 31, v14
	v_mad_i64_i32 v[18:19], s[0:1], v3, s9, v[18:19]
	v_mad_i64_i32 v[20:21], s[0:1], v4, s9, v[20:21]
	;; [unrolled: 1-line block ×3, first 2 shown]
	s_add_u32 s0, s36, s8
	v_lshrrev_b32_e32 v14, 29, v14
	v_and_b32_e32 v18, -8, v18
	s_addc_u32 s1, s37, 0
	v_mad_i64_i32 v[2:3], s[8:9], v2, s9, v[14:15]
	v_and_b32_e32 v20, -8, v20
	v_and_b32_e32 v4, -8, v4
	v_lshl_add_u64 v[18:19], s[0:1], 0, v[18:19]
	v_lshlrev_b32_e32 v14, 4, v1
	v_and_b32_e32 v2, -8, v2
	v_lshl_add_u64 v[20:21], s[0:1], 0, v[20:21]
	v_lshl_add_u64 v[4:5], s[0:1], 0, v[4:5]
	v_lshl_add_u64 v[16:17], v[18:19], 0, v[14:15]
	v_lshl_add_u64 v[22:23], s[0:1], 0, v[2:3]
	v_lshl_add_u64 v[28:29], v[20:21], 0, v[14:15]
	v_lshl_add_u64 v[62:63], v[4:5], 0, v[14:15]
	global_load_dwordx4 v[18:21], v[16:17], off
	global_load_dwordx4 v[2:5], v[16:17], off offset:1024
	v_lshl_add_u64 v[22:23], v[22:23], 0, v[14:15]
	v_cmp_eq_u32_e32 vcc, 0, v43
	s_waitcnt vmcnt(10)
	v_cvt_pk_f32_fp8_e32 v[14:15], v10
	v_cvt_pk_f32_fp8_sdwa v[16:17], v10 src0_sel:WORD_1
	v_cvt_pk_f32_fp8_e32 v[30:31], v11
	v_cvt_pk_f32_fp8_sdwa v[10:11], v11 src0_sel:WORD_1
	;; [unrolled: 2-line block ×3, first 2 shown]
	v_cvt_pkrtz_f16_f32 v82, v14, v15
	v_cvt_pkrtz_f16_f32 v83, v16, v17
	v_cvt_pk_f32_fp8_e32 v[68:69], v13
	v_cvt_pk_f32_fp8_sdwa v[12:13], v13 src0_sel:WORD_1
	s_waitcnt vmcnt(8)
	v_mfma_f32_4x4x4_16b_f16 a[0:3], v[34:35], v[82:83], 0 cbsz:4
	v_cvt_pkrtz_f16_f32 v84, v30, v31
	v_cvt_pkrtz_f16_f32 v85, v10, v11
	v_cvt_pk_f32_fp8_e32 v[70:71], v6
	v_cvt_pk_f32_fp8_sdwa v[72:73], v6 src0_sel:WORD_1
	v_mfma_f32_4x4x4_16b_f16 a[0:3], v[36:37], v[84:85], a[0:3] cbsz:4
	v_cvt_pkrtz_f16_f32 v10, v64, v65
	v_cvt_pkrtz_f16_f32 v11, v66, v67
	v_cvt_pk_f32_fp8_e32 v[74:75], v7
	v_cvt_pk_f32_fp8_sdwa v[6:7], v7 src0_sel:WORD_1
	v_mfma_f32_4x4x4_16b_f16 a[0:3], v[34:35], v[10:11], a[0:3] cbsz:4 abid:1
	global_load_dwordx4 v[30:33], v[22:23], off
	global_load_dwordx4 v[14:17], v[22:23], off offset:1024
	v_cvt_pkrtz_f16_f32 v22, v68, v69
	v_cvt_pkrtz_f16_f32 v23, v12, v13
	v_cvt_pk_f32_fp8_e32 v[76:77], v8
	v_cvt_pk_f32_fp8_sdwa v[78:79], v8 src0_sel:WORD_1
	v_mfma_f32_4x4x4_16b_f16 a[0:3], v[36:37], v[22:23], a[0:3] cbsz:4 abid:1
	v_cvt_pkrtz_f16_f32 v12, v70, v71
	v_cvt_pkrtz_f16_f32 v13, v72, v73
	v_cvt_pk_f32_fp8_e32 v[80:81], v9
	v_cvt_pk_f32_fp8_sdwa v[8:9], v9 src0_sel:WORD_1
	v_mfma_f32_4x4x4_16b_f16 a[0:3], v[34:35], v[12:13], a[0:3] cbsz:4 abid:2
	v_cvt_pkrtz_f16_f32 v64, v74, v75
	v_cvt_pkrtz_f16_f32 v65, v6, v7
	s_waitcnt vmcnt(9)
	v_cvt_pk_f32_fp8_sdwa v[12:13], v24 src0_sel:WORD_1
	v_cvt_pkrtz_f16_f32 v6, v76, v77
	v_mfma_f32_4x4x4_16b_f16 a[0:3], v[36:37], v[64:65], a[0:3] cbsz:4 abid:2
	v_cvt_pkrtz_f16_f32 v7, v78, v79
	v_cvt_pkrtz_f16_f32 v10, v80, v81
	;; [unrolled: 1-line block ×3, first 2 shown]
	v_mfma_f32_4x4x4_16b_f16 a[0:3], v[34:35], v[6:7], a[0:3] cbsz:4 abid:3
	v_cvt_pk_f32_fp8_e32 v[6:7], v24
	v_cvt_pk_f32_fp8_sdwa v[64:65], v25 src0_sel:WORD_1
	v_mfma_f32_4x4x4_16b_f16 a[0:3], v[36:37], v[10:11], a[0:3] cbsz:4 abid:3
	v_cvt_pkrtz_f16_f32 v11, v12, v13
	v_cvt_pk_f32_fp8_e32 v[12:13], v25
	v_cvt_pkrtz_f16_f32 v10, v6, v7
	global_load_dwordx4 v[22:25], v[28:29], off
	global_load_dwordx4 v[6:9], v[28:29], off offset:1024
	v_mfma_f32_4x4x4_16b_f16 a[0:3], v[34:35], v[10:11], a[0:3] cbsz:4 abid:4
	v_cvt_pkrtz_f16_f32 v12, v12, v13
	v_cvt_pkrtz_f16_f32 v13, v64, v65
	v_cvt_pk_f32_fp8_e32 v[10:11], v26
	v_cvt_pk_f32_fp8_e32 v[28:29], v27
	v_mfma_f32_4x4x4_16b_f16 a[0:3], v[36:37], v[12:13], a[0:3] cbsz:4 abid:4
	v_cvt_pk_f32_fp8_sdwa v[12:13], v26 src0_sel:WORD_1
	v_cvt_pk_f32_fp8_sdwa v[26:27], v27 src0_sel:WORD_1
	v_cvt_pkrtz_f16_f32 v10, v10, v11
	s_waitcnt vmcnt(10)
	v_cvt_pk_f32_fp8_sdwa v[64:65], v48 src0_sel:WORD_1
	v_cvt_pkrtz_f16_f32 v11, v12, v13
	v_cvt_pkrtz_f16_f32 v12, v28, v29
	v_cvt_pkrtz_f16_f32 v13, v26, v27
	v_mfma_f32_4x4x4_16b_f16 a[0:3], v[34:35], v[10:11], a[0:3] cbsz:4 abid:5
	v_cvt_pk_f32_fp8_e32 v[10:11], v46
	v_cvt_pk_f32_fp8_e32 v[26:27], v47
	v_mfma_f32_4x4x4_16b_f16 a[0:3], v[36:37], v[12:13], a[0:3] cbsz:4 abid:5
	v_cvt_pk_f32_fp8_sdwa v[12:13], v46 src0_sel:WORD_1
	v_cvt_pk_f32_fp8_sdwa v[28:29], v47 src0_sel:WORD_1
	v_cvt_pkrtz_f16_f32 v10, v10, v11
	v_cvt_pk_f32_fp8_e32 v[46:47], v48
	v_cvt_pkrtz_f16_f32 v11, v12, v13
	v_cvt_pk_f32_fp8_e32 v[66:67], v49
	v_cvt_pk_f32_fp8_sdwa v[48:49], v49 src0_sel:WORD_1
	v_mfma_f32_4x4x4_16b_f16 a[0:3], v[34:35], v[10:11], a[0:3] cbsz:4 abid:6
	v_cvt_pkrtz_f16_f32 v12, v26, v27
	v_cvt_pkrtz_f16_f32 v13, v28, v29
	;; [unrolled: 1-line block ×4, first 2 shown]
	v_mfma_f32_4x4x4_16b_f16 a[0:3], v[36:37], v[12:13], a[0:3] cbsz:4 abid:6
	global_load_dwordx4 v[26:29], v[62:63], off
	global_load_dwordx4 v[10:13], v[62:63], off offset:1024
	v_cvt_pkrtz_f16_f32 v63, v48, v49
	v_mfma_f32_4x4x4_16b_f16 a[0:3], v[34:35], v[46:47], a[0:3] cbsz:4 abid:7
	s_waitcnt vmcnt(11)
	v_cvt_pk_f32_fp8_e32 v[46:47], v50
	v_cvt_pk_f32_fp8_sdwa v[48:49], v50 src0_sel:WORD_1
	v_cvt_pkrtz_f16_f32 v62, v66, v67
	s_load_dword s0, s[12:13], 0x0
	v_cvt_pkrtz_f16_f32 v46, v46, v47
	v_mfma_f32_4x4x4_16b_f16 a[0:3], v[36:37], v[62:63], a[0:3] cbsz:4 abid:7
	v_cvt_pk_f32_fp8_e32 v[62:63], v51
	v_cvt_pk_f32_fp8_sdwa v[50:51], v51 src0_sel:WORD_1
	v_cvt_pkrtz_f16_f32 v47, v48, v49
	v_cvt_pkrtz_f16_f32 v48, v62, v63
	s_nop 0
	v_mfma_f32_4x4x4_16b_f16 a[0:3], v[34:35], v[46:47], a[0:3] cbsz:4 abid:8
	v_cvt_pkrtz_f16_f32 v49, v50, v51
	v_cvt_pk_f32_fp8_e32 v[46:47], v52
	v_cvt_pk_f32_fp8_e32 v[50:51], v53
	v_mfma_f32_4x4x4_16b_f16 a[0:3], v[36:37], v[48:49], a[0:3] cbsz:4 abid:8
	v_cvt_pk_f32_fp8_sdwa v[48:49], v52 src0_sel:WORD_1
	v_cvt_pk_f32_fp8_sdwa v[52:53], v53 src0_sel:WORD_1
	v_cvt_pkrtz_f16_f32 v46, v46, v47
	v_cvt_pkrtz_f16_f32 v47, v48, v49
	;; [unrolled: 1-line block ×3, first 2 shown]
	s_nop 0
	v_mfma_f32_4x4x4_16b_f16 a[0:3], v[34:35], v[46:47], a[0:3] cbsz:4 abid:9
	v_cvt_pkrtz_f16_f32 v49, v52, v53
	s_waitcnt vmcnt(10)
	v_cvt_pk_f32_fp8_e32 v[46:47], v54
	v_cvt_pk_f32_fp8_e32 v[50:51], v55
	v_mfma_f32_4x4x4_16b_f16 a[0:3], v[36:37], v[48:49], a[0:3] cbsz:4 abid:9
	v_cvt_pk_f32_fp8_sdwa v[48:49], v54 src0_sel:WORD_1
	v_cvt_pk_f32_fp8_sdwa v[52:53], v55 src0_sel:WORD_1
	v_cvt_pkrtz_f16_f32 v46, v46, v47
	v_cvt_pkrtz_f16_f32 v47, v48, v49
	;; [unrolled: 1-line block ×3, first 2 shown]
	s_nop 0
	v_mfma_f32_4x4x4_16b_f16 a[0:3], v[34:35], v[46:47], a[0:3] cbsz:4 abid:10
	v_cvt_pkrtz_f16_f32 v49, v52, v53
	v_cvt_pk_f32_fp8_e32 v[46:47], v56
	v_cvt_pk_f32_fp8_e32 v[50:51], v57
	v_mfma_f32_4x4x4_16b_f16 a[0:3], v[36:37], v[48:49], a[0:3] cbsz:4 abid:10
	v_cvt_pk_f32_fp8_sdwa v[48:49], v56 src0_sel:WORD_1
	v_cvt_pk_f32_fp8_sdwa v[52:53], v57 src0_sel:WORD_1
	v_cvt_pkrtz_f16_f32 v46, v46, v47
	v_cvt_pkrtz_f16_f32 v47, v48, v49
	;; [unrolled: 1-line block ×3, first 2 shown]
	s_nop 0
	v_mfma_f32_4x4x4_16b_f16 a[0:3], v[34:35], v[46:47], a[0:3] cbsz:4 abid:11
	v_cvt_pkrtz_f16_f32 v49, v52, v53
	s_waitcnt vmcnt(9)
	v_cvt_pk_f32_fp8_e32 v[46:47], v58
	v_cvt_pk_f32_fp8_e32 v[50:51], v59
	v_mfma_f32_4x4x4_16b_f16 a[0:3], v[36:37], v[48:49], a[0:3] cbsz:4 abid:11
	v_cvt_pk_f32_fp8_sdwa v[48:49], v58 src0_sel:WORD_1
	v_cvt_pk_f32_fp8_sdwa v[52:53], v59 src0_sel:WORD_1
	v_cvt_pkrtz_f16_f32 v46, v46, v47
	v_cvt_pkrtz_f16_f32 v47, v48, v49
	;; [unrolled: 1-line block ×3, first 2 shown]
	s_nop 0
	v_mfma_f32_4x4x4_16b_f16 a[0:3], v[34:35], v[46:47], a[0:3] cbsz:4 abid:12
	v_cvt_pkrtz_f16_f32 v49, v52, v53
	v_cvt_pk_f32_fp8_e32 v[46:47], v60
	v_cvt_pk_f32_fp8_e32 v[50:51], v61
	v_mfma_f32_4x4x4_16b_f16 a[0:3], v[36:37], v[48:49], a[0:3] cbsz:4 abid:12
	v_cvt_pk_f32_fp8_sdwa v[48:49], v60 src0_sel:WORD_1
	v_cvt_pk_f32_fp8_sdwa v[52:53], v61 src0_sel:WORD_1
	v_cvt_pkrtz_f16_f32 v46, v46, v47
	v_cvt_pkrtz_f16_f32 v47, v48, v49
	v_cvt_pkrtz_f16_f32 v48, v50, v51
	s_nop 0
	v_mfma_f32_4x4x4_16b_f16 a[0:3], v[34:35], v[46:47], a[0:3] cbsz:4 abid:13
	s_waitcnt vmcnt(8)
	v_cvt_pk_f32_fp8_e32 v[46:47], v38
	v_cvt_pkrtz_f16_f32 v49, v52, v53
	v_cvt_pk_f32_fp8_e32 v[50:51], v39
	s_nop 0
	v_mfma_f32_4x4x4_16b_f16 a[0:3], v[36:37], v[48:49], a[0:3] cbsz:4 abid:13
	v_cvt_pk_f32_fp8_sdwa v[48:49], v38 src0_sel:WORD_1
	v_cvt_pkrtz_f16_f32 v38, v46, v47
	v_cvt_pk_f32_fp8_sdwa v[46:47], v39 src0_sel:WORD_1
	v_cvt_pkrtz_f16_f32 v39, v48, v49
	v_cvt_pkrtz_f16_f32 v48, v50, v51
	s_nop 0
	v_mfma_f32_4x4x4_16b_f16 a[0:3], v[34:35], v[38:39], a[0:3] cbsz:4 abid:14
	v_cvt_pkrtz_f16_f32 v49, v46, v47
	v_cvt_pk_f32_fp8_e32 v[38:39], v40
	v_cvt_pk_f32_fp8_sdwa v[46:47], v40 src0_sel:WORD_1
	v_mfma_f32_4x4x4_16b_f16 a[0:3], v[36:37], v[48:49], a[0:3] cbsz:4 abid:14
	v_cvt_pk_f32_fp8_e32 v[48:49], v41
	v_cvt_pk_f32_fp8_sdwa v[40:41], v41 src0_sel:WORD_1
	v_cvt_pkrtz_f16_f32 v38, v38, v39
	v_cvt_pkrtz_f16_f32 v39, v46, v47
	;; [unrolled: 1-line block ×4, first 2 shown]
	v_mfma_f32_4x4x4_16b_f16 a[0:3], v[34:35], v[38:39], a[0:3] cbsz:4 abid:15
	s_waitcnt lgkmcnt(0)
	v_mov_b32_e32 v34, s11
	v_mfma_f32_4x4x4_16b_f16 a[0:3], v[36:37], v[46:47], a[0:3] cbsz:4 abid:15
	v_mul_f32_e32 v36, s0, v34
	s_nop 3
	v_accvgpr_read_b32 v39, a1
	v_accvgpr_read_b32 v38, a0
	v_pk_mul_f32 v[38:39], v[38:39], v[36:37] op_sel_hi:[1,0]
	v_accvgpr_read_b32 v35, a3
	v_accvgpr_read_b32 v34, a2
	v_pk_mul_f32 v[34:35], v[34:35], v[36:37] op_sel_hi:[1,0]
	v_cndmask_b32_e64 v36, 0, 1.0, vcc
	v_cmp_eq_u32_e32 vcc, 1, v43
	s_nop 0
	v_mfma_f32_4x4x1_16b_f32 a[0:3], v38, v36, 0
	v_cndmask_b32_e64 v36, 0, 1.0, vcc
	v_cmp_eq_u32_e32 vcc, 2, v43
	v_mov_b32_e32 v38, 0xff7fffff
	v_mfma_f32_4x4x1_16b_f32 a[0:3], v39, v36, a[0:3]
	v_cndmask_b32_e64 v36, 0, 1.0, vcc
	v_cmp_eq_u32_e32 vcc, 3, v43
	s_nop 0
	v_mfma_f32_4x4x1_16b_f32 a[0:3], v34, v36, a[0:3]
	v_cndmask_b32_e64 v34, 0, 1.0, vcc
	s_nop 1
	v_mfma_f32_4x4x1_16b_f32 a[0:3], v35, v34, a[0:3]
	v_and_b32_e32 v34, -4, v44
	v_cmp_gt_i32_e32 vcc, s3, v34
	v_lshlrev_b32_e32 v35, 2, v0
	v_and_or_b32 v35, v35, 48, v43
	v_accvgpr_read_b32 v36, a0
	v_max_f32_e32 v37, v36, v36
	v_max_f32_e32 v37, 0xff7fffff, v37
	v_accvgpr_read_b32 v40, a1
	v_cndmask_b32_e32 v37, v38, v37, vcc
	v_or_b32_e32 v38, 1, v34
	v_max_f32_e32 v39, v40, v40
	v_max_f32_e32 v39, v37, v39
	v_cmp_gt_i32_e64 s[0:1], s3, v38
	v_accvgpr_read_b32 v38, a2
	v_or_b32_e32 v34, 2, v34
	v_cndmask_b32_e64 v37, v37, v39, s[0:1]
	v_max_f32_e32 v39, v38, v38
	v_max_f32_e32 v39, v37, v39
	v_cmp_gt_i32_e64 s[8:9], s3, v34
	v_accvgpr_read_b32 v41, a3
	s_nop 0
	v_cndmask_b32_e64 v34, v37, v39, s[8:9]
	v_or_b32_e32 v37, 3, v44
	v_max_f32_e32 v39, v41, v41
	v_max_f32_e32 v39, v34, v39
	v_cmp_gt_i32_e64 s[10:11], s3, v37
	v_lshlrev_b32_e32 v44, 2, v35
	s_nop 0
	v_cndmask_b32_e64 v34, v34, v39, s[10:11]
	;;#ASMSTART
	v_nop
 v_nop
 v_max_f32_dpp v34, v34, v34 row_ror:4
	;;#ASMEND
	s_nop 0
	;;#ASMSTART
	v_nop
 v_nop
 v_max_f32_dpp v34, v34, v34 row_ror:8
	;;#ASMEND
	ds_bpermute_b32 v34, v44, v34
	s_waitcnt lgkmcnt(0)
	;;#ASMSTART
	v_nop
 v_nop
 v_max_f32_dpp v34, v34, v34 row_ror:4
	;;#ASMEND
	s_nop 0
	;;#ASMSTART
	v_nop
 v_nop
 v_max_f32_dpp v39, v34, v34 row_ror:8
	;;#ASMEND
	s_nop 0
	v_sub_f32_e32 v34, v36, v39
	v_mul_f32_e32 v34, 0x3fb8aa3b, v34
	v_sub_f32_e32 v35, v40, v39
	v_exp_f32_e32 v34, v34
	v_mul_f32_e32 v35, 0x3fb8aa3b, v35
	v_sub_f32_e32 v37, v38, v39
	v_exp_f32_e32 v35, v35
	;; [unrolled: 3-line block ×3, first 2 shown]
	v_mul_f32_e32 v38, 0x3fb8aa3b, v38
	v_exp_f32_e32 v38, v38
	v_cndmask_b32_e32 v34, 0, v34, vcc
	v_add_f32_e32 v36, 0, v34
	v_cndmask_b32_e64 v35, 0, v35, s[0:1]
	v_add_f32_e32 v40, v36, v35
	v_cndmask_b32_e64 v36, 0, v37, s[8:9]
	;; [unrolled: 2-line block ×3, first 2 shown]
	v_add_f32_e32 v38, v40, v37
	;;#ASMSTART
	v_nop
 v_nop
 v_add_f32_dpp v38, v38, v38 row_ror:4
	;;#ASMEND
	v_cmp_gt_u32_e32 vcc, 4, v1
	;;#ASMSTART
	v_nop
 v_nop
 v_add_f32_dpp v38, v38, v38 row_ror:8
	;;#ASMEND
	ds_bpermute_b32 v38, v44, v38
	s_waitcnt lgkmcnt(0)
	;;#ASMSTART
	v_nop
 v_nop
 v_add_f32_dpp v38, v38, v38 row_ror:4
	;;#ASMEND
	s_nop 0
	;;#ASMSTART
	v_nop
 v_nop
 v_add_f32_dpp v38, v38, v38 row_ror:8
	;;#ASMEND
	s_and_saveexec_b64 s[0:1], vcc
	s_cbranch_execz .LBB951_12
; %bb.11:
	v_mul_u32_u24_e32 v40, 20, v42
	v_lshl_add_u32 v40, v43, 2, v40
	v_add_u32_e32 v40, 0x1400, v40
	ds_write2_b32 v40, v39, v38 offset1:20
.LBB951_12:
	s_or_b64 exec, exec, s[0:1]
.LBB951_13:
	s_or_b64 exec, exec, s[30:31]
	v_lshlrev_b32_e32 v38, 2, v43
	v_add_u32_e32 v38, 0x1400, v38
	s_waitcnt lgkmcnt(0)
	s_barrier
	s_load_dword s0, s[28:29], 0x8
	ds_read2_b32 v[44:45], v38 offset1:5
	ds_read2_b32 v[46:47], v38 offset0:10 offset1:15
	s_mov_b32 s10, 0xff7fffff
	s_mul_i32 s1, s2, s5
	ds_read2_b32 v[48:49], v38 offset0:20 offset1:25
	s_waitcnt lgkmcnt(0)
	v_max3_f32 v40, v44, s10, v45
	v_max3_f32 v40, v40, v46, v47
	s_mul_i32 s1, s1, s0
	v_sub_f32_e32 v41, v44, v40
	v_sub_f32_e32 v44, v45, v40
	s_lshl_b32 s0, s1, 2
	s_mov_b32 s1, 0
	v_mul_f32_e32 v41, 0x3fb8aa3b, v41
	v_mul_f32_e32 v44, 0x3fb8aa3b, v44
	s_lshl_b32 s8, s4, 2
	s_lshl_b64 s[2:3], s[0:1], 2
	v_exp_f32_e32 v41, v41
	v_exp_f32_e32 v50, v44
	ds_read2_b32 v[44:45], v38 offset0:30 offset1:35
	v_sub_f32_e32 v38, v46, v40
	s_add_u32 s4, s16, s2
	v_mul_f32_e32 v38, 0x3fb8aa3b, v38
	v_sub_f32_e32 v46, v47, v40
	s_addc_u32 s9, s17, s3
	v_exp_f32_e32 v38, v38
	v_mul_f32_e32 v46, 0x3fb8aa3b, v46
	s_mov_b32 s25, s1
	s_add_u32 s10, s18, s2
	v_exp_f32_e32 v46, v46
	s_addc_u32 s11, s19, s3
	s_lshl_b64 s[2:3], s[24:25], 2
	v_fma_f32 v41, v41, v48, 0
	s_add_u32 s10, s10, s2
	v_fmac_f32_e32 v41, v50, v49
	s_addc_u32 s11, s11, s3
	s_waitcnt lgkmcnt(0)
	v_fmac_f32_e32 v41, v38, v44
	v_or_b32_e32 v38, s8, v43
	v_fmac_f32_e32 v41, v46, v45
	s_add_u32 s2, s4, s2
	v_mul_lo_u32 v44, s5, v38
	v_mov_b32_e32 v45, 0
	s_addc_u32 s3, s9, s3
	v_lshlrev_b64 v[44:45], 2, v[44:45]
	v_lshl_add_u64 v[46:47], s[10:11], 0, v[44:45]
	v_lshl_add_u64 v[44:45], s[2:3], 0, v[44:45]
	v_lshlrev_b32_e32 v38, 3, v42
	global_store_dword v[46:47], v40, off
	global_store_dword v[44:45], v41, off
	s_and_saveexec_b64 s[2:3], s[6:7]
	s_xor_b64 s[2:3], exec, s[2:3]
	s_cbranch_execz .LBB951_15
; %bb.14:
	s_mov_b32 s6, s1
	s_mov_b32 s7, s1
	s_waitcnt vmcnt(8)
	v_mad_u32_u24 v4, v1, 40, v38
	v_mov_b64_e32 v[2:3], s[6:7]
	ds_write2st64_b64 v4, v[2:3], v[2:3] offset1:5
                                        ; implicit-def: $vgpr37
                                        ; implicit-def: $vgpr35
                                        ; implicit-def: $vgpr39
                                        ; implicit-def: $vgpr30_vgpr31
                                        ; implicit-def: $vgpr18_vgpr19
                                        ; implicit-def: $vgpr22_vgpr23
                                        ; implicit-def: $vgpr26_vgpr27
                                        ; implicit-def: $vgpr14_vgpr15
                                        ; implicit-def: $vgpr2_vgpr3
                                        ; implicit-def: $vgpr6_vgpr7
                                        ; implicit-def: $vgpr10_vgpr11
                                        ; implicit-def: $vgpr40
                                        ; implicit-def: $vgpr41
                                        ; implicit-def: $vgpr38
.LBB951_15:
	s_andn2_saveexec_b64 s[2:3], s[2:3]
	s_cbranch_execz .LBB951_17
; %bb.16:
	v_add_f32_e32 v41, 0x358637bd, v41
	v_div_scale_f32 v42, s[6:7], v41, v41, 1.0
	v_rcp_f32_e32 v43, v42
	v_sub_f32_e32 v39, v39, v40
	v_mul_f32_e32 v39, 0x3fb8aa3b, v39
	v_exp_f32_e32 v39, v39
	v_fma_f32 v40, -v42, v43, 1.0
	v_fmac_f32_e32 v43, v40, v43
	v_div_scale_f32 v40, vcc, 1.0, v41, 1.0
	v_mul_f32_e32 v44, v40, v43
	v_fma_f32 v45, -v42, v44, v40
	v_fmac_f32_e32 v44, v45, v43
	v_fma_f32 v40, -v42, v44, v40
	v_div_fmas_f32 v40, v40, v43, v44
	v_div_fixup_f32 v40, v40, v41, 1.0
	v_mul_f32_e32 v40, v39, v40
	v_pk_mul_f32 v[36:37], v[36:37], v[40:41] op_sel_hi:[1,0]
	v_pk_mul_f32 v[34:35], v[34:35], v[40:41] op_sel_hi:[1,0]
	v_cvt_f16_f32_e32 v36, v36
	v_cvt_f16_f32_e32 v34, v34
	;; [unrolled: 1-line block ×4, first 2 shown]
	s_waitcnt vmcnt(7)
	v_cvt_pk_f32_fp8_sdwa v[40:41], v30 src0_sel:WORD_1
	v_cvt_pk_f32_fp8_e32 v[42:43], v31
	v_pack_b32_f16 v34, v34, v35
	v_pack_b32_f16 v35, v36, v37
	v_cvt_pk_f32_fp8_e32 v[36:37], v30
	v_cvt_pk_f32_fp8_sdwa v[30:31], v31 src0_sel:WORD_1
	s_load_dword s4, s[14:15], 0x0
	v_cvt_pkrtz_f16_f32 v36, v36, v37
	v_cvt_pkrtz_f16_f32 v37, v40, v41
	;; [unrolled: 1-line block ×4, first 2 shown]
	v_mfma_f32_4x4x4_16b_f16 a[0:3], v[34:35], v[36:37], 0 cbsz:4
	v_cvt_pk_f32_fp8_e32 v[30:31], v32
	v_cvt_pk_f32_fp8_sdwa v[36:37], v32 src0_sel:WORD_1
	v_mfma_f32_4x4x4_16b_f16 a[0:3], v[34:35], v[40:41], a[0:3] cbsz:4 abid:1
	v_cvt_pk_f32_fp8_e32 v[40:41], v33
	v_cvt_pk_f32_fp8_sdwa v[32:33], v33 src0_sel:WORD_1
	v_cvt_pkrtz_f16_f32 v30, v30, v31
	v_cvt_pkrtz_f16_f32 v31, v36, v37
	v_cvt_pkrtz_f16_f32 v36, v40, v41
	v_cvt_pkrtz_f16_f32 v37, v32, v33
	v_mfma_f32_4x4x4_16b_f16 a[0:3], v[34:35], v[30:31], a[0:3] cbsz:4 abid:2
	v_cvt_pk_f32_fp8_e32 v[30:31], v18
	v_cvt_pk_f32_fp8_sdwa v[32:33], v18 src0_sel:WORD_1
	v_mfma_f32_4x4x4_16b_f16 a[0:3], v[34:35], v[36:37], a[0:3] cbsz:4 abid:3
	v_cvt_pk_f32_fp8_e32 v[36:37], v19
	v_cvt_pk_f32_fp8_sdwa v[18:19], v19 src0_sel:WORD_1
	v_cvt_pkrtz_f16_f32 v30, v30, v31
	v_cvt_pkrtz_f16_f32 v31, v32, v33
	v_cvt_pkrtz_f16_f32 v32, v36, v37
	v_cvt_pkrtz_f16_f32 v33, v18, v19
	v_mfma_f32_4x4x4_16b_f16 a[0:3], v[34:35], v[30:31], a[0:3] cbsz:4 abid:4
	;; [unrolled: 10-line block ×3, first 2 shown]
	s_waitcnt vmcnt(5)
	v_cvt_pk_f32_fp8_e32 v[18:19], v22
	v_cvt_pk_f32_fp8_sdwa v[20:21], v22 src0_sel:WORD_1
	v_mfma_f32_4x4x4_16b_f16 a[0:3], v[34:35], v[30:31], a[0:3] cbsz:4 abid:7
	v_cvt_pk_f32_fp8_e32 v[30:31], v23
	v_cvt_pk_f32_fp8_sdwa v[22:23], v23 src0_sel:WORD_1
	v_cvt_pkrtz_f16_f32 v18, v18, v19
	v_cvt_pkrtz_f16_f32 v19, v20, v21
	;; [unrolled: 1-line block ×4, first 2 shown]
	v_mfma_f32_4x4x4_16b_f16 a[0:3], v[34:35], v[18:19], a[0:3] cbsz:4 abid:8
	v_cvt_pk_f32_fp8_e32 v[18:19], v24
	v_cvt_pk_f32_fp8_e32 v[22:23], v25
	v_mfma_f32_4x4x4_16b_f16 a[0:3], v[34:35], v[20:21], a[0:3] cbsz:4 abid:9
	v_cvt_pk_f32_fp8_sdwa v[20:21], v24 src0_sel:WORD_1
	v_cvt_pk_f32_fp8_sdwa v[24:25], v25 src0_sel:WORD_1
	v_cvt_pkrtz_f16_f32 v18, v18, v19
	v_cvt_pkrtz_f16_f32 v19, v20, v21
	;; [unrolled: 1-line block ×3, first 2 shown]
	s_nop 0
	v_mfma_f32_4x4x4_16b_f16 a[0:3], v[34:35], v[18:19], a[0:3] cbsz:4 abid:10
	v_cvt_pkrtz_f16_f32 v21, v24, v25
	s_waitcnt vmcnt(3)
	v_cvt_pk_f32_fp8_e32 v[18:19], v26
	v_cvt_pk_f32_fp8_e32 v[22:23], v27
	v_mfma_f32_4x4x4_16b_f16 a[0:3], v[34:35], v[20:21], a[0:3] cbsz:4 abid:11
	v_cvt_pk_f32_fp8_sdwa v[20:21], v26 src0_sel:WORD_1
	v_cvt_pk_f32_fp8_sdwa v[24:25], v27 src0_sel:WORD_1
	v_cvt_pkrtz_f16_f32 v18, v18, v19
	v_cvt_pkrtz_f16_f32 v19, v20, v21
	;; [unrolled: 1-line block ×3, first 2 shown]
	s_nop 0
	v_mfma_f32_4x4x4_16b_f16 a[0:3], v[34:35], v[18:19], a[0:3] cbsz:4 abid:12
	v_cvt_pkrtz_f16_f32 v21, v24, v25
	v_cvt_pk_f32_fp8_e32 v[18:19], v28
	v_cvt_pk_f32_fp8_e32 v[22:23], v29
	v_mfma_f32_4x4x4_16b_f16 a[0:3], v[34:35], v[20:21], a[0:3] cbsz:4 abid:13
	v_cvt_pk_f32_fp8_sdwa v[20:21], v28 src0_sel:WORD_1
	v_cvt_pk_f32_fp8_sdwa v[24:25], v29 src0_sel:WORD_1
	v_cvt_pkrtz_f16_f32 v18, v18, v19
	v_cvt_pkrtz_f16_f32 v19, v20, v21
	;; [unrolled: 1-line block ×3, first 2 shown]
	s_nop 0
	v_mfma_f32_4x4x4_16b_f16 a[0:3], v[34:35], v[18:19], a[0:3] cbsz:4 abid:14
	v_cvt_pkrtz_f16_f32 v21, v24, v25
	v_cvt_pk_f32_fp8_sdwa v[22:23], v14 src0_sel:WORD_1
	v_cvt_pk_f32_fp8_e32 v[24:25], v15
	v_mfma_f32_4x4x4_16b_f16 a[0:3], v[34:35], v[20:21], a[0:3] cbsz:4 abid:15
	s_nop 4
	v_accvgpr_read_b32 v19, a1
	v_accvgpr_read_b32 v18, a0
	s_waitcnt lgkmcnt(0)
	v_pk_mul_f32 v[18:19], v[18:19], s[4:5] op_sel_hi:[1,0]
	s_nop 0
	v_cvt_f16_f32_e32 v20, v18
	v_cvt_f16_f32_e32 v21, v19
	v_accvgpr_read_b32 v19, a3
	v_accvgpr_read_b32 v18, a2
	v_pk_mul_f32 v[18:19], v[18:19], s[4:5] op_sel_hi:[1,0]
	v_pack_b32_f16 v20, v20, v21
	v_cvt_f16_f32_e32 v21, v18
	v_cvt_f16_f32_e32 v26, v19
	v_cvt_pk_f32_fp8_e32 v[18:19], v14
	v_cvt_pk_f32_fp8_sdwa v[14:15], v15 src0_sel:WORD_1
	v_pack_b32_f16 v21, v21, v26
	v_cvt_pkrtz_f16_f32 v18, v18, v19
	v_cvt_pkrtz_f16_f32 v19, v22, v23
	;; [unrolled: 1-line block ×4, first 2 shown]
	v_mfma_f32_4x4x4_16b_f16 a[0:3], v[34:35], v[18:19], 0 cbsz:4
	v_cvt_pk_f32_fp8_e32 v[14:15], v16
	v_cvt_pk_f32_fp8_sdwa v[18:19], v16 src0_sel:WORD_1
	v_mfma_f32_4x4x4_16b_f16 a[0:3], v[34:35], v[22:23], a[0:3] cbsz:4 abid:1
	v_cvt_pk_f32_fp8_e32 v[22:23], v17
	v_cvt_pk_f32_fp8_sdwa v[16:17], v17 src0_sel:WORD_1
	v_cvt_pkrtz_f16_f32 v14, v14, v15
	v_cvt_pkrtz_f16_f32 v15, v18, v19
	v_cvt_pkrtz_f16_f32 v18, v22, v23
	v_cvt_pkrtz_f16_f32 v19, v16, v17
	v_mfma_f32_4x4x4_16b_f16 a[0:3], v[34:35], v[14:15], a[0:3] cbsz:4 abid:2
	v_cvt_pk_f32_fp8_e32 v[14:15], v2
	v_cvt_pk_f32_fp8_sdwa v[16:17], v2 src0_sel:WORD_1
	v_mfma_f32_4x4x4_16b_f16 a[0:3], v[34:35], v[18:19], a[0:3] cbsz:4 abid:3
	v_cvt_pk_f32_fp8_e32 v[18:19], v3
	v_cvt_pk_f32_fp8_sdwa v[2:3], v3 src0_sel:WORD_1
	v_cvt_pkrtz_f16_f32 v14, v14, v15
	v_cvt_pkrtz_f16_f32 v15, v16, v17
	v_cvt_pkrtz_f16_f32 v16, v18, v19
	v_cvt_pkrtz_f16_f32 v17, v2, v3
	v_mfma_f32_4x4x4_16b_f16 a[0:3], v[34:35], v[14:15], a[0:3] cbsz:4 abid:4
	;; [unrolled: 10-line block ×4, first 2 shown]
	v_cvt_pk_f32_fp8_e32 v[2:3], v8
	v_cvt_pk_f32_fp8_e32 v[6:7], v9
	v_mfma_f32_4x4x4_16b_f16 a[0:3], v[34:35], v[4:5], a[0:3] cbsz:4 abid:9
	v_cvt_pk_f32_fp8_sdwa v[4:5], v8 src0_sel:WORD_1
	v_cvt_pk_f32_fp8_sdwa v[8:9], v9 src0_sel:WORD_1
	v_cvt_pkrtz_f16_f32 v2, v2, v3
	v_cvt_pkrtz_f16_f32 v3, v4, v5
	;; [unrolled: 1-line block ×3, first 2 shown]
	s_nop 0
	v_mfma_f32_4x4x4_16b_f16 a[0:3], v[34:35], v[2:3], a[0:3] cbsz:4 abid:10
	v_cvt_pkrtz_f16_f32 v5, v8, v9
	s_waitcnt vmcnt(2)
	v_cvt_pk_f32_fp8_e32 v[2:3], v10
	v_cvt_pk_f32_fp8_e32 v[6:7], v11
	v_mfma_f32_4x4x4_16b_f16 a[0:3], v[34:35], v[4:5], a[0:3] cbsz:4 abid:11
	v_cvt_pk_f32_fp8_sdwa v[4:5], v10 src0_sel:WORD_1
	v_cvt_pk_f32_fp8_sdwa v[8:9], v11 src0_sel:WORD_1
	v_cvt_pkrtz_f16_f32 v2, v2, v3
	v_cvt_pkrtz_f16_f32 v3, v4, v5
	;; [unrolled: 1-line block ×3, first 2 shown]
	s_nop 0
	v_mfma_f32_4x4x4_16b_f16 a[0:3], v[34:35], v[2:3], a[0:3] cbsz:4 abid:12
	v_cvt_pkrtz_f16_f32 v5, v8, v9
	v_cvt_pk_f32_fp8_e32 v[2:3], v12
	v_cvt_pk_f32_fp8_e32 v[6:7], v13
	v_mfma_f32_4x4x4_16b_f16 a[0:3], v[34:35], v[4:5], a[0:3] cbsz:4 abid:13
	v_cvt_pk_f32_fp8_sdwa v[4:5], v12 src0_sel:WORD_1
	v_cvt_pk_f32_fp8_sdwa v[8:9], v13 src0_sel:WORD_1
	v_cvt_pkrtz_f16_f32 v2, v2, v3
	v_cvt_pkrtz_f16_f32 v3, v4, v5
	;; [unrolled: 1-line block ×3, first 2 shown]
	s_nop 0
	v_mfma_f32_4x4x4_16b_f16 a[0:3], v[34:35], v[2:3], a[0:3] cbsz:4 abid:14
	v_cvt_pkrtz_f16_f32 v5, v8, v9
	v_mad_u32_u24 v7, v1, 40, v38
	s_nop 0
	v_mfma_f32_4x4x4_16b_f16 a[0:3], v[34:35], v[4:5], a[0:3] cbsz:4 abid:15
	s_nop 4
	v_accvgpr_read_b32 v5, a1
	v_accvgpr_read_b32 v3, a3
	;; [unrolled: 1-line block ×4, first 2 shown]
	v_pk_mul_f32 v[2:3], v[2:3], s[4:5] op_sel_hi:[1,0]
	v_pk_mul_f32 v[4:5], v[4:5], s[4:5] op_sel_hi:[1,0]
	v_cvt_f16_f32_e32 v6, v2
	v_cvt_f16_f32_e32 v4, v4
	;; [unrolled: 1-line block ×4, first 2 shown]
	v_pack_b32_f16 v2, v4, v5
	v_pack_b32_f16 v3, v6, v3
	ds_write2st64_b64 v7, v[20:21], v[2:3] offset1:5
.LBB951_17:
	s_or_b64 exec, exec, s[2:3]
	v_cmp_gt_u32_e32 vcc, 64, v0
	s_waitcnt lgkmcnt(0)
	s_barrier
	s_and_saveexec_b64 s[2:3], vcc
	s_cbranch_execz .LBB951_19
; %bb.18:
	s_waitcnt vmcnt(4)
	v_mul_u32_u24_e32 v6, 40, v1
	ds_read2_b64 v[2:5], v6 offset1:1
	ds_read2_b64 v[6:9], v6 offset0:2 offset1:3
	s_lshl_b32 s0, s0, 7
	s_lshl_b64 s[2:3], s[0:1], 1
	s_add_u32 s2, s26, s2
	s_waitcnt lgkmcnt(1)
	v_pk_add_f16 v2, v2, 0
	v_pk_add_f16 v3, v3, 0
	;; [unrolled: 1-line block ×4, first 2 shown]
	s_waitcnt lgkmcnt(0)
	v_pk_add_f16 v2, v2, v6
	v_pk_add_f16 v6, v3, v7
	s_waitcnt vmcnt(2)
	v_pk_add_f16 v10, v2, v8
	v_mov_b32_e32 v2, 0xa00
	v_mad_u32_u24 v2, v1, 40, v2
	ds_read2_b64 v[2:5], v2 offset1:1
	v_pk_add_f16 v11, v6, v9
	v_mov_b32_e32 v6, 0xa10
	v_mad_u32_u24 v1, v1, 40, v6
	ds_read2_b64 v[6:9], v1 offset1:1
	s_addc_u32 s3, s27, s3
	s_lshl_b32 s0, s24, 7
	s_lshl_b64 s[0:1], s[0:1], 1
	s_waitcnt lgkmcnt(1)
	v_pk_add_f16 v1, v2, 0
	v_pk_add_f16 v2, v3, 0
	s_add_u32 s0, s2, s0
	v_pk_add_f16 v2, v2, v5
	s_addc_u32 s1, s3, s1
	s_lshl_b32 s2, s5, 7
	s_waitcnt lgkmcnt(0)
	v_pk_add_f16 v2, v2, v7
	s_mul_i32 s3, s2, s8
	v_pk_add_f16 v13, v2, v9
	v_or_b32_e32 v2, s3, v0
	v_mov_b32_e32 v3, 0
	s_add_i32 s3, s3, s2
	v_pk_add_f16 v1, v1, v4
	v_lshl_add_u64 v[4:5], v[2:3], 1, s[0:1]
	v_or_b32_e32 v2, s3, v0
	s_add_i32 s3, s3, s2
	v_pk_add_f16 v1, v1, v6
	v_lshl_add_u64 v[6:7], v[2:3], 1, s[0:1]
	v_or_b32_e32 v2, s3, v0
	;; [unrolled: 4-line block ×3, first 2 shown]
	v_lshl_add_u64 v[0:1], v[2:3], 1, s[0:1]
	global_store_short v[4:5], v10, off
	global_store_short_d16_hi v[6:7], v10, off
	global_store_short v[8:9], v11, off
	global_store_short_d16_hi v[0:1], v11, off
	global_store_short v[4:5], v12, off offset:128
	global_store_short_d16_hi v[6:7], v12, off offset:128
	global_store_short v[8:9], v13, off offset:128
	global_store_short_d16_hi v[0:1], v13, off offset:128
.LBB951_19:
	s_endpgm
.LBB951_20:
	s_mov_b64 s[12:13], 0
                                        ; implicit-def: $sgpr34_sgpr35
	s_branch .LBB951_2
	.section	.rodata,"a",@progbits
	.p2align	6, 0x0
	.amdhsa_kernel _Z38paged_attention_ll4mi_QKV_mfma4_kernelIDF16_hLN4vllm18Fp8KVCacheDataTypeE1EhLi16ELi128ELi256ELb0ELi4EEvPKT_PKT0_S7_ifPKiS9_S9_iPKfiiiPfSC_PS2_PT2_iSB_SB_
		.amdhsa_group_segment_fixed_size 5280
		.amdhsa_private_segment_fixed_size 0
		.amdhsa_kernarg_size 400
		.amdhsa_user_sgpr_count 2
		.amdhsa_user_sgpr_dispatch_ptr 0
		.amdhsa_user_sgpr_queue_ptr 0
		.amdhsa_user_sgpr_kernarg_segment_ptr 1
		.amdhsa_user_sgpr_dispatch_id 0
		.amdhsa_user_sgpr_kernarg_preload_length 0
		.amdhsa_user_sgpr_kernarg_preload_offset 0
		.amdhsa_user_sgpr_private_segment_size 0
		.amdhsa_uses_dynamic_stack 0
		.amdhsa_enable_private_segment 0
		.amdhsa_system_sgpr_workgroup_id_x 1
		.amdhsa_system_sgpr_workgroup_id_y 1
		.amdhsa_system_sgpr_workgroup_id_z 1
		.amdhsa_system_sgpr_workgroup_info 0
		.amdhsa_system_vgpr_workitem_id 0
		.amdhsa_next_free_vgpr 92
		.amdhsa_next_free_sgpr 42
		.amdhsa_accum_offset 88
		.amdhsa_reserve_vcc 1
		.amdhsa_float_round_mode_32 0
		.amdhsa_float_round_mode_16_64 0
		.amdhsa_float_denorm_mode_32 3
		.amdhsa_float_denorm_mode_16_64 3
		.amdhsa_dx10_clamp 1
		.amdhsa_ieee_mode 1
		.amdhsa_fp16_overflow 0
		.amdhsa_tg_split 0
		.amdhsa_exception_fp_ieee_invalid_op 0
		.amdhsa_exception_fp_denorm_src 0
		.amdhsa_exception_fp_ieee_div_zero 0
		.amdhsa_exception_fp_ieee_overflow 0
		.amdhsa_exception_fp_ieee_underflow 0
		.amdhsa_exception_fp_ieee_inexact 0
		.amdhsa_exception_int_div_zero 0
	.end_amdhsa_kernel
	.section	.text._Z38paged_attention_ll4mi_QKV_mfma4_kernelIDF16_hLN4vllm18Fp8KVCacheDataTypeE1EhLi16ELi128ELi256ELb0ELi4EEvPKT_PKT0_S7_ifPKiS9_S9_iPKfiiiPfSC_PS2_PT2_iSB_SB_,"axG",@progbits,_Z38paged_attention_ll4mi_QKV_mfma4_kernelIDF16_hLN4vllm18Fp8KVCacheDataTypeE1EhLi16ELi128ELi256ELb0ELi4EEvPKT_PKT0_S7_ifPKiS9_S9_iPKfiiiPfSC_PS2_PT2_iSB_SB_,comdat
.Lfunc_end951:
	.size	_Z38paged_attention_ll4mi_QKV_mfma4_kernelIDF16_hLN4vllm18Fp8KVCacheDataTypeE1EhLi16ELi128ELi256ELb0ELi4EEvPKT_PKT0_S7_ifPKiS9_S9_iPKfiiiPfSC_PS2_PT2_iSB_SB_, .Lfunc_end951-_Z38paged_attention_ll4mi_QKV_mfma4_kernelIDF16_hLN4vllm18Fp8KVCacheDataTypeE1EhLi16ELi128ELi256ELb0ELi4EEvPKT_PKT0_S7_ifPKiS9_S9_iPKfiiiPfSC_PS2_PT2_iSB_SB_
                                        ; -- End function
	.section	.AMDGPU.csdata,"",@progbits
; Kernel info:
; codeLenInByte = 5480
; NumSgprs: 48
; NumVgprs: 86
; NumAgprs: 4
; TotalNumVgprs: 92
; ScratchSize: 0
; MemoryBound: 0
; FloatMode: 240
; IeeeMode: 1
; LDSByteSize: 5280 bytes/workgroup (compile time only)
; SGPRBlocks: 5
; VGPRBlocks: 11
; NumSGPRsForWavesPerEU: 48
; NumVGPRsForWavesPerEU: 92
; AccumOffset: 88
; Occupancy: 5
; WaveLimiterHint : 1
; COMPUTE_PGM_RSRC2:SCRATCH_EN: 0
; COMPUTE_PGM_RSRC2:USER_SGPR: 2
; COMPUTE_PGM_RSRC2:TRAP_HANDLER: 0
; COMPUTE_PGM_RSRC2:TGID_X_EN: 1
; COMPUTE_PGM_RSRC2:TGID_Y_EN: 1
; COMPUTE_PGM_RSRC2:TGID_Z_EN: 1
; COMPUTE_PGM_RSRC2:TIDIG_COMP_CNT: 0
; COMPUTE_PGM_RSRC3_GFX90A:ACCUM_OFFSET: 21
; COMPUTE_PGM_RSRC3_GFX90A:TG_SPLIT: 0
	.section	.text._Z39paged_attention_ll4mi_QKV_mfma16_kernelIDF16_hLN4vllm18Fp8KVCacheDataTypeE1EhLi16ELi128ELi256ELb0ELi5EEvPKT_PKT0_S7_ifPKiS9_S9_iPKfiiiPfSC_PS2_PT2_iSB_SB_,"axG",@progbits,_Z39paged_attention_ll4mi_QKV_mfma16_kernelIDF16_hLN4vllm18Fp8KVCacheDataTypeE1EhLi16ELi128ELi256ELb0ELi5EEvPKT_PKT0_S7_ifPKiS9_S9_iPKfiiiPfSC_PS2_PT2_iSB_SB_,comdat
	.protected	_Z39paged_attention_ll4mi_QKV_mfma16_kernelIDF16_hLN4vllm18Fp8KVCacheDataTypeE1EhLi16ELi128ELi256ELb0ELi5EEvPKT_PKT0_S7_ifPKiS9_S9_iPKfiiiPfSC_PS2_PT2_iSB_SB_ ; -- Begin function _Z39paged_attention_ll4mi_QKV_mfma16_kernelIDF16_hLN4vllm18Fp8KVCacheDataTypeE1EhLi16ELi128ELi256ELb0ELi5EEvPKT_PKT0_S7_ifPKiS9_S9_iPKfiiiPfSC_PS2_PT2_iSB_SB_
	.globl	_Z39paged_attention_ll4mi_QKV_mfma16_kernelIDF16_hLN4vllm18Fp8KVCacheDataTypeE1EhLi16ELi128ELi256ELb0ELi5EEvPKT_PKT0_S7_ifPKiS9_S9_iPKfiiiPfSC_PS2_PT2_iSB_SB_
	.p2align	8
	.type	_Z39paged_attention_ll4mi_QKV_mfma16_kernelIDF16_hLN4vllm18Fp8KVCacheDataTypeE1EhLi16ELi128ELi256ELb0ELi5EEvPKT_PKT0_S7_ifPKiS9_S9_iPKfiiiPfSC_PS2_PT2_iSB_SB_,@function
_Z39paged_attention_ll4mi_QKV_mfma16_kernelIDF16_hLN4vllm18Fp8KVCacheDataTypeE1EhLi16ELi128ELi256ELb0ELi5EEvPKT_PKT0_S7_ifPKiS9_S9_iPKfiiiPfSC_PS2_PT2_iSB_SB_: ; @_Z39paged_attention_ll4mi_QKV_mfma16_kernelIDF16_hLN4vllm18Fp8KVCacheDataTypeE1EhLi16ELi128ELi256ELb0ELi5EEvPKT_PKT0_S7_ifPKiS9_S9_iPKfiiiPfSC_PS2_PT2_iSB_SB_
; %bb.0:
	s_load_dwordx2 s[12:13], s[0:1], 0x30
	s_mov_b32 s24, s3
	s_mov_b64 s[6:7], 0
	s_waitcnt lgkmcnt(0)
	s_cmp_lg_u64 s[12:13], 0
	s_cselect_b64 s[14:15], -1, 0
	s_and_b64 vcc, exec, s[14:15]
	s_cbranch_vccz .LBB952_7
; %bb.1:
	s_add_i32 s8, s2, 1
	s_mov_b32 s9, 0
	s_lshl_b64 s[10:11], s[8:9], 2
	s_add_u32 s10, s12, s10
	s_mov_b32 s3, s9
	s_addc_u32 s11, s13, s11
	s_lshl_b64 s[8:9], s[2:3], 2
	s_add_u32 s8, s12, s8
	s_addc_u32 s9, s13, s9
	s_load_dword s5, s[10:11], 0x0
	s_load_dword s16, s[8:9], 0x0
	s_waitcnt lgkmcnt(0)
	s_sub_i32 s5, s5, s16
	s_cmp_eq_u32 s5, 1
	s_cselect_b64 s[8:9], -1, 0
	s_andn2_b64 vcc, exec, s[6:7]
	s_cbranch_vccnz .LBB952_3
.LBB952_2:
	s_mov_b32 s3, 0
	s_mov_b64 s[8:9], -1
.LBB952_3:
	s_andn2_b64 vcc, exec, s[8:9]
	s_cbranch_vccnz .LBB952_18
; %bb.4:
	s_load_dwordx2 s[6:7], s[0:1], 0x28
	s_lshl_b64 s[16:17], s[2:3], 2
	s_waitcnt lgkmcnt(0)
	s_add_u32 s6, s6, s16
	s_addc_u32 s7, s7, s17
	s_load_dword s33, s[6:7], 0x0
	s_lshl_b32 s18, s24, 8
	s_waitcnt lgkmcnt(0)
	s_cmp_ge_i32 s18, s33
	s_cbranch_scc1 .LBB952_18
; %bb.5:
	s_load_dwordx2 s[6:7], s[0:1], 0x20
	s_load_dword s8, s[0:1], 0x38
	s_add_i32 s5, s33, 15
	s_ashr_i32 s9, s5, 31
	v_and_b32_e32 v1, 0xcf, v0
	s_lshr_b32 s9, s9, 28
	v_add_u32_e32 v1, s18, v1
	s_add_i32 s5, s5, s9
	v_ashrrev_i32_e32 v2, 31, v1
	s_ashr_i32 s5, s5, 4
	v_lshrrev_b32_e32 v10, 28, v2
	s_add_i32 s5, s5, -1
	s_waitcnt lgkmcnt(0)
	s_mul_i32 s8, s2, s8
	s_mov_b32 s9, 0
	v_add_u32_e32 v2, v1, v10
	s_lshl_b64 s[8:9], s[8:9], 2
	v_ashrrev_i32_e32 v2, 4, v2
	v_mov_b32_e32 v11, s5
	v_cmp_gt_i32_e32 vcc, s33, v1
	s_add_u32 s6, s6, s8
	s_addc_u32 s7, s7, s9
	v_cndmask_b32_e32 v2, v11, v2, vcc
	v_ashrrev_i32_e32 v3, 31, v2
	v_lshl_add_u64 v[4:5], v[2:3], 2, s[6:7]
	v_or_b32_e32 v2, 16, v1
	v_add_u32_e32 v3, v2, v10
	v_ashrrev_i32_e32 v3, 4, v3
	v_cmp_gt_i32_e32 vcc, s33, v2
	s_load_dwordx4 s[8:11], s[0:1], 0x8
	s_nop 0
	v_cndmask_b32_e32 v2, v11, v3, vcc
	v_ashrrev_i32_e32 v3, 31, v2
	v_lshl_add_u64 v[6:7], v[2:3], 2, s[6:7]
	v_or_b32_e32 v2, 32, v1
	v_add_u32_e32 v3, v2, v10
	v_ashrrev_i32_e32 v3, 4, v3
	v_cmp_gt_i32_e32 vcc, s33, v2
	v_or_b32_e32 v1, 48, v1
	s_nop 0
	v_cndmask_b32_e32 v2, v11, v3, vcc
	v_ashrrev_i32_e32 v3, 31, v2
	v_lshl_add_u64 v[8:9], v[2:3], 2, s[6:7]
	v_add_u32_e32 v2, v1, v10
	v_ashrrev_i32_e32 v2, 4, v2
	v_cmp_gt_i32_e32 vcc, s33, v1
	s_nop 1
	v_cndmask_b32_e32 v2, v11, v2, vcc
	v_ashrrev_i32_e32 v3, 31, v2
	v_lshl_add_u64 v[10:11], v[2:3], 2, s[6:7]
	global_load_dword v3, v[4:5], off
	global_load_dword v2, v[6:7], off
	;; [unrolled: 1-line block ×4, first 2 shown]
	s_andn2_b64 vcc, exec, s[14:15]
	s_cbranch_vccnz .LBB952_8
; %bb.6:
	s_add_u32 s12, s12, s16
	s_addc_u32 s13, s13, s17
	s_load_dword s14, s[12:13], 0x0
	s_branch .LBB952_9
.LBB952_7:
	s_mov_b64 s[8:9], 0
	s_branch .LBB952_2
.LBB952_8:
	s_mov_b32 s14, s2
.LBB952_9:
	s_load_dwordx4 s[44:47], s[0:1], 0x48
	v_lshrrev_b32_e32 v61, 6, v0
	v_bfe_u32 v64, v0, 4, 2
	v_and_b32_e32 v60, 15, v0
	v_lshl_or_b32 v4, v61, 2, v64
	v_lshlrev_b32_e32 v1, 3, v60
	v_and_b32_e32 v65, 63, v0
	s_mul_i32 s48, s4, 5
	v_cmp_gt_u32_e32 vcc, 5, v4
	v_lshlrev_b32_e32 v58, 1, v1
	v_lshlrev_b32_e32 v1, 4, v0
	s_and_saveexec_b64 s[12:13], vcc
	s_cbranch_execz .LBB952_11
; %bb.10:
	s_load_dwordx2 s[16:17], s[0:1], 0x0
	s_waitcnt lgkmcnt(0)
	s_ashr_i32 s15, s44, 31
	s_mul_hi_u32 s19, s14, s44
	s_mul_i32 s15, s14, s15
	s_add_i32 s15, s19, s15
	s_mul_i32 s14, s14, s44
	s_lshl_b64 s[14:15], s[14:15], 1
	s_add_u32 s14, s16, s14
	v_add_lshl_u32 v6, v4, s48, 7
	s_addc_u32 s15, s17, s15
	v_ashrrev_i32_e32 v7, 31, v6
	v_lshl_add_u64 v[6:7], v[6:7], 1, s[14:15]
	v_mov_b32_e32 v59, 0
	v_lshl_add_u64 v[6:7], v[6:7], 0, v[58:59]
	global_load_dwordx4 v[6:9], v[6:7], off
	v_lshlrev_b32_e32 v10, 8, v0
	v_lshlrev_b32_e32 v5, 8, v60
	v_and_b32_e32 v10, 0x600, v10
	s_movk_i32 s14, 0x800
	v_and_or_b32 v5, v5, s14, v10
	v_lshlrev_b32_e32 v4, 5, v4
	v_and_b32_e32 v10, 16, v1
	v_or3_b32 v4, v5, v4, v10
	s_waitcnt vmcnt(0)
	ds_write_b128 v4, v[6:9]
.LBB952_11:
	s_or_b64 exec, exec, s[12:13]
	s_waitcnt lgkmcnt(0)
	s_mul_i32 s4, s4, s46
	s_add_u32 s8, s8, s4
	s_addc_u32 s9, s9, 0
	v_and_b32_e32 v62, 0xf0, v1
	v_mov_b32_e32 v63, 0
	v_and_b32_e32 v16, 48, v0
	v_lshl_add_u64 v[6:7], s[8:9], 0, v[62:63]
	v_lshlrev_b32_e32 v62, 4, v16
	s_waitcnt vmcnt(3)
	v_mad_i64_i32 v[4:5], s[8:9], v3, s45, v[6:7]
	v_lshl_add_u64 v[4:5], v[4:5], 0, v[62:63]
	s_load_dword s25, s[0:1], 0x98
	s_load_dwordx4 s[40:43], s[0:1], 0x80
	s_waitcnt lgkmcnt(0)
	s_barrier
	global_load_dwordx4 v[22:25], v[4:5], off
	global_load_dwordx4 v[10:13], v[4:5], off offset:1024
	s_waitcnt vmcnt(4)
	v_mad_i64_i32 v[2:3], s[8:9], v2, s45, v[6:7]
	v_lshl_add_u64 v[8:9], v[2:3], 0, v[62:63]
	global_load_dwordx4 v[2:5], v[8:9], off
	v_mul_lo_u16_e32 v17, 52, v60
	v_mov_b32_e32 v18, 5
	v_or_b32_e32 v16, s18, v16
	v_mov_b32_e32 v19, s5
	v_mul_lo_u16_sdwa v17, v17, v18 dst_sel:DWORD dst_unused:UNUSED_PAD src0_sel:BYTE_1 src1_sel:DWORD
	v_ashrrev_i32_e32 v20, 4, v16
	v_or_b32_e32 v21, 64, v16
	v_cmp_gt_i32_e32 vcc, s33, v16
	v_sub_u16_e32 v17, v60, v17
	v_or_b32_e32 v26, 0x80, v16
	v_or_b32_e32 v27, 0xc0, v16
	v_cndmask_b32_e32 v40, v19, v20, vcc
	v_ashrrev_i32_e32 v16, 4, v21
	v_cmp_gt_i32_e32 vcc, s33, v21
	v_lshlrev_b32_sdwa v17, v18, v17 dst_sel:DWORD dst_unused:UNUSED_PAD src0_sel:DWORD src1_sel:BYTE_0
	v_ashrrev_i32_e32 v18, 4, v26
	v_cndmask_b32_e32 v44, v19, v16, vcc
	v_cmp_gt_i32_e32 vcc, s33, v26
	v_ashrrev_i32_e32 v20, 4, v27
	v_lshl_add_u32 v36, v64, 9, v17
	v_cndmask_b32_e32 v46, v19, v18, vcc
	v_cmp_gt_i32_e32 vcc, s33, v27
	s_waitcnt vmcnt(4)
	v_mad_i64_i32 v[34:35], s[12:13], v14, s45, v[6:7]
	v_cndmask_b32_e32 v38, v19, v20, vcc
	ds_read_b128 v[26:29], v36
	ds_read_b128 v[18:21], v36 offset:16
	global_load_dwordx4 v[30:33], v[8:9], off offset:1024
	s_waitcnt vmcnt(4)
	v_mad_i64_i32 v[42:43], s[12:13], v15, s45, v[6:7]
	v_ashrrev_i32_e32 v41, 31, v40
	ds_read_b128 v[14:17], v36 offset:2048
	ds_read_b128 v[6:9], v36 offset:2064
	v_lshl_add_u64 v[36:37], v[34:35], 0, v[62:63]
	v_lshl_add_u64 v[34:35], v[42:43], 0, v[62:63]
	v_ashrrev_i32_e32 v45, 31, v44
	v_ashrrev_i32_e32 v47, 31, v46
	;; [unrolled: 1-line block ×3, first 2 shown]
	v_lshl_add_u64 v[50:51], v[40:41], 2, s[6:7]
	v_lshl_add_u64 v[52:53], v[44:45], 2, s[6:7]
	;; [unrolled: 1-line block ×4, first 2 shown]
	global_load_dwordx4 v[46:49], v[36:37], off
	global_load_dwordx4 v[42:45], v[36:37], off offset:1024
	global_load_dwordx4 v[38:41], v[34:35], off
	s_nop 0
	global_load_dwordx4 v[34:37], v[34:35], off offset:1024
	s_nop 0
	global_load_dword v69, v[50:51], off
	global_load_dword v68, v[52:53], off
	;; [unrolled: 1-line block ×4, first 2 shown]
	s_add_u32 s4, s10, s4
	v_lshl_or_b32 v59, v61, 4, v60
	s_addc_u32 s5, s11, 0
	v_lshlrev_b32_e32 v62, 4, v59
	s_load_dword s8, s[0:1], 0x1c
	s_waitcnt vmcnt(11)
	v_cvt_pk_f32_fp8_e32 v[50:51], v22
	v_cvt_pk_f32_fp8_sdwa v[52:53], v22 src0_sel:WORD_1
	v_cvt_pk_f32_fp8_e32 v[54:55], v23
	v_cvt_pk_f32_fp8_sdwa v[22:23], v23 src0_sel:WORD_1
	s_waitcnt vmcnt(10)
	v_cvt_pk_f32_fp8_e32 v[76:77], v10
	v_cvt_pk_f32_fp8_sdwa v[78:79], v10 src0_sel:WORD_1
	v_cvt_pk_f32_fp8_e32 v[80:81], v11
	v_cvt_pk_f32_fp8_sdwa v[82:83], v11 src0_sel:WORD_1
	v_cvt_pkrtz_f16_f32 v10, v50, v51
	v_cvt_pkrtz_f16_f32 v11, v52, v53
	v_cvt_pk_f32_fp8_e32 v[56:57], v24
	v_cvt_pk_f32_fp8_sdwa v[70:71], v24 src0_sel:WORD_1
	v_cvt_pkrtz_f16_f32 v54, v54, v55
	v_cvt_pkrtz_f16_f32 v55, v22, v23
	v_cvt_pk_f32_fp8_e32 v[72:73], v25
	v_cvt_pk_f32_fp8_sdwa v[74:75], v25 src0_sel:WORD_1
	s_waitcnt lgkmcnt(0)
	v_mfma_f32_16x16x16_f16 v[22:25], v[10:11], v[26:27], 0
	v_cvt_pkrtz_f16_f32 v10, v56, v57
	v_cvt_pkrtz_f16_f32 v11, v70, v71
	;; [unrolled: 1-line block ×3, first 2 shown]
	v_mfma_f32_16x16x16_f16 v[22:25], v[54:55], v[28:29], v[22:25]
	v_cvt_pkrtz_f16_f32 v57, v74, v75
	v_cvt_pk_f32_fp8_e32 v[50:51], v12
	v_cvt_pk_f32_fp8_sdwa v[52:53], v12 src0_sel:WORD_1
	v_cvt_pk_f32_fp8_e32 v[84:85], v13
	v_cvt_pk_f32_fp8_sdwa v[54:55], v13 src0_sel:WORD_1
	v_mfma_f32_16x16x16_f16 v[10:13], v[10:11], v[18:19], v[22:25]
	v_cvt_pkrtz_f16_f32 v70, v80, v81
	v_cvt_pkrtz_f16_f32 v71, v82, v83
	;; [unrolled: 1-line block ×5, first 2 shown]
	v_mfma_f32_16x16x16_f16 v[10:13], v[56:57], v[20:21], v[10:13]
	s_waitcnt vmcnt(9)
	v_cvt_pk_f32_fp8_e32 v[22:23], v2
	v_cvt_pk_f32_fp8_sdwa v[56:57], v2 src0_sel:WORD_1
	v_cvt_pkrtz_f16_f32 v51, v52, v53
	v_mfma_f32_16x16x16_f16 v[10:13], v[24:25], v[14:15], v[10:13]
	v_cvt_pk_f32_fp8_e32 v[24:25], v3
	v_cvt_pk_f32_fp8_sdwa v[2:3], v3 src0_sel:WORD_1
	v_cvt_pkrtz_f16_f32 v52, v84, v85
	v_mfma_f32_16x16x16_f16 v[10:13], v[70:71], v[16:17], v[10:13]
	v_cvt_pkrtz_f16_f32 v53, v54, v55
	v_cvt_pkrtz_f16_f32 v22, v22, v23
	;; [unrolled: 1-line block ×3, first 2 shown]
	v_mfma_f32_16x16x16_f16 v[10:13], v[50:51], v[6:7], v[10:13]
	v_cvt_pk_f32_fp8_e32 v[54:55], v4
	v_cvt_pk_f32_fp8_sdwa v[56:57], v4 src0_sel:WORD_1
	v_cvt_pkrtz_f16_f32 v24, v24, v25
	v_cvt_pkrtz_f16_f32 v25, v2, v3
	v_mfma_f32_16x16x16_f16 v[50:53], v[52:53], v[8:9], v[10:13]
	s_waitcnt vmcnt(7)
	v_cvt_pk_f32_fp8_e32 v[72:73], v49
	v_lshl_add_u64 v[70:71], s[4:5], 0, v[62:63]
	s_waitcnt vmcnt(6)
	v_cvt_pk_f32_fp8_sdwa v[76:77], v44 src0_sel:WORD_1
	v_mfma_f32_16x16x16_f16 v[10:13], v[22:23], v[26:27], 0
	v_cvt_pkrtz_f16_f32 v22, v54, v55
	v_cvt_pkrtz_f16_f32 v23, v56, v57
	v_cvt_pk_f32_fp8_e32 v[54:55], v5
	v_cvt_pk_f32_fp8_sdwa v[56:57], v5 src0_sel:WORD_1
	v_mfma_f32_16x16x16_f16 v[2:5], v[24:25], v[28:29], v[10:13]
	v_cvt_pk_f32_fp8_e32 v[24:25], v32
	v_or_b32_e32 v62, 0x400, v62
	s_nop 0
	v_cvt_pkrtz_f16_f32 v10, v54, v55
	v_cvt_pkrtz_f16_f32 v11, v56, v57
	v_mfma_f32_16x16x16_f16 v[2:5], v[22:23], v[18:19], v[2:5]
	v_cvt_pk_f32_fp8_e32 v[12:13], v30
	v_cvt_pk_f32_fp8_sdwa v[22:23], v30 src0_sel:WORD_1
	v_cvt_pkrtz_f16_f32 v12, v12, v13
	v_mfma_f32_16x16x16_f16 v[2:5], v[10:11], v[20:21], v[2:5]
	v_cvt_pk_f32_fp8_e32 v[10:11], v31
	v_cvt_pkrtz_f16_f32 v13, v22, v23
	v_cvt_pk_f32_fp8_sdwa v[22:23], v31 src0_sel:WORD_1
	v_cvt_pk_f32_fp8_sdwa v[30:31], v32 src0_sel:WORD_1
	v_cvt_pkrtz_f16_f32 v10, v10, v11
	v_mfma_f32_16x16x16_f16 v[2:5], v[12:13], v[14:15], v[2:5]
	v_cvt_pkrtz_f16_f32 v11, v22, v23
	v_cvt_pkrtz_f16_f32 v12, v24, v25
	;; [unrolled: 1-line block ×3, first 2 shown]
	v_cvt_pk_f32_fp8_e32 v[22:23], v33
	v_cvt_pk_f32_fp8_sdwa v[24:25], v33 src0_sel:WORD_1
	v_mfma_f32_16x16x16_f16 v[2:5], v[10:11], v[16:17], v[2:5]
	v_cvt_pkrtz_f16_f32 v10, v22, v23
	v_cvt_pkrtz_f16_f32 v11, v24, v25
	v_mfma_f32_16x16x16_f16 v[2:5], v[12:13], v[6:7], v[2:5]
	v_cvt_pk_f32_fp8_e32 v[12:13], v46
	v_cvt_pk_f32_fp8_sdwa v[22:23], v46 src0_sel:WORD_1
	v_cvt_pk_f32_fp8_sdwa v[24:25], v48 src0_sel:WORD_1
	v_mfma_f32_16x16x16_f16 v[54:57], v[10:11], v[8:9], v[2:5]
	v_cvt_pk_f32_fp8_sdwa v[10:11], v47 src0_sel:WORD_1
	s_nop 1
	v_cvt_pkrtz_f16_f32 v2, v12, v13
	v_cvt_pkrtz_f16_f32 v3, v22, v23
	v_cvt_pk_f32_fp8_e32 v[4:5], v47
	v_cvt_pkrtz_f16_f32 v23, v10, v11
	v_cvt_pk_f32_fp8_e32 v[10:11], v48
	v_cvt_pk_f32_fp8_sdwa v[48:49], v49 src0_sel:WORD_1
	v_cvt_pkrtz_f16_f32 v22, v4, v5
	v_mfma_f32_16x16x16_f16 v[2:5], v[2:3], v[26:27], 0
	v_cvt_pkrtz_f16_f32 v10, v10, v11
	v_cvt_pkrtz_f16_f32 v11, v24, v25
	s_waitcnt vmcnt(3)
	v_mad_i64_i32 v[12:13], s[6:7], v69, s45, v[70:71]
	v_mfma_f32_16x16x16_f16 v[2:5], v[22:23], v[28:29], v[2:5]
	s_waitcnt vmcnt(2)
	v_mad_i64_i32 v[46:47], s[6:7], v68, s45, v[70:71]
	global_load_dwordx4 v[30:33], v[12:13], off
	global_load_dwordx4 v[22:25], v[46:47], off
	v_cvt_pkrtz_f16_f32 v12, v72, v73
	v_cvt_pkrtz_f16_f32 v13, v48, v49
	v_mfma_f32_16x16x16_f16 v[2:5], v[10:11], v[18:19], v[2:5]
	v_cvt_pk_f32_fp8_e32 v[10:11], v42
	v_cvt_pk_f32_fp8_sdwa v[46:47], v42 src0_sel:WORD_1
	s_waitcnt vmcnt(3)
	v_mad_i64_i32 v[72:73], s[6:7], v67, s45, v[70:71]
	v_mfma_f32_16x16x16_f16 v[2:5], v[12:13], v[20:21], v[2:5]
	v_cvt_pkrtz_f16_f32 v10, v10, v11
	v_cvt_pkrtz_f16_f32 v11, v46, v47
	v_cvt_pk_f32_fp8_e32 v[12:13], v43
	v_cvt_pk_f32_fp8_sdwa v[42:43], v43 src0_sel:WORD_1
	v_mfma_f32_16x16x16_f16 v[46:49], v[10:11], v[14:15], v[2:5]
	v_cvt_pkrtz_f16_f32 v74, v12, v13
	v_cvt_pkrtz_f16_f32 v75, v42, v43
	v_cvt_pk_f32_fp8_e32 v[42:43], v44
	s_waitcnt vmcnt(2)
	v_mad_i64_i32 v[70:71], s[6:7], v66, s45, v[70:71]
	global_load_dwordx4 v[10:13], v[72:73], off
	global_load_dwordx4 v[2:5], v[70:71], off
	v_cvt_pkrtz_f16_f32 v70, v42, v43
	v_cvt_pkrtz_f16_f32 v71, v76, v77
	v_cvt_pk_f32_fp8_e32 v[72:73], v45
	v_cvt_pk_f32_fp8_sdwa v[76:77], v45 src0_sel:WORD_1
	v_mfma_f32_16x16x16_f16 v[44:47], v[74:75], v[16:17], v[46:49]
	v_lshl_add_u64 v[42:43], s[4:5], 0, v[62:63]
	v_cvt_pk_f32_fp8_e32 v[62:63], v38
	v_cvt_pk_f32_fp8_sdwa v[74:75], v38 src0_sel:WORD_1
	v_cvt_pkrtz_f16_f32 v48, v72, v73
	v_cvt_pkrtz_f16_f32 v49, v76, v77
	v_mfma_f32_16x16x16_f16 v[44:47], v[70:71], v[6:7], v[44:47]
	s_load_dword s4, s[40:41], 0x0
	s_mov_b32 s40, 0xff7fffff
	v_mfma_f32_16x16x16_f16 v[70:73], v[48:49], v[8:9], v[44:47]
	s_nop 3
	v_cvt_pk_f32_fp8_e32 v[44:45], v39
	v_cvt_pkrtz_f16_f32 v46, v62, v63
	v_cvt_pkrtz_f16_f32 v47, v74, v75
	v_cvt_pk_f32_fp8_sdwa v[38:39], v39 src0_sel:WORD_1
	v_cvt_pkrtz_f16_f32 v48, v44, v45
	v_cvt_pk_f32_fp8_e32 v[62:63], v40
	v_cvt_pk_f32_fp8_sdwa v[74:75], v40 src0_sel:WORD_1
	v_cvt_pkrtz_f16_f32 v49, v38, v39
	v_mfma_f32_16x16x16_f16 v[44:47], v[46:47], v[26:27], 0
	v_cvt_pkrtz_f16_f32 v38, v62, v63
	v_cvt_pkrtz_f16_f32 v39, v74, v75
	v_cvt_pk_f32_fp8_e32 v[62:63], v41
	v_cvt_pk_f32_fp8_sdwa v[74:75], v41 src0_sel:WORD_1
	v_mov_b32_e32 v26, s8
	s_waitcnt lgkmcnt(0)
	v_mul_f32_e32 v76, s4, v26
	v_mfma_f32_16x16x16_f16 v[26:29], v[48:49], v[28:29], v[44:47]
	v_cvt_pk_f32_fp8_sdwa v[48:49], v37 src0_sel:WORD_1
	v_pk_mul_f32 v[40:41], v[76:77], v[52:53] op_sel_hi:[0,1]
	v_pk_mul_f32 v[52:53], v[76:77], v[54:55] op_sel_hi:[0,1]
	v_cvt_pkrtz_f16_f32 v46, v62, v63
	v_cvt_pkrtz_f16_f32 v47, v74, v75
	v_mfma_f32_16x16x16_f16 v[26:29], v[38:39], v[18:19], v[26:29]
	v_cvt_pk_f32_fp8_e32 v[18:19], v34
	v_cvt_pk_f32_fp8_sdwa v[38:39], v34 src0_sel:WORD_1
	v_pk_mul_f32 v[44:45], v[76:77], v[50:51] op_sel_hi:[0,1]
	v_mfma_f32_16x16x16_f16 v[26:29], v[46:47], v[20:21], v[26:29]
	v_cvt_pkrtz_f16_f32 v20, v18, v19
	v_cvt_pkrtz_f16_f32 v21, v38, v39
	v_cvt_pk_f32_fp8_e32 v[38:39], v35
	v_cvt_pk_f32_fp8_sdwa v[34:35], v35 src0_sel:WORD_1
	v_mfma_f32_16x16x16_f16 v[26:29], v[20:21], v[14:15], v[26:29]
	v_cvt_pkrtz_f16_f32 v38, v38, v39
	v_cvt_pkrtz_f16_f32 v39, v34, v35
	v_cvt_pk_f32_fp8_e32 v[14:15], v36
	v_cvt_pk_f32_fp8_sdwa v[20:21], v36 src0_sel:WORD_1
	v_pk_mul_f32 v[50:51], v[76:77], v[70:71] op_sel_hi:[0,1]
	v_mad_i64_i32 v[18:19], s[4:5], v69, s45, v[42:43]
	v_cvt_pkrtz_f16_f32 v46, v14, v15
	v_cvt_pkrtz_f16_f32 v47, v20, v21
	v_cvt_pk_f32_fp8_e32 v[20:21], v37
	v_mfma_f32_16x16x16_f16 v[14:17], v[38:39], v[16:17], v[26:29]
	v_pk_mul_f32 v[36:37], v[76:77], v[56:57] op_sel_hi:[0,1]
	v_mad_i64_i32 v[34:35], s[4:5], v68, s45, v[42:43]
	v_cvt_pkrtz_f16_f32 v20, v20, v21
	v_cvt_pkrtz_f16_f32 v21, v48, v49
	v_mfma_f32_16x16x16_f16 v[14:17], v[46:47], v[6:7], v[14:17]
	v_pk_mul_f32 v[46:47], v[76:77], v[72:73] op_sel_hi:[0,1]
	v_mfma_f32_16x16x16_f16 v[6:9], v[20:21], v[8:9], v[14:17]
	global_load_dwordx4 v[26:29], v[18:19], off
	s_nop 0
	global_load_dwordx4 v[18:21], v[34:35], off
	s_nop 3
	v_pk_mul_f32 v[48:49], v[76:77], v[6:7] op_sel_hi:[0,1]
	v_and_b32_e32 v6, 0xc0, v0
	v_add_u32_e32 v6, s18, v6
	v_lshl_or_b32 v6, v64, 2, v6
	v_pk_mul_f32 v[38:39], v[76:77], v[8:9] op_sel_hi:[0,1]
	v_or_b32_e32 v9, 1, v6
	v_mov_b32_e32 v7, 0xff7fffff
	v_cmp_gt_i32_e64 s[26:27], s33, v6
	v_cmp_gt_i32_e64 s[28:29], s33, v9
	v_or_b32_e32 v14, 3, v6
	v_cndmask_b32_e64 v8, v7, v44, s[26:27]
	v_cndmask_b32_e64 v9, v7, v45, s[28:29]
	v_max3_f32 v8, v8, s40, v9
	v_or_b32_e32 v9, 2, v6
	v_cmp_gt_i32_e64 s[30:31], s33, v9
	v_cmp_gt_i32_e64 s[34:35], s33, v14
	s_nop 0
	v_cndmask_b32_e64 v9, v7, v40, s[30:31]
	v_cndmask_b32_e64 v14, v7, v41, s[34:35]
	v_max3_f32 v8, v8, v9, v14
	v_or_b32_e32 v9, 16, v6
	v_or_b32_e32 v14, 17, v6
	v_cmp_gt_i32_e64 s[18:19], s33, v9
	v_cmp_gt_i32_e64 s[20:21], s33, v14
	s_nop 0
	v_cndmask_b32_e64 v9, v7, v52, s[18:19]
	v_cndmask_b32_e64 v14, v7, v53, s[20:21]
	v_max3_f32 v8, v8, v9, v14
	v_or_b32_e32 v9, 18, v6
	;; [unrolled: 8-line block ×5, first 2 shown]
	v_or_b32_e32 v14, 49, v6
	v_cmp_gt_i32_e32 vcc, s33, v9
	v_cmp_gt_i32_e64 s[4:5], s33, v14
	s_nop 0
	v_cndmask_b32_e32 v9, v7, v48, vcc
	v_cndmask_b32_e64 v14, v7, v49, s[4:5]
	v_max3_f32 v8, v8, v9, v14
	v_or_b32_e32 v9, 50, v6
	v_or_b32_e32 v6, 51, v6
	v_cmp_gt_i32_e64 s[6:7], s33, v9
	v_cmp_gt_i32_e64 s[8:9], s33, v6
	s_nop 0
	v_cndmask_b32_e64 v9, v7, v38, s[6:7]
	v_cndmask_b32_e64 v6, v7, v39, s[8:9]
	v_max3_f32 v8, v8, v9, v6
	v_mbcnt_lo_u32_b32 v6, -1, 0
	v_mbcnt_hi_u32_b32 v9, -1, v6
	v_and_b32_e32 v6, 64, v9
	v_add_u32_e32 v14, 64, v6
	v_xor_b32_e32 v6, 32, v9
	v_cmp_lt_i32_e64 s[38:39], v6, v14
	s_nop 1
	v_cndmask_b32_e64 v6, v9, v6, s[38:39]
	v_lshlrev_b32_e32 v55, 2, v6
	ds_bpermute_b32 v15, v55, v8
	v_mad_i64_i32 v[6:7], s[38:39], v67, s45, v[42:43]
	s_waitcnt lgkmcnt(0)
	v_max_f32_e32 v15, v15, v15
	v_max_f32_e32 v34, v8, v15
	v_xor_b32_e32 v8, 16, v9
	v_cmp_lt_i32_e64 s[38:39], v8, v14
	s_nop 1
	v_cndmask_b32_e64 v8, v9, v8, s[38:39]
	v_lshlrev_b32_e32 v56, 2, v8
	v_mad_i64_i32 v[8:9], s[38:39], v66, s45, v[42:43]
	global_load_dwordx4 v[14:17], v[6:7], off
	s_nop 0
	global_load_dwordx4 v[6:9], v[8:9], off
	ds_bpermute_b32 v35, v56, v34
	s_waitcnt lgkmcnt(0)
	s_barrier
	v_max_f32_e32 v35, v35, v35
	v_max_f32_e32 v54, v34, v35
	v_sub_f32_e32 v42, v52, v54
	v_mul_f32_e32 v42, 0x3fb8aa3b, v42
	v_exp_f32_e32 v42, v42
	v_sub_f32_e32 v36, v36, v54
	v_sub_f32_e32 v34, v44, v54
	v_mul_f32_e32 v36, 0x3fb8aa3b, v36
	v_mul_f32_e32 v34, 0x3fb8aa3b, v34
	v_sub_f32_e32 v35, v45, v54
	v_sub_f32_e32 v43, v53, v54
	v_exp_f32_e32 v44, v36
	v_sub_f32_e32 v36, v37, v54
	v_sub_f32_e32 v48, v48, v54
	v_sub_f32_e32 v38, v38, v54
	v_exp_f32_e32 v34, v34
	v_mul_f32_e32 v35, 0x3fb8aa3b, v35
	v_sub_f32_e32 v40, v40, v54
	v_mul_f32_e32 v43, 0x3fb8aa3b, v43
	v_mul_f32_e32 v36, 0x3fb8aa3b, v36
	;; [unrolled: 1-line block ×4, first 2 shown]
	v_exp_f32_e32 v35, v35
	v_mul_f32_e32 v40, 0x3fb8aa3b, v40
	v_sub_f32_e32 v41, v41, v54
	v_exp_f32_e32 v43, v43
	v_exp_f32_e32 v45, v36
	v_cndmask_b32_e64 v36, 0, v42, s[18:19]
	v_sub_f32_e32 v42, v50, v54
	v_exp_f32_e32 v48, v48
	v_exp_f32_e32 v50, v38
	;; [unrolled: 1-line block ×3, first 2 shown]
	v_mul_f32_e32 v41, 0x3fb8aa3b, v41
	v_exp_f32_e32 v41, v41
	v_sub_f32_e32 v38, v39, v54
	v_cndmask_b32_e64 v34, 0, v34, s[26:27]
	v_mul_f32_e32 v38, 0x3fb8aa3b, v38
	v_cndmask_b32_e64 v35, 0, v35, s[28:29]
	v_cndmask_b32_e64 v37, 0, v43, s[20:21]
	v_sub_f32_e32 v43, v51, v54
	v_exp_f32_e32 v51, v38
	v_cndmask_b32_e32 v38, 0, v48, vcc
	v_cndmask_b32_e64 v48, 0, v50, s[6:7]
	v_add_f32_e32 v50, 0, v34
	v_cndmask_b32_e64 v40, 0, v40, s[30:31]
	v_add_f32_e32 v50, v50, v35
	v_cndmask_b32_e64 v41, 0, v41, s[34:35]
	v_mul_f32_e32 v42, 0x3fb8aa3b, v42
	v_add_f32_e32 v50, v50, v40
	v_exp_f32_e32 v42, v42
	v_mul_f32_e32 v43, 0x3fb8aa3b, v43
	v_sub_f32_e32 v46, v46, v54
	v_add_f32_e32 v50, v50, v41
	v_exp_f32_e32 v43, v43
	v_mul_f32_e32 v46, 0x3fb8aa3b, v46
	v_sub_f32_e32 v47, v47, v54
	v_add_f32_e32 v50, v50, v36
	v_cndmask_b32_e64 v44, 0, v44, s[22:23]
	v_exp_f32_e32 v46, v46
	v_mul_f32_e32 v47, 0x3fb8aa3b, v47
	v_add_f32_e32 v50, v50, v37
	v_cndmask_b32_e64 v45, 0, v45, s[36:37]
	v_exp_f32_e32 v47, v47
	v_sub_f32_e32 v49, v49, v54
	v_add_f32_e32 v50, v50, v44
	v_cndmask_b32_e64 v42, 0, v42, s[10:11]
	v_mul_f32_e32 v49, 0x3fb8aa3b, v49
	v_add_f32_e32 v50, v50, v45
	v_cndmask_b32_e64 v43, 0, v43, s[12:13]
	v_exp_f32_e32 v49, v49
	v_add_f32_e32 v50, v50, v42
	v_cndmask_b32_e64 v46, 0, v46, s[14:15]
	v_add_f32_e32 v50, v50, v43
	v_cndmask_b32_e64 v47, 0, v47, s[16:17]
	v_add_f32_e32 v50, v50, v46
	v_add_f32_e32 v50, v50, v47
	v_cndmask_b32_e64 v39, 0, v49, s[4:5]
	v_add_f32_e32 v50, v50, v38
	v_add_f32_e32 v50, v50, v39
	v_cndmask_b32_e64 v49, 0, v51, s[8:9]
	v_add_f32_e32 v50, v50, v48
	v_add_f32_e32 v50, v50, v49
	ds_bpermute_b32 v51, v55, v50
	v_cmp_gt_u32_e64 s[4:5], 16, v65
	s_waitcnt lgkmcnt(0)
	v_add_f32_e32 v50, v50, v51
	ds_bpermute_b32 v51, v56, v50
	s_and_saveexec_b64 s[6:7], s[4:5]
	s_cbranch_execz .LBB952_13
; %bb.12:
	s_waitcnt lgkmcnt(0)
	v_add_f32_e32 v50, v50, v51
	v_lshlrev_b32_e32 v51, 2, v59
	ds_write2st64_b32 v51, v54, v50 offset1:1
.LBB952_13:
	s_or_b64 exec, exec, s[6:7]
	s_waitcnt lgkmcnt(0)
	v_lshlrev_b32_e32 v51, 2, v60
	s_load_dword s8, s[0:1], 0x94
	s_waitcnt lgkmcnt(0)
	s_barrier
	ds_read2_b32 v[52:53], v51 offset1:16
	ds_read2_b32 v[54:55], v51 offset0:32 offset1:48
	ds_read2_b32 v[56:57], v51 offset0:64 offset1:80
	s_mul_i32 s9, s25, 5
	s_waitcnt lgkmcnt(2)
	v_max3_f32 v50, v52, s40, v53
	s_waitcnt lgkmcnt(1)
	v_max3_f32 v50, v50, v54, v55
	v_sub_f32_e32 v52, v52, v50
	v_mul_f32_e32 v52, 0x3fb8aa3b, v52
	v_exp_f32_e32 v59, v52
	v_sub_f32_e32 v52, v53, v50
	v_mul_f32_e32 v52, 0x3fb8aa3b, v52
	v_exp_f32_e32 v62, v52
	;; [unrolled: 3-line block ×3, first 2 shown]
	ds_read2_b32 v[52:53], v51 offset0:96 offset1:112
	v_sub_f32_e32 v51, v55, v50
	v_mul_f32_e32 v51, 0x3fb8aa3b, v51
	v_exp_f32_e32 v55, v51
	s_waitcnt lgkmcnt(1)
	v_fma_f32 v51, v59, v56, 0
	v_fmac_f32_e32 v51, v62, v57
	s_waitcnt lgkmcnt(0)
	v_fmac_f32_e32 v51, v54, v52
	v_fmac_f32_e32 v51, v55, v53
	v_add_f32_e32 v52, 0x358637bd, v51
	v_div_scale_f32 v53, s[6:7], v52, v52, 1.0
	v_rcp_f32_e32 v56, v53
	s_barrier
	v_fma_f32 v57, -v53, v56, 1.0
	v_fmac_f32_e32 v56, v57, v56
	v_div_scale_f32 v57, vcc, 1.0, v52, 1.0
	v_mul_f32_e32 v63, v57, v56
	v_fma_f32 v65, -v53, v63, v57
	v_fmac_f32_e32 v63, v65, v56
	v_fma_f32 v53, -v53, v63, v57
	v_div_fmas_f32 v53, v53, v56, v63
	v_cmp_eq_u32_e32 vcc, 1, v61
	v_div_fixup_f32 v52, v53, v52, 1.0
	s_nop 0
	v_cndmask_b32_e32 v53, v59, v62, vcc
	v_cmp_eq_u32_e32 vcc, 2, v61
	s_nop 1
	v_cndmask_b32_e32 v53, v53, v54, vcc
	v_cmp_eq_u32_e32 vcc, 3, v61
	s_nop 1
	v_cndmask_b32_e32 v53, v53, v55, vcc
	v_mul_f32_e32 v52, v53, v52
	v_pk_mul_f32 v[40:41], v[52:53], v[40:41] op_sel_hi:[0,1]
	v_pk_mul_f32 v[34:35], v[52:53], v[34:35] op_sel_hi:[0,1]
	v_cvt_f16_f32_e32 v53, v40
	v_cvt_f16_f32_e32 v34, v34
	v_cvt_f16_f32_e32 v35, v35
	v_cvt_f16_f32_e32 v41, v41
	v_pk_mul_f32 v[44:45], v[52:53], v[44:45] op_sel_hi:[0,1]
	v_pk_mul_f32 v[36:37], v[52:53], v[36:37] op_sel_hi:[0,1]
	v_cvt_f16_f32_e32 v36, v36
	v_cvt_f16_f32_e32 v37, v37
	;; [unrolled: 1-line block ×4, first 2 shown]
	v_pack_b32_f16 v40, v34, v35
	v_pack_b32_f16 v41, v53, v41
	v_lshlrev_b32_e32 v35, 3, v64
	v_lshlrev_b32_e32 v34, 5, v60
	;; [unrolled: 1-line block ×3, first 2 shown]
	v_or3_b32 v54, v53, v34, v35
	v_pack_b32_f16 v36, v36, v37
	v_pack_b32_f16 v37, v44, v45
	ds_write2st64_b64 v54, v[40:41], v[36:37] offset1:1
	v_pk_mul_f32 v[36:37], v[52:53], v[46:47] op_sel_hi:[0,1]
	v_pk_mul_f32 v[40:41], v[52:53], v[42:43] op_sel_hi:[0,1]
	v_cvt_f16_f32_e32 v35, v40
	v_cvt_f16_f32_e32 v40, v41
	;; [unrolled: 1-line block ×4, first 2 shown]
	v_pk_mul_f32 v[36:37], v[52:53], v[48:49] op_sel_hi:[0,1]
	v_pk_mul_f32 v[38:39], v[52:53], v[38:39] op_sel_hi:[0,1]
	v_cvt_f16_f32_e32 v38, v38
	v_cvt_f16_f32_e32 v39, v39
	;; [unrolled: 1-line block ×4, first 2 shown]
	v_pack_b32_f16 v36, v35, v40
	v_pack_b32_f16 v37, v41, v42
	;; [unrolled: 1-line block ×4, first 2 shown]
	v_cmp_gt_u32_e32 vcc, 5, v0
	ds_write2st64_b64 v54, v[36:37], v[38:39] offset0:2 offset1:3
	s_and_saveexec_b64 s[6:7], vcc
	s_cbranch_execz .LBB952_15
; %bb.14:
	s_mov_b32 s49, 0
	v_mov_b32_e32 v61, 0
	v_lshl_add_u64 v[36:37], s[48:49], 0, v[60:61]
	v_mov_b32_e32 v35, s9
	v_mad_u64_u32 v[36:37], s[10:11], s2, v35, v[36:37]
	s_mul_i32 s3, s3, s9
	v_mov_b32_e32 v38, s24
	v_mov_b32_e32 v39, v61
	s_load_dwordx4 s[12:15], s[0:1], 0x58
	v_add_u32_e32 v35, s3, v37
	v_mad_u64_u32 v[36:37], s[10:11], v36, s8, v[38:39]
	v_mov_b32_e32 v38, v37
	v_mad_u64_u32 v[38:39], s[10:11], v35, s8, v[38:39]
	v_mov_b32_e32 v37, v38
	v_lshlrev_b64 v[36:37], 2, v[36:37]
	s_waitcnt lgkmcnt(0)
	v_lshl_add_u64 v[38:39], s[14:15], 0, v[36:37]
	v_lshl_add_u64 v[36:37], s[12:13], 0, v[36:37]
	global_store_dword v[38:39], v50, off
	global_store_dword v[36:37], v51, off
.LBB952_15:
	s_or_b64 exec, exec, s[6:7]
	s_waitcnt vmcnt(7)
	v_cvt_pk_f32_fp8_e32 v[36:37], v30
	v_lshl_or_b32 v50, v64, 9, v34
	v_cvt_pk_f32_fp8_sdwa v[34:35], v30 src0_sel:WORD_1
	s_waitcnt lgkmcnt(0)
	s_barrier
	v_cvt_pk_f32_fp8_e32 v[38:39], v31
	v_cvt_pkrtz_f16_f32 v30, v36, v37
	v_cvt_pk_f32_fp8_sdwa v[40:41], v31 src0_sel:WORD_1
	v_cvt_pkrtz_f16_f32 v31, v34, v35
	ds_read_b128 v[34:37], v50
	v_cvt_pkrtz_f16_f32 v46, v38, v39
	v_cvt_pkrtz_f16_f32 v47, v40, v41
	ds_read_b128 v[38:41], v50 offset:16
	v_cvt_pk_f32_fp8_e32 v[48:49], v32
	v_cvt_pk_f32_fp8_sdwa v[52:53], v32 src0_sel:WORD_1
	s_waitcnt lgkmcnt(1)
	v_mfma_f32_16x16x16_f16 v[42:45], v[30:31], v[34:35], 0
	s_waitcnt vmcnt(6)
	v_cvt_pk_f32_fp8_e32 v[56:57], v24
	v_cvt_pkrtz_f16_f32 v30, v48, v49
	v_cvt_pkrtz_f16_f32 v31, v52, v53
	v_cvt_pk_f32_fp8_e32 v[48:49], v33
	v_mfma_f32_16x16x16_f16 v[42:45], v[46:47], v[36:37], v[42:45]
	v_cvt_pk_f32_fp8_sdwa v[46:47], v33 src0_sel:WORD_1
	v_cvt_pk_f32_fp8_sdwa v[62:63], v24 src0_sel:WORD_1
	v_cvt_pkrtz_f16_f32 v48, v48, v49
	s_waitcnt lgkmcnt(0)
	v_mfma_f32_16x16x16_f16 v[30:33], v[30:31], v[38:39], v[42:45]
	v_cvt_pkrtz_f16_f32 v49, v46, v47
	s_waitcnt vmcnt(4)
	v_cvt_pk_f32_fp8_sdwa v[70:71], v4 src0_sel:WORD_1
	s_waitcnt vmcnt(3)
	v_cvt_pk_f32_fp8_sdwa v[72:73], v28 src0_sel:WORD_1
	v_cvt_pk_f32_fp8_e32 v[42:43], v22
	v_mfma_f32_16x16x16_f16 v[46:49], v[48:49], v[40:41], v[30:33]
	s_load_dword s6, s[42:43], 0x0
	s_mov_b32 s3, 0
	s_nop 0
	v_cvt_pk_f32_fp8_sdwa v[30:31], v22 src0_sel:WORD_1
	v_cvt_pk_f32_fp8_e32 v[32:33], v23
	v_cvt_pkrtz_f16_f32 v22, v42, v43
	v_cvt_pk_f32_fp8_sdwa v[42:43], v23 src0_sel:WORD_1
	v_cvt_pkrtz_f16_f32 v23, v30, v31
	v_cvt_pkrtz_f16_f32 v52, v32, v33
	ds_read_b128 v[30:33], v50 offset:2048
	v_cvt_pkrtz_f16_f32 v53, v42, v43
	ds_read_b128 v[42:45], v50 offset:2064
	s_waitcnt lgkmcnt(0)
	v_mfma_f32_16x16x16_f16 v[46:49], v[22:23], v[30:31], v[46:49]
	v_cvt_pkrtz_f16_f32 v22, v56, v57
	v_cvt_pkrtz_f16_f32 v23, v62, v63
	v_cvt_pk_f32_fp8_e32 v[56:57], v25
	v_mfma_f32_16x16x16_f16 v[46:49], v[52:53], v[32:33], v[46:49]
	v_cvt_pk_f32_fp8_sdwa v[52:53], v25 src0_sel:WORD_1
	v_cvt_pk_f32_fp8_sdwa v[62:63], v12 src0_sel:WORD_1
	v_cvt_pkrtz_f16_f32 v56, v56, v57
	v_mfma_f32_16x16x16_f16 v[22:25], v[22:23], v[42:43], v[46:49]
	v_cvt_pkrtz_f16_f32 v57, v52, v53
	v_cmp_gt_u32_e32 vcc, 64, v0
	s_nop 0
	v_cvt_pk_f32_fp8_e32 v[46:47], v10
	v_mfma_f32_16x16x16_f16 v[66:69], v[56:57], v[44:45], v[22:25]
	v_cvt_pk_f32_fp8_e32 v[56:57], v12
	s_nop 1
	v_cvt_pk_f32_fp8_sdwa v[22:23], v10 src0_sel:WORD_1
	v_cvt_pk_f32_fp8_e32 v[24:25], v11
	v_cvt_pkrtz_f16_f32 v10, v46, v47
	v_cvt_pk_f32_fp8_sdwa v[46:47], v11 src0_sel:WORD_1
	v_cvt_pkrtz_f16_f32 v11, v22, v23
	v_cvt_pkrtz_f16_f32 v52, v24, v25
	ds_read_b128 v[22:25], v50 offset:4096
	v_cvt_pkrtz_f16_f32 v53, v46, v47
	ds_read_b128 v[46:49], v50 offset:4112
	s_waitcnt lgkmcnt(1)
	v_mfma_f32_16x16x16_f16 v[66:69], v[10:11], v[22:23], v[66:69]
	v_cvt_pkrtz_f16_f32 v10, v56, v57
	v_cvt_pkrtz_f16_f32 v11, v62, v63
	v_cvt_pk_f32_fp8_e32 v[56:57], v13
	v_mfma_f32_16x16x16_f16 v[66:69], v[52:53], v[24:25], v[66:69]
	v_cvt_pk_f32_fp8_sdwa v[52:53], v13 src0_sel:WORD_1
	v_cvt_pk_f32_fp8_e32 v[62:63], v4
	v_cvt_pkrtz_f16_f32 v56, v56, v57
	s_waitcnt lgkmcnt(0)
	v_mfma_f32_16x16x16_f16 v[10:13], v[10:11], v[46:47], v[66:69]
	v_cvt_pkrtz_f16_f32 v57, v52, v53
	v_cvt_pk_f32_fp8_e32 v[52:53], v2
	s_nop 0
	v_mfma_f32_16x16x16_f16 v[66:69], v[56:57], v[48:49], v[10:13]
	s_nop 2
	v_cvt_pk_f32_fp8_sdwa v[10:11], v2 src0_sel:WORD_1
	v_cvt_pk_f32_fp8_e32 v[12:13], v3
	v_cvt_pkrtz_f16_f32 v2, v52, v53
	v_cvt_pk_f32_fp8_sdwa v[52:53], v3 src0_sel:WORD_1
	v_cvt_pkrtz_f16_f32 v3, v10, v11
	v_cvt_pkrtz_f16_f32 v56, v12, v13
	ds_read_b128 v[10:13], v50 offset:6144
	v_cvt_pkrtz_f16_f32 v57, v52, v53
	s_waitcnt lgkmcnt(0)
	v_mfma_f32_16x16x16_f16 v[66:69], v[2:3], v[10:11], v[66:69]
	ds_read_b128 v[50:53], v50 offset:6160
	v_cvt_pkrtz_f16_f32 v2, v62, v63
	v_cvt_pkrtz_f16_f32 v3, v70, v71
	v_cvt_pk_f32_fp8_e32 v[62:63], v5
	v_mfma_f32_16x16x16_f16 v[66:69], v[56:57], v[12:13], v[66:69]
	v_cvt_pk_f32_fp8_sdwa v[56:57], v5 src0_sel:WORD_1
	v_cvt_pk_f32_fp8_e32 v[70:71], v28
	v_cvt_pkrtz_f16_f32 v62, v62, v63
	s_waitcnt lgkmcnt(0)
	v_mfma_f32_16x16x16_f16 v[2:5], v[2:3], v[50:51], v[66:69]
	v_cvt_pkrtz_f16_f32 v63, v56, v57
	v_cvt_pk_f32_fp8_e32 v[56:57], v26
	s_nop 0
	v_cvt_pk_f32_fp8_sdwa v[66:67], v26 src0_sel:WORD_1
	v_mfma_f32_16x16x16_f16 v[2:5], v[62:63], v[52:53], v[2:5]
	v_cvt_pk_f32_fp8_e32 v[62:63], v27
	v_cvt_pkrtz_f16_f32 v56, v56, v57
	v_cvt_pkrtz_f16_f32 v57, v66, v67
	v_cvt_pk_f32_fp8_sdwa v[26:27], v27 src0_sel:WORD_1
	v_cvt_pkrtz_f16_f32 v62, v62, v63
	v_mfma_f32_16x16x16_f16 v[66:69], v[56:57], v[34:35], 0
	v_cvt_pkrtz_f16_f32 v63, v26, v27
	v_cvt_pkrtz_f16_f32 v26, v70, v71
	;; [unrolled: 1-line block ×3, first 2 shown]
	v_cvt_pk_f32_fp8_e32 v[56:57], v29
	v_mfma_f32_16x16x16_f16 v[34:37], v[62:63], v[36:37], v[66:69]
	v_cvt_pk_f32_fp8_sdwa v[62:63], v29 src0_sel:WORD_1
	v_cvt_pkrtz_f16_f32 v56, v56, v57
	s_barrier
	v_mfma_f32_16x16x16_f16 v[26:29], v[26:27], v[38:39], v[34:37]
	v_cvt_pkrtz_f16_f32 v57, v62, v63
	s_waitcnt vmcnt(2)
	v_cvt_pk_f32_fp8_e32 v[38:39], v19
	v_cvt_pk_f32_fp8_e32 v[34:35], v18
	v_cvt_pk_f32_fp8_sdwa v[36:37], v18 src0_sel:WORD_1
	v_cvt_pk_f32_fp8_sdwa v[18:19], v19 src0_sel:WORD_1
	v_mfma_f32_16x16x16_f16 v[26:29], v[56:57], v[40:41], v[26:29]
	v_cvt_pkrtz_f16_f32 v34, v34, v35
	v_cvt_pkrtz_f16_f32 v35, v36, v37
	;; [unrolled: 1-line block ×3, first 2 shown]
	v_cvt_pk_f32_fp8_e32 v[38:39], v20
	v_cvt_pk_f32_fp8_sdwa v[40:41], v20 src0_sel:WORD_1
	v_cvt_pkrtz_f16_f32 v37, v18, v19
	v_mfma_f32_16x16x16_f16 v[26:29], v[34:35], v[30:31], v[26:29]
	v_cvt_pkrtz_f16_f32 v30, v38, v39
	v_cvt_pkrtz_f16_f32 v31, v40, v41
	v_cvt_pk_f32_fp8_e32 v[34:35], v21
	v_cvt_pk_f32_fp8_sdwa v[38:39], v21 src0_sel:WORD_1
	v_mfma_f32_16x16x16_f16 v[18:21], v[36:37], v[32:33], v[26:29]
	s_waitcnt vmcnt(1)
	v_cvt_pk_f32_fp8_sdwa v[32:33], v16 src0_sel:WORD_1
	s_nop 0
	v_cvt_pkrtz_f16_f32 v26, v34, v35
	v_cvt_pkrtz_f16_f32 v27, v38, v39
	v_mfma_f32_16x16x16_f16 v[18:21], v[30:31], v[42:43], v[18:21]
	v_cvt_pk_f32_fp8_e32 v[28:29], v14
	v_cvt_pk_f32_fp8_sdwa v[30:31], v14 src0_sel:WORD_1
	v_cvt_pkrtz_f16_f32 v28, v28, v29
	v_mfma_f32_16x16x16_f16 v[18:21], v[26:27], v[44:45], v[18:21]
	v_cvt_pk_f32_fp8_e32 v[26:27], v15
	v_cvt_pkrtz_f16_f32 v29, v30, v31
	v_cvt_pk_f32_fp8_sdwa v[14:15], v15 src0_sel:WORD_1
	v_cvt_pk_f32_fp8_e32 v[30:31], v16
	v_cvt_pkrtz_f16_f32 v26, v26, v27
	v_mfma_f32_16x16x16_f16 v[18:21], v[28:29], v[22:23], v[18:21]
	v_cvt_pkrtz_f16_f32 v27, v14, v15
	v_cvt_pkrtz_f16_f32 v22, v30, v31
	;; [unrolled: 1-line block ×3, first 2 shown]
	v_cvt_pk_f32_fp8_e32 v[28:29], v17
	v_cvt_pk_f32_fp8_sdwa v[30:31], v17 src0_sel:WORD_1
	v_mfma_f32_16x16x16_f16 v[14:17], v[26:27], v[24:25], v[18:21]
	s_waitcnt vmcnt(0)
	v_cvt_pk_f32_fp8_sdwa v[24:25], v6 src0_sel:WORD_1
	s_nop 0
	v_pk_mul_f32 v[18:19], v[4:5], s[6:7] op_sel_hi:[1,0]
	v_cvt_pkrtz_f16_f32 v4, v28, v29
	v_cvt_pkrtz_f16_f32 v5, v30, v31
	v_mfma_f32_16x16x16_f16 v[14:17], v[22:23], v[46:47], v[14:17]
	v_cvt_pk_f32_fp8_e32 v[22:23], v6
	v_pk_mul_f32 v[20:21], v[2:3], s[6:7] op_sel_hi:[1,0]
	v_mfma_f32_16x16x16_f16 v[2:5], v[4:5], v[48:49], v[14:17]
	s_nop 3
	v_cvt_pk_f32_fp8_e32 v[14:15], v7
	v_cvt_pkrtz_f16_f32 v16, v22, v23
	v_cvt_pkrtz_f16_f32 v17, v24, v25
	v_cvt_pk_f32_fp8_sdwa v[6:7], v7 src0_sel:WORD_1
	v_cvt_pkrtz_f16_f32 v14, v14, v15
	v_cvt_pk_f32_fp8_e32 v[22:23], v8
	v_cvt_pk_f32_fp8_sdwa v[24:25], v8 src0_sel:WORD_1
	v_cvt_pkrtz_f16_f32 v15, v6, v7
	v_mfma_f32_16x16x16_f16 v[2:5], v[16:17], v[10:11], v[2:5]
	v_cvt_pkrtz_f16_f32 v6, v22, v23
	v_cvt_pkrtz_f16_f32 v7, v24, v25
	v_cvt_pk_f32_fp8_e32 v[10:11], v9
	v_cvt_pk_f32_fp8_sdwa v[8:9], v9 src0_sel:WORD_1
	v_mfma_f32_16x16x16_f16 v[2:5], v[14:15], v[12:13], v[2:5]
	v_cvt_f16_f32_e32 v12, v20
	v_cvt_pkrtz_f16_f32 v10, v10, v11
	v_cvt_pkrtz_f16_f32 v11, v8, v9
	v_mfma_f32_16x16x16_f16 v[2:5], v[6:7], v[50:51], v[2:5]
	v_cvt_f16_f32_e32 v6, v21
	v_cvt_f16_f32_e32 v7, v18
	;; [unrolled: 1-line block ×3, first 2 shown]
	v_mfma_f32_16x16x16_f16 v[2:5], v[10:11], v[52:53], v[2:5]
	s_nop 6
	v_pk_mul_f32 v[4:5], v[4:5], s[6:7] op_sel_hi:[1,0]
	v_pk_mul_f32 v[2:3], v[2:3], s[6:7] op_sel_hi:[1,0]
	v_cvt_f16_f32_e32 v11, v4
	v_cvt_f16_f32_e32 v9, v2
	;; [unrolled: 1-line block ×4, first 2 shown]
	v_pack_b32_f16 v2, v12, v6
	v_pack_b32_f16 v3, v7, v8
	;; [unrolled: 1-line block ×4, first 2 shown]
	ds_write2st64_b64 v54, v[2:3], v[4:5] offset1:1
	s_waitcnt lgkmcnt(0)
	s_barrier
	s_and_saveexec_b64 s[6:7], vcc
	s_cbranch_execz .LBB952_18
; %bb.16:
	s_load_dwordx2 s[6:7], s[0:1], 0x68
	s_lshl_b32 s0, s8, 7
	s_mul_i32 s1, s9, s2
	v_lshlrev_b32_e32 v3, 6, v60
	s_mul_hi_u32 s9, s1, s0
	s_mul_i32 s8, s1, s0
	v_lshl_or_b32 v0, v0, 10, v3
	s_lshl_b64 s[8:9], s[8:9], 1
	v_lshlrev_b32_e32 v2, 5, v64
	v_and_b32_e32 v1, 16, v1
	v_and_b32_e32 v0, 0x1a00, v0
	s_waitcnt lgkmcnt(0)
	s_add_u32 s1, s6, s8
	v_or3_b32 v2, v0, v2, v1
	s_addc_u32 s6, s7, s9
	s_lshl_b32 s2, s24, 7
	s_lshl_b64 s[2:3], s[2:3], 1
	ds_read_b128 v[4:7], v2
	s_add_u32 s2, s1, s2
	s_addc_u32 s3, s6, s3
	v_mov_b32_e32 v59, 0
	v_add_u32_e32 v3, s48, v64
	v_lshl_add_u64 v[0:1], s[2:3], 0, v[58:59]
	v_mad_u64_u32 v[8:9], s[2:3], v3, s0, 0
	v_lshl_add_u64 v[8:9], v[8:9], 1, v[0:1]
	s_waitcnt lgkmcnt(0)
	global_store_dwordx4 v[8:9], v[4:7], off
	s_and_b64 exec, exec, s[4:5]
	s_cbranch_execz .LBB952_18
; %bb.17:
	ds_read_b128 v[2:5], v2 offset:128
	v_add3_u32 v6, s48, v64, 4
	v_mad_u64_u32 v[6:7], s[0:1], v6, s0, 0
	v_lshl_add_u64 v[0:1], v[6:7], 1, v[0:1]
	s_waitcnt lgkmcnt(0)
	global_store_dwordx4 v[0:1], v[2:5], off
.LBB952_18:
	s_endpgm
	.section	.rodata,"a",@progbits
	.p2align	6, 0x0
	.amdhsa_kernel _Z39paged_attention_ll4mi_QKV_mfma16_kernelIDF16_hLN4vllm18Fp8KVCacheDataTypeE1EhLi16ELi128ELi256ELb0ELi5EEvPKT_PKT0_S7_ifPKiS9_S9_iPKfiiiPfSC_PS2_PT2_iSB_SB_
		.amdhsa_group_segment_fixed_size 8192
		.amdhsa_private_segment_fixed_size 0
		.amdhsa_kernarg_size 400
		.amdhsa_user_sgpr_count 2
		.amdhsa_user_sgpr_dispatch_ptr 0
		.amdhsa_user_sgpr_queue_ptr 0
		.amdhsa_user_sgpr_kernarg_segment_ptr 1
		.amdhsa_user_sgpr_dispatch_id 0
		.amdhsa_user_sgpr_kernarg_preload_length 0
		.amdhsa_user_sgpr_kernarg_preload_offset 0
		.amdhsa_user_sgpr_private_segment_size 0
		.amdhsa_uses_dynamic_stack 0
		.amdhsa_enable_private_segment 0
		.amdhsa_system_sgpr_workgroup_id_x 1
		.amdhsa_system_sgpr_workgroup_id_y 1
		.amdhsa_system_sgpr_workgroup_id_z 1
		.amdhsa_system_sgpr_workgroup_info 0
		.amdhsa_system_vgpr_workitem_id 0
		.amdhsa_next_free_vgpr 86
		.amdhsa_next_free_sgpr 50
		.amdhsa_accum_offset 88
		.amdhsa_reserve_vcc 1
		.amdhsa_float_round_mode_32 0
		.amdhsa_float_round_mode_16_64 0
		.amdhsa_float_denorm_mode_32 3
		.amdhsa_float_denorm_mode_16_64 3
		.amdhsa_dx10_clamp 1
		.amdhsa_ieee_mode 1
		.amdhsa_fp16_overflow 0
		.amdhsa_tg_split 0
		.amdhsa_exception_fp_ieee_invalid_op 0
		.amdhsa_exception_fp_denorm_src 0
		.amdhsa_exception_fp_ieee_div_zero 0
		.amdhsa_exception_fp_ieee_overflow 0
		.amdhsa_exception_fp_ieee_underflow 0
		.amdhsa_exception_fp_ieee_inexact 0
		.amdhsa_exception_int_div_zero 0
	.end_amdhsa_kernel
	.section	.text._Z39paged_attention_ll4mi_QKV_mfma16_kernelIDF16_hLN4vllm18Fp8KVCacheDataTypeE1EhLi16ELi128ELi256ELb0ELi5EEvPKT_PKT0_S7_ifPKiS9_S9_iPKfiiiPfSC_PS2_PT2_iSB_SB_,"axG",@progbits,_Z39paged_attention_ll4mi_QKV_mfma16_kernelIDF16_hLN4vllm18Fp8KVCacheDataTypeE1EhLi16ELi128ELi256ELb0ELi5EEvPKT_PKT0_S7_ifPKiS9_S9_iPKfiiiPfSC_PS2_PT2_iSB_SB_,comdat
.Lfunc_end952:
	.size	_Z39paged_attention_ll4mi_QKV_mfma16_kernelIDF16_hLN4vllm18Fp8KVCacheDataTypeE1EhLi16ELi128ELi256ELb0ELi5EEvPKT_PKT0_S7_ifPKiS9_S9_iPKfiiiPfSC_PS2_PT2_iSB_SB_, .Lfunc_end952-_Z39paged_attention_ll4mi_QKV_mfma16_kernelIDF16_hLN4vllm18Fp8KVCacheDataTypeE1EhLi16ELi128ELi256ELb0ELi5EEvPKT_PKT0_S7_ifPKiS9_S9_iPKfiiiPfSC_PS2_PT2_iSB_SB_
                                        ; -- End function
	.section	.AMDGPU.csdata,"",@progbits
; Kernel info:
; codeLenInByte = 6012
; NumSgprs: 56
; NumVgprs: 86
; NumAgprs: 0
; TotalNumVgprs: 86
; ScratchSize: 0
; MemoryBound: 0
; FloatMode: 240
; IeeeMode: 1
; LDSByteSize: 8192 bytes/workgroup (compile time only)
; SGPRBlocks: 6
; VGPRBlocks: 10
; NumSGPRsForWavesPerEU: 56
; NumVGPRsForWavesPerEU: 86
; AccumOffset: 88
; Occupancy: 5
; WaveLimiterHint : 1
; COMPUTE_PGM_RSRC2:SCRATCH_EN: 0
; COMPUTE_PGM_RSRC2:USER_SGPR: 2
; COMPUTE_PGM_RSRC2:TRAP_HANDLER: 0
; COMPUTE_PGM_RSRC2:TGID_X_EN: 1
; COMPUTE_PGM_RSRC2:TGID_Y_EN: 1
; COMPUTE_PGM_RSRC2:TGID_Z_EN: 1
; COMPUTE_PGM_RSRC2:TIDIG_COMP_CNT: 0
; COMPUTE_PGM_RSRC3_GFX90A:ACCUM_OFFSET: 21
; COMPUTE_PGM_RSRC3_GFX90A:TG_SPLIT: 0
	.section	.text._Z39paged_attention_ll4mi_QKV_mfma16_kernelIDF16_hLN4vllm18Fp8KVCacheDataTypeE1EhLi16ELi128ELi256ELb0ELi6EEvPKT_PKT0_S7_ifPKiS9_S9_iPKfiiiPfSC_PS2_PT2_iSB_SB_,"axG",@progbits,_Z39paged_attention_ll4mi_QKV_mfma16_kernelIDF16_hLN4vllm18Fp8KVCacheDataTypeE1EhLi16ELi128ELi256ELb0ELi6EEvPKT_PKT0_S7_ifPKiS9_S9_iPKfiiiPfSC_PS2_PT2_iSB_SB_,comdat
	.protected	_Z39paged_attention_ll4mi_QKV_mfma16_kernelIDF16_hLN4vllm18Fp8KVCacheDataTypeE1EhLi16ELi128ELi256ELb0ELi6EEvPKT_PKT0_S7_ifPKiS9_S9_iPKfiiiPfSC_PS2_PT2_iSB_SB_ ; -- Begin function _Z39paged_attention_ll4mi_QKV_mfma16_kernelIDF16_hLN4vllm18Fp8KVCacheDataTypeE1EhLi16ELi128ELi256ELb0ELi6EEvPKT_PKT0_S7_ifPKiS9_S9_iPKfiiiPfSC_PS2_PT2_iSB_SB_
	.globl	_Z39paged_attention_ll4mi_QKV_mfma16_kernelIDF16_hLN4vllm18Fp8KVCacheDataTypeE1EhLi16ELi128ELi256ELb0ELi6EEvPKT_PKT0_S7_ifPKiS9_S9_iPKfiiiPfSC_PS2_PT2_iSB_SB_
	.p2align	8
	.type	_Z39paged_attention_ll4mi_QKV_mfma16_kernelIDF16_hLN4vllm18Fp8KVCacheDataTypeE1EhLi16ELi128ELi256ELb0ELi6EEvPKT_PKT0_S7_ifPKiS9_S9_iPKfiiiPfSC_PS2_PT2_iSB_SB_,@function
_Z39paged_attention_ll4mi_QKV_mfma16_kernelIDF16_hLN4vllm18Fp8KVCacheDataTypeE1EhLi16ELi128ELi256ELb0ELi6EEvPKT_PKT0_S7_ifPKiS9_S9_iPKfiiiPfSC_PS2_PT2_iSB_SB_: ; @_Z39paged_attention_ll4mi_QKV_mfma16_kernelIDF16_hLN4vllm18Fp8KVCacheDataTypeE1EhLi16ELi128ELi256ELb0ELi6EEvPKT_PKT0_S7_ifPKiS9_S9_iPKfiiiPfSC_PS2_PT2_iSB_SB_
; %bb.0:
	s_load_dwordx2 s[12:13], s[0:1], 0x30
	s_mov_b32 s24, s3
	s_mov_b64 s[6:7], 0
	s_waitcnt lgkmcnt(0)
	s_cmp_lg_u64 s[12:13], 0
	s_cselect_b64 s[14:15], -1, 0
	s_and_b64 vcc, exec, s[14:15]
	s_cbranch_vccz .LBB953_7
; %bb.1:
	s_add_i32 s8, s2, 1
	s_mov_b32 s9, 0
	s_lshl_b64 s[10:11], s[8:9], 2
	s_add_u32 s10, s12, s10
	s_mov_b32 s3, s9
	s_addc_u32 s11, s13, s11
	s_lshl_b64 s[8:9], s[2:3], 2
	s_add_u32 s8, s12, s8
	s_addc_u32 s9, s13, s9
	s_load_dword s5, s[10:11], 0x0
	s_load_dword s16, s[8:9], 0x0
	s_waitcnt lgkmcnt(0)
	s_sub_i32 s5, s5, s16
	s_cmp_eq_u32 s5, 1
	s_cselect_b64 s[8:9], -1, 0
	s_andn2_b64 vcc, exec, s[6:7]
	s_cbranch_vccnz .LBB953_3
.LBB953_2:
	s_mov_b32 s3, 0
	s_mov_b64 s[8:9], -1
.LBB953_3:
	s_andn2_b64 vcc, exec, s[8:9]
	s_cbranch_vccnz .LBB953_18
; %bb.4:
	s_load_dwordx2 s[6:7], s[0:1], 0x28
	s_lshl_b64 s[16:17], s[2:3], 2
	s_waitcnt lgkmcnt(0)
	s_add_u32 s6, s6, s16
	s_addc_u32 s7, s7, s17
	s_load_dword s33, s[6:7], 0x0
	s_lshl_b32 s18, s24, 8
	s_waitcnt lgkmcnt(0)
	s_cmp_ge_i32 s18, s33
	s_cbranch_scc1 .LBB953_18
; %bb.5:
	s_load_dwordx2 s[6:7], s[0:1], 0x20
	s_load_dword s8, s[0:1], 0x38
	s_add_i32 s5, s33, 15
	s_ashr_i32 s9, s5, 31
	v_and_b32_e32 v1, 0xcf, v0
	s_lshr_b32 s9, s9, 28
	v_add_u32_e32 v1, s18, v1
	s_add_i32 s5, s5, s9
	v_ashrrev_i32_e32 v2, 31, v1
	s_ashr_i32 s5, s5, 4
	v_lshrrev_b32_e32 v10, 28, v2
	s_add_i32 s5, s5, -1
	s_waitcnt lgkmcnt(0)
	s_mul_i32 s8, s2, s8
	s_mov_b32 s9, 0
	v_add_u32_e32 v2, v1, v10
	s_lshl_b64 s[8:9], s[8:9], 2
	v_ashrrev_i32_e32 v2, 4, v2
	v_mov_b32_e32 v11, s5
	v_cmp_gt_i32_e32 vcc, s33, v1
	s_add_u32 s6, s6, s8
	s_addc_u32 s7, s7, s9
	v_cndmask_b32_e32 v2, v11, v2, vcc
	v_ashrrev_i32_e32 v3, 31, v2
	v_lshl_add_u64 v[4:5], v[2:3], 2, s[6:7]
	v_or_b32_e32 v2, 16, v1
	v_add_u32_e32 v3, v2, v10
	v_ashrrev_i32_e32 v3, 4, v3
	v_cmp_gt_i32_e32 vcc, s33, v2
	s_load_dwordx4 s[8:11], s[0:1], 0x8
	s_nop 0
	v_cndmask_b32_e32 v2, v11, v3, vcc
	v_ashrrev_i32_e32 v3, 31, v2
	v_lshl_add_u64 v[6:7], v[2:3], 2, s[6:7]
	v_or_b32_e32 v2, 32, v1
	v_add_u32_e32 v3, v2, v10
	v_ashrrev_i32_e32 v3, 4, v3
	v_cmp_gt_i32_e32 vcc, s33, v2
	v_or_b32_e32 v1, 48, v1
	s_nop 0
	v_cndmask_b32_e32 v2, v11, v3, vcc
	v_ashrrev_i32_e32 v3, 31, v2
	v_lshl_add_u64 v[8:9], v[2:3], 2, s[6:7]
	v_add_u32_e32 v2, v1, v10
	v_ashrrev_i32_e32 v2, 4, v2
	v_cmp_gt_i32_e32 vcc, s33, v1
	s_nop 1
	v_cndmask_b32_e32 v2, v11, v2, vcc
	v_ashrrev_i32_e32 v3, 31, v2
	v_lshl_add_u64 v[10:11], v[2:3], 2, s[6:7]
	global_load_dword v3, v[4:5], off
	global_load_dword v2, v[6:7], off
	;; [unrolled: 1-line block ×4, first 2 shown]
	s_andn2_b64 vcc, exec, s[14:15]
	s_cbranch_vccnz .LBB953_8
; %bb.6:
	s_add_u32 s12, s12, s16
	s_addc_u32 s13, s13, s17
	s_load_dword s14, s[12:13], 0x0
	s_branch .LBB953_9
.LBB953_7:
	s_mov_b64 s[8:9], 0
	s_branch .LBB953_2
.LBB953_8:
	s_mov_b32 s14, s2
.LBB953_9:
	s_load_dwordx4 s[44:47], s[0:1], 0x48
	v_lshrrev_b32_e32 v61, 6, v0
	v_bfe_u32 v64, v0, 4, 2
	v_and_b32_e32 v60, 15, v0
	v_lshl_or_b32 v4, v61, 2, v64
	v_lshlrev_b32_e32 v1, 3, v60
	v_and_b32_e32 v65, 63, v0
	s_mul_i32 s48, s4, 6
	v_cmp_gt_u32_e32 vcc, 6, v4
	v_lshlrev_b32_e32 v58, 1, v1
	v_lshlrev_b32_e32 v1, 4, v0
	s_and_saveexec_b64 s[12:13], vcc
	s_cbranch_execz .LBB953_11
; %bb.10:
	s_load_dwordx2 s[16:17], s[0:1], 0x0
	s_waitcnt lgkmcnt(0)
	s_ashr_i32 s15, s44, 31
	s_mul_hi_u32 s19, s14, s44
	s_mul_i32 s15, s14, s15
	s_add_i32 s15, s19, s15
	s_mul_i32 s14, s14, s44
	s_lshl_b64 s[14:15], s[14:15], 1
	s_add_u32 s14, s16, s14
	v_add_lshl_u32 v6, v4, s48, 7
	s_addc_u32 s15, s17, s15
	v_ashrrev_i32_e32 v7, 31, v6
	v_lshl_add_u64 v[6:7], v[6:7], 1, s[14:15]
	v_mov_b32_e32 v59, 0
	v_lshl_add_u64 v[6:7], v[6:7], 0, v[58:59]
	global_load_dwordx4 v[6:9], v[6:7], off
	v_lshlrev_b32_e32 v10, 8, v0
	v_lshlrev_b32_e32 v5, 8, v60
	v_and_b32_e32 v10, 0x600, v10
	s_movk_i32 s14, 0x800
	v_and_or_b32 v5, v5, s14, v10
	v_lshlrev_b32_e32 v4, 5, v4
	v_and_b32_e32 v10, 16, v1
	v_or3_b32 v4, v5, v4, v10
	s_waitcnt vmcnt(0)
	ds_write_b128 v4, v[6:9]
.LBB953_11:
	s_or_b64 exec, exec, s[12:13]
	s_waitcnt lgkmcnt(0)
	s_mul_i32 s4, s4, s46
	s_add_u32 s8, s8, s4
	s_addc_u32 s9, s9, 0
	v_and_b32_e32 v62, 0xf0, v1
	v_mov_b32_e32 v63, 0
	v_and_b32_e32 v16, 48, v0
	v_lshl_add_u64 v[6:7], s[8:9], 0, v[62:63]
	v_lshlrev_b32_e32 v62, 4, v16
	s_waitcnt vmcnt(3)
	v_mad_i64_i32 v[4:5], s[8:9], v3, s45, v[6:7]
	v_lshl_add_u64 v[4:5], v[4:5], 0, v[62:63]
	s_load_dword s25, s[0:1], 0x98
	s_load_dwordx4 s[40:43], s[0:1], 0x80
	s_waitcnt lgkmcnt(0)
	s_barrier
	global_load_dwordx4 v[22:25], v[4:5], off
	global_load_dwordx4 v[10:13], v[4:5], off offset:1024
	s_waitcnt vmcnt(4)
	v_mad_i64_i32 v[2:3], s[12:13], v2, s45, v[6:7]
	v_lshl_add_u64 v[8:9], v[2:3], 0, v[62:63]
	global_load_dwordx4 v[2:5], v[8:9], off
	v_mul_lo_u16_e32 v17, 43, v60
	v_mov_b32_e32 v18, 6
	v_or_b32_e32 v16, s18, v16
	v_mov_b32_e32 v20, s5
	v_mul_lo_u16_sdwa v17, v17, v18 dst_sel:DWORD dst_unused:UNUSED_PAD src0_sel:BYTE_1 src1_sel:DWORD
	v_ashrrev_i32_e32 v18, 4, v16
	v_or_b32_e32 v21, 64, v16
	v_cmp_gt_i32_e32 vcc, s33, v16
	v_mov_b32_e32 v19, 5
	v_sub_u16_e32 v17, v60, v17
	v_or_b32_e32 v26, 0x80, v16
	v_or_b32_e32 v27, 0xc0, v16
	v_cndmask_b32_e32 v40, v20, v18, vcc
	v_ashrrev_i32_e32 v16, 4, v21
	v_cmp_gt_i32_e32 vcc, s33, v21
	v_lshlrev_b32_sdwa v17, v19, v17 dst_sel:DWORD dst_unused:UNUSED_PAD src0_sel:DWORD src1_sel:BYTE_0
	v_ashrrev_i32_e32 v18, 4, v26
	v_cndmask_b32_e32 v44, v20, v16, vcc
	v_cmp_gt_i32_e32 vcc, s33, v26
	v_ashrrev_i32_e32 v19, 4, v27
	v_lshl_add_u32 v36, v64, 9, v17
	v_cndmask_b32_e32 v46, v20, v18, vcc
	v_cmp_gt_i32_e32 vcc, s33, v27
	s_waitcnt vmcnt(4)
	v_mad_i64_i32 v[34:35], s[12:13], v14, s45, v[6:7]
	v_cndmask_b32_e32 v38, v20, v19, vcc
	ds_read_b128 v[26:29], v36
	ds_read_b128 v[18:21], v36 offset:16
	global_load_dwordx4 v[30:33], v[8:9], off offset:1024
	s_waitcnt vmcnt(4)
	v_mad_i64_i32 v[42:43], s[12:13], v15, s45, v[6:7]
	v_ashrrev_i32_e32 v41, 31, v40
	ds_read_b128 v[14:17], v36 offset:2048
	ds_read_b128 v[6:9], v36 offset:2064
	v_lshl_add_u64 v[36:37], v[34:35], 0, v[62:63]
	v_lshl_add_u64 v[34:35], v[42:43], 0, v[62:63]
	v_ashrrev_i32_e32 v45, 31, v44
	v_ashrrev_i32_e32 v47, 31, v46
	;; [unrolled: 1-line block ×3, first 2 shown]
	v_lshl_add_u64 v[50:51], v[40:41], 2, s[6:7]
	v_lshl_add_u64 v[52:53], v[44:45], 2, s[6:7]
	v_lshl_add_u64 v[54:55], v[46:47], 2, s[6:7]
	v_lshl_add_u64 v[56:57], v[38:39], 2, s[6:7]
	global_load_dwordx4 v[46:49], v[36:37], off
	global_load_dwordx4 v[42:45], v[36:37], off offset:1024
	global_load_dwordx4 v[38:41], v[34:35], off
	s_nop 0
	global_load_dwordx4 v[34:37], v[34:35], off offset:1024
	s_nop 0
	global_load_dword v69, v[50:51], off
	global_load_dword v68, v[52:53], off
	;; [unrolled: 1-line block ×4, first 2 shown]
	s_add_u32 s4, s10, s4
	v_lshl_or_b32 v59, v61, 4, v60
	s_addc_u32 s5, s11, 0
	v_lshlrev_b32_e32 v62, 4, v59
	s_load_dword s8, s[0:1], 0x1c
	s_waitcnt vmcnt(11)
	v_cvt_pk_f32_fp8_e32 v[50:51], v22
	v_cvt_pk_f32_fp8_sdwa v[52:53], v22 src0_sel:WORD_1
	v_cvt_pk_f32_fp8_e32 v[54:55], v23
	v_cvt_pk_f32_fp8_sdwa v[22:23], v23 src0_sel:WORD_1
	s_waitcnt vmcnt(10)
	v_cvt_pk_f32_fp8_e32 v[76:77], v10
	v_cvt_pk_f32_fp8_sdwa v[78:79], v10 src0_sel:WORD_1
	v_cvt_pk_f32_fp8_e32 v[80:81], v11
	v_cvt_pk_f32_fp8_sdwa v[82:83], v11 src0_sel:WORD_1
	v_cvt_pkrtz_f16_f32 v10, v50, v51
	v_cvt_pkrtz_f16_f32 v11, v52, v53
	v_cvt_pk_f32_fp8_e32 v[56:57], v24
	v_cvt_pk_f32_fp8_sdwa v[70:71], v24 src0_sel:WORD_1
	v_cvt_pkrtz_f16_f32 v54, v54, v55
	v_cvt_pkrtz_f16_f32 v55, v22, v23
	v_cvt_pk_f32_fp8_e32 v[72:73], v25
	v_cvt_pk_f32_fp8_sdwa v[74:75], v25 src0_sel:WORD_1
	s_waitcnt lgkmcnt(0)
	v_mfma_f32_16x16x16_f16 v[22:25], v[10:11], v[26:27], 0
	v_cvt_pkrtz_f16_f32 v10, v56, v57
	v_cvt_pkrtz_f16_f32 v11, v70, v71
	;; [unrolled: 1-line block ×3, first 2 shown]
	v_mfma_f32_16x16x16_f16 v[22:25], v[54:55], v[28:29], v[22:25]
	v_cvt_pkrtz_f16_f32 v57, v74, v75
	v_cvt_pk_f32_fp8_e32 v[50:51], v12
	v_cvt_pk_f32_fp8_sdwa v[52:53], v12 src0_sel:WORD_1
	v_cvt_pk_f32_fp8_e32 v[84:85], v13
	v_cvt_pk_f32_fp8_sdwa v[54:55], v13 src0_sel:WORD_1
	v_mfma_f32_16x16x16_f16 v[10:13], v[10:11], v[18:19], v[22:25]
	v_cvt_pkrtz_f16_f32 v70, v80, v81
	v_cvt_pkrtz_f16_f32 v71, v82, v83
	;; [unrolled: 1-line block ×5, first 2 shown]
	v_mfma_f32_16x16x16_f16 v[10:13], v[56:57], v[20:21], v[10:13]
	s_waitcnt vmcnt(9)
	v_cvt_pk_f32_fp8_e32 v[22:23], v2
	v_cvt_pk_f32_fp8_sdwa v[56:57], v2 src0_sel:WORD_1
	v_cvt_pkrtz_f16_f32 v51, v52, v53
	v_mfma_f32_16x16x16_f16 v[10:13], v[24:25], v[14:15], v[10:13]
	v_cvt_pk_f32_fp8_e32 v[24:25], v3
	v_cvt_pk_f32_fp8_sdwa v[2:3], v3 src0_sel:WORD_1
	v_cvt_pkrtz_f16_f32 v52, v84, v85
	v_mfma_f32_16x16x16_f16 v[10:13], v[70:71], v[16:17], v[10:13]
	v_cvt_pkrtz_f16_f32 v53, v54, v55
	v_cvt_pkrtz_f16_f32 v22, v22, v23
	;; [unrolled: 1-line block ×3, first 2 shown]
	v_mfma_f32_16x16x16_f16 v[10:13], v[50:51], v[6:7], v[10:13]
	v_cvt_pk_f32_fp8_e32 v[54:55], v4
	v_cvt_pk_f32_fp8_sdwa v[56:57], v4 src0_sel:WORD_1
	v_cvt_pkrtz_f16_f32 v24, v24, v25
	v_cvt_pkrtz_f16_f32 v25, v2, v3
	v_mfma_f32_16x16x16_f16 v[50:53], v[52:53], v[8:9], v[10:13]
	s_waitcnt vmcnt(7)
	v_cvt_pk_f32_fp8_e32 v[72:73], v49
	v_lshl_add_u64 v[70:71], s[4:5], 0, v[62:63]
	s_waitcnt vmcnt(6)
	v_cvt_pk_f32_fp8_sdwa v[76:77], v44 src0_sel:WORD_1
	v_mfma_f32_16x16x16_f16 v[10:13], v[22:23], v[26:27], 0
	v_cvt_pkrtz_f16_f32 v22, v54, v55
	v_cvt_pkrtz_f16_f32 v23, v56, v57
	v_cvt_pk_f32_fp8_e32 v[54:55], v5
	v_cvt_pk_f32_fp8_sdwa v[56:57], v5 src0_sel:WORD_1
	v_mfma_f32_16x16x16_f16 v[2:5], v[24:25], v[28:29], v[10:13]
	v_cvt_pk_f32_fp8_e32 v[24:25], v32
	v_or_b32_e32 v62, 0x400, v62
	s_nop 0
	v_cvt_pkrtz_f16_f32 v10, v54, v55
	v_cvt_pkrtz_f16_f32 v11, v56, v57
	v_mfma_f32_16x16x16_f16 v[2:5], v[22:23], v[18:19], v[2:5]
	v_cvt_pk_f32_fp8_e32 v[12:13], v30
	v_cvt_pk_f32_fp8_sdwa v[22:23], v30 src0_sel:WORD_1
	v_cvt_pkrtz_f16_f32 v12, v12, v13
	v_mfma_f32_16x16x16_f16 v[2:5], v[10:11], v[20:21], v[2:5]
	v_cvt_pk_f32_fp8_e32 v[10:11], v31
	v_cvt_pkrtz_f16_f32 v13, v22, v23
	v_cvt_pk_f32_fp8_sdwa v[22:23], v31 src0_sel:WORD_1
	v_cvt_pk_f32_fp8_sdwa v[30:31], v32 src0_sel:WORD_1
	v_cvt_pkrtz_f16_f32 v10, v10, v11
	v_mfma_f32_16x16x16_f16 v[2:5], v[12:13], v[14:15], v[2:5]
	v_cvt_pkrtz_f16_f32 v11, v22, v23
	v_cvt_pkrtz_f16_f32 v12, v24, v25
	;; [unrolled: 1-line block ×3, first 2 shown]
	v_cvt_pk_f32_fp8_e32 v[22:23], v33
	v_cvt_pk_f32_fp8_sdwa v[24:25], v33 src0_sel:WORD_1
	v_mfma_f32_16x16x16_f16 v[2:5], v[10:11], v[16:17], v[2:5]
	v_cvt_pkrtz_f16_f32 v10, v22, v23
	v_cvt_pkrtz_f16_f32 v11, v24, v25
	v_mfma_f32_16x16x16_f16 v[2:5], v[12:13], v[6:7], v[2:5]
	v_cvt_pk_f32_fp8_e32 v[12:13], v46
	v_cvt_pk_f32_fp8_sdwa v[22:23], v46 src0_sel:WORD_1
	v_cvt_pk_f32_fp8_sdwa v[24:25], v48 src0_sel:WORD_1
	v_mfma_f32_16x16x16_f16 v[54:57], v[10:11], v[8:9], v[2:5]
	v_cvt_pk_f32_fp8_sdwa v[10:11], v47 src0_sel:WORD_1
	s_nop 1
	v_cvt_pkrtz_f16_f32 v2, v12, v13
	v_cvt_pkrtz_f16_f32 v3, v22, v23
	v_cvt_pk_f32_fp8_e32 v[4:5], v47
	v_cvt_pkrtz_f16_f32 v23, v10, v11
	v_cvt_pk_f32_fp8_e32 v[10:11], v48
	v_cvt_pk_f32_fp8_sdwa v[48:49], v49 src0_sel:WORD_1
	v_cvt_pkrtz_f16_f32 v22, v4, v5
	v_mfma_f32_16x16x16_f16 v[2:5], v[2:3], v[26:27], 0
	v_cvt_pkrtz_f16_f32 v10, v10, v11
	v_cvt_pkrtz_f16_f32 v11, v24, v25
	s_waitcnt vmcnt(3)
	v_mad_i64_i32 v[12:13], s[6:7], v69, s45, v[70:71]
	v_mfma_f32_16x16x16_f16 v[2:5], v[22:23], v[28:29], v[2:5]
	s_waitcnt vmcnt(2)
	v_mad_i64_i32 v[46:47], s[6:7], v68, s45, v[70:71]
	global_load_dwordx4 v[30:33], v[12:13], off
	global_load_dwordx4 v[22:25], v[46:47], off
	v_cvt_pkrtz_f16_f32 v12, v72, v73
	v_cvt_pkrtz_f16_f32 v13, v48, v49
	v_mfma_f32_16x16x16_f16 v[2:5], v[10:11], v[18:19], v[2:5]
	v_cvt_pk_f32_fp8_e32 v[10:11], v42
	v_cvt_pk_f32_fp8_sdwa v[46:47], v42 src0_sel:WORD_1
	s_waitcnt vmcnt(3)
	v_mad_i64_i32 v[72:73], s[6:7], v67, s45, v[70:71]
	v_mfma_f32_16x16x16_f16 v[2:5], v[12:13], v[20:21], v[2:5]
	v_cvt_pkrtz_f16_f32 v10, v10, v11
	v_cvt_pkrtz_f16_f32 v11, v46, v47
	v_cvt_pk_f32_fp8_e32 v[12:13], v43
	v_cvt_pk_f32_fp8_sdwa v[42:43], v43 src0_sel:WORD_1
	v_mfma_f32_16x16x16_f16 v[46:49], v[10:11], v[14:15], v[2:5]
	v_cvt_pkrtz_f16_f32 v74, v12, v13
	v_cvt_pkrtz_f16_f32 v75, v42, v43
	v_cvt_pk_f32_fp8_e32 v[42:43], v44
	s_waitcnt vmcnt(2)
	v_mad_i64_i32 v[70:71], s[6:7], v66, s45, v[70:71]
	global_load_dwordx4 v[10:13], v[72:73], off
	global_load_dwordx4 v[2:5], v[70:71], off
	v_cvt_pkrtz_f16_f32 v70, v42, v43
	v_cvt_pkrtz_f16_f32 v71, v76, v77
	v_cvt_pk_f32_fp8_e32 v[72:73], v45
	v_cvt_pk_f32_fp8_sdwa v[76:77], v45 src0_sel:WORD_1
	v_mfma_f32_16x16x16_f16 v[44:47], v[74:75], v[16:17], v[46:49]
	v_lshl_add_u64 v[42:43], s[4:5], 0, v[62:63]
	v_cvt_pk_f32_fp8_e32 v[62:63], v38
	v_cvt_pk_f32_fp8_sdwa v[74:75], v38 src0_sel:WORD_1
	v_cvt_pkrtz_f16_f32 v48, v72, v73
	v_cvt_pkrtz_f16_f32 v49, v76, v77
	v_mfma_f32_16x16x16_f16 v[44:47], v[70:71], v[6:7], v[44:47]
	s_load_dword s4, s[40:41], 0x0
	s_mov_b32 s40, 0xff7fffff
	v_mfma_f32_16x16x16_f16 v[70:73], v[48:49], v[8:9], v[44:47]
	s_nop 3
	v_cvt_pk_f32_fp8_e32 v[44:45], v39
	v_cvt_pkrtz_f16_f32 v46, v62, v63
	v_cvt_pkrtz_f16_f32 v47, v74, v75
	v_cvt_pk_f32_fp8_sdwa v[38:39], v39 src0_sel:WORD_1
	v_cvt_pkrtz_f16_f32 v48, v44, v45
	v_cvt_pk_f32_fp8_e32 v[62:63], v40
	v_cvt_pk_f32_fp8_sdwa v[74:75], v40 src0_sel:WORD_1
	v_cvt_pkrtz_f16_f32 v49, v38, v39
	v_mfma_f32_16x16x16_f16 v[44:47], v[46:47], v[26:27], 0
	v_cvt_pkrtz_f16_f32 v38, v62, v63
	v_cvt_pkrtz_f16_f32 v39, v74, v75
	v_cvt_pk_f32_fp8_e32 v[62:63], v41
	v_cvt_pk_f32_fp8_sdwa v[74:75], v41 src0_sel:WORD_1
	v_mov_b32_e32 v26, s8
	s_waitcnt lgkmcnt(0)
	v_mul_f32_e32 v76, s4, v26
	v_mfma_f32_16x16x16_f16 v[26:29], v[48:49], v[28:29], v[44:47]
	v_cvt_pk_f32_fp8_sdwa v[48:49], v37 src0_sel:WORD_1
	v_pk_mul_f32 v[40:41], v[76:77], v[52:53] op_sel_hi:[0,1]
	v_pk_mul_f32 v[52:53], v[76:77], v[54:55] op_sel_hi:[0,1]
	v_cvt_pkrtz_f16_f32 v46, v62, v63
	v_cvt_pkrtz_f16_f32 v47, v74, v75
	v_mfma_f32_16x16x16_f16 v[26:29], v[38:39], v[18:19], v[26:29]
	v_cvt_pk_f32_fp8_e32 v[18:19], v34
	v_cvt_pk_f32_fp8_sdwa v[38:39], v34 src0_sel:WORD_1
	v_pk_mul_f32 v[44:45], v[76:77], v[50:51] op_sel_hi:[0,1]
	v_mfma_f32_16x16x16_f16 v[26:29], v[46:47], v[20:21], v[26:29]
	v_cvt_pkrtz_f16_f32 v20, v18, v19
	v_cvt_pkrtz_f16_f32 v21, v38, v39
	v_cvt_pk_f32_fp8_e32 v[38:39], v35
	v_cvt_pk_f32_fp8_sdwa v[34:35], v35 src0_sel:WORD_1
	v_mfma_f32_16x16x16_f16 v[26:29], v[20:21], v[14:15], v[26:29]
	v_cvt_pkrtz_f16_f32 v38, v38, v39
	v_cvt_pkrtz_f16_f32 v39, v34, v35
	v_cvt_pk_f32_fp8_e32 v[14:15], v36
	v_cvt_pk_f32_fp8_sdwa v[20:21], v36 src0_sel:WORD_1
	v_pk_mul_f32 v[50:51], v[76:77], v[70:71] op_sel_hi:[0,1]
	v_mad_i64_i32 v[18:19], s[4:5], v69, s45, v[42:43]
	v_cvt_pkrtz_f16_f32 v46, v14, v15
	v_cvt_pkrtz_f16_f32 v47, v20, v21
	v_cvt_pk_f32_fp8_e32 v[20:21], v37
	v_mfma_f32_16x16x16_f16 v[14:17], v[38:39], v[16:17], v[26:29]
	v_pk_mul_f32 v[36:37], v[76:77], v[56:57] op_sel_hi:[0,1]
	v_mad_i64_i32 v[34:35], s[4:5], v68, s45, v[42:43]
	v_cvt_pkrtz_f16_f32 v20, v20, v21
	v_cvt_pkrtz_f16_f32 v21, v48, v49
	v_mfma_f32_16x16x16_f16 v[14:17], v[46:47], v[6:7], v[14:17]
	v_pk_mul_f32 v[46:47], v[76:77], v[72:73] op_sel_hi:[0,1]
	v_mfma_f32_16x16x16_f16 v[6:9], v[20:21], v[8:9], v[14:17]
	global_load_dwordx4 v[26:29], v[18:19], off
	s_nop 0
	global_load_dwordx4 v[18:21], v[34:35], off
	s_nop 3
	v_pk_mul_f32 v[48:49], v[76:77], v[6:7] op_sel_hi:[0,1]
	v_and_b32_e32 v6, 0xc0, v0
	v_add_u32_e32 v6, s18, v6
	v_lshl_or_b32 v6, v64, 2, v6
	v_pk_mul_f32 v[38:39], v[76:77], v[8:9] op_sel_hi:[0,1]
	v_or_b32_e32 v9, 1, v6
	v_mov_b32_e32 v7, 0xff7fffff
	v_cmp_gt_i32_e64 s[26:27], s33, v6
	v_cmp_gt_i32_e64 s[28:29], s33, v9
	v_or_b32_e32 v14, 3, v6
	v_cndmask_b32_e64 v8, v7, v44, s[26:27]
	v_cndmask_b32_e64 v9, v7, v45, s[28:29]
	v_max3_f32 v8, v8, s40, v9
	v_or_b32_e32 v9, 2, v6
	v_cmp_gt_i32_e64 s[30:31], s33, v9
	v_cmp_gt_i32_e64 s[34:35], s33, v14
	s_nop 0
	v_cndmask_b32_e64 v9, v7, v40, s[30:31]
	v_cndmask_b32_e64 v14, v7, v41, s[34:35]
	v_max3_f32 v8, v8, v9, v14
	v_or_b32_e32 v9, 16, v6
	v_or_b32_e32 v14, 17, v6
	v_cmp_gt_i32_e64 s[18:19], s33, v9
	v_cmp_gt_i32_e64 s[20:21], s33, v14
	s_nop 0
	v_cndmask_b32_e64 v9, v7, v52, s[18:19]
	v_cndmask_b32_e64 v14, v7, v53, s[20:21]
	v_max3_f32 v8, v8, v9, v14
	v_or_b32_e32 v9, 18, v6
	;; [unrolled: 8-line block ×5, first 2 shown]
	v_or_b32_e32 v14, 49, v6
	v_cmp_gt_i32_e32 vcc, s33, v9
	v_cmp_gt_i32_e64 s[4:5], s33, v14
	s_nop 0
	v_cndmask_b32_e32 v9, v7, v48, vcc
	v_cndmask_b32_e64 v14, v7, v49, s[4:5]
	v_max3_f32 v8, v8, v9, v14
	v_or_b32_e32 v9, 50, v6
	v_or_b32_e32 v6, 51, v6
	v_cmp_gt_i32_e64 s[6:7], s33, v9
	v_cmp_gt_i32_e64 s[8:9], s33, v6
	s_nop 0
	v_cndmask_b32_e64 v9, v7, v38, s[6:7]
	v_cndmask_b32_e64 v6, v7, v39, s[8:9]
	v_max3_f32 v8, v8, v9, v6
	v_mbcnt_lo_u32_b32 v6, -1, 0
	v_mbcnt_hi_u32_b32 v9, -1, v6
	v_and_b32_e32 v6, 64, v9
	v_add_u32_e32 v14, 64, v6
	v_xor_b32_e32 v6, 32, v9
	v_cmp_lt_i32_e64 s[38:39], v6, v14
	s_nop 1
	v_cndmask_b32_e64 v6, v9, v6, s[38:39]
	v_lshlrev_b32_e32 v55, 2, v6
	ds_bpermute_b32 v15, v55, v8
	v_mad_i64_i32 v[6:7], s[38:39], v67, s45, v[42:43]
	s_waitcnt lgkmcnt(0)
	v_max_f32_e32 v15, v15, v15
	v_max_f32_e32 v34, v8, v15
	v_xor_b32_e32 v8, 16, v9
	v_cmp_lt_i32_e64 s[38:39], v8, v14
	s_nop 1
	v_cndmask_b32_e64 v8, v9, v8, s[38:39]
	v_lshlrev_b32_e32 v56, 2, v8
	v_mad_i64_i32 v[8:9], s[38:39], v66, s45, v[42:43]
	global_load_dwordx4 v[14:17], v[6:7], off
	s_nop 0
	global_load_dwordx4 v[6:9], v[8:9], off
	ds_bpermute_b32 v35, v56, v34
	s_waitcnt lgkmcnt(0)
	s_barrier
	v_max_f32_e32 v35, v35, v35
	v_max_f32_e32 v54, v34, v35
	v_sub_f32_e32 v42, v52, v54
	v_mul_f32_e32 v42, 0x3fb8aa3b, v42
	v_exp_f32_e32 v42, v42
	v_sub_f32_e32 v36, v36, v54
	v_sub_f32_e32 v34, v44, v54
	v_mul_f32_e32 v36, 0x3fb8aa3b, v36
	v_mul_f32_e32 v34, 0x3fb8aa3b, v34
	v_sub_f32_e32 v35, v45, v54
	v_sub_f32_e32 v43, v53, v54
	v_exp_f32_e32 v44, v36
	v_sub_f32_e32 v36, v37, v54
	v_sub_f32_e32 v48, v48, v54
	;; [unrolled: 1-line block ×3, first 2 shown]
	v_exp_f32_e32 v34, v34
	v_mul_f32_e32 v35, 0x3fb8aa3b, v35
	v_sub_f32_e32 v40, v40, v54
	v_mul_f32_e32 v43, 0x3fb8aa3b, v43
	v_mul_f32_e32 v36, 0x3fb8aa3b, v36
	;; [unrolled: 1-line block ×4, first 2 shown]
	v_exp_f32_e32 v35, v35
	v_mul_f32_e32 v40, 0x3fb8aa3b, v40
	v_sub_f32_e32 v41, v41, v54
	v_exp_f32_e32 v43, v43
	v_exp_f32_e32 v45, v36
	v_cndmask_b32_e64 v36, 0, v42, s[18:19]
	v_sub_f32_e32 v42, v50, v54
	v_exp_f32_e32 v48, v48
	v_exp_f32_e32 v50, v38
	;; [unrolled: 1-line block ×3, first 2 shown]
	v_mul_f32_e32 v41, 0x3fb8aa3b, v41
	v_exp_f32_e32 v41, v41
	v_sub_f32_e32 v38, v39, v54
	v_cndmask_b32_e64 v34, 0, v34, s[26:27]
	v_mul_f32_e32 v38, 0x3fb8aa3b, v38
	v_cndmask_b32_e64 v35, 0, v35, s[28:29]
	v_cndmask_b32_e64 v37, 0, v43, s[20:21]
	v_sub_f32_e32 v43, v51, v54
	v_exp_f32_e32 v51, v38
	v_cndmask_b32_e32 v38, 0, v48, vcc
	v_cndmask_b32_e64 v48, 0, v50, s[6:7]
	v_add_f32_e32 v50, 0, v34
	v_cndmask_b32_e64 v40, 0, v40, s[30:31]
	v_add_f32_e32 v50, v50, v35
	v_cndmask_b32_e64 v41, 0, v41, s[34:35]
	v_mul_f32_e32 v42, 0x3fb8aa3b, v42
	v_add_f32_e32 v50, v50, v40
	v_exp_f32_e32 v42, v42
	v_mul_f32_e32 v43, 0x3fb8aa3b, v43
	v_sub_f32_e32 v46, v46, v54
	v_add_f32_e32 v50, v50, v41
	v_exp_f32_e32 v43, v43
	v_mul_f32_e32 v46, 0x3fb8aa3b, v46
	v_sub_f32_e32 v47, v47, v54
	v_add_f32_e32 v50, v50, v36
	v_cndmask_b32_e64 v44, 0, v44, s[22:23]
	v_exp_f32_e32 v46, v46
	v_mul_f32_e32 v47, 0x3fb8aa3b, v47
	v_add_f32_e32 v50, v50, v37
	v_cndmask_b32_e64 v45, 0, v45, s[36:37]
	v_exp_f32_e32 v47, v47
	v_sub_f32_e32 v49, v49, v54
	v_add_f32_e32 v50, v50, v44
	v_cndmask_b32_e64 v42, 0, v42, s[10:11]
	v_mul_f32_e32 v49, 0x3fb8aa3b, v49
	v_add_f32_e32 v50, v50, v45
	v_cndmask_b32_e64 v43, 0, v43, s[12:13]
	v_exp_f32_e32 v49, v49
	v_add_f32_e32 v50, v50, v42
	v_cndmask_b32_e64 v46, 0, v46, s[14:15]
	v_add_f32_e32 v50, v50, v43
	v_cndmask_b32_e64 v47, 0, v47, s[16:17]
	v_add_f32_e32 v50, v50, v46
	v_add_f32_e32 v50, v50, v47
	v_cndmask_b32_e64 v39, 0, v49, s[4:5]
	v_add_f32_e32 v50, v50, v38
	;; [unrolled: 3-line block ×3, first 2 shown]
	v_add_f32_e32 v50, v50, v49
	ds_bpermute_b32 v51, v55, v50
	v_cmp_gt_u32_e32 vcc, 16, v65
	s_waitcnt lgkmcnt(0)
	v_add_f32_e32 v50, v50, v51
	ds_bpermute_b32 v51, v56, v50
	s_and_saveexec_b64 s[4:5], vcc
	s_cbranch_execz .LBB953_13
; %bb.12:
	s_waitcnt lgkmcnt(0)
	v_add_f32_e32 v50, v50, v51
	v_lshlrev_b32_e32 v51, 2, v59
	ds_write2st64_b32 v51, v54, v50 offset1:1
.LBB953_13:
	s_or_b64 exec, exec, s[4:5]
	s_waitcnt lgkmcnt(0)
	v_lshlrev_b32_e32 v51, 2, v60
	s_load_dword s6, s[0:1], 0x94
	s_waitcnt lgkmcnt(0)
	s_barrier
	ds_read2_b32 v[52:53], v51 offset1:16
	ds_read2_b32 v[54:55], v51 offset0:32 offset1:48
	ds_read2_b32 v[56:57], v51 offset0:64 offset1:80
	s_mul_i32 s7, s25, 6
	s_waitcnt lgkmcnt(2)
	v_max3_f32 v50, v52, s40, v53
	s_waitcnt lgkmcnt(1)
	v_max3_f32 v50, v50, v54, v55
	v_sub_f32_e32 v52, v52, v50
	v_mul_f32_e32 v52, 0x3fb8aa3b, v52
	v_exp_f32_e32 v59, v52
	v_sub_f32_e32 v52, v53, v50
	v_mul_f32_e32 v52, 0x3fb8aa3b, v52
	v_exp_f32_e32 v62, v52
	v_sub_f32_e32 v52, v54, v50
	v_mul_f32_e32 v52, 0x3fb8aa3b, v52
	v_exp_f32_e32 v54, v52
	ds_read2_b32 v[52:53], v51 offset0:96 offset1:112
	v_sub_f32_e32 v51, v55, v50
	v_mul_f32_e32 v51, 0x3fb8aa3b, v51
	v_exp_f32_e32 v55, v51
	s_waitcnt lgkmcnt(1)
	v_fma_f32 v51, v59, v56, 0
	v_fmac_f32_e32 v51, v62, v57
	s_waitcnt lgkmcnt(0)
	v_fmac_f32_e32 v51, v54, v52
	v_fmac_f32_e32 v51, v55, v53
	v_add_f32_e32 v52, 0x358637bd, v51
	v_div_scale_f32 v53, s[4:5], v52, v52, 1.0
	v_rcp_f32_e32 v56, v53
	s_barrier
	v_fma_f32 v57, -v53, v56, 1.0
	v_fmac_f32_e32 v56, v57, v56
	v_div_scale_f32 v57, vcc, 1.0, v52, 1.0
	v_mul_f32_e32 v63, v57, v56
	v_fma_f32 v65, -v53, v63, v57
	v_fmac_f32_e32 v63, v65, v56
	v_fma_f32 v53, -v53, v63, v57
	v_div_fmas_f32 v53, v53, v56, v63
	v_cmp_eq_u32_e32 vcc, 1, v61
	v_div_fixup_f32 v52, v53, v52, 1.0
	s_nop 0
	v_cndmask_b32_e32 v53, v59, v62, vcc
	v_cmp_eq_u32_e32 vcc, 2, v61
	s_nop 1
	v_cndmask_b32_e32 v53, v53, v54, vcc
	v_cmp_eq_u32_e32 vcc, 3, v61
	s_nop 1
	v_cndmask_b32_e32 v53, v53, v55, vcc
	v_mul_f32_e32 v52, v53, v52
	v_pk_mul_f32 v[40:41], v[52:53], v[40:41] op_sel_hi:[0,1]
	v_pk_mul_f32 v[34:35], v[52:53], v[34:35] op_sel_hi:[0,1]
	v_cvt_f16_f32_e32 v53, v40
	v_cvt_f16_f32_e32 v34, v34
	;; [unrolled: 1-line block ×4, first 2 shown]
	v_pk_mul_f32 v[44:45], v[52:53], v[44:45] op_sel_hi:[0,1]
	v_pk_mul_f32 v[36:37], v[52:53], v[36:37] op_sel_hi:[0,1]
	v_cvt_f16_f32_e32 v36, v36
	v_cvt_f16_f32_e32 v37, v37
	;; [unrolled: 1-line block ×4, first 2 shown]
	v_pack_b32_f16 v40, v34, v35
	v_pack_b32_f16 v41, v53, v41
	v_lshlrev_b32_e32 v35, 3, v64
	v_lshlrev_b32_e32 v34, 5, v60
	;; [unrolled: 1-line block ×3, first 2 shown]
	v_or3_b32 v54, v53, v34, v35
	v_pack_b32_f16 v36, v36, v37
	v_pack_b32_f16 v37, v44, v45
	ds_write2st64_b64 v54, v[40:41], v[36:37] offset1:1
	v_pk_mul_f32 v[36:37], v[52:53], v[46:47] op_sel_hi:[0,1]
	v_pk_mul_f32 v[40:41], v[52:53], v[42:43] op_sel_hi:[0,1]
	v_cvt_f16_f32_e32 v35, v40
	v_cvt_f16_f32_e32 v40, v41
	v_cvt_f16_f32_e32 v41, v36
	v_cvt_f16_f32_e32 v42, v37
	v_pk_mul_f32 v[36:37], v[52:53], v[48:49] op_sel_hi:[0,1]
	v_pk_mul_f32 v[38:39], v[52:53], v[38:39] op_sel_hi:[0,1]
	v_cvt_f16_f32_e32 v38, v38
	v_cvt_f16_f32_e32 v39, v39
	;; [unrolled: 1-line block ×4, first 2 shown]
	v_pack_b32_f16 v36, v35, v40
	v_pack_b32_f16 v37, v41, v42
	;; [unrolled: 1-line block ×4, first 2 shown]
	v_cmp_gt_u32_e32 vcc, 6, v0
	ds_write2st64_b64 v54, v[36:37], v[38:39] offset0:2 offset1:3
	s_and_saveexec_b64 s[4:5], vcc
	s_cbranch_execz .LBB953_15
; %bb.14:
	s_mov_b32 s49, 0
	v_mov_b32_e32 v61, 0
	v_lshl_add_u64 v[36:37], s[48:49], 0, v[60:61]
	v_mov_b32_e32 v35, s7
	v_mad_u64_u32 v[36:37], s[12:13], s2, v35, v[36:37]
	s_mul_i32 s3, s3, s7
	v_mov_b32_e32 v38, s24
	v_mov_b32_e32 v39, v61
	s_load_dwordx4 s[8:11], s[0:1], 0x58
	v_add_u32_e32 v35, s3, v37
	v_mad_u64_u32 v[36:37], s[12:13], v36, s6, v[38:39]
	v_mov_b32_e32 v38, v37
	v_mad_u64_u32 v[38:39], s[12:13], v35, s6, v[38:39]
	v_mov_b32_e32 v37, v38
	v_lshlrev_b64 v[36:37], 2, v[36:37]
	s_waitcnt lgkmcnt(0)
	v_lshl_add_u64 v[38:39], s[10:11], 0, v[36:37]
	v_lshl_add_u64 v[36:37], s[8:9], 0, v[36:37]
	global_store_dword v[38:39], v50, off
	global_store_dword v[36:37], v51, off
.LBB953_15:
	s_or_b64 exec, exec, s[4:5]
	s_waitcnt vmcnt(7)
	v_cvt_pk_f32_fp8_e32 v[36:37], v30
	v_lshl_or_b32 v50, v64, 9, v34
	v_cvt_pk_f32_fp8_sdwa v[34:35], v30 src0_sel:WORD_1
	s_waitcnt lgkmcnt(0)
	s_barrier
	v_cvt_pk_f32_fp8_e32 v[38:39], v31
	v_cvt_pkrtz_f16_f32 v30, v36, v37
	v_cvt_pk_f32_fp8_sdwa v[40:41], v31 src0_sel:WORD_1
	v_cvt_pkrtz_f16_f32 v31, v34, v35
	ds_read_b128 v[34:37], v50
	v_cvt_pkrtz_f16_f32 v46, v38, v39
	v_cvt_pkrtz_f16_f32 v47, v40, v41
	ds_read_b128 v[38:41], v50 offset:16
	v_cvt_pk_f32_fp8_e32 v[48:49], v32
	v_cvt_pk_f32_fp8_sdwa v[52:53], v32 src0_sel:WORD_1
	s_waitcnt lgkmcnt(1)
	v_mfma_f32_16x16x16_f16 v[42:45], v[30:31], v[34:35], 0
	s_waitcnt vmcnt(6)
	v_cvt_pk_f32_fp8_e32 v[56:57], v24
	v_cvt_pkrtz_f16_f32 v30, v48, v49
	v_cvt_pkrtz_f16_f32 v31, v52, v53
	v_cvt_pk_f32_fp8_e32 v[48:49], v33
	v_mfma_f32_16x16x16_f16 v[42:45], v[46:47], v[36:37], v[42:45]
	v_cvt_pk_f32_fp8_sdwa v[46:47], v33 src0_sel:WORD_1
	v_cvt_pk_f32_fp8_sdwa v[62:63], v24 src0_sel:WORD_1
	v_cvt_pkrtz_f16_f32 v48, v48, v49
	s_waitcnt lgkmcnt(0)
	v_mfma_f32_16x16x16_f16 v[30:33], v[30:31], v[38:39], v[42:45]
	v_cvt_pkrtz_f16_f32 v49, v46, v47
	s_waitcnt vmcnt(4)
	v_cvt_pk_f32_fp8_sdwa v[70:71], v4 src0_sel:WORD_1
	s_waitcnt vmcnt(3)
	v_cvt_pk_f32_fp8_sdwa v[72:73], v28 src0_sel:WORD_1
	v_cvt_pk_f32_fp8_e32 v[42:43], v22
	v_mfma_f32_16x16x16_f16 v[46:49], v[48:49], v[40:41], v[30:33]
	s_load_dword s4, s[42:43], 0x0
	s_mov_b32 s3, 0
	s_nop 0
	v_cvt_pk_f32_fp8_sdwa v[30:31], v22 src0_sel:WORD_1
	v_cvt_pk_f32_fp8_e32 v[32:33], v23
	v_cvt_pkrtz_f16_f32 v22, v42, v43
	v_cvt_pk_f32_fp8_sdwa v[42:43], v23 src0_sel:WORD_1
	v_cvt_pkrtz_f16_f32 v23, v30, v31
	v_cvt_pkrtz_f16_f32 v52, v32, v33
	ds_read_b128 v[30:33], v50 offset:2048
	v_cvt_pkrtz_f16_f32 v53, v42, v43
	ds_read_b128 v[42:45], v50 offset:2064
	s_waitcnt lgkmcnt(0)
	v_mfma_f32_16x16x16_f16 v[46:49], v[22:23], v[30:31], v[46:49]
	v_cvt_pkrtz_f16_f32 v22, v56, v57
	v_cvt_pkrtz_f16_f32 v23, v62, v63
	v_cvt_pk_f32_fp8_e32 v[56:57], v25
	v_mfma_f32_16x16x16_f16 v[46:49], v[52:53], v[32:33], v[46:49]
	v_cvt_pk_f32_fp8_sdwa v[52:53], v25 src0_sel:WORD_1
	v_cvt_pk_f32_fp8_sdwa v[62:63], v12 src0_sel:WORD_1
	v_cvt_pkrtz_f16_f32 v56, v56, v57
	v_mfma_f32_16x16x16_f16 v[22:25], v[22:23], v[42:43], v[46:49]
	v_cvt_pkrtz_f16_f32 v57, v52, v53
	v_cmp_gt_u32_e32 vcc, 64, v0
	s_nop 0
	v_cvt_pk_f32_fp8_e32 v[46:47], v10
	v_mfma_f32_16x16x16_f16 v[66:69], v[56:57], v[44:45], v[22:25]
	v_cvt_pk_f32_fp8_e32 v[56:57], v12
	s_nop 1
	v_cvt_pk_f32_fp8_sdwa v[22:23], v10 src0_sel:WORD_1
	v_cvt_pk_f32_fp8_e32 v[24:25], v11
	v_cvt_pkrtz_f16_f32 v10, v46, v47
	v_cvt_pk_f32_fp8_sdwa v[46:47], v11 src0_sel:WORD_1
	v_cvt_pkrtz_f16_f32 v11, v22, v23
	v_cvt_pkrtz_f16_f32 v52, v24, v25
	ds_read_b128 v[22:25], v50 offset:4096
	v_cvt_pkrtz_f16_f32 v53, v46, v47
	ds_read_b128 v[46:49], v50 offset:4112
	s_waitcnt lgkmcnt(1)
	v_mfma_f32_16x16x16_f16 v[66:69], v[10:11], v[22:23], v[66:69]
	v_cvt_pkrtz_f16_f32 v10, v56, v57
	v_cvt_pkrtz_f16_f32 v11, v62, v63
	v_cvt_pk_f32_fp8_e32 v[56:57], v13
	v_mfma_f32_16x16x16_f16 v[66:69], v[52:53], v[24:25], v[66:69]
	v_cvt_pk_f32_fp8_sdwa v[52:53], v13 src0_sel:WORD_1
	v_cvt_pk_f32_fp8_e32 v[62:63], v4
	v_cvt_pkrtz_f16_f32 v56, v56, v57
	s_waitcnt lgkmcnt(0)
	v_mfma_f32_16x16x16_f16 v[10:13], v[10:11], v[46:47], v[66:69]
	v_cvt_pkrtz_f16_f32 v57, v52, v53
	v_cvt_pk_f32_fp8_e32 v[52:53], v2
	s_nop 0
	v_mfma_f32_16x16x16_f16 v[66:69], v[56:57], v[48:49], v[10:13]
	s_nop 2
	v_cvt_pk_f32_fp8_sdwa v[10:11], v2 src0_sel:WORD_1
	v_cvt_pk_f32_fp8_e32 v[12:13], v3
	v_cvt_pkrtz_f16_f32 v2, v52, v53
	v_cvt_pk_f32_fp8_sdwa v[52:53], v3 src0_sel:WORD_1
	v_cvt_pkrtz_f16_f32 v3, v10, v11
	v_cvt_pkrtz_f16_f32 v56, v12, v13
	ds_read_b128 v[10:13], v50 offset:6144
	v_cvt_pkrtz_f16_f32 v57, v52, v53
	s_waitcnt lgkmcnt(0)
	v_mfma_f32_16x16x16_f16 v[66:69], v[2:3], v[10:11], v[66:69]
	ds_read_b128 v[50:53], v50 offset:6160
	v_cvt_pkrtz_f16_f32 v2, v62, v63
	v_cvt_pkrtz_f16_f32 v3, v70, v71
	v_cvt_pk_f32_fp8_e32 v[62:63], v5
	v_mfma_f32_16x16x16_f16 v[66:69], v[56:57], v[12:13], v[66:69]
	v_cvt_pk_f32_fp8_sdwa v[56:57], v5 src0_sel:WORD_1
	v_cvt_pk_f32_fp8_e32 v[70:71], v28
	v_cvt_pkrtz_f16_f32 v62, v62, v63
	s_waitcnt lgkmcnt(0)
	v_mfma_f32_16x16x16_f16 v[2:5], v[2:3], v[50:51], v[66:69]
	v_cvt_pkrtz_f16_f32 v63, v56, v57
	v_cvt_pk_f32_fp8_e32 v[56:57], v26
	s_nop 0
	v_cvt_pk_f32_fp8_sdwa v[66:67], v26 src0_sel:WORD_1
	v_mfma_f32_16x16x16_f16 v[2:5], v[62:63], v[52:53], v[2:5]
	v_cvt_pk_f32_fp8_e32 v[62:63], v27
	v_cvt_pkrtz_f16_f32 v56, v56, v57
	v_cvt_pkrtz_f16_f32 v57, v66, v67
	v_cvt_pk_f32_fp8_sdwa v[26:27], v27 src0_sel:WORD_1
	v_cvt_pkrtz_f16_f32 v62, v62, v63
	v_mfma_f32_16x16x16_f16 v[66:69], v[56:57], v[34:35], 0
	v_cvt_pkrtz_f16_f32 v63, v26, v27
	v_cvt_pkrtz_f16_f32 v26, v70, v71
	;; [unrolled: 1-line block ×3, first 2 shown]
	v_cvt_pk_f32_fp8_e32 v[56:57], v29
	v_mfma_f32_16x16x16_f16 v[34:37], v[62:63], v[36:37], v[66:69]
	v_cvt_pk_f32_fp8_sdwa v[62:63], v29 src0_sel:WORD_1
	v_cvt_pkrtz_f16_f32 v56, v56, v57
	s_barrier
	v_mfma_f32_16x16x16_f16 v[26:29], v[26:27], v[38:39], v[34:37]
	v_cvt_pkrtz_f16_f32 v57, v62, v63
	s_waitcnt vmcnt(2)
	v_cvt_pk_f32_fp8_e32 v[38:39], v19
	v_cvt_pk_f32_fp8_e32 v[34:35], v18
	v_cvt_pk_f32_fp8_sdwa v[36:37], v18 src0_sel:WORD_1
	v_cvt_pk_f32_fp8_sdwa v[18:19], v19 src0_sel:WORD_1
	v_mfma_f32_16x16x16_f16 v[26:29], v[56:57], v[40:41], v[26:29]
	v_cvt_pkrtz_f16_f32 v34, v34, v35
	v_cvt_pkrtz_f16_f32 v35, v36, v37
	;; [unrolled: 1-line block ×3, first 2 shown]
	v_cvt_pk_f32_fp8_e32 v[38:39], v20
	v_cvt_pk_f32_fp8_sdwa v[40:41], v20 src0_sel:WORD_1
	v_cvt_pkrtz_f16_f32 v37, v18, v19
	v_mfma_f32_16x16x16_f16 v[26:29], v[34:35], v[30:31], v[26:29]
	v_cvt_pkrtz_f16_f32 v30, v38, v39
	v_cvt_pkrtz_f16_f32 v31, v40, v41
	v_cvt_pk_f32_fp8_e32 v[34:35], v21
	v_cvt_pk_f32_fp8_sdwa v[38:39], v21 src0_sel:WORD_1
	v_mfma_f32_16x16x16_f16 v[18:21], v[36:37], v[32:33], v[26:29]
	s_waitcnt vmcnt(1)
	v_cvt_pk_f32_fp8_sdwa v[32:33], v16 src0_sel:WORD_1
	s_nop 0
	v_cvt_pkrtz_f16_f32 v26, v34, v35
	v_cvt_pkrtz_f16_f32 v27, v38, v39
	v_mfma_f32_16x16x16_f16 v[18:21], v[30:31], v[42:43], v[18:21]
	v_cvt_pk_f32_fp8_e32 v[28:29], v14
	v_cvt_pk_f32_fp8_sdwa v[30:31], v14 src0_sel:WORD_1
	v_cvt_pkrtz_f16_f32 v28, v28, v29
	v_mfma_f32_16x16x16_f16 v[18:21], v[26:27], v[44:45], v[18:21]
	v_cvt_pk_f32_fp8_e32 v[26:27], v15
	v_cvt_pkrtz_f16_f32 v29, v30, v31
	v_cvt_pk_f32_fp8_sdwa v[14:15], v15 src0_sel:WORD_1
	v_cvt_pk_f32_fp8_e32 v[30:31], v16
	v_cvt_pkrtz_f16_f32 v26, v26, v27
	v_mfma_f32_16x16x16_f16 v[18:21], v[28:29], v[22:23], v[18:21]
	v_cvt_pkrtz_f16_f32 v27, v14, v15
	v_cvt_pkrtz_f16_f32 v22, v30, v31
	;; [unrolled: 1-line block ×3, first 2 shown]
	v_cvt_pk_f32_fp8_e32 v[28:29], v17
	v_cvt_pk_f32_fp8_sdwa v[30:31], v17 src0_sel:WORD_1
	v_mfma_f32_16x16x16_f16 v[14:17], v[26:27], v[24:25], v[18:21]
	s_waitcnt vmcnt(0)
	v_cvt_pk_f32_fp8_sdwa v[24:25], v6 src0_sel:WORD_1
	s_nop 0
	v_pk_mul_f32 v[18:19], v[4:5], s[4:5] op_sel_hi:[1,0]
	v_cvt_pkrtz_f16_f32 v4, v28, v29
	v_cvt_pkrtz_f16_f32 v5, v30, v31
	v_mfma_f32_16x16x16_f16 v[14:17], v[22:23], v[46:47], v[14:17]
	v_cvt_pk_f32_fp8_e32 v[22:23], v6
	v_pk_mul_f32 v[20:21], v[2:3], s[4:5] op_sel_hi:[1,0]
	v_mfma_f32_16x16x16_f16 v[2:5], v[4:5], v[48:49], v[14:17]
	s_nop 3
	v_cvt_pk_f32_fp8_e32 v[14:15], v7
	v_cvt_pkrtz_f16_f32 v16, v22, v23
	v_cvt_pkrtz_f16_f32 v17, v24, v25
	v_cvt_pk_f32_fp8_sdwa v[6:7], v7 src0_sel:WORD_1
	v_cvt_pkrtz_f16_f32 v14, v14, v15
	v_cvt_pk_f32_fp8_e32 v[22:23], v8
	v_cvt_pk_f32_fp8_sdwa v[24:25], v8 src0_sel:WORD_1
	v_cvt_pkrtz_f16_f32 v15, v6, v7
	v_mfma_f32_16x16x16_f16 v[2:5], v[16:17], v[10:11], v[2:5]
	v_cvt_pkrtz_f16_f32 v6, v22, v23
	v_cvt_pkrtz_f16_f32 v7, v24, v25
	v_cvt_pk_f32_fp8_e32 v[10:11], v9
	v_cvt_pk_f32_fp8_sdwa v[8:9], v9 src0_sel:WORD_1
	v_mfma_f32_16x16x16_f16 v[2:5], v[14:15], v[12:13], v[2:5]
	v_cvt_f16_f32_e32 v12, v20
	v_cvt_pkrtz_f16_f32 v10, v10, v11
	v_cvt_pkrtz_f16_f32 v11, v8, v9
	v_mfma_f32_16x16x16_f16 v[2:5], v[6:7], v[50:51], v[2:5]
	v_cvt_f16_f32_e32 v6, v21
	v_cvt_f16_f32_e32 v7, v18
	;; [unrolled: 1-line block ×3, first 2 shown]
	v_mfma_f32_16x16x16_f16 v[2:5], v[10:11], v[52:53], v[2:5]
	s_nop 6
	v_pk_mul_f32 v[4:5], v[4:5], s[4:5] op_sel_hi:[1,0]
	v_pk_mul_f32 v[2:3], v[2:3], s[4:5] op_sel_hi:[1,0]
	v_cvt_f16_f32_e32 v11, v4
	v_cvt_f16_f32_e32 v9, v2
	;; [unrolled: 1-line block ×4, first 2 shown]
	v_pack_b32_f16 v2, v12, v6
	v_pack_b32_f16 v3, v7, v8
	;; [unrolled: 1-line block ×4, first 2 shown]
	ds_write2st64_b64 v54, v[2:3], v[4:5] offset1:1
	s_waitcnt lgkmcnt(0)
	s_barrier
	s_and_saveexec_b64 s[4:5], vcc
	s_cbranch_execz .LBB953_18
; %bb.16:
	s_load_dwordx2 s[4:5], s[0:1], 0x68
	s_lshl_b32 s0, s6, 7
	s_mul_i32 s1, s7, s2
	v_lshlrev_b32_e32 v4, 6, v60
	s_mul_hi_u32 s7, s1, s0
	s_mul_i32 s6, s1, s0
	v_lshl_or_b32 v0, v0, 10, v4
	s_lshl_b64 s[6:7], s[6:7], 1
	v_lshlrev_b32_e32 v3, 5, v64
	v_and_b32_e32 v1, 16, v1
	v_and_b32_e32 v0, 0x1a00, v0
	s_waitcnt lgkmcnt(0)
	s_add_u32 s1, s4, s6
	v_or3_b32 v3, v0, v3, v1
	s_addc_u32 s4, s5, s7
	s_lshl_b32 s2, s24, 7
	s_lshl_b64 s[2:3], s[2:3], 1
	ds_read_b128 v[4:7], v3
	s_add_u32 s2, s1, s2
	s_addc_u32 s3, s4, s3
	v_mov_b32_e32 v59, 0
	v_add_u32_e32 v8, s48, v64
	v_or_b32_e32 v2, 4, v64
	v_lshl_add_u64 v[0:1], s[2:3], 0, v[58:59]
	v_mad_u64_u32 v[8:9], s[2:3], v8, s0, 0
	v_lshl_add_u64 v[8:9], v[8:9], 1, v[0:1]
	v_cmp_gt_u32_e32 vcc, 6, v2
	s_waitcnt lgkmcnt(0)
	global_store_dwordx4 v[8:9], v[4:7], off
	s_and_b64 exec, exec, vcc
	s_cbranch_execz .LBB953_18
; %bb.17:
	ds_read_b128 v[4:7], v3 offset:128
	v_add_u32_e32 v2, s48, v2
	v_mad_u64_u32 v[2:3], s[0:1], v2, s0, 0
	v_lshl_add_u64 v[0:1], v[2:3], 1, v[0:1]
	s_waitcnt lgkmcnt(0)
	global_store_dwordx4 v[0:1], v[4:7], off
.LBB953_18:
	s_endpgm
	.section	.rodata,"a",@progbits
	.p2align	6, 0x0
	.amdhsa_kernel _Z39paged_attention_ll4mi_QKV_mfma16_kernelIDF16_hLN4vllm18Fp8KVCacheDataTypeE1EhLi16ELi128ELi256ELb0ELi6EEvPKT_PKT0_S7_ifPKiS9_S9_iPKfiiiPfSC_PS2_PT2_iSB_SB_
		.amdhsa_group_segment_fixed_size 8192
		.amdhsa_private_segment_fixed_size 0
		.amdhsa_kernarg_size 400
		.amdhsa_user_sgpr_count 2
		.amdhsa_user_sgpr_dispatch_ptr 0
		.amdhsa_user_sgpr_queue_ptr 0
		.amdhsa_user_sgpr_kernarg_segment_ptr 1
		.amdhsa_user_sgpr_dispatch_id 0
		.amdhsa_user_sgpr_kernarg_preload_length 0
		.amdhsa_user_sgpr_kernarg_preload_offset 0
		.amdhsa_user_sgpr_private_segment_size 0
		.amdhsa_uses_dynamic_stack 0
		.amdhsa_enable_private_segment 0
		.amdhsa_system_sgpr_workgroup_id_x 1
		.amdhsa_system_sgpr_workgroup_id_y 1
		.amdhsa_system_sgpr_workgroup_id_z 1
		.amdhsa_system_sgpr_workgroup_info 0
		.amdhsa_system_vgpr_workitem_id 0
		.amdhsa_next_free_vgpr 86
		.amdhsa_next_free_sgpr 50
		.amdhsa_accum_offset 88
		.amdhsa_reserve_vcc 1
		.amdhsa_float_round_mode_32 0
		.amdhsa_float_round_mode_16_64 0
		.amdhsa_float_denorm_mode_32 3
		.amdhsa_float_denorm_mode_16_64 3
		.amdhsa_dx10_clamp 1
		.amdhsa_ieee_mode 1
		.amdhsa_fp16_overflow 0
		.amdhsa_tg_split 0
		.amdhsa_exception_fp_ieee_invalid_op 0
		.amdhsa_exception_fp_denorm_src 0
		.amdhsa_exception_fp_ieee_div_zero 0
		.amdhsa_exception_fp_ieee_overflow 0
		.amdhsa_exception_fp_ieee_underflow 0
		.amdhsa_exception_fp_ieee_inexact 0
		.amdhsa_exception_int_div_zero 0
	.end_amdhsa_kernel
	.section	.text._Z39paged_attention_ll4mi_QKV_mfma16_kernelIDF16_hLN4vllm18Fp8KVCacheDataTypeE1EhLi16ELi128ELi256ELb0ELi6EEvPKT_PKT0_S7_ifPKiS9_S9_iPKfiiiPfSC_PS2_PT2_iSB_SB_,"axG",@progbits,_Z39paged_attention_ll4mi_QKV_mfma16_kernelIDF16_hLN4vllm18Fp8KVCacheDataTypeE1EhLi16ELi128ELi256ELb0ELi6EEvPKT_PKT0_S7_ifPKiS9_S9_iPKfiiiPfSC_PS2_PT2_iSB_SB_,comdat
.Lfunc_end953:
	.size	_Z39paged_attention_ll4mi_QKV_mfma16_kernelIDF16_hLN4vllm18Fp8KVCacheDataTypeE1EhLi16ELi128ELi256ELb0ELi6EEvPKT_PKT0_S7_ifPKiS9_S9_iPKfiiiPfSC_PS2_PT2_iSB_SB_, .Lfunc_end953-_Z39paged_attention_ll4mi_QKV_mfma16_kernelIDF16_hLN4vllm18Fp8KVCacheDataTypeE1EhLi16ELi128ELi256ELb0ELi6EEvPKT_PKT0_S7_ifPKiS9_S9_iPKfiiiPfSC_PS2_PT2_iSB_SB_
                                        ; -- End function
	.section	.AMDGPU.csdata,"",@progbits
; Kernel info:
; codeLenInByte = 6016
; NumSgprs: 56
; NumVgprs: 86
; NumAgprs: 0
; TotalNumVgprs: 86
; ScratchSize: 0
; MemoryBound: 0
; FloatMode: 240
; IeeeMode: 1
; LDSByteSize: 8192 bytes/workgroup (compile time only)
; SGPRBlocks: 6
; VGPRBlocks: 10
; NumSGPRsForWavesPerEU: 56
; NumVGPRsForWavesPerEU: 86
; AccumOffset: 88
; Occupancy: 5
; WaveLimiterHint : 1
; COMPUTE_PGM_RSRC2:SCRATCH_EN: 0
; COMPUTE_PGM_RSRC2:USER_SGPR: 2
; COMPUTE_PGM_RSRC2:TRAP_HANDLER: 0
; COMPUTE_PGM_RSRC2:TGID_X_EN: 1
; COMPUTE_PGM_RSRC2:TGID_Y_EN: 1
; COMPUTE_PGM_RSRC2:TGID_Z_EN: 1
; COMPUTE_PGM_RSRC2:TIDIG_COMP_CNT: 0
; COMPUTE_PGM_RSRC3_GFX90A:ACCUM_OFFSET: 21
; COMPUTE_PGM_RSRC3_GFX90A:TG_SPLIT: 0
	.section	.text._Z39paged_attention_ll4mi_QKV_mfma16_kernelIDF16_hLN4vllm18Fp8KVCacheDataTypeE1EhLi16ELi128ELi256ELb0ELi7EEvPKT_PKT0_S7_ifPKiS9_S9_iPKfiiiPfSC_PS2_PT2_iSB_SB_,"axG",@progbits,_Z39paged_attention_ll4mi_QKV_mfma16_kernelIDF16_hLN4vllm18Fp8KVCacheDataTypeE1EhLi16ELi128ELi256ELb0ELi7EEvPKT_PKT0_S7_ifPKiS9_S9_iPKfiiiPfSC_PS2_PT2_iSB_SB_,comdat
	.protected	_Z39paged_attention_ll4mi_QKV_mfma16_kernelIDF16_hLN4vllm18Fp8KVCacheDataTypeE1EhLi16ELi128ELi256ELb0ELi7EEvPKT_PKT0_S7_ifPKiS9_S9_iPKfiiiPfSC_PS2_PT2_iSB_SB_ ; -- Begin function _Z39paged_attention_ll4mi_QKV_mfma16_kernelIDF16_hLN4vllm18Fp8KVCacheDataTypeE1EhLi16ELi128ELi256ELb0ELi7EEvPKT_PKT0_S7_ifPKiS9_S9_iPKfiiiPfSC_PS2_PT2_iSB_SB_
	.globl	_Z39paged_attention_ll4mi_QKV_mfma16_kernelIDF16_hLN4vllm18Fp8KVCacheDataTypeE1EhLi16ELi128ELi256ELb0ELi7EEvPKT_PKT0_S7_ifPKiS9_S9_iPKfiiiPfSC_PS2_PT2_iSB_SB_
	.p2align	8
	.type	_Z39paged_attention_ll4mi_QKV_mfma16_kernelIDF16_hLN4vllm18Fp8KVCacheDataTypeE1EhLi16ELi128ELi256ELb0ELi7EEvPKT_PKT0_S7_ifPKiS9_S9_iPKfiiiPfSC_PS2_PT2_iSB_SB_,@function
_Z39paged_attention_ll4mi_QKV_mfma16_kernelIDF16_hLN4vllm18Fp8KVCacheDataTypeE1EhLi16ELi128ELi256ELb0ELi7EEvPKT_PKT0_S7_ifPKiS9_S9_iPKfiiiPfSC_PS2_PT2_iSB_SB_: ; @_Z39paged_attention_ll4mi_QKV_mfma16_kernelIDF16_hLN4vllm18Fp8KVCacheDataTypeE1EhLi16ELi128ELi256ELb0ELi7EEvPKT_PKT0_S7_ifPKiS9_S9_iPKfiiiPfSC_PS2_PT2_iSB_SB_
; %bb.0:
	s_load_dwordx2 s[12:13], s[0:1], 0x30
	s_mov_b32 s24, s3
	s_mov_b64 s[6:7], 0
	s_waitcnt lgkmcnt(0)
	s_cmp_lg_u64 s[12:13], 0
	s_cselect_b64 s[14:15], -1, 0
	s_and_b64 vcc, exec, s[14:15]
	s_cbranch_vccz .LBB954_7
; %bb.1:
	s_add_i32 s8, s2, 1
	s_mov_b32 s9, 0
	s_lshl_b64 s[10:11], s[8:9], 2
	s_add_u32 s10, s12, s10
	s_mov_b32 s3, s9
	s_addc_u32 s11, s13, s11
	s_lshl_b64 s[8:9], s[2:3], 2
	s_add_u32 s8, s12, s8
	s_addc_u32 s9, s13, s9
	s_load_dword s5, s[10:11], 0x0
	s_load_dword s16, s[8:9], 0x0
	s_waitcnt lgkmcnt(0)
	s_sub_i32 s5, s5, s16
	s_cmp_eq_u32 s5, 1
	s_cselect_b64 s[8:9], -1, 0
	s_andn2_b64 vcc, exec, s[6:7]
	s_cbranch_vccnz .LBB954_3
.LBB954_2:
	s_mov_b32 s3, 0
	s_mov_b64 s[8:9], -1
.LBB954_3:
	s_andn2_b64 vcc, exec, s[8:9]
	s_cbranch_vccnz .LBB954_18
; %bb.4:
	s_load_dwordx2 s[6:7], s[0:1], 0x28
	s_lshl_b64 s[16:17], s[2:3], 2
	s_waitcnt lgkmcnt(0)
	s_add_u32 s6, s6, s16
	s_addc_u32 s7, s7, s17
	s_load_dword s33, s[6:7], 0x0
	s_lshl_b32 s18, s24, 8
	s_waitcnt lgkmcnt(0)
	s_cmp_ge_i32 s18, s33
	s_cbranch_scc1 .LBB954_18
; %bb.5:
	s_load_dwordx2 s[6:7], s[0:1], 0x20
	s_load_dword s8, s[0:1], 0x38
	s_add_i32 s5, s33, 15
	s_ashr_i32 s9, s5, 31
	v_and_b32_e32 v1, 0xcf, v0
	s_lshr_b32 s9, s9, 28
	v_add_u32_e32 v1, s18, v1
	s_add_i32 s5, s5, s9
	v_ashrrev_i32_e32 v2, 31, v1
	s_ashr_i32 s5, s5, 4
	v_lshrrev_b32_e32 v10, 28, v2
	s_add_i32 s5, s5, -1
	s_waitcnt lgkmcnt(0)
	s_mul_i32 s8, s2, s8
	s_mov_b32 s9, 0
	v_add_u32_e32 v2, v1, v10
	s_lshl_b64 s[8:9], s[8:9], 2
	v_ashrrev_i32_e32 v2, 4, v2
	v_mov_b32_e32 v11, s5
	v_cmp_gt_i32_e32 vcc, s33, v1
	s_add_u32 s6, s6, s8
	s_addc_u32 s7, s7, s9
	v_cndmask_b32_e32 v2, v11, v2, vcc
	v_ashrrev_i32_e32 v3, 31, v2
	v_lshl_add_u64 v[4:5], v[2:3], 2, s[6:7]
	v_or_b32_e32 v2, 16, v1
	v_add_u32_e32 v3, v2, v10
	v_ashrrev_i32_e32 v3, 4, v3
	v_cmp_gt_i32_e32 vcc, s33, v2
	s_load_dwordx4 s[8:11], s[0:1], 0x8
	s_nop 0
	v_cndmask_b32_e32 v2, v11, v3, vcc
	v_ashrrev_i32_e32 v3, 31, v2
	v_lshl_add_u64 v[6:7], v[2:3], 2, s[6:7]
	v_or_b32_e32 v2, 32, v1
	v_add_u32_e32 v3, v2, v10
	v_ashrrev_i32_e32 v3, 4, v3
	v_cmp_gt_i32_e32 vcc, s33, v2
	v_or_b32_e32 v1, 48, v1
	s_nop 0
	v_cndmask_b32_e32 v2, v11, v3, vcc
	v_ashrrev_i32_e32 v3, 31, v2
	v_lshl_add_u64 v[8:9], v[2:3], 2, s[6:7]
	v_add_u32_e32 v2, v1, v10
	v_ashrrev_i32_e32 v2, 4, v2
	v_cmp_gt_i32_e32 vcc, s33, v1
	s_nop 1
	v_cndmask_b32_e32 v2, v11, v2, vcc
	v_ashrrev_i32_e32 v3, 31, v2
	v_lshl_add_u64 v[10:11], v[2:3], 2, s[6:7]
	global_load_dword v3, v[4:5], off
	global_load_dword v2, v[6:7], off
	;; [unrolled: 1-line block ×4, first 2 shown]
	s_andn2_b64 vcc, exec, s[14:15]
	s_cbranch_vccnz .LBB954_8
; %bb.6:
	s_add_u32 s12, s12, s16
	s_addc_u32 s13, s13, s17
	s_load_dword s14, s[12:13], 0x0
	s_branch .LBB954_9
.LBB954_7:
	s_mov_b64 s[8:9], 0
	s_branch .LBB954_2
.LBB954_8:
	s_mov_b32 s14, s2
.LBB954_9:
	s_load_dwordx4 s[44:47], s[0:1], 0x48
	v_lshrrev_b32_e32 v61, 6, v0
	v_bfe_u32 v64, v0, 4, 2
	v_and_b32_e32 v60, 15, v0
	v_lshl_or_b32 v4, v61, 2, v64
	v_lshlrev_b32_e32 v1, 3, v60
	v_and_b32_e32 v65, 63, v0
	s_mul_i32 s48, s4, 7
	v_cmp_gt_u32_e32 vcc, 7, v4
	v_lshlrev_b32_e32 v58, 1, v1
	v_lshlrev_b32_e32 v1, 4, v0
	s_and_saveexec_b64 s[12:13], vcc
	s_cbranch_execz .LBB954_11
; %bb.10:
	s_load_dwordx2 s[16:17], s[0:1], 0x0
	s_waitcnt lgkmcnt(0)
	s_ashr_i32 s15, s44, 31
	s_mul_hi_u32 s19, s14, s44
	s_mul_i32 s15, s14, s15
	s_add_i32 s15, s19, s15
	s_mul_i32 s14, s14, s44
	s_lshl_b64 s[14:15], s[14:15], 1
	s_add_u32 s14, s16, s14
	v_add_lshl_u32 v6, v4, s48, 7
	s_addc_u32 s15, s17, s15
	v_ashrrev_i32_e32 v7, 31, v6
	v_lshl_add_u64 v[6:7], v[6:7], 1, s[14:15]
	v_mov_b32_e32 v59, 0
	v_lshl_add_u64 v[6:7], v[6:7], 0, v[58:59]
	global_load_dwordx4 v[6:9], v[6:7], off
	v_lshlrev_b32_e32 v10, 8, v0
	v_lshlrev_b32_e32 v5, 8, v60
	v_and_b32_e32 v10, 0x600, v10
	s_movk_i32 s14, 0x800
	v_and_or_b32 v5, v5, s14, v10
	v_lshlrev_b32_e32 v4, 5, v4
	v_and_b32_e32 v10, 16, v1
	v_or3_b32 v4, v5, v4, v10
	s_waitcnt vmcnt(0)
	ds_write_b128 v4, v[6:9]
.LBB954_11:
	s_or_b64 exec, exec, s[12:13]
	s_waitcnt lgkmcnt(0)
	s_mul_i32 s4, s4, s46
	s_add_u32 s8, s8, s4
	s_addc_u32 s9, s9, 0
	v_and_b32_e32 v62, 0xf0, v1
	v_mov_b32_e32 v63, 0
	v_and_b32_e32 v16, 48, v0
	v_lshl_add_u64 v[6:7], s[8:9], 0, v[62:63]
	v_lshlrev_b32_e32 v62, 4, v16
	s_waitcnt vmcnt(3)
	v_mad_i64_i32 v[4:5], s[8:9], v3, s45, v[6:7]
	v_lshl_add_u64 v[4:5], v[4:5], 0, v[62:63]
	s_load_dword s25, s[0:1], 0x98
	s_load_dwordx4 s[40:43], s[0:1], 0x80
	s_waitcnt lgkmcnt(0)
	s_barrier
	global_load_dwordx4 v[22:25], v[4:5], off
	global_load_dwordx4 v[10:13], v[4:5], off offset:1024
	s_waitcnt vmcnt(4)
	v_mad_i64_i32 v[2:3], s[12:13], v2, s45, v[6:7]
	v_lshl_add_u64 v[8:9], v[2:3], 0, v[62:63]
	global_load_dwordx4 v[2:5], v[8:9], off
	v_mul_lo_u16_e32 v17, 37, v60
	v_mov_b32_e32 v18, 7
	v_or_b32_e32 v16, s18, v16
	v_mov_b32_e32 v20, s5
	v_mul_lo_u16_sdwa v17, v17, v18 dst_sel:DWORD dst_unused:UNUSED_PAD src0_sel:BYTE_1 src1_sel:DWORD
	v_ashrrev_i32_e32 v18, 4, v16
	v_or_b32_e32 v21, 64, v16
	v_cmp_gt_i32_e32 vcc, s33, v16
	v_mov_b32_e32 v19, 5
	v_sub_u16_e32 v17, v60, v17
	v_or_b32_e32 v26, 0x80, v16
	v_or_b32_e32 v27, 0xc0, v16
	v_cndmask_b32_e32 v40, v20, v18, vcc
	v_ashrrev_i32_e32 v16, 4, v21
	v_cmp_gt_i32_e32 vcc, s33, v21
	v_lshlrev_b32_sdwa v17, v19, v17 dst_sel:DWORD dst_unused:UNUSED_PAD src0_sel:DWORD src1_sel:BYTE_0
	v_ashrrev_i32_e32 v18, 4, v26
	v_cndmask_b32_e32 v44, v20, v16, vcc
	v_cmp_gt_i32_e32 vcc, s33, v26
	v_ashrrev_i32_e32 v19, 4, v27
	v_lshl_add_u32 v36, v64, 9, v17
	v_cndmask_b32_e32 v46, v20, v18, vcc
	v_cmp_gt_i32_e32 vcc, s33, v27
	s_waitcnt vmcnt(4)
	v_mad_i64_i32 v[34:35], s[12:13], v14, s45, v[6:7]
	v_cndmask_b32_e32 v38, v20, v19, vcc
	ds_read_b128 v[26:29], v36
	ds_read_b128 v[18:21], v36 offset:16
	global_load_dwordx4 v[30:33], v[8:9], off offset:1024
	s_waitcnt vmcnt(4)
	v_mad_i64_i32 v[42:43], s[12:13], v15, s45, v[6:7]
	v_ashrrev_i32_e32 v41, 31, v40
	ds_read_b128 v[14:17], v36 offset:2048
	ds_read_b128 v[6:9], v36 offset:2064
	v_lshl_add_u64 v[36:37], v[34:35], 0, v[62:63]
	v_lshl_add_u64 v[34:35], v[42:43], 0, v[62:63]
	v_ashrrev_i32_e32 v45, 31, v44
	v_ashrrev_i32_e32 v47, 31, v46
	;; [unrolled: 1-line block ×3, first 2 shown]
	v_lshl_add_u64 v[50:51], v[40:41], 2, s[6:7]
	v_lshl_add_u64 v[52:53], v[44:45], 2, s[6:7]
	;; [unrolled: 1-line block ×4, first 2 shown]
	global_load_dwordx4 v[46:49], v[36:37], off
	global_load_dwordx4 v[42:45], v[36:37], off offset:1024
	global_load_dwordx4 v[38:41], v[34:35], off
	s_nop 0
	global_load_dwordx4 v[34:37], v[34:35], off offset:1024
	s_nop 0
	global_load_dword v69, v[50:51], off
	global_load_dword v68, v[52:53], off
	;; [unrolled: 1-line block ×4, first 2 shown]
	s_add_u32 s4, s10, s4
	v_lshl_or_b32 v59, v61, 4, v60
	s_addc_u32 s5, s11, 0
	v_lshlrev_b32_e32 v62, 4, v59
	s_load_dword s8, s[0:1], 0x1c
	s_waitcnt vmcnt(11)
	v_cvt_pk_f32_fp8_e32 v[50:51], v22
	v_cvt_pk_f32_fp8_sdwa v[52:53], v22 src0_sel:WORD_1
	v_cvt_pk_f32_fp8_e32 v[54:55], v23
	v_cvt_pk_f32_fp8_sdwa v[22:23], v23 src0_sel:WORD_1
	s_waitcnt vmcnt(10)
	v_cvt_pk_f32_fp8_e32 v[76:77], v10
	v_cvt_pk_f32_fp8_sdwa v[78:79], v10 src0_sel:WORD_1
	v_cvt_pk_f32_fp8_e32 v[80:81], v11
	v_cvt_pk_f32_fp8_sdwa v[82:83], v11 src0_sel:WORD_1
	v_cvt_pkrtz_f16_f32 v10, v50, v51
	v_cvt_pkrtz_f16_f32 v11, v52, v53
	v_cvt_pk_f32_fp8_e32 v[56:57], v24
	v_cvt_pk_f32_fp8_sdwa v[70:71], v24 src0_sel:WORD_1
	v_cvt_pkrtz_f16_f32 v54, v54, v55
	v_cvt_pkrtz_f16_f32 v55, v22, v23
	v_cvt_pk_f32_fp8_e32 v[72:73], v25
	v_cvt_pk_f32_fp8_sdwa v[74:75], v25 src0_sel:WORD_1
	s_waitcnt lgkmcnt(0)
	v_mfma_f32_16x16x16_f16 v[22:25], v[10:11], v[26:27], 0
	v_cvt_pkrtz_f16_f32 v10, v56, v57
	v_cvt_pkrtz_f16_f32 v11, v70, v71
	;; [unrolled: 1-line block ×3, first 2 shown]
	v_mfma_f32_16x16x16_f16 v[22:25], v[54:55], v[28:29], v[22:25]
	v_cvt_pkrtz_f16_f32 v57, v74, v75
	v_cvt_pk_f32_fp8_e32 v[50:51], v12
	v_cvt_pk_f32_fp8_sdwa v[52:53], v12 src0_sel:WORD_1
	v_cvt_pk_f32_fp8_e32 v[84:85], v13
	v_cvt_pk_f32_fp8_sdwa v[54:55], v13 src0_sel:WORD_1
	v_mfma_f32_16x16x16_f16 v[10:13], v[10:11], v[18:19], v[22:25]
	v_cvt_pkrtz_f16_f32 v70, v80, v81
	v_cvt_pkrtz_f16_f32 v71, v82, v83
	;; [unrolled: 1-line block ×5, first 2 shown]
	v_mfma_f32_16x16x16_f16 v[10:13], v[56:57], v[20:21], v[10:13]
	s_waitcnt vmcnt(9)
	v_cvt_pk_f32_fp8_e32 v[22:23], v2
	v_cvt_pk_f32_fp8_sdwa v[56:57], v2 src0_sel:WORD_1
	v_cvt_pkrtz_f16_f32 v51, v52, v53
	v_mfma_f32_16x16x16_f16 v[10:13], v[24:25], v[14:15], v[10:13]
	v_cvt_pk_f32_fp8_e32 v[24:25], v3
	v_cvt_pk_f32_fp8_sdwa v[2:3], v3 src0_sel:WORD_1
	v_cvt_pkrtz_f16_f32 v52, v84, v85
	v_mfma_f32_16x16x16_f16 v[10:13], v[70:71], v[16:17], v[10:13]
	v_cvt_pkrtz_f16_f32 v53, v54, v55
	v_cvt_pkrtz_f16_f32 v22, v22, v23
	;; [unrolled: 1-line block ×3, first 2 shown]
	v_mfma_f32_16x16x16_f16 v[10:13], v[50:51], v[6:7], v[10:13]
	v_cvt_pk_f32_fp8_e32 v[54:55], v4
	v_cvt_pk_f32_fp8_sdwa v[56:57], v4 src0_sel:WORD_1
	v_cvt_pkrtz_f16_f32 v24, v24, v25
	v_cvt_pkrtz_f16_f32 v25, v2, v3
	v_mfma_f32_16x16x16_f16 v[50:53], v[52:53], v[8:9], v[10:13]
	s_waitcnt vmcnt(7)
	v_cvt_pk_f32_fp8_e32 v[72:73], v49
	v_lshl_add_u64 v[70:71], s[4:5], 0, v[62:63]
	s_waitcnt vmcnt(6)
	v_cvt_pk_f32_fp8_sdwa v[76:77], v44 src0_sel:WORD_1
	v_mfma_f32_16x16x16_f16 v[10:13], v[22:23], v[26:27], 0
	v_cvt_pkrtz_f16_f32 v22, v54, v55
	v_cvt_pkrtz_f16_f32 v23, v56, v57
	v_cvt_pk_f32_fp8_e32 v[54:55], v5
	v_cvt_pk_f32_fp8_sdwa v[56:57], v5 src0_sel:WORD_1
	v_mfma_f32_16x16x16_f16 v[2:5], v[24:25], v[28:29], v[10:13]
	v_cvt_pk_f32_fp8_e32 v[24:25], v32
	v_or_b32_e32 v62, 0x400, v62
	s_nop 0
	v_cvt_pkrtz_f16_f32 v10, v54, v55
	v_cvt_pkrtz_f16_f32 v11, v56, v57
	v_mfma_f32_16x16x16_f16 v[2:5], v[22:23], v[18:19], v[2:5]
	v_cvt_pk_f32_fp8_e32 v[12:13], v30
	v_cvt_pk_f32_fp8_sdwa v[22:23], v30 src0_sel:WORD_1
	v_cvt_pkrtz_f16_f32 v12, v12, v13
	v_mfma_f32_16x16x16_f16 v[2:5], v[10:11], v[20:21], v[2:5]
	v_cvt_pk_f32_fp8_e32 v[10:11], v31
	v_cvt_pkrtz_f16_f32 v13, v22, v23
	v_cvt_pk_f32_fp8_sdwa v[22:23], v31 src0_sel:WORD_1
	v_cvt_pk_f32_fp8_sdwa v[30:31], v32 src0_sel:WORD_1
	v_cvt_pkrtz_f16_f32 v10, v10, v11
	v_mfma_f32_16x16x16_f16 v[2:5], v[12:13], v[14:15], v[2:5]
	v_cvt_pkrtz_f16_f32 v11, v22, v23
	v_cvt_pkrtz_f16_f32 v12, v24, v25
	v_cvt_pkrtz_f16_f32 v13, v30, v31
	v_cvt_pk_f32_fp8_e32 v[22:23], v33
	v_cvt_pk_f32_fp8_sdwa v[24:25], v33 src0_sel:WORD_1
	v_mfma_f32_16x16x16_f16 v[2:5], v[10:11], v[16:17], v[2:5]
	v_cvt_pkrtz_f16_f32 v10, v22, v23
	v_cvt_pkrtz_f16_f32 v11, v24, v25
	v_mfma_f32_16x16x16_f16 v[2:5], v[12:13], v[6:7], v[2:5]
	v_cvt_pk_f32_fp8_e32 v[12:13], v46
	v_cvt_pk_f32_fp8_sdwa v[22:23], v46 src0_sel:WORD_1
	v_cvt_pk_f32_fp8_sdwa v[24:25], v48 src0_sel:WORD_1
	v_mfma_f32_16x16x16_f16 v[54:57], v[10:11], v[8:9], v[2:5]
	v_cvt_pk_f32_fp8_sdwa v[10:11], v47 src0_sel:WORD_1
	s_nop 1
	v_cvt_pkrtz_f16_f32 v2, v12, v13
	v_cvt_pkrtz_f16_f32 v3, v22, v23
	v_cvt_pk_f32_fp8_e32 v[4:5], v47
	v_cvt_pkrtz_f16_f32 v23, v10, v11
	v_cvt_pk_f32_fp8_e32 v[10:11], v48
	v_cvt_pk_f32_fp8_sdwa v[48:49], v49 src0_sel:WORD_1
	v_cvt_pkrtz_f16_f32 v22, v4, v5
	v_mfma_f32_16x16x16_f16 v[2:5], v[2:3], v[26:27], 0
	v_cvt_pkrtz_f16_f32 v10, v10, v11
	v_cvt_pkrtz_f16_f32 v11, v24, v25
	s_waitcnt vmcnt(3)
	v_mad_i64_i32 v[12:13], s[6:7], v69, s45, v[70:71]
	v_mfma_f32_16x16x16_f16 v[2:5], v[22:23], v[28:29], v[2:5]
	s_waitcnt vmcnt(2)
	v_mad_i64_i32 v[46:47], s[6:7], v68, s45, v[70:71]
	global_load_dwordx4 v[30:33], v[12:13], off
	global_load_dwordx4 v[22:25], v[46:47], off
	v_cvt_pkrtz_f16_f32 v12, v72, v73
	v_cvt_pkrtz_f16_f32 v13, v48, v49
	v_mfma_f32_16x16x16_f16 v[2:5], v[10:11], v[18:19], v[2:5]
	v_cvt_pk_f32_fp8_e32 v[10:11], v42
	v_cvt_pk_f32_fp8_sdwa v[46:47], v42 src0_sel:WORD_1
	s_waitcnt vmcnt(3)
	v_mad_i64_i32 v[72:73], s[6:7], v67, s45, v[70:71]
	v_mfma_f32_16x16x16_f16 v[2:5], v[12:13], v[20:21], v[2:5]
	v_cvt_pkrtz_f16_f32 v10, v10, v11
	v_cvt_pkrtz_f16_f32 v11, v46, v47
	v_cvt_pk_f32_fp8_e32 v[12:13], v43
	v_cvt_pk_f32_fp8_sdwa v[42:43], v43 src0_sel:WORD_1
	v_mfma_f32_16x16x16_f16 v[46:49], v[10:11], v[14:15], v[2:5]
	v_cvt_pkrtz_f16_f32 v74, v12, v13
	v_cvt_pkrtz_f16_f32 v75, v42, v43
	v_cvt_pk_f32_fp8_e32 v[42:43], v44
	s_waitcnt vmcnt(2)
	v_mad_i64_i32 v[70:71], s[6:7], v66, s45, v[70:71]
	global_load_dwordx4 v[10:13], v[72:73], off
	global_load_dwordx4 v[2:5], v[70:71], off
	v_cvt_pkrtz_f16_f32 v70, v42, v43
	v_cvt_pkrtz_f16_f32 v71, v76, v77
	v_cvt_pk_f32_fp8_e32 v[72:73], v45
	v_cvt_pk_f32_fp8_sdwa v[76:77], v45 src0_sel:WORD_1
	v_mfma_f32_16x16x16_f16 v[44:47], v[74:75], v[16:17], v[46:49]
	v_lshl_add_u64 v[42:43], s[4:5], 0, v[62:63]
	v_cvt_pk_f32_fp8_e32 v[62:63], v38
	v_cvt_pk_f32_fp8_sdwa v[74:75], v38 src0_sel:WORD_1
	v_cvt_pkrtz_f16_f32 v48, v72, v73
	v_cvt_pkrtz_f16_f32 v49, v76, v77
	v_mfma_f32_16x16x16_f16 v[44:47], v[70:71], v[6:7], v[44:47]
	s_load_dword s4, s[40:41], 0x0
	s_mov_b32 s40, 0xff7fffff
	v_mfma_f32_16x16x16_f16 v[70:73], v[48:49], v[8:9], v[44:47]
	s_nop 3
	v_cvt_pk_f32_fp8_e32 v[44:45], v39
	v_cvt_pkrtz_f16_f32 v46, v62, v63
	v_cvt_pkrtz_f16_f32 v47, v74, v75
	v_cvt_pk_f32_fp8_sdwa v[38:39], v39 src0_sel:WORD_1
	v_cvt_pkrtz_f16_f32 v48, v44, v45
	v_cvt_pk_f32_fp8_e32 v[62:63], v40
	v_cvt_pk_f32_fp8_sdwa v[74:75], v40 src0_sel:WORD_1
	v_cvt_pkrtz_f16_f32 v49, v38, v39
	v_mfma_f32_16x16x16_f16 v[44:47], v[46:47], v[26:27], 0
	v_cvt_pkrtz_f16_f32 v38, v62, v63
	v_cvt_pkrtz_f16_f32 v39, v74, v75
	v_cvt_pk_f32_fp8_e32 v[62:63], v41
	v_cvt_pk_f32_fp8_sdwa v[74:75], v41 src0_sel:WORD_1
	v_mov_b32_e32 v26, s8
	s_waitcnt lgkmcnt(0)
	v_mul_f32_e32 v76, s4, v26
	v_mfma_f32_16x16x16_f16 v[26:29], v[48:49], v[28:29], v[44:47]
	v_cvt_pk_f32_fp8_sdwa v[48:49], v37 src0_sel:WORD_1
	v_pk_mul_f32 v[40:41], v[76:77], v[52:53] op_sel_hi:[0,1]
	v_pk_mul_f32 v[52:53], v[76:77], v[54:55] op_sel_hi:[0,1]
	v_cvt_pkrtz_f16_f32 v46, v62, v63
	v_cvt_pkrtz_f16_f32 v47, v74, v75
	v_mfma_f32_16x16x16_f16 v[26:29], v[38:39], v[18:19], v[26:29]
	v_cvt_pk_f32_fp8_e32 v[18:19], v34
	v_cvt_pk_f32_fp8_sdwa v[38:39], v34 src0_sel:WORD_1
	v_pk_mul_f32 v[44:45], v[76:77], v[50:51] op_sel_hi:[0,1]
	v_mfma_f32_16x16x16_f16 v[26:29], v[46:47], v[20:21], v[26:29]
	v_cvt_pkrtz_f16_f32 v20, v18, v19
	v_cvt_pkrtz_f16_f32 v21, v38, v39
	v_cvt_pk_f32_fp8_e32 v[38:39], v35
	v_cvt_pk_f32_fp8_sdwa v[34:35], v35 src0_sel:WORD_1
	v_mfma_f32_16x16x16_f16 v[26:29], v[20:21], v[14:15], v[26:29]
	v_cvt_pkrtz_f16_f32 v38, v38, v39
	v_cvt_pkrtz_f16_f32 v39, v34, v35
	v_cvt_pk_f32_fp8_e32 v[14:15], v36
	v_cvt_pk_f32_fp8_sdwa v[20:21], v36 src0_sel:WORD_1
	v_pk_mul_f32 v[50:51], v[76:77], v[70:71] op_sel_hi:[0,1]
	v_mad_i64_i32 v[18:19], s[4:5], v69, s45, v[42:43]
	v_cvt_pkrtz_f16_f32 v46, v14, v15
	v_cvt_pkrtz_f16_f32 v47, v20, v21
	v_cvt_pk_f32_fp8_e32 v[20:21], v37
	v_mfma_f32_16x16x16_f16 v[14:17], v[38:39], v[16:17], v[26:29]
	v_pk_mul_f32 v[36:37], v[76:77], v[56:57] op_sel_hi:[0,1]
	v_mad_i64_i32 v[34:35], s[4:5], v68, s45, v[42:43]
	v_cvt_pkrtz_f16_f32 v20, v20, v21
	v_cvt_pkrtz_f16_f32 v21, v48, v49
	v_mfma_f32_16x16x16_f16 v[14:17], v[46:47], v[6:7], v[14:17]
	v_pk_mul_f32 v[46:47], v[76:77], v[72:73] op_sel_hi:[0,1]
	v_mfma_f32_16x16x16_f16 v[6:9], v[20:21], v[8:9], v[14:17]
	global_load_dwordx4 v[26:29], v[18:19], off
	s_nop 0
	global_load_dwordx4 v[18:21], v[34:35], off
	s_nop 3
	v_pk_mul_f32 v[48:49], v[76:77], v[6:7] op_sel_hi:[0,1]
	v_and_b32_e32 v6, 0xc0, v0
	v_add_u32_e32 v6, s18, v6
	v_lshl_or_b32 v6, v64, 2, v6
	v_pk_mul_f32 v[38:39], v[76:77], v[8:9] op_sel_hi:[0,1]
	v_or_b32_e32 v9, 1, v6
	v_mov_b32_e32 v7, 0xff7fffff
	v_cmp_gt_i32_e64 s[26:27], s33, v6
	v_cmp_gt_i32_e64 s[28:29], s33, v9
	v_or_b32_e32 v14, 3, v6
	v_cndmask_b32_e64 v8, v7, v44, s[26:27]
	v_cndmask_b32_e64 v9, v7, v45, s[28:29]
	v_max3_f32 v8, v8, s40, v9
	v_or_b32_e32 v9, 2, v6
	v_cmp_gt_i32_e64 s[30:31], s33, v9
	v_cmp_gt_i32_e64 s[34:35], s33, v14
	s_nop 0
	v_cndmask_b32_e64 v9, v7, v40, s[30:31]
	v_cndmask_b32_e64 v14, v7, v41, s[34:35]
	v_max3_f32 v8, v8, v9, v14
	v_or_b32_e32 v9, 16, v6
	v_or_b32_e32 v14, 17, v6
	v_cmp_gt_i32_e64 s[18:19], s33, v9
	v_cmp_gt_i32_e64 s[20:21], s33, v14
	s_nop 0
	v_cndmask_b32_e64 v9, v7, v52, s[18:19]
	v_cndmask_b32_e64 v14, v7, v53, s[20:21]
	v_max3_f32 v8, v8, v9, v14
	v_or_b32_e32 v9, 18, v6
	;; [unrolled: 8-line block ×5, first 2 shown]
	v_or_b32_e32 v14, 49, v6
	v_cmp_gt_i32_e32 vcc, s33, v9
	v_cmp_gt_i32_e64 s[4:5], s33, v14
	s_nop 0
	v_cndmask_b32_e32 v9, v7, v48, vcc
	v_cndmask_b32_e64 v14, v7, v49, s[4:5]
	v_max3_f32 v8, v8, v9, v14
	v_or_b32_e32 v9, 50, v6
	v_or_b32_e32 v6, 51, v6
	v_cmp_gt_i32_e64 s[6:7], s33, v9
	v_cmp_gt_i32_e64 s[8:9], s33, v6
	s_nop 0
	v_cndmask_b32_e64 v9, v7, v38, s[6:7]
	v_cndmask_b32_e64 v6, v7, v39, s[8:9]
	v_max3_f32 v8, v8, v9, v6
	v_mbcnt_lo_u32_b32 v6, -1, 0
	v_mbcnt_hi_u32_b32 v9, -1, v6
	v_and_b32_e32 v6, 64, v9
	v_add_u32_e32 v14, 64, v6
	v_xor_b32_e32 v6, 32, v9
	v_cmp_lt_i32_e64 s[38:39], v6, v14
	s_nop 1
	v_cndmask_b32_e64 v6, v9, v6, s[38:39]
	v_lshlrev_b32_e32 v55, 2, v6
	ds_bpermute_b32 v15, v55, v8
	v_mad_i64_i32 v[6:7], s[38:39], v67, s45, v[42:43]
	s_waitcnt lgkmcnt(0)
	v_max_f32_e32 v15, v15, v15
	v_max_f32_e32 v34, v8, v15
	v_xor_b32_e32 v8, 16, v9
	v_cmp_lt_i32_e64 s[38:39], v8, v14
	s_nop 1
	v_cndmask_b32_e64 v8, v9, v8, s[38:39]
	v_lshlrev_b32_e32 v56, 2, v8
	v_mad_i64_i32 v[8:9], s[38:39], v66, s45, v[42:43]
	global_load_dwordx4 v[14:17], v[6:7], off
	s_nop 0
	global_load_dwordx4 v[6:9], v[8:9], off
	ds_bpermute_b32 v35, v56, v34
	s_waitcnt lgkmcnt(0)
	s_barrier
	v_max_f32_e32 v35, v35, v35
	v_max_f32_e32 v54, v34, v35
	v_sub_f32_e32 v42, v52, v54
	v_mul_f32_e32 v42, 0x3fb8aa3b, v42
	v_exp_f32_e32 v42, v42
	v_sub_f32_e32 v36, v36, v54
	v_sub_f32_e32 v34, v44, v54
	v_mul_f32_e32 v36, 0x3fb8aa3b, v36
	v_mul_f32_e32 v34, 0x3fb8aa3b, v34
	v_sub_f32_e32 v35, v45, v54
	v_sub_f32_e32 v43, v53, v54
	v_exp_f32_e32 v44, v36
	v_sub_f32_e32 v36, v37, v54
	v_sub_f32_e32 v48, v48, v54
	;; [unrolled: 1-line block ×3, first 2 shown]
	v_exp_f32_e32 v34, v34
	v_mul_f32_e32 v35, 0x3fb8aa3b, v35
	v_sub_f32_e32 v40, v40, v54
	v_mul_f32_e32 v43, 0x3fb8aa3b, v43
	v_mul_f32_e32 v36, 0x3fb8aa3b, v36
	;; [unrolled: 1-line block ×4, first 2 shown]
	v_exp_f32_e32 v35, v35
	v_mul_f32_e32 v40, 0x3fb8aa3b, v40
	v_sub_f32_e32 v41, v41, v54
	v_exp_f32_e32 v43, v43
	v_exp_f32_e32 v45, v36
	v_cndmask_b32_e64 v36, 0, v42, s[18:19]
	v_sub_f32_e32 v42, v50, v54
	v_exp_f32_e32 v48, v48
	v_exp_f32_e32 v50, v38
	;; [unrolled: 1-line block ×3, first 2 shown]
	v_mul_f32_e32 v41, 0x3fb8aa3b, v41
	v_exp_f32_e32 v41, v41
	v_sub_f32_e32 v38, v39, v54
	v_cndmask_b32_e64 v34, 0, v34, s[26:27]
	v_mul_f32_e32 v38, 0x3fb8aa3b, v38
	v_cndmask_b32_e64 v35, 0, v35, s[28:29]
	v_cndmask_b32_e64 v37, 0, v43, s[20:21]
	v_sub_f32_e32 v43, v51, v54
	v_exp_f32_e32 v51, v38
	v_cndmask_b32_e32 v38, 0, v48, vcc
	v_cndmask_b32_e64 v48, 0, v50, s[6:7]
	v_add_f32_e32 v50, 0, v34
	v_cndmask_b32_e64 v40, 0, v40, s[30:31]
	v_add_f32_e32 v50, v50, v35
	v_cndmask_b32_e64 v41, 0, v41, s[34:35]
	v_mul_f32_e32 v42, 0x3fb8aa3b, v42
	v_add_f32_e32 v50, v50, v40
	v_exp_f32_e32 v42, v42
	v_mul_f32_e32 v43, 0x3fb8aa3b, v43
	v_sub_f32_e32 v46, v46, v54
	v_add_f32_e32 v50, v50, v41
	v_exp_f32_e32 v43, v43
	v_mul_f32_e32 v46, 0x3fb8aa3b, v46
	v_sub_f32_e32 v47, v47, v54
	v_add_f32_e32 v50, v50, v36
	v_cndmask_b32_e64 v44, 0, v44, s[22:23]
	v_exp_f32_e32 v46, v46
	v_mul_f32_e32 v47, 0x3fb8aa3b, v47
	v_add_f32_e32 v50, v50, v37
	v_cndmask_b32_e64 v45, 0, v45, s[36:37]
	v_exp_f32_e32 v47, v47
	v_sub_f32_e32 v49, v49, v54
	v_add_f32_e32 v50, v50, v44
	v_cndmask_b32_e64 v42, 0, v42, s[10:11]
	v_mul_f32_e32 v49, 0x3fb8aa3b, v49
	v_add_f32_e32 v50, v50, v45
	v_cndmask_b32_e64 v43, 0, v43, s[12:13]
	v_exp_f32_e32 v49, v49
	v_add_f32_e32 v50, v50, v42
	v_cndmask_b32_e64 v46, 0, v46, s[14:15]
	v_add_f32_e32 v50, v50, v43
	v_cndmask_b32_e64 v47, 0, v47, s[16:17]
	v_add_f32_e32 v50, v50, v46
	v_add_f32_e32 v50, v50, v47
	v_cndmask_b32_e64 v39, 0, v49, s[4:5]
	v_add_f32_e32 v50, v50, v38
	;; [unrolled: 3-line block ×3, first 2 shown]
	v_add_f32_e32 v50, v50, v49
	ds_bpermute_b32 v51, v55, v50
	v_cmp_gt_u32_e32 vcc, 16, v65
	s_waitcnt lgkmcnt(0)
	v_add_f32_e32 v50, v50, v51
	ds_bpermute_b32 v51, v56, v50
	s_and_saveexec_b64 s[4:5], vcc
	s_cbranch_execz .LBB954_13
; %bb.12:
	s_waitcnt lgkmcnt(0)
	v_add_f32_e32 v50, v50, v51
	v_lshlrev_b32_e32 v51, 2, v59
	ds_write2st64_b32 v51, v54, v50 offset1:1
.LBB954_13:
	s_or_b64 exec, exec, s[4:5]
	s_waitcnt lgkmcnt(0)
	v_lshlrev_b32_e32 v51, 2, v60
	s_load_dword s6, s[0:1], 0x94
	s_waitcnt lgkmcnt(0)
	s_barrier
	ds_read2_b32 v[52:53], v51 offset1:16
	ds_read2_b32 v[54:55], v51 offset0:32 offset1:48
	ds_read2_b32 v[56:57], v51 offset0:64 offset1:80
	s_mul_i32 s7, s25, 7
	s_waitcnt lgkmcnt(2)
	v_max3_f32 v50, v52, s40, v53
	s_waitcnt lgkmcnt(1)
	v_max3_f32 v50, v50, v54, v55
	v_sub_f32_e32 v52, v52, v50
	v_mul_f32_e32 v52, 0x3fb8aa3b, v52
	v_exp_f32_e32 v59, v52
	v_sub_f32_e32 v52, v53, v50
	v_mul_f32_e32 v52, 0x3fb8aa3b, v52
	v_exp_f32_e32 v62, v52
	;; [unrolled: 3-line block ×3, first 2 shown]
	ds_read2_b32 v[52:53], v51 offset0:96 offset1:112
	v_sub_f32_e32 v51, v55, v50
	v_mul_f32_e32 v51, 0x3fb8aa3b, v51
	v_exp_f32_e32 v55, v51
	s_waitcnt lgkmcnt(1)
	v_fma_f32 v51, v59, v56, 0
	v_fmac_f32_e32 v51, v62, v57
	s_waitcnt lgkmcnt(0)
	v_fmac_f32_e32 v51, v54, v52
	v_fmac_f32_e32 v51, v55, v53
	v_add_f32_e32 v52, 0x358637bd, v51
	v_div_scale_f32 v53, s[4:5], v52, v52, 1.0
	v_rcp_f32_e32 v56, v53
	s_barrier
	v_fma_f32 v57, -v53, v56, 1.0
	v_fmac_f32_e32 v56, v57, v56
	v_div_scale_f32 v57, vcc, 1.0, v52, 1.0
	v_mul_f32_e32 v63, v57, v56
	v_fma_f32 v65, -v53, v63, v57
	v_fmac_f32_e32 v63, v65, v56
	v_fma_f32 v53, -v53, v63, v57
	v_div_fmas_f32 v53, v53, v56, v63
	v_cmp_eq_u32_e32 vcc, 1, v61
	v_div_fixup_f32 v52, v53, v52, 1.0
	s_nop 0
	v_cndmask_b32_e32 v53, v59, v62, vcc
	v_cmp_eq_u32_e32 vcc, 2, v61
	s_nop 1
	v_cndmask_b32_e32 v53, v53, v54, vcc
	v_cmp_eq_u32_e32 vcc, 3, v61
	s_nop 1
	v_cndmask_b32_e32 v53, v53, v55, vcc
	v_mul_f32_e32 v52, v53, v52
	v_pk_mul_f32 v[40:41], v[52:53], v[40:41] op_sel_hi:[0,1]
	v_pk_mul_f32 v[34:35], v[52:53], v[34:35] op_sel_hi:[0,1]
	v_cvt_f16_f32_e32 v53, v40
	v_cvt_f16_f32_e32 v34, v34
	;; [unrolled: 1-line block ×4, first 2 shown]
	v_pk_mul_f32 v[44:45], v[52:53], v[44:45] op_sel_hi:[0,1]
	v_pk_mul_f32 v[36:37], v[52:53], v[36:37] op_sel_hi:[0,1]
	v_cvt_f16_f32_e32 v36, v36
	v_cvt_f16_f32_e32 v37, v37
	;; [unrolled: 1-line block ×4, first 2 shown]
	v_pack_b32_f16 v40, v34, v35
	v_pack_b32_f16 v41, v53, v41
	v_lshlrev_b32_e32 v35, 3, v64
	v_lshlrev_b32_e32 v34, 5, v60
	;; [unrolled: 1-line block ×3, first 2 shown]
	v_or3_b32 v54, v53, v34, v35
	v_pack_b32_f16 v36, v36, v37
	v_pack_b32_f16 v37, v44, v45
	ds_write2st64_b64 v54, v[40:41], v[36:37] offset1:1
	v_pk_mul_f32 v[36:37], v[52:53], v[46:47] op_sel_hi:[0,1]
	v_pk_mul_f32 v[40:41], v[52:53], v[42:43] op_sel_hi:[0,1]
	v_cvt_f16_f32_e32 v35, v40
	v_cvt_f16_f32_e32 v40, v41
	;; [unrolled: 1-line block ×4, first 2 shown]
	v_pk_mul_f32 v[36:37], v[52:53], v[48:49] op_sel_hi:[0,1]
	v_pk_mul_f32 v[38:39], v[52:53], v[38:39] op_sel_hi:[0,1]
	v_cvt_f16_f32_e32 v38, v38
	v_cvt_f16_f32_e32 v39, v39
	;; [unrolled: 1-line block ×4, first 2 shown]
	v_pack_b32_f16 v36, v35, v40
	v_pack_b32_f16 v37, v41, v42
	;; [unrolled: 1-line block ×4, first 2 shown]
	v_cmp_gt_u32_e32 vcc, 7, v0
	ds_write2st64_b64 v54, v[36:37], v[38:39] offset0:2 offset1:3
	s_and_saveexec_b64 s[4:5], vcc
	s_cbranch_execz .LBB954_15
; %bb.14:
	s_mov_b32 s49, 0
	v_mov_b32_e32 v61, 0
	v_lshl_add_u64 v[36:37], s[48:49], 0, v[60:61]
	v_mov_b32_e32 v35, s7
	v_mad_u64_u32 v[36:37], s[12:13], s2, v35, v[36:37]
	s_mul_i32 s3, s3, s7
	v_mov_b32_e32 v38, s24
	v_mov_b32_e32 v39, v61
	s_load_dwordx4 s[8:11], s[0:1], 0x58
	v_add_u32_e32 v35, s3, v37
	v_mad_u64_u32 v[36:37], s[12:13], v36, s6, v[38:39]
	v_mov_b32_e32 v38, v37
	v_mad_u64_u32 v[38:39], s[12:13], v35, s6, v[38:39]
	v_mov_b32_e32 v37, v38
	v_lshlrev_b64 v[36:37], 2, v[36:37]
	s_waitcnt lgkmcnt(0)
	v_lshl_add_u64 v[38:39], s[10:11], 0, v[36:37]
	v_lshl_add_u64 v[36:37], s[8:9], 0, v[36:37]
	global_store_dword v[38:39], v50, off
	global_store_dword v[36:37], v51, off
.LBB954_15:
	s_or_b64 exec, exec, s[4:5]
	s_waitcnt vmcnt(7)
	v_cvt_pk_f32_fp8_e32 v[36:37], v30
	v_lshl_or_b32 v50, v64, 9, v34
	v_cvt_pk_f32_fp8_sdwa v[34:35], v30 src0_sel:WORD_1
	s_waitcnt lgkmcnt(0)
	s_barrier
	v_cvt_pk_f32_fp8_e32 v[38:39], v31
	v_cvt_pkrtz_f16_f32 v30, v36, v37
	v_cvt_pk_f32_fp8_sdwa v[40:41], v31 src0_sel:WORD_1
	v_cvt_pkrtz_f16_f32 v31, v34, v35
	ds_read_b128 v[34:37], v50
	v_cvt_pkrtz_f16_f32 v46, v38, v39
	v_cvt_pkrtz_f16_f32 v47, v40, v41
	ds_read_b128 v[38:41], v50 offset:16
	v_cvt_pk_f32_fp8_e32 v[48:49], v32
	v_cvt_pk_f32_fp8_sdwa v[52:53], v32 src0_sel:WORD_1
	s_waitcnt lgkmcnt(1)
	v_mfma_f32_16x16x16_f16 v[42:45], v[30:31], v[34:35], 0
	s_waitcnt vmcnt(6)
	v_cvt_pk_f32_fp8_e32 v[56:57], v24
	v_cvt_pkrtz_f16_f32 v30, v48, v49
	v_cvt_pkrtz_f16_f32 v31, v52, v53
	v_cvt_pk_f32_fp8_e32 v[48:49], v33
	v_mfma_f32_16x16x16_f16 v[42:45], v[46:47], v[36:37], v[42:45]
	v_cvt_pk_f32_fp8_sdwa v[46:47], v33 src0_sel:WORD_1
	v_cvt_pk_f32_fp8_sdwa v[62:63], v24 src0_sel:WORD_1
	v_cvt_pkrtz_f16_f32 v48, v48, v49
	s_waitcnt lgkmcnt(0)
	v_mfma_f32_16x16x16_f16 v[30:33], v[30:31], v[38:39], v[42:45]
	v_cvt_pkrtz_f16_f32 v49, v46, v47
	s_waitcnt vmcnt(4)
	v_cvt_pk_f32_fp8_sdwa v[70:71], v4 src0_sel:WORD_1
	s_waitcnt vmcnt(3)
	v_cvt_pk_f32_fp8_sdwa v[72:73], v28 src0_sel:WORD_1
	v_cvt_pk_f32_fp8_e32 v[42:43], v22
	v_mfma_f32_16x16x16_f16 v[46:49], v[48:49], v[40:41], v[30:33]
	s_load_dword s4, s[42:43], 0x0
	s_mov_b32 s3, 0
	s_nop 0
	v_cvt_pk_f32_fp8_sdwa v[30:31], v22 src0_sel:WORD_1
	v_cvt_pk_f32_fp8_e32 v[32:33], v23
	v_cvt_pkrtz_f16_f32 v22, v42, v43
	v_cvt_pk_f32_fp8_sdwa v[42:43], v23 src0_sel:WORD_1
	v_cvt_pkrtz_f16_f32 v23, v30, v31
	v_cvt_pkrtz_f16_f32 v52, v32, v33
	ds_read_b128 v[30:33], v50 offset:2048
	v_cvt_pkrtz_f16_f32 v53, v42, v43
	ds_read_b128 v[42:45], v50 offset:2064
	s_waitcnt lgkmcnt(0)
	v_mfma_f32_16x16x16_f16 v[46:49], v[22:23], v[30:31], v[46:49]
	v_cvt_pkrtz_f16_f32 v22, v56, v57
	v_cvt_pkrtz_f16_f32 v23, v62, v63
	v_cvt_pk_f32_fp8_e32 v[56:57], v25
	v_mfma_f32_16x16x16_f16 v[46:49], v[52:53], v[32:33], v[46:49]
	v_cvt_pk_f32_fp8_sdwa v[52:53], v25 src0_sel:WORD_1
	v_cvt_pk_f32_fp8_sdwa v[62:63], v12 src0_sel:WORD_1
	v_cvt_pkrtz_f16_f32 v56, v56, v57
	v_mfma_f32_16x16x16_f16 v[22:25], v[22:23], v[42:43], v[46:49]
	v_cvt_pkrtz_f16_f32 v57, v52, v53
	v_cmp_gt_u32_e32 vcc, 64, v0
	s_nop 0
	v_cvt_pk_f32_fp8_e32 v[46:47], v10
	v_mfma_f32_16x16x16_f16 v[66:69], v[56:57], v[44:45], v[22:25]
	v_cvt_pk_f32_fp8_e32 v[56:57], v12
	s_nop 1
	v_cvt_pk_f32_fp8_sdwa v[22:23], v10 src0_sel:WORD_1
	v_cvt_pk_f32_fp8_e32 v[24:25], v11
	v_cvt_pkrtz_f16_f32 v10, v46, v47
	v_cvt_pk_f32_fp8_sdwa v[46:47], v11 src0_sel:WORD_1
	v_cvt_pkrtz_f16_f32 v11, v22, v23
	v_cvt_pkrtz_f16_f32 v52, v24, v25
	ds_read_b128 v[22:25], v50 offset:4096
	v_cvt_pkrtz_f16_f32 v53, v46, v47
	ds_read_b128 v[46:49], v50 offset:4112
	s_waitcnt lgkmcnt(1)
	v_mfma_f32_16x16x16_f16 v[66:69], v[10:11], v[22:23], v[66:69]
	v_cvt_pkrtz_f16_f32 v10, v56, v57
	v_cvt_pkrtz_f16_f32 v11, v62, v63
	v_cvt_pk_f32_fp8_e32 v[56:57], v13
	v_mfma_f32_16x16x16_f16 v[66:69], v[52:53], v[24:25], v[66:69]
	v_cvt_pk_f32_fp8_sdwa v[52:53], v13 src0_sel:WORD_1
	v_cvt_pk_f32_fp8_e32 v[62:63], v4
	v_cvt_pkrtz_f16_f32 v56, v56, v57
	s_waitcnt lgkmcnt(0)
	v_mfma_f32_16x16x16_f16 v[10:13], v[10:11], v[46:47], v[66:69]
	v_cvt_pkrtz_f16_f32 v57, v52, v53
	v_cvt_pk_f32_fp8_e32 v[52:53], v2
	s_nop 0
	v_mfma_f32_16x16x16_f16 v[66:69], v[56:57], v[48:49], v[10:13]
	s_nop 2
	v_cvt_pk_f32_fp8_sdwa v[10:11], v2 src0_sel:WORD_1
	v_cvt_pk_f32_fp8_e32 v[12:13], v3
	v_cvt_pkrtz_f16_f32 v2, v52, v53
	v_cvt_pk_f32_fp8_sdwa v[52:53], v3 src0_sel:WORD_1
	v_cvt_pkrtz_f16_f32 v3, v10, v11
	v_cvt_pkrtz_f16_f32 v56, v12, v13
	ds_read_b128 v[10:13], v50 offset:6144
	v_cvt_pkrtz_f16_f32 v57, v52, v53
	s_waitcnt lgkmcnt(0)
	v_mfma_f32_16x16x16_f16 v[66:69], v[2:3], v[10:11], v[66:69]
	ds_read_b128 v[50:53], v50 offset:6160
	v_cvt_pkrtz_f16_f32 v2, v62, v63
	v_cvt_pkrtz_f16_f32 v3, v70, v71
	v_cvt_pk_f32_fp8_e32 v[62:63], v5
	v_mfma_f32_16x16x16_f16 v[66:69], v[56:57], v[12:13], v[66:69]
	v_cvt_pk_f32_fp8_sdwa v[56:57], v5 src0_sel:WORD_1
	v_cvt_pk_f32_fp8_e32 v[70:71], v28
	v_cvt_pkrtz_f16_f32 v62, v62, v63
	s_waitcnt lgkmcnt(0)
	v_mfma_f32_16x16x16_f16 v[2:5], v[2:3], v[50:51], v[66:69]
	v_cvt_pkrtz_f16_f32 v63, v56, v57
	v_cvt_pk_f32_fp8_e32 v[56:57], v26
	s_nop 0
	v_cvt_pk_f32_fp8_sdwa v[66:67], v26 src0_sel:WORD_1
	v_mfma_f32_16x16x16_f16 v[2:5], v[62:63], v[52:53], v[2:5]
	v_cvt_pk_f32_fp8_e32 v[62:63], v27
	v_cvt_pkrtz_f16_f32 v56, v56, v57
	v_cvt_pkrtz_f16_f32 v57, v66, v67
	v_cvt_pk_f32_fp8_sdwa v[26:27], v27 src0_sel:WORD_1
	v_cvt_pkrtz_f16_f32 v62, v62, v63
	v_mfma_f32_16x16x16_f16 v[66:69], v[56:57], v[34:35], 0
	v_cvt_pkrtz_f16_f32 v63, v26, v27
	v_cvt_pkrtz_f16_f32 v26, v70, v71
	v_cvt_pkrtz_f16_f32 v27, v72, v73
	v_cvt_pk_f32_fp8_e32 v[56:57], v29
	v_mfma_f32_16x16x16_f16 v[34:37], v[62:63], v[36:37], v[66:69]
	v_cvt_pk_f32_fp8_sdwa v[62:63], v29 src0_sel:WORD_1
	v_cvt_pkrtz_f16_f32 v56, v56, v57
	s_barrier
	v_mfma_f32_16x16x16_f16 v[26:29], v[26:27], v[38:39], v[34:37]
	v_cvt_pkrtz_f16_f32 v57, v62, v63
	s_waitcnt vmcnt(2)
	v_cvt_pk_f32_fp8_e32 v[38:39], v19
	v_cvt_pk_f32_fp8_e32 v[34:35], v18
	v_cvt_pk_f32_fp8_sdwa v[36:37], v18 src0_sel:WORD_1
	v_cvt_pk_f32_fp8_sdwa v[18:19], v19 src0_sel:WORD_1
	v_mfma_f32_16x16x16_f16 v[26:29], v[56:57], v[40:41], v[26:29]
	v_cvt_pkrtz_f16_f32 v34, v34, v35
	v_cvt_pkrtz_f16_f32 v35, v36, v37
	;; [unrolled: 1-line block ×3, first 2 shown]
	v_cvt_pk_f32_fp8_e32 v[38:39], v20
	v_cvt_pk_f32_fp8_sdwa v[40:41], v20 src0_sel:WORD_1
	v_cvt_pkrtz_f16_f32 v37, v18, v19
	v_mfma_f32_16x16x16_f16 v[26:29], v[34:35], v[30:31], v[26:29]
	v_cvt_pkrtz_f16_f32 v30, v38, v39
	v_cvt_pkrtz_f16_f32 v31, v40, v41
	v_cvt_pk_f32_fp8_e32 v[34:35], v21
	v_cvt_pk_f32_fp8_sdwa v[38:39], v21 src0_sel:WORD_1
	v_mfma_f32_16x16x16_f16 v[18:21], v[36:37], v[32:33], v[26:29]
	s_waitcnt vmcnt(1)
	v_cvt_pk_f32_fp8_sdwa v[32:33], v16 src0_sel:WORD_1
	s_nop 0
	v_cvt_pkrtz_f16_f32 v26, v34, v35
	v_cvt_pkrtz_f16_f32 v27, v38, v39
	v_mfma_f32_16x16x16_f16 v[18:21], v[30:31], v[42:43], v[18:21]
	v_cvt_pk_f32_fp8_e32 v[28:29], v14
	v_cvt_pk_f32_fp8_sdwa v[30:31], v14 src0_sel:WORD_1
	v_cvt_pkrtz_f16_f32 v28, v28, v29
	v_mfma_f32_16x16x16_f16 v[18:21], v[26:27], v[44:45], v[18:21]
	v_cvt_pk_f32_fp8_e32 v[26:27], v15
	v_cvt_pkrtz_f16_f32 v29, v30, v31
	v_cvt_pk_f32_fp8_sdwa v[14:15], v15 src0_sel:WORD_1
	v_cvt_pk_f32_fp8_e32 v[30:31], v16
	v_cvt_pkrtz_f16_f32 v26, v26, v27
	v_mfma_f32_16x16x16_f16 v[18:21], v[28:29], v[22:23], v[18:21]
	v_cvt_pkrtz_f16_f32 v27, v14, v15
	v_cvt_pkrtz_f16_f32 v22, v30, v31
	;; [unrolled: 1-line block ×3, first 2 shown]
	v_cvt_pk_f32_fp8_e32 v[28:29], v17
	v_cvt_pk_f32_fp8_sdwa v[30:31], v17 src0_sel:WORD_1
	v_mfma_f32_16x16x16_f16 v[14:17], v[26:27], v[24:25], v[18:21]
	s_waitcnt vmcnt(0)
	v_cvt_pk_f32_fp8_sdwa v[24:25], v6 src0_sel:WORD_1
	s_nop 0
	v_pk_mul_f32 v[18:19], v[4:5], s[4:5] op_sel_hi:[1,0]
	v_cvt_pkrtz_f16_f32 v4, v28, v29
	v_cvt_pkrtz_f16_f32 v5, v30, v31
	v_mfma_f32_16x16x16_f16 v[14:17], v[22:23], v[46:47], v[14:17]
	v_cvt_pk_f32_fp8_e32 v[22:23], v6
	v_pk_mul_f32 v[20:21], v[2:3], s[4:5] op_sel_hi:[1,0]
	v_mfma_f32_16x16x16_f16 v[2:5], v[4:5], v[48:49], v[14:17]
	s_nop 3
	v_cvt_pk_f32_fp8_e32 v[14:15], v7
	v_cvt_pkrtz_f16_f32 v16, v22, v23
	v_cvt_pkrtz_f16_f32 v17, v24, v25
	v_cvt_pk_f32_fp8_sdwa v[6:7], v7 src0_sel:WORD_1
	v_cvt_pkrtz_f16_f32 v14, v14, v15
	v_cvt_pk_f32_fp8_e32 v[22:23], v8
	v_cvt_pk_f32_fp8_sdwa v[24:25], v8 src0_sel:WORD_1
	v_cvt_pkrtz_f16_f32 v15, v6, v7
	v_mfma_f32_16x16x16_f16 v[2:5], v[16:17], v[10:11], v[2:5]
	v_cvt_pkrtz_f16_f32 v6, v22, v23
	v_cvt_pkrtz_f16_f32 v7, v24, v25
	v_cvt_pk_f32_fp8_e32 v[10:11], v9
	v_cvt_pk_f32_fp8_sdwa v[8:9], v9 src0_sel:WORD_1
	v_mfma_f32_16x16x16_f16 v[2:5], v[14:15], v[12:13], v[2:5]
	v_cvt_f16_f32_e32 v12, v20
	v_cvt_pkrtz_f16_f32 v10, v10, v11
	v_cvt_pkrtz_f16_f32 v11, v8, v9
	v_mfma_f32_16x16x16_f16 v[2:5], v[6:7], v[50:51], v[2:5]
	v_cvt_f16_f32_e32 v6, v21
	v_cvt_f16_f32_e32 v7, v18
	;; [unrolled: 1-line block ×3, first 2 shown]
	v_mfma_f32_16x16x16_f16 v[2:5], v[10:11], v[52:53], v[2:5]
	s_nop 6
	v_pk_mul_f32 v[4:5], v[4:5], s[4:5] op_sel_hi:[1,0]
	v_pk_mul_f32 v[2:3], v[2:3], s[4:5] op_sel_hi:[1,0]
	v_cvt_f16_f32_e32 v11, v4
	v_cvt_f16_f32_e32 v9, v2
	;; [unrolled: 1-line block ×4, first 2 shown]
	v_pack_b32_f16 v2, v12, v6
	v_pack_b32_f16 v3, v7, v8
	;; [unrolled: 1-line block ×4, first 2 shown]
	ds_write2st64_b64 v54, v[2:3], v[4:5] offset1:1
	s_waitcnt lgkmcnt(0)
	s_barrier
	s_and_saveexec_b64 s[4:5], vcc
	s_cbranch_execz .LBB954_18
; %bb.16:
	s_load_dwordx2 s[4:5], s[0:1], 0x68
	s_lshl_b32 s0, s6, 7
	s_mul_i32 s1, s7, s2
	v_lshlrev_b32_e32 v3, 6, v60
	s_mul_hi_u32 s7, s1, s0
	s_mul_i32 s6, s1, s0
	v_lshl_or_b32 v0, v0, 10, v3
	s_lshl_b64 s[6:7], s[6:7], 1
	v_lshlrev_b32_e32 v2, 5, v64
	v_and_b32_e32 v1, 16, v1
	v_and_b32_e32 v0, 0x1a00, v0
	s_waitcnt lgkmcnt(0)
	s_add_u32 s1, s4, s6
	v_or3_b32 v2, v0, v2, v1
	s_addc_u32 s4, s5, s7
	s_lshl_b32 s2, s24, 7
	s_lshl_b64 s[2:3], s[2:3], 1
	ds_read_b128 v[4:7], v2
	s_add_u32 s2, s1, s2
	s_addc_u32 s3, s4, s3
	v_mov_b32_e32 v59, 0
	v_add_u32_e32 v3, s48, v64
	v_lshl_add_u64 v[0:1], s[2:3], 0, v[58:59]
	v_mad_u64_u32 v[8:9], s[2:3], v3, s0, 0
	v_lshl_add_u64 v[8:9], v[8:9], 1, v[0:1]
	v_cmp_ne_u32_e32 vcc, 3, v64
	s_waitcnt lgkmcnt(0)
	global_store_dwordx4 v[8:9], v[4:7], off
	s_and_b64 exec, exec, vcc
	s_cbranch_execz .LBB954_18
; %bb.17:
	ds_read_b128 v[2:5], v2 offset:128
	v_add3_u32 v6, s48, v64, 4
	v_mad_u64_u32 v[6:7], s[0:1], v6, s0, 0
	v_lshl_add_u64 v[0:1], v[6:7], 1, v[0:1]
	s_waitcnt lgkmcnt(0)
	global_store_dwordx4 v[0:1], v[2:5], off
.LBB954_18:
	s_endpgm
	.section	.rodata,"a",@progbits
	.p2align	6, 0x0
	.amdhsa_kernel _Z39paged_attention_ll4mi_QKV_mfma16_kernelIDF16_hLN4vllm18Fp8KVCacheDataTypeE1EhLi16ELi128ELi256ELb0ELi7EEvPKT_PKT0_S7_ifPKiS9_S9_iPKfiiiPfSC_PS2_PT2_iSB_SB_
		.amdhsa_group_segment_fixed_size 8192
		.amdhsa_private_segment_fixed_size 0
		.amdhsa_kernarg_size 400
		.amdhsa_user_sgpr_count 2
		.amdhsa_user_sgpr_dispatch_ptr 0
		.amdhsa_user_sgpr_queue_ptr 0
		.amdhsa_user_sgpr_kernarg_segment_ptr 1
		.amdhsa_user_sgpr_dispatch_id 0
		.amdhsa_user_sgpr_kernarg_preload_length 0
		.amdhsa_user_sgpr_kernarg_preload_offset 0
		.amdhsa_user_sgpr_private_segment_size 0
		.amdhsa_uses_dynamic_stack 0
		.amdhsa_enable_private_segment 0
		.amdhsa_system_sgpr_workgroup_id_x 1
		.amdhsa_system_sgpr_workgroup_id_y 1
		.amdhsa_system_sgpr_workgroup_id_z 1
		.amdhsa_system_sgpr_workgroup_info 0
		.amdhsa_system_vgpr_workitem_id 0
		.amdhsa_next_free_vgpr 86
		.amdhsa_next_free_sgpr 50
		.amdhsa_accum_offset 88
		.amdhsa_reserve_vcc 1
		.amdhsa_float_round_mode_32 0
		.amdhsa_float_round_mode_16_64 0
		.amdhsa_float_denorm_mode_32 3
		.amdhsa_float_denorm_mode_16_64 3
		.amdhsa_dx10_clamp 1
		.amdhsa_ieee_mode 1
		.amdhsa_fp16_overflow 0
		.amdhsa_tg_split 0
		.amdhsa_exception_fp_ieee_invalid_op 0
		.amdhsa_exception_fp_denorm_src 0
		.amdhsa_exception_fp_ieee_div_zero 0
		.amdhsa_exception_fp_ieee_overflow 0
		.amdhsa_exception_fp_ieee_underflow 0
		.amdhsa_exception_fp_ieee_inexact 0
		.amdhsa_exception_int_div_zero 0
	.end_amdhsa_kernel
	.section	.text._Z39paged_attention_ll4mi_QKV_mfma16_kernelIDF16_hLN4vllm18Fp8KVCacheDataTypeE1EhLi16ELi128ELi256ELb0ELi7EEvPKT_PKT0_S7_ifPKiS9_S9_iPKfiiiPfSC_PS2_PT2_iSB_SB_,"axG",@progbits,_Z39paged_attention_ll4mi_QKV_mfma16_kernelIDF16_hLN4vllm18Fp8KVCacheDataTypeE1EhLi16ELi128ELi256ELb0ELi7EEvPKT_PKT0_S7_ifPKiS9_S9_iPKfiiiPfSC_PS2_PT2_iSB_SB_,comdat
.Lfunc_end954:
	.size	_Z39paged_attention_ll4mi_QKV_mfma16_kernelIDF16_hLN4vllm18Fp8KVCacheDataTypeE1EhLi16ELi128ELi256ELb0ELi7EEvPKT_PKT0_S7_ifPKiS9_S9_iPKfiiiPfSC_PS2_PT2_iSB_SB_, .Lfunc_end954-_Z39paged_attention_ll4mi_QKV_mfma16_kernelIDF16_hLN4vllm18Fp8KVCacheDataTypeE1EhLi16ELi128ELi256ELb0ELi7EEvPKT_PKT0_S7_ifPKiS9_S9_iPKfiiiPfSC_PS2_PT2_iSB_SB_
                                        ; -- End function
	.section	.AMDGPU.csdata,"",@progbits
; Kernel info:
; codeLenInByte = 6016
; NumSgprs: 56
; NumVgprs: 86
; NumAgprs: 0
; TotalNumVgprs: 86
; ScratchSize: 0
; MemoryBound: 0
; FloatMode: 240
; IeeeMode: 1
; LDSByteSize: 8192 bytes/workgroup (compile time only)
; SGPRBlocks: 6
; VGPRBlocks: 10
; NumSGPRsForWavesPerEU: 56
; NumVGPRsForWavesPerEU: 86
; AccumOffset: 88
; Occupancy: 5
; WaveLimiterHint : 1
; COMPUTE_PGM_RSRC2:SCRATCH_EN: 0
; COMPUTE_PGM_RSRC2:USER_SGPR: 2
; COMPUTE_PGM_RSRC2:TRAP_HANDLER: 0
; COMPUTE_PGM_RSRC2:TGID_X_EN: 1
; COMPUTE_PGM_RSRC2:TGID_Y_EN: 1
; COMPUTE_PGM_RSRC2:TGID_Z_EN: 1
; COMPUTE_PGM_RSRC2:TIDIG_COMP_CNT: 0
; COMPUTE_PGM_RSRC3_GFX90A:ACCUM_OFFSET: 21
; COMPUTE_PGM_RSRC3_GFX90A:TG_SPLIT: 0
	.section	.text._Z39paged_attention_ll4mi_QKV_mfma16_kernelIDF16_hLN4vllm18Fp8KVCacheDataTypeE1EhLi16ELi128ELi256ELb0ELi8EEvPKT_PKT0_S7_ifPKiS9_S9_iPKfiiiPfSC_PS2_PT2_iSB_SB_,"axG",@progbits,_Z39paged_attention_ll4mi_QKV_mfma16_kernelIDF16_hLN4vllm18Fp8KVCacheDataTypeE1EhLi16ELi128ELi256ELb0ELi8EEvPKT_PKT0_S7_ifPKiS9_S9_iPKfiiiPfSC_PS2_PT2_iSB_SB_,comdat
	.protected	_Z39paged_attention_ll4mi_QKV_mfma16_kernelIDF16_hLN4vllm18Fp8KVCacheDataTypeE1EhLi16ELi128ELi256ELb0ELi8EEvPKT_PKT0_S7_ifPKiS9_S9_iPKfiiiPfSC_PS2_PT2_iSB_SB_ ; -- Begin function _Z39paged_attention_ll4mi_QKV_mfma16_kernelIDF16_hLN4vllm18Fp8KVCacheDataTypeE1EhLi16ELi128ELi256ELb0ELi8EEvPKT_PKT0_S7_ifPKiS9_S9_iPKfiiiPfSC_PS2_PT2_iSB_SB_
	.globl	_Z39paged_attention_ll4mi_QKV_mfma16_kernelIDF16_hLN4vllm18Fp8KVCacheDataTypeE1EhLi16ELi128ELi256ELb0ELi8EEvPKT_PKT0_S7_ifPKiS9_S9_iPKfiiiPfSC_PS2_PT2_iSB_SB_
	.p2align	8
	.type	_Z39paged_attention_ll4mi_QKV_mfma16_kernelIDF16_hLN4vllm18Fp8KVCacheDataTypeE1EhLi16ELi128ELi256ELb0ELi8EEvPKT_PKT0_S7_ifPKiS9_S9_iPKfiiiPfSC_PS2_PT2_iSB_SB_,@function
_Z39paged_attention_ll4mi_QKV_mfma16_kernelIDF16_hLN4vllm18Fp8KVCacheDataTypeE1EhLi16ELi128ELi256ELb0ELi8EEvPKT_PKT0_S7_ifPKiS9_S9_iPKfiiiPfSC_PS2_PT2_iSB_SB_: ; @_Z39paged_attention_ll4mi_QKV_mfma16_kernelIDF16_hLN4vllm18Fp8KVCacheDataTypeE1EhLi16ELi128ELi256ELb0ELi8EEvPKT_PKT0_S7_ifPKiS9_S9_iPKfiiiPfSC_PS2_PT2_iSB_SB_
; %bb.0:
	s_load_dwordx2 s[12:13], s[0:1], 0x30
	s_mov_b32 s22, s3
	s_mov_b64 s[6:7], 0
	s_waitcnt lgkmcnt(0)
	s_cmp_lg_u64 s[12:13], 0
	s_cselect_b64 s[14:15], -1, 0
	s_and_b64 vcc, exec, s[14:15]
	s_cbranch_vccz .LBB955_7
; %bb.1:
	s_add_i32 s8, s2, 1
	s_mov_b32 s9, 0
	s_lshl_b64 s[10:11], s[8:9], 2
	s_add_u32 s10, s12, s10
	s_mov_b32 s3, s9
	s_addc_u32 s11, s13, s11
	s_lshl_b64 s[8:9], s[2:3], 2
	s_add_u32 s8, s12, s8
	s_addc_u32 s9, s13, s9
	s_load_dword s5, s[10:11], 0x0
	s_load_dword s16, s[8:9], 0x0
	s_waitcnt lgkmcnt(0)
	s_sub_i32 s5, s5, s16
	s_cmp_eq_u32 s5, 1
	s_cselect_b64 s[8:9], -1, 0
	s_andn2_b64 vcc, exec, s[6:7]
	s_cbranch_vccnz .LBB955_3
.LBB955_2:
	s_mov_b32 s3, 0
	s_mov_b64 s[8:9], -1
.LBB955_3:
	s_andn2_b64 vcc, exec, s[8:9]
	s_cbranch_vccnz .LBB955_17
; %bb.4:
	s_load_dwordx2 s[6:7], s[0:1], 0x28
	s_lshl_b64 s[16:17], s[2:3], 2
	s_waitcnt lgkmcnt(0)
	s_add_u32 s6, s6, s16
	s_addc_u32 s7, s7, s17
	s_load_dword s38, s[6:7], 0x0
	s_lshl_b32 s18, s22, 8
	s_waitcnt lgkmcnt(0)
	s_cmp_ge_i32 s18, s38
	s_cbranch_scc1 .LBB955_17
; %bb.5:
	s_load_dwordx2 s[6:7], s[0:1], 0x20
	s_load_dword s8, s[0:1], 0x38
	s_add_i32 s5, s38, 15
	s_ashr_i32 s9, s5, 31
	v_and_b32_e32 v1, 0xcf, v0
	s_lshr_b32 s9, s9, 28
	v_add_u32_e32 v1, s18, v1
	s_add_i32 s5, s5, s9
	v_ashrrev_i32_e32 v2, 31, v1
	s_ashr_i32 s5, s5, 4
	v_lshrrev_b32_e32 v10, 28, v2
	s_add_i32 s5, s5, -1
	s_waitcnt lgkmcnt(0)
	s_mul_i32 s8, s2, s8
	s_mov_b32 s9, 0
	v_add_u32_e32 v2, v1, v10
	s_lshl_b64 s[8:9], s[8:9], 2
	v_ashrrev_i32_e32 v2, 4, v2
	v_mov_b32_e32 v11, s5
	v_cmp_gt_i32_e32 vcc, s38, v1
	s_add_u32 s6, s6, s8
	s_addc_u32 s7, s7, s9
	v_cndmask_b32_e32 v2, v11, v2, vcc
	v_ashrrev_i32_e32 v3, 31, v2
	v_lshl_add_u64 v[4:5], v[2:3], 2, s[6:7]
	v_or_b32_e32 v2, 16, v1
	v_add_u32_e32 v3, v2, v10
	v_ashrrev_i32_e32 v3, 4, v3
	v_cmp_gt_i32_e32 vcc, s38, v2
	s_load_dwordx4 s[8:11], s[0:1], 0x8
	s_nop 0
	v_cndmask_b32_e32 v2, v11, v3, vcc
	v_ashrrev_i32_e32 v3, 31, v2
	v_lshl_add_u64 v[6:7], v[2:3], 2, s[6:7]
	v_or_b32_e32 v2, 32, v1
	v_add_u32_e32 v3, v2, v10
	v_ashrrev_i32_e32 v3, 4, v3
	v_cmp_gt_i32_e32 vcc, s38, v2
	v_or_b32_e32 v1, 48, v1
	s_nop 0
	v_cndmask_b32_e32 v2, v11, v3, vcc
	v_ashrrev_i32_e32 v3, 31, v2
	v_lshl_add_u64 v[8:9], v[2:3], 2, s[6:7]
	v_add_u32_e32 v2, v1, v10
	v_ashrrev_i32_e32 v2, 4, v2
	v_cmp_gt_i32_e32 vcc, s38, v1
	s_nop 1
	v_cndmask_b32_e32 v2, v11, v2, vcc
	v_ashrrev_i32_e32 v3, 31, v2
	v_lshl_add_u64 v[10:11], v[2:3], 2, s[6:7]
	global_load_dword v3, v[4:5], off
	global_load_dword v2, v[6:7], off
	;; [unrolled: 1-line block ×4, first 2 shown]
	s_andn2_b64 vcc, exec, s[14:15]
	s_cbranch_vccnz .LBB955_8
; %bb.6:
	s_add_u32 s12, s12, s16
	s_addc_u32 s13, s13, s17
	s_load_dword s14, s[12:13], 0x0
	s_branch .LBB955_9
.LBB955_7:
	s_mov_b64 s[8:9], 0
	s_branch .LBB955_2
.LBB955_8:
	s_mov_b32 s14, s2
.LBB955_9:
	s_load_dwordx4 s[44:47], s[0:1], 0x48
	v_and_b32_e32 v62, 15, v0
	v_lshlrev_b32_e32 v4, 3, v62
	s_movk_i32 s12, 0x80
	v_lshrrev_b32_e32 v64, 6, v0
	v_and_b32_e32 v65, 63, v0
	v_bfe_u32 v1, v0, 4, 2
	s_lshl_b32 s23, s4, 3
	v_cmp_gt_u32_e32 vcc, s12, v0
	v_lshlrev_b32_e32 v58, 1, v4
	v_lshlrev_b32_e32 v63, 4, v0
	s_and_saveexec_b64 s[12:13], vcc
	s_cbranch_execz .LBB955_11
; %bb.10:
	s_load_dwordx2 s[16:17], s[0:1], 0x0
	s_waitcnt lgkmcnt(0)
	s_ashr_i32 s15, s44, 31
	s_mul_hi_u32 s19, s14, s44
	s_mul_i32 s15, s14, s15
	s_add_i32 s15, s19, s15
	s_mul_i32 s14, s14, s44
	v_lshl_or_b32 v8, v64, 2, v1
	s_lshl_b64 s[14:15], s[14:15], 1
	s_add_u32 s14, s16, s14
	v_add_lshl_u32 v4, v8, s23, 7
	s_addc_u32 s15, s17, s15
	v_ashrrev_i32_e32 v5, 31, v4
	v_lshl_add_u64 v[4:5], v[4:5], 1, s[14:15]
	v_mov_b32_e32 v59, 0
	v_lshl_add_u64 v[4:5], v[4:5], 0, v[58:59]
	global_load_dwordx4 v[4:7], v[4:5], off
	v_lshlrev_b32_e32 v10, 8, v0
	v_lshlrev_b32_e32 v9, 8, v62
	v_and_b32_e32 v10, 0x600, v10
	s_movk_i32 s14, 0x800
	v_and_or_b32 v9, v9, s14, v10
	v_lshlrev_b32_e32 v8, 5, v8
	v_and_b32_e32 v10, 16, v63
	v_or3_b32 v8, v9, v8, v10
	s_waitcnt vmcnt(0)
	ds_write_b128 v8, v[4:7]
.LBB955_11:
	s_or_b64 exec, exec, s[12:13]
	s_waitcnt lgkmcnt(0)
	s_mul_i32 s4, s4, s46
	s_add_u32 s8, s8, s4
	s_addc_u32 s9, s9, 0
	v_and_b32_e32 v60, 0xf0, v63
	v_mov_b32_e32 v61, 0
	v_and_b32_e32 v6, 48, v0
	v_lshl_add_u64 v[30:31], s[8:9], 0, v[60:61]
	v_lshlrev_b32_e32 v60, 4, v6
	s_waitcnt vmcnt(3)
	v_mad_i64_i32 v[4:5], s[8:9], v3, s45, v[30:31]
	v_lshl_add_u64 v[4:5], v[4:5], 0, v[60:61]
	s_load_dword s33, s[0:1], 0x98
	s_load_dwordx4 s[40:43], s[0:1], 0x80
	s_waitcnt lgkmcnt(0)
	s_barrier
	global_load_dwordx4 v[22:25], v[4:5], off
	global_load_dwordx4 v[10:13], v[4:5], off offset:1024
	s_waitcnt vmcnt(4)
	v_mad_i64_i32 v[2:3], s[8:9], v2, s45, v[30:31]
	v_lshl_add_u64 v[32:33], v[2:3], 0, v[60:61]
	global_load_dwordx4 v[2:5], v[32:33], off
	v_and_b32_e32 v7, 7, v0
	v_lshlrev_b32_e32 v7, 5, v7
	v_or_b32_e32 v36, s18, v6
	v_mov_b32_e32 v41, s5
	v_lshl_or_b32 v6, v1, 9, v7
	v_ashrrev_i32_e32 v37, 4, v36
	v_cmp_gt_i32_e32 vcc, s38, v36
	v_or_b32_e32 v40, 64, v36
	v_or_b32_e32 v42, 0x80, v36
	;; [unrolled: 1-line block ×3, first 2 shown]
	ds_read_b128 v[26:29], v6
	ds_read_b128 v[18:21], v6 offset:16
	ds_read_b128 v[14:17], v6 offset:2048
	;; [unrolled: 1-line block ×3, first 2 shown]
	v_cndmask_b32_e32 v38, v41, v37, vcc
	s_waitcnt vmcnt(4)
	v_mad_i64_i32 v[36:37], s[12:13], v34, s45, v[30:31]
	s_waitcnt vmcnt(3)
	v_mad_i64_i32 v[34:35], s[12:13], v35, s45, v[30:31]
	global_load_dwordx4 v[30:33], v[32:33], off offset:1024
	v_ashrrev_i32_e32 v44, 4, v40
	v_cmp_gt_i32_e32 vcc, s38, v40
	v_ashrrev_i32_e32 v45, 4, v42
	v_ashrrev_i32_e32 v46, 4, v43
	v_cndmask_b32_e32 v40, v41, v44, vcc
	v_cmp_gt_i32_e32 vcc, s38, v42
	v_ashrrev_i32_e32 v39, 31, v38
	v_lshl_add_u64 v[36:37], v[36:37], 0, v[60:61]
	v_cndmask_b32_e32 v42, v41, v45, vcc
	v_cmp_gt_i32_e32 vcc, s38, v43
	v_lshl_add_u64 v[34:35], v[34:35], 0, v[60:61]
	v_ashrrev_i32_e32 v43, 31, v42
	v_cndmask_b32_e32 v44, v41, v46, vcc
	v_ashrrev_i32_e32 v41, 31, v40
	v_ashrrev_i32_e32 v45, 31, v44
	v_lshl_add_u64 v[50:51], v[38:39], 2, s[6:7]
	v_lshl_add_u64 v[52:53], v[40:41], 2, s[6:7]
	;; [unrolled: 1-line block ×4, first 2 shown]
	global_load_dwordx4 v[42:45], v[36:37], off
	global_load_dwordx4 v[46:49], v[36:37], off offset:1024
	global_load_dwordx4 v[38:41], v[34:35], off
	s_nop 0
	global_load_dwordx4 v[34:37], v[34:35], off offset:1024
	s_nop 0
	global_load_dword v69, v[50:51], off
	global_load_dword v68, v[52:53], off
	;; [unrolled: 1-line block ×4, first 2 shown]
	s_add_u32 s4, s10, s4
	v_lshl_or_b32 v59, v64, 4, v62
	s_addc_u32 s5, s11, 0
	v_lshlrev_b32_e32 v60, 4, v59
	s_load_dword s8, s[0:1], 0x1c
	s_waitcnt vmcnt(11)
	v_cvt_pk_f32_fp8_e32 v[50:51], v22
	v_cvt_pk_f32_fp8_sdwa v[52:53], v22 src0_sel:WORD_1
	v_cvt_pk_f32_fp8_e32 v[54:55], v23
	v_cvt_pk_f32_fp8_sdwa v[56:57], v23 src0_sel:WORD_1
	;; [unrolled: 2-line block ×4, first 2 shown]
	s_waitcnt vmcnt(9)
	v_cvt_pk_f32_fp8_e32 v[22:23], v2
	v_cvt_pk_f32_fp8_sdwa v[24:25], v2 src0_sel:WORD_1
	v_cvt_pkrtz_f16_f32 v50, v50, v51
	v_cvt_pkrtz_f16_f32 v51, v52, v53
	v_cvt_pk_f32_fp8_e32 v[78:79], v10
	v_cvt_pk_f32_fp8_sdwa v[80:81], v10 src0_sel:WORD_1
	v_cvt_pk_f32_fp8_e32 v[82:83], v11
	v_cvt_pk_f32_fp8_sdwa v[52:53], v11 src0_sel:WORD_1
	v_cvt_pkrtz_f16_f32 v10, v22, v23
	v_cvt_pkrtz_f16_f32 v11, v24, v25
	;; [unrolled: 1-line block ×4, first 2 shown]
	s_waitcnt lgkmcnt(0)
	v_mfma_f32_16x16x16_f16 v[22:25], v[50:51], v[26:27], 0
	v_cvt_pk_f32_fp8_e32 v[84:85], v12
	v_cvt_pk_f32_fp8_sdwa v[50:51], v12 src0_sel:WORD_1
	v_cvt_pk_f32_fp8_e32 v[88:89], v13
	v_mfma_f32_16x16x16_f16 v[54:57], v[10:11], v[26:27], 0
	v_cvt_pkrtz_f16_f32 v10, v70, v71
	v_cvt_pkrtz_f16_f32 v11, v72, v73
	;; [unrolled: 1-line block ×3, first 2 shown]
	v_mfma_f32_16x16x16_f16 v[22:25], v[86:87], v[28:29], v[22:25]
	v_cvt_pkrtz_f16_f32 v73, v76, v77
	v_cvt_pk_f32_fp8_sdwa v[70:71], v13 src0_sel:WORD_1
	s_waitcnt vmcnt(6)
	v_cvt_pk_f32_fp8_e32 v[74:75], v48
	v_mfma_f32_16x16x16_f16 v[10:13], v[10:11], v[18:19], v[22:25]
	v_cvt_pk_f32_fp8_sdwa v[76:77], v48 src0_sel:WORD_1
	s_nop 1
	v_cvt_pkrtz_f16_f32 v24, v78, v79
	v_cvt_pkrtz_f16_f32 v25, v80, v81
	v_mfma_f32_16x16x16_f16 v[10:13], v[72:73], v[20:21], v[10:13]
	v_cvt_pkrtz_f16_f32 v72, v82, v83
	v_cvt_pkrtz_f16_f32 v73, v52, v53
	;; [unrolled: 1-line block ×3, first 2 shown]
	v_mfma_f32_16x16x16_f16 v[10:13], v[24:25], v[14:15], v[10:13]
	v_cvt_pkrtz_f16_f32 v53, v50, v51
	v_cvt_pk_f32_fp8_e32 v[22:23], v3
	v_cvt_pk_f32_fp8_sdwa v[2:3], v3 src0_sel:WORD_1
	v_mfma_f32_16x16x16_f16 v[10:13], v[72:73], v[16:17], v[10:13]
	v_cvt_pkrtz_f16_f32 v50, v88, v89
	v_cvt_pkrtz_f16_f32 v51, v70, v71
	v_cvt_pk_f32_fp8_e32 v[24:25], v4
	v_cvt_pk_f32_fp8_sdwa v[72:73], v4 src0_sel:WORD_1
	v_mfma_f32_16x16x16_f16 v[10:13], v[52:53], v[6:7], v[10:13]
	v_cvt_pkrtz_f16_f32 v22, v22, v23
	v_cvt_pkrtz_f16_f32 v23, v2, v3
	;; [unrolled: 1-line block ×3, first 2 shown]
	v_mfma_f32_16x16x16_f16 v[50:53], v[50:51], v[8:9], v[10:13]
	v_cvt_pkrtz_f16_f32 v25, v72, v73
	v_cvt_pk_f32_fp8_e32 v[72:73], v45
	v_lshl_add_u64 v[70:71], s[4:5], 0, v[60:61]
	v_cvt_pk_f32_fp8_e32 v[10:11], v5
	v_cvt_pk_f32_fp8_sdwa v[12:13], v5 src0_sel:WORD_1
	v_mfma_f32_16x16x16_f16 v[2:5], v[22:23], v[28:29], v[54:57]
	v_cvt_pk_f32_fp8_sdwa v[22:23], v30 src0_sel:WORD_1
	v_cvt_pkrtz_f16_f32 v10, v10, v11
	v_cvt_pkrtz_f16_f32 v11, v12, v13
	v_mfma_f32_16x16x16_f16 v[2:5], v[24:25], v[18:19], v[2:5]
	v_cvt_pk_f32_fp8_e32 v[12:13], v30
	v_cvt_pk_f32_fp8_e32 v[24:25], v32
	v_or_b32_e32 v60, 0x400, v60
	v_mfma_f32_16x16x16_f16 v[2:5], v[10:11], v[20:21], v[2:5]
	v_cvt_pk_f32_fp8_e32 v[10:11], v31
	v_cvt_pkrtz_f16_f32 v12, v12, v13
	v_cvt_pkrtz_f16_f32 v13, v22, v23
	v_cvt_pk_f32_fp8_sdwa v[22:23], v31 src0_sel:WORD_1
	v_cvt_pkrtz_f16_f32 v10, v10, v11
	v_cvt_pk_f32_fp8_sdwa v[30:31], v32 src0_sel:WORD_1
	v_mfma_f32_16x16x16_f16 v[2:5], v[12:13], v[14:15], v[2:5]
	v_cvt_pkrtz_f16_f32 v11, v22, v23
	v_cvt_pkrtz_f16_f32 v12, v24, v25
	;; [unrolled: 1-line block ×3, first 2 shown]
	v_cvt_pk_f32_fp8_e32 v[22:23], v33
	v_cvt_pk_f32_fp8_sdwa v[24:25], v33 src0_sel:WORD_1
	v_mfma_f32_16x16x16_f16 v[2:5], v[10:11], v[16:17], v[2:5]
	v_cvt_pkrtz_f16_f32 v10, v22, v23
	v_cvt_pkrtz_f16_f32 v11, v24, v25
	v_mfma_f32_16x16x16_f16 v[2:5], v[12:13], v[6:7], v[2:5]
	v_cvt_pk_f32_fp8_e32 v[12:13], v42
	v_cvt_pk_f32_fp8_sdwa v[22:23], v42 src0_sel:WORD_1
	v_cvt_pk_f32_fp8_sdwa v[24:25], v44 src0_sel:WORD_1
	v_mfma_f32_16x16x16_f16 v[54:57], v[10:11], v[8:9], v[2:5]
	v_cvt_pk_f32_fp8_sdwa v[10:11], v43 src0_sel:WORD_1
	s_nop 1
	v_cvt_pkrtz_f16_f32 v2, v12, v13
	v_cvt_pkrtz_f16_f32 v3, v22, v23
	v_cvt_pk_f32_fp8_e32 v[4:5], v43
	v_cvt_pkrtz_f16_f32 v23, v10, v11
	v_cvt_pk_f32_fp8_e32 v[10:11], v44
	v_cvt_pk_f32_fp8_sdwa v[44:45], v45 src0_sel:WORD_1
	v_cvt_pkrtz_f16_f32 v22, v4, v5
	v_mfma_f32_16x16x16_f16 v[2:5], v[2:3], v[26:27], 0
	v_cvt_pkrtz_f16_f32 v10, v10, v11
	v_cvt_pkrtz_f16_f32 v11, v24, v25
	s_waitcnt vmcnt(3)
	v_mad_i64_i32 v[12:13], s[6:7], v69, s45, v[70:71]
	v_mfma_f32_16x16x16_f16 v[2:5], v[22:23], v[28:29], v[2:5]
	s_waitcnt vmcnt(2)
	v_mad_i64_i32 v[42:43], s[6:7], v68, s45, v[70:71]
	global_load_dwordx4 v[30:33], v[12:13], off
	global_load_dwordx4 v[22:25], v[42:43], off
	v_cvt_pkrtz_f16_f32 v12, v72, v73
	v_cvt_pkrtz_f16_f32 v13, v44, v45
	v_mfma_f32_16x16x16_f16 v[2:5], v[10:11], v[18:19], v[2:5]
	v_cvt_pk_f32_fp8_e32 v[10:11], v46
	v_cvt_pk_f32_fp8_sdwa v[42:43], v46 src0_sel:WORD_1
	s_waitcnt vmcnt(3)
	v_mad_i64_i32 v[72:73], s[6:7], v66, s45, v[70:71]
	v_mfma_f32_16x16x16_f16 v[2:5], v[12:13], v[20:21], v[2:5]
	v_cvt_pkrtz_f16_f32 v10, v10, v11
	v_cvt_pkrtz_f16_f32 v11, v42, v43
	v_cvt_pk_f32_fp8_e32 v[12:13], v47
	v_cvt_pk_f32_fp8_sdwa v[42:43], v47 src0_sel:WORD_1
	s_waitcnt vmcnt(2)
	v_mad_i64_i32 v[46:47], s[6:7], v67, s45, v[70:71]
	v_cvt_pkrtz_f16_f32 v70, v12, v13
	v_cvt_pkrtz_f16_f32 v71, v42, v43
	v_mfma_f32_16x16x16_f16 v[42:45], v[10:11], v[14:15], v[2:5]
	global_load_dwordx4 v[10:13], v[72:73], off
	s_nop 1
	global_load_dwordx4 v[2:5], v[46:47], off
	v_cvt_pkrtz_f16_f32 v72, v74, v75
	v_cvt_pkrtz_f16_f32 v73, v76, v77
	v_cvt_pk_f32_fp8_e32 v[74:75], v49
	v_cvt_pk_f32_fp8_sdwa v[48:49], v49 src0_sel:WORD_1
	v_mfma_f32_16x16x16_f16 v[44:47], v[70:71], v[16:17], v[42:45]
	s_nop 2
	v_lshl_add_u64 v[42:43], s[4:5], 0, v[60:61]
	v_cvt_pkrtz_f16_f32 v60, v74, v75
	v_cvt_pkrtz_f16_f32 v61, v48, v49
	v_mfma_f32_16x16x16_f16 v[44:47], v[72:73], v[6:7], v[44:47]
	v_cvt_pk_f32_fp8_e32 v[48:49], v38
	v_cvt_pk_f32_fp8_sdwa v[74:75], v38 src0_sel:WORD_1
	s_load_dword s4, s[40:41], 0x0
	v_mfma_f32_16x16x16_f16 v[70:73], v[60:61], v[8:9], v[44:47]
	v_cvt_pk_f32_fp8_e32 v[60:61], v40
	s_mov_b32 s40, 0xff7fffff
	s_nop 0
	v_cvt_pk_f32_fp8_e32 v[44:45], v39
	v_cvt_pkrtz_f16_f32 v46, v48, v49
	v_cvt_pkrtz_f16_f32 v47, v74, v75
	v_cvt_pk_f32_fp8_sdwa v[38:39], v39 src0_sel:WORD_1
	v_cvt_pkrtz_f16_f32 v48, v44, v45
	v_cvt_pk_f32_fp8_sdwa v[74:75], v40 src0_sel:WORD_1
	v_mfma_f32_16x16x16_f16 v[44:47], v[46:47], v[26:27], 0
	v_cvt_pkrtz_f16_f32 v49, v38, v39
	v_cvt_pkrtz_f16_f32 v38, v60, v61
	;; [unrolled: 1-line block ×3, first 2 shown]
	v_cvt_pk_f32_fp8_e32 v[60:61], v41
	v_cvt_pk_f32_fp8_sdwa v[40:41], v41 src0_sel:WORD_1
	v_mfma_f32_16x16x16_f16 v[26:29], v[48:49], v[28:29], v[44:47]
	s_nop 2
	v_cvt_pkrtz_f16_f32 v44, v60, v61
	v_cvt_pkrtz_f16_f32 v45, v40, v41
	v_mfma_f32_16x16x16_f16 v[26:29], v[38:39], v[18:19], v[26:29]
	v_mov_b32_e32 v46, s8
	s_waitcnt lgkmcnt(0)
	v_mul_f32_e32 v40, s4, v46
	v_pk_mul_f32 v[38:39], v[40:41], v[52:53] op_sel_hi:[0,1]
	v_mfma_f32_16x16x16_f16 v[18:21], v[44:45], v[20:21], v[26:29]
	v_cvt_pk_f32_fp8_e32 v[44:45], v35
	v_pk_mul_f32 v[46:47], v[40:41], v[50:51] op_sel_hi:[0,1]
	v_pk_mul_f32 v[48:49], v[40:41], v[56:57] op_sel_hi:[0,1]
	v_cvt_pk_f32_fp8_e32 v[26:27], v34
	v_cvt_pk_f32_fp8_sdwa v[28:29], v34 src0_sel:WORD_1
	v_cvt_pk_f32_fp8_sdwa v[34:35], v35 src0_sel:WORD_1
	v_pk_mul_f32 v[52:53], v[40:41], v[54:55] op_sel_hi:[0,1]
	v_cvt_pkrtz_f16_f32 v26, v26, v27
	v_cvt_pkrtz_f16_f32 v27, v28, v29
	;; [unrolled: 1-line block ×4, first 2 shown]
	v_cvt_pk_f32_fp8_e32 v[34:35], v36
	v_cvt_pk_f32_fp8_sdwa v[44:45], v36 src0_sel:WORD_1
	v_mfma_f32_16x16x16_f16 v[18:21], v[26:27], v[14:15], v[18:21]
	v_pk_mul_f32 v[50:51], v[40:41], v[70:71] op_sel_hi:[0,1]
	v_cvt_pkrtz_f16_f32 v26, v34, v35
	v_cvt_pkrtz_f16_f32 v27, v44, v45
	v_cvt_pk_f32_fp8_e32 v[34:35], v37
	v_cvt_pk_f32_fp8_sdwa v[36:37], v37 src0_sel:WORD_1
	v_mfma_f32_16x16x16_f16 v[14:17], v[28:29], v[16:17], v[18:21]
	v_pk_mul_f32 v[44:45], v[40:41], v[72:73] op_sel_hi:[0,1]
	v_mad_i64_i32 v[60:61], s[4:5], v69, s45, v[42:43]
	s_nop 0
	v_cvt_pkrtz_f16_f32 v18, v34, v35
	v_cvt_pkrtz_f16_f32 v19, v36, v37
	v_mfma_f32_16x16x16_f16 v[14:17], v[26:27], v[6:7], v[14:17]
	s_nop 0
	v_mfma_f32_16x16x16_f16 v[6:9], v[18:19], v[8:9], v[14:17]
	s_nop 6
	v_pk_mul_f32 v[34:35], v[40:41], v[8:9] op_sel_hi:[0,1]
	v_pk_mul_f32 v[40:41], v[40:41], v[6:7] op_sel_hi:[0,1]
	v_and_b32_e32 v6, 0xc0, v0
	v_add_u32_e32 v6, s18, v6
	v_lshl_or_b32 v6, v1, 2, v6
	v_or_b32_e32 v9, 1, v6
	v_mov_b32_e32 v7, 0xff7fffff
	v_cmp_gt_i32_e64 s[24:25], s38, v6
	v_cmp_gt_i32_e64 s[26:27], s38, v9
	v_or_b32_e32 v14, 3, v6
	v_cndmask_b32_e64 v8, v7, v46, s[24:25]
	v_cndmask_b32_e64 v9, v7, v47, s[26:27]
	v_max3_f32 v8, v8, s40, v9
	v_or_b32_e32 v9, 2, v6
	v_cmp_gt_i32_e64 s[28:29], s38, v9
	v_cmp_gt_i32_e64 s[30:31], s38, v14
	s_nop 0
	v_cndmask_b32_e64 v9, v7, v38, s[28:29]
	v_cndmask_b32_e64 v14, v7, v39, s[30:31]
	v_max3_f32 v8, v8, v9, v14
	v_or_b32_e32 v9, 16, v6
	v_or_b32_e32 v14, 17, v6
	v_cmp_gt_i32_e64 s[34:35], s38, v9
	v_cmp_gt_i32_e64 s[36:37], s38, v14
	s_nop 0
	v_cndmask_b32_e64 v9, v7, v52, s[34:35]
	v_cndmask_b32_e64 v14, v7, v53, s[36:37]
	v_max3_f32 v8, v8, v9, v14
	v_or_b32_e32 v9, 18, v6
	;; [unrolled: 8-line block ×6, first 2 shown]
	v_or_b32_e32 v6, 51, v6
	v_cmp_gt_i32_e32 vcc, s38, v9
	v_cmp_gt_i32_e64 s[4:5], s38, v6
	s_nop 0
	v_cndmask_b32_e32 v9, v7, v34, vcc
	v_cndmask_b32_e64 v6, v7, v35, s[4:5]
	v_max3_f32 v8, v8, v9, v6
	v_mbcnt_lo_u32_b32 v6, -1, 0
	v_mbcnt_hi_u32_b32 v9, -1, v6
	v_and_b32_e32 v6, 64, v9
	v_add_u32_e32 v14, 64, v6
	v_xor_b32_e32 v6, 32, v9
	v_cmp_lt_i32_e64 s[38:39], v6, v14
	s_nop 1
	v_cndmask_b32_e64 v6, v9, v6, s[38:39]
	v_lshlrev_b32_e32 v55, 2, v6
	ds_bpermute_b32 v15, v55, v8
	v_mad_i64_i32 v[6:7], s[38:39], v68, s45, v[42:43]
	global_load_dwordx4 v[26:29], v[60:61], off
	global_load_dwordx4 v[18:21], v[6:7], off
	s_waitcnt lgkmcnt(0)
	v_max_f32_e32 v6, v15, v15
	v_max_f32_e32 v15, v8, v6
	v_xor_b32_e32 v6, 16, v9
	v_cmp_lt_i32_e64 s[38:39], v6, v14
	s_nop 1
	v_cndmask_b32_e64 v6, v9, v6, s[38:39]
	v_lshlrev_b32_e32 v56, 2, v6
	ds_bpermute_b32 v14, v56, v15
	v_mad_i64_i32 v[6:7], s[38:39], v66, s45, v[42:43]
	v_mad_i64_i32 v[8:9], s[38:39], v67, s45, v[42:43]
	s_waitcnt lgkmcnt(0)
	v_max_f32_e32 v14, v14, v14
	v_max_f32_e32 v54, v15, v14
	v_sub_f32_e32 v14, v46, v54
	v_mul_f32_e32 v14, 0x3fb8aa3b, v14
	v_exp_f32_e32 v36, v14
	v_sub_f32_e32 v14, v47, v54
	v_mul_f32_e32 v14, 0x3fb8aa3b, v14
	v_exp_f32_e32 v37, v14
	global_load_dwordx4 v[14:17], v[6:7], off
	s_nop 0
	global_load_dwordx4 v[6:9], v[8:9], off
	v_sub_f32_e32 v38, v38, v54
	v_mul_f32_e32 v38, 0x3fb8aa3b, v38
	v_sub_f32_e32 v39, v39, v54
	v_exp_f32_e32 v38, v38
	v_mul_f32_e32 v39, 0x3fb8aa3b, v39
	v_exp_f32_e32 v39, v39
	v_cndmask_b32_e64 v36, 0, v36, s[24:25]
	v_add_f32_e32 v42, 0, v36
	v_cndmask_b32_e64 v37, 0, v37, s[26:27]
	v_add_f32_e32 v42, v42, v37
	;; [unrolled: 2-line block ×3, first 2 shown]
	v_cndmask_b32_e64 v47, 0, v39, s[30:31]
	v_sub_f32_e32 v39, v52, v54
	v_sub_f32_e32 v42, v53, v54
	v_mul_f32_e32 v39, 0x3fb8aa3b, v39
	v_mul_f32_e32 v42, 0x3fb8aa3b, v42
	v_exp_f32_e32 v39, v39
	v_exp_f32_e32 v42, v42
	v_add_f32_e32 v43, v38, v47
	v_sub_f32_e32 v44, v44, v54
	v_cndmask_b32_e64 v38, 0, v39, s[34:35]
	v_cndmask_b32_e64 v39, 0, v42, s[36:37]
	v_sub_f32_e32 v42, v48, v54
	v_mul_f32_e32 v42, 0x3fb8aa3b, v42
	v_exp_f32_e32 v42, v42
	v_sub_f32_e32 v48, v49, v54
	v_add_f32_e32 v43, v43, v38
	v_mul_f32_e32 v48, 0x3fb8aa3b, v48
	v_exp_f32_e32 v49, v48
	v_add_f32_e32 v43, v43, v39
	v_cndmask_b32_e64 v48, 0, v42, s[18:19]
	v_add_f32_e32 v42, v43, v48
	v_sub_f32_e32 v43, v50, v54
	v_mul_f32_e32 v43, 0x3fb8aa3b, v43
	v_sub_f32_e32 v50, v51, v54
	v_exp_f32_e32 v43, v43
	v_mul_f32_e32 v50, 0x3fb8aa3b, v50
	v_exp_f32_e32 v50, v50
	v_mul_f32_e32 v44, 0x3fb8aa3b, v44
	v_sub_f32_e32 v45, v45, v54
	v_exp_f32_e32 v44, v44
	v_mul_f32_e32 v45, 0x3fb8aa3b, v45
	v_sub_f32_e32 v40, v40, v54
	v_cndmask_b32_e64 v49, 0, v49, s[20:21]
	v_exp_f32_e32 v45, v45
	v_mul_f32_e32 v40, 0x3fb8aa3b, v40
	v_sub_f32_e32 v41, v41, v54
	v_add_f32_e32 v51, v42, v49
	v_cndmask_b32_e64 v42, 0, v43, s[14:15]
	v_exp_f32_e32 v40, v40
	v_mul_f32_e32 v41, 0x3fb8aa3b, v41
	v_sub_f32_e32 v34, v34, v54
	v_add_f32_e32 v51, v51, v42
	;; [unrolled: 5-line block ×3, first 2 shown]
	v_cndmask_b32_e64 v44, 0, v44, s[10:11]
	v_exp_f32_e32 v34, v34
	v_mul_f32_e32 v35, 0x3fb8aa3b, v35
	v_add_f32_e32 v50, v50, v44
	v_cndmask_b32_e64 v45, 0, v45, s[12:13]
	v_exp_f32_e32 v35, v35
	v_add_f32_e32 v50, v50, v45
	v_cndmask_b32_e64 v40, 0, v40, s[6:7]
	v_add_f32_e32 v50, v50, v40
	v_cndmask_b32_e64 v41, 0, v41, s[8:9]
	v_add_f32_e32 v50, v50, v41
	v_cndmask_b32_e32 v34, 0, v34, vcc
	v_add_f32_e32 v50, v50, v34
	v_cndmask_b32_e64 v35, 0, v35, s[4:5]
	v_add_f32_e32 v50, v50, v35
	ds_bpermute_b32 v51, v55, v50
	v_cmp_gt_u32_e32 vcc, 16, v65
	s_waitcnt lgkmcnt(0)
	s_barrier
	v_add_f32_e32 v50, v50, v51
	ds_bpermute_b32 v51, v56, v50
	s_and_saveexec_b64 s[4:5], vcc
	s_cbranch_execz .LBB955_13
; %bb.12:
	s_waitcnt lgkmcnt(0)
	v_add_f32_e32 v50, v50, v51
	v_lshlrev_b32_e32 v51, 2, v59
	ds_write2st64_b32 v51, v54, v50 offset1:1
.LBB955_13:
	s_or_b64 exec, exec, s[4:5]
	s_waitcnt lgkmcnt(0)
	v_lshlrev_b32_e32 v51, 2, v62
	s_load_dword s6, s[0:1], 0x94
	s_waitcnt lgkmcnt(0)
	s_barrier
	ds_read2_b32 v[52:53], v51 offset1:16
	ds_read2_b32 v[54:55], v51 offset0:32 offset1:48
	ds_read2_b32 v[56:57], v51 offset0:64 offset1:80
	s_lshl_b32 s7, s33, 3
	s_waitcnt lgkmcnt(2)
	v_max3_f32 v50, v52, s40, v53
	s_waitcnt lgkmcnt(1)
	v_max3_f32 v50, v50, v54, v55
	v_sub_f32_e32 v52, v52, v50
	v_mul_f32_e32 v52, 0x3fb8aa3b, v52
	v_exp_f32_e32 v59, v52
	v_sub_f32_e32 v52, v53, v50
	v_mul_f32_e32 v52, 0x3fb8aa3b, v52
	v_exp_f32_e32 v60, v52
	;; [unrolled: 3-line block ×3, first 2 shown]
	ds_read2_b32 v[52:53], v51 offset0:96 offset1:112
	v_sub_f32_e32 v51, v55, v50
	v_mul_f32_e32 v51, 0x3fb8aa3b, v51
	v_exp_f32_e32 v55, v51
	s_waitcnt lgkmcnt(1)
	v_fma_f32 v51, v59, v56, 0
	v_fmac_f32_e32 v51, v60, v57
	s_waitcnt lgkmcnt(0)
	v_fmac_f32_e32 v51, v54, v52
	v_fmac_f32_e32 v51, v55, v53
	v_add_f32_e32 v52, 0x358637bd, v51
	v_div_scale_f32 v53, s[4:5], v52, v52, 1.0
	v_rcp_f32_e32 v56, v53
	s_barrier
	v_fma_f32 v57, -v53, v56, 1.0
	v_fmac_f32_e32 v56, v57, v56
	v_div_scale_f32 v57, vcc, 1.0, v52, 1.0
	v_mul_f32_e32 v61, v57, v56
	v_fma_f32 v65, -v53, v61, v57
	v_fmac_f32_e32 v61, v65, v56
	v_fma_f32 v53, -v53, v61, v57
	v_div_fmas_f32 v53, v53, v56, v61
	v_cmp_eq_u32_e32 vcc, 1, v64
	v_div_fixup_f32 v52, v53, v52, 1.0
	s_nop 0
	v_cndmask_b32_e32 v53, v59, v60, vcc
	v_cmp_eq_u32_e32 vcc, 2, v64
	s_nop 1
	v_cndmask_b32_e32 v53, v53, v54, vcc
	v_cmp_eq_u32_e32 vcc, 3, v64
	s_nop 1
	v_cndmask_b32_e32 v53, v53, v55, vcc
	v_mul_f32_e32 v52, v53, v52
	v_pk_mul_f32 v[46:47], v[52:53], v[46:47] op_sel_hi:[0,1]
	v_pk_mul_f32 v[36:37], v[52:53], v[36:37] op_sel_hi:[0,1]
	v_cvt_f16_f32_e32 v53, v46
	v_cvt_f16_f32_e32 v36, v36
	;; [unrolled: 1-line block ×4, first 2 shown]
	v_pk_mul_f32 v[48:49], v[52:53], v[48:49] op_sel_hi:[0,1]
	v_pk_mul_f32 v[38:39], v[52:53], v[38:39] op_sel_hi:[0,1]
	v_cvt_f16_f32_e32 v38, v38
	v_cvt_f16_f32_e32 v39, v39
	;; [unrolled: 1-line block ×4, first 2 shown]
	v_pack_b32_f16 v46, v36, v37
	v_pack_b32_f16 v47, v53, v47
	v_lshlrev_b32_e32 v37, 3, v1
	v_lshlrev_b32_e32 v36, 5, v62
	;; [unrolled: 1-line block ×3, first 2 shown]
	v_or3_b32 v54, v53, v36, v37
	v_pack_b32_f16 v38, v38, v39
	v_pack_b32_f16 v39, v48, v49
	ds_write2st64_b64 v54, v[46:47], v[38:39] offset1:1
	v_pk_mul_f32 v[38:39], v[52:53], v[44:45] op_sel_hi:[0,1]
	v_pk_mul_f32 v[42:43], v[52:53], v[42:43] op_sel_hi:[0,1]
	v_cvt_f16_f32_e32 v37, v42
	v_cvt_f16_f32_e32 v42, v43
	;; [unrolled: 1-line block ×4, first 2 shown]
	v_pk_mul_f32 v[34:35], v[52:53], v[34:35] op_sel_hi:[0,1]
	v_pk_mul_f32 v[38:39], v[52:53], v[40:41] op_sel_hi:[0,1]
	v_cvt_f16_f32_e32 v38, v38
	v_cvt_f16_f32_e32 v39, v39
	;; [unrolled: 1-line block ×4, first 2 shown]
	v_pack_b32_f16 v34, v37, v42
	v_pack_b32_f16 v35, v43, v44
	;; [unrolled: 1-line block ×4, first 2 shown]
	v_cmp_gt_u32_e32 vcc, 8, v0
	ds_write2st64_b64 v54, v[34:35], v[38:39] offset0:2 offset1:3
	s_and_saveexec_b64 s[4:5], vcc
	s_cbranch_execz .LBB955_15
; %bb.14:
	v_or_b32_e32 v34, s23, v0
	v_mov_b32_e32 v35, 0
	v_mov_b32_e32 v37, s7
	v_mad_u64_u32 v[38:39], s[12:13], s2, v37, v[34:35]
	v_mov_b32_e32 v34, s22
	s_load_dwordx4 s[8:11], s[0:1], 0x58
	s_mul_i32 s3, s3, s7
	v_mad_u64_u32 v[34:35], s[12:13], v38, s6, v[34:35]
	v_add_u32_e32 v37, s3, v39
	v_mov_b32_e32 v38, v35
	v_mad_u64_u32 v[38:39], s[12:13], v37, s6, v[38:39]
	v_mov_b32_e32 v35, v38
	v_lshlrev_b64 v[34:35], 2, v[34:35]
	s_waitcnt lgkmcnt(0)
	v_lshl_add_u64 v[38:39], s[10:11], 0, v[34:35]
	v_lshl_add_u64 v[34:35], s[8:9], 0, v[34:35]
	global_store_dword v[38:39], v50, off
	global_store_dword v[34:35], v51, off
.LBB955_15:
	s_or_b64 exec, exec, s[4:5]
	s_waitcnt vmcnt(7)
	v_cvt_pk_f32_fp8_e32 v[34:35], v30
	v_lshl_or_b32 v50, v1, 9, v36
	v_cvt_pk_f32_fp8_sdwa v[36:37], v30 src0_sel:WORD_1
	s_waitcnt lgkmcnt(0)
	s_barrier
	v_cvt_pk_f32_fp8_e32 v[38:39], v31
	v_cvt_pkrtz_f16_f32 v30, v34, v35
	v_cvt_pk_f32_fp8_sdwa v[40:41], v31 src0_sel:WORD_1
	v_cvt_pkrtz_f16_f32 v31, v36, v37
	ds_read_b128 v[34:37], v50
	v_cvt_pkrtz_f16_f32 v46, v38, v39
	v_cvt_pkrtz_f16_f32 v47, v40, v41
	ds_read_b128 v[38:41], v50 offset:16
	v_cvt_pk_f32_fp8_e32 v[48:49], v32
	v_cvt_pk_f32_fp8_sdwa v[52:53], v32 src0_sel:WORD_1
	s_waitcnt lgkmcnt(1)
	v_mfma_f32_16x16x16_f16 v[42:45], v[30:31], v[34:35], 0
	s_waitcnt vmcnt(6)
	v_cvt_pk_f32_fp8_e32 v[56:57], v24
	v_cvt_pkrtz_f16_f32 v30, v48, v49
	v_cvt_pkrtz_f16_f32 v31, v52, v53
	v_cvt_pk_f32_fp8_e32 v[48:49], v33
	v_mfma_f32_16x16x16_f16 v[42:45], v[46:47], v[36:37], v[42:45]
	v_cvt_pk_f32_fp8_sdwa v[46:47], v33 src0_sel:WORD_1
	v_cvt_pk_f32_fp8_sdwa v[60:61], v24 src0_sel:WORD_1
	v_cvt_pkrtz_f16_f32 v48, v48, v49
	s_waitcnt lgkmcnt(0)
	v_mfma_f32_16x16x16_f16 v[30:33], v[30:31], v[38:39], v[42:45]
	v_cvt_pkrtz_f16_f32 v49, v46, v47
	s_waitcnt vmcnt(4)
	v_cvt_pk_f32_fp8_sdwa v[68:69], v4 src0_sel:WORD_1
	s_waitcnt vmcnt(3)
	v_cvt_pk_f32_fp8_sdwa v[70:71], v28 src0_sel:WORD_1
	v_cvt_pk_f32_fp8_e32 v[42:43], v22
	v_mfma_f32_16x16x16_f16 v[46:49], v[48:49], v[40:41], v[30:33]
	s_load_dword s4, s[42:43], 0x0
	s_mov_b32 s3, 0
	s_nop 0
	v_cvt_pk_f32_fp8_sdwa v[30:31], v22 src0_sel:WORD_1
	v_cvt_pk_f32_fp8_e32 v[32:33], v23
	v_cvt_pkrtz_f16_f32 v22, v42, v43
	v_cvt_pk_f32_fp8_sdwa v[42:43], v23 src0_sel:WORD_1
	v_cvt_pkrtz_f16_f32 v23, v30, v31
	v_cvt_pkrtz_f16_f32 v52, v32, v33
	ds_read_b128 v[30:33], v50 offset:2048
	v_cvt_pkrtz_f16_f32 v53, v42, v43
	ds_read_b128 v[42:45], v50 offset:2064
	s_waitcnt lgkmcnt(0)
	v_mfma_f32_16x16x16_f16 v[46:49], v[22:23], v[30:31], v[46:49]
	v_cvt_pkrtz_f16_f32 v22, v56, v57
	v_cvt_pkrtz_f16_f32 v23, v60, v61
	v_cvt_pk_f32_fp8_e32 v[56:57], v25
	v_mfma_f32_16x16x16_f16 v[46:49], v[52:53], v[32:33], v[46:49]
	v_cvt_pk_f32_fp8_sdwa v[52:53], v25 src0_sel:WORD_1
	v_cvt_pk_f32_fp8_sdwa v[60:61], v12 src0_sel:WORD_1
	v_cvt_pkrtz_f16_f32 v56, v56, v57
	v_mfma_f32_16x16x16_f16 v[22:25], v[22:23], v[42:43], v[46:49]
	v_cvt_pkrtz_f16_f32 v57, v52, v53
	v_cmp_gt_u32_e32 vcc, 64, v0
	s_nop 0
	v_cvt_pk_f32_fp8_e32 v[46:47], v10
	v_mfma_f32_16x16x16_f16 v[64:67], v[56:57], v[44:45], v[22:25]
	v_cvt_pk_f32_fp8_e32 v[56:57], v12
	s_nop 1
	v_cvt_pk_f32_fp8_sdwa v[22:23], v10 src0_sel:WORD_1
	v_cvt_pk_f32_fp8_e32 v[24:25], v11
	v_cvt_pkrtz_f16_f32 v10, v46, v47
	v_cvt_pk_f32_fp8_sdwa v[46:47], v11 src0_sel:WORD_1
	v_cvt_pkrtz_f16_f32 v11, v22, v23
	v_cvt_pkrtz_f16_f32 v52, v24, v25
	ds_read_b128 v[22:25], v50 offset:4096
	v_cvt_pkrtz_f16_f32 v53, v46, v47
	ds_read_b128 v[46:49], v50 offset:4112
	s_waitcnt lgkmcnt(1)
	v_mfma_f32_16x16x16_f16 v[64:67], v[10:11], v[22:23], v[64:67]
	v_cvt_pkrtz_f16_f32 v10, v56, v57
	v_cvt_pkrtz_f16_f32 v11, v60, v61
	v_cvt_pk_f32_fp8_e32 v[56:57], v13
	v_mfma_f32_16x16x16_f16 v[64:67], v[52:53], v[24:25], v[64:67]
	v_cvt_pk_f32_fp8_sdwa v[52:53], v13 src0_sel:WORD_1
	v_cvt_pk_f32_fp8_e32 v[60:61], v4
	v_cvt_pkrtz_f16_f32 v56, v56, v57
	s_waitcnt lgkmcnt(0)
	v_mfma_f32_16x16x16_f16 v[10:13], v[10:11], v[46:47], v[64:67]
	v_cvt_pkrtz_f16_f32 v57, v52, v53
	v_cvt_pk_f32_fp8_e32 v[52:53], v2
	s_nop 0
	v_mfma_f32_16x16x16_f16 v[64:67], v[56:57], v[48:49], v[10:13]
	s_nop 2
	v_cvt_pk_f32_fp8_sdwa v[10:11], v2 src0_sel:WORD_1
	v_cvt_pk_f32_fp8_e32 v[12:13], v3
	v_cvt_pkrtz_f16_f32 v2, v52, v53
	v_cvt_pk_f32_fp8_sdwa v[52:53], v3 src0_sel:WORD_1
	v_cvt_pkrtz_f16_f32 v3, v10, v11
	v_cvt_pkrtz_f16_f32 v56, v12, v13
	ds_read_b128 v[10:13], v50 offset:6144
	v_cvt_pkrtz_f16_f32 v57, v52, v53
	s_waitcnt lgkmcnt(0)
	v_mfma_f32_16x16x16_f16 v[64:67], v[2:3], v[10:11], v[64:67]
	ds_read_b128 v[50:53], v50 offset:6160
	v_cvt_pkrtz_f16_f32 v2, v60, v61
	v_cvt_pkrtz_f16_f32 v3, v68, v69
	v_cvt_pk_f32_fp8_e32 v[60:61], v5
	v_mfma_f32_16x16x16_f16 v[64:67], v[56:57], v[12:13], v[64:67]
	v_cvt_pk_f32_fp8_sdwa v[56:57], v5 src0_sel:WORD_1
	v_cvt_pk_f32_fp8_e32 v[68:69], v28
	v_cvt_pkrtz_f16_f32 v60, v60, v61
	s_waitcnt lgkmcnt(0)
	v_mfma_f32_16x16x16_f16 v[2:5], v[2:3], v[50:51], v[64:67]
	v_cvt_pkrtz_f16_f32 v61, v56, v57
	v_cvt_pk_f32_fp8_e32 v[56:57], v26
	s_nop 0
	v_cvt_pk_f32_fp8_sdwa v[64:65], v26 src0_sel:WORD_1
	v_mfma_f32_16x16x16_f16 v[2:5], v[60:61], v[52:53], v[2:5]
	v_cvt_pk_f32_fp8_e32 v[60:61], v27
	v_cvt_pkrtz_f16_f32 v56, v56, v57
	v_cvt_pkrtz_f16_f32 v57, v64, v65
	v_cvt_pk_f32_fp8_sdwa v[26:27], v27 src0_sel:WORD_1
	v_cvt_pkrtz_f16_f32 v60, v60, v61
	v_mfma_f32_16x16x16_f16 v[64:67], v[56:57], v[34:35], 0
	v_cvt_pkrtz_f16_f32 v61, v26, v27
	v_cvt_pkrtz_f16_f32 v26, v68, v69
	;; [unrolled: 1-line block ×3, first 2 shown]
	v_cvt_pk_f32_fp8_e32 v[56:57], v29
	v_mfma_f32_16x16x16_f16 v[34:37], v[60:61], v[36:37], v[64:67]
	v_cvt_pk_f32_fp8_sdwa v[60:61], v29 src0_sel:WORD_1
	v_cvt_pkrtz_f16_f32 v56, v56, v57
	s_barrier
	v_mfma_f32_16x16x16_f16 v[26:29], v[26:27], v[38:39], v[34:37]
	v_cvt_pkrtz_f16_f32 v57, v60, v61
	s_waitcnt vmcnt(2)
	v_cvt_pk_f32_fp8_e32 v[38:39], v19
	v_cvt_pk_f32_fp8_e32 v[34:35], v18
	v_cvt_pk_f32_fp8_sdwa v[36:37], v18 src0_sel:WORD_1
	v_cvt_pk_f32_fp8_sdwa v[18:19], v19 src0_sel:WORD_1
	v_mfma_f32_16x16x16_f16 v[26:29], v[56:57], v[40:41], v[26:29]
	v_cvt_pkrtz_f16_f32 v34, v34, v35
	v_cvt_pkrtz_f16_f32 v35, v36, v37
	v_cvt_pkrtz_f16_f32 v36, v38, v39
	v_cvt_pk_f32_fp8_e32 v[38:39], v20
	v_cvt_pk_f32_fp8_sdwa v[40:41], v20 src0_sel:WORD_1
	v_cvt_pkrtz_f16_f32 v37, v18, v19
	v_mfma_f32_16x16x16_f16 v[26:29], v[34:35], v[30:31], v[26:29]
	v_cvt_pkrtz_f16_f32 v30, v38, v39
	v_cvt_pkrtz_f16_f32 v31, v40, v41
	v_cvt_pk_f32_fp8_e32 v[34:35], v21
	v_cvt_pk_f32_fp8_sdwa v[38:39], v21 src0_sel:WORD_1
	v_mfma_f32_16x16x16_f16 v[18:21], v[36:37], v[32:33], v[26:29]
	s_waitcnt vmcnt(1)
	v_cvt_pk_f32_fp8_sdwa v[32:33], v16 src0_sel:WORD_1
	s_nop 0
	v_cvt_pkrtz_f16_f32 v26, v34, v35
	v_cvt_pkrtz_f16_f32 v27, v38, v39
	v_mfma_f32_16x16x16_f16 v[18:21], v[30:31], v[42:43], v[18:21]
	v_cvt_pk_f32_fp8_e32 v[28:29], v14
	v_cvt_pk_f32_fp8_sdwa v[30:31], v14 src0_sel:WORD_1
	v_cvt_pkrtz_f16_f32 v28, v28, v29
	v_mfma_f32_16x16x16_f16 v[18:21], v[26:27], v[44:45], v[18:21]
	v_cvt_pk_f32_fp8_e32 v[26:27], v15
	v_cvt_pkrtz_f16_f32 v29, v30, v31
	v_cvt_pk_f32_fp8_sdwa v[14:15], v15 src0_sel:WORD_1
	v_cvt_pk_f32_fp8_e32 v[30:31], v16
	v_cvt_pkrtz_f16_f32 v26, v26, v27
	v_mfma_f32_16x16x16_f16 v[18:21], v[28:29], v[22:23], v[18:21]
	v_cvt_pkrtz_f16_f32 v27, v14, v15
	v_cvt_pkrtz_f16_f32 v22, v30, v31
	;; [unrolled: 1-line block ×3, first 2 shown]
	v_cvt_pk_f32_fp8_e32 v[28:29], v17
	v_cvt_pk_f32_fp8_sdwa v[30:31], v17 src0_sel:WORD_1
	v_mfma_f32_16x16x16_f16 v[14:17], v[26:27], v[24:25], v[18:21]
	s_waitcnt vmcnt(0)
	v_cvt_pk_f32_fp8_sdwa v[24:25], v6 src0_sel:WORD_1
	s_nop 0
	v_pk_mul_f32 v[18:19], v[4:5], s[4:5] op_sel_hi:[1,0]
	v_cvt_pkrtz_f16_f32 v4, v28, v29
	v_cvt_pkrtz_f16_f32 v5, v30, v31
	v_mfma_f32_16x16x16_f16 v[14:17], v[22:23], v[46:47], v[14:17]
	v_cvt_pk_f32_fp8_e32 v[22:23], v6
	v_pk_mul_f32 v[20:21], v[2:3], s[4:5] op_sel_hi:[1,0]
	v_mfma_f32_16x16x16_f16 v[2:5], v[4:5], v[48:49], v[14:17]
	s_nop 3
	v_cvt_pk_f32_fp8_e32 v[14:15], v7
	v_cvt_pkrtz_f16_f32 v16, v22, v23
	v_cvt_pkrtz_f16_f32 v17, v24, v25
	v_cvt_pk_f32_fp8_sdwa v[6:7], v7 src0_sel:WORD_1
	v_cvt_pkrtz_f16_f32 v14, v14, v15
	v_cvt_pk_f32_fp8_e32 v[22:23], v8
	v_cvt_pk_f32_fp8_sdwa v[24:25], v8 src0_sel:WORD_1
	v_cvt_pkrtz_f16_f32 v15, v6, v7
	v_mfma_f32_16x16x16_f16 v[2:5], v[16:17], v[10:11], v[2:5]
	v_cvt_pkrtz_f16_f32 v6, v22, v23
	v_cvt_pkrtz_f16_f32 v7, v24, v25
	v_cvt_pk_f32_fp8_e32 v[10:11], v9
	v_cvt_pk_f32_fp8_sdwa v[8:9], v9 src0_sel:WORD_1
	v_mfma_f32_16x16x16_f16 v[2:5], v[14:15], v[12:13], v[2:5]
	v_cvt_f16_f32_e32 v12, v20
	v_cvt_pkrtz_f16_f32 v10, v10, v11
	v_cvt_pkrtz_f16_f32 v11, v8, v9
	v_mfma_f32_16x16x16_f16 v[2:5], v[6:7], v[50:51], v[2:5]
	v_cvt_f16_f32_e32 v6, v21
	v_cvt_f16_f32_e32 v7, v18
	;; [unrolled: 1-line block ×3, first 2 shown]
	v_mfma_f32_16x16x16_f16 v[2:5], v[10:11], v[52:53], v[2:5]
	s_nop 6
	v_pk_mul_f32 v[4:5], v[4:5], s[4:5] op_sel_hi:[1,0]
	v_pk_mul_f32 v[2:3], v[2:3], s[4:5] op_sel_hi:[1,0]
	v_cvt_f16_f32_e32 v11, v4
	v_cvt_f16_f32_e32 v9, v2
	;; [unrolled: 1-line block ×4, first 2 shown]
	v_pack_b32_f16 v2, v12, v6
	v_pack_b32_f16 v3, v7, v8
	;; [unrolled: 1-line block ×4, first 2 shown]
	ds_write2st64_b64 v54, v[2:3], v[4:5] offset1:1
	s_waitcnt lgkmcnt(0)
	s_barrier
	s_and_saveexec_b64 s[4:5], vcc
	s_cbranch_execz .LBB955_17
; %bb.16:
	s_load_dwordx2 s[0:1], s[0:1], 0x68
	s_lshl_b32 s6, s6, 7
	s_mul_i32 s2, s7, s2
	s_mul_hi_u32 s5, s2, s6
	s_mul_i32 s4, s2, s6
	v_lshlrev_b32_e32 v4, 6, v62
	s_lshl_b64 s[4:5], s[4:5], 1
	v_lshl_or_b32 v0, v0, 10, v4
	s_waitcnt lgkmcnt(0)
	s_add_u32 s4, s0, s4
	v_lshlrev_b32_e32 v2, 5, v1
	v_and_b32_e32 v3, 16, v63
	v_and_b32_e32 v0, 0x1a00, v0
	s_addc_u32 s5, s1, s5
	s_lshl_b32 s2, s22, 7
	v_or3_b32 v0, v0, v2, v3
	s_lshl_b64 s[0:1], s[2:3], 1
	ds_read_b128 v[2:5], v0
	ds_read_b128 v[6:9], v0 offset:128
	s_add_u32 s0, s4, s0
	s_addc_u32 s1, s5, s1
	v_mov_b32_e32 v59, 0
	v_or_b32_e32 v12, s23, v1
	v_lshl_add_u64 v[10:11], s[0:1], 0, v[58:59]
	v_mad_u64_u32 v[0:1], s[0:1], v12, s6, 0
	v_lshl_add_u64 v[0:1], v[0:1], 1, v[10:11]
	s_waitcnt lgkmcnt(1)
	global_store_dwordx4 v[0:1], v[2:5], off
	v_or_b32_e32 v0, 4, v12
	v_mad_u64_u32 v[0:1], s[0:1], v0, s6, 0
	v_lshl_add_u64 v[0:1], v[0:1], 1, v[10:11]
	s_waitcnt lgkmcnt(0)
	global_store_dwordx4 v[0:1], v[6:9], off
.LBB955_17:
	s_endpgm
	.section	.rodata,"a",@progbits
	.p2align	6, 0x0
	.amdhsa_kernel _Z39paged_attention_ll4mi_QKV_mfma16_kernelIDF16_hLN4vllm18Fp8KVCacheDataTypeE1EhLi16ELi128ELi256ELb0ELi8EEvPKT_PKT0_S7_ifPKiS9_S9_iPKfiiiPfSC_PS2_PT2_iSB_SB_
		.amdhsa_group_segment_fixed_size 8192
		.amdhsa_private_segment_fixed_size 0
		.amdhsa_kernarg_size 400
		.amdhsa_user_sgpr_count 2
		.amdhsa_user_sgpr_dispatch_ptr 0
		.amdhsa_user_sgpr_queue_ptr 0
		.amdhsa_user_sgpr_kernarg_segment_ptr 1
		.amdhsa_user_sgpr_dispatch_id 0
		.amdhsa_user_sgpr_kernarg_preload_length 0
		.amdhsa_user_sgpr_kernarg_preload_offset 0
		.amdhsa_user_sgpr_private_segment_size 0
		.amdhsa_uses_dynamic_stack 0
		.amdhsa_enable_private_segment 0
		.amdhsa_system_sgpr_workgroup_id_x 1
		.amdhsa_system_sgpr_workgroup_id_y 1
		.amdhsa_system_sgpr_workgroup_id_z 1
		.amdhsa_system_sgpr_workgroup_info 0
		.amdhsa_system_vgpr_workitem_id 0
		.amdhsa_next_free_vgpr 90
		.amdhsa_next_free_sgpr 48
		.amdhsa_accum_offset 92
		.amdhsa_reserve_vcc 1
		.amdhsa_float_round_mode_32 0
		.amdhsa_float_round_mode_16_64 0
		.amdhsa_float_denorm_mode_32 3
		.amdhsa_float_denorm_mode_16_64 3
		.amdhsa_dx10_clamp 1
		.amdhsa_ieee_mode 1
		.amdhsa_fp16_overflow 0
		.amdhsa_tg_split 0
		.amdhsa_exception_fp_ieee_invalid_op 0
		.amdhsa_exception_fp_denorm_src 0
		.amdhsa_exception_fp_ieee_div_zero 0
		.amdhsa_exception_fp_ieee_overflow 0
		.amdhsa_exception_fp_ieee_underflow 0
		.amdhsa_exception_fp_ieee_inexact 0
		.amdhsa_exception_int_div_zero 0
	.end_amdhsa_kernel
	.section	.text._Z39paged_attention_ll4mi_QKV_mfma16_kernelIDF16_hLN4vllm18Fp8KVCacheDataTypeE1EhLi16ELi128ELi256ELb0ELi8EEvPKT_PKT0_S7_ifPKiS9_S9_iPKfiiiPfSC_PS2_PT2_iSB_SB_,"axG",@progbits,_Z39paged_attention_ll4mi_QKV_mfma16_kernelIDF16_hLN4vllm18Fp8KVCacheDataTypeE1EhLi16ELi128ELi256ELb0ELi8EEvPKT_PKT0_S7_ifPKiS9_S9_iPKfiiiPfSC_PS2_PT2_iSB_SB_,comdat
.Lfunc_end955:
	.size	_Z39paged_attention_ll4mi_QKV_mfma16_kernelIDF16_hLN4vllm18Fp8KVCacheDataTypeE1EhLi16ELi128ELi256ELb0ELi8EEvPKT_PKT0_S7_ifPKiS9_S9_iPKfiiiPfSC_PS2_PT2_iSB_SB_, .Lfunc_end955-_Z39paged_attention_ll4mi_QKV_mfma16_kernelIDF16_hLN4vllm18Fp8KVCacheDataTypeE1EhLi16ELi128ELi256ELb0ELi8EEvPKT_PKT0_S7_ifPKiS9_S9_iPKfiiiPfSC_PS2_PT2_iSB_SB_
                                        ; -- End function
	.section	.AMDGPU.csdata,"",@progbits
; Kernel info:
; codeLenInByte = 5976
; NumSgprs: 54
; NumVgprs: 90
; NumAgprs: 0
; TotalNumVgprs: 90
; ScratchSize: 0
; MemoryBound: 0
; FloatMode: 240
; IeeeMode: 1
; LDSByteSize: 8192 bytes/workgroup (compile time only)
; SGPRBlocks: 6
; VGPRBlocks: 11
; NumSGPRsForWavesPerEU: 54
; NumVGPRsForWavesPerEU: 90
; AccumOffset: 92
; Occupancy: 5
; WaveLimiterHint : 1
; COMPUTE_PGM_RSRC2:SCRATCH_EN: 0
; COMPUTE_PGM_RSRC2:USER_SGPR: 2
; COMPUTE_PGM_RSRC2:TRAP_HANDLER: 0
; COMPUTE_PGM_RSRC2:TGID_X_EN: 1
; COMPUTE_PGM_RSRC2:TGID_Y_EN: 1
; COMPUTE_PGM_RSRC2:TGID_Z_EN: 1
; COMPUTE_PGM_RSRC2:TIDIG_COMP_CNT: 0
; COMPUTE_PGM_RSRC3_GFX90A:ACCUM_OFFSET: 22
; COMPUTE_PGM_RSRC3_GFX90A:TG_SPLIT: 0
	.section	.text._Z39paged_attention_ll4mi_QKV_mfma16_kernelIDF16_hLN4vllm18Fp8KVCacheDataTypeE1EhLi16ELi128ELi256ELb0ELi9EEvPKT_PKT0_S7_ifPKiS9_S9_iPKfiiiPfSC_PS2_PT2_iSB_SB_,"axG",@progbits,_Z39paged_attention_ll4mi_QKV_mfma16_kernelIDF16_hLN4vllm18Fp8KVCacheDataTypeE1EhLi16ELi128ELi256ELb0ELi9EEvPKT_PKT0_S7_ifPKiS9_S9_iPKfiiiPfSC_PS2_PT2_iSB_SB_,comdat
	.protected	_Z39paged_attention_ll4mi_QKV_mfma16_kernelIDF16_hLN4vllm18Fp8KVCacheDataTypeE1EhLi16ELi128ELi256ELb0ELi9EEvPKT_PKT0_S7_ifPKiS9_S9_iPKfiiiPfSC_PS2_PT2_iSB_SB_ ; -- Begin function _Z39paged_attention_ll4mi_QKV_mfma16_kernelIDF16_hLN4vllm18Fp8KVCacheDataTypeE1EhLi16ELi128ELi256ELb0ELi9EEvPKT_PKT0_S7_ifPKiS9_S9_iPKfiiiPfSC_PS2_PT2_iSB_SB_
	.globl	_Z39paged_attention_ll4mi_QKV_mfma16_kernelIDF16_hLN4vllm18Fp8KVCacheDataTypeE1EhLi16ELi128ELi256ELb0ELi9EEvPKT_PKT0_S7_ifPKiS9_S9_iPKfiiiPfSC_PS2_PT2_iSB_SB_
	.p2align	8
	.type	_Z39paged_attention_ll4mi_QKV_mfma16_kernelIDF16_hLN4vllm18Fp8KVCacheDataTypeE1EhLi16ELi128ELi256ELb0ELi9EEvPKT_PKT0_S7_ifPKiS9_S9_iPKfiiiPfSC_PS2_PT2_iSB_SB_,@function
_Z39paged_attention_ll4mi_QKV_mfma16_kernelIDF16_hLN4vllm18Fp8KVCacheDataTypeE1EhLi16ELi128ELi256ELb0ELi9EEvPKT_PKT0_S7_ifPKiS9_S9_iPKfiiiPfSC_PS2_PT2_iSB_SB_: ; @_Z39paged_attention_ll4mi_QKV_mfma16_kernelIDF16_hLN4vllm18Fp8KVCacheDataTypeE1EhLi16ELi128ELi256ELb0ELi9EEvPKT_PKT0_S7_ifPKiS9_S9_iPKfiiiPfSC_PS2_PT2_iSB_SB_
; %bb.0:
	s_load_dwordx2 s[12:13], s[0:1], 0x30
	s_mov_b32 s24, s3
	s_mov_b64 s[6:7], 0
	s_waitcnt lgkmcnt(0)
	s_cmp_lg_u64 s[12:13], 0
	s_cselect_b64 s[14:15], -1, 0
	s_and_b64 vcc, exec, s[14:15]
	s_cbranch_vccz .LBB956_7
; %bb.1:
	s_add_i32 s8, s2, 1
	s_mov_b32 s9, 0
	s_lshl_b64 s[10:11], s[8:9], 2
	s_add_u32 s10, s12, s10
	s_mov_b32 s3, s9
	s_addc_u32 s11, s13, s11
	s_lshl_b64 s[8:9], s[2:3], 2
	s_add_u32 s8, s12, s8
	s_addc_u32 s9, s13, s9
	s_load_dword s5, s[10:11], 0x0
	s_load_dword s16, s[8:9], 0x0
	s_waitcnt lgkmcnt(0)
	s_sub_i32 s5, s5, s16
	s_cmp_eq_u32 s5, 1
	s_cselect_b64 s[8:9], -1, 0
	s_andn2_b64 vcc, exec, s[6:7]
	s_cbranch_vccnz .LBB956_3
.LBB956_2:
	s_mov_b32 s3, 0
	s_mov_b64 s[8:9], -1
.LBB956_3:
	s_andn2_b64 vcc, exec, s[8:9]
	s_cbranch_vccnz .LBB956_18
; %bb.4:
	s_load_dwordx2 s[6:7], s[0:1], 0x28
	s_lshl_b64 s[16:17], s[2:3], 2
	s_waitcnt lgkmcnt(0)
	s_add_u32 s6, s6, s16
	s_addc_u32 s7, s7, s17
	s_load_dword s33, s[6:7], 0x0
	s_lshl_b32 s18, s24, 8
	s_waitcnt lgkmcnt(0)
	s_cmp_ge_i32 s18, s33
	s_cbranch_scc1 .LBB956_18
; %bb.5:
	s_load_dwordx2 s[6:7], s[0:1], 0x20
	s_load_dword s8, s[0:1], 0x38
	s_add_i32 s5, s33, 15
	s_ashr_i32 s9, s5, 31
	v_and_b32_e32 v1, 0xcf, v0
	s_lshr_b32 s9, s9, 28
	v_add_u32_e32 v1, s18, v1
	s_add_i32 s5, s5, s9
	v_ashrrev_i32_e32 v2, 31, v1
	s_ashr_i32 s5, s5, 4
	v_lshrrev_b32_e32 v10, 28, v2
	s_add_i32 s5, s5, -1
	s_waitcnt lgkmcnt(0)
	s_mul_i32 s8, s2, s8
	s_mov_b32 s9, 0
	v_add_u32_e32 v2, v1, v10
	s_lshl_b64 s[8:9], s[8:9], 2
	v_ashrrev_i32_e32 v2, 4, v2
	v_mov_b32_e32 v11, s5
	v_cmp_gt_i32_e32 vcc, s33, v1
	s_add_u32 s6, s6, s8
	s_addc_u32 s7, s7, s9
	v_cndmask_b32_e32 v2, v11, v2, vcc
	v_ashrrev_i32_e32 v3, 31, v2
	v_lshl_add_u64 v[4:5], v[2:3], 2, s[6:7]
	v_or_b32_e32 v2, 16, v1
	v_add_u32_e32 v3, v2, v10
	v_ashrrev_i32_e32 v3, 4, v3
	v_cmp_gt_i32_e32 vcc, s33, v2
	s_load_dwordx4 s[8:11], s[0:1], 0x8
	s_nop 0
	v_cndmask_b32_e32 v2, v11, v3, vcc
	v_ashrrev_i32_e32 v3, 31, v2
	v_lshl_add_u64 v[6:7], v[2:3], 2, s[6:7]
	v_or_b32_e32 v2, 32, v1
	v_add_u32_e32 v3, v2, v10
	v_ashrrev_i32_e32 v3, 4, v3
	v_cmp_gt_i32_e32 vcc, s33, v2
	v_or_b32_e32 v1, 48, v1
	s_nop 0
	v_cndmask_b32_e32 v2, v11, v3, vcc
	v_ashrrev_i32_e32 v3, 31, v2
	v_lshl_add_u64 v[8:9], v[2:3], 2, s[6:7]
	v_add_u32_e32 v2, v1, v10
	v_ashrrev_i32_e32 v2, 4, v2
	v_cmp_gt_i32_e32 vcc, s33, v1
	s_nop 1
	v_cndmask_b32_e32 v2, v11, v2, vcc
	v_ashrrev_i32_e32 v3, 31, v2
	v_lshl_add_u64 v[10:11], v[2:3], 2, s[6:7]
	global_load_dword v3, v[4:5], off
	global_load_dword v2, v[6:7], off
	;; [unrolled: 1-line block ×4, first 2 shown]
	s_andn2_b64 vcc, exec, s[14:15]
	s_cbranch_vccnz .LBB956_8
; %bb.6:
	s_add_u32 s12, s12, s16
	s_addc_u32 s13, s13, s17
	s_load_dword s14, s[12:13], 0x0
	s_branch .LBB956_9
.LBB956_7:
	s_mov_b64 s[8:9], 0
	s_branch .LBB956_2
.LBB956_8:
	s_mov_b32 s14, s2
.LBB956_9:
	s_load_dwordx4 s[44:47], s[0:1], 0x48
	v_lshrrev_b32_e32 v61, 6, v0
	v_bfe_u32 v64, v0, 4, 2
	v_and_b32_e32 v60, 15, v0
	v_lshl_or_b32 v4, v61, 2, v64
	v_lshlrev_b32_e32 v1, 3, v60
	v_and_b32_e32 v65, 63, v0
	s_mul_i32 s48, s4, 9
	v_cmp_gt_u32_e32 vcc, 9, v4
	v_lshlrev_b32_e32 v58, 1, v1
	v_lshlrev_b32_e32 v1, 4, v0
	s_and_saveexec_b64 s[12:13], vcc
	s_cbranch_execz .LBB956_11
; %bb.10:
	s_load_dwordx2 s[16:17], s[0:1], 0x0
	s_waitcnt lgkmcnt(0)
	s_ashr_i32 s15, s44, 31
	s_mul_hi_u32 s19, s14, s44
	s_mul_i32 s15, s14, s15
	s_add_i32 s15, s19, s15
	s_mul_i32 s14, s14, s44
	s_lshl_b64 s[14:15], s[14:15], 1
	s_add_u32 s14, s16, s14
	v_add_lshl_u32 v6, v4, s48, 7
	s_addc_u32 s15, s17, s15
	v_ashrrev_i32_e32 v7, 31, v6
	v_lshl_add_u64 v[6:7], v[6:7], 1, s[14:15]
	v_mov_b32_e32 v59, 0
	v_lshl_add_u64 v[6:7], v[6:7], 0, v[58:59]
	global_load_dwordx4 v[6:9], v[6:7], off
	v_lshlrev_b32_e32 v10, 8, v0
	v_lshlrev_b32_e32 v5, 8, v60
	v_and_b32_e32 v10, 0x600, v10
	s_movk_i32 s14, 0x800
	v_and_or_b32 v5, v5, s14, v10
	v_lshlrev_b32_e32 v4, 5, v4
	v_and_b32_e32 v10, 16, v1
	v_or3_b32 v4, v5, v4, v10
	s_waitcnt vmcnt(0)
	ds_write_b128 v4, v[6:9]
.LBB956_11:
	s_or_b64 exec, exec, s[12:13]
	s_waitcnt lgkmcnt(0)
	s_mul_i32 s4, s4, s46
	s_add_u32 s8, s8, s4
	s_addc_u32 s9, s9, 0
	v_and_b32_e32 v62, 0xf0, v1
	v_mov_b32_e32 v63, 0
	v_and_b32_e32 v6, 48, v0
	v_lshl_add_u64 v[30:31], s[8:9], 0, v[62:63]
	v_lshlrev_b32_e32 v62, 4, v6
	s_waitcnt vmcnt(3)
	v_mad_i64_i32 v[4:5], s[8:9], v3, s45, v[30:31]
	v_lshl_add_u64 v[4:5], v[4:5], 0, v[62:63]
	s_load_dword s25, s[0:1], 0x98
	s_load_dwordx4 s[40:43], s[0:1], 0x80
	s_waitcnt lgkmcnt(0)
	s_barrier
	global_load_dwordx4 v[22:25], v[4:5], off
	global_load_dwordx4 v[10:13], v[4:5], off offset:1024
	s_waitcnt vmcnt(4)
	v_mad_i64_i32 v[2:3], s[8:9], v2, s45, v[30:31]
	v_lshl_add_u64 v[32:33], v[2:3], 0, v[62:63]
	global_load_dwordx4 v[2:5], v[32:33], off
	v_add_u32_e32 v7, -9, v60
	v_cmp_gt_u32_e32 vcc, 9, v60
	v_or_b32_e32 v6, s18, v6
	v_mov_b32_e32 v38, s5
	v_cndmask_b32_e32 v7, v7, v60, vcc
	v_lshlrev_b32_e32 v7, 5, v7
	v_ashrrev_i32_e32 v8, 4, v6
	v_lshl_add_u32 v7, v64, 9, v7
	v_cmp_gt_i32_e32 vcc, s33, v6
	v_or_b32_e32 v39, 64, v6
	v_or_b32_e32 v43, 0x80, v6
	v_or_b32_e32 v45, 0xc0, v6
	v_cndmask_b32_e32 v40, v38, v8, vcc
	ds_read_b128 v[26:29], v7
	ds_read_b128 v[18:21], v7 offset:16
	ds_read_b128 v[14:17], v7 offset:2048
	;; [unrolled: 1-line block ×3, first 2 shown]
	s_waitcnt vmcnt(4)
	v_mad_i64_i32 v[36:37], s[12:13], v34, s45, v[30:31]
	s_waitcnt vmcnt(3)
	v_mad_i64_i32 v[34:35], s[12:13], v35, s45, v[30:31]
	global_load_dwordx4 v[30:33], v[32:33], off offset:1024
	v_ashrrev_i32_e32 v42, 4, v39
	v_cmp_gt_i32_e32 vcc, s33, v39
	v_ashrrev_i32_e32 v44, 4, v43
	v_ashrrev_i32_e32 v46, 4, v45
	v_cndmask_b32_e32 v42, v38, v42, vcc
	v_cmp_gt_i32_e32 vcc, s33, v43
	v_ashrrev_i32_e32 v41, 31, v40
	v_lshl_add_u64 v[36:37], v[36:37], 0, v[62:63]
	v_cndmask_b32_e32 v44, v38, v44, vcc
	v_cmp_gt_i32_e32 vcc, s33, v45
	v_lshl_add_u64 v[34:35], v[34:35], 0, v[62:63]
	v_ashrrev_i32_e32 v43, 31, v42
	v_cndmask_b32_e32 v38, v38, v46, vcc
	v_ashrrev_i32_e32 v45, 31, v44
	v_ashrrev_i32_e32 v39, 31, v38
	v_lshl_add_u64 v[50:51], v[40:41], 2, s[6:7]
	v_lshl_add_u64 v[52:53], v[42:43], 2, s[6:7]
	;; [unrolled: 1-line block ×4, first 2 shown]
	global_load_dwordx4 v[46:49], v[36:37], off
	global_load_dwordx4 v[42:45], v[36:37], off offset:1024
	global_load_dwordx4 v[38:41], v[34:35], off
	s_nop 0
	global_load_dwordx4 v[34:37], v[34:35], off offset:1024
	s_nop 0
	global_load_dword v69, v[50:51], off
	global_load_dword v68, v[52:53], off
	;; [unrolled: 1-line block ×4, first 2 shown]
	s_add_u32 s4, s10, s4
	v_lshl_or_b32 v59, v61, 4, v60
	s_addc_u32 s5, s11, 0
	v_lshlrev_b32_e32 v62, 4, v59
	s_load_dword s8, s[0:1], 0x1c
	s_waitcnt vmcnt(11)
	v_cvt_pk_f32_fp8_e32 v[50:51], v22
	v_cvt_pk_f32_fp8_sdwa v[52:53], v22 src0_sel:WORD_1
	v_cvt_pk_f32_fp8_e32 v[54:55], v23
	v_cvt_pk_f32_fp8_sdwa v[56:57], v23 src0_sel:WORD_1
	;; [unrolled: 2-line block ×4, first 2 shown]
	s_waitcnt vmcnt(9)
	v_cvt_pk_f32_fp8_e32 v[22:23], v2
	v_cvt_pk_f32_fp8_sdwa v[24:25], v2 src0_sel:WORD_1
	v_cvt_pkrtz_f16_f32 v50, v50, v51
	v_cvt_pkrtz_f16_f32 v51, v52, v53
	v_cvt_pk_f32_fp8_e32 v[78:79], v10
	v_cvt_pk_f32_fp8_sdwa v[80:81], v10 src0_sel:WORD_1
	v_cvt_pk_f32_fp8_e32 v[52:53], v11
	v_cvt_pk_f32_fp8_sdwa v[82:83], v11 src0_sel:WORD_1
	v_cvt_pkrtz_f16_f32 v10, v22, v23
	v_cvt_pkrtz_f16_f32 v11, v24, v25
	;; [unrolled: 1-line block ×4, first 2 shown]
	s_waitcnt lgkmcnt(0)
	v_mfma_f32_16x16x16_f16 v[22:25], v[50:51], v[26:27], 0
	v_cvt_pk_f32_fp8_e32 v[50:51], v12
	v_cvt_pk_f32_fp8_sdwa v[86:87], v12 src0_sel:WORD_1
	v_cvt_pkrtz_f16_f32 v50, v50, v51
	v_mfma_f32_16x16x16_f16 v[54:57], v[10:11], v[26:27], 0
	v_cvt_pkrtz_f16_f32 v10, v70, v71
	v_cvt_pkrtz_f16_f32 v11, v72, v73
	;; [unrolled: 1-line block ×3, first 2 shown]
	v_mfma_f32_16x16x16_f16 v[22:25], v[84:85], v[28:29], v[22:25]
	v_cvt_pkrtz_f16_f32 v73, v76, v77
	v_cvt_pkrtz_f16_f32 v76, v78, v79
	;; [unrolled: 1-line block ×3, first 2 shown]
	v_mfma_f32_16x16x16_f16 v[22:25], v[10:11], v[18:19], v[22:25]
	v_cvt_pk_f32_fp8_e32 v[70:71], v13
	v_cvt_pk_f32_fp8_sdwa v[74:75], v13 src0_sel:WORD_1
	v_cvt_pkrtz_f16_f32 v51, v86, v87
	v_mfma_f32_16x16x16_f16 v[10:13], v[72:73], v[20:21], v[22:25]
	s_waitcnt vmcnt(7)
	v_cvt_pk_f32_fp8_e32 v[72:73], v49
	s_nop 0
	v_cvt_pkrtz_f16_f32 v24, v52, v53
	v_cvt_pkrtz_f16_f32 v25, v82, v83
	v_mfma_f32_16x16x16_f16 v[10:13], v[76:77], v[14:15], v[10:13]
	v_cvt_pk_f32_fp8_e32 v[22:23], v3
	v_cvt_pk_f32_fp8_sdwa v[2:3], v3 src0_sel:WORD_1
	v_cvt_pkrtz_f16_f32 v52, v70, v71
	v_mfma_f32_16x16x16_f16 v[10:13], v[24:25], v[16:17], v[10:13]
	v_cvt_pkrtz_f16_f32 v53, v74, v75
	v_cvt_pk_f32_fp8_e32 v[24:25], v4
	v_cvt_pk_f32_fp8_sdwa v[70:71], v4 src0_sel:WORD_1
	v_mfma_f32_16x16x16_f16 v[10:13], v[50:51], v[6:7], v[10:13]
	v_cvt_pkrtz_f16_f32 v22, v22, v23
	v_cvt_pkrtz_f16_f32 v23, v2, v3
	s_waitcnt vmcnt(6)
	v_cvt_pk_f32_fp8_sdwa v[76:77], v44 src0_sel:WORD_1
	v_mfma_f32_16x16x16_f16 v[50:53], v[52:53], v[8:9], v[10:13]
	s_nop 2
	v_cvt_pkrtz_f16_f32 v10, v24, v25
	v_cvt_pkrtz_f16_f32 v11, v70, v71
	v_cvt_pk_f32_fp8_e32 v[12:13], v5
	v_cvt_pk_f32_fp8_sdwa v[24:25], v5 src0_sel:WORD_1
	v_mfma_f32_16x16x16_f16 v[2:5], v[22:23], v[28:29], v[54:57]
	v_cvt_pk_f32_fp8_sdwa v[22:23], v30 src0_sel:WORD_1
	v_cvt_pkrtz_f16_f32 v12, v12, v13
	v_cvt_pkrtz_f16_f32 v13, v24, v25
	v_mfma_f32_16x16x16_f16 v[2:5], v[10:11], v[18:19], v[2:5]
	v_cvt_pk_f32_fp8_e32 v[10:11], v30
	v_cvt_pk_f32_fp8_e32 v[24:25], v32
	v_lshl_add_u64 v[70:71], s[4:5], 0, v[62:63]
	v_mfma_f32_16x16x16_f16 v[2:5], v[12:13], v[20:21], v[2:5]
	v_cvt_pk_f32_fp8_e32 v[12:13], v31
	v_cvt_pkrtz_f16_f32 v10, v10, v11
	v_cvt_pkrtz_f16_f32 v11, v22, v23
	v_cvt_pk_f32_fp8_sdwa v[22:23], v31 src0_sel:WORD_1
	v_cvt_pkrtz_f16_f32 v12, v12, v13
	v_cvt_pk_f32_fp8_sdwa v[30:31], v32 src0_sel:WORD_1
	v_mfma_f32_16x16x16_f16 v[2:5], v[10:11], v[14:15], v[2:5]
	v_cvt_pkrtz_f16_f32 v13, v22, v23
	v_cvt_pkrtz_f16_f32 v10, v24, v25
	;; [unrolled: 1-line block ×3, first 2 shown]
	v_cvt_pk_f32_fp8_e32 v[22:23], v33
	v_cvt_pk_f32_fp8_sdwa v[24:25], v33 src0_sel:WORD_1
	v_mfma_f32_16x16x16_f16 v[2:5], v[12:13], v[16:17], v[2:5]
	v_or_b32_e32 v62, 0x400, v62
	v_cvt_pkrtz_f16_f32 v12, v22, v23
	v_cvt_pkrtz_f16_f32 v13, v24, v25
	v_mfma_f32_16x16x16_f16 v[2:5], v[10:11], v[6:7], v[2:5]
	v_cvt_pk_f32_fp8_e32 v[10:11], v46
	v_cvt_pk_f32_fp8_sdwa v[22:23], v46 src0_sel:WORD_1
	v_cvt_pk_f32_fp8_sdwa v[24:25], v48 src0_sel:WORD_1
	v_mfma_f32_16x16x16_f16 v[54:57], v[12:13], v[8:9], v[2:5]
	s_waitcnt vmcnt(3)
	v_mad_i64_i32 v[12:13], s[6:7], v69, s45, v[70:71]
	s_nop 0
	v_cvt_pkrtz_f16_f32 v2, v10, v11
	v_cvt_pkrtz_f16_f32 v3, v22, v23
	v_cvt_pk_f32_fp8_e32 v[4:5], v47
	v_cvt_pk_f32_fp8_sdwa v[10:11], v47 src0_sel:WORD_1
	s_waitcnt vmcnt(2)
	v_mad_i64_i32 v[46:47], s[6:7], v68, s45, v[70:71]
	v_cvt_pkrtz_f16_f32 v22, v4, v5
	v_cvt_pkrtz_f16_f32 v23, v10, v11
	v_cvt_pk_f32_fp8_e32 v[10:11], v48
	v_mfma_f32_16x16x16_f16 v[2:5], v[2:3], v[26:27], 0
	v_cvt_pk_f32_fp8_sdwa v[48:49], v49 src0_sel:WORD_1
	v_cvt_pkrtz_f16_f32 v10, v10, v11
	v_cvt_pkrtz_f16_f32 v11, v24, v25
	v_mfma_f32_16x16x16_f16 v[2:5], v[22:23], v[28:29], v[2:5]
	global_load_dwordx4 v[30:33], v[12:13], off
	global_load_dwordx4 v[22:25], v[46:47], off
	v_cvt_pkrtz_f16_f32 v12, v72, v73
	v_cvt_pkrtz_f16_f32 v13, v48, v49
	v_mfma_f32_16x16x16_f16 v[2:5], v[10:11], v[18:19], v[2:5]
	v_cvt_pk_f32_fp8_e32 v[10:11], v42
	v_cvt_pk_f32_fp8_sdwa v[46:47], v42 src0_sel:WORD_1
	s_waitcnt vmcnt(3)
	v_mad_i64_i32 v[72:73], s[6:7], v67, s45, v[70:71]
	v_mfma_f32_16x16x16_f16 v[2:5], v[12:13], v[20:21], v[2:5]
	v_cvt_pkrtz_f16_f32 v10, v10, v11
	v_cvt_pkrtz_f16_f32 v11, v46, v47
	v_cvt_pk_f32_fp8_e32 v[12:13], v43
	v_cvt_pk_f32_fp8_sdwa v[42:43], v43 src0_sel:WORD_1
	v_mfma_f32_16x16x16_f16 v[46:49], v[10:11], v[14:15], v[2:5]
	v_cvt_pkrtz_f16_f32 v74, v12, v13
	v_cvt_pkrtz_f16_f32 v75, v42, v43
	v_cvt_pk_f32_fp8_e32 v[42:43], v44
	s_waitcnt vmcnt(2)
	v_mad_i64_i32 v[70:71], s[6:7], v66, s45, v[70:71]
	global_load_dwordx4 v[10:13], v[72:73], off
	global_load_dwordx4 v[2:5], v[70:71], off
	v_cvt_pkrtz_f16_f32 v70, v42, v43
	v_cvt_pkrtz_f16_f32 v71, v76, v77
	v_cvt_pk_f32_fp8_e32 v[72:73], v45
	v_cvt_pk_f32_fp8_sdwa v[76:77], v45 src0_sel:WORD_1
	v_mfma_f32_16x16x16_f16 v[44:47], v[74:75], v[16:17], v[46:49]
	v_lshl_add_u64 v[42:43], s[4:5], 0, v[62:63]
	v_cvt_pk_f32_fp8_e32 v[62:63], v38
	v_cvt_pk_f32_fp8_sdwa v[74:75], v38 src0_sel:WORD_1
	v_cvt_pkrtz_f16_f32 v48, v72, v73
	v_cvt_pkrtz_f16_f32 v49, v76, v77
	v_mfma_f32_16x16x16_f16 v[44:47], v[70:71], v[6:7], v[44:47]
	s_load_dword s4, s[40:41], 0x0
	s_mov_b32 s40, 0xff7fffff
	v_mfma_f32_16x16x16_f16 v[70:73], v[48:49], v[8:9], v[44:47]
	s_nop 3
	v_cvt_pk_f32_fp8_e32 v[44:45], v39
	v_cvt_pkrtz_f16_f32 v46, v62, v63
	v_cvt_pkrtz_f16_f32 v47, v74, v75
	v_cvt_pk_f32_fp8_sdwa v[38:39], v39 src0_sel:WORD_1
	v_cvt_pkrtz_f16_f32 v48, v44, v45
	v_cvt_pk_f32_fp8_e32 v[62:63], v40
	v_cvt_pk_f32_fp8_sdwa v[74:75], v40 src0_sel:WORD_1
	v_cvt_pkrtz_f16_f32 v49, v38, v39
	v_mfma_f32_16x16x16_f16 v[44:47], v[46:47], v[26:27], 0
	v_cvt_pkrtz_f16_f32 v38, v62, v63
	v_cvt_pkrtz_f16_f32 v39, v74, v75
	v_cvt_pk_f32_fp8_e32 v[62:63], v41
	v_cvt_pk_f32_fp8_sdwa v[74:75], v41 src0_sel:WORD_1
	v_mov_b32_e32 v26, s8
	s_waitcnt lgkmcnt(0)
	v_mul_f32_e32 v76, s4, v26
	v_mfma_f32_16x16x16_f16 v[26:29], v[48:49], v[28:29], v[44:47]
	v_cvt_pk_f32_fp8_sdwa v[48:49], v37 src0_sel:WORD_1
	v_pk_mul_f32 v[40:41], v[76:77], v[52:53] op_sel_hi:[0,1]
	v_pk_mul_f32 v[52:53], v[76:77], v[54:55] op_sel_hi:[0,1]
	v_cvt_pkrtz_f16_f32 v46, v62, v63
	v_cvt_pkrtz_f16_f32 v47, v74, v75
	v_mfma_f32_16x16x16_f16 v[26:29], v[38:39], v[18:19], v[26:29]
	v_cvt_pk_f32_fp8_e32 v[18:19], v34
	v_cvt_pk_f32_fp8_sdwa v[38:39], v34 src0_sel:WORD_1
	v_pk_mul_f32 v[44:45], v[76:77], v[50:51] op_sel_hi:[0,1]
	v_mfma_f32_16x16x16_f16 v[26:29], v[46:47], v[20:21], v[26:29]
	v_cvt_pkrtz_f16_f32 v20, v18, v19
	v_cvt_pkrtz_f16_f32 v21, v38, v39
	v_cvt_pk_f32_fp8_e32 v[38:39], v35
	v_cvt_pk_f32_fp8_sdwa v[34:35], v35 src0_sel:WORD_1
	v_mfma_f32_16x16x16_f16 v[26:29], v[20:21], v[14:15], v[26:29]
	v_cvt_pkrtz_f16_f32 v38, v38, v39
	v_cvt_pkrtz_f16_f32 v39, v34, v35
	v_cvt_pk_f32_fp8_e32 v[14:15], v36
	v_cvt_pk_f32_fp8_sdwa v[20:21], v36 src0_sel:WORD_1
	v_pk_mul_f32 v[50:51], v[76:77], v[70:71] op_sel_hi:[0,1]
	v_mad_i64_i32 v[18:19], s[4:5], v69, s45, v[42:43]
	v_cvt_pkrtz_f16_f32 v46, v14, v15
	v_cvt_pkrtz_f16_f32 v47, v20, v21
	v_cvt_pk_f32_fp8_e32 v[20:21], v37
	v_mfma_f32_16x16x16_f16 v[14:17], v[38:39], v[16:17], v[26:29]
	v_pk_mul_f32 v[36:37], v[76:77], v[56:57] op_sel_hi:[0,1]
	v_mad_i64_i32 v[34:35], s[4:5], v68, s45, v[42:43]
	v_cvt_pkrtz_f16_f32 v20, v20, v21
	v_cvt_pkrtz_f16_f32 v21, v48, v49
	v_mfma_f32_16x16x16_f16 v[14:17], v[46:47], v[6:7], v[14:17]
	v_pk_mul_f32 v[46:47], v[76:77], v[72:73] op_sel_hi:[0,1]
	v_mfma_f32_16x16x16_f16 v[6:9], v[20:21], v[8:9], v[14:17]
	global_load_dwordx4 v[26:29], v[18:19], off
	s_nop 0
	global_load_dwordx4 v[18:21], v[34:35], off
	s_nop 3
	v_pk_mul_f32 v[48:49], v[76:77], v[6:7] op_sel_hi:[0,1]
	v_and_b32_e32 v6, 0xc0, v0
	v_add_u32_e32 v6, s18, v6
	v_lshl_or_b32 v6, v64, 2, v6
	v_pk_mul_f32 v[38:39], v[76:77], v[8:9] op_sel_hi:[0,1]
	v_or_b32_e32 v9, 1, v6
	v_mov_b32_e32 v7, 0xff7fffff
	v_cmp_gt_i32_e64 s[26:27], s33, v6
	v_cmp_gt_i32_e64 s[28:29], s33, v9
	v_or_b32_e32 v14, 3, v6
	v_cndmask_b32_e64 v8, v7, v44, s[26:27]
	v_cndmask_b32_e64 v9, v7, v45, s[28:29]
	v_max3_f32 v8, v8, s40, v9
	v_or_b32_e32 v9, 2, v6
	v_cmp_gt_i32_e64 s[30:31], s33, v9
	v_cmp_gt_i32_e64 s[34:35], s33, v14
	s_nop 0
	v_cndmask_b32_e64 v9, v7, v40, s[30:31]
	v_cndmask_b32_e64 v14, v7, v41, s[34:35]
	v_max3_f32 v8, v8, v9, v14
	v_or_b32_e32 v9, 16, v6
	v_or_b32_e32 v14, 17, v6
	v_cmp_gt_i32_e64 s[18:19], s33, v9
	v_cmp_gt_i32_e64 s[20:21], s33, v14
	s_nop 0
	v_cndmask_b32_e64 v9, v7, v52, s[18:19]
	v_cndmask_b32_e64 v14, v7, v53, s[20:21]
	v_max3_f32 v8, v8, v9, v14
	v_or_b32_e32 v9, 18, v6
	;; [unrolled: 8-line block ×5, first 2 shown]
	v_or_b32_e32 v14, 49, v6
	v_cmp_gt_i32_e32 vcc, s33, v9
	v_cmp_gt_i32_e64 s[4:5], s33, v14
	s_nop 0
	v_cndmask_b32_e32 v9, v7, v48, vcc
	v_cndmask_b32_e64 v14, v7, v49, s[4:5]
	v_max3_f32 v8, v8, v9, v14
	v_or_b32_e32 v9, 50, v6
	v_or_b32_e32 v6, 51, v6
	v_cmp_gt_i32_e64 s[6:7], s33, v9
	v_cmp_gt_i32_e64 s[8:9], s33, v6
	s_nop 0
	v_cndmask_b32_e64 v9, v7, v38, s[6:7]
	v_cndmask_b32_e64 v6, v7, v39, s[8:9]
	v_max3_f32 v8, v8, v9, v6
	v_mbcnt_lo_u32_b32 v6, -1, 0
	v_mbcnt_hi_u32_b32 v9, -1, v6
	v_and_b32_e32 v6, 64, v9
	v_add_u32_e32 v14, 64, v6
	v_xor_b32_e32 v6, 32, v9
	v_cmp_lt_i32_e64 s[38:39], v6, v14
	s_nop 1
	v_cndmask_b32_e64 v6, v9, v6, s[38:39]
	v_lshlrev_b32_e32 v55, 2, v6
	ds_bpermute_b32 v15, v55, v8
	v_mad_i64_i32 v[6:7], s[38:39], v67, s45, v[42:43]
	s_waitcnt lgkmcnt(0)
	v_max_f32_e32 v15, v15, v15
	v_max_f32_e32 v34, v8, v15
	v_xor_b32_e32 v8, 16, v9
	v_cmp_lt_i32_e64 s[38:39], v8, v14
	s_nop 1
	v_cndmask_b32_e64 v8, v9, v8, s[38:39]
	v_lshlrev_b32_e32 v56, 2, v8
	v_mad_i64_i32 v[8:9], s[38:39], v66, s45, v[42:43]
	global_load_dwordx4 v[14:17], v[6:7], off
	s_nop 0
	global_load_dwordx4 v[6:9], v[8:9], off
	ds_bpermute_b32 v35, v56, v34
	s_waitcnt lgkmcnt(0)
	s_barrier
	v_max_f32_e32 v35, v35, v35
	v_max_f32_e32 v54, v34, v35
	v_sub_f32_e32 v42, v52, v54
	v_mul_f32_e32 v42, 0x3fb8aa3b, v42
	v_exp_f32_e32 v42, v42
	v_sub_f32_e32 v36, v36, v54
	v_sub_f32_e32 v34, v44, v54
	v_mul_f32_e32 v36, 0x3fb8aa3b, v36
	v_mul_f32_e32 v34, 0x3fb8aa3b, v34
	v_sub_f32_e32 v35, v45, v54
	v_sub_f32_e32 v43, v53, v54
	v_exp_f32_e32 v44, v36
	v_sub_f32_e32 v36, v37, v54
	v_sub_f32_e32 v48, v48, v54
	;; [unrolled: 1-line block ×3, first 2 shown]
	v_exp_f32_e32 v34, v34
	v_mul_f32_e32 v35, 0x3fb8aa3b, v35
	v_sub_f32_e32 v40, v40, v54
	v_mul_f32_e32 v43, 0x3fb8aa3b, v43
	v_mul_f32_e32 v36, 0x3fb8aa3b, v36
	;; [unrolled: 1-line block ×4, first 2 shown]
	v_exp_f32_e32 v35, v35
	v_mul_f32_e32 v40, 0x3fb8aa3b, v40
	v_sub_f32_e32 v41, v41, v54
	v_exp_f32_e32 v43, v43
	v_exp_f32_e32 v45, v36
	v_cndmask_b32_e64 v36, 0, v42, s[18:19]
	v_sub_f32_e32 v42, v50, v54
	v_exp_f32_e32 v48, v48
	v_exp_f32_e32 v50, v38
	;; [unrolled: 1-line block ×3, first 2 shown]
	v_mul_f32_e32 v41, 0x3fb8aa3b, v41
	v_exp_f32_e32 v41, v41
	v_sub_f32_e32 v38, v39, v54
	v_cndmask_b32_e64 v34, 0, v34, s[26:27]
	v_mul_f32_e32 v38, 0x3fb8aa3b, v38
	v_cndmask_b32_e64 v35, 0, v35, s[28:29]
	v_cndmask_b32_e64 v37, 0, v43, s[20:21]
	v_sub_f32_e32 v43, v51, v54
	v_exp_f32_e32 v51, v38
	v_cndmask_b32_e32 v38, 0, v48, vcc
	v_cndmask_b32_e64 v48, 0, v50, s[6:7]
	v_add_f32_e32 v50, 0, v34
	v_cndmask_b32_e64 v40, 0, v40, s[30:31]
	v_add_f32_e32 v50, v50, v35
	v_cndmask_b32_e64 v41, 0, v41, s[34:35]
	v_mul_f32_e32 v42, 0x3fb8aa3b, v42
	v_add_f32_e32 v50, v50, v40
	v_exp_f32_e32 v42, v42
	v_mul_f32_e32 v43, 0x3fb8aa3b, v43
	v_sub_f32_e32 v46, v46, v54
	v_add_f32_e32 v50, v50, v41
	v_exp_f32_e32 v43, v43
	v_mul_f32_e32 v46, 0x3fb8aa3b, v46
	v_sub_f32_e32 v47, v47, v54
	v_add_f32_e32 v50, v50, v36
	v_cndmask_b32_e64 v44, 0, v44, s[22:23]
	v_exp_f32_e32 v46, v46
	v_mul_f32_e32 v47, 0x3fb8aa3b, v47
	v_add_f32_e32 v50, v50, v37
	v_cndmask_b32_e64 v45, 0, v45, s[36:37]
	v_exp_f32_e32 v47, v47
	v_sub_f32_e32 v49, v49, v54
	v_add_f32_e32 v50, v50, v44
	v_cndmask_b32_e64 v42, 0, v42, s[10:11]
	v_mul_f32_e32 v49, 0x3fb8aa3b, v49
	v_add_f32_e32 v50, v50, v45
	v_cndmask_b32_e64 v43, 0, v43, s[12:13]
	v_exp_f32_e32 v49, v49
	v_add_f32_e32 v50, v50, v42
	v_cndmask_b32_e64 v46, 0, v46, s[14:15]
	v_add_f32_e32 v50, v50, v43
	v_cndmask_b32_e64 v47, 0, v47, s[16:17]
	v_add_f32_e32 v50, v50, v46
	v_add_f32_e32 v50, v50, v47
	v_cndmask_b32_e64 v39, 0, v49, s[4:5]
	v_add_f32_e32 v50, v50, v38
	;; [unrolled: 3-line block ×3, first 2 shown]
	v_add_f32_e32 v50, v50, v49
	ds_bpermute_b32 v51, v55, v50
	v_cmp_gt_u32_e64 s[4:5], 16, v65
	s_waitcnt lgkmcnt(0)
	v_add_f32_e32 v50, v50, v51
	ds_bpermute_b32 v51, v56, v50
	s_and_saveexec_b64 s[6:7], s[4:5]
	s_cbranch_execz .LBB956_13
; %bb.12:
	s_waitcnt lgkmcnt(0)
	v_add_f32_e32 v50, v50, v51
	v_lshlrev_b32_e32 v51, 2, v59
	ds_write2st64_b32 v51, v54, v50 offset1:1
.LBB956_13:
	s_or_b64 exec, exec, s[6:7]
	s_waitcnt lgkmcnt(0)
	v_lshlrev_b32_e32 v51, 2, v60
	s_load_dword s8, s[0:1], 0x94
	s_waitcnt lgkmcnt(0)
	s_barrier
	ds_read2_b32 v[52:53], v51 offset1:16
	ds_read2_b32 v[54:55], v51 offset0:32 offset1:48
	ds_read2_b32 v[56:57], v51 offset0:64 offset1:80
	s_mul_i32 s9, s25, 9
	s_waitcnt lgkmcnt(2)
	v_max3_f32 v50, v52, s40, v53
	s_waitcnt lgkmcnt(1)
	v_max3_f32 v50, v50, v54, v55
	v_sub_f32_e32 v52, v52, v50
	v_mul_f32_e32 v52, 0x3fb8aa3b, v52
	v_exp_f32_e32 v59, v52
	v_sub_f32_e32 v52, v53, v50
	v_mul_f32_e32 v52, 0x3fb8aa3b, v52
	v_exp_f32_e32 v62, v52
	v_sub_f32_e32 v52, v54, v50
	v_mul_f32_e32 v52, 0x3fb8aa3b, v52
	v_exp_f32_e32 v54, v52
	ds_read2_b32 v[52:53], v51 offset0:96 offset1:112
	v_sub_f32_e32 v51, v55, v50
	v_mul_f32_e32 v51, 0x3fb8aa3b, v51
	v_exp_f32_e32 v55, v51
	s_waitcnt lgkmcnt(1)
	v_fma_f32 v51, v59, v56, 0
	v_fmac_f32_e32 v51, v62, v57
	s_waitcnt lgkmcnt(0)
	v_fmac_f32_e32 v51, v54, v52
	v_fmac_f32_e32 v51, v55, v53
	v_add_f32_e32 v52, 0x358637bd, v51
	v_div_scale_f32 v53, s[6:7], v52, v52, 1.0
	v_rcp_f32_e32 v56, v53
	s_barrier
	v_fma_f32 v57, -v53, v56, 1.0
	v_fmac_f32_e32 v56, v57, v56
	v_div_scale_f32 v57, vcc, 1.0, v52, 1.0
	v_mul_f32_e32 v63, v57, v56
	v_fma_f32 v65, -v53, v63, v57
	v_fmac_f32_e32 v63, v65, v56
	v_fma_f32 v53, -v53, v63, v57
	v_div_fmas_f32 v53, v53, v56, v63
	v_cmp_eq_u32_e32 vcc, 1, v61
	v_div_fixup_f32 v52, v53, v52, 1.0
	s_nop 0
	v_cndmask_b32_e32 v53, v59, v62, vcc
	v_cmp_eq_u32_e32 vcc, 2, v61
	s_nop 1
	v_cndmask_b32_e32 v53, v53, v54, vcc
	v_cmp_eq_u32_e32 vcc, 3, v61
	s_nop 1
	v_cndmask_b32_e32 v53, v53, v55, vcc
	v_mul_f32_e32 v52, v53, v52
	v_pk_mul_f32 v[40:41], v[52:53], v[40:41] op_sel_hi:[0,1]
	v_pk_mul_f32 v[34:35], v[52:53], v[34:35] op_sel_hi:[0,1]
	v_cvt_f16_f32_e32 v53, v40
	v_cvt_f16_f32_e32 v34, v34
	;; [unrolled: 1-line block ×4, first 2 shown]
	v_pk_mul_f32 v[44:45], v[52:53], v[44:45] op_sel_hi:[0,1]
	v_pk_mul_f32 v[36:37], v[52:53], v[36:37] op_sel_hi:[0,1]
	v_cvt_f16_f32_e32 v36, v36
	v_cvt_f16_f32_e32 v37, v37
	;; [unrolled: 1-line block ×4, first 2 shown]
	v_pack_b32_f16 v40, v34, v35
	v_pack_b32_f16 v41, v53, v41
	v_lshlrev_b32_e32 v35, 3, v64
	v_lshlrev_b32_e32 v34, 5, v60
	;; [unrolled: 1-line block ×3, first 2 shown]
	v_or3_b32 v54, v53, v34, v35
	v_pack_b32_f16 v36, v36, v37
	v_pack_b32_f16 v37, v44, v45
	ds_write2st64_b64 v54, v[40:41], v[36:37] offset1:1
	v_pk_mul_f32 v[36:37], v[52:53], v[46:47] op_sel_hi:[0,1]
	v_pk_mul_f32 v[40:41], v[52:53], v[42:43] op_sel_hi:[0,1]
	v_cvt_f16_f32_e32 v35, v40
	v_cvt_f16_f32_e32 v40, v41
	;; [unrolled: 1-line block ×4, first 2 shown]
	v_pk_mul_f32 v[36:37], v[52:53], v[48:49] op_sel_hi:[0,1]
	v_pk_mul_f32 v[38:39], v[52:53], v[38:39] op_sel_hi:[0,1]
	v_cvt_f16_f32_e32 v38, v38
	v_cvt_f16_f32_e32 v39, v39
	;; [unrolled: 1-line block ×4, first 2 shown]
	v_pack_b32_f16 v36, v35, v40
	v_pack_b32_f16 v37, v41, v42
	;; [unrolled: 1-line block ×4, first 2 shown]
	v_cmp_gt_u32_e32 vcc, 9, v0
	ds_write2st64_b64 v54, v[36:37], v[38:39] offset0:2 offset1:3
	s_and_saveexec_b64 s[6:7], vcc
	s_cbranch_execz .LBB956_15
; %bb.14:
	s_mov_b32 s49, 0
	v_mov_b32_e32 v61, 0
	v_lshl_add_u64 v[36:37], s[48:49], 0, v[60:61]
	v_mov_b32_e32 v35, s9
	v_mad_u64_u32 v[36:37], s[10:11], s2, v35, v[36:37]
	s_mul_i32 s3, s3, s9
	v_mov_b32_e32 v38, s24
	v_mov_b32_e32 v39, v61
	s_load_dwordx4 s[12:15], s[0:1], 0x58
	v_add_u32_e32 v35, s3, v37
	v_mad_u64_u32 v[36:37], s[10:11], v36, s8, v[38:39]
	v_mov_b32_e32 v38, v37
	v_mad_u64_u32 v[38:39], s[10:11], v35, s8, v[38:39]
	v_mov_b32_e32 v37, v38
	v_lshlrev_b64 v[36:37], 2, v[36:37]
	s_waitcnt lgkmcnt(0)
	v_lshl_add_u64 v[38:39], s[14:15], 0, v[36:37]
	v_lshl_add_u64 v[36:37], s[12:13], 0, v[36:37]
	global_store_dword v[38:39], v50, off
	global_store_dword v[36:37], v51, off
.LBB956_15:
	s_or_b64 exec, exec, s[6:7]
	s_waitcnt vmcnt(7)
	v_cvt_pk_f32_fp8_e32 v[36:37], v30
	v_lshl_or_b32 v50, v64, 9, v34
	v_cvt_pk_f32_fp8_sdwa v[34:35], v30 src0_sel:WORD_1
	s_waitcnt lgkmcnt(0)
	s_barrier
	v_cvt_pk_f32_fp8_e32 v[38:39], v31
	v_cvt_pkrtz_f16_f32 v30, v36, v37
	v_cvt_pk_f32_fp8_sdwa v[40:41], v31 src0_sel:WORD_1
	v_cvt_pkrtz_f16_f32 v31, v34, v35
	ds_read_b128 v[34:37], v50
	v_cvt_pkrtz_f16_f32 v46, v38, v39
	v_cvt_pkrtz_f16_f32 v47, v40, v41
	ds_read_b128 v[38:41], v50 offset:16
	v_cvt_pk_f32_fp8_e32 v[48:49], v32
	v_cvt_pk_f32_fp8_sdwa v[52:53], v32 src0_sel:WORD_1
	s_waitcnt lgkmcnt(1)
	v_mfma_f32_16x16x16_f16 v[42:45], v[30:31], v[34:35], 0
	s_waitcnt vmcnt(6)
	v_cvt_pk_f32_fp8_e32 v[56:57], v24
	v_cvt_pkrtz_f16_f32 v30, v48, v49
	v_cvt_pkrtz_f16_f32 v31, v52, v53
	v_cvt_pk_f32_fp8_e32 v[48:49], v33
	v_mfma_f32_16x16x16_f16 v[42:45], v[46:47], v[36:37], v[42:45]
	v_cvt_pk_f32_fp8_sdwa v[46:47], v33 src0_sel:WORD_1
	v_cvt_pk_f32_fp8_sdwa v[62:63], v24 src0_sel:WORD_1
	v_cvt_pkrtz_f16_f32 v48, v48, v49
	s_waitcnt lgkmcnt(0)
	v_mfma_f32_16x16x16_f16 v[30:33], v[30:31], v[38:39], v[42:45]
	v_cvt_pkrtz_f16_f32 v49, v46, v47
	s_waitcnt vmcnt(4)
	v_cvt_pk_f32_fp8_sdwa v[70:71], v4 src0_sel:WORD_1
	s_waitcnt vmcnt(3)
	v_cvt_pk_f32_fp8_sdwa v[72:73], v28 src0_sel:WORD_1
	v_cvt_pk_f32_fp8_e32 v[42:43], v22
	v_mfma_f32_16x16x16_f16 v[46:49], v[48:49], v[40:41], v[30:33]
	s_load_dword s6, s[42:43], 0x0
	s_mov_b32 s3, 0
	s_nop 0
	v_cvt_pk_f32_fp8_sdwa v[30:31], v22 src0_sel:WORD_1
	v_cvt_pk_f32_fp8_e32 v[32:33], v23
	v_cvt_pkrtz_f16_f32 v22, v42, v43
	v_cvt_pk_f32_fp8_sdwa v[42:43], v23 src0_sel:WORD_1
	v_cvt_pkrtz_f16_f32 v23, v30, v31
	v_cvt_pkrtz_f16_f32 v52, v32, v33
	ds_read_b128 v[30:33], v50 offset:2048
	v_cvt_pkrtz_f16_f32 v53, v42, v43
	ds_read_b128 v[42:45], v50 offset:2064
	s_waitcnt lgkmcnt(0)
	v_mfma_f32_16x16x16_f16 v[46:49], v[22:23], v[30:31], v[46:49]
	v_cvt_pkrtz_f16_f32 v22, v56, v57
	v_cvt_pkrtz_f16_f32 v23, v62, v63
	v_cvt_pk_f32_fp8_e32 v[56:57], v25
	v_mfma_f32_16x16x16_f16 v[46:49], v[52:53], v[32:33], v[46:49]
	v_cvt_pk_f32_fp8_sdwa v[52:53], v25 src0_sel:WORD_1
	v_cvt_pk_f32_fp8_sdwa v[62:63], v12 src0_sel:WORD_1
	v_cvt_pkrtz_f16_f32 v56, v56, v57
	v_mfma_f32_16x16x16_f16 v[22:25], v[22:23], v[42:43], v[46:49]
	v_cvt_pkrtz_f16_f32 v57, v52, v53
	v_cmp_gt_u32_e32 vcc, 64, v0
	s_nop 0
	v_cvt_pk_f32_fp8_e32 v[46:47], v10
	v_mfma_f32_16x16x16_f16 v[66:69], v[56:57], v[44:45], v[22:25]
	v_cvt_pk_f32_fp8_e32 v[56:57], v12
	s_nop 1
	v_cvt_pk_f32_fp8_sdwa v[22:23], v10 src0_sel:WORD_1
	v_cvt_pk_f32_fp8_e32 v[24:25], v11
	v_cvt_pkrtz_f16_f32 v10, v46, v47
	v_cvt_pk_f32_fp8_sdwa v[46:47], v11 src0_sel:WORD_1
	v_cvt_pkrtz_f16_f32 v11, v22, v23
	v_cvt_pkrtz_f16_f32 v52, v24, v25
	ds_read_b128 v[22:25], v50 offset:4096
	v_cvt_pkrtz_f16_f32 v53, v46, v47
	ds_read_b128 v[46:49], v50 offset:4112
	s_waitcnt lgkmcnt(1)
	v_mfma_f32_16x16x16_f16 v[66:69], v[10:11], v[22:23], v[66:69]
	v_cvt_pkrtz_f16_f32 v10, v56, v57
	v_cvt_pkrtz_f16_f32 v11, v62, v63
	v_cvt_pk_f32_fp8_e32 v[56:57], v13
	v_mfma_f32_16x16x16_f16 v[66:69], v[52:53], v[24:25], v[66:69]
	v_cvt_pk_f32_fp8_sdwa v[52:53], v13 src0_sel:WORD_1
	v_cvt_pk_f32_fp8_e32 v[62:63], v4
	v_cvt_pkrtz_f16_f32 v56, v56, v57
	s_waitcnt lgkmcnt(0)
	v_mfma_f32_16x16x16_f16 v[10:13], v[10:11], v[46:47], v[66:69]
	v_cvt_pkrtz_f16_f32 v57, v52, v53
	v_cvt_pk_f32_fp8_e32 v[52:53], v2
	s_nop 0
	v_mfma_f32_16x16x16_f16 v[66:69], v[56:57], v[48:49], v[10:13]
	s_nop 2
	v_cvt_pk_f32_fp8_sdwa v[10:11], v2 src0_sel:WORD_1
	v_cvt_pk_f32_fp8_e32 v[12:13], v3
	v_cvt_pkrtz_f16_f32 v2, v52, v53
	v_cvt_pk_f32_fp8_sdwa v[52:53], v3 src0_sel:WORD_1
	v_cvt_pkrtz_f16_f32 v3, v10, v11
	v_cvt_pkrtz_f16_f32 v56, v12, v13
	ds_read_b128 v[10:13], v50 offset:6144
	v_cvt_pkrtz_f16_f32 v57, v52, v53
	s_waitcnt lgkmcnt(0)
	v_mfma_f32_16x16x16_f16 v[66:69], v[2:3], v[10:11], v[66:69]
	ds_read_b128 v[50:53], v50 offset:6160
	v_cvt_pkrtz_f16_f32 v2, v62, v63
	v_cvt_pkrtz_f16_f32 v3, v70, v71
	v_cvt_pk_f32_fp8_e32 v[62:63], v5
	v_mfma_f32_16x16x16_f16 v[66:69], v[56:57], v[12:13], v[66:69]
	v_cvt_pk_f32_fp8_sdwa v[56:57], v5 src0_sel:WORD_1
	v_cvt_pk_f32_fp8_e32 v[70:71], v28
	v_cvt_pkrtz_f16_f32 v62, v62, v63
	s_waitcnt lgkmcnt(0)
	v_mfma_f32_16x16x16_f16 v[2:5], v[2:3], v[50:51], v[66:69]
	v_cvt_pkrtz_f16_f32 v63, v56, v57
	v_cvt_pk_f32_fp8_e32 v[56:57], v26
	s_nop 0
	v_cvt_pk_f32_fp8_sdwa v[66:67], v26 src0_sel:WORD_1
	v_mfma_f32_16x16x16_f16 v[2:5], v[62:63], v[52:53], v[2:5]
	v_cvt_pk_f32_fp8_e32 v[62:63], v27
	v_cvt_pkrtz_f16_f32 v56, v56, v57
	v_cvt_pkrtz_f16_f32 v57, v66, v67
	v_cvt_pk_f32_fp8_sdwa v[26:27], v27 src0_sel:WORD_1
	v_cvt_pkrtz_f16_f32 v62, v62, v63
	v_mfma_f32_16x16x16_f16 v[66:69], v[56:57], v[34:35], 0
	v_cvt_pkrtz_f16_f32 v63, v26, v27
	v_cvt_pkrtz_f16_f32 v26, v70, v71
	;; [unrolled: 1-line block ×3, first 2 shown]
	v_cvt_pk_f32_fp8_e32 v[56:57], v29
	v_mfma_f32_16x16x16_f16 v[34:37], v[62:63], v[36:37], v[66:69]
	v_cvt_pk_f32_fp8_sdwa v[62:63], v29 src0_sel:WORD_1
	v_cvt_pkrtz_f16_f32 v56, v56, v57
	s_barrier
	v_mfma_f32_16x16x16_f16 v[26:29], v[26:27], v[38:39], v[34:37]
	v_cvt_pkrtz_f16_f32 v57, v62, v63
	s_waitcnt vmcnt(2)
	v_cvt_pk_f32_fp8_e32 v[38:39], v19
	v_cvt_pk_f32_fp8_e32 v[34:35], v18
	v_cvt_pk_f32_fp8_sdwa v[36:37], v18 src0_sel:WORD_1
	v_cvt_pk_f32_fp8_sdwa v[18:19], v19 src0_sel:WORD_1
	v_mfma_f32_16x16x16_f16 v[26:29], v[56:57], v[40:41], v[26:29]
	v_cvt_pkrtz_f16_f32 v34, v34, v35
	v_cvt_pkrtz_f16_f32 v35, v36, v37
	;; [unrolled: 1-line block ×3, first 2 shown]
	v_cvt_pk_f32_fp8_e32 v[38:39], v20
	v_cvt_pk_f32_fp8_sdwa v[40:41], v20 src0_sel:WORD_1
	v_cvt_pkrtz_f16_f32 v37, v18, v19
	v_mfma_f32_16x16x16_f16 v[26:29], v[34:35], v[30:31], v[26:29]
	v_cvt_pkrtz_f16_f32 v30, v38, v39
	v_cvt_pkrtz_f16_f32 v31, v40, v41
	v_cvt_pk_f32_fp8_e32 v[34:35], v21
	v_cvt_pk_f32_fp8_sdwa v[38:39], v21 src0_sel:WORD_1
	v_mfma_f32_16x16x16_f16 v[18:21], v[36:37], v[32:33], v[26:29]
	s_waitcnt vmcnt(1)
	v_cvt_pk_f32_fp8_sdwa v[32:33], v16 src0_sel:WORD_1
	s_nop 0
	v_cvt_pkrtz_f16_f32 v26, v34, v35
	v_cvt_pkrtz_f16_f32 v27, v38, v39
	v_mfma_f32_16x16x16_f16 v[18:21], v[30:31], v[42:43], v[18:21]
	v_cvt_pk_f32_fp8_e32 v[28:29], v14
	v_cvt_pk_f32_fp8_sdwa v[30:31], v14 src0_sel:WORD_1
	v_cvt_pkrtz_f16_f32 v28, v28, v29
	v_mfma_f32_16x16x16_f16 v[18:21], v[26:27], v[44:45], v[18:21]
	v_cvt_pk_f32_fp8_e32 v[26:27], v15
	v_cvt_pkrtz_f16_f32 v29, v30, v31
	v_cvt_pk_f32_fp8_sdwa v[14:15], v15 src0_sel:WORD_1
	v_cvt_pk_f32_fp8_e32 v[30:31], v16
	v_cvt_pkrtz_f16_f32 v26, v26, v27
	v_mfma_f32_16x16x16_f16 v[18:21], v[28:29], v[22:23], v[18:21]
	v_cvt_pkrtz_f16_f32 v27, v14, v15
	v_cvt_pkrtz_f16_f32 v22, v30, v31
	;; [unrolled: 1-line block ×3, first 2 shown]
	v_cvt_pk_f32_fp8_e32 v[28:29], v17
	v_cvt_pk_f32_fp8_sdwa v[30:31], v17 src0_sel:WORD_1
	v_mfma_f32_16x16x16_f16 v[14:17], v[26:27], v[24:25], v[18:21]
	s_waitcnt vmcnt(0)
	v_cvt_pk_f32_fp8_sdwa v[24:25], v6 src0_sel:WORD_1
	s_nop 0
	v_pk_mul_f32 v[18:19], v[4:5], s[6:7] op_sel_hi:[1,0]
	v_cvt_pkrtz_f16_f32 v4, v28, v29
	v_cvt_pkrtz_f16_f32 v5, v30, v31
	v_mfma_f32_16x16x16_f16 v[14:17], v[22:23], v[46:47], v[14:17]
	v_cvt_pk_f32_fp8_e32 v[22:23], v6
	v_pk_mul_f32 v[20:21], v[2:3], s[6:7] op_sel_hi:[1,0]
	v_mfma_f32_16x16x16_f16 v[2:5], v[4:5], v[48:49], v[14:17]
	s_nop 3
	v_cvt_pk_f32_fp8_e32 v[14:15], v7
	v_cvt_pkrtz_f16_f32 v16, v22, v23
	v_cvt_pkrtz_f16_f32 v17, v24, v25
	v_cvt_pk_f32_fp8_sdwa v[6:7], v7 src0_sel:WORD_1
	v_cvt_pkrtz_f16_f32 v14, v14, v15
	v_cvt_pk_f32_fp8_e32 v[22:23], v8
	v_cvt_pk_f32_fp8_sdwa v[24:25], v8 src0_sel:WORD_1
	v_cvt_pkrtz_f16_f32 v15, v6, v7
	v_mfma_f32_16x16x16_f16 v[2:5], v[16:17], v[10:11], v[2:5]
	v_cvt_pkrtz_f16_f32 v6, v22, v23
	v_cvt_pkrtz_f16_f32 v7, v24, v25
	v_cvt_pk_f32_fp8_e32 v[10:11], v9
	v_cvt_pk_f32_fp8_sdwa v[8:9], v9 src0_sel:WORD_1
	v_mfma_f32_16x16x16_f16 v[2:5], v[14:15], v[12:13], v[2:5]
	v_cvt_f16_f32_e32 v12, v20
	v_cvt_pkrtz_f16_f32 v10, v10, v11
	v_cvt_pkrtz_f16_f32 v11, v8, v9
	v_mfma_f32_16x16x16_f16 v[2:5], v[6:7], v[50:51], v[2:5]
	v_cvt_f16_f32_e32 v6, v21
	v_cvt_f16_f32_e32 v7, v18
	;; [unrolled: 1-line block ×3, first 2 shown]
	v_mfma_f32_16x16x16_f16 v[2:5], v[10:11], v[52:53], v[2:5]
	s_nop 6
	v_pk_mul_f32 v[4:5], v[4:5], s[6:7] op_sel_hi:[1,0]
	v_pk_mul_f32 v[2:3], v[2:3], s[6:7] op_sel_hi:[1,0]
	v_cvt_f16_f32_e32 v11, v4
	v_cvt_f16_f32_e32 v9, v2
	;; [unrolled: 1-line block ×4, first 2 shown]
	v_pack_b32_f16 v2, v12, v6
	v_pack_b32_f16 v3, v7, v8
	v_pack_b32_f16 v4, v9, v10
	v_pack_b32_f16 v5, v11, v5
	ds_write2st64_b64 v54, v[2:3], v[4:5] offset1:1
	s_waitcnt lgkmcnt(0)
	s_barrier
	s_and_saveexec_b64 s[6:7], vcc
	s_cbranch_execz .LBB956_18
; %bb.16:
	s_load_dwordx2 s[6:7], s[0:1], 0x68
	s_lshl_b32 s0, s8, 7
	s_mul_i32 s1, s9, s2
	v_lshlrev_b32_e32 v3, 6, v60
	s_mul_hi_u32 s9, s1, s0
	s_mul_i32 s8, s1, s0
	v_lshl_or_b32 v0, v0, 10, v3
	s_lshl_b64 s[8:9], s[8:9], 1
	v_lshlrev_b32_e32 v2, 5, v64
	v_and_b32_e32 v1, 16, v1
	v_and_b32_e32 v0, 0x1a00, v0
	s_waitcnt lgkmcnt(0)
	s_add_u32 s1, s6, s8
	v_or3_b32 v2, v0, v2, v1
	s_addc_u32 s6, s7, s9
	s_lshl_b32 s2, s24, 7
	s_lshl_b64 s[2:3], s[2:3], 1
	ds_read_b128 v[4:7], v2 offset:128
	ds_read_b128 v[8:11], v2
	s_add_u32 s2, s1, s2
	s_addc_u32 s3, s6, s3
	v_mov_b32_e32 v59, 0
	v_add_u32_e32 v3, s48, v64
	v_lshl_add_u64 v[0:1], s[2:3], 0, v[58:59]
	v_mad_u64_u32 v[12:13], s[2:3], v3, s0, 0
	v_lshl_add_u64 v[12:13], v[12:13], 1, v[0:1]
	v_add_u32_e32 v3, 4, v3
	s_waitcnt lgkmcnt(0)
	global_store_dwordx4 v[12:13], v[8:11], off
	s_nop 1
	v_mad_u64_u32 v[8:9], s[2:3], v3, s0, 0
	v_lshl_add_u64 v[8:9], v[8:9], 1, v[0:1]
	global_store_dwordx4 v[8:9], v[4:7], off
	s_and_b64 exec, exec, s[4:5]
	s_cbranch_execz .LBB956_18
; %bb.17:
	ds_read_b128 v[2:5], v2 offset:256
	v_add3_u32 v6, s48, v64, 8
	v_mad_u64_u32 v[6:7], s[0:1], v6, s0, 0
	v_lshl_add_u64 v[0:1], v[6:7], 1, v[0:1]
	s_waitcnt lgkmcnt(0)
	global_store_dwordx4 v[0:1], v[2:5], off
.LBB956_18:
	s_endpgm
	.section	.rodata,"a",@progbits
	.p2align	6, 0x0
	.amdhsa_kernel _Z39paged_attention_ll4mi_QKV_mfma16_kernelIDF16_hLN4vllm18Fp8KVCacheDataTypeE1EhLi16ELi128ELi256ELb0ELi9EEvPKT_PKT0_S7_ifPKiS9_S9_iPKfiiiPfSC_PS2_PT2_iSB_SB_
		.amdhsa_group_segment_fixed_size 8192
		.amdhsa_private_segment_fixed_size 0
		.amdhsa_kernarg_size 400
		.amdhsa_user_sgpr_count 2
		.amdhsa_user_sgpr_dispatch_ptr 0
		.amdhsa_user_sgpr_queue_ptr 0
		.amdhsa_user_sgpr_kernarg_segment_ptr 1
		.amdhsa_user_sgpr_dispatch_id 0
		.amdhsa_user_sgpr_kernarg_preload_length 0
		.amdhsa_user_sgpr_kernarg_preload_offset 0
		.amdhsa_user_sgpr_private_segment_size 0
		.amdhsa_uses_dynamic_stack 0
		.amdhsa_enable_private_segment 0
		.amdhsa_system_sgpr_workgroup_id_x 1
		.amdhsa_system_sgpr_workgroup_id_y 1
		.amdhsa_system_sgpr_workgroup_id_z 1
		.amdhsa_system_sgpr_workgroup_info 0
		.amdhsa_system_vgpr_workitem_id 0
		.amdhsa_next_free_vgpr 88
		.amdhsa_next_free_sgpr 50
		.amdhsa_accum_offset 88
		.amdhsa_reserve_vcc 1
		.amdhsa_float_round_mode_32 0
		.amdhsa_float_round_mode_16_64 0
		.amdhsa_float_denorm_mode_32 3
		.amdhsa_float_denorm_mode_16_64 3
		.amdhsa_dx10_clamp 1
		.amdhsa_ieee_mode 1
		.amdhsa_fp16_overflow 0
		.amdhsa_tg_split 0
		.amdhsa_exception_fp_ieee_invalid_op 0
		.amdhsa_exception_fp_denorm_src 0
		.amdhsa_exception_fp_ieee_div_zero 0
		.amdhsa_exception_fp_ieee_overflow 0
		.amdhsa_exception_fp_ieee_underflow 0
		.amdhsa_exception_fp_ieee_inexact 0
		.amdhsa_exception_int_div_zero 0
	.end_amdhsa_kernel
	.section	.text._Z39paged_attention_ll4mi_QKV_mfma16_kernelIDF16_hLN4vllm18Fp8KVCacheDataTypeE1EhLi16ELi128ELi256ELb0ELi9EEvPKT_PKT0_S7_ifPKiS9_S9_iPKfiiiPfSC_PS2_PT2_iSB_SB_,"axG",@progbits,_Z39paged_attention_ll4mi_QKV_mfma16_kernelIDF16_hLN4vllm18Fp8KVCacheDataTypeE1EhLi16ELi128ELi256ELb0ELi9EEvPKT_PKT0_S7_ifPKiS9_S9_iPKfiiiPfSC_PS2_PT2_iSB_SB_,comdat
.Lfunc_end956:
	.size	_Z39paged_attention_ll4mi_QKV_mfma16_kernelIDF16_hLN4vllm18Fp8KVCacheDataTypeE1EhLi16ELi128ELi256ELb0ELi9EEvPKT_PKT0_S7_ifPKiS9_S9_iPKfiiiPfSC_PS2_PT2_iSB_SB_, .Lfunc_end956-_Z39paged_attention_ll4mi_QKV_mfma16_kernelIDF16_hLN4vllm18Fp8KVCacheDataTypeE1EhLi16ELi128ELi256ELb0ELi9EEvPKT_PKT0_S7_ifPKiS9_S9_iPKfiiiPfSC_PS2_PT2_iSB_SB_
                                        ; -- End function
	.section	.AMDGPU.csdata,"",@progbits
; Kernel info:
; codeLenInByte = 6040
; NumSgprs: 56
; NumVgprs: 88
; NumAgprs: 0
; TotalNumVgprs: 88
; ScratchSize: 0
; MemoryBound: 0
; FloatMode: 240
; IeeeMode: 1
; LDSByteSize: 8192 bytes/workgroup (compile time only)
; SGPRBlocks: 6
; VGPRBlocks: 10
; NumSGPRsForWavesPerEU: 56
; NumVGPRsForWavesPerEU: 88
; AccumOffset: 88
; Occupancy: 5
; WaveLimiterHint : 1
; COMPUTE_PGM_RSRC2:SCRATCH_EN: 0
; COMPUTE_PGM_RSRC2:USER_SGPR: 2
; COMPUTE_PGM_RSRC2:TRAP_HANDLER: 0
; COMPUTE_PGM_RSRC2:TGID_X_EN: 1
; COMPUTE_PGM_RSRC2:TGID_Y_EN: 1
; COMPUTE_PGM_RSRC2:TGID_Z_EN: 1
; COMPUTE_PGM_RSRC2:TIDIG_COMP_CNT: 0
; COMPUTE_PGM_RSRC3_GFX90A:ACCUM_OFFSET: 21
; COMPUTE_PGM_RSRC3_GFX90A:TG_SPLIT: 0
	.section	.text._Z39paged_attention_ll4mi_QKV_mfma16_kernelIDF16_hLN4vllm18Fp8KVCacheDataTypeE1EhLi16ELi128ELi256ELb0ELi10EEvPKT_PKT0_S7_ifPKiS9_S9_iPKfiiiPfSC_PS2_PT2_iSB_SB_,"axG",@progbits,_Z39paged_attention_ll4mi_QKV_mfma16_kernelIDF16_hLN4vllm18Fp8KVCacheDataTypeE1EhLi16ELi128ELi256ELb0ELi10EEvPKT_PKT0_S7_ifPKiS9_S9_iPKfiiiPfSC_PS2_PT2_iSB_SB_,comdat
	.protected	_Z39paged_attention_ll4mi_QKV_mfma16_kernelIDF16_hLN4vllm18Fp8KVCacheDataTypeE1EhLi16ELi128ELi256ELb0ELi10EEvPKT_PKT0_S7_ifPKiS9_S9_iPKfiiiPfSC_PS2_PT2_iSB_SB_ ; -- Begin function _Z39paged_attention_ll4mi_QKV_mfma16_kernelIDF16_hLN4vllm18Fp8KVCacheDataTypeE1EhLi16ELi128ELi256ELb0ELi10EEvPKT_PKT0_S7_ifPKiS9_S9_iPKfiiiPfSC_PS2_PT2_iSB_SB_
	.globl	_Z39paged_attention_ll4mi_QKV_mfma16_kernelIDF16_hLN4vllm18Fp8KVCacheDataTypeE1EhLi16ELi128ELi256ELb0ELi10EEvPKT_PKT0_S7_ifPKiS9_S9_iPKfiiiPfSC_PS2_PT2_iSB_SB_
	.p2align	8
	.type	_Z39paged_attention_ll4mi_QKV_mfma16_kernelIDF16_hLN4vllm18Fp8KVCacheDataTypeE1EhLi16ELi128ELi256ELb0ELi10EEvPKT_PKT0_S7_ifPKiS9_S9_iPKfiiiPfSC_PS2_PT2_iSB_SB_,@function
_Z39paged_attention_ll4mi_QKV_mfma16_kernelIDF16_hLN4vllm18Fp8KVCacheDataTypeE1EhLi16ELi128ELi256ELb0ELi10EEvPKT_PKT0_S7_ifPKiS9_S9_iPKfiiiPfSC_PS2_PT2_iSB_SB_: ; @_Z39paged_attention_ll4mi_QKV_mfma16_kernelIDF16_hLN4vllm18Fp8KVCacheDataTypeE1EhLi16ELi128ELi256ELb0ELi10EEvPKT_PKT0_S7_ifPKiS9_S9_iPKfiiiPfSC_PS2_PT2_iSB_SB_
; %bb.0:
	s_load_dwordx2 s[12:13], s[0:1], 0x30
	s_mov_b32 s24, s3
	s_mov_b64 s[6:7], 0
	s_waitcnt lgkmcnt(0)
	s_cmp_lg_u64 s[12:13], 0
	s_cselect_b64 s[14:15], -1, 0
	s_and_b64 vcc, exec, s[14:15]
	s_cbranch_vccz .LBB957_7
; %bb.1:
	s_add_i32 s8, s2, 1
	s_mov_b32 s9, 0
	s_lshl_b64 s[10:11], s[8:9], 2
	s_add_u32 s10, s12, s10
	s_mov_b32 s3, s9
	s_addc_u32 s11, s13, s11
	s_lshl_b64 s[8:9], s[2:3], 2
	s_add_u32 s8, s12, s8
	s_addc_u32 s9, s13, s9
	s_load_dword s5, s[10:11], 0x0
	s_load_dword s16, s[8:9], 0x0
	s_waitcnt lgkmcnt(0)
	s_sub_i32 s5, s5, s16
	s_cmp_eq_u32 s5, 1
	s_cselect_b64 s[8:9], -1, 0
	s_andn2_b64 vcc, exec, s[6:7]
	s_cbranch_vccnz .LBB957_3
.LBB957_2:
	s_mov_b32 s3, 0
	s_mov_b64 s[8:9], -1
.LBB957_3:
	s_andn2_b64 vcc, exec, s[8:9]
	s_cbranch_vccnz .LBB957_18
; %bb.4:
	s_load_dwordx2 s[6:7], s[0:1], 0x28
	s_lshl_b64 s[16:17], s[2:3], 2
	s_waitcnt lgkmcnt(0)
	s_add_u32 s6, s6, s16
	s_addc_u32 s7, s7, s17
	s_load_dword s33, s[6:7], 0x0
	s_lshl_b32 s18, s24, 8
	s_waitcnt lgkmcnt(0)
	s_cmp_ge_i32 s18, s33
	s_cbranch_scc1 .LBB957_18
; %bb.5:
	s_load_dwordx2 s[6:7], s[0:1], 0x20
	s_load_dword s8, s[0:1], 0x38
	s_add_i32 s5, s33, 15
	s_ashr_i32 s9, s5, 31
	v_and_b32_e32 v1, 0xcf, v0
	s_lshr_b32 s9, s9, 28
	v_add_u32_e32 v1, s18, v1
	s_add_i32 s5, s5, s9
	v_ashrrev_i32_e32 v2, 31, v1
	s_ashr_i32 s5, s5, 4
	v_lshrrev_b32_e32 v10, 28, v2
	s_add_i32 s5, s5, -1
	s_waitcnt lgkmcnt(0)
	s_mul_i32 s8, s2, s8
	s_mov_b32 s9, 0
	v_add_u32_e32 v2, v1, v10
	s_lshl_b64 s[8:9], s[8:9], 2
	v_ashrrev_i32_e32 v2, 4, v2
	v_mov_b32_e32 v11, s5
	v_cmp_gt_i32_e32 vcc, s33, v1
	s_add_u32 s6, s6, s8
	s_addc_u32 s7, s7, s9
	v_cndmask_b32_e32 v2, v11, v2, vcc
	v_ashrrev_i32_e32 v3, 31, v2
	v_lshl_add_u64 v[4:5], v[2:3], 2, s[6:7]
	v_or_b32_e32 v2, 16, v1
	v_add_u32_e32 v3, v2, v10
	v_ashrrev_i32_e32 v3, 4, v3
	v_cmp_gt_i32_e32 vcc, s33, v2
	s_load_dwordx4 s[8:11], s[0:1], 0x8
	s_nop 0
	v_cndmask_b32_e32 v2, v11, v3, vcc
	v_ashrrev_i32_e32 v3, 31, v2
	v_lshl_add_u64 v[6:7], v[2:3], 2, s[6:7]
	v_or_b32_e32 v2, 32, v1
	v_add_u32_e32 v3, v2, v10
	v_ashrrev_i32_e32 v3, 4, v3
	v_cmp_gt_i32_e32 vcc, s33, v2
	v_or_b32_e32 v1, 48, v1
	s_nop 0
	v_cndmask_b32_e32 v2, v11, v3, vcc
	v_ashrrev_i32_e32 v3, 31, v2
	v_lshl_add_u64 v[8:9], v[2:3], 2, s[6:7]
	v_add_u32_e32 v2, v1, v10
	v_ashrrev_i32_e32 v2, 4, v2
	v_cmp_gt_i32_e32 vcc, s33, v1
	s_nop 1
	v_cndmask_b32_e32 v2, v11, v2, vcc
	v_ashrrev_i32_e32 v3, 31, v2
	v_lshl_add_u64 v[10:11], v[2:3], 2, s[6:7]
	global_load_dword v3, v[4:5], off
	global_load_dword v2, v[6:7], off
	global_load_dword v34, v[8:9], off
	global_load_dword v35, v[10:11], off
	s_andn2_b64 vcc, exec, s[14:15]
	s_cbranch_vccnz .LBB957_8
; %bb.6:
	s_add_u32 s12, s12, s16
	s_addc_u32 s13, s13, s17
	s_load_dword s14, s[12:13], 0x0
	s_branch .LBB957_9
.LBB957_7:
	s_mov_b64 s[8:9], 0
	s_branch .LBB957_2
.LBB957_8:
	s_mov_b32 s14, s2
.LBB957_9:
	s_load_dwordx4 s[44:47], s[0:1], 0x48
	v_lshrrev_b32_e32 v61, 6, v0
	v_bfe_u32 v64, v0, 4, 2
	v_and_b32_e32 v60, 15, v0
	v_lshl_or_b32 v4, v61, 2, v64
	v_lshlrev_b32_e32 v1, 3, v60
	v_and_b32_e32 v65, 63, v0
	s_mul_i32 s48, s4, 10
	v_cmp_gt_u32_e32 vcc, 10, v4
	v_lshlrev_b32_e32 v58, 1, v1
	v_lshlrev_b32_e32 v1, 4, v0
	s_and_saveexec_b64 s[12:13], vcc
	s_cbranch_execz .LBB957_11
; %bb.10:
	s_load_dwordx2 s[16:17], s[0:1], 0x0
	s_waitcnt lgkmcnt(0)
	s_ashr_i32 s15, s44, 31
	s_mul_hi_u32 s19, s14, s44
	s_mul_i32 s15, s14, s15
	s_add_i32 s15, s19, s15
	s_mul_i32 s14, s14, s44
	s_lshl_b64 s[14:15], s[14:15], 1
	s_add_u32 s14, s16, s14
	v_add_lshl_u32 v6, v4, s48, 7
	s_addc_u32 s15, s17, s15
	v_ashrrev_i32_e32 v7, 31, v6
	v_lshl_add_u64 v[6:7], v[6:7], 1, s[14:15]
	v_mov_b32_e32 v59, 0
	v_lshl_add_u64 v[6:7], v[6:7], 0, v[58:59]
	global_load_dwordx4 v[6:9], v[6:7], off
	v_lshlrev_b32_e32 v10, 8, v0
	v_lshlrev_b32_e32 v5, 8, v60
	v_and_b32_e32 v10, 0x600, v10
	s_movk_i32 s14, 0x800
	v_and_or_b32 v5, v5, s14, v10
	v_lshlrev_b32_e32 v4, 5, v4
	v_and_b32_e32 v10, 16, v1
	v_or3_b32 v4, v5, v4, v10
	s_waitcnt vmcnt(0)
	ds_write_b128 v4, v[6:9]
.LBB957_11:
	s_or_b64 exec, exec, s[12:13]
	s_waitcnt lgkmcnt(0)
	s_mul_i32 s4, s4, s46
	s_add_u32 s8, s8, s4
	s_addc_u32 s9, s9, 0
	v_and_b32_e32 v62, 0xf0, v1
	v_mov_b32_e32 v63, 0
	v_and_b32_e32 v6, 48, v0
	v_lshl_add_u64 v[30:31], s[8:9], 0, v[62:63]
	v_lshlrev_b32_e32 v62, 4, v6
	s_waitcnt vmcnt(3)
	v_mad_i64_i32 v[4:5], s[8:9], v3, s45, v[30:31]
	v_lshl_add_u64 v[4:5], v[4:5], 0, v[62:63]
	s_load_dword s25, s[0:1], 0x98
	s_load_dwordx4 s[40:43], s[0:1], 0x80
	s_waitcnt lgkmcnt(0)
	s_barrier
	global_load_dwordx4 v[22:25], v[4:5], off
	global_load_dwordx4 v[10:13], v[4:5], off offset:1024
	s_waitcnt vmcnt(4)
	v_mad_i64_i32 v[2:3], s[8:9], v2, s45, v[30:31]
	v_lshl_add_u64 v[32:33], v[2:3], 0, v[62:63]
	global_load_dwordx4 v[2:5], v[32:33], off
	v_add_u32_e32 v7, -10, v60
	v_cmp_gt_u32_e32 vcc, 10, v60
	v_or_b32_e32 v6, s18, v6
	v_mov_b32_e32 v38, s5
	v_cndmask_b32_e32 v7, v7, v60, vcc
	v_lshlrev_b32_e32 v7, 5, v7
	v_ashrrev_i32_e32 v8, 4, v6
	v_lshl_add_u32 v7, v64, 9, v7
	v_cmp_gt_i32_e32 vcc, s33, v6
	v_or_b32_e32 v39, 64, v6
	v_or_b32_e32 v43, 0x80, v6
	v_or_b32_e32 v45, 0xc0, v6
	v_cndmask_b32_e32 v40, v38, v8, vcc
	ds_read_b128 v[26:29], v7
	ds_read_b128 v[18:21], v7 offset:16
	ds_read_b128 v[14:17], v7 offset:2048
	;; [unrolled: 1-line block ×3, first 2 shown]
	s_waitcnt vmcnt(4)
	v_mad_i64_i32 v[36:37], s[12:13], v34, s45, v[30:31]
	s_waitcnt vmcnt(3)
	v_mad_i64_i32 v[34:35], s[12:13], v35, s45, v[30:31]
	global_load_dwordx4 v[30:33], v[32:33], off offset:1024
	v_ashrrev_i32_e32 v42, 4, v39
	v_cmp_gt_i32_e32 vcc, s33, v39
	v_ashrrev_i32_e32 v44, 4, v43
	v_ashrrev_i32_e32 v46, 4, v45
	v_cndmask_b32_e32 v42, v38, v42, vcc
	v_cmp_gt_i32_e32 vcc, s33, v43
	v_ashrrev_i32_e32 v41, 31, v40
	v_lshl_add_u64 v[36:37], v[36:37], 0, v[62:63]
	v_cndmask_b32_e32 v44, v38, v44, vcc
	v_cmp_gt_i32_e32 vcc, s33, v45
	v_lshl_add_u64 v[34:35], v[34:35], 0, v[62:63]
	v_ashrrev_i32_e32 v43, 31, v42
	v_cndmask_b32_e32 v38, v38, v46, vcc
	v_ashrrev_i32_e32 v45, 31, v44
	v_ashrrev_i32_e32 v39, 31, v38
	v_lshl_add_u64 v[50:51], v[40:41], 2, s[6:7]
	v_lshl_add_u64 v[52:53], v[42:43], 2, s[6:7]
	;; [unrolled: 1-line block ×4, first 2 shown]
	global_load_dwordx4 v[46:49], v[36:37], off
	global_load_dwordx4 v[42:45], v[36:37], off offset:1024
	global_load_dwordx4 v[38:41], v[34:35], off
	s_nop 0
	global_load_dwordx4 v[34:37], v[34:35], off offset:1024
	s_nop 0
	global_load_dword v69, v[50:51], off
	global_load_dword v68, v[52:53], off
	global_load_dword v67, v[54:55], off
	global_load_dword v66, v[56:57], off
	s_add_u32 s4, s10, s4
	v_lshl_or_b32 v59, v61, 4, v60
	s_addc_u32 s5, s11, 0
	v_lshlrev_b32_e32 v62, 4, v59
	s_load_dword s8, s[0:1], 0x1c
	s_waitcnt vmcnt(11)
	v_cvt_pk_f32_fp8_e32 v[50:51], v22
	v_cvt_pk_f32_fp8_sdwa v[52:53], v22 src0_sel:WORD_1
	v_cvt_pk_f32_fp8_e32 v[54:55], v23
	v_cvt_pk_f32_fp8_sdwa v[56:57], v23 src0_sel:WORD_1
	;; [unrolled: 2-line block ×4, first 2 shown]
	s_waitcnt vmcnt(9)
	v_cvt_pk_f32_fp8_e32 v[22:23], v2
	v_cvt_pk_f32_fp8_sdwa v[24:25], v2 src0_sel:WORD_1
	v_cvt_pkrtz_f16_f32 v50, v50, v51
	v_cvt_pkrtz_f16_f32 v51, v52, v53
	v_cvt_pk_f32_fp8_e32 v[78:79], v10
	v_cvt_pk_f32_fp8_sdwa v[80:81], v10 src0_sel:WORD_1
	v_cvt_pk_f32_fp8_e32 v[52:53], v11
	v_cvt_pk_f32_fp8_sdwa v[82:83], v11 src0_sel:WORD_1
	v_cvt_pkrtz_f16_f32 v10, v22, v23
	v_cvt_pkrtz_f16_f32 v11, v24, v25
	;; [unrolled: 1-line block ×4, first 2 shown]
	s_waitcnt lgkmcnt(0)
	v_mfma_f32_16x16x16_f16 v[22:25], v[50:51], v[26:27], 0
	v_cvt_pk_f32_fp8_e32 v[50:51], v12
	v_cvt_pk_f32_fp8_sdwa v[86:87], v12 src0_sel:WORD_1
	v_cvt_pkrtz_f16_f32 v50, v50, v51
	v_mfma_f32_16x16x16_f16 v[54:57], v[10:11], v[26:27], 0
	v_cvt_pkrtz_f16_f32 v10, v70, v71
	v_cvt_pkrtz_f16_f32 v11, v72, v73
	;; [unrolled: 1-line block ×3, first 2 shown]
	v_mfma_f32_16x16x16_f16 v[22:25], v[84:85], v[28:29], v[22:25]
	v_cvt_pkrtz_f16_f32 v73, v76, v77
	v_cvt_pkrtz_f16_f32 v76, v78, v79
	;; [unrolled: 1-line block ×3, first 2 shown]
	v_mfma_f32_16x16x16_f16 v[22:25], v[10:11], v[18:19], v[22:25]
	v_cvt_pk_f32_fp8_e32 v[70:71], v13
	v_cvt_pk_f32_fp8_sdwa v[74:75], v13 src0_sel:WORD_1
	v_cvt_pkrtz_f16_f32 v51, v86, v87
	v_mfma_f32_16x16x16_f16 v[10:13], v[72:73], v[20:21], v[22:25]
	s_waitcnt vmcnt(7)
	v_cvt_pk_f32_fp8_e32 v[72:73], v49
	s_nop 0
	v_cvt_pkrtz_f16_f32 v24, v52, v53
	v_cvt_pkrtz_f16_f32 v25, v82, v83
	v_mfma_f32_16x16x16_f16 v[10:13], v[76:77], v[14:15], v[10:13]
	v_cvt_pk_f32_fp8_e32 v[22:23], v3
	v_cvt_pk_f32_fp8_sdwa v[2:3], v3 src0_sel:WORD_1
	v_cvt_pkrtz_f16_f32 v52, v70, v71
	v_mfma_f32_16x16x16_f16 v[10:13], v[24:25], v[16:17], v[10:13]
	v_cvt_pkrtz_f16_f32 v53, v74, v75
	v_cvt_pk_f32_fp8_e32 v[24:25], v4
	v_cvt_pk_f32_fp8_sdwa v[70:71], v4 src0_sel:WORD_1
	v_mfma_f32_16x16x16_f16 v[10:13], v[50:51], v[6:7], v[10:13]
	v_cvt_pkrtz_f16_f32 v22, v22, v23
	v_cvt_pkrtz_f16_f32 v23, v2, v3
	s_waitcnt vmcnt(6)
	v_cvt_pk_f32_fp8_sdwa v[76:77], v44 src0_sel:WORD_1
	v_mfma_f32_16x16x16_f16 v[50:53], v[52:53], v[8:9], v[10:13]
	s_nop 2
	v_cvt_pkrtz_f16_f32 v10, v24, v25
	v_cvt_pkrtz_f16_f32 v11, v70, v71
	v_cvt_pk_f32_fp8_e32 v[12:13], v5
	v_cvt_pk_f32_fp8_sdwa v[24:25], v5 src0_sel:WORD_1
	v_mfma_f32_16x16x16_f16 v[2:5], v[22:23], v[28:29], v[54:57]
	v_cvt_pk_f32_fp8_sdwa v[22:23], v30 src0_sel:WORD_1
	v_cvt_pkrtz_f16_f32 v12, v12, v13
	v_cvt_pkrtz_f16_f32 v13, v24, v25
	v_mfma_f32_16x16x16_f16 v[2:5], v[10:11], v[18:19], v[2:5]
	v_cvt_pk_f32_fp8_e32 v[10:11], v30
	v_cvt_pk_f32_fp8_e32 v[24:25], v32
	v_lshl_add_u64 v[70:71], s[4:5], 0, v[62:63]
	v_mfma_f32_16x16x16_f16 v[2:5], v[12:13], v[20:21], v[2:5]
	v_cvt_pk_f32_fp8_e32 v[12:13], v31
	v_cvt_pkrtz_f16_f32 v10, v10, v11
	v_cvt_pkrtz_f16_f32 v11, v22, v23
	v_cvt_pk_f32_fp8_sdwa v[22:23], v31 src0_sel:WORD_1
	v_cvt_pkrtz_f16_f32 v12, v12, v13
	v_cvt_pk_f32_fp8_sdwa v[30:31], v32 src0_sel:WORD_1
	v_mfma_f32_16x16x16_f16 v[2:5], v[10:11], v[14:15], v[2:5]
	v_cvt_pkrtz_f16_f32 v13, v22, v23
	v_cvt_pkrtz_f16_f32 v10, v24, v25
	;; [unrolled: 1-line block ×3, first 2 shown]
	v_cvt_pk_f32_fp8_e32 v[22:23], v33
	v_cvt_pk_f32_fp8_sdwa v[24:25], v33 src0_sel:WORD_1
	v_mfma_f32_16x16x16_f16 v[2:5], v[12:13], v[16:17], v[2:5]
	v_or_b32_e32 v62, 0x400, v62
	v_cvt_pkrtz_f16_f32 v12, v22, v23
	v_cvt_pkrtz_f16_f32 v13, v24, v25
	v_mfma_f32_16x16x16_f16 v[2:5], v[10:11], v[6:7], v[2:5]
	v_cvt_pk_f32_fp8_e32 v[10:11], v46
	v_cvt_pk_f32_fp8_sdwa v[22:23], v46 src0_sel:WORD_1
	v_cvt_pk_f32_fp8_sdwa v[24:25], v48 src0_sel:WORD_1
	v_mfma_f32_16x16x16_f16 v[54:57], v[12:13], v[8:9], v[2:5]
	s_waitcnt vmcnt(3)
	v_mad_i64_i32 v[12:13], s[6:7], v69, s45, v[70:71]
	s_nop 0
	v_cvt_pkrtz_f16_f32 v2, v10, v11
	v_cvt_pkrtz_f16_f32 v3, v22, v23
	v_cvt_pk_f32_fp8_e32 v[4:5], v47
	v_cvt_pk_f32_fp8_sdwa v[10:11], v47 src0_sel:WORD_1
	s_waitcnt vmcnt(2)
	v_mad_i64_i32 v[46:47], s[6:7], v68, s45, v[70:71]
	v_cvt_pkrtz_f16_f32 v22, v4, v5
	v_cvt_pkrtz_f16_f32 v23, v10, v11
	v_cvt_pk_f32_fp8_e32 v[10:11], v48
	v_mfma_f32_16x16x16_f16 v[2:5], v[2:3], v[26:27], 0
	v_cvt_pk_f32_fp8_sdwa v[48:49], v49 src0_sel:WORD_1
	v_cvt_pkrtz_f16_f32 v10, v10, v11
	v_cvt_pkrtz_f16_f32 v11, v24, v25
	v_mfma_f32_16x16x16_f16 v[2:5], v[22:23], v[28:29], v[2:5]
	global_load_dwordx4 v[30:33], v[12:13], off
	global_load_dwordx4 v[22:25], v[46:47], off
	v_cvt_pkrtz_f16_f32 v12, v72, v73
	v_cvt_pkrtz_f16_f32 v13, v48, v49
	v_mfma_f32_16x16x16_f16 v[2:5], v[10:11], v[18:19], v[2:5]
	v_cvt_pk_f32_fp8_e32 v[10:11], v42
	v_cvt_pk_f32_fp8_sdwa v[46:47], v42 src0_sel:WORD_1
	s_waitcnt vmcnt(3)
	v_mad_i64_i32 v[72:73], s[6:7], v67, s45, v[70:71]
	v_mfma_f32_16x16x16_f16 v[2:5], v[12:13], v[20:21], v[2:5]
	v_cvt_pkrtz_f16_f32 v10, v10, v11
	v_cvt_pkrtz_f16_f32 v11, v46, v47
	v_cvt_pk_f32_fp8_e32 v[12:13], v43
	v_cvt_pk_f32_fp8_sdwa v[42:43], v43 src0_sel:WORD_1
	v_mfma_f32_16x16x16_f16 v[46:49], v[10:11], v[14:15], v[2:5]
	v_cvt_pkrtz_f16_f32 v74, v12, v13
	v_cvt_pkrtz_f16_f32 v75, v42, v43
	v_cvt_pk_f32_fp8_e32 v[42:43], v44
	s_waitcnt vmcnt(2)
	v_mad_i64_i32 v[70:71], s[6:7], v66, s45, v[70:71]
	global_load_dwordx4 v[10:13], v[72:73], off
	global_load_dwordx4 v[2:5], v[70:71], off
	v_cvt_pkrtz_f16_f32 v70, v42, v43
	v_cvt_pkrtz_f16_f32 v71, v76, v77
	v_cvt_pk_f32_fp8_e32 v[72:73], v45
	v_cvt_pk_f32_fp8_sdwa v[76:77], v45 src0_sel:WORD_1
	v_mfma_f32_16x16x16_f16 v[44:47], v[74:75], v[16:17], v[46:49]
	v_lshl_add_u64 v[42:43], s[4:5], 0, v[62:63]
	v_cvt_pk_f32_fp8_e32 v[62:63], v38
	v_cvt_pk_f32_fp8_sdwa v[74:75], v38 src0_sel:WORD_1
	v_cvt_pkrtz_f16_f32 v48, v72, v73
	v_cvt_pkrtz_f16_f32 v49, v76, v77
	v_mfma_f32_16x16x16_f16 v[44:47], v[70:71], v[6:7], v[44:47]
	s_load_dword s4, s[40:41], 0x0
	s_mov_b32 s40, 0xff7fffff
	v_mfma_f32_16x16x16_f16 v[70:73], v[48:49], v[8:9], v[44:47]
	s_nop 3
	v_cvt_pk_f32_fp8_e32 v[44:45], v39
	v_cvt_pkrtz_f16_f32 v46, v62, v63
	v_cvt_pkrtz_f16_f32 v47, v74, v75
	v_cvt_pk_f32_fp8_sdwa v[38:39], v39 src0_sel:WORD_1
	v_cvt_pkrtz_f16_f32 v48, v44, v45
	v_cvt_pk_f32_fp8_e32 v[62:63], v40
	v_cvt_pk_f32_fp8_sdwa v[74:75], v40 src0_sel:WORD_1
	v_cvt_pkrtz_f16_f32 v49, v38, v39
	v_mfma_f32_16x16x16_f16 v[44:47], v[46:47], v[26:27], 0
	v_cvt_pkrtz_f16_f32 v38, v62, v63
	v_cvt_pkrtz_f16_f32 v39, v74, v75
	v_cvt_pk_f32_fp8_e32 v[62:63], v41
	v_cvt_pk_f32_fp8_sdwa v[74:75], v41 src0_sel:WORD_1
	v_mov_b32_e32 v26, s8
	s_waitcnt lgkmcnt(0)
	v_mul_f32_e32 v76, s4, v26
	v_mfma_f32_16x16x16_f16 v[26:29], v[48:49], v[28:29], v[44:47]
	v_cvt_pk_f32_fp8_sdwa v[48:49], v37 src0_sel:WORD_1
	v_pk_mul_f32 v[40:41], v[76:77], v[52:53] op_sel_hi:[0,1]
	v_pk_mul_f32 v[52:53], v[76:77], v[54:55] op_sel_hi:[0,1]
	v_cvt_pkrtz_f16_f32 v46, v62, v63
	v_cvt_pkrtz_f16_f32 v47, v74, v75
	v_mfma_f32_16x16x16_f16 v[26:29], v[38:39], v[18:19], v[26:29]
	v_cvt_pk_f32_fp8_e32 v[18:19], v34
	v_cvt_pk_f32_fp8_sdwa v[38:39], v34 src0_sel:WORD_1
	v_pk_mul_f32 v[44:45], v[76:77], v[50:51] op_sel_hi:[0,1]
	v_mfma_f32_16x16x16_f16 v[26:29], v[46:47], v[20:21], v[26:29]
	v_cvt_pkrtz_f16_f32 v20, v18, v19
	v_cvt_pkrtz_f16_f32 v21, v38, v39
	v_cvt_pk_f32_fp8_e32 v[38:39], v35
	v_cvt_pk_f32_fp8_sdwa v[34:35], v35 src0_sel:WORD_1
	v_mfma_f32_16x16x16_f16 v[26:29], v[20:21], v[14:15], v[26:29]
	v_cvt_pkrtz_f16_f32 v38, v38, v39
	v_cvt_pkrtz_f16_f32 v39, v34, v35
	v_cvt_pk_f32_fp8_e32 v[14:15], v36
	v_cvt_pk_f32_fp8_sdwa v[20:21], v36 src0_sel:WORD_1
	v_pk_mul_f32 v[50:51], v[76:77], v[70:71] op_sel_hi:[0,1]
	v_mad_i64_i32 v[18:19], s[4:5], v69, s45, v[42:43]
	v_cvt_pkrtz_f16_f32 v46, v14, v15
	v_cvt_pkrtz_f16_f32 v47, v20, v21
	v_cvt_pk_f32_fp8_e32 v[20:21], v37
	v_mfma_f32_16x16x16_f16 v[14:17], v[38:39], v[16:17], v[26:29]
	v_pk_mul_f32 v[36:37], v[76:77], v[56:57] op_sel_hi:[0,1]
	v_mad_i64_i32 v[34:35], s[4:5], v68, s45, v[42:43]
	v_cvt_pkrtz_f16_f32 v20, v20, v21
	v_cvt_pkrtz_f16_f32 v21, v48, v49
	v_mfma_f32_16x16x16_f16 v[14:17], v[46:47], v[6:7], v[14:17]
	v_pk_mul_f32 v[46:47], v[76:77], v[72:73] op_sel_hi:[0,1]
	v_mfma_f32_16x16x16_f16 v[6:9], v[20:21], v[8:9], v[14:17]
	global_load_dwordx4 v[26:29], v[18:19], off
	s_nop 0
	global_load_dwordx4 v[18:21], v[34:35], off
	s_nop 3
	v_pk_mul_f32 v[48:49], v[76:77], v[6:7] op_sel_hi:[0,1]
	v_and_b32_e32 v6, 0xc0, v0
	v_add_u32_e32 v6, s18, v6
	v_lshl_or_b32 v6, v64, 2, v6
	v_pk_mul_f32 v[38:39], v[76:77], v[8:9] op_sel_hi:[0,1]
	v_or_b32_e32 v9, 1, v6
	v_mov_b32_e32 v7, 0xff7fffff
	v_cmp_gt_i32_e64 s[26:27], s33, v6
	v_cmp_gt_i32_e64 s[28:29], s33, v9
	v_or_b32_e32 v14, 3, v6
	v_cndmask_b32_e64 v8, v7, v44, s[26:27]
	v_cndmask_b32_e64 v9, v7, v45, s[28:29]
	v_max3_f32 v8, v8, s40, v9
	v_or_b32_e32 v9, 2, v6
	v_cmp_gt_i32_e64 s[30:31], s33, v9
	v_cmp_gt_i32_e64 s[34:35], s33, v14
	s_nop 0
	v_cndmask_b32_e64 v9, v7, v40, s[30:31]
	v_cndmask_b32_e64 v14, v7, v41, s[34:35]
	v_max3_f32 v8, v8, v9, v14
	v_or_b32_e32 v9, 16, v6
	v_or_b32_e32 v14, 17, v6
	v_cmp_gt_i32_e64 s[18:19], s33, v9
	v_cmp_gt_i32_e64 s[20:21], s33, v14
	s_nop 0
	v_cndmask_b32_e64 v9, v7, v52, s[18:19]
	v_cndmask_b32_e64 v14, v7, v53, s[20:21]
	v_max3_f32 v8, v8, v9, v14
	v_or_b32_e32 v9, 18, v6
	;; [unrolled: 8-line block ×5, first 2 shown]
	v_or_b32_e32 v14, 49, v6
	v_cmp_gt_i32_e32 vcc, s33, v9
	v_cmp_gt_i32_e64 s[4:5], s33, v14
	s_nop 0
	v_cndmask_b32_e32 v9, v7, v48, vcc
	v_cndmask_b32_e64 v14, v7, v49, s[4:5]
	v_max3_f32 v8, v8, v9, v14
	v_or_b32_e32 v9, 50, v6
	v_or_b32_e32 v6, 51, v6
	v_cmp_gt_i32_e64 s[6:7], s33, v9
	v_cmp_gt_i32_e64 s[8:9], s33, v6
	s_nop 0
	v_cndmask_b32_e64 v9, v7, v38, s[6:7]
	v_cndmask_b32_e64 v6, v7, v39, s[8:9]
	v_max3_f32 v8, v8, v9, v6
	v_mbcnt_lo_u32_b32 v6, -1, 0
	v_mbcnt_hi_u32_b32 v9, -1, v6
	v_and_b32_e32 v6, 64, v9
	v_add_u32_e32 v14, 64, v6
	v_xor_b32_e32 v6, 32, v9
	v_cmp_lt_i32_e64 s[38:39], v6, v14
	s_nop 1
	v_cndmask_b32_e64 v6, v9, v6, s[38:39]
	v_lshlrev_b32_e32 v55, 2, v6
	ds_bpermute_b32 v15, v55, v8
	v_mad_i64_i32 v[6:7], s[38:39], v67, s45, v[42:43]
	s_waitcnt lgkmcnt(0)
	v_max_f32_e32 v15, v15, v15
	v_max_f32_e32 v34, v8, v15
	v_xor_b32_e32 v8, 16, v9
	v_cmp_lt_i32_e64 s[38:39], v8, v14
	s_nop 1
	v_cndmask_b32_e64 v8, v9, v8, s[38:39]
	v_lshlrev_b32_e32 v56, 2, v8
	v_mad_i64_i32 v[8:9], s[38:39], v66, s45, v[42:43]
	global_load_dwordx4 v[14:17], v[6:7], off
	s_nop 0
	global_load_dwordx4 v[6:9], v[8:9], off
	ds_bpermute_b32 v35, v56, v34
	s_waitcnt lgkmcnt(0)
	s_barrier
	v_max_f32_e32 v35, v35, v35
	v_max_f32_e32 v54, v34, v35
	v_sub_f32_e32 v42, v52, v54
	v_mul_f32_e32 v42, 0x3fb8aa3b, v42
	v_exp_f32_e32 v42, v42
	v_sub_f32_e32 v36, v36, v54
	v_sub_f32_e32 v34, v44, v54
	v_mul_f32_e32 v36, 0x3fb8aa3b, v36
	v_mul_f32_e32 v34, 0x3fb8aa3b, v34
	v_sub_f32_e32 v35, v45, v54
	v_sub_f32_e32 v43, v53, v54
	v_exp_f32_e32 v44, v36
	v_sub_f32_e32 v36, v37, v54
	v_sub_f32_e32 v48, v48, v54
	;; [unrolled: 1-line block ×3, first 2 shown]
	v_exp_f32_e32 v34, v34
	v_mul_f32_e32 v35, 0x3fb8aa3b, v35
	v_sub_f32_e32 v40, v40, v54
	v_mul_f32_e32 v43, 0x3fb8aa3b, v43
	v_mul_f32_e32 v36, 0x3fb8aa3b, v36
	;; [unrolled: 1-line block ×4, first 2 shown]
	v_exp_f32_e32 v35, v35
	v_mul_f32_e32 v40, 0x3fb8aa3b, v40
	v_sub_f32_e32 v41, v41, v54
	v_exp_f32_e32 v43, v43
	v_exp_f32_e32 v45, v36
	v_cndmask_b32_e64 v36, 0, v42, s[18:19]
	v_sub_f32_e32 v42, v50, v54
	v_exp_f32_e32 v48, v48
	v_exp_f32_e32 v50, v38
	;; [unrolled: 1-line block ×3, first 2 shown]
	v_mul_f32_e32 v41, 0x3fb8aa3b, v41
	v_exp_f32_e32 v41, v41
	v_sub_f32_e32 v38, v39, v54
	v_cndmask_b32_e64 v34, 0, v34, s[26:27]
	v_mul_f32_e32 v38, 0x3fb8aa3b, v38
	v_cndmask_b32_e64 v35, 0, v35, s[28:29]
	v_cndmask_b32_e64 v37, 0, v43, s[20:21]
	v_sub_f32_e32 v43, v51, v54
	v_exp_f32_e32 v51, v38
	v_cndmask_b32_e32 v38, 0, v48, vcc
	v_cndmask_b32_e64 v48, 0, v50, s[6:7]
	v_add_f32_e32 v50, 0, v34
	v_cndmask_b32_e64 v40, 0, v40, s[30:31]
	v_add_f32_e32 v50, v50, v35
	v_cndmask_b32_e64 v41, 0, v41, s[34:35]
	v_mul_f32_e32 v42, 0x3fb8aa3b, v42
	v_add_f32_e32 v50, v50, v40
	v_exp_f32_e32 v42, v42
	v_mul_f32_e32 v43, 0x3fb8aa3b, v43
	v_sub_f32_e32 v46, v46, v54
	v_add_f32_e32 v50, v50, v41
	v_exp_f32_e32 v43, v43
	v_mul_f32_e32 v46, 0x3fb8aa3b, v46
	v_sub_f32_e32 v47, v47, v54
	v_add_f32_e32 v50, v50, v36
	v_cndmask_b32_e64 v44, 0, v44, s[22:23]
	v_exp_f32_e32 v46, v46
	v_mul_f32_e32 v47, 0x3fb8aa3b, v47
	v_add_f32_e32 v50, v50, v37
	v_cndmask_b32_e64 v45, 0, v45, s[36:37]
	v_exp_f32_e32 v47, v47
	v_sub_f32_e32 v49, v49, v54
	v_add_f32_e32 v50, v50, v44
	v_cndmask_b32_e64 v42, 0, v42, s[10:11]
	v_mul_f32_e32 v49, 0x3fb8aa3b, v49
	v_add_f32_e32 v50, v50, v45
	v_cndmask_b32_e64 v43, 0, v43, s[12:13]
	v_exp_f32_e32 v49, v49
	v_add_f32_e32 v50, v50, v42
	v_cndmask_b32_e64 v46, 0, v46, s[14:15]
	v_add_f32_e32 v50, v50, v43
	v_cndmask_b32_e64 v47, 0, v47, s[16:17]
	v_add_f32_e32 v50, v50, v46
	v_add_f32_e32 v50, v50, v47
	v_cndmask_b32_e64 v39, 0, v49, s[4:5]
	v_add_f32_e32 v50, v50, v38
	;; [unrolled: 3-line block ×3, first 2 shown]
	v_add_f32_e32 v50, v50, v49
	ds_bpermute_b32 v51, v55, v50
	v_cmp_gt_u32_e32 vcc, 16, v65
	s_waitcnt lgkmcnt(0)
	v_add_f32_e32 v50, v50, v51
	ds_bpermute_b32 v51, v56, v50
	s_and_saveexec_b64 s[4:5], vcc
	s_cbranch_execz .LBB957_13
; %bb.12:
	s_waitcnt lgkmcnt(0)
	v_add_f32_e32 v50, v50, v51
	v_lshlrev_b32_e32 v51, 2, v59
	ds_write2st64_b32 v51, v54, v50 offset1:1
.LBB957_13:
	s_or_b64 exec, exec, s[4:5]
	s_waitcnt lgkmcnt(0)
	v_lshlrev_b32_e32 v51, 2, v60
	s_load_dword s6, s[0:1], 0x94
	s_waitcnt lgkmcnt(0)
	s_barrier
	ds_read2_b32 v[52:53], v51 offset1:16
	ds_read2_b32 v[54:55], v51 offset0:32 offset1:48
	ds_read2_b32 v[56:57], v51 offset0:64 offset1:80
	s_mul_i32 s7, s25, 10
	s_waitcnt lgkmcnt(2)
	v_max3_f32 v50, v52, s40, v53
	s_waitcnt lgkmcnt(1)
	v_max3_f32 v50, v50, v54, v55
	v_sub_f32_e32 v52, v52, v50
	v_mul_f32_e32 v52, 0x3fb8aa3b, v52
	v_exp_f32_e32 v59, v52
	v_sub_f32_e32 v52, v53, v50
	v_mul_f32_e32 v52, 0x3fb8aa3b, v52
	v_exp_f32_e32 v62, v52
	;; [unrolled: 3-line block ×3, first 2 shown]
	ds_read2_b32 v[52:53], v51 offset0:96 offset1:112
	v_sub_f32_e32 v51, v55, v50
	v_mul_f32_e32 v51, 0x3fb8aa3b, v51
	v_exp_f32_e32 v55, v51
	s_waitcnt lgkmcnt(1)
	v_fma_f32 v51, v59, v56, 0
	v_fmac_f32_e32 v51, v62, v57
	s_waitcnt lgkmcnt(0)
	v_fmac_f32_e32 v51, v54, v52
	v_fmac_f32_e32 v51, v55, v53
	v_add_f32_e32 v52, 0x358637bd, v51
	v_div_scale_f32 v53, s[4:5], v52, v52, 1.0
	v_rcp_f32_e32 v56, v53
	s_barrier
	v_fma_f32 v57, -v53, v56, 1.0
	v_fmac_f32_e32 v56, v57, v56
	v_div_scale_f32 v57, vcc, 1.0, v52, 1.0
	v_mul_f32_e32 v63, v57, v56
	v_fma_f32 v65, -v53, v63, v57
	v_fmac_f32_e32 v63, v65, v56
	v_fma_f32 v53, -v53, v63, v57
	v_div_fmas_f32 v53, v53, v56, v63
	v_cmp_eq_u32_e32 vcc, 1, v61
	v_div_fixup_f32 v52, v53, v52, 1.0
	s_nop 0
	v_cndmask_b32_e32 v53, v59, v62, vcc
	v_cmp_eq_u32_e32 vcc, 2, v61
	s_nop 1
	v_cndmask_b32_e32 v53, v53, v54, vcc
	v_cmp_eq_u32_e32 vcc, 3, v61
	s_nop 1
	v_cndmask_b32_e32 v53, v53, v55, vcc
	v_mul_f32_e32 v52, v53, v52
	v_pk_mul_f32 v[40:41], v[52:53], v[40:41] op_sel_hi:[0,1]
	v_pk_mul_f32 v[34:35], v[52:53], v[34:35] op_sel_hi:[0,1]
	v_cvt_f16_f32_e32 v53, v40
	v_cvt_f16_f32_e32 v34, v34
	;; [unrolled: 1-line block ×4, first 2 shown]
	v_pk_mul_f32 v[44:45], v[52:53], v[44:45] op_sel_hi:[0,1]
	v_pk_mul_f32 v[36:37], v[52:53], v[36:37] op_sel_hi:[0,1]
	v_cvt_f16_f32_e32 v36, v36
	v_cvt_f16_f32_e32 v37, v37
	;; [unrolled: 1-line block ×4, first 2 shown]
	v_pack_b32_f16 v40, v34, v35
	v_pack_b32_f16 v41, v53, v41
	v_lshlrev_b32_e32 v35, 3, v64
	v_lshlrev_b32_e32 v34, 5, v60
	;; [unrolled: 1-line block ×3, first 2 shown]
	v_or3_b32 v54, v53, v34, v35
	v_pack_b32_f16 v36, v36, v37
	v_pack_b32_f16 v37, v44, v45
	ds_write2st64_b64 v54, v[40:41], v[36:37] offset1:1
	v_pk_mul_f32 v[36:37], v[52:53], v[46:47] op_sel_hi:[0,1]
	v_pk_mul_f32 v[40:41], v[52:53], v[42:43] op_sel_hi:[0,1]
	v_cvt_f16_f32_e32 v35, v40
	v_cvt_f16_f32_e32 v40, v41
	;; [unrolled: 1-line block ×4, first 2 shown]
	v_pk_mul_f32 v[36:37], v[52:53], v[48:49] op_sel_hi:[0,1]
	v_pk_mul_f32 v[38:39], v[52:53], v[38:39] op_sel_hi:[0,1]
	v_cvt_f16_f32_e32 v38, v38
	v_cvt_f16_f32_e32 v39, v39
	;; [unrolled: 1-line block ×4, first 2 shown]
	v_pack_b32_f16 v36, v35, v40
	v_pack_b32_f16 v37, v41, v42
	;; [unrolled: 1-line block ×4, first 2 shown]
	v_cmp_gt_u32_e32 vcc, 10, v0
	ds_write2st64_b64 v54, v[36:37], v[38:39] offset0:2 offset1:3
	s_and_saveexec_b64 s[4:5], vcc
	s_cbranch_execz .LBB957_15
; %bb.14:
	s_mov_b32 s49, 0
	v_mov_b32_e32 v61, 0
	v_lshl_add_u64 v[36:37], s[48:49], 0, v[60:61]
	v_mov_b32_e32 v35, s7
	v_mad_u64_u32 v[36:37], s[12:13], s2, v35, v[36:37]
	s_mul_i32 s3, s3, s7
	v_mov_b32_e32 v38, s24
	v_mov_b32_e32 v39, v61
	s_load_dwordx4 s[8:11], s[0:1], 0x58
	v_add_u32_e32 v35, s3, v37
	v_mad_u64_u32 v[36:37], s[12:13], v36, s6, v[38:39]
	v_mov_b32_e32 v38, v37
	v_mad_u64_u32 v[38:39], s[12:13], v35, s6, v[38:39]
	v_mov_b32_e32 v37, v38
	v_lshlrev_b64 v[36:37], 2, v[36:37]
	s_waitcnt lgkmcnt(0)
	v_lshl_add_u64 v[38:39], s[10:11], 0, v[36:37]
	v_lshl_add_u64 v[36:37], s[8:9], 0, v[36:37]
	global_store_dword v[38:39], v50, off
	global_store_dword v[36:37], v51, off
.LBB957_15:
	s_or_b64 exec, exec, s[4:5]
	s_waitcnt vmcnt(7)
	v_cvt_pk_f32_fp8_e32 v[36:37], v30
	v_lshl_or_b32 v50, v64, 9, v34
	v_cvt_pk_f32_fp8_sdwa v[34:35], v30 src0_sel:WORD_1
	s_waitcnt lgkmcnt(0)
	s_barrier
	v_cvt_pk_f32_fp8_e32 v[38:39], v31
	v_cvt_pkrtz_f16_f32 v30, v36, v37
	v_cvt_pk_f32_fp8_sdwa v[40:41], v31 src0_sel:WORD_1
	v_cvt_pkrtz_f16_f32 v31, v34, v35
	ds_read_b128 v[34:37], v50
	v_cvt_pkrtz_f16_f32 v46, v38, v39
	v_cvt_pkrtz_f16_f32 v47, v40, v41
	ds_read_b128 v[38:41], v50 offset:16
	v_cvt_pk_f32_fp8_e32 v[48:49], v32
	v_cvt_pk_f32_fp8_sdwa v[52:53], v32 src0_sel:WORD_1
	s_waitcnt lgkmcnt(1)
	v_mfma_f32_16x16x16_f16 v[42:45], v[30:31], v[34:35], 0
	s_waitcnt vmcnt(6)
	v_cvt_pk_f32_fp8_e32 v[56:57], v24
	v_cvt_pkrtz_f16_f32 v30, v48, v49
	v_cvt_pkrtz_f16_f32 v31, v52, v53
	v_cvt_pk_f32_fp8_e32 v[48:49], v33
	v_mfma_f32_16x16x16_f16 v[42:45], v[46:47], v[36:37], v[42:45]
	v_cvt_pk_f32_fp8_sdwa v[46:47], v33 src0_sel:WORD_1
	v_cvt_pk_f32_fp8_sdwa v[62:63], v24 src0_sel:WORD_1
	v_cvt_pkrtz_f16_f32 v48, v48, v49
	s_waitcnt lgkmcnt(0)
	v_mfma_f32_16x16x16_f16 v[30:33], v[30:31], v[38:39], v[42:45]
	v_cvt_pkrtz_f16_f32 v49, v46, v47
	s_waitcnt vmcnt(4)
	v_cvt_pk_f32_fp8_sdwa v[70:71], v4 src0_sel:WORD_1
	s_waitcnt vmcnt(3)
	v_cvt_pk_f32_fp8_sdwa v[72:73], v28 src0_sel:WORD_1
	v_cvt_pk_f32_fp8_e32 v[42:43], v22
	v_mfma_f32_16x16x16_f16 v[46:49], v[48:49], v[40:41], v[30:33]
	s_load_dword s4, s[42:43], 0x0
	s_mov_b32 s3, 0
	s_nop 0
	v_cvt_pk_f32_fp8_sdwa v[30:31], v22 src0_sel:WORD_1
	v_cvt_pk_f32_fp8_e32 v[32:33], v23
	v_cvt_pkrtz_f16_f32 v22, v42, v43
	v_cvt_pk_f32_fp8_sdwa v[42:43], v23 src0_sel:WORD_1
	v_cvt_pkrtz_f16_f32 v23, v30, v31
	v_cvt_pkrtz_f16_f32 v52, v32, v33
	ds_read_b128 v[30:33], v50 offset:2048
	v_cvt_pkrtz_f16_f32 v53, v42, v43
	ds_read_b128 v[42:45], v50 offset:2064
	s_waitcnt lgkmcnt(0)
	v_mfma_f32_16x16x16_f16 v[46:49], v[22:23], v[30:31], v[46:49]
	v_cvt_pkrtz_f16_f32 v22, v56, v57
	v_cvt_pkrtz_f16_f32 v23, v62, v63
	v_cvt_pk_f32_fp8_e32 v[56:57], v25
	v_mfma_f32_16x16x16_f16 v[46:49], v[52:53], v[32:33], v[46:49]
	v_cvt_pk_f32_fp8_sdwa v[52:53], v25 src0_sel:WORD_1
	v_cvt_pk_f32_fp8_sdwa v[62:63], v12 src0_sel:WORD_1
	v_cvt_pkrtz_f16_f32 v56, v56, v57
	v_mfma_f32_16x16x16_f16 v[22:25], v[22:23], v[42:43], v[46:49]
	v_cvt_pkrtz_f16_f32 v57, v52, v53
	v_cmp_gt_u32_e32 vcc, 64, v0
	s_nop 0
	v_cvt_pk_f32_fp8_e32 v[46:47], v10
	v_mfma_f32_16x16x16_f16 v[66:69], v[56:57], v[44:45], v[22:25]
	v_cvt_pk_f32_fp8_e32 v[56:57], v12
	s_nop 1
	v_cvt_pk_f32_fp8_sdwa v[22:23], v10 src0_sel:WORD_1
	v_cvt_pk_f32_fp8_e32 v[24:25], v11
	v_cvt_pkrtz_f16_f32 v10, v46, v47
	v_cvt_pk_f32_fp8_sdwa v[46:47], v11 src0_sel:WORD_1
	v_cvt_pkrtz_f16_f32 v11, v22, v23
	v_cvt_pkrtz_f16_f32 v52, v24, v25
	ds_read_b128 v[22:25], v50 offset:4096
	v_cvt_pkrtz_f16_f32 v53, v46, v47
	ds_read_b128 v[46:49], v50 offset:4112
	s_waitcnt lgkmcnt(1)
	v_mfma_f32_16x16x16_f16 v[66:69], v[10:11], v[22:23], v[66:69]
	v_cvt_pkrtz_f16_f32 v10, v56, v57
	v_cvt_pkrtz_f16_f32 v11, v62, v63
	v_cvt_pk_f32_fp8_e32 v[56:57], v13
	v_mfma_f32_16x16x16_f16 v[66:69], v[52:53], v[24:25], v[66:69]
	v_cvt_pk_f32_fp8_sdwa v[52:53], v13 src0_sel:WORD_1
	v_cvt_pk_f32_fp8_e32 v[62:63], v4
	v_cvt_pkrtz_f16_f32 v56, v56, v57
	s_waitcnt lgkmcnt(0)
	v_mfma_f32_16x16x16_f16 v[10:13], v[10:11], v[46:47], v[66:69]
	v_cvt_pkrtz_f16_f32 v57, v52, v53
	v_cvt_pk_f32_fp8_e32 v[52:53], v2
	s_nop 0
	v_mfma_f32_16x16x16_f16 v[66:69], v[56:57], v[48:49], v[10:13]
	s_nop 2
	v_cvt_pk_f32_fp8_sdwa v[10:11], v2 src0_sel:WORD_1
	v_cvt_pk_f32_fp8_e32 v[12:13], v3
	v_cvt_pkrtz_f16_f32 v2, v52, v53
	v_cvt_pk_f32_fp8_sdwa v[52:53], v3 src0_sel:WORD_1
	v_cvt_pkrtz_f16_f32 v3, v10, v11
	v_cvt_pkrtz_f16_f32 v56, v12, v13
	ds_read_b128 v[10:13], v50 offset:6144
	v_cvt_pkrtz_f16_f32 v57, v52, v53
	s_waitcnt lgkmcnt(0)
	v_mfma_f32_16x16x16_f16 v[66:69], v[2:3], v[10:11], v[66:69]
	ds_read_b128 v[50:53], v50 offset:6160
	v_cvt_pkrtz_f16_f32 v2, v62, v63
	v_cvt_pkrtz_f16_f32 v3, v70, v71
	v_cvt_pk_f32_fp8_e32 v[62:63], v5
	v_mfma_f32_16x16x16_f16 v[66:69], v[56:57], v[12:13], v[66:69]
	v_cvt_pk_f32_fp8_sdwa v[56:57], v5 src0_sel:WORD_1
	v_cvt_pk_f32_fp8_e32 v[70:71], v28
	v_cvt_pkrtz_f16_f32 v62, v62, v63
	s_waitcnt lgkmcnt(0)
	v_mfma_f32_16x16x16_f16 v[2:5], v[2:3], v[50:51], v[66:69]
	v_cvt_pkrtz_f16_f32 v63, v56, v57
	v_cvt_pk_f32_fp8_e32 v[56:57], v26
	s_nop 0
	v_cvt_pk_f32_fp8_sdwa v[66:67], v26 src0_sel:WORD_1
	v_mfma_f32_16x16x16_f16 v[2:5], v[62:63], v[52:53], v[2:5]
	v_cvt_pk_f32_fp8_e32 v[62:63], v27
	v_cvt_pkrtz_f16_f32 v56, v56, v57
	v_cvt_pkrtz_f16_f32 v57, v66, v67
	v_cvt_pk_f32_fp8_sdwa v[26:27], v27 src0_sel:WORD_1
	v_cvt_pkrtz_f16_f32 v62, v62, v63
	v_mfma_f32_16x16x16_f16 v[66:69], v[56:57], v[34:35], 0
	v_cvt_pkrtz_f16_f32 v63, v26, v27
	v_cvt_pkrtz_f16_f32 v26, v70, v71
	;; [unrolled: 1-line block ×3, first 2 shown]
	v_cvt_pk_f32_fp8_e32 v[56:57], v29
	v_mfma_f32_16x16x16_f16 v[34:37], v[62:63], v[36:37], v[66:69]
	v_cvt_pk_f32_fp8_sdwa v[62:63], v29 src0_sel:WORD_1
	v_cvt_pkrtz_f16_f32 v56, v56, v57
	s_barrier
	v_mfma_f32_16x16x16_f16 v[26:29], v[26:27], v[38:39], v[34:37]
	v_cvt_pkrtz_f16_f32 v57, v62, v63
	s_waitcnt vmcnt(2)
	v_cvt_pk_f32_fp8_e32 v[38:39], v19
	v_cvt_pk_f32_fp8_e32 v[34:35], v18
	v_cvt_pk_f32_fp8_sdwa v[36:37], v18 src0_sel:WORD_1
	v_cvt_pk_f32_fp8_sdwa v[18:19], v19 src0_sel:WORD_1
	v_mfma_f32_16x16x16_f16 v[26:29], v[56:57], v[40:41], v[26:29]
	v_cvt_pkrtz_f16_f32 v34, v34, v35
	v_cvt_pkrtz_f16_f32 v35, v36, v37
	;; [unrolled: 1-line block ×3, first 2 shown]
	v_cvt_pk_f32_fp8_e32 v[38:39], v20
	v_cvt_pk_f32_fp8_sdwa v[40:41], v20 src0_sel:WORD_1
	v_cvt_pkrtz_f16_f32 v37, v18, v19
	v_mfma_f32_16x16x16_f16 v[26:29], v[34:35], v[30:31], v[26:29]
	v_cvt_pkrtz_f16_f32 v30, v38, v39
	v_cvt_pkrtz_f16_f32 v31, v40, v41
	v_cvt_pk_f32_fp8_e32 v[34:35], v21
	v_cvt_pk_f32_fp8_sdwa v[38:39], v21 src0_sel:WORD_1
	v_mfma_f32_16x16x16_f16 v[18:21], v[36:37], v[32:33], v[26:29]
	s_waitcnt vmcnt(1)
	v_cvt_pk_f32_fp8_sdwa v[32:33], v16 src0_sel:WORD_1
	s_nop 0
	v_cvt_pkrtz_f16_f32 v26, v34, v35
	v_cvt_pkrtz_f16_f32 v27, v38, v39
	v_mfma_f32_16x16x16_f16 v[18:21], v[30:31], v[42:43], v[18:21]
	v_cvt_pk_f32_fp8_e32 v[28:29], v14
	v_cvt_pk_f32_fp8_sdwa v[30:31], v14 src0_sel:WORD_1
	v_cvt_pkrtz_f16_f32 v28, v28, v29
	v_mfma_f32_16x16x16_f16 v[18:21], v[26:27], v[44:45], v[18:21]
	v_cvt_pk_f32_fp8_e32 v[26:27], v15
	v_cvt_pkrtz_f16_f32 v29, v30, v31
	v_cvt_pk_f32_fp8_sdwa v[14:15], v15 src0_sel:WORD_1
	v_cvt_pk_f32_fp8_e32 v[30:31], v16
	v_cvt_pkrtz_f16_f32 v26, v26, v27
	v_mfma_f32_16x16x16_f16 v[18:21], v[28:29], v[22:23], v[18:21]
	v_cvt_pkrtz_f16_f32 v27, v14, v15
	v_cvt_pkrtz_f16_f32 v22, v30, v31
	;; [unrolled: 1-line block ×3, first 2 shown]
	v_cvt_pk_f32_fp8_e32 v[28:29], v17
	v_cvt_pk_f32_fp8_sdwa v[30:31], v17 src0_sel:WORD_1
	v_mfma_f32_16x16x16_f16 v[14:17], v[26:27], v[24:25], v[18:21]
	s_waitcnt vmcnt(0)
	v_cvt_pk_f32_fp8_sdwa v[24:25], v6 src0_sel:WORD_1
	s_nop 0
	v_pk_mul_f32 v[18:19], v[4:5], s[4:5] op_sel_hi:[1,0]
	v_cvt_pkrtz_f16_f32 v4, v28, v29
	v_cvt_pkrtz_f16_f32 v5, v30, v31
	v_mfma_f32_16x16x16_f16 v[14:17], v[22:23], v[46:47], v[14:17]
	v_cvt_pk_f32_fp8_e32 v[22:23], v6
	v_pk_mul_f32 v[20:21], v[2:3], s[4:5] op_sel_hi:[1,0]
	v_mfma_f32_16x16x16_f16 v[2:5], v[4:5], v[48:49], v[14:17]
	s_nop 3
	v_cvt_pk_f32_fp8_e32 v[14:15], v7
	v_cvt_pkrtz_f16_f32 v16, v22, v23
	v_cvt_pkrtz_f16_f32 v17, v24, v25
	v_cvt_pk_f32_fp8_sdwa v[6:7], v7 src0_sel:WORD_1
	v_cvt_pkrtz_f16_f32 v14, v14, v15
	v_cvt_pk_f32_fp8_e32 v[22:23], v8
	v_cvt_pk_f32_fp8_sdwa v[24:25], v8 src0_sel:WORD_1
	v_cvt_pkrtz_f16_f32 v15, v6, v7
	v_mfma_f32_16x16x16_f16 v[2:5], v[16:17], v[10:11], v[2:5]
	v_cvt_pkrtz_f16_f32 v6, v22, v23
	v_cvt_pkrtz_f16_f32 v7, v24, v25
	v_cvt_pk_f32_fp8_e32 v[10:11], v9
	v_cvt_pk_f32_fp8_sdwa v[8:9], v9 src0_sel:WORD_1
	v_mfma_f32_16x16x16_f16 v[2:5], v[14:15], v[12:13], v[2:5]
	v_cvt_f16_f32_e32 v12, v20
	v_cvt_pkrtz_f16_f32 v10, v10, v11
	v_cvt_pkrtz_f16_f32 v11, v8, v9
	v_mfma_f32_16x16x16_f16 v[2:5], v[6:7], v[50:51], v[2:5]
	v_cvt_f16_f32_e32 v6, v21
	v_cvt_f16_f32_e32 v7, v18
	;; [unrolled: 1-line block ×3, first 2 shown]
	v_mfma_f32_16x16x16_f16 v[2:5], v[10:11], v[52:53], v[2:5]
	s_nop 6
	v_pk_mul_f32 v[4:5], v[4:5], s[4:5] op_sel_hi:[1,0]
	v_pk_mul_f32 v[2:3], v[2:3], s[4:5] op_sel_hi:[1,0]
	v_cvt_f16_f32_e32 v11, v4
	v_cvt_f16_f32_e32 v9, v2
	;; [unrolled: 1-line block ×4, first 2 shown]
	v_pack_b32_f16 v2, v12, v6
	v_pack_b32_f16 v3, v7, v8
	;; [unrolled: 1-line block ×4, first 2 shown]
	ds_write2st64_b64 v54, v[2:3], v[4:5] offset1:1
	s_waitcnt lgkmcnt(0)
	s_barrier
	s_and_saveexec_b64 s[4:5], vcc
	s_cbranch_execz .LBB957_18
; %bb.16:
	s_load_dwordx2 s[4:5], s[0:1], 0x68
	s_lshl_b32 s0, s6, 7
	s_mul_i32 s1, s7, s2
	v_lshlrev_b32_e32 v3, 6, v60
	s_mul_hi_u32 s7, s1, s0
	s_mul_i32 s6, s1, s0
	v_lshl_or_b32 v0, v0, 10, v3
	s_lshl_b64 s[6:7], s[6:7], 1
	v_lshlrev_b32_e32 v2, 5, v64
	v_and_b32_e32 v1, 16, v1
	v_and_b32_e32 v0, 0x1a00, v0
	s_waitcnt lgkmcnt(0)
	s_add_u32 s1, s4, s6
	v_or3_b32 v2, v0, v2, v1
	s_addc_u32 s4, s5, s7
	s_lshl_b32 s2, s24, 7
	s_lshl_b64 s[2:3], s[2:3], 1
	ds_read_b128 v[4:7], v2 offset:128
	ds_read_b128 v[8:11], v2
	s_add_u32 s2, s1, s2
	s_addc_u32 s3, s4, s3
	v_mov_b32_e32 v59, 0
	v_add_u32_e32 v14, s48, v64
	v_lshl_add_u64 v[0:1], s[2:3], 0, v[58:59]
	v_mad_u64_u32 v[12:13], s[2:3], v14, s0, 0
	v_lshl_add_u64 v[12:13], v[12:13], 1, v[0:1]
	s_waitcnt lgkmcnt(0)
	global_store_dwordx4 v[12:13], v[8:11], off
	v_or_b32_e32 v3, 8, v64
	v_cmp_gt_u32_e32 vcc, 10, v3
	v_add_u32_e32 v8, 4, v14
	v_mad_u64_u32 v[8:9], s[2:3], v8, s0, 0
	v_lshl_add_u64 v[8:9], v[8:9], 1, v[0:1]
	global_store_dwordx4 v[8:9], v[4:7], off
	s_and_b64 exec, exec, vcc
	s_cbranch_execz .LBB957_18
; %bb.17:
	ds_read_b128 v[4:7], v2 offset:256
	v_add_u32_e32 v2, s48, v3
	v_mad_u64_u32 v[2:3], s[0:1], v2, s0, 0
	v_lshl_add_u64 v[0:1], v[2:3], 1, v[0:1]
	s_waitcnt lgkmcnt(0)
	global_store_dwordx4 v[0:1], v[4:7], off
.LBB957_18:
	s_endpgm
	.section	.rodata,"a",@progbits
	.p2align	6, 0x0
	.amdhsa_kernel _Z39paged_attention_ll4mi_QKV_mfma16_kernelIDF16_hLN4vllm18Fp8KVCacheDataTypeE1EhLi16ELi128ELi256ELb0ELi10EEvPKT_PKT0_S7_ifPKiS9_S9_iPKfiiiPfSC_PS2_PT2_iSB_SB_
		.amdhsa_group_segment_fixed_size 8192
		.amdhsa_private_segment_fixed_size 0
		.amdhsa_kernarg_size 400
		.amdhsa_user_sgpr_count 2
		.amdhsa_user_sgpr_dispatch_ptr 0
		.amdhsa_user_sgpr_queue_ptr 0
		.amdhsa_user_sgpr_kernarg_segment_ptr 1
		.amdhsa_user_sgpr_dispatch_id 0
		.amdhsa_user_sgpr_kernarg_preload_length 0
		.amdhsa_user_sgpr_kernarg_preload_offset 0
		.amdhsa_user_sgpr_private_segment_size 0
		.amdhsa_uses_dynamic_stack 0
		.amdhsa_enable_private_segment 0
		.amdhsa_system_sgpr_workgroup_id_x 1
		.amdhsa_system_sgpr_workgroup_id_y 1
		.amdhsa_system_sgpr_workgroup_id_z 1
		.amdhsa_system_sgpr_workgroup_info 0
		.amdhsa_system_vgpr_workitem_id 0
		.amdhsa_next_free_vgpr 88
		.amdhsa_next_free_sgpr 50
		.amdhsa_accum_offset 88
		.amdhsa_reserve_vcc 1
		.amdhsa_float_round_mode_32 0
		.amdhsa_float_round_mode_16_64 0
		.amdhsa_float_denorm_mode_32 3
		.amdhsa_float_denorm_mode_16_64 3
		.amdhsa_dx10_clamp 1
		.amdhsa_ieee_mode 1
		.amdhsa_fp16_overflow 0
		.amdhsa_tg_split 0
		.amdhsa_exception_fp_ieee_invalid_op 0
		.amdhsa_exception_fp_denorm_src 0
		.amdhsa_exception_fp_ieee_div_zero 0
		.amdhsa_exception_fp_ieee_overflow 0
		.amdhsa_exception_fp_ieee_underflow 0
		.amdhsa_exception_fp_ieee_inexact 0
		.amdhsa_exception_int_div_zero 0
	.end_amdhsa_kernel
	.section	.text._Z39paged_attention_ll4mi_QKV_mfma16_kernelIDF16_hLN4vllm18Fp8KVCacheDataTypeE1EhLi16ELi128ELi256ELb0ELi10EEvPKT_PKT0_S7_ifPKiS9_S9_iPKfiiiPfSC_PS2_PT2_iSB_SB_,"axG",@progbits,_Z39paged_attention_ll4mi_QKV_mfma16_kernelIDF16_hLN4vllm18Fp8KVCacheDataTypeE1EhLi16ELi128ELi256ELb0ELi10EEvPKT_PKT0_S7_ifPKiS9_S9_iPKfiiiPfSC_PS2_PT2_iSB_SB_,comdat
.Lfunc_end957:
	.size	_Z39paged_attention_ll4mi_QKV_mfma16_kernelIDF16_hLN4vllm18Fp8KVCacheDataTypeE1EhLi16ELi128ELi256ELb0ELi10EEvPKT_PKT0_S7_ifPKiS9_S9_iPKfiiiPfSC_PS2_PT2_iSB_SB_, .Lfunc_end957-_Z39paged_attention_ll4mi_QKV_mfma16_kernelIDF16_hLN4vllm18Fp8KVCacheDataTypeE1EhLi16ELi128ELi256ELb0ELi10EEvPKT_PKT0_S7_ifPKiS9_S9_iPKfiiiPfSC_PS2_PT2_iSB_SB_
                                        ; -- End function
	.section	.AMDGPU.csdata,"",@progbits
; Kernel info:
; codeLenInByte = 6036
; NumSgprs: 56
; NumVgprs: 88
; NumAgprs: 0
; TotalNumVgprs: 88
; ScratchSize: 0
; MemoryBound: 0
; FloatMode: 240
; IeeeMode: 1
; LDSByteSize: 8192 bytes/workgroup (compile time only)
; SGPRBlocks: 6
; VGPRBlocks: 10
; NumSGPRsForWavesPerEU: 56
; NumVGPRsForWavesPerEU: 88
; AccumOffset: 88
; Occupancy: 5
; WaveLimiterHint : 1
; COMPUTE_PGM_RSRC2:SCRATCH_EN: 0
; COMPUTE_PGM_RSRC2:USER_SGPR: 2
; COMPUTE_PGM_RSRC2:TRAP_HANDLER: 0
; COMPUTE_PGM_RSRC2:TGID_X_EN: 1
; COMPUTE_PGM_RSRC2:TGID_Y_EN: 1
; COMPUTE_PGM_RSRC2:TGID_Z_EN: 1
; COMPUTE_PGM_RSRC2:TIDIG_COMP_CNT: 0
; COMPUTE_PGM_RSRC3_GFX90A:ACCUM_OFFSET: 21
; COMPUTE_PGM_RSRC3_GFX90A:TG_SPLIT: 0
	.section	.text._Z39paged_attention_ll4mi_QKV_mfma16_kernelIDF16_hLN4vllm18Fp8KVCacheDataTypeE1EhLi16ELi128ELi256ELb0ELi11EEvPKT_PKT0_S7_ifPKiS9_S9_iPKfiiiPfSC_PS2_PT2_iSB_SB_,"axG",@progbits,_Z39paged_attention_ll4mi_QKV_mfma16_kernelIDF16_hLN4vllm18Fp8KVCacheDataTypeE1EhLi16ELi128ELi256ELb0ELi11EEvPKT_PKT0_S7_ifPKiS9_S9_iPKfiiiPfSC_PS2_PT2_iSB_SB_,comdat
	.protected	_Z39paged_attention_ll4mi_QKV_mfma16_kernelIDF16_hLN4vllm18Fp8KVCacheDataTypeE1EhLi16ELi128ELi256ELb0ELi11EEvPKT_PKT0_S7_ifPKiS9_S9_iPKfiiiPfSC_PS2_PT2_iSB_SB_ ; -- Begin function _Z39paged_attention_ll4mi_QKV_mfma16_kernelIDF16_hLN4vllm18Fp8KVCacheDataTypeE1EhLi16ELi128ELi256ELb0ELi11EEvPKT_PKT0_S7_ifPKiS9_S9_iPKfiiiPfSC_PS2_PT2_iSB_SB_
	.globl	_Z39paged_attention_ll4mi_QKV_mfma16_kernelIDF16_hLN4vllm18Fp8KVCacheDataTypeE1EhLi16ELi128ELi256ELb0ELi11EEvPKT_PKT0_S7_ifPKiS9_S9_iPKfiiiPfSC_PS2_PT2_iSB_SB_
	.p2align	8
	.type	_Z39paged_attention_ll4mi_QKV_mfma16_kernelIDF16_hLN4vllm18Fp8KVCacheDataTypeE1EhLi16ELi128ELi256ELb0ELi11EEvPKT_PKT0_S7_ifPKiS9_S9_iPKfiiiPfSC_PS2_PT2_iSB_SB_,@function
_Z39paged_attention_ll4mi_QKV_mfma16_kernelIDF16_hLN4vllm18Fp8KVCacheDataTypeE1EhLi16ELi128ELi256ELb0ELi11EEvPKT_PKT0_S7_ifPKiS9_S9_iPKfiiiPfSC_PS2_PT2_iSB_SB_: ; @_Z39paged_attention_ll4mi_QKV_mfma16_kernelIDF16_hLN4vllm18Fp8KVCacheDataTypeE1EhLi16ELi128ELi256ELb0ELi11EEvPKT_PKT0_S7_ifPKiS9_S9_iPKfiiiPfSC_PS2_PT2_iSB_SB_
; %bb.0:
	s_load_dwordx2 s[12:13], s[0:1], 0x30
	s_mov_b32 s24, s3
	s_mov_b64 s[6:7], 0
	s_waitcnt lgkmcnt(0)
	s_cmp_lg_u64 s[12:13], 0
	s_cselect_b64 s[14:15], -1, 0
	s_and_b64 vcc, exec, s[14:15]
	s_cbranch_vccz .LBB958_7
; %bb.1:
	s_add_i32 s8, s2, 1
	s_mov_b32 s9, 0
	s_lshl_b64 s[10:11], s[8:9], 2
	s_add_u32 s10, s12, s10
	s_mov_b32 s3, s9
	s_addc_u32 s11, s13, s11
	s_lshl_b64 s[8:9], s[2:3], 2
	s_add_u32 s8, s12, s8
	s_addc_u32 s9, s13, s9
	s_load_dword s5, s[10:11], 0x0
	s_load_dword s16, s[8:9], 0x0
	s_waitcnt lgkmcnt(0)
	s_sub_i32 s5, s5, s16
	s_cmp_eq_u32 s5, 1
	s_cselect_b64 s[8:9], -1, 0
	s_andn2_b64 vcc, exec, s[6:7]
	s_cbranch_vccnz .LBB958_3
.LBB958_2:
	s_mov_b32 s3, 0
	s_mov_b64 s[8:9], -1
.LBB958_3:
	s_andn2_b64 vcc, exec, s[8:9]
	s_cbranch_vccnz .LBB958_18
; %bb.4:
	s_load_dwordx2 s[6:7], s[0:1], 0x28
	s_lshl_b64 s[16:17], s[2:3], 2
	s_waitcnt lgkmcnt(0)
	s_add_u32 s6, s6, s16
	s_addc_u32 s7, s7, s17
	s_load_dword s33, s[6:7], 0x0
	s_lshl_b32 s18, s24, 8
	s_waitcnt lgkmcnt(0)
	s_cmp_ge_i32 s18, s33
	s_cbranch_scc1 .LBB958_18
; %bb.5:
	s_load_dwordx2 s[6:7], s[0:1], 0x20
	s_load_dword s8, s[0:1], 0x38
	s_add_i32 s5, s33, 15
	s_ashr_i32 s9, s5, 31
	v_and_b32_e32 v1, 0xcf, v0
	s_lshr_b32 s9, s9, 28
	v_add_u32_e32 v1, s18, v1
	s_add_i32 s5, s5, s9
	v_ashrrev_i32_e32 v2, 31, v1
	s_ashr_i32 s5, s5, 4
	v_lshrrev_b32_e32 v10, 28, v2
	s_add_i32 s5, s5, -1
	s_waitcnt lgkmcnt(0)
	s_mul_i32 s8, s2, s8
	s_mov_b32 s9, 0
	v_add_u32_e32 v2, v1, v10
	s_lshl_b64 s[8:9], s[8:9], 2
	v_ashrrev_i32_e32 v2, 4, v2
	v_mov_b32_e32 v11, s5
	v_cmp_gt_i32_e32 vcc, s33, v1
	s_add_u32 s6, s6, s8
	s_addc_u32 s7, s7, s9
	v_cndmask_b32_e32 v2, v11, v2, vcc
	v_ashrrev_i32_e32 v3, 31, v2
	v_lshl_add_u64 v[4:5], v[2:3], 2, s[6:7]
	v_or_b32_e32 v2, 16, v1
	v_add_u32_e32 v3, v2, v10
	v_ashrrev_i32_e32 v3, 4, v3
	v_cmp_gt_i32_e32 vcc, s33, v2
	s_load_dwordx4 s[8:11], s[0:1], 0x8
	s_nop 0
	v_cndmask_b32_e32 v2, v11, v3, vcc
	v_ashrrev_i32_e32 v3, 31, v2
	v_lshl_add_u64 v[6:7], v[2:3], 2, s[6:7]
	v_or_b32_e32 v2, 32, v1
	v_add_u32_e32 v3, v2, v10
	v_ashrrev_i32_e32 v3, 4, v3
	v_cmp_gt_i32_e32 vcc, s33, v2
	v_or_b32_e32 v1, 48, v1
	s_nop 0
	v_cndmask_b32_e32 v2, v11, v3, vcc
	v_ashrrev_i32_e32 v3, 31, v2
	v_lshl_add_u64 v[8:9], v[2:3], 2, s[6:7]
	v_add_u32_e32 v2, v1, v10
	v_ashrrev_i32_e32 v2, 4, v2
	v_cmp_gt_i32_e32 vcc, s33, v1
	s_nop 1
	v_cndmask_b32_e32 v2, v11, v2, vcc
	v_ashrrev_i32_e32 v3, 31, v2
	v_lshl_add_u64 v[10:11], v[2:3], 2, s[6:7]
	global_load_dword v3, v[4:5], off
	global_load_dword v2, v[6:7], off
	;; [unrolled: 1-line block ×4, first 2 shown]
	s_andn2_b64 vcc, exec, s[14:15]
	s_cbranch_vccnz .LBB958_8
; %bb.6:
	s_add_u32 s12, s12, s16
	s_addc_u32 s13, s13, s17
	s_load_dword s14, s[12:13], 0x0
	s_branch .LBB958_9
.LBB958_7:
	s_mov_b64 s[8:9], 0
	s_branch .LBB958_2
.LBB958_8:
	s_mov_b32 s14, s2
.LBB958_9:
	s_load_dwordx4 s[44:47], s[0:1], 0x48
	v_lshrrev_b32_e32 v61, 6, v0
	v_bfe_u32 v64, v0, 4, 2
	v_and_b32_e32 v60, 15, v0
	v_lshl_or_b32 v4, v61, 2, v64
	v_lshlrev_b32_e32 v1, 3, v60
	v_and_b32_e32 v65, 63, v0
	s_mul_i32 s48, s4, 11
	v_cmp_gt_u32_e32 vcc, 11, v4
	v_lshlrev_b32_e32 v58, 1, v1
	v_lshlrev_b32_e32 v1, 4, v0
	s_and_saveexec_b64 s[12:13], vcc
	s_cbranch_execz .LBB958_11
; %bb.10:
	s_load_dwordx2 s[16:17], s[0:1], 0x0
	s_waitcnt lgkmcnt(0)
	s_ashr_i32 s15, s44, 31
	s_mul_hi_u32 s19, s14, s44
	s_mul_i32 s15, s14, s15
	s_add_i32 s15, s19, s15
	s_mul_i32 s14, s14, s44
	s_lshl_b64 s[14:15], s[14:15], 1
	s_add_u32 s14, s16, s14
	v_add_lshl_u32 v6, v4, s48, 7
	s_addc_u32 s15, s17, s15
	v_ashrrev_i32_e32 v7, 31, v6
	v_lshl_add_u64 v[6:7], v[6:7], 1, s[14:15]
	v_mov_b32_e32 v59, 0
	v_lshl_add_u64 v[6:7], v[6:7], 0, v[58:59]
	global_load_dwordx4 v[6:9], v[6:7], off
	v_lshlrev_b32_e32 v10, 8, v0
	v_lshlrev_b32_e32 v5, 8, v60
	v_and_b32_e32 v10, 0x600, v10
	s_movk_i32 s14, 0x800
	v_and_or_b32 v5, v5, s14, v10
	v_lshlrev_b32_e32 v4, 5, v4
	v_and_b32_e32 v10, 16, v1
	v_or3_b32 v4, v5, v4, v10
	s_waitcnt vmcnt(0)
	ds_write_b128 v4, v[6:9]
.LBB958_11:
	s_or_b64 exec, exec, s[12:13]
	s_waitcnt lgkmcnt(0)
	s_mul_i32 s4, s4, s46
	s_add_u32 s8, s8, s4
	s_addc_u32 s9, s9, 0
	v_and_b32_e32 v62, 0xf0, v1
	v_mov_b32_e32 v63, 0
	v_and_b32_e32 v6, 48, v0
	v_lshl_add_u64 v[30:31], s[8:9], 0, v[62:63]
	v_lshlrev_b32_e32 v62, 4, v6
	s_waitcnt vmcnt(3)
	v_mad_i64_i32 v[4:5], s[8:9], v3, s45, v[30:31]
	v_lshl_add_u64 v[4:5], v[4:5], 0, v[62:63]
	s_load_dword s25, s[0:1], 0x98
	s_load_dwordx4 s[40:43], s[0:1], 0x80
	s_waitcnt lgkmcnt(0)
	s_barrier
	global_load_dwordx4 v[22:25], v[4:5], off
	global_load_dwordx4 v[10:13], v[4:5], off offset:1024
	s_waitcnt vmcnt(4)
	v_mad_i64_i32 v[2:3], s[8:9], v2, s45, v[30:31]
	v_lshl_add_u64 v[32:33], v[2:3], 0, v[62:63]
	global_load_dwordx4 v[2:5], v[32:33], off
	v_add_u32_e32 v7, -11, v60
	v_cmp_gt_u32_e32 vcc, 11, v60
	v_or_b32_e32 v6, s18, v6
	v_mov_b32_e32 v38, s5
	v_cndmask_b32_e32 v7, v7, v60, vcc
	v_lshlrev_b32_e32 v7, 5, v7
	v_ashrrev_i32_e32 v8, 4, v6
	v_lshl_add_u32 v7, v64, 9, v7
	v_cmp_gt_i32_e32 vcc, s33, v6
	v_or_b32_e32 v39, 64, v6
	v_or_b32_e32 v43, 0x80, v6
	;; [unrolled: 1-line block ×3, first 2 shown]
	v_cndmask_b32_e32 v40, v38, v8, vcc
	ds_read_b128 v[26:29], v7
	ds_read_b128 v[18:21], v7 offset:16
	ds_read_b128 v[14:17], v7 offset:2048
	;; [unrolled: 1-line block ×3, first 2 shown]
	s_waitcnt vmcnt(4)
	v_mad_i64_i32 v[36:37], s[12:13], v34, s45, v[30:31]
	s_waitcnt vmcnt(3)
	v_mad_i64_i32 v[34:35], s[12:13], v35, s45, v[30:31]
	global_load_dwordx4 v[30:33], v[32:33], off offset:1024
	v_ashrrev_i32_e32 v42, 4, v39
	v_cmp_gt_i32_e32 vcc, s33, v39
	v_ashrrev_i32_e32 v44, 4, v43
	v_ashrrev_i32_e32 v46, 4, v45
	v_cndmask_b32_e32 v42, v38, v42, vcc
	v_cmp_gt_i32_e32 vcc, s33, v43
	v_ashrrev_i32_e32 v41, 31, v40
	v_lshl_add_u64 v[36:37], v[36:37], 0, v[62:63]
	v_cndmask_b32_e32 v44, v38, v44, vcc
	v_cmp_gt_i32_e32 vcc, s33, v45
	v_lshl_add_u64 v[34:35], v[34:35], 0, v[62:63]
	v_ashrrev_i32_e32 v43, 31, v42
	v_cndmask_b32_e32 v38, v38, v46, vcc
	v_ashrrev_i32_e32 v45, 31, v44
	v_ashrrev_i32_e32 v39, 31, v38
	v_lshl_add_u64 v[50:51], v[40:41], 2, s[6:7]
	v_lshl_add_u64 v[52:53], v[42:43], 2, s[6:7]
	;; [unrolled: 1-line block ×4, first 2 shown]
	global_load_dwordx4 v[46:49], v[36:37], off
	global_load_dwordx4 v[42:45], v[36:37], off offset:1024
	global_load_dwordx4 v[38:41], v[34:35], off
	s_nop 0
	global_load_dwordx4 v[34:37], v[34:35], off offset:1024
	s_nop 0
	global_load_dword v69, v[50:51], off
	global_load_dword v68, v[52:53], off
	;; [unrolled: 1-line block ×4, first 2 shown]
	s_add_u32 s4, s10, s4
	v_lshl_or_b32 v59, v61, 4, v60
	s_addc_u32 s5, s11, 0
	v_lshlrev_b32_e32 v62, 4, v59
	s_load_dword s8, s[0:1], 0x1c
	s_waitcnt vmcnt(11)
	v_cvt_pk_f32_fp8_e32 v[50:51], v22
	v_cvt_pk_f32_fp8_sdwa v[52:53], v22 src0_sel:WORD_1
	v_cvt_pk_f32_fp8_e32 v[54:55], v23
	v_cvt_pk_f32_fp8_sdwa v[56:57], v23 src0_sel:WORD_1
	;; [unrolled: 2-line block ×4, first 2 shown]
	s_waitcnt vmcnt(9)
	v_cvt_pk_f32_fp8_e32 v[22:23], v2
	v_cvt_pk_f32_fp8_sdwa v[24:25], v2 src0_sel:WORD_1
	v_cvt_pkrtz_f16_f32 v50, v50, v51
	v_cvt_pkrtz_f16_f32 v51, v52, v53
	v_cvt_pk_f32_fp8_e32 v[78:79], v10
	v_cvt_pk_f32_fp8_sdwa v[80:81], v10 src0_sel:WORD_1
	v_cvt_pk_f32_fp8_e32 v[52:53], v11
	v_cvt_pk_f32_fp8_sdwa v[82:83], v11 src0_sel:WORD_1
	v_cvt_pkrtz_f16_f32 v10, v22, v23
	v_cvt_pkrtz_f16_f32 v11, v24, v25
	;; [unrolled: 1-line block ×4, first 2 shown]
	s_waitcnt lgkmcnt(0)
	v_mfma_f32_16x16x16_f16 v[22:25], v[50:51], v[26:27], 0
	v_cvt_pk_f32_fp8_e32 v[50:51], v12
	v_cvt_pk_f32_fp8_sdwa v[86:87], v12 src0_sel:WORD_1
	v_cvt_pkrtz_f16_f32 v50, v50, v51
	v_mfma_f32_16x16x16_f16 v[54:57], v[10:11], v[26:27], 0
	v_cvt_pkrtz_f16_f32 v10, v70, v71
	v_cvt_pkrtz_f16_f32 v11, v72, v73
	v_cvt_pkrtz_f16_f32 v72, v74, v75
	v_mfma_f32_16x16x16_f16 v[22:25], v[84:85], v[28:29], v[22:25]
	v_cvt_pkrtz_f16_f32 v73, v76, v77
	v_cvt_pkrtz_f16_f32 v76, v78, v79
	;; [unrolled: 1-line block ×3, first 2 shown]
	v_mfma_f32_16x16x16_f16 v[22:25], v[10:11], v[18:19], v[22:25]
	v_cvt_pk_f32_fp8_e32 v[70:71], v13
	v_cvt_pk_f32_fp8_sdwa v[74:75], v13 src0_sel:WORD_1
	v_cvt_pkrtz_f16_f32 v51, v86, v87
	v_mfma_f32_16x16x16_f16 v[10:13], v[72:73], v[20:21], v[22:25]
	s_waitcnt vmcnt(7)
	v_cvt_pk_f32_fp8_e32 v[72:73], v49
	s_nop 0
	v_cvt_pkrtz_f16_f32 v24, v52, v53
	v_cvt_pkrtz_f16_f32 v25, v82, v83
	v_mfma_f32_16x16x16_f16 v[10:13], v[76:77], v[14:15], v[10:13]
	v_cvt_pk_f32_fp8_e32 v[22:23], v3
	v_cvt_pk_f32_fp8_sdwa v[2:3], v3 src0_sel:WORD_1
	v_cvt_pkrtz_f16_f32 v52, v70, v71
	v_mfma_f32_16x16x16_f16 v[10:13], v[24:25], v[16:17], v[10:13]
	v_cvt_pkrtz_f16_f32 v53, v74, v75
	v_cvt_pk_f32_fp8_e32 v[24:25], v4
	v_cvt_pk_f32_fp8_sdwa v[70:71], v4 src0_sel:WORD_1
	v_mfma_f32_16x16x16_f16 v[10:13], v[50:51], v[6:7], v[10:13]
	v_cvt_pkrtz_f16_f32 v22, v22, v23
	v_cvt_pkrtz_f16_f32 v23, v2, v3
	s_waitcnt vmcnt(6)
	v_cvt_pk_f32_fp8_sdwa v[76:77], v44 src0_sel:WORD_1
	v_mfma_f32_16x16x16_f16 v[50:53], v[52:53], v[8:9], v[10:13]
	s_nop 2
	v_cvt_pkrtz_f16_f32 v10, v24, v25
	v_cvt_pkrtz_f16_f32 v11, v70, v71
	v_cvt_pk_f32_fp8_e32 v[12:13], v5
	v_cvt_pk_f32_fp8_sdwa v[24:25], v5 src0_sel:WORD_1
	v_mfma_f32_16x16x16_f16 v[2:5], v[22:23], v[28:29], v[54:57]
	v_cvt_pk_f32_fp8_sdwa v[22:23], v30 src0_sel:WORD_1
	v_cvt_pkrtz_f16_f32 v12, v12, v13
	v_cvt_pkrtz_f16_f32 v13, v24, v25
	v_mfma_f32_16x16x16_f16 v[2:5], v[10:11], v[18:19], v[2:5]
	v_cvt_pk_f32_fp8_e32 v[10:11], v30
	v_cvt_pk_f32_fp8_e32 v[24:25], v32
	v_lshl_add_u64 v[70:71], s[4:5], 0, v[62:63]
	v_mfma_f32_16x16x16_f16 v[2:5], v[12:13], v[20:21], v[2:5]
	v_cvt_pk_f32_fp8_e32 v[12:13], v31
	v_cvt_pkrtz_f16_f32 v10, v10, v11
	v_cvt_pkrtz_f16_f32 v11, v22, v23
	v_cvt_pk_f32_fp8_sdwa v[22:23], v31 src0_sel:WORD_1
	v_cvt_pkrtz_f16_f32 v12, v12, v13
	v_cvt_pk_f32_fp8_sdwa v[30:31], v32 src0_sel:WORD_1
	v_mfma_f32_16x16x16_f16 v[2:5], v[10:11], v[14:15], v[2:5]
	v_cvt_pkrtz_f16_f32 v13, v22, v23
	v_cvt_pkrtz_f16_f32 v10, v24, v25
	;; [unrolled: 1-line block ×3, first 2 shown]
	v_cvt_pk_f32_fp8_e32 v[22:23], v33
	v_cvt_pk_f32_fp8_sdwa v[24:25], v33 src0_sel:WORD_1
	v_mfma_f32_16x16x16_f16 v[2:5], v[12:13], v[16:17], v[2:5]
	v_or_b32_e32 v62, 0x400, v62
	v_cvt_pkrtz_f16_f32 v12, v22, v23
	v_cvt_pkrtz_f16_f32 v13, v24, v25
	v_mfma_f32_16x16x16_f16 v[2:5], v[10:11], v[6:7], v[2:5]
	v_cvt_pk_f32_fp8_e32 v[10:11], v46
	v_cvt_pk_f32_fp8_sdwa v[22:23], v46 src0_sel:WORD_1
	v_cvt_pk_f32_fp8_sdwa v[24:25], v48 src0_sel:WORD_1
	v_mfma_f32_16x16x16_f16 v[54:57], v[12:13], v[8:9], v[2:5]
	s_waitcnt vmcnt(3)
	v_mad_i64_i32 v[12:13], s[6:7], v69, s45, v[70:71]
	s_nop 0
	v_cvt_pkrtz_f16_f32 v2, v10, v11
	v_cvt_pkrtz_f16_f32 v3, v22, v23
	v_cvt_pk_f32_fp8_e32 v[4:5], v47
	v_cvt_pk_f32_fp8_sdwa v[10:11], v47 src0_sel:WORD_1
	s_waitcnt vmcnt(2)
	v_mad_i64_i32 v[46:47], s[6:7], v68, s45, v[70:71]
	v_cvt_pkrtz_f16_f32 v22, v4, v5
	v_cvt_pkrtz_f16_f32 v23, v10, v11
	v_cvt_pk_f32_fp8_e32 v[10:11], v48
	v_mfma_f32_16x16x16_f16 v[2:5], v[2:3], v[26:27], 0
	v_cvt_pk_f32_fp8_sdwa v[48:49], v49 src0_sel:WORD_1
	v_cvt_pkrtz_f16_f32 v10, v10, v11
	v_cvt_pkrtz_f16_f32 v11, v24, v25
	v_mfma_f32_16x16x16_f16 v[2:5], v[22:23], v[28:29], v[2:5]
	global_load_dwordx4 v[30:33], v[12:13], off
	global_load_dwordx4 v[22:25], v[46:47], off
	v_cvt_pkrtz_f16_f32 v12, v72, v73
	v_cvt_pkrtz_f16_f32 v13, v48, v49
	v_mfma_f32_16x16x16_f16 v[2:5], v[10:11], v[18:19], v[2:5]
	v_cvt_pk_f32_fp8_e32 v[10:11], v42
	v_cvt_pk_f32_fp8_sdwa v[46:47], v42 src0_sel:WORD_1
	s_waitcnt vmcnt(3)
	v_mad_i64_i32 v[72:73], s[6:7], v67, s45, v[70:71]
	v_mfma_f32_16x16x16_f16 v[2:5], v[12:13], v[20:21], v[2:5]
	v_cvt_pkrtz_f16_f32 v10, v10, v11
	v_cvt_pkrtz_f16_f32 v11, v46, v47
	v_cvt_pk_f32_fp8_e32 v[12:13], v43
	v_cvt_pk_f32_fp8_sdwa v[42:43], v43 src0_sel:WORD_1
	v_mfma_f32_16x16x16_f16 v[46:49], v[10:11], v[14:15], v[2:5]
	v_cvt_pkrtz_f16_f32 v74, v12, v13
	v_cvt_pkrtz_f16_f32 v75, v42, v43
	v_cvt_pk_f32_fp8_e32 v[42:43], v44
	s_waitcnt vmcnt(2)
	v_mad_i64_i32 v[70:71], s[6:7], v66, s45, v[70:71]
	global_load_dwordx4 v[10:13], v[72:73], off
	global_load_dwordx4 v[2:5], v[70:71], off
	v_cvt_pkrtz_f16_f32 v70, v42, v43
	v_cvt_pkrtz_f16_f32 v71, v76, v77
	v_cvt_pk_f32_fp8_e32 v[72:73], v45
	v_cvt_pk_f32_fp8_sdwa v[76:77], v45 src0_sel:WORD_1
	v_mfma_f32_16x16x16_f16 v[44:47], v[74:75], v[16:17], v[46:49]
	v_lshl_add_u64 v[42:43], s[4:5], 0, v[62:63]
	v_cvt_pk_f32_fp8_e32 v[62:63], v38
	v_cvt_pk_f32_fp8_sdwa v[74:75], v38 src0_sel:WORD_1
	v_cvt_pkrtz_f16_f32 v48, v72, v73
	v_cvt_pkrtz_f16_f32 v49, v76, v77
	v_mfma_f32_16x16x16_f16 v[44:47], v[70:71], v[6:7], v[44:47]
	s_load_dword s4, s[40:41], 0x0
	s_mov_b32 s40, 0xff7fffff
	v_mfma_f32_16x16x16_f16 v[70:73], v[48:49], v[8:9], v[44:47]
	s_nop 3
	v_cvt_pk_f32_fp8_e32 v[44:45], v39
	v_cvt_pkrtz_f16_f32 v46, v62, v63
	v_cvt_pkrtz_f16_f32 v47, v74, v75
	v_cvt_pk_f32_fp8_sdwa v[38:39], v39 src0_sel:WORD_1
	v_cvt_pkrtz_f16_f32 v48, v44, v45
	v_cvt_pk_f32_fp8_e32 v[62:63], v40
	v_cvt_pk_f32_fp8_sdwa v[74:75], v40 src0_sel:WORD_1
	v_cvt_pkrtz_f16_f32 v49, v38, v39
	v_mfma_f32_16x16x16_f16 v[44:47], v[46:47], v[26:27], 0
	v_cvt_pkrtz_f16_f32 v38, v62, v63
	v_cvt_pkrtz_f16_f32 v39, v74, v75
	v_cvt_pk_f32_fp8_e32 v[62:63], v41
	v_cvt_pk_f32_fp8_sdwa v[74:75], v41 src0_sel:WORD_1
	v_mov_b32_e32 v26, s8
	s_waitcnt lgkmcnt(0)
	v_mul_f32_e32 v76, s4, v26
	v_mfma_f32_16x16x16_f16 v[26:29], v[48:49], v[28:29], v[44:47]
	v_cvt_pk_f32_fp8_sdwa v[48:49], v37 src0_sel:WORD_1
	v_pk_mul_f32 v[40:41], v[76:77], v[52:53] op_sel_hi:[0,1]
	v_pk_mul_f32 v[52:53], v[76:77], v[54:55] op_sel_hi:[0,1]
	v_cvt_pkrtz_f16_f32 v46, v62, v63
	v_cvt_pkrtz_f16_f32 v47, v74, v75
	v_mfma_f32_16x16x16_f16 v[26:29], v[38:39], v[18:19], v[26:29]
	v_cvt_pk_f32_fp8_e32 v[18:19], v34
	v_cvt_pk_f32_fp8_sdwa v[38:39], v34 src0_sel:WORD_1
	v_pk_mul_f32 v[44:45], v[76:77], v[50:51] op_sel_hi:[0,1]
	v_mfma_f32_16x16x16_f16 v[26:29], v[46:47], v[20:21], v[26:29]
	v_cvt_pkrtz_f16_f32 v20, v18, v19
	v_cvt_pkrtz_f16_f32 v21, v38, v39
	v_cvt_pk_f32_fp8_e32 v[38:39], v35
	v_cvt_pk_f32_fp8_sdwa v[34:35], v35 src0_sel:WORD_1
	v_mfma_f32_16x16x16_f16 v[26:29], v[20:21], v[14:15], v[26:29]
	v_cvt_pkrtz_f16_f32 v38, v38, v39
	v_cvt_pkrtz_f16_f32 v39, v34, v35
	v_cvt_pk_f32_fp8_e32 v[14:15], v36
	v_cvt_pk_f32_fp8_sdwa v[20:21], v36 src0_sel:WORD_1
	v_pk_mul_f32 v[50:51], v[76:77], v[70:71] op_sel_hi:[0,1]
	v_mad_i64_i32 v[18:19], s[4:5], v69, s45, v[42:43]
	v_cvt_pkrtz_f16_f32 v46, v14, v15
	v_cvt_pkrtz_f16_f32 v47, v20, v21
	v_cvt_pk_f32_fp8_e32 v[20:21], v37
	v_mfma_f32_16x16x16_f16 v[14:17], v[38:39], v[16:17], v[26:29]
	v_pk_mul_f32 v[36:37], v[76:77], v[56:57] op_sel_hi:[0,1]
	v_mad_i64_i32 v[34:35], s[4:5], v68, s45, v[42:43]
	v_cvt_pkrtz_f16_f32 v20, v20, v21
	v_cvt_pkrtz_f16_f32 v21, v48, v49
	v_mfma_f32_16x16x16_f16 v[14:17], v[46:47], v[6:7], v[14:17]
	v_pk_mul_f32 v[46:47], v[76:77], v[72:73] op_sel_hi:[0,1]
	v_mfma_f32_16x16x16_f16 v[6:9], v[20:21], v[8:9], v[14:17]
	global_load_dwordx4 v[26:29], v[18:19], off
	s_nop 0
	global_load_dwordx4 v[18:21], v[34:35], off
	s_nop 3
	v_pk_mul_f32 v[48:49], v[76:77], v[6:7] op_sel_hi:[0,1]
	v_and_b32_e32 v6, 0xc0, v0
	v_add_u32_e32 v6, s18, v6
	v_lshl_or_b32 v6, v64, 2, v6
	v_pk_mul_f32 v[38:39], v[76:77], v[8:9] op_sel_hi:[0,1]
	v_or_b32_e32 v9, 1, v6
	v_mov_b32_e32 v7, 0xff7fffff
	v_cmp_gt_i32_e64 s[26:27], s33, v6
	v_cmp_gt_i32_e64 s[28:29], s33, v9
	v_or_b32_e32 v14, 3, v6
	v_cndmask_b32_e64 v8, v7, v44, s[26:27]
	v_cndmask_b32_e64 v9, v7, v45, s[28:29]
	v_max3_f32 v8, v8, s40, v9
	v_or_b32_e32 v9, 2, v6
	v_cmp_gt_i32_e64 s[30:31], s33, v9
	v_cmp_gt_i32_e64 s[34:35], s33, v14
	s_nop 0
	v_cndmask_b32_e64 v9, v7, v40, s[30:31]
	v_cndmask_b32_e64 v14, v7, v41, s[34:35]
	v_max3_f32 v8, v8, v9, v14
	v_or_b32_e32 v9, 16, v6
	v_or_b32_e32 v14, 17, v6
	v_cmp_gt_i32_e64 s[18:19], s33, v9
	v_cmp_gt_i32_e64 s[20:21], s33, v14
	s_nop 0
	v_cndmask_b32_e64 v9, v7, v52, s[18:19]
	v_cndmask_b32_e64 v14, v7, v53, s[20:21]
	v_max3_f32 v8, v8, v9, v14
	v_or_b32_e32 v9, 18, v6
	;; [unrolled: 8-line block ×5, first 2 shown]
	v_or_b32_e32 v14, 49, v6
	v_cmp_gt_i32_e32 vcc, s33, v9
	v_cmp_gt_i32_e64 s[4:5], s33, v14
	s_nop 0
	v_cndmask_b32_e32 v9, v7, v48, vcc
	v_cndmask_b32_e64 v14, v7, v49, s[4:5]
	v_max3_f32 v8, v8, v9, v14
	v_or_b32_e32 v9, 50, v6
	v_or_b32_e32 v6, 51, v6
	v_cmp_gt_i32_e64 s[6:7], s33, v9
	v_cmp_gt_i32_e64 s[8:9], s33, v6
	s_nop 0
	v_cndmask_b32_e64 v9, v7, v38, s[6:7]
	v_cndmask_b32_e64 v6, v7, v39, s[8:9]
	v_max3_f32 v8, v8, v9, v6
	v_mbcnt_lo_u32_b32 v6, -1, 0
	v_mbcnt_hi_u32_b32 v9, -1, v6
	v_and_b32_e32 v6, 64, v9
	v_add_u32_e32 v14, 64, v6
	v_xor_b32_e32 v6, 32, v9
	v_cmp_lt_i32_e64 s[38:39], v6, v14
	s_nop 1
	v_cndmask_b32_e64 v6, v9, v6, s[38:39]
	v_lshlrev_b32_e32 v55, 2, v6
	ds_bpermute_b32 v15, v55, v8
	v_mad_i64_i32 v[6:7], s[38:39], v67, s45, v[42:43]
	s_waitcnt lgkmcnt(0)
	v_max_f32_e32 v15, v15, v15
	v_max_f32_e32 v34, v8, v15
	v_xor_b32_e32 v8, 16, v9
	v_cmp_lt_i32_e64 s[38:39], v8, v14
	s_nop 1
	v_cndmask_b32_e64 v8, v9, v8, s[38:39]
	v_lshlrev_b32_e32 v56, 2, v8
	v_mad_i64_i32 v[8:9], s[38:39], v66, s45, v[42:43]
	global_load_dwordx4 v[14:17], v[6:7], off
	s_nop 0
	global_load_dwordx4 v[6:9], v[8:9], off
	ds_bpermute_b32 v35, v56, v34
	s_waitcnt lgkmcnt(0)
	s_barrier
	v_max_f32_e32 v35, v35, v35
	v_max_f32_e32 v54, v34, v35
	v_sub_f32_e32 v42, v52, v54
	v_mul_f32_e32 v42, 0x3fb8aa3b, v42
	v_exp_f32_e32 v42, v42
	v_sub_f32_e32 v36, v36, v54
	v_sub_f32_e32 v34, v44, v54
	v_mul_f32_e32 v36, 0x3fb8aa3b, v36
	v_mul_f32_e32 v34, 0x3fb8aa3b, v34
	v_sub_f32_e32 v35, v45, v54
	v_sub_f32_e32 v43, v53, v54
	v_exp_f32_e32 v44, v36
	v_sub_f32_e32 v36, v37, v54
	v_sub_f32_e32 v48, v48, v54
	;; [unrolled: 1-line block ×3, first 2 shown]
	v_exp_f32_e32 v34, v34
	v_mul_f32_e32 v35, 0x3fb8aa3b, v35
	v_sub_f32_e32 v40, v40, v54
	v_mul_f32_e32 v43, 0x3fb8aa3b, v43
	v_mul_f32_e32 v36, 0x3fb8aa3b, v36
	;; [unrolled: 1-line block ×4, first 2 shown]
	v_exp_f32_e32 v35, v35
	v_mul_f32_e32 v40, 0x3fb8aa3b, v40
	v_sub_f32_e32 v41, v41, v54
	v_exp_f32_e32 v43, v43
	v_exp_f32_e32 v45, v36
	v_cndmask_b32_e64 v36, 0, v42, s[18:19]
	v_sub_f32_e32 v42, v50, v54
	v_exp_f32_e32 v48, v48
	v_exp_f32_e32 v50, v38
	;; [unrolled: 1-line block ×3, first 2 shown]
	v_mul_f32_e32 v41, 0x3fb8aa3b, v41
	v_exp_f32_e32 v41, v41
	v_sub_f32_e32 v38, v39, v54
	v_cndmask_b32_e64 v34, 0, v34, s[26:27]
	v_mul_f32_e32 v38, 0x3fb8aa3b, v38
	v_cndmask_b32_e64 v35, 0, v35, s[28:29]
	v_cndmask_b32_e64 v37, 0, v43, s[20:21]
	v_sub_f32_e32 v43, v51, v54
	v_exp_f32_e32 v51, v38
	v_cndmask_b32_e32 v38, 0, v48, vcc
	v_cndmask_b32_e64 v48, 0, v50, s[6:7]
	v_add_f32_e32 v50, 0, v34
	v_cndmask_b32_e64 v40, 0, v40, s[30:31]
	v_add_f32_e32 v50, v50, v35
	v_cndmask_b32_e64 v41, 0, v41, s[34:35]
	v_mul_f32_e32 v42, 0x3fb8aa3b, v42
	v_add_f32_e32 v50, v50, v40
	v_exp_f32_e32 v42, v42
	v_mul_f32_e32 v43, 0x3fb8aa3b, v43
	v_sub_f32_e32 v46, v46, v54
	v_add_f32_e32 v50, v50, v41
	v_exp_f32_e32 v43, v43
	v_mul_f32_e32 v46, 0x3fb8aa3b, v46
	v_sub_f32_e32 v47, v47, v54
	v_add_f32_e32 v50, v50, v36
	v_cndmask_b32_e64 v44, 0, v44, s[22:23]
	v_exp_f32_e32 v46, v46
	v_mul_f32_e32 v47, 0x3fb8aa3b, v47
	v_add_f32_e32 v50, v50, v37
	v_cndmask_b32_e64 v45, 0, v45, s[36:37]
	v_exp_f32_e32 v47, v47
	v_sub_f32_e32 v49, v49, v54
	v_add_f32_e32 v50, v50, v44
	v_cndmask_b32_e64 v42, 0, v42, s[10:11]
	v_mul_f32_e32 v49, 0x3fb8aa3b, v49
	v_add_f32_e32 v50, v50, v45
	v_cndmask_b32_e64 v43, 0, v43, s[12:13]
	v_exp_f32_e32 v49, v49
	v_add_f32_e32 v50, v50, v42
	v_cndmask_b32_e64 v46, 0, v46, s[14:15]
	v_add_f32_e32 v50, v50, v43
	v_cndmask_b32_e64 v47, 0, v47, s[16:17]
	v_add_f32_e32 v50, v50, v46
	v_add_f32_e32 v50, v50, v47
	v_cndmask_b32_e64 v39, 0, v49, s[4:5]
	v_add_f32_e32 v50, v50, v38
	;; [unrolled: 3-line block ×3, first 2 shown]
	v_add_f32_e32 v50, v50, v49
	ds_bpermute_b32 v51, v55, v50
	v_cmp_gt_u32_e32 vcc, 16, v65
	s_waitcnt lgkmcnt(0)
	v_add_f32_e32 v50, v50, v51
	ds_bpermute_b32 v51, v56, v50
	s_and_saveexec_b64 s[4:5], vcc
	s_cbranch_execz .LBB958_13
; %bb.12:
	s_waitcnt lgkmcnt(0)
	v_add_f32_e32 v50, v50, v51
	v_lshlrev_b32_e32 v51, 2, v59
	ds_write2st64_b32 v51, v54, v50 offset1:1
.LBB958_13:
	s_or_b64 exec, exec, s[4:5]
	s_waitcnt lgkmcnt(0)
	v_lshlrev_b32_e32 v51, 2, v60
	s_load_dword s6, s[0:1], 0x94
	s_waitcnt lgkmcnt(0)
	s_barrier
	ds_read2_b32 v[52:53], v51 offset1:16
	ds_read2_b32 v[54:55], v51 offset0:32 offset1:48
	ds_read2_b32 v[56:57], v51 offset0:64 offset1:80
	s_mul_i32 s7, s25, 11
	s_waitcnt lgkmcnt(2)
	v_max3_f32 v50, v52, s40, v53
	s_waitcnt lgkmcnt(1)
	v_max3_f32 v50, v50, v54, v55
	v_sub_f32_e32 v52, v52, v50
	v_mul_f32_e32 v52, 0x3fb8aa3b, v52
	v_exp_f32_e32 v59, v52
	v_sub_f32_e32 v52, v53, v50
	v_mul_f32_e32 v52, 0x3fb8aa3b, v52
	v_exp_f32_e32 v62, v52
	;; [unrolled: 3-line block ×3, first 2 shown]
	ds_read2_b32 v[52:53], v51 offset0:96 offset1:112
	v_sub_f32_e32 v51, v55, v50
	v_mul_f32_e32 v51, 0x3fb8aa3b, v51
	v_exp_f32_e32 v55, v51
	s_waitcnt lgkmcnt(1)
	v_fma_f32 v51, v59, v56, 0
	v_fmac_f32_e32 v51, v62, v57
	s_waitcnt lgkmcnt(0)
	v_fmac_f32_e32 v51, v54, v52
	v_fmac_f32_e32 v51, v55, v53
	v_add_f32_e32 v52, 0x358637bd, v51
	v_div_scale_f32 v53, s[4:5], v52, v52, 1.0
	v_rcp_f32_e32 v56, v53
	s_barrier
	v_fma_f32 v57, -v53, v56, 1.0
	v_fmac_f32_e32 v56, v57, v56
	v_div_scale_f32 v57, vcc, 1.0, v52, 1.0
	v_mul_f32_e32 v63, v57, v56
	v_fma_f32 v65, -v53, v63, v57
	v_fmac_f32_e32 v63, v65, v56
	v_fma_f32 v53, -v53, v63, v57
	v_div_fmas_f32 v53, v53, v56, v63
	v_cmp_eq_u32_e32 vcc, 1, v61
	v_div_fixup_f32 v52, v53, v52, 1.0
	s_nop 0
	v_cndmask_b32_e32 v53, v59, v62, vcc
	v_cmp_eq_u32_e32 vcc, 2, v61
	s_nop 1
	v_cndmask_b32_e32 v53, v53, v54, vcc
	v_cmp_eq_u32_e32 vcc, 3, v61
	s_nop 1
	v_cndmask_b32_e32 v53, v53, v55, vcc
	v_mul_f32_e32 v52, v53, v52
	v_pk_mul_f32 v[40:41], v[52:53], v[40:41] op_sel_hi:[0,1]
	v_pk_mul_f32 v[34:35], v[52:53], v[34:35] op_sel_hi:[0,1]
	v_cvt_f16_f32_e32 v53, v40
	v_cvt_f16_f32_e32 v34, v34
	;; [unrolled: 1-line block ×4, first 2 shown]
	v_pk_mul_f32 v[44:45], v[52:53], v[44:45] op_sel_hi:[0,1]
	v_pk_mul_f32 v[36:37], v[52:53], v[36:37] op_sel_hi:[0,1]
	v_cvt_f16_f32_e32 v36, v36
	v_cvt_f16_f32_e32 v37, v37
	v_cvt_f16_f32_e32 v44, v44
	v_cvt_f16_f32_e32 v45, v45
	v_pack_b32_f16 v40, v34, v35
	v_pack_b32_f16 v41, v53, v41
	v_lshlrev_b32_e32 v35, 3, v64
	v_lshlrev_b32_e32 v34, 5, v60
	v_lshlrev_b32_e32 v53, 11, v61
	v_or3_b32 v54, v53, v34, v35
	v_pack_b32_f16 v36, v36, v37
	v_pack_b32_f16 v37, v44, v45
	ds_write2st64_b64 v54, v[40:41], v[36:37] offset1:1
	v_pk_mul_f32 v[36:37], v[52:53], v[46:47] op_sel_hi:[0,1]
	v_pk_mul_f32 v[40:41], v[52:53], v[42:43] op_sel_hi:[0,1]
	v_cvt_f16_f32_e32 v35, v40
	v_cvt_f16_f32_e32 v40, v41
	;; [unrolled: 1-line block ×4, first 2 shown]
	v_pk_mul_f32 v[36:37], v[52:53], v[48:49] op_sel_hi:[0,1]
	v_pk_mul_f32 v[38:39], v[52:53], v[38:39] op_sel_hi:[0,1]
	v_cvt_f16_f32_e32 v38, v38
	v_cvt_f16_f32_e32 v39, v39
	;; [unrolled: 1-line block ×4, first 2 shown]
	v_pack_b32_f16 v36, v35, v40
	v_pack_b32_f16 v37, v41, v42
	;; [unrolled: 1-line block ×4, first 2 shown]
	v_cmp_gt_u32_e32 vcc, 11, v0
	ds_write2st64_b64 v54, v[36:37], v[38:39] offset0:2 offset1:3
	s_and_saveexec_b64 s[4:5], vcc
	s_cbranch_execz .LBB958_15
; %bb.14:
	s_mov_b32 s49, 0
	v_mov_b32_e32 v61, 0
	v_lshl_add_u64 v[36:37], s[48:49], 0, v[60:61]
	v_mov_b32_e32 v35, s7
	v_mad_u64_u32 v[36:37], s[12:13], s2, v35, v[36:37]
	s_mul_i32 s3, s3, s7
	v_mov_b32_e32 v38, s24
	v_mov_b32_e32 v39, v61
	s_load_dwordx4 s[8:11], s[0:1], 0x58
	v_add_u32_e32 v35, s3, v37
	v_mad_u64_u32 v[36:37], s[12:13], v36, s6, v[38:39]
	v_mov_b32_e32 v38, v37
	v_mad_u64_u32 v[38:39], s[12:13], v35, s6, v[38:39]
	v_mov_b32_e32 v37, v38
	v_lshlrev_b64 v[36:37], 2, v[36:37]
	s_waitcnt lgkmcnt(0)
	v_lshl_add_u64 v[38:39], s[10:11], 0, v[36:37]
	v_lshl_add_u64 v[36:37], s[8:9], 0, v[36:37]
	global_store_dword v[38:39], v50, off
	global_store_dword v[36:37], v51, off
.LBB958_15:
	s_or_b64 exec, exec, s[4:5]
	s_waitcnt vmcnt(7)
	v_cvt_pk_f32_fp8_e32 v[36:37], v30
	v_lshl_or_b32 v50, v64, 9, v34
	v_cvt_pk_f32_fp8_sdwa v[34:35], v30 src0_sel:WORD_1
	s_waitcnt lgkmcnt(0)
	s_barrier
	v_cvt_pk_f32_fp8_e32 v[38:39], v31
	v_cvt_pkrtz_f16_f32 v30, v36, v37
	v_cvt_pk_f32_fp8_sdwa v[40:41], v31 src0_sel:WORD_1
	v_cvt_pkrtz_f16_f32 v31, v34, v35
	ds_read_b128 v[34:37], v50
	v_cvt_pkrtz_f16_f32 v46, v38, v39
	v_cvt_pkrtz_f16_f32 v47, v40, v41
	ds_read_b128 v[38:41], v50 offset:16
	v_cvt_pk_f32_fp8_e32 v[48:49], v32
	v_cvt_pk_f32_fp8_sdwa v[52:53], v32 src0_sel:WORD_1
	s_waitcnt lgkmcnt(1)
	v_mfma_f32_16x16x16_f16 v[42:45], v[30:31], v[34:35], 0
	s_waitcnt vmcnt(6)
	v_cvt_pk_f32_fp8_e32 v[56:57], v24
	v_cvt_pkrtz_f16_f32 v30, v48, v49
	v_cvt_pkrtz_f16_f32 v31, v52, v53
	v_cvt_pk_f32_fp8_e32 v[48:49], v33
	v_mfma_f32_16x16x16_f16 v[42:45], v[46:47], v[36:37], v[42:45]
	v_cvt_pk_f32_fp8_sdwa v[46:47], v33 src0_sel:WORD_1
	v_cvt_pk_f32_fp8_sdwa v[62:63], v24 src0_sel:WORD_1
	v_cvt_pkrtz_f16_f32 v48, v48, v49
	s_waitcnt lgkmcnt(0)
	v_mfma_f32_16x16x16_f16 v[30:33], v[30:31], v[38:39], v[42:45]
	v_cvt_pkrtz_f16_f32 v49, v46, v47
	s_waitcnt vmcnt(4)
	v_cvt_pk_f32_fp8_sdwa v[70:71], v4 src0_sel:WORD_1
	s_waitcnt vmcnt(3)
	v_cvt_pk_f32_fp8_sdwa v[72:73], v28 src0_sel:WORD_1
	v_cvt_pk_f32_fp8_e32 v[42:43], v22
	v_mfma_f32_16x16x16_f16 v[46:49], v[48:49], v[40:41], v[30:33]
	s_load_dword s4, s[42:43], 0x0
	s_mov_b32 s3, 0
	s_nop 0
	v_cvt_pk_f32_fp8_sdwa v[30:31], v22 src0_sel:WORD_1
	v_cvt_pk_f32_fp8_e32 v[32:33], v23
	v_cvt_pkrtz_f16_f32 v22, v42, v43
	v_cvt_pk_f32_fp8_sdwa v[42:43], v23 src0_sel:WORD_1
	v_cvt_pkrtz_f16_f32 v23, v30, v31
	v_cvt_pkrtz_f16_f32 v52, v32, v33
	ds_read_b128 v[30:33], v50 offset:2048
	v_cvt_pkrtz_f16_f32 v53, v42, v43
	ds_read_b128 v[42:45], v50 offset:2064
	s_waitcnt lgkmcnt(0)
	v_mfma_f32_16x16x16_f16 v[46:49], v[22:23], v[30:31], v[46:49]
	v_cvt_pkrtz_f16_f32 v22, v56, v57
	v_cvt_pkrtz_f16_f32 v23, v62, v63
	v_cvt_pk_f32_fp8_e32 v[56:57], v25
	v_mfma_f32_16x16x16_f16 v[46:49], v[52:53], v[32:33], v[46:49]
	v_cvt_pk_f32_fp8_sdwa v[52:53], v25 src0_sel:WORD_1
	v_cvt_pk_f32_fp8_sdwa v[62:63], v12 src0_sel:WORD_1
	v_cvt_pkrtz_f16_f32 v56, v56, v57
	v_mfma_f32_16x16x16_f16 v[22:25], v[22:23], v[42:43], v[46:49]
	v_cvt_pkrtz_f16_f32 v57, v52, v53
	v_cmp_gt_u32_e32 vcc, 64, v0
	s_nop 0
	v_cvt_pk_f32_fp8_e32 v[46:47], v10
	v_mfma_f32_16x16x16_f16 v[66:69], v[56:57], v[44:45], v[22:25]
	v_cvt_pk_f32_fp8_e32 v[56:57], v12
	s_nop 1
	v_cvt_pk_f32_fp8_sdwa v[22:23], v10 src0_sel:WORD_1
	v_cvt_pk_f32_fp8_e32 v[24:25], v11
	v_cvt_pkrtz_f16_f32 v10, v46, v47
	v_cvt_pk_f32_fp8_sdwa v[46:47], v11 src0_sel:WORD_1
	v_cvt_pkrtz_f16_f32 v11, v22, v23
	v_cvt_pkrtz_f16_f32 v52, v24, v25
	ds_read_b128 v[22:25], v50 offset:4096
	v_cvt_pkrtz_f16_f32 v53, v46, v47
	ds_read_b128 v[46:49], v50 offset:4112
	s_waitcnt lgkmcnt(1)
	v_mfma_f32_16x16x16_f16 v[66:69], v[10:11], v[22:23], v[66:69]
	v_cvt_pkrtz_f16_f32 v10, v56, v57
	v_cvt_pkrtz_f16_f32 v11, v62, v63
	v_cvt_pk_f32_fp8_e32 v[56:57], v13
	v_mfma_f32_16x16x16_f16 v[66:69], v[52:53], v[24:25], v[66:69]
	v_cvt_pk_f32_fp8_sdwa v[52:53], v13 src0_sel:WORD_1
	v_cvt_pk_f32_fp8_e32 v[62:63], v4
	v_cvt_pkrtz_f16_f32 v56, v56, v57
	s_waitcnt lgkmcnt(0)
	v_mfma_f32_16x16x16_f16 v[10:13], v[10:11], v[46:47], v[66:69]
	v_cvt_pkrtz_f16_f32 v57, v52, v53
	v_cvt_pk_f32_fp8_e32 v[52:53], v2
	s_nop 0
	v_mfma_f32_16x16x16_f16 v[66:69], v[56:57], v[48:49], v[10:13]
	s_nop 2
	v_cvt_pk_f32_fp8_sdwa v[10:11], v2 src0_sel:WORD_1
	v_cvt_pk_f32_fp8_e32 v[12:13], v3
	v_cvt_pkrtz_f16_f32 v2, v52, v53
	v_cvt_pk_f32_fp8_sdwa v[52:53], v3 src0_sel:WORD_1
	v_cvt_pkrtz_f16_f32 v3, v10, v11
	v_cvt_pkrtz_f16_f32 v56, v12, v13
	ds_read_b128 v[10:13], v50 offset:6144
	v_cvt_pkrtz_f16_f32 v57, v52, v53
	s_waitcnt lgkmcnt(0)
	v_mfma_f32_16x16x16_f16 v[66:69], v[2:3], v[10:11], v[66:69]
	ds_read_b128 v[50:53], v50 offset:6160
	v_cvt_pkrtz_f16_f32 v2, v62, v63
	v_cvt_pkrtz_f16_f32 v3, v70, v71
	v_cvt_pk_f32_fp8_e32 v[62:63], v5
	v_mfma_f32_16x16x16_f16 v[66:69], v[56:57], v[12:13], v[66:69]
	v_cvt_pk_f32_fp8_sdwa v[56:57], v5 src0_sel:WORD_1
	v_cvt_pk_f32_fp8_e32 v[70:71], v28
	v_cvt_pkrtz_f16_f32 v62, v62, v63
	s_waitcnt lgkmcnt(0)
	v_mfma_f32_16x16x16_f16 v[2:5], v[2:3], v[50:51], v[66:69]
	v_cvt_pkrtz_f16_f32 v63, v56, v57
	v_cvt_pk_f32_fp8_e32 v[56:57], v26
	s_nop 0
	v_cvt_pk_f32_fp8_sdwa v[66:67], v26 src0_sel:WORD_1
	v_mfma_f32_16x16x16_f16 v[2:5], v[62:63], v[52:53], v[2:5]
	v_cvt_pk_f32_fp8_e32 v[62:63], v27
	v_cvt_pkrtz_f16_f32 v56, v56, v57
	v_cvt_pkrtz_f16_f32 v57, v66, v67
	v_cvt_pk_f32_fp8_sdwa v[26:27], v27 src0_sel:WORD_1
	v_cvt_pkrtz_f16_f32 v62, v62, v63
	v_mfma_f32_16x16x16_f16 v[66:69], v[56:57], v[34:35], 0
	v_cvt_pkrtz_f16_f32 v63, v26, v27
	v_cvt_pkrtz_f16_f32 v26, v70, v71
	;; [unrolled: 1-line block ×3, first 2 shown]
	v_cvt_pk_f32_fp8_e32 v[56:57], v29
	v_mfma_f32_16x16x16_f16 v[34:37], v[62:63], v[36:37], v[66:69]
	v_cvt_pk_f32_fp8_sdwa v[62:63], v29 src0_sel:WORD_1
	v_cvt_pkrtz_f16_f32 v56, v56, v57
	s_barrier
	v_mfma_f32_16x16x16_f16 v[26:29], v[26:27], v[38:39], v[34:37]
	v_cvt_pkrtz_f16_f32 v57, v62, v63
	s_waitcnt vmcnt(2)
	v_cvt_pk_f32_fp8_e32 v[38:39], v19
	v_cvt_pk_f32_fp8_e32 v[34:35], v18
	v_cvt_pk_f32_fp8_sdwa v[36:37], v18 src0_sel:WORD_1
	v_cvt_pk_f32_fp8_sdwa v[18:19], v19 src0_sel:WORD_1
	v_mfma_f32_16x16x16_f16 v[26:29], v[56:57], v[40:41], v[26:29]
	v_cvt_pkrtz_f16_f32 v34, v34, v35
	v_cvt_pkrtz_f16_f32 v35, v36, v37
	;; [unrolled: 1-line block ×3, first 2 shown]
	v_cvt_pk_f32_fp8_e32 v[38:39], v20
	v_cvt_pk_f32_fp8_sdwa v[40:41], v20 src0_sel:WORD_1
	v_cvt_pkrtz_f16_f32 v37, v18, v19
	v_mfma_f32_16x16x16_f16 v[26:29], v[34:35], v[30:31], v[26:29]
	v_cvt_pkrtz_f16_f32 v30, v38, v39
	v_cvt_pkrtz_f16_f32 v31, v40, v41
	v_cvt_pk_f32_fp8_e32 v[34:35], v21
	v_cvt_pk_f32_fp8_sdwa v[38:39], v21 src0_sel:WORD_1
	v_mfma_f32_16x16x16_f16 v[18:21], v[36:37], v[32:33], v[26:29]
	s_waitcnt vmcnt(1)
	v_cvt_pk_f32_fp8_sdwa v[32:33], v16 src0_sel:WORD_1
	s_nop 0
	v_cvt_pkrtz_f16_f32 v26, v34, v35
	v_cvt_pkrtz_f16_f32 v27, v38, v39
	v_mfma_f32_16x16x16_f16 v[18:21], v[30:31], v[42:43], v[18:21]
	v_cvt_pk_f32_fp8_e32 v[28:29], v14
	v_cvt_pk_f32_fp8_sdwa v[30:31], v14 src0_sel:WORD_1
	v_cvt_pkrtz_f16_f32 v28, v28, v29
	v_mfma_f32_16x16x16_f16 v[18:21], v[26:27], v[44:45], v[18:21]
	v_cvt_pk_f32_fp8_e32 v[26:27], v15
	v_cvt_pkrtz_f16_f32 v29, v30, v31
	v_cvt_pk_f32_fp8_sdwa v[14:15], v15 src0_sel:WORD_1
	v_cvt_pk_f32_fp8_e32 v[30:31], v16
	v_cvt_pkrtz_f16_f32 v26, v26, v27
	v_mfma_f32_16x16x16_f16 v[18:21], v[28:29], v[22:23], v[18:21]
	v_cvt_pkrtz_f16_f32 v27, v14, v15
	v_cvt_pkrtz_f16_f32 v22, v30, v31
	;; [unrolled: 1-line block ×3, first 2 shown]
	v_cvt_pk_f32_fp8_e32 v[28:29], v17
	v_cvt_pk_f32_fp8_sdwa v[30:31], v17 src0_sel:WORD_1
	v_mfma_f32_16x16x16_f16 v[14:17], v[26:27], v[24:25], v[18:21]
	s_waitcnt vmcnt(0)
	v_cvt_pk_f32_fp8_sdwa v[24:25], v6 src0_sel:WORD_1
	s_nop 0
	v_pk_mul_f32 v[18:19], v[4:5], s[4:5] op_sel_hi:[1,0]
	v_cvt_pkrtz_f16_f32 v4, v28, v29
	v_cvt_pkrtz_f16_f32 v5, v30, v31
	v_mfma_f32_16x16x16_f16 v[14:17], v[22:23], v[46:47], v[14:17]
	v_cvt_pk_f32_fp8_e32 v[22:23], v6
	v_pk_mul_f32 v[20:21], v[2:3], s[4:5] op_sel_hi:[1,0]
	v_mfma_f32_16x16x16_f16 v[2:5], v[4:5], v[48:49], v[14:17]
	s_nop 3
	v_cvt_pk_f32_fp8_e32 v[14:15], v7
	v_cvt_pkrtz_f16_f32 v16, v22, v23
	v_cvt_pkrtz_f16_f32 v17, v24, v25
	v_cvt_pk_f32_fp8_sdwa v[6:7], v7 src0_sel:WORD_1
	v_cvt_pkrtz_f16_f32 v14, v14, v15
	v_cvt_pk_f32_fp8_e32 v[22:23], v8
	v_cvt_pk_f32_fp8_sdwa v[24:25], v8 src0_sel:WORD_1
	v_cvt_pkrtz_f16_f32 v15, v6, v7
	v_mfma_f32_16x16x16_f16 v[2:5], v[16:17], v[10:11], v[2:5]
	v_cvt_pkrtz_f16_f32 v6, v22, v23
	v_cvt_pkrtz_f16_f32 v7, v24, v25
	v_cvt_pk_f32_fp8_e32 v[10:11], v9
	v_cvt_pk_f32_fp8_sdwa v[8:9], v9 src0_sel:WORD_1
	v_mfma_f32_16x16x16_f16 v[2:5], v[14:15], v[12:13], v[2:5]
	v_cvt_f16_f32_e32 v12, v20
	v_cvt_pkrtz_f16_f32 v10, v10, v11
	v_cvt_pkrtz_f16_f32 v11, v8, v9
	v_mfma_f32_16x16x16_f16 v[2:5], v[6:7], v[50:51], v[2:5]
	v_cvt_f16_f32_e32 v6, v21
	v_cvt_f16_f32_e32 v7, v18
	v_cvt_f16_f32_e32 v8, v19
	v_mfma_f32_16x16x16_f16 v[2:5], v[10:11], v[52:53], v[2:5]
	s_nop 6
	v_pk_mul_f32 v[4:5], v[4:5], s[4:5] op_sel_hi:[1,0]
	v_pk_mul_f32 v[2:3], v[2:3], s[4:5] op_sel_hi:[1,0]
	v_cvt_f16_f32_e32 v11, v4
	v_cvt_f16_f32_e32 v9, v2
	;; [unrolled: 1-line block ×4, first 2 shown]
	v_pack_b32_f16 v2, v12, v6
	v_pack_b32_f16 v3, v7, v8
	;; [unrolled: 1-line block ×4, first 2 shown]
	ds_write2st64_b64 v54, v[2:3], v[4:5] offset1:1
	s_waitcnt lgkmcnt(0)
	s_barrier
	s_and_saveexec_b64 s[4:5], vcc
	s_cbranch_execz .LBB958_18
; %bb.16:
	s_load_dwordx2 s[4:5], s[0:1], 0x68
	s_lshl_b32 s0, s6, 7
	s_mul_i32 s1, s7, s2
	v_lshlrev_b32_e32 v3, 6, v60
	s_mul_hi_u32 s7, s1, s0
	s_mul_i32 s6, s1, s0
	v_lshl_or_b32 v0, v0, 10, v3
	s_lshl_b64 s[6:7], s[6:7], 1
	v_lshlrev_b32_e32 v2, 5, v64
	v_and_b32_e32 v1, 16, v1
	v_and_b32_e32 v0, 0x1a00, v0
	s_waitcnt lgkmcnt(0)
	s_add_u32 s1, s4, s6
	v_or3_b32 v2, v0, v2, v1
	s_addc_u32 s4, s5, s7
	s_lshl_b32 s2, s24, 7
	s_lshl_b64 s[2:3], s[2:3], 1
	ds_read_b128 v[4:7], v2 offset:128
	ds_read_b128 v[8:11], v2
	s_add_u32 s2, s1, s2
	s_addc_u32 s3, s4, s3
	v_mov_b32_e32 v59, 0
	v_add_u32_e32 v3, s48, v64
	v_lshl_add_u64 v[0:1], s[2:3], 0, v[58:59]
	v_mad_u64_u32 v[12:13], s[2:3], v3, s0, 0
	v_lshl_add_u64 v[12:13], v[12:13], 1, v[0:1]
	v_add_u32_e32 v3, 4, v3
	s_waitcnt lgkmcnt(0)
	global_store_dwordx4 v[12:13], v[8:11], off
	v_cmp_ne_u32_e32 vcc, 3, v64
	s_nop 0
	v_mad_u64_u32 v[8:9], s[2:3], v3, s0, 0
	v_lshl_add_u64 v[8:9], v[8:9], 1, v[0:1]
	global_store_dwordx4 v[8:9], v[4:7], off
	s_and_b64 exec, exec, vcc
	s_cbranch_execz .LBB958_18
; %bb.17:
	ds_read_b128 v[2:5], v2 offset:256
	v_add3_u32 v6, s48, v64, 8
	v_mad_u64_u32 v[6:7], s[0:1], v6, s0, 0
	v_lshl_add_u64 v[0:1], v[6:7], 1, v[0:1]
	s_waitcnt lgkmcnt(0)
	global_store_dwordx4 v[0:1], v[2:5], off
.LBB958_18:
	s_endpgm
	.section	.rodata,"a",@progbits
	.p2align	6, 0x0
	.amdhsa_kernel _Z39paged_attention_ll4mi_QKV_mfma16_kernelIDF16_hLN4vllm18Fp8KVCacheDataTypeE1EhLi16ELi128ELi256ELb0ELi11EEvPKT_PKT0_S7_ifPKiS9_S9_iPKfiiiPfSC_PS2_PT2_iSB_SB_
		.amdhsa_group_segment_fixed_size 8192
		.amdhsa_private_segment_fixed_size 0
		.amdhsa_kernarg_size 400
		.amdhsa_user_sgpr_count 2
		.amdhsa_user_sgpr_dispatch_ptr 0
		.amdhsa_user_sgpr_queue_ptr 0
		.amdhsa_user_sgpr_kernarg_segment_ptr 1
		.amdhsa_user_sgpr_dispatch_id 0
		.amdhsa_user_sgpr_kernarg_preload_length 0
		.amdhsa_user_sgpr_kernarg_preload_offset 0
		.amdhsa_user_sgpr_private_segment_size 0
		.amdhsa_uses_dynamic_stack 0
		.amdhsa_enable_private_segment 0
		.amdhsa_system_sgpr_workgroup_id_x 1
		.amdhsa_system_sgpr_workgroup_id_y 1
		.amdhsa_system_sgpr_workgroup_id_z 1
		.amdhsa_system_sgpr_workgroup_info 0
		.amdhsa_system_vgpr_workitem_id 0
		.amdhsa_next_free_vgpr 88
		.amdhsa_next_free_sgpr 50
		.amdhsa_accum_offset 88
		.amdhsa_reserve_vcc 1
		.amdhsa_float_round_mode_32 0
		.amdhsa_float_round_mode_16_64 0
		.amdhsa_float_denorm_mode_32 3
		.amdhsa_float_denorm_mode_16_64 3
		.amdhsa_dx10_clamp 1
		.amdhsa_ieee_mode 1
		.amdhsa_fp16_overflow 0
		.amdhsa_tg_split 0
		.amdhsa_exception_fp_ieee_invalid_op 0
		.amdhsa_exception_fp_denorm_src 0
		.amdhsa_exception_fp_ieee_div_zero 0
		.amdhsa_exception_fp_ieee_overflow 0
		.amdhsa_exception_fp_ieee_underflow 0
		.amdhsa_exception_fp_ieee_inexact 0
		.amdhsa_exception_int_div_zero 0
	.end_amdhsa_kernel
	.section	.text._Z39paged_attention_ll4mi_QKV_mfma16_kernelIDF16_hLN4vllm18Fp8KVCacheDataTypeE1EhLi16ELi128ELi256ELb0ELi11EEvPKT_PKT0_S7_ifPKiS9_S9_iPKfiiiPfSC_PS2_PT2_iSB_SB_,"axG",@progbits,_Z39paged_attention_ll4mi_QKV_mfma16_kernelIDF16_hLN4vllm18Fp8KVCacheDataTypeE1EhLi16ELi128ELi256ELb0ELi11EEvPKT_PKT0_S7_ifPKiS9_S9_iPKfiiiPfSC_PS2_PT2_iSB_SB_,comdat
.Lfunc_end958:
	.size	_Z39paged_attention_ll4mi_QKV_mfma16_kernelIDF16_hLN4vllm18Fp8KVCacheDataTypeE1EhLi16ELi128ELi256ELb0ELi11EEvPKT_PKT0_S7_ifPKiS9_S9_iPKfiiiPfSC_PS2_PT2_iSB_SB_, .Lfunc_end958-_Z39paged_attention_ll4mi_QKV_mfma16_kernelIDF16_hLN4vllm18Fp8KVCacheDataTypeE1EhLi16ELi128ELi256ELb0ELi11EEvPKT_PKT0_S7_ifPKiS9_S9_iPKfiiiPfSC_PS2_PT2_iSB_SB_
                                        ; -- End function
	.section	.AMDGPU.csdata,"",@progbits
; Kernel info:
; codeLenInByte = 6040
; NumSgprs: 56
; NumVgprs: 88
; NumAgprs: 0
; TotalNumVgprs: 88
; ScratchSize: 0
; MemoryBound: 0
; FloatMode: 240
; IeeeMode: 1
; LDSByteSize: 8192 bytes/workgroup (compile time only)
; SGPRBlocks: 6
; VGPRBlocks: 10
; NumSGPRsForWavesPerEU: 56
; NumVGPRsForWavesPerEU: 88
; AccumOffset: 88
; Occupancy: 5
; WaveLimiterHint : 1
; COMPUTE_PGM_RSRC2:SCRATCH_EN: 0
; COMPUTE_PGM_RSRC2:USER_SGPR: 2
; COMPUTE_PGM_RSRC2:TRAP_HANDLER: 0
; COMPUTE_PGM_RSRC2:TGID_X_EN: 1
; COMPUTE_PGM_RSRC2:TGID_Y_EN: 1
; COMPUTE_PGM_RSRC2:TGID_Z_EN: 1
; COMPUTE_PGM_RSRC2:TIDIG_COMP_CNT: 0
; COMPUTE_PGM_RSRC3_GFX90A:ACCUM_OFFSET: 21
; COMPUTE_PGM_RSRC3_GFX90A:TG_SPLIT: 0
	.section	.text._Z39paged_attention_ll4mi_QKV_mfma16_kernelIDF16_hLN4vllm18Fp8KVCacheDataTypeE1EhLi16ELi128ELi256ELb0ELi12EEvPKT_PKT0_S7_ifPKiS9_S9_iPKfiiiPfSC_PS2_PT2_iSB_SB_,"axG",@progbits,_Z39paged_attention_ll4mi_QKV_mfma16_kernelIDF16_hLN4vllm18Fp8KVCacheDataTypeE1EhLi16ELi128ELi256ELb0ELi12EEvPKT_PKT0_S7_ifPKiS9_S9_iPKfiiiPfSC_PS2_PT2_iSB_SB_,comdat
	.protected	_Z39paged_attention_ll4mi_QKV_mfma16_kernelIDF16_hLN4vllm18Fp8KVCacheDataTypeE1EhLi16ELi128ELi256ELb0ELi12EEvPKT_PKT0_S7_ifPKiS9_S9_iPKfiiiPfSC_PS2_PT2_iSB_SB_ ; -- Begin function _Z39paged_attention_ll4mi_QKV_mfma16_kernelIDF16_hLN4vllm18Fp8KVCacheDataTypeE1EhLi16ELi128ELi256ELb0ELi12EEvPKT_PKT0_S7_ifPKiS9_S9_iPKfiiiPfSC_PS2_PT2_iSB_SB_
	.globl	_Z39paged_attention_ll4mi_QKV_mfma16_kernelIDF16_hLN4vllm18Fp8KVCacheDataTypeE1EhLi16ELi128ELi256ELb0ELi12EEvPKT_PKT0_S7_ifPKiS9_S9_iPKfiiiPfSC_PS2_PT2_iSB_SB_
	.p2align	8
	.type	_Z39paged_attention_ll4mi_QKV_mfma16_kernelIDF16_hLN4vllm18Fp8KVCacheDataTypeE1EhLi16ELi128ELi256ELb0ELi12EEvPKT_PKT0_S7_ifPKiS9_S9_iPKfiiiPfSC_PS2_PT2_iSB_SB_,@function
_Z39paged_attention_ll4mi_QKV_mfma16_kernelIDF16_hLN4vllm18Fp8KVCacheDataTypeE1EhLi16ELi128ELi256ELb0ELi12EEvPKT_PKT0_S7_ifPKiS9_S9_iPKfiiiPfSC_PS2_PT2_iSB_SB_: ; @_Z39paged_attention_ll4mi_QKV_mfma16_kernelIDF16_hLN4vllm18Fp8KVCacheDataTypeE1EhLi16ELi128ELi256ELb0ELi12EEvPKT_PKT0_S7_ifPKiS9_S9_iPKfiiiPfSC_PS2_PT2_iSB_SB_
; %bb.0:
	s_load_dwordx2 s[12:13], s[0:1], 0x30
	s_mov_b32 s24, s3
	s_mov_b64 s[6:7], 0
	s_waitcnt lgkmcnt(0)
	s_cmp_lg_u64 s[12:13], 0
	s_cselect_b64 s[14:15], -1, 0
	s_and_b64 vcc, exec, s[14:15]
	s_cbranch_vccz .LBB959_7
; %bb.1:
	s_add_i32 s8, s2, 1
	s_mov_b32 s9, 0
	s_lshl_b64 s[10:11], s[8:9], 2
	s_add_u32 s10, s12, s10
	s_mov_b32 s3, s9
	s_addc_u32 s11, s13, s11
	s_lshl_b64 s[8:9], s[2:3], 2
	s_add_u32 s8, s12, s8
	s_addc_u32 s9, s13, s9
	s_load_dword s5, s[10:11], 0x0
	s_load_dword s16, s[8:9], 0x0
	s_waitcnt lgkmcnt(0)
	s_sub_i32 s5, s5, s16
	s_cmp_eq_u32 s5, 1
	s_cselect_b64 s[8:9], -1, 0
	s_andn2_b64 vcc, exec, s[6:7]
	s_cbranch_vccnz .LBB959_3
.LBB959_2:
	s_mov_b32 s3, 0
	s_mov_b64 s[8:9], -1
.LBB959_3:
	s_andn2_b64 vcc, exec, s[8:9]
	s_cbranch_vccnz .LBB959_17
; %bb.4:
	s_load_dwordx2 s[6:7], s[0:1], 0x28
	s_lshl_b64 s[16:17], s[2:3], 2
	s_waitcnt lgkmcnt(0)
	s_add_u32 s6, s6, s16
	s_addc_u32 s7, s7, s17
	s_load_dword s33, s[6:7], 0x0
	s_lshl_b32 s18, s24, 8
	s_waitcnt lgkmcnt(0)
	s_cmp_ge_i32 s18, s33
	s_cbranch_scc1 .LBB959_17
; %bb.5:
	s_load_dwordx2 s[6:7], s[0:1], 0x20
	s_load_dword s8, s[0:1], 0x38
	s_add_i32 s5, s33, 15
	s_ashr_i32 s9, s5, 31
	v_and_b32_e32 v1, 0xcf, v0
	s_lshr_b32 s9, s9, 28
	v_add_u32_e32 v1, s18, v1
	s_add_i32 s5, s5, s9
	v_ashrrev_i32_e32 v2, 31, v1
	s_ashr_i32 s5, s5, 4
	v_lshrrev_b32_e32 v10, 28, v2
	s_add_i32 s5, s5, -1
	s_waitcnt lgkmcnt(0)
	s_mul_i32 s8, s2, s8
	s_mov_b32 s9, 0
	v_add_u32_e32 v2, v1, v10
	s_lshl_b64 s[8:9], s[8:9], 2
	v_ashrrev_i32_e32 v2, 4, v2
	v_mov_b32_e32 v11, s5
	v_cmp_gt_i32_e32 vcc, s33, v1
	s_add_u32 s6, s6, s8
	s_addc_u32 s7, s7, s9
	v_cndmask_b32_e32 v2, v11, v2, vcc
	v_ashrrev_i32_e32 v3, 31, v2
	v_lshl_add_u64 v[4:5], v[2:3], 2, s[6:7]
	v_or_b32_e32 v2, 16, v1
	v_add_u32_e32 v3, v2, v10
	v_ashrrev_i32_e32 v3, 4, v3
	v_cmp_gt_i32_e32 vcc, s33, v2
	s_load_dwordx4 s[8:11], s[0:1], 0x8
	s_nop 0
	v_cndmask_b32_e32 v2, v11, v3, vcc
	v_ashrrev_i32_e32 v3, 31, v2
	v_lshl_add_u64 v[6:7], v[2:3], 2, s[6:7]
	v_or_b32_e32 v2, 32, v1
	v_add_u32_e32 v3, v2, v10
	v_ashrrev_i32_e32 v3, 4, v3
	v_cmp_gt_i32_e32 vcc, s33, v2
	v_or_b32_e32 v1, 48, v1
	s_nop 0
	v_cndmask_b32_e32 v2, v11, v3, vcc
	v_ashrrev_i32_e32 v3, 31, v2
	v_lshl_add_u64 v[8:9], v[2:3], 2, s[6:7]
	v_add_u32_e32 v2, v1, v10
	v_ashrrev_i32_e32 v2, 4, v2
	v_cmp_gt_i32_e32 vcc, s33, v1
	s_nop 1
	v_cndmask_b32_e32 v2, v11, v2, vcc
	v_ashrrev_i32_e32 v3, 31, v2
	v_lshl_add_u64 v[10:11], v[2:3], 2, s[6:7]
	global_load_dword v3, v[4:5], off
	global_load_dword v2, v[6:7], off
	;; [unrolled: 1-line block ×4, first 2 shown]
	s_andn2_b64 vcc, exec, s[14:15]
	s_cbranch_vccnz .LBB959_8
; %bb.6:
	s_add_u32 s12, s12, s16
	s_addc_u32 s13, s13, s17
	s_load_dword s14, s[12:13], 0x0
	s_branch .LBB959_9
.LBB959_7:
	s_mov_b64 s[8:9], 0
	s_branch .LBB959_2
.LBB959_8:
	s_mov_b32 s14, s2
.LBB959_9:
	s_load_dwordx4 s[44:47], s[0:1], 0x48
	v_and_b32_e32 v60, 15, v0
	v_lshlrev_b32_e32 v4, 3, v60
	s_movk_i32 s12, 0xc0
	v_lshrrev_b32_e32 v61, 6, v0
	v_and_b32_e32 v65, 63, v0
	v_bfe_u32 v1, v0, 4, 2
	s_mul_i32 s48, s4, 12
	v_cmp_gt_u32_e32 vcc, s12, v0
	v_lshlrev_b32_e32 v58, 1, v4
	v_lshlrev_b32_e32 v64, 4, v0
	s_and_saveexec_b64 s[12:13], vcc
	s_cbranch_execz .LBB959_11
; %bb.10:
	s_load_dwordx2 s[16:17], s[0:1], 0x0
	s_waitcnt lgkmcnt(0)
	s_ashr_i32 s15, s44, 31
	s_mul_hi_u32 s19, s14, s44
	s_mul_i32 s15, s14, s15
	s_add_i32 s15, s19, s15
	s_mul_i32 s14, s14, s44
	v_lshl_or_b32 v8, v61, 2, v1
	s_lshl_b64 s[14:15], s[14:15], 1
	s_add_u32 s14, s16, s14
	v_add_lshl_u32 v4, v8, s48, 7
	s_addc_u32 s15, s17, s15
	v_ashrrev_i32_e32 v5, 31, v4
	v_lshl_add_u64 v[4:5], v[4:5], 1, s[14:15]
	v_mov_b32_e32 v59, 0
	v_lshl_add_u64 v[4:5], v[4:5], 0, v[58:59]
	global_load_dwordx4 v[4:7], v[4:5], off
	v_lshlrev_b32_e32 v10, 8, v0
	v_lshlrev_b32_e32 v9, 8, v60
	v_and_b32_e32 v10, 0x600, v10
	s_movk_i32 s14, 0x800
	v_and_or_b32 v9, v9, s14, v10
	v_lshlrev_b32_e32 v8, 5, v8
	v_and_b32_e32 v10, 16, v64
	v_or3_b32 v8, v9, v8, v10
	s_waitcnt vmcnt(0)
	ds_write_b128 v8, v[4:7]
.LBB959_11:
	s_or_b64 exec, exec, s[12:13]
	s_waitcnt lgkmcnt(0)
	s_mul_i32 s4, s4, s46
	s_add_u32 s8, s8, s4
	s_addc_u32 s9, s9, 0
	v_and_b32_e32 v62, 0xf0, v64
	v_mov_b32_e32 v63, 0
	v_and_b32_e32 v6, 48, v0
	v_lshl_add_u64 v[30:31], s[8:9], 0, v[62:63]
	v_lshlrev_b32_e32 v62, 4, v6
	s_waitcnt vmcnt(3)
	v_mad_i64_i32 v[4:5], s[8:9], v3, s45, v[30:31]
	v_lshl_add_u64 v[4:5], v[4:5], 0, v[62:63]
	s_load_dword s25, s[0:1], 0x98
	s_load_dwordx4 s[40:43], s[0:1], 0x80
	s_waitcnt lgkmcnt(0)
	s_barrier
	global_load_dwordx4 v[22:25], v[4:5], off
	global_load_dwordx4 v[10:13], v[4:5], off offset:1024
	s_waitcnt vmcnt(4)
	v_mad_i64_i32 v[2:3], s[8:9], v2, s45, v[30:31]
	v_lshl_add_u64 v[32:33], v[2:3], 0, v[62:63]
	global_load_dwordx4 v[2:5], v[32:33], off
	v_add_u32_e32 v7, -12, v60
	v_cmp_gt_u32_e32 vcc, 12, v60
	v_or_b32_e32 v6, s18, v6
	v_mov_b32_e32 v38, s5
	v_cndmask_b32_e32 v7, v7, v60, vcc
	v_lshlrev_b32_e32 v7, 5, v7
	v_ashrrev_i32_e32 v8, 4, v6
	v_lshl_add_u32 v7, v1, 9, v7
	v_cmp_gt_i32_e32 vcc, s33, v6
	v_or_b32_e32 v39, 64, v6
	v_or_b32_e32 v43, 0x80, v6
	;; [unrolled: 1-line block ×3, first 2 shown]
	v_cndmask_b32_e32 v40, v38, v8, vcc
	ds_read_b128 v[26:29], v7
	ds_read_b128 v[18:21], v7 offset:16
	ds_read_b128 v[14:17], v7 offset:2048
	;; [unrolled: 1-line block ×3, first 2 shown]
	s_waitcnt vmcnt(4)
	v_mad_i64_i32 v[36:37], s[12:13], v34, s45, v[30:31]
	s_waitcnt vmcnt(3)
	v_mad_i64_i32 v[34:35], s[12:13], v35, s45, v[30:31]
	global_load_dwordx4 v[30:33], v[32:33], off offset:1024
	v_ashrrev_i32_e32 v42, 4, v39
	v_cmp_gt_i32_e32 vcc, s33, v39
	v_ashrrev_i32_e32 v44, 4, v43
	v_ashrrev_i32_e32 v46, 4, v45
	v_cndmask_b32_e32 v42, v38, v42, vcc
	v_cmp_gt_i32_e32 vcc, s33, v43
	v_ashrrev_i32_e32 v41, 31, v40
	v_lshl_add_u64 v[36:37], v[36:37], 0, v[62:63]
	v_cndmask_b32_e32 v44, v38, v44, vcc
	v_cmp_gt_i32_e32 vcc, s33, v45
	v_lshl_add_u64 v[34:35], v[34:35], 0, v[62:63]
	v_ashrrev_i32_e32 v43, 31, v42
	v_cndmask_b32_e32 v38, v38, v46, vcc
	v_ashrrev_i32_e32 v45, 31, v44
	v_ashrrev_i32_e32 v39, 31, v38
	v_lshl_add_u64 v[50:51], v[40:41], 2, s[6:7]
	v_lshl_add_u64 v[52:53], v[42:43], 2, s[6:7]
	v_lshl_add_u64 v[54:55], v[44:45], 2, s[6:7]
	v_lshl_add_u64 v[56:57], v[38:39], 2, s[6:7]
	global_load_dwordx4 v[46:49], v[36:37], off
	global_load_dwordx4 v[42:45], v[36:37], off offset:1024
	global_load_dwordx4 v[38:41], v[34:35], off
	s_nop 0
	global_load_dwordx4 v[34:37], v[34:35], off offset:1024
	s_nop 0
	global_load_dword v69, v[50:51], off
	global_load_dword v68, v[52:53], off
	;; [unrolled: 1-line block ×4, first 2 shown]
	s_add_u32 s4, s10, s4
	v_lshl_or_b32 v59, v61, 4, v60
	s_addc_u32 s5, s11, 0
	v_lshlrev_b32_e32 v62, 4, v59
	s_load_dword s8, s[0:1], 0x1c
	s_waitcnt vmcnt(11)
	v_cvt_pk_f32_fp8_e32 v[50:51], v22
	v_cvt_pk_f32_fp8_sdwa v[52:53], v22 src0_sel:WORD_1
	v_cvt_pk_f32_fp8_e32 v[54:55], v23
	v_cvt_pk_f32_fp8_sdwa v[56:57], v23 src0_sel:WORD_1
	;; [unrolled: 2-line block ×4, first 2 shown]
	s_waitcnt vmcnt(9)
	v_cvt_pk_f32_fp8_e32 v[22:23], v2
	v_cvt_pk_f32_fp8_sdwa v[24:25], v2 src0_sel:WORD_1
	v_cvt_pkrtz_f16_f32 v50, v50, v51
	v_cvt_pkrtz_f16_f32 v51, v52, v53
	v_cvt_pk_f32_fp8_e32 v[78:79], v10
	v_cvt_pk_f32_fp8_sdwa v[80:81], v10 src0_sel:WORD_1
	v_cvt_pk_f32_fp8_e32 v[52:53], v11
	v_cvt_pk_f32_fp8_sdwa v[82:83], v11 src0_sel:WORD_1
	v_cvt_pkrtz_f16_f32 v10, v22, v23
	v_cvt_pkrtz_f16_f32 v11, v24, v25
	;; [unrolled: 1-line block ×4, first 2 shown]
	s_waitcnt lgkmcnt(0)
	v_mfma_f32_16x16x16_f16 v[22:25], v[50:51], v[26:27], 0
	v_cvt_pk_f32_fp8_e32 v[50:51], v12
	v_cvt_pk_f32_fp8_sdwa v[86:87], v12 src0_sel:WORD_1
	v_cvt_pkrtz_f16_f32 v50, v50, v51
	v_mfma_f32_16x16x16_f16 v[54:57], v[10:11], v[26:27], 0
	v_cvt_pkrtz_f16_f32 v10, v70, v71
	v_cvt_pkrtz_f16_f32 v11, v72, v73
	;; [unrolled: 1-line block ×3, first 2 shown]
	v_mfma_f32_16x16x16_f16 v[22:25], v[84:85], v[28:29], v[22:25]
	v_cvt_pkrtz_f16_f32 v73, v76, v77
	v_cvt_pkrtz_f16_f32 v76, v78, v79
	;; [unrolled: 1-line block ×3, first 2 shown]
	v_mfma_f32_16x16x16_f16 v[22:25], v[10:11], v[18:19], v[22:25]
	v_cvt_pk_f32_fp8_e32 v[70:71], v13
	v_cvt_pk_f32_fp8_sdwa v[74:75], v13 src0_sel:WORD_1
	v_cvt_pkrtz_f16_f32 v51, v86, v87
	v_mfma_f32_16x16x16_f16 v[10:13], v[72:73], v[20:21], v[22:25]
	s_waitcnt vmcnt(7)
	v_cvt_pk_f32_fp8_e32 v[72:73], v49
	s_nop 0
	v_cvt_pkrtz_f16_f32 v24, v52, v53
	v_cvt_pkrtz_f16_f32 v25, v82, v83
	v_mfma_f32_16x16x16_f16 v[10:13], v[76:77], v[14:15], v[10:13]
	v_cvt_pk_f32_fp8_e32 v[22:23], v3
	v_cvt_pk_f32_fp8_sdwa v[2:3], v3 src0_sel:WORD_1
	v_cvt_pkrtz_f16_f32 v52, v70, v71
	v_mfma_f32_16x16x16_f16 v[10:13], v[24:25], v[16:17], v[10:13]
	v_cvt_pkrtz_f16_f32 v53, v74, v75
	v_cvt_pk_f32_fp8_e32 v[24:25], v4
	v_cvt_pk_f32_fp8_sdwa v[70:71], v4 src0_sel:WORD_1
	v_mfma_f32_16x16x16_f16 v[10:13], v[50:51], v[6:7], v[10:13]
	v_cvt_pkrtz_f16_f32 v22, v22, v23
	v_cvt_pkrtz_f16_f32 v23, v2, v3
	s_waitcnt vmcnt(6)
	v_cvt_pk_f32_fp8_sdwa v[76:77], v44 src0_sel:WORD_1
	v_mfma_f32_16x16x16_f16 v[50:53], v[52:53], v[8:9], v[10:13]
	s_nop 2
	v_cvt_pkrtz_f16_f32 v10, v24, v25
	v_cvt_pkrtz_f16_f32 v11, v70, v71
	v_cvt_pk_f32_fp8_e32 v[12:13], v5
	v_cvt_pk_f32_fp8_sdwa v[24:25], v5 src0_sel:WORD_1
	v_mfma_f32_16x16x16_f16 v[2:5], v[22:23], v[28:29], v[54:57]
	v_cvt_pk_f32_fp8_sdwa v[22:23], v30 src0_sel:WORD_1
	v_cvt_pkrtz_f16_f32 v12, v12, v13
	v_cvt_pkrtz_f16_f32 v13, v24, v25
	v_mfma_f32_16x16x16_f16 v[2:5], v[10:11], v[18:19], v[2:5]
	v_cvt_pk_f32_fp8_e32 v[10:11], v30
	v_cvt_pk_f32_fp8_e32 v[24:25], v32
	v_lshl_add_u64 v[70:71], s[4:5], 0, v[62:63]
	v_mfma_f32_16x16x16_f16 v[2:5], v[12:13], v[20:21], v[2:5]
	v_cvt_pk_f32_fp8_e32 v[12:13], v31
	v_cvt_pkrtz_f16_f32 v10, v10, v11
	v_cvt_pkrtz_f16_f32 v11, v22, v23
	v_cvt_pk_f32_fp8_sdwa v[22:23], v31 src0_sel:WORD_1
	v_cvt_pkrtz_f16_f32 v12, v12, v13
	v_cvt_pk_f32_fp8_sdwa v[30:31], v32 src0_sel:WORD_1
	v_mfma_f32_16x16x16_f16 v[2:5], v[10:11], v[14:15], v[2:5]
	v_cvt_pkrtz_f16_f32 v13, v22, v23
	v_cvt_pkrtz_f16_f32 v10, v24, v25
	;; [unrolled: 1-line block ×3, first 2 shown]
	v_cvt_pk_f32_fp8_e32 v[22:23], v33
	v_cvt_pk_f32_fp8_sdwa v[24:25], v33 src0_sel:WORD_1
	v_mfma_f32_16x16x16_f16 v[2:5], v[12:13], v[16:17], v[2:5]
	v_or_b32_e32 v62, 0x400, v62
	v_cvt_pkrtz_f16_f32 v12, v22, v23
	v_cvt_pkrtz_f16_f32 v13, v24, v25
	v_mfma_f32_16x16x16_f16 v[2:5], v[10:11], v[6:7], v[2:5]
	v_cvt_pk_f32_fp8_e32 v[10:11], v46
	v_cvt_pk_f32_fp8_sdwa v[22:23], v46 src0_sel:WORD_1
	v_cvt_pk_f32_fp8_sdwa v[24:25], v48 src0_sel:WORD_1
	v_mfma_f32_16x16x16_f16 v[54:57], v[12:13], v[8:9], v[2:5]
	s_waitcnt vmcnt(3)
	v_mad_i64_i32 v[12:13], s[6:7], v69, s45, v[70:71]
	s_nop 0
	v_cvt_pkrtz_f16_f32 v2, v10, v11
	v_cvt_pkrtz_f16_f32 v3, v22, v23
	v_cvt_pk_f32_fp8_e32 v[4:5], v47
	v_cvt_pk_f32_fp8_sdwa v[10:11], v47 src0_sel:WORD_1
	s_waitcnt vmcnt(2)
	v_mad_i64_i32 v[46:47], s[6:7], v68, s45, v[70:71]
	v_cvt_pkrtz_f16_f32 v22, v4, v5
	v_cvt_pkrtz_f16_f32 v23, v10, v11
	v_cvt_pk_f32_fp8_e32 v[10:11], v48
	v_mfma_f32_16x16x16_f16 v[2:5], v[2:3], v[26:27], 0
	v_cvt_pk_f32_fp8_sdwa v[48:49], v49 src0_sel:WORD_1
	v_cvt_pkrtz_f16_f32 v10, v10, v11
	v_cvt_pkrtz_f16_f32 v11, v24, v25
	v_mfma_f32_16x16x16_f16 v[2:5], v[22:23], v[28:29], v[2:5]
	global_load_dwordx4 v[30:33], v[12:13], off
	global_load_dwordx4 v[22:25], v[46:47], off
	v_cvt_pkrtz_f16_f32 v12, v72, v73
	v_cvt_pkrtz_f16_f32 v13, v48, v49
	v_mfma_f32_16x16x16_f16 v[2:5], v[10:11], v[18:19], v[2:5]
	v_cvt_pk_f32_fp8_e32 v[10:11], v42
	v_cvt_pk_f32_fp8_sdwa v[46:47], v42 src0_sel:WORD_1
	s_waitcnt vmcnt(3)
	v_mad_i64_i32 v[72:73], s[6:7], v67, s45, v[70:71]
	v_mfma_f32_16x16x16_f16 v[2:5], v[12:13], v[20:21], v[2:5]
	v_cvt_pkrtz_f16_f32 v10, v10, v11
	v_cvt_pkrtz_f16_f32 v11, v46, v47
	v_cvt_pk_f32_fp8_e32 v[12:13], v43
	v_cvt_pk_f32_fp8_sdwa v[42:43], v43 src0_sel:WORD_1
	v_mfma_f32_16x16x16_f16 v[46:49], v[10:11], v[14:15], v[2:5]
	v_cvt_pkrtz_f16_f32 v74, v12, v13
	v_cvt_pkrtz_f16_f32 v75, v42, v43
	v_cvt_pk_f32_fp8_e32 v[42:43], v44
	s_waitcnt vmcnt(2)
	v_mad_i64_i32 v[70:71], s[6:7], v66, s45, v[70:71]
	global_load_dwordx4 v[10:13], v[72:73], off
	global_load_dwordx4 v[2:5], v[70:71], off
	v_cvt_pkrtz_f16_f32 v70, v42, v43
	v_cvt_pkrtz_f16_f32 v71, v76, v77
	v_cvt_pk_f32_fp8_e32 v[72:73], v45
	v_cvt_pk_f32_fp8_sdwa v[76:77], v45 src0_sel:WORD_1
	v_mfma_f32_16x16x16_f16 v[44:47], v[74:75], v[16:17], v[46:49]
	v_lshl_add_u64 v[42:43], s[4:5], 0, v[62:63]
	v_cvt_pk_f32_fp8_e32 v[62:63], v38
	v_cvt_pk_f32_fp8_sdwa v[74:75], v38 src0_sel:WORD_1
	v_cvt_pkrtz_f16_f32 v48, v72, v73
	v_cvt_pkrtz_f16_f32 v49, v76, v77
	v_mfma_f32_16x16x16_f16 v[44:47], v[70:71], v[6:7], v[44:47]
	s_load_dword s4, s[40:41], 0x0
	s_mov_b32 s40, 0xff7fffff
	v_mfma_f32_16x16x16_f16 v[70:73], v[48:49], v[8:9], v[44:47]
	s_nop 3
	v_cvt_pk_f32_fp8_e32 v[44:45], v39
	v_cvt_pkrtz_f16_f32 v46, v62, v63
	v_cvt_pkrtz_f16_f32 v47, v74, v75
	v_cvt_pk_f32_fp8_sdwa v[38:39], v39 src0_sel:WORD_1
	v_cvt_pkrtz_f16_f32 v48, v44, v45
	v_cvt_pk_f32_fp8_e32 v[62:63], v40
	v_cvt_pk_f32_fp8_sdwa v[74:75], v40 src0_sel:WORD_1
	v_cvt_pkrtz_f16_f32 v49, v38, v39
	v_mfma_f32_16x16x16_f16 v[44:47], v[46:47], v[26:27], 0
	v_cvt_pkrtz_f16_f32 v38, v62, v63
	v_cvt_pkrtz_f16_f32 v39, v74, v75
	v_cvt_pk_f32_fp8_e32 v[62:63], v41
	v_cvt_pk_f32_fp8_sdwa v[74:75], v41 src0_sel:WORD_1
	v_mov_b32_e32 v26, s8
	s_waitcnt lgkmcnt(0)
	v_mul_f32_e32 v76, s4, v26
	v_mfma_f32_16x16x16_f16 v[26:29], v[48:49], v[28:29], v[44:47]
	v_cvt_pk_f32_fp8_sdwa v[48:49], v37 src0_sel:WORD_1
	v_pk_mul_f32 v[40:41], v[76:77], v[52:53] op_sel_hi:[0,1]
	v_pk_mul_f32 v[52:53], v[76:77], v[54:55] op_sel_hi:[0,1]
	v_cvt_pkrtz_f16_f32 v46, v62, v63
	v_cvt_pkrtz_f16_f32 v47, v74, v75
	v_mfma_f32_16x16x16_f16 v[26:29], v[38:39], v[18:19], v[26:29]
	v_cvt_pk_f32_fp8_e32 v[18:19], v34
	v_cvt_pk_f32_fp8_sdwa v[38:39], v34 src0_sel:WORD_1
	v_pk_mul_f32 v[44:45], v[76:77], v[50:51] op_sel_hi:[0,1]
	v_mfma_f32_16x16x16_f16 v[26:29], v[46:47], v[20:21], v[26:29]
	v_cvt_pkrtz_f16_f32 v20, v18, v19
	v_cvt_pkrtz_f16_f32 v21, v38, v39
	v_cvt_pk_f32_fp8_e32 v[38:39], v35
	v_cvt_pk_f32_fp8_sdwa v[34:35], v35 src0_sel:WORD_1
	v_mfma_f32_16x16x16_f16 v[26:29], v[20:21], v[14:15], v[26:29]
	v_cvt_pkrtz_f16_f32 v38, v38, v39
	v_cvt_pkrtz_f16_f32 v39, v34, v35
	v_cvt_pk_f32_fp8_e32 v[14:15], v36
	v_cvt_pk_f32_fp8_sdwa v[20:21], v36 src0_sel:WORD_1
	v_pk_mul_f32 v[50:51], v[76:77], v[70:71] op_sel_hi:[0,1]
	v_mad_i64_i32 v[18:19], s[4:5], v69, s45, v[42:43]
	v_cvt_pkrtz_f16_f32 v46, v14, v15
	v_cvt_pkrtz_f16_f32 v47, v20, v21
	v_cvt_pk_f32_fp8_e32 v[20:21], v37
	v_mfma_f32_16x16x16_f16 v[14:17], v[38:39], v[16:17], v[26:29]
	v_pk_mul_f32 v[36:37], v[76:77], v[56:57] op_sel_hi:[0,1]
	v_mad_i64_i32 v[34:35], s[4:5], v68, s45, v[42:43]
	v_cvt_pkrtz_f16_f32 v20, v20, v21
	v_cvt_pkrtz_f16_f32 v21, v48, v49
	v_mfma_f32_16x16x16_f16 v[14:17], v[46:47], v[6:7], v[14:17]
	v_pk_mul_f32 v[46:47], v[76:77], v[72:73] op_sel_hi:[0,1]
	v_mfma_f32_16x16x16_f16 v[6:9], v[20:21], v[8:9], v[14:17]
	global_load_dwordx4 v[26:29], v[18:19], off
	s_nop 0
	global_load_dwordx4 v[18:21], v[34:35], off
	s_nop 3
	v_pk_mul_f32 v[48:49], v[76:77], v[6:7] op_sel_hi:[0,1]
	v_and_b32_e32 v6, 0xc0, v0
	v_add_u32_e32 v6, s18, v6
	v_lshl_or_b32 v6, v1, 2, v6
	v_pk_mul_f32 v[38:39], v[76:77], v[8:9] op_sel_hi:[0,1]
	v_or_b32_e32 v9, 1, v6
	v_mov_b32_e32 v7, 0xff7fffff
	v_cmp_gt_i32_e64 s[26:27], s33, v6
	v_cmp_gt_i32_e64 s[28:29], s33, v9
	v_or_b32_e32 v14, 3, v6
	v_cndmask_b32_e64 v8, v7, v44, s[26:27]
	v_cndmask_b32_e64 v9, v7, v45, s[28:29]
	v_max3_f32 v8, v8, s40, v9
	v_or_b32_e32 v9, 2, v6
	v_cmp_gt_i32_e64 s[30:31], s33, v9
	v_cmp_gt_i32_e64 s[34:35], s33, v14
	s_nop 0
	v_cndmask_b32_e64 v9, v7, v40, s[30:31]
	v_cndmask_b32_e64 v14, v7, v41, s[34:35]
	v_max3_f32 v8, v8, v9, v14
	v_or_b32_e32 v9, 16, v6
	v_or_b32_e32 v14, 17, v6
	v_cmp_gt_i32_e64 s[18:19], s33, v9
	v_cmp_gt_i32_e64 s[20:21], s33, v14
	s_nop 0
	v_cndmask_b32_e64 v9, v7, v52, s[18:19]
	v_cndmask_b32_e64 v14, v7, v53, s[20:21]
	v_max3_f32 v8, v8, v9, v14
	v_or_b32_e32 v9, 18, v6
	;; [unrolled: 8-line block ×5, first 2 shown]
	v_or_b32_e32 v14, 49, v6
	v_cmp_gt_i32_e32 vcc, s33, v9
	v_cmp_gt_i32_e64 s[4:5], s33, v14
	s_nop 0
	v_cndmask_b32_e32 v9, v7, v48, vcc
	v_cndmask_b32_e64 v14, v7, v49, s[4:5]
	v_max3_f32 v8, v8, v9, v14
	v_or_b32_e32 v9, 50, v6
	v_or_b32_e32 v6, 51, v6
	v_cmp_gt_i32_e64 s[6:7], s33, v9
	v_cmp_gt_i32_e64 s[8:9], s33, v6
	s_nop 0
	v_cndmask_b32_e64 v9, v7, v38, s[6:7]
	v_cndmask_b32_e64 v6, v7, v39, s[8:9]
	v_max3_f32 v8, v8, v9, v6
	v_mbcnt_lo_u32_b32 v6, -1, 0
	v_mbcnt_hi_u32_b32 v9, -1, v6
	v_and_b32_e32 v6, 64, v9
	v_add_u32_e32 v14, 64, v6
	v_xor_b32_e32 v6, 32, v9
	v_cmp_lt_i32_e64 s[38:39], v6, v14
	s_nop 1
	v_cndmask_b32_e64 v6, v9, v6, s[38:39]
	v_lshlrev_b32_e32 v55, 2, v6
	ds_bpermute_b32 v15, v55, v8
	v_mad_i64_i32 v[6:7], s[38:39], v67, s45, v[42:43]
	s_waitcnt lgkmcnt(0)
	v_max_f32_e32 v15, v15, v15
	v_max_f32_e32 v34, v8, v15
	v_xor_b32_e32 v8, 16, v9
	v_cmp_lt_i32_e64 s[38:39], v8, v14
	s_nop 1
	v_cndmask_b32_e64 v8, v9, v8, s[38:39]
	v_lshlrev_b32_e32 v56, 2, v8
	v_mad_i64_i32 v[8:9], s[38:39], v66, s45, v[42:43]
	global_load_dwordx4 v[14:17], v[6:7], off
	s_nop 0
	global_load_dwordx4 v[6:9], v[8:9], off
	ds_bpermute_b32 v35, v56, v34
	s_waitcnt lgkmcnt(0)
	s_barrier
	v_max_f32_e32 v35, v35, v35
	v_max_f32_e32 v54, v34, v35
	v_sub_f32_e32 v42, v52, v54
	v_mul_f32_e32 v42, 0x3fb8aa3b, v42
	v_exp_f32_e32 v42, v42
	v_sub_f32_e32 v36, v36, v54
	v_sub_f32_e32 v34, v44, v54
	v_mul_f32_e32 v36, 0x3fb8aa3b, v36
	v_mul_f32_e32 v34, 0x3fb8aa3b, v34
	v_sub_f32_e32 v35, v45, v54
	v_sub_f32_e32 v43, v53, v54
	v_exp_f32_e32 v44, v36
	v_sub_f32_e32 v36, v37, v54
	v_sub_f32_e32 v48, v48, v54
	;; [unrolled: 1-line block ×3, first 2 shown]
	v_exp_f32_e32 v34, v34
	v_mul_f32_e32 v35, 0x3fb8aa3b, v35
	v_sub_f32_e32 v40, v40, v54
	v_mul_f32_e32 v43, 0x3fb8aa3b, v43
	v_mul_f32_e32 v36, 0x3fb8aa3b, v36
	;; [unrolled: 1-line block ×4, first 2 shown]
	v_exp_f32_e32 v35, v35
	v_mul_f32_e32 v40, 0x3fb8aa3b, v40
	v_sub_f32_e32 v41, v41, v54
	v_exp_f32_e32 v43, v43
	v_exp_f32_e32 v45, v36
	v_cndmask_b32_e64 v36, 0, v42, s[18:19]
	v_sub_f32_e32 v42, v50, v54
	v_exp_f32_e32 v48, v48
	v_exp_f32_e32 v50, v38
	;; [unrolled: 1-line block ×3, first 2 shown]
	v_mul_f32_e32 v41, 0x3fb8aa3b, v41
	v_exp_f32_e32 v41, v41
	v_sub_f32_e32 v38, v39, v54
	v_cndmask_b32_e64 v34, 0, v34, s[26:27]
	v_mul_f32_e32 v38, 0x3fb8aa3b, v38
	v_cndmask_b32_e64 v35, 0, v35, s[28:29]
	v_cndmask_b32_e64 v37, 0, v43, s[20:21]
	v_sub_f32_e32 v43, v51, v54
	v_exp_f32_e32 v51, v38
	v_cndmask_b32_e32 v38, 0, v48, vcc
	v_cndmask_b32_e64 v48, 0, v50, s[6:7]
	v_add_f32_e32 v50, 0, v34
	v_cndmask_b32_e64 v40, 0, v40, s[30:31]
	v_add_f32_e32 v50, v50, v35
	v_cndmask_b32_e64 v41, 0, v41, s[34:35]
	v_mul_f32_e32 v42, 0x3fb8aa3b, v42
	v_add_f32_e32 v50, v50, v40
	v_exp_f32_e32 v42, v42
	v_mul_f32_e32 v43, 0x3fb8aa3b, v43
	v_sub_f32_e32 v46, v46, v54
	v_add_f32_e32 v50, v50, v41
	v_exp_f32_e32 v43, v43
	v_mul_f32_e32 v46, 0x3fb8aa3b, v46
	v_sub_f32_e32 v47, v47, v54
	v_add_f32_e32 v50, v50, v36
	v_cndmask_b32_e64 v44, 0, v44, s[22:23]
	v_exp_f32_e32 v46, v46
	v_mul_f32_e32 v47, 0x3fb8aa3b, v47
	v_add_f32_e32 v50, v50, v37
	v_cndmask_b32_e64 v45, 0, v45, s[36:37]
	v_exp_f32_e32 v47, v47
	v_sub_f32_e32 v49, v49, v54
	v_add_f32_e32 v50, v50, v44
	v_cndmask_b32_e64 v42, 0, v42, s[10:11]
	v_mul_f32_e32 v49, 0x3fb8aa3b, v49
	v_add_f32_e32 v50, v50, v45
	v_cndmask_b32_e64 v43, 0, v43, s[12:13]
	v_exp_f32_e32 v49, v49
	v_add_f32_e32 v50, v50, v42
	v_cndmask_b32_e64 v46, 0, v46, s[14:15]
	v_add_f32_e32 v50, v50, v43
	v_cndmask_b32_e64 v47, 0, v47, s[16:17]
	v_add_f32_e32 v50, v50, v46
	v_add_f32_e32 v50, v50, v47
	v_cndmask_b32_e64 v39, 0, v49, s[4:5]
	v_add_f32_e32 v50, v50, v38
	;; [unrolled: 3-line block ×3, first 2 shown]
	v_add_f32_e32 v50, v50, v49
	ds_bpermute_b32 v51, v55, v50
	v_cmp_gt_u32_e32 vcc, 16, v65
	s_waitcnt lgkmcnt(0)
	v_add_f32_e32 v50, v50, v51
	ds_bpermute_b32 v51, v56, v50
	s_and_saveexec_b64 s[4:5], vcc
	s_cbranch_execz .LBB959_13
; %bb.12:
	s_waitcnt lgkmcnt(0)
	v_add_f32_e32 v50, v50, v51
	v_lshlrev_b32_e32 v51, 2, v59
	ds_write2st64_b32 v51, v54, v50 offset1:1
.LBB959_13:
	s_or_b64 exec, exec, s[4:5]
	s_waitcnt lgkmcnt(0)
	v_lshlrev_b32_e32 v51, 2, v60
	s_load_dword s6, s[0:1], 0x94
	s_waitcnt lgkmcnt(0)
	s_barrier
	ds_read2_b32 v[52:53], v51 offset1:16
	ds_read2_b32 v[54:55], v51 offset0:32 offset1:48
	ds_read2_b32 v[56:57], v51 offset0:64 offset1:80
	s_mul_i32 s7, s25, 12
	s_waitcnt lgkmcnt(2)
	v_max3_f32 v50, v52, s40, v53
	s_waitcnt lgkmcnt(1)
	v_max3_f32 v50, v50, v54, v55
	v_sub_f32_e32 v52, v52, v50
	v_mul_f32_e32 v52, 0x3fb8aa3b, v52
	v_exp_f32_e32 v59, v52
	v_sub_f32_e32 v52, v53, v50
	v_mul_f32_e32 v52, 0x3fb8aa3b, v52
	v_exp_f32_e32 v62, v52
	;; [unrolled: 3-line block ×3, first 2 shown]
	ds_read2_b32 v[52:53], v51 offset0:96 offset1:112
	v_sub_f32_e32 v51, v55, v50
	v_mul_f32_e32 v51, 0x3fb8aa3b, v51
	v_exp_f32_e32 v55, v51
	s_waitcnt lgkmcnt(1)
	v_fma_f32 v51, v59, v56, 0
	v_fmac_f32_e32 v51, v62, v57
	s_waitcnt lgkmcnt(0)
	v_fmac_f32_e32 v51, v54, v52
	v_fmac_f32_e32 v51, v55, v53
	v_add_f32_e32 v52, 0x358637bd, v51
	v_div_scale_f32 v53, s[4:5], v52, v52, 1.0
	v_rcp_f32_e32 v56, v53
	s_barrier
	v_fma_f32 v57, -v53, v56, 1.0
	v_fmac_f32_e32 v56, v57, v56
	v_div_scale_f32 v57, vcc, 1.0, v52, 1.0
	v_mul_f32_e32 v63, v57, v56
	v_fma_f32 v65, -v53, v63, v57
	v_fmac_f32_e32 v63, v65, v56
	v_fma_f32 v53, -v53, v63, v57
	v_div_fmas_f32 v53, v53, v56, v63
	v_cmp_eq_u32_e32 vcc, 1, v61
	v_div_fixup_f32 v52, v53, v52, 1.0
	s_nop 0
	v_cndmask_b32_e32 v53, v59, v62, vcc
	v_cmp_eq_u32_e32 vcc, 2, v61
	s_nop 1
	v_cndmask_b32_e32 v53, v53, v54, vcc
	v_cmp_eq_u32_e32 vcc, 3, v61
	s_nop 1
	v_cndmask_b32_e32 v53, v53, v55, vcc
	v_mul_f32_e32 v52, v53, v52
	v_pk_mul_f32 v[40:41], v[52:53], v[40:41] op_sel_hi:[0,1]
	v_pk_mul_f32 v[34:35], v[52:53], v[34:35] op_sel_hi:[0,1]
	v_cvt_f16_f32_e32 v53, v40
	v_cvt_f16_f32_e32 v34, v34
	;; [unrolled: 1-line block ×4, first 2 shown]
	v_pk_mul_f32 v[44:45], v[52:53], v[44:45] op_sel_hi:[0,1]
	v_pk_mul_f32 v[36:37], v[52:53], v[36:37] op_sel_hi:[0,1]
	v_cvt_f16_f32_e32 v36, v36
	v_cvt_f16_f32_e32 v37, v37
	;; [unrolled: 1-line block ×4, first 2 shown]
	v_pack_b32_f16 v40, v34, v35
	v_pack_b32_f16 v41, v53, v41
	v_lshlrev_b32_e32 v35, 3, v1
	v_lshlrev_b32_e32 v34, 5, v60
	;; [unrolled: 1-line block ×3, first 2 shown]
	v_or3_b32 v54, v53, v34, v35
	v_pack_b32_f16 v36, v36, v37
	v_pack_b32_f16 v37, v44, v45
	ds_write2st64_b64 v54, v[40:41], v[36:37] offset1:1
	v_pk_mul_f32 v[36:37], v[52:53], v[46:47] op_sel_hi:[0,1]
	v_pk_mul_f32 v[40:41], v[52:53], v[42:43] op_sel_hi:[0,1]
	v_cvt_f16_f32_e32 v35, v40
	v_cvt_f16_f32_e32 v40, v41
	;; [unrolled: 1-line block ×4, first 2 shown]
	v_pk_mul_f32 v[36:37], v[52:53], v[48:49] op_sel_hi:[0,1]
	v_pk_mul_f32 v[38:39], v[52:53], v[38:39] op_sel_hi:[0,1]
	v_cvt_f16_f32_e32 v38, v38
	v_cvt_f16_f32_e32 v39, v39
	;; [unrolled: 1-line block ×4, first 2 shown]
	v_pack_b32_f16 v36, v35, v40
	v_pack_b32_f16 v37, v41, v42
	;; [unrolled: 1-line block ×4, first 2 shown]
	v_cmp_gt_u32_e32 vcc, 12, v0
	ds_write2st64_b64 v54, v[36:37], v[38:39] offset0:2 offset1:3
	s_and_saveexec_b64 s[4:5], vcc
	s_cbranch_execz .LBB959_15
; %bb.14:
	s_mov_b32 s49, 0
	v_mov_b32_e32 v61, 0
	v_lshl_add_u64 v[36:37], s[48:49], 0, v[60:61]
	v_mov_b32_e32 v35, s7
	v_mad_u64_u32 v[36:37], s[12:13], s2, v35, v[36:37]
	s_mul_i32 s3, s3, s7
	v_mov_b32_e32 v38, s24
	v_mov_b32_e32 v39, v61
	s_load_dwordx4 s[8:11], s[0:1], 0x58
	v_add_u32_e32 v35, s3, v37
	v_mad_u64_u32 v[36:37], s[12:13], v36, s6, v[38:39]
	v_mov_b32_e32 v38, v37
	v_mad_u64_u32 v[38:39], s[12:13], v35, s6, v[38:39]
	v_mov_b32_e32 v37, v38
	v_lshlrev_b64 v[36:37], 2, v[36:37]
	s_waitcnt lgkmcnt(0)
	v_lshl_add_u64 v[38:39], s[10:11], 0, v[36:37]
	v_lshl_add_u64 v[36:37], s[8:9], 0, v[36:37]
	global_store_dword v[38:39], v50, off
	global_store_dword v[36:37], v51, off
.LBB959_15:
	s_or_b64 exec, exec, s[4:5]
	s_waitcnt vmcnt(7)
	v_cvt_pk_f32_fp8_e32 v[36:37], v30
	v_lshl_or_b32 v50, v1, 9, v34
	v_cvt_pk_f32_fp8_sdwa v[34:35], v30 src0_sel:WORD_1
	s_waitcnt lgkmcnt(0)
	s_barrier
	v_cvt_pk_f32_fp8_e32 v[38:39], v31
	v_cvt_pkrtz_f16_f32 v30, v36, v37
	v_cvt_pk_f32_fp8_sdwa v[40:41], v31 src0_sel:WORD_1
	v_cvt_pkrtz_f16_f32 v31, v34, v35
	ds_read_b128 v[34:37], v50
	v_cvt_pkrtz_f16_f32 v46, v38, v39
	v_cvt_pkrtz_f16_f32 v47, v40, v41
	ds_read_b128 v[38:41], v50 offset:16
	v_cvt_pk_f32_fp8_e32 v[48:49], v32
	v_cvt_pk_f32_fp8_sdwa v[52:53], v32 src0_sel:WORD_1
	s_waitcnt lgkmcnt(1)
	v_mfma_f32_16x16x16_f16 v[42:45], v[30:31], v[34:35], 0
	s_waitcnt vmcnt(6)
	v_cvt_pk_f32_fp8_e32 v[56:57], v24
	v_cvt_pkrtz_f16_f32 v30, v48, v49
	v_cvt_pkrtz_f16_f32 v31, v52, v53
	v_cvt_pk_f32_fp8_e32 v[48:49], v33
	v_mfma_f32_16x16x16_f16 v[42:45], v[46:47], v[36:37], v[42:45]
	v_cvt_pk_f32_fp8_sdwa v[46:47], v33 src0_sel:WORD_1
	v_cvt_pk_f32_fp8_sdwa v[62:63], v24 src0_sel:WORD_1
	v_cvt_pkrtz_f16_f32 v48, v48, v49
	s_waitcnt lgkmcnt(0)
	v_mfma_f32_16x16x16_f16 v[30:33], v[30:31], v[38:39], v[42:45]
	v_cvt_pkrtz_f16_f32 v49, v46, v47
	s_waitcnt vmcnt(4)
	v_cvt_pk_f32_fp8_sdwa v[70:71], v4 src0_sel:WORD_1
	s_waitcnt vmcnt(3)
	v_cvt_pk_f32_fp8_sdwa v[72:73], v28 src0_sel:WORD_1
	v_cvt_pk_f32_fp8_e32 v[42:43], v22
	v_mfma_f32_16x16x16_f16 v[46:49], v[48:49], v[40:41], v[30:33]
	s_load_dword s4, s[42:43], 0x0
	s_mov_b32 s3, 0
	s_nop 0
	v_cvt_pk_f32_fp8_sdwa v[30:31], v22 src0_sel:WORD_1
	v_cvt_pk_f32_fp8_e32 v[32:33], v23
	v_cvt_pkrtz_f16_f32 v22, v42, v43
	v_cvt_pk_f32_fp8_sdwa v[42:43], v23 src0_sel:WORD_1
	v_cvt_pkrtz_f16_f32 v23, v30, v31
	v_cvt_pkrtz_f16_f32 v52, v32, v33
	ds_read_b128 v[30:33], v50 offset:2048
	v_cvt_pkrtz_f16_f32 v53, v42, v43
	ds_read_b128 v[42:45], v50 offset:2064
	s_waitcnt lgkmcnt(0)
	v_mfma_f32_16x16x16_f16 v[46:49], v[22:23], v[30:31], v[46:49]
	v_cvt_pkrtz_f16_f32 v22, v56, v57
	v_cvt_pkrtz_f16_f32 v23, v62, v63
	v_cvt_pk_f32_fp8_e32 v[56:57], v25
	v_mfma_f32_16x16x16_f16 v[46:49], v[52:53], v[32:33], v[46:49]
	v_cvt_pk_f32_fp8_sdwa v[52:53], v25 src0_sel:WORD_1
	v_cvt_pk_f32_fp8_sdwa v[62:63], v12 src0_sel:WORD_1
	v_cvt_pkrtz_f16_f32 v56, v56, v57
	v_mfma_f32_16x16x16_f16 v[22:25], v[22:23], v[42:43], v[46:49]
	v_cvt_pkrtz_f16_f32 v57, v52, v53
	v_cmp_gt_u32_e32 vcc, 64, v0
	s_nop 0
	v_cvt_pk_f32_fp8_e32 v[46:47], v10
	v_mfma_f32_16x16x16_f16 v[66:69], v[56:57], v[44:45], v[22:25]
	v_cvt_pk_f32_fp8_e32 v[56:57], v12
	s_nop 1
	v_cvt_pk_f32_fp8_sdwa v[22:23], v10 src0_sel:WORD_1
	v_cvt_pk_f32_fp8_e32 v[24:25], v11
	v_cvt_pkrtz_f16_f32 v10, v46, v47
	v_cvt_pk_f32_fp8_sdwa v[46:47], v11 src0_sel:WORD_1
	v_cvt_pkrtz_f16_f32 v11, v22, v23
	v_cvt_pkrtz_f16_f32 v52, v24, v25
	ds_read_b128 v[22:25], v50 offset:4096
	v_cvt_pkrtz_f16_f32 v53, v46, v47
	ds_read_b128 v[46:49], v50 offset:4112
	s_waitcnt lgkmcnt(1)
	v_mfma_f32_16x16x16_f16 v[66:69], v[10:11], v[22:23], v[66:69]
	v_cvt_pkrtz_f16_f32 v10, v56, v57
	v_cvt_pkrtz_f16_f32 v11, v62, v63
	v_cvt_pk_f32_fp8_e32 v[56:57], v13
	v_mfma_f32_16x16x16_f16 v[66:69], v[52:53], v[24:25], v[66:69]
	v_cvt_pk_f32_fp8_sdwa v[52:53], v13 src0_sel:WORD_1
	v_cvt_pk_f32_fp8_e32 v[62:63], v4
	v_cvt_pkrtz_f16_f32 v56, v56, v57
	s_waitcnt lgkmcnt(0)
	v_mfma_f32_16x16x16_f16 v[10:13], v[10:11], v[46:47], v[66:69]
	v_cvt_pkrtz_f16_f32 v57, v52, v53
	v_cvt_pk_f32_fp8_e32 v[52:53], v2
	s_nop 0
	v_mfma_f32_16x16x16_f16 v[66:69], v[56:57], v[48:49], v[10:13]
	s_nop 2
	v_cvt_pk_f32_fp8_sdwa v[10:11], v2 src0_sel:WORD_1
	v_cvt_pk_f32_fp8_e32 v[12:13], v3
	v_cvt_pkrtz_f16_f32 v2, v52, v53
	v_cvt_pk_f32_fp8_sdwa v[52:53], v3 src0_sel:WORD_1
	v_cvt_pkrtz_f16_f32 v3, v10, v11
	v_cvt_pkrtz_f16_f32 v56, v12, v13
	ds_read_b128 v[10:13], v50 offset:6144
	v_cvt_pkrtz_f16_f32 v57, v52, v53
	s_waitcnt lgkmcnt(0)
	v_mfma_f32_16x16x16_f16 v[66:69], v[2:3], v[10:11], v[66:69]
	ds_read_b128 v[50:53], v50 offset:6160
	v_cvt_pkrtz_f16_f32 v2, v62, v63
	v_cvt_pkrtz_f16_f32 v3, v70, v71
	v_cvt_pk_f32_fp8_e32 v[62:63], v5
	v_mfma_f32_16x16x16_f16 v[66:69], v[56:57], v[12:13], v[66:69]
	v_cvt_pk_f32_fp8_sdwa v[56:57], v5 src0_sel:WORD_1
	v_cvt_pk_f32_fp8_e32 v[70:71], v28
	v_cvt_pkrtz_f16_f32 v62, v62, v63
	s_waitcnt lgkmcnt(0)
	v_mfma_f32_16x16x16_f16 v[2:5], v[2:3], v[50:51], v[66:69]
	v_cvt_pkrtz_f16_f32 v63, v56, v57
	v_cvt_pk_f32_fp8_e32 v[56:57], v26
	s_nop 0
	v_cvt_pk_f32_fp8_sdwa v[66:67], v26 src0_sel:WORD_1
	v_mfma_f32_16x16x16_f16 v[2:5], v[62:63], v[52:53], v[2:5]
	v_cvt_pk_f32_fp8_e32 v[62:63], v27
	v_cvt_pkrtz_f16_f32 v56, v56, v57
	v_cvt_pkrtz_f16_f32 v57, v66, v67
	v_cvt_pk_f32_fp8_sdwa v[26:27], v27 src0_sel:WORD_1
	v_cvt_pkrtz_f16_f32 v62, v62, v63
	v_mfma_f32_16x16x16_f16 v[66:69], v[56:57], v[34:35], 0
	v_cvt_pkrtz_f16_f32 v63, v26, v27
	v_cvt_pkrtz_f16_f32 v26, v70, v71
	;; [unrolled: 1-line block ×3, first 2 shown]
	v_cvt_pk_f32_fp8_e32 v[56:57], v29
	v_mfma_f32_16x16x16_f16 v[34:37], v[62:63], v[36:37], v[66:69]
	v_cvt_pk_f32_fp8_sdwa v[62:63], v29 src0_sel:WORD_1
	v_cvt_pkrtz_f16_f32 v56, v56, v57
	s_barrier
	v_mfma_f32_16x16x16_f16 v[26:29], v[26:27], v[38:39], v[34:37]
	v_cvt_pkrtz_f16_f32 v57, v62, v63
	s_waitcnt vmcnt(2)
	v_cvt_pk_f32_fp8_e32 v[38:39], v19
	v_cvt_pk_f32_fp8_e32 v[34:35], v18
	v_cvt_pk_f32_fp8_sdwa v[36:37], v18 src0_sel:WORD_1
	v_cvt_pk_f32_fp8_sdwa v[18:19], v19 src0_sel:WORD_1
	v_mfma_f32_16x16x16_f16 v[26:29], v[56:57], v[40:41], v[26:29]
	v_cvt_pkrtz_f16_f32 v34, v34, v35
	v_cvt_pkrtz_f16_f32 v35, v36, v37
	v_cvt_pkrtz_f16_f32 v36, v38, v39
	v_cvt_pk_f32_fp8_e32 v[38:39], v20
	v_cvt_pk_f32_fp8_sdwa v[40:41], v20 src0_sel:WORD_1
	v_cvt_pkrtz_f16_f32 v37, v18, v19
	v_mfma_f32_16x16x16_f16 v[26:29], v[34:35], v[30:31], v[26:29]
	v_cvt_pkrtz_f16_f32 v30, v38, v39
	v_cvt_pkrtz_f16_f32 v31, v40, v41
	v_cvt_pk_f32_fp8_e32 v[34:35], v21
	v_cvt_pk_f32_fp8_sdwa v[38:39], v21 src0_sel:WORD_1
	v_mfma_f32_16x16x16_f16 v[18:21], v[36:37], v[32:33], v[26:29]
	s_waitcnt vmcnt(1)
	v_cvt_pk_f32_fp8_sdwa v[32:33], v16 src0_sel:WORD_1
	s_nop 0
	v_cvt_pkrtz_f16_f32 v26, v34, v35
	v_cvt_pkrtz_f16_f32 v27, v38, v39
	v_mfma_f32_16x16x16_f16 v[18:21], v[30:31], v[42:43], v[18:21]
	v_cvt_pk_f32_fp8_e32 v[28:29], v14
	v_cvt_pk_f32_fp8_sdwa v[30:31], v14 src0_sel:WORD_1
	v_cvt_pkrtz_f16_f32 v28, v28, v29
	v_mfma_f32_16x16x16_f16 v[18:21], v[26:27], v[44:45], v[18:21]
	v_cvt_pk_f32_fp8_e32 v[26:27], v15
	v_cvt_pkrtz_f16_f32 v29, v30, v31
	v_cvt_pk_f32_fp8_sdwa v[14:15], v15 src0_sel:WORD_1
	v_cvt_pk_f32_fp8_e32 v[30:31], v16
	v_cvt_pkrtz_f16_f32 v26, v26, v27
	v_mfma_f32_16x16x16_f16 v[18:21], v[28:29], v[22:23], v[18:21]
	v_cvt_pkrtz_f16_f32 v27, v14, v15
	v_cvt_pkrtz_f16_f32 v22, v30, v31
	;; [unrolled: 1-line block ×3, first 2 shown]
	v_cvt_pk_f32_fp8_e32 v[28:29], v17
	v_cvt_pk_f32_fp8_sdwa v[30:31], v17 src0_sel:WORD_1
	v_mfma_f32_16x16x16_f16 v[14:17], v[26:27], v[24:25], v[18:21]
	s_waitcnt vmcnt(0)
	v_cvt_pk_f32_fp8_sdwa v[24:25], v6 src0_sel:WORD_1
	s_nop 0
	v_pk_mul_f32 v[18:19], v[4:5], s[4:5] op_sel_hi:[1,0]
	v_cvt_pkrtz_f16_f32 v4, v28, v29
	v_cvt_pkrtz_f16_f32 v5, v30, v31
	v_mfma_f32_16x16x16_f16 v[14:17], v[22:23], v[46:47], v[14:17]
	v_cvt_pk_f32_fp8_e32 v[22:23], v6
	v_pk_mul_f32 v[20:21], v[2:3], s[4:5] op_sel_hi:[1,0]
	v_mfma_f32_16x16x16_f16 v[2:5], v[4:5], v[48:49], v[14:17]
	s_nop 3
	v_cvt_pk_f32_fp8_e32 v[14:15], v7
	v_cvt_pkrtz_f16_f32 v16, v22, v23
	v_cvt_pkrtz_f16_f32 v17, v24, v25
	v_cvt_pk_f32_fp8_sdwa v[6:7], v7 src0_sel:WORD_1
	v_cvt_pkrtz_f16_f32 v14, v14, v15
	v_cvt_pk_f32_fp8_e32 v[22:23], v8
	v_cvt_pk_f32_fp8_sdwa v[24:25], v8 src0_sel:WORD_1
	v_cvt_pkrtz_f16_f32 v15, v6, v7
	v_mfma_f32_16x16x16_f16 v[2:5], v[16:17], v[10:11], v[2:5]
	v_cvt_pkrtz_f16_f32 v6, v22, v23
	v_cvt_pkrtz_f16_f32 v7, v24, v25
	v_cvt_pk_f32_fp8_e32 v[10:11], v9
	v_cvt_pk_f32_fp8_sdwa v[8:9], v9 src0_sel:WORD_1
	v_mfma_f32_16x16x16_f16 v[2:5], v[14:15], v[12:13], v[2:5]
	v_cvt_f16_f32_e32 v12, v20
	v_cvt_pkrtz_f16_f32 v10, v10, v11
	v_cvt_pkrtz_f16_f32 v11, v8, v9
	v_mfma_f32_16x16x16_f16 v[2:5], v[6:7], v[50:51], v[2:5]
	v_cvt_f16_f32_e32 v6, v21
	v_cvt_f16_f32_e32 v7, v18
	;; [unrolled: 1-line block ×3, first 2 shown]
	v_mfma_f32_16x16x16_f16 v[2:5], v[10:11], v[52:53], v[2:5]
	s_nop 6
	v_pk_mul_f32 v[4:5], v[4:5], s[4:5] op_sel_hi:[1,0]
	v_pk_mul_f32 v[2:3], v[2:3], s[4:5] op_sel_hi:[1,0]
	v_cvt_f16_f32_e32 v11, v4
	v_cvt_f16_f32_e32 v9, v2
	v_cvt_f16_f32_e32 v10, v3
	v_cvt_f16_f32_e32 v5, v5
	v_pack_b32_f16 v2, v12, v6
	v_pack_b32_f16 v3, v7, v8
	;; [unrolled: 1-line block ×4, first 2 shown]
	ds_write2st64_b64 v54, v[2:3], v[4:5] offset1:1
	s_waitcnt lgkmcnt(0)
	s_barrier
	s_and_saveexec_b64 s[4:5], vcc
	s_cbranch_execz .LBB959_17
; %bb.16:
	s_load_dwordx2 s[0:1], s[0:1], 0x68
	s_lshl_b32 s6, s6, 7
	s_mul_i32 s2, s7, s2
	s_mul_hi_u32 s5, s2, s6
	s_mul_i32 s4, s2, s6
	s_lshl_b64 s[4:5], s[4:5], 1
	v_lshlrev_b32_e32 v4, 6, v60
	s_waitcnt lgkmcnt(0)
	s_add_u32 s4, s0, s4
	v_lshl_or_b32 v0, v0, 10, v4
	s_addc_u32 s5, s1, s5
	s_lshl_b32 s2, s24, 7
	v_lshlrev_b32_e32 v2, 5, v1
	v_and_b32_e32 v3, 16, v64
	v_and_b32_e32 v0, 0x1a00, v0
	s_lshl_b64 s[0:1], s[2:3], 1
	v_or3_b32 v0, v0, v2, v3
	s_add_u32 s0, s4, s0
	ds_read_b128 v[2:5], v0
	ds_read_b128 v[6:9], v0 offset:128
	ds_read_b128 v[10:13], v0 offset:256
	s_addc_u32 s1, s5, s1
	v_or_b32_e32 v16, s48, v1
	v_mov_b32_e32 v59, 0
	v_lshl_add_u64 v[0:1], s[0:1], 0, v[58:59]
	v_mad_u64_u32 v[14:15], s[0:1], v16, s6, 0
	v_lshl_add_u64 v[14:15], v[14:15], 1, v[0:1]
	s_waitcnt lgkmcnt(2)
	global_store_dwordx4 v[14:15], v[2:5], off
	s_nop 1
	v_add_u32_e32 v2, 4, v16
	v_mad_u64_u32 v[2:3], s[0:1], v2, s6, 0
	v_lshl_add_u64 v[2:3], v[2:3], 1, v[0:1]
	s_waitcnt lgkmcnt(1)
	global_store_dwordx4 v[2:3], v[6:9], off
	v_add_u32_e32 v2, 8, v16
	v_mad_u64_u32 v[2:3], s[0:1], v2, s6, 0
	v_lshl_add_u64 v[0:1], v[2:3], 1, v[0:1]
	s_waitcnt lgkmcnt(0)
	global_store_dwordx4 v[0:1], v[10:13], off
.LBB959_17:
	s_endpgm
	.section	.rodata,"a",@progbits
	.p2align	6, 0x0
	.amdhsa_kernel _Z39paged_attention_ll4mi_QKV_mfma16_kernelIDF16_hLN4vllm18Fp8KVCacheDataTypeE1EhLi16ELi128ELi256ELb0ELi12EEvPKT_PKT0_S7_ifPKiS9_S9_iPKfiiiPfSC_PS2_PT2_iSB_SB_
		.amdhsa_group_segment_fixed_size 8192
		.amdhsa_private_segment_fixed_size 0
		.amdhsa_kernarg_size 400
		.amdhsa_user_sgpr_count 2
		.amdhsa_user_sgpr_dispatch_ptr 0
		.amdhsa_user_sgpr_queue_ptr 0
		.amdhsa_user_sgpr_kernarg_segment_ptr 1
		.amdhsa_user_sgpr_dispatch_id 0
		.amdhsa_user_sgpr_kernarg_preload_length 0
		.amdhsa_user_sgpr_kernarg_preload_offset 0
		.amdhsa_user_sgpr_private_segment_size 0
		.amdhsa_uses_dynamic_stack 0
		.amdhsa_enable_private_segment 0
		.amdhsa_system_sgpr_workgroup_id_x 1
		.amdhsa_system_sgpr_workgroup_id_y 1
		.amdhsa_system_sgpr_workgroup_id_z 1
		.amdhsa_system_sgpr_workgroup_info 0
		.amdhsa_system_vgpr_workitem_id 0
		.amdhsa_next_free_vgpr 88
		.amdhsa_next_free_sgpr 50
		.amdhsa_accum_offset 88
		.amdhsa_reserve_vcc 1
		.amdhsa_float_round_mode_32 0
		.amdhsa_float_round_mode_16_64 0
		.amdhsa_float_denorm_mode_32 3
		.amdhsa_float_denorm_mode_16_64 3
		.amdhsa_dx10_clamp 1
		.amdhsa_ieee_mode 1
		.amdhsa_fp16_overflow 0
		.amdhsa_tg_split 0
		.amdhsa_exception_fp_ieee_invalid_op 0
		.amdhsa_exception_fp_denorm_src 0
		.amdhsa_exception_fp_ieee_div_zero 0
		.amdhsa_exception_fp_ieee_overflow 0
		.amdhsa_exception_fp_ieee_underflow 0
		.amdhsa_exception_fp_ieee_inexact 0
		.amdhsa_exception_int_div_zero 0
	.end_amdhsa_kernel
	.section	.text._Z39paged_attention_ll4mi_QKV_mfma16_kernelIDF16_hLN4vllm18Fp8KVCacheDataTypeE1EhLi16ELi128ELi256ELb0ELi12EEvPKT_PKT0_S7_ifPKiS9_S9_iPKfiiiPfSC_PS2_PT2_iSB_SB_,"axG",@progbits,_Z39paged_attention_ll4mi_QKV_mfma16_kernelIDF16_hLN4vllm18Fp8KVCacheDataTypeE1EhLi16ELi128ELi256ELb0ELi12EEvPKT_PKT0_S7_ifPKiS9_S9_iPKfiiiPfSC_PS2_PT2_iSB_SB_,comdat
.Lfunc_end959:
	.size	_Z39paged_attention_ll4mi_QKV_mfma16_kernelIDF16_hLN4vllm18Fp8KVCacheDataTypeE1EhLi16ELi128ELi256ELb0ELi12EEvPKT_PKT0_S7_ifPKiS9_S9_iPKfiiiPfSC_PS2_PT2_iSB_SB_, .Lfunc_end959-_Z39paged_attention_ll4mi_QKV_mfma16_kernelIDF16_hLN4vllm18Fp8KVCacheDataTypeE1EhLi16ELi128ELi256ELb0ELi12EEvPKT_PKT0_S7_ifPKiS9_S9_iPKfiiiPfSC_PS2_PT2_iSB_SB_
                                        ; -- End function
	.section	.AMDGPU.csdata,"",@progbits
; Kernel info:
; codeLenInByte = 6032
; NumSgprs: 56
; NumVgprs: 88
; NumAgprs: 0
; TotalNumVgprs: 88
; ScratchSize: 0
; MemoryBound: 0
; FloatMode: 240
; IeeeMode: 1
; LDSByteSize: 8192 bytes/workgroup (compile time only)
; SGPRBlocks: 6
; VGPRBlocks: 10
; NumSGPRsForWavesPerEU: 56
; NumVGPRsForWavesPerEU: 88
; AccumOffset: 88
; Occupancy: 5
; WaveLimiterHint : 1
; COMPUTE_PGM_RSRC2:SCRATCH_EN: 0
; COMPUTE_PGM_RSRC2:USER_SGPR: 2
; COMPUTE_PGM_RSRC2:TRAP_HANDLER: 0
; COMPUTE_PGM_RSRC2:TGID_X_EN: 1
; COMPUTE_PGM_RSRC2:TGID_Y_EN: 1
; COMPUTE_PGM_RSRC2:TGID_Z_EN: 1
; COMPUTE_PGM_RSRC2:TIDIG_COMP_CNT: 0
; COMPUTE_PGM_RSRC3_GFX90A:ACCUM_OFFSET: 21
; COMPUTE_PGM_RSRC3_GFX90A:TG_SPLIT: 0
	.section	.text._Z39paged_attention_ll4mi_QKV_mfma16_kernelIDF16_hLN4vllm18Fp8KVCacheDataTypeE1EhLi16ELi128ELi256ELb0ELi13EEvPKT_PKT0_S7_ifPKiS9_S9_iPKfiiiPfSC_PS2_PT2_iSB_SB_,"axG",@progbits,_Z39paged_attention_ll4mi_QKV_mfma16_kernelIDF16_hLN4vllm18Fp8KVCacheDataTypeE1EhLi16ELi128ELi256ELb0ELi13EEvPKT_PKT0_S7_ifPKiS9_S9_iPKfiiiPfSC_PS2_PT2_iSB_SB_,comdat
	.protected	_Z39paged_attention_ll4mi_QKV_mfma16_kernelIDF16_hLN4vllm18Fp8KVCacheDataTypeE1EhLi16ELi128ELi256ELb0ELi13EEvPKT_PKT0_S7_ifPKiS9_S9_iPKfiiiPfSC_PS2_PT2_iSB_SB_ ; -- Begin function _Z39paged_attention_ll4mi_QKV_mfma16_kernelIDF16_hLN4vllm18Fp8KVCacheDataTypeE1EhLi16ELi128ELi256ELb0ELi13EEvPKT_PKT0_S7_ifPKiS9_S9_iPKfiiiPfSC_PS2_PT2_iSB_SB_
	.globl	_Z39paged_attention_ll4mi_QKV_mfma16_kernelIDF16_hLN4vllm18Fp8KVCacheDataTypeE1EhLi16ELi128ELi256ELb0ELi13EEvPKT_PKT0_S7_ifPKiS9_S9_iPKfiiiPfSC_PS2_PT2_iSB_SB_
	.p2align	8
	.type	_Z39paged_attention_ll4mi_QKV_mfma16_kernelIDF16_hLN4vllm18Fp8KVCacheDataTypeE1EhLi16ELi128ELi256ELb0ELi13EEvPKT_PKT0_S7_ifPKiS9_S9_iPKfiiiPfSC_PS2_PT2_iSB_SB_,@function
_Z39paged_attention_ll4mi_QKV_mfma16_kernelIDF16_hLN4vllm18Fp8KVCacheDataTypeE1EhLi16ELi128ELi256ELb0ELi13EEvPKT_PKT0_S7_ifPKiS9_S9_iPKfiiiPfSC_PS2_PT2_iSB_SB_: ; @_Z39paged_attention_ll4mi_QKV_mfma16_kernelIDF16_hLN4vllm18Fp8KVCacheDataTypeE1EhLi16ELi128ELi256ELb0ELi13EEvPKT_PKT0_S7_ifPKiS9_S9_iPKfiiiPfSC_PS2_PT2_iSB_SB_
; %bb.0:
	s_load_dwordx2 s[12:13], s[0:1], 0x30
	s_mov_b32 s24, s3
	s_mov_b64 s[6:7], 0
	s_waitcnt lgkmcnt(0)
	s_cmp_lg_u64 s[12:13], 0
	s_cselect_b64 s[14:15], -1, 0
	s_and_b64 vcc, exec, s[14:15]
	s_cbranch_vccz .LBB960_7
; %bb.1:
	s_add_i32 s8, s2, 1
	s_mov_b32 s9, 0
	s_lshl_b64 s[10:11], s[8:9], 2
	s_add_u32 s10, s12, s10
	s_mov_b32 s3, s9
	s_addc_u32 s11, s13, s11
	s_lshl_b64 s[8:9], s[2:3], 2
	s_add_u32 s8, s12, s8
	s_addc_u32 s9, s13, s9
	s_load_dword s5, s[10:11], 0x0
	s_load_dword s16, s[8:9], 0x0
	s_waitcnt lgkmcnt(0)
	s_sub_i32 s5, s5, s16
	s_cmp_eq_u32 s5, 1
	s_cselect_b64 s[8:9], -1, 0
	s_andn2_b64 vcc, exec, s[6:7]
	s_cbranch_vccnz .LBB960_3
.LBB960_2:
	s_mov_b32 s3, 0
	s_mov_b64 s[8:9], -1
.LBB960_3:
	s_andn2_b64 vcc, exec, s[8:9]
	s_cbranch_vccnz .LBB960_18
; %bb.4:
	s_load_dwordx2 s[6:7], s[0:1], 0x28
	s_lshl_b64 s[16:17], s[2:3], 2
	s_waitcnt lgkmcnt(0)
	s_add_u32 s6, s6, s16
	s_addc_u32 s7, s7, s17
	s_load_dword s33, s[6:7], 0x0
	s_lshl_b32 s18, s24, 8
	s_waitcnt lgkmcnt(0)
	s_cmp_ge_i32 s18, s33
	s_cbranch_scc1 .LBB960_18
; %bb.5:
	s_load_dwordx2 s[6:7], s[0:1], 0x20
	s_load_dword s8, s[0:1], 0x38
	s_add_i32 s5, s33, 15
	s_ashr_i32 s9, s5, 31
	v_and_b32_e32 v1, 0xcf, v0
	s_lshr_b32 s9, s9, 28
	v_add_u32_e32 v1, s18, v1
	s_add_i32 s5, s5, s9
	v_ashrrev_i32_e32 v2, 31, v1
	s_ashr_i32 s5, s5, 4
	v_lshrrev_b32_e32 v10, 28, v2
	s_add_i32 s5, s5, -1
	s_waitcnt lgkmcnt(0)
	s_mul_i32 s8, s2, s8
	s_mov_b32 s9, 0
	v_add_u32_e32 v2, v1, v10
	s_lshl_b64 s[8:9], s[8:9], 2
	v_ashrrev_i32_e32 v2, 4, v2
	v_mov_b32_e32 v11, s5
	v_cmp_gt_i32_e32 vcc, s33, v1
	s_add_u32 s6, s6, s8
	s_addc_u32 s7, s7, s9
	v_cndmask_b32_e32 v2, v11, v2, vcc
	v_ashrrev_i32_e32 v3, 31, v2
	v_lshl_add_u64 v[4:5], v[2:3], 2, s[6:7]
	v_or_b32_e32 v2, 16, v1
	v_add_u32_e32 v3, v2, v10
	v_ashrrev_i32_e32 v3, 4, v3
	v_cmp_gt_i32_e32 vcc, s33, v2
	s_load_dwordx4 s[8:11], s[0:1], 0x8
	s_nop 0
	v_cndmask_b32_e32 v2, v11, v3, vcc
	v_ashrrev_i32_e32 v3, 31, v2
	v_lshl_add_u64 v[6:7], v[2:3], 2, s[6:7]
	v_or_b32_e32 v2, 32, v1
	v_add_u32_e32 v3, v2, v10
	v_ashrrev_i32_e32 v3, 4, v3
	v_cmp_gt_i32_e32 vcc, s33, v2
	v_or_b32_e32 v1, 48, v1
	s_nop 0
	v_cndmask_b32_e32 v2, v11, v3, vcc
	v_ashrrev_i32_e32 v3, 31, v2
	v_lshl_add_u64 v[8:9], v[2:3], 2, s[6:7]
	v_add_u32_e32 v2, v1, v10
	v_ashrrev_i32_e32 v2, 4, v2
	v_cmp_gt_i32_e32 vcc, s33, v1
	s_nop 1
	v_cndmask_b32_e32 v2, v11, v2, vcc
	v_ashrrev_i32_e32 v3, 31, v2
	v_lshl_add_u64 v[10:11], v[2:3], 2, s[6:7]
	global_load_dword v3, v[4:5], off
	global_load_dword v2, v[6:7], off
	global_load_dword v34, v[8:9], off
	global_load_dword v35, v[10:11], off
	s_andn2_b64 vcc, exec, s[14:15]
	s_cbranch_vccnz .LBB960_8
; %bb.6:
	s_add_u32 s12, s12, s16
	s_addc_u32 s13, s13, s17
	s_load_dword s14, s[12:13], 0x0
	s_branch .LBB960_9
.LBB960_7:
	s_mov_b64 s[8:9], 0
	s_branch .LBB960_2
.LBB960_8:
	s_mov_b32 s14, s2
.LBB960_9:
	s_load_dwordx4 s[44:47], s[0:1], 0x48
	v_lshrrev_b32_e32 v61, 6, v0
	v_bfe_u32 v64, v0, 4, 2
	v_and_b32_e32 v60, 15, v0
	v_lshl_or_b32 v4, v61, 2, v64
	v_lshlrev_b32_e32 v1, 3, v60
	v_and_b32_e32 v65, 63, v0
	s_mul_i32 s48, s4, 13
	v_cmp_gt_u32_e32 vcc, 13, v4
	v_lshlrev_b32_e32 v58, 1, v1
	v_lshlrev_b32_e32 v1, 4, v0
	s_and_saveexec_b64 s[12:13], vcc
	s_cbranch_execz .LBB960_11
; %bb.10:
	s_load_dwordx2 s[16:17], s[0:1], 0x0
	s_waitcnt lgkmcnt(0)
	s_ashr_i32 s15, s44, 31
	s_mul_hi_u32 s19, s14, s44
	s_mul_i32 s15, s14, s15
	s_add_i32 s15, s19, s15
	s_mul_i32 s14, s14, s44
	s_lshl_b64 s[14:15], s[14:15], 1
	s_add_u32 s14, s16, s14
	v_add_lshl_u32 v6, v4, s48, 7
	s_addc_u32 s15, s17, s15
	v_ashrrev_i32_e32 v7, 31, v6
	v_lshl_add_u64 v[6:7], v[6:7], 1, s[14:15]
	v_mov_b32_e32 v59, 0
	v_lshl_add_u64 v[6:7], v[6:7], 0, v[58:59]
	global_load_dwordx4 v[6:9], v[6:7], off
	v_lshlrev_b32_e32 v10, 8, v0
	v_lshlrev_b32_e32 v5, 8, v60
	v_and_b32_e32 v10, 0x600, v10
	s_movk_i32 s14, 0x800
	v_and_or_b32 v5, v5, s14, v10
	v_lshlrev_b32_e32 v4, 5, v4
	v_and_b32_e32 v10, 16, v1
	v_or3_b32 v4, v5, v4, v10
	s_waitcnt vmcnt(0)
	ds_write_b128 v4, v[6:9]
.LBB960_11:
	s_or_b64 exec, exec, s[12:13]
	s_waitcnt lgkmcnt(0)
	s_mul_i32 s4, s4, s46
	s_add_u32 s8, s8, s4
	s_addc_u32 s9, s9, 0
	v_and_b32_e32 v62, 0xf0, v1
	v_mov_b32_e32 v63, 0
	v_and_b32_e32 v6, 48, v0
	v_lshl_add_u64 v[30:31], s[8:9], 0, v[62:63]
	v_lshlrev_b32_e32 v62, 4, v6
	s_waitcnt vmcnt(3)
	v_mad_i64_i32 v[4:5], s[8:9], v3, s45, v[30:31]
	v_lshl_add_u64 v[4:5], v[4:5], 0, v[62:63]
	s_load_dword s25, s[0:1], 0x98
	s_load_dwordx4 s[40:43], s[0:1], 0x80
	s_waitcnt lgkmcnt(0)
	s_barrier
	global_load_dwordx4 v[22:25], v[4:5], off
	global_load_dwordx4 v[10:13], v[4:5], off offset:1024
	s_waitcnt vmcnt(4)
	v_mad_i64_i32 v[2:3], s[8:9], v2, s45, v[30:31]
	v_lshl_add_u64 v[32:33], v[2:3], 0, v[62:63]
	global_load_dwordx4 v[2:5], v[32:33], off
	v_add_u32_e32 v7, -13, v60
	v_cmp_gt_u32_e32 vcc, 13, v60
	v_or_b32_e32 v6, s18, v6
	v_mov_b32_e32 v38, s5
	v_cndmask_b32_e32 v7, v7, v60, vcc
	v_lshlrev_b32_e32 v7, 5, v7
	v_ashrrev_i32_e32 v8, 4, v6
	v_lshl_add_u32 v7, v64, 9, v7
	v_cmp_gt_i32_e32 vcc, s33, v6
	v_or_b32_e32 v39, 64, v6
	v_or_b32_e32 v43, 0x80, v6
	;; [unrolled: 1-line block ×3, first 2 shown]
	v_cndmask_b32_e32 v40, v38, v8, vcc
	ds_read_b128 v[26:29], v7
	ds_read_b128 v[18:21], v7 offset:16
	ds_read_b128 v[14:17], v7 offset:2048
	;; [unrolled: 1-line block ×3, first 2 shown]
	s_waitcnt vmcnt(4)
	v_mad_i64_i32 v[36:37], s[12:13], v34, s45, v[30:31]
	s_waitcnt vmcnt(3)
	v_mad_i64_i32 v[34:35], s[12:13], v35, s45, v[30:31]
	global_load_dwordx4 v[30:33], v[32:33], off offset:1024
	v_ashrrev_i32_e32 v42, 4, v39
	v_cmp_gt_i32_e32 vcc, s33, v39
	v_ashrrev_i32_e32 v44, 4, v43
	v_ashrrev_i32_e32 v46, 4, v45
	v_cndmask_b32_e32 v42, v38, v42, vcc
	v_cmp_gt_i32_e32 vcc, s33, v43
	v_ashrrev_i32_e32 v41, 31, v40
	v_lshl_add_u64 v[36:37], v[36:37], 0, v[62:63]
	v_cndmask_b32_e32 v44, v38, v44, vcc
	v_cmp_gt_i32_e32 vcc, s33, v45
	v_lshl_add_u64 v[34:35], v[34:35], 0, v[62:63]
	v_ashrrev_i32_e32 v43, 31, v42
	v_cndmask_b32_e32 v38, v38, v46, vcc
	v_ashrrev_i32_e32 v45, 31, v44
	v_ashrrev_i32_e32 v39, 31, v38
	v_lshl_add_u64 v[50:51], v[40:41], 2, s[6:7]
	v_lshl_add_u64 v[52:53], v[42:43], 2, s[6:7]
	v_lshl_add_u64 v[54:55], v[44:45], 2, s[6:7]
	v_lshl_add_u64 v[56:57], v[38:39], 2, s[6:7]
	global_load_dwordx4 v[46:49], v[36:37], off
	global_load_dwordx4 v[42:45], v[36:37], off offset:1024
	global_load_dwordx4 v[38:41], v[34:35], off
	s_nop 0
	global_load_dwordx4 v[34:37], v[34:35], off offset:1024
	s_nop 0
	global_load_dword v69, v[50:51], off
	global_load_dword v68, v[52:53], off
	;; [unrolled: 1-line block ×4, first 2 shown]
	s_add_u32 s4, s10, s4
	v_lshl_or_b32 v59, v61, 4, v60
	s_addc_u32 s5, s11, 0
	v_lshlrev_b32_e32 v62, 4, v59
	s_load_dword s8, s[0:1], 0x1c
	s_waitcnt vmcnt(11)
	v_cvt_pk_f32_fp8_e32 v[50:51], v22
	v_cvt_pk_f32_fp8_sdwa v[52:53], v22 src0_sel:WORD_1
	v_cvt_pk_f32_fp8_e32 v[54:55], v23
	v_cvt_pk_f32_fp8_sdwa v[56:57], v23 src0_sel:WORD_1
	v_cvt_pk_f32_fp8_e32 v[70:71], v24
	v_cvt_pk_f32_fp8_sdwa v[72:73], v24 src0_sel:WORD_1
	v_cvt_pk_f32_fp8_e32 v[74:75], v25
	v_cvt_pk_f32_fp8_sdwa v[76:77], v25 src0_sel:WORD_1
	s_waitcnt vmcnt(9)
	v_cvt_pk_f32_fp8_e32 v[22:23], v2
	v_cvt_pk_f32_fp8_sdwa v[24:25], v2 src0_sel:WORD_1
	v_cvt_pkrtz_f16_f32 v50, v50, v51
	v_cvt_pkrtz_f16_f32 v51, v52, v53
	v_cvt_pk_f32_fp8_e32 v[78:79], v10
	v_cvt_pk_f32_fp8_sdwa v[80:81], v10 src0_sel:WORD_1
	v_cvt_pk_f32_fp8_e32 v[52:53], v11
	v_cvt_pk_f32_fp8_sdwa v[82:83], v11 src0_sel:WORD_1
	v_cvt_pkrtz_f16_f32 v10, v22, v23
	v_cvt_pkrtz_f16_f32 v11, v24, v25
	;; [unrolled: 1-line block ×4, first 2 shown]
	s_waitcnt lgkmcnt(0)
	v_mfma_f32_16x16x16_f16 v[22:25], v[50:51], v[26:27], 0
	v_cvt_pk_f32_fp8_e32 v[50:51], v12
	v_cvt_pk_f32_fp8_sdwa v[86:87], v12 src0_sel:WORD_1
	v_cvt_pkrtz_f16_f32 v50, v50, v51
	v_mfma_f32_16x16x16_f16 v[54:57], v[10:11], v[26:27], 0
	v_cvt_pkrtz_f16_f32 v10, v70, v71
	v_cvt_pkrtz_f16_f32 v11, v72, v73
	;; [unrolled: 1-line block ×3, first 2 shown]
	v_mfma_f32_16x16x16_f16 v[22:25], v[84:85], v[28:29], v[22:25]
	v_cvt_pkrtz_f16_f32 v73, v76, v77
	v_cvt_pkrtz_f16_f32 v76, v78, v79
	v_cvt_pkrtz_f16_f32 v77, v80, v81
	v_mfma_f32_16x16x16_f16 v[22:25], v[10:11], v[18:19], v[22:25]
	v_cvt_pk_f32_fp8_e32 v[70:71], v13
	v_cvt_pk_f32_fp8_sdwa v[74:75], v13 src0_sel:WORD_1
	v_cvt_pkrtz_f16_f32 v51, v86, v87
	v_mfma_f32_16x16x16_f16 v[10:13], v[72:73], v[20:21], v[22:25]
	s_waitcnt vmcnt(7)
	v_cvt_pk_f32_fp8_e32 v[72:73], v49
	s_nop 0
	v_cvt_pkrtz_f16_f32 v24, v52, v53
	v_cvt_pkrtz_f16_f32 v25, v82, v83
	v_mfma_f32_16x16x16_f16 v[10:13], v[76:77], v[14:15], v[10:13]
	v_cvt_pk_f32_fp8_e32 v[22:23], v3
	v_cvt_pk_f32_fp8_sdwa v[2:3], v3 src0_sel:WORD_1
	v_cvt_pkrtz_f16_f32 v52, v70, v71
	v_mfma_f32_16x16x16_f16 v[10:13], v[24:25], v[16:17], v[10:13]
	v_cvt_pkrtz_f16_f32 v53, v74, v75
	v_cvt_pk_f32_fp8_e32 v[24:25], v4
	v_cvt_pk_f32_fp8_sdwa v[70:71], v4 src0_sel:WORD_1
	v_mfma_f32_16x16x16_f16 v[10:13], v[50:51], v[6:7], v[10:13]
	v_cvt_pkrtz_f16_f32 v22, v22, v23
	v_cvt_pkrtz_f16_f32 v23, v2, v3
	s_waitcnt vmcnt(6)
	v_cvt_pk_f32_fp8_sdwa v[76:77], v44 src0_sel:WORD_1
	v_mfma_f32_16x16x16_f16 v[50:53], v[52:53], v[8:9], v[10:13]
	s_nop 2
	v_cvt_pkrtz_f16_f32 v10, v24, v25
	v_cvt_pkrtz_f16_f32 v11, v70, v71
	v_cvt_pk_f32_fp8_e32 v[12:13], v5
	v_cvt_pk_f32_fp8_sdwa v[24:25], v5 src0_sel:WORD_1
	v_mfma_f32_16x16x16_f16 v[2:5], v[22:23], v[28:29], v[54:57]
	v_cvt_pk_f32_fp8_sdwa v[22:23], v30 src0_sel:WORD_1
	v_cvt_pkrtz_f16_f32 v12, v12, v13
	v_cvt_pkrtz_f16_f32 v13, v24, v25
	v_mfma_f32_16x16x16_f16 v[2:5], v[10:11], v[18:19], v[2:5]
	v_cvt_pk_f32_fp8_e32 v[10:11], v30
	v_cvt_pk_f32_fp8_e32 v[24:25], v32
	v_lshl_add_u64 v[70:71], s[4:5], 0, v[62:63]
	v_mfma_f32_16x16x16_f16 v[2:5], v[12:13], v[20:21], v[2:5]
	v_cvt_pk_f32_fp8_e32 v[12:13], v31
	v_cvt_pkrtz_f16_f32 v10, v10, v11
	v_cvt_pkrtz_f16_f32 v11, v22, v23
	v_cvt_pk_f32_fp8_sdwa v[22:23], v31 src0_sel:WORD_1
	v_cvt_pkrtz_f16_f32 v12, v12, v13
	v_cvt_pk_f32_fp8_sdwa v[30:31], v32 src0_sel:WORD_1
	v_mfma_f32_16x16x16_f16 v[2:5], v[10:11], v[14:15], v[2:5]
	v_cvt_pkrtz_f16_f32 v13, v22, v23
	v_cvt_pkrtz_f16_f32 v10, v24, v25
	;; [unrolled: 1-line block ×3, first 2 shown]
	v_cvt_pk_f32_fp8_e32 v[22:23], v33
	v_cvt_pk_f32_fp8_sdwa v[24:25], v33 src0_sel:WORD_1
	v_mfma_f32_16x16x16_f16 v[2:5], v[12:13], v[16:17], v[2:5]
	v_or_b32_e32 v62, 0x400, v62
	v_cvt_pkrtz_f16_f32 v12, v22, v23
	v_cvt_pkrtz_f16_f32 v13, v24, v25
	v_mfma_f32_16x16x16_f16 v[2:5], v[10:11], v[6:7], v[2:5]
	v_cvt_pk_f32_fp8_e32 v[10:11], v46
	v_cvt_pk_f32_fp8_sdwa v[22:23], v46 src0_sel:WORD_1
	v_cvt_pk_f32_fp8_sdwa v[24:25], v48 src0_sel:WORD_1
	v_mfma_f32_16x16x16_f16 v[54:57], v[12:13], v[8:9], v[2:5]
	s_waitcnt vmcnt(3)
	v_mad_i64_i32 v[12:13], s[6:7], v69, s45, v[70:71]
	s_nop 0
	v_cvt_pkrtz_f16_f32 v2, v10, v11
	v_cvt_pkrtz_f16_f32 v3, v22, v23
	v_cvt_pk_f32_fp8_e32 v[4:5], v47
	v_cvt_pk_f32_fp8_sdwa v[10:11], v47 src0_sel:WORD_1
	s_waitcnt vmcnt(2)
	v_mad_i64_i32 v[46:47], s[6:7], v68, s45, v[70:71]
	v_cvt_pkrtz_f16_f32 v22, v4, v5
	v_cvt_pkrtz_f16_f32 v23, v10, v11
	v_cvt_pk_f32_fp8_e32 v[10:11], v48
	v_mfma_f32_16x16x16_f16 v[2:5], v[2:3], v[26:27], 0
	v_cvt_pk_f32_fp8_sdwa v[48:49], v49 src0_sel:WORD_1
	v_cvt_pkrtz_f16_f32 v10, v10, v11
	v_cvt_pkrtz_f16_f32 v11, v24, v25
	v_mfma_f32_16x16x16_f16 v[2:5], v[22:23], v[28:29], v[2:5]
	global_load_dwordx4 v[30:33], v[12:13], off
	global_load_dwordx4 v[22:25], v[46:47], off
	v_cvt_pkrtz_f16_f32 v12, v72, v73
	v_cvt_pkrtz_f16_f32 v13, v48, v49
	v_mfma_f32_16x16x16_f16 v[2:5], v[10:11], v[18:19], v[2:5]
	v_cvt_pk_f32_fp8_e32 v[10:11], v42
	v_cvt_pk_f32_fp8_sdwa v[46:47], v42 src0_sel:WORD_1
	s_waitcnt vmcnt(3)
	v_mad_i64_i32 v[72:73], s[6:7], v67, s45, v[70:71]
	v_mfma_f32_16x16x16_f16 v[2:5], v[12:13], v[20:21], v[2:5]
	v_cvt_pkrtz_f16_f32 v10, v10, v11
	v_cvt_pkrtz_f16_f32 v11, v46, v47
	v_cvt_pk_f32_fp8_e32 v[12:13], v43
	v_cvt_pk_f32_fp8_sdwa v[42:43], v43 src0_sel:WORD_1
	v_mfma_f32_16x16x16_f16 v[46:49], v[10:11], v[14:15], v[2:5]
	v_cvt_pkrtz_f16_f32 v74, v12, v13
	v_cvt_pkrtz_f16_f32 v75, v42, v43
	v_cvt_pk_f32_fp8_e32 v[42:43], v44
	s_waitcnt vmcnt(2)
	v_mad_i64_i32 v[70:71], s[6:7], v66, s45, v[70:71]
	global_load_dwordx4 v[10:13], v[72:73], off
	global_load_dwordx4 v[2:5], v[70:71], off
	v_cvt_pkrtz_f16_f32 v70, v42, v43
	v_cvt_pkrtz_f16_f32 v71, v76, v77
	v_cvt_pk_f32_fp8_e32 v[72:73], v45
	v_cvt_pk_f32_fp8_sdwa v[76:77], v45 src0_sel:WORD_1
	v_mfma_f32_16x16x16_f16 v[44:47], v[74:75], v[16:17], v[46:49]
	v_lshl_add_u64 v[42:43], s[4:5], 0, v[62:63]
	v_cvt_pk_f32_fp8_e32 v[62:63], v38
	v_cvt_pk_f32_fp8_sdwa v[74:75], v38 src0_sel:WORD_1
	v_cvt_pkrtz_f16_f32 v48, v72, v73
	v_cvt_pkrtz_f16_f32 v49, v76, v77
	v_mfma_f32_16x16x16_f16 v[44:47], v[70:71], v[6:7], v[44:47]
	s_load_dword s4, s[40:41], 0x0
	s_mov_b32 s40, 0xff7fffff
	v_mfma_f32_16x16x16_f16 v[70:73], v[48:49], v[8:9], v[44:47]
	s_nop 3
	v_cvt_pk_f32_fp8_e32 v[44:45], v39
	v_cvt_pkrtz_f16_f32 v46, v62, v63
	v_cvt_pkrtz_f16_f32 v47, v74, v75
	v_cvt_pk_f32_fp8_sdwa v[38:39], v39 src0_sel:WORD_1
	v_cvt_pkrtz_f16_f32 v48, v44, v45
	v_cvt_pk_f32_fp8_e32 v[62:63], v40
	v_cvt_pk_f32_fp8_sdwa v[74:75], v40 src0_sel:WORD_1
	v_cvt_pkrtz_f16_f32 v49, v38, v39
	v_mfma_f32_16x16x16_f16 v[44:47], v[46:47], v[26:27], 0
	v_cvt_pkrtz_f16_f32 v38, v62, v63
	v_cvt_pkrtz_f16_f32 v39, v74, v75
	v_cvt_pk_f32_fp8_e32 v[62:63], v41
	v_cvt_pk_f32_fp8_sdwa v[74:75], v41 src0_sel:WORD_1
	v_mov_b32_e32 v26, s8
	s_waitcnt lgkmcnt(0)
	v_mul_f32_e32 v76, s4, v26
	v_mfma_f32_16x16x16_f16 v[26:29], v[48:49], v[28:29], v[44:47]
	v_cvt_pk_f32_fp8_sdwa v[48:49], v37 src0_sel:WORD_1
	v_pk_mul_f32 v[40:41], v[76:77], v[52:53] op_sel_hi:[0,1]
	v_pk_mul_f32 v[52:53], v[76:77], v[54:55] op_sel_hi:[0,1]
	v_cvt_pkrtz_f16_f32 v46, v62, v63
	v_cvt_pkrtz_f16_f32 v47, v74, v75
	v_mfma_f32_16x16x16_f16 v[26:29], v[38:39], v[18:19], v[26:29]
	v_cvt_pk_f32_fp8_e32 v[18:19], v34
	v_cvt_pk_f32_fp8_sdwa v[38:39], v34 src0_sel:WORD_1
	v_pk_mul_f32 v[44:45], v[76:77], v[50:51] op_sel_hi:[0,1]
	v_mfma_f32_16x16x16_f16 v[26:29], v[46:47], v[20:21], v[26:29]
	v_cvt_pkrtz_f16_f32 v20, v18, v19
	v_cvt_pkrtz_f16_f32 v21, v38, v39
	v_cvt_pk_f32_fp8_e32 v[38:39], v35
	v_cvt_pk_f32_fp8_sdwa v[34:35], v35 src0_sel:WORD_1
	v_mfma_f32_16x16x16_f16 v[26:29], v[20:21], v[14:15], v[26:29]
	v_cvt_pkrtz_f16_f32 v38, v38, v39
	v_cvt_pkrtz_f16_f32 v39, v34, v35
	v_cvt_pk_f32_fp8_e32 v[14:15], v36
	v_cvt_pk_f32_fp8_sdwa v[20:21], v36 src0_sel:WORD_1
	v_pk_mul_f32 v[50:51], v[76:77], v[70:71] op_sel_hi:[0,1]
	v_mad_i64_i32 v[18:19], s[4:5], v69, s45, v[42:43]
	v_cvt_pkrtz_f16_f32 v46, v14, v15
	v_cvt_pkrtz_f16_f32 v47, v20, v21
	v_cvt_pk_f32_fp8_e32 v[20:21], v37
	v_mfma_f32_16x16x16_f16 v[14:17], v[38:39], v[16:17], v[26:29]
	v_pk_mul_f32 v[36:37], v[76:77], v[56:57] op_sel_hi:[0,1]
	v_mad_i64_i32 v[34:35], s[4:5], v68, s45, v[42:43]
	v_cvt_pkrtz_f16_f32 v20, v20, v21
	v_cvt_pkrtz_f16_f32 v21, v48, v49
	v_mfma_f32_16x16x16_f16 v[14:17], v[46:47], v[6:7], v[14:17]
	v_pk_mul_f32 v[46:47], v[76:77], v[72:73] op_sel_hi:[0,1]
	v_mfma_f32_16x16x16_f16 v[6:9], v[20:21], v[8:9], v[14:17]
	global_load_dwordx4 v[26:29], v[18:19], off
	s_nop 0
	global_load_dwordx4 v[18:21], v[34:35], off
	s_nop 3
	v_pk_mul_f32 v[48:49], v[76:77], v[6:7] op_sel_hi:[0,1]
	v_and_b32_e32 v6, 0xc0, v0
	v_add_u32_e32 v6, s18, v6
	v_lshl_or_b32 v6, v64, 2, v6
	v_pk_mul_f32 v[38:39], v[76:77], v[8:9] op_sel_hi:[0,1]
	v_or_b32_e32 v9, 1, v6
	v_mov_b32_e32 v7, 0xff7fffff
	v_cmp_gt_i32_e64 s[26:27], s33, v6
	v_cmp_gt_i32_e64 s[28:29], s33, v9
	v_or_b32_e32 v14, 3, v6
	v_cndmask_b32_e64 v8, v7, v44, s[26:27]
	v_cndmask_b32_e64 v9, v7, v45, s[28:29]
	v_max3_f32 v8, v8, s40, v9
	v_or_b32_e32 v9, 2, v6
	v_cmp_gt_i32_e64 s[30:31], s33, v9
	v_cmp_gt_i32_e64 s[34:35], s33, v14
	s_nop 0
	v_cndmask_b32_e64 v9, v7, v40, s[30:31]
	v_cndmask_b32_e64 v14, v7, v41, s[34:35]
	v_max3_f32 v8, v8, v9, v14
	v_or_b32_e32 v9, 16, v6
	v_or_b32_e32 v14, 17, v6
	v_cmp_gt_i32_e64 s[18:19], s33, v9
	v_cmp_gt_i32_e64 s[20:21], s33, v14
	s_nop 0
	v_cndmask_b32_e64 v9, v7, v52, s[18:19]
	v_cndmask_b32_e64 v14, v7, v53, s[20:21]
	v_max3_f32 v8, v8, v9, v14
	v_or_b32_e32 v9, 18, v6
	;; [unrolled: 8-line block ×5, first 2 shown]
	v_or_b32_e32 v14, 49, v6
	v_cmp_gt_i32_e32 vcc, s33, v9
	v_cmp_gt_i32_e64 s[4:5], s33, v14
	s_nop 0
	v_cndmask_b32_e32 v9, v7, v48, vcc
	v_cndmask_b32_e64 v14, v7, v49, s[4:5]
	v_max3_f32 v8, v8, v9, v14
	v_or_b32_e32 v9, 50, v6
	v_or_b32_e32 v6, 51, v6
	v_cmp_gt_i32_e64 s[6:7], s33, v9
	v_cmp_gt_i32_e64 s[8:9], s33, v6
	s_nop 0
	v_cndmask_b32_e64 v9, v7, v38, s[6:7]
	v_cndmask_b32_e64 v6, v7, v39, s[8:9]
	v_max3_f32 v8, v8, v9, v6
	v_mbcnt_lo_u32_b32 v6, -1, 0
	v_mbcnt_hi_u32_b32 v9, -1, v6
	v_and_b32_e32 v6, 64, v9
	v_add_u32_e32 v14, 64, v6
	v_xor_b32_e32 v6, 32, v9
	v_cmp_lt_i32_e64 s[38:39], v6, v14
	s_nop 1
	v_cndmask_b32_e64 v6, v9, v6, s[38:39]
	v_lshlrev_b32_e32 v55, 2, v6
	ds_bpermute_b32 v15, v55, v8
	v_mad_i64_i32 v[6:7], s[38:39], v67, s45, v[42:43]
	s_waitcnt lgkmcnt(0)
	v_max_f32_e32 v15, v15, v15
	v_max_f32_e32 v34, v8, v15
	v_xor_b32_e32 v8, 16, v9
	v_cmp_lt_i32_e64 s[38:39], v8, v14
	s_nop 1
	v_cndmask_b32_e64 v8, v9, v8, s[38:39]
	v_lshlrev_b32_e32 v56, 2, v8
	v_mad_i64_i32 v[8:9], s[38:39], v66, s45, v[42:43]
	global_load_dwordx4 v[14:17], v[6:7], off
	s_nop 0
	global_load_dwordx4 v[6:9], v[8:9], off
	ds_bpermute_b32 v35, v56, v34
	s_waitcnt lgkmcnt(0)
	s_barrier
	v_max_f32_e32 v35, v35, v35
	v_max_f32_e32 v54, v34, v35
	v_sub_f32_e32 v42, v52, v54
	v_mul_f32_e32 v42, 0x3fb8aa3b, v42
	v_exp_f32_e32 v42, v42
	v_sub_f32_e32 v36, v36, v54
	v_sub_f32_e32 v34, v44, v54
	v_mul_f32_e32 v36, 0x3fb8aa3b, v36
	v_mul_f32_e32 v34, 0x3fb8aa3b, v34
	v_sub_f32_e32 v35, v45, v54
	v_sub_f32_e32 v43, v53, v54
	v_exp_f32_e32 v44, v36
	v_sub_f32_e32 v36, v37, v54
	v_sub_f32_e32 v48, v48, v54
	;; [unrolled: 1-line block ×3, first 2 shown]
	v_exp_f32_e32 v34, v34
	v_mul_f32_e32 v35, 0x3fb8aa3b, v35
	v_sub_f32_e32 v40, v40, v54
	v_mul_f32_e32 v43, 0x3fb8aa3b, v43
	v_mul_f32_e32 v36, 0x3fb8aa3b, v36
	;; [unrolled: 1-line block ×4, first 2 shown]
	v_exp_f32_e32 v35, v35
	v_mul_f32_e32 v40, 0x3fb8aa3b, v40
	v_sub_f32_e32 v41, v41, v54
	v_exp_f32_e32 v43, v43
	v_exp_f32_e32 v45, v36
	v_cndmask_b32_e64 v36, 0, v42, s[18:19]
	v_sub_f32_e32 v42, v50, v54
	v_exp_f32_e32 v48, v48
	v_exp_f32_e32 v50, v38
	;; [unrolled: 1-line block ×3, first 2 shown]
	v_mul_f32_e32 v41, 0x3fb8aa3b, v41
	v_exp_f32_e32 v41, v41
	v_sub_f32_e32 v38, v39, v54
	v_cndmask_b32_e64 v34, 0, v34, s[26:27]
	v_mul_f32_e32 v38, 0x3fb8aa3b, v38
	v_cndmask_b32_e64 v35, 0, v35, s[28:29]
	v_cndmask_b32_e64 v37, 0, v43, s[20:21]
	v_sub_f32_e32 v43, v51, v54
	v_exp_f32_e32 v51, v38
	v_cndmask_b32_e32 v38, 0, v48, vcc
	v_cndmask_b32_e64 v48, 0, v50, s[6:7]
	v_add_f32_e32 v50, 0, v34
	v_cndmask_b32_e64 v40, 0, v40, s[30:31]
	v_add_f32_e32 v50, v50, v35
	v_cndmask_b32_e64 v41, 0, v41, s[34:35]
	v_mul_f32_e32 v42, 0x3fb8aa3b, v42
	v_add_f32_e32 v50, v50, v40
	v_exp_f32_e32 v42, v42
	v_mul_f32_e32 v43, 0x3fb8aa3b, v43
	v_sub_f32_e32 v46, v46, v54
	v_add_f32_e32 v50, v50, v41
	v_exp_f32_e32 v43, v43
	v_mul_f32_e32 v46, 0x3fb8aa3b, v46
	v_sub_f32_e32 v47, v47, v54
	v_add_f32_e32 v50, v50, v36
	v_cndmask_b32_e64 v44, 0, v44, s[22:23]
	v_exp_f32_e32 v46, v46
	v_mul_f32_e32 v47, 0x3fb8aa3b, v47
	v_add_f32_e32 v50, v50, v37
	v_cndmask_b32_e64 v45, 0, v45, s[36:37]
	v_exp_f32_e32 v47, v47
	v_sub_f32_e32 v49, v49, v54
	v_add_f32_e32 v50, v50, v44
	v_cndmask_b32_e64 v42, 0, v42, s[10:11]
	v_mul_f32_e32 v49, 0x3fb8aa3b, v49
	v_add_f32_e32 v50, v50, v45
	v_cndmask_b32_e64 v43, 0, v43, s[12:13]
	v_exp_f32_e32 v49, v49
	v_add_f32_e32 v50, v50, v42
	v_cndmask_b32_e64 v46, 0, v46, s[14:15]
	v_add_f32_e32 v50, v50, v43
	v_cndmask_b32_e64 v47, 0, v47, s[16:17]
	v_add_f32_e32 v50, v50, v46
	v_add_f32_e32 v50, v50, v47
	v_cndmask_b32_e64 v39, 0, v49, s[4:5]
	v_add_f32_e32 v50, v50, v38
	;; [unrolled: 3-line block ×3, first 2 shown]
	v_add_f32_e32 v50, v50, v49
	ds_bpermute_b32 v51, v55, v50
	v_cmp_gt_u32_e64 s[4:5], 16, v65
	s_waitcnt lgkmcnt(0)
	v_add_f32_e32 v50, v50, v51
	ds_bpermute_b32 v51, v56, v50
	s_and_saveexec_b64 s[6:7], s[4:5]
	s_cbranch_execz .LBB960_13
; %bb.12:
	s_waitcnt lgkmcnt(0)
	v_add_f32_e32 v50, v50, v51
	v_lshlrev_b32_e32 v51, 2, v59
	ds_write2st64_b32 v51, v54, v50 offset1:1
.LBB960_13:
	s_or_b64 exec, exec, s[6:7]
	s_waitcnt lgkmcnt(0)
	v_lshlrev_b32_e32 v51, 2, v60
	s_load_dword s8, s[0:1], 0x94
	s_waitcnt lgkmcnt(0)
	s_barrier
	ds_read2_b32 v[52:53], v51 offset1:16
	ds_read2_b32 v[54:55], v51 offset0:32 offset1:48
	ds_read2_b32 v[56:57], v51 offset0:64 offset1:80
	s_mul_i32 s9, s25, 13
	s_waitcnt lgkmcnt(2)
	v_max3_f32 v50, v52, s40, v53
	s_waitcnt lgkmcnt(1)
	v_max3_f32 v50, v50, v54, v55
	v_sub_f32_e32 v52, v52, v50
	v_mul_f32_e32 v52, 0x3fb8aa3b, v52
	v_exp_f32_e32 v59, v52
	v_sub_f32_e32 v52, v53, v50
	v_mul_f32_e32 v52, 0x3fb8aa3b, v52
	v_exp_f32_e32 v62, v52
	;; [unrolled: 3-line block ×3, first 2 shown]
	ds_read2_b32 v[52:53], v51 offset0:96 offset1:112
	v_sub_f32_e32 v51, v55, v50
	v_mul_f32_e32 v51, 0x3fb8aa3b, v51
	v_exp_f32_e32 v55, v51
	s_waitcnt lgkmcnt(1)
	v_fma_f32 v51, v59, v56, 0
	v_fmac_f32_e32 v51, v62, v57
	s_waitcnt lgkmcnt(0)
	v_fmac_f32_e32 v51, v54, v52
	v_fmac_f32_e32 v51, v55, v53
	v_add_f32_e32 v52, 0x358637bd, v51
	v_div_scale_f32 v53, s[6:7], v52, v52, 1.0
	v_rcp_f32_e32 v56, v53
	s_barrier
	v_fma_f32 v57, -v53, v56, 1.0
	v_fmac_f32_e32 v56, v57, v56
	v_div_scale_f32 v57, vcc, 1.0, v52, 1.0
	v_mul_f32_e32 v63, v57, v56
	v_fma_f32 v65, -v53, v63, v57
	v_fmac_f32_e32 v63, v65, v56
	v_fma_f32 v53, -v53, v63, v57
	v_div_fmas_f32 v53, v53, v56, v63
	v_cmp_eq_u32_e32 vcc, 1, v61
	v_div_fixup_f32 v52, v53, v52, 1.0
	s_nop 0
	v_cndmask_b32_e32 v53, v59, v62, vcc
	v_cmp_eq_u32_e32 vcc, 2, v61
	s_nop 1
	v_cndmask_b32_e32 v53, v53, v54, vcc
	v_cmp_eq_u32_e32 vcc, 3, v61
	s_nop 1
	v_cndmask_b32_e32 v53, v53, v55, vcc
	v_mul_f32_e32 v52, v53, v52
	v_pk_mul_f32 v[40:41], v[52:53], v[40:41] op_sel_hi:[0,1]
	v_pk_mul_f32 v[34:35], v[52:53], v[34:35] op_sel_hi:[0,1]
	v_cvt_f16_f32_e32 v53, v40
	v_cvt_f16_f32_e32 v34, v34
	;; [unrolled: 1-line block ×4, first 2 shown]
	v_pk_mul_f32 v[44:45], v[52:53], v[44:45] op_sel_hi:[0,1]
	v_pk_mul_f32 v[36:37], v[52:53], v[36:37] op_sel_hi:[0,1]
	v_cvt_f16_f32_e32 v36, v36
	v_cvt_f16_f32_e32 v37, v37
	;; [unrolled: 1-line block ×4, first 2 shown]
	v_pack_b32_f16 v40, v34, v35
	v_pack_b32_f16 v41, v53, v41
	v_lshlrev_b32_e32 v35, 3, v64
	v_lshlrev_b32_e32 v34, 5, v60
	;; [unrolled: 1-line block ×3, first 2 shown]
	v_or3_b32 v54, v53, v34, v35
	v_pack_b32_f16 v36, v36, v37
	v_pack_b32_f16 v37, v44, v45
	ds_write2st64_b64 v54, v[40:41], v[36:37] offset1:1
	v_pk_mul_f32 v[36:37], v[52:53], v[46:47] op_sel_hi:[0,1]
	v_pk_mul_f32 v[40:41], v[52:53], v[42:43] op_sel_hi:[0,1]
	v_cvt_f16_f32_e32 v35, v40
	v_cvt_f16_f32_e32 v40, v41
	;; [unrolled: 1-line block ×4, first 2 shown]
	v_pk_mul_f32 v[36:37], v[52:53], v[48:49] op_sel_hi:[0,1]
	v_pk_mul_f32 v[38:39], v[52:53], v[38:39] op_sel_hi:[0,1]
	v_cvt_f16_f32_e32 v38, v38
	v_cvt_f16_f32_e32 v39, v39
	;; [unrolled: 1-line block ×4, first 2 shown]
	v_pack_b32_f16 v36, v35, v40
	v_pack_b32_f16 v37, v41, v42
	;; [unrolled: 1-line block ×4, first 2 shown]
	v_cmp_gt_u32_e32 vcc, 13, v0
	ds_write2st64_b64 v54, v[36:37], v[38:39] offset0:2 offset1:3
	s_and_saveexec_b64 s[6:7], vcc
	s_cbranch_execz .LBB960_15
; %bb.14:
	s_mov_b32 s49, 0
	v_mov_b32_e32 v61, 0
	v_lshl_add_u64 v[36:37], s[48:49], 0, v[60:61]
	v_mov_b32_e32 v35, s9
	v_mad_u64_u32 v[36:37], s[10:11], s2, v35, v[36:37]
	s_mul_i32 s3, s3, s9
	v_mov_b32_e32 v38, s24
	v_mov_b32_e32 v39, v61
	s_load_dwordx4 s[12:15], s[0:1], 0x58
	v_add_u32_e32 v35, s3, v37
	v_mad_u64_u32 v[36:37], s[10:11], v36, s8, v[38:39]
	v_mov_b32_e32 v38, v37
	v_mad_u64_u32 v[38:39], s[10:11], v35, s8, v[38:39]
	v_mov_b32_e32 v37, v38
	v_lshlrev_b64 v[36:37], 2, v[36:37]
	s_waitcnt lgkmcnt(0)
	v_lshl_add_u64 v[38:39], s[14:15], 0, v[36:37]
	v_lshl_add_u64 v[36:37], s[12:13], 0, v[36:37]
	global_store_dword v[38:39], v50, off
	global_store_dword v[36:37], v51, off
.LBB960_15:
	s_or_b64 exec, exec, s[6:7]
	s_waitcnt vmcnt(7)
	v_cvt_pk_f32_fp8_e32 v[36:37], v30
	v_lshl_or_b32 v50, v64, 9, v34
	v_cvt_pk_f32_fp8_sdwa v[34:35], v30 src0_sel:WORD_1
	s_waitcnt lgkmcnt(0)
	s_barrier
	v_cvt_pk_f32_fp8_e32 v[38:39], v31
	v_cvt_pkrtz_f16_f32 v30, v36, v37
	v_cvt_pk_f32_fp8_sdwa v[40:41], v31 src0_sel:WORD_1
	v_cvt_pkrtz_f16_f32 v31, v34, v35
	ds_read_b128 v[34:37], v50
	v_cvt_pkrtz_f16_f32 v46, v38, v39
	v_cvt_pkrtz_f16_f32 v47, v40, v41
	ds_read_b128 v[38:41], v50 offset:16
	v_cvt_pk_f32_fp8_e32 v[48:49], v32
	v_cvt_pk_f32_fp8_sdwa v[52:53], v32 src0_sel:WORD_1
	s_waitcnt lgkmcnt(1)
	v_mfma_f32_16x16x16_f16 v[42:45], v[30:31], v[34:35], 0
	s_waitcnt vmcnt(6)
	v_cvt_pk_f32_fp8_e32 v[56:57], v24
	v_cvt_pkrtz_f16_f32 v30, v48, v49
	v_cvt_pkrtz_f16_f32 v31, v52, v53
	v_cvt_pk_f32_fp8_e32 v[48:49], v33
	v_mfma_f32_16x16x16_f16 v[42:45], v[46:47], v[36:37], v[42:45]
	v_cvt_pk_f32_fp8_sdwa v[46:47], v33 src0_sel:WORD_1
	v_cvt_pk_f32_fp8_sdwa v[62:63], v24 src0_sel:WORD_1
	v_cvt_pkrtz_f16_f32 v48, v48, v49
	s_waitcnt lgkmcnt(0)
	v_mfma_f32_16x16x16_f16 v[30:33], v[30:31], v[38:39], v[42:45]
	v_cvt_pkrtz_f16_f32 v49, v46, v47
	s_waitcnt vmcnt(4)
	v_cvt_pk_f32_fp8_sdwa v[70:71], v4 src0_sel:WORD_1
	s_waitcnt vmcnt(3)
	v_cvt_pk_f32_fp8_sdwa v[72:73], v28 src0_sel:WORD_1
	v_cvt_pk_f32_fp8_e32 v[42:43], v22
	v_mfma_f32_16x16x16_f16 v[46:49], v[48:49], v[40:41], v[30:33]
	s_load_dword s6, s[42:43], 0x0
	s_mov_b32 s3, 0
	s_nop 0
	v_cvt_pk_f32_fp8_sdwa v[30:31], v22 src0_sel:WORD_1
	v_cvt_pk_f32_fp8_e32 v[32:33], v23
	v_cvt_pkrtz_f16_f32 v22, v42, v43
	v_cvt_pk_f32_fp8_sdwa v[42:43], v23 src0_sel:WORD_1
	v_cvt_pkrtz_f16_f32 v23, v30, v31
	v_cvt_pkrtz_f16_f32 v52, v32, v33
	ds_read_b128 v[30:33], v50 offset:2048
	v_cvt_pkrtz_f16_f32 v53, v42, v43
	ds_read_b128 v[42:45], v50 offset:2064
	s_waitcnt lgkmcnt(0)
	v_mfma_f32_16x16x16_f16 v[46:49], v[22:23], v[30:31], v[46:49]
	v_cvt_pkrtz_f16_f32 v22, v56, v57
	v_cvt_pkrtz_f16_f32 v23, v62, v63
	v_cvt_pk_f32_fp8_e32 v[56:57], v25
	v_mfma_f32_16x16x16_f16 v[46:49], v[52:53], v[32:33], v[46:49]
	v_cvt_pk_f32_fp8_sdwa v[52:53], v25 src0_sel:WORD_1
	v_cvt_pk_f32_fp8_sdwa v[62:63], v12 src0_sel:WORD_1
	v_cvt_pkrtz_f16_f32 v56, v56, v57
	v_mfma_f32_16x16x16_f16 v[22:25], v[22:23], v[42:43], v[46:49]
	v_cvt_pkrtz_f16_f32 v57, v52, v53
	v_cmp_gt_u32_e32 vcc, 64, v0
	s_nop 0
	v_cvt_pk_f32_fp8_e32 v[46:47], v10
	v_mfma_f32_16x16x16_f16 v[66:69], v[56:57], v[44:45], v[22:25]
	v_cvt_pk_f32_fp8_e32 v[56:57], v12
	s_nop 1
	v_cvt_pk_f32_fp8_sdwa v[22:23], v10 src0_sel:WORD_1
	v_cvt_pk_f32_fp8_e32 v[24:25], v11
	v_cvt_pkrtz_f16_f32 v10, v46, v47
	v_cvt_pk_f32_fp8_sdwa v[46:47], v11 src0_sel:WORD_1
	v_cvt_pkrtz_f16_f32 v11, v22, v23
	v_cvt_pkrtz_f16_f32 v52, v24, v25
	ds_read_b128 v[22:25], v50 offset:4096
	v_cvt_pkrtz_f16_f32 v53, v46, v47
	ds_read_b128 v[46:49], v50 offset:4112
	s_waitcnt lgkmcnt(1)
	v_mfma_f32_16x16x16_f16 v[66:69], v[10:11], v[22:23], v[66:69]
	v_cvt_pkrtz_f16_f32 v10, v56, v57
	v_cvt_pkrtz_f16_f32 v11, v62, v63
	v_cvt_pk_f32_fp8_e32 v[56:57], v13
	v_mfma_f32_16x16x16_f16 v[66:69], v[52:53], v[24:25], v[66:69]
	v_cvt_pk_f32_fp8_sdwa v[52:53], v13 src0_sel:WORD_1
	v_cvt_pk_f32_fp8_e32 v[62:63], v4
	v_cvt_pkrtz_f16_f32 v56, v56, v57
	s_waitcnt lgkmcnt(0)
	v_mfma_f32_16x16x16_f16 v[10:13], v[10:11], v[46:47], v[66:69]
	v_cvt_pkrtz_f16_f32 v57, v52, v53
	v_cvt_pk_f32_fp8_e32 v[52:53], v2
	s_nop 0
	v_mfma_f32_16x16x16_f16 v[66:69], v[56:57], v[48:49], v[10:13]
	s_nop 2
	v_cvt_pk_f32_fp8_sdwa v[10:11], v2 src0_sel:WORD_1
	v_cvt_pk_f32_fp8_e32 v[12:13], v3
	v_cvt_pkrtz_f16_f32 v2, v52, v53
	v_cvt_pk_f32_fp8_sdwa v[52:53], v3 src0_sel:WORD_1
	v_cvt_pkrtz_f16_f32 v3, v10, v11
	v_cvt_pkrtz_f16_f32 v56, v12, v13
	ds_read_b128 v[10:13], v50 offset:6144
	v_cvt_pkrtz_f16_f32 v57, v52, v53
	s_waitcnt lgkmcnt(0)
	v_mfma_f32_16x16x16_f16 v[66:69], v[2:3], v[10:11], v[66:69]
	ds_read_b128 v[50:53], v50 offset:6160
	v_cvt_pkrtz_f16_f32 v2, v62, v63
	v_cvt_pkrtz_f16_f32 v3, v70, v71
	v_cvt_pk_f32_fp8_e32 v[62:63], v5
	v_mfma_f32_16x16x16_f16 v[66:69], v[56:57], v[12:13], v[66:69]
	v_cvt_pk_f32_fp8_sdwa v[56:57], v5 src0_sel:WORD_1
	v_cvt_pk_f32_fp8_e32 v[70:71], v28
	v_cvt_pkrtz_f16_f32 v62, v62, v63
	s_waitcnt lgkmcnt(0)
	v_mfma_f32_16x16x16_f16 v[2:5], v[2:3], v[50:51], v[66:69]
	v_cvt_pkrtz_f16_f32 v63, v56, v57
	v_cvt_pk_f32_fp8_e32 v[56:57], v26
	s_nop 0
	v_cvt_pk_f32_fp8_sdwa v[66:67], v26 src0_sel:WORD_1
	v_mfma_f32_16x16x16_f16 v[2:5], v[62:63], v[52:53], v[2:5]
	v_cvt_pk_f32_fp8_e32 v[62:63], v27
	v_cvt_pkrtz_f16_f32 v56, v56, v57
	v_cvt_pkrtz_f16_f32 v57, v66, v67
	v_cvt_pk_f32_fp8_sdwa v[26:27], v27 src0_sel:WORD_1
	v_cvt_pkrtz_f16_f32 v62, v62, v63
	v_mfma_f32_16x16x16_f16 v[66:69], v[56:57], v[34:35], 0
	v_cvt_pkrtz_f16_f32 v63, v26, v27
	v_cvt_pkrtz_f16_f32 v26, v70, v71
	;; [unrolled: 1-line block ×3, first 2 shown]
	v_cvt_pk_f32_fp8_e32 v[56:57], v29
	v_mfma_f32_16x16x16_f16 v[34:37], v[62:63], v[36:37], v[66:69]
	v_cvt_pk_f32_fp8_sdwa v[62:63], v29 src0_sel:WORD_1
	v_cvt_pkrtz_f16_f32 v56, v56, v57
	s_barrier
	v_mfma_f32_16x16x16_f16 v[26:29], v[26:27], v[38:39], v[34:37]
	v_cvt_pkrtz_f16_f32 v57, v62, v63
	s_waitcnt vmcnt(2)
	v_cvt_pk_f32_fp8_e32 v[38:39], v19
	v_cvt_pk_f32_fp8_e32 v[34:35], v18
	v_cvt_pk_f32_fp8_sdwa v[36:37], v18 src0_sel:WORD_1
	v_cvt_pk_f32_fp8_sdwa v[18:19], v19 src0_sel:WORD_1
	v_mfma_f32_16x16x16_f16 v[26:29], v[56:57], v[40:41], v[26:29]
	v_cvt_pkrtz_f16_f32 v34, v34, v35
	v_cvt_pkrtz_f16_f32 v35, v36, v37
	;; [unrolled: 1-line block ×3, first 2 shown]
	v_cvt_pk_f32_fp8_e32 v[38:39], v20
	v_cvt_pk_f32_fp8_sdwa v[40:41], v20 src0_sel:WORD_1
	v_cvt_pkrtz_f16_f32 v37, v18, v19
	v_mfma_f32_16x16x16_f16 v[26:29], v[34:35], v[30:31], v[26:29]
	v_cvt_pkrtz_f16_f32 v30, v38, v39
	v_cvt_pkrtz_f16_f32 v31, v40, v41
	v_cvt_pk_f32_fp8_e32 v[34:35], v21
	v_cvt_pk_f32_fp8_sdwa v[38:39], v21 src0_sel:WORD_1
	v_mfma_f32_16x16x16_f16 v[18:21], v[36:37], v[32:33], v[26:29]
	s_waitcnt vmcnt(1)
	v_cvt_pk_f32_fp8_sdwa v[32:33], v16 src0_sel:WORD_1
	s_nop 0
	v_cvt_pkrtz_f16_f32 v26, v34, v35
	v_cvt_pkrtz_f16_f32 v27, v38, v39
	v_mfma_f32_16x16x16_f16 v[18:21], v[30:31], v[42:43], v[18:21]
	v_cvt_pk_f32_fp8_e32 v[28:29], v14
	v_cvt_pk_f32_fp8_sdwa v[30:31], v14 src0_sel:WORD_1
	v_cvt_pkrtz_f16_f32 v28, v28, v29
	v_mfma_f32_16x16x16_f16 v[18:21], v[26:27], v[44:45], v[18:21]
	v_cvt_pk_f32_fp8_e32 v[26:27], v15
	v_cvt_pkrtz_f16_f32 v29, v30, v31
	v_cvt_pk_f32_fp8_sdwa v[14:15], v15 src0_sel:WORD_1
	v_cvt_pk_f32_fp8_e32 v[30:31], v16
	v_cvt_pkrtz_f16_f32 v26, v26, v27
	v_mfma_f32_16x16x16_f16 v[18:21], v[28:29], v[22:23], v[18:21]
	v_cvt_pkrtz_f16_f32 v27, v14, v15
	v_cvt_pkrtz_f16_f32 v22, v30, v31
	;; [unrolled: 1-line block ×3, first 2 shown]
	v_cvt_pk_f32_fp8_e32 v[28:29], v17
	v_cvt_pk_f32_fp8_sdwa v[30:31], v17 src0_sel:WORD_1
	v_mfma_f32_16x16x16_f16 v[14:17], v[26:27], v[24:25], v[18:21]
	s_waitcnt vmcnt(0)
	v_cvt_pk_f32_fp8_sdwa v[24:25], v6 src0_sel:WORD_1
	s_nop 0
	v_pk_mul_f32 v[18:19], v[4:5], s[6:7] op_sel_hi:[1,0]
	v_cvt_pkrtz_f16_f32 v4, v28, v29
	v_cvt_pkrtz_f16_f32 v5, v30, v31
	v_mfma_f32_16x16x16_f16 v[14:17], v[22:23], v[46:47], v[14:17]
	v_cvt_pk_f32_fp8_e32 v[22:23], v6
	v_pk_mul_f32 v[20:21], v[2:3], s[6:7] op_sel_hi:[1,0]
	v_mfma_f32_16x16x16_f16 v[2:5], v[4:5], v[48:49], v[14:17]
	s_nop 3
	v_cvt_pk_f32_fp8_e32 v[14:15], v7
	v_cvt_pkrtz_f16_f32 v16, v22, v23
	v_cvt_pkrtz_f16_f32 v17, v24, v25
	v_cvt_pk_f32_fp8_sdwa v[6:7], v7 src0_sel:WORD_1
	v_cvt_pkrtz_f16_f32 v14, v14, v15
	v_cvt_pk_f32_fp8_e32 v[22:23], v8
	v_cvt_pk_f32_fp8_sdwa v[24:25], v8 src0_sel:WORD_1
	v_cvt_pkrtz_f16_f32 v15, v6, v7
	v_mfma_f32_16x16x16_f16 v[2:5], v[16:17], v[10:11], v[2:5]
	v_cvt_pkrtz_f16_f32 v6, v22, v23
	v_cvt_pkrtz_f16_f32 v7, v24, v25
	v_cvt_pk_f32_fp8_e32 v[10:11], v9
	v_cvt_pk_f32_fp8_sdwa v[8:9], v9 src0_sel:WORD_1
	v_mfma_f32_16x16x16_f16 v[2:5], v[14:15], v[12:13], v[2:5]
	v_cvt_f16_f32_e32 v12, v20
	v_cvt_pkrtz_f16_f32 v10, v10, v11
	v_cvt_pkrtz_f16_f32 v11, v8, v9
	v_mfma_f32_16x16x16_f16 v[2:5], v[6:7], v[50:51], v[2:5]
	v_cvt_f16_f32_e32 v6, v21
	v_cvt_f16_f32_e32 v7, v18
	;; [unrolled: 1-line block ×3, first 2 shown]
	v_mfma_f32_16x16x16_f16 v[2:5], v[10:11], v[52:53], v[2:5]
	s_nop 6
	v_pk_mul_f32 v[4:5], v[4:5], s[6:7] op_sel_hi:[1,0]
	v_pk_mul_f32 v[2:3], v[2:3], s[6:7] op_sel_hi:[1,0]
	v_cvt_f16_f32_e32 v11, v4
	v_cvt_f16_f32_e32 v9, v2
	;; [unrolled: 1-line block ×4, first 2 shown]
	v_pack_b32_f16 v2, v12, v6
	v_pack_b32_f16 v3, v7, v8
	v_pack_b32_f16 v4, v9, v10
	v_pack_b32_f16 v5, v11, v5
	ds_write2st64_b64 v54, v[2:3], v[4:5] offset1:1
	s_waitcnt lgkmcnt(0)
	s_barrier
	s_and_saveexec_b64 s[6:7], vcc
	s_cbranch_execz .LBB960_18
; %bb.16:
	s_load_dwordx2 s[6:7], s[0:1], 0x68
	s_lshl_b32 s0, s8, 7
	s_mul_i32 s1, s9, s2
	v_lshlrev_b32_e32 v3, 6, v60
	s_mul_hi_u32 s9, s1, s0
	s_mul_i32 s8, s1, s0
	v_lshl_or_b32 v0, v0, 10, v3
	s_lshl_b64 s[8:9], s[8:9], 1
	v_lshlrev_b32_e32 v2, 5, v64
	v_and_b32_e32 v1, 16, v1
	v_and_b32_e32 v0, 0x1a00, v0
	s_waitcnt lgkmcnt(0)
	s_add_u32 s1, s6, s8
	v_or3_b32 v2, v0, v2, v1
	s_addc_u32 s6, s7, s9
	s_lshl_b32 s2, s24, 7
	ds_read_b128 v[4:7], v2 offset:256
	s_lshl_b64 s[2:3], s[2:3], 1
	ds_read_b128 v[8:11], v2 offset:128
	ds_read_b128 v[12:15], v2
	s_add_u32 s2, s1, s2
	s_addc_u32 s3, s6, s3
	v_mov_b32_e32 v59, 0
	v_add_u32_e32 v3, s48, v64
	v_lshl_add_u64 v[0:1], s[2:3], 0, v[58:59]
	v_mad_u64_u32 v[16:17], s[2:3], v3, s0, 0
	v_lshl_add_u64 v[16:17], v[16:17], 1, v[0:1]
	s_waitcnt lgkmcnt(0)
	global_store_dwordx4 v[16:17], v[12:15], off
	s_nop 1
	v_add_u32_e32 v12, 4, v3
	v_mad_u64_u32 v[12:13], s[2:3], v12, s0, 0
	v_lshl_add_u64 v[12:13], v[12:13], 1, v[0:1]
	v_add_u32_e32 v3, 8, v3
	global_store_dwordx4 v[12:13], v[8:11], off
	s_nop 1
	v_mad_u64_u32 v[8:9], s[2:3], v3, s0, 0
	v_lshl_add_u64 v[8:9], v[8:9], 1, v[0:1]
	global_store_dwordx4 v[8:9], v[4:7], off
	s_and_b64 exec, exec, s[4:5]
	s_cbranch_execz .LBB960_18
; %bb.17:
	ds_read_b128 v[2:5], v2 offset:384
	v_add3_u32 v6, s48, v64, 12
	v_mad_u64_u32 v[6:7], s[0:1], v6, s0, 0
	v_lshl_add_u64 v[0:1], v[6:7], 1, v[0:1]
	s_waitcnt lgkmcnt(0)
	global_store_dwordx4 v[0:1], v[2:5], off
.LBB960_18:
	s_endpgm
	.section	.rodata,"a",@progbits
	.p2align	6, 0x0
	.amdhsa_kernel _Z39paged_attention_ll4mi_QKV_mfma16_kernelIDF16_hLN4vllm18Fp8KVCacheDataTypeE1EhLi16ELi128ELi256ELb0ELi13EEvPKT_PKT0_S7_ifPKiS9_S9_iPKfiiiPfSC_PS2_PT2_iSB_SB_
		.amdhsa_group_segment_fixed_size 8192
		.amdhsa_private_segment_fixed_size 0
		.amdhsa_kernarg_size 400
		.amdhsa_user_sgpr_count 2
		.amdhsa_user_sgpr_dispatch_ptr 0
		.amdhsa_user_sgpr_queue_ptr 0
		.amdhsa_user_sgpr_kernarg_segment_ptr 1
		.amdhsa_user_sgpr_dispatch_id 0
		.amdhsa_user_sgpr_kernarg_preload_length 0
		.amdhsa_user_sgpr_kernarg_preload_offset 0
		.amdhsa_user_sgpr_private_segment_size 0
		.amdhsa_uses_dynamic_stack 0
		.amdhsa_enable_private_segment 0
		.amdhsa_system_sgpr_workgroup_id_x 1
		.amdhsa_system_sgpr_workgroup_id_y 1
		.amdhsa_system_sgpr_workgroup_id_z 1
		.amdhsa_system_sgpr_workgroup_info 0
		.amdhsa_system_vgpr_workitem_id 0
		.amdhsa_next_free_vgpr 88
		.amdhsa_next_free_sgpr 50
		.amdhsa_accum_offset 88
		.amdhsa_reserve_vcc 1
		.amdhsa_float_round_mode_32 0
		.amdhsa_float_round_mode_16_64 0
		.amdhsa_float_denorm_mode_32 3
		.amdhsa_float_denorm_mode_16_64 3
		.amdhsa_dx10_clamp 1
		.amdhsa_ieee_mode 1
		.amdhsa_fp16_overflow 0
		.amdhsa_tg_split 0
		.amdhsa_exception_fp_ieee_invalid_op 0
		.amdhsa_exception_fp_denorm_src 0
		.amdhsa_exception_fp_ieee_div_zero 0
		.amdhsa_exception_fp_ieee_overflow 0
		.amdhsa_exception_fp_ieee_underflow 0
		.amdhsa_exception_fp_ieee_inexact 0
		.amdhsa_exception_int_div_zero 0
	.end_amdhsa_kernel
	.section	.text._Z39paged_attention_ll4mi_QKV_mfma16_kernelIDF16_hLN4vllm18Fp8KVCacheDataTypeE1EhLi16ELi128ELi256ELb0ELi13EEvPKT_PKT0_S7_ifPKiS9_S9_iPKfiiiPfSC_PS2_PT2_iSB_SB_,"axG",@progbits,_Z39paged_attention_ll4mi_QKV_mfma16_kernelIDF16_hLN4vllm18Fp8KVCacheDataTypeE1EhLi16ELi128ELi256ELb0ELi13EEvPKT_PKT0_S7_ifPKiS9_S9_iPKfiiiPfSC_PS2_PT2_iSB_SB_,comdat
.Lfunc_end960:
	.size	_Z39paged_attention_ll4mi_QKV_mfma16_kernelIDF16_hLN4vllm18Fp8KVCacheDataTypeE1EhLi16ELi128ELi256ELb0ELi13EEvPKT_PKT0_S7_ifPKiS9_S9_iPKfiiiPfSC_PS2_PT2_iSB_SB_, .Lfunc_end960-_Z39paged_attention_ll4mi_QKV_mfma16_kernelIDF16_hLN4vllm18Fp8KVCacheDataTypeE1EhLi16ELi128ELi256ELb0ELi13EEvPKT_PKT0_S7_ifPKiS9_S9_iPKfiiiPfSC_PS2_PT2_iSB_SB_
                                        ; -- End function
	.section	.AMDGPU.csdata,"",@progbits
; Kernel info:
; codeLenInByte = 6080
; NumSgprs: 56
; NumVgprs: 88
; NumAgprs: 0
; TotalNumVgprs: 88
; ScratchSize: 0
; MemoryBound: 0
; FloatMode: 240
; IeeeMode: 1
; LDSByteSize: 8192 bytes/workgroup (compile time only)
; SGPRBlocks: 6
; VGPRBlocks: 10
; NumSGPRsForWavesPerEU: 56
; NumVGPRsForWavesPerEU: 88
; AccumOffset: 88
; Occupancy: 5
; WaveLimiterHint : 1
; COMPUTE_PGM_RSRC2:SCRATCH_EN: 0
; COMPUTE_PGM_RSRC2:USER_SGPR: 2
; COMPUTE_PGM_RSRC2:TRAP_HANDLER: 0
; COMPUTE_PGM_RSRC2:TGID_X_EN: 1
; COMPUTE_PGM_RSRC2:TGID_Y_EN: 1
; COMPUTE_PGM_RSRC2:TGID_Z_EN: 1
; COMPUTE_PGM_RSRC2:TIDIG_COMP_CNT: 0
; COMPUTE_PGM_RSRC3_GFX90A:ACCUM_OFFSET: 21
; COMPUTE_PGM_RSRC3_GFX90A:TG_SPLIT: 0
	.section	.text._Z39paged_attention_ll4mi_QKV_mfma16_kernelIDF16_hLN4vllm18Fp8KVCacheDataTypeE1EhLi16ELi128ELi256ELb0ELi14EEvPKT_PKT0_S7_ifPKiS9_S9_iPKfiiiPfSC_PS2_PT2_iSB_SB_,"axG",@progbits,_Z39paged_attention_ll4mi_QKV_mfma16_kernelIDF16_hLN4vllm18Fp8KVCacheDataTypeE1EhLi16ELi128ELi256ELb0ELi14EEvPKT_PKT0_S7_ifPKiS9_S9_iPKfiiiPfSC_PS2_PT2_iSB_SB_,comdat
	.protected	_Z39paged_attention_ll4mi_QKV_mfma16_kernelIDF16_hLN4vllm18Fp8KVCacheDataTypeE1EhLi16ELi128ELi256ELb0ELi14EEvPKT_PKT0_S7_ifPKiS9_S9_iPKfiiiPfSC_PS2_PT2_iSB_SB_ ; -- Begin function _Z39paged_attention_ll4mi_QKV_mfma16_kernelIDF16_hLN4vllm18Fp8KVCacheDataTypeE1EhLi16ELi128ELi256ELb0ELi14EEvPKT_PKT0_S7_ifPKiS9_S9_iPKfiiiPfSC_PS2_PT2_iSB_SB_
	.globl	_Z39paged_attention_ll4mi_QKV_mfma16_kernelIDF16_hLN4vllm18Fp8KVCacheDataTypeE1EhLi16ELi128ELi256ELb0ELi14EEvPKT_PKT0_S7_ifPKiS9_S9_iPKfiiiPfSC_PS2_PT2_iSB_SB_
	.p2align	8
	.type	_Z39paged_attention_ll4mi_QKV_mfma16_kernelIDF16_hLN4vllm18Fp8KVCacheDataTypeE1EhLi16ELi128ELi256ELb0ELi14EEvPKT_PKT0_S7_ifPKiS9_S9_iPKfiiiPfSC_PS2_PT2_iSB_SB_,@function
_Z39paged_attention_ll4mi_QKV_mfma16_kernelIDF16_hLN4vllm18Fp8KVCacheDataTypeE1EhLi16ELi128ELi256ELb0ELi14EEvPKT_PKT0_S7_ifPKiS9_S9_iPKfiiiPfSC_PS2_PT2_iSB_SB_: ; @_Z39paged_attention_ll4mi_QKV_mfma16_kernelIDF16_hLN4vllm18Fp8KVCacheDataTypeE1EhLi16ELi128ELi256ELb0ELi14EEvPKT_PKT0_S7_ifPKiS9_S9_iPKfiiiPfSC_PS2_PT2_iSB_SB_
; %bb.0:
	s_load_dwordx2 s[12:13], s[0:1], 0x30
	s_mov_b32 s24, s3
	s_mov_b64 s[6:7], 0
	s_waitcnt lgkmcnt(0)
	s_cmp_lg_u64 s[12:13], 0
	s_cselect_b64 s[14:15], -1, 0
	s_and_b64 vcc, exec, s[14:15]
	s_cbranch_vccz .LBB961_7
; %bb.1:
	s_add_i32 s8, s2, 1
	s_mov_b32 s9, 0
	s_lshl_b64 s[10:11], s[8:9], 2
	s_add_u32 s10, s12, s10
	s_mov_b32 s3, s9
	s_addc_u32 s11, s13, s11
	s_lshl_b64 s[8:9], s[2:3], 2
	s_add_u32 s8, s12, s8
	s_addc_u32 s9, s13, s9
	s_load_dword s5, s[10:11], 0x0
	s_load_dword s16, s[8:9], 0x0
	s_waitcnt lgkmcnt(0)
	s_sub_i32 s5, s5, s16
	s_cmp_eq_u32 s5, 1
	s_cselect_b64 s[8:9], -1, 0
	s_andn2_b64 vcc, exec, s[6:7]
	s_cbranch_vccnz .LBB961_3
.LBB961_2:
	s_mov_b32 s3, 0
	s_mov_b64 s[8:9], -1
.LBB961_3:
	s_andn2_b64 vcc, exec, s[8:9]
	s_cbranch_vccnz .LBB961_18
; %bb.4:
	s_load_dwordx2 s[6:7], s[0:1], 0x28
	s_lshl_b64 s[16:17], s[2:3], 2
	s_waitcnt lgkmcnt(0)
	s_add_u32 s6, s6, s16
	s_addc_u32 s7, s7, s17
	s_load_dword s33, s[6:7], 0x0
	s_lshl_b32 s18, s24, 8
	s_waitcnt lgkmcnt(0)
	s_cmp_ge_i32 s18, s33
	s_cbranch_scc1 .LBB961_18
; %bb.5:
	s_load_dwordx2 s[6:7], s[0:1], 0x20
	s_load_dword s8, s[0:1], 0x38
	s_add_i32 s5, s33, 15
	s_ashr_i32 s9, s5, 31
	v_and_b32_e32 v1, 0xcf, v0
	s_lshr_b32 s9, s9, 28
	v_add_u32_e32 v1, s18, v1
	s_add_i32 s5, s5, s9
	v_ashrrev_i32_e32 v2, 31, v1
	s_ashr_i32 s5, s5, 4
	v_lshrrev_b32_e32 v10, 28, v2
	s_add_i32 s5, s5, -1
	s_waitcnt lgkmcnt(0)
	s_mul_i32 s8, s2, s8
	s_mov_b32 s9, 0
	v_add_u32_e32 v2, v1, v10
	s_lshl_b64 s[8:9], s[8:9], 2
	v_ashrrev_i32_e32 v2, 4, v2
	v_mov_b32_e32 v11, s5
	v_cmp_gt_i32_e32 vcc, s33, v1
	s_add_u32 s6, s6, s8
	s_addc_u32 s7, s7, s9
	v_cndmask_b32_e32 v2, v11, v2, vcc
	v_ashrrev_i32_e32 v3, 31, v2
	v_lshl_add_u64 v[4:5], v[2:3], 2, s[6:7]
	v_or_b32_e32 v2, 16, v1
	v_add_u32_e32 v3, v2, v10
	v_ashrrev_i32_e32 v3, 4, v3
	v_cmp_gt_i32_e32 vcc, s33, v2
	s_load_dwordx4 s[8:11], s[0:1], 0x8
	s_nop 0
	v_cndmask_b32_e32 v2, v11, v3, vcc
	v_ashrrev_i32_e32 v3, 31, v2
	v_lshl_add_u64 v[6:7], v[2:3], 2, s[6:7]
	v_or_b32_e32 v2, 32, v1
	v_add_u32_e32 v3, v2, v10
	v_ashrrev_i32_e32 v3, 4, v3
	v_cmp_gt_i32_e32 vcc, s33, v2
	v_or_b32_e32 v1, 48, v1
	s_nop 0
	v_cndmask_b32_e32 v2, v11, v3, vcc
	v_ashrrev_i32_e32 v3, 31, v2
	v_lshl_add_u64 v[8:9], v[2:3], 2, s[6:7]
	v_add_u32_e32 v2, v1, v10
	v_ashrrev_i32_e32 v2, 4, v2
	v_cmp_gt_i32_e32 vcc, s33, v1
	s_nop 1
	v_cndmask_b32_e32 v2, v11, v2, vcc
	v_ashrrev_i32_e32 v3, 31, v2
	v_lshl_add_u64 v[10:11], v[2:3], 2, s[6:7]
	global_load_dword v3, v[4:5], off
	global_load_dword v2, v[6:7], off
	;; [unrolled: 1-line block ×4, first 2 shown]
	s_andn2_b64 vcc, exec, s[14:15]
	s_cbranch_vccnz .LBB961_8
; %bb.6:
	s_add_u32 s12, s12, s16
	s_addc_u32 s13, s13, s17
	s_load_dword s14, s[12:13], 0x0
	s_branch .LBB961_9
.LBB961_7:
	s_mov_b64 s[8:9], 0
	s_branch .LBB961_2
.LBB961_8:
	s_mov_b32 s14, s2
.LBB961_9:
	s_load_dwordx4 s[44:47], s[0:1], 0x48
	v_lshrrev_b32_e32 v61, 6, v0
	v_bfe_u32 v64, v0, 4, 2
	v_and_b32_e32 v60, 15, v0
	v_lshl_or_b32 v4, v61, 2, v64
	v_lshlrev_b32_e32 v1, 3, v60
	v_and_b32_e32 v65, 63, v0
	s_mul_i32 s48, s4, 14
	v_cmp_gt_u32_e32 vcc, 14, v4
	v_lshlrev_b32_e32 v58, 1, v1
	v_lshlrev_b32_e32 v1, 4, v0
	s_and_saveexec_b64 s[12:13], vcc
	s_cbranch_execz .LBB961_11
; %bb.10:
	s_load_dwordx2 s[16:17], s[0:1], 0x0
	s_waitcnt lgkmcnt(0)
	s_ashr_i32 s15, s44, 31
	s_mul_hi_u32 s19, s14, s44
	s_mul_i32 s15, s14, s15
	s_add_i32 s15, s19, s15
	s_mul_i32 s14, s14, s44
	s_lshl_b64 s[14:15], s[14:15], 1
	s_add_u32 s14, s16, s14
	v_add_lshl_u32 v6, v4, s48, 7
	s_addc_u32 s15, s17, s15
	v_ashrrev_i32_e32 v7, 31, v6
	v_lshl_add_u64 v[6:7], v[6:7], 1, s[14:15]
	v_mov_b32_e32 v59, 0
	v_lshl_add_u64 v[6:7], v[6:7], 0, v[58:59]
	global_load_dwordx4 v[6:9], v[6:7], off
	v_lshlrev_b32_e32 v10, 8, v0
	v_lshlrev_b32_e32 v5, 8, v60
	v_and_b32_e32 v10, 0x600, v10
	s_movk_i32 s14, 0x800
	v_and_or_b32 v5, v5, s14, v10
	v_lshlrev_b32_e32 v4, 5, v4
	v_and_b32_e32 v10, 16, v1
	v_or3_b32 v4, v5, v4, v10
	s_waitcnt vmcnt(0)
	ds_write_b128 v4, v[6:9]
.LBB961_11:
	s_or_b64 exec, exec, s[12:13]
	s_waitcnt lgkmcnt(0)
	s_mul_i32 s4, s4, s46
	s_add_u32 s8, s8, s4
	s_addc_u32 s9, s9, 0
	v_and_b32_e32 v62, 0xf0, v1
	v_mov_b32_e32 v63, 0
	v_and_b32_e32 v6, 48, v0
	v_lshl_add_u64 v[30:31], s[8:9], 0, v[62:63]
	v_lshlrev_b32_e32 v62, 4, v6
	s_waitcnt vmcnt(3)
	v_mad_i64_i32 v[4:5], s[8:9], v3, s45, v[30:31]
	v_lshl_add_u64 v[4:5], v[4:5], 0, v[62:63]
	s_load_dword s25, s[0:1], 0x98
	s_load_dwordx4 s[40:43], s[0:1], 0x80
	s_waitcnt lgkmcnt(0)
	s_barrier
	global_load_dwordx4 v[22:25], v[4:5], off
	global_load_dwordx4 v[10:13], v[4:5], off offset:1024
	s_waitcnt vmcnt(4)
	v_mad_i64_i32 v[2:3], s[8:9], v2, s45, v[30:31]
	v_lshl_add_u64 v[32:33], v[2:3], 0, v[62:63]
	global_load_dwordx4 v[2:5], v[32:33], off
	v_add_u32_e32 v7, -14, v60
	v_cmp_gt_u32_e32 vcc, 14, v60
	v_or_b32_e32 v6, s18, v6
	v_mov_b32_e32 v38, s5
	v_cndmask_b32_e32 v7, v7, v60, vcc
	v_lshlrev_b32_e32 v7, 5, v7
	v_ashrrev_i32_e32 v8, 4, v6
	v_lshl_add_u32 v7, v64, 9, v7
	v_cmp_gt_i32_e32 vcc, s33, v6
	v_or_b32_e32 v39, 64, v6
	v_or_b32_e32 v43, 0x80, v6
	;; [unrolled: 1-line block ×3, first 2 shown]
	v_cndmask_b32_e32 v40, v38, v8, vcc
	ds_read_b128 v[26:29], v7
	ds_read_b128 v[18:21], v7 offset:16
	ds_read_b128 v[14:17], v7 offset:2048
	;; [unrolled: 1-line block ×3, first 2 shown]
	s_waitcnt vmcnt(4)
	v_mad_i64_i32 v[36:37], s[12:13], v34, s45, v[30:31]
	s_waitcnt vmcnt(3)
	v_mad_i64_i32 v[34:35], s[12:13], v35, s45, v[30:31]
	global_load_dwordx4 v[30:33], v[32:33], off offset:1024
	v_ashrrev_i32_e32 v42, 4, v39
	v_cmp_gt_i32_e32 vcc, s33, v39
	v_ashrrev_i32_e32 v44, 4, v43
	v_ashrrev_i32_e32 v46, 4, v45
	v_cndmask_b32_e32 v42, v38, v42, vcc
	v_cmp_gt_i32_e32 vcc, s33, v43
	v_ashrrev_i32_e32 v41, 31, v40
	v_lshl_add_u64 v[36:37], v[36:37], 0, v[62:63]
	v_cndmask_b32_e32 v44, v38, v44, vcc
	v_cmp_gt_i32_e32 vcc, s33, v45
	v_lshl_add_u64 v[34:35], v[34:35], 0, v[62:63]
	v_ashrrev_i32_e32 v43, 31, v42
	v_cndmask_b32_e32 v38, v38, v46, vcc
	v_ashrrev_i32_e32 v45, 31, v44
	v_ashrrev_i32_e32 v39, 31, v38
	v_lshl_add_u64 v[50:51], v[40:41], 2, s[6:7]
	v_lshl_add_u64 v[52:53], v[42:43], 2, s[6:7]
	;; [unrolled: 1-line block ×4, first 2 shown]
	global_load_dwordx4 v[46:49], v[36:37], off
	global_load_dwordx4 v[42:45], v[36:37], off offset:1024
	global_load_dwordx4 v[38:41], v[34:35], off
	s_nop 0
	global_load_dwordx4 v[34:37], v[34:35], off offset:1024
	s_nop 0
	global_load_dword v69, v[50:51], off
	global_load_dword v68, v[52:53], off
	;; [unrolled: 1-line block ×4, first 2 shown]
	s_add_u32 s4, s10, s4
	v_lshl_or_b32 v59, v61, 4, v60
	s_addc_u32 s5, s11, 0
	v_lshlrev_b32_e32 v62, 4, v59
	s_load_dword s8, s[0:1], 0x1c
	s_waitcnt vmcnt(11)
	v_cvt_pk_f32_fp8_e32 v[50:51], v22
	v_cvt_pk_f32_fp8_sdwa v[52:53], v22 src0_sel:WORD_1
	v_cvt_pk_f32_fp8_e32 v[54:55], v23
	v_cvt_pk_f32_fp8_sdwa v[56:57], v23 src0_sel:WORD_1
	;; [unrolled: 2-line block ×4, first 2 shown]
	s_waitcnt vmcnt(9)
	v_cvt_pk_f32_fp8_e32 v[22:23], v2
	v_cvt_pk_f32_fp8_sdwa v[24:25], v2 src0_sel:WORD_1
	v_cvt_pkrtz_f16_f32 v50, v50, v51
	v_cvt_pkrtz_f16_f32 v51, v52, v53
	v_cvt_pk_f32_fp8_e32 v[78:79], v10
	v_cvt_pk_f32_fp8_sdwa v[80:81], v10 src0_sel:WORD_1
	v_cvt_pk_f32_fp8_e32 v[52:53], v11
	v_cvt_pk_f32_fp8_sdwa v[82:83], v11 src0_sel:WORD_1
	v_cvt_pkrtz_f16_f32 v10, v22, v23
	v_cvt_pkrtz_f16_f32 v11, v24, v25
	;; [unrolled: 1-line block ×4, first 2 shown]
	s_waitcnt lgkmcnt(0)
	v_mfma_f32_16x16x16_f16 v[22:25], v[50:51], v[26:27], 0
	v_cvt_pk_f32_fp8_e32 v[50:51], v12
	v_cvt_pk_f32_fp8_sdwa v[86:87], v12 src0_sel:WORD_1
	v_cvt_pkrtz_f16_f32 v50, v50, v51
	v_mfma_f32_16x16x16_f16 v[54:57], v[10:11], v[26:27], 0
	v_cvt_pkrtz_f16_f32 v10, v70, v71
	v_cvt_pkrtz_f16_f32 v11, v72, v73
	;; [unrolled: 1-line block ×3, first 2 shown]
	v_mfma_f32_16x16x16_f16 v[22:25], v[84:85], v[28:29], v[22:25]
	v_cvt_pkrtz_f16_f32 v73, v76, v77
	v_cvt_pkrtz_f16_f32 v76, v78, v79
	;; [unrolled: 1-line block ×3, first 2 shown]
	v_mfma_f32_16x16x16_f16 v[22:25], v[10:11], v[18:19], v[22:25]
	v_cvt_pk_f32_fp8_e32 v[70:71], v13
	v_cvt_pk_f32_fp8_sdwa v[74:75], v13 src0_sel:WORD_1
	v_cvt_pkrtz_f16_f32 v51, v86, v87
	v_mfma_f32_16x16x16_f16 v[10:13], v[72:73], v[20:21], v[22:25]
	s_waitcnt vmcnt(7)
	v_cvt_pk_f32_fp8_e32 v[72:73], v49
	s_nop 0
	v_cvt_pkrtz_f16_f32 v24, v52, v53
	v_cvt_pkrtz_f16_f32 v25, v82, v83
	v_mfma_f32_16x16x16_f16 v[10:13], v[76:77], v[14:15], v[10:13]
	v_cvt_pk_f32_fp8_e32 v[22:23], v3
	v_cvt_pk_f32_fp8_sdwa v[2:3], v3 src0_sel:WORD_1
	v_cvt_pkrtz_f16_f32 v52, v70, v71
	v_mfma_f32_16x16x16_f16 v[10:13], v[24:25], v[16:17], v[10:13]
	v_cvt_pkrtz_f16_f32 v53, v74, v75
	v_cvt_pk_f32_fp8_e32 v[24:25], v4
	v_cvt_pk_f32_fp8_sdwa v[70:71], v4 src0_sel:WORD_1
	v_mfma_f32_16x16x16_f16 v[10:13], v[50:51], v[6:7], v[10:13]
	v_cvt_pkrtz_f16_f32 v22, v22, v23
	v_cvt_pkrtz_f16_f32 v23, v2, v3
	s_waitcnt vmcnt(6)
	v_cvt_pk_f32_fp8_sdwa v[76:77], v44 src0_sel:WORD_1
	v_mfma_f32_16x16x16_f16 v[50:53], v[52:53], v[8:9], v[10:13]
	s_nop 2
	v_cvt_pkrtz_f16_f32 v10, v24, v25
	v_cvt_pkrtz_f16_f32 v11, v70, v71
	v_cvt_pk_f32_fp8_e32 v[12:13], v5
	v_cvt_pk_f32_fp8_sdwa v[24:25], v5 src0_sel:WORD_1
	v_mfma_f32_16x16x16_f16 v[2:5], v[22:23], v[28:29], v[54:57]
	v_cvt_pk_f32_fp8_sdwa v[22:23], v30 src0_sel:WORD_1
	v_cvt_pkrtz_f16_f32 v12, v12, v13
	v_cvt_pkrtz_f16_f32 v13, v24, v25
	v_mfma_f32_16x16x16_f16 v[2:5], v[10:11], v[18:19], v[2:5]
	v_cvt_pk_f32_fp8_e32 v[10:11], v30
	v_cvt_pk_f32_fp8_e32 v[24:25], v32
	v_lshl_add_u64 v[70:71], s[4:5], 0, v[62:63]
	v_mfma_f32_16x16x16_f16 v[2:5], v[12:13], v[20:21], v[2:5]
	v_cvt_pk_f32_fp8_e32 v[12:13], v31
	v_cvt_pkrtz_f16_f32 v10, v10, v11
	v_cvt_pkrtz_f16_f32 v11, v22, v23
	v_cvt_pk_f32_fp8_sdwa v[22:23], v31 src0_sel:WORD_1
	v_cvt_pkrtz_f16_f32 v12, v12, v13
	v_cvt_pk_f32_fp8_sdwa v[30:31], v32 src0_sel:WORD_1
	v_mfma_f32_16x16x16_f16 v[2:5], v[10:11], v[14:15], v[2:5]
	v_cvt_pkrtz_f16_f32 v13, v22, v23
	v_cvt_pkrtz_f16_f32 v10, v24, v25
	;; [unrolled: 1-line block ×3, first 2 shown]
	v_cvt_pk_f32_fp8_e32 v[22:23], v33
	v_cvt_pk_f32_fp8_sdwa v[24:25], v33 src0_sel:WORD_1
	v_mfma_f32_16x16x16_f16 v[2:5], v[12:13], v[16:17], v[2:5]
	v_or_b32_e32 v62, 0x400, v62
	v_cvt_pkrtz_f16_f32 v12, v22, v23
	v_cvt_pkrtz_f16_f32 v13, v24, v25
	v_mfma_f32_16x16x16_f16 v[2:5], v[10:11], v[6:7], v[2:5]
	v_cvt_pk_f32_fp8_e32 v[10:11], v46
	v_cvt_pk_f32_fp8_sdwa v[22:23], v46 src0_sel:WORD_1
	v_cvt_pk_f32_fp8_sdwa v[24:25], v48 src0_sel:WORD_1
	v_mfma_f32_16x16x16_f16 v[54:57], v[12:13], v[8:9], v[2:5]
	s_waitcnt vmcnt(3)
	v_mad_i64_i32 v[12:13], s[6:7], v69, s45, v[70:71]
	s_nop 0
	v_cvt_pkrtz_f16_f32 v2, v10, v11
	v_cvt_pkrtz_f16_f32 v3, v22, v23
	v_cvt_pk_f32_fp8_e32 v[4:5], v47
	v_cvt_pk_f32_fp8_sdwa v[10:11], v47 src0_sel:WORD_1
	s_waitcnt vmcnt(2)
	v_mad_i64_i32 v[46:47], s[6:7], v68, s45, v[70:71]
	v_cvt_pkrtz_f16_f32 v22, v4, v5
	v_cvt_pkrtz_f16_f32 v23, v10, v11
	v_cvt_pk_f32_fp8_e32 v[10:11], v48
	v_mfma_f32_16x16x16_f16 v[2:5], v[2:3], v[26:27], 0
	v_cvt_pk_f32_fp8_sdwa v[48:49], v49 src0_sel:WORD_1
	v_cvt_pkrtz_f16_f32 v10, v10, v11
	v_cvt_pkrtz_f16_f32 v11, v24, v25
	v_mfma_f32_16x16x16_f16 v[2:5], v[22:23], v[28:29], v[2:5]
	global_load_dwordx4 v[30:33], v[12:13], off
	global_load_dwordx4 v[22:25], v[46:47], off
	v_cvt_pkrtz_f16_f32 v12, v72, v73
	v_cvt_pkrtz_f16_f32 v13, v48, v49
	v_mfma_f32_16x16x16_f16 v[2:5], v[10:11], v[18:19], v[2:5]
	v_cvt_pk_f32_fp8_e32 v[10:11], v42
	v_cvt_pk_f32_fp8_sdwa v[46:47], v42 src0_sel:WORD_1
	s_waitcnt vmcnt(3)
	v_mad_i64_i32 v[72:73], s[6:7], v67, s45, v[70:71]
	v_mfma_f32_16x16x16_f16 v[2:5], v[12:13], v[20:21], v[2:5]
	v_cvt_pkrtz_f16_f32 v10, v10, v11
	v_cvt_pkrtz_f16_f32 v11, v46, v47
	v_cvt_pk_f32_fp8_e32 v[12:13], v43
	v_cvt_pk_f32_fp8_sdwa v[42:43], v43 src0_sel:WORD_1
	v_mfma_f32_16x16x16_f16 v[46:49], v[10:11], v[14:15], v[2:5]
	v_cvt_pkrtz_f16_f32 v74, v12, v13
	v_cvt_pkrtz_f16_f32 v75, v42, v43
	v_cvt_pk_f32_fp8_e32 v[42:43], v44
	s_waitcnt vmcnt(2)
	v_mad_i64_i32 v[70:71], s[6:7], v66, s45, v[70:71]
	global_load_dwordx4 v[10:13], v[72:73], off
	global_load_dwordx4 v[2:5], v[70:71], off
	v_cvt_pkrtz_f16_f32 v70, v42, v43
	v_cvt_pkrtz_f16_f32 v71, v76, v77
	v_cvt_pk_f32_fp8_e32 v[72:73], v45
	v_cvt_pk_f32_fp8_sdwa v[76:77], v45 src0_sel:WORD_1
	v_mfma_f32_16x16x16_f16 v[44:47], v[74:75], v[16:17], v[46:49]
	v_lshl_add_u64 v[42:43], s[4:5], 0, v[62:63]
	v_cvt_pk_f32_fp8_e32 v[62:63], v38
	v_cvt_pk_f32_fp8_sdwa v[74:75], v38 src0_sel:WORD_1
	v_cvt_pkrtz_f16_f32 v48, v72, v73
	v_cvt_pkrtz_f16_f32 v49, v76, v77
	v_mfma_f32_16x16x16_f16 v[44:47], v[70:71], v[6:7], v[44:47]
	s_load_dword s4, s[40:41], 0x0
	s_mov_b32 s40, 0xff7fffff
	v_mfma_f32_16x16x16_f16 v[70:73], v[48:49], v[8:9], v[44:47]
	s_nop 3
	v_cvt_pk_f32_fp8_e32 v[44:45], v39
	v_cvt_pkrtz_f16_f32 v46, v62, v63
	v_cvt_pkrtz_f16_f32 v47, v74, v75
	v_cvt_pk_f32_fp8_sdwa v[38:39], v39 src0_sel:WORD_1
	v_cvt_pkrtz_f16_f32 v48, v44, v45
	v_cvt_pk_f32_fp8_e32 v[62:63], v40
	v_cvt_pk_f32_fp8_sdwa v[74:75], v40 src0_sel:WORD_1
	v_cvt_pkrtz_f16_f32 v49, v38, v39
	v_mfma_f32_16x16x16_f16 v[44:47], v[46:47], v[26:27], 0
	v_cvt_pkrtz_f16_f32 v38, v62, v63
	v_cvt_pkrtz_f16_f32 v39, v74, v75
	v_cvt_pk_f32_fp8_e32 v[62:63], v41
	v_cvt_pk_f32_fp8_sdwa v[74:75], v41 src0_sel:WORD_1
	v_mov_b32_e32 v26, s8
	s_waitcnt lgkmcnt(0)
	v_mul_f32_e32 v76, s4, v26
	v_mfma_f32_16x16x16_f16 v[26:29], v[48:49], v[28:29], v[44:47]
	v_cvt_pk_f32_fp8_sdwa v[48:49], v37 src0_sel:WORD_1
	v_pk_mul_f32 v[40:41], v[76:77], v[52:53] op_sel_hi:[0,1]
	v_pk_mul_f32 v[52:53], v[76:77], v[54:55] op_sel_hi:[0,1]
	v_cvt_pkrtz_f16_f32 v46, v62, v63
	v_cvt_pkrtz_f16_f32 v47, v74, v75
	v_mfma_f32_16x16x16_f16 v[26:29], v[38:39], v[18:19], v[26:29]
	v_cvt_pk_f32_fp8_e32 v[18:19], v34
	v_cvt_pk_f32_fp8_sdwa v[38:39], v34 src0_sel:WORD_1
	v_pk_mul_f32 v[44:45], v[76:77], v[50:51] op_sel_hi:[0,1]
	v_mfma_f32_16x16x16_f16 v[26:29], v[46:47], v[20:21], v[26:29]
	v_cvt_pkrtz_f16_f32 v20, v18, v19
	v_cvt_pkrtz_f16_f32 v21, v38, v39
	v_cvt_pk_f32_fp8_e32 v[38:39], v35
	v_cvt_pk_f32_fp8_sdwa v[34:35], v35 src0_sel:WORD_1
	v_mfma_f32_16x16x16_f16 v[26:29], v[20:21], v[14:15], v[26:29]
	v_cvt_pkrtz_f16_f32 v38, v38, v39
	v_cvt_pkrtz_f16_f32 v39, v34, v35
	v_cvt_pk_f32_fp8_e32 v[14:15], v36
	v_cvt_pk_f32_fp8_sdwa v[20:21], v36 src0_sel:WORD_1
	v_pk_mul_f32 v[50:51], v[76:77], v[70:71] op_sel_hi:[0,1]
	v_mad_i64_i32 v[18:19], s[4:5], v69, s45, v[42:43]
	v_cvt_pkrtz_f16_f32 v46, v14, v15
	v_cvt_pkrtz_f16_f32 v47, v20, v21
	v_cvt_pk_f32_fp8_e32 v[20:21], v37
	v_mfma_f32_16x16x16_f16 v[14:17], v[38:39], v[16:17], v[26:29]
	v_pk_mul_f32 v[36:37], v[76:77], v[56:57] op_sel_hi:[0,1]
	v_mad_i64_i32 v[34:35], s[4:5], v68, s45, v[42:43]
	v_cvt_pkrtz_f16_f32 v20, v20, v21
	v_cvt_pkrtz_f16_f32 v21, v48, v49
	v_mfma_f32_16x16x16_f16 v[14:17], v[46:47], v[6:7], v[14:17]
	v_pk_mul_f32 v[46:47], v[76:77], v[72:73] op_sel_hi:[0,1]
	v_mfma_f32_16x16x16_f16 v[6:9], v[20:21], v[8:9], v[14:17]
	global_load_dwordx4 v[26:29], v[18:19], off
	s_nop 0
	global_load_dwordx4 v[18:21], v[34:35], off
	s_nop 3
	v_pk_mul_f32 v[48:49], v[76:77], v[6:7] op_sel_hi:[0,1]
	v_and_b32_e32 v6, 0xc0, v0
	v_add_u32_e32 v6, s18, v6
	v_lshl_or_b32 v6, v64, 2, v6
	v_pk_mul_f32 v[38:39], v[76:77], v[8:9] op_sel_hi:[0,1]
	v_or_b32_e32 v9, 1, v6
	v_mov_b32_e32 v7, 0xff7fffff
	v_cmp_gt_i32_e64 s[26:27], s33, v6
	v_cmp_gt_i32_e64 s[28:29], s33, v9
	v_or_b32_e32 v14, 3, v6
	v_cndmask_b32_e64 v8, v7, v44, s[26:27]
	v_cndmask_b32_e64 v9, v7, v45, s[28:29]
	v_max3_f32 v8, v8, s40, v9
	v_or_b32_e32 v9, 2, v6
	v_cmp_gt_i32_e64 s[30:31], s33, v9
	v_cmp_gt_i32_e64 s[34:35], s33, v14
	s_nop 0
	v_cndmask_b32_e64 v9, v7, v40, s[30:31]
	v_cndmask_b32_e64 v14, v7, v41, s[34:35]
	v_max3_f32 v8, v8, v9, v14
	v_or_b32_e32 v9, 16, v6
	v_or_b32_e32 v14, 17, v6
	v_cmp_gt_i32_e64 s[18:19], s33, v9
	v_cmp_gt_i32_e64 s[20:21], s33, v14
	s_nop 0
	v_cndmask_b32_e64 v9, v7, v52, s[18:19]
	v_cndmask_b32_e64 v14, v7, v53, s[20:21]
	v_max3_f32 v8, v8, v9, v14
	v_or_b32_e32 v9, 18, v6
	;; [unrolled: 8-line block ×5, first 2 shown]
	v_or_b32_e32 v14, 49, v6
	v_cmp_gt_i32_e32 vcc, s33, v9
	v_cmp_gt_i32_e64 s[4:5], s33, v14
	s_nop 0
	v_cndmask_b32_e32 v9, v7, v48, vcc
	v_cndmask_b32_e64 v14, v7, v49, s[4:5]
	v_max3_f32 v8, v8, v9, v14
	v_or_b32_e32 v9, 50, v6
	v_or_b32_e32 v6, 51, v6
	v_cmp_gt_i32_e64 s[6:7], s33, v9
	v_cmp_gt_i32_e64 s[8:9], s33, v6
	s_nop 0
	v_cndmask_b32_e64 v9, v7, v38, s[6:7]
	v_cndmask_b32_e64 v6, v7, v39, s[8:9]
	v_max3_f32 v8, v8, v9, v6
	v_mbcnt_lo_u32_b32 v6, -1, 0
	v_mbcnt_hi_u32_b32 v9, -1, v6
	v_and_b32_e32 v6, 64, v9
	v_add_u32_e32 v14, 64, v6
	v_xor_b32_e32 v6, 32, v9
	v_cmp_lt_i32_e64 s[38:39], v6, v14
	s_nop 1
	v_cndmask_b32_e64 v6, v9, v6, s[38:39]
	v_lshlrev_b32_e32 v55, 2, v6
	ds_bpermute_b32 v15, v55, v8
	v_mad_i64_i32 v[6:7], s[38:39], v67, s45, v[42:43]
	s_waitcnt lgkmcnt(0)
	v_max_f32_e32 v15, v15, v15
	v_max_f32_e32 v34, v8, v15
	v_xor_b32_e32 v8, 16, v9
	v_cmp_lt_i32_e64 s[38:39], v8, v14
	s_nop 1
	v_cndmask_b32_e64 v8, v9, v8, s[38:39]
	v_lshlrev_b32_e32 v56, 2, v8
	v_mad_i64_i32 v[8:9], s[38:39], v66, s45, v[42:43]
	global_load_dwordx4 v[14:17], v[6:7], off
	s_nop 0
	global_load_dwordx4 v[6:9], v[8:9], off
	ds_bpermute_b32 v35, v56, v34
	s_waitcnt lgkmcnt(0)
	s_barrier
	v_max_f32_e32 v35, v35, v35
	v_max_f32_e32 v54, v34, v35
	v_sub_f32_e32 v42, v52, v54
	v_mul_f32_e32 v42, 0x3fb8aa3b, v42
	v_exp_f32_e32 v42, v42
	v_sub_f32_e32 v36, v36, v54
	v_sub_f32_e32 v34, v44, v54
	v_mul_f32_e32 v36, 0x3fb8aa3b, v36
	v_mul_f32_e32 v34, 0x3fb8aa3b, v34
	v_sub_f32_e32 v35, v45, v54
	v_sub_f32_e32 v43, v53, v54
	v_exp_f32_e32 v44, v36
	v_sub_f32_e32 v36, v37, v54
	v_sub_f32_e32 v48, v48, v54
	;; [unrolled: 1-line block ×3, first 2 shown]
	v_exp_f32_e32 v34, v34
	v_mul_f32_e32 v35, 0x3fb8aa3b, v35
	v_sub_f32_e32 v40, v40, v54
	v_mul_f32_e32 v43, 0x3fb8aa3b, v43
	v_mul_f32_e32 v36, 0x3fb8aa3b, v36
	;; [unrolled: 1-line block ×4, first 2 shown]
	v_exp_f32_e32 v35, v35
	v_mul_f32_e32 v40, 0x3fb8aa3b, v40
	v_sub_f32_e32 v41, v41, v54
	v_exp_f32_e32 v43, v43
	v_exp_f32_e32 v45, v36
	v_cndmask_b32_e64 v36, 0, v42, s[18:19]
	v_sub_f32_e32 v42, v50, v54
	v_exp_f32_e32 v48, v48
	v_exp_f32_e32 v50, v38
	;; [unrolled: 1-line block ×3, first 2 shown]
	v_mul_f32_e32 v41, 0x3fb8aa3b, v41
	v_exp_f32_e32 v41, v41
	v_sub_f32_e32 v38, v39, v54
	v_cndmask_b32_e64 v34, 0, v34, s[26:27]
	v_mul_f32_e32 v38, 0x3fb8aa3b, v38
	v_cndmask_b32_e64 v35, 0, v35, s[28:29]
	v_cndmask_b32_e64 v37, 0, v43, s[20:21]
	v_sub_f32_e32 v43, v51, v54
	v_exp_f32_e32 v51, v38
	v_cndmask_b32_e32 v38, 0, v48, vcc
	v_cndmask_b32_e64 v48, 0, v50, s[6:7]
	v_add_f32_e32 v50, 0, v34
	v_cndmask_b32_e64 v40, 0, v40, s[30:31]
	v_add_f32_e32 v50, v50, v35
	v_cndmask_b32_e64 v41, 0, v41, s[34:35]
	v_mul_f32_e32 v42, 0x3fb8aa3b, v42
	v_add_f32_e32 v50, v50, v40
	v_exp_f32_e32 v42, v42
	v_mul_f32_e32 v43, 0x3fb8aa3b, v43
	v_sub_f32_e32 v46, v46, v54
	v_add_f32_e32 v50, v50, v41
	v_exp_f32_e32 v43, v43
	v_mul_f32_e32 v46, 0x3fb8aa3b, v46
	v_sub_f32_e32 v47, v47, v54
	v_add_f32_e32 v50, v50, v36
	v_cndmask_b32_e64 v44, 0, v44, s[22:23]
	v_exp_f32_e32 v46, v46
	v_mul_f32_e32 v47, 0x3fb8aa3b, v47
	v_add_f32_e32 v50, v50, v37
	v_cndmask_b32_e64 v45, 0, v45, s[36:37]
	v_exp_f32_e32 v47, v47
	v_sub_f32_e32 v49, v49, v54
	v_add_f32_e32 v50, v50, v44
	v_cndmask_b32_e64 v42, 0, v42, s[10:11]
	v_mul_f32_e32 v49, 0x3fb8aa3b, v49
	v_add_f32_e32 v50, v50, v45
	v_cndmask_b32_e64 v43, 0, v43, s[12:13]
	v_exp_f32_e32 v49, v49
	v_add_f32_e32 v50, v50, v42
	v_cndmask_b32_e64 v46, 0, v46, s[14:15]
	v_add_f32_e32 v50, v50, v43
	v_cndmask_b32_e64 v47, 0, v47, s[16:17]
	v_add_f32_e32 v50, v50, v46
	v_add_f32_e32 v50, v50, v47
	v_cndmask_b32_e64 v39, 0, v49, s[4:5]
	v_add_f32_e32 v50, v50, v38
	;; [unrolled: 3-line block ×3, first 2 shown]
	v_add_f32_e32 v50, v50, v49
	ds_bpermute_b32 v51, v55, v50
	v_cmp_gt_u32_e32 vcc, 16, v65
	s_waitcnt lgkmcnt(0)
	v_add_f32_e32 v50, v50, v51
	ds_bpermute_b32 v51, v56, v50
	s_and_saveexec_b64 s[4:5], vcc
	s_cbranch_execz .LBB961_13
; %bb.12:
	s_waitcnt lgkmcnt(0)
	v_add_f32_e32 v50, v50, v51
	v_lshlrev_b32_e32 v51, 2, v59
	ds_write2st64_b32 v51, v54, v50 offset1:1
.LBB961_13:
	s_or_b64 exec, exec, s[4:5]
	s_waitcnt lgkmcnt(0)
	v_lshlrev_b32_e32 v51, 2, v60
	s_load_dword s6, s[0:1], 0x94
	s_waitcnt lgkmcnt(0)
	s_barrier
	ds_read2_b32 v[52:53], v51 offset1:16
	ds_read2_b32 v[54:55], v51 offset0:32 offset1:48
	ds_read2_b32 v[56:57], v51 offset0:64 offset1:80
	s_mul_i32 s7, s25, 14
	s_waitcnt lgkmcnt(2)
	v_max3_f32 v50, v52, s40, v53
	s_waitcnt lgkmcnt(1)
	v_max3_f32 v50, v50, v54, v55
	v_sub_f32_e32 v52, v52, v50
	v_mul_f32_e32 v52, 0x3fb8aa3b, v52
	v_exp_f32_e32 v59, v52
	v_sub_f32_e32 v52, v53, v50
	v_mul_f32_e32 v52, 0x3fb8aa3b, v52
	v_exp_f32_e32 v62, v52
	;; [unrolled: 3-line block ×3, first 2 shown]
	ds_read2_b32 v[52:53], v51 offset0:96 offset1:112
	v_sub_f32_e32 v51, v55, v50
	v_mul_f32_e32 v51, 0x3fb8aa3b, v51
	v_exp_f32_e32 v55, v51
	s_waitcnt lgkmcnt(1)
	v_fma_f32 v51, v59, v56, 0
	v_fmac_f32_e32 v51, v62, v57
	s_waitcnt lgkmcnt(0)
	v_fmac_f32_e32 v51, v54, v52
	v_fmac_f32_e32 v51, v55, v53
	v_add_f32_e32 v52, 0x358637bd, v51
	v_div_scale_f32 v53, s[4:5], v52, v52, 1.0
	v_rcp_f32_e32 v56, v53
	s_barrier
	v_fma_f32 v57, -v53, v56, 1.0
	v_fmac_f32_e32 v56, v57, v56
	v_div_scale_f32 v57, vcc, 1.0, v52, 1.0
	v_mul_f32_e32 v63, v57, v56
	v_fma_f32 v65, -v53, v63, v57
	v_fmac_f32_e32 v63, v65, v56
	v_fma_f32 v53, -v53, v63, v57
	v_div_fmas_f32 v53, v53, v56, v63
	v_cmp_eq_u32_e32 vcc, 1, v61
	v_div_fixup_f32 v52, v53, v52, 1.0
	s_nop 0
	v_cndmask_b32_e32 v53, v59, v62, vcc
	v_cmp_eq_u32_e32 vcc, 2, v61
	s_nop 1
	v_cndmask_b32_e32 v53, v53, v54, vcc
	v_cmp_eq_u32_e32 vcc, 3, v61
	s_nop 1
	v_cndmask_b32_e32 v53, v53, v55, vcc
	v_mul_f32_e32 v52, v53, v52
	v_pk_mul_f32 v[40:41], v[52:53], v[40:41] op_sel_hi:[0,1]
	v_pk_mul_f32 v[34:35], v[52:53], v[34:35] op_sel_hi:[0,1]
	v_cvt_f16_f32_e32 v53, v40
	v_cvt_f16_f32_e32 v34, v34
	;; [unrolled: 1-line block ×4, first 2 shown]
	v_pk_mul_f32 v[44:45], v[52:53], v[44:45] op_sel_hi:[0,1]
	v_pk_mul_f32 v[36:37], v[52:53], v[36:37] op_sel_hi:[0,1]
	v_cvt_f16_f32_e32 v36, v36
	v_cvt_f16_f32_e32 v37, v37
	;; [unrolled: 1-line block ×4, first 2 shown]
	v_pack_b32_f16 v40, v34, v35
	v_pack_b32_f16 v41, v53, v41
	v_lshlrev_b32_e32 v35, 3, v64
	v_lshlrev_b32_e32 v34, 5, v60
	;; [unrolled: 1-line block ×3, first 2 shown]
	v_or3_b32 v54, v53, v34, v35
	v_pack_b32_f16 v36, v36, v37
	v_pack_b32_f16 v37, v44, v45
	ds_write2st64_b64 v54, v[40:41], v[36:37] offset1:1
	v_pk_mul_f32 v[36:37], v[52:53], v[46:47] op_sel_hi:[0,1]
	v_pk_mul_f32 v[40:41], v[52:53], v[42:43] op_sel_hi:[0,1]
	v_cvt_f16_f32_e32 v35, v40
	v_cvt_f16_f32_e32 v40, v41
	;; [unrolled: 1-line block ×4, first 2 shown]
	v_pk_mul_f32 v[36:37], v[52:53], v[48:49] op_sel_hi:[0,1]
	v_pk_mul_f32 v[38:39], v[52:53], v[38:39] op_sel_hi:[0,1]
	v_cvt_f16_f32_e32 v38, v38
	v_cvt_f16_f32_e32 v39, v39
	;; [unrolled: 1-line block ×4, first 2 shown]
	v_pack_b32_f16 v36, v35, v40
	v_pack_b32_f16 v37, v41, v42
	;; [unrolled: 1-line block ×4, first 2 shown]
	v_cmp_gt_u32_e32 vcc, 14, v0
	ds_write2st64_b64 v54, v[36:37], v[38:39] offset0:2 offset1:3
	s_and_saveexec_b64 s[4:5], vcc
	s_cbranch_execz .LBB961_15
; %bb.14:
	s_mov_b32 s49, 0
	v_mov_b32_e32 v61, 0
	v_lshl_add_u64 v[36:37], s[48:49], 0, v[60:61]
	v_mov_b32_e32 v35, s7
	v_mad_u64_u32 v[36:37], s[12:13], s2, v35, v[36:37]
	s_mul_i32 s3, s3, s7
	v_mov_b32_e32 v38, s24
	v_mov_b32_e32 v39, v61
	s_load_dwordx4 s[8:11], s[0:1], 0x58
	v_add_u32_e32 v35, s3, v37
	v_mad_u64_u32 v[36:37], s[12:13], v36, s6, v[38:39]
	v_mov_b32_e32 v38, v37
	v_mad_u64_u32 v[38:39], s[12:13], v35, s6, v[38:39]
	v_mov_b32_e32 v37, v38
	v_lshlrev_b64 v[36:37], 2, v[36:37]
	s_waitcnt lgkmcnt(0)
	v_lshl_add_u64 v[38:39], s[10:11], 0, v[36:37]
	v_lshl_add_u64 v[36:37], s[8:9], 0, v[36:37]
	global_store_dword v[38:39], v50, off
	global_store_dword v[36:37], v51, off
.LBB961_15:
	s_or_b64 exec, exec, s[4:5]
	s_waitcnt vmcnt(7)
	v_cvt_pk_f32_fp8_e32 v[36:37], v30
	v_lshl_or_b32 v50, v64, 9, v34
	v_cvt_pk_f32_fp8_sdwa v[34:35], v30 src0_sel:WORD_1
	s_waitcnt lgkmcnt(0)
	s_barrier
	v_cvt_pk_f32_fp8_e32 v[38:39], v31
	v_cvt_pkrtz_f16_f32 v30, v36, v37
	v_cvt_pk_f32_fp8_sdwa v[40:41], v31 src0_sel:WORD_1
	v_cvt_pkrtz_f16_f32 v31, v34, v35
	ds_read_b128 v[34:37], v50
	v_cvt_pkrtz_f16_f32 v46, v38, v39
	v_cvt_pkrtz_f16_f32 v47, v40, v41
	ds_read_b128 v[38:41], v50 offset:16
	v_cvt_pk_f32_fp8_e32 v[48:49], v32
	v_cvt_pk_f32_fp8_sdwa v[52:53], v32 src0_sel:WORD_1
	s_waitcnt lgkmcnt(1)
	v_mfma_f32_16x16x16_f16 v[42:45], v[30:31], v[34:35], 0
	s_waitcnt vmcnt(6)
	v_cvt_pk_f32_fp8_e32 v[56:57], v24
	v_cvt_pkrtz_f16_f32 v30, v48, v49
	v_cvt_pkrtz_f16_f32 v31, v52, v53
	v_cvt_pk_f32_fp8_e32 v[48:49], v33
	v_mfma_f32_16x16x16_f16 v[42:45], v[46:47], v[36:37], v[42:45]
	v_cvt_pk_f32_fp8_sdwa v[46:47], v33 src0_sel:WORD_1
	v_cvt_pk_f32_fp8_sdwa v[62:63], v24 src0_sel:WORD_1
	v_cvt_pkrtz_f16_f32 v48, v48, v49
	s_waitcnt lgkmcnt(0)
	v_mfma_f32_16x16x16_f16 v[30:33], v[30:31], v[38:39], v[42:45]
	v_cvt_pkrtz_f16_f32 v49, v46, v47
	s_waitcnt vmcnt(4)
	v_cvt_pk_f32_fp8_sdwa v[70:71], v4 src0_sel:WORD_1
	s_waitcnt vmcnt(3)
	v_cvt_pk_f32_fp8_sdwa v[72:73], v28 src0_sel:WORD_1
	v_cvt_pk_f32_fp8_e32 v[42:43], v22
	v_mfma_f32_16x16x16_f16 v[46:49], v[48:49], v[40:41], v[30:33]
	s_load_dword s4, s[42:43], 0x0
	s_mov_b32 s3, 0
	s_nop 0
	v_cvt_pk_f32_fp8_sdwa v[30:31], v22 src0_sel:WORD_1
	v_cvt_pk_f32_fp8_e32 v[32:33], v23
	v_cvt_pkrtz_f16_f32 v22, v42, v43
	v_cvt_pk_f32_fp8_sdwa v[42:43], v23 src0_sel:WORD_1
	v_cvt_pkrtz_f16_f32 v23, v30, v31
	v_cvt_pkrtz_f16_f32 v52, v32, v33
	ds_read_b128 v[30:33], v50 offset:2048
	v_cvt_pkrtz_f16_f32 v53, v42, v43
	ds_read_b128 v[42:45], v50 offset:2064
	s_waitcnt lgkmcnt(0)
	v_mfma_f32_16x16x16_f16 v[46:49], v[22:23], v[30:31], v[46:49]
	v_cvt_pkrtz_f16_f32 v22, v56, v57
	v_cvt_pkrtz_f16_f32 v23, v62, v63
	v_cvt_pk_f32_fp8_e32 v[56:57], v25
	v_mfma_f32_16x16x16_f16 v[46:49], v[52:53], v[32:33], v[46:49]
	v_cvt_pk_f32_fp8_sdwa v[52:53], v25 src0_sel:WORD_1
	v_cvt_pk_f32_fp8_sdwa v[62:63], v12 src0_sel:WORD_1
	v_cvt_pkrtz_f16_f32 v56, v56, v57
	v_mfma_f32_16x16x16_f16 v[22:25], v[22:23], v[42:43], v[46:49]
	v_cvt_pkrtz_f16_f32 v57, v52, v53
	v_cmp_gt_u32_e32 vcc, 64, v0
	s_nop 0
	v_cvt_pk_f32_fp8_e32 v[46:47], v10
	v_mfma_f32_16x16x16_f16 v[66:69], v[56:57], v[44:45], v[22:25]
	v_cvt_pk_f32_fp8_e32 v[56:57], v12
	s_nop 1
	v_cvt_pk_f32_fp8_sdwa v[22:23], v10 src0_sel:WORD_1
	v_cvt_pk_f32_fp8_e32 v[24:25], v11
	v_cvt_pkrtz_f16_f32 v10, v46, v47
	v_cvt_pk_f32_fp8_sdwa v[46:47], v11 src0_sel:WORD_1
	v_cvt_pkrtz_f16_f32 v11, v22, v23
	v_cvt_pkrtz_f16_f32 v52, v24, v25
	ds_read_b128 v[22:25], v50 offset:4096
	v_cvt_pkrtz_f16_f32 v53, v46, v47
	ds_read_b128 v[46:49], v50 offset:4112
	s_waitcnt lgkmcnt(1)
	v_mfma_f32_16x16x16_f16 v[66:69], v[10:11], v[22:23], v[66:69]
	v_cvt_pkrtz_f16_f32 v10, v56, v57
	v_cvt_pkrtz_f16_f32 v11, v62, v63
	v_cvt_pk_f32_fp8_e32 v[56:57], v13
	v_mfma_f32_16x16x16_f16 v[66:69], v[52:53], v[24:25], v[66:69]
	v_cvt_pk_f32_fp8_sdwa v[52:53], v13 src0_sel:WORD_1
	v_cvt_pk_f32_fp8_e32 v[62:63], v4
	v_cvt_pkrtz_f16_f32 v56, v56, v57
	s_waitcnt lgkmcnt(0)
	v_mfma_f32_16x16x16_f16 v[10:13], v[10:11], v[46:47], v[66:69]
	v_cvt_pkrtz_f16_f32 v57, v52, v53
	v_cvt_pk_f32_fp8_e32 v[52:53], v2
	s_nop 0
	v_mfma_f32_16x16x16_f16 v[66:69], v[56:57], v[48:49], v[10:13]
	s_nop 2
	v_cvt_pk_f32_fp8_sdwa v[10:11], v2 src0_sel:WORD_1
	v_cvt_pk_f32_fp8_e32 v[12:13], v3
	v_cvt_pkrtz_f16_f32 v2, v52, v53
	v_cvt_pk_f32_fp8_sdwa v[52:53], v3 src0_sel:WORD_1
	v_cvt_pkrtz_f16_f32 v3, v10, v11
	v_cvt_pkrtz_f16_f32 v56, v12, v13
	ds_read_b128 v[10:13], v50 offset:6144
	v_cvt_pkrtz_f16_f32 v57, v52, v53
	s_waitcnt lgkmcnt(0)
	v_mfma_f32_16x16x16_f16 v[66:69], v[2:3], v[10:11], v[66:69]
	ds_read_b128 v[50:53], v50 offset:6160
	v_cvt_pkrtz_f16_f32 v2, v62, v63
	v_cvt_pkrtz_f16_f32 v3, v70, v71
	v_cvt_pk_f32_fp8_e32 v[62:63], v5
	v_mfma_f32_16x16x16_f16 v[66:69], v[56:57], v[12:13], v[66:69]
	v_cvt_pk_f32_fp8_sdwa v[56:57], v5 src0_sel:WORD_1
	v_cvt_pk_f32_fp8_e32 v[70:71], v28
	v_cvt_pkrtz_f16_f32 v62, v62, v63
	s_waitcnt lgkmcnt(0)
	v_mfma_f32_16x16x16_f16 v[2:5], v[2:3], v[50:51], v[66:69]
	v_cvt_pkrtz_f16_f32 v63, v56, v57
	v_cvt_pk_f32_fp8_e32 v[56:57], v26
	s_nop 0
	v_cvt_pk_f32_fp8_sdwa v[66:67], v26 src0_sel:WORD_1
	v_mfma_f32_16x16x16_f16 v[2:5], v[62:63], v[52:53], v[2:5]
	v_cvt_pk_f32_fp8_e32 v[62:63], v27
	v_cvt_pkrtz_f16_f32 v56, v56, v57
	v_cvt_pkrtz_f16_f32 v57, v66, v67
	v_cvt_pk_f32_fp8_sdwa v[26:27], v27 src0_sel:WORD_1
	v_cvt_pkrtz_f16_f32 v62, v62, v63
	v_mfma_f32_16x16x16_f16 v[66:69], v[56:57], v[34:35], 0
	v_cvt_pkrtz_f16_f32 v63, v26, v27
	v_cvt_pkrtz_f16_f32 v26, v70, v71
	;; [unrolled: 1-line block ×3, first 2 shown]
	v_cvt_pk_f32_fp8_e32 v[56:57], v29
	v_mfma_f32_16x16x16_f16 v[34:37], v[62:63], v[36:37], v[66:69]
	v_cvt_pk_f32_fp8_sdwa v[62:63], v29 src0_sel:WORD_1
	v_cvt_pkrtz_f16_f32 v56, v56, v57
	s_barrier
	v_mfma_f32_16x16x16_f16 v[26:29], v[26:27], v[38:39], v[34:37]
	v_cvt_pkrtz_f16_f32 v57, v62, v63
	s_waitcnt vmcnt(2)
	v_cvt_pk_f32_fp8_e32 v[38:39], v19
	v_cvt_pk_f32_fp8_e32 v[34:35], v18
	v_cvt_pk_f32_fp8_sdwa v[36:37], v18 src0_sel:WORD_1
	v_cvt_pk_f32_fp8_sdwa v[18:19], v19 src0_sel:WORD_1
	v_mfma_f32_16x16x16_f16 v[26:29], v[56:57], v[40:41], v[26:29]
	v_cvt_pkrtz_f16_f32 v34, v34, v35
	v_cvt_pkrtz_f16_f32 v35, v36, v37
	v_cvt_pkrtz_f16_f32 v36, v38, v39
	v_cvt_pk_f32_fp8_e32 v[38:39], v20
	v_cvt_pk_f32_fp8_sdwa v[40:41], v20 src0_sel:WORD_1
	v_cvt_pkrtz_f16_f32 v37, v18, v19
	v_mfma_f32_16x16x16_f16 v[26:29], v[34:35], v[30:31], v[26:29]
	v_cvt_pkrtz_f16_f32 v30, v38, v39
	v_cvt_pkrtz_f16_f32 v31, v40, v41
	v_cvt_pk_f32_fp8_e32 v[34:35], v21
	v_cvt_pk_f32_fp8_sdwa v[38:39], v21 src0_sel:WORD_1
	v_mfma_f32_16x16x16_f16 v[18:21], v[36:37], v[32:33], v[26:29]
	s_waitcnt vmcnt(1)
	v_cvt_pk_f32_fp8_sdwa v[32:33], v16 src0_sel:WORD_1
	s_nop 0
	v_cvt_pkrtz_f16_f32 v26, v34, v35
	v_cvt_pkrtz_f16_f32 v27, v38, v39
	v_mfma_f32_16x16x16_f16 v[18:21], v[30:31], v[42:43], v[18:21]
	v_cvt_pk_f32_fp8_e32 v[28:29], v14
	v_cvt_pk_f32_fp8_sdwa v[30:31], v14 src0_sel:WORD_1
	v_cvt_pkrtz_f16_f32 v28, v28, v29
	v_mfma_f32_16x16x16_f16 v[18:21], v[26:27], v[44:45], v[18:21]
	v_cvt_pk_f32_fp8_e32 v[26:27], v15
	v_cvt_pkrtz_f16_f32 v29, v30, v31
	v_cvt_pk_f32_fp8_sdwa v[14:15], v15 src0_sel:WORD_1
	v_cvt_pk_f32_fp8_e32 v[30:31], v16
	v_cvt_pkrtz_f16_f32 v26, v26, v27
	v_mfma_f32_16x16x16_f16 v[18:21], v[28:29], v[22:23], v[18:21]
	v_cvt_pkrtz_f16_f32 v27, v14, v15
	v_cvt_pkrtz_f16_f32 v22, v30, v31
	;; [unrolled: 1-line block ×3, first 2 shown]
	v_cvt_pk_f32_fp8_e32 v[28:29], v17
	v_cvt_pk_f32_fp8_sdwa v[30:31], v17 src0_sel:WORD_1
	v_mfma_f32_16x16x16_f16 v[14:17], v[26:27], v[24:25], v[18:21]
	s_waitcnt vmcnt(0)
	v_cvt_pk_f32_fp8_sdwa v[24:25], v6 src0_sel:WORD_1
	s_nop 0
	v_pk_mul_f32 v[18:19], v[4:5], s[4:5] op_sel_hi:[1,0]
	v_cvt_pkrtz_f16_f32 v4, v28, v29
	v_cvt_pkrtz_f16_f32 v5, v30, v31
	v_mfma_f32_16x16x16_f16 v[14:17], v[22:23], v[46:47], v[14:17]
	v_cvt_pk_f32_fp8_e32 v[22:23], v6
	v_pk_mul_f32 v[20:21], v[2:3], s[4:5] op_sel_hi:[1,0]
	v_mfma_f32_16x16x16_f16 v[2:5], v[4:5], v[48:49], v[14:17]
	s_nop 3
	v_cvt_pk_f32_fp8_e32 v[14:15], v7
	v_cvt_pkrtz_f16_f32 v16, v22, v23
	v_cvt_pkrtz_f16_f32 v17, v24, v25
	v_cvt_pk_f32_fp8_sdwa v[6:7], v7 src0_sel:WORD_1
	v_cvt_pkrtz_f16_f32 v14, v14, v15
	v_cvt_pk_f32_fp8_e32 v[22:23], v8
	v_cvt_pk_f32_fp8_sdwa v[24:25], v8 src0_sel:WORD_1
	v_cvt_pkrtz_f16_f32 v15, v6, v7
	v_mfma_f32_16x16x16_f16 v[2:5], v[16:17], v[10:11], v[2:5]
	v_cvt_pkrtz_f16_f32 v6, v22, v23
	v_cvt_pkrtz_f16_f32 v7, v24, v25
	v_cvt_pk_f32_fp8_e32 v[10:11], v9
	v_cvt_pk_f32_fp8_sdwa v[8:9], v9 src0_sel:WORD_1
	v_mfma_f32_16x16x16_f16 v[2:5], v[14:15], v[12:13], v[2:5]
	v_cvt_f16_f32_e32 v12, v20
	v_cvt_pkrtz_f16_f32 v10, v10, v11
	v_cvt_pkrtz_f16_f32 v11, v8, v9
	v_mfma_f32_16x16x16_f16 v[2:5], v[6:7], v[50:51], v[2:5]
	v_cvt_f16_f32_e32 v6, v21
	v_cvt_f16_f32_e32 v7, v18
	;; [unrolled: 1-line block ×3, first 2 shown]
	v_mfma_f32_16x16x16_f16 v[2:5], v[10:11], v[52:53], v[2:5]
	s_nop 6
	v_pk_mul_f32 v[4:5], v[4:5], s[4:5] op_sel_hi:[1,0]
	v_pk_mul_f32 v[2:3], v[2:3], s[4:5] op_sel_hi:[1,0]
	v_cvt_f16_f32_e32 v11, v4
	v_cvt_f16_f32_e32 v9, v2
	;; [unrolled: 1-line block ×4, first 2 shown]
	v_pack_b32_f16 v2, v12, v6
	v_pack_b32_f16 v3, v7, v8
	;; [unrolled: 1-line block ×4, first 2 shown]
	ds_write2st64_b64 v54, v[2:3], v[4:5] offset1:1
	s_waitcnt lgkmcnt(0)
	s_barrier
	s_and_saveexec_b64 s[4:5], vcc
	s_cbranch_execz .LBB961_18
; %bb.16:
	s_load_dwordx2 s[4:5], s[0:1], 0x68
	s_lshl_b32 s0, s6, 7
	s_mul_i32 s1, s7, s2
	v_lshlrev_b32_e32 v3, 6, v60
	s_mul_hi_u32 s7, s1, s0
	s_mul_i32 s6, s1, s0
	v_lshl_or_b32 v0, v0, 10, v3
	s_lshl_b64 s[6:7], s[6:7], 1
	v_lshlrev_b32_e32 v2, 5, v64
	v_and_b32_e32 v1, 16, v1
	v_and_b32_e32 v0, 0x1a00, v0
	s_waitcnt lgkmcnt(0)
	s_add_u32 s1, s4, s6
	v_or3_b32 v2, v0, v2, v1
	s_addc_u32 s4, s5, s7
	s_lshl_b32 s2, s24, 7
	ds_read_b128 v[4:7], v2 offset:256
	s_lshl_b64 s[2:3], s[2:3], 1
	ds_read_b128 v[8:11], v2 offset:128
	ds_read_b128 v[12:15], v2
	s_add_u32 s2, s1, s2
	s_addc_u32 s3, s4, s3
	v_mov_b32_e32 v59, 0
	v_add_u32_e32 v18, s48, v64
	v_lshl_add_u64 v[0:1], s[2:3], 0, v[58:59]
	v_mad_u64_u32 v[16:17], s[2:3], v18, s0, 0
	v_lshl_add_u64 v[16:17], v[16:17], 1, v[0:1]
	s_waitcnt lgkmcnt(0)
	global_store_dwordx4 v[16:17], v[12:15], off
	v_or_b32_e32 v3, 12, v64
	v_cmp_gt_u32_e32 vcc, 14, v3
	v_add_u32_e32 v12, 4, v18
	v_mad_u64_u32 v[12:13], s[2:3], v12, s0, 0
	v_lshl_add_u64 v[12:13], v[12:13], 1, v[0:1]
	global_store_dwordx4 v[12:13], v[8:11], off
	s_nop 1
	v_add_u32_e32 v8, 8, v18
	v_mad_u64_u32 v[8:9], s[2:3], v8, s0, 0
	v_lshl_add_u64 v[8:9], v[8:9], 1, v[0:1]
	global_store_dwordx4 v[8:9], v[4:7], off
	s_and_b64 exec, exec, vcc
	s_cbranch_execz .LBB961_18
; %bb.17:
	ds_read_b128 v[4:7], v2 offset:384
	v_add_u32_e32 v2, s48, v3
	v_mad_u64_u32 v[2:3], s[0:1], v2, s0, 0
	v_lshl_add_u64 v[0:1], v[2:3], 1, v[0:1]
	s_waitcnt lgkmcnt(0)
	global_store_dwordx4 v[0:1], v[4:7], off
.LBB961_18:
	s_endpgm
	.section	.rodata,"a",@progbits
	.p2align	6, 0x0
	.amdhsa_kernel _Z39paged_attention_ll4mi_QKV_mfma16_kernelIDF16_hLN4vllm18Fp8KVCacheDataTypeE1EhLi16ELi128ELi256ELb0ELi14EEvPKT_PKT0_S7_ifPKiS9_S9_iPKfiiiPfSC_PS2_PT2_iSB_SB_
		.amdhsa_group_segment_fixed_size 8192
		.amdhsa_private_segment_fixed_size 0
		.amdhsa_kernarg_size 400
		.amdhsa_user_sgpr_count 2
		.amdhsa_user_sgpr_dispatch_ptr 0
		.amdhsa_user_sgpr_queue_ptr 0
		.amdhsa_user_sgpr_kernarg_segment_ptr 1
		.amdhsa_user_sgpr_dispatch_id 0
		.amdhsa_user_sgpr_kernarg_preload_length 0
		.amdhsa_user_sgpr_kernarg_preload_offset 0
		.amdhsa_user_sgpr_private_segment_size 0
		.amdhsa_uses_dynamic_stack 0
		.amdhsa_enable_private_segment 0
		.amdhsa_system_sgpr_workgroup_id_x 1
		.amdhsa_system_sgpr_workgroup_id_y 1
		.amdhsa_system_sgpr_workgroup_id_z 1
		.amdhsa_system_sgpr_workgroup_info 0
		.amdhsa_system_vgpr_workitem_id 0
		.amdhsa_next_free_vgpr 88
		.amdhsa_next_free_sgpr 50
		.amdhsa_accum_offset 88
		.amdhsa_reserve_vcc 1
		.amdhsa_float_round_mode_32 0
		.amdhsa_float_round_mode_16_64 0
		.amdhsa_float_denorm_mode_32 3
		.amdhsa_float_denorm_mode_16_64 3
		.amdhsa_dx10_clamp 1
		.amdhsa_ieee_mode 1
		.amdhsa_fp16_overflow 0
		.amdhsa_tg_split 0
		.amdhsa_exception_fp_ieee_invalid_op 0
		.amdhsa_exception_fp_denorm_src 0
		.amdhsa_exception_fp_ieee_div_zero 0
		.amdhsa_exception_fp_ieee_overflow 0
		.amdhsa_exception_fp_ieee_underflow 0
		.amdhsa_exception_fp_ieee_inexact 0
		.amdhsa_exception_int_div_zero 0
	.end_amdhsa_kernel
	.section	.text._Z39paged_attention_ll4mi_QKV_mfma16_kernelIDF16_hLN4vllm18Fp8KVCacheDataTypeE1EhLi16ELi128ELi256ELb0ELi14EEvPKT_PKT0_S7_ifPKiS9_S9_iPKfiiiPfSC_PS2_PT2_iSB_SB_,"axG",@progbits,_Z39paged_attention_ll4mi_QKV_mfma16_kernelIDF16_hLN4vllm18Fp8KVCacheDataTypeE1EhLi16ELi128ELi256ELb0ELi14EEvPKT_PKT0_S7_ifPKiS9_S9_iPKfiiiPfSC_PS2_PT2_iSB_SB_,comdat
.Lfunc_end961:
	.size	_Z39paged_attention_ll4mi_QKV_mfma16_kernelIDF16_hLN4vllm18Fp8KVCacheDataTypeE1EhLi16ELi128ELi256ELb0ELi14EEvPKT_PKT0_S7_ifPKiS9_S9_iPKfiiiPfSC_PS2_PT2_iSB_SB_, .Lfunc_end961-_Z39paged_attention_ll4mi_QKV_mfma16_kernelIDF16_hLN4vllm18Fp8KVCacheDataTypeE1EhLi16ELi128ELi256ELb0ELi14EEvPKT_PKT0_S7_ifPKiS9_S9_iPKfiiiPfSC_PS2_PT2_iSB_SB_
                                        ; -- End function
	.section	.AMDGPU.csdata,"",@progbits
; Kernel info:
; codeLenInByte = 6076
; NumSgprs: 56
; NumVgprs: 88
; NumAgprs: 0
; TotalNumVgprs: 88
; ScratchSize: 0
; MemoryBound: 0
; FloatMode: 240
; IeeeMode: 1
; LDSByteSize: 8192 bytes/workgroup (compile time only)
; SGPRBlocks: 6
; VGPRBlocks: 10
; NumSGPRsForWavesPerEU: 56
; NumVGPRsForWavesPerEU: 88
; AccumOffset: 88
; Occupancy: 5
; WaveLimiterHint : 1
; COMPUTE_PGM_RSRC2:SCRATCH_EN: 0
; COMPUTE_PGM_RSRC2:USER_SGPR: 2
; COMPUTE_PGM_RSRC2:TRAP_HANDLER: 0
; COMPUTE_PGM_RSRC2:TGID_X_EN: 1
; COMPUTE_PGM_RSRC2:TGID_Y_EN: 1
; COMPUTE_PGM_RSRC2:TGID_Z_EN: 1
; COMPUTE_PGM_RSRC2:TIDIG_COMP_CNT: 0
; COMPUTE_PGM_RSRC3_GFX90A:ACCUM_OFFSET: 21
; COMPUTE_PGM_RSRC3_GFX90A:TG_SPLIT: 0
	.section	.text._Z39paged_attention_ll4mi_QKV_mfma16_kernelIDF16_hLN4vllm18Fp8KVCacheDataTypeE1EhLi16ELi128ELi256ELb0ELi15EEvPKT_PKT0_S7_ifPKiS9_S9_iPKfiiiPfSC_PS2_PT2_iSB_SB_,"axG",@progbits,_Z39paged_attention_ll4mi_QKV_mfma16_kernelIDF16_hLN4vllm18Fp8KVCacheDataTypeE1EhLi16ELi128ELi256ELb0ELi15EEvPKT_PKT0_S7_ifPKiS9_S9_iPKfiiiPfSC_PS2_PT2_iSB_SB_,comdat
	.protected	_Z39paged_attention_ll4mi_QKV_mfma16_kernelIDF16_hLN4vllm18Fp8KVCacheDataTypeE1EhLi16ELi128ELi256ELb0ELi15EEvPKT_PKT0_S7_ifPKiS9_S9_iPKfiiiPfSC_PS2_PT2_iSB_SB_ ; -- Begin function _Z39paged_attention_ll4mi_QKV_mfma16_kernelIDF16_hLN4vllm18Fp8KVCacheDataTypeE1EhLi16ELi128ELi256ELb0ELi15EEvPKT_PKT0_S7_ifPKiS9_S9_iPKfiiiPfSC_PS2_PT2_iSB_SB_
	.globl	_Z39paged_attention_ll4mi_QKV_mfma16_kernelIDF16_hLN4vllm18Fp8KVCacheDataTypeE1EhLi16ELi128ELi256ELb0ELi15EEvPKT_PKT0_S7_ifPKiS9_S9_iPKfiiiPfSC_PS2_PT2_iSB_SB_
	.p2align	8
	.type	_Z39paged_attention_ll4mi_QKV_mfma16_kernelIDF16_hLN4vllm18Fp8KVCacheDataTypeE1EhLi16ELi128ELi256ELb0ELi15EEvPKT_PKT0_S7_ifPKiS9_S9_iPKfiiiPfSC_PS2_PT2_iSB_SB_,@function
_Z39paged_attention_ll4mi_QKV_mfma16_kernelIDF16_hLN4vllm18Fp8KVCacheDataTypeE1EhLi16ELi128ELi256ELb0ELi15EEvPKT_PKT0_S7_ifPKiS9_S9_iPKfiiiPfSC_PS2_PT2_iSB_SB_: ; @_Z39paged_attention_ll4mi_QKV_mfma16_kernelIDF16_hLN4vllm18Fp8KVCacheDataTypeE1EhLi16ELi128ELi256ELb0ELi15EEvPKT_PKT0_S7_ifPKiS9_S9_iPKfiiiPfSC_PS2_PT2_iSB_SB_
; %bb.0:
	s_load_dwordx2 s[12:13], s[0:1], 0x30
	s_mov_b32 s24, s3
	s_mov_b64 s[6:7], 0
	s_waitcnt lgkmcnt(0)
	s_cmp_lg_u64 s[12:13], 0
	s_cselect_b64 s[14:15], -1, 0
	s_and_b64 vcc, exec, s[14:15]
	s_cbranch_vccz .LBB962_7
; %bb.1:
	s_add_i32 s8, s2, 1
	s_mov_b32 s9, 0
	s_lshl_b64 s[10:11], s[8:9], 2
	s_add_u32 s10, s12, s10
	s_mov_b32 s3, s9
	s_addc_u32 s11, s13, s11
	s_lshl_b64 s[8:9], s[2:3], 2
	s_add_u32 s8, s12, s8
	s_addc_u32 s9, s13, s9
	s_load_dword s5, s[10:11], 0x0
	s_load_dword s16, s[8:9], 0x0
	s_waitcnt lgkmcnt(0)
	s_sub_i32 s5, s5, s16
	s_cmp_eq_u32 s5, 1
	s_cselect_b64 s[8:9], -1, 0
	s_andn2_b64 vcc, exec, s[6:7]
	s_cbranch_vccnz .LBB962_3
.LBB962_2:
	s_mov_b32 s3, 0
	s_mov_b64 s[8:9], -1
.LBB962_3:
	s_andn2_b64 vcc, exec, s[8:9]
	s_cbranch_vccnz .LBB962_18
; %bb.4:
	s_load_dwordx2 s[6:7], s[0:1], 0x28
	s_lshl_b64 s[16:17], s[2:3], 2
	s_waitcnt lgkmcnt(0)
	s_add_u32 s6, s6, s16
	s_addc_u32 s7, s7, s17
	s_load_dword s33, s[6:7], 0x0
	s_lshl_b32 s18, s24, 8
	s_waitcnt lgkmcnt(0)
	s_cmp_ge_i32 s18, s33
	s_cbranch_scc1 .LBB962_18
; %bb.5:
	s_load_dwordx2 s[6:7], s[0:1], 0x20
	s_load_dword s8, s[0:1], 0x38
	s_add_i32 s5, s33, 15
	s_ashr_i32 s9, s5, 31
	v_and_b32_e32 v1, 0xcf, v0
	s_lshr_b32 s9, s9, 28
	v_add_u32_e32 v1, s18, v1
	s_add_i32 s5, s5, s9
	v_ashrrev_i32_e32 v2, 31, v1
	s_ashr_i32 s5, s5, 4
	v_lshrrev_b32_e32 v10, 28, v2
	s_add_i32 s5, s5, -1
	s_waitcnt lgkmcnt(0)
	s_mul_i32 s8, s2, s8
	s_mov_b32 s9, 0
	v_add_u32_e32 v2, v1, v10
	s_lshl_b64 s[8:9], s[8:9], 2
	v_ashrrev_i32_e32 v2, 4, v2
	v_mov_b32_e32 v11, s5
	v_cmp_gt_i32_e32 vcc, s33, v1
	s_add_u32 s6, s6, s8
	s_addc_u32 s7, s7, s9
	v_cndmask_b32_e32 v2, v11, v2, vcc
	v_ashrrev_i32_e32 v3, 31, v2
	v_lshl_add_u64 v[4:5], v[2:3], 2, s[6:7]
	v_or_b32_e32 v2, 16, v1
	v_add_u32_e32 v3, v2, v10
	v_ashrrev_i32_e32 v3, 4, v3
	v_cmp_gt_i32_e32 vcc, s33, v2
	s_load_dwordx4 s[8:11], s[0:1], 0x8
	s_nop 0
	v_cndmask_b32_e32 v2, v11, v3, vcc
	v_ashrrev_i32_e32 v3, 31, v2
	v_lshl_add_u64 v[6:7], v[2:3], 2, s[6:7]
	v_or_b32_e32 v2, 32, v1
	v_add_u32_e32 v3, v2, v10
	v_ashrrev_i32_e32 v3, 4, v3
	v_cmp_gt_i32_e32 vcc, s33, v2
	v_or_b32_e32 v1, 48, v1
	s_nop 0
	v_cndmask_b32_e32 v2, v11, v3, vcc
	v_ashrrev_i32_e32 v3, 31, v2
	v_lshl_add_u64 v[8:9], v[2:3], 2, s[6:7]
	v_add_u32_e32 v2, v1, v10
	v_ashrrev_i32_e32 v2, 4, v2
	v_cmp_gt_i32_e32 vcc, s33, v1
	s_nop 1
	v_cndmask_b32_e32 v2, v11, v2, vcc
	v_ashrrev_i32_e32 v3, 31, v2
	v_lshl_add_u64 v[10:11], v[2:3], 2, s[6:7]
	global_load_dword v3, v[4:5], off
	global_load_dword v2, v[6:7], off
	global_load_dword v34, v[8:9], off
	global_load_dword v35, v[10:11], off
	s_andn2_b64 vcc, exec, s[14:15]
	s_cbranch_vccnz .LBB962_8
; %bb.6:
	s_add_u32 s12, s12, s16
	s_addc_u32 s13, s13, s17
	s_load_dword s14, s[12:13], 0x0
	s_branch .LBB962_9
.LBB962_7:
	s_mov_b64 s[8:9], 0
	s_branch .LBB962_2
.LBB962_8:
	s_mov_b32 s14, s2
.LBB962_9:
	s_load_dwordx4 s[44:47], s[0:1], 0x48
	v_lshrrev_b32_e32 v61, 6, v0
	v_bfe_u32 v64, v0, 4, 2
	v_and_b32_e32 v60, 15, v0
	v_lshl_or_b32 v4, v61, 2, v64
	v_lshlrev_b32_e32 v1, 3, v60
	v_and_b32_e32 v65, 63, v0
	s_mul_i32 s48, s4, 15
	v_cmp_gt_u32_e32 vcc, 15, v4
	v_lshlrev_b32_e32 v58, 1, v1
	v_lshlrev_b32_e32 v1, 4, v0
	s_and_saveexec_b64 s[12:13], vcc
	s_cbranch_execz .LBB962_11
; %bb.10:
	s_load_dwordx2 s[16:17], s[0:1], 0x0
	s_waitcnt lgkmcnt(0)
	s_ashr_i32 s15, s44, 31
	s_mul_hi_u32 s19, s14, s44
	s_mul_i32 s15, s14, s15
	s_add_i32 s15, s19, s15
	s_mul_i32 s14, s14, s44
	s_lshl_b64 s[14:15], s[14:15], 1
	s_add_u32 s14, s16, s14
	v_add_lshl_u32 v6, v4, s48, 7
	s_addc_u32 s15, s17, s15
	v_ashrrev_i32_e32 v7, 31, v6
	v_lshl_add_u64 v[6:7], v[6:7], 1, s[14:15]
	v_mov_b32_e32 v59, 0
	v_lshl_add_u64 v[6:7], v[6:7], 0, v[58:59]
	global_load_dwordx4 v[6:9], v[6:7], off
	v_lshlrev_b32_e32 v10, 8, v0
	v_lshlrev_b32_e32 v5, 8, v60
	v_and_b32_e32 v10, 0x600, v10
	s_movk_i32 s14, 0x800
	v_and_or_b32 v5, v5, s14, v10
	v_lshlrev_b32_e32 v4, 5, v4
	v_and_b32_e32 v10, 16, v1
	v_or3_b32 v4, v5, v4, v10
	s_waitcnt vmcnt(0)
	ds_write_b128 v4, v[6:9]
.LBB962_11:
	s_or_b64 exec, exec, s[12:13]
	s_waitcnt lgkmcnt(0)
	s_mul_i32 s4, s4, s46
	s_add_u32 s8, s8, s4
	v_mov_b32_e32 v63, 0
	s_addc_u32 s9, s9, 0
	v_and_b32_e32 v62, 0xf0, v1
	v_and_b32_e32 v6, 48, v0
	v_lshl_add_u64 v[30:31], s[8:9], 0, v[62:63]
	v_lshlrev_b32_e32 v62, 4, v6
	s_waitcnt vmcnt(3)
	v_mad_i64_i32 v[4:5], s[8:9], v3, s45, v[30:31]
	v_lshl_add_u64 v[4:5], v[4:5], 0, v[62:63]
	s_load_dword s25, s[0:1], 0x98
	s_load_dwordx4 s[40:43], s[0:1], 0x80
	s_waitcnt lgkmcnt(0)
	s_barrier
	global_load_dwordx4 v[22:25], v[4:5], off
	global_load_dwordx4 v[10:13], v[4:5], off offset:1024
	s_waitcnt vmcnt(4)
	v_mad_i64_i32 v[2:3], s[8:9], v2, s45, v[30:31]
	v_lshl_add_u64 v[32:33], v[2:3], 0, v[62:63]
	global_load_dwordx4 v[2:5], v[32:33], off
	v_cmp_ne_u32_e32 vcc, 15, v60
	v_or_b32_e32 v6, s18, v6
	v_mov_b32_e32 v41, s5
	v_cndmask_b32_e32 v7, 0, v60, vcc
	v_lshlrev_b32_e32 v7, 5, v7
	v_ashrrev_i32_e32 v8, 4, v6
	v_lshl_or_b32 v7, v64, 9, v7
	v_cmp_gt_i32_e32 vcc, s33, v6
	v_or_b32_e32 v40, 64, v6
	v_or_b32_e32 v42, 0x80, v6
	;; [unrolled: 1-line block ×3, first 2 shown]
	v_cndmask_b32_e32 v36, v41, v8, vcc
	ds_read_b128 v[26:29], v7
	ds_read_b128 v[18:21], v7 offset:16
	ds_read_b128 v[14:17], v7 offset:2048
	;; [unrolled: 1-line block ×3, first 2 shown]
	s_waitcnt vmcnt(4)
	v_mad_i64_i32 v[38:39], s[12:13], v34, s45, v[30:31]
	s_waitcnt vmcnt(3)
	v_mad_i64_i32 v[34:35], s[12:13], v35, s45, v[30:31]
	global_load_dwordx4 v[30:33], v[32:33], off offset:1024
	v_ashrrev_i32_e32 v45, 4, v40
	v_cmp_gt_i32_e32 vcc, s33, v40
	v_ashrrev_i32_e32 v46, 4, v42
	v_ashrrev_i32_e32 v44, 4, v43
	v_cndmask_b32_e32 v40, v41, v45, vcc
	v_cmp_gt_i32_e32 vcc, s33, v42
	v_ashrrev_i32_e32 v37, 31, v36
	v_lshl_add_u64 v[50:51], v[36:37], 2, s[6:7]
	v_cndmask_b32_e32 v42, v41, v46, vcc
	v_cmp_gt_i32_e32 vcc, s33, v43
	v_lshl_add_u64 v[36:37], v[38:39], 0, v[62:63]
	v_lshl_add_u64 v[34:35], v[34:35], 0, v[62:63]
	v_cndmask_b32_e32 v44, v41, v44, vcc
	v_ashrrev_i32_e32 v41, 31, v40
	v_ashrrev_i32_e32 v43, 31, v42
	;; [unrolled: 1-line block ×3, first 2 shown]
	v_lshl_add_u64 v[52:53], v[40:41], 2, s[6:7]
	v_lshl_add_u64 v[54:55], v[42:43], 2, s[6:7]
	;; [unrolled: 1-line block ×3, first 2 shown]
	global_load_dwordx4 v[46:49], v[36:37], off
	global_load_dwordx4 v[42:45], v[36:37], off offset:1024
	global_load_dwordx4 v[38:41], v[34:35], off
	s_nop 0
	global_load_dwordx4 v[34:37], v[34:35], off offset:1024
	s_nop 0
	global_load_dword v69, v[50:51], off
	global_load_dword v68, v[52:53], off
	;; [unrolled: 1-line block ×4, first 2 shown]
	s_add_u32 s4, s10, s4
	v_lshl_or_b32 v59, v61, 4, v60
	s_addc_u32 s5, s11, 0
	v_lshlrev_b32_e32 v62, 4, v59
	s_load_dword s8, s[0:1], 0x1c
	s_waitcnt vmcnt(11)
	v_cvt_pk_f32_fp8_e32 v[50:51], v22
	v_cvt_pk_f32_fp8_sdwa v[52:53], v22 src0_sel:WORD_1
	v_cvt_pk_f32_fp8_e32 v[54:55], v23
	v_cvt_pk_f32_fp8_sdwa v[56:57], v23 src0_sel:WORD_1
	;; [unrolled: 2-line block ×4, first 2 shown]
	s_waitcnt vmcnt(9)
	v_cvt_pk_f32_fp8_e32 v[22:23], v2
	v_cvt_pk_f32_fp8_sdwa v[24:25], v2 src0_sel:WORD_1
	v_cvt_pkrtz_f16_f32 v50, v50, v51
	v_cvt_pkrtz_f16_f32 v51, v52, v53
	v_cvt_pk_f32_fp8_e32 v[78:79], v10
	v_cvt_pk_f32_fp8_sdwa v[80:81], v10 src0_sel:WORD_1
	v_cvt_pk_f32_fp8_e32 v[82:83], v11
	v_cvt_pk_f32_fp8_sdwa v[52:53], v11 src0_sel:WORD_1
	v_cvt_pkrtz_f16_f32 v10, v22, v23
	v_cvt_pkrtz_f16_f32 v11, v24, v25
	;; [unrolled: 1-line block ×4, first 2 shown]
	s_waitcnt lgkmcnt(0)
	v_mfma_f32_16x16x16_f16 v[22:25], v[50:51], v[26:27], 0
	v_cvt_pk_f32_fp8_e32 v[84:85], v12
	v_cvt_pk_f32_fp8_sdwa v[50:51], v12 src0_sel:WORD_1
	v_cvt_pk_f32_fp8_e32 v[88:89], v13
	v_mfma_f32_16x16x16_f16 v[54:57], v[10:11], v[26:27], 0
	v_cvt_pkrtz_f16_f32 v10, v70, v71
	v_cvt_pkrtz_f16_f32 v11, v72, v73
	;; [unrolled: 1-line block ×3, first 2 shown]
	v_mfma_f32_16x16x16_f16 v[22:25], v[86:87], v[28:29], v[22:25]
	v_cvt_pkrtz_f16_f32 v73, v76, v77
	v_cvt_pk_f32_fp8_sdwa v[70:71], v13 src0_sel:WORD_1
	s_waitcnt vmcnt(6)
	v_cvt_pk_f32_fp8_sdwa v[76:77], v44 src0_sel:WORD_1
	v_mfma_f32_16x16x16_f16 v[10:13], v[10:11], v[18:19], v[22:25]
	s_nop 2
	v_cvt_pkrtz_f16_f32 v24, v78, v79
	v_cvt_pkrtz_f16_f32 v25, v80, v81
	v_mfma_f32_16x16x16_f16 v[10:13], v[72:73], v[20:21], v[10:13]
	v_cvt_pkrtz_f16_f32 v72, v82, v83
	v_cvt_pkrtz_f16_f32 v73, v52, v53
	;; [unrolled: 1-line block ×3, first 2 shown]
	v_mfma_f32_16x16x16_f16 v[10:13], v[24:25], v[14:15], v[10:13]
	v_cvt_pkrtz_f16_f32 v53, v50, v51
	v_cvt_pk_f32_fp8_e32 v[22:23], v3
	v_cvt_pk_f32_fp8_sdwa v[2:3], v3 src0_sel:WORD_1
	v_mfma_f32_16x16x16_f16 v[10:13], v[72:73], v[16:17], v[10:13]
	v_cvt_pkrtz_f16_f32 v50, v88, v89
	v_cvt_pkrtz_f16_f32 v51, v70, v71
	v_cvt_pk_f32_fp8_e32 v[24:25], v4
	v_cvt_pk_f32_fp8_sdwa v[72:73], v4 src0_sel:WORD_1
	v_mfma_f32_16x16x16_f16 v[10:13], v[52:53], v[6:7], v[10:13]
	v_cvt_pkrtz_f16_f32 v22, v22, v23
	v_cvt_pkrtz_f16_f32 v23, v2, v3
	;; [unrolled: 1-line block ×3, first 2 shown]
	v_mfma_f32_16x16x16_f16 v[50:53], v[50:51], v[8:9], v[10:13]
	v_cvt_pkrtz_f16_f32 v25, v72, v73
	v_cvt_pk_f32_fp8_e32 v[72:73], v49
	v_lshl_add_u64 v[70:71], s[4:5], 0, v[62:63]
	v_cvt_pk_f32_fp8_e32 v[10:11], v5
	v_cvt_pk_f32_fp8_sdwa v[12:13], v5 src0_sel:WORD_1
	v_mfma_f32_16x16x16_f16 v[2:5], v[22:23], v[28:29], v[54:57]
	v_cvt_pk_f32_fp8_sdwa v[22:23], v30 src0_sel:WORD_1
	v_cvt_pkrtz_f16_f32 v10, v10, v11
	v_cvt_pkrtz_f16_f32 v11, v12, v13
	v_mfma_f32_16x16x16_f16 v[2:5], v[24:25], v[18:19], v[2:5]
	v_cvt_pk_f32_fp8_e32 v[12:13], v30
	v_cvt_pk_f32_fp8_e32 v[24:25], v32
	v_or_b32_e32 v62, 0x400, v62
	v_mfma_f32_16x16x16_f16 v[2:5], v[10:11], v[20:21], v[2:5]
	v_cvt_pk_f32_fp8_e32 v[10:11], v31
	v_cvt_pkrtz_f16_f32 v12, v12, v13
	v_cvt_pkrtz_f16_f32 v13, v22, v23
	v_cvt_pk_f32_fp8_sdwa v[22:23], v31 src0_sel:WORD_1
	v_cvt_pkrtz_f16_f32 v10, v10, v11
	v_cvt_pk_f32_fp8_sdwa v[30:31], v32 src0_sel:WORD_1
	v_mfma_f32_16x16x16_f16 v[2:5], v[12:13], v[14:15], v[2:5]
	v_cvt_pkrtz_f16_f32 v11, v22, v23
	v_cvt_pkrtz_f16_f32 v12, v24, v25
	;; [unrolled: 1-line block ×3, first 2 shown]
	v_cvt_pk_f32_fp8_e32 v[22:23], v33
	v_cvt_pk_f32_fp8_sdwa v[24:25], v33 src0_sel:WORD_1
	v_mfma_f32_16x16x16_f16 v[2:5], v[10:11], v[16:17], v[2:5]
	v_cvt_pkrtz_f16_f32 v10, v22, v23
	v_cvt_pkrtz_f16_f32 v11, v24, v25
	v_mfma_f32_16x16x16_f16 v[2:5], v[12:13], v[6:7], v[2:5]
	v_cvt_pk_f32_fp8_e32 v[12:13], v46
	v_cvt_pk_f32_fp8_sdwa v[22:23], v46 src0_sel:WORD_1
	v_cvt_pk_f32_fp8_sdwa v[24:25], v48 src0_sel:WORD_1
	v_mfma_f32_16x16x16_f16 v[54:57], v[10:11], v[8:9], v[2:5]
	v_cvt_pk_f32_fp8_sdwa v[10:11], v47 src0_sel:WORD_1
	s_nop 1
	v_cvt_pkrtz_f16_f32 v2, v12, v13
	v_cvt_pkrtz_f16_f32 v3, v22, v23
	v_cvt_pk_f32_fp8_e32 v[4:5], v47
	v_cvt_pkrtz_f16_f32 v23, v10, v11
	v_cvt_pk_f32_fp8_e32 v[10:11], v48
	v_cvt_pk_f32_fp8_sdwa v[48:49], v49 src0_sel:WORD_1
	v_cvt_pkrtz_f16_f32 v22, v4, v5
	v_mfma_f32_16x16x16_f16 v[2:5], v[2:3], v[26:27], 0
	v_cvt_pkrtz_f16_f32 v10, v10, v11
	v_cvt_pkrtz_f16_f32 v11, v24, v25
	s_waitcnt vmcnt(3)
	v_mad_i64_i32 v[12:13], s[6:7], v69, s45, v[70:71]
	v_mfma_f32_16x16x16_f16 v[2:5], v[22:23], v[28:29], v[2:5]
	s_waitcnt vmcnt(2)
	v_mad_i64_i32 v[46:47], s[6:7], v68, s45, v[70:71]
	global_load_dwordx4 v[30:33], v[12:13], off
	global_load_dwordx4 v[22:25], v[46:47], off
	v_cvt_pkrtz_f16_f32 v12, v72, v73
	v_cvt_pkrtz_f16_f32 v13, v48, v49
	v_mfma_f32_16x16x16_f16 v[2:5], v[10:11], v[18:19], v[2:5]
	v_cvt_pk_f32_fp8_e32 v[10:11], v42
	v_cvt_pk_f32_fp8_sdwa v[46:47], v42 src0_sel:WORD_1
	s_waitcnt vmcnt(3)
	v_mad_i64_i32 v[72:73], s[6:7], v67, s45, v[70:71]
	v_mfma_f32_16x16x16_f16 v[2:5], v[12:13], v[20:21], v[2:5]
	v_cvt_pkrtz_f16_f32 v10, v10, v11
	v_cvt_pkrtz_f16_f32 v11, v46, v47
	v_cvt_pk_f32_fp8_e32 v[12:13], v43
	v_cvt_pk_f32_fp8_sdwa v[42:43], v43 src0_sel:WORD_1
	v_mfma_f32_16x16x16_f16 v[46:49], v[10:11], v[14:15], v[2:5]
	v_cvt_pkrtz_f16_f32 v74, v12, v13
	v_cvt_pkrtz_f16_f32 v75, v42, v43
	v_cvt_pk_f32_fp8_e32 v[42:43], v44
	s_waitcnt vmcnt(2)
	v_mad_i64_i32 v[70:71], s[6:7], v66, s45, v[70:71]
	global_load_dwordx4 v[10:13], v[72:73], off
	global_load_dwordx4 v[2:5], v[70:71], off
	v_cvt_pkrtz_f16_f32 v70, v42, v43
	v_cvt_pkrtz_f16_f32 v71, v76, v77
	v_cvt_pk_f32_fp8_e32 v[72:73], v45
	v_cvt_pk_f32_fp8_sdwa v[76:77], v45 src0_sel:WORD_1
	v_mfma_f32_16x16x16_f16 v[44:47], v[74:75], v[16:17], v[46:49]
	v_lshl_add_u64 v[42:43], s[4:5], 0, v[62:63]
	v_cvt_pk_f32_fp8_e32 v[62:63], v38
	v_cvt_pk_f32_fp8_sdwa v[74:75], v38 src0_sel:WORD_1
	v_cvt_pkrtz_f16_f32 v48, v72, v73
	v_cvt_pkrtz_f16_f32 v49, v76, v77
	v_mfma_f32_16x16x16_f16 v[44:47], v[70:71], v[6:7], v[44:47]
	s_load_dword s4, s[40:41], 0x0
	s_mov_b32 s40, 0xff7fffff
	v_mfma_f32_16x16x16_f16 v[70:73], v[48:49], v[8:9], v[44:47]
	s_nop 3
	v_cvt_pk_f32_fp8_e32 v[44:45], v39
	v_cvt_pkrtz_f16_f32 v46, v62, v63
	v_cvt_pkrtz_f16_f32 v47, v74, v75
	v_cvt_pk_f32_fp8_sdwa v[38:39], v39 src0_sel:WORD_1
	v_cvt_pkrtz_f16_f32 v48, v44, v45
	v_cvt_pk_f32_fp8_e32 v[62:63], v40
	v_cvt_pk_f32_fp8_sdwa v[74:75], v40 src0_sel:WORD_1
	v_cvt_pkrtz_f16_f32 v49, v38, v39
	v_mfma_f32_16x16x16_f16 v[44:47], v[46:47], v[26:27], 0
	v_cvt_pkrtz_f16_f32 v38, v62, v63
	v_cvt_pkrtz_f16_f32 v39, v74, v75
	v_cvt_pk_f32_fp8_e32 v[62:63], v41
	v_cvt_pk_f32_fp8_sdwa v[74:75], v41 src0_sel:WORD_1
	v_mov_b32_e32 v26, s8
	s_waitcnt lgkmcnt(0)
	v_mul_f32_e32 v76, s4, v26
	v_mfma_f32_16x16x16_f16 v[26:29], v[48:49], v[28:29], v[44:47]
	v_cvt_pk_f32_fp8_sdwa v[48:49], v37 src0_sel:WORD_1
	v_pk_mul_f32 v[40:41], v[76:77], v[52:53] op_sel_hi:[0,1]
	v_pk_mul_f32 v[52:53], v[76:77], v[54:55] op_sel_hi:[0,1]
	v_cvt_pkrtz_f16_f32 v46, v62, v63
	v_cvt_pkrtz_f16_f32 v47, v74, v75
	v_mfma_f32_16x16x16_f16 v[26:29], v[38:39], v[18:19], v[26:29]
	v_cvt_pk_f32_fp8_e32 v[18:19], v34
	v_cvt_pk_f32_fp8_sdwa v[38:39], v34 src0_sel:WORD_1
	v_pk_mul_f32 v[44:45], v[76:77], v[50:51] op_sel_hi:[0,1]
	v_mfma_f32_16x16x16_f16 v[26:29], v[46:47], v[20:21], v[26:29]
	v_cvt_pkrtz_f16_f32 v20, v18, v19
	v_cvt_pkrtz_f16_f32 v21, v38, v39
	v_cvt_pk_f32_fp8_e32 v[38:39], v35
	v_cvt_pk_f32_fp8_sdwa v[34:35], v35 src0_sel:WORD_1
	v_mfma_f32_16x16x16_f16 v[26:29], v[20:21], v[14:15], v[26:29]
	v_cvt_pkrtz_f16_f32 v38, v38, v39
	v_cvt_pkrtz_f16_f32 v39, v34, v35
	v_cvt_pk_f32_fp8_e32 v[14:15], v36
	v_cvt_pk_f32_fp8_sdwa v[20:21], v36 src0_sel:WORD_1
	v_pk_mul_f32 v[50:51], v[76:77], v[70:71] op_sel_hi:[0,1]
	v_mad_i64_i32 v[18:19], s[4:5], v69, s45, v[42:43]
	v_cvt_pkrtz_f16_f32 v46, v14, v15
	v_cvt_pkrtz_f16_f32 v47, v20, v21
	v_cvt_pk_f32_fp8_e32 v[20:21], v37
	v_mfma_f32_16x16x16_f16 v[14:17], v[38:39], v[16:17], v[26:29]
	v_pk_mul_f32 v[36:37], v[76:77], v[56:57] op_sel_hi:[0,1]
	v_mad_i64_i32 v[34:35], s[4:5], v68, s45, v[42:43]
	v_cvt_pkrtz_f16_f32 v20, v20, v21
	v_cvt_pkrtz_f16_f32 v21, v48, v49
	v_mfma_f32_16x16x16_f16 v[14:17], v[46:47], v[6:7], v[14:17]
	v_pk_mul_f32 v[46:47], v[76:77], v[72:73] op_sel_hi:[0,1]
	v_mfma_f32_16x16x16_f16 v[6:9], v[20:21], v[8:9], v[14:17]
	global_load_dwordx4 v[26:29], v[18:19], off
	s_nop 0
	global_load_dwordx4 v[18:21], v[34:35], off
	s_nop 3
	v_pk_mul_f32 v[48:49], v[76:77], v[6:7] op_sel_hi:[0,1]
	v_and_b32_e32 v6, 0xc0, v0
	v_add_u32_e32 v6, s18, v6
	v_lshl_or_b32 v6, v64, 2, v6
	v_pk_mul_f32 v[38:39], v[76:77], v[8:9] op_sel_hi:[0,1]
	v_or_b32_e32 v9, 1, v6
	v_mov_b32_e32 v7, 0xff7fffff
	v_cmp_gt_i32_e64 s[26:27], s33, v6
	v_cmp_gt_i32_e64 s[28:29], s33, v9
	v_or_b32_e32 v14, 3, v6
	v_cndmask_b32_e64 v8, v7, v44, s[26:27]
	v_cndmask_b32_e64 v9, v7, v45, s[28:29]
	v_max3_f32 v8, v8, s40, v9
	v_or_b32_e32 v9, 2, v6
	v_cmp_gt_i32_e64 s[30:31], s33, v9
	v_cmp_gt_i32_e64 s[34:35], s33, v14
	s_nop 0
	v_cndmask_b32_e64 v9, v7, v40, s[30:31]
	v_cndmask_b32_e64 v14, v7, v41, s[34:35]
	v_max3_f32 v8, v8, v9, v14
	v_or_b32_e32 v9, 16, v6
	v_or_b32_e32 v14, 17, v6
	v_cmp_gt_i32_e64 s[18:19], s33, v9
	v_cmp_gt_i32_e64 s[20:21], s33, v14
	s_nop 0
	v_cndmask_b32_e64 v9, v7, v52, s[18:19]
	v_cndmask_b32_e64 v14, v7, v53, s[20:21]
	v_max3_f32 v8, v8, v9, v14
	v_or_b32_e32 v9, 18, v6
	;; [unrolled: 8-line block ×5, first 2 shown]
	v_or_b32_e32 v14, 49, v6
	v_cmp_gt_i32_e32 vcc, s33, v9
	v_cmp_gt_i32_e64 s[4:5], s33, v14
	s_nop 0
	v_cndmask_b32_e32 v9, v7, v48, vcc
	v_cndmask_b32_e64 v14, v7, v49, s[4:5]
	v_max3_f32 v8, v8, v9, v14
	v_or_b32_e32 v9, 50, v6
	v_or_b32_e32 v6, 51, v6
	v_cmp_gt_i32_e64 s[6:7], s33, v9
	v_cmp_gt_i32_e64 s[8:9], s33, v6
	s_nop 0
	v_cndmask_b32_e64 v9, v7, v38, s[6:7]
	v_cndmask_b32_e64 v6, v7, v39, s[8:9]
	v_max3_f32 v8, v8, v9, v6
	v_mbcnt_lo_u32_b32 v6, -1, 0
	v_mbcnt_hi_u32_b32 v9, -1, v6
	v_and_b32_e32 v6, 64, v9
	v_add_u32_e32 v14, 64, v6
	v_xor_b32_e32 v6, 32, v9
	v_cmp_lt_i32_e64 s[38:39], v6, v14
	s_nop 1
	v_cndmask_b32_e64 v6, v9, v6, s[38:39]
	v_lshlrev_b32_e32 v55, 2, v6
	ds_bpermute_b32 v15, v55, v8
	v_mad_i64_i32 v[6:7], s[38:39], v67, s45, v[42:43]
	s_waitcnt lgkmcnt(0)
	v_max_f32_e32 v15, v15, v15
	v_max_f32_e32 v34, v8, v15
	v_xor_b32_e32 v8, 16, v9
	v_cmp_lt_i32_e64 s[38:39], v8, v14
	s_nop 1
	v_cndmask_b32_e64 v8, v9, v8, s[38:39]
	v_lshlrev_b32_e32 v56, 2, v8
	v_mad_i64_i32 v[8:9], s[38:39], v66, s45, v[42:43]
	global_load_dwordx4 v[14:17], v[6:7], off
	s_nop 0
	global_load_dwordx4 v[6:9], v[8:9], off
	ds_bpermute_b32 v35, v56, v34
	s_waitcnt lgkmcnt(0)
	s_barrier
	v_max_f32_e32 v35, v35, v35
	v_max_f32_e32 v54, v34, v35
	v_sub_f32_e32 v42, v52, v54
	v_mul_f32_e32 v42, 0x3fb8aa3b, v42
	v_exp_f32_e32 v42, v42
	v_sub_f32_e32 v36, v36, v54
	v_sub_f32_e32 v34, v44, v54
	v_mul_f32_e32 v36, 0x3fb8aa3b, v36
	v_mul_f32_e32 v34, 0x3fb8aa3b, v34
	v_sub_f32_e32 v35, v45, v54
	v_sub_f32_e32 v43, v53, v54
	v_exp_f32_e32 v44, v36
	v_sub_f32_e32 v36, v37, v54
	v_sub_f32_e32 v48, v48, v54
	;; [unrolled: 1-line block ×3, first 2 shown]
	v_exp_f32_e32 v34, v34
	v_mul_f32_e32 v35, 0x3fb8aa3b, v35
	v_sub_f32_e32 v40, v40, v54
	v_mul_f32_e32 v43, 0x3fb8aa3b, v43
	v_mul_f32_e32 v36, 0x3fb8aa3b, v36
	;; [unrolled: 1-line block ×4, first 2 shown]
	v_exp_f32_e32 v35, v35
	v_mul_f32_e32 v40, 0x3fb8aa3b, v40
	v_sub_f32_e32 v41, v41, v54
	v_exp_f32_e32 v43, v43
	v_exp_f32_e32 v45, v36
	v_cndmask_b32_e64 v36, 0, v42, s[18:19]
	v_sub_f32_e32 v42, v50, v54
	v_exp_f32_e32 v48, v48
	v_exp_f32_e32 v50, v38
	;; [unrolled: 1-line block ×3, first 2 shown]
	v_mul_f32_e32 v41, 0x3fb8aa3b, v41
	v_exp_f32_e32 v41, v41
	v_sub_f32_e32 v38, v39, v54
	v_cndmask_b32_e64 v34, 0, v34, s[26:27]
	v_mul_f32_e32 v38, 0x3fb8aa3b, v38
	v_cndmask_b32_e64 v35, 0, v35, s[28:29]
	v_cndmask_b32_e64 v37, 0, v43, s[20:21]
	v_sub_f32_e32 v43, v51, v54
	v_exp_f32_e32 v51, v38
	v_cndmask_b32_e32 v38, 0, v48, vcc
	v_cndmask_b32_e64 v48, 0, v50, s[6:7]
	v_add_f32_e32 v50, 0, v34
	v_cndmask_b32_e64 v40, 0, v40, s[30:31]
	v_add_f32_e32 v50, v50, v35
	v_cndmask_b32_e64 v41, 0, v41, s[34:35]
	v_mul_f32_e32 v42, 0x3fb8aa3b, v42
	v_add_f32_e32 v50, v50, v40
	v_exp_f32_e32 v42, v42
	v_mul_f32_e32 v43, 0x3fb8aa3b, v43
	v_sub_f32_e32 v46, v46, v54
	v_add_f32_e32 v50, v50, v41
	v_exp_f32_e32 v43, v43
	v_mul_f32_e32 v46, 0x3fb8aa3b, v46
	v_sub_f32_e32 v47, v47, v54
	v_add_f32_e32 v50, v50, v36
	v_cndmask_b32_e64 v44, 0, v44, s[22:23]
	v_exp_f32_e32 v46, v46
	v_mul_f32_e32 v47, 0x3fb8aa3b, v47
	v_add_f32_e32 v50, v50, v37
	v_cndmask_b32_e64 v45, 0, v45, s[36:37]
	v_exp_f32_e32 v47, v47
	v_sub_f32_e32 v49, v49, v54
	v_add_f32_e32 v50, v50, v44
	v_cndmask_b32_e64 v42, 0, v42, s[10:11]
	v_mul_f32_e32 v49, 0x3fb8aa3b, v49
	v_add_f32_e32 v50, v50, v45
	v_cndmask_b32_e64 v43, 0, v43, s[12:13]
	v_exp_f32_e32 v49, v49
	v_add_f32_e32 v50, v50, v42
	v_cndmask_b32_e64 v46, 0, v46, s[14:15]
	v_add_f32_e32 v50, v50, v43
	v_cndmask_b32_e64 v47, 0, v47, s[16:17]
	v_add_f32_e32 v50, v50, v46
	v_add_f32_e32 v50, v50, v47
	v_cndmask_b32_e64 v39, 0, v49, s[4:5]
	v_add_f32_e32 v50, v50, v38
	;; [unrolled: 3-line block ×3, first 2 shown]
	v_add_f32_e32 v50, v50, v49
	ds_bpermute_b32 v51, v55, v50
	v_cmp_gt_u32_e32 vcc, 16, v65
	s_waitcnt lgkmcnt(0)
	v_add_f32_e32 v50, v50, v51
	ds_bpermute_b32 v51, v56, v50
	s_and_saveexec_b64 s[4:5], vcc
	s_cbranch_execz .LBB962_13
; %bb.12:
	s_waitcnt lgkmcnt(0)
	v_add_f32_e32 v50, v50, v51
	v_lshlrev_b32_e32 v51, 2, v59
	ds_write2st64_b32 v51, v54, v50 offset1:1
.LBB962_13:
	s_or_b64 exec, exec, s[4:5]
	s_waitcnt lgkmcnt(0)
	v_lshlrev_b32_e32 v51, 2, v60
	s_load_dword s6, s[0:1], 0x94
	s_waitcnt lgkmcnt(0)
	s_barrier
	ds_read2_b32 v[52:53], v51 offset1:16
	ds_read2_b32 v[54:55], v51 offset0:32 offset1:48
	ds_read2_b32 v[56:57], v51 offset0:64 offset1:80
	s_mul_i32 s7, s25, 15
	s_waitcnt lgkmcnt(2)
	v_max3_f32 v50, v52, s40, v53
	s_waitcnt lgkmcnt(1)
	v_max3_f32 v50, v50, v54, v55
	v_sub_f32_e32 v52, v52, v50
	v_mul_f32_e32 v52, 0x3fb8aa3b, v52
	v_exp_f32_e32 v59, v52
	v_sub_f32_e32 v52, v53, v50
	v_mul_f32_e32 v52, 0x3fb8aa3b, v52
	v_exp_f32_e32 v62, v52
	;; [unrolled: 3-line block ×3, first 2 shown]
	ds_read2_b32 v[52:53], v51 offset0:96 offset1:112
	v_sub_f32_e32 v51, v55, v50
	v_mul_f32_e32 v51, 0x3fb8aa3b, v51
	v_exp_f32_e32 v55, v51
	s_waitcnt lgkmcnt(1)
	v_fma_f32 v51, v59, v56, 0
	v_fmac_f32_e32 v51, v62, v57
	s_waitcnt lgkmcnt(0)
	v_fmac_f32_e32 v51, v54, v52
	v_fmac_f32_e32 v51, v55, v53
	v_add_f32_e32 v52, 0x358637bd, v51
	v_div_scale_f32 v53, s[4:5], v52, v52, 1.0
	v_rcp_f32_e32 v56, v53
	s_barrier
	v_fma_f32 v57, -v53, v56, 1.0
	v_fmac_f32_e32 v56, v57, v56
	v_div_scale_f32 v57, vcc, 1.0, v52, 1.0
	v_mul_f32_e32 v63, v57, v56
	v_fma_f32 v65, -v53, v63, v57
	v_fmac_f32_e32 v63, v65, v56
	v_fma_f32 v53, -v53, v63, v57
	v_div_fmas_f32 v53, v53, v56, v63
	v_cmp_eq_u32_e32 vcc, 1, v61
	v_div_fixup_f32 v52, v53, v52, 1.0
	s_nop 0
	v_cndmask_b32_e32 v53, v59, v62, vcc
	v_cmp_eq_u32_e32 vcc, 2, v61
	s_nop 1
	v_cndmask_b32_e32 v53, v53, v54, vcc
	v_cmp_eq_u32_e32 vcc, 3, v61
	s_nop 1
	v_cndmask_b32_e32 v53, v53, v55, vcc
	v_mul_f32_e32 v52, v53, v52
	v_pk_mul_f32 v[40:41], v[52:53], v[40:41] op_sel_hi:[0,1]
	v_pk_mul_f32 v[34:35], v[52:53], v[34:35] op_sel_hi:[0,1]
	v_cvt_f16_f32_e32 v53, v40
	v_cvt_f16_f32_e32 v34, v34
	;; [unrolled: 1-line block ×4, first 2 shown]
	v_pk_mul_f32 v[44:45], v[52:53], v[44:45] op_sel_hi:[0,1]
	v_pk_mul_f32 v[36:37], v[52:53], v[36:37] op_sel_hi:[0,1]
	v_cvt_f16_f32_e32 v36, v36
	v_cvt_f16_f32_e32 v37, v37
	;; [unrolled: 1-line block ×4, first 2 shown]
	v_pack_b32_f16 v40, v34, v35
	v_pack_b32_f16 v41, v53, v41
	v_lshlrev_b32_e32 v35, 3, v64
	v_lshlrev_b32_e32 v34, 5, v60
	;; [unrolled: 1-line block ×3, first 2 shown]
	v_or3_b32 v54, v53, v34, v35
	v_pack_b32_f16 v36, v36, v37
	v_pack_b32_f16 v37, v44, v45
	ds_write2st64_b64 v54, v[40:41], v[36:37] offset1:1
	v_pk_mul_f32 v[36:37], v[52:53], v[46:47] op_sel_hi:[0,1]
	v_pk_mul_f32 v[40:41], v[52:53], v[42:43] op_sel_hi:[0,1]
	v_cvt_f16_f32_e32 v35, v40
	v_cvt_f16_f32_e32 v40, v41
	;; [unrolled: 1-line block ×4, first 2 shown]
	v_pk_mul_f32 v[36:37], v[52:53], v[48:49] op_sel_hi:[0,1]
	v_pk_mul_f32 v[38:39], v[52:53], v[38:39] op_sel_hi:[0,1]
	v_cvt_f16_f32_e32 v38, v38
	v_cvt_f16_f32_e32 v39, v39
	;; [unrolled: 1-line block ×4, first 2 shown]
	v_pack_b32_f16 v36, v35, v40
	v_pack_b32_f16 v37, v41, v42
	;; [unrolled: 1-line block ×4, first 2 shown]
	v_cmp_gt_u32_e32 vcc, 15, v0
	ds_write2st64_b64 v54, v[36:37], v[38:39] offset0:2 offset1:3
	s_and_saveexec_b64 s[4:5], vcc
	s_cbranch_execz .LBB962_15
; %bb.14:
	s_mov_b32 s49, 0
	v_mov_b32_e32 v61, 0
	v_lshl_add_u64 v[36:37], s[48:49], 0, v[60:61]
	v_mov_b32_e32 v35, s7
	v_mad_u64_u32 v[36:37], s[12:13], s2, v35, v[36:37]
	s_mul_i32 s3, s3, s7
	v_mov_b32_e32 v38, s24
	v_mov_b32_e32 v39, v61
	s_load_dwordx4 s[8:11], s[0:1], 0x58
	v_add_u32_e32 v35, s3, v37
	v_mad_u64_u32 v[36:37], s[12:13], v36, s6, v[38:39]
	v_mov_b32_e32 v38, v37
	v_mad_u64_u32 v[38:39], s[12:13], v35, s6, v[38:39]
	v_mov_b32_e32 v37, v38
	v_lshlrev_b64 v[36:37], 2, v[36:37]
	s_waitcnt lgkmcnt(0)
	v_lshl_add_u64 v[38:39], s[10:11], 0, v[36:37]
	v_lshl_add_u64 v[36:37], s[8:9], 0, v[36:37]
	global_store_dword v[38:39], v50, off
	global_store_dword v[36:37], v51, off
.LBB962_15:
	s_or_b64 exec, exec, s[4:5]
	s_waitcnt vmcnt(7)
	v_cvt_pk_f32_fp8_e32 v[36:37], v30
	v_lshl_or_b32 v50, v64, 9, v34
	v_cvt_pk_f32_fp8_sdwa v[34:35], v30 src0_sel:WORD_1
	s_waitcnt lgkmcnt(0)
	s_barrier
	v_cvt_pk_f32_fp8_e32 v[38:39], v31
	v_cvt_pkrtz_f16_f32 v30, v36, v37
	v_cvt_pk_f32_fp8_sdwa v[40:41], v31 src0_sel:WORD_1
	v_cvt_pkrtz_f16_f32 v31, v34, v35
	ds_read_b128 v[34:37], v50
	v_cvt_pkrtz_f16_f32 v46, v38, v39
	v_cvt_pkrtz_f16_f32 v47, v40, v41
	ds_read_b128 v[38:41], v50 offset:16
	v_cvt_pk_f32_fp8_e32 v[48:49], v32
	v_cvt_pk_f32_fp8_sdwa v[52:53], v32 src0_sel:WORD_1
	s_waitcnt lgkmcnt(1)
	v_mfma_f32_16x16x16_f16 v[42:45], v[30:31], v[34:35], 0
	s_waitcnt vmcnt(6)
	v_cvt_pk_f32_fp8_e32 v[56:57], v24
	v_cvt_pkrtz_f16_f32 v30, v48, v49
	v_cvt_pkrtz_f16_f32 v31, v52, v53
	v_cvt_pk_f32_fp8_e32 v[48:49], v33
	v_mfma_f32_16x16x16_f16 v[42:45], v[46:47], v[36:37], v[42:45]
	v_cvt_pk_f32_fp8_sdwa v[46:47], v33 src0_sel:WORD_1
	v_cvt_pk_f32_fp8_sdwa v[62:63], v24 src0_sel:WORD_1
	v_cvt_pkrtz_f16_f32 v48, v48, v49
	s_waitcnt lgkmcnt(0)
	v_mfma_f32_16x16x16_f16 v[30:33], v[30:31], v[38:39], v[42:45]
	v_cvt_pkrtz_f16_f32 v49, v46, v47
	s_waitcnt vmcnt(4)
	v_cvt_pk_f32_fp8_sdwa v[70:71], v4 src0_sel:WORD_1
	s_waitcnt vmcnt(3)
	v_cvt_pk_f32_fp8_sdwa v[72:73], v28 src0_sel:WORD_1
	v_cvt_pk_f32_fp8_e32 v[42:43], v22
	v_mfma_f32_16x16x16_f16 v[46:49], v[48:49], v[40:41], v[30:33]
	s_load_dword s4, s[42:43], 0x0
	s_mov_b32 s3, 0
	s_nop 0
	v_cvt_pk_f32_fp8_sdwa v[30:31], v22 src0_sel:WORD_1
	v_cvt_pk_f32_fp8_e32 v[32:33], v23
	v_cvt_pkrtz_f16_f32 v22, v42, v43
	v_cvt_pk_f32_fp8_sdwa v[42:43], v23 src0_sel:WORD_1
	v_cvt_pkrtz_f16_f32 v23, v30, v31
	v_cvt_pkrtz_f16_f32 v52, v32, v33
	ds_read_b128 v[30:33], v50 offset:2048
	v_cvt_pkrtz_f16_f32 v53, v42, v43
	ds_read_b128 v[42:45], v50 offset:2064
	s_waitcnt lgkmcnt(0)
	v_mfma_f32_16x16x16_f16 v[46:49], v[22:23], v[30:31], v[46:49]
	v_cvt_pkrtz_f16_f32 v22, v56, v57
	v_cvt_pkrtz_f16_f32 v23, v62, v63
	v_cvt_pk_f32_fp8_e32 v[56:57], v25
	v_mfma_f32_16x16x16_f16 v[46:49], v[52:53], v[32:33], v[46:49]
	v_cvt_pk_f32_fp8_sdwa v[52:53], v25 src0_sel:WORD_1
	v_cvt_pk_f32_fp8_sdwa v[62:63], v12 src0_sel:WORD_1
	v_cvt_pkrtz_f16_f32 v56, v56, v57
	v_mfma_f32_16x16x16_f16 v[22:25], v[22:23], v[42:43], v[46:49]
	v_cvt_pkrtz_f16_f32 v57, v52, v53
	v_cmp_gt_u32_e32 vcc, 64, v0
	s_nop 0
	v_cvt_pk_f32_fp8_e32 v[46:47], v10
	v_mfma_f32_16x16x16_f16 v[66:69], v[56:57], v[44:45], v[22:25]
	v_cvt_pk_f32_fp8_e32 v[56:57], v12
	s_nop 1
	v_cvt_pk_f32_fp8_sdwa v[22:23], v10 src0_sel:WORD_1
	v_cvt_pk_f32_fp8_e32 v[24:25], v11
	v_cvt_pkrtz_f16_f32 v10, v46, v47
	v_cvt_pk_f32_fp8_sdwa v[46:47], v11 src0_sel:WORD_1
	v_cvt_pkrtz_f16_f32 v11, v22, v23
	v_cvt_pkrtz_f16_f32 v52, v24, v25
	ds_read_b128 v[22:25], v50 offset:4096
	v_cvt_pkrtz_f16_f32 v53, v46, v47
	ds_read_b128 v[46:49], v50 offset:4112
	s_waitcnt lgkmcnt(1)
	v_mfma_f32_16x16x16_f16 v[66:69], v[10:11], v[22:23], v[66:69]
	v_cvt_pkrtz_f16_f32 v10, v56, v57
	v_cvt_pkrtz_f16_f32 v11, v62, v63
	v_cvt_pk_f32_fp8_e32 v[56:57], v13
	v_mfma_f32_16x16x16_f16 v[66:69], v[52:53], v[24:25], v[66:69]
	v_cvt_pk_f32_fp8_sdwa v[52:53], v13 src0_sel:WORD_1
	v_cvt_pk_f32_fp8_e32 v[62:63], v4
	v_cvt_pkrtz_f16_f32 v56, v56, v57
	s_waitcnt lgkmcnt(0)
	v_mfma_f32_16x16x16_f16 v[10:13], v[10:11], v[46:47], v[66:69]
	v_cvt_pkrtz_f16_f32 v57, v52, v53
	v_cvt_pk_f32_fp8_e32 v[52:53], v2
	s_nop 0
	v_mfma_f32_16x16x16_f16 v[66:69], v[56:57], v[48:49], v[10:13]
	s_nop 2
	v_cvt_pk_f32_fp8_sdwa v[10:11], v2 src0_sel:WORD_1
	v_cvt_pk_f32_fp8_e32 v[12:13], v3
	v_cvt_pkrtz_f16_f32 v2, v52, v53
	v_cvt_pk_f32_fp8_sdwa v[52:53], v3 src0_sel:WORD_1
	v_cvt_pkrtz_f16_f32 v3, v10, v11
	v_cvt_pkrtz_f16_f32 v56, v12, v13
	ds_read_b128 v[10:13], v50 offset:6144
	v_cvt_pkrtz_f16_f32 v57, v52, v53
	s_waitcnt lgkmcnt(0)
	v_mfma_f32_16x16x16_f16 v[66:69], v[2:3], v[10:11], v[66:69]
	ds_read_b128 v[50:53], v50 offset:6160
	v_cvt_pkrtz_f16_f32 v2, v62, v63
	v_cvt_pkrtz_f16_f32 v3, v70, v71
	v_cvt_pk_f32_fp8_e32 v[62:63], v5
	v_mfma_f32_16x16x16_f16 v[66:69], v[56:57], v[12:13], v[66:69]
	v_cvt_pk_f32_fp8_sdwa v[56:57], v5 src0_sel:WORD_1
	v_cvt_pk_f32_fp8_e32 v[70:71], v28
	v_cvt_pkrtz_f16_f32 v62, v62, v63
	s_waitcnt lgkmcnt(0)
	v_mfma_f32_16x16x16_f16 v[2:5], v[2:3], v[50:51], v[66:69]
	v_cvt_pkrtz_f16_f32 v63, v56, v57
	v_cvt_pk_f32_fp8_e32 v[56:57], v26
	s_nop 0
	v_cvt_pk_f32_fp8_sdwa v[66:67], v26 src0_sel:WORD_1
	v_mfma_f32_16x16x16_f16 v[2:5], v[62:63], v[52:53], v[2:5]
	v_cvt_pk_f32_fp8_e32 v[62:63], v27
	v_cvt_pkrtz_f16_f32 v56, v56, v57
	v_cvt_pkrtz_f16_f32 v57, v66, v67
	v_cvt_pk_f32_fp8_sdwa v[26:27], v27 src0_sel:WORD_1
	v_cvt_pkrtz_f16_f32 v62, v62, v63
	v_mfma_f32_16x16x16_f16 v[66:69], v[56:57], v[34:35], 0
	v_cvt_pkrtz_f16_f32 v63, v26, v27
	v_cvt_pkrtz_f16_f32 v26, v70, v71
	;; [unrolled: 1-line block ×3, first 2 shown]
	v_cvt_pk_f32_fp8_e32 v[56:57], v29
	v_mfma_f32_16x16x16_f16 v[34:37], v[62:63], v[36:37], v[66:69]
	v_cvt_pk_f32_fp8_sdwa v[62:63], v29 src0_sel:WORD_1
	v_cvt_pkrtz_f16_f32 v56, v56, v57
	s_barrier
	v_mfma_f32_16x16x16_f16 v[26:29], v[26:27], v[38:39], v[34:37]
	v_cvt_pkrtz_f16_f32 v57, v62, v63
	s_waitcnt vmcnt(2)
	v_cvt_pk_f32_fp8_e32 v[38:39], v19
	v_cvt_pk_f32_fp8_e32 v[34:35], v18
	v_cvt_pk_f32_fp8_sdwa v[36:37], v18 src0_sel:WORD_1
	v_cvt_pk_f32_fp8_sdwa v[18:19], v19 src0_sel:WORD_1
	v_mfma_f32_16x16x16_f16 v[26:29], v[56:57], v[40:41], v[26:29]
	v_cvt_pkrtz_f16_f32 v34, v34, v35
	v_cvt_pkrtz_f16_f32 v35, v36, v37
	;; [unrolled: 1-line block ×3, first 2 shown]
	v_cvt_pk_f32_fp8_e32 v[38:39], v20
	v_cvt_pk_f32_fp8_sdwa v[40:41], v20 src0_sel:WORD_1
	v_cvt_pkrtz_f16_f32 v37, v18, v19
	v_mfma_f32_16x16x16_f16 v[26:29], v[34:35], v[30:31], v[26:29]
	v_cvt_pkrtz_f16_f32 v30, v38, v39
	v_cvt_pkrtz_f16_f32 v31, v40, v41
	v_cvt_pk_f32_fp8_e32 v[34:35], v21
	v_cvt_pk_f32_fp8_sdwa v[38:39], v21 src0_sel:WORD_1
	v_mfma_f32_16x16x16_f16 v[18:21], v[36:37], v[32:33], v[26:29]
	s_waitcnt vmcnt(1)
	v_cvt_pk_f32_fp8_sdwa v[32:33], v16 src0_sel:WORD_1
	s_nop 0
	v_cvt_pkrtz_f16_f32 v26, v34, v35
	v_cvt_pkrtz_f16_f32 v27, v38, v39
	v_mfma_f32_16x16x16_f16 v[18:21], v[30:31], v[42:43], v[18:21]
	v_cvt_pk_f32_fp8_e32 v[28:29], v14
	v_cvt_pk_f32_fp8_sdwa v[30:31], v14 src0_sel:WORD_1
	v_cvt_pkrtz_f16_f32 v28, v28, v29
	v_mfma_f32_16x16x16_f16 v[18:21], v[26:27], v[44:45], v[18:21]
	v_cvt_pk_f32_fp8_e32 v[26:27], v15
	v_cvt_pkrtz_f16_f32 v29, v30, v31
	v_cvt_pk_f32_fp8_sdwa v[14:15], v15 src0_sel:WORD_1
	v_cvt_pk_f32_fp8_e32 v[30:31], v16
	v_cvt_pkrtz_f16_f32 v26, v26, v27
	v_mfma_f32_16x16x16_f16 v[18:21], v[28:29], v[22:23], v[18:21]
	v_cvt_pkrtz_f16_f32 v27, v14, v15
	v_cvt_pkrtz_f16_f32 v22, v30, v31
	;; [unrolled: 1-line block ×3, first 2 shown]
	v_cvt_pk_f32_fp8_e32 v[28:29], v17
	v_cvt_pk_f32_fp8_sdwa v[30:31], v17 src0_sel:WORD_1
	v_mfma_f32_16x16x16_f16 v[14:17], v[26:27], v[24:25], v[18:21]
	s_waitcnt vmcnt(0)
	v_cvt_pk_f32_fp8_sdwa v[24:25], v6 src0_sel:WORD_1
	s_nop 0
	v_pk_mul_f32 v[18:19], v[4:5], s[4:5] op_sel_hi:[1,0]
	v_cvt_pkrtz_f16_f32 v4, v28, v29
	v_cvt_pkrtz_f16_f32 v5, v30, v31
	v_mfma_f32_16x16x16_f16 v[14:17], v[22:23], v[46:47], v[14:17]
	v_cvt_pk_f32_fp8_e32 v[22:23], v6
	v_pk_mul_f32 v[20:21], v[2:3], s[4:5] op_sel_hi:[1,0]
	v_mfma_f32_16x16x16_f16 v[2:5], v[4:5], v[48:49], v[14:17]
	s_nop 3
	v_cvt_pk_f32_fp8_e32 v[14:15], v7
	v_cvt_pkrtz_f16_f32 v16, v22, v23
	v_cvt_pkrtz_f16_f32 v17, v24, v25
	v_cvt_pk_f32_fp8_sdwa v[6:7], v7 src0_sel:WORD_1
	v_cvt_pkrtz_f16_f32 v14, v14, v15
	v_cvt_pk_f32_fp8_e32 v[22:23], v8
	v_cvt_pk_f32_fp8_sdwa v[24:25], v8 src0_sel:WORD_1
	v_cvt_pkrtz_f16_f32 v15, v6, v7
	v_mfma_f32_16x16x16_f16 v[2:5], v[16:17], v[10:11], v[2:5]
	v_cvt_pkrtz_f16_f32 v6, v22, v23
	v_cvt_pkrtz_f16_f32 v7, v24, v25
	v_cvt_pk_f32_fp8_e32 v[10:11], v9
	v_cvt_pk_f32_fp8_sdwa v[8:9], v9 src0_sel:WORD_1
	v_mfma_f32_16x16x16_f16 v[2:5], v[14:15], v[12:13], v[2:5]
	v_cvt_f16_f32_e32 v12, v20
	v_cvt_pkrtz_f16_f32 v10, v10, v11
	v_cvt_pkrtz_f16_f32 v11, v8, v9
	v_mfma_f32_16x16x16_f16 v[2:5], v[6:7], v[50:51], v[2:5]
	v_cvt_f16_f32_e32 v6, v21
	v_cvt_f16_f32_e32 v7, v18
	v_cvt_f16_f32_e32 v8, v19
	v_mfma_f32_16x16x16_f16 v[2:5], v[10:11], v[52:53], v[2:5]
	s_nop 6
	v_pk_mul_f32 v[4:5], v[4:5], s[4:5] op_sel_hi:[1,0]
	v_pk_mul_f32 v[2:3], v[2:3], s[4:5] op_sel_hi:[1,0]
	v_cvt_f16_f32_e32 v11, v4
	v_cvt_f16_f32_e32 v9, v2
	v_cvt_f16_f32_e32 v10, v3
	v_cvt_f16_f32_e32 v5, v5
	v_pack_b32_f16 v2, v12, v6
	v_pack_b32_f16 v3, v7, v8
	v_pack_b32_f16 v4, v9, v10
	v_pack_b32_f16 v5, v11, v5
	ds_write2st64_b64 v54, v[2:3], v[4:5] offset1:1
	s_waitcnt lgkmcnt(0)
	s_barrier
	s_and_saveexec_b64 s[4:5], vcc
	s_cbranch_execz .LBB962_18
; %bb.16:
	s_load_dwordx2 s[4:5], s[0:1], 0x68
	s_lshl_b32 s0, s6, 7
	s_mul_i32 s1, s7, s2
	v_lshlrev_b32_e32 v3, 6, v60
	s_mul_hi_u32 s7, s1, s0
	s_mul_i32 s6, s1, s0
	v_lshl_or_b32 v0, v0, 10, v3
	s_lshl_b64 s[6:7], s[6:7], 1
	v_lshlrev_b32_e32 v2, 5, v64
	v_and_b32_e32 v1, 16, v1
	v_and_b32_e32 v0, 0x1a00, v0
	s_waitcnt lgkmcnt(0)
	s_add_u32 s1, s4, s6
	v_or3_b32 v2, v0, v2, v1
	s_addc_u32 s4, s5, s7
	s_lshl_b32 s2, s24, 7
	ds_read_b128 v[4:7], v2 offset:256
	s_lshl_b64 s[2:3], s[2:3], 1
	ds_read_b128 v[8:11], v2 offset:128
	ds_read_b128 v[12:15], v2
	s_add_u32 s2, s1, s2
	s_addc_u32 s3, s4, s3
	v_mov_b32_e32 v59, 0
	v_add_u32_e32 v3, s48, v64
	v_lshl_add_u64 v[0:1], s[2:3], 0, v[58:59]
	v_mad_u64_u32 v[16:17], s[2:3], v3, s0, 0
	v_lshl_add_u64 v[16:17], v[16:17], 1, v[0:1]
	s_waitcnt lgkmcnt(0)
	global_store_dwordx4 v[16:17], v[12:15], off
	v_cmp_ne_u32_e32 vcc, 3, v64
	s_nop 0
	v_add_u32_e32 v12, 4, v3
	v_mad_u64_u32 v[12:13], s[2:3], v12, s0, 0
	v_lshl_add_u64 v[12:13], v[12:13], 1, v[0:1]
	v_add_u32_e32 v3, 8, v3
	global_store_dwordx4 v[12:13], v[8:11], off
	s_nop 1
	v_mad_u64_u32 v[8:9], s[2:3], v3, s0, 0
	v_lshl_add_u64 v[8:9], v[8:9], 1, v[0:1]
	global_store_dwordx4 v[8:9], v[4:7], off
	s_and_b64 exec, exec, vcc
	s_cbranch_execz .LBB962_18
; %bb.17:
	ds_read_b128 v[2:5], v2 offset:384
	v_add3_u32 v6, s48, v64, 12
	v_mad_u64_u32 v[6:7], s[0:1], v6, s0, 0
	v_lshl_add_u64 v[0:1], v[6:7], 1, v[0:1]
	s_waitcnt lgkmcnt(0)
	global_store_dwordx4 v[0:1], v[2:5], off
.LBB962_18:
	s_endpgm
	.section	.rodata,"a",@progbits
	.p2align	6, 0x0
	.amdhsa_kernel _Z39paged_attention_ll4mi_QKV_mfma16_kernelIDF16_hLN4vllm18Fp8KVCacheDataTypeE1EhLi16ELi128ELi256ELb0ELi15EEvPKT_PKT0_S7_ifPKiS9_S9_iPKfiiiPfSC_PS2_PT2_iSB_SB_
		.amdhsa_group_segment_fixed_size 8192
		.amdhsa_private_segment_fixed_size 0
		.amdhsa_kernarg_size 400
		.amdhsa_user_sgpr_count 2
		.amdhsa_user_sgpr_dispatch_ptr 0
		.amdhsa_user_sgpr_queue_ptr 0
		.amdhsa_user_sgpr_kernarg_segment_ptr 1
		.amdhsa_user_sgpr_dispatch_id 0
		.amdhsa_user_sgpr_kernarg_preload_length 0
		.amdhsa_user_sgpr_kernarg_preload_offset 0
		.amdhsa_user_sgpr_private_segment_size 0
		.amdhsa_uses_dynamic_stack 0
		.amdhsa_enable_private_segment 0
		.amdhsa_system_sgpr_workgroup_id_x 1
		.amdhsa_system_sgpr_workgroup_id_y 1
		.amdhsa_system_sgpr_workgroup_id_z 1
		.amdhsa_system_sgpr_workgroup_info 0
		.amdhsa_system_vgpr_workitem_id 0
		.amdhsa_next_free_vgpr 90
		.amdhsa_next_free_sgpr 50
		.amdhsa_accum_offset 92
		.amdhsa_reserve_vcc 1
		.amdhsa_float_round_mode_32 0
		.amdhsa_float_round_mode_16_64 0
		.amdhsa_float_denorm_mode_32 3
		.amdhsa_float_denorm_mode_16_64 3
		.amdhsa_dx10_clamp 1
		.amdhsa_ieee_mode 1
		.amdhsa_fp16_overflow 0
		.amdhsa_tg_split 0
		.amdhsa_exception_fp_ieee_invalid_op 0
		.amdhsa_exception_fp_denorm_src 0
		.amdhsa_exception_fp_ieee_div_zero 0
		.amdhsa_exception_fp_ieee_overflow 0
		.amdhsa_exception_fp_ieee_underflow 0
		.amdhsa_exception_fp_ieee_inexact 0
		.amdhsa_exception_int_div_zero 0
	.end_amdhsa_kernel
	.section	.text._Z39paged_attention_ll4mi_QKV_mfma16_kernelIDF16_hLN4vllm18Fp8KVCacheDataTypeE1EhLi16ELi128ELi256ELb0ELi15EEvPKT_PKT0_S7_ifPKiS9_S9_iPKfiiiPfSC_PS2_PT2_iSB_SB_,"axG",@progbits,_Z39paged_attention_ll4mi_QKV_mfma16_kernelIDF16_hLN4vllm18Fp8KVCacheDataTypeE1EhLi16ELi128ELi256ELb0ELi15EEvPKT_PKT0_S7_ifPKiS9_S9_iPKfiiiPfSC_PS2_PT2_iSB_SB_,comdat
.Lfunc_end962:
	.size	_Z39paged_attention_ll4mi_QKV_mfma16_kernelIDF16_hLN4vllm18Fp8KVCacheDataTypeE1EhLi16ELi128ELi256ELb0ELi15EEvPKT_PKT0_S7_ifPKiS9_S9_iPKfiiiPfSC_PS2_PT2_iSB_SB_, .Lfunc_end962-_Z39paged_attention_ll4mi_QKV_mfma16_kernelIDF16_hLN4vllm18Fp8KVCacheDataTypeE1EhLi16ELi128ELi256ELb0ELi15EEvPKT_PKT0_S7_ifPKiS9_S9_iPKfiiiPfSC_PS2_PT2_iSB_SB_
                                        ; -- End function
	.section	.AMDGPU.csdata,"",@progbits
; Kernel info:
; codeLenInByte = 6068
; NumSgprs: 56
; NumVgprs: 90
; NumAgprs: 0
; TotalNumVgprs: 90
; ScratchSize: 0
; MemoryBound: 0
; FloatMode: 240
; IeeeMode: 1
; LDSByteSize: 8192 bytes/workgroup (compile time only)
; SGPRBlocks: 6
; VGPRBlocks: 11
; NumSGPRsForWavesPerEU: 56
; NumVGPRsForWavesPerEU: 90
; AccumOffset: 92
; Occupancy: 5
; WaveLimiterHint : 1
; COMPUTE_PGM_RSRC2:SCRATCH_EN: 0
; COMPUTE_PGM_RSRC2:USER_SGPR: 2
; COMPUTE_PGM_RSRC2:TRAP_HANDLER: 0
; COMPUTE_PGM_RSRC2:TGID_X_EN: 1
; COMPUTE_PGM_RSRC2:TGID_Y_EN: 1
; COMPUTE_PGM_RSRC2:TGID_Z_EN: 1
; COMPUTE_PGM_RSRC2:TIDIG_COMP_CNT: 0
; COMPUTE_PGM_RSRC3_GFX90A:ACCUM_OFFSET: 22
; COMPUTE_PGM_RSRC3_GFX90A:TG_SPLIT: 0
	.section	.text._Z39paged_attention_ll4mi_QKV_mfma16_kernelIDF16_hLN4vllm18Fp8KVCacheDataTypeE1EhLi16ELi128ELi256ELb0ELi16EEvPKT_PKT0_S7_ifPKiS9_S9_iPKfiiiPfSC_PS2_PT2_iSB_SB_,"axG",@progbits,_Z39paged_attention_ll4mi_QKV_mfma16_kernelIDF16_hLN4vllm18Fp8KVCacheDataTypeE1EhLi16ELi128ELi256ELb0ELi16EEvPKT_PKT0_S7_ifPKiS9_S9_iPKfiiiPfSC_PS2_PT2_iSB_SB_,comdat
	.protected	_Z39paged_attention_ll4mi_QKV_mfma16_kernelIDF16_hLN4vllm18Fp8KVCacheDataTypeE1EhLi16ELi128ELi256ELb0ELi16EEvPKT_PKT0_S7_ifPKiS9_S9_iPKfiiiPfSC_PS2_PT2_iSB_SB_ ; -- Begin function _Z39paged_attention_ll4mi_QKV_mfma16_kernelIDF16_hLN4vllm18Fp8KVCacheDataTypeE1EhLi16ELi128ELi256ELb0ELi16EEvPKT_PKT0_S7_ifPKiS9_S9_iPKfiiiPfSC_PS2_PT2_iSB_SB_
	.globl	_Z39paged_attention_ll4mi_QKV_mfma16_kernelIDF16_hLN4vllm18Fp8KVCacheDataTypeE1EhLi16ELi128ELi256ELb0ELi16EEvPKT_PKT0_S7_ifPKiS9_S9_iPKfiiiPfSC_PS2_PT2_iSB_SB_
	.p2align	8
	.type	_Z39paged_attention_ll4mi_QKV_mfma16_kernelIDF16_hLN4vllm18Fp8KVCacheDataTypeE1EhLi16ELi128ELi256ELb0ELi16EEvPKT_PKT0_S7_ifPKiS9_S9_iPKfiiiPfSC_PS2_PT2_iSB_SB_,@function
_Z39paged_attention_ll4mi_QKV_mfma16_kernelIDF16_hLN4vllm18Fp8KVCacheDataTypeE1EhLi16ELi128ELi256ELb0ELi16EEvPKT_PKT0_S7_ifPKiS9_S9_iPKfiiiPfSC_PS2_PT2_iSB_SB_: ; @_Z39paged_attention_ll4mi_QKV_mfma16_kernelIDF16_hLN4vllm18Fp8KVCacheDataTypeE1EhLi16ELi128ELi256ELb0ELi16EEvPKT_PKT0_S7_ifPKiS9_S9_iPKfiiiPfSC_PS2_PT2_iSB_SB_
; %bb.0:
	s_load_dwordx2 s[12:13], s[0:1], 0x30
	s_mov_b32 s33, s3
	s_mov_b64 s[6:7], 0
	s_waitcnt lgkmcnt(0)
	s_cmp_lg_u64 s[12:13], 0
	s_cselect_b64 s[14:15], -1, 0
	s_and_b64 vcc, exec, s[14:15]
	s_cbranch_vccz .LBB963_7
; %bb.1:
	s_add_i32 s8, s2, 1
	s_mov_b32 s9, 0
	s_lshl_b64 s[10:11], s[8:9], 2
	s_add_u32 s10, s12, s10
	s_mov_b32 s3, s9
	s_addc_u32 s11, s13, s11
	s_lshl_b64 s[8:9], s[2:3], 2
	s_add_u32 s8, s12, s8
	s_addc_u32 s9, s13, s9
	s_load_dword s5, s[10:11], 0x0
	s_load_dword s16, s[8:9], 0x0
	s_waitcnt lgkmcnt(0)
	s_sub_i32 s5, s5, s16
	s_cmp_eq_u32 s5, 1
	s_cselect_b64 s[8:9], -1, 0
	s_andn2_b64 vcc, exec, s[6:7]
	s_cbranch_vccnz .LBB963_3
.LBB963_2:
	s_mov_b32 s3, 0
	s_mov_b64 s[8:9], -1
.LBB963_3:
	s_andn2_b64 vcc, exec, s[8:9]
	s_cbranch_vccnz .LBB963_17
; %bb.4:
	s_load_dwordx2 s[6:7], s[0:1], 0x28
	s_lshl_b64 s[16:17], s[2:3], 2
	s_waitcnt lgkmcnt(0)
	s_add_u32 s6, s6, s16
	s_addc_u32 s7, s7, s17
	s_load_dword s20, s[6:7], 0x0
	s_lshl_b32 s5, s33, 8
	s_waitcnt lgkmcnt(0)
	s_cmp_ge_i32 s5, s20
	s_cbranch_scc1 .LBB963_17
; %bb.5:
	s_load_dwordx2 s[6:7], s[0:1], 0x20
	s_load_dword s8, s[0:1], 0x38
	s_add_i32 s9, s20, 15
	s_ashr_i32 s10, s9, 31
	v_and_b32_e32 v1, 0xcf, v0
	s_lshr_b32 s10, s10, 28
	v_add_u32_e32 v1, s5, v1
	s_add_i32 s9, s9, s10
	v_ashrrev_i32_e32 v2, 31, v1
	s_ashr_i32 s18, s9, 4
	v_lshrrev_b32_e32 v10, 28, v2
	s_add_i32 s18, s18, -1
	s_waitcnt lgkmcnt(0)
	s_mul_i32 s8, s2, s8
	s_mov_b32 s9, 0
	v_add_u32_e32 v2, v1, v10
	s_lshl_b64 s[8:9], s[8:9], 2
	v_ashrrev_i32_e32 v2, 4, v2
	v_mov_b32_e32 v11, s18
	v_cmp_gt_i32_e32 vcc, s20, v1
	s_add_u32 s6, s6, s8
	s_addc_u32 s7, s7, s9
	v_cndmask_b32_e32 v2, v11, v2, vcc
	v_ashrrev_i32_e32 v3, 31, v2
	v_lshl_add_u64 v[4:5], v[2:3], 2, s[6:7]
	v_or_b32_e32 v2, 16, v1
	v_add_u32_e32 v3, v2, v10
	v_ashrrev_i32_e32 v3, 4, v3
	v_cmp_gt_i32_e32 vcc, s20, v2
	s_load_dwordx4 s[8:11], s[0:1], 0x8
	s_nop 0
	v_cndmask_b32_e32 v2, v11, v3, vcc
	v_ashrrev_i32_e32 v3, 31, v2
	v_lshl_add_u64 v[6:7], v[2:3], 2, s[6:7]
	v_or_b32_e32 v2, 32, v1
	v_add_u32_e32 v3, v2, v10
	v_ashrrev_i32_e32 v3, 4, v3
	v_cmp_gt_i32_e32 vcc, s20, v2
	v_or_b32_e32 v1, 48, v1
	s_nop 0
	v_cndmask_b32_e32 v2, v11, v3, vcc
	v_ashrrev_i32_e32 v3, 31, v2
	v_lshl_add_u64 v[8:9], v[2:3], 2, s[6:7]
	v_add_u32_e32 v2, v1, v10
	v_ashrrev_i32_e32 v2, 4, v2
	v_cmp_gt_i32_e32 vcc, s20, v1
	s_nop 1
	v_cndmask_b32_e32 v2, v11, v2, vcc
	v_ashrrev_i32_e32 v3, 31, v2
	v_lshl_add_u64 v[10:11], v[2:3], 2, s[6:7]
	global_load_dword v3, v[4:5], off
	global_load_dword v2, v[6:7], off
	global_load_dword v34, v[8:9], off
	global_load_dword v35, v[10:11], off
	s_andn2_b64 vcc, exec, s[14:15]
	s_cbranch_vccnz .LBB963_8
; %bb.6:
	s_add_u32 s12, s12, s16
	s_addc_u32 s13, s13, s17
	s_load_dword s14, s[12:13], 0x0
	s_branch .LBB963_9
.LBB963_7:
	s_mov_b64 s[8:9], 0
	s_branch .LBB963_2
.LBB963_8:
	s_mov_b32 s14, s2
.LBB963_9:
	s_load_dwordx4 s[40:43], s[0:1], 0x48
	v_and_b32_e32 v60, 15, v0
	v_lshlrev_b32_e32 v4, 3, v60
	s_movk_i32 s12, 0x100
	v_lshrrev_b32_e32 v62, 6, v0
	v_and_b32_e32 v63, 63, v0
	v_bfe_u32 v1, v0, 4, 2
	s_lshl_b32 s44, s4, 4
	v_cmp_gt_u32_e32 vcc, s12, v0
	v_lshlrev_b32_e32 v54, 1, v4
	v_lshlrev_b32_e32 v61, 4, v0
	s_and_saveexec_b64 s[12:13], vcc
	s_cbranch_execz .LBB963_11
; %bb.10:
	s_load_dwordx2 s[16:17], s[0:1], 0x0
	s_waitcnt lgkmcnt(0)
	s_ashr_i32 s15, s40, 31
	s_mul_hi_u32 s19, s14, s40
	s_mul_i32 s15, s14, s15
	s_add_i32 s15, s19, s15
	s_mul_i32 s14, s14, s40
	v_lshl_or_b32 v8, v62, 2, v1
	s_lshl_b64 s[14:15], s[14:15], 1
	s_add_u32 s14, s16, s14
	v_add_lshl_u32 v4, v8, s44, 7
	s_addc_u32 s15, s17, s15
	v_ashrrev_i32_e32 v5, 31, v4
	v_lshl_add_u64 v[4:5], v[4:5], 1, s[14:15]
	v_mov_b32_e32 v55, 0
	v_lshl_add_u64 v[4:5], v[4:5], 0, v[54:55]
	global_load_dwordx4 v[4:7], v[4:5], off
	v_lshlrev_b32_e32 v10, 8, v0
	v_lshlrev_b32_e32 v9, 8, v60
	v_and_b32_e32 v10, 0x600, v10
	s_movk_i32 s14, 0x800
	v_and_or_b32 v9, v9, s14, v10
	v_lshlrev_b32_e32 v8, 5, v8
	v_and_b32_e32 v10, 16, v61
	v_or3_b32 v8, v9, v8, v10
	s_waitcnt vmcnt(0)
	ds_write_b128 v8, v[4:7]
.LBB963_11:
	s_or_b64 exec, exec, s[12:13]
	s_waitcnt lgkmcnt(0)
	s_mul_i32 s12, s4, s42
	s_add_u32 s8, s8, s12
	s_addc_u32 s9, s9, 0
	v_and_b32_e32 v50, 0xf0, v61
	v_mov_b32_e32 v51, 0
	v_and_b32_e32 v10, 48, v0
	v_lshl_add_u64 v[30:31], s[8:9], 0, v[50:51]
	v_lshlrev_b32_e32 v50, 4, v10
	s_waitcnt vmcnt(3)
	v_mad_i64_i32 v[4:5], s[8:9], v3, s41, v[30:31]
	v_lshl_add_u64 v[4:5], v[4:5], 0, v[50:51]
	s_load_dword s40, s[0:1], 0x98
	s_load_dwordx4 s[36:39], s[0:1], 0x80
	s_waitcnt lgkmcnt(0)
	s_barrier
	global_load_dwordx4 v[18:21], v[4:5], off
	global_load_dwordx4 v[6:9], v[4:5], off offset:1024
	s_waitcnt vmcnt(4)
	v_mad_i64_i32 v[2:3], s[8:9], v2, s41, v[30:31]
	v_lshl_add_u64 v[32:33], v[2:3], 0, v[50:51]
	global_load_dwordx4 v[2:5], v[32:33], off
	v_lshlrev_b32_e32 v64, 5, v60
	v_lshl_or_b32 v55, v1, 9, v64
	v_or_b32_e32 v37, s5, v10
	ds_read_b128 v[26:29], v55
	ds_read_b128 v[22:25], v55 offset:16
	ds_read_b128 v[14:17], v55 offset:2048
	;; [unrolled: 1-line block ×3, first 2 shown]
	global_load_dwordx4 v[46:49], v[32:33], off offset:1024
	v_mov_b32_e32 v36, s18
	v_ashrrev_i32_e32 v38, 4, v37
	v_or_b32_e32 v42, 64, v37
	v_cmp_gt_i32_e32 vcc, s20, v37
	v_or_b32_e32 v43, 0x80, v37
	v_or_b32_e32 v44, 0xc0, v37
	v_cndmask_b32_e32 v38, v36, v38, vcc
	v_ashrrev_i32_e32 v37, 4, v42
	v_cmp_gt_i32_e32 vcc, s20, v42
	v_ashrrev_i32_e32 v45, 4, v43
	s_waitcnt vmcnt(5)
	v_mad_i64_i32 v[40:41], s[8:9], v34, s41, v[30:31]
	v_cndmask_b32_e32 v34, v36, v37, vcc
	v_cmp_gt_i32_e32 vcc, s20, v43
	v_ashrrev_i32_e32 v52, 4, v44
	s_waitcnt vmcnt(4)
	v_mad_i64_i32 v[30:31], s[8:9], v35, s41, v[30:31]
	v_cndmask_b32_e32 v42, v36, v45, vcc
	v_cmp_gt_i32_e32 vcc, s20, v44
	v_ashrrev_i32_e32 v39, 31, v38
	v_ashrrev_i32_e32 v35, 31, v34
	v_cndmask_b32_e32 v32, v36, v52, vcc
	v_lshl_add_u64 v[36:37], v[40:41], 0, v[50:51]
	v_ashrrev_i32_e32 v43, 31, v42
	v_ashrrev_i32_e32 v33, 31, v32
	v_lshl_add_u64 v[30:31], v[30:31], 0, v[50:51]
	v_lshl_add_u64 v[52:53], v[38:39], 2, s[6:7]
	;; [unrolled: 1-line block ×5, first 2 shown]
	global_load_dwordx4 v[42:45], v[36:37], off
	global_load_dwordx4 v[38:41], v[36:37], off offset:1024
	s_nop 0
	global_load_dwordx4 v[34:37], v[30:31], off
	s_nop 0
	global_load_dwordx4 v[30:33], v[30:31], off offset:1024
	s_nop 0
	global_load_dword v68, v[52:53], off
	global_load_dword v69, v[56:57], off
	;; [unrolled: 1-line block ×4, first 2 shown]
	s_add_u32 s42, s10, s12
	v_lshl_or_b32 v65, v62, 4, v60
	s_addc_u32 s43, s11, 0
	v_lshlrev_b32_e32 v50, 4, v65
	s_load_dword s4, s[0:1], 0x1c
	s_mov_b32 s45, 0xff7fffff
	s_waitcnt vmcnt(11)
	v_cvt_pk_f32_fp8_e32 v[52:53], v18
	v_cvt_pk_f32_fp8_sdwa v[56:57], v18 src0_sel:WORD_1
	v_cvt_pk_f32_fp8_e32 v[58:59], v19
	v_cvt_pk_f32_fp8_sdwa v[70:71], v19 src0_sel:WORD_1
	;; [unrolled: 2-line block ×4, first 2 shown]
	s_waitcnt vmcnt(9)
	v_cvt_pk_f32_fp8_e32 v[18:19], v2
	v_cvt_pk_f32_fp8_sdwa v[20:21], v2 src0_sel:WORD_1
	v_cvt_pkrtz_f16_f32 v52, v52, v53
	v_cvt_pkrtz_f16_f32 v53, v56, v57
	v_cvt_pk_f32_fp8_e32 v[80:81], v6
	v_cvt_pk_f32_fp8_sdwa v[82:83], v6 src0_sel:WORD_1
	v_cvt_pk_f32_fp8_e32 v[84:85], v7
	v_cvt_pk_f32_fp8_sdwa v[86:87], v7 src0_sel:WORD_1
	v_cvt_pkrtz_f16_f32 v6, v18, v19
	v_cvt_pkrtz_f16_f32 v7, v20, v21
	;; [unrolled: 1-line block ×4, first 2 shown]
	s_waitcnt lgkmcnt(0)
	v_mfma_f32_16x16x16_f16 v[18:21], v[52:53], v[26:27], 0
	v_cvt_pk_f32_fp8_e32 v[88:89], v8
	v_cvt_pk_f32_fp8_sdwa v[52:53], v8 src0_sel:WORD_1
	v_cvt_pk_f32_fp8_e32 v[70:71], v9
	v_mfma_f32_16x16x16_f16 v[56:59], v[6:7], v[26:27], 0
	v_cvt_pkrtz_f16_f32 v6, v72, v73
	v_cvt_pkrtz_f16_f32 v7, v74, v75
	;; [unrolled: 1-line block ×3, first 2 shown]
	v_mfma_f32_16x16x16_f16 v[18:21], v[90:91], v[28:29], v[18:21]
	v_cvt_pkrtz_f16_f32 v75, v78, v79
	v_cvt_pk_f32_fp8_sdwa v[72:73], v9 src0_sel:WORD_1
	v_cvt_pkrtz_f16_f32 v77, v52, v53
	v_mfma_f32_16x16x16_f16 v[6:9], v[6:7], v[22:23], v[18:21]
	v_cvt_pk_f32_fp8_sdwa v[52:53], v4 src0_sel:WORD_1
	v_cvt_pkrtz_f16_f32 v70, v70, v71
	v_cvt_pkrtz_f16_f32 v71, v72, v73
	;; [unrolled: 1-line block ×4, first 2 shown]
	v_cvt_pk_f32_fp8_e32 v[18:19], v3
	v_mfma_f32_16x16x16_f16 v[6:9], v[74:75], v[24:25], v[6:9]
	v_cvt_pk_f32_fp8_sdwa v[2:3], v3 src0_sel:WORD_1
	v_cvt_pk_f32_fp8_e32 v[72:73], v5
	v_cvt_pkrtz_f16_f32 v18, v18, v19
	v_mfma_f32_16x16x16_f16 v[6:9], v[20:21], v[14:15], v[6:9]
	v_cvt_pk_f32_fp8_e32 v[20:21], v4
	v_cvt_pkrtz_f16_f32 v19, v2, v3
	v_cvt_pkrtz_f16_f32 v74, v84, v85
	;; [unrolled: 1-line block ×5, first 2 shown]
	v_cvt_pk_f32_fp8_sdwa v[52:53], v5 src0_sel:WORD_1
	v_mfma_f32_16x16x16_f16 v[2:5], v[18:19], v[28:29], v[56:59]
	v_cvt_pkrtz_f16_f32 v18, v72, v73
	v_cvt_pkrtz_f16_f32 v76, v88, v89
	;; [unrolled: 1-line block ×3, first 2 shown]
	v_mfma_f32_16x16x16_f16 v[2:5], v[20:21], v[22:23], v[2:5]
	s_waitcnt vmcnt(8)
	v_cvt_pk_f32_fp8_e32 v[20:21], v46
	v_cvt_pk_f32_fp8_sdwa v[52:53], v46 src0_sel:WORD_1
	v_cvt_pk_f32_fp8_sdwa v[56:57], v48 src0_sel:WORD_1
	v_mfma_f32_16x16x16_f16 v[2:5], v[18:19], v[24:25], v[2:5]
	v_cvt_pk_f32_fp8_e32 v[18:19], v47
	v_cvt_pkrtz_f16_f32 v20, v20, v21
	v_cvt_pkrtz_f16_f32 v21, v52, v53
	v_cvt_pk_f32_fp8_sdwa v[46:47], v47 src0_sel:WORD_1
	v_cvt_pkrtz_f16_f32 v18, v18, v19
	v_cvt_pk_f32_fp8_e32 v[52:53], v48
	v_mfma_f32_16x16x16_f16 v[2:5], v[20:21], v[14:15], v[2:5]
	v_cvt_pkrtz_f16_f32 v19, v46, v47
	v_cvt_pkrtz_f16_f32 v20, v52, v53
	;; [unrolled: 1-line block ×3, first 2 shown]
	v_cvt_pk_f32_fp8_e32 v[46:47], v49
	v_cvt_pk_f32_fp8_sdwa v[48:49], v49 src0_sel:WORD_1
	v_mfma_f32_16x16x16_f16 v[2:5], v[18:19], v[16:17], v[2:5]
	s_waitcnt vmcnt(7)
	v_cvt_pk_f32_fp8_sdwa v[52:53], v42 src0_sel:WORD_1
	v_cvt_pkrtz_f16_f32 v18, v46, v47
	v_cvt_pkrtz_f16_f32 v19, v48, v49
	v_mfma_f32_16x16x16_f16 v[2:5], v[20:21], v[10:11], v[2:5]
	v_cvt_pk_f32_fp8_e32 v[20:21], v42
	v_mfma_f32_16x16x16_f16 v[46:49], v[18:19], v[12:13], v[2:5]
	v_cvt_pk_f32_fp8_sdwa v[18:19], v43 src0_sel:WORD_1
	s_nop 3
	v_cvt_pkrtz_f16_f32 v2, v20, v21
	v_cvt_pkrtz_f16_f32 v3, v52, v53
	v_cvt_pk_f32_fp8_e32 v[4:5], v43
	v_mfma_f32_16x16x16_f16 v[6:9], v[74:75], v[16:17], v[6:9]
	v_cvt_pkrtz_f16_f32 v43, v18, v19
	v_cvt_pk_f32_fp8_e32 v[18:19], v44
	v_cvt_pkrtz_f16_f32 v42, v4, v5
	v_mfma_f32_16x16x16_f16 v[2:5], v[2:3], v[26:27], 0
	v_cvt_pk_f32_fp8_sdwa v[52:53], v44 src0_sel:WORD_1
	s_waitcnt vmcnt(6)
	v_cvt_pk_f32_fp8_sdwa v[74:75], v41 src0_sel:WORD_1
	v_mfma_f32_16x16x16_f16 v[6:9], v[76:77], v[10:11], v[6:9]
	v_mfma_f32_16x16x16_f16 v[56:59], v[42:43], v[28:29], v[2:5]
	v_cvt_pkrtz_f16_f32 v42, v18, v19
	v_cvt_pkrtz_f16_f32 v43, v52, v53
	v_cvt_pk_f32_fp8_e32 v[52:53], v45
	v_cvt_pk_f32_fp8_sdwa v[44:45], v45 src0_sel:WORD_1
	v_mfma_f32_16x16x16_f16 v[6:9], v[70:71], v[12:13], v[6:9]
	v_lshl_add_u64 v[70:71], s[42:43], 0, v[50:51]
	s_waitcnt vmcnt(3)
	v_mad_i64_i32 v[20:21], s[6:7], v68, s41, v[70:71]
	s_waitcnt vmcnt(2)
	v_mad_i64_i32 v[72:73], s[6:7], v69, s41, v[70:71]
	global_load_dwordx4 v[18:21], v[20:21], off
	s_nop 0
	global_load_dwordx4 v[2:5], v[72:73], off
	v_cvt_pkrtz_f16_f32 v72, v52, v53
	v_cvt_pkrtz_f16_f32 v73, v44, v45
	v_mfma_f32_16x16x16_f16 v[42:45], v[42:43], v[22:23], v[56:59]
	s_waitcnt vmcnt(3)
	v_mad_i64_i32 v[52:53], s[6:7], v66, s41, v[70:71]
	v_or_b32_e32 v50, 0x400, v50
	s_waitcnt vmcnt(2)
	v_mad_i64_i32 v[56:57], s[6:7], v67, s41, v[70:71]
	v_cvt_pk_f32_fp8_e32 v[58:59], v38
	v_cvt_pk_f32_fp8_sdwa v[70:71], v38 src0_sel:WORD_1
	v_mfma_f32_16x16x16_f16 v[42:45], v[72:73], v[24:25], v[42:45]
	v_cvt_pk_f32_fp8_e32 v[72:73], v39
	v_cvt_pk_f32_fp8_sdwa v[38:39], v39 src0_sel:WORD_1
	v_cvt_pkrtz_f16_f32 v58, v58, v59
	v_cvt_pkrtz_f16_f32 v59, v70, v71
	;; [unrolled: 1-line block ×4, first 2 shown]
	v_cvt_pk_f32_fp8_e32 v[38:39], v40
	v_cvt_pk_f32_fp8_sdwa v[72:73], v40 src0_sel:WORD_1
	v_mfma_f32_16x16x16_f16 v[42:45], v[58:59], v[14:15], v[42:45]
	s_load_dword s6, s[36:37], 0x0
	v_cvt_pkrtz_f16_f32 v58, v38, v39
	v_cvt_pkrtz_f16_f32 v59, v72, v73
	v_cvt_pk_f32_fp8_e32 v[72:73], v41
	v_mfma_f32_16x16x16_f16 v[38:41], v[70:71], v[16:17], v[42:45]
	s_nop 2
	v_mov_b32_e32 v44, s4
	v_cvt_pkrtz_f16_f32 v42, v72, v73
	v_cvt_pkrtz_f16_f32 v43, v74, v75
	v_mfma_f32_16x16x16_f16 v[38:41], v[58:59], v[10:11], v[38:41]
	s_waitcnt lgkmcnt(0)
	v_mul_f32_e32 v74, s6, v44
	v_cvt_pk_f32_fp8_e32 v[44:45], v34
	v_cvt_pk_f32_fp8_sdwa v[58:59], v34 src0_sel:WORD_1
	v_mfma_f32_16x16x16_f16 v[70:73], v[42:43], v[12:13], v[38:41]
	v_pk_mul_f32 v[6:7], v[74:75], v[6:7] op_sel_hi:[0,1]
	s_nop 1
	v_cvt_pk_f32_fp8_e32 v[38:39], v35
	v_cvt_pkrtz_f16_f32 v40, v44, v45
	v_cvt_pkrtz_f16_f32 v41, v58, v59
	v_cvt_pk_f32_fp8_sdwa v[34:35], v35 src0_sel:WORD_1
	v_cvt_pkrtz_f16_f32 v42, v38, v39
	v_cvt_pk_f32_fp8_e32 v[44:45], v36
	v_cvt_pk_f32_fp8_sdwa v[58:59], v36 src0_sel:WORD_1
	v_cvt_pkrtz_f16_f32 v43, v34, v35
	v_mfma_f32_16x16x16_f16 v[38:41], v[40:41], v[26:27], 0
	v_cvt_pkrtz_f16_f32 v34, v44, v45
	v_cvt_pkrtz_f16_f32 v35, v58, v59
	v_cvt_pk_f32_fp8_e32 v[44:45], v37
	v_cvt_pk_f32_fp8_sdwa v[36:37], v37 src0_sel:WORD_1
	v_mfma_f32_16x16x16_f16 v[26:29], v[42:43], v[28:29], v[38:41]
	v_pk_mul_f32 v[58:59], v[74:75], v[8:9] op_sel_hi:[0,1]
	v_cvt_pkrtz_f16_f32 v8, v44, v45
	v_cvt_pkrtz_f16_f32 v9, v36, v37
	v_mfma_f32_16x16x16_f16 v[26:29], v[34:35], v[22:23], v[26:29]
	v_cvt_pk_f32_fp8_e32 v[34:35], v30
	v_cvt_pk_f32_fp8_sdwa v[36:37], v30 src0_sel:WORD_1
	v_pk_mul_f32 v[44:45], v[74:75], v[46:47] op_sel_hi:[0,1]
	v_mfma_f32_16x16x16_f16 v[22:25], v[8:9], v[24:25], v[26:29]
	v_cvt_pk_f32_fp8_e32 v[8:9], v31
	v_pk_mul_f32 v[42:43], v[74:75], v[48:49] op_sel_hi:[0,1]
	v_pk_mul_f32 v[40:41], v[74:75], v[70:71] op_sel_hi:[0,1]
	v_cvt_pkrtz_f16_f32 v26, v34, v35
	v_cvt_pkrtz_f16_f32 v27, v36, v37
	v_cvt_pk_f32_fp8_sdwa v[28:29], v31 src0_sel:WORD_1
	v_cvt_pkrtz_f16_f32 v8, v8, v9
	v_cvt_pk_f32_fp8_e32 v[30:31], v32
	v_cvt_pk_f32_fp8_sdwa v[34:35], v32 src0_sel:WORD_1
	v_cvt_pkrtz_f16_f32 v9, v28, v29
	v_mfma_f32_16x16x16_f16 v[22:25], v[26:27], v[14:15], v[22:25]
	v_cvt_pkrtz_f16_f32 v26, v30, v31
	v_cvt_pkrtz_f16_f32 v27, v34, v35
	v_cvt_pk_f32_fp8_e32 v[28:29], v33
	v_cvt_pk_f32_fp8_sdwa v[30:31], v33 src0_sel:WORD_1
	v_mfma_f32_16x16x16_f16 v[14:17], v[8:9], v[16:17], v[22:25]
	v_pk_mul_f32 v[38:39], v[74:75], v[72:73] op_sel_hi:[0,1]
	s_nop 1
	v_cvt_pkrtz_f16_f32 v22, v28, v29
	v_cvt_pkrtz_f16_f32 v23, v30, v31
	v_mfma_f32_16x16x16_f16 v[8:11], v[26:27], v[10:11], v[14:17]
	global_load_dwordx4 v[30:33], v[52:53], off
	global_load_dwordx4 v[26:29], v[56:57], off
	v_mfma_f32_16x16x16_f16 v[8:11], v[22:23], v[12:13], v[8:11]
	s_nop 6
	v_pk_mul_f32 v[36:37], v[74:75], v[8:9] op_sel_hi:[0,1]
	v_and_b32_e32 v8, 0xc0, v0
	v_add_u32_e32 v8, s5, v8
	v_lshl_or_b32 v8, v1, 2, v8
	v_pk_mul_f32 v[34:35], v[74:75], v[10:11] op_sel_hi:[0,1]
	v_or_b32_e32 v11, 1, v8
	v_mov_b32_e32 v9, 0xff7fffff
	v_cmp_gt_i32_e64 s[14:15], s20, v8
	v_cmp_gt_i32_e64 s[22:23], s20, v11
	v_or_b32_e32 v12, 3, v8
	v_cndmask_b32_e64 v10, v9, v6, s[14:15]
	v_cndmask_b32_e64 v11, v9, v7, s[22:23]
	v_max3_f32 v10, v10, s45, v11
	v_or_b32_e32 v11, 2, v8
	v_cmp_gt_i32_e64 s[28:29], s20, v11
	v_cmp_gt_i32_e64 s[34:35], s20, v12
	s_nop 0
	v_cndmask_b32_e64 v11, v9, v58, s[28:29]
	v_cndmask_b32_e64 v12, v9, v59, s[34:35]
	v_max3_f32 v10, v10, v11, v12
	v_or_b32_e32 v11, 16, v8
	v_or_b32_e32 v12, 17, v8
	v_cmp_gt_i32_e64 s[8:9], s20, v11
	v_cmp_gt_i32_e64 s[16:17], s20, v12
	s_nop 0
	v_cndmask_b32_e64 v11, v9, v44, s[8:9]
	v_cndmask_b32_e64 v12, v9, v45, s[16:17]
	v_max3_f32 v10, v10, v11, v12
	v_or_b32_e32 v11, 18, v8
	;; [unrolled: 8-line block ×5, first 2 shown]
	v_or_b32_e32 v12, 49, v8
	v_cmp_gt_i32_e32 vcc, s20, v11
	v_cmp_gt_i32_e64 s[6:7], s20, v12
	s_nop 0
	v_cndmask_b32_e32 v11, v9, v36, vcc
	v_cndmask_b32_e64 v12, v9, v37, s[6:7]
	v_max3_f32 v10, v10, v11, v12
	v_or_b32_e32 v11, 50, v8
	v_or_b32_e32 v8, 51, v8
	v_cmp_gt_i32_e64 s[12:13], s20, v11
	v_cmp_gt_i32_e64 s[20:21], s20, v8
	s_nop 0
	v_cndmask_b32_e64 v11, v9, v34, s[12:13]
	v_cndmask_b32_e64 v8, v9, v35, s[20:21]
	v_mbcnt_lo_u32_b32 v9, -1, 0
	v_mbcnt_hi_u32_b32 v9, -1, v9
	v_max3_f32 v8, v10, v11, v8
	v_and_b32_e32 v10, 64, v9
	v_add_u32_e32 v12, 64, v10
	v_xor_b32_e32 v10, 32, v9
	v_cmp_lt_i32_e64 s[36:37], v10, v12
	s_nop 1
	v_cndmask_b32_e64 v10, v9, v10, s[36:37]
	v_lshlrev_b32_e32 v70, 2, v10
	ds_bpermute_b32 v13, v70, v8
	v_lshl_add_u64 v[10:11], s[42:43], 0, v[50:51]
	s_waitcnt lgkmcnt(0)
	v_max_f32_e32 v13, v13, v13
	v_max_f32_e32 v14, v8, v13
	v_xor_b32_e32 v8, 16, v9
	v_cmp_lt_i32_e64 s[36:37], v8, v12
	s_nop 1
	v_cndmask_b32_e64 v8, v9, v8, s[36:37]
	v_lshlrev_b32_e32 v52, 2, v8
	ds_bpermute_b32 v15, v52, v14
	v_mad_i64_i32 v[8:9], s[36:37], v68, s41, v[10:11]
	v_mad_i64_i32 v[12:13], s[36:37], v69, s41, v[10:11]
	s_waitcnt lgkmcnt(0)
	v_max_f32_e32 v15, v15, v15
	v_max_f32_e32 v50, v14, v15
	v_sub_f32_e32 v6, v6, v50
	v_mul_f32_e32 v6, 0x3fb8aa3b, v6
	v_exp_f32_e32 v46, v6
	v_sub_f32_e32 v6, v7, v50
	v_mul_f32_e32 v6, 0x3fb8aa3b, v6
	v_exp_f32_e32 v47, v6
	global_load_dwordx4 v[14:17], v[8:9], off
	s_nop 0
	global_load_dwordx4 v[6:9], v[12:13], off
	v_sub_f32_e32 v12, v58, v50
	v_mul_f32_e32 v12, 0x3fb8aa3b, v12
	v_exp_f32_e32 v48, v12
	v_sub_f32_e32 v12, v59, v50
	v_mul_f32_e32 v12, 0x3fb8aa3b, v12
	v_exp_f32_e32 v49, v12
	v_mad_i64_i32 v[12:13], s[36:37], v66, s41, v[10:11]
	v_mad_i64_i32 v[10:11], s[36:37], v67, s41, v[10:11]
	global_load_dwordx4 v[22:25], v[12:13], off
	s_nop 0
	global_load_dwordx4 v[10:13], v[10:11], off
	v_sub_f32_e32 v44, v44, v50
	v_sub_f32_e32 v42, v42, v50
	v_mul_f32_e32 v44, 0x3fb8aa3b, v44
	v_mul_f32_e32 v42, 0x3fb8aa3b, v42
	v_exp_f32_e32 v44, v44
	v_exp_f32_e32 v51, v42
	v_sub_f32_e32 v45, v45, v50
	v_sub_f32_e32 v42, v43, v50
	;; [unrolled: 1-line block ×4, first 2 shown]
	v_mul_f32_e32 v45, 0x3fb8aa3b, v45
	v_mul_f32_e32 v42, 0x3fb8aa3b, v42
	;; [unrolled: 1-line block ×4, first 2 shown]
	v_exp_f32_e32 v45, v45
	v_exp_f32_e32 v53, v42
	v_cndmask_b32_e64 v42, 0, v44, s[8:9]
	v_cndmask_b32_e64 v44, 0, v51, s[24:25]
	v_exp_f32_e32 v40, v40
	v_exp_f32_e32 v51, v38
	v_sub_f32_e32 v41, v41, v50
	v_sub_f32_e32 v38, v39, v50
	;; [unrolled: 1-line block ×4, first 2 shown]
	v_mul_f32_e32 v41, 0x3fb8aa3b, v41
	v_mul_f32_e32 v38, 0x3fb8aa3b, v38
	;; [unrolled: 1-line block ×4, first 2 shown]
	v_cndmask_b32_e64 v43, 0, v45, s[16:17]
	v_cndmask_b32_e64 v45, 0, v53, s[30:31]
	v_exp_f32_e32 v41, v41
	v_exp_f32_e32 v53, v38
	v_cndmask_b32_e64 v38, 0, v40, s[4:5]
	v_cndmask_b32_e64 v40, 0, v51, s[18:19]
	v_exp_f32_e32 v36, v36
	v_exp_f32_e32 v51, v34
	v_sub_f32_e32 v34, v35, v50
	v_cndmask_b32_e64 v46, 0, v46, s[14:15]
	v_mul_f32_e32 v34, 0x3fb8aa3b, v34
	v_cndmask_b32_e64 v47, 0, v47, s[22:23]
	v_cndmask_b32_e64 v39, 0, v41, s[10:11]
	;; [unrolled: 1-line block ×3, first 2 shown]
	v_exp_f32_e32 v53, v34
	v_cndmask_b32_e32 v34, 0, v36, vcc
	v_cndmask_b32_e64 v36, 0, v51, s[12:13]
	v_add_f32_e32 v51, 0, v46
	v_cndmask_b32_e64 v48, 0, v48, s[28:29]
	v_add_f32_e32 v51, v51, v47
	;; [unrolled: 2-line block ×3, first 2 shown]
	v_add_f32_e32 v51, v51, v49
	v_add_f32_e32 v51, v51, v42
	;; [unrolled: 1-line block ×3, first 2 shown]
	v_sub_f32_e32 v37, v37, v50
	v_add_f32_e32 v51, v51, v44
	v_mul_f32_e32 v37, 0x3fb8aa3b, v37
	v_add_f32_e32 v51, v51, v45
	v_exp_f32_e32 v37, v37
	v_add_f32_e32 v51, v51, v38
	v_add_f32_e32 v51, v51, v39
	;; [unrolled: 1-line block ×4, first 2 shown]
	v_cndmask_b32_e64 v35, 0, v37, s[6:7]
	v_add_f32_e32 v51, v51, v34
	v_add_f32_e32 v51, v51, v35
	v_cndmask_b32_e64 v37, 0, v53, s[20:21]
	v_add_f32_e32 v51, v51, v36
	v_add_f32_e32 v51, v51, v37
	ds_bpermute_b32 v53, v70, v51
	v_cmp_gt_u32_e32 vcc, 16, v63
	s_waitcnt lgkmcnt(0)
	s_barrier
	v_add_f32_e32 v51, v51, v53
	ds_bpermute_b32 v52, v52, v51
	s_and_saveexec_b64 s[4:5], vcc
	s_cbranch_execz .LBB963_13
; %bb.12:
	s_waitcnt lgkmcnt(0)
	v_add_f32_e32 v51, v51, v52
	v_lshlrev_b32_e32 v52, 2, v65
	ds_write2st64_b32 v52, v50, v51 offset1:1
.LBB963_13:
	s_or_b64 exec, exec, s[4:5]
	v_lshlrev_b32_e32 v51, 2, v60
	s_load_dword s6, s[0:1], 0x94
	s_waitcnt lgkmcnt(0)
	s_barrier
	ds_read2_b32 v[52:53], v51 offset1:16
	ds_read2_b32 v[56:57], v51 offset0:32 offset1:48
	ds_read2_b32 v[58:59], v51 offset0:64 offset1:80
	s_lshl_b32 s7, s40, 4
	s_waitcnt lgkmcnt(2)
	v_max3_f32 v50, v52, s45, v53
	s_waitcnt lgkmcnt(1)
	v_max3_f32 v50, v50, v56, v57
	v_sub_f32_e32 v52, v52, v50
	v_mul_f32_e32 v52, 0x3fb8aa3b, v52
	v_exp_f32_e32 v63, v52
	v_sub_f32_e32 v52, v53, v50
	v_mul_f32_e32 v52, 0x3fb8aa3b, v52
	v_exp_f32_e32 v65, v52
	;; [unrolled: 3-line block ×3, first 2 shown]
	ds_read2_b32 v[52:53], v51 offset0:96 offset1:112
	v_sub_f32_e32 v51, v57, v50
	v_mul_f32_e32 v51, 0x3fb8aa3b, v51
	v_exp_f32_e32 v57, v51
	s_waitcnt lgkmcnt(1)
	v_fma_f32 v51, v63, v58, 0
	v_fmac_f32_e32 v51, v65, v59
	s_waitcnt lgkmcnt(0)
	v_fmac_f32_e32 v51, v56, v52
	v_fmac_f32_e32 v51, v57, v53
	v_add_f32_e32 v52, 0x358637bd, v51
	v_div_scale_f32 v53, s[4:5], v52, v52, 1.0
	v_rcp_f32_e32 v58, v53
	s_barrier
	v_fma_f32 v59, -v53, v58, 1.0
	v_fmac_f32_e32 v58, v59, v58
	v_div_scale_f32 v59, vcc, 1.0, v52, 1.0
	v_mul_f32_e32 v66, v59, v58
	v_fma_f32 v67, -v53, v66, v59
	v_fmac_f32_e32 v66, v67, v58
	v_fma_f32 v53, -v53, v66, v59
	v_div_fmas_f32 v53, v53, v58, v66
	v_cmp_eq_u32_e32 vcc, 1, v62
	v_div_fixup_f32 v52, v53, v52, 1.0
	s_nop 0
	v_cndmask_b32_e32 v53, v63, v65, vcc
	v_cmp_eq_u32_e32 vcc, 2, v62
	s_nop 1
	v_cndmask_b32_e32 v53, v53, v56, vcc
	v_cmp_eq_u32_e32 vcc, 3, v62
	s_nop 1
	v_cndmask_b32_e32 v53, v53, v57, vcc
	v_mul_f32_e32 v52, v53, v52
	v_pk_mul_f32 v[48:49], v[52:53], v[48:49] op_sel_hi:[0,1]
	v_pk_mul_f32 v[46:47], v[52:53], v[46:47] op_sel_hi:[0,1]
	v_cvt_f16_f32_e32 v46, v46
	v_cvt_f16_f32_e32 v47, v47
	;; [unrolled: 1-line block ×4, first 2 shown]
	v_pk_mul_f32 v[44:45], v[52:53], v[44:45] op_sel_hi:[0,1]
	v_pk_mul_f32 v[42:43], v[52:53], v[42:43] op_sel_hi:[0,1]
	v_cvt_f16_f32_e32 v42, v42
	v_cvt_f16_f32_e32 v43, v43
	;; [unrolled: 1-line block ×4, first 2 shown]
	v_pack_b32_f16 v46, v46, v47
	v_pack_b32_f16 v47, v48, v49
	v_lshlrev_b32_e32 v48, 3, v1
	v_lshlrev_b32_e32 v49, 11, v62
	v_or3_b32 v56, v49, v64, v48
	v_pack_b32_f16 v42, v42, v43
	v_pack_b32_f16 v43, v44, v45
	v_pk_mul_f32 v[40:41], v[52:53], v[40:41] op_sel_hi:[0,1]
	v_pk_mul_f32 v[38:39], v[52:53], v[38:39] op_sel_hi:[0,1]
	;; [unrolled: 1-line block ×4, first 2 shown]
	ds_write2st64_b64 v56, v[46:47], v[42:43] offset1:1
	v_cvt_f16_f32_e32 v38, v38
	v_cvt_f16_f32_e32 v39, v39
	;; [unrolled: 1-line block ×8, first 2 shown]
	v_pack_b32_f16 v34, v38, v39
	v_pack_b32_f16 v35, v40, v41
	;; [unrolled: 1-line block ×4, first 2 shown]
	v_cmp_gt_u32_e32 vcc, 16, v0
	ds_write2st64_b64 v56, v[34:35], v[36:37] offset0:2 offset1:3
	s_and_saveexec_b64 s[4:5], vcc
	s_cbranch_execz .LBB963_15
; %bb.14:
	v_or_b32_e32 v34, s44, v0
	v_mov_b32_e32 v35, 0
	v_mov_b32_e32 v36, s7
	v_mad_u64_u32 v[36:37], s[12:13], s2, v36, v[34:35]
	v_mov_b32_e32 v34, s33
	s_load_dwordx4 s[8:11], s[0:1], 0x58
	s_mul_i32 s3, s3, s7
	v_mad_u64_u32 v[34:35], s[12:13], v36, s6, v[34:35]
	v_add_u32_e32 v37, s3, v37
	v_mov_b32_e32 v36, v35
	v_mad_u64_u32 v[36:37], s[12:13], v37, s6, v[36:37]
	v_mov_b32_e32 v35, v36
	v_lshlrev_b64 v[34:35], 2, v[34:35]
	s_waitcnt lgkmcnt(0)
	v_lshl_add_u64 v[36:37], s[10:11], 0, v[34:35]
	v_lshl_add_u64 v[34:35], s[8:9], 0, v[34:35]
	global_store_dword v[36:37], v50, off
	global_store_dword v[34:35], v51, off
.LBB963_15:
	s_or_b64 exec, exec, s[4:5]
	s_waitcnt vmcnt(7)
	v_cvt_pk_f32_fp8_e32 v[34:35], v18
	v_cvt_pk_f32_fp8_sdwa v[36:37], v18 src0_sel:WORD_1
	s_waitcnt lgkmcnt(0)
	s_barrier
	v_cvt_pk_f32_fp8_e32 v[38:39], v19
	v_cvt_pkrtz_f16_f32 v18, v34, v35
	v_cvt_pk_f32_fp8_sdwa v[40:41], v19 src0_sel:WORD_1
	v_cvt_pkrtz_f16_f32 v19, v36, v37
	ds_read_b128 v[34:37], v55
	v_cvt_pkrtz_f16_f32 v46, v38, v39
	v_cvt_pkrtz_f16_f32 v47, v40, v41
	ds_read_b128 v[38:41], v55 offset:16
	v_cvt_pk_f32_fp8_e32 v[48:49], v20
	v_cvt_pk_f32_fp8_sdwa v[50:51], v20 src0_sel:WORD_1
	s_waitcnt lgkmcnt(1)
	v_mfma_f32_16x16x16_f16 v[42:45], v[18:19], v[34:35], 0
	s_waitcnt vmcnt(6)
	v_cvt_pk_f32_fp8_e32 v[52:53], v4
	v_cvt_pkrtz_f16_f32 v18, v48, v49
	v_cvt_pkrtz_f16_f32 v19, v50, v51
	v_cvt_pk_f32_fp8_e32 v[48:49], v21
	v_mfma_f32_16x16x16_f16 v[42:45], v[46:47], v[36:37], v[42:45]
	v_cvt_pk_f32_fp8_sdwa v[46:47], v21 src0_sel:WORD_1
	v_cvt_pk_f32_fp8_sdwa v[58:59], v4 src0_sel:WORD_1
	v_cvt_pkrtz_f16_f32 v48, v48, v49
	s_waitcnt lgkmcnt(0)
	v_mfma_f32_16x16x16_f16 v[18:21], v[18:19], v[38:39], v[42:45]
	v_cvt_pkrtz_f16_f32 v49, v46, v47
	s_waitcnt vmcnt(5)
	v_cvt_pk_f32_fp8_e32 v[62:63], v32
	v_cvt_pk_f32_fp8_sdwa v[64:65], v32 src0_sel:WORD_1
	v_cvt_pk_f32_fp8_e32 v[42:43], v2
	v_mfma_f32_16x16x16_f16 v[46:49], v[48:49], v[40:41], v[18:21]
	s_waitcnt vmcnt(4)
	v_cvt_pk_f32_fp8_e32 v[66:67], v28
	v_cvt_pk_f32_fp8_sdwa v[68:69], v28 src0_sel:WORD_1
	v_cvt_pk_f32_fp8_sdwa v[18:19], v2 src0_sel:WORD_1
	v_cvt_pk_f32_fp8_e32 v[20:21], v3
	v_cvt_pkrtz_f16_f32 v2, v42, v43
	v_cvt_pk_f32_fp8_sdwa v[42:43], v3 src0_sel:WORD_1
	v_cvt_pkrtz_f16_f32 v3, v18, v19
	v_cvt_pkrtz_f16_f32 v50, v20, v21
	ds_read_b128 v[18:21], v55 offset:2048
	v_cvt_pkrtz_f16_f32 v51, v42, v43
	ds_read_b128 v[42:45], v55 offset:2064
	s_waitcnt lgkmcnt(1)
	v_mfma_f32_16x16x16_f16 v[46:49], v[2:3], v[18:19], v[46:49]
	v_cvt_pkrtz_f16_f32 v2, v52, v53
	v_cvt_pkrtz_f16_f32 v3, v58, v59
	v_cvt_pk_f32_fp8_e32 v[52:53], v5
	v_mfma_f32_16x16x16_f16 v[46:49], v[50:51], v[20:21], v[46:49]
	v_cvt_pk_f32_fp8_sdwa v[50:51], v5 src0_sel:WORD_1
	s_waitcnt vmcnt(3)
	v_cvt_pk_f32_fp8_sdwa v[70:71], v16 src0_sel:WORD_1
	v_cvt_pkrtz_f16_f32 v52, v52, v53
	s_waitcnt lgkmcnt(0)
	v_mfma_f32_16x16x16_f16 v[2:5], v[2:3], v[42:43], v[46:49]
	v_cvt_pkrtz_f16_f32 v53, v50, v51
	s_load_dword s4, s[38:39], 0x0
	s_mov_b32 s3, 0
	v_cvt_pk_f32_fp8_e32 v[46:47], v30
	v_mfma_f32_16x16x16_f16 v[50:53], v[52:53], v[44:45], v[2:5]
	v_cmp_gt_u32_e32 vcc, 64, v0
	s_nop 1
	v_cvt_pk_f32_fp8_sdwa v[2:3], v30 src0_sel:WORD_1
	v_cvt_pk_f32_fp8_e32 v[4:5], v31
	v_cvt_pkrtz_f16_f32 v30, v46, v47
	v_cvt_pk_f32_fp8_sdwa v[46:47], v31 src0_sel:WORD_1
	v_cvt_pkrtz_f16_f32 v31, v2, v3
	v_cvt_pkrtz_f16_f32 v58, v4, v5
	ds_read_b128 v[2:5], v55 offset:4096
	v_cvt_pkrtz_f16_f32 v59, v46, v47
	ds_read_b128 v[46:49], v55 offset:4112
	s_waitcnt lgkmcnt(0)
	v_mfma_f32_16x16x16_f16 v[50:53], v[30:31], v[2:3], v[50:53]
	v_cvt_pkrtz_f16_f32 v30, v62, v63
	v_cvt_pkrtz_f16_f32 v31, v64, v65
	v_cvt_pk_f32_fp8_e32 v[62:63], v33
	v_mfma_f32_16x16x16_f16 v[50:53], v[58:59], v[4:5], v[50:53]
	v_cvt_pk_f32_fp8_sdwa v[58:59], v33 src0_sel:WORD_1
	v_cvt_pkrtz_f16_f32 v62, v62, v63
	v_mfma_f32_16x16x16_f16 v[30:33], v[30:31], v[46:47], v[50:53]
	v_cvt_pkrtz_f16_f32 v63, v58, v59
	s_nop 2
	v_cvt_pk_f32_fp8_e32 v[50:51], v26
	v_mfma_f32_16x16x16_f16 v[62:65], v[62:63], v[48:49], v[30:33]
	s_nop 2
	v_cvt_pk_f32_fp8_sdwa v[30:31], v26 src0_sel:WORD_1
	v_cvt_pk_f32_fp8_e32 v[32:33], v27
	v_cvt_pkrtz_f16_f32 v26, v50, v51
	v_cvt_pk_f32_fp8_sdwa v[50:51], v27 src0_sel:WORD_1
	v_cvt_pkrtz_f16_f32 v27, v30, v31
	v_cvt_pkrtz_f16_f32 v58, v32, v33
	ds_read_b128 v[30:33], v55 offset:6144
	v_cvt_pkrtz_f16_f32 v59, v50, v51
	ds_read_b128 v[50:53], v55 offset:6160
	s_waitcnt lgkmcnt(1)
	v_mfma_f32_16x16x16_f16 v[62:65], v[26:27], v[30:31], v[62:65]
	v_cvt_pkrtz_f16_f32 v26, v66, v67
	v_cvt_pkrtz_f16_f32 v27, v68, v69
	v_cvt_pk_f32_fp8_e32 v[66:67], v29
	v_mfma_f32_16x16x16_f16 v[62:65], v[58:59], v[32:33], v[62:65]
	v_cvt_pk_f32_fp8_sdwa v[58:59], v29 src0_sel:WORD_1
	v_cvt_pk_f32_fp8_e32 v[68:69], v16
	v_cvt_pkrtz_f16_f32 v66, v66, v67
	s_waitcnt lgkmcnt(0)
	v_mfma_f32_16x16x16_f16 v[26:29], v[26:27], v[50:51], v[62:65]
	v_cvt_pkrtz_f16_f32 v67, v58, v59
	v_cvt_pk_f32_fp8_e32 v[58:59], v14
	s_nop 0
	v_cvt_pk_f32_fp8_sdwa v[62:63], v14 src0_sel:WORD_1
	v_cvt_pk_f32_fp8_e32 v[64:65], v15
	v_cvt_pkrtz_f16_f32 v58, v58, v59
	v_cvt_pk_f32_fp8_sdwa v[14:15], v15 src0_sel:WORD_1
	v_cvt_pkrtz_f16_f32 v59, v62, v63
	v_mfma_f32_16x16x16_f16 v[26:29], v[66:67], v[52:53], v[26:29]
	v_cvt_pkrtz_f16_f32 v66, v64, v65
	v_cvt_pkrtz_f16_f32 v67, v14, v15
	;; [unrolled: 1-line block ×3, first 2 shown]
	v_mfma_f32_16x16x16_f16 v[62:65], v[58:59], v[34:35], 0
	v_cvt_pkrtz_f16_f32 v15, v70, v71
	v_cvt_pk_f32_fp8_e32 v[58:59], v17
	s_barrier
	v_mfma_f32_16x16x16_f16 v[34:37], v[66:67], v[36:37], v[62:65]
	v_cvt_pkrtz_f16_f32 v58, v58, v59
	s_nop 1
	v_cvt_pk_f32_fp8_sdwa v[62:63], v17 src0_sel:WORD_1
	v_mfma_f32_16x16x16_f16 v[14:17], v[14:15], v[38:39], v[34:37]
	s_waitcnt vmcnt(2)
	v_cvt_pk_f32_fp8_e32 v[38:39], v7
	v_cvt_pkrtz_f16_f32 v59, v62, v63
	v_cvt_pk_f32_fp8_e32 v[34:35], v6
	v_cvt_pk_f32_fp8_sdwa v[36:37], v6 src0_sel:WORD_1
	v_cvt_pk_f32_fp8_sdwa v[6:7], v7 src0_sel:WORD_1
	v_mfma_f32_16x16x16_f16 v[14:17], v[58:59], v[40:41], v[14:17]
	v_cvt_pkrtz_f16_f32 v34, v34, v35
	v_cvt_pkrtz_f16_f32 v35, v36, v37
	;; [unrolled: 1-line block ×3, first 2 shown]
	v_cvt_pk_f32_fp8_e32 v[38:39], v8
	v_cvt_pk_f32_fp8_sdwa v[40:41], v8 src0_sel:WORD_1
	v_cvt_pkrtz_f16_f32 v37, v6, v7
	v_mfma_f32_16x16x16_f16 v[14:17], v[34:35], v[18:19], v[14:17]
	v_cvt_pkrtz_f16_f32 v18, v38, v39
	v_cvt_pkrtz_f16_f32 v19, v40, v41
	v_cvt_pk_f32_fp8_e32 v[34:35], v9
	v_cvt_pk_f32_fp8_sdwa v[38:39], v9 src0_sel:WORD_1
	v_mfma_f32_16x16x16_f16 v[6:9], v[36:37], v[20:21], v[14:17]
	s_waitcnt vmcnt(1)
	v_cvt_pk_f32_fp8_e32 v[20:21], v24
	s_nop 0
	v_cvt_pkrtz_f16_f32 v14, v34, v35
	v_cvt_pkrtz_f16_f32 v15, v38, v39
	v_mfma_f32_16x16x16_f16 v[6:9], v[18:19], v[42:43], v[6:9]
	v_cvt_pk_f32_fp8_e32 v[16:17], v22
	v_cvt_pk_f32_fp8_sdwa v[18:19], v22 src0_sel:WORD_1
	v_cvt_pkrtz_f16_f32 v16, v16, v17
	v_mfma_f32_16x16x16_f16 v[6:9], v[14:15], v[44:45], v[6:9]
	v_cvt_pk_f32_fp8_e32 v[14:15], v23
	v_cvt_pkrtz_f16_f32 v17, v18, v19
	v_cvt_pk_f32_fp8_sdwa v[18:19], v23 src0_sel:WORD_1
	v_cvt_pk_f32_fp8_sdwa v[22:23], v24 src0_sel:WORD_1
	v_cvt_pkrtz_f16_f32 v14, v14, v15
	v_mfma_f32_16x16x16_f16 v[6:9], v[16:17], v[2:3], v[6:9]
	v_cvt_pkrtz_f16_f32 v15, v18, v19
	v_cvt_pkrtz_f16_f32 v16, v20, v21
	;; [unrolled: 1-line block ×3, first 2 shown]
	v_cvt_pk_f32_fp8_e32 v[18:19], v25
	v_cvt_pk_f32_fp8_sdwa v[20:21], v25 src0_sel:WORD_1
	v_mfma_f32_16x16x16_f16 v[2:5], v[14:15], v[4:5], v[6:9]
	v_pk_mul_f32 v[14:15], v[26:27], s[4:5] op_sel_hi:[1,0]
	s_nop 0
	v_cvt_f16_f32_e32 v14, v14
	v_cvt_pkrtz_f16_f32 v8, v18, v19
	v_cvt_pkrtz_f16_f32 v9, v20, v21
	v_mfma_f32_16x16x16_f16 v[2:5], v[16:17], v[46:47], v[2:5]
	s_waitcnt vmcnt(0)
	v_cvt_pk_f32_fp8_e32 v[16:17], v10
	v_cvt_pk_f32_fp8_sdwa v[18:19], v10 src0_sel:WORD_1
	v_cvt_pk_f32_fp8_sdwa v[20:21], v12 src0_sel:WORD_1
	v_mfma_f32_16x16x16_f16 v[2:5], v[8:9], v[48:49], v[2:5]
	v_cvt_pk_f32_fp8_e32 v[8:9], v11
	v_cvt_pkrtz_f16_f32 v16, v16, v17
	v_cvt_pkrtz_f16_f32 v17, v18, v19
	v_cvt_pk_f32_fp8_sdwa v[10:11], v11 src0_sel:WORD_1
	v_cvt_pkrtz_f16_f32 v8, v8, v9
	v_cvt_pk_f32_fp8_e32 v[18:19], v12
	v_mfma_f32_16x16x16_f16 v[2:5], v[16:17], v[30:31], v[2:5]
	v_cvt_pkrtz_f16_f32 v9, v10, v11
	v_cvt_pkrtz_f16_f32 v10, v18, v19
	;; [unrolled: 1-line block ×3, first 2 shown]
	v_cvt_pk_f32_fp8_e32 v[16:17], v13
	v_cvt_pk_f32_fp8_sdwa v[12:13], v13 src0_sel:WORD_1
	v_mfma_f32_16x16x16_f16 v[2:5], v[8:9], v[32:33], v[2:5]
	v_pk_mul_f32 v[6:7], v[28:29], s[4:5] op_sel_hi:[1,0]
	v_cvt_pkrtz_f16_f32 v8, v16, v17
	v_cvt_pkrtz_f16_f32 v9, v12, v13
	v_mfma_f32_16x16x16_f16 v[2:5], v[10:11], v[50:51], v[2:5]
	v_cvt_f16_f32_e32 v10, v15
	v_cvt_f16_f32_e32 v6, v6
	v_cvt_f16_f32_e32 v7, v7
	v_mfma_f32_16x16x16_f16 v[2:5], v[8:9], v[52:53], v[2:5]
	s_nop 6
	v_pk_mul_f32 v[4:5], v[4:5], s[4:5] op_sel_hi:[1,0]
	v_pk_mul_f32 v[2:3], v[2:3], s[4:5] op_sel_hi:[1,0]
	v_cvt_f16_f32_e32 v11, v4
	v_cvt_f16_f32_e32 v8, v2
	;; [unrolled: 1-line block ×4, first 2 shown]
	v_pack_b32_f16 v2, v14, v10
	v_pack_b32_f16 v3, v6, v7
	;; [unrolled: 1-line block ×4, first 2 shown]
	ds_write2st64_b64 v56, v[2:3], v[4:5] offset1:1
	s_waitcnt lgkmcnt(0)
	s_barrier
	s_and_saveexec_b64 s[4:5], vcc
	s_cbranch_execz .LBB963_17
; %bb.16:
	s_load_dwordx2 s[0:1], s[0:1], 0x68
	s_lshl_b32 s6, s6, 7
	s_mul_i32 s2, s7, s2
	s_mul_hi_u32 s5, s2, s6
	s_mul_i32 s4, s2, s6
	s_lshl_b64 s[4:5], s[4:5], 1
	s_waitcnt lgkmcnt(0)
	s_add_u32 s4, s0, s4
	v_lshlrev_b32_e32 v4, 6, v60
	s_addc_u32 s5, s1, s5
	s_lshl_b32 s2, s33, 7
	v_lshl_or_b32 v0, v0, 10, v4
	s_lshl_b64 s[0:1], s[2:3], 1
	v_lshlrev_b32_e32 v2, 5, v1
	v_and_b32_e32 v3, 16, v61
	v_and_b32_e32 v0, 0x1a00, v0
	s_add_u32 s0, s4, s0
	v_or3_b32 v0, v0, v2, v3
	s_addc_u32 s1, s5, s1
	v_mov_b32_e32 v55, 0
	v_or_b32_e32 v20, s44, v1
	ds_read_b128 v[2:5], v0
	ds_read_b128 v[6:9], v0 offset:128
	ds_read_b128 v[10:13], v0 offset:256
	;; [unrolled: 1-line block ×3, first 2 shown]
	v_lshl_add_u64 v[18:19], s[0:1], 0, v[54:55]
	v_mad_u64_u32 v[0:1], s[0:1], v20, s6, 0
	v_lshl_add_u64 v[0:1], v[0:1], 1, v[18:19]
	s_waitcnt lgkmcnt(3)
	global_store_dwordx4 v[0:1], v[2:5], off
	v_or_b32_e32 v0, 4, v20
	v_mad_u64_u32 v[0:1], s[0:1], v0, s6, 0
	v_lshl_add_u64 v[0:1], v[0:1], 1, v[18:19]
	s_waitcnt lgkmcnt(2)
	global_store_dwordx4 v[0:1], v[6:9], off
	v_or_b32_e32 v0, 8, v20
	v_mad_u64_u32 v[0:1], s[0:1], v0, s6, 0
	v_lshl_add_u64 v[0:1], v[0:1], 1, v[18:19]
	s_waitcnt lgkmcnt(1)
	global_store_dwordx4 v[0:1], v[10:13], off
	v_or_b32_e32 v0, 12, v20
	v_mad_u64_u32 v[0:1], s[0:1], v0, s6, 0
	v_lshl_add_u64 v[0:1], v[0:1], 1, v[18:19]
	s_waitcnt lgkmcnt(0)
	global_store_dwordx4 v[0:1], v[14:17], off
.LBB963_17:
	s_endpgm
	.section	.rodata,"a",@progbits
	.p2align	6, 0x0
	.amdhsa_kernel _Z39paged_attention_ll4mi_QKV_mfma16_kernelIDF16_hLN4vllm18Fp8KVCacheDataTypeE1EhLi16ELi128ELi256ELb0ELi16EEvPKT_PKT0_S7_ifPKiS9_S9_iPKfiiiPfSC_PS2_PT2_iSB_SB_
		.amdhsa_group_segment_fixed_size 8192
		.amdhsa_private_segment_fixed_size 0
		.amdhsa_kernarg_size 400
		.amdhsa_user_sgpr_count 2
		.amdhsa_user_sgpr_dispatch_ptr 0
		.amdhsa_user_sgpr_queue_ptr 0
		.amdhsa_user_sgpr_kernarg_segment_ptr 1
		.amdhsa_user_sgpr_dispatch_id 0
		.amdhsa_user_sgpr_kernarg_preload_length 0
		.amdhsa_user_sgpr_kernarg_preload_offset 0
		.amdhsa_user_sgpr_private_segment_size 0
		.amdhsa_uses_dynamic_stack 0
		.amdhsa_enable_private_segment 0
		.amdhsa_system_sgpr_workgroup_id_x 1
		.amdhsa_system_sgpr_workgroup_id_y 1
		.amdhsa_system_sgpr_workgroup_id_z 1
		.amdhsa_system_sgpr_workgroup_info 0
		.amdhsa_system_vgpr_workitem_id 0
		.amdhsa_next_free_vgpr 92
		.amdhsa_next_free_sgpr 46
		.amdhsa_accum_offset 92
		.amdhsa_reserve_vcc 1
		.amdhsa_float_round_mode_32 0
		.amdhsa_float_round_mode_16_64 0
		.amdhsa_float_denorm_mode_32 3
		.amdhsa_float_denorm_mode_16_64 3
		.amdhsa_dx10_clamp 1
		.amdhsa_ieee_mode 1
		.amdhsa_fp16_overflow 0
		.amdhsa_tg_split 0
		.amdhsa_exception_fp_ieee_invalid_op 0
		.amdhsa_exception_fp_denorm_src 0
		.amdhsa_exception_fp_ieee_div_zero 0
		.amdhsa_exception_fp_ieee_overflow 0
		.amdhsa_exception_fp_ieee_underflow 0
		.amdhsa_exception_fp_ieee_inexact 0
		.amdhsa_exception_int_div_zero 0
	.end_amdhsa_kernel
	.section	.text._Z39paged_attention_ll4mi_QKV_mfma16_kernelIDF16_hLN4vllm18Fp8KVCacheDataTypeE1EhLi16ELi128ELi256ELb0ELi16EEvPKT_PKT0_S7_ifPKiS9_S9_iPKfiiiPfSC_PS2_PT2_iSB_SB_,"axG",@progbits,_Z39paged_attention_ll4mi_QKV_mfma16_kernelIDF16_hLN4vllm18Fp8KVCacheDataTypeE1EhLi16ELi128ELi256ELb0ELi16EEvPKT_PKT0_S7_ifPKiS9_S9_iPKfiiiPfSC_PS2_PT2_iSB_SB_,comdat
.Lfunc_end963:
	.size	_Z39paged_attention_ll4mi_QKV_mfma16_kernelIDF16_hLN4vllm18Fp8KVCacheDataTypeE1EhLi16ELi128ELi256ELb0ELi16EEvPKT_PKT0_S7_ifPKiS9_S9_iPKfiiiPfSC_PS2_PT2_iSB_SB_, .Lfunc_end963-_Z39paged_attention_ll4mi_QKV_mfma16_kernelIDF16_hLN4vllm18Fp8KVCacheDataTypeE1EhLi16ELi128ELi256ELb0ELi16EEvPKT_PKT0_S7_ifPKiS9_S9_iPKfiiiPfSC_PS2_PT2_iSB_SB_
                                        ; -- End function
	.section	.AMDGPU.csdata,"",@progbits
; Kernel info:
; codeLenInByte = 6036
; NumSgprs: 52
; NumVgprs: 92
; NumAgprs: 0
; TotalNumVgprs: 92
; ScratchSize: 0
; MemoryBound: 0
; FloatMode: 240
; IeeeMode: 1
; LDSByteSize: 8192 bytes/workgroup (compile time only)
; SGPRBlocks: 6
; VGPRBlocks: 11
; NumSGPRsForWavesPerEU: 52
; NumVGPRsForWavesPerEU: 92
; AccumOffset: 92
; Occupancy: 5
; WaveLimiterHint : 1
; COMPUTE_PGM_RSRC2:SCRATCH_EN: 0
; COMPUTE_PGM_RSRC2:USER_SGPR: 2
; COMPUTE_PGM_RSRC2:TRAP_HANDLER: 0
; COMPUTE_PGM_RSRC2:TGID_X_EN: 1
; COMPUTE_PGM_RSRC2:TGID_Y_EN: 1
; COMPUTE_PGM_RSRC2:TGID_Z_EN: 1
; COMPUTE_PGM_RSRC2:TIDIG_COMP_CNT: 0
; COMPUTE_PGM_RSRC3_GFX90A:ACCUM_OFFSET: 22
; COMPUTE_PGM_RSRC3_GFX90A:TG_SPLIT: 0
	.section	.text._Z39paged_attention_ll4mi_QKV_mfma16_kernelIDF16_hLN4vllm18Fp8KVCacheDataTypeE1EhLi16ELi128ELi256ELb0ELi1EEvPKT_PKT0_S7_ifPKiS9_S9_iPKfiiiPfSC_PS2_PT2_iSB_SB_,"axG",@progbits,_Z39paged_attention_ll4mi_QKV_mfma16_kernelIDF16_hLN4vllm18Fp8KVCacheDataTypeE1EhLi16ELi128ELi256ELb0ELi1EEvPKT_PKT0_S7_ifPKiS9_S9_iPKfiiiPfSC_PS2_PT2_iSB_SB_,comdat
	.protected	_Z39paged_attention_ll4mi_QKV_mfma16_kernelIDF16_hLN4vllm18Fp8KVCacheDataTypeE1EhLi16ELi128ELi256ELb0ELi1EEvPKT_PKT0_S7_ifPKiS9_S9_iPKfiiiPfSC_PS2_PT2_iSB_SB_ ; -- Begin function _Z39paged_attention_ll4mi_QKV_mfma16_kernelIDF16_hLN4vllm18Fp8KVCacheDataTypeE1EhLi16ELi128ELi256ELb0ELi1EEvPKT_PKT0_S7_ifPKiS9_S9_iPKfiiiPfSC_PS2_PT2_iSB_SB_
	.globl	_Z39paged_attention_ll4mi_QKV_mfma16_kernelIDF16_hLN4vllm18Fp8KVCacheDataTypeE1EhLi16ELi128ELi256ELb0ELi1EEvPKT_PKT0_S7_ifPKiS9_S9_iPKfiiiPfSC_PS2_PT2_iSB_SB_
	.p2align	8
	.type	_Z39paged_attention_ll4mi_QKV_mfma16_kernelIDF16_hLN4vllm18Fp8KVCacheDataTypeE1EhLi16ELi128ELi256ELb0ELi1EEvPKT_PKT0_S7_ifPKiS9_S9_iPKfiiiPfSC_PS2_PT2_iSB_SB_,@function
_Z39paged_attention_ll4mi_QKV_mfma16_kernelIDF16_hLN4vllm18Fp8KVCacheDataTypeE1EhLi16ELi128ELi256ELb0ELi1EEvPKT_PKT0_S7_ifPKiS9_S9_iPKfiiiPfSC_PS2_PT2_iSB_SB_: ; @_Z39paged_attention_ll4mi_QKV_mfma16_kernelIDF16_hLN4vllm18Fp8KVCacheDataTypeE1EhLi16ELi128ELi256ELb0ELi1EEvPKT_PKT0_S7_ifPKiS9_S9_iPKfiiiPfSC_PS2_PT2_iSB_SB_
; %bb.0:
	s_load_dwordx2 s[12:13], s[0:1], 0x30
	s_mov_b32 s5, s3
	s_mov_b64 s[6:7], 0
	s_waitcnt lgkmcnt(0)
	s_cmp_lg_u64 s[12:13], 0
	s_cselect_b64 s[14:15], -1, 0
	s_and_b64 vcc, exec, s[14:15]
	s_cbranch_vccz .LBB964_7
; %bb.1:
	s_add_i32 s8, s2, 1
	s_mov_b32 s9, 0
	s_lshl_b64 s[10:11], s[8:9], 2
	s_add_u32 s10, s12, s10
	s_mov_b32 s3, s9
	s_addc_u32 s11, s13, s11
	s_lshl_b64 s[8:9], s[2:3], 2
	s_add_u32 s8, s12, s8
	s_addc_u32 s9, s13, s9
	s_load_dword s16, s[10:11], 0x0
	s_load_dword s17, s[8:9], 0x0
	s_waitcnt lgkmcnt(0)
	s_sub_i32 s8, s16, s17
	s_cmp_eq_u32 s8, 1
	s_cselect_b64 s[8:9], -1, 0
	s_andn2_b64 vcc, exec, s[6:7]
	s_cbranch_vccnz .LBB964_3
.LBB964_2:
	s_mov_b32 s3, 0
	s_mov_b64 s[8:9], -1
.LBB964_3:
	s_andn2_b64 vcc, exec, s[8:9]
	s_cbranch_vccnz .LBB964_17
; %bb.4:
	s_load_dwordx2 s[6:7], s[0:1], 0x28
	s_lshl_b64 s[16:17], s[2:3], 2
	s_waitcnt lgkmcnt(0)
	s_add_u32 s6, s6, s16
	s_addc_u32 s7, s7, s17
	s_load_dword s18, s[6:7], 0x0
	s_lshl_b32 s19, s5, 8
	s_waitcnt lgkmcnt(0)
	s_cmp_ge_i32 s19, s18
	s_cbranch_scc1 .LBB964_17
; %bb.5:
	s_load_dwordx2 s[6:7], s[0:1], 0x20
	s_load_dword s8, s[0:1], 0x38
	s_add_i32 s9, s18, 15
	s_ashr_i32 s10, s9, 31
	v_and_b32_e32 v1, 0xcf, v0
	s_lshr_b32 s10, s10, 28
	v_add_u32_e32 v1, s19, v1
	s_add_i32 s9, s9, s10
	v_ashrrev_i32_e32 v2, 31, v1
	s_ashr_i32 s20, s9, 4
	v_lshrrev_b32_e32 v10, 28, v2
	s_add_i32 s20, s20, -1
	s_waitcnt lgkmcnt(0)
	s_mul_i32 s8, s2, s8
	s_mov_b32 s9, 0
	v_add_u32_e32 v2, v1, v10
	s_lshl_b64 s[8:9], s[8:9], 2
	v_ashrrev_i32_e32 v2, 4, v2
	v_mov_b32_e32 v11, s20
	v_cmp_gt_i32_e32 vcc, s18, v1
	s_add_u32 s6, s6, s8
	s_addc_u32 s7, s7, s9
	v_cndmask_b32_e32 v2, v11, v2, vcc
	v_ashrrev_i32_e32 v3, 31, v2
	v_lshl_add_u64 v[4:5], v[2:3], 2, s[6:7]
	v_or_b32_e32 v2, 16, v1
	v_add_u32_e32 v3, v2, v10
	v_ashrrev_i32_e32 v3, 4, v3
	v_cmp_gt_i32_e32 vcc, s18, v2
	s_load_dwordx4 s[8:11], s[0:1], 0x8
	s_nop 0
	v_cndmask_b32_e32 v2, v11, v3, vcc
	v_ashrrev_i32_e32 v3, 31, v2
	v_lshl_add_u64 v[6:7], v[2:3], 2, s[6:7]
	v_or_b32_e32 v2, 32, v1
	v_add_u32_e32 v3, v2, v10
	v_ashrrev_i32_e32 v3, 4, v3
	v_cmp_gt_i32_e32 vcc, s18, v2
	v_or_b32_e32 v1, 48, v1
	s_nop 0
	v_cndmask_b32_e32 v2, v11, v3, vcc
	v_ashrrev_i32_e32 v3, 31, v2
	v_lshl_add_u64 v[8:9], v[2:3], 2, s[6:7]
	v_add_u32_e32 v2, v1, v10
	v_ashrrev_i32_e32 v2, 4, v2
	v_cmp_gt_i32_e32 vcc, s18, v1
	s_nop 1
	v_cndmask_b32_e32 v2, v11, v2, vcc
	v_ashrrev_i32_e32 v3, 31, v2
	v_lshl_add_u64 v[10:11], v[2:3], 2, s[6:7]
	global_load_dword v3, v[4:5], off
	global_load_dword v2, v[6:7], off
	;; [unrolled: 1-line block ×4, first 2 shown]
	s_andn2_b64 vcc, exec, s[14:15]
	s_cbranch_vccnz .LBB964_8
; %bb.6:
	s_add_u32 s12, s12, s16
	s_addc_u32 s13, s13, s17
	s_load_dword s14, s[12:13], 0x0
	s_branch .LBB964_9
.LBB964_7:
	s_mov_b64 s[8:9], 0
	s_branch .LBB964_2
.LBB964_8:
	s_mov_b32 s14, s2
.LBB964_9:
	s_load_dwordx4 s[44:47], s[0:1], 0x48
	v_lshrrev_b32_e32 v63, 6, v0
	v_bfe_u32 v60, v0, 4, 2
	v_and_b32_e32 v61, 15, v0
	v_lshl_or_b32 v1, v63, 2, v60
	v_lshlrev_b32_e32 v4, 3, v61
	v_and_b32_e32 v64, 63, v0
	v_cmp_eq_u32_e32 vcc, 0, v1
	v_lshlrev_b32_e32 v1, 1, v4
	v_lshlrev_b32_e32 v62, 4, v0
	s_and_saveexec_b64 s[12:13], vcc
	s_cbranch_execz .LBB964_11
; %bb.10:
	s_load_dwordx2 s[16:17], s[0:1], 0x0
	s_waitcnt lgkmcnt(0)
	s_ashr_i32 s15, s44, 31
	s_mul_hi_u32 s21, s14, s44
	s_mul_i32 s15, s14, s15
	s_add_i32 s15, s21, s15
	s_mul_i32 s14, s14, s44
	s_lshl_b64 s[14:15], s[14:15], 1
	s_add_u32 s16, s16, s14
	s_addc_u32 s17, s17, s15
	s_lshl_b32 s14, s4, 7
	s_ashr_i32 s15, s14, 31
	s_lshl_b64 s[14:15], s[14:15], 1
	s_add_u32 s14, s16, s14
	s_addc_u32 s15, s17, s15
	global_load_dwordx4 v[4:7], v1, s[14:15]
	v_lshlrev_b32_e32 v8, 8, v0
	v_lshlrev_b32_e32 v9, 8, v61
	v_and_b32_e32 v8, 0x600, v8
	v_and_b32_e32 v9, 0x800, v9
	;; [unrolled: 1-line block ×3, first 2 shown]
	v_or3_b32 v8, v9, v8, v10
	s_waitcnt vmcnt(0)
	ds_write_b128 v8, v[4:7]
.LBB964_11:
	s_or_b64 exec, exec, s[12:13]
	s_waitcnt lgkmcnt(0)
	s_mul_i32 s12, s4, s46
	s_add_u32 s8, s8, s12
	s_addc_u32 s9, s9, 0
	v_and_b32_e32 v50, 0xf0, v62
	v_mov_b32_e32 v51, 0
	v_and_b32_e32 v32, 48, v0
	v_lshl_add_u64 v[26:27], s[8:9], 0, v[50:51]
	v_lshlrev_b32_e32 v50, 4, v32
	s_waitcnt vmcnt(3)
	v_mad_i64_i32 v[4:5], s[8:9], v3, s45, v[26:27]
	v_lshl_add_u64 v[6:7], v[4:5], 0, v[50:51]
	s_barrier
	global_load_dwordx4 v[38:41], v[6:7], off
	s_waitcnt vmcnt(3)
	v_mad_i64_i32 v[2:3], s[8:9], v2, s45, v[26:27]
	v_lshl_add_u64 v[28:29], v[2:3], 0, v[50:51]
	global_load_dwordx4 v[2:5], v[28:29], off
	global_load_dwordx4 v[10:13], v[6:7], off offset:1024
	v_lshlrev_b32_e32 v6, 9, v60
	s_load_dword s8, s[0:1], 0x1c
	s_load_dwordx4 s[40:43], s[0:1], 0x80
	ds_read_b128 v[22:25], v6
	ds_read_b128 v[18:21], v6 offset:16
	ds_read_b128 v[14:17], v6 offset:2048
	ds_read_b128 v[6:9], v6 offset:2064
	global_load_dwordx4 v[46:49], v[28:29], off offset:1024
	v_or_b32_e32 v32, s19, v32
	v_mov_b32_e32 v36, s20
	v_ashrrev_i32_e32 v33, 4, v32
	v_or_b32_e32 v37, 64, v32
	v_cmp_gt_i32_e32 vcc, s18, v32
	v_or_b32_e32 v43, 0x80, v32
	v_or_b32_e32 v44, 0xc0, v32
	v_cndmask_b32_e32 v32, v36, v33, vcc
	v_ashrrev_i32_e32 v42, 4, v37
	v_cmp_gt_i32_e32 vcc, s18, v37
	v_ashrrev_i32_e32 v45, 4, v43
	s_add_u32 s46, s10, s12
	s_waitcnt vmcnt(5)
	v_mad_i64_i32 v[34:35], s[12:13], v30, s45, v[26:27]
	v_cndmask_b32_e32 v42, v36, v42, vcc
	v_cmp_gt_i32_e32 vcc, s18, v43
	v_ashrrev_i32_e32 v52, 4, v44
	s_waitcnt vmcnt(4)
	v_mad_i64_i32 v[26:27], s[12:13], v31, s45, v[26:27]
	v_cndmask_b32_e32 v56, v36, v45, vcc
	v_cmp_gt_i32_e32 vcc, s18, v44
	v_lshl_add_u64 v[28:29], v[34:35], 0, v[50:51]
	v_lshl_add_u64 v[30:31], v[26:27], 0, v[50:51]
	v_cndmask_b32_e32 v52, v36, v52, vcc
	global_load_dwordx4 v[34:37], v[28:29], off
	s_nop 0
	global_load_dwordx4 v[26:29], v[28:29], off offset:1024
	v_ashrrev_i32_e32 v33, 31, v32
	v_lshl_add_u64 v[54:55], v[32:33], 2, s[6:7]
	v_ashrrev_i32_e32 v43, 31, v42
	v_ashrrev_i32_e32 v57, 31, v56
	;; [unrolled: 1-line block ×3, first 2 shown]
	v_lshl_add_u64 v[58:59], v[42:43], 2, s[6:7]
	global_load_dwordx4 v[42:45], v[30:31], off
	s_nop 0
	global_load_dwordx4 v[30:33], v[30:31], off offset:1024
	v_lshl_add_u64 v[66:67], v[56:57], 2, s[6:7]
	v_lshl_add_u64 v[52:53], v[52:53], 2, s[6:7]
	global_load_dword v56, v[54:55], off
	global_load_dword v57, v[58:59], off
	s_nop 0
	global_load_dword v54, v[66:67], off
	global_load_dword v55, v[52:53], off
	v_lshl_or_b32 v65, v63, 4, v61
	s_addc_u32 s47, s11, 0
	v_lshlrev_b32_e32 v50, 4, v65
	s_mov_b32 s33, 0xff7fffff
	s_waitcnt vmcnt(11)
	v_cvt_pk_f32_fp8_e32 v[52:53], v38
	v_cvt_pk_f32_fp8_sdwa v[58:59], v38 src0_sel:WORD_1
	v_cvt_pk_f32_fp8_e32 v[66:67], v39
	v_cvt_pk_f32_fp8_sdwa v[68:69], v39 src0_sel:WORD_1
	;; [unrolled: 2-line block ×4, first 2 shown]
	s_waitcnt vmcnt(10)
	v_cvt_pk_f32_fp8_e32 v[38:39], v2
	v_cvt_pk_f32_fp8_sdwa v[40:41], v2 src0_sel:WORD_1
	v_cvt_pkrtz_f16_f32 v52, v52, v53
	v_cvt_pkrtz_f16_f32 v53, v58, v59
	;; [unrolled: 1-line block ×4, first 2 shown]
	v_cvt_pk_f32_fp8_e32 v[78:79], v3
	v_cvt_pk_f32_fp8_sdwa v[2:3], v3 src0_sel:WORD_1
	v_cvt_pkrtz_f16_f32 v82, v66, v67
	v_cvt_pkrtz_f16_f32 v83, v68, v69
	s_waitcnt lgkmcnt(0)
	v_mfma_f32_16x16x16_f16 v[38:41], v[52:53], v[22:23], 0
	s_waitcnt vmcnt(9)
	v_cvt_pk_f32_fp8_e32 v[58:59], v10
	v_cvt_pk_f32_fp8_sdwa v[52:53], v10 src0_sel:WORD_1
	v_cvt_pkrtz_f16_f32 v78, v78, v79
	v_mfma_f32_16x16x16_f16 v[66:69], v[80:81], v[22:23], 0
	v_cvt_pk_f32_fp8_e32 v[80:81], v11
	v_cvt_pkrtz_f16_f32 v79, v2, v3
	v_cvt_pk_f32_fp8_sdwa v[2:3], v11 src0_sel:WORD_1
	v_cvt_pkrtz_f16_f32 v10, v70, v71
	v_cvt_pkrtz_f16_f32 v11, v72, v73
	v_mfma_f32_16x16x16_f16 v[38:41], v[82:83], v[24:25], v[38:41]
	v_cvt_pkrtz_f16_f32 v72, v74, v75
	v_cvt_pkrtz_f16_f32 v73, v76, v77
	v_cvt_pkrtz_f16_f32 v58, v58, v59
	v_mfma_f32_16x16x16_f16 v[38:41], v[10:11], v[18:19], v[38:41]
	v_cvt_pkrtz_f16_f32 v59, v52, v53
	v_cvt_pk_f32_fp8_e32 v[70:71], v12
	v_cvt_pk_f32_fp8_sdwa v[10:11], v12 src0_sel:WORD_1
	v_mfma_f32_16x16x16_f16 v[38:41], v[72:73], v[20:21], v[38:41]
	v_cvt_pkrtz_f16_f32 v72, v80, v81
	v_cvt_pkrtz_f16_f32 v73, v2, v3
	v_cvt_pk_f32_fp8_sdwa v[2:3], v13 src0_sel:WORD_1
	v_mfma_f32_16x16x16_f16 v[38:41], v[58:59], v[14:15], v[38:41]
	v_cvt_pk_f32_fp8_e32 v[52:53], v13
	v_cvt_pkrtz_f16_f32 v58, v70, v71
	v_cvt_pkrtz_f16_f32 v59, v10, v11
	v_mfma_f32_16x16x16_f16 v[10:13], v[72:73], v[16:17], v[38:41]
	s_waitcnt vmcnt(7)
	v_cvt_pk_f32_fp8_sdwa v[72:73], v36 src0_sel:WORD_1
	s_waitcnt vmcnt(5)
	v_cvt_pk_f32_fp8_sdwa v[74:75], v44 src0_sel:WORD_1
	v_cvt_pk_f32_fp8_e32 v[38:39], v4
	v_cvt_pkrtz_f16_f32 v41, v2, v3
	v_cvt_pk_f32_fp8_sdwa v[2:3], v4 src0_sel:WORD_1
	v_cvt_pkrtz_f16_f32 v40, v52, v53
	v_mfma_f32_16x16x16_f16 v[10:13], v[58:59], v[6:7], v[10:13]
	v_cvt_pk_f32_fp8_e32 v[52:53], v5
	v_cvt_pkrtz_f16_f32 v58, v38, v39
	v_cvt_pkrtz_f16_f32 v59, v2, v3
	v_cvt_pk_f32_fp8_sdwa v[2:3], v5 src0_sel:WORD_1
	v_mfma_f32_16x16x16_f16 v[66:69], v[78:79], v[24:25], v[66:69]
	v_mfma_f32_16x16x16_f16 v[38:41], v[40:41], v[8:9], v[10:13]
	s_nop 2
	v_cvt_pkrtz_f16_f32 v10, v52, v53
	v_cvt_pk_f32_fp8_e32 v[12:13], v46
	v_cvt_pk_f32_fp8_sdwa v[52:53], v46 src0_sel:WORD_1
	v_cvt_pkrtz_f16_f32 v11, v2, v3
	v_mfma_f32_16x16x16_f16 v[2:5], v[58:59], v[18:19], v[66:69]
	v_cvt_pkrtz_f16_f32 v12, v12, v13
	v_cvt_pkrtz_f16_f32 v13, v52, v53
	v_cvt_pk_f32_fp8_e32 v[52:53], v47
	v_cvt_pk_f32_fp8_sdwa v[46:47], v47 src0_sel:WORD_1
	v_mfma_f32_16x16x16_f16 v[2:5], v[10:11], v[20:21], v[2:5]
	v_cvt_pk_f32_fp8_sdwa v[66:67], v34 src0_sel:WORD_1
	v_cvt_pkrtz_f16_f32 v10, v52, v53
	v_cvt_pkrtz_f16_f32 v11, v46, v47
	v_mfma_f32_16x16x16_f16 v[2:5], v[12:13], v[14:15], v[2:5]
	v_cvt_pk_f32_fp8_e32 v[12:13], v48
	v_cvt_pk_f32_fp8_sdwa v[46:47], v48 src0_sel:WORD_1
	v_cvt_pkrtz_f16_f32 v71, v66, v67
	v_mfma_f32_16x16x16_f16 v[2:5], v[10:11], v[16:17], v[2:5]
	v_cvt_pkrtz_f16_f32 v10, v12, v13
	v_cvt_pkrtz_f16_f32 v11, v46, v47
	v_cvt_pk_f32_fp8_e32 v[12:13], v49
	v_cvt_pk_f32_fp8_sdwa v[46:47], v49 src0_sel:WORD_1
	v_mfma_f32_16x16x16_f16 v[2:5], v[10:11], v[6:7], v[2:5]
	v_cvt_pk_f32_fp8_e32 v[10:11], v34
	v_cvt_pkrtz_f16_f32 v12, v12, v13
	v_cvt_pkrtz_f16_f32 v13, v46, v47
	v_cvt_pk_f32_fp8_e32 v[66:67], v35
	v_cvt_pkrtz_f16_f32 v70, v10, v11
	v_cvt_pk_f32_fp8_sdwa v[34:35], v35 src0_sel:WORD_1
	v_lshl_add_u64 v[52:53], s[46:47], 0, v[50:51]
	s_waitcnt vmcnt(3)
	v_mad_i64_i32 v[58:59], s[6:7], v56, s45, v[52:53]
	s_waitcnt vmcnt(2)
	v_mad_i64_i32 v[68:69], s[6:7], v57, s45, v[52:53]
	v_mfma_f32_16x16x16_f16 v[46:49], v[12:13], v[8:9], v[2:5]
	global_load_dwordx4 v[10:13], v[58:59], off
	s_nop 1
	global_load_dwordx4 v[2:5], v[68:69], off
	v_cvt_pkrtz_f16_f32 v58, v66, v67
	v_cvt_pkrtz_f16_f32 v59, v34, v35
	v_mfma_f32_16x16x16_f16 v[66:69], v[70:71], v[22:23], 0
	v_cvt_pk_f32_fp8_e32 v[70:71], v36
	s_waitcnt vmcnt(3)
	v_mad_i64_i32 v[34:35], s[6:7], v54, s45, v[52:53]
	v_mfma_f32_16x16x16_f16 v[66:69], v[58:59], v[24:25], v[66:69]
	v_cvt_pkrtz_f16_f32 v58, v70, v71
	v_cvt_pkrtz_f16_f32 v59, v72, v73
	v_cvt_pk_f32_fp8_e32 v[70:71], v37
	v_cvt_pk_f32_fp8_sdwa v[36:37], v37 src0_sel:WORD_1
	v_mfma_f32_16x16x16_f16 v[66:69], v[58:59], v[18:19], v[66:69]
	v_cvt_pkrtz_f16_f32 v70, v70, v71
	v_cvt_pkrtz_f16_f32 v71, v36, v37
	v_cvt_pk_f32_fp8_e32 v[36:37], v26
	v_cvt_pk_f32_fp8_sdwa v[58:59], v26 src0_sel:WORD_1
	v_mfma_f32_16x16x16_f16 v[66:69], v[70:71], v[20:21], v[66:69]
	v_cvt_pk_f32_fp8_e32 v[70:71], v27
	v_cvt_pkrtz_f16_f32 v36, v36, v37
	v_cvt_pkrtz_f16_f32 v37, v58, v59
	v_cvt_pk_f32_fp8_sdwa v[26:27], v27 src0_sel:WORD_1
	v_cvt_pkrtz_f16_f32 v58, v70, v71
	v_cvt_pk_f32_fp8_e32 v[70:71], v28
	v_cvt_pk_f32_fp8_sdwa v[72:73], v28 src0_sel:WORD_1
	v_cvt_pkrtz_f16_f32 v59, v26, v27
	v_mfma_f32_16x16x16_f16 v[66:69], v[36:37], v[14:15], v[66:69]
	s_waitcnt vmcnt(2)
	v_mad_i64_i32 v[52:53], s[6:7], v55, s45, v[52:53]
	s_load_dword s6, s[40:41], 0x0
	v_cvt_pkrtz_f16_f32 v36, v70, v71
	v_cvt_pkrtz_f16_f32 v37, v72, v73
	v_cvt_pk_f32_fp8_e32 v[70:71], v29
	v_cvt_pk_f32_fp8_sdwa v[72:73], v29 src0_sel:WORD_1
	v_mfma_f32_16x16x16_f16 v[26:29], v[58:59], v[16:17], v[66:69]
	v_or_b32_e32 v50, 0x400, v50
	v_cvt_pkrtz_f16_f32 v58, v70, v71
	v_cvt_pkrtz_f16_f32 v59, v72, v73
	v_mov_b32_e32 v66, s8
	v_mfma_f32_16x16x16_f16 v[26:29], v[36:37], v[6:7], v[26:29]
	s_waitcnt lgkmcnt(0)
	v_mul_f32_e32 v70, s6, v66
	v_cvt_pk_f32_fp8_e32 v[36:37], v42
	v_cvt_pk_f32_fp8_sdwa v[66:67], v42 src0_sel:WORD_1
	v_mfma_f32_16x16x16_f16 v[26:29], v[58:59], v[8:9], v[26:29]
	v_cvt_pk_f32_fp8_e32 v[58:59], v43
	v_cvt_pkrtz_f16_f32 v36, v36, v37
	v_cvt_pkrtz_f16_f32 v37, v66, v67
	v_cvt_pk_f32_fp8_sdwa v[42:43], v43 src0_sel:WORD_1
	v_cvt_pkrtz_f16_f32 v58, v58, v59
	v_cvt_pk_f32_fp8_e32 v[72:73], v44
	v_mfma_f32_16x16x16_f16 v[66:69], v[36:37], v[22:23], 0
	v_cvt_pkrtz_f16_f32 v59, v42, v43
	v_cvt_pkrtz_f16_f32 v36, v72, v73
	;; [unrolled: 1-line block ×3, first 2 shown]
	v_cvt_pk_f32_fp8_e32 v[72:73], v45
	v_cvt_pk_f32_fp8_sdwa v[74:75], v45 src0_sel:WORD_1
	v_mfma_f32_16x16x16_f16 v[42:45], v[58:59], v[24:25], v[66:69]
	v_pk_mul_f32 v[22:23], v[70:71], v[40:41] op_sel_hi:[0,1]
	v_cvt_pkrtz_f16_f32 v24, v72, v73
	v_cvt_pkrtz_f16_f32 v25, v74, v75
	v_mfma_f32_16x16x16_f16 v[40:43], v[36:37], v[18:19], v[42:45]
	v_cvt_pk_f32_fp8_sdwa v[58:59], v30 src0_sel:WORD_1
	v_pk_mul_f32 v[18:19], v[70:71], v[38:39] op_sel_hi:[0,1]
	v_pk_mul_f32 v[46:47], v[70:71], v[46:47] op_sel_hi:[0,1]
	v_cvt_pk_f32_fp8_e32 v[44:45], v30
	v_mfma_f32_16x16x16_f16 v[36:39], v[24:25], v[20:21], v[40:43]
	v_cvt_pk_f32_fp8_e32 v[20:21], v31
	v_cvt_pkrtz_f16_f32 v25, v58, v59
	v_cvt_pkrtz_f16_f32 v24, v44, v45
	v_cvt_pk_f32_fp8_sdwa v[30:31], v31 src0_sel:WORD_1
	v_cvt_pkrtz_f16_f32 v20, v20, v21
	v_cvt_pk_f32_fp8_e32 v[40:41], v32
	v_cvt_pk_f32_fp8_sdwa v[42:43], v32 src0_sel:WORD_1
	v_cvt_pkrtz_f16_f32 v21, v30, v31
	v_mfma_f32_16x16x16_f16 v[36:39], v[24:25], v[14:15], v[36:39]
	v_cvt_pkrtz_f16_f32 v24, v40, v41
	v_cvt_pkrtz_f16_f32 v25, v42, v43
	v_cvt_pk_f32_fp8_e32 v[30:31], v33
	v_cvt_pk_f32_fp8_sdwa v[32:33], v33 src0_sel:WORD_1
	v_mfma_f32_16x16x16_f16 v[14:17], v[20:21], v[16:17], v[36:39]
	v_pk_mul_f32 v[44:45], v[70:71], v[48:49] op_sel_hi:[0,1]
	v_cvt_pkrtz_f16_f32 v20, v30, v31
	v_cvt_pkrtz_f16_f32 v21, v32, v33
	v_mfma_f32_16x16x16_f16 v[14:17], v[24:25], v[6:7], v[14:17]
	v_pk_mul_f32 v[42:43], v[70:71], v[26:27] op_sel_hi:[0,1]
	v_pk_mul_f32 v[40:41], v[70:71], v[28:29] op_sel_hi:[0,1]
	global_load_dwordx4 v[30:33], v[34:35], off
	global_load_dwordx4 v[26:29], v[52:53], off
	v_mfma_f32_16x16x16_f16 v[6:9], v[20:21], v[8:9], v[14:17]
	s_nop 6
	v_pk_mul_f32 v[38:39], v[70:71], v[6:7] op_sel_hi:[0,1]
	v_and_b32_e32 v6, 0xc0, v0
	v_add_u32_e32 v6, s19, v6
	v_lshl_or_b32 v6, v60, 2, v6
	v_pk_mul_f32 v[36:37], v[70:71], v[8:9] op_sel_hi:[0,1]
	v_or_b32_e32 v9, 1, v6
	v_mov_b32_e32 v7, 0xff7fffff
	v_cmp_gt_i32_e64 s[36:37], s18, v6
	v_cmp_gt_i32_e64 s[20:21], s18, v9
	v_or_b32_e32 v14, 3, v6
	v_cndmask_b32_e64 v8, v7, v18, s[36:37]
	v_cndmask_b32_e64 v9, v7, v19, s[20:21]
	v_max3_f32 v8, v8, s33, v9
	v_or_b32_e32 v9, 2, v6
	v_cmp_gt_i32_e64 s[26:27], s18, v9
	v_cmp_gt_i32_e64 s[30:31], s18, v14
	s_nop 0
	v_cndmask_b32_e64 v9, v7, v22, s[26:27]
	v_cndmask_b32_e64 v14, v7, v23, s[30:31]
	v_max3_f32 v8, v8, v9, v14
	v_or_b32_e32 v9, 16, v6
	v_or_b32_e32 v14, 17, v6
	v_cmp_gt_i32_e64 s[8:9], s18, v9
	v_cmp_gt_i32_e64 s[14:15], s18, v14
	s_nop 0
	v_cndmask_b32_e64 v9, v7, v46, s[8:9]
	v_cndmask_b32_e64 v14, v7, v47, s[14:15]
	v_max3_f32 v8, v8, v9, v14
	v_or_b32_e32 v9, 18, v6
	;; [unrolled: 8-line block ×5, first 2 shown]
	v_or_b32_e32 v14, 49, v6
	v_cmp_gt_i32_e32 vcc, s18, v9
	v_cmp_gt_i32_e64 s[6:7], s18, v14
	s_nop 0
	v_cndmask_b32_e32 v9, v7, v38, vcc
	v_cndmask_b32_e64 v14, v7, v39, s[6:7]
	v_max3_f32 v8, v8, v9, v14
	v_or_b32_e32 v9, 50, v6
	v_or_b32_e32 v6, 51, v6
	v_cmp_gt_i32_e64 s[12:13], s18, v9
	v_cmp_gt_i32_e64 s[18:19], s18, v6
	v_lshl_add_u64 v[14:15], s[46:47], 0, v[50:51]
	v_cndmask_b32_e64 v9, v7, v36, s[12:13]
	v_cndmask_b32_e64 v6, v7, v37, s[18:19]
	v_mbcnt_lo_u32_b32 v7, -1, 0
	v_mbcnt_hi_u32_b32 v7, -1, v7
	v_max3_f32 v6, v8, v9, v6
	v_and_b32_e32 v8, 64, v7
	v_add_u32_e32 v8, 64, v8
	v_xor_b32_e32 v9, 32, v7
	v_cmp_lt_i32_e64 s[38:39], v9, v8
	s_nop 1
	v_cndmask_b32_e64 v9, v7, v9, s[38:39]
	v_lshlrev_b32_e32 v58, 2, v9
	ds_bpermute_b32 v9, v58, v6
	s_waitcnt lgkmcnt(0)
	v_max_f32_e32 v9, v9, v9
	v_max_f32_e32 v16, v6, v9
	v_xor_b32_e32 v6, 16, v7
	v_cmp_lt_i32_e64 s[38:39], v6, v8
	s_nop 1
	v_cndmask_b32_e64 v6, v7, v6, s[38:39]
	v_lshlrev_b32_e32 v53, 2, v6
	ds_bpermute_b32 v17, v53, v16
	v_mad_i64_i32 v[6:7], s[38:39], v56, s45, v[14:15]
	v_mad_i64_i32 v[8:9], s[38:39], v57, s45, v[14:15]
	s_waitcnt lgkmcnt(0)
	v_max_f32_e32 v17, v17, v17
	v_max_f32_e32 v50, v16, v17
	v_sub_f32_e32 v16, v18, v50
	v_mul_f32_e32 v16, 0x3fb8aa3b, v16
	v_exp_f32_e32 v16, v16
	v_sub_f32_e32 v17, v19, v50
	v_mul_f32_e32 v17, 0x3fb8aa3b, v17
	v_exp_f32_e32 v35, v17
	v_cndmask_b32_e64 v34, 0, v16, s[36:37]
	v_sub_f32_e32 v16, v22, v50
	v_mul_f32_e32 v16, 0x3fb8aa3b, v16
	v_exp_f32_e32 v48, v16
	v_sub_f32_e32 v16, v23, v50
	v_mul_f32_e32 v16, 0x3fb8aa3b, v16
	v_exp_f32_e32 v49, v16
	v_mad_i64_i32 v[16:17], s[36:37], v54, s45, v[14:15]
	v_mad_i64_i32 v[14:15], s[36:37], v55, s45, v[14:15]
	global_load_dwordx4 v[18:21], v[6:7], off
	s_nop 0
	global_load_dwordx4 v[6:9], v[8:9], off
	s_nop 0
	;; [unrolled: 2-line block ×3, first 2 shown]
	global_load_dwordx4 v[14:17], v[14:15], off
	v_sub_f32_e32 v46, v46, v50
	v_sub_f32_e32 v44, v44, v50
	v_mul_f32_e32 v46, 0x3fb8aa3b, v46
	v_mul_f32_e32 v44, 0x3fb8aa3b, v44
	v_exp_f32_e32 v46, v46
	v_exp_f32_e32 v52, v44
	v_sub_f32_e32 v47, v47, v50
	v_sub_f32_e32 v44, v45, v50
	;; [unrolled: 1-line block ×4, first 2 shown]
	v_mul_f32_e32 v47, 0x3fb8aa3b, v47
	v_mul_f32_e32 v44, 0x3fb8aa3b, v44
	;; [unrolled: 1-line block ×4, first 2 shown]
	v_exp_f32_e32 v47, v47
	v_exp_f32_e32 v54, v44
	v_cndmask_b32_e64 v44, 0, v46, s[8:9]
	v_cndmask_b32_e64 v46, 0, v52, s[22:23]
	v_exp_f32_e32 v42, v42
	v_exp_f32_e32 v52, v40
	v_sub_f32_e32 v43, v43, v50
	v_sub_f32_e32 v40, v41, v50
	;; [unrolled: 1-line block ×4, first 2 shown]
	v_mul_f32_e32 v43, 0x3fb8aa3b, v43
	v_mul_f32_e32 v40, 0x3fb8aa3b, v40
	;; [unrolled: 1-line block ×4, first 2 shown]
	v_cndmask_b32_e64 v45, 0, v47, s[14:15]
	v_cndmask_b32_e64 v47, 0, v54, s[28:29]
	v_exp_f32_e32 v43, v43
	v_exp_f32_e32 v54, v40
	v_cndmask_b32_e64 v40, 0, v42, s[34:35]
	v_cndmask_b32_e64 v42, 0, v52, s[16:17]
	v_exp_f32_e32 v38, v38
	v_exp_f32_e32 v52, v36
	v_sub_f32_e32 v36, v37, v50
	v_mul_f32_e32 v36, 0x3fb8aa3b, v36
	v_cndmask_b32_e64 v35, 0, v35, s[20:21]
	v_cndmask_b32_e64 v41, 0, v43, s[10:11]
	;; [unrolled: 1-line block ×3, first 2 shown]
	v_exp_f32_e32 v54, v36
	v_cndmask_b32_e32 v36, 0, v38, vcc
	v_cndmask_b32_e64 v38, 0, v52, s[12:13]
	v_add_f32_e32 v52, 0, v34
	v_cndmask_b32_e64 v48, 0, v48, s[26:27]
	v_add_f32_e32 v52, v52, v35
	;; [unrolled: 2-line block ×3, first 2 shown]
	v_add_f32_e32 v52, v52, v49
	v_add_f32_e32 v52, v52, v44
	;; [unrolled: 1-line block ×3, first 2 shown]
	v_sub_f32_e32 v39, v39, v50
	v_add_f32_e32 v52, v52, v46
	v_mul_f32_e32 v39, 0x3fb8aa3b, v39
	v_add_f32_e32 v52, v52, v47
	v_exp_f32_e32 v39, v39
	v_add_f32_e32 v52, v52, v40
	v_add_f32_e32 v52, v52, v41
	;; [unrolled: 1-line block ×4, first 2 shown]
	v_cndmask_b32_e64 v37, 0, v39, s[6:7]
	v_add_f32_e32 v52, v52, v36
	v_add_f32_e32 v52, v52, v37
	v_cndmask_b32_e64 v39, 0, v54, s[18:19]
	v_add_f32_e32 v52, v52, v38
	v_add_f32_e32 v52, v52, v39
	ds_bpermute_b32 v54, v58, v52
	v_cmp_lt_u32_e64 s[6:7], 15, v64
	v_cmp_gt_u32_e32 vcc, 16, v64
	s_waitcnt lgkmcnt(0)
	s_barrier
	v_add_f32_e32 v52, v52, v54
	ds_bpermute_b32 v53, v53, v52
	s_waitcnt lgkmcnt(0)
	s_and_saveexec_b64 s[8:9], vcc
	s_cbranch_execz .LBB964_13
; %bb.12:
	v_add_f32_e32 v52, v52, v53
	v_lshlrev_b32_e32 v53, 2, v65
	ds_write2st64_b32 v53, v50, v52 offset1:1
.LBB964_13:
	s_or_b64 exec, exec, s[8:9]
	v_lshlrev_b32_e32 v58, 2, v61
	s_load_dwordx2 s[8:9], s[0:1], 0x94
	s_waitcnt lgkmcnt(0)
	s_barrier
	ds_read2_b32 v[52:53], v58 offset1:16
	ds_read2_b32 v[54:55], v58 offset0:32 offset1:48
	ds_read2_b32 v[56:57], v58 offset0:64 offset1:80
	;; [unrolled: 1-line block ×3, first 2 shown]
	s_waitcnt lgkmcnt(0)
	v_max3_f32 v50, v52, s33, v53
	v_max3_f32 v50, v50, v54, v55
	v_sub_f32_e32 v52, v52, v50
	v_mul_f32_e32 v52, 0x3fb8aa3b, v52
	v_exp_f32_e32 v64, v52
	v_sub_f32_e32 v52, v53, v50
	v_mul_f32_e32 v52, 0x3fb8aa3b, v52
	v_exp_f32_e32 v53, v52
	;; [unrolled: 3-line block ×4, first 2 shown]
	v_fma_f32 v52, v64, v56, 0
	v_fmac_f32_e32 v52, v53, v57
	v_fmac_f32_e32 v52, v54, v58
	;; [unrolled: 1-line block ×3, first 2 shown]
	v_add_f32_e32 v56, 0x358637bd, v52
	v_div_scale_f32 v57, s[10:11], v56, v56, 1.0
	v_rcp_f32_e32 v58, v57
	s_barrier
	v_fma_f32 v59, -v57, v58, 1.0
	v_fmac_f32_e32 v58, v59, v58
	v_div_scale_f32 v59, vcc, 1.0, v56, 1.0
	v_mul_f32_e32 v65, v59, v58
	v_fma_f32 v66, -v57, v65, v59
	v_fmac_f32_e32 v65, v66, v58
	v_fma_f32 v57, -v57, v65, v59
	v_div_fmas_f32 v57, v57, v58, v65
	v_cmp_eq_u32_e32 vcc, 1, v63
	v_div_fixup_f32 v56, v57, v56, 1.0
	s_nop 0
	v_cndmask_b32_e32 v53, v64, v53, vcc
	v_cmp_eq_u32_e32 vcc, 2, v63
	s_nop 1
	v_cndmask_b32_e32 v53, v53, v54, vcc
	v_cmp_eq_u32_e32 vcc, 3, v63
	s_nop 1
	v_cndmask_b32_e32 v53, v53, v55, vcc
	v_mul_f32_e32 v56, v53, v56
	v_pk_mul_f32 v[48:49], v[56:57], v[48:49] op_sel_hi:[0,1]
	v_pk_mul_f32 v[34:35], v[56:57], v[34:35] op_sel_hi:[0,1]
	v_cvt_f16_f32_e32 v34, v34
	v_cvt_f16_f32_e32 v35, v35
	;; [unrolled: 1-line block ×4, first 2 shown]
	v_pk_mul_f32 v[46:47], v[56:57], v[46:47] op_sel_hi:[0,1]
	v_pk_mul_f32 v[44:45], v[56:57], v[44:45] op_sel_hi:[0,1]
	v_cvt_f16_f32_e32 v44, v44
	v_cvt_f16_f32_e32 v45, v45
	;; [unrolled: 1-line block ×4, first 2 shown]
	v_pack_b32_f16 v48, v34, v35
	v_pack_b32_f16 v49, v53, v49
	v_lshlrev_b32_e32 v35, 3, v60
	v_lshlrev_b32_e32 v34, 5, v61
	;; [unrolled: 1-line block ×3, first 2 shown]
	v_or3_b32 v54, v53, v34, v35
	v_pack_b32_f16 v44, v44, v45
	v_pack_b32_f16 v45, v46, v47
	v_pk_mul_f32 v[42:43], v[56:57], v[42:43] op_sel_hi:[0,1]
	v_pk_mul_f32 v[40:41], v[56:57], v[40:41] op_sel_hi:[0,1]
	;; [unrolled: 1-line block ×4, first 2 shown]
	ds_write2st64_b64 v54, v[48:49], v[44:45] offset1:1
	v_cvt_f16_f32_e32 v35, v40
	v_cvt_f16_f32_e32 v40, v41
	;; [unrolled: 1-line block ×8, first 2 shown]
	v_pack_b32_f16 v36, v35, v40
	v_pack_b32_f16 v37, v41, v42
	;; [unrolled: 1-line block ×4, first 2 shown]
	v_cmp_eq_u32_e32 vcc, 0, v0
	ds_write2st64_b64 v54, v[36:37], v[38:39] offset0:2 offset1:3
	s_and_saveexec_b64 s[10:11], vcc
	s_cbranch_execz .LBB964_15
; %bb.14:
	s_mul_i32 s3, s3, s9
	s_mul_hi_u32 s16, s2, s9
	s_add_i32 s16, s16, s3
	s_mul_i32 s3, s2, s9
	s_add_u32 s3, s3, s4
	s_addc_u32 s16, s16, 0
	s_load_dwordx4 s[12:15], s[0:1], 0x58
	s_mul_i32 s16, s16, s8
	s_mul_hi_u32 s17, s3, s8
	s_add_i32 s17, s17, s16
	s_mul_i32 s3, s3, s8
	s_add_u32 s16, s3, s5
	s_addc_u32 s17, s17, 0
	s_lshl_b64 s[16:17], s[16:17], 2
	s_waitcnt lgkmcnt(0)
	s_add_u32 s14, s14, s16
	s_addc_u32 s15, s15, s17
	s_add_u32 s12, s12, s16
	s_addc_u32 s13, s13, s17
	global_store_dword v51, v50, s[14:15]
	global_store_dword v51, v52, s[12:13]
.LBB964_15:
	s_or_b64 exec, exec, s[10:11]
	s_waitcnt vmcnt(7)
	v_cvt_pk_f32_fp8_e32 v[36:37], v10
	v_lshl_or_b32 v50, v60, 9, v34
	v_cvt_pk_f32_fp8_sdwa v[34:35], v10 src0_sel:WORD_1
	s_waitcnt lgkmcnt(0)
	s_barrier
	v_cvt_pk_f32_fp8_e32 v[38:39], v11
	v_cvt_pkrtz_f16_f32 v10, v36, v37
	v_cvt_pk_f32_fp8_sdwa v[40:41], v11 src0_sel:WORD_1
	v_cvt_pkrtz_f16_f32 v11, v34, v35
	ds_read_b128 v[34:37], v50
	v_cvt_pkrtz_f16_f32 v46, v38, v39
	v_cvt_pkrtz_f16_f32 v47, v40, v41
	ds_read_b128 v[38:41], v50 offset:16
	v_cvt_pk_f32_fp8_e32 v[48:49], v12
	v_cvt_pk_f32_fp8_sdwa v[52:53], v12 src0_sel:WORD_1
	s_waitcnt lgkmcnt(1)
	v_mfma_f32_16x16x16_f16 v[42:45], v[10:11], v[34:35], 0
	s_waitcnt vmcnt(6)
	v_cvt_pk_f32_fp8_e32 v[56:57], v4
	v_cvt_pkrtz_f16_f32 v10, v48, v49
	v_cvt_pkrtz_f16_f32 v11, v52, v53
	v_cvt_pk_f32_fp8_e32 v[48:49], v13
	v_mfma_f32_16x16x16_f16 v[42:45], v[46:47], v[36:37], v[42:45]
	v_cvt_pk_f32_fp8_sdwa v[46:47], v13 src0_sel:WORD_1
	v_cvt_pk_f32_fp8_sdwa v[58:59], v4 src0_sel:WORD_1
	v_cvt_pkrtz_f16_f32 v48, v48, v49
	s_waitcnt lgkmcnt(0)
	v_mfma_f32_16x16x16_f16 v[10:13], v[10:11], v[38:39], v[42:45]
	v_cvt_pkrtz_f16_f32 v49, v46, v47
	s_waitcnt vmcnt(5)
	v_cvt_pk_f32_fp8_e32 v[64:65], v32
	v_cvt_pk_f32_fp8_sdwa v[66:67], v32 src0_sel:WORD_1
	v_cvt_pk_f32_fp8_e32 v[42:43], v2
	v_mfma_f32_16x16x16_f16 v[46:49], v[48:49], v[40:41], v[10:13]
	s_waitcnt vmcnt(4)
	v_cvt_pk_f32_fp8_sdwa v[68:69], v28 src0_sel:WORD_1
	s_load_dword s10, s[42:43], 0x0
	v_cvt_pk_f32_fp8_sdwa v[10:11], v2 src0_sel:WORD_1
	v_cvt_pk_f32_fp8_e32 v[12:13], v3
	v_cvt_pkrtz_f16_f32 v2, v42, v43
	v_cvt_pk_f32_fp8_sdwa v[42:43], v3 src0_sel:WORD_1
	v_cvt_pkrtz_f16_f32 v3, v10, v11
	v_cvt_pkrtz_f16_f32 v52, v12, v13
	ds_read_b128 v[10:13], v50 offset:2048
	v_cvt_pkrtz_f16_f32 v53, v42, v43
	ds_read_b128 v[42:45], v50 offset:2064
	s_waitcnt lgkmcnt(0)
	v_mfma_f32_16x16x16_f16 v[46:49], v[2:3], v[10:11], v[46:49]
	v_cvt_pkrtz_f16_f32 v2, v56, v57
	v_cvt_pkrtz_f16_f32 v3, v58, v59
	v_cvt_pk_f32_fp8_e32 v[56:57], v5
	v_mfma_f32_16x16x16_f16 v[46:49], v[52:53], v[12:13], v[46:49]
	v_cvt_pk_f32_fp8_sdwa v[52:53], v5 src0_sel:WORD_1
	v_cmp_gt_u32_e32 vcc, 64, v0
	v_cvt_pkrtz_f16_f32 v56, v56, v57
	v_mfma_f32_16x16x16_f16 v[2:5], v[2:3], v[42:43], v[46:49]
	v_cvt_pkrtz_f16_f32 v57, v52, v53
	s_xor_b64 s[6:7], s[6:7], -1
	s_mov_b32 s3, 0
	v_cvt_pk_f32_fp8_e32 v[46:47], v30
	v_mfma_f32_16x16x16_f16 v[56:59], v[56:57], v[44:45], v[2:5]
	s_and_b64 s[6:7], vcc, s[6:7]
	s_nop 1
	v_cvt_pk_f32_fp8_sdwa v[2:3], v30 src0_sel:WORD_1
	v_cvt_pk_f32_fp8_e32 v[4:5], v31
	v_cvt_pkrtz_f16_f32 v30, v46, v47
	v_cvt_pk_f32_fp8_sdwa v[46:47], v31 src0_sel:WORD_1
	v_cvt_pkrtz_f16_f32 v31, v2, v3
	v_cvt_pkrtz_f16_f32 v52, v4, v5
	ds_read_b128 v[2:5], v50 offset:4096
	v_cvt_pkrtz_f16_f32 v53, v46, v47
	ds_read_b128 v[46:49], v50 offset:4112
	s_waitcnt lgkmcnt(1)
	v_mfma_f32_16x16x16_f16 v[56:59], v[30:31], v[2:3], v[56:59]
	v_cvt_pkrtz_f16_f32 v30, v64, v65
	v_cvt_pkrtz_f16_f32 v31, v66, v67
	v_cvt_pk_f32_fp8_e32 v[64:65], v33
	v_mfma_f32_16x16x16_f16 v[56:59], v[52:53], v[4:5], v[56:59]
	v_cvt_pk_f32_fp8_sdwa v[52:53], v33 src0_sel:WORD_1
	v_cvt_pk_f32_fp8_e32 v[66:67], v28
	v_cvt_pkrtz_f16_f32 v64, v64, v65
	s_waitcnt lgkmcnt(0)
	v_mfma_f32_16x16x16_f16 v[30:33], v[30:31], v[46:47], v[56:59]
	v_cvt_pkrtz_f16_f32 v65, v52, v53
	v_cvt_pk_f32_fp8_e32 v[52:53], v26
	s_nop 0
	v_mfma_f32_16x16x16_f16 v[56:59], v[64:65], v[48:49], v[30:33]
	s_nop 2
	v_cvt_pk_f32_fp8_sdwa v[30:31], v26 src0_sel:WORD_1
	v_cvt_pk_f32_fp8_e32 v[32:33], v27
	v_cvt_pkrtz_f16_f32 v26, v52, v53
	v_cvt_pk_f32_fp8_sdwa v[52:53], v27 src0_sel:WORD_1
	v_cvt_pkrtz_f16_f32 v27, v30, v31
	v_cvt_pkrtz_f16_f32 v64, v32, v33
	ds_read_b128 v[30:33], v50 offset:6144
	v_cvt_pkrtz_f16_f32 v65, v52, v53
	s_waitcnt lgkmcnt(0)
	v_mfma_f32_16x16x16_f16 v[56:59], v[26:27], v[30:31], v[56:59]
	ds_read_b128 v[50:53], v50 offset:6160
	v_cvt_pkrtz_f16_f32 v26, v66, v67
	v_cvt_pkrtz_f16_f32 v27, v68, v69
	v_mfma_f32_16x16x16_f16 v[56:59], v[64:65], v[32:33], v[56:59]
	v_cvt_pk_f32_fp8_e32 v[66:67], v29
	v_cvt_pk_f32_fp8_sdwa v[64:65], v29 src0_sel:WORD_1
	s_waitcnt vmcnt(3)
	v_cvt_pk_f32_fp8_sdwa v[68:69], v20 src0_sel:WORD_1
	s_waitcnt lgkmcnt(0)
	v_mfma_f32_16x16x16_f16 v[26:29], v[26:27], v[50:51], v[56:59]
	v_cvt_pkrtz_f16_f32 v66, v66, v67
	v_cvt_pkrtz_f16_f32 v67, v64, v65
	v_cvt_pk_f32_fp8_e32 v[64:65], v19
	v_cvt_pk_f32_fp8_e32 v[56:57], v18
	v_cvt_pk_f32_fp8_sdwa v[58:59], v18 src0_sel:WORD_1
	v_cvt_pk_f32_fp8_sdwa v[18:19], v19 src0_sel:WORD_1
	v_mfma_f32_16x16x16_f16 v[26:29], v[66:67], v[52:53], v[26:29]
	v_cvt_pkrtz_f16_f32 v56, v56, v57
	v_cvt_pkrtz_f16_f32 v57, v58, v59
	;; [unrolled: 1-line block ×3, first 2 shown]
	v_cvt_pk_f32_fp8_e32 v[66:67], v20
	v_cvt_pkrtz_f16_f32 v65, v18, v19
	v_mfma_f32_16x16x16_f16 v[56:59], v[56:57], v[34:35], 0
	v_cvt_pkrtz_f16_f32 v18, v66, v67
	v_cvt_pkrtz_f16_f32 v19, v68, v69
	v_cvt_pk_f32_fp8_e32 v[66:67], v21
	v_mfma_f32_16x16x16_f16 v[34:37], v[64:65], v[36:37], v[56:59]
	s_barrier
	s_nop 1
	v_cvt_pk_f32_fp8_sdwa v[56:57], v21 src0_sel:WORD_1
	v_cvt_pkrtz_f16_f32 v58, v66, v67
	v_mfma_f32_16x16x16_f16 v[18:21], v[18:19], v[38:39], v[34:37]
	s_waitcnt vmcnt(2)
	v_cvt_pk_f32_fp8_e32 v[38:39], v7
	v_cvt_pkrtz_f16_f32 v59, v56, v57
	v_cvt_pk_f32_fp8_e32 v[34:35], v6
	v_cvt_pk_f32_fp8_sdwa v[36:37], v6 src0_sel:WORD_1
	v_cvt_pk_f32_fp8_sdwa v[6:7], v7 src0_sel:WORD_1
	v_mfma_f32_16x16x16_f16 v[18:21], v[58:59], v[40:41], v[18:21]
	v_cvt_pkrtz_f16_f32 v34, v34, v35
	v_cvt_pkrtz_f16_f32 v35, v36, v37
	;; [unrolled: 1-line block ×3, first 2 shown]
	v_cvt_pk_f32_fp8_e32 v[38:39], v8
	v_cvt_pk_f32_fp8_sdwa v[40:41], v8 src0_sel:WORD_1
	v_cvt_pkrtz_f16_f32 v37, v6, v7
	v_mfma_f32_16x16x16_f16 v[18:21], v[34:35], v[10:11], v[18:21]
	v_cvt_pkrtz_f16_f32 v10, v38, v39
	v_cvt_pkrtz_f16_f32 v11, v40, v41
	v_cvt_pk_f32_fp8_e32 v[34:35], v9
	v_cvt_pk_f32_fp8_sdwa v[38:39], v9 src0_sel:WORD_1
	v_mfma_f32_16x16x16_f16 v[6:9], v[36:37], v[12:13], v[18:21]
	v_cvt_pkrtz_f16_f32 v12, v34, v35
	v_cvt_pkrtz_f16_f32 v13, v38, v39
	v_mfma_f32_16x16x16_f16 v[6:9], v[10:11], v[42:43], v[6:9]
	s_waitcnt vmcnt(1)
	v_cvt_pk_f32_fp8_e32 v[10:11], v22
	v_cvt_pk_f32_fp8_sdwa v[18:19], v22 src0_sel:WORD_1
	v_cvt_pk_f32_fp8_e32 v[20:21], v24
	v_mfma_f32_16x16x16_f16 v[6:9], v[12:13], v[44:45], v[6:9]
	v_cvt_pk_f32_fp8_e32 v[12:13], v23
	v_cvt_pkrtz_f16_f32 v10, v10, v11
	v_cvt_pkrtz_f16_f32 v11, v18, v19
	v_cvt_pk_f32_fp8_sdwa v[18:19], v23 src0_sel:WORD_1
	v_cvt_pkrtz_f16_f32 v12, v12, v13
	v_cvt_pk_f32_fp8_sdwa v[22:23], v24 src0_sel:WORD_1
	v_mfma_f32_16x16x16_f16 v[6:9], v[10:11], v[2:3], v[6:9]
	v_cvt_pkrtz_f16_f32 v13, v18, v19
	v_cvt_pkrtz_f16_f32 v10, v20, v21
	;; [unrolled: 1-line block ×3, first 2 shown]
	v_cvt_pk_f32_fp8_e32 v[18:19], v25
	v_cvt_pk_f32_fp8_sdwa v[20:21], v25 src0_sel:WORD_1
	v_mfma_f32_16x16x16_f16 v[2:5], v[12:13], v[4:5], v[6:9]
	s_waitcnt vmcnt(0)
	v_cvt_pk_f32_fp8_e32 v[12:13], v14
	v_cvt_pkrtz_f16_f32 v12, v12, v13
	v_cvt_pkrtz_f16_f32 v8, v18, v19
	;; [unrolled: 1-line block ×3, first 2 shown]
	v_mfma_f32_16x16x16_f16 v[2:5], v[10:11], v[46:47], v[2:5]
	v_cvt_pk_f32_fp8_sdwa v[18:19], v14 src0_sel:WORD_1
	v_cvt_pk_f32_fp8_sdwa v[20:21], v16 src0_sel:WORD_1
	v_pk_mul_f32 v[6:7], v[28:29], s[10:11] op_sel_hi:[1,0]
	v_mfma_f32_16x16x16_f16 v[2:5], v[8:9], v[48:49], v[2:5]
	v_cvt_pk_f32_fp8_e32 v[8:9], v15
	v_cvt_pkrtz_f16_f32 v13, v18, v19
	v_cvt_pk_f32_fp8_sdwa v[14:15], v15 src0_sel:WORD_1
	v_cvt_pk_f32_fp8_e32 v[18:19], v16
	v_cvt_pkrtz_f16_f32 v8, v8, v9
	v_mfma_f32_16x16x16_f16 v[2:5], v[12:13], v[30:31], v[2:5]
	v_cvt_pkrtz_f16_f32 v9, v14, v15
	v_cvt_pkrtz_f16_f32 v12, v18, v19
	;; [unrolled: 1-line block ×3, first 2 shown]
	v_cvt_pk_f32_fp8_e32 v[14:15], v17
	v_cvt_pk_f32_fp8_sdwa v[16:17], v17 src0_sel:WORD_1
	v_mfma_f32_16x16x16_f16 v[2:5], v[8:9], v[32:33], v[2:5]
	v_pk_mul_f32 v[10:11], v[26:27], s[10:11] op_sel_hi:[1,0]
	v_cvt_pkrtz_f16_f32 v8, v14, v15
	v_cvt_pkrtz_f16_f32 v9, v16, v17
	v_mfma_f32_16x16x16_f16 v[2:5], v[12:13], v[50:51], v[2:5]
	v_cvt_f16_f32_e32 v10, v10
	v_cvt_f16_f32_e32 v11, v11
	;; [unrolled: 1-line block ×3, first 2 shown]
	v_mfma_f32_16x16x16_f16 v[2:5], v[8:9], v[52:53], v[2:5]
	v_cvt_f16_f32_e32 v7, v7
	s_nop 5
	v_pk_mul_f32 v[4:5], v[4:5], s[10:11] op_sel_hi:[1,0]
	v_pk_mul_f32 v[2:3], v[2:3], s[10:11] op_sel_hi:[1,0]
	v_cvt_f16_f32_e32 v12, v4
	v_cvt_f16_f32_e32 v8, v2
	;; [unrolled: 1-line block ×4, first 2 shown]
	v_pack_b32_f16 v2, v10, v11
	v_pack_b32_f16 v3, v6, v7
	v_pack_b32_f16 v4, v8, v9
	v_pack_b32_f16 v5, v12, v5
	ds_write2st64_b64 v54, v[2:3], v[4:5] offset1:1
	s_waitcnt lgkmcnt(0)
	s_barrier
	s_and_saveexec_b64 s[10:11], s[6:7]
	s_cbranch_execz .LBB964_17
; %bb.16:
	s_load_dwordx2 s[0:1], s[0:1], 0x68
	s_mul_i32 s2, s9, s2
	s_lshl_b32 s8, s8, 7
	s_mul_hi_u32 s7, s2, s8
	s_mul_i32 s6, s2, s8
	v_lshlrev_b32_e32 v4, 6, v61
	s_lshl_b64 s[6:7], s[6:7], 1
	v_lshl_or_b32 v0, v0, 10, v4
	s_waitcnt lgkmcnt(0)
	s_add_u32 s6, s0, s6
	v_lshlrev_b32_e32 v2, 5, v60
	v_and_b32_e32 v3, 16, v62
	v_and_b32_e32 v0, 0x1a00, v0
	s_addc_u32 s7, s1, s7
	s_lshl_b32 s2, s5, 7
	v_or3_b32 v0, v0, v2, v3
	s_lshl_b64 s[0:1], s[2:3], 1
	ds_read_b128 v[2:5], v0
	s_add_u32 s2, s6, s0
	s_addc_u32 s3, s7, s1
	s_mul_hi_u32 s1, s8, s4
	s_mul_i32 s0, s8, s4
	s_lshl_b64 s[0:1], s[0:1], 1
	s_add_u32 s0, s2, s0
	s_addc_u32 s1, s3, s1
	s_waitcnt lgkmcnt(0)
	global_store_dwordx4 v1, v[2:5], s[0:1]
.LBB964_17:
	s_endpgm
	.section	.rodata,"a",@progbits
	.p2align	6, 0x0
	.amdhsa_kernel _Z39paged_attention_ll4mi_QKV_mfma16_kernelIDF16_hLN4vllm18Fp8KVCacheDataTypeE1EhLi16ELi128ELi256ELb0ELi1EEvPKT_PKT0_S7_ifPKiS9_S9_iPKfiiiPfSC_PS2_PT2_iSB_SB_
		.amdhsa_group_segment_fixed_size 8192
		.amdhsa_private_segment_fixed_size 0
		.amdhsa_kernarg_size 400
		.amdhsa_user_sgpr_count 2
		.amdhsa_user_sgpr_dispatch_ptr 0
		.amdhsa_user_sgpr_queue_ptr 0
		.amdhsa_user_sgpr_kernarg_segment_ptr 1
		.amdhsa_user_sgpr_dispatch_id 0
		.amdhsa_user_sgpr_kernarg_preload_length 0
		.amdhsa_user_sgpr_kernarg_preload_offset 0
		.amdhsa_user_sgpr_private_segment_size 0
		.amdhsa_uses_dynamic_stack 0
		.amdhsa_enable_private_segment 0
		.amdhsa_system_sgpr_workgroup_id_x 1
		.amdhsa_system_sgpr_workgroup_id_y 1
		.amdhsa_system_sgpr_workgroup_id_z 1
		.amdhsa_system_sgpr_workgroup_info 0
		.amdhsa_system_vgpr_workitem_id 0
		.amdhsa_next_free_vgpr 84
		.amdhsa_next_free_sgpr 48
		.amdhsa_accum_offset 84
		.amdhsa_reserve_vcc 1
		.amdhsa_float_round_mode_32 0
		.amdhsa_float_round_mode_16_64 0
		.amdhsa_float_denorm_mode_32 3
		.amdhsa_float_denorm_mode_16_64 3
		.amdhsa_dx10_clamp 1
		.amdhsa_ieee_mode 1
		.amdhsa_fp16_overflow 0
		.amdhsa_tg_split 0
		.amdhsa_exception_fp_ieee_invalid_op 0
		.amdhsa_exception_fp_denorm_src 0
		.amdhsa_exception_fp_ieee_div_zero 0
		.amdhsa_exception_fp_ieee_overflow 0
		.amdhsa_exception_fp_ieee_underflow 0
		.amdhsa_exception_fp_ieee_inexact 0
		.amdhsa_exception_int_div_zero 0
	.end_amdhsa_kernel
	.section	.text._Z39paged_attention_ll4mi_QKV_mfma16_kernelIDF16_hLN4vllm18Fp8KVCacheDataTypeE1EhLi16ELi128ELi256ELb0ELi1EEvPKT_PKT0_S7_ifPKiS9_S9_iPKfiiiPfSC_PS2_PT2_iSB_SB_,"axG",@progbits,_Z39paged_attention_ll4mi_QKV_mfma16_kernelIDF16_hLN4vllm18Fp8KVCacheDataTypeE1EhLi16ELi128ELi256ELb0ELi1EEvPKT_PKT0_S7_ifPKiS9_S9_iPKfiiiPfSC_PS2_PT2_iSB_SB_,comdat
.Lfunc_end964:
	.size	_Z39paged_attention_ll4mi_QKV_mfma16_kernelIDF16_hLN4vllm18Fp8KVCacheDataTypeE1EhLi16ELi128ELi256ELb0ELi1EEvPKT_PKT0_S7_ifPKiS9_S9_iPKfiiiPfSC_PS2_PT2_iSB_SB_, .Lfunc_end964-_Z39paged_attention_ll4mi_QKV_mfma16_kernelIDF16_hLN4vllm18Fp8KVCacheDataTypeE1EhLi16ELi128ELi256ELb0ELi1EEvPKT_PKT0_S7_ifPKiS9_S9_iPKfiiiPfSC_PS2_PT2_iSB_SB_
                                        ; -- End function
	.section	.AMDGPU.csdata,"",@progbits
; Kernel info:
; codeLenInByte = 5832
; NumSgprs: 54
; NumVgprs: 84
; NumAgprs: 0
; TotalNumVgprs: 84
; ScratchSize: 0
; MemoryBound: 0
; FloatMode: 240
; IeeeMode: 1
; LDSByteSize: 8192 bytes/workgroup (compile time only)
; SGPRBlocks: 6
; VGPRBlocks: 10
; NumSGPRsForWavesPerEU: 54
; NumVGPRsForWavesPerEU: 84
; AccumOffset: 84
; Occupancy: 5
; WaveLimiterHint : 1
; COMPUTE_PGM_RSRC2:SCRATCH_EN: 0
; COMPUTE_PGM_RSRC2:USER_SGPR: 2
; COMPUTE_PGM_RSRC2:TRAP_HANDLER: 0
; COMPUTE_PGM_RSRC2:TGID_X_EN: 1
; COMPUTE_PGM_RSRC2:TGID_Y_EN: 1
; COMPUTE_PGM_RSRC2:TGID_Z_EN: 1
; COMPUTE_PGM_RSRC2:TIDIG_COMP_CNT: 0
; COMPUTE_PGM_RSRC3_GFX90A:ACCUM_OFFSET: 20
; COMPUTE_PGM_RSRC3_GFX90A:TG_SPLIT: 0
	.section	.text._Z39paged_attention_ll4mi_QKV_mfma16_kernelIDF16_hLN4vllm18Fp8KVCacheDataTypeE1EhLi16ELi128ELi256ELb0ELi2EEvPKT_PKT0_S7_ifPKiS9_S9_iPKfiiiPfSC_PS2_PT2_iSB_SB_,"axG",@progbits,_Z39paged_attention_ll4mi_QKV_mfma16_kernelIDF16_hLN4vllm18Fp8KVCacheDataTypeE1EhLi16ELi128ELi256ELb0ELi2EEvPKT_PKT0_S7_ifPKiS9_S9_iPKfiiiPfSC_PS2_PT2_iSB_SB_,comdat
	.protected	_Z39paged_attention_ll4mi_QKV_mfma16_kernelIDF16_hLN4vllm18Fp8KVCacheDataTypeE1EhLi16ELi128ELi256ELb0ELi2EEvPKT_PKT0_S7_ifPKiS9_S9_iPKfiiiPfSC_PS2_PT2_iSB_SB_ ; -- Begin function _Z39paged_attention_ll4mi_QKV_mfma16_kernelIDF16_hLN4vllm18Fp8KVCacheDataTypeE1EhLi16ELi128ELi256ELb0ELi2EEvPKT_PKT0_S7_ifPKiS9_S9_iPKfiiiPfSC_PS2_PT2_iSB_SB_
	.globl	_Z39paged_attention_ll4mi_QKV_mfma16_kernelIDF16_hLN4vllm18Fp8KVCacheDataTypeE1EhLi16ELi128ELi256ELb0ELi2EEvPKT_PKT0_S7_ifPKiS9_S9_iPKfiiiPfSC_PS2_PT2_iSB_SB_
	.p2align	8
	.type	_Z39paged_attention_ll4mi_QKV_mfma16_kernelIDF16_hLN4vllm18Fp8KVCacheDataTypeE1EhLi16ELi128ELi256ELb0ELi2EEvPKT_PKT0_S7_ifPKiS9_S9_iPKfiiiPfSC_PS2_PT2_iSB_SB_,@function
_Z39paged_attention_ll4mi_QKV_mfma16_kernelIDF16_hLN4vllm18Fp8KVCacheDataTypeE1EhLi16ELi128ELi256ELb0ELi2EEvPKT_PKT0_S7_ifPKiS9_S9_iPKfiiiPfSC_PS2_PT2_iSB_SB_: ; @_Z39paged_attention_ll4mi_QKV_mfma16_kernelIDF16_hLN4vllm18Fp8KVCacheDataTypeE1EhLi16ELi128ELi256ELb0ELi2EEvPKT_PKT0_S7_ifPKiS9_S9_iPKfiiiPfSC_PS2_PT2_iSB_SB_
; %bb.0:
	s_load_dwordx2 s[12:13], s[0:1], 0x30
	s_mov_b32 s22, s3
	s_mov_b64 s[6:7], 0
	s_waitcnt lgkmcnt(0)
	s_cmp_lg_u64 s[12:13], 0
	s_cselect_b64 s[14:15], -1, 0
	s_and_b64 vcc, exec, s[14:15]
	s_cbranch_vccz .LBB965_7
; %bb.1:
	s_add_i32 s8, s2, 1
	s_mov_b32 s9, 0
	s_lshl_b64 s[10:11], s[8:9], 2
	s_add_u32 s10, s12, s10
	s_mov_b32 s3, s9
	s_addc_u32 s11, s13, s11
	s_lshl_b64 s[8:9], s[2:3], 2
	s_add_u32 s8, s12, s8
	s_addc_u32 s9, s13, s9
	s_load_dword s5, s[10:11], 0x0
	s_load_dword s16, s[8:9], 0x0
	s_waitcnt lgkmcnt(0)
	s_sub_i32 s5, s5, s16
	s_cmp_eq_u32 s5, 1
	s_cselect_b64 s[8:9], -1, 0
	s_andn2_b64 vcc, exec, s[6:7]
	s_cbranch_vccnz .LBB965_3
.LBB965_2:
	s_mov_b32 s3, 0
	s_mov_b64 s[8:9], -1
.LBB965_3:
	s_andn2_b64 vcc, exec, s[8:9]
	s_cbranch_vccnz .LBB965_17
; %bb.4:
	s_load_dwordx2 s[6:7], s[0:1], 0x28
	s_lshl_b64 s[16:17], s[2:3], 2
	s_waitcnt lgkmcnt(0)
	s_add_u32 s6, s6, s16
	s_addc_u32 s7, s7, s17
	s_load_dword s38, s[6:7], 0x0
	s_lshl_b32 s18, s22, 8
	s_waitcnt lgkmcnt(0)
	s_cmp_ge_i32 s18, s38
	s_cbranch_scc1 .LBB965_17
; %bb.5:
	s_load_dwordx2 s[6:7], s[0:1], 0x20
	s_load_dword s8, s[0:1], 0x38
	s_add_i32 s5, s38, 15
	s_ashr_i32 s9, s5, 31
	v_and_b32_e32 v1, 0xcf, v0
	s_lshr_b32 s9, s9, 28
	v_add_u32_e32 v1, s18, v1
	s_add_i32 s5, s5, s9
	v_ashrrev_i32_e32 v2, 31, v1
	s_ashr_i32 s5, s5, 4
	v_lshrrev_b32_e32 v10, 28, v2
	s_add_i32 s5, s5, -1
	s_waitcnt lgkmcnt(0)
	s_mul_i32 s8, s2, s8
	s_mov_b32 s9, 0
	v_add_u32_e32 v2, v1, v10
	s_lshl_b64 s[8:9], s[8:9], 2
	v_ashrrev_i32_e32 v2, 4, v2
	v_mov_b32_e32 v11, s5
	v_cmp_gt_i32_e32 vcc, s38, v1
	s_add_u32 s6, s6, s8
	s_addc_u32 s7, s7, s9
	v_cndmask_b32_e32 v2, v11, v2, vcc
	v_ashrrev_i32_e32 v3, 31, v2
	v_lshl_add_u64 v[4:5], v[2:3], 2, s[6:7]
	v_or_b32_e32 v2, 16, v1
	v_add_u32_e32 v3, v2, v10
	v_ashrrev_i32_e32 v3, 4, v3
	v_cmp_gt_i32_e32 vcc, s38, v2
	s_load_dwordx4 s[8:11], s[0:1], 0x8
	s_nop 0
	v_cndmask_b32_e32 v2, v11, v3, vcc
	v_ashrrev_i32_e32 v3, 31, v2
	v_lshl_add_u64 v[6:7], v[2:3], 2, s[6:7]
	v_or_b32_e32 v2, 32, v1
	v_add_u32_e32 v3, v2, v10
	v_ashrrev_i32_e32 v3, 4, v3
	v_cmp_gt_i32_e32 vcc, s38, v2
	v_or_b32_e32 v1, 48, v1
	s_nop 0
	v_cndmask_b32_e32 v2, v11, v3, vcc
	v_ashrrev_i32_e32 v3, 31, v2
	v_lshl_add_u64 v[8:9], v[2:3], 2, s[6:7]
	v_add_u32_e32 v2, v1, v10
	v_ashrrev_i32_e32 v2, 4, v2
	v_cmp_gt_i32_e32 vcc, s38, v1
	s_nop 1
	v_cndmask_b32_e32 v2, v11, v2, vcc
	v_ashrrev_i32_e32 v3, 31, v2
	v_lshl_add_u64 v[10:11], v[2:3], 2, s[6:7]
	global_load_dword v3, v[4:5], off
	global_load_dword v2, v[6:7], off
	;; [unrolled: 1-line block ×4, first 2 shown]
	s_andn2_b64 vcc, exec, s[14:15]
	s_cbranch_vccnz .LBB965_8
; %bb.6:
	s_add_u32 s12, s12, s16
	s_addc_u32 s13, s13, s17
	s_load_dword s14, s[12:13], 0x0
	s_branch .LBB965_9
.LBB965_7:
	s_mov_b64 s[8:9], 0
	s_branch .LBB965_2
.LBB965_8:
	s_mov_b32 s14, s2
.LBB965_9:
	s_load_dwordx4 s[44:47], s[0:1], 0x48
	v_lshrrev_b32_e32 v65, 6, v0
	v_bfe_u32 v1, v0, 4, 2
	v_and_b32_e32 v62, 15, v0
	v_lshl_or_b32 v4, v65, 2, v1
	v_lshlrev_b32_e32 v5, 3, v62
	v_and_b32_e32 v64, 63, v0
	s_lshl_b32 s23, s4, 1
	v_cmp_gt_u32_e32 vcc, 2, v4
	v_lshlrev_b32_e32 v58, 1, v5
	v_lshlrev_b32_e32 v63, 4, v0
	s_and_saveexec_b64 s[12:13], vcc
	s_cbranch_execz .LBB965_11
; %bb.10:
	s_load_dwordx2 s[16:17], s[0:1], 0x0
	s_waitcnt lgkmcnt(0)
	s_ashr_i32 s15, s44, 31
	s_mul_hi_u32 s19, s14, s44
	s_mul_i32 s15, s14, s15
	s_add_i32 s15, s19, s15
	s_mul_i32 s14, s14, s44
	s_lshl_b64 s[14:15], s[14:15], 1
	s_add_u32 s14, s16, s14
	v_add_lshl_u32 v6, v1, s23, 7
	s_addc_u32 s15, s17, s15
	v_ashrrev_i32_e32 v7, 31, v6
	v_lshl_add_u64 v[6:7], v[6:7], 1, s[14:15]
	v_mov_b32_e32 v59, 0
	v_lshl_add_u64 v[6:7], v[6:7], 0, v[58:59]
	global_load_dwordx4 v[6:9], v[6:7], off
	v_lshlrev_b32_e32 v10, 8, v0
	v_lshlrev_b32_e32 v5, 8, v62
	v_and_b32_e32 v10, 0x600, v10
	s_movk_i32 s14, 0x800
	v_and_or_b32 v5, v5, s14, v10
	v_lshlrev_b32_e32 v4, 5, v4
	v_and_b32_e32 v10, 16, v63
	v_or3_b32 v4, v5, v4, v10
	s_waitcnt vmcnt(0)
	ds_write_b128 v4, v[6:9]
.LBB965_11:
	s_or_b64 exec, exec, s[12:13]
	s_waitcnt lgkmcnt(0)
	s_mul_i32 s4, s4, s46
	s_add_u32 s8, s8, s4
	s_addc_u32 s9, s9, 0
	v_and_b32_e32 v60, 0xf0, v63
	v_mov_b32_e32 v61, 0
	v_and_b32_e32 v6, 48, v0
	v_lshl_add_u64 v[30:31], s[8:9], 0, v[60:61]
	v_lshlrev_b32_e32 v60, 4, v6
	s_waitcnt vmcnt(3)
	v_mad_i64_i32 v[4:5], s[8:9], v3, s45, v[30:31]
	v_lshl_add_u64 v[4:5], v[4:5], 0, v[60:61]
	s_load_dword s33, s[0:1], 0x98
	s_load_dwordx4 s[40:43], s[0:1], 0x80
	s_waitcnt lgkmcnt(0)
	s_barrier
	global_load_dwordx4 v[22:25], v[4:5], off
	global_load_dwordx4 v[10:13], v[4:5], off offset:1024
	s_waitcnt vmcnt(4)
	v_mad_i64_i32 v[2:3], s[8:9], v2, s45, v[30:31]
	v_lshl_add_u64 v[32:33], v[2:3], 0, v[60:61]
	global_load_dwordx4 v[2:5], v[32:33], off
	v_and_b32_e32 v7, 1, v0
	v_lshlrev_b32_e32 v7, 5, v7
	v_or_b32_e32 v36, s18, v6
	v_mov_b32_e32 v41, s5
	v_lshl_or_b32 v6, v1, 9, v7
	v_ashrrev_i32_e32 v37, 4, v36
	v_cmp_gt_i32_e32 vcc, s38, v36
	v_or_b32_e32 v40, 64, v36
	v_or_b32_e32 v42, 0x80, v36
	;; [unrolled: 1-line block ×3, first 2 shown]
	ds_read_b128 v[26:29], v6
	ds_read_b128 v[18:21], v6 offset:16
	ds_read_b128 v[14:17], v6 offset:2048
	;; [unrolled: 1-line block ×3, first 2 shown]
	v_cndmask_b32_e32 v38, v41, v37, vcc
	s_waitcnt vmcnt(4)
	v_mad_i64_i32 v[36:37], s[12:13], v34, s45, v[30:31]
	s_waitcnt vmcnt(3)
	v_mad_i64_i32 v[34:35], s[12:13], v35, s45, v[30:31]
	global_load_dwordx4 v[30:33], v[32:33], off offset:1024
	v_ashrrev_i32_e32 v44, 4, v40
	v_cmp_gt_i32_e32 vcc, s38, v40
	v_ashrrev_i32_e32 v45, 4, v42
	v_ashrrev_i32_e32 v46, 4, v43
	v_cndmask_b32_e32 v40, v41, v44, vcc
	v_cmp_gt_i32_e32 vcc, s38, v42
	v_ashrrev_i32_e32 v39, 31, v38
	v_lshl_add_u64 v[36:37], v[36:37], 0, v[60:61]
	v_cndmask_b32_e32 v42, v41, v45, vcc
	v_cmp_gt_i32_e32 vcc, s38, v43
	v_lshl_add_u64 v[34:35], v[34:35], 0, v[60:61]
	v_ashrrev_i32_e32 v43, 31, v42
	v_cndmask_b32_e32 v44, v41, v46, vcc
	v_ashrrev_i32_e32 v41, 31, v40
	v_ashrrev_i32_e32 v45, 31, v44
	v_lshl_add_u64 v[50:51], v[38:39], 2, s[6:7]
	v_lshl_add_u64 v[52:53], v[40:41], 2, s[6:7]
	;; [unrolled: 1-line block ×4, first 2 shown]
	global_load_dwordx4 v[42:45], v[36:37], off
	global_load_dwordx4 v[46:49], v[36:37], off offset:1024
	global_load_dwordx4 v[38:41], v[34:35], off
	s_nop 0
	global_load_dwordx4 v[34:37], v[34:35], off offset:1024
	s_nop 0
	global_load_dword v69, v[50:51], off
	global_load_dword v68, v[52:53], off
	;; [unrolled: 1-line block ×4, first 2 shown]
	s_add_u32 s4, s10, s4
	v_lshl_or_b32 v59, v65, 4, v62
	s_addc_u32 s5, s11, 0
	v_lshlrev_b32_e32 v60, 4, v59
	s_load_dword s8, s[0:1], 0x1c
	s_waitcnt vmcnt(11)
	v_cvt_pk_f32_fp8_e32 v[50:51], v22
	v_cvt_pk_f32_fp8_sdwa v[52:53], v22 src0_sel:WORD_1
	v_cvt_pk_f32_fp8_e32 v[54:55], v23
	v_cvt_pk_f32_fp8_sdwa v[56:57], v23 src0_sel:WORD_1
	;; [unrolled: 2-line block ×4, first 2 shown]
	s_waitcnt vmcnt(9)
	v_cvt_pk_f32_fp8_e32 v[22:23], v2
	v_cvt_pk_f32_fp8_sdwa v[24:25], v2 src0_sel:WORD_1
	v_cvt_pkrtz_f16_f32 v50, v50, v51
	v_cvt_pkrtz_f16_f32 v51, v52, v53
	v_cvt_pk_f32_fp8_e32 v[78:79], v10
	v_cvt_pk_f32_fp8_sdwa v[80:81], v10 src0_sel:WORD_1
	v_cvt_pk_f32_fp8_e32 v[82:83], v11
	v_cvt_pk_f32_fp8_sdwa v[52:53], v11 src0_sel:WORD_1
	v_cvt_pkrtz_f16_f32 v10, v22, v23
	v_cvt_pkrtz_f16_f32 v11, v24, v25
	;; [unrolled: 1-line block ×4, first 2 shown]
	s_waitcnt lgkmcnt(0)
	v_mfma_f32_16x16x16_f16 v[22:25], v[50:51], v[26:27], 0
	v_cvt_pk_f32_fp8_e32 v[84:85], v12
	v_cvt_pk_f32_fp8_sdwa v[50:51], v12 src0_sel:WORD_1
	v_cvt_pk_f32_fp8_e32 v[88:89], v13
	v_mfma_f32_16x16x16_f16 v[54:57], v[10:11], v[26:27], 0
	v_cvt_pkrtz_f16_f32 v10, v70, v71
	v_cvt_pkrtz_f16_f32 v11, v72, v73
	;; [unrolled: 1-line block ×3, first 2 shown]
	v_mfma_f32_16x16x16_f16 v[22:25], v[86:87], v[28:29], v[22:25]
	v_cvt_pkrtz_f16_f32 v73, v76, v77
	v_cvt_pk_f32_fp8_sdwa v[70:71], v13 src0_sel:WORD_1
	s_waitcnt vmcnt(6)
	v_cvt_pk_f32_fp8_e32 v[74:75], v48
	v_mfma_f32_16x16x16_f16 v[10:13], v[10:11], v[18:19], v[22:25]
	v_cvt_pk_f32_fp8_sdwa v[76:77], v48 src0_sel:WORD_1
	s_nop 1
	v_cvt_pkrtz_f16_f32 v24, v78, v79
	v_cvt_pkrtz_f16_f32 v25, v80, v81
	v_mfma_f32_16x16x16_f16 v[10:13], v[72:73], v[20:21], v[10:13]
	v_cvt_pkrtz_f16_f32 v72, v82, v83
	v_cvt_pkrtz_f16_f32 v73, v52, v53
	;; [unrolled: 1-line block ×3, first 2 shown]
	v_mfma_f32_16x16x16_f16 v[10:13], v[24:25], v[14:15], v[10:13]
	v_cvt_pkrtz_f16_f32 v53, v50, v51
	v_cvt_pk_f32_fp8_e32 v[22:23], v3
	v_cvt_pk_f32_fp8_sdwa v[2:3], v3 src0_sel:WORD_1
	v_mfma_f32_16x16x16_f16 v[10:13], v[72:73], v[16:17], v[10:13]
	v_cvt_pkrtz_f16_f32 v50, v88, v89
	v_cvt_pkrtz_f16_f32 v51, v70, v71
	v_cvt_pk_f32_fp8_e32 v[24:25], v4
	v_cvt_pk_f32_fp8_sdwa v[72:73], v4 src0_sel:WORD_1
	v_mfma_f32_16x16x16_f16 v[10:13], v[52:53], v[6:7], v[10:13]
	v_cvt_pkrtz_f16_f32 v22, v22, v23
	v_cvt_pkrtz_f16_f32 v23, v2, v3
	;; [unrolled: 1-line block ×3, first 2 shown]
	v_mfma_f32_16x16x16_f16 v[50:53], v[50:51], v[8:9], v[10:13]
	v_cvt_pkrtz_f16_f32 v25, v72, v73
	v_cvt_pk_f32_fp8_e32 v[72:73], v45
	v_lshl_add_u64 v[70:71], s[4:5], 0, v[60:61]
	v_cvt_pk_f32_fp8_e32 v[10:11], v5
	v_cvt_pk_f32_fp8_sdwa v[12:13], v5 src0_sel:WORD_1
	v_mfma_f32_16x16x16_f16 v[2:5], v[22:23], v[28:29], v[54:57]
	v_cvt_pk_f32_fp8_sdwa v[22:23], v30 src0_sel:WORD_1
	v_cvt_pkrtz_f16_f32 v10, v10, v11
	v_cvt_pkrtz_f16_f32 v11, v12, v13
	v_mfma_f32_16x16x16_f16 v[2:5], v[24:25], v[18:19], v[2:5]
	v_cvt_pk_f32_fp8_e32 v[12:13], v30
	v_cvt_pk_f32_fp8_e32 v[24:25], v32
	v_or_b32_e32 v60, 0x400, v60
	v_mfma_f32_16x16x16_f16 v[2:5], v[10:11], v[20:21], v[2:5]
	v_cvt_pk_f32_fp8_e32 v[10:11], v31
	v_cvt_pkrtz_f16_f32 v12, v12, v13
	v_cvt_pkrtz_f16_f32 v13, v22, v23
	v_cvt_pk_f32_fp8_sdwa v[22:23], v31 src0_sel:WORD_1
	v_cvt_pkrtz_f16_f32 v10, v10, v11
	v_cvt_pk_f32_fp8_sdwa v[30:31], v32 src0_sel:WORD_1
	v_mfma_f32_16x16x16_f16 v[2:5], v[12:13], v[14:15], v[2:5]
	v_cvt_pkrtz_f16_f32 v11, v22, v23
	v_cvt_pkrtz_f16_f32 v12, v24, v25
	;; [unrolled: 1-line block ×3, first 2 shown]
	v_cvt_pk_f32_fp8_e32 v[22:23], v33
	v_cvt_pk_f32_fp8_sdwa v[24:25], v33 src0_sel:WORD_1
	v_mfma_f32_16x16x16_f16 v[2:5], v[10:11], v[16:17], v[2:5]
	v_cvt_pkrtz_f16_f32 v10, v22, v23
	v_cvt_pkrtz_f16_f32 v11, v24, v25
	v_mfma_f32_16x16x16_f16 v[2:5], v[12:13], v[6:7], v[2:5]
	v_cvt_pk_f32_fp8_e32 v[12:13], v42
	v_cvt_pk_f32_fp8_sdwa v[22:23], v42 src0_sel:WORD_1
	v_cvt_pk_f32_fp8_sdwa v[24:25], v44 src0_sel:WORD_1
	v_mfma_f32_16x16x16_f16 v[54:57], v[10:11], v[8:9], v[2:5]
	v_cvt_pk_f32_fp8_sdwa v[10:11], v43 src0_sel:WORD_1
	s_nop 1
	v_cvt_pkrtz_f16_f32 v2, v12, v13
	v_cvt_pkrtz_f16_f32 v3, v22, v23
	v_cvt_pk_f32_fp8_e32 v[4:5], v43
	v_cvt_pkrtz_f16_f32 v23, v10, v11
	v_cvt_pk_f32_fp8_e32 v[10:11], v44
	v_cvt_pk_f32_fp8_sdwa v[44:45], v45 src0_sel:WORD_1
	v_cvt_pkrtz_f16_f32 v22, v4, v5
	v_mfma_f32_16x16x16_f16 v[2:5], v[2:3], v[26:27], 0
	v_cvt_pkrtz_f16_f32 v10, v10, v11
	v_cvt_pkrtz_f16_f32 v11, v24, v25
	s_waitcnt vmcnt(3)
	v_mad_i64_i32 v[12:13], s[6:7], v69, s45, v[70:71]
	v_mfma_f32_16x16x16_f16 v[2:5], v[22:23], v[28:29], v[2:5]
	s_waitcnt vmcnt(2)
	v_mad_i64_i32 v[42:43], s[6:7], v68, s45, v[70:71]
	global_load_dwordx4 v[30:33], v[12:13], off
	global_load_dwordx4 v[22:25], v[42:43], off
	v_cvt_pkrtz_f16_f32 v12, v72, v73
	v_cvt_pkrtz_f16_f32 v13, v44, v45
	v_mfma_f32_16x16x16_f16 v[2:5], v[10:11], v[18:19], v[2:5]
	v_cvt_pk_f32_fp8_e32 v[10:11], v46
	v_cvt_pk_f32_fp8_sdwa v[42:43], v46 src0_sel:WORD_1
	s_waitcnt vmcnt(3)
	v_mad_i64_i32 v[72:73], s[6:7], v66, s45, v[70:71]
	v_mfma_f32_16x16x16_f16 v[2:5], v[12:13], v[20:21], v[2:5]
	v_cvt_pkrtz_f16_f32 v10, v10, v11
	v_cvt_pkrtz_f16_f32 v11, v42, v43
	v_cvt_pk_f32_fp8_e32 v[12:13], v47
	v_cvt_pk_f32_fp8_sdwa v[42:43], v47 src0_sel:WORD_1
	s_waitcnt vmcnt(2)
	v_mad_i64_i32 v[46:47], s[6:7], v67, s45, v[70:71]
	v_cvt_pkrtz_f16_f32 v70, v12, v13
	v_cvt_pkrtz_f16_f32 v71, v42, v43
	v_mfma_f32_16x16x16_f16 v[42:45], v[10:11], v[14:15], v[2:5]
	global_load_dwordx4 v[10:13], v[72:73], off
	s_nop 1
	global_load_dwordx4 v[2:5], v[46:47], off
	v_cvt_pkrtz_f16_f32 v72, v74, v75
	v_cvt_pkrtz_f16_f32 v73, v76, v77
	v_cvt_pk_f32_fp8_e32 v[74:75], v49
	v_cvt_pk_f32_fp8_sdwa v[48:49], v49 src0_sel:WORD_1
	v_mfma_f32_16x16x16_f16 v[44:47], v[70:71], v[16:17], v[42:45]
	s_nop 2
	v_lshl_add_u64 v[42:43], s[4:5], 0, v[60:61]
	v_cvt_pkrtz_f16_f32 v60, v74, v75
	v_cvt_pkrtz_f16_f32 v61, v48, v49
	v_mfma_f32_16x16x16_f16 v[44:47], v[72:73], v[6:7], v[44:47]
	v_cvt_pk_f32_fp8_e32 v[48:49], v38
	v_cvt_pk_f32_fp8_sdwa v[74:75], v38 src0_sel:WORD_1
	s_load_dword s4, s[40:41], 0x0
	v_mfma_f32_16x16x16_f16 v[70:73], v[60:61], v[8:9], v[44:47]
	v_cvt_pk_f32_fp8_e32 v[60:61], v40
	s_mov_b32 s40, 0xff7fffff
	s_nop 0
	v_cvt_pk_f32_fp8_e32 v[44:45], v39
	v_cvt_pkrtz_f16_f32 v46, v48, v49
	v_cvt_pkrtz_f16_f32 v47, v74, v75
	v_cvt_pk_f32_fp8_sdwa v[38:39], v39 src0_sel:WORD_1
	v_cvt_pkrtz_f16_f32 v48, v44, v45
	v_cvt_pk_f32_fp8_sdwa v[74:75], v40 src0_sel:WORD_1
	v_mfma_f32_16x16x16_f16 v[44:47], v[46:47], v[26:27], 0
	v_cvt_pkrtz_f16_f32 v49, v38, v39
	v_cvt_pkrtz_f16_f32 v38, v60, v61
	;; [unrolled: 1-line block ×3, first 2 shown]
	v_cvt_pk_f32_fp8_e32 v[60:61], v41
	v_cvt_pk_f32_fp8_sdwa v[40:41], v41 src0_sel:WORD_1
	v_mfma_f32_16x16x16_f16 v[26:29], v[48:49], v[28:29], v[44:47]
	s_nop 2
	v_cvt_pkrtz_f16_f32 v44, v60, v61
	v_cvt_pkrtz_f16_f32 v45, v40, v41
	v_mfma_f32_16x16x16_f16 v[26:29], v[38:39], v[18:19], v[26:29]
	v_mov_b32_e32 v46, s8
	s_waitcnt lgkmcnt(0)
	v_mul_f32_e32 v40, s4, v46
	v_pk_mul_f32 v[38:39], v[40:41], v[52:53] op_sel_hi:[0,1]
	v_mfma_f32_16x16x16_f16 v[18:21], v[44:45], v[20:21], v[26:29]
	v_cvt_pk_f32_fp8_e32 v[44:45], v35
	v_pk_mul_f32 v[46:47], v[40:41], v[50:51] op_sel_hi:[0,1]
	v_pk_mul_f32 v[48:49], v[40:41], v[56:57] op_sel_hi:[0,1]
	v_cvt_pk_f32_fp8_e32 v[26:27], v34
	v_cvt_pk_f32_fp8_sdwa v[28:29], v34 src0_sel:WORD_1
	v_cvt_pk_f32_fp8_sdwa v[34:35], v35 src0_sel:WORD_1
	v_pk_mul_f32 v[52:53], v[40:41], v[54:55] op_sel_hi:[0,1]
	v_cvt_pkrtz_f16_f32 v26, v26, v27
	v_cvt_pkrtz_f16_f32 v27, v28, v29
	;; [unrolled: 1-line block ×4, first 2 shown]
	v_cvt_pk_f32_fp8_e32 v[34:35], v36
	v_cvt_pk_f32_fp8_sdwa v[44:45], v36 src0_sel:WORD_1
	v_mfma_f32_16x16x16_f16 v[18:21], v[26:27], v[14:15], v[18:21]
	v_pk_mul_f32 v[50:51], v[40:41], v[70:71] op_sel_hi:[0,1]
	v_cvt_pkrtz_f16_f32 v26, v34, v35
	v_cvt_pkrtz_f16_f32 v27, v44, v45
	v_cvt_pk_f32_fp8_e32 v[34:35], v37
	v_cvt_pk_f32_fp8_sdwa v[36:37], v37 src0_sel:WORD_1
	v_mfma_f32_16x16x16_f16 v[14:17], v[28:29], v[16:17], v[18:21]
	v_pk_mul_f32 v[44:45], v[40:41], v[72:73] op_sel_hi:[0,1]
	v_mad_i64_i32 v[60:61], s[4:5], v69, s45, v[42:43]
	s_nop 0
	v_cvt_pkrtz_f16_f32 v18, v34, v35
	v_cvt_pkrtz_f16_f32 v19, v36, v37
	v_mfma_f32_16x16x16_f16 v[14:17], v[26:27], v[6:7], v[14:17]
	s_nop 0
	v_mfma_f32_16x16x16_f16 v[6:9], v[18:19], v[8:9], v[14:17]
	s_nop 6
	v_pk_mul_f32 v[34:35], v[40:41], v[8:9] op_sel_hi:[0,1]
	v_pk_mul_f32 v[40:41], v[40:41], v[6:7] op_sel_hi:[0,1]
	v_and_b32_e32 v6, 0xc0, v0
	v_add_u32_e32 v6, s18, v6
	v_lshl_or_b32 v6, v1, 2, v6
	v_or_b32_e32 v9, 1, v6
	v_mov_b32_e32 v7, 0xff7fffff
	v_cmp_gt_i32_e64 s[24:25], s38, v6
	v_cmp_gt_i32_e64 s[26:27], s38, v9
	v_or_b32_e32 v14, 3, v6
	v_cndmask_b32_e64 v8, v7, v46, s[24:25]
	v_cndmask_b32_e64 v9, v7, v47, s[26:27]
	v_max3_f32 v8, v8, s40, v9
	v_or_b32_e32 v9, 2, v6
	v_cmp_gt_i32_e64 s[28:29], s38, v9
	v_cmp_gt_i32_e64 s[30:31], s38, v14
	s_nop 0
	v_cndmask_b32_e64 v9, v7, v38, s[28:29]
	v_cndmask_b32_e64 v14, v7, v39, s[30:31]
	v_max3_f32 v8, v8, v9, v14
	v_or_b32_e32 v9, 16, v6
	v_or_b32_e32 v14, 17, v6
	v_cmp_gt_i32_e64 s[34:35], s38, v9
	v_cmp_gt_i32_e64 s[36:37], s38, v14
	s_nop 0
	v_cndmask_b32_e64 v9, v7, v52, s[34:35]
	v_cndmask_b32_e64 v14, v7, v53, s[36:37]
	v_max3_f32 v8, v8, v9, v14
	v_or_b32_e32 v9, 18, v6
	;; [unrolled: 8-line block ×6, first 2 shown]
	v_or_b32_e32 v6, 51, v6
	v_cmp_gt_i32_e32 vcc, s38, v9
	v_cmp_gt_i32_e64 s[4:5], s38, v6
	s_nop 0
	v_cndmask_b32_e32 v9, v7, v34, vcc
	v_cndmask_b32_e64 v6, v7, v35, s[4:5]
	v_max3_f32 v8, v8, v9, v6
	v_mbcnt_lo_u32_b32 v6, -1, 0
	v_mbcnt_hi_u32_b32 v9, -1, v6
	v_and_b32_e32 v6, 64, v9
	v_add_u32_e32 v14, 64, v6
	v_xor_b32_e32 v6, 32, v9
	v_cmp_lt_i32_e64 s[38:39], v6, v14
	s_nop 1
	v_cndmask_b32_e64 v6, v9, v6, s[38:39]
	v_lshlrev_b32_e32 v55, 2, v6
	ds_bpermute_b32 v15, v55, v8
	v_mad_i64_i32 v[6:7], s[38:39], v68, s45, v[42:43]
	global_load_dwordx4 v[26:29], v[60:61], off
	global_load_dwordx4 v[18:21], v[6:7], off
	s_waitcnt lgkmcnt(0)
	v_max_f32_e32 v6, v15, v15
	v_max_f32_e32 v15, v8, v6
	v_xor_b32_e32 v6, 16, v9
	v_cmp_lt_i32_e64 s[38:39], v6, v14
	s_nop 1
	v_cndmask_b32_e64 v6, v9, v6, s[38:39]
	v_lshlrev_b32_e32 v56, 2, v6
	ds_bpermute_b32 v14, v56, v15
	v_mad_i64_i32 v[6:7], s[38:39], v66, s45, v[42:43]
	v_mad_i64_i32 v[8:9], s[38:39], v67, s45, v[42:43]
	s_waitcnt lgkmcnt(0)
	v_max_f32_e32 v14, v14, v14
	v_max_f32_e32 v54, v15, v14
	v_sub_f32_e32 v14, v46, v54
	v_mul_f32_e32 v14, 0x3fb8aa3b, v14
	v_exp_f32_e32 v36, v14
	v_sub_f32_e32 v14, v47, v54
	v_mul_f32_e32 v14, 0x3fb8aa3b, v14
	v_exp_f32_e32 v37, v14
	global_load_dwordx4 v[14:17], v[6:7], off
	s_nop 0
	global_load_dwordx4 v[6:9], v[8:9], off
	v_sub_f32_e32 v38, v38, v54
	v_mul_f32_e32 v38, 0x3fb8aa3b, v38
	v_sub_f32_e32 v39, v39, v54
	v_exp_f32_e32 v38, v38
	v_mul_f32_e32 v39, 0x3fb8aa3b, v39
	v_exp_f32_e32 v39, v39
	v_cndmask_b32_e64 v36, 0, v36, s[24:25]
	v_add_f32_e32 v42, 0, v36
	v_cndmask_b32_e64 v37, 0, v37, s[26:27]
	v_add_f32_e32 v42, v42, v37
	;; [unrolled: 2-line block ×3, first 2 shown]
	v_cndmask_b32_e64 v47, 0, v39, s[30:31]
	v_sub_f32_e32 v39, v52, v54
	v_sub_f32_e32 v42, v53, v54
	v_mul_f32_e32 v39, 0x3fb8aa3b, v39
	v_mul_f32_e32 v42, 0x3fb8aa3b, v42
	v_exp_f32_e32 v39, v39
	v_exp_f32_e32 v42, v42
	v_add_f32_e32 v43, v38, v47
	v_sub_f32_e32 v44, v44, v54
	v_cndmask_b32_e64 v38, 0, v39, s[34:35]
	v_cndmask_b32_e64 v39, 0, v42, s[36:37]
	v_sub_f32_e32 v42, v48, v54
	v_mul_f32_e32 v42, 0x3fb8aa3b, v42
	v_exp_f32_e32 v42, v42
	v_sub_f32_e32 v48, v49, v54
	v_add_f32_e32 v43, v43, v38
	v_mul_f32_e32 v48, 0x3fb8aa3b, v48
	v_exp_f32_e32 v49, v48
	v_add_f32_e32 v43, v43, v39
	v_cndmask_b32_e64 v48, 0, v42, s[18:19]
	v_add_f32_e32 v42, v43, v48
	v_sub_f32_e32 v43, v50, v54
	v_mul_f32_e32 v43, 0x3fb8aa3b, v43
	v_sub_f32_e32 v50, v51, v54
	v_exp_f32_e32 v43, v43
	v_mul_f32_e32 v50, 0x3fb8aa3b, v50
	v_exp_f32_e32 v50, v50
	v_mul_f32_e32 v44, 0x3fb8aa3b, v44
	v_sub_f32_e32 v45, v45, v54
	v_exp_f32_e32 v44, v44
	v_mul_f32_e32 v45, 0x3fb8aa3b, v45
	v_sub_f32_e32 v40, v40, v54
	v_cndmask_b32_e64 v49, 0, v49, s[20:21]
	v_exp_f32_e32 v45, v45
	v_mul_f32_e32 v40, 0x3fb8aa3b, v40
	v_sub_f32_e32 v41, v41, v54
	v_add_f32_e32 v51, v42, v49
	v_cndmask_b32_e64 v42, 0, v43, s[14:15]
	v_exp_f32_e32 v40, v40
	v_mul_f32_e32 v41, 0x3fb8aa3b, v41
	v_sub_f32_e32 v34, v34, v54
	v_add_f32_e32 v51, v51, v42
	;; [unrolled: 5-line block ×3, first 2 shown]
	v_cndmask_b32_e64 v44, 0, v44, s[10:11]
	v_exp_f32_e32 v34, v34
	v_mul_f32_e32 v35, 0x3fb8aa3b, v35
	v_add_f32_e32 v50, v50, v44
	v_cndmask_b32_e64 v45, 0, v45, s[12:13]
	v_exp_f32_e32 v35, v35
	v_add_f32_e32 v50, v50, v45
	v_cndmask_b32_e64 v40, 0, v40, s[6:7]
	v_add_f32_e32 v50, v50, v40
	v_cndmask_b32_e64 v41, 0, v41, s[8:9]
	v_add_f32_e32 v50, v50, v41
	v_cndmask_b32_e32 v34, 0, v34, vcc
	v_add_f32_e32 v50, v50, v34
	v_cndmask_b32_e64 v35, 0, v35, s[4:5]
	v_add_f32_e32 v50, v50, v35
	ds_bpermute_b32 v51, v55, v50
	v_cmp_gt_u32_e32 vcc, 16, v64
	s_waitcnt lgkmcnt(0)
	s_barrier
	v_add_f32_e32 v50, v50, v51
	ds_bpermute_b32 v51, v56, v50
	s_and_saveexec_b64 s[4:5], vcc
	s_cbranch_execz .LBB965_13
; %bb.12:
	s_waitcnt lgkmcnt(0)
	v_add_f32_e32 v50, v50, v51
	v_lshlrev_b32_e32 v51, 2, v59
	ds_write2st64_b32 v51, v54, v50 offset1:1
.LBB965_13:
	s_or_b64 exec, exec, s[4:5]
	s_waitcnt lgkmcnt(0)
	v_lshlrev_b32_e32 v51, 2, v62
	s_load_dword s6, s[0:1], 0x94
	s_waitcnt lgkmcnt(0)
	s_barrier
	ds_read2_b32 v[52:53], v51 offset1:16
	ds_read2_b32 v[54:55], v51 offset0:32 offset1:48
	ds_read2_b32 v[56:57], v51 offset0:64 offset1:80
	s_lshl_b32 s7, s33, 1
	s_waitcnt lgkmcnt(2)
	v_max3_f32 v50, v52, s40, v53
	s_waitcnt lgkmcnt(1)
	v_max3_f32 v50, v50, v54, v55
	v_sub_f32_e32 v52, v52, v50
	v_mul_f32_e32 v52, 0x3fb8aa3b, v52
	v_exp_f32_e32 v59, v52
	v_sub_f32_e32 v52, v53, v50
	v_mul_f32_e32 v52, 0x3fb8aa3b, v52
	v_exp_f32_e32 v60, v52
	;; [unrolled: 3-line block ×3, first 2 shown]
	ds_read2_b32 v[52:53], v51 offset0:96 offset1:112
	v_sub_f32_e32 v51, v55, v50
	v_mul_f32_e32 v51, 0x3fb8aa3b, v51
	v_exp_f32_e32 v55, v51
	s_waitcnt lgkmcnt(1)
	v_fma_f32 v51, v59, v56, 0
	v_fmac_f32_e32 v51, v60, v57
	s_waitcnt lgkmcnt(0)
	v_fmac_f32_e32 v51, v54, v52
	v_fmac_f32_e32 v51, v55, v53
	v_add_f32_e32 v52, 0x358637bd, v51
	v_div_scale_f32 v53, s[4:5], v52, v52, 1.0
	v_rcp_f32_e32 v56, v53
	s_barrier
	v_fma_f32 v57, -v53, v56, 1.0
	v_fmac_f32_e32 v56, v57, v56
	v_div_scale_f32 v57, vcc, 1.0, v52, 1.0
	v_mul_f32_e32 v61, v57, v56
	v_fma_f32 v66, -v53, v61, v57
	v_fmac_f32_e32 v61, v66, v56
	v_fma_f32 v53, -v53, v61, v57
	v_div_fmas_f32 v53, v53, v56, v61
	v_cmp_eq_u32_e32 vcc, 1, v65
	v_div_fixup_f32 v52, v53, v52, 1.0
	s_nop 0
	v_cndmask_b32_e32 v53, v59, v60, vcc
	v_cmp_eq_u32_e32 vcc, 2, v65
	s_nop 1
	v_cndmask_b32_e32 v53, v53, v54, vcc
	v_cmp_eq_u32_e32 vcc, 3, v65
	s_nop 1
	v_cndmask_b32_e32 v53, v53, v55, vcc
	v_mul_f32_e32 v52, v53, v52
	v_pk_mul_f32 v[46:47], v[52:53], v[46:47] op_sel_hi:[0,1]
	v_pk_mul_f32 v[36:37], v[52:53], v[36:37] op_sel_hi:[0,1]
	v_cvt_f16_f32_e32 v53, v46
	v_cvt_f16_f32_e32 v36, v36
	;; [unrolled: 1-line block ×4, first 2 shown]
	v_pk_mul_f32 v[48:49], v[52:53], v[48:49] op_sel_hi:[0,1]
	v_pk_mul_f32 v[38:39], v[52:53], v[38:39] op_sel_hi:[0,1]
	v_cvt_f16_f32_e32 v38, v38
	v_cvt_f16_f32_e32 v39, v39
	;; [unrolled: 1-line block ×4, first 2 shown]
	v_pack_b32_f16 v46, v36, v37
	v_pack_b32_f16 v47, v53, v47
	v_lshlrev_b32_e32 v37, 3, v1
	v_lshlrev_b32_e32 v36, 5, v62
	;; [unrolled: 1-line block ×3, first 2 shown]
	v_or3_b32 v54, v53, v36, v37
	v_pack_b32_f16 v38, v38, v39
	v_pack_b32_f16 v39, v48, v49
	ds_write2st64_b64 v54, v[46:47], v[38:39] offset1:1
	v_pk_mul_f32 v[38:39], v[52:53], v[44:45] op_sel_hi:[0,1]
	v_pk_mul_f32 v[42:43], v[52:53], v[42:43] op_sel_hi:[0,1]
	v_cvt_f16_f32_e32 v37, v42
	v_cvt_f16_f32_e32 v42, v43
	;; [unrolled: 1-line block ×4, first 2 shown]
	v_pk_mul_f32 v[34:35], v[52:53], v[34:35] op_sel_hi:[0,1]
	v_pk_mul_f32 v[38:39], v[52:53], v[40:41] op_sel_hi:[0,1]
	v_cvt_f16_f32_e32 v38, v38
	v_cvt_f16_f32_e32 v39, v39
	;; [unrolled: 1-line block ×4, first 2 shown]
	v_pack_b32_f16 v34, v37, v42
	v_pack_b32_f16 v35, v43, v44
	;; [unrolled: 1-line block ×4, first 2 shown]
	v_cmp_gt_u32_e32 vcc, 2, v0
	ds_write2st64_b64 v54, v[34:35], v[38:39] offset0:2 offset1:3
	s_and_saveexec_b64 s[4:5], vcc
	s_cbranch_execz .LBB965_15
; %bb.14:
	v_or_b32_e32 v34, s23, v0
	v_mov_b32_e32 v35, 0
	v_mov_b32_e32 v37, s7
	v_mad_u64_u32 v[38:39], s[12:13], s2, v37, v[34:35]
	v_mov_b32_e32 v34, s22
	s_load_dwordx4 s[8:11], s[0:1], 0x58
	s_mul_i32 s3, s3, s7
	v_mad_u64_u32 v[34:35], s[12:13], v38, s6, v[34:35]
	v_add_u32_e32 v37, s3, v39
	v_mov_b32_e32 v38, v35
	v_mad_u64_u32 v[38:39], s[12:13], v37, s6, v[38:39]
	v_mov_b32_e32 v35, v38
	v_lshlrev_b64 v[34:35], 2, v[34:35]
	s_waitcnt lgkmcnt(0)
	v_lshl_add_u64 v[38:39], s[10:11], 0, v[34:35]
	v_lshl_add_u64 v[34:35], s[8:9], 0, v[34:35]
	global_store_dword v[38:39], v50, off
	global_store_dword v[34:35], v51, off
.LBB965_15:
	s_or_b64 exec, exec, s[4:5]
	s_waitcnt vmcnt(7)
	v_cvt_pk_f32_fp8_e32 v[34:35], v30
	v_lshl_or_b32 v50, v1, 9, v36
	v_cvt_pk_f32_fp8_sdwa v[36:37], v30 src0_sel:WORD_1
	s_waitcnt lgkmcnt(0)
	s_barrier
	v_cvt_pk_f32_fp8_e32 v[38:39], v31
	v_cvt_pkrtz_f16_f32 v30, v34, v35
	v_cvt_pk_f32_fp8_sdwa v[40:41], v31 src0_sel:WORD_1
	v_cvt_pkrtz_f16_f32 v31, v36, v37
	ds_read_b128 v[34:37], v50
	v_cvt_pkrtz_f16_f32 v46, v38, v39
	v_cvt_pkrtz_f16_f32 v47, v40, v41
	ds_read_b128 v[38:41], v50 offset:16
	v_cvt_pk_f32_fp8_e32 v[48:49], v32
	v_cvt_pk_f32_fp8_sdwa v[52:53], v32 src0_sel:WORD_1
	s_waitcnt lgkmcnt(1)
	v_mfma_f32_16x16x16_f16 v[42:45], v[30:31], v[34:35], 0
	s_waitcnt vmcnt(6)
	v_cvt_pk_f32_fp8_e32 v[56:57], v24
	v_cvt_pkrtz_f16_f32 v30, v48, v49
	v_cvt_pkrtz_f16_f32 v31, v52, v53
	v_cvt_pk_f32_fp8_e32 v[48:49], v33
	v_mfma_f32_16x16x16_f16 v[42:45], v[46:47], v[36:37], v[42:45]
	v_cvt_pk_f32_fp8_sdwa v[46:47], v33 src0_sel:WORD_1
	v_cvt_pk_f32_fp8_sdwa v[60:61], v24 src0_sel:WORD_1
	v_cvt_pkrtz_f16_f32 v48, v48, v49
	s_waitcnt lgkmcnt(0)
	v_mfma_f32_16x16x16_f16 v[30:33], v[30:31], v[38:39], v[42:45]
	v_cvt_pkrtz_f16_f32 v49, v46, v47
	s_waitcnt vmcnt(4)
	v_cvt_pk_f32_fp8_sdwa v[70:71], v4 src0_sel:WORD_1
	s_waitcnt vmcnt(3)
	v_cvt_pk_f32_fp8_sdwa v[72:73], v28 src0_sel:WORD_1
	v_cvt_pk_f32_fp8_e32 v[42:43], v22
	v_mfma_f32_16x16x16_f16 v[46:49], v[48:49], v[40:41], v[30:33]
	s_load_dword s4, s[42:43], 0x0
	v_cmp_gt_u32_e32 vcc, 64, v0
	s_nop 0
	v_cvt_pk_f32_fp8_sdwa v[30:31], v22 src0_sel:WORD_1
	v_cvt_pk_f32_fp8_e32 v[32:33], v23
	v_cvt_pkrtz_f16_f32 v22, v42, v43
	v_cvt_pk_f32_fp8_sdwa v[42:43], v23 src0_sel:WORD_1
	v_cvt_pkrtz_f16_f32 v23, v30, v31
	v_cvt_pkrtz_f16_f32 v52, v32, v33
	ds_read_b128 v[30:33], v50 offset:2048
	v_cvt_pkrtz_f16_f32 v53, v42, v43
	ds_read_b128 v[42:45], v50 offset:2064
	s_waitcnt lgkmcnt(0)
	v_mfma_f32_16x16x16_f16 v[46:49], v[22:23], v[30:31], v[46:49]
	v_cvt_pkrtz_f16_f32 v22, v56, v57
	v_cvt_pkrtz_f16_f32 v23, v60, v61
	v_cvt_pk_f32_fp8_e32 v[56:57], v25
	v_mfma_f32_16x16x16_f16 v[46:49], v[52:53], v[32:33], v[46:49]
	v_cvt_pk_f32_fp8_sdwa v[52:53], v25 src0_sel:WORD_1
	v_cvt_pk_f32_fp8_sdwa v[60:61], v12 src0_sel:WORD_1
	v_cvt_pkrtz_f16_f32 v56, v56, v57
	v_mfma_f32_16x16x16_f16 v[22:25], v[22:23], v[42:43], v[46:49]
	v_cvt_pkrtz_f16_f32 v57, v52, v53
	s_mov_b32 s3, 0
	s_nop 0
	v_cvt_pk_f32_fp8_e32 v[46:47], v10
	v_mfma_f32_16x16x16_f16 v[66:69], v[56:57], v[44:45], v[22:25]
	v_cvt_pk_f32_fp8_e32 v[56:57], v12
	s_nop 1
	v_cvt_pk_f32_fp8_sdwa v[22:23], v10 src0_sel:WORD_1
	v_cvt_pk_f32_fp8_e32 v[24:25], v11
	v_cvt_pkrtz_f16_f32 v10, v46, v47
	v_cvt_pk_f32_fp8_sdwa v[46:47], v11 src0_sel:WORD_1
	v_cvt_pkrtz_f16_f32 v11, v22, v23
	v_cvt_pkrtz_f16_f32 v52, v24, v25
	ds_read_b128 v[22:25], v50 offset:4096
	v_cvt_pkrtz_f16_f32 v53, v46, v47
	ds_read_b128 v[46:49], v50 offset:4112
	s_waitcnt lgkmcnt(1)
	v_mfma_f32_16x16x16_f16 v[66:69], v[10:11], v[22:23], v[66:69]
	v_cvt_pkrtz_f16_f32 v10, v56, v57
	v_cvt_pkrtz_f16_f32 v11, v60, v61
	v_cvt_pk_f32_fp8_e32 v[56:57], v13
	v_mfma_f32_16x16x16_f16 v[66:69], v[52:53], v[24:25], v[66:69]
	v_cvt_pk_f32_fp8_sdwa v[52:53], v13 src0_sel:WORD_1
	v_cvt_pk_f32_fp8_e32 v[60:61], v4
	v_cvt_pkrtz_f16_f32 v56, v56, v57
	s_waitcnt lgkmcnt(0)
	v_mfma_f32_16x16x16_f16 v[10:13], v[10:11], v[46:47], v[66:69]
	v_cvt_pkrtz_f16_f32 v57, v52, v53
	v_cvt_pk_f32_fp8_e32 v[52:53], v2
	s_nop 0
	v_mfma_f32_16x16x16_f16 v[66:69], v[56:57], v[48:49], v[10:13]
	s_nop 2
	v_cvt_pk_f32_fp8_sdwa v[10:11], v2 src0_sel:WORD_1
	v_cvt_pk_f32_fp8_e32 v[12:13], v3
	v_cvt_pkrtz_f16_f32 v2, v52, v53
	v_cvt_pk_f32_fp8_sdwa v[52:53], v3 src0_sel:WORD_1
	v_cvt_pkrtz_f16_f32 v3, v10, v11
	v_cvt_pkrtz_f16_f32 v56, v12, v13
	ds_read_b128 v[10:13], v50 offset:6144
	v_cvt_pkrtz_f16_f32 v57, v52, v53
	s_waitcnt lgkmcnt(0)
	v_mfma_f32_16x16x16_f16 v[66:69], v[2:3], v[10:11], v[66:69]
	ds_read_b128 v[50:53], v50 offset:6160
	v_cvt_pkrtz_f16_f32 v2, v60, v61
	v_cvt_pkrtz_f16_f32 v3, v70, v71
	v_cvt_pk_f32_fp8_e32 v[60:61], v5
	v_mfma_f32_16x16x16_f16 v[66:69], v[56:57], v[12:13], v[66:69]
	v_cvt_pk_f32_fp8_sdwa v[56:57], v5 src0_sel:WORD_1
	v_cvt_pk_f32_fp8_e32 v[70:71], v28
	v_cvt_pkrtz_f16_f32 v60, v60, v61
	s_waitcnt lgkmcnt(0)
	v_mfma_f32_16x16x16_f16 v[2:5], v[2:3], v[50:51], v[66:69]
	v_cvt_pkrtz_f16_f32 v61, v56, v57
	v_cvt_pk_f32_fp8_e32 v[56:57], v26
	s_nop 0
	v_cvt_pk_f32_fp8_sdwa v[66:67], v26 src0_sel:WORD_1
	v_mfma_f32_16x16x16_f16 v[2:5], v[60:61], v[52:53], v[2:5]
	v_cvt_pk_f32_fp8_e32 v[60:61], v27
	v_cvt_pkrtz_f16_f32 v56, v56, v57
	v_cvt_pkrtz_f16_f32 v57, v66, v67
	v_cvt_pk_f32_fp8_sdwa v[26:27], v27 src0_sel:WORD_1
	v_cvt_pkrtz_f16_f32 v60, v60, v61
	v_mfma_f32_16x16x16_f16 v[66:69], v[56:57], v[34:35], 0
	v_cvt_pkrtz_f16_f32 v61, v26, v27
	v_cvt_pkrtz_f16_f32 v26, v70, v71
	;; [unrolled: 1-line block ×3, first 2 shown]
	v_cvt_pk_f32_fp8_e32 v[56:57], v29
	v_mfma_f32_16x16x16_f16 v[34:37], v[60:61], v[36:37], v[66:69]
	v_cvt_pk_f32_fp8_sdwa v[60:61], v29 src0_sel:WORD_1
	v_cvt_pkrtz_f16_f32 v56, v56, v57
	s_barrier
	v_mfma_f32_16x16x16_f16 v[26:29], v[26:27], v[38:39], v[34:37]
	v_cvt_pkrtz_f16_f32 v57, v60, v61
	s_waitcnt vmcnt(2)
	v_cvt_pk_f32_fp8_e32 v[38:39], v19
	v_cvt_pk_f32_fp8_e32 v[34:35], v18
	v_cvt_pk_f32_fp8_sdwa v[36:37], v18 src0_sel:WORD_1
	v_cvt_pk_f32_fp8_sdwa v[18:19], v19 src0_sel:WORD_1
	v_mfma_f32_16x16x16_f16 v[26:29], v[56:57], v[40:41], v[26:29]
	v_cvt_pkrtz_f16_f32 v34, v34, v35
	v_cvt_pkrtz_f16_f32 v35, v36, v37
	;; [unrolled: 1-line block ×3, first 2 shown]
	v_cvt_pk_f32_fp8_e32 v[38:39], v20
	v_cvt_pk_f32_fp8_sdwa v[40:41], v20 src0_sel:WORD_1
	v_cvt_pkrtz_f16_f32 v37, v18, v19
	v_mfma_f32_16x16x16_f16 v[26:29], v[34:35], v[30:31], v[26:29]
	v_cvt_pkrtz_f16_f32 v30, v38, v39
	v_cvt_pkrtz_f16_f32 v31, v40, v41
	v_cvt_pk_f32_fp8_e32 v[34:35], v21
	v_cvt_pk_f32_fp8_sdwa v[38:39], v21 src0_sel:WORD_1
	v_mfma_f32_16x16x16_f16 v[18:21], v[36:37], v[32:33], v[26:29]
	s_waitcnt vmcnt(1)
	v_cvt_pk_f32_fp8_sdwa v[32:33], v16 src0_sel:WORD_1
	s_nop 0
	v_cvt_pkrtz_f16_f32 v26, v34, v35
	v_cvt_pkrtz_f16_f32 v27, v38, v39
	v_mfma_f32_16x16x16_f16 v[18:21], v[30:31], v[42:43], v[18:21]
	v_cvt_pk_f32_fp8_e32 v[28:29], v14
	v_cvt_pk_f32_fp8_sdwa v[30:31], v14 src0_sel:WORD_1
	v_cvt_pkrtz_f16_f32 v28, v28, v29
	v_mfma_f32_16x16x16_f16 v[18:21], v[26:27], v[44:45], v[18:21]
	v_cvt_pk_f32_fp8_e32 v[26:27], v15
	v_cvt_pkrtz_f16_f32 v29, v30, v31
	v_cvt_pk_f32_fp8_sdwa v[14:15], v15 src0_sel:WORD_1
	v_cvt_pk_f32_fp8_e32 v[30:31], v16
	v_cvt_pkrtz_f16_f32 v26, v26, v27
	v_mfma_f32_16x16x16_f16 v[18:21], v[28:29], v[22:23], v[18:21]
	v_cvt_pkrtz_f16_f32 v27, v14, v15
	v_cvt_pkrtz_f16_f32 v22, v30, v31
	;; [unrolled: 1-line block ×3, first 2 shown]
	v_cvt_pk_f32_fp8_e32 v[28:29], v17
	v_cvt_pk_f32_fp8_sdwa v[30:31], v17 src0_sel:WORD_1
	v_mfma_f32_16x16x16_f16 v[14:17], v[26:27], v[24:25], v[18:21]
	s_waitcnt vmcnt(0)
	v_cvt_pk_f32_fp8_sdwa v[24:25], v6 src0_sel:WORD_1
	s_nop 0
	v_pk_mul_f32 v[18:19], v[4:5], s[4:5] op_sel_hi:[1,0]
	v_cvt_pkrtz_f16_f32 v4, v28, v29
	v_cvt_pkrtz_f16_f32 v5, v30, v31
	v_mfma_f32_16x16x16_f16 v[14:17], v[22:23], v[46:47], v[14:17]
	v_cvt_pk_f32_fp8_e32 v[22:23], v6
	v_pk_mul_f32 v[20:21], v[2:3], s[4:5] op_sel_hi:[1,0]
	v_mfma_f32_16x16x16_f16 v[2:5], v[4:5], v[48:49], v[14:17]
	s_nop 3
	v_cvt_pk_f32_fp8_e32 v[14:15], v7
	v_cvt_pkrtz_f16_f32 v16, v22, v23
	v_cvt_pkrtz_f16_f32 v17, v24, v25
	v_cvt_pk_f32_fp8_sdwa v[6:7], v7 src0_sel:WORD_1
	v_cvt_pkrtz_f16_f32 v14, v14, v15
	v_cvt_pk_f32_fp8_e32 v[22:23], v8
	v_cvt_pk_f32_fp8_sdwa v[24:25], v8 src0_sel:WORD_1
	v_cvt_pkrtz_f16_f32 v15, v6, v7
	v_mfma_f32_16x16x16_f16 v[2:5], v[16:17], v[10:11], v[2:5]
	v_cvt_pkrtz_f16_f32 v6, v22, v23
	v_cvt_pkrtz_f16_f32 v7, v24, v25
	v_cvt_pk_f32_fp8_e32 v[10:11], v9
	v_cvt_pk_f32_fp8_sdwa v[8:9], v9 src0_sel:WORD_1
	v_mfma_f32_16x16x16_f16 v[2:5], v[14:15], v[12:13], v[2:5]
	v_cvt_f16_f32_e32 v12, v20
	v_cvt_pkrtz_f16_f32 v10, v10, v11
	v_cvt_pkrtz_f16_f32 v11, v8, v9
	v_mfma_f32_16x16x16_f16 v[2:5], v[6:7], v[50:51], v[2:5]
	v_cvt_f16_f32_e32 v6, v21
	v_cvt_f16_f32_e32 v7, v18
	;; [unrolled: 1-line block ×3, first 2 shown]
	v_mfma_f32_16x16x16_f16 v[2:5], v[10:11], v[52:53], v[2:5]
	s_nop 6
	v_pk_mul_f32 v[4:5], v[4:5], s[4:5] op_sel_hi:[1,0]
	v_pk_mul_f32 v[2:3], v[2:3], s[4:5] op_sel_hi:[1,0]
	v_cvt_f16_f32_e32 v11, v4
	v_cvt_f16_f32_e32 v9, v2
	;; [unrolled: 1-line block ×4, first 2 shown]
	v_cmp_gt_u32_e64 s[4:5], 32, v64
	v_pack_b32_f16 v2, v12, v6
	v_pack_b32_f16 v3, v7, v8
	;; [unrolled: 1-line block ×4, first 2 shown]
	s_and_b64 s[4:5], vcc, s[4:5]
	ds_write2st64_b64 v54, v[2:3], v[4:5] offset1:1
	s_waitcnt lgkmcnt(0)
	s_barrier
	s_and_saveexec_b64 s[8:9], s[4:5]
	s_cbranch_execz .LBB965_17
; %bb.16:
	s_load_dwordx2 s[0:1], s[0:1], 0x68
	s_mul_i32 s2, s7, s2
	s_lshl_b32 s6, s6, 7
	v_lshlrev_b32_e32 v4, 6, v62
	s_mul_hi_u32 s5, s2, s6
	s_mul_i32 s4, s2, s6
	v_lshl_or_b32 v0, v0, 10, v4
	s_lshl_b64 s[4:5], s[4:5], 1
	v_lshlrev_b32_e32 v2, 5, v1
	v_and_b32_e32 v3, 16, v63
	v_and_b32_e32 v0, 0x1a00, v0
	s_waitcnt lgkmcnt(0)
	s_add_u32 s4, s0, s4
	v_or3_b32 v0, v0, v2, v3
	s_addc_u32 s5, s1, s5
	s_lshl_b32 s2, s22, 7
	ds_read_b128 v[2:5], v0
	s_lshl_b64 s[0:1], s[2:3], 1
	s_add_u32 s0, s4, s0
	v_or_b32_e32 v0, s23, v1
	s_addc_u32 s1, s5, s1
	v_mad_u64_u32 v[0:1], s[2:3], s6, v0, 0
	v_lshl_add_u64 v[0:1], v[0:1], 1, s[0:1]
	v_mov_b32_e32 v59, 0
	v_lshl_add_u64 v[0:1], v[0:1], 0, v[58:59]
	s_waitcnt lgkmcnt(0)
	global_store_dwordx4 v[0:1], v[2:5], off
.LBB965_17:
	s_endpgm
	.section	.rodata,"a",@progbits
	.p2align	6, 0x0
	.amdhsa_kernel _Z39paged_attention_ll4mi_QKV_mfma16_kernelIDF16_hLN4vllm18Fp8KVCacheDataTypeE1EhLi16ELi128ELi256ELb0ELi2EEvPKT_PKT0_S7_ifPKiS9_S9_iPKfiiiPfSC_PS2_PT2_iSB_SB_
		.amdhsa_group_segment_fixed_size 8192
		.amdhsa_private_segment_fixed_size 0
		.amdhsa_kernarg_size 400
		.amdhsa_user_sgpr_count 2
		.amdhsa_user_sgpr_dispatch_ptr 0
		.amdhsa_user_sgpr_queue_ptr 0
		.amdhsa_user_sgpr_kernarg_segment_ptr 1
		.amdhsa_user_sgpr_dispatch_id 0
		.amdhsa_user_sgpr_kernarg_preload_length 0
		.amdhsa_user_sgpr_kernarg_preload_offset 0
		.amdhsa_user_sgpr_private_segment_size 0
		.amdhsa_uses_dynamic_stack 0
		.amdhsa_enable_private_segment 0
		.amdhsa_system_sgpr_workgroup_id_x 1
		.amdhsa_system_sgpr_workgroup_id_y 1
		.amdhsa_system_sgpr_workgroup_id_z 1
		.amdhsa_system_sgpr_workgroup_info 0
		.amdhsa_system_vgpr_workitem_id 0
		.amdhsa_next_free_vgpr 90
		.amdhsa_next_free_sgpr 48
		.amdhsa_accum_offset 92
		.amdhsa_reserve_vcc 1
		.amdhsa_float_round_mode_32 0
		.amdhsa_float_round_mode_16_64 0
		.amdhsa_float_denorm_mode_32 3
		.amdhsa_float_denorm_mode_16_64 3
		.amdhsa_dx10_clamp 1
		.amdhsa_ieee_mode 1
		.amdhsa_fp16_overflow 0
		.amdhsa_tg_split 0
		.amdhsa_exception_fp_ieee_invalid_op 0
		.amdhsa_exception_fp_denorm_src 0
		.amdhsa_exception_fp_ieee_div_zero 0
		.amdhsa_exception_fp_ieee_overflow 0
		.amdhsa_exception_fp_ieee_underflow 0
		.amdhsa_exception_fp_ieee_inexact 0
		.amdhsa_exception_int_div_zero 0
	.end_amdhsa_kernel
	.section	.text._Z39paged_attention_ll4mi_QKV_mfma16_kernelIDF16_hLN4vllm18Fp8KVCacheDataTypeE1EhLi16ELi128ELi256ELb0ELi2EEvPKT_PKT0_S7_ifPKiS9_S9_iPKfiiiPfSC_PS2_PT2_iSB_SB_,"axG",@progbits,_Z39paged_attention_ll4mi_QKV_mfma16_kernelIDF16_hLN4vllm18Fp8KVCacheDataTypeE1EhLi16ELi128ELi256ELb0ELi2EEvPKT_PKT0_S7_ifPKiS9_S9_iPKfiiiPfSC_PS2_PT2_iSB_SB_,comdat
.Lfunc_end965:
	.size	_Z39paged_attention_ll4mi_QKV_mfma16_kernelIDF16_hLN4vllm18Fp8KVCacheDataTypeE1EhLi16ELi128ELi256ELb0ELi2EEvPKT_PKT0_S7_ifPKiS9_S9_iPKfiiiPfSC_PS2_PT2_iSB_SB_, .Lfunc_end965-_Z39paged_attention_ll4mi_QKV_mfma16_kernelIDF16_hLN4vllm18Fp8KVCacheDataTypeE1EhLi16ELi128ELi256ELb0ELi2EEvPKT_PKT0_S7_ifPKiS9_S9_iPKfiiiPfSC_PS2_PT2_iSB_SB_
                                        ; -- End function
	.section	.AMDGPU.csdata,"",@progbits
; Kernel info:
; codeLenInByte = 5944
; NumSgprs: 54
; NumVgprs: 90
; NumAgprs: 0
; TotalNumVgprs: 90
; ScratchSize: 0
; MemoryBound: 0
; FloatMode: 240
; IeeeMode: 1
; LDSByteSize: 8192 bytes/workgroup (compile time only)
; SGPRBlocks: 6
; VGPRBlocks: 11
; NumSGPRsForWavesPerEU: 54
; NumVGPRsForWavesPerEU: 90
; AccumOffset: 92
; Occupancy: 5
; WaveLimiterHint : 1
; COMPUTE_PGM_RSRC2:SCRATCH_EN: 0
; COMPUTE_PGM_RSRC2:USER_SGPR: 2
; COMPUTE_PGM_RSRC2:TRAP_HANDLER: 0
; COMPUTE_PGM_RSRC2:TGID_X_EN: 1
; COMPUTE_PGM_RSRC2:TGID_Y_EN: 1
; COMPUTE_PGM_RSRC2:TGID_Z_EN: 1
; COMPUTE_PGM_RSRC2:TIDIG_COMP_CNT: 0
; COMPUTE_PGM_RSRC3_GFX90A:ACCUM_OFFSET: 22
; COMPUTE_PGM_RSRC3_GFX90A:TG_SPLIT: 0
	.section	.text._Z39paged_attention_ll4mi_QKV_mfma16_kernelIDF16_hLN4vllm18Fp8KVCacheDataTypeE1EhLi16ELi128ELi256ELb0ELi3EEvPKT_PKT0_S7_ifPKiS9_S9_iPKfiiiPfSC_PS2_PT2_iSB_SB_,"axG",@progbits,_Z39paged_attention_ll4mi_QKV_mfma16_kernelIDF16_hLN4vllm18Fp8KVCacheDataTypeE1EhLi16ELi128ELi256ELb0ELi3EEvPKT_PKT0_S7_ifPKiS9_S9_iPKfiiiPfSC_PS2_PT2_iSB_SB_,comdat
	.protected	_Z39paged_attention_ll4mi_QKV_mfma16_kernelIDF16_hLN4vllm18Fp8KVCacheDataTypeE1EhLi16ELi128ELi256ELb0ELi3EEvPKT_PKT0_S7_ifPKiS9_S9_iPKfiiiPfSC_PS2_PT2_iSB_SB_ ; -- Begin function _Z39paged_attention_ll4mi_QKV_mfma16_kernelIDF16_hLN4vllm18Fp8KVCacheDataTypeE1EhLi16ELi128ELi256ELb0ELi3EEvPKT_PKT0_S7_ifPKiS9_S9_iPKfiiiPfSC_PS2_PT2_iSB_SB_
	.globl	_Z39paged_attention_ll4mi_QKV_mfma16_kernelIDF16_hLN4vllm18Fp8KVCacheDataTypeE1EhLi16ELi128ELi256ELb0ELi3EEvPKT_PKT0_S7_ifPKiS9_S9_iPKfiiiPfSC_PS2_PT2_iSB_SB_
	.p2align	8
	.type	_Z39paged_attention_ll4mi_QKV_mfma16_kernelIDF16_hLN4vllm18Fp8KVCacheDataTypeE1EhLi16ELi128ELi256ELb0ELi3EEvPKT_PKT0_S7_ifPKiS9_S9_iPKfiiiPfSC_PS2_PT2_iSB_SB_,@function
_Z39paged_attention_ll4mi_QKV_mfma16_kernelIDF16_hLN4vllm18Fp8KVCacheDataTypeE1EhLi16ELi128ELi256ELb0ELi3EEvPKT_PKT0_S7_ifPKiS9_S9_iPKfiiiPfSC_PS2_PT2_iSB_SB_: ; @_Z39paged_attention_ll4mi_QKV_mfma16_kernelIDF16_hLN4vllm18Fp8KVCacheDataTypeE1EhLi16ELi128ELi256ELb0ELi3EEvPKT_PKT0_S7_ifPKiS9_S9_iPKfiiiPfSC_PS2_PT2_iSB_SB_
; %bb.0:
	s_load_dwordx2 s[12:13], s[0:1], 0x30
	s_mov_b32 s24, s3
	s_mov_b64 s[6:7], 0
	s_waitcnt lgkmcnt(0)
	s_cmp_lg_u64 s[12:13], 0
	s_cselect_b64 s[14:15], -1, 0
	s_and_b64 vcc, exec, s[14:15]
	s_cbranch_vccz .LBB966_7
; %bb.1:
	s_add_i32 s8, s2, 1
	s_mov_b32 s9, 0
	s_lshl_b64 s[10:11], s[8:9], 2
	s_add_u32 s10, s12, s10
	s_mov_b32 s3, s9
	s_addc_u32 s11, s13, s11
	s_lshl_b64 s[8:9], s[2:3], 2
	s_add_u32 s8, s12, s8
	s_addc_u32 s9, s13, s9
	s_load_dword s5, s[10:11], 0x0
	s_load_dword s16, s[8:9], 0x0
	s_waitcnt lgkmcnt(0)
	s_sub_i32 s5, s5, s16
	s_cmp_eq_u32 s5, 1
	s_cselect_b64 s[8:9], -1, 0
	s_andn2_b64 vcc, exec, s[6:7]
	s_cbranch_vccnz .LBB966_3
.LBB966_2:
	s_mov_b32 s3, 0
	s_mov_b64 s[8:9], -1
.LBB966_3:
	s_andn2_b64 vcc, exec, s[8:9]
	s_cbranch_vccnz .LBB966_17
; %bb.4:
	s_load_dwordx2 s[6:7], s[0:1], 0x28
	s_lshl_b64 s[16:17], s[2:3], 2
	s_waitcnt lgkmcnt(0)
	s_add_u32 s6, s6, s16
	s_addc_u32 s7, s7, s17
	s_load_dword s33, s[6:7], 0x0
	s_lshl_b32 s18, s24, 8
	s_waitcnt lgkmcnt(0)
	s_cmp_ge_i32 s18, s33
	s_cbranch_scc1 .LBB966_17
; %bb.5:
	s_load_dwordx2 s[6:7], s[0:1], 0x20
	s_load_dword s8, s[0:1], 0x38
	s_add_i32 s5, s33, 15
	s_ashr_i32 s9, s5, 31
	v_and_b32_e32 v1, 0xcf, v0
	s_lshr_b32 s9, s9, 28
	v_add_u32_e32 v1, s18, v1
	s_add_i32 s5, s5, s9
	v_ashrrev_i32_e32 v2, 31, v1
	s_ashr_i32 s5, s5, 4
	v_lshrrev_b32_e32 v10, 28, v2
	s_add_i32 s5, s5, -1
	s_waitcnt lgkmcnt(0)
	s_mul_i32 s8, s2, s8
	s_mov_b32 s9, 0
	v_add_u32_e32 v2, v1, v10
	s_lshl_b64 s[8:9], s[8:9], 2
	v_ashrrev_i32_e32 v2, 4, v2
	v_mov_b32_e32 v11, s5
	v_cmp_gt_i32_e32 vcc, s33, v1
	s_add_u32 s6, s6, s8
	s_addc_u32 s7, s7, s9
	v_cndmask_b32_e32 v2, v11, v2, vcc
	v_ashrrev_i32_e32 v3, 31, v2
	v_lshl_add_u64 v[4:5], v[2:3], 2, s[6:7]
	v_or_b32_e32 v2, 16, v1
	v_add_u32_e32 v3, v2, v10
	v_ashrrev_i32_e32 v3, 4, v3
	v_cmp_gt_i32_e32 vcc, s33, v2
	s_load_dwordx4 s[8:11], s[0:1], 0x8
	s_nop 0
	v_cndmask_b32_e32 v2, v11, v3, vcc
	v_ashrrev_i32_e32 v3, 31, v2
	v_lshl_add_u64 v[6:7], v[2:3], 2, s[6:7]
	v_or_b32_e32 v2, 32, v1
	v_add_u32_e32 v3, v2, v10
	v_ashrrev_i32_e32 v3, 4, v3
	v_cmp_gt_i32_e32 vcc, s33, v2
	v_or_b32_e32 v1, 48, v1
	s_nop 0
	v_cndmask_b32_e32 v2, v11, v3, vcc
	v_ashrrev_i32_e32 v3, 31, v2
	v_lshl_add_u64 v[8:9], v[2:3], 2, s[6:7]
	v_add_u32_e32 v2, v1, v10
	v_ashrrev_i32_e32 v2, 4, v2
	v_cmp_gt_i32_e32 vcc, s33, v1
	s_nop 1
	v_cndmask_b32_e32 v2, v11, v2, vcc
	v_ashrrev_i32_e32 v3, 31, v2
	v_lshl_add_u64 v[10:11], v[2:3], 2, s[6:7]
	global_load_dword v3, v[4:5], off
	global_load_dword v2, v[6:7], off
	;; [unrolled: 1-line block ×4, first 2 shown]
	s_andn2_b64 vcc, exec, s[14:15]
	s_cbranch_vccnz .LBB966_8
; %bb.6:
	s_add_u32 s12, s12, s16
	s_addc_u32 s13, s13, s17
	s_load_dword s14, s[12:13], 0x0
	s_branch .LBB966_9
.LBB966_7:
	s_mov_b64 s[8:9], 0
	s_branch .LBB966_2
.LBB966_8:
	s_mov_b32 s14, s2
.LBB966_9:
	s_load_dwordx4 s[44:47], s[0:1], 0x48
	v_lshrrev_b32_e32 v61, 6, v0
	v_bfe_u32 v64, v0, 4, 2
	v_and_b32_e32 v60, 15, v0
	s_mul_i32 s48, s4, 3
	v_lshl_or_b32 v4, v61, 2, v64
	v_lshlrev_b32_e32 v5, 3, v60
	v_and_b32_e32 v66, 63, v0
	v_add_u32_e32 v1, s48, v64
	v_cmp_gt_u32_e32 vcc, 3, v4
	v_lshlrev_b32_e32 v58, 1, v5
	v_lshlrev_b32_e32 v65, 4, v0
	s_and_saveexec_b64 s[12:13], vcc
	s_cbranch_execz .LBB966_11
; %bb.10:
	s_load_dwordx2 s[16:17], s[0:1], 0x0
	s_waitcnt lgkmcnt(0)
	s_ashr_i32 s15, s44, 31
	s_mul_hi_u32 s19, s14, s44
	s_mul_i32 s15, s14, s15
	s_add_i32 s15, s19, s15
	s_mul_i32 s14, s14, s44
	s_lshl_b64 s[14:15], s[14:15], 1
	s_add_u32 s14, s16, s14
	v_lshlrev_b32_e32 v6, 7, v1
	s_addc_u32 s15, s17, s15
	v_ashrrev_i32_e32 v7, 31, v6
	v_lshl_add_u64 v[6:7], v[6:7], 1, s[14:15]
	v_mov_b32_e32 v59, 0
	v_lshl_add_u64 v[6:7], v[6:7], 0, v[58:59]
	global_load_dwordx4 v[6:9], v[6:7], off
	v_lshlrev_b32_e32 v10, 8, v0
	v_lshlrev_b32_e32 v5, 8, v60
	v_and_b32_e32 v10, 0x600, v10
	s_movk_i32 s14, 0x800
	v_and_or_b32 v5, v5, s14, v10
	v_lshlrev_b32_e32 v4, 5, v4
	v_and_b32_e32 v10, 16, v65
	v_or3_b32 v4, v5, v4, v10
	s_waitcnt vmcnt(0)
	ds_write_b128 v4, v[6:9]
.LBB966_11:
	s_or_b64 exec, exec, s[12:13]
	s_waitcnt lgkmcnt(0)
	s_mul_i32 s4, s4, s46
	s_add_u32 s8, s8, s4
	s_addc_u32 s9, s9, 0
	v_and_b32_e32 v62, 0xf0, v65
	v_mov_b32_e32 v63, 0
	v_and_b32_e32 v16, 48, v0
	v_lshl_add_u64 v[6:7], s[8:9], 0, v[62:63]
	v_lshlrev_b32_e32 v62, 4, v16
	s_waitcnt vmcnt(3)
	v_mad_i64_i32 v[4:5], s[8:9], v3, s45, v[6:7]
	v_lshl_add_u64 v[4:5], v[4:5], 0, v[62:63]
	s_load_dword s25, s[0:1], 0x98
	s_load_dwordx4 s[40:43], s[0:1], 0x80
	s_waitcnt lgkmcnt(0)
	s_barrier
	global_load_dwordx4 v[22:25], v[4:5], off
	global_load_dwordx4 v[10:13], v[4:5], off offset:1024
	s_waitcnt vmcnt(4)
	v_mad_i64_i32 v[2:3], s[12:13], v2, s45, v[6:7]
	v_lshl_add_u64 v[8:9], v[2:3], 0, v[62:63]
	global_load_dwordx4 v[2:5], v[8:9], off
	v_mul_lo_u16_e32 v17, 0x56, v60
	v_mov_b32_e32 v18, 3
	v_or_b32_e32 v16, s18, v16
	v_mov_b32_e32 v20, s5
	v_mul_lo_u16_sdwa v17, v17, v18 dst_sel:DWORD dst_unused:UNUSED_PAD src0_sel:BYTE_1 src1_sel:DWORD
	v_ashrrev_i32_e32 v18, 4, v16
	v_or_b32_e32 v21, 64, v16
	v_cmp_gt_i32_e32 vcc, s33, v16
	v_mov_b32_e32 v19, 5
	v_sub_u16_e32 v17, v60, v17
	v_or_b32_e32 v26, 0x80, v16
	v_or_b32_e32 v27, 0xc0, v16
	v_cndmask_b32_e32 v40, v20, v18, vcc
	v_ashrrev_i32_e32 v16, 4, v21
	v_cmp_gt_i32_e32 vcc, s33, v21
	v_lshlrev_b32_sdwa v17, v19, v17 dst_sel:DWORD dst_unused:UNUSED_PAD src0_sel:DWORD src1_sel:BYTE_0
	v_ashrrev_i32_e32 v18, 4, v26
	v_cndmask_b32_e32 v44, v20, v16, vcc
	v_cmp_gt_i32_e32 vcc, s33, v26
	v_ashrrev_i32_e32 v19, 4, v27
	v_lshl_add_u32 v36, v64, 9, v17
	v_cndmask_b32_e32 v46, v20, v18, vcc
	v_cmp_gt_i32_e32 vcc, s33, v27
	s_waitcnt vmcnt(4)
	v_mad_i64_i32 v[34:35], s[12:13], v14, s45, v[6:7]
	v_cndmask_b32_e32 v38, v20, v19, vcc
	ds_read_b128 v[26:29], v36
	ds_read_b128 v[18:21], v36 offset:16
	global_load_dwordx4 v[30:33], v[8:9], off offset:1024
	s_waitcnt vmcnt(4)
	v_mad_i64_i32 v[42:43], s[12:13], v15, s45, v[6:7]
	v_ashrrev_i32_e32 v41, 31, v40
	ds_read_b128 v[14:17], v36 offset:2048
	ds_read_b128 v[6:9], v36 offset:2064
	v_lshl_add_u64 v[36:37], v[34:35], 0, v[62:63]
	v_lshl_add_u64 v[34:35], v[42:43], 0, v[62:63]
	v_ashrrev_i32_e32 v45, 31, v44
	v_ashrrev_i32_e32 v47, 31, v46
	;; [unrolled: 1-line block ×3, first 2 shown]
	v_lshl_add_u64 v[50:51], v[40:41], 2, s[6:7]
	v_lshl_add_u64 v[52:53], v[44:45], 2, s[6:7]
	;; [unrolled: 1-line block ×4, first 2 shown]
	global_load_dwordx4 v[46:49], v[36:37], off
	global_load_dwordx4 v[42:45], v[36:37], off offset:1024
	global_load_dwordx4 v[38:41], v[34:35], off
	s_nop 0
	global_load_dwordx4 v[34:37], v[34:35], off offset:1024
	s_nop 0
	global_load_dword v70, v[50:51], off
	global_load_dword v69, v[52:53], off
	;; [unrolled: 1-line block ×4, first 2 shown]
	s_add_u32 s4, s10, s4
	v_lshl_or_b32 v59, v61, 4, v60
	s_addc_u32 s5, s11, 0
	v_lshlrev_b32_e32 v62, 4, v59
	s_load_dword s8, s[0:1], 0x1c
	s_waitcnt vmcnt(11)
	v_cvt_pk_f32_fp8_e32 v[50:51], v22
	v_cvt_pk_f32_fp8_sdwa v[52:53], v22 src0_sel:WORD_1
	v_cvt_pk_f32_fp8_e32 v[54:55], v23
	v_cvt_pk_f32_fp8_sdwa v[22:23], v23 src0_sel:WORD_1
	s_waitcnt vmcnt(10)
	v_cvt_pk_f32_fp8_e32 v[78:79], v10
	v_cvt_pk_f32_fp8_sdwa v[80:81], v10 src0_sel:WORD_1
	v_cvt_pk_f32_fp8_e32 v[82:83], v11
	v_cvt_pk_f32_fp8_sdwa v[84:85], v11 src0_sel:WORD_1
	v_cvt_pkrtz_f16_f32 v10, v50, v51
	v_cvt_pkrtz_f16_f32 v11, v52, v53
	v_cvt_pk_f32_fp8_e32 v[56:57], v24
	v_cvt_pk_f32_fp8_sdwa v[72:73], v24 src0_sel:WORD_1
	v_cvt_pkrtz_f16_f32 v54, v54, v55
	v_cvt_pkrtz_f16_f32 v55, v22, v23
	v_cvt_pk_f32_fp8_e32 v[74:75], v25
	v_cvt_pk_f32_fp8_sdwa v[76:77], v25 src0_sel:WORD_1
	s_waitcnt lgkmcnt(0)
	v_mfma_f32_16x16x16_f16 v[22:25], v[10:11], v[26:27], 0
	v_cvt_pkrtz_f16_f32 v10, v56, v57
	v_cvt_pkrtz_f16_f32 v11, v72, v73
	;; [unrolled: 1-line block ×3, first 2 shown]
	v_mfma_f32_16x16x16_f16 v[22:25], v[54:55], v[28:29], v[22:25]
	v_cvt_pkrtz_f16_f32 v57, v76, v77
	v_cvt_pk_f32_fp8_e32 v[50:51], v12
	v_cvt_pk_f32_fp8_sdwa v[52:53], v12 src0_sel:WORD_1
	v_cvt_pk_f32_fp8_e32 v[86:87], v13
	v_cvt_pk_f32_fp8_sdwa v[54:55], v13 src0_sel:WORD_1
	v_mfma_f32_16x16x16_f16 v[10:13], v[10:11], v[18:19], v[22:25]
	v_cvt_pkrtz_f16_f32 v72, v82, v83
	v_cvt_pkrtz_f16_f32 v73, v84, v85
	;; [unrolled: 1-line block ×5, first 2 shown]
	v_mfma_f32_16x16x16_f16 v[10:13], v[56:57], v[20:21], v[10:13]
	s_waitcnt vmcnt(9)
	v_cvt_pk_f32_fp8_e32 v[22:23], v2
	v_cvt_pk_f32_fp8_sdwa v[56:57], v2 src0_sel:WORD_1
	v_cvt_pkrtz_f16_f32 v51, v52, v53
	v_mfma_f32_16x16x16_f16 v[10:13], v[24:25], v[14:15], v[10:13]
	v_cvt_pk_f32_fp8_e32 v[24:25], v3
	v_cvt_pk_f32_fp8_sdwa v[2:3], v3 src0_sel:WORD_1
	v_cvt_pkrtz_f16_f32 v52, v86, v87
	v_mfma_f32_16x16x16_f16 v[10:13], v[72:73], v[16:17], v[10:13]
	v_cvt_pkrtz_f16_f32 v53, v54, v55
	v_cvt_pkrtz_f16_f32 v22, v22, v23
	;; [unrolled: 1-line block ×3, first 2 shown]
	v_mfma_f32_16x16x16_f16 v[10:13], v[50:51], v[6:7], v[10:13]
	v_cvt_pk_f32_fp8_e32 v[54:55], v4
	v_cvt_pk_f32_fp8_sdwa v[56:57], v4 src0_sel:WORD_1
	v_cvt_pkrtz_f16_f32 v24, v24, v25
	v_cvt_pkrtz_f16_f32 v25, v2, v3
	v_mfma_f32_16x16x16_f16 v[50:53], v[52:53], v[8:9], v[10:13]
	s_waitcnt vmcnt(7)
	v_cvt_pk_f32_fp8_e32 v[74:75], v49
	v_lshl_add_u64 v[72:73], s[4:5], 0, v[62:63]
	s_waitcnt vmcnt(6)
	v_cvt_pk_f32_fp8_sdwa v[78:79], v44 src0_sel:WORD_1
	v_mfma_f32_16x16x16_f16 v[10:13], v[22:23], v[26:27], 0
	v_cvt_pkrtz_f16_f32 v22, v54, v55
	v_cvt_pkrtz_f16_f32 v23, v56, v57
	v_cvt_pk_f32_fp8_e32 v[54:55], v5
	v_cvt_pk_f32_fp8_sdwa v[56:57], v5 src0_sel:WORD_1
	v_mfma_f32_16x16x16_f16 v[2:5], v[24:25], v[28:29], v[10:13]
	v_cvt_pk_f32_fp8_e32 v[24:25], v32
	v_or_b32_e32 v62, 0x400, v62
	s_nop 0
	v_cvt_pkrtz_f16_f32 v10, v54, v55
	v_cvt_pkrtz_f16_f32 v11, v56, v57
	v_mfma_f32_16x16x16_f16 v[2:5], v[22:23], v[18:19], v[2:5]
	v_cvt_pk_f32_fp8_e32 v[12:13], v30
	v_cvt_pk_f32_fp8_sdwa v[22:23], v30 src0_sel:WORD_1
	v_cvt_pkrtz_f16_f32 v12, v12, v13
	v_mfma_f32_16x16x16_f16 v[2:5], v[10:11], v[20:21], v[2:5]
	v_cvt_pk_f32_fp8_e32 v[10:11], v31
	v_cvt_pkrtz_f16_f32 v13, v22, v23
	v_cvt_pk_f32_fp8_sdwa v[22:23], v31 src0_sel:WORD_1
	v_cvt_pk_f32_fp8_sdwa v[30:31], v32 src0_sel:WORD_1
	v_cvt_pkrtz_f16_f32 v10, v10, v11
	v_mfma_f32_16x16x16_f16 v[2:5], v[12:13], v[14:15], v[2:5]
	v_cvt_pkrtz_f16_f32 v11, v22, v23
	v_cvt_pkrtz_f16_f32 v12, v24, v25
	;; [unrolled: 1-line block ×3, first 2 shown]
	v_cvt_pk_f32_fp8_e32 v[22:23], v33
	v_cvt_pk_f32_fp8_sdwa v[24:25], v33 src0_sel:WORD_1
	v_mfma_f32_16x16x16_f16 v[2:5], v[10:11], v[16:17], v[2:5]
	v_cvt_pkrtz_f16_f32 v10, v22, v23
	v_cvt_pkrtz_f16_f32 v11, v24, v25
	v_mfma_f32_16x16x16_f16 v[2:5], v[12:13], v[6:7], v[2:5]
	v_cvt_pk_f32_fp8_e32 v[12:13], v46
	v_cvt_pk_f32_fp8_sdwa v[22:23], v46 src0_sel:WORD_1
	v_cvt_pk_f32_fp8_sdwa v[24:25], v48 src0_sel:WORD_1
	v_mfma_f32_16x16x16_f16 v[54:57], v[10:11], v[8:9], v[2:5]
	v_cvt_pk_f32_fp8_sdwa v[10:11], v47 src0_sel:WORD_1
	s_nop 1
	v_cvt_pkrtz_f16_f32 v2, v12, v13
	v_cvt_pkrtz_f16_f32 v3, v22, v23
	v_cvt_pk_f32_fp8_e32 v[4:5], v47
	v_cvt_pkrtz_f16_f32 v23, v10, v11
	v_cvt_pk_f32_fp8_e32 v[10:11], v48
	v_cvt_pk_f32_fp8_sdwa v[48:49], v49 src0_sel:WORD_1
	v_cvt_pkrtz_f16_f32 v22, v4, v5
	v_mfma_f32_16x16x16_f16 v[2:5], v[2:3], v[26:27], 0
	v_cvt_pkrtz_f16_f32 v10, v10, v11
	v_cvt_pkrtz_f16_f32 v11, v24, v25
	s_waitcnt vmcnt(3)
	v_mad_i64_i32 v[12:13], s[6:7], v70, s45, v[72:73]
	v_mfma_f32_16x16x16_f16 v[2:5], v[22:23], v[28:29], v[2:5]
	s_waitcnt vmcnt(2)
	v_mad_i64_i32 v[46:47], s[6:7], v69, s45, v[72:73]
	global_load_dwordx4 v[30:33], v[12:13], off
	global_load_dwordx4 v[22:25], v[46:47], off
	v_cvt_pkrtz_f16_f32 v12, v74, v75
	v_cvt_pkrtz_f16_f32 v13, v48, v49
	v_mfma_f32_16x16x16_f16 v[2:5], v[10:11], v[18:19], v[2:5]
	v_cvt_pk_f32_fp8_e32 v[10:11], v42
	v_cvt_pk_f32_fp8_sdwa v[46:47], v42 src0_sel:WORD_1
	s_waitcnt vmcnt(3)
	v_mad_i64_i32 v[74:75], s[6:7], v68, s45, v[72:73]
	v_mfma_f32_16x16x16_f16 v[2:5], v[12:13], v[20:21], v[2:5]
	v_cvt_pkrtz_f16_f32 v10, v10, v11
	v_cvt_pkrtz_f16_f32 v11, v46, v47
	v_cvt_pk_f32_fp8_e32 v[12:13], v43
	v_cvt_pk_f32_fp8_sdwa v[42:43], v43 src0_sel:WORD_1
	v_mfma_f32_16x16x16_f16 v[46:49], v[10:11], v[14:15], v[2:5]
	v_cvt_pkrtz_f16_f32 v76, v12, v13
	v_cvt_pkrtz_f16_f32 v77, v42, v43
	v_cvt_pk_f32_fp8_e32 v[42:43], v44
	s_waitcnt vmcnt(2)
	v_mad_i64_i32 v[72:73], s[6:7], v67, s45, v[72:73]
	global_load_dwordx4 v[10:13], v[74:75], off
	global_load_dwordx4 v[2:5], v[72:73], off
	v_cvt_pkrtz_f16_f32 v72, v42, v43
	v_cvt_pkrtz_f16_f32 v73, v78, v79
	v_cvt_pk_f32_fp8_e32 v[74:75], v45
	v_cvt_pk_f32_fp8_sdwa v[78:79], v45 src0_sel:WORD_1
	v_mfma_f32_16x16x16_f16 v[44:47], v[76:77], v[16:17], v[46:49]
	v_lshl_add_u64 v[42:43], s[4:5], 0, v[62:63]
	v_cvt_pk_f32_fp8_e32 v[62:63], v38
	v_cvt_pk_f32_fp8_sdwa v[76:77], v38 src0_sel:WORD_1
	v_cvt_pkrtz_f16_f32 v48, v74, v75
	v_cvt_pkrtz_f16_f32 v49, v78, v79
	v_mfma_f32_16x16x16_f16 v[44:47], v[72:73], v[6:7], v[44:47]
	s_load_dword s4, s[40:41], 0x0
	s_mov_b32 s40, 0xff7fffff
	v_mfma_f32_16x16x16_f16 v[72:75], v[48:49], v[8:9], v[44:47]
	s_nop 3
	v_cvt_pk_f32_fp8_e32 v[44:45], v39
	v_cvt_pkrtz_f16_f32 v46, v62, v63
	v_cvt_pkrtz_f16_f32 v47, v76, v77
	v_cvt_pk_f32_fp8_sdwa v[38:39], v39 src0_sel:WORD_1
	v_cvt_pkrtz_f16_f32 v48, v44, v45
	v_cvt_pk_f32_fp8_e32 v[62:63], v40
	v_cvt_pk_f32_fp8_sdwa v[76:77], v40 src0_sel:WORD_1
	v_cvt_pkrtz_f16_f32 v49, v38, v39
	v_mfma_f32_16x16x16_f16 v[44:47], v[46:47], v[26:27], 0
	v_cvt_pkrtz_f16_f32 v38, v62, v63
	v_cvt_pkrtz_f16_f32 v39, v76, v77
	v_cvt_pk_f32_fp8_e32 v[62:63], v41
	v_cvt_pk_f32_fp8_sdwa v[76:77], v41 src0_sel:WORD_1
	v_mov_b32_e32 v26, s8
	s_waitcnt lgkmcnt(0)
	v_mul_f32_e32 v78, s4, v26
	v_mfma_f32_16x16x16_f16 v[26:29], v[48:49], v[28:29], v[44:47]
	v_cvt_pk_f32_fp8_sdwa v[48:49], v37 src0_sel:WORD_1
	v_pk_mul_f32 v[40:41], v[78:79], v[52:53] op_sel_hi:[0,1]
	v_pk_mul_f32 v[52:53], v[78:79], v[54:55] op_sel_hi:[0,1]
	v_cvt_pkrtz_f16_f32 v46, v62, v63
	v_cvt_pkrtz_f16_f32 v47, v76, v77
	v_mfma_f32_16x16x16_f16 v[26:29], v[38:39], v[18:19], v[26:29]
	v_cvt_pk_f32_fp8_e32 v[18:19], v34
	v_cvt_pk_f32_fp8_sdwa v[38:39], v34 src0_sel:WORD_1
	v_pk_mul_f32 v[44:45], v[78:79], v[50:51] op_sel_hi:[0,1]
	v_mfma_f32_16x16x16_f16 v[26:29], v[46:47], v[20:21], v[26:29]
	v_cvt_pkrtz_f16_f32 v20, v18, v19
	v_cvt_pkrtz_f16_f32 v21, v38, v39
	v_cvt_pk_f32_fp8_e32 v[38:39], v35
	v_cvt_pk_f32_fp8_sdwa v[34:35], v35 src0_sel:WORD_1
	v_mfma_f32_16x16x16_f16 v[26:29], v[20:21], v[14:15], v[26:29]
	v_cvt_pkrtz_f16_f32 v38, v38, v39
	v_cvt_pkrtz_f16_f32 v39, v34, v35
	v_cvt_pk_f32_fp8_e32 v[14:15], v36
	v_cvt_pk_f32_fp8_sdwa v[20:21], v36 src0_sel:WORD_1
	v_pk_mul_f32 v[50:51], v[78:79], v[72:73] op_sel_hi:[0,1]
	v_mad_i64_i32 v[18:19], s[4:5], v70, s45, v[42:43]
	v_cvt_pkrtz_f16_f32 v46, v14, v15
	v_cvt_pkrtz_f16_f32 v47, v20, v21
	v_cvt_pk_f32_fp8_e32 v[20:21], v37
	v_mfma_f32_16x16x16_f16 v[14:17], v[38:39], v[16:17], v[26:29]
	v_pk_mul_f32 v[36:37], v[78:79], v[56:57] op_sel_hi:[0,1]
	v_mad_i64_i32 v[34:35], s[4:5], v69, s45, v[42:43]
	v_cvt_pkrtz_f16_f32 v20, v20, v21
	v_cvt_pkrtz_f16_f32 v21, v48, v49
	v_mfma_f32_16x16x16_f16 v[14:17], v[46:47], v[6:7], v[14:17]
	v_pk_mul_f32 v[46:47], v[78:79], v[74:75] op_sel_hi:[0,1]
	v_mfma_f32_16x16x16_f16 v[6:9], v[20:21], v[8:9], v[14:17]
	global_load_dwordx4 v[26:29], v[18:19], off
	s_nop 0
	global_load_dwordx4 v[18:21], v[34:35], off
	s_nop 3
	v_pk_mul_f32 v[48:49], v[78:79], v[6:7] op_sel_hi:[0,1]
	v_and_b32_e32 v6, 0xc0, v0
	v_add_u32_e32 v6, s18, v6
	v_lshl_or_b32 v6, v64, 2, v6
	v_pk_mul_f32 v[38:39], v[78:79], v[8:9] op_sel_hi:[0,1]
	v_or_b32_e32 v9, 1, v6
	v_mov_b32_e32 v7, 0xff7fffff
	v_cmp_gt_i32_e64 s[26:27], s33, v6
	v_cmp_gt_i32_e64 s[28:29], s33, v9
	v_or_b32_e32 v14, 3, v6
	v_cndmask_b32_e64 v8, v7, v44, s[26:27]
	v_cndmask_b32_e64 v9, v7, v45, s[28:29]
	v_max3_f32 v8, v8, s40, v9
	v_or_b32_e32 v9, 2, v6
	v_cmp_gt_i32_e64 s[30:31], s33, v9
	v_cmp_gt_i32_e64 s[34:35], s33, v14
	s_nop 0
	v_cndmask_b32_e64 v9, v7, v40, s[30:31]
	v_cndmask_b32_e64 v14, v7, v41, s[34:35]
	v_max3_f32 v8, v8, v9, v14
	v_or_b32_e32 v9, 16, v6
	v_or_b32_e32 v14, 17, v6
	v_cmp_gt_i32_e64 s[18:19], s33, v9
	v_cmp_gt_i32_e64 s[20:21], s33, v14
	s_nop 0
	v_cndmask_b32_e64 v9, v7, v52, s[18:19]
	v_cndmask_b32_e64 v14, v7, v53, s[20:21]
	v_max3_f32 v8, v8, v9, v14
	v_or_b32_e32 v9, 18, v6
	;; [unrolled: 8-line block ×5, first 2 shown]
	v_or_b32_e32 v14, 49, v6
	v_cmp_gt_i32_e32 vcc, s33, v9
	v_cmp_gt_i32_e64 s[4:5], s33, v14
	s_nop 0
	v_cndmask_b32_e32 v9, v7, v48, vcc
	v_cndmask_b32_e64 v14, v7, v49, s[4:5]
	v_max3_f32 v8, v8, v9, v14
	v_or_b32_e32 v9, 50, v6
	v_or_b32_e32 v6, 51, v6
	v_cmp_gt_i32_e64 s[6:7], s33, v9
	v_cmp_gt_i32_e64 s[8:9], s33, v6
	s_nop 0
	v_cndmask_b32_e64 v9, v7, v38, s[6:7]
	v_cndmask_b32_e64 v6, v7, v39, s[8:9]
	v_max3_f32 v8, v8, v9, v6
	v_mbcnt_lo_u32_b32 v6, -1, 0
	v_mbcnt_hi_u32_b32 v9, -1, v6
	v_and_b32_e32 v6, 64, v9
	v_add_u32_e32 v14, 64, v6
	v_xor_b32_e32 v6, 32, v9
	v_cmp_lt_i32_e64 s[38:39], v6, v14
	s_nop 1
	v_cndmask_b32_e64 v6, v9, v6, s[38:39]
	v_lshlrev_b32_e32 v55, 2, v6
	ds_bpermute_b32 v15, v55, v8
	v_mad_i64_i32 v[6:7], s[38:39], v68, s45, v[42:43]
	s_waitcnt lgkmcnt(0)
	v_max_f32_e32 v15, v15, v15
	v_max_f32_e32 v34, v8, v15
	v_xor_b32_e32 v8, 16, v9
	v_cmp_lt_i32_e64 s[38:39], v8, v14
	s_nop 1
	v_cndmask_b32_e64 v8, v9, v8, s[38:39]
	v_lshlrev_b32_e32 v56, 2, v8
	v_mad_i64_i32 v[8:9], s[38:39], v67, s45, v[42:43]
	global_load_dwordx4 v[14:17], v[6:7], off
	s_nop 0
	global_load_dwordx4 v[6:9], v[8:9], off
	ds_bpermute_b32 v35, v56, v34
	s_waitcnt lgkmcnt(0)
	s_barrier
	v_max_f32_e32 v35, v35, v35
	v_max_f32_e32 v54, v34, v35
	v_sub_f32_e32 v42, v52, v54
	v_mul_f32_e32 v42, 0x3fb8aa3b, v42
	v_exp_f32_e32 v42, v42
	v_sub_f32_e32 v36, v36, v54
	v_sub_f32_e32 v34, v44, v54
	v_mul_f32_e32 v36, 0x3fb8aa3b, v36
	v_mul_f32_e32 v34, 0x3fb8aa3b, v34
	v_sub_f32_e32 v35, v45, v54
	v_sub_f32_e32 v43, v53, v54
	v_exp_f32_e32 v44, v36
	v_sub_f32_e32 v36, v37, v54
	v_sub_f32_e32 v48, v48, v54
	;; [unrolled: 1-line block ×3, first 2 shown]
	v_exp_f32_e32 v34, v34
	v_mul_f32_e32 v35, 0x3fb8aa3b, v35
	v_sub_f32_e32 v40, v40, v54
	v_mul_f32_e32 v43, 0x3fb8aa3b, v43
	v_mul_f32_e32 v36, 0x3fb8aa3b, v36
	;; [unrolled: 1-line block ×4, first 2 shown]
	v_exp_f32_e32 v35, v35
	v_mul_f32_e32 v40, 0x3fb8aa3b, v40
	v_sub_f32_e32 v41, v41, v54
	v_exp_f32_e32 v43, v43
	v_exp_f32_e32 v45, v36
	v_cndmask_b32_e64 v36, 0, v42, s[18:19]
	v_sub_f32_e32 v42, v50, v54
	v_exp_f32_e32 v48, v48
	v_exp_f32_e32 v50, v38
	;; [unrolled: 1-line block ×3, first 2 shown]
	v_mul_f32_e32 v41, 0x3fb8aa3b, v41
	v_exp_f32_e32 v41, v41
	v_sub_f32_e32 v38, v39, v54
	v_cndmask_b32_e64 v34, 0, v34, s[26:27]
	v_mul_f32_e32 v38, 0x3fb8aa3b, v38
	v_cndmask_b32_e64 v35, 0, v35, s[28:29]
	v_cndmask_b32_e64 v37, 0, v43, s[20:21]
	v_sub_f32_e32 v43, v51, v54
	v_exp_f32_e32 v51, v38
	v_cndmask_b32_e32 v38, 0, v48, vcc
	v_cndmask_b32_e64 v48, 0, v50, s[6:7]
	v_add_f32_e32 v50, 0, v34
	v_cndmask_b32_e64 v40, 0, v40, s[30:31]
	v_add_f32_e32 v50, v50, v35
	v_cndmask_b32_e64 v41, 0, v41, s[34:35]
	v_mul_f32_e32 v42, 0x3fb8aa3b, v42
	v_add_f32_e32 v50, v50, v40
	v_exp_f32_e32 v42, v42
	v_mul_f32_e32 v43, 0x3fb8aa3b, v43
	v_sub_f32_e32 v46, v46, v54
	v_add_f32_e32 v50, v50, v41
	v_exp_f32_e32 v43, v43
	v_mul_f32_e32 v46, 0x3fb8aa3b, v46
	v_sub_f32_e32 v47, v47, v54
	v_add_f32_e32 v50, v50, v36
	v_cndmask_b32_e64 v44, 0, v44, s[22:23]
	v_exp_f32_e32 v46, v46
	v_mul_f32_e32 v47, 0x3fb8aa3b, v47
	v_add_f32_e32 v50, v50, v37
	v_cndmask_b32_e64 v45, 0, v45, s[36:37]
	v_exp_f32_e32 v47, v47
	v_sub_f32_e32 v49, v49, v54
	v_add_f32_e32 v50, v50, v44
	v_cndmask_b32_e64 v42, 0, v42, s[10:11]
	v_mul_f32_e32 v49, 0x3fb8aa3b, v49
	v_add_f32_e32 v50, v50, v45
	v_cndmask_b32_e64 v43, 0, v43, s[12:13]
	v_exp_f32_e32 v49, v49
	v_add_f32_e32 v50, v50, v42
	v_cndmask_b32_e64 v46, 0, v46, s[14:15]
	v_add_f32_e32 v50, v50, v43
	v_cndmask_b32_e64 v47, 0, v47, s[16:17]
	v_add_f32_e32 v50, v50, v46
	v_add_f32_e32 v50, v50, v47
	v_cndmask_b32_e64 v39, 0, v49, s[4:5]
	v_add_f32_e32 v50, v50, v38
	;; [unrolled: 3-line block ×3, first 2 shown]
	v_add_f32_e32 v50, v50, v49
	ds_bpermute_b32 v51, v55, v50
	v_cmp_gt_u32_e32 vcc, 16, v66
	s_waitcnt lgkmcnt(0)
	v_add_f32_e32 v50, v50, v51
	ds_bpermute_b32 v51, v56, v50
	s_and_saveexec_b64 s[4:5], vcc
	s_cbranch_execz .LBB966_13
; %bb.12:
	s_waitcnt lgkmcnt(0)
	v_add_f32_e32 v50, v50, v51
	v_lshlrev_b32_e32 v51, 2, v59
	ds_write2st64_b32 v51, v54, v50 offset1:1
.LBB966_13:
	s_or_b64 exec, exec, s[4:5]
	s_waitcnt lgkmcnt(0)
	v_lshlrev_b32_e32 v51, 2, v60
	s_load_dword s6, s[0:1], 0x94
	s_waitcnt lgkmcnt(0)
	s_barrier
	ds_read2_b32 v[52:53], v51 offset1:16
	ds_read2_b32 v[54:55], v51 offset0:32 offset1:48
	ds_read2_b32 v[56:57], v51 offset0:64 offset1:80
	s_mul_i32 s7, s25, 3
	s_waitcnt lgkmcnt(2)
	v_max3_f32 v50, v52, s40, v53
	s_waitcnt lgkmcnt(1)
	v_max3_f32 v50, v50, v54, v55
	v_sub_f32_e32 v52, v52, v50
	v_mul_f32_e32 v52, 0x3fb8aa3b, v52
	v_exp_f32_e32 v59, v52
	v_sub_f32_e32 v52, v53, v50
	v_mul_f32_e32 v52, 0x3fb8aa3b, v52
	v_exp_f32_e32 v62, v52
	;; [unrolled: 3-line block ×3, first 2 shown]
	ds_read2_b32 v[52:53], v51 offset0:96 offset1:112
	v_sub_f32_e32 v51, v55, v50
	v_mul_f32_e32 v51, 0x3fb8aa3b, v51
	v_exp_f32_e32 v55, v51
	s_waitcnt lgkmcnt(1)
	v_fma_f32 v51, v59, v56, 0
	v_fmac_f32_e32 v51, v62, v57
	s_waitcnt lgkmcnt(0)
	v_fmac_f32_e32 v51, v54, v52
	v_fmac_f32_e32 v51, v55, v53
	v_add_f32_e32 v52, 0x358637bd, v51
	v_div_scale_f32 v53, s[4:5], v52, v52, 1.0
	v_rcp_f32_e32 v56, v53
	s_barrier
	v_fma_f32 v57, -v53, v56, 1.0
	v_fmac_f32_e32 v56, v57, v56
	v_div_scale_f32 v57, vcc, 1.0, v52, 1.0
	v_mul_f32_e32 v63, v57, v56
	v_fma_f32 v66, -v53, v63, v57
	v_fmac_f32_e32 v63, v66, v56
	v_fma_f32 v53, -v53, v63, v57
	v_div_fmas_f32 v53, v53, v56, v63
	v_cmp_eq_u32_e32 vcc, 1, v61
	v_div_fixup_f32 v52, v53, v52, 1.0
	s_nop 0
	v_cndmask_b32_e32 v53, v59, v62, vcc
	v_cmp_eq_u32_e32 vcc, 2, v61
	s_nop 1
	v_cndmask_b32_e32 v53, v53, v54, vcc
	v_cmp_eq_u32_e32 vcc, 3, v61
	s_nop 1
	v_cndmask_b32_e32 v53, v53, v55, vcc
	v_mul_f32_e32 v52, v53, v52
	v_pk_mul_f32 v[40:41], v[52:53], v[40:41] op_sel_hi:[0,1]
	v_pk_mul_f32 v[34:35], v[52:53], v[34:35] op_sel_hi:[0,1]
	v_cvt_f16_f32_e32 v53, v40
	v_cvt_f16_f32_e32 v34, v34
	;; [unrolled: 1-line block ×4, first 2 shown]
	v_pk_mul_f32 v[44:45], v[52:53], v[44:45] op_sel_hi:[0,1]
	v_pk_mul_f32 v[36:37], v[52:53], v[36:37] op_sel_hi:[0,1]
	v_cvt_f16_f32_e32 v36, v36
	v_cvt_f16_f32_e32 v37, v37
	;; [unrolled: 1-line block ×4, first 2 shown]
	v_pack_b32_f16 v40, v34, v35
	v_pack_b32_f16 v41, v53, v41
	v_lshlrev_b32_e32 v35, 3, v64
	v_lshlrev_b32_e32 v34, 5, v60
	;; [unrolled: 1-line block ×3, first 2 shown]
	v_or3_b32 v54, v53, v34, v35
	v_pack_b32_f16 v36, v36, v37
	v_pack_b32_f16 v37, v44, v45
	ds_write2st64_b64 v54, v[40:41], v[36:37] offset1:1
	v_pk_mul_f32 v[36:37], v[52:53], v[46:47] op_sel_hi:[0,1]
	v_pk_mul_f32 v[40:41], v[52:53], v[42:43] op_sel_hi:[0,1]
	v_cvt_f16_f32_e32 v35, v40
	v_cvt_f16_f32_e32 v40, v41
	;; [unrolled: 1-line block ×4, first 2 shown]
	v_pk_mul_f32 v[36:37], v[52:53], v[48:49] op_sel_hi:[0,1]
	v_pk_mul_f32 v[38:39], v[52:53], v[38:39] op_sel_hi:[0,1]
	v_cvt_f16_f32_e32 v38, v38
	v_cvt_f16_f32_e32 v39, v39
	;; [unrolled: 1-line block ×4, first 2 shown]
	v_pack_b32_f16 v36, v35, v40
	v_pack_b32_f16 v37, v41, v42
	;; [unrolled: 1-line block ×4, first 2 shown]
	v_cmp_gt_u32_e32 vcc, 3, v0
	ds_write2st64_b64 v54, v[36:37], v[38:39] offset0:2 offset1:3
	s_and_saveexec_b64 s[4:5], vcc
	s_cbranch_execz .LBB966_15
; %bb.14:
	s_mov_b32 s49, 0
	v_mov_b32_e32 v61, 0
	v_lshl_add_u64 v[36:37], s[48:49], 0, v[60:61]
	v_mov_b32_e32 v35, s7
	v_mad_u64_u32 v[36:37], s[12:13], s2, v35, v[36:37]
	s_mul_i32 s3, s3, s7
	v_mov_b32_e32 v38, s24
	v_mov_b32_e32 v39, v61
	s_load_dwordx4 s[8:11], s[0:1], 0x58
	v_add_u32_e32 v35, s3, v37
	v_mad_u64_u32 v[36:37], s[12:13], v36, s6, v[38:39]
	v_mov_b32_e32 v38, v37
	v_mad_u64_u32 v[38:39], s[12:13], v35, s6, v[38:39]
	v_mov_b32_e32 v37, v38
	v_lshlrev_b64 v[36:37], 2, v[36:37]
	s_waitcnt lgkmcnt(0)
	v_lshl_add_u64 v[38:39], s[10:11], 0, v[36:37]
	v_lshl_add_u64 v[36:37], s[8:9], 0, v[36:37]
	global_store_dword v[38:39], v50, off
	global_store_dword v[36:37], v51, off
.LBB966_15:
	s_or_b64 exec, exec, s[4:5]
	s_waitcnt vmcnt(7)
	v_cvt_pk_f32_fp8_e32 v[36:37], v30
	v_lshl_or_b32 v50, v64, 9, v34
	v_cvt_pk_f32_fp8_sdwa v[34:35], v30 src0_sel:WORD_1
	s_waitcnt lgkmcnt(0)
	s_barrier
	v_cvt_pk_f32_fp8_e32 v[38:39], v31
	v_cvt_pkrtz_f16_f32 v30, v36, v37
	v_cvt_pk_f32_fp8_sdwa v[40:41], v31 src0_sel:WORD_1
	v_cvt_pkrtz_f16_f32 v31, v34, v35
	ds_read_b128 v[34:37], v50
	v_cvt_pkrtz_f16_f32 v46, v38, v39
	v_cvt_pkrtz_f16_f32 v47, v40, v41
	ds_read_b128 v[38:41], v50 offset:16
	v_cvt_pk_f32_fp8_e32 v[48:49], v32
	v_cvt_pk_f32_fp8_sdwa v[52:53], v32 src0_sel:WORD_1
	s_waitcnt lgkmcnt(1)
	v_mfma_f32_16x16x16_f16 v[42:45], v[30:31], v[34:35], 0
	s_waitcnt vmcnt(6)
	v_cvt_pk_f32_fp8_e32 v[56:57], v24
	v_cvt_pkrtz_f16_f32 v30, v48, v49
	v_cvt_pkrtz_f16_f32 v31, v52, v53
	v_cvt_pk_f32_fp8_e32 v[48:49], v33
	v_mfma_f32_16x16x16_f16 v[42:45], v[46:47], v[36:37], v[42:45]
	v_cvt_pk_f32_fp8_sdwa v[46:47], v33 src0_sel:WORD_1
	v_cvt_pk_f32_fp8_sdwa v[62:63], v24 src0_sel:WORD_1
	v_cvt_pkrtz_f16_f32 v48, v48, v49
	s_waitcnt lgkmcnt(0)
	v_mfma_f32_16x16x16_f16 v[30:33], v[30:31], v[38:39], v[42:45]
	v_cvt_pkrtz_f16_f32 v49, v46, v47
	s_waitcnt vmcnt(4)
	v_cvt_pk_f32_fp8_sdwa v[70:71], v4 src0_sel:WORD_1
	s_waitcnt vmcnt(3)
	v_cvt_pk_f32_fp8_sdwa v[72:73], v28 src0_sel:WORD_1
	v_cvt_pk_f32_fp8_e32 v[42:43], v22
	v_mfma_f32_16x16x16_f16 v[46:49], v[48:49], v[40:41], v[30:33]
	s_load_dword s4, s[42:43], 0x0
	v_cmp_gt_u32_e32 vcc, 64, v0
	s_nop 0
	v_cvt_pk_f32_fp8_sdwa v[30:31], v22 src0_sel:WORD_1
	v_cvt_pk_f32_fp8_e32 v[32:33], v23
	v_cvt_pkrtz_f16_f32 v22, v42, v43
	v_cvt_pk_f32_fp8_sdwa v[42:43], v23 src0_sel:WORD_1
	v_cvt_pkrtz_f16_f32 v23, v30, v31
	v_cvt_pkrtz_f16_f32 v52, v32, v33
	ds_read_b128 v[30:33], v50 offset:2048
	v_cvt_pkrtz_f16_f32 v53, v42, v43
	ds_read_b128 v[42:45], v50 offset:2064
	s_waitcnt lgkmcnt(0)
	v_mfma_f32_16x16x16_f16 v[46:49], v[22:23], v[30:31], v[46:49]
	v_cvt_pkrtz_f16_f32 v22, v56, v57
	v_cvt_pkrtz_f16_f32 v23, v62, v63
	v_cvt_pk_f32_fp8_e32 v[56:57], v25
	v_mfma_f32_16x16x16_f16 v[46:49], v[52:53], v[32:33], v[46:49]
	v_cvt_pk_f32_fp8_sdwa v[52:53], v25 src0_sel:WORD_1
	v_cvt_pk_f32_fp8_sdwa v[62:63], v12 src0_sel:WORD_1
	v_cvt_pkrtz_f16_f32 v56, v56, v57
	v_mfma_f32_16x16x16_f16 v[22:25], v[22:23], v[42:43], v[46:49]
	v_cvt_pkrtz_f16_f32 v57, v52, v53
	s_mov_b32 s3, 0
	s_nop 0
	v_cvt_pk_f32_fp8_e32 v[46:47], v10
	v_mfma_f32_16x16x16_f16 v[66:69], v[56:57], v[44:45], v[22:25]
	v_cvt_pk_f32_fp8_e32 v[56:57], v12
	s_nop 1
	v_cvt_pk_f32_fp8_sdwa v[22:23], v10 src0_sel:WORD_1
	v_cvt_pk_f32_fp8_e32 v[24:25], v11
	v_cvt_pkrtz_f16_f32 v10, v46, v47
	v_cvt_pk_f32_fp8_sdwa v[46:47], v11 src0_sel:WORD_1
	v_cvt_pkrtz_f16_f32 v11, v22, v23
	v_cvt_pkrtz_f16_f32 v52, v24, v25
	ds_read_b128 v[22:25], v50 offset:4096
	v_cvt_pkrtz_f16_f32 v53, v46, v47
	ds_read_b128 v[46:49], v50 offset:4112
	s_waitcnt lgkmcnt(1)
	v_mfma_f32_16x16x16_f16 v[66:69], v[10:11], v[22:23], v[66:69]
	v_cvt_pkrtz_f16_f32 v10, v56, v57
	v_cvt_pkrtz_f16_f32 v11, v62, v63
	v_cvt_pk_f32_fp8_e32 v[56:57], v13
	v_mfma_f32_16x16x16_f16 v[66:69], v[52:53], v[24:25], v[66:69]
	v_cvt_pk_f32_fp8_sdwa v[52:53], v13 src0_sel:WORD_1
	v_cvt_pk_f32_fp8_e32 v[62:63], v4
	v_cvt_pkrtz_f16_f32 v56, v56, v57
	s_waitcnt lgkmcnt(0)
	v_mfma_f32_16x16x16_f16 v[10:13], v[10:11], v[46:47], v[66:69]
	v_cvt_pkrtz_f16_f32 v57, v52, v53
	v_cvt_pk_f32_fp8_e32 v[52:53], v2
	s_nop 0
	v_mfma_f32_16x16x16_f16 v[66:69], v[56:57], v[48:49], v[10:13]
	s_nop 2
	v_cvt_pk_f32_fp8_sdwa v[10:11], v2 src0_sel:WORD_1
	v_cvt_pk_f32_fp8_e32 v[12:13], v3
	v_cvt_pkrtz_f16_f32 v2, v52, v53
	v_cvt_pk_f32_fp8_sdwa v[52:53], v3 src0_sel:WORD_1
	v_cvt_pkrtz_f16_f32 v3, v10, v11
	v_cvt_pkrtz_f16_f32 v56, v12, v13
	ds_read_b128 v[10:13], v50 offset:6144
	v_cvt_pkrtz_f16_f32 v57, v52, v53
	s_waitcnt lgkmcnt(0)
	v_mfma_f32_16x16x16_f16 v[66:69], v[2:3], v[10:11], v[66:69]
	ds_read_b128 v[50:53], v50 offset:6160
	v_cvt_pkrtz_f16_f32 v2, v62, v63
	v_cvt_pkrtz_f16_f32 v3, v70, v71
	v_cvt_pk_f32_fp8_e32 v[62:63], v5
	v_mfma_f32_16x16x16_f16 v[66:69], v[56:57], v[12:13], v[66:69]
	v_cvt_pk_f32_fp8_sdwa v[56:57], v5 src0_sel:WORD_1
	v_cvt_pk_f32_fp8_e32 v[70:71], v28
	v_cvt_pkrtz_f16_f32 v62, v62, v63
	s_waitcnt lgkmcnt(0)
	v_mfma_f32_16x16x16_f16 v[2:5], v[2:3], v[50:51], v[66:69]
	v_cvt_pkrtz_f16_f32 v63, v56, v57
	v_cvt_pk_f32_fp8_e32 v[56:57], v26
	s_nop 0
	v_cvt_pk_f32_fp8_sdwa v[66:67], v26 src0_sel:WORD_1
	v_mfma_f32_16x16x16_f16 v[2:5], v[62:63], v[52:53], v[2:5]
	v_cvt_pk_f32_fp8_e32 v[62:63], v27
	v_cvt_pkrtz_f16_f32 v56, v56, v57
	v_cvt_pkrtz_f16_f32 v57, v66, v67
	v_cvt_pk_f32_fp8_sdwa v[26:27], v27 src0_sel:WORD_1
	v_cvt_pkrtz_f16_f32 v62, v62, v63
	v_mfma_f32_16x16x16_f16 v[66:69], v[56:57], v[34:35], 0
	v_cvt_pkrtz_f16_f32 v63, v26, v27
	v_cvt_pkrtz_f16_f32 v26, v70, v71
	;; [unrolled: 1-line block ×3, first 2 shown]
	v_cvt_pk_f32_fp8_e32 v[56:57], v29
	v_mfma_f32_16x16x16_f16 v[34:37], v[62:63], v[36:37], v[66:69]
	v_cvt_pk_f32_fp8_sdwa v[62:63], v29 src0_sel:WORD_1
	v_cvt_pkrtz_f16_f32 v56, v56, v57
	s_barrier
	v_mfma_f32_16x16x16_f16 v[26:29], v[26:27], v[38:39], v[34:37]
	v_cvt_pkrtz_f16_f32 v57, v62, v63
	s_waitcnt vmcnt(2)
	v_cvt_pk_f32_fp8_e32 v[38:39], v19
	v_cvt_pk_f32_fp8_e32 v[34:35], v18
	v_cvt_pk_f32_fp8_sdwa v[36:37], v18 src0_sel:WORD_1
	v_cvt_pk_f32_fp8_sdwa v[18:19], v19 src0_sel:WORD_1
	v_mfma_f32_16x16x16_f16 v[26:29], v[56:57], v[40:41], v[26:29]
	v_cvt_pkrtz_f16_f32 v34, v34, v35
	v_cvt_pkrtz_f16_f32 v35, v36, v37
	;; [unrolled: 1-line block ×3, first 2 shown]
	v_cvt_pk_f32_fp8_e32 v[38:39], v20
	v_cvt_pk_f32_fp8_sdwa v[40:41], v20 src0_sel:WORD_1
	v_cvt_pkrtz_f16_f32 v37, v18, v19
	v_mfma_f32_16x16x16_f16 v[26:29], v[34:35], v[30:31], v[26:29]
	v_cvt_pkrtz_f16_f32 v30, v38, v39
	v_cvt_pkrtz_f16_f32 v31, v40, v41
	v_cvt_pk_f32_fp8_e32 v[34:35], v21
	v_cvt_pk_f32_fp8_sdwa v[38:39], v21 src0_sel:WORD_1
	v_mfma_f32_16x16x16_f16 v[18:21], v[36:37], v[32:33], v[26:29]
	s_waitcnt vmcnt(1)
	v_cvt_pk_f32_fp8_sdwa v[32:33], v16 src0_sel:WORD_1
	s_nop 0
	v_cvt_pkrtz_f16_f32 v26, v34, v35
	v_cvt_pkrtz_f16_f32 v27, v38, v39
	v_mfma_f32_16x16x16_f16 v[18:21], v[30:31], v[42:43], v[18:21]
	v_cvt_pk_f32_fp8_e32 v[28:29], v14
	v_cvt_pk_f32_fp8_sdwa v[30:31], v14 src0_sel:WORD_1
	v_cvt_pkrtz_f16_f32 v28, v28, v29
	v_mfma_f32_16x16x16_f16 v[18:21], v[26:27], v[44:45], v[18:21]
	v_cvt_pk_f32_fp8_e32 v[26:27], v15
	v_cvt_pkrtz_f16_f32 v29, v30, v31
	v_cvt_pk_f32_fp8_sdwa v[14:15], v15 src0_sel:WORD_1
	v_cvt_pk_f32_fp8_e32 v[30:31], v16
	v_cvt_pkrtz_f16_f32 v26, v26, v27
	v_mfma_f32_16x16x16_f16 v[18:21], v[28:29], v[22:23], v[18:21]
	v_cvt_pkrtz_f16_f32 v27, v14, v15
	v_cvt_pkrtz_f16_f32 v22, v30, v31
	;; [unrolled: 1-line block ×3, first 2 shown]
	v_cvt_pk_f32_fp8_e32 v[28:29], v17
	v_cvt_pk_f32_fp8_sdwa v[30:31], v17 src0_sel:WORD_1
	v_mfma_f32_16x16x16_f16 v[14:17], v[26:27], v[24:25], v[18:21]
	s_waitcnt vmcnt(0)
	v_cvt_pk_f32_fp8_sdwa v[24:25], v6 src0_sel:WORD_1
	s_nop 0
	v_pk_mul_f32 v[18:19], v[4:5], s[4:5] op_sel_hi:[1,0]
	v_cvt_pkrtz_f16_f32 v4, v28, v29
	v_cvt_pkrtz_f16_f32 v5, v30, v31
	v_mfma_f32_16x16x16_f16 v[14:17], v[22:23], v[46:47], v[14:17]
	v_cvt_pk_f32_fp8_e32 v[22:23], v6
	v_pk_mul_f32 v[20:21], v[2:3], s[4:5] op_sel_hi:[1,0]
	v_mfma_f32_16x16x16_f16 v[2:5], v[4:5], v[48:49], v[14:17]
	s_nop 3
	v_cvt_pk_f32_fp8_e32 v[14:15], v7
	v_cvt_pkrtz_f16_f32 v16, v22, v23
	v_cvt_pkrtz_f16_f32 v17, v24, v25
	v_cvt_pk_f32_fp8_sdwa v[6:7], v7 src0_sel:WORD_1
	v_cvt_pkrtz_f16_f32 v14, v14, v15
	v_cvt_pk_f32_fp8_e32 v[22:23], v8
	v_cvt_pk_f32_fp8_sdwa v[24:25], v8 src0_sel:WORD_1
	v_cvt_pkrtz_f16_f32 v15, v6, v7
	v_mfma_f32_16x16x16_f16 v[2:5], v[16:17], v[10:11], v[2:5]
	v_cvt_pkrtz_f16_f32 v6, v22, v23
	v_cvt_pkrtz_f16_f32 v7, v24, v25
	v_cvt_pk_f32_fp8_e32 v[10:11], v9
	v_cvt_pk_f32_fp8_sdwa v[8:9], v9 src0_sel:WORD_1
	v_mfma_f32_16x16x16_f16 v[2:5], v[14:15], v[12:13], v[2:5]
	v_cvt_f16_f32_e32 v12, v20
	v_cvt_pkrtz_f16_f32 v10, v10, v11
	v_cvt_pkrtz_f16_f32 v11, v8, v9
	v_mfma_f32_16x16x16_f16 v[2:5], v[6:7], v[50:51], v[2:5]
	v_cvt_f16_f32_e32 v6, v21
	v_cvt_f16_f32_e32 v7, v18
	;; [unrolled: 1-line block ×3, first 2 shown]
	v_mfma_f32_16x16x16_f16 v[2:5], v[10:11], v[52:53], v[2:5]
	s_nop 6
	v_pk_mul_f32 v[4:5], v[4:5], s[4:5] op_sel_hi:[1,0]
	v_pk_mul_f32 v[2:3], v[2:3], s[4:5] op_sel_hi:[1,0]
	v_cvt_f16_f32_e32 v11, v4
	v_cvt_f16_f32_e32 v9, v2
	;; [unrolled: 1-line block ×4, first 2 shown]
	v_cmp_ne_u32_e64 s[4:5], 3, v64
	v_pack_b32_f16 v2, v12, v6
	v_pack_b32_f16 v3, v7, v8
	;; [unrolled: 1-line block ×4, first 2 shown]
	s_and_b64 s[4:5], vcc, s[4:5]
	ds_write2st64_b64 v54, v[2:3], v[4:5] offset1:1
	s_waitcnt lgkmcnt(0)
	s_barrier
	s_and_saveexec_b64 s[8:9], s[4:5]
	s_cbranch_execz .LBB966_17
; %bb.16:
	s_load_dwordx2 s[0:1], s[0:1], 0x68
	s_mul_i32 s2, s7, s2
	s_lshl_b32 s6, s6, 7
	v_lshlrev_b32_e32 v4, 6, v60
	s_mul_hi_u32 s5, s2, s6
	s_mul_i32 s4, s2, s6
	v_lshl_or_b32 v0, v0, 10, v4
	s_lshl_b64 s[4:5], s[4:5], 1
	v_lshlrev_b32_e32 v2, 5, v64
	v_and_b32_e32 v3, 16, v65
	v_and_b32_e32 v0, 0x1a00, v0
	s_waitcnt lgkmcnt(0)
	s_add_u32 s4, s0, s4
	v_or3_b32 v0, v0, v2, v3
	s_addc_u32 s5, s1, s5
	s_lshl_b32 s2, s24, 7
	ds_read_b128 v[2:5], v0
	s_lshl_b64 s[0:1], s[2:3], 1
	s_add_u32 s0, s4, s0
	s_addc_u32 s1, s5, s1
	v_mad_u64_u32 v[0:1], s[2:3], s6, v1, 0
	v_lshl_add_u64 v[0:1], v[0:1], 1, s[0:1]
	v_mov_b32_e32 v59, 0
	v_lshl_add_u64 v[0:1], v[0:1], 0, v[58:59]
	s_waitcnt lgkmcnt(0)
	global_store_dwordx4 v[0:1], v[2:5], off
.LBB966_17:
	s_endpgm
	.section	.rodata,"a",@progbits
	.p2align	6, 0x0
	.amdhsa_kernel _Z39paged_attention_ll4mi_QKV_mfma16_kernelIDF16_hLN4vllm18Fp8KVCacheDataTypeE1EhLi16ELi128ELi256ELb0ELi3EEvPKT_PKT0_S7_ifPKiS9_S9_iPKfiiiPfSC_PS2_PT2_iSB_SB_
		.amdhsa_group_segment_fixed_size 8192
		.amdhsa_private_segment_fixed_size 0
		.amdhsa_kernarg_size 400
		.amdhsa_user_sgpr_count 2
		.amdhsa_user_sgpr_dispatch_ptr 0
		.amdhsa_user_sgpr_queue_ptr 0
		.amdhsa_user_sgpr_kernarg_segment_ptr 1
		.amdhsa_user_sgpr_dispatch_id 0
		.amdhsa_user_sgpr_kernarg_preload_length 0
		.amdhsa_user_sgpr_kernarg_preload_offset 0
		.amdhsa_user_sgpr_private_segment_size 0
		.amdhsa_uses_dynamic_stack 0
		.amdhsa_enable_private_segment 0
		.amdhsa_system_sgpr_workgroup_id_x 1
		.amdhsa_system_sgpr_workgroup_id_y 1
		.amdhsa_system_sgpr_workgroup_id_z 1
		.amdhsa_system_sgpr_workgroup_info 0
		.amdhsa_system_vgpr_workitem_id 0
		.amdhsa_next_free_vgpr 88
		.amdhsa_next_free_sgpr 50
		.amdhsa_accum_offset 88
		.amdhsa_reserve_vcc 1
		.amdhsa_float_round_mode_32 0
		.amdhsa_float_round_mode_16_64 0
		.amdhsa_float_denorm_mode_32 3
		.amdhsa_float_denorm_mode_16_64 3
		.amdhsa_dx10_clamp 1
		.amdhsa_ieee_mode 1
		.amdhsa_fp16_overflow 0
		.amdhsa_tg_split 0
		.amdhsa_exception_fp_ieee_invalid_op 0
		.amdhsa_exception_fp_denorm_src 0
		.amdhsa_exception_fp_ieee_div_zero 0
		.amdhsa_exception_fp_ieee_overflow 0
		.amdhsa_exception_fp_ieee_underflow 0
		.amdhsa_exception_fp_ieee_inexact 0
		.amdhsa_exception_int_div_zero 0
	.end_amdhsa_kernel
	.section	.text._Z39paged_attention_ll4mi_QKV_mfma16_kernelIDF16_hLN4vllm18Fp8KVCacheDataTypeE1EhLi16ELi128ELi256ELb0ELi3EEvPKT_PKT0_S7_ifPKiS9_S9_iPKfiiiPfSC_PS2_PT2_iSB_SB_,"axG",@progbits,_Z39paged_attention_ll4mi_QKV_mfma16_kernelIDF16_hLN4vllm18Fp8KVCacheDataTypeE1EhLi16ELi128ELi256ELb0ELi3EEvPKT_PKT0_S7_ifPKiS9_S9_iPKfiiiPfSC_PS2_PT2_iSB_SB_,comdat
.Lfunc_end966:
	.size	_Z39paged_attention_ll4mi_QKV_mfma16_kernelIDF16_hLN4vllm18Fp8KVCacheDataTypeE1EhLi16ELi128ELi256ELb0ELi3EEvPKT_PKT0_S7_ifPKiS9_S9_iPKfiiiPfSC_PS2_PT2_iSB_SB_, .Lfunc_end966-_Z39paged_attention_ll4mi_QKV_mfma16_kernelIDF16_hLN4vllm18Fp8KVCacheDataTypeE1EhLi16ELi128ELi256ELb0ELi3EEvPKT_PKT0_S7_ifPKiS9_S9_iPKfiiiPfSC_PS2_PT2_iSB_SB_
                                        ; -- End function
	.section	.AMDGPU.csdata,"",@progbits
; Kernel info:
; codeLenInByte = 5972
; NumSgprs: 56
; NumVgprs: 88
; NumAgprs: 0
; TotalNumVgprs: 88
; ScratchSize: 0
; MemoryBound: 0
; FloatMode: 240
; IeeeMode: 1
; LDSByteSize: 8192 bytes/workgroup (compile time only)
; SGPRBlocks: 6
; VGPRBlocks: 10
; NumSGPRsForWavesPerEU: 56
; NumVGPRsForWavesPerEU: 88
; AccumOffset: 88
; Occupancy: 5
; WaveLimiterHint : 1
; COMPUTE_PGM_RSRC2:SCRATCH_EN: 0
; COMPUTE_PGM_RSRC2:USER_SGPR: 2
; COMPUTE_PGM_RSRC2:TRAP_HANDLER: 0
; COMPUTE_PGM_RSRC2:TGID_X_EN: 1
; COMPUTE_PGM_RSRC2:TGID_Y_EN: 1
; COMPUTE_PGM_RSRC2:TGID_Z_EN: 1
; COMPUTE_PGM_RSRC2:TIDIG_COMP_CNT: 0
; COMPUTE_PGM_RSRC3_GFX90A:ACCUM_OFFSET: 21
; COMPUTE_PGM_RSRC3_GFX90A:TG_SPLIT: 0
	.section	.text._Z39paged_attention_ll4mi_QKV_mfma16_kernelIDF16_hLN4vllm18Fp8KVCacheDataTypeE1EhLi16ELi128ELi256ELb0ELi4EEvPKT_PKT0_S7_ifPKiS9_S9_iPKfiiiPfSC_PS2_PT2_iSB_SB_,"axG",@progbits,_Z39paged_attention_ll4mi_QKV_mfma16_kernelIDF16_hLN4vllm18Fp8KVCacheDataTypeE1EhLi16ELi128ELi256ELb0ELi4EEvPKT_PKT0_S7_ifPKiS9_S9_iPKfiiiPfSC_PS2_PT2_iSB_SB_,comdat
	.protected	_Z39paged_attention_ll4mi_QKV_mfma16_kernelIDF16_hLN4vllm18Fp8KVCacheDataTypeE1EhLi16ELi128ELi256ELb0ELi4EEvPKT_PKT0_S7_ifPKiS9_S9_iPKfiiiPfSC_PS2_PT2_iSB_SB_ ; -- Begin function _Z39paged_attention_ll4mi_QKV_mfma16_kernelIDF16_hLN4vllm18Fp8KVCacheDataTypeE1EhLi16ELi128ELi256ELb0ELi4EEvPKT_PKT0_S7_ifPKiS9_S9_iPKfiiiPfSC_PS2_PT2_iSB_SB_
	.globl	_Z39paged_attention_ll4mi_QKV_mfma16_kernelIDF16_hLN4vllm18Fp8KVCacheDataTypeE1EhLi16ELi128ELi256ELb0ELi4EEvPKT_PKT0_S7_ifPKiS9_S9_iPKfiiiPfSC_PS2_PT2_iSB_SB_
	.p2align	8
	.type	_Z39paged_attention_ll4mi_QKV_mfma16_kernelIDF16_hLN4vllm18Fp8KVCacheDataTypeE1EhLi16ELi128ELi256ELb0ELi4EEvPKT_PKT0_S7_ifPKiS9_S9_iPKfiiiPfSC_PS2_PT2_iSB_SB_,@function
_Z39paged_attention_ll4mi_QKV_mfma16_kernelIDF16_hLN4vllm18Fp8KVCacheDataTypeE1EhLi16ELi128ELi256ELb0ELi4EEvPKT_PKT0_S7_ifPKiS9_S9_iPKfiiiPfSC_PS2_PT2_iSB_SB_: ; @_Z39paged_attention_ll4mi_QKV_mfma16_kernelIDF16_hLN4vllm18Fp8KVCacheDataTypeE1EhLi16ELi128ELi256ELb0ELi4EEvPKT_PKT0_S7_ifPKiS9_S9_iPKfiiiPfSC_PS2_PT2_iSB_SB_
; %bb.0:
	s_load_dwordx2 s[12:13], s[0:1], 0x30
	s_mov_b32 s24, s3
	s_mov_b64 s[6:7], 0
	s_waitcnt lgkmcnt(0)
	s_cmp_lg_u64 s[12:13], 0
	s_cselect_b64 s[14:15], -1, 0
	s_and_b64 vcc, exec, s[14:15]
	s_cbranch_vccz .LBB967_7
; %bb.1:
	s_add_i32 s8, s2, 1
	s_mov_b32 s9, 0
	s_lshl_b64 s[10:11], s[8:9], 2
	s_add_u32 s10, s12, s10
	s_mov_b32 s3, s9
	s_addc_u32 s11, s13, s11
	s_lshl_b64 s[8:9], s[2:3], 2
	s_add_u32 s8, s12, s8
	s_addc_u32 s9, s13, s9
	s_load_dword s5, s[10:11], 0x0
	s_load_dword s16, s[8:9], 0x0
	s_waitcnt lgkmcnt(0)
	s_sub_i32 s5, s5, s16
	s_cmp_eq_u32 s5, 1
	s_cselect_b64 s[8:9], -1, 0
	s_andn2_b64 vcc, exec, s[6:7]
	s_cbranch_vccnz .LBB967_3
.LBB967_2:
	s_mov_b32 s3, 0
	s_mov_b64 s[8:9], -1
.LBB967_3:
	s_andn2_b64 vcc, exec, s[8:9]
	s_cbranch_vccnz .LBB967_17
; %bb.4:
	s_load_dwordx2 s[6:7], s[0:1], 0x28
	s_lshl_b64 s[16:17], s[2:3], 2
	s_waitcnt lgkmcnt(0)
	s_add_u32 s6, s6, s16
	s_addc_u32 s7, s7, s17
	s_load_dword s48, s[6:7], 0x0
	s_lshl_b32 s18, s24, 8
	s_waitcnt lgkmcnt(0)
	s_cmp_ge_i32 s18, s48
	s_cbranch_scc1 .LBB967_17
; %bb.5:
	s_load_dwordx2 s[6:7], s[0:1], 0x20
	s_load_dword s8, s[0:1], 0x38
	s_add_i32 s5, s48, 15
	s_ashr_i32 s9, s5, 31
	v_and_b32_e32 v1, 0xcf, v0
	s_lshr_b32 s9, s9, 28
	v_add_u32_e32 v1, s18, v1
	s_add_i32 s5, s5, s9
	v_ashrrev_i32_e32 v2, 31, v1
	s_ashr_i32 s5, s5, 4
	v_lshrrev_b32_e32 v10, 28, v2
	s_add_i32 s5, s5, -1
	s_waitcnt lgkmcnt(0)
	s_mul_i32 s8, s2, s8
	s_mov_b32 s9, 0
	v_add_u32_e32 v2, v1, v10
	s_lshl_b64 s[8:9], s[8:9], 2
	v_ashrrev_i32_e32 v2, 4, v2
	v_mov_b32_e32 v11, s5
	v_cmp_gt_i32_e32 vcc, s48, v1
	s_add_u32 s6, s6, s8
	s_addc_u32 s7, s7, s9
	v_cndmask_b32_e32 v2, v11, v2, vcc
	v_ashrrev_i32_e32 v3, 31, v2
	v_lshl_add_u64 v[4:5], v[2:3], 2, s[6:7]
	v_or_b32_e32 v2, 16, v1
	v_add_u32_e32 v3, v2, v10
	v_ashrrev_i32_e32 v3, 4, v3
	v_cmp_gt_i32_e32 vcc, s48, v2
	s_load_dwordx4 s[8:11], s[0:1], 0x8
	s_nop 0
	v_cndmask_b32_e32 v2, v11, v3, vcc
	v_ashrrev_i32_e32 v3, 31, v2
	v_lshl_add_u64 v[6:7], v[2:3], 2, s[6:7]
	v_or_b32_e32 v2, 32, v1
	v_add_u32_e32 v3, v2, v10
	v_ashrrev_i32_e32 v3, 4, v3
	v_cmp_gt_i32_e32 vcc, s48, v2
	v_or_b32_e32 v1, 48, v1
	s_nop 0
	v_cndmask_b32_e32 v2, v11, v3, vcc
	v_ashrrev_i32_e32 v3, 31, v2
	v_lshl_add_u64 v[8:9], v[2:3], 2, s[6:7]
	v_add_u32_e32 v2, v1, v10
	v_ashrrev_i32_e32 v2, 4, v2
	v_cmp_gt_i32_e32 vcc, s48, v1
	s_nop 1
	v_cndmask_b32_e32 v2, v11, v2, vcc
	v_ashrrev_i32_e32 v3, 31, v2
	v_lshl_add_u64 v[10:11], v[2:3], 2, s[6:7]
	global_load_dword v3, v[4:5], off
	global_load_dword v2, v[6:7], off
	;; [unrolled: 1-line block ×4, first 2 shown]
	s_andn2_b64 vcc, exec, s[14:15]
	s_cbranch_vccnz .LBB967_8
; %bb.6:
	s_add_u32 s12, s12, s16
	s_addc_u32 s13, s13, s17
	s_load_dword s14, s[12:13], 0x0
	s_branch .LBB967_9
.LBB967_7:
	s_mov_b64 s[8:9], 0
	s_branch .LBB967_2
.LBB967_8:
	s_mov_b32 s14, s2
.LBB967_9:
	s_load_dwordx4 s[44:47], s[0:1], 0x48
	v_and_b32_e32 v62, 15, v0
	v_bfe_u32 v65, v0, 4, 2
	s_lshl_b32 s25, s4, 2
	v_lshlrev_b32_e32 v4, 3, v62
	v_lshrrev_b32_e32 v66, 6, v0
	v_and_b32_e32 v67, 63, v0
	v_or_b32_e32 v1, s25, v65
	v_cmp_gt_u32_e64 s[26:27], 64, v0
	v_lshlrev_b32_e32 v58, 1, v4
	v_lshlrev_b32_e32 v63, 5, v65
	;; [unrolled: 1-line block ×3, first 2 shown]
	s_and_saveexec_b64 s[12:13], s[26:27]
	s_cbranch_execz .LBB967_11
; %bb.10:
	s_load_dwordx2 s[16:17], s[0:1], 0x0
	s_waitcnt lgkmcnt(0)
	s_ashr_i32 s15, s44, 31
	s_mul_hi_u32 s19, s14, s44
	s_mul_i32 s15, s14, s15
	s_add_i32 s15, s19, s15
	s_mul_i32 s14, s14, s44
	s_lshl_b64 s[14:15], s[14:15], 1
	s_add_u32 s14, s16, s14
	v_lshlrev_b32_e32 v4, 7, v1
	s_addc_u32 s15, s17, s15
	v_ashrrev_i32_e32 v5, 31, v4
	v_lshl_add_u64 v[4:5], v[4:5], 1, s[14:15]
	v_mov_b32_e32 v59, 0
	v_lshl_add_u64 v[4:5], v[4:5], 0, v[58:59]
	global_load_dwordx4 v[4:7], v[4:5], off
	v_lshlrev_b32_e32 v9, 8, v0
	v_lshlrev_b32_e32 v8, 8, v62
	v_and_b32_e32 v9, 0x600, v9
	s_movk_i32 s14, 0x800
	v_and_or_b32 v8, v8, s14, v9
	v_lshl_or_b32 v9, v66, 7, v63
	v_and_b32_e32 v10, 16, v64
	v_or3_b32 v8, v8, v9, v10
	s_waitcnt vmcnt(0)
	ds_write_b128 v8, v[4:7]
.LBB967_11:
	s_or_b64 exec, exec, s[12:13]
	s_waitcnt lgkmcnt(0)
	s_mul_i32 s4, s4, s46
	s_add_u32 s8, s8, s4
	s_addc_u32 s9, s9, 0
	v_and_b32_e32 v60, 0xf0, v64
	v_mov_b32_e32 v61, 0
	v_and_b32_e32 v6, 48, v0
	v_lshl_add_u64 v[30:31], s[8:9], 0, v[60:61]
	v_lshlrev_b32_e32 v60, 4, v6
	s_waitcnt vmcnt(3)
	v_mad_i64_i32 v[4:5], s[8:9], v3, s45, v[30:31]
	v_lshl_add_u64 v[4:5], v[4:5], 0, v[60:61]
	s_load_dword s33, s[0:1], 0x98
	s_load_dwordx4 s[40:43], s[0:1], 0x80
	s_waitcnt lgkmcnt(0)
	s_barrier
	global_load_dwordx4 v[22:25], v[4:5], off
	global_load_dwordx4 v[10:13], v[4:5], off offset:1024
	s_waitcnt vmcnt(4)
	v_mad_i64_i32 v[2:3], s[8:9], v2, s45, v[30:31]
	v_lshl_add_u64 v[32:33], v[2:3], 0, v[60:61]
	global_load_dwordx4 v[2:5], v[32:33], off
	v_and_b32_e32 v7, 3, v0
	v_lshlrev_b32_e32 v7, 5, v7
	v_or_b32_e32 v36, s18, v6
	v_mov_b32_e32 v41, s5
	v_lshl_or_b32 v6, v65, 9, v7
	v_ashrrev_i32_e32 v37, 4, v36
	v_cmp_gt_i32_e32 vcc, s48, v36
	v_or_b32_e32 v40, 64, v36
	v_or_b32_e32 v42, 0x80, v36
	;; [unrolled: 1-line block ×3, first 2 shown]
	ds_read_b128 v[26:29], v6
	ds_read_b128 v[18:21], v6 offset:16
	ds_read_b128 v[14:17], v6 offset:2048
	ds_read_b128 v[6:9], v6 offset:2064
	v_cndmask_b32_e32 v38, v41, v37, vcc
	s_waitcnt vmcnt(4)
	v_mad_i64_i32 v[36:37], s[12:13], v34, s45, v[30:31]
	s_waitcnt vmcnt(3)
	v_mad_i64_i32 v[34:35], s[12:13], v35, s45, v[30:31]
	global_load_dwordx4 v[30:33], v[32:33], off offset:1024
	v_ashrrev_i32_e32 v44, 4, v40
	v_cmp_gt_i32_e32 vcc, s48, v40
	v_ashrrev_i32_e32 v45, 4, v42
	v_ashrrev_i32_e32 v46, 4, v43
	v_cndmask_b32_e32 v40, v41, v44, vcc
	v_cmp_gt_i32_e32 vcc, s48, v42
	v_ashrrev_i32_e32 v39, 31, v38
	v_lshl_add_u64 v[36:37], v[36:37], 0, v[60:61]
	v_cndmask_b32_e32 v42, v41, v45, vcc
	v_cmp_gt_i32_e32 vcc, s48, v43
	v_lshl_add_u64 v[34:35], v[34:35], 0, v[60:61]
	v_ashrrev_i32_e32 v43, 31, v42
	v_cndmask_b32_e32 v44, v41, v46, vcc
	v_ashrrev_i32_e32 v41, 31, v40
	v_ashrrev_i32_e32 v45, 31, v44
	v_lshl_add_u64 v[50:51], v[38:39], 2, s[6:7]
	v_lshl_add_u64 v[52:53], v[40:41], 2, s[6:7]
	;; [unrolled: 1-line block ×4, first 2 shown]
	global_load_dwordx4 v[42:45], v[36:37], off
	global_load_dwordx4 v[46:49], v[36:37], off offset:1024
	global_load_dwordx4 v[38:41], v[34:35], off
	s_nop 0
	global_load_dwordx4 v[34:37], v[34:35], off offset:1024
	s_nop 0
	global_load_dword v71, v[50:51], off
	global_load_dword v70, v[52:53], off
	global_load_dword v68, v[54:55], off
	global_load_dword v69, v[56:57], off
	s_add_u32 s4, s10, s4
	v_lshl_or_b32 v59, v66, 4, v62
	s_addc_u32 s5, s11, 0
	v_lshlrev_b32_e32 v60, 4, v59
	s_load_dword s8, s[0:1], 0x1c
	s_mov_b32 s44, 0xff7fffff
	s_waitcnt vmcnt(11)
	v_cvt_pk_f32_fp8_e32 v[50:51], v22
	v_cvt_pk_f32_fp8_sdwa v[52:53], v22 src0_sel:WORD_1
	v_cvt_pk_f32_fp8_e32 v[54:55], v23
	v_cvt_pk_f32_fp8_sdwa v[56:57], v23 src0_sel:WORD_1
	;; [unrolled: 2-line block ×4, first 2 shown]
	s_waitcnt vmcnt(9)
	v_cvt_pk_f32_fp8_e32 v[22:23], v2
	v_cvt_pk_f32_fp8_sdwa v[24:25], v2 src0_sel:WORD_1
	v_cvt_pkrtz_f16_f32 v50, v50, v51
	v_cvt_pkrtz_f16_f32 v51, v52, v53
	v_cvt_pk_f32_fp8_e32 v[80:81], v10
	v_cvt_pk_f32_fp8_sdwa v[82:83], v10 src0_sel:WORD_1
	v_cvt_pk_f32_fp8_e32 v[84:85], v11
	v_cvt_pk_f32_fp8_sdwa v[52:53], v11 src0_sel:WORD_1
	v_cvt_pkrtz_f16_f32 v10, v22, v23
	v_cvt_pkrtz_f16_f32 v11, v24, v25
	v_cvt_pkrtz_f16_f32 v88, v54, v55
	v_cvt_pkrtz_f16_f32 v89, v56, v57
	s_waitcnt lgkmcnt(0)
	v_mfma_f32_16x16x16_f16 v[22:25], v[50:51], v[26:27], 0
	v_cvt_pk_f32_fp8_e32 v[86:87], v12
	v_cvt_pk_f32_fp8_sdwa v[50:51], v12 src0_sel:WORD_1
	v_cvt_pk_f32_fp8_e32 v[90:91], v13
	v_mfma_f32_16x16x16_f16 v[54:57], v[10:11], v[26:27], 0
	v_cvt_pkrtz_f16_f32 v10, v72, v73
	v_cvt_pkrtz_f16_f32 v11, v74, v75
	v_cvt_pkrtz_f16_f32 v74, v76, v77
	v_mfma_f32_16x16x16_f16 v[22:25], v[88:89], v[28:29], v[22:25]
	v_cvt_pkrtz_f16_f32 v75, v78, v79
	v_cvt_pk_f32_fp8_sdwa v[72:73], v13 src0_sel:WORD_1
	s_waitcnt vmcnt(6)
	v_cvt_pk_f32_fp8_e32 v[76:77], v48
	v_mfma_f32_16x16x16_f16 v[10:13], v[10:11], v[18:19], v[22:25]
	v_cvt_pk_f32_fp8_sdwa v[78:79], v48 src0_sel:WORD_1
	s_nop 1
	v_cvt_pkrtz_f16_f32 v24, v80, v81
	v_cvt_pkrtz_f16_f32 v25, v82, v83
	v_mfma_f32_16x16x16_f16 v[10:13], v[74:75], v[20:21], v[10:13]
	v_cvt_pkrtz_f16_f32 v74, v84, v85
	v_cvt_pkrtz_f16_f32 v75, v52, v53
	;; [unrolled: 1-line block ×3, first 2 shown]
	v_mfma_f32_16x16x16_f16 v[10:13], v[24:25], v[14:15], v[10:13]
	v_cvt_pkrtz_f16_f32 v53, v50, v51
	v_cvt_pk_f32_fp8_e32 v[22:23], v3
	v_cvt_pk_f32_fp8_sdwa v[2:3], v3 src0_sel:WORD_1
	v_mfma_f32_16x16x16_f16 v[10:13], v[74:75], v[16:17], v[10:13]
	v_cvt_pkrtz_f16_f32 v50, v90, v91
	v_cvt_pkrtz_f16_f32 v51, v72, v73
	v_cvt_pk_f32_fp8_e32 v[24:25], v4
	v_cvt_pk_f32_fp8_sdwa v[74:75], v4 src0_sel:WORD_1
	v_mfma_f32_16x16x16_f16 v[10:13], v[52:53], v[6:7], v[10:13]
	v_cvt_pkrtz_f16_f32 v22, v22, v23
	v_cvt_pkrtz_f16_f32 v23, v2, v3
	;; [unrolled: 1-line block ×3, first 2 shown]
	v_mfma_f32_16x16x16_f16 v[50:53], v[50:51], v[8:9], v[10:13]
	v_cvt_pkrtz_f16_f32 v25, v74, v75
	v_cvt_pk_f32_fp8_e32 v[74:75], v45
	v_lshl_add_u64 v[72:73], s[4:5], 0, v[60:61]
	v_cvt_pk_f32_fp8_e32 v[10:11], v5
	v_cvt_pk_f32_fp8_sdwa v[12:13], v5 src0_sel:WORD_1
	v_mfma_f32_16x16x16_f16 v[2:5], v[22:23], v[28:29], v[54:57]
	v_cvt_pk_f32_fp8_sdwa v[22:23], v30 src0_sel:WORD_1
	v_cvt_pkrtz_f16_f32 v10, v10, v11
	v_cvt_pkrtz_f16_f32 v11, v12, v13
	v_mfma_f32_16x16x16_f16 v[2:5], v[24:25], v[18:19], v[2:5]
	v_cvt_pk_f32_fp8_e32 v[12:13], v30
	v_cvt_pk_f32_fp8_e32 v[24:25], v32
	v_or_b32_e32 v60, 0x400, v60
	v_mfma_f32_16x16x16_f16 v[2:5], v[10:11], v[20:21], v[2:5]
	v_cvt_pk_f32_fp8_e32 v[10:11], v31
	v_cvt_pkrtz_f16_f32 v12, v12, v13
	v_cvt_pkrtz_f16_f32 v13, v22, v23
	v_cvt_pk_f32_fp8_sdwa v[22:23], v31 src0_sel:WORD_1
	v_cvt_pkrtz_f16_f32 v10, v10, v11
	v_cvt_pk_f32_fp8_sdwa v[30:31], v32 src0_sel:WORD_1
	v_mfma_f32_16x16x16_f16 v[2:5], v[12:13], v[14:15], v[2:5]
	v_cvt_pkrtz_f16_f32 v11, v22, v23
	v_cvt_pkrtz_f16_f32 v12, v24, v25
	;; [unrolled: 1-line block ×3, first 2 shown]
	v_cvt_pk_f32_fp8_e32 v[22:23], v33
	v_cvt_pk_f32_fp8_sdwa v[24:25], v33 src0_sel:WORD_1
	v_mfma_f32_16x16x16_f16 v[2:5], v[10:11], v[16:17], v[2:5]
	v_cvt_pkrtz_f16_f32 v10, v22, v23
	v_cvt_pkrtz_f16_f32 v11, v24, v25
	v_mfma_f32_16x16x16_f16 v[2:5], v[12:13], v[6:7], v[2:5]
	v_cvt_pk_f32_fp8_e32 v[12:13], v42
	v_cvt_pk_f32_fp8_sdwa v[22:23], v42 src0_sel:WORD_1
	v_cvt_pk_f32_fp8_sdwa v[24:25], v44 src0_sel:WORD_1
	v_mfma_f32_16x16x16_f16 v[54:57], v[10:11], v[8:9], v[2:5]
	v_cvt_pk_f32_fp8_sdwa v[10:11], v43 src0_sel:WORD_1
	s_nop 1
	v_cvt_pkrtz_f16_f32 v2, v12, v13
	v_cvt_pkrtz_f16_f32 v3, v22, v23
	v_cvt_pk_f32_fp8_e32 v[4:5], v43
	v_cvt_pkrtz_f16_f32 v23, v10, v11
	v_cvt_pk_f32_fp8_e32 v[10:11], v44
	v_cvt_pk_f32_fp8_sdwa v[44:45], v45 src0_sel:WORD_1
	v_cvt_pkrtz_f16_f32 v22, v4, v5
	v_mfma_f32_16x16x16_f16 v[2:5], v[2:3], v[26:27], 0
	v_cvt_pkrtz_f16_f32 v10, v10, v11
	v_cvt_pkrtz_f16_f32 v11, v24, v25
	s_waitcnt vmcnt(3)
	v_mad_i64_i32 v[12:13], s[6:7], v71, s45, v[72:73]
	v_mfma_f32_16x16x16_f16 v[2:5], v[22:23], v[28:29], v[2:5]
	s_waitcnt vmcnt(2)
	v_mad_i64_i32 v[42:43], s[6:7], v70, s45, v[72:73]
	global_load_dwordx4 v[30:33], v[12:13], off
	global_load_dwordx4 v[22:25], v[42:43], off
	v_cvt_pkrtz_f16_f32 v12, v74, v75
	v_cvt_pkrtz_f16_f32 v13, v44, v45
	v_mfma_f32_16x16x16_f16 v[2:5], v[10:11], v[18:19], v[2:5]
	v_cvt_pk_f32_fp8_e32 v[10:11], v46
	v_cvt_pk_f32_fp8_sdwa v[42:43], v46 src0_sel:WORD_1
	s_waitcnt vmcnt(3)
	v_mad_i64_i32 v[74:75], s[6:7], v68, s45, v[72:73]
	v_mfma_f32_16x16x16_f16 v[2:5], v[12:13], v[20:21], v[2:5]
	v_cvt_pkrtz_f16_f32 v10, v10, v11
	v_cvt_pkrtz_f16_f32 v11, v42, v43
	v_cvt_pk_f32_fp8_e32 v[12:13], v47
	v_cvt_pk_f32_fp8_sdwa v[42:43], v47 src0_sel:WORD_1
	s_waitcnt vmcnt(2)
	v_mad_i64_i32 v[46:47], s[6:7], v69, s45, v[72:73]
	v_cvt_pkrtz_f16_f32 v72, v12, v13
	v_cvt_pkrtz_f16_f32 v73, v42, v43
	v_mfma_f32_16x16x16_f16 v[42:45], v[10:11], v[14:15], v[2:5]
	global_load_dwordx4 v[10:13], v[74:75], off
	s_nop 1
	global_load_dwordx4 v[2:5], v[46:47], off
	v_cvt_pkrtz_f16_f32 v74, v76, v77
	v_cvt_pkrtz_f16_f32 v75, v78, v79
	v_cvt_pk_f32_fp8_e32 v[76:77], v49
	v_cvt_pk_f32_fp8_sdwa v[48:49], v49 src0_sel:WORD_1
	v_mfma_f32_16x16x16_f16 v[44:47], v[72:73], v[16:17], v[42:45]
	s_nop 2
	v_lshl_add_u64 v[42:43], s[4:5], 0, v[60:61]
	v_cvt_pkrtz_f16_f32 v60, v76, v77
	v_cvt_pkrtz_f16_f32 v61, v48, v49
	v_mfma_f32_16x16x16_f16 v[44:47], v[74:75], v[6:7], v[44:47]
	v_cvt_pk_f32_fp8_e32 v[48:49], v38
	v_cvt_pk_f32_fp8_sdwa v[76:77], v38 src0_sel:WORD_1
	s_load_dword s4, s[40:41], 0x0
	v_mfma_f32_16x16x16_f16 v[72:75], v[60:61], v[8:9], v[44:47]
	v_cvt_pk_f32_fp8_e32 v[60:61], v40
	s_nop 1
	v_cvt_pk_f32_fp8_e32 v[44:45], v39
	v_cvt_pkrtz_f16_f32 v46, v48, v49
	v_cvt_pkrtz_f16_f32 v47, v76, v77
	v_cvt_pk_f32_fp8_sdwa v[38:39], v39 src0_sel:WORD_1
	v_cvt_pkrtz_f16_f32 v48, v44, v45
	v_cvt_pk_f32_fp8_sdwa v[76:77], v40 src0_sel:WORD_1
	v_mfma_f32_16x16x16_f16 v[44:47], v[46:47], v[26:27], 0
	v_cvt_pkrtz_f16_f32 v49, v38, v39
	v_cvt_pkrtz_f16_f32 v38, v60, v61
	;; [unrolled: 1-line block ×3, first 2 shown]
	v_cvt_pk_f32_fp8_e32 v[60:61], v41
	v_cvt_pk_f32_fp8_sdwa v[40:41], v41 src0_sel:WORD_1
	v_mfma_f32_16x16x16_f16 v[26:29], v[48:49], v[28:29], v[44:47]
	s_nop 2
	v_cvt_pkrtz_f16_f32 v44, v60, v61
	v_cvt_pkrtz_f16_f32 v45, v40, v41
	v_mfma_f32_16x16x16_f16 v[26:29], v[38:39], v[18:19], v[26:29]
	v_mov_b32_e32 v46, s8
	s_waitcnt lgkmcnt(0)
	v_mul_f32_e32 v40, s4, v46
	v_pk_mul_f32 v[38:39], v[40:41], v[52:53] op_sel_hi:[0,1]
	v_mfma_f32_16x16x16_f16 v[18:21], v[44:45], v[20:21], v[26:29]
	v_cvt_pk_f32_fp8_e32 v[44:45], v35
	v_pk_mul_f32 v[46:47], v[40:41], v[50:51] op_sel_hi:[0,1]
	v_pk_mul_f32 v[48:49], v[40:41], v[56:57] op_sel_hi:[0,1]
	v_cvt_pk_f32_fp8_e32 v[26:27], v34
	v_cvt_pk_f32_fp8_sdwa v[28:29], v34 src0_sel:WORD_1
	v_cvt_pk_f32_fp8_sdwa v[34:35], v35 src0_sel:WORD_1
	v_pk_mul_f32 v[52:53], v[40:41], v[54:55] op_sel_hi:[0,1]
	v_cvt_pkrtz_f16_f32 v26, v26, v27
	v_cvt_pkrtz_f16_f32 v27, v28, v29
	;; [unrolled: 1-line block ×4, first 2 shown]
	v_cvt_pk_f32_fp8_e32 v[34:35], v36
	v_cvt_pk_f32_fp8_sdwa v[44:45], v36 src0_sel:WORD_1
	v_mfma_f32_16x16x16_f16 v[18:21], v[26:27], v[14:15], v[18:21]
	v_pk_mul_f32 v[50:51], v[40:41], v[72:73] op_sel_hi:[0,1]
	v_cvt_pkrtz_f16_f32 v26, v34, v35
	v_cvt_pkrtz_f16_f32 v27, v44, v45
	v_cvt_pk_f32_fp8_e32 v[34:35], v37
	v_cvt_pk_f32_fp8_sdwa v[36:37], v37 src0_sel:WORD_1
	v_mfma_f32_16x16x16_f16 v[14:17], v[28:29], v[16:17], v[18:21]
	v_pk_mul_f32 v[44:45], v[40:41], v[74:75] op_sel_hi:[0,1]
	v_mad_i64_i32 v[60:61], s[4:5], v71, s45, v[42:43]
	s_nop 0
	v_cvt_pkrtz_f16_f32 v18, v34, v35
	v_cvt_pkrtz_f16_f32 v19, v36, v37
	v_mfma_f32_16x16x16_f16 v[14:17], v[26:27], v[6:7], v[14:17]
	s_nop 0
	v_mfma_f32_16x16x16_f16 v[6:9], v[18:19], v[8:9], v[14:17]
	s_nop 6
	v_pk_mul_f32 v[34:35], v[40:41], v[8:9] op_sel_hi:[0,1]
	v_pk_mul_f32 v[40:41], v[40:41], v[6:7] op_sel_hi:[0,1]
	v_and_b32_e32 v6, 0xc0, v0
	v_add_u32_e32 v6, s18, v6
	v_lshl_or_b32 v6, v65, 2, v6
	v_or_b32_e32 v9, 1, v6
	v_mov_b32_e32 v7, 0xff7fffff
	v_cmp_gt_i32_e64 s[4:5], s48, v6
	v_cmp_gt_i32_e64 s[28:29], s48, v9
	v_or_b32_e32 v14, 3, v6
	v_cndmask_b32_e64 v8, v7, v46, s[4:5]
	v_cndmask_b32_e64 v9, v7, v47, s[28:29]
	v_max3_f32 v8, v8, s44, v9
	v_or_b32_e32 v9, 2, v6
	v_cmp_gt_i32_e64 s[30:31], s48, v9
	v_cmp_gt_i32_e64 s[34:35], s48, v14
	s_nop 0
	v_cndmask_b32_e64 v9, v7, v38, s[30:31]
	v_cndmask_b32_e64 v14, v7, v39, s[34:35]
	v_max3_f32 v8, v8, v9, v14
	v_or_b32_e32 v9, 16, v6
	v_or_b32_e32 v14, 17, v6
	v_cmp_gt_i32_e64 s[36:37], s48, v9
	v_cmp_gt_i32_e64 s[38:39], s48, v14
	s_nop 0
	v_cndmask_b32_e64 v9, v7, v52, s[36:37]
	v_cndmask_b32_e64 v14, v7, v53, s[38:39]
	v_max3_f32 v8, v8, v9, v14
	v_or_b32_e32 v9, 18, v6
	;; [unrolled: 8-line block ×6, first 2 shown]
	v_or_b32_e32 v6, 51, v6
	v_cmp_gt_i32_e32 vcc, s48, v9
	v_cmp_gt_i32_e64 s[6:7], s48, v6
	s_nop 0
	v_cndmask_b32_e32 v9, v7, v34, vcc
	v_cndmask_b32_e64 v6, v7, v35, s[6:7]
	v_max3_f32 v8, v8, v9, v6
	v_mbcnt_lo_u32_b32 v6, -1, 0
	v_mbcnt_hi_u32_b32 v9, -1, v6
	v_and_b32_e32 v6, 64, v9
	v_add_u32_e32 v14, 64, v6
	v_xor_b32_e32 v6, 32, v9
	v_cmp_lt_i32_e64 s[40:41], v6, v14
	s_nop 1
	v_cndmask_b32_e64 v6, v9, v6, s[40:41]
	v_lshlrev_b32_e32 v55, 2, v6
	ds_bpermute_b32 v15, v55, v8
	v_mad_i64_i32 v[6:7], s[40:41], v70, s45, v[42:43]
	global_load_dwordx4 v[26:29], v[60:61], off
	global_load_dwordx4 v[18:21], v[6:7], off
	s_waitcnt lgkmcnt(0)
	v_max_f32_e32 v6, v15, v15
	v_max_f32_e32 v15, v8, v6
	v_xor_b32_e32 v6, 16, v9
	v_cmp_lt_i32_e64 s[40:41], v6, v14
	s_nop 1
	v_cndmask_b32_e64 v6, v9, v6, s[40:41]
	v_lshlrev_b32_e32 v56, 2, v6
	ds_bpermute_b32 v14, v56, v15
	v_mad_i64_i32 v[6:7], s[40:41], v68, s45, v[42:43]
	v_mad_i64_i32 v[8:9], s[40:41], v69, s45, v[42:43]
	s_waitcnt lgkmcnt(0)
	v_max_f32_e32 v14, v14, v14
	v_max_f32_e32 v54, v15, v14
	v_sub_f32_e32 v14, v46, v54
	v_mul_f32_e32 v14, 0x3fb8aa3b, v14
	v_exp_f32_e32 v36, v14
	v_sub_f32_e32 v14, v47, v54
	v_mul_f32_e32 v14, 0x3fb8aa3b, v14
	v_exp_f32_e32 v37, v14
	global_load_dwordx4 v[14:17], v[6:7], off
	s_nop 0
	global_load_dwordx4 v[6:9], v[8:9], off
	v_sub_f32_e32 v38, v38, v54
	v_mul_f32_e32 v38, 0x3fb8aa3b, v38
	v_sub_f32_e32 v39, v39, v54
	v_exp_f32_e32 v38, v38
	v_mul_f32_e32 v39, 0x3fb8aa3b, v39
	v_exp_f32_e32 v39, v39
	v_cndmask_b32_e64 v36, 0, v36, s[4:5]
	v_add_f32_e32 v42, 0, v36
	v_cndmask_b32_e64 v37, 0, v37, s[28:29]
	v_add_f32_e32 v42, v42, v37
	;; [unrolled: 2-line block ×3, first 2 shown]
	v_cndmask_b32_e64 v47, 0, v39, s[34:35]
	v_sub_f32_e32 v39, v52, v54
	v_sub_f32_e32 v42, v53, v54
	v_mul_f32_e32 v39, 0x3fb8aa3b, v39
	v_mul_f32_e32 v42, 0x3fb8aa3b, v42
	v_exp_f32_e32 v39, v39
	v_exp_f32_e32 v42, v42
	v_add_f32_e32 v43, v38, v47
	v_sub_f32_e32 v44, v44, v54
	v_cndmask_b32_e64 v38, 0, v39, s[36:37]
	v_cndmask_b32_e64 v39, 0, v42, s[38:39]
	v_sub_f32_e32 v42, v48, v54
	v_mul_f32_e32 v42, 0x3fb8aa3b, v42
	v_exp_f32_e32 v42, v42
	v_sub_f32_e32 v48, v49, v54
	v_add_f32_e32 v43, v43, v38
	v_mul_f32_e32 v48, 0x3fb8aa3b, v48
	v_exp_f32_e32 v49, v48
	v_add_f32_e32 v43, v43, v39
	v_cndmask_b32_e64 v48, 0, v42, s[20:21]
	v_add_f32_e32 v42, v43, v48
	v_sub_f32_e32 v43, v50, v54
	v_mul_f32_e32 v43, 0x3fb8aa3b, v43
	v_sub_f32_e32 v50, v51, v54
	v_exp_f32_e32 v43, v43
	v_mul_f32_e32 v50, 0x3fb8aa3b, v50
	v_exp_f32_e32 v50, v50
	v_mul_f32_e32 v44, 0x3fb8aa3b, v44
	v_sub_f32_e32 v45, v45, v54
	v_exp_f32_e32 v44, v44
	v_mul_f32_e32 v45, 0x3fb8aa3b, v45
	v_sub_f32_e32 v40, v40, v54
	v_cndmask_b32_e64 v49, 0, v49, s[22:23]
	v_exp_f32_e32 v45, v45
	v_mul_f32_e32 v40, 0x3fb8aa3b, v40
	v_sub_f32_e32 v41, v41, v54
	v_add_f32_e32 v51, v42, v49
	v_cndmask_b32_e64 v42, 0, v43, s[16:17]
	v_exp_f32_e32 v40, v40
	v_mul_f32_e32 v41, 0x3fb8aa3b, v41
	v_sub_f32_e32 v34, v34, v54
	v_add_f32_e32 v51, v51, v42
	;; [unrolled: 5-line block ×3, first 2 shown]
	v_cndmask_b32_e64 v44, 0, v44, s[12:13]
	v_exp_f32_e32 v34, v34
	v_mul_f32_e32 v35, 0x3fb8aa3b, v35
	v_add_f32_e32 v50, v50, v44
	v_cndmask_b32_e64 v45, 0, v45, s[14:15]
	v_exp_f32_e32 v35, v35
	v_add_f32_e32 v50, v50, v45
	v_cndmask_b32_e64 v40, 0, v40, s[8:9]
	v_add_f32_e32 v50, v50, v40
	v_cndmask_b32_e64 v41, 0, v41, s[10:11]
	v_add_f32_e32 v50, v50, v41
	v_cndmask_b32_e32 v34, 0, v34, vcc
	v_add_f32_e32 v50, v50, v34
	v_cndmask_b32_e64 v35, 0, v35, s[6:7]
	v_add_f32_e32 v50, v50, v35
	ds_bpermute_b32 v51, v55, v50
	v_cmp_gt_u32_e32 vcc, 16, v67
	s_waitcnt lgkmcnt(0)
	s_barrier
	v_add_f32_e32 v50, v50, v51
	ds_bpermute_b32 v51, v56, v50
	s_and_saveexec_b64 s[4:5], vcc
	s_cbranch_execz .LBB967_13
; %bb.12:
	s_waitcnt lgkmcnt(0)
	v_add_f32_e32 v50, v50, v51
	v_lshlrev_b32_e32 v51, 2, v59
	ds_write2st64_b32 v51, v54, v50 offset1:1
.LBB967_13:
	s_or_b64 exec, exec, s[4:5]
	s_waitcnt lgkmcnt(0)
	v_lshlrev_b32_e32 v51, 2, v62
	s_load_dword s6, s[0:1], 0x94
	s_waitcnt lgkmcnt(0)
	s_barrier
	ds_read2_b32 v[52:53], v51 offset1:16
	ds_read2_b32 v[54:55], v51 offset0:32 offset1:48
	ds_read2_b32 v[56:57], v51 offset0:64 offset1:80
	s_lshl_b32 s7, s33, 2
	s_waitcnt lgkmcnt(2)
	v_max3_f32 v50, v52, s44, v53
	s_waitcnt lgkmcnt(1)
	v_max3_f32 v50, v50, v54, v55
	v_sub_f32_e32 v52, v52, v50
	v_mul_f32_e32 v52, 0x3fb8aa3b, v52
	v_exp_f32_e32 v59, v52
	v_sub_f32_e32 v52, v53, v50
	v_mul_f32_e32 v52, 0x3fb8aa3b, v52
	v_exp_f32_e32 v60, v52
	;; [unrolled: 3-line block ×3, first 2 shown]
	ds_read2_b32 v[52:53], v51 offset0:96 offset1:112
	v_sub_f32_e32 v51, v55, v50
	v_mul_f32_e32 v51, 0x3fb8aa3b, v51
	v_exp_f32_e32 v55, v51
	s_waitcnt lgkmcnt(1)
	v_fma_f32 v51, v59, v56, 0
	v_fmac_f32_e32 v51, v60, v57
	s_waitcnt lgkmcnt(0)
	v_fmac_f32_e32 v51, v54, v52
	v_fmac_f32_e32 v51, v55, v53
	v_add_f32_e32 v52, 0x358637bd, v51
	v_div_scale_f32 v53, s[4:5], v52, v52, 1.0
	v_rcp_f32_e32 v56, v53
	s_barrier
	v_fma_f32 v57, -v53, v56, 1.0
	v_fmac_f32_e32 v56, v57, v56
	v_div_scale_f32 v57, vcc, 1.0, v52, 1.0
	v_mul_f32_e32 v61, v57, v56
	v_fma_f32 v67, -v53, v61, v57
	v_fmac_f32_e32 v61, v67, v56
	v_fma_f32 v53, -v53, v61, v57
	v_div_fmas_f32 v53, v53, v56, v61
	v_cmp_eq_u32_e32 vcc, 1, v66
	v_div_fixup_f32 v52, v53, v52, 1.0
	s_nop 0
	v_cndmask_b32_e32 v53, v59, v60, vcc
	v_cmp_eq_u32_e32 vcc, 2, v66
	s_nop 1
	v_cndmask_b32_e32 v53, v53, v54, vcc
	v_cmp_eq_u32_e32 vcc, 3, v66
	s_nop 1
	v_cndmask_b32_e32 v53, v53, v55, vcc
	v_mul_f32_e32 v52, v53, v52
	v_pk_mul_f32 v[46:47], v[52:53], v[46:47] op_sel_hi:[0,1]
	v_pk_mul_f32 v[36:37], v[52:53], v[36:37] op_sel_hi:[0,1]
	v_cvt_f16_f32_e32 v53, v46
	v_cvt_f16_f32_e32 v36, v36
	v_cvt_f16_f32_e32 v37, v37
	v_cvt_f16_f32_e32 v47, v47
	v_pk_mul_f32 v[48:49], v[52:53], v[48:49] op_sel_hi:[0,1]
	v_pk_mul_f32 v[38:39], v[52:53], v[38:39] op_sel_hi:[0,1]
	v_cvt_f16_f32_e32 v38, v38
	v_cvt_f16_f32_e32 v39, v39
	;; [unrolled: 1-line block ×4, first 2 shown]
	v_pack_b32_f16 v46, v36, v37
	v_pack_b32_f16 v47, v53, v47
	v_lshlrev_b32_e32 v37, 3, v65
	v_lshlrev_b32_e32 v36, 5, v62
	;; [unrolled: 1-line block ×3, first 2 shown]
	v_or3_b32 v54, v53, v36, v37
	v_pack_b32_f16 v38, v38, v39
	v_pack_b32_f16 v39, v48, v49
	ds_write2st64_b64 v54, v[46:47], v[38:39] offset1:1
	v_pk_mul_f32 v[38:39], v[52:53], v[44:45] op_sel_hi:[0,1]
	v_pk_mul_f32 v[42:43], v[52:53], v[42:43] op_sel_hi:[0,1]
	v_cvt_f16_f32_e32 v37, v42
	v_cvt_f16_f32_e32 v42, v43
	;; [unrolled: 1-line block ×4, first 2 shown]
	v_pk_mul_f32 v[34:35], v[52:53], v[34:35] op_sel_hi:[0,1]
	v_pk_mul_f32 v[38:39], v[52:53], v[40:41] op_sel_hi:[0,1]
	v_cvt_f16_f32_e32 v38, v38
	v_cvt_f16_f32_e32 v39, v39
	;; [unrolled: 1-line block ×4, first 2 shown]
	v_pack_b32_f16 v34, v37, v42
	v_pack_b32_f16 v35, v43, v44
	;; [unrolled: 1-line block ×4, first 2 shown]
	v_cmp_gt_u32_e32 vcc, 4, v0
	ds_write2st64_b64 v54, v[34:35], v[38:39] offset0:2 offset1:3
	s_and_saveexec_b64 s[4:5], vcc
	s_cbranch_execz .LBB967_15
; %bb.14:
	v_or_b32_e32 v34, s25, v0
	v_mov_b32_e32 v35, 0
	v_mov_b32_e32 v37, s7
	v_mad_u64_u32 v[38:39], s[12:13], s2, v37, v[34:35]
	v_mov_b32_e32 v34, s24
	s_load_dwordx4 s[8:11], s[0:1], 0x58
	s_mul_i32 s3, s3, s7
	v_mad_u64_u32 v[34:35], s[12:13], v38, s6, v[34:35]
	v_add_u32_e32 v37, s3, v39
	v_mov_b32_e32 v38, v35
	v_mad_u64_u32 v[38:39], s[12:13], v37, s6, v[38:39]
	v_mov_b32_e32 v35, v38
	v_lshlrev_b64 v[34:35], 2, v[34:35]
	s_waitcnt lgkmcnt(0)
	v_lshl_add_u64 v[38:39], s[10:11], 0, v[34:35]
	v_lshl_add_u64 v[34:35], s[8:9], 0, v[34:35]
	global_store_dword v[38:39], v50, off
	global_store_dword v[34:35], v51, off
.LBB967_15:
	s_or_b64 exec, exec, s[4:5]
	s_waitcnt vmcnt(7)
	v_cvt_pk_f32_fp8_e32 v[34:35], v30
	v_lshl_or_b32 v50, v65, 9, v36
	v_cvt_pk_f32_fp8_sdwa v[36:37], v30 src0_sel:WORD_1
	s_waitcnt lgkmcnt(0)
	s_barrier
	v_cvt_pk_f32_fp8_e32 v[38:39], v31
	v_cvt_pkrtz_f16_f32 v30, v34, v35
	v_cvt_pk_f32_fp8_sdwa v[40:41], v31 src0_sel:WORD_1
	v_cvt_pkrtz_f16_f32 v31, v36, v37
	ds_read_b128 v[34:37], v50
	v_cvt_pkrtz_f16_f32 v46, v38, v39
	v_cvt_pkrtz_f16_f32 v47, v40, v41
	ds_read_b128 v[38:41], v50 offset:16
	v_cvt_pk_f32_fp8_e32 v[48:49], v32
	v_cvt_pk_f32_fp8_sdwa v[52:53], v32 src0_sel:WORD_1
	s_waitcnt lgkmcnt(1)
	v_mfma_f32_16x16x16_f16 v[42:45], v[30:31], v[34:35], 0
	s_waitcnt vmcnt(6)
	v_cvt_pk_f32_fp8_e32 v[56:57], v24
	v_cvt_pkrtz_f16_f32 v30, v48, v49
	v_cvt_pkrtz_f16_f32 v31, v52, v53
	v_cvt_pk_f32_fp8_e32 v[48:49], v33
	v_mfma_f32_16x16x16_f16 v[42:45], v[46:47], v[36:37], v[42:45]
	v_cvt_pk_f32_fp8_sdwa v[46:47], v33 src0_sel:WORD_1
	v_cvt_pk_f32_fp8_sdwa v[60:61], v24 src0_sel:WORD_1
	v_cvt_pkrtz_f16_f32 v48, v48, v49
	s_waitcnt lgkmcnt(0)
	v_mfma_f32_16x16x16_f16 v[30:33], v[30:31], v[38:39], v[42:45]
	v_cvt_pkrtz_f16_f32 v49, v46, v47
	s_waitcnt vmcnt(4)
	v_cvt_pk_f32_fp8_sdwa v[70:71], v4 src0_sel:WORD_1
	s_waitcnt vmcnt(3)
	v_cvt_pk_f32_fp8_sdwa v[72:73], v28 src0_sel:WORD_1
	v_cvt_pk_f32_fp8_e32 v[42:43], v22
	v_mfma_f32_16x16x16_f16 v[46:49], v[48:49], v[40:41], v[30:33]
	s_load_dword s4, s[42:43], 0x0
	s_mov_b32 s3, 0
	s_nop 0
	v_cvt_pk_f32_fp8_sdwa v[30:31], v22 src0_sel:WORD_1
	v_cvt_pk_f32_fp8_e32 v[32:33], v23
	v_cvt_pkrtz_f16_f32 v22, v42, v43
	v_cvt_pk_f32_fp8_sdwa v[42:43], v23 src0_sel:WORD_1
	v_cvt_pkrtz_f16_f32 v23, v30, v31
	v_cvt_pkrtz_f16_f32 v52, v32, v33
	ds_read_b128 v[30:33], v50 offset:2048
	v_cvt_pkrtz_f16_f32 v53, v42, v43
	ds_read_b128 v[42:45], v50 offset:2064
	s_waitcnt lgkmcnt(0)
	v_mfma_f32_16x16x16_f16 v[46:49], v[22:23], v[30:31], v[46:49]
	v_cvt_pkrtz_f16_f32 v22, v56, v57
	v_cvt_pkrtz_f16_f32 v23, v60, v61
	v_cvt_pk_f32_fp8_e32 v[56:57], v25
	v_mfma_f32_16x16x16_f16 v[46:49], v[52:53], v[32:33], v[46:49]
	v_cvt_pk_f32_fp8_sdwa v[52:53], v25 src0_sel:WORD_1
	v_cvt_pk_f32_fp8_sdwa v[60:61], v12 src0_sel:WORD_1
	v_cvt_pkrtz_f16_f32 v56, v56, v57
	v_mfma_f32_16x16x16_f16 v[22:25], v[22:23], v[42:43], v[46:49]
	v_cvt_pkrtz_f16_f32 v57, v52, v53
	s_nop 1
	v_cvt_pk_f32_fp8_e32 v[46:47], v10
	v_mfma_f32_16x16x16_f16 v[66:69], v[56:57], v[44:45], v[22:25]
	v_cvt_pk_f32_fp8_e32 v[56:57], v12
	s_nop 1
	v_cvt_pk_f32_fp8_sdwa v[22:23], v10 src0_sel:WORD_1
	v_cvt_pk_f32_fp8_e32 v[24:25], v11
	v_cvt_pkrtz_f16_f32 v10, v46, v47
	v_cvt_pk_f32_fp8_sdwa v[46:47], v11 src0_sel:WORD_1
	v_cvt_pkrtz_f16_f32 v11, v22, v23
	v_cvt_pkrtz_f16_f32 v52, v24, v25
	ds_read_b128 v[22:25], v50 offset:4096
	v_cvt_pkrtz_f16_f32 v53, v46, v47
	ds_read_b128 v[46:49], v50 offset:4112
	s_waitcnt lgkmcnt(1)
	v_mfma_f32_16x16x16_f16 v[66:69], v[10:11], v[22:23], v[66:69]
	v_cvt_pkrtz_f16_f32 v10, v56, v57
	v_cvt_pkrtz_f16_f32 v11, v60, v61
	v_cvt_pk_f32_fp8_e32 v[56:57], v13
	v_mfma_f32_16x16x16_f16 v[66:69], v[52:53], v[24:25], v[66:69]
	v_cvt_pk_f32_fp8_sdwa v[52:53], v13 src0_sel:WORD_1
	v_cvt_pk_f32_fp8_e32 v[60:61], v4
	v_cvt_pkrtz_f16_f32 v56, v56, v57
	s_waitcnt lgkmcnt(0)
	v_mfma_f32_16x16x16_f16 v[10:13], v[10:11], v[46:47], v[66:69]
	v_cvt_pkrtz_f16_f32 v57, v52, v53
	v_cvt_pk_f32_fp8_e32 v[52:53], v2
	s_nop 0
	v_mfma_f32_16x16x16_f16 v[66:69], v[56:57], v[48:49], v[10:13]
	s_nop 2
	v_cvt_pk_f32_fp8_sdwa v[10:11], v2 src0_sel:WORD_1
	v_cvt_pk_f32_fp8_e32 v[12:13], v3
	v_cvt_pkrtz_f16_f32 v2, v52, v53
	v_cvt_pk_f32_fp8_sdwa v[52:53], v3 src0_sel:WORD_1
	v_cvt_pkrtz_f16_f32 v3, v10, v11
	v_cvt_pkrtz_f16_f32 v56, v12, v13
	ds_read_b128 v[10:13], v50 offset:6144
	v_cvt_pkrtz_f16_f32 v57, v52, v53
	s_waitcnt lgkmcnt(0)
	v_mfma_f32_16x16x16_f16 v[66:69], v[2:3], v[10:11], v[66:69]
	ds_read_b128 v[50:53], v50 offset:6160
	v_cvt_pkrtz_f16_f32 v2, v60, v61
	v_cvt_pkrtz_f16_f32 v3, v70, v71
	v_cvt_pk_f32_fp8_e32 v[60:61], v5
	v_mfma_f32_16x16x16_f16 v[66:69], v[56:57], v[12:13], v[66:69]
	v_cvt_pk_f32_fp8_sdwa v[56:57], v5 src0_sel:WORD_1
	v_cvt_pk_f32_fp8_e32 v[70:71], v28
	v_cvt_pkrtz_f16_f32 v60, v60, v61
	s_waitcnt lgkmcnt(0)
	v_mfma_f32_16x16x16_f16 v[2:5], v[2:3], v[50:51], v[66:69]
	v_cvt_pkrtz_f16_f32 v61, v56, v57
	v_cvt_pk_f32_fp8_e32 v[56:57], v26
	s_nop 0
	v_cvt_pk_f32_fp8_sdwa v[66:67], v26 src0_sel:WORD_1
	v_mfma_f32_16x16x16_f16 v[2:5], v[60:61], v[52:53], v[2:5]
	v_cvt_pk_f32_fp8_e32 v[60:61], v27
	v_cvt_pkrtz_f16_f32 v56, v56, v57
	v_cvt_pkrtz_f16_f32 v57, v66, v67
	v_cvt_pk_f32_fp8_sdwa v[26:27], v27 src0_sel:WORD_1
	v_cvt_pkrtz_f16_f32 v60, v60, v61
	v_mfma_f32_16x16x16_f16 v[66:69], v[56:57], v[34:35], 0
	v_cvt_pkrtz_f16_f32 v61, v26, v27
	v_cvt_pkrtz_f16_f32 v26, v70, v71
	;; [unrolled: 1-line block ×3, first 2 shown]
	v_cvt_pk_f32_fp8_e32 v[56:57], v29
	v_mfma_f32_16x16x16_f16 v[34:37], v[60:61], v[36:37], v[66:69]
	v_cvt_pk_f32_fp8_sdwa v[60:61], v29 src0_sel:WORD_1
	v_cvt_pkrtz_f16_f32 v56, v56, v57
	s_barrier
	v_mfma_f32_16x16x16_f16 v[26:29], v[26:27], v[38:39], v[34:37]
	v_cvt_pkrtz_f16_f32 v57, v60, v61
	s_waitcnt vmcnt(2)
	v_cvt_pk_f32_fp8_e32 v[38:39], v19
	v_cvt_pk_f32_fp8_e32 v[34:35], v18
	v_cvt_pk_f32_fp8_sdwa v[36:37], v18 src0_sel:WORD_1
	v_cvt_pk_f32_fp8_sdwa v[18:19], v19 src0_sel:WORD_1
	v_mfma_f32_16x16x16_f16 v[26:29], v[56:57], v[40:41], v[26:29]
	v_cvt_pkrtz_f16_f32 v34, v34, v35
	v_cvt_pkrtz_f16_f32 v35, v36, v37
	;; [unrolled: 1-line block ×3, first 2 shown]
	v_cvt_pk_f32_fp8_e32 v[38:39], v20
	v_cvt_pk_f32_fp8_sdwa v[40:41], v20 src0_sel:WORD_1
	v_cvt_pkrtz_f16_f32 v37, v18, v19
	v_mfma_f32_16x16x16_f16 v[26:29], v[34:35], v[30:31], v[26:29]
	v_cvt_pkrtz_f16_f32 v30, v38, v39
	v_cvt_pkrtz_f16_f32 v31, v40, v41
	v_cvt_pk_f32_fp8_e32 v[34:35], v21
	v_cvt_pk_f32_fp8_sdwa v[38:39], v21 src0_sel:WORD_1
	v_mfma_f32_16x16x16_f16 v[18:21], v[36:37], v[32:33], v[26:29]
	s_waitcnt vmcnt(1)
	v_cvt_pk_f32_fp8_sdwa v[32:33], v16 src0_sel:WORD_1
	s_nop 0
	v_cvt_pkrtz_f16_f32 v26, v34, v35
	v_cvt_pkrtz_f16_f32 v27, v38, v39
	v_mfma_f32_16x16x16_f16 v[18:21], v[30:31], v[42:43], v[18:21]
	v_cvt_pk_f32_fp8_e32 v[28:29], v14
	v_cvt_pk_f32_fp8_sdwa v[30:31], v14 src0_sel:WORD_1
	v_cvt_pkrtz_f16_f32 v28, v28, v29
	v_mfma_f32_16x16x16_f16 v[18:21], v[26:27], v[44:45], v[18:21]
	v_cvt_pk_f32_fp8_e32 v[26:27], v15
	v_cvt_pkrtz_f16_f32 v29, v30, v31
	v_cvt_pk_f32_fp8_sdwa v[14:15], v15 src0_sel:WORD_1
	v_cvt_pk_f32_fp8_e32 v[30:31], v16
	v_cvt_pkrtz_f16_f32 v26, v26, v27
	v_mfma_f32_16x16x16_f16 v[18:21], v[28:29], v[22:23], v[18:21]
	v_cvt_pkrtz_f16_f32 v27, v14, v15
	v_cvt_pkrtz_f16_f32 v22, v30, v31
	;; [unrolled: 1-line block ×3, first 2 shown]
	v_cvt_pk_f32_fp8_e32 v[28:29], v17
	v_cvt_pk_f32_fp8_sdwa v[30:31], v17 src0_sel:WORD_1
	v_mfma_f32_16x16x16_f16 v[14:17], v[26:27], v[24:25], v[18:21]
	s_waitcnt vmcnt(0)
	v_cvt_pk_f32_fp8_sdwa v[24:25], v6 src0_sel:WORD_1
	s_nop 0
	v_pk_mul_f32 v[18:19], v[4:5], s[4:5] op_sel_hi:[1,0]
	v_cvt_pkrtz_f16_f32 v4, v28, v29
	v_cvt_pkrtz_f16_f32 v5, v30, v31
	v_mfma_f32_16x16x16_f16 v[14:17], v[22:23], v[46:47], v[14:17]
	v_cvt_pk_f32_fp8_e32 v[22:23], v6
	v_pk_mul_f32 v[20:21], v[2:3], s[4:5] op_sel_hi:[1,0]
	v_mfma_f32_16x16x16_f16 v[2:5], v[4:5], v[48:49], v[14:17]
	s_nop 3
	v_cvt_pk_f32_fp8_e32 v[14:15], v7
	v_cvt_pkrtz_f16_f32 v16, v22, v23
	v_cvt_pkrtz_f16_f32 v17, v24, v25
	v_cvt_pk_f32_fp8_sdwa v[6:7], v7 src0_sel:WORD_1
	v_cvt_pkrtz_f16_f32 v14, v14, v15
	v_cvt_pk_f32_fp8_e32 v[22:23], v8
	v_cvt_pk_f32_fp8_sdwa v[24:25], v8 src0_sel:WORD_1
	v_cvt_pkrtz_f16_f32 v15, v6, v7
	v_mfma_f32_16x16x16_f16 v[2:5], v[16:17], v[10:11], v[2:5]
	v_cvt_pkrtz_f16_f32 v6, v22, v23
	v_cvt_pkrtz_f16_f32 v7, v24, v25
	v_cvt_pk_f32_fp8_e32 v[10:11], v9
	v_cvt_pk_f32_fp8_sdwa v[8:9], v9 src0_sel:WORD_1
	v_mfma_f32_16x16x16_f16 v[2:5], v[14:15], v[12:13], v[2:5]
	v_cvt_f16_f32_e32 v12, v20
	v_cvt_pkrtz_f16_f32 v10, v10, v11
	v_cvt_pkrtz_f16_f32 v11, v8, v9
	v_mfma_f32_16x16x16_f16 v[2:5], v[6:7], v[50:51], v[2:5]
	v_cvt_f16_f32_e32 v6, v21
	v_cvt_f16_f32_e32 v7, v18
	v_cvt_f16_f32_e32 v8, v19
	v_mfma_f32_16x16x16_f16 v[2:5], v[10:11], v[52:53], v[2:5]
	s_nop 6
	v_pk_mul_f32 v[4:5], v[4:5], s[4:5] op_sel_hi:[1,0]
	v_pk_mul_f32 v[2:3], v[2:3], s[4:5] op_sel_hi:[1,0]
	v_cvt_f16_f32_e32 v11, v4
	v_cvt_f16_f32_e32 v9, v2
	;; [unrolled: 1-line block ×4, first 2 shown]
	v_pack_b32_f16 v2, v12, v6
	v_pack_b32_f16 v3, v7, v8
	;; [unrolled: 1-line block ×4, first 2 shown]
	ds_write2st64_b64 v54, v[2:3], v[4:5] offset1:1
	s_waitcnt lgkmcnt(0)
	s_barrier
	s_and_saveexec_b64 s[4:5], s[26:27]
	s_cbranch_execz .LBB967_17
; %bb.16:
	s_load_dwordx2 s[0:1], s[0:1], 0x68
	s_lshl_b32 s6, s6, 7
	s_mul_i32 s2, s7, s2
	v_lshlrev_b32_e32 v3, 6, v62
	s_mul_hi_u32 s5, s2, s6
	s_mul_i32 s4, s2, s6
	v_lshl_or_b32 v0, v0, 10, v3
	s_lshl_b64 s[4:5], s[4:5], 1
	v_and_b32_e32 v2, 16, v64
	v_and_b32_e32 v0, 0x1a00, v0
	s_waitcnt lgkmcnt(0)
	s_add_u32 s4, s0, s4
	v_or3_b32 v0, v0, v63, v2
	s_addc_u32 s5, s1, s5
	s_lshl_b32 s2, s24, 7
	ds_read_b128 v[2:5], v0
	s_lshl_b64 s[0:1], s[2:3], 1
	s_add_u32 s0, s4, s0
	s_addc_u32 s1, s5, s1
	v_mad_u64_u32 v[0:1], s[2:3], s6, v1, 0
	v_lshl_add_u64 v[0:1], v[0:1], 1, s[0:1]
	v_mov_b32_e32 v59, 0
	v_lshl_add_u64 v[0:1], v[0:1], 0, v[58:59]
	s_waitcnt lgkmcnt(0)
	global_store_dwordx4 v[0:1], v[2:5], off
.LBB967_17:
	s_endpgm
	.section	.rodata,"a",@progbits
	.p2align	6, 0x0
	.amdhsa_kernel _Z39paged_attention_ll4mi_QKV_mfma16_kernelIDF16_hLN4vllm18Fp8KVCacheDataTypeE1EhLi16ELi128ELi256ELb0ELi4EEvPKT_PKT0_S7_ifPKiS9_S9_iPKfiiiPfSC_PS2_PT2_iSB_SB_
		.amdhsa_group_segment_fixed_size 8192
		.amdhsa_private_segment_fixed_size 0
		.amdhsa_kernarg_size 400
		.amdhsa_user_sgpr_count 2
		.amdhsa_user_sgpr_dispatch_ptr 0
		.amdhsa_user_sgpr_queue_ptr 0
		.amdhsa_user_sgpr_kernarg_segment_ptr 1
		.amdhsa_user_sgpr_dispatch_id 0
		.amdhsa_user_sgpr_kernarg_preload_length 0
		.amdhsa_user_sgpr_kernarg_preload_offset 0
		.amdhsa_user_sgpr_private_segment_size 0
		.amdhsa_uses_dynamic_stack 0
		.amdhsa_enable_private_segment 0
		.amdhsa_system_sgpr_workgroup_id_x 1
		.amdhsa_system_sgpr_workgroup_id_y 1
		.amdhsa_system_sgpr_workgroup_id_z 1
		.amdhsa_system_sgpr_workgroup_info 0
		.amdhsa_system_vgpr_workitem_id 0
		.amdhsa_next_free_vgpr 92
		.amdhsa_next_free_sgpr 49
		.amdhsa_accum_offset 92
		.amdhsa_reserve_vcc 1
		.amdhsa_float_round_mode_32 0
		.amdhsa_float_round_mode_16_64 0
		.amdhsa_float_denorm_mode_32 3
		.amdhsa_float_denorm_mode_16_64 3
		.amdhsa_dx10_clamp 1
		.amdhsa_ieee_mode 1
		.amdhsa_fp16_overflow 0
		.amdhsa_tg_split 0
		.amdhsa_exception_fp_ieee_invalid_op 0
		.amdhsa_exception_fp_denorm_src 0
		.amdhsa_exception_fp_ieee_div_zero 0
		.amdhsa_exception_fp_ieee_overflow 0
		.amdhsa_exception_fp_ieee_underflow 0
		.amdhsa_exception_fp_ieee_inexact 0
		.amdhsa_exception_int_div_zero 0
	.end_amdhsa_kernel
	.section	.text._Z39paged_attention_ll4mi_QKV_mfma16_kernelIDF16_hLN4vllm18Fp8KVCacheDataTypeE1EhLi16ELi128ELi256ELb0ELi4EEvPKT_PKT0_S7_ifPKiS9_S9_iPKfiiiPfSC_PS2_PT2_iSB_SB_,"axG",@progbits,_Z39paged_attention_ll4mi_QKV_mfma16_kernelIDF16_hLN4vllm18Fp8KVCacheDataTypeE1EhLi16ELi128ELi256ELb0ELi4EEvPKT_PKT0_S7_ifPKiS9_S9_iPKfiiiPfSC_PS2_PT2_iSB_SB_,comdat
.Lfunc_end967:
	.size	_Z39paged_attention_ll4mi_QKV_mfma16_kernelIDF16_hLN4vllm18Fp8KVCacheDataTypeE1EhLi16ELi128ELi256ELb0ELi4EEvPKT_PKT0_S7_ifPKiS9_S9_iPKfiiiPfSC_PS2_PT2_iSB_SB_, .Lfunc_end967-_Z39paged_attention_ll4mi_QKV_mfma16_kernelIDF16_hLN4vllm18Fp8KVCacheDataTypeE1EhLi16ELi128ELi256ELb0ELi4EEvPKT_PKT0_S7_ifPKiS9_S9_iPKfiiiPfSC_PS2_PT2_iSB_SB_
                                        ; -- End function
	.section	.AMDGPU.csdata,"",@progbits
; Kernel info:
; codeLenInByte = 5924
; NumSgprs: 55
; NumVgprs: 92
; NumAgprs: 0
; TotalNumVgprs: 92
; ScratchSize: 0
; MemoryBound: 0
; FloatMode: 240
; IeeeMode: 1
; LDSByteSize: 8192 bytes/workgroup (compile time only)
; SGPRBlocks: 6
; VGPRBlocks: 11
; NumSGPRsForWavesPerEU: 55
; NumVGPRsForWavesPerEU: 92
; AccumOffset: 92
; Occupancy: 5
; WaveLimiterHint : 1
; COMPUTE_PGM_RSRC2:SCRATCH_EN: 0
; COMPUTE_PGM_RSRC2:USER_SGPR: 2
; COMPUTE_PGM_RSRC2:TRAP_HANDLER: 0
; COMPUTE_PGM_RSRC2:TGID_X_EN: 1
; COMPUTE_PGM_RSRC2:TGID_Y_EN: 1
; COMPUTE_PGM_RSRC2:TGID_Z_EN: 1
; COMPUTE_PGM_RSRC2:TIDIG_COMP_CNT: 0
; COMPUTE_PGM_RSRC3_GFX90A:ACCUM_OFFSET: 22
; COMPUTE_PGM_RSRC3_GFX90A:TG_SPLIT: 0
	.section	.text._Z38paged_attention_ll4mi_QKV_mfma4_kernelIDF16_hLN4vllm18Fp8KVCacheDataTypeE1EDF16_Li16ELi128ELi256ELb1ELi1EEvPKT_PKT0_S7_ifPKiS9_S9_iPKfiiiPfSC_PS2_PT2_iSB_SB_,"axG",@progbits,_Z38paged_attention_ll4mi_QKV_mfma4_kernelIDF16_hLN4vllm18Fp8KVCacheDataTypeE1EDF16_Li16ELi128ELi256ELb1ELi1EEvPKT_PKT0_S7_ifPKiS9_S9_iPKfiiiPfSC_PS2_PT2_iSB_SB_,comdat
	.protected	_Z38paged_attention_ll4mi_QKV_mfma4_kernelIDF16_hLN4vllm18Fp8KVCacheDataTypeE1EDF16_Li16ELi128ELi256ELb1ELi1EEvPKT_PKT0_S7_ifPKiS9_S9_iPKfiiiPfSC_PS2_PT2_iSB_SB_ ; -- Begin function _Z38paged_attention_ll4mi_QKV_mfma4_kernelIDF16_hLN4vllm18Fp8KVCacheDataTypeE1EDF16_Li16ELi128ELi256ELb1ELi1EEvPKT_PKT0_S7_ifPKiS9_S9_iPKfiiiPfSC_PS2_PT2_iSB_SB_
	.globl	_Z38paged_attention_ll4mi_QKV_mfma4_kernelIDF16_hLN4vllm18Fp8KVCacheDataTypeE1EDF16_Li16ELi128ELi256ELb1ELi1EEvPKT_PKT0_S7_ifPKiS9_S9_iPKfiiiPfSC_PS2_PT2_iSB_SB_
	.p2align	8
	.type	_Z38paged_attention_ll4mi_QKV_mfma4_kernelIDF16_hLN4vllm18Fp8KVCacheDataTypeE1EDF16_Li16ELi128ELi256ELb1ELi1EEvPKT_PKT0_S7_ifPKiS9_S9_iPKfiiiPfSC_PS2_PT2_iSB_SB_,@function
_Z38paged_attention_ll4mi_QKV_mfma4_kernelIDF16_hLN4vllm18Fp8KVCacheDataTypeE1EDF16_Li16ELi128ELi256ELb1ELi1EEvPKT_PKT0_S7_ifPKiS9_S9_iPKfiiiPfSC_PS2_PT2_iSB_SB_: ; @_Z38paged_attention_ll4mi_QKV_mfma4_kernelIDF16_hLN4vllm18Fp8KVCacheDataTypeE1EDF16_Li16ELi128ELi256ELb1ELi1EEvPKT_PKT0_S7_ifPKiS9_S9_iPKfiiiPfSC_PS2_PT2_iSB_SB_
; %bb.0:
	s_load_dwordx2 s[8:9], s[0:1], 0x30
	s_mov_b32 s20, s3
	s_mov_b64 s[6:7], 0
	s_waitcnt lgkmcnt(0)
	s_cmp_lg_u64 s[8:9], 0
	s_cselect_b64 s[10:11], -1, 0
	s_and_b64 vcc, exec, s[10:11]
	s_cbranch_vccz .LBB968_10
; %bb.1:
	s_add_i32 s12, s2, 1
	s_mov_b32 s13, 0
	s_lshl_b64 s[14:15], s[12:13], 2
	s_add_u32 s14, s8, s14
	s_mov_b32 s3, s13
	s_addc_u32 s15, s9, s15
	s_lshl_b64 s[12:13], s[2:3], 2
	s_add_u32 s12, s8, s12
	s_addc_u32 s13, s9, s13
	s_load_dword s5, s[14:15], 0x0
	s_load_dword s16, s[12:13], 0x0
	s_waitcnt lgkmcnt(0)
	s_sub_i32 s5, s5, s16
	s_cmp_eq_u32 s5, 1
	s_cselect_b64 s[12:13], -1, 0
	s_andn2_b64 vcc, exec, s[6:7]
	s_cbranch_vccnz .LBB968_3
.LBB968_2:
	s_mov_b32 s3, 0
	s_mov_b64 s[12:13], -1
.LBB968_3:
	s_andn2_b64 vcc, exec, s[12:13]
	s_cbranch_vccnz .LBB968_27
; %bb.4:
	s_load_dword s5, s[0:1], 0x9c
	s_load_dwordx2 s[6:7], s[0:1], 0x28
	s_add_u32 s24, s0, 0x90
	s_addc_u32 s25, s1, 0
	s_lshl_b64 s[28:29], s[2:3], 2
	s_waitcnt lgkmcnt(0)
	s_and_b32 s5, s5, 0xffff
	s_add_u32 s6, s6, s28
	s_addc_u32 s7, s7, s29
	s_load_dword s3, s[6:7], 0x0
	s_mul_i32 s5, s20, s5
	s_waitcnt lgkmcnt(0)
	s_cmp_ge_i32 s5, s3
	s_cbranch_scc1 .LBB968_27
; %bb.5:
	v_and_b32_e32 v1, 0xc0, v0
	v_add_u32_e32 v4, s5, v1
	v_lshrrev_b32_e32 v42, 6, v0
	v_cmp_le_i32_e64 s[6:7], s3, v4
                                        ; implicit-def: $sgpr30
                                        ; implicit-def: $sgpr21
	s_and_saveexec_b64 s[12:13], s[6:7]
	s_xor_b64 s[12:13], exec, s[12:13]
	s_cbranch_execz .LBB968_7
; %bb.6:
	v_mul_u32_u24_e32 v1, 20, v42
	v_or_b32_e32 v1, 0x1400, v1
	v_mov_b32_e32 v2, 0x1450
	v_mov_b32_e32 v3, 0xff7fffff
	v_mad_u32_u24 v2, v42, 20, v2
	ds_write2_b32 v1, v3, v3 offset1:1
	v_mov_b32_e32 v1, 0
	ds_write2_b32 v2, v1, v1 offset1:1
	v_mov_b32_e32 v2, 0x1408
	v_mov_b32_e32 v4, 0x1458
	s_mov_b32 s21, 0xff7fffff
	s_mov_b32 s30, 0
	v_mad_u32_u24 v2, v42, 20, v2
	v_mad_u32_u24 v4, v42, 20, v4
	ds_write2_b32 v2, v3, v3 offset1:1
	ds_write2_b32 v4, v1, v1 offset1:1
                                        ; implicit-def: $vgpr4
.LBB968_7:
	s_or_saveexec_b64 s[26:27], s[12:13]
	s_load_dwordx2 s[22:23], s[0:1], 0x68
	s_load_dwordx4 s[16:19], s[0:1], 0x58
	s_load_dword s33, s[24:25], 0x4
	s_load_dwordx4 s[12:15], s[0:1], 0x80
	v_and_b32_e32 v1, 63, v0
	v_and_b32_e32 v43, 3, v0
	v_mov_b32_e32 v37, s30
	v_mov_b32_e32 v39, s21
	;; [unrolled: 1-line block ×5, first 2 shown]
                                        ; implicit-def: $vgpr18_vgpr19
                                        ; implicit-def: $vgpr22_vgpr23
                                        ; implicit-def: $vgpr26_vgpr27
                                        ; implicit-def: $vgpr30_vgpr31
                                        ; implicit-def: $vgpr2_vgpr3
                                        ; implicit-def: $vgpr6_vgpr7
                                        ; implicit-def: $vgpr10_vgpr11
                                        ; implicit-def: $vgpr14_vgpr15
	s_xor_b64 exec, exec, s[26:27]
	s_cbranch_execz .LBB968_19
; %bb.8:
	s_load_dwordx2 s[30:31], s[0:1], 0x20
	s_load_dword s21, s[0:1], 0x38
	s_add_i32 s34, s3, 15
	s_ashr_i32 s35, s34, 31
	s_lshr_b32 s35, s35, 28
	v_add_u32_e32 v44, s5, v0
	s_add_i32 s34, s34, s35
	v_ashrrev_i32_e32 v2, 31, v44
	s_ashr_i32 s34, s34, 4
	v_lshrrev_b32_e32 v2, 28, v2
	s_add_i32 s36, s34, -1
	s_waitcnt lgkmcnt(0)
	s_mul_i32 s34, s2, s21
	s_mov_b32 s35, 0
	v_add_u32_e32 v2, v44, v2
	s_lshl_b64 s[34:35], s[34:35], 2
	v_ashrrev_i32_e32 v2, 4, v2
	v_mov_b32_e32 v3, s36
	v_cmp_gt_i32_e32 vcc, s3, v44
	s_add_u32 s30, s30, s34
	s_addc_u32 s31, s31, s35
	v_cndmask_b32_e32 v2, v3, v2, vcc
	v_ashrrev_i32_e32 v3, 31, v2
	v_lshl_add_u64 v[6:7], v[2:3], 2, s[30:31]
	v_ashrrev_i32_e32 v2, 31, v4
	v_lshrrev_b32_e32 v2, 28, v2
	v_add_u32_e32 v2, v4, v2
	v_ashrrev_i32_e32 v12, 4, v2
	v_min_i32_e32 v2, s36, v12
	v_ashrrev_i32_e32 v3, 31, v2
	v_lshl_add_u64 v[4:5], v[2:3], 2, s[30:31]
	v_add_u32_e32 v2, 1, v12
	v_min_i32_e32 v2, s36, v2
	v_ashrrev_i32_e32 v3, 31, v2
	v_lshl_add_u64 v[8:9], v[2:3], 2, s[30:31]
	v_add_u32_e32 v2, 2, v12
	v_min_i32_e32 v2, s36, v2
	v_ashrrev_i32_e32 v3, 31, v2
	v_lshl_add_u64 v[10:11], v[2:3], 2, s[30:31]
	v_add_u32_e32 v2, 3, v12
	v_min_i32_e32 v2, s36, v2
	v_ashrrev_i32_e32 v3, 31, v2
	v_lshl_add_u64 v[12:13], v[2:3], 2, s[30:31]
	global_load_dword v2, v[6:7], off
	global_load_dword v40, v[4:5], off
	;; [unrolled: 1-line block ×5, first 2 shown]
	s_load_dwordx2 s[34:35], s[0:1], 0x8
	s_andn2_b64 vcc, exec, s[10:11]
	s_cbranch_vccnz .LBB968_11
; %bb.9:
	s_add_u32 s8, s8, s28
	s_addc_u32 s9, s9, s29
	s_load_dword s5, s[8:9], 0x0
	s_branch .LBB968_12
.LBB968_10:
	s_mov_b64 s[12:13], 0
	s_branch .LBB968_2
.LBB968_11:
	s_mov_b32 s5, s2
.LBB968_12:
	s_load_dwordx2 s[28:29], s[0:1], 0x10
	s_load_dwordx4 s[8:11], s[0:1], 0x48
	v_cmp_eq_u32_e32 vcc, 0, v43
	s_mov_b32 s31, 0
	v_mov_b32_e32 v39, 0
	v_mov_b32_e32 v14, 0
	;; [unrolled: 1-line block ×5, first 2 shown]
	s_and_saveexec_b64 s[36:37], vcc
	s_cbranch_execz .LBB968_14
; %bb.13:
	s_load_dwordx2 s[38:39], s[0:1], 0x0
	s_waitcnt lgkmcnt(0)
	s_ashr_i32 s11, s8, 31
	s_mul_hi_u32 s21, s5, s8
	s_mul_i32 s11, s5, s11
	s_add_i32 s41, s21, s11
	s_mul_i32 s40, s5, s8
	s_lshl_b64 s[40:41], s[40:41], 1
	s_add_u32 s5, s38, s40
	s_addc_u32 s8, s39, s41
	s_lshl_b32 s30, s4, 7
	s_lshl_b64 s[38:39], s[30:31], 1
	s_add_u32 s38, s5, s38
	s_addc_u32 s39, s8, s39
	v_lshlrev_b32_e32 v3, 2, v1
	global_load_dwordx4 v[14:17], v3, s[38:39]
.LBB968_14:
	s_or_b64 exec, exec, s[36:37]
	s_waitcnt lgkmcnt(0)
	s_mul_i32 s8, s4, s10
	s_add_u32 s10, s8, s34
	s_addc_u32 s11, 0, s35
	v_mov_b64_e32 v[4:5], s[10:11]
	s_waitcnt vmcnt(4)
	v_mad_i64_i32 v[2:3], s[10:11], v2, s9, v[4:5]
	v_lshlrev_b32_e32 v4, 4, v0
	v_and_b32_e32 v38, 0xf0, v4
	v_lshl_add_u64 v[48:49], v[2:3], 0, v[38:39]
	global_load_dwordx4 v[22:25], v[48:49], off
	global_load_dwordx4 v[18:21], v[48:49], off offset:256
	global_load_dwordx4 v[2:5], v[48:49], off offset:512
	global_load_dwordx4 v[6:9], v[48:49], off offset:768
	global_load_dwordx4 v[26:29], v[48:49], off offset:1024
	global_load_dwordx4 v[10:13], v[48:49], off offset:1280
	global_load_dwordx4 v[34:37], v[48:49], off offset:1536
	global_load_dwordx4 v[30:33], v[48:49], off offset:1792
	v_mov_b32_e32 v38, 0
	s_and_saveexec_b64 s[10:11], vcc
	s_cbranch_execz .LBB968_16
; %bb.15:
	s_load_dwordx2 s[34:35], s[0:1], 0x40
	s_mov_b32 s5, s31
	s_lshl_b64 s[30:31], s[4:5], 2
	v_mov_b32_e32 v39, 1.0
	s_waitcnt lgkmcnt(0)
	s_add_u32 s30, s34, s30
	s_addc_u32 s31, s35, s31
	s_load_dword s5, s[30:31], 0x0
	s_waitcnt lgkmcnt(0)
	v_mov_b32_e32 v38, s5
.LBB968_16:
	s_or_b64 exec, exec, s[10:11]
	s_waitcnt vmcnt(11)
	v_mul_hi_i32 v47, v40, s9
	v_ashrrev_i32_e32 v47, 31, v47
	v_lshrrev_b32_e32 v48, 29, v47
	s_waitcnt vmcnt(10)
	v_mul_hi_i32 v47, v46, s9
	v_mov_b32_e32 v49, 0
	v_ashrrev_i32_e32 v47, 31, v47
	s_add_u32 s10, s28, s8
	v_lshrrev_b32_e32 v50, 29, v47
	v_mov_b32_e32 v51, v49
	s_addc_u32 s11, s29, 0
	v_mad_i64_i32 v[46:47], s[28:29], v46, s9, v[50:51]
	s_waitcnt vmcnt(9)
	v_mul_hi_i32 v50, v45, s9
	v_ashrrev_i32_e32 v50, 31, v50
	v_lshrrev_b32_e32 v50, 29, v50
	v_mad_i64_i32 v[50:51], s[28:29], v45, s9, v[50:51]
	s_waitcnt vmcnt(8)
	v_mul_hi_i32 v45, v41, s9
	v_ashrrev_i32_e32 v45, 31, v45
	v_lshrrev_b32_e32 v52, 29, v45
	v_mov_b32_e32 v53, v49
	v_mad_i64_i32 v[52:53], s[28:29], v41, s9, v[52:53]
	v_mad_i64_i32 v[40:41], s[8:9], v40, s9, v[48:49]
	v_and_b32_e32 v40, -8, v40
	v_lshl_add_u64 v[40:41], s[10:11], 0, v[40:41]
	v_lshlrev_b32_e32 v48, 4, v1
	v_and_b32_e32 v46, -8, v46
	v_lshl_add_u64 v[54:55], v[40:41], 0, v[48:49]
	v_lshl_add_u64 v[40:41], s[10:11], 0, v[46:47]
	v_and_b32_e32 v50, -8, v50
	v_lshl_add_u64 v[46:47], v[40:41], 0, v[48:49]
	v_lshl_add_u64 v[40:41], s[10:11], 0, v[50:51]
	;; [unrolled: 3-line block ×3, first 2 shown]
	v_lshl_add_u64 v[40:41], v[40:41], 0, v[48:49]
	s_waitcnt vmcnt(7)
	v_cvt_pk_f32_fp8_e32 v[48:49], v22
	v_cvt_pk_f32_fp8_sdwa v[52:53], v22 src0_sel:WORD_1
	s_load_dword s0, s[0:1], 0x1c
	v_cmp_eq_u32_e32 vcc, 1, v43
	v_cvt_pkrtz_f16_f32 v48, v48, v49
	v_cvt_pkrtz_f16_f32 v49, v52, v53
	s_waitcnt vmcnt(5)
	v_cvt_pk_f32_fp8_sdwa v[52:53], v5 src0_sel:WORD_1
	s_load_dword s1, s[12:13], 0x0
	v_mfma_f32_4x4x4_16b_f16 a[0:3], v[14:15], v[48:49], 0 cbsz:4
	v_cvt_pk_f32_fp8_e32 v[48:49], v23
	v_cvt_pkrtz_f16_f32 v22, v48, v49
	v_cvt_pk_f32_fp8_sdwa v[48:49], v23 src0_sel:WORD_1
	s_nop 0
	v_cvt_pkrtz_f16_f32 v23, v48, v49
	s_nop 1
	v_mfma_f32_4x4x4_16b_f16 a[0:3], v[16:17], v[22:23], a[0:3] cbsz:4
	v_cvt_pk_f32_fp8_e32 v[22:23], v24
	v_cvt_pk_f32_fp8_sdwa v[48:49], v24 src0_sel:WORD_1
	v_cvt_pkrtz_f16_f32 v22, v22, v23
	v_cvt_pkrtz_f16_f32 v23, v48, v49
	v_cvt_pk_f32_fp8_e32 v[48:49], v25
	v_cvt_pk_f32_fp8_sdwa v[24:25], v25 src0_sel:WORD_1
	v_mfma_f32_4x4x4_16b_f16 a[0:3], v[14:15], v[22:23], a[0:3] cbsz:4 abid:1
	v_cvt_pk_f32_fp8_e32 v[22:23], v18
	v_cvt_pkrtz_f16_f32 v48, v48, v49
	v_cvt_pkrtz_f16_f32 v49, v24, v25
	v_cvt_pk_f32_fp8_sdwa v[24:25], v18 src0_sel:WORD_1
	v_cvt_pkrtz_f16_f32 v22, v22, v23
	v_mfma_f32_4x4x4_16b_f16 a[0:3], v[16:17], v[48:49], a[0:3] cbsz:4 abid:1
	v_cvt_pk_f32_fp8_e32 v[48:49], v19
	v_cvt_pk_f32_fp8_sdwa v[18:19], v19 src0_sel:WORD_1
	v_cvt_pkrtz_f16_f32 v23, v24, v25
	v_cvt_pkrtz_f16_f32 v24, v48, v49
	s_nop 0
	v_mfma_f32_4x4x4_16b_f16 a[0:3], v[14:15], v[22:23], a[0:3] cbsz:4 abid:2
	v_cvt_pkrtz_f16_f32 v25, v18, v19
	v_cvt_pk_f32_fp8_e32 v[18:19], v20
	v_cvt_pk_f32_fp8_sdwa v[22:23], v20 src0_sel:WORD_1
	v_mfma_f32_4x4x4_16b_f16 a[0:3], v[16:17], v[24:25], a[0:3] cbsz:4 abid:2
	v_cvt_pk_f32_fp8_e32 v[24:25], v21
	v_cvt_pk_f32_fp8_sdwa v[20:21], v21 src0_sel:WORD_1
	v_cvt_pkrtz_f16_f32 v18, v18, v19
	v_cvt_pkrtz_f16_f32 v19, v22, v23
	;; [unrolled: 1-line block ×4, first 2 shown]
	v_mfma_f32_4x4x4_16b_f16 a[0:3], v[14:15], v[18:19], a[0:3] cbsz:4 abid:3
	v_cvt_pk_f32_fp8_e32 v[18:19], v2
	v_cvt_pk_f32_fp8_sdwa v[20:21], v2 src0_sel:WORD_1
	v_mfma_f32_4x4x4_16b_f16 a[0:3], v[16:17], v[22:23], a[0:3] cbsz:4 abid:3
	v_cvt_pk_f32_fp8_e32 v[22:23], v3
	v_cvt_pk_f32_fp8_sdwa v[24:25], v3 src0_sel:WORD_1
	v_cvt_pkrtz_f16_f32 v2, v18, v19
	v_cvt_pkrtz_f16_f32 v3, v20, v21
	;; [unrolled: 1-line block ×4, first 2 shown]
	v_mfma_f32_4x4x4_16b_f16 a[0:3], v[14:15], v[2:3], a[0:3] cbsz:4 abid:4
	v_cvt_pk_f32_fp8_sdwa v[24:25], v4 src0_sel:WORD_1
	v_cvt_pk_f32_fp8_e32 v[48:49], v5
	v_mfma_f32_4x4x4_16b_f16 a[0:3], v[16:17], v[22:23], a[0:3] cbsz:4 abid:4
	v_cvt_pk_f32_fp8_e32 v[22:23], v4
	global_load_dwordx4 v[18:21], v[54:55], off
	global_load_dwordx4 v[2:5], v[54:55], off offset:1024
	s_waitcnt vmcnt(5)
	v_cvt_pk_f32_fp8_sdwa v[54:55], v27 src0_sel:WORD_1
	v_cvt_pkrtz_f16_f32 v22, v22, v23
	v_cvt_pkrtz_f16_f32 v23, v24, v25
	;; [unrolled: 1-line block ×4, first 2 shown]
	v_mfma_f32_4x4x4_16b_f16 a[0:3], v[14:15], v[22:23], a[0:3] cbsz:4 abid:5
	v_cvt_pk_f32_fp8_e32 v[22:23], v6
	v_cvt_pk_f32_fp8_e32 v[48:49], v7
	v_mfma_f32_4x4x4_16b_f16 a[0:3], v[16:17], v[24:25], a[0:3] cbsz:4 abid:5
	v_cvt_pk_f32_fp8_sdwa v[24:25], v6 src0_sel:WORD_1
	v_cvt_pk_f32_fp8_sdwa v[6:7], v7 src0_sel:WORD_1
	v_cvt_pkrtz_f16_f32 v22, v22, v23
	v_cvt_pk_f32_fp8_sdwa v[52:53], v26 src0_sel:WORD_1
	v_cvt_pkrtz_f16_f32 v23, v24, v25
	v_cvt_pkrtz_f16_f32 v25, v6, v7
	v_cvt_pk_f32_fp8_e32 v[6:7], v8
	v_mfma_f32_4x4x4_16b_f16 a[0:3], v[14:15], v[22:23], a[0:3] cbsz:4 abid:6
	v_cvt_pk_f32_fp8_sdwa v[22:23], v8 src0_sel:WORD_1
	v_cvt_pkrtz_f16_f32 v24, v48, v49
	v_cvt_pk_f32_fp8_e32 v[48:49], v9
	v_cvt_pk_f32_fp8_sdwa v[8:9], v9 src0_sel:WORD_1
	v_mfma_f32_4x4x4_16b_f16 a[0:3], v[16:17], v[24:25], a[0:3] cbsz:4 abid:6
	v_cvt_pkrtz_f16_f32 v6, v6, v7
	v_cvt_pkrtz_f16_f32 v7, v22, v23
	;; [unrolled: 1-line block ×4, first 2 shown]
	v_mfma_f32_4x4x4_16b_f16 a[0:3], v[14:15], v[6:7], a[0:3] cbsz:4 abid:7
	v_cvt_pk_f32_fp8_e32 v[6:7], v26
	global_load_dwordx4 v[22:25], v[46:47], off
	v_mfma_f32_4x4x4_16b_f16 a[0:3], v[16:17], v[48:49], a[0:3] cbsz:4 abid:7
	v_cvt_pk_f32_fp8_e32 v[48:49], v27
	v_cvt_pkrtz_f16_f32 v26, v6, v7
	global_load_dwordx4 v[6:9], v[46:47], off offset:1024
	v_cvt_pkrtz_f16_f32 v27, v52, v53
	v_cvt_pkrtz_f16_f32 v46, v48, v49
	;; [unrolled: 1-line block ×3, first 2 shown]
	v_mfma_f32_4x4x4_16b_f16 a[0:3], v[14:15], v[26:27], a[0:3] cbsz:4 abid:8
	v_cvt_pk_f32_fp8_e32 v[26:27], v28
	v_cvt_pk_f32_fp8_e32 v[48:49], v29
	v_mfma_f32_4x4x4_16b_f16 a[0:3], v[16:17], v[46:47], a[0:3] cbsz:4 abid:8
	v_cvt_pk_f32_fp8_sdwa v[46:47], v28 src0_sel:WORD_1
	v_cvt_pk_f32_fp8_sdwa v[28:29], v29 src0_sel:WORD_1
	v_cvt_pkrtz_f16_f32 v26, v26, v27
	s_waitcnt vmcnt(6)
	v_cvt_pk_f32_fp8_e32 v[52:53], v13
	v_cvt_pkrtz_f16_f32 v27, v46, v47
	v_cvt_pkrtz_f16_f32 v47, v28, v29
	v_cvt_pk_f32_fp8_sdwa v[28:29], v10 src0_sel:WORD_1
	v_mfma_f32_4x4x4_16b_f16 a[0:3], v[14:15], v[26:27], a[0:3] cbsz:4 abid:9
	v_cvt_pk_f32_fp8_e32 v[26:27], v10
	v_cvt_pkrtz_f16_f32 v46, v48, v49
	v_cvt_pkrtz_f16_f32 v49, v28, v29
	v_cvt_pk_f32_fp8_sdwa v[54:55], v13 src0_sel:WORD_1
	v_mfma_f32_4x4x4_16b_f16 a[0:3], v[16:17], v[46:47], a[0:3] cbsz:4 abid:9
	v_cvt_pk_f32_fp8_e32 v[46:47], v11
	v_cvt_pk_f32_fp8_sdwa v[10:11], v11 src0_sel:WORD_1
	v_cvt_pkrtz_f16_f32 v48, v26, v27
	global_load_dwordx4 v[26:29], v[50:51], off
	v_cvt_pkrtz_f16_f32 v46, v46, v47
	v_mfma_f32_4x4x4_16b_f16 a[0:3], v[14:15], v[48:49], a[0:3] cbsz:4 abid:10
	v_cvt_pkrtz_f16_f32 v47, v10, v11
	v_cvt_pk_f32_fp8_e32 v[48:49], v12
	v_cvt_pkrtz_f16_f32 v48, v48, v49
	v_mfma_f32_4x4x4_16b_f16 a[0:3], v[16:17], v[46:47], a[0:3] cbsz:4 abid:10
	v_cvt_pk_f32_fp8_sdwa v[46:47], v12 src0_sel:WORD_1
	global_load_dwordx4 v[10:13], v[50:51], off offset:1024
	s_waitcnt vmcnt(7)
	v_cvt_pk_f32_fp8_e32 v[50:51], v35
	v_cvt_pkrtz_f16_f32 v49, v46, v47
	v_cvt_pkrtz_f16_f32 v46, v52, v53
	s_nop 0
	v_mfma_f32_4x4x4_16b_f16 a[0:3], v[14:15], v[48:49], a[0:3] cbsz:4 abid:11
	v_cvt_pkrtz_f16_f32 v47, v54, v55
	v_cvt_pk_f32_fp8_sdwa v[48:49], v34 src0_sel:WORD_1
	s_nop 0
	v_mfma_f32_4x4x4_16b_f16 a[0:3], v[16:17], v[46:47], a[0:3] cbsz:4 abid:11
	v_cvt_pk_f32_fp8_e32 v[46:47], v34
	v_cvt_pk_f32_fp8_sdwa v[34:35], v35 src0_sel:WORD_1
	v_cvt_pkrtz_f16_f32 v46, v46, v47
	v_cvt_pkrtz_f16_f32 v47, v48, v49
	v_cvt_pkrtz_f16_f32 v49, v34, v35
	v_cvt_pk_f32_fp8_e32 v[34:35], v36
	v_mfma_f32_4x4x4_16b_f16 a[0:3], v[14:15], v[46:47], a[0:3] cbsz:4 abid:12
	v_cvt_pk_f32_fp8_sdwa v[46:47], v36 src0_sel:WORD_1
	v_cvt_pkrtz_f16_f32 v48, v50, v51
	v_cvt_pkrtz_f16_f32 v34, v34, v35
	;; [unrolled: 1-line block ×3, first 2 shown]
	v_mfma_f32_4x4x4_16b_f16 a[0:3], v[16:17], v[48:49], a[0:3] cbsz:4 abid:12
	v_cvt_pk_f32_fp8_e32 v[48:49], v37
	v_cvt_pk_f32_fp8_sdwa v[36:37], v37 src0_sel:WORD_1
	v_mfma_f32_4x4x4_16b_f16 a[0:3], v[14:15], v[34:35], a[0:3] cbsz:4 abid:13
	s_waitcnt vmcnt(6)
	v_cvt_pk_f32_fp8_e32 v[34:35], v30
	v_cvt_pkrtz_f16_f32 v46, v48, v49
	v_cvt_pkrtz_f16_f32 v47, v36, v37
	v_cvt_pk_f32_fp8_sdwa v[36:37], v30 src0_sel:WORD_1
	v_cvt_pkrtz_f16_f32 v34, v34, v35
	v_mfma_f32_4x4x4_16b_f16 a[0:3], v[16:17], v[46:47], a[0:3] cbsz:4 abid:13
	v_cvt_pk_f32_fp8_e32 v[46:47], v31
	v_cvt_pk_f32_fp8_sdwa v[30:31], v31 src0_sel:WORD_1
	v_cvt_pkrtz_f16_f32 v35, v36, v37
	v_cvt_pkrtz_f16_f32 v36, v46, v47
	;; [unrolled: 1-line block ×3, first 2 shown]
	v_mfma_f32_4x4x4_16b_f16 a[0:3], v[14:15], v[34:35], a[0:3] cbsz:4 abid:14
	v_cvt_pk_f32_fp8_e32 v[30:31], v32
	v_cvt_pk_f32_fp8_sdwa v[34:35], v32 src0_sel:WORD_1
	v_mfma_f32_4x4x4_16b_f16 a[0:3], v[16:17], v[36:37], a[0:3] cbsz:4 abid:14
	v_cvt_pk_f32_fp8_e32 v[36:37], v33
	v_cvt_pk_f32_fp8_sdwa v[32:33], v33 src0_sel:WORD_1
	v_cvt_pkrtz_f16_f32 v30, v30, v31
	v_cvt_pkrtz_f16_f32 v31, v34, v35
	;; [unrolled: 1-line block ×4, first 2 shown]
	v_mfma_f32_4x4x4_16b_f16 a[0:3], v[14:15], v[30:31], a[0:3] cbsz:4 abid:15
	s_waitcnt lgkmcnt(0)
	v_mov_b32_e32 v14, s0
	v_mfma_f32_4x4x4_16b_f16 a[0:3], v[16:17], v[34:35], a[0:3] cbsz:4 abid:15
	v_mul_f32_e32 v34, s1, v14
	s_nop 3
	v_accvgpr_read_b32 v15, a1
	v_accvgpr_read_b32 v14, a0
	v_pk_mul_f32 v[36:37], v[14:15], v[34:35] op_sel_hi:[1,0]
	global_load_dwordx4 v[30:33], v[40:41], off
	global_load_dwordx4 v[14:17], v[40:41], off offset:1024
	v_accvgpr_read_b32 v41, a3
	v_accvgpr_read_b32 v40, a2
	v_pk_mul_f32 v[34:35], v[40:41], v[34:35] op_sel_hi:[1,0]
	v_mfma_f32_4x4x1_16b_f32 a[0:3], v36, v39, 0
	v_cndmask_b32_e64 v36, 0, 1.0, vcc
	v_cmp_eq_u32_e32 vcc, 2, v43
	s_nop 0
	v_mfma_f32_4x4x1_16b_f32 a[0:3], v37, v36, a[0:3]
	v_cndmask_b32_e64 v36, 0, 1.0, vcc
	v_cmp_eq_u32_e32 vcc, 3, v43
	s_nop 0
	v_mfma_f32_4x4x1_16b_f32 a[0:3], v34, v36, a[0:3]
	v_cndmask_b32_e64 v34, 0, 1.0, vcc
	s_nop 1
	v_mfma_f32_4x4x1_16b_f32 a[0:3], v35, v34, a[0:3]
	v_and_b32_e32 v34, -4, v44
	v_subrev_u32_e32 v35, s3, v34
	v_add_u32_e32 v36, 1, v35
	v_cvt_f32_i32_e32 v36, v36
	v_add_u32_e32 v37, 2, v35
	v_cvt_f32_i32_e32 v37, v37
	v_accvgpr_read_b32 v39, a0
	v_fma_f32 v36, v38, v36, v39
	v_accvgpr_read_b32 v39, a1
	v_fma_f32 v37, v38, v37, v39
	v_add_u32_e32 v39, 3, v35
	v_add_u32_e32 v35, 4, v35
	v_cvt_f32_i32_e32 v39, v39
	v_cvt_f32_i32_e32 v35, v35
	v_accvgpr_read_b32 v40, a2
	v_accvgpr_read_b32 v41, a3
	v_fma_f32 v40, v38, v39, v40
	v_fmac_f32_e32 v41, v38, v35
	v_max_f32_e32 v38, 0xff7fffff, v36
	v_mov_b32_e32 v39, 0xff7fffff
	v_cmp_gt_i32_e32 vcc, s3, v34
	v_lshlrev_b32_e32 v35, 2, v0
	v_and_or_b32 v35, v35, 48, v43
	v_cndmask_b32_e32 v38, v39, v38, vcc
	v_or_b32_e32 v39, 1, v34
	v_max_f32_e32 v45, v38, v37
	v_cmp_gt_i32_e64 s[0:1], s3, v39
	v_or_b32_e32 v34, 2, v34
	v_cmp_gt_i32_e64 s[8:9], s3, v34
	v_cndmask_b32_e64 v38, v38, v45, s[0:1]
	v_max_f32_e32 v39, v38, v40
	v_cndmask_b32_e64 v34, v38, v39, s[8:9]
	v_or_b32_e32 v38, 3, v44
	v_max_f32_e32 v39, v34, v41
	v_cmp_gt_i32_e64 s[10:11], s3, v38
	v_lshlrev_b32_e32 v38, 2, v35
	s_nop 0
	v_cndmask_b32_e64 v34, v34, v39, s[10:11]
	;;#ASMSTART
	v_nop
 v_nop
 v_max_f32_dpp v34, v34, v34 row_ror:4
	;;#ASMEND
	s_nop 0
	;;#ASMSTART
	v_nop
 v_nop
 v_max_f32_dpp v34, v34, v34 row_ror:8
	;;#ASMEND
	ds_bpermute_b32 v34, v38, v34
	s_waitcnt lgkmcnt(0)
	;;#ASMSTART
	v_nop
 v_nop
 v_max_f32_dpp v34, v34, v34 row_ror:4
	;;#ASMEND
	s_nop 0
	;;#ASMSTART
	v_nop
 v_nop
 v_max_f32_dpp v39, v34, v34 row_ror:8
	;;#ASMEND
	s_nop 0
	v_sub_f32_e32 v34, v36, v39
	v_mul_f32_e32 v34, 0x3fb8aa3b, v34
	v_sub_f32_e32 v35, v37, v39
	v_exp_f32_e32 v34, v34
	v_mul_f32_e32 v35, 0x3fb8aa3b, v35
	v_sub_f32_e32 v37, v40, v39
	v_exp_f32_e32 v35, v35
	;; [unrolled: 3-line block ×3, first 2 shown]
	v_mul_f32_e32 v40, 0x3fb8aa3b, v40
	v_exp_f32_e32 v40, v40
	v_cndmask_b32_e32 v34, 0, v34, vcc
	v_add_f32_e32 v36, 0, v34
	v_cndmask_b32_e64 v35, 0, v35, s[0:1]
	v_add_f32_e32 v41, v36, v35
	v_cndmask_b32_e64 v36, 0, v37, s[8:9]
	;; [unrolled: 2-line block ×3, first 2 shown]
	v_add_f32_e32 v40, v41, v37
	;;#ASMSTART
	v_nop
 v_nop
 v_add_f32_dpp v40, v40, v40 row_ror:4
	;;#ASMEND
	v_cmp_gt_u32_e32 vcc, 4, v1
	;;#ASMSTART
	v_nop
 v_nop
 v_add_f32_dpp v40, v40, v40 row_ror:8
	;;#ASMEND
	ds_bpermute_b32 v38, v38, v40
	s_waitcnt lgkmcnt(0)
	;;#ASMSTART
	v_nop
 v_nop
 v_add_f32_dpp v38, v38, v38 row_ror:4
	;;#ASMEND
	s_nop 0
	;;#ASMSTART
	v_nop
 v_nop
 v_add_f32_dpp v38, v38, v38 row_ror:8
	;;#ASMEND
	s_and_saveexec_b64 s[0:1], vcc
	s_cbranch_execz .LBB968_18
; %bb.17:
	v_mul_u32_u24_e32 v40, 20, v42
	v_lshl_add_u32 v40, v43, 2, v40
	v_add_u32_e32 v40, 0x1400, v40
	ds_write2_b32 v40, v39, v38 offset1:20
.LBB968_18:
	s_or_b64 exec, exec, s[0:1]
.LBB968_19:
	s_or_b64 exec, exec, s[26:27]
	s_waitcnt lgkmcnt(0)
	s_barrier
	s_load_dword s0, s[24:25], 0x8
	v_lshlrev_b32_e32 v38, 2, v43
	v_add_u32_e32 v41, 0x1400, v38
	ds_read2_b32 v[44:45], v41 offset1:5
	ds_read2_b32 v[46:47], v41 offset0:10 offset1:15
	s_mul_i32 s1, s33, s2
	s_waitcnt lgkmcnt(0)
	s_mul_i32 s0, s1, s0
	s_mov_b32 s1, 0xff7fffff
	v_max3_f32 v38, v44, s1, v45
	v_max3_f32 v40, v38, v46, v47
	v_sub_f32_e32 v38, v44, v40
	v_sub_f32_e32 v44, v45, v40
	v_mul_f32_e32 v44, 0x3fb8aa3b, v44
	ds_read2_b32 v[48:49], v41 offset0:20 offset1:25
	v_mul_f32_e32 v38, 0x3fb8aa3b, v38
	v_exp_f32_e32 v51, v44
	ds_read2_b32 v[44:45], v41 offset0:30 offset1:35
	v_sub_f32_e32 v41, v46, v40
	v_exp_f32_e32 v50, v38
	v_mul_f32_e32 v41, 0x3fb8aa3b, v41
	v_exp_f32_e32 v46, v41
	v_sub_f32_e32 v41, v47, v40
	v_mul_f32_e32 v41, 0x3fb8aa3b, v41
	v_exp_f32_e32 v47, v41
	s_waitcnt lgkmcnt(1)
	v_fma_f32 v41, v50, v48, 0
	v_fmac_f32_e32 v41, v51, v49
	s_waitcnt lgkmcnt(0)
	v_fmac_f32_e32 v41, v46, v44
	v_mov_b32_e32 v38, 0
	v_fmac_f32_e32 v41, v47, v45
	s_mov_b32 s1, 0
	v_cmp_eq_u32_e32 vcc, 0, v43
	s_and_saveexec_b64 s[2:3], vcc
	s_cbranch_execz .LBB968_21
; %bb.20:
	s_lshl_b64 s[8:9], s[0:1], 2
	s_add_u32 s5, s16, s8
	s_mov_b32 s21, s1
	s_addc_u32 s12, s17, s9
	s_lshl_b64 s[10:11], s[20:21], 2
	s_add_u32 s5, s5, s10
	s_addc_u32 s12, s12, s11
	s_add_u32 s8, s18, s8
	s_addc_u32 s9, s19, s9
	;; [unrolled: 2-line block ×3, first 2 shown]
	s_mul_i32 s8, s33, s4
	s_mov_b32 s9, s1
	s_lshl_b64 s[8:9], s[8:9], 2
	s_add_u32 s10, s5, s8
	s_addc_u32 s11, s12, s9
	s_add_u32 s8, s13, s8
	s_addc_u32 s9, s16, s9
	global_store_dword v38, v40, s[8:9]
	global_store_dword v38, v41, s[10:11]
.LBB968_21:
	s_or_b64 exec, exec, s[2:3]
	v_lshlrev_b32_e32 v38, 3, v42
	s_and_saveexec_b64 s[2:3], s[6:7]
	s_xor_b64 s[2:3], exec, s[2:3]
	s_cbranch_execz .LBB968_23
; %bb.22:
	s_mov_b32 s6, 0
	s_mov_b32 s7, s6
	s_waitcnt vmcnt(6)
	v_mad_u32_u24 v4, v1, 40, v38
	v_mov_b64_e32 v[2:3], s[6:7]
	ds_write2st64_b64 v4, v[2:3], v[2:3] offset1:5
                                        ; implicit-def: $vgpr37
                                        ; implicit-def: $vgpr35
                                        ; implicit-def: $vgpr39
                                        ; implicit-def: $vgpr18_vgpr19
                                        ; implicit-def: $vgpr22_vgpr23
                                        ; implicit-def: $vgpr26_vgpr27
                                        ; implicit-def: $vgpr30_vgpr31
                                        ; implicit-def: $vgpr2_vgpr3
                                        ; implicit-def: $vgpr6_vgpr7
                                        ; implicit-def: $vgpr10_vgpr11
                                        ; implicit-def: $vgpr14_vgpr15
                                        ; implicit-def: $vgpr40
                                        ; implicit-def: $vgpr41
                                        ; implicit-def: $vgpr38
.LBB968_23:
	s_andn2_saveexec_b64 s[2:3], s[2:3]
	s_cbranch_execz .LBB968_25
; %bb.24:
	v_add_f32_e32 v41, 0x358637bd, v41
	v_div_scale_f32 v42, s[6:7], v41, v41, 1.0
	v_rcp_f32_e32 v43, v42
	v_sub_f32_e32 v39, v39, v40
	v_mul_f32_e32 v39, 0x3fb8aa3b, v39
	v_exp_f32_e32 v39, v39
	v_fma_f32 v40, -v42, v43, 1.0
	v_fmac_f32_e32 v43, v40, v43
	v_div_scale_f32 v40, vcc, 1.0, v41, 1.0
	v_mul_f32_e32 v44, v40, v43
	v_fma_f32 v45, -v42, v44, v40
	v_fmac_f32_e32 v44, v45, v43
	v_fma_f32 v40, -v42, v44, v40
	v_div_fmas_f32 v40, v40, v43, v44
	v_div_fixup_f32 v40, v40, v41, 1.0
	v_mul_f32_e32 v40, v39, v40
	v_pk_mul_f32 v[36:37], v[36:37], v[40:41] op_sel_hi:[1,0]
	v_pk_mul_f32 v[34:35], v[34:35], v[40:41] op_sel_hi:[1,0]
	v_cvt_f16_f32_e32 v36, v36
	v_cvt_f16_f32_e32 v34, v34
	;; [unrolled: 1-line block ×4, first 2 shown]
	s_waitcnt vmcnt(7)
	v_cvt_pk_f32_fp8_sdwa v[40:41], v18 src0_sel:WORD_1
	v_cvt_pk_f32_fp8_e32 v[42:43], v19
	v_pack_b32_f16 v34, v34, v35
	v_pack_b32_f16 v35, v36, v37
	v_cvt_pk_f32_fp8_e32 v[36:37], v18
	v_cvt_pk_f32_fp8_sdwa v[18:19], v19 src0_sel:WORD_1
	s_load_dword s6, s[14:15], 0x0
	v_cvt_pkrtz_f16_f32 v36, v36, v37
	v_cvt_pkrtz_f16_f32 v37, v40, v41
	;; [unrolled: 1-line block ×4, first 2 shown]
	v_mfma_f32_4x4x4_16b_f16 a[0:3], v[34:35], v[36:37], 0 cbsz:4
	v_cvt_pk_f32_fp8_e32 v[18:19], v20
	v_cvt_pk_f32_fp8_sdwa v[36:37], v20 src0_sel:WORD_1
	v_mfma_f32_4x4x4_16b_f16 a[0:3], v[34:35], v[40:41], a[0:3] cbsz:4 abid:1
	v_cvt_pk_f32_fp8_e32 v[40:41], v21
	v_cvt_pk_f32_fp8_sdwa v[20:21], v21 src0_sel:WORD_1
	v_cvt_pkrtz_f16_f32 v18, v18, v19
	v_cvt_pkrtz_f16_f32 v19, v36, v37
	v_cvt_pkrtz_f16_f32 v36, v40, v41
	v_cvt_pkrtz_f16_f32 v37, v20, v21
	v_mfma_f32_4x4x4_16b_f16 a[0:3], v[34:35], v[18:19], a[0:3] cbsz:4 abid:2
	s_waitcnt vmcnt(5)
	v_cvt_pk_f32_fp8_e32 v[18:19], v22
	v_cvt_pk_f32_fp8_sdwa v[20:21], v22 src0_sel:WORD_1
	v_mfma_f32_4x4x4_16b_f16 a[0:3], v[34:35], v[36:37], a[0:3] cbsz:4 abid:3
	v_cvt_pk_f32_fp8_e32 v[36:37], v23
	v_cvt_pk_f32_fp8_sdwa v[22:23], v23 src0_sel:WORD_1
	v_cvt_pkrtz_f16_f32 v18, v18, v19
	v_cvt_pkrtz_f16_f32 v19, v20, v21
	;; [unrolled: 1-line block ×4, first 2 shown]
	v_mfma_f32_4x4x4_16b_f16 a[0:3], v[34:35], v[18:19], a[0:3] cbsz:4 abid:4
	v_cvt_pk_f32_fp8_e32 v[18:19], v24
	v_cvt_pk_f32_fp8_e32 v[22:23], v25
	v_mfma_f32_4x4x4_16b_f16 a[0:3], v[34:35], v[20:21], a[0:3] cbsz:4 abid:5
	v_cvt_pk_f32_fp8_sdwa v[20:21], v24 src0_sel:WORD_1
	v_cvt_pk_f32_fp8_sdwa v[24:25], v25 src0_sel:WORD_1
	v_cvt_pkrtz_f16_f32 v18, v18, v19
	v_cvt_pkrtz_f16_f32 v19, v20, v21
	;; [unrolled: 1-line block ×3, first 2 shown]
	s_nop 0
	v_mfma_f32_4x4x4_16b_f16 a[0:3], v[34:35], v[18:19], a[0:3] cbsz:4 abid:6
	v_cvt_pkrtz_f16_f32 v21, v24, v25
	s_waitcnt vmcnt(3)
	v_cvt_pk_f32_fp8_e32 v[18:19], v26
	v_cvt_pk_f32_fp8_e32 v[22:23], v27
	v_mfma_f32_4x4x4_16b_f16 a[0:3], v[34:35], v[20:21], a[0:3] cbsz:4 abid:7
	v_cvt_pk_f32_fp8_sdwa v[20:21], v26 src0_sel:WORD_1
	v_cvt_pk_f32_fp8_sdwa v[24:25], v27 src0_sel:WORD_1
	v_cvt_pkrtz_f16_f32 v18, v18, v19
	v_cvt_pkrtz_f16_f32 v19, v20, v21
	;; [unrolled: 1-line block ×3, first 2 shown]
	s_nop 0
	v_mfma_f32_4x4x4_16b_f16 a[0:3], v[34:35], v[18:19], a[0:3] cbsz:4 abid:8
	v_cvt_pkrtz_f16_f32 v21, v24, v25
	v_cvt_pk_f32_fp8_e32 v[18:19], v28
	v_cvt_pk_f32_fp8_e32 v[22:23], v29
	v_mfma_f32_4x4x4_16b_f16 a[0:3], v[34:35], v[20:21], a[0:3] cbsz:4 abid:9
	v_cvt_pk_f32_fp8_sdwa v[20:21], v28 src0_sel:WORD_1
	v_cvt_pk_f32_fp8_sdwa v[24:25], v29 src0_sel:WORD_1
	v_cvt_pkrtz_f16_f32 v18, v18, v19
	v_cvt_pkrtz_f16_f32 v19, v20, v21
	;; [unrolled: 1-line block ×3, first 2 shown]
	s_nop 0
	v_mfma_f32_4x4x4_16b_f16 a[0:3], v[34:35], v[18:19], a[0:3] cbsz:4 abid:10
	v_cvt_pkrtz_f16_f32 v21, v24, v25
	s_waitcnt vmcnt(1)
	v_cvt_pk_f32_fp8_e32 v[18:19], v30
	v_cvt_pk_f32_fp8_e32 v[22:23], v31
	v_mfma_f32_4x4x4_16b_f16 a[0:3], v[34:35], v[20:21], a[0:3] cbsz:4 abid:11
	v_cvt_pk_f32_fp8_sdwa v[20:21], v30 src0_sel:WORD_1
	v_cvt_pk_f32_fp8_sdwa v[24:25], v31 src0_sel:WORD_1
	v_cvt_pkrtz_f16_f32 v18, v18, v19
	v_cvt_pkrtz_f16_f32 v19, v20, v21
	;; [unrolled: 1-line block ×3, first 2 shown]
	s_nop 0
	v_mfma_f32_4x4x4_16b_f16 a[0:3], v[34:35], v[18:19], a[0:3] cbsz:4 abid:12
	v_cvt_pkrtz_f16_f32 v21, v24, v25
	v_cvt_pk_f32_fp8_e32 v[18:19], v32
	v_cvt_pk_f32_fp8_e32 v[22:23], v33
	v_mfma_f32_4x4x4_16b_f16 a[0:3], v[34:35], v[20:21], a[0:3] cbsz:4 abid:13
	v_cvt_pk_f32_fp8_sdwa v[20:21], v32 src0_sel:WORD_1
	v_cvt_pk_f32_fp8_sdwa v[24:25], v33 src0_sel:WORD_1
	v_cvt_pkrtz_f16_f32 v18, v18, v19
	v_cvt_pkrtz_f16_f32 v19, v20, v21
	;; [unrolled: 1-line block ×3, first 2 shown]
	s_nop 0
	v_mfma_f32_4x4x4_16b_f16 a[0:3], v[34:35], v[18:19], a[0:3] cbsz:4 abid:14
	v_cvt_pkrtz_f16_f32 v21, v24, v25
	v_cvt_pk_f32_fp8_sdwa v[22:23], v2 src0_sel:WORD_1
	v_cvt_pk_f32_fp8_e32 v[24:25], v3
	v_mfma_f32_4x4x4_16b_f16 a[0:3], v[34:35], v[20:21], a[0:3] cbsz:4 abid:15
	s_nop 4
	v_accvgpr_read_b32 v19, a1
	v_accvgpr_read_b32 v18, a0
	s_waitcnt lgkmcnt(0)
	v_pk_mul_f32 v[18:19], v[18:19], s[6:7] op_sel_hi:[1,0]
	s_nop 0
	v_cvt_f16_f32_e32 v20, v18
	v_cvt_f16_f32_e32 v21, v19
	v_accvgpr_read_b32 v19, a3
	v_accvgpr_read_b32 v18, a2
	v_pk_mul_f32 v[18:19], v[18:19], s[6:7] op_sel_hi:[1,0]
	v_pack_b32_f16 v20, v20, v21
	v_cvt_f16_f32_e32 v21, v18
	v_cvt_f16_f32_e32 v26, v19
	v_cvt_pk_f32_fp8_e32 v[18:19], v2
	v_cvt_pk_f32_fp8_sdwa v[2:3], v3 src0_sel:WORD_1
	v_pack_b32_f16 v21, v21, v26
	v_cvt_pkrtz_f16_f32 v18, v18, v19
	v_cvt_pkrtz_f16_f32 v19, v22, v23
	;; [unrolled: 1-line block ×4, first 2 shown]
	v_mfma_f32_4x4x4_16b_f16 a[0:3], v[34:35], v[18:19], 0 cbsz:4
	v_cvt_pk_f32_fp8_e32 v[2:3], v4
	v_cvt_pk_f32_fp8_sdwa v[18:19], v4 src0_sel:WORD_1
	v_mfma_f32_4x4x4_16b_f16 a[0:3], v[34:35], v[22:23], a[0:3] cbsz:4 abid:1
	v_cvt_pk_f32_fp8_e32 v[22:23], v5
	v_cvt_pk_f32_fp8_sdwa v[4:5], v5 src0_sel:WORD_1
	v_cvt_pkrtz_f16_f32 v2, v2, v3
	v_cvt_pkrtz_f16_f32 v3, v18, v19
	;; [unrolled: 1-line block ×4, first 2 shown]
	v_mfma_f32_4x4x4_16b_f16 a[0:3], v[34:35], v[2:3], a[0:3] cbsz:4 abid:2
	v_cvt_pk_f32_fp8_e32 v[2:3], v6
	v_cvt_pk_f32_fp8_sdwa v[4:5], v6 src0_sel:WORD_1
	v_mfma_f32_4x4x4_16b_f16 a[0:3], v[34:35], v[18:19], a[0:3] cbsz:4 abid:3
	v_cvt_pk_f32_fp8_e32 v[18:19], v7
	v_cvt_pk_f32_fp8_sdwa v[6:7], v7 src0_sel:WORD_1
	v_cvt_pkrtz_f16_f32 v2, v2, v3
	v_cvt_pkrtz_f16_f32 v3, v4, v5
	v_cvt_pkrtz_f16_f32 v4, v18, v19
	v_cvt_pkrtz_f16_f32 v5, v6, v7
	v_mfma_f32_4x4x4_16b_f16 a[0:3], v[34:35], v[2:3], a[0:3] cbsz:4 abid:4
	v_cvt_pk_f32_fp8_e32 v[2:3], v8
	v_cvt_pk_f32_fp8_e32 v[6:7], v9
	v_mfma_f32_4x4x4_16b_f16 a[0:3], v[34:35], v[4:5], a[0:3] cbsz:4 abid:5
	v_cvt_pk_f32_fp8_sdwa v[4:5], v8 src0_sel:WORD_1
	v_cvt_pk_f32_fp8_sdwa v[8:9], v9 src0_sel:WORD_1
	v_cvt_pkrtz_f16_f32 v2, v2, v3
	v_cvt_pkrtz_f16_f32 v3, v4, v5
	v_cvt_pkrtz_f16_f32 v4, v6, v7
	s_nop 0
	v_mfma_f32_4x4x4_16b_f16 a[0:3], v[34:35], v[2:3], a[0:3] cbsz:4 abid:6
	v_cvt_pkrtz_f16_f32 v5, v8, v9
	v_cvt_pk_f32_fp8_e32 v[2:3], v10
	v_cvt_pk_f32_fp8_e32 v[6:7], v11
	v_mfma_f32_4x4x4_16b_f16 a[0:3], v[34:35], v[4:5], a[0:3] cbsz:4 abid:7
	v_cvt_pk_f32_fp8_sdwa v[4:5], v10 src0_sel:WORD_1
	v_cvt_pk_f32_fp8_sdwa v[8:9], v11 src0_sel:WORD_1
	v_cvt_pkrtz_f16_f32 v2, v2, v3
	v_cvt_pkrtz_f16_f32 v3, v4, v5
	v_cvt_pkrtz_f16_f32 v4, v6, v7
	s_nop 0
	v_mfma_f32_4x4x4_16b_f16 a[0:3], v[34:35], v[2:3], a[0:3] cbsz:4 abid:8
	v_cvt_pkrtz_f16_f32 v5, v8, v9
	;; [unrolled: 11-line block ×3, first 2 shown]
	s_waitcnt vmcnt(0)
	v_cvt_pk_f32_fp8_e32 v[2:3], v14
	v_cvt_pk_f32_fp8_e32 v[6:7], v15
	v_mfma_f32_4x4x4_16b_f16 a[0:3], v[34:35], v[4:5], a[0:3] cbsz:4 abid:11
	v_cvt_pk_f32_fp8_sdwa v[4:5], v14 src0_sel:WORD_1
	v_cvt_pk_f32_fp8_sdwa v[8:9], v15 src0_sel:WORD_1
	v_cvt_pkrtz_f16_f32 v2, v2, v3
	v_cvt_pkrtz_f16_f32 v3, v4, v5
	;; [unrolled: 1-line block ×3, first 2 shown]
	s_nop 0
	v_mfma_f32_4x4x4_16b_f16 a[0:3], v[34:35], v[2:3], a[0:3] cbsz:4 abid:12
	v_cvt_pkrtz_f16_f32 v5, v8, v9
	v_cvt_pk_f32_fp8_e32 v[2:3], v16
	v_cvt_pk_f32_fp8_e32 v[6:7], v17
	v_mfma_f32_4x4x4_16b_f16 a[0:3], v[34:35], v[4:5], a[0:3] cbsz:4 abid:13
	v_cvt_pk_f32_fp8_sdwa v[4:5], v16 src0_sel:WORD_1
	v_cvt_pk_f32_fp8_sdwa v[8:9], v17 src0_sel:WORD_1
	v_cvt_pkrtz_f16_f32 v2, v2, v3
	v_cvt_pkrtz_f16_f32 v3, v4, v5
	v_cvt_pkrtz_f16_f32 v4, v6, v7
	s_nop 0
	v_mfma_f32_4x4x4_16b_f16 a[0:3], v[34:35], v[2:3], a[0:3] cbsz:4 abid:14
	v_cvt_pkrtz_f16_f32 v5, v8, v9
	v_mad_u32_u24 v7, v1, 40, v38
	s_nop 0
	v_mfma_f32_4x4x4_16b_f16 a[0:3], v[34:35], v[4:5], a[0:3] cbsz:4 abid:15
	s_nop 4
	v_accvgpr_read_b32 v5, a1
	v_accvgpr_read_b32 v3, a3
	;; [unrolled: 1-line block ×4, first 2 shown]
	v_pk_mul_f32 v[2:3], v[2:3], s[6:7] op_sel_hi:[1,0]
	v_pk_mul_f32 v[4:5], v[4:5], s[6:7] op_sel_hi:[1,0]
	v_cvt_f16_f32_e32 v6, v2
	v_cvt_f16_f32_e32 v4, v4
	;; [unrolled: 1-line block ×4, first 2 shown]
	v_pack_b32_f16 v2, v4, v5
	v_pack_b32_f16 v3, v6, v3
	ds_write2st64_b64 v7, v[20:21], v[2:3] offset1:5
.LBB968_25:
	s_or_b64 exec, exec, s[2:3]
	v_cmp_gt_u32_e32 vcc, 64, v0
	s_waitcnt lgkmcnt(0)
	s_barrier
	s_and_saveexec_b64 s[2:3], vcc
	s_cbranch_execz .LBB968_27
; %bb.26:
	s_waitcnt vmcnt(6)
	v_mov_b32_e32 v2, 0xa00
	v_mad_u32_u24 v2, v1, 40, v2
	s_waitcnt vmcnt(4)
	v_mov_b32_e32 v6, 0xa10
	ds_read2_b64 v[2:5], v2 offset1:1
	s_waitcnt lgkmcnt(0)
	v_mad_u32_u24 v3, v1, 40, v6
	ds_read2_b64 v[6:9], v3 offset1:1
	v_mul_u32_u24_e32 v1, 40, v1
	s_lshl_b32 s0, s0, 7
	v_pk_add_f16 v2, v2, 0
	s_lshl_b64 s[2:3], s[0:1], 1
	v_pk_add_f16 v2, v2, v4
	s_add_u32 s2, s22, s2
	s_waitcnt lgkmcnt(0)
	v_pk_add_f16 v2, v2, v6
	s_addc_u32 s3, s23, s3
	s_waitcnt vmcnt(2)
	v_pk_add_f16 v10, v2, v8
	ds_read2_b64 v[2:5], v1 offset1:1
	ds_read2_b64 v[6:9], v1 offset0:2 offset1:3
	s_lshl_b32 s0, s20, 7
	s_lshl_b64 s[0:1], s[0:1], 1
	s_add_u32 s0, s2, s0
	s_waitcnt lgkmcnt(1)
	v_pk_add_f16 v2, v2, 0
	s_mul_i32 s2, s4, s33
	v_pk_add_f16 v2, v2, v4
	s_addc_u32 s1, s3, s1
	v_lshl_or_b32 v0, s2, 7, v0
	v_mov_b32_e32 v1, 0
	s_waitcnt lgkmcnt(0)
	v_pk_add_f16 v2, v2, v6
	v_lshl_add_u64 v[0:1], v[0:1], 1, s[0:1]
	v_pk_add_f16 v2, v2, v8
	global_store_short v[0:1], v2, off
	global_store_short v[0:1], v10, off offset:128
.LBB968_27:
	s_endpgm
	.section	.rodata,"a",@progbits
	.p2align	6, 0x0
	.amdhsa_kernel _Z38paged_attention_ll4mi_QKV_mfma4_kernelIDF16_hLN4vllm18Fp8KVCacheDataTypeE1EDF16_Li16ELi128ELi256ELb1ELi1EEvPKT_PKT0_S7_ifPKiS9_S9_iPKfiiiPfSC_PS2_PT2_iSB_SB_
		.amdhsa_group_segment_fixed_size 5280
		.amdhsa_private_segment_fixed_size 0
		.amdhsa_kernarg_size 400
		.amdhsa_user_sgpr_count 2
		.amdhsa_user_sgpr_dispatch_ptr 0
		.amdhsa_user_sgpr_queue_ptr 0
		.amdhsa_user_sgpr_kernarg_segment_ptr 1
		.amdhsa_user_sgpr_dispatch_id 0
		.amdhsa_user_sgpr_kernarg_preload_length 0
		.amdhsa_user_sgpr_kernarg_preload_offset 0
		.amdhsa_user_sgpr_private_segment_size 0
		.amdhsa_uses_dynamic_stack 0
		.amdhsa_enable_private_segment 0
		.amdhsa_system_sgpr_workgroup_id_x 1
		.amdhsa_system_sgpr_workgroup_id_y 1
		.amdhsa_system_sgpr_workgroup_id_z 1
		.amdhsa_system_sgpr_workgroup_info 0
		.amdhsa_system_vgpr_workitem_id 0
		.amdhsa_next_free_vgpr 60
		.amdhsa_next_free_sgpr 42
		.amdhsa_accum_offset 56
		.amdhsa_reserve_vcc 1
		.amdhsa_float_round_mode_32 0
		.amdhsa_float_round_mode_16_64 0
		.amdhsa_float_denorm_mode_32 3
		.amdhsa_float_denorm_mode_16_64 3
		.amdhsa_dx10_clamp 1
		.amdhsa_ieee_mode 1
		.amdhsa_fp16_overflow 0
		.amdhsa_tg_split 0
		.amdhsa_exception_fp_ieee_invalid_op 0
		.amdhsa_exception_fp_denorm_src 0
		.amdhsa_exception_fp_ieee_div_zero 0
		.amdhsa_exception_fp_ieee_overflow 0
		.amdhsa_exception_fp_ieee_underflow 0
		.amdhsa_exception_fp_ieee_inexact 0
		.amdhsa_exception_int_div_zero 0
	.end_amdhsa_kernel
	.section	.text._Z38paged_attention_ll4mi_QKV_mfma4_kernelIDF16_hLN4vllm18Fp8KVCacheDataTypeE1EDF16_Li16ELi128ELi256ELb1ELi1EEvPKT_PKT0_S7_ifPKiS9_S9_iPKfiiiPfSC_PS2_PT2_iSB_SB_,"axG",@progbits,_Z38paged_attention_ll4mi_QKV_mfma4_kernelIDF16_hLN4vllm18Fp8KVCacheDataTypeE1EDF16_Li16ELi128ELi256ELb1ELi1EEvPKT_PKT0_S7_ifPKiS9_S9_iPKfiiiPfSC_PS2_PT2_iSB_SB_,comdat
.Lfunc_end968:
	.size	_Z38paged_attention_ll4mi_QKV_mfma4_kernelIDF16_hLN4vllm18Fp8KVCacheDataTypeE1EDF16_Li16ELi128ELi256ELb1ELi1EEvPKT_PKT0_S7_ifPKiS9_S9_iPKfiiiPfSC_PS2_PT2_iSB_SB_, .Lfunc_end968-_Z38paged_attention_ll4mi_QKV_mfma4_kernelIDF16_hLN4vllm18Fp8KVCacheDataTypeE1EDF16_Li16ELi128ELi256ELb1ELi1EEvPKT_PKT0_S7_ifPKiS9_S9_iPKfiiiPfSC_PS2_PT2_iSB_SB_
                                        ; -- End function
	.section	.AMDGPU.csdata,"",@progbits
; Kernel info:
; codeLenInByte = 5444
; NumSgprs: 48
; NumVgprs: 56
; NumAgprs: 4
; TotalNumVgprs: 60
; ScratchSize: 0
; MemoryBound: 0
; FloatMode: 240
; IeeeMode: 1
; LDSByteSize: 5280 bytes/workgroup (compile time only)
; SGPRBlocks: 5
; VGPRBlocks: 7
; NumSGPRsForWavesPerEU: 48
; NumVGPRsForWavesPerEU: 60
; AccumOffset: 56
; Occupancy: 8
; WaveLimiterHint : 1
; COMPUTE_PGM_RSRC2:SCRATCH_EN: 0
; COMPUTE_PGM_RSRC2:USER_SGPR: 2
; COMPUTE_PGM_RSRC2:TRAP_HANDLER: 0
; COMPUTE_PGM_RSRC2:TGID_X_EN: 1
; COMPUTE_PGM_RSRC2:TGID_Y_EN: 1
; COMPUTE_PGM_RSRC2:TGID_Z_EN: 1
; COMPUTE_PGM_RSRC2:TIDIG_COMP_CNT: 0
; COMPUTE_PGM_RSRC3_GFX90A:ACCUM_OFFSET: 13
; COMPUTE_PGM_RSRC3_GFX90A:TG_SPLIT: 0
	.section	.text._Z38paged_attention_ll4mi_QKV_mfma4_kernelIDF16_hLN4vllm18Fp8KVCacheDataTypeE1EDF16_Li16ELi128ELi256ELb1ELi2EEvPKT_PKT0_S7_ifPKiS9_S9_iPKfiiiPfSC_PS2_PT2_iSB_SB_,"axG",@progbits,_Z38paged_attention_ll4mi_QKV_mfma4_kernelIDF16_hLN4vllm18Fp8KVCacheDataTypeE1EDF16_Li16ELi128ELi256ELb1ELi2EEvPKT_PKT0_S7_ifPKiS9_S9_iPKfiiiPfSC_PS2_PT2_iSB_SB_,comdat
	.protected	_Z38paged_attention_ll4mi_QKV_mfma4_kernelIDF16_hLN4vllm18Fp8KVCacheDataTypeE1EDF16_Li16ELi128ELi256ELb1ELi2EEvPKT_PKT0_S7_ifPKiS9_S9_iPKfiiiPfSC_PS2_PT2_iSB_SB_ ; -- Begin function _Z38paged_attention_ll4mi_QKV_mfma4_kernelIDF16_hLN4vllm18Fp8KVCacheDataTypeE1EDF16_Li16ELi128ELi256ELb1ELi2EEvPKT_PKT0_S7_ifPKiS9_S9_iPKfiiiPfSC_PS2_PT2_iSB_SB_
	.globl	_Z38paged_attention_ll4mi_QKV_mfma4_kernelIDF16_hLN4vllm18Fp8KVCacheDataTypeE1EDF16_Li16ELi128ELi256ELb1ELi2EEvPKT_PKT0_S7_ifPKiS9_S9_iPKfiiiPfSC_PS2_PT2_iSB_SB_
	.p2align	8
	.type	_Z38paged_attention_ll4mi_QKV_mfma4_kernelIDF16_hLN4vllm18Fp8KVCacheDataTypeE1EDF16_Li16ELi128ELi256ELb1ELi2EEvPKT_PKT0_S7_ifPKiS9_S9_iPKfiiiPfSC_PS2_PT2_iSB_SB_,@function
_Z38paged_attention_ll4mi_QKV_mfma4_kernelIDF16_hLN4vllm18Fp8KVCacheDataTypeE1EDF16_Li16ELi128ELi256ELb1ELi2EEvPKT_PKT0_S7_ifPKiS9_S9_iPKfiiiPfSC_PS2_PT2_iSB_SB_: ; @_Z38paged_attention_ll4mi_QKV_mfma4_kernelIDF16_hLN4vllm18Fp8KVCacheDataTypeE1EDF16_Li16ELi128ELi256ELb1ELi2EEvPKT_PKT0_S7_ifPKiS9_S9_iPKfiiiPfSC_PS2_PT2_iSB_SB_
; %bb.0:
	s_load_dwordx2 s[16:17], s[0:1], 0x30
	s_mov_b32 s20, s3
	s_mov_b64 s[6:7], 0
	s_waitcnt lgkmcnt(0)
	s_cmp_lg_u64 s[16:17], 0
	s_cselect_b64 s[18:19], -1, 0
	s_and_b64 vcc, exec, s[18:19]
	s_cbranch_vccz .LBB969_10
; %bb.1:
	s_add_i32 s8, s2, 1
	s_mov_b32 s9, 0
	s_lshl_b64 s[10:11], s[8:9], 2
	s_add_u32 s10, s16, s10
	s_mov_b32 s3, s9
	s_addc_u32 s11, s17, s11
	s_lshl_b64 s[8:9], s[2:3], 2
	s_add_u32 s8, s16, s8
	s_addc_u32 s9, s17, s9
	s_load_dword s5, s[10:11], 0x0
	s_load_dword s12, s[8:9], 0x0
	s_waitcnt lgkmcnt(0)
	s_sub_i32 s5, s5, s12
	s_cmp_eq_u32 s5, 1
	s_cselect_b64 s[8:9], -1, 0
	s_andn2_b64 vcc, exec, s[6:7]
	s_cbranch_vccnz .LBB969_3
.LBB969_2:
	s_mov_b32 s3, 0
	s_mov_b64 s[8:9], -1
.LBB969_3:
	s_andn2_b64 vcc, exec, s[8:9]
	s_cbranch_vccnz .LBB969_27
; %bb.4:
	s_load_dword s5, s[0:1], 0x9c
	s_load_dwordx2 s[6:7], s[0:1], 0x28
	s_add_u32 s24, s0, 0x90
	s_addc_u32 s25, s1, 0
	s_lshl_b64 s[28:29], s[2:3], 2
	s_waitcnt lgkmcnt(0)
	s_and_b32 s5, s5, 0xffff
	s_add_u32 s6, s6, s28
	s_addc_u32 s7, s7, s29
	s_load_dword s3, s[6:7], 0x0
	s_mul_i32 s5, s20, s5
	s_waitcnt lgkmcnt(0)
	s_cmp_ge_i32 s5, s3
	s_cbranch_scc1 .LBB969_27
; %bb.5:
	v_and_b32_e32 v1, 0xc0, v0
	v_add_u32_e32 v4, s5, v1
	v_lshrrev_b32_e32 v42, 6, v0
	v_cmp_le_i32_e64 s[6:7], s3, v4
                                        ; implicit-def: $sgpr30
                                        ; implicit-def: $sgpr21
	s_and_saveexec_b64 s[8:9], s[6:7]
	s_xor_b64 s[8:9], exec, s[8:9]
	s_cbranch_execz .LBB969_7
; %bb.6:
	v_mul_u32_u24_e32 v1, 20, v42
	v_or_b32_e32 v1, 0x1400, v1
	v_mov_b32_e32 v2, 0x1450
	v_mov_b32_e32 v3, 0xff7fffff
	v_mad_u32_u24 v2, v42, 20, v2
	ds_write2_b32 v1, v3, v3 offset1:1
	v_mov_b32_e32 v1, 0
	ds_write2_b32 v2, v1, v1 offset1:1
	v_mov_b32_e32 v2, 0x1408
	v_mov_b32_e32 v4, 0x1458
	s_mov_b32 s21, 0xff7fffff
	s_mov_b32 s30, 0
	v_mad_u32_u24 v2, v42, 20, v2
	v_mad_u32_u24 v4, v42, 20, v4
	ds_write2_b32 v2, v3, v3 offset1:1
	ds_write2_b32 v4, v1, v1 offset1:1
                                        ; implicit-def: $vgpr4
.LBB969_7:
	s_or_saveexec_b64 s[26:27], s[8:9]
	s_load_dwordx2 s[22:23], s[0:1], 0x68
	s_load_dwordx4 s[12:15], s[0:1], 0x58
	s_load_dword s33, s[24:25], 0x4
	s_load_dwordx4 s[8:11], s[0:1], 0x80
	v_and_b32_e32 v1, 63, v0
	v_and_b32_e32 v43, 3, v0
	s_lshl_b32 s38, s4, 1
	v_mov_b32_e32 v37, s30
	v_mov_b32_e32 v39, s21
	;; [unrolled: 1-line block ×5, first 2 shown]
                                        ; implicit-def: $vgpr18_vgpr19
                                        ; implicit-def: $vgpr22_vgpr23
                                        ; implicit-def: $vgpr26_vgpr27
                                        ; implicit-def: $vgpr30_vgpr31
                                        ; implicit-def: $vgpr2_vgpr3
                                        ; implicit-def: $vgpr6_vgpr7
                                        ; implicit-def: $vgpr10_vgpr11
                                        ; implicit-def: $vgpr14_vgpr15
	s_xor_b64 exec, exec, s[26:27]
	s_cbranch_execz .LBB969_19
; %bb.8:
	s_load_dwordx2 s[30:31], s[0:1], 0x20
	s_load_dword s21, s[0:1], 0x38
	s_add_i32 s34, s3, 15
	s_ashr_i32 s35, s34, 31
	s_lshr_b32 s35, s35, 28
	v_add_u32_e32 v44, s5, v0
	s_add_i32 s34, s34, s35
	v_ashrrev_i32_e32 v2, 31, v44
	s_ashr_i32 s34, s34, 4
	v_lshrrev_b32_e32 v2, 28, v2
	s_add_i32 s36, s34, -1
	s_waitcnt lgkmcnt(0)
	s_mul_i32 s34, s2, s21
	s_mov_b32 s35, 0
	v_add_u32_e32 v2, v44, v2
	s_lshl_b64 s[34:35], s[34:35], 2
	v_ashrrev_i32_e32 v2, 4, v2
	v_mov_b32_e32 v3, s36
	v_cmp_gt_i32_e32 vcc, s3, v44
	s_add_u32 s30, s30, s34
	s_addc_u32 s31, s31, s35
	v_cndmask_b32_e32 v2, v3, v2, vcc
	v_ashrrev_i32_e32 v3, 31, v2
	v_lshl_add_u64 v[6:7], v[2:3], 2, s[30:31]
	v_ashrrev_i32_e32 v2, 31, v4
	v_lshrrev_b32_e32 v2, 28, v2
	v_add_u32_e32 v2, v4, v2
	v_ashrrev_i32_e32 v12, 4, v2
	v_min_i32_e32 v2, s36, v12
	v_ashrrev_i32_e32 v3, 31, v2
	v_lshl_add_u64 v[4:5], v[2:3], 2, s[30:31]
	v_add_u32_e32 v2, 1, v12
	v_min_i32_e32 v2, s36, v2
	v_ashrrev_i32_e32 v3, 31, v2
	v_lshl_add_u64 v[8:9], v[2:3], 2, s[30:31]
	v_add_u32_e32 v2, 2, v12
	;; [unrolled: 4-line block ×3, first 2 shown]
	v_min_i32_e32 v2, s36, v2
	v_ashrrev_i32_e32 v3, 31, v2
	v_lshl_add_u64 v[12:13], v[2:3], 2, s[30:31]
	global_load_dword v2, v[6:7], off
	global_load_dword v47, v[4:5], off
	;; [unrolled: 1-line block ×5, first 2 shown]
	s_load_dwordx2 s[30:31], s[0:1], 0x8
	s_andn2_b64 vcc, exec, s[18:19]
	s_cbranch_vccnz .LBB969_11
; %bb.9:
	s_add_u32 s16, s16, s28
	s_addc_u32 s17, s17, s29
	s_load_dword s5, s[16:17], 0x0
	s_branch .LBB969_12
.LBB969_10:
	s_mov_b64 s[8:9], 0
	s_branch .LBB969_2
.LBB969_11:
	s_mov_b32 s5, s2
.LBB969_12:
	s_load_dwordx2 s[28:29], s[0:1], 0x10
	s_load_dwordx4 s[16:19], s[0:1], 0x48
	v_cmp_gt_u32_e32 vcc, 2, v43
	s_mov_b32 s37, 0
	v_mov_b32_e32 v27, 0
	v_mov_b32_e32 v34, 0
	v_mov_b32_e32 v35, 0
	v_mov_b32_e32 v36, 0
	v_mov_b32_e32 v37, 0
	s_and_saveexec_b64 s[34:35], vcc
	s_cbranch_execz .LBB969_14
; %bb.13:
	s_load_dwordx2 s[40:41], s[0:1], 0x0
	s_waitcnt lgkmcnt(0)
	s_ashr_i32 s19, s16, 31
	s_mul_hi_u32 s21, s5, s16
	s_mul_i32 s19, s5, s19
	s_add_i32 s43, s21, s19
	s_mul_i32 s42, s5, s16
	s_lshl_b64 s[42:43], s[42:43], 1
	s_add_u32 s5, s40, s42
	s_addc_u32 s16, s41, s43
	s_lshl_b32 s36, s4, 8
	s_lshl_b64 s[36:37], s[36:37], 1
	v_lshlrev_b32_e32 v3, 2, v1
	s_add_u32 s36, s5, s36
	v_and_b32_e32 v3, 0xf0, v3
	s_addc_u32 s37, s16, s37
	v_lshl_or_b32 v3, v43, 8, v3
	global_load_dwordx4 v[34:37], v3, s[36:37]
.LBB969_14:
	s_or_b64 exec, exec, s[34:35]
	s_waitcnt lgkmcnt(0)
	s_mul_i32 s16, s4, s18
	s_add_u32 s4, s16, s30
	s_addc_u32 s5, 0, s31
	v_mov_b64_e32 v[4:5], s[4:5]
	s_waitcnt vmcnt(4)
	v_mad_i64_i32 v[2:3], s[4:5], v2, s17, v[4:5]
	v_lshlrev_b32_e32 v4, 4, v0
	v_and_b32_e32 v26, 0xf0, v4
	v_lshl_add_u64 v[48:49], v[2:3], 0, v[26:27]
	global_load_dwordx4 v[18:21], v[48:49], off
	global_load_dwordx4 v[2:5], v[48:49], off offset:256
	global_load_dwordx4 v[22:25], v[48:49], off offset:512
	;; [unrolled: 1-line block ×7, first 2 shown]
	v_mov_b32_e32 v45, 0
	s_and_saveexec_b64 s[4:5], vcc
	s_cbranch_execz .LBB969_16
; %bb.15:
	s_load_dwordx2 s[18:19], s[0:1], 0x40
	v_or_b32_e32 v48, s38, v43
	v_mov_b32_e32 v49, 0
	s_waitcnt lgkmcnt(0)
	v_lshl_add_u64 v[48:49], v[48:49], 2, s[18:19]
	global_load_dword v45, v[48:49], off
.LBB969_16:
	s_or_b64 exec, exec, s[4:5]
	s_waitcnt vmcnt(11)
	v_mul_hi_i32 v26, v47, s17
	v_ashrrev_i32_e32 v26, 31, v26
	v_lshrrev_b32_e32 v48, 29, v26
	v_mov_b32_e32 v49, 0
	v_mad_i64_i32 v[50:51], s[18:19], v47, s17, v[48:49]
	s_waitcnt vmcnt(10)
	v_mul_hi_i32 v47, v46, s17
	v_ashrrev_i32_e32 v47, 31, v47
	v_lshrrev_b32_e32 v48, 29, v47
	v_mad_i64_i32 v[46:47], s[18:19], v46, s17, v[48:49]
	s_waitcnt vmcnt(9)
	v_mul_hi_i32 v48, v29, s17
	v_ashrrev_i32_e32 v48, 31, v48
	v_lshrrev_b32_e32 v48, 29, v48
	;; [unrolled: 5-line block ×3, first 2 shown]
	s_add_u32 s4, s28, s16
	v_mad_i64_i32 v[28:29], s[16:17], v28, s17, v[48:49]
	s_addc_u32 s5, s29, 0
	v_and_b32_e32 v50, -8, v50
	v_and_b32_e32 v46, -8, v46
	;; [unrolled: 1-line block ×4, first 2 shown]
	v_lshl_add_u64 v[50:51], s[4:5], 0, v[50:51]
	v_lshlrev_b32_e32 v26, 4, v1
	v_lshl_add_u64 v[46:47], s[4:5], 0, v[46:47]
	v_lshl_add_u64 v[52:53], s[4:5], 0, v[52:53]
	;; [unrolled: 1-line block ×7, first 2 shown]
	s_waitcnt vmcnt(7)
	v_cvt_pk_f32_fp8_sdwa v[26:27], v18 src0_sel:WORD_1
	v_cvt_pk_f32_fp8_e32 v[48:49], v18
	s_load_dword s0, s[0:1], 0x1c
	v_cmp_eq_u32_e32 vcc, 0, v43
	v_cvt_pkrtz_f16_f32 v29, v26, v27
	v_cvt_pk_f32_fp8_e32 v[26:27], v19
	v_cvt_pk_f32_fp8_sdwa v[18:19], v19 src0_sel:WORD_1
	v_cvt_pkrtz_f16_f32 v28, v48, v49
	s_waitcnt vmcnt(5)
	v_cvt_pk_f32_fp8_e32 v[48:49], v23
	v_cvt_pkrtz_f16_f32 v26, v26, v27
	v_mfma_f32_4x4x4_16b_f16 a[0:3], v[34:35], v[28:29], 0 cbsz:4
	v_cvt_pkrtz_f16_f32 v27, v18, v19
	v_cvt_pk_f32_fp8_e32 v[18:19], v20
	v_cvt_pk_f32_fp8_e32 v[28:29], v21
	v_mfma_f32_4x4x4_16b_f16 a[0:3], v[36:37], v[26:27], a[0:3] cbsz:4
	v_cvt_pk_f32_fp8_sdwa v[26:27], v20 src0_sel:WORD_1
	v_cvt_pk_f32_fp8_sdwa v[20:21], v21 src0_sel:WORD_1
	v_cvt_pkrtz_f16_f32 v18, v18, v19
	s_load_dword s1, s[8:9], 0x0
	v_cvt_pkrtz_f16_f32 v19, v26, v27
	v_cvt_pkrtz_f16_f32 v26, v28, v29
	;; [unrolled: 1-line block ×3, first 2 shown]
	v_mfma_f32_4x4x4_16b_f16 a[0:3], v[34:35], v[18:19], a[0:3] cbsz:4 abid:1
	v_cvt_pk_f32_fp8_e32 v[18:19], v2
	v_cvt_pk_f32_fp8_sdwa v[20:21], v2 src0_sel:WORD_1
	v_mfma_f32_4x4x4_16b_f16 a[0:3], v[36:37], v[26:27], a[0:3] cbsz:4 abid:1
	v_cvt_pk_f32_fp8_e32 v[26:27], v3
	v_cvt_pk_f32_fp8_sdwa v[2:3], v3 src0_sel:WORD_1
	v_cvt_pkrtz_f16_f32 v18, v18, v19
	v_cvt_pkrtz_f16_f32 v19, v20, v21
	;; [unrolled: 1-line block ×4, first 2 shown]
	v_mfma_f32_4x4x4_16b_f16 a[0:3], v[34:35], v[18:19], a[0:3] cbsz:4 abid:2
	v_cvt_pk_f32_fp8_e32 v[2:3], v4
	v_cvt_pk_f32_fp8_sdwa v[18:19], v4 src0_sel:WORD_1
	v_mfma_f32_4x4x4_16b_f16 a[0:3], v[36:37], v[20:21], a[0:3] cbsz:4 abid:2
	v_cvt_pk_f32_fp8_e32 v[26:27], v5
	v_cvt_pk_f32_fp8_sdwa v[4:5], v5 src0_sel:WORD_1
	v_cvt_pkrtz_f16_f32 v2, v2, v3
	v_cvt_pkrtz_f16_f32 v3, v18, v19
	v_cvt_pk_f32_fp8_sdwa v[28:29], v22 src0_sel:WORD_1
	v_cvt_pkrtz_f16_f32 v26, v26, v27
	v_mfma_f32_4x4x4_16b_f16 a[0:3], v[34:35], v[2:3], a[0:3] cbsz:4 abid:3
	v_cvt_pk_f32_fp8_e32 v[2:3], v22
	v_cvt_pkrtz_f16_f32 v27, v4, v5
	v_cvt_pk_f32_fp8_sdwa v[22:23], v23 src0_sel:WORD_1
	global_load_dwordx4 v[18:21], v[50:51], off
	v_mfma_f32_4x4x4_16b_f16 a[0:3], v[36:37], v[26:27], a[0:3] cbsz:4 abid:3
	v_cvt_pkrtz_f16_f32 v26, v2, v3
	global_load_dwordx4 v[2:5], v[50:51], off offset:1024
	v_cvt_pkrtz_f16_f32 v27, v28, v29
	v_cvt_pkrtz_f16_f32 v28, v48, v49
	;; [unrolled: 1-line block ×3, first 2 shown]
	v_mfma_f32_4x4x4_16b_f16 a[0:3], v[34:35], v[26:27], a[0:3] cbsz:4 abid:4
	v_cvt_pk_f32_fp8_e32 v[22:23], v24
	v_cvt_pk_f32_fp8_sdwa v[26:27], v24 src0_sel:WORD_1
	v_mfma_f32_4x4x4_16b_f16 a[0:3], v[36:37], v[28:29], a[0:3] cbsz:4 abid:4
	v_cvt_pk_f32_fp8_e32 v[28:29], v25
	v_cvt_pk_f32_fp8_sdwa v[24:25], v25 src0_sel:WORD_1
	v_cvt_pkrtz_f16_f32 v22, v22, v23
	v_cvt_pkrtz_f16_f32 v23, v26, v27
	;; [unrolled: 1-line block ×4, first 2 shown]
	v_mfma_f32_4x4x4_16b_f16 a[0:3], v[34:35], v[22:23], a[0:3] cbsz:4 abid:5
	s_waitcnt vmcnt(6)
	v_cvt_pk_f32_fp8_e32 v[22:23], v6
	v_cvt_pk_f32_fp8_sdwa v[24:25], v6 src0_sel:WORD_1
	v_mfma_f32_4x4x4_16b_f16 a[0:3], v[36:37], v[26:27], a[0:3] cbsz:4 abid:5
	v_cvt_pk_f32_fp8_e32 v[26:27], v7
	v_cvt_pk_f32_fp8_sdwa v[28:29], v7 src0_sel:WORD_1
	v_cvt_pkrtz_f16_f32 v6, v22, v23
	v_cvt_pkrtz_f16_f32 v7, v24, v25
	;; [unrolled: 1-line block ×4, first 2 shown]
	v_mfma_f32_4x4x4_16b_f16 a[0:3], v[34:35], v[6:7], a[0:3] cbsz:4 abid:6
	v_cvt_pk_f32_fp8_sdwa v[28:29], v8 src0_sel:WORD_1
	v_cvt_pk_f32_fp8_e32 v[48:49], v9
	v_mfma_f32_4x4x4_16b_f16 a[0:3], v[36:37], v[26:27], a[0:3] cbsz:4 abid:6
	v_cvt_pk_f32_fp8_e32 v[26:27], v8
	v_cvt_pk_f32_fp8_sdwa v[50:51], v9 src0_sel:WORD_1
	global_load_dwordx4 v[22:25], v[46:47], off
	global_load_dwordx4 v[6:9], v[46:47], off offset:1024
	v_cvt_pkrtz_f16_f32 v26, v26, v27
	v_cvt_pkrtz_f16_f32 v27, v28, v29
	;; [unrolled: 1-line block ×4, first 2 shown]
	v_mfma_f32_4x4x4_16b_f16 a[0:3], v[34:35], v[26:27], a[0:3] cbsz:4 abid:7
	s_waitcnt vmcnt(7)
	v_cvt_pk_f32_fp8_e32 v[26:27], v10
	v_cvt_pk_f32_fp8_e32 v[46:47], v11
	v_mfma_f32_4x4x4_16b_f16 a[0:3], v[36:37], v[28:29], a[0:3] cbsz:4 abid:7
	v_cvt_pk_f32_fp8_sdwa v[28:29], v10 src0_sel:WORD_1
	v_cvt_pk_f32_fp8_sdwa v[10:11], v11 src0_sel:WORD_1
	v_cvt_pkrtz_f16_f32 v26, v26, v27
	s_waitcnt vmcnt(6)
	v_cvt_pk_f32_fp8_sdwa v[48:49], v30 src0_sel:WORD_1
	v_cvt_pkrtz_f16_f32 v27, v28, v29
	v_cvt_pkrtz_f16_f32 v29, v10, v11
	v_cvt_pk_f32_fp8_e32 v[10:11], v12
	v_mfma_f32_4x4x4_16b_f16 a[0:3], v[34:35], v[26:27], a[0:3] cbsz:4 abid:8
	v_cvt_pk_f32_fp8_sdwa v[26:27], v12 src0_sel:WORD_1
	v_cvt_pkrtz_f16_f32 v28, v46, v47
	v_cvt_pk_f32_fp8_e32 v[46:47], v13
	v_cvt_pk_f32_fp8_sdwa v[12:13], v13 src0_sel:WORD_1
	v_mfma_f32_4x4x4_16b_f16 a[0:3], v[36:37], v[28:29], a[0:3] cbsz:4 abid:8
	v_cvt_pkrtz_f16_f32 v10, v10, v11
	v_cvt_pkrtz_f16_f32 v11, v26, v27
	;; [unrolled: 1-line block ×4, first 2 shown]
	v_mfma_f32_4x4x4_16b_f16 a[0:3], v[34:35], v[10:11], a[0:3] cbsz:4 abid:9
	v_cvt_pk_f32_fp8_e32 v[10:11], v30
	v_cvt_pk_f32_fp8_e32 v[50:51], v31
	v_cvt_pk_f32_fp8_sdwa v[30:31], v31 src0_sel:WORD_1
	v_mfma_f32_4x4x4_16b_f16 a[0:3], v[36:37], v[46:47], a[0:3] cbsz:4 abid:9
	v_cvt_pkrtz_f16_f32 v46, v10, v11
	v_cvt_pkrtz_f16_f32 v47, v48, v49
	;; [unrolled: 1-line block ×4, first 2 shown]
	v_mfma_f32_4x4x4_16b_f16 a[0:3], v[34:35], v[46:47], a[0:3] cbsz:4 abid:10
	v_cvt_pk_f32_fp8_e32 v[30:31], v32
	v_cvt_pk_f32_fp8_sdwa v[46:47], v32 src0_sel:WORD_1
	v_mfma_f32_4x4x4_16b_f16 a[0:3], v[36:37], v[48:49], a[0:3] cbsz:4 abid:10
	v_cvt_pk_f32_fp8_e32 v[48:49], v33
	v_cvt_pk_f32_fp8_sdwa v[32:33], v33 src0_sel:WORD_1
	v_cvt_pkrtz_f16_f32 v30, v30, v31
	v_cvt_pkrtz_f16_f32 v31, v46, v47
	v_cvt_pkrtz_f16_f32 v46, v48, v49
	v_cvt_pkrtz_f16_f32 v47, v32, v33
	v_mfma_f32_4x4x4_16b_f16 a[0:3], v[34:35], v[30:31], a[0:3] cbsz:4 abid:11
	s_waitcnt vmcnt(5)
	v_cvt_pk_f32_fp8_e32 v[30:31], v14
	v_cvt_pk_f32_fp8_sdwa v[32:33], v14 src0_sel:WORD_1
	v_mfma_f32_4x4x4_16b_f16 a[0:3], v[36:37], v[46:47], a[0:3] cbsz:4 abid:11
	v_cvt_pk_f32_fp8_e32 v[46:47], v15
	v_cvt_pk_f32_fp8_sdwa v[48:49], v15 src0_sel:WORD_1
	v_cvt_pkrtz_f16_f32 v14, v30, v31
	v_cvt_pkrtz_f16_f32 v15, v32, v33
	;; [unrolled: 1-line block ×4, first 2 shown]
	v_mfma_f32_4x4x4_16b_f16 a[0:3], v[34:35], v[14:15], a[0:3] cbsz:4 abid:12
	global_load_dwordx4 v[26:29], v[52:53], off
	global_load_dwordx4 v[10:13], v[52:53], off offset:1024
	global_load_dwordx4 v[30:33], v[54:55], off
	v_mfma_f32_4x4x4_16b_f16 a[0:3], v[36:37], v[46:47], a[0:3] cbsz:4 abid:12
	v_cvt_pk_f32_fp8_e32 v[46:47], v16
	v_cvt_pk_f32_fp8_sdwa v[48:49], v16 src0_sel:WORD_1
	v_cvt_pk_f32_fp8_e32 v[50:51], v17
	v_cvt_pk_f32_fp8_sdwa v[52:53], v17 src0_sel:WORD_1
	global_load_dwordx4 v[14:17], v[54:55], off offset:1024
	v_cvt_pkrtz_f16_f32 v46, v46, v47
	v_cvt_pkrtz_f16_f32 v47, v48, v49
	;; [unrolled: 1-line block ×4, first 2 shown]
	v_mfma_f32_4x4x4_16b_f16 a[0:3], v[34:35], v[46:47], a[0:3] cbsz:4 abid:13
	s_waitcnt vmcnt(8)
	v_cvt_pk_f32_fp8_e32 v[46:47], v38
	v_cvt_pk_f32_fp8_e32 v[50:51], v39
	v_mfma_f32_4x4x4_16b_f16 a[0:3], v[36:37], v[48:49], a[0:3] cbsz:4 abid:13
	v_cvt_pk_f32_fp8_sdwa v[48:49], v38 src0_sel:WORD_1
	v_cvt_pkrtz_f16_f32 v38, v46, v47
	v_cvt_pk_f32_fp8_sdwa v[46:47], v39 src0_sel:WORD_1
	v_cvt_pkrtz_f16_f32 v39, v48, v49
	v_cvt_pkrtz_f16_f32 v48, v50, v51
	s_nop 0
	v_mfma_f32_4x4x4_16b_f16 a[0:3], v[34:35], v[38:39], a[0:3] cbsz:4 abid:14
	v_cvt_pkrtz_f16_f32 v49, v46, v47
	v_cvt_pk_f32_fp8_e32 v[38:39], v40
	v_cvt_pk_f32_fp8_sdwa v[46:47], v40 src0_sel:WORD_1
	v_mfma_f32_4x4x4_16b_f16 a[0:3], v[36:37], v[48:49], a[0:3] cbsz:4 abid:14
	v_cvt_pk_f32_fp8_e32 v[48:49], v41
	v_cvt_pk_f32_fp8_sdwa v[40:41], v41 src0_sel:WORD_1
	v_cvt_pkrtz_f16_f32 v38, v38, v39
	v_cvt_pkrtz_f16_f32 v39, v46, v47
	;; [unrolled: 1-line block ×4, first 2 shown]
	v_mfma_f32_4x4x4_16b_f16 a[0:3], v[34:35], v[38:39], a[0:3] cbsz:4 abid:15
	s_waitcnt lgkmcnt(0)
	v_mov_b32_e32 v34, s0
	v_mov_b32_e32 v41, 0xff7fffff
	v_mfma_f32_4x4x4_16b_f16 a[0:3], v[36:37], v[46:47], a[0:3] cbsz:4 abid:15
	v_mul_f32_e32 v36, s1, v34
	s_nop 3
	v_accvgpr_read_b32 v39, a1
	v_accvgpr_read_b32 v38, a0
	v_pk_mul_f32 v[38:39], v[38:39], v[36:37] op_sel_hi:[1,0]
	v_accvgpr_read_b32 v35, a3
	v_accvgpr_read_b32 v34, a2
	v_pk_mul_f32 v[34:35], v[34:35], v[36:37] op_sel_hi:[1,0]
	v_cndmask_b32_e64 v36, 0, 1.0, vcc
	v_cmp_eq_u32_e32 vcc, 1, v43
	s_nop 0
	v_mfma_f32_4x4x1_16b_f32 a[0:3], v38, v36, 0
	v_cndmask_b32_e64 v36, 0, 1.0, vcc
	v_cmp_eq_u32_e32 vcc, 2, v43
	s_nop 0
	v_mfma_f32_4x4x1_16b_f32 a[0:3], v39, v36, a[0:3]
	;; [unrolled: 4-line block ×3, first 2 shown]
	v_cndmask_b32_e64 v34, 0, 1.0, vcc
	s_nop 1
	v_mfma_f32_4x4x1_16b_f32 a[0:3], v35, v34, a[0:3]
	v_and_b32_e32 v34, -4, v44
	v_subrev_u32_e32 v35, s3, v34
	v_add_u32_e32 v36, 1, v35
	v_cvt_f32_i32_e32 v36, v36
	v_add_u32_e32 v37, 2, v35
	v_cvt_f32_i32_e32 v37, v37
	v_accvgpr_read_b32 v38, a0
	v_fma_f32 v36, v45, v36, v38
	v_accvgpr_read_b32 v38, a1
	v_fma_f32 v37, v45, v37, v38
	v_add_u32_e32 v38, 3, v35
	v_cvt_f32_i32_e32 v38, v38
	v_add_u32_e32 v35, 4, v35
	v_cvt_f32_i32_e32 v35, v35
	v_accvgpr_read_b32 v39, a2
	v_fma_f32 v38, v45, v38, v39
	v_max_f32_e32 v39, 0xff7fffff, v36
	v_cmp_gt_i32_e32 vcc, s3, v34
	v_accvgpr_read_b32 v40, a3
	v_fmac_f32_e32 v40, v45, v35
	v_cndmask_b32_e32 v39, v41, v39, vcc
	v_or_b32_e32 v41, 1, v34
	v_max_f32_e32 v45, v39, v37
	v_cmp_gt_i32_e64 s[0:1], s3, v41
	v_or_b32_e32 v34, 2, v34
	v_cmp_gt_i32_e64 s[4:5], s3, v34
	v_cndmask_b32_e64 v39, v39, v45, s[0:1]
	v_max_f32_e32 v41, v39, v38
	v_cndmask_b32_e64 v34, v39, v41, s[4:5]
	v_or_b32_e32 v39, 3, v44
	v_max_f32_e32 v41, v34, v40
	v_cmp_gt_i32_e64 s[8:9], s3, v39
	v_lshlrev_b32_e32 v35, 2, v0
	v_and_or_b32 v35, v35, 48, v43
	v_cndmask_b32_e64 v34, v34, v41, s[8:9]
	;;#ASMSTART
	v_nop
 v_nop
 v_max_f32_dpp v34, v34, v34 row_ror:4
	;;#ASMEND
	v_lshlrev_b32_e32 v41, 2, v35
	;;#ASMSTART
	v_nop
 v_nop
 v_max_f32_dpp v34, v34, v34 row_ror:8
	;;#ASMEND
	ds_bpermute_b32 v34, v41, v34
	s_waitcnt lgkmcnt(0)
	;;#ASMSTART
	v_nop
 v_nop
 v_max_f32_dpp v34, v34, v34 row_ror:4
	;;#ASMEND
	s_nop 0
	;;#ASMSTART
	v_nop
 v_nop
 v_max_f32_dpp v39, v34, v34 row_ror:8
	;;#ASMEND
	s_nop 0
	v_sub_f32_e32 v34, v36, v39
	v_mul_f32_e32 v34, 0x3fb8aa3b, v34
	v_sub_f32_e32 v35, v37, v39
	v_exp_f32_e32 v34, v34
	v_mul_f32_e32 v35, 0x3fb8aa3b, v35
	v_sub_f32_e32 v37, v38, v39
	v_exp_f32_e32 v35, v35
	;; [unrolled: 3-line block ×3, first 2 shown]
	v_mul_f32_e32 v38, 0x3fb8aa3b, v38
	v_exp_f32_e32 v38, v38
	v_cndmask_b32_e32 v34, 0, v34, vcc
	v_add_f32_e32 v36, 0, v34
	v_cndmask_b32_e64 v35, 0, v35, s[0:1]
	v_add_f32_e32 v40, v36, v35
	v_cndmask_b32_e64 v36, 0, v37, s[4:5]
	;; [unrolled: 2-line block ×3, first 2 shown]
	v_add_f32_e32 v38, v40, v37
	;;#ASMSTART
	v_nop
 v_nop
 v_add_f32_dpp v38, v38, v38 row_ror:4
	;;#ASMEND
	v_cmp_gt_u32_e32 vcc, 4, v1
	;;#ASMSTART
	v_nop
 v_nop
 v_add_f32_dpp v38, v38, v38 row_ror:8
	;;#ASMEND
	ds_bpermute_b32 v38, v41, v38
	s_waitcnt lgkmcnt(0)
	;;#ASMSTART
	v_nop
 v_nop
 v_add_f32_dpp v38, v38, v38 row_ror:4
	;;#ASMEND
	s_nop 0
	;;#ASMSTART
	v_nop
 v_nop
 v_add_f32_dpp v38, v38, v38 row_ror:8
	;;#ASMEND
	s_and_saveexec_b64 s[0:1], vcc
	s_cbranch_execz .LBB969_18
; %bb.17:
	v_mul_u32_u24_e32 v40, 20, v42
	v_lshl_add_u32 v40, v43, 2, v40
	v_add_u32_e32 v40, 0x1400, v40
	ds_write2_b32 v40, v39, v38 offset1:20
.LBB969_18:
	s_or_b64 exec, exec, s[0:1]
.LBB969_19:
	s_or_b64 exec, exec, s[26:27]
	s_waitcnt lgkmcnt(0)
	s_barrier
	s_load_dword s0, s[24:25], 0x8
	v_lshlrev_b32_e32 v38, 2, v43
	v_add_u32_e32 v38, 0x1400, v38
	ds_read2_b32 v[44:45], v38 offset1:5
	ds_read2_b32 v[46:47], v38 offset0:10 offset1:15
	s_mul_i32 s1, s2, s33
	s_waitcnt lgkmcnt(0)
	s_mul_i32 s1, s1, s0
	s_lshl_b32 s0, s1, 1
	s_mov_b32 s1, 0xff7fffff
	v_max3_f32 v40, v44, s1, v45
	v_max3_f32 v40, v40, v46, v47
	v_sub_f32_e32 v41, v44, v40
	v_sub_f32_e32 v44, v45, v40
	ds_read2_b32 v[48:49], v38 offset0:20 offset1:25
	v_mul_f32_e32 v41, 0x3fb8aa3b, v41
	v_mul_f32_e32 v44, 0x3fb8aa3b, v44
	v_exp_f32_e32 v41, v41
	v_exp_f32_e32 v50, v44
	ds_read2_b32 v[44:45], v38 offset0:30 offset1:35
	v_sub_f32_e32 v38, v46, v40
	v_mul_f32_e32 v38, 0x3fb8aa3b, v38
	v_sub_f32_e32 v46, v47, v40
	v_exp_f32_e32 v38, v38
	v_mul_f32_e32 v46, 0x3fb8aa3b, v46
	v_exp_f32_e32 v46, v46
	s_waitcnt lgkmcnt(1)
	v_fma_f32 v41, v41, v48, 0
	v_fmac_f32_e32 v41, v50, v49
	s_waitcnt lgkmcnt(0)
	v_fmac_f32_e32 v41, v38, v44
	v_fmac_f32_e32 v41, v46, v45
	v_cmp_gt_u32_e32 vcc, 2, v43
	s_and_saveexec_b64 s[2:3], vcc
	s_cbranch_execz .LBB969_21
; %bb.20:
	s_mov_b32 s1, 0
	s_lshl_b64 s[4:5], s[0:1], 2
	s_add_u32 s12, s12, s4
	s_mov_b32 s21, s1
	s_addc_u32 s13, s13, s5
	s_lshl_b64 s[8:9], s[20:21], 2
	s_add_u32 s12, s12, s8
	s_addc_u32 s13, s13, s9
	s_add_u32 s1, s14, s4
	s_addc_u32 s5, s15, s5
	v_or_b32_e32 v38, s38, v43
	s_add_u32 s4, s1, s8
	v_mul_lo_u32 v44, s33, v38
	v_mov_b32_e32 v45, 0
	s_addc_u32 s5, s5, s9
	v_lshlrev_b64 v[44:45], 2, v[44:45]
	v_lshl_add_u64 v[46:47], s[12:13], 0, v[44:45]
	v_lshl_add_u64 v[44:45], s[4:5], 0, v[44:45]
	global_store_dword v[44:45], v40, off
	global_store_dword v[46:47], v41, off
.LBB969_21:
	s_or_b64 exec, exec, s[2:3]
	v_lshlrev_b32_e32 v38, 3, v42
	s_and_saveexec_b64 s[2:3], s[6:7]
	s_xor_b64 s[2:3], exec, s[2:3]
	s_cbranch_execz .LBB969_23
; %bb.22:
	s_mov_b32 s4, 0
	s_mov_b32 s5, s4
	s_waitcnt vmcnt(6)
	v_mad_u32_u24 v4, v1, 40, v38
	v_mov_b64_e32 v[2:3], s[4:5]
	ds_write2st64_b64 v4, v[2:3], v[2:3] offset1:5
                                        ; implicit-def: $vgpr37
                                        ; implicit-def: $vgpr35
                                        ; implicit-def: $vgpr39
                                        ; implicit-def: $vgpr18_vgpr19
                                        ; implicit-def: $vgpr22_vgpr23
                                        ; implicit-def: $vgpr26_vgpr27
                                        ; implicit-def: $vgpr30_vgpr31
                                        ; implicit-def: $vgpr2_vgpr3
                                        ; implicit-def: $vgpr6_vgpr7
                                        ; implicit-def: $vgpr10_vgpr11
                                        ; implicit-def: $vgpr14_vgpr15
                                        ; implicit-def: $vgpr40
                                        ; implicit-def: $vgpr41
                                        ; implicit-def: $vgpr38
.LBB969_23:
	s_andn2_saveexec_b64 s[2:3], s[2:3]
	s_cbranch_execz .LBB969_25
; %bb.24:
	v_add_f32_e32 v41, 0x358637bd, v41
	v_div_scale_f32 v42, s[4:5], v41, v41, 1.0
	v_rcp_f32_e32 v43, v42
	v_sub_f32_e32 v39, v39, v40
	v_mul_f32_e32 v39, 0x3fb8aa3b, v39
	v_exp_f32_e32 v39, v39
	v_fma_f32 v40, -v42, v43, 1.0
	v_fmac_f32_e32 v43, v40, v43
	v_div_scale_f32 v40, vcc, 1.0, v41, 1.0
	v_mul_f32_e32 v44, v40, v43
	v_fma_f32 v45, -v42, v44, v40
	v_fmac_f32_e32 v44, v45, v43
	v_fma_f32 v40, -v42, v44, v40
	v_div_fmas_f32 v40, v40, v43, v44
	v_div_fixup_f32 v40, v40, v41, 1.0
	v_mul_f32_e32 v40, v39, v40
	v_pk_mul_f32 v[36:37], v[36:37], v[40:41] op_sel_hi:[1,0]
	v_pk_mul_f32 v[34:35], v[34:35], v[40:41] op_sel_hi:[1,0]
	v_cvt_f16_f32_e32 v36, v36
	v_cvt_f16_f32_e32 v34, v34
	;; [unrolled: 1-line block ×4, first 2 shown]
	s_waitcnt vmcnt(7)
	v_cvt_pk_f32_fp8_sdwa v[40:41], v18 src0_sel:WORD_1
	v_cvt_pk_f32_fp8_e32 v[42:43], v19
	v_pack_b32_f16 v34, v34, v35
	v_pack_b32_f16 v35, v36, v37
	v_cvt_pk_f32_fp8_e32 v[36:37], v18
	v_cvt_pk_f32_fp8_sdwa v[18:19], v19 src0_sel:WORD_1
	s_load_dword s4, s[10:11], 0x0
	v_cvt_pkrtz_f16_f32 v36, v36, v37
	v_cvt_pkrtz_f16_f32 v37, v40, v41
	;; [unrolled: 1-line block ×4, first 2 shown]
	v_mfma_f32_4x4x4_16b_f16 a[0:3], v[34:35], v[36:37], 0 cbsz:4
	v_cvt_pk_f32_fp8_e32 v[18:19], v20
	v_cvt_pk_f32_fp8_sdwa v[36:37], v20 src0_sel:WORD_1
	v_mfma_f32_4x4x4_16b_f16 a[0:3], v[34:35], v[40:41], a[0:3] cbsz:4 abid:1
	v_cvt_pk_f32_fp8_e32 v[40:41], v21
	v_cvt_pk_f32_fp8_sdwa v[20:21], v21 src0_sel:WORD_1
	v_cvt_pkrtz_f16_f32 v18, v18, v19
	v_cvt_pkrtz_f16_f32 v19, v36, v37
	v_cvt_pkrtz_f16_f32 v36, v40, v41
	v_cvt_pkrtz_f16_f32 v37, v20, v21
	v_mfma_f32_4x4x4_16b_f16 a[0:3], v[34:35], v[18:19], a[0:3] cbsz:4 abid:2
	s_waitcnt vmcnt(5)
	v_cvt_pk_f32_fp8_e32 v[18:19], v22
	v_cvt_pk_f32_fp8_sdwa v[20:21], v22 src0_sel:WORD_1
	v_mfma_f32_4x4x4_16b_f16 a[0:3], v[34:35], v[36:37], a[0:3] cbsz:4 abid:3
	v_cvt_pk_f32_fp8_e32 v[36:37], v23
	v_cvt_pk_f32_fp8_sdwa v[22:23], v23 src0_sel:WORD_1
	v_cvt_pkrtz_f16_f32 v18, v18, v19
	v_cvt_pkrtz_f16_f32 v19, v20, v21
	;; [unrolled: 1-line block ×4, first 2 shown]
	v_mfma_f32_4x4x4_16b_f16 a[0:3], v[34:35], v[18:19], a[0:3] cbsz:4 abid:4
	v_cvt_pk_f32_fp8_e32 v[18:19], v24
	v_cvt_pk_f32_fp8_e32 v[22:23], v25
	v_mfma_f32_4x4x4_16b_f16 a[0:3], v[34:35], v[20:21], a[0:3] cbsz:4 abid:5
	v_cvt_pk_f32_fp8_sdwa v[20:21], v24 src0_sel:WORD_1
	v_cvt_pk_f32_fp8_sdwa v[24:25], v25 src0_sel:WORD_1
	v_cvt_pkrtz_f16_f32 v18, v18, v19
	v_cvt_pkrtz_f16_f32 v19, v20, v21
	;; [unrolled: 1-line block ×3, first 2 shown]
	s_nop 0
	v_mfma_f32_4x4x4_16b_f16 a[0:3], v[34:35], v[18:19], a[0:3] cbsz:4 abid:6
	v_cvt_pkrtz_f16_f32 v21, v24, v25
	s_waitcnt vmcnt(3)
	v_cvt_pk_f32_fp8_e32 v[18:19], v26
	v_cvt_pk_f32_fp8_e32 v[22:23], v27
	v_mfma_f32_4x4x4_16b_f16 a[0:3], v[34:35], v[20:21], a[0:3] cbsz:4 abid:7
	v_cvt_pk_f32_fp8_sdwa v[20:21], v26 src0_sel:WORD_1
	v_cvt_pk_f32_fp8_sdwa v[24:25], v27 src0_sel:WORD_1
	v_cvt_pkrtz_f16_f32 v18, v18, v19
	v_cvt_pkrtz_f16_f32 v19, v20, v21
	;; [unrolled: 1-line block ×3, first 2 shown]
	s_nop 0
	v_mfma_f32_4x4x4_16b_f16 a[0:3], v[34:35], v[18:19], a[0:3] cbsz:4 abid:8
	v_cvt_pkrtz_f16_f32 v21, v24, v25
	v_cvt_pk_f32_fp8_e32 v[18:19], v28
	v_cvt_pk_f32_fp8_e32 v[22:23], v29
	v_mfma_f32_4x4x4_16b_f16 a[0:3], v[34:35], v[20:21], a[0:3] cbsz:4 abid:9
	v_cvt_pk_f32_fp8_sdwa v[20:21], v28 src0_sel:WORD_1
	v_cvt_pk_f32_fp8_sdwa v[24:25], v29 src0_sel:WORD_1
	v_cvt_pkrtz_f16_f32 v18, v18, v19
	v_cvt_pkrtz_f16_f32 v19, v20, v21
	;; [unrolled: 1-line block ×3, first 2 shown]
	s_nop 0
	v_mfma_f32_4x4x4_16b_f16 a[0:3], v[34:35], v[18:19], a[0:3] cbsz:4 abid:10
	v_cvt_pkrtz_f16_f32 v21, v24, v25
	s_waitcnt vmcnt(1)
	v_cvt_pk_f32_fp8_e32 v[18:19], v30
	v_cvt_pk_f32_fp8_e32 v[22:23], v31
	v_mfma_f32_4x4x4_16b_f16 a[0:3], v[34:35], v[20:21], a[0:3] cbsz:4 abid:11
	v_cvt_pk_f32_fp8_sdwa v[20:21], v30 src0_sel:WORD_1
	v_cvt_pk_f32_fp8_sdwa v[24:25], v31 src0_sel:WORD_1
	v_cvt_pkrtz_f16_f32 v18, v18, v19
	v_cvt_pkrtz_f16_f32 v19, v20, v21
	;; [unrolled: 1-line block ×3, first 2 shown]
	s_nop 0
	v_mfma_f32_4x4x4_16b_f16 a[0:3], v[34:35], v[18:19], a[0:3] cbsz:4 abid:12
	v_cvt_pkrtz_f16_f32 v21, v24, v25
	v_cvt_pk_f32_fp8_e32 v[18:19], v32
	v_cvt_pk_f32_fp8_e32 v[22:23], v33
	v_mfma_f32_4x4x4_16b_f16 a[0:3], v[34:35], v[20:21], a[0:3] cbsz:4 abid:13
	v_cvt_pk_f32_fp8_sdwa v[20:21], v32 src0_sel:WORD_1
	v_cvt_pk_f32_fp8_sdwa v[24:25], v33 src0_sel:WORD_1
	v_cvt_pkrtz_f16_f32 v18, v18, v19
	v_cvt_pkrtz_f16_f32 v19, v20, v21
	;; [unrolled: 1-line block ×3, first 2 shown]
	s_nop 0
	v_mfma_f32_4x4x4_16b_f16 a[0:3], v[34:35], v[18:19], a[0:3] cbsz:4 abid:14
	v_cvt_pkrtz_f16_f32 v21, v24, v25
	v_cvt_pk_f32_fp8_sdwa v[22:23], v2 src0_sel:WORD_1
	v_cvt_pk_f32_fp8_e32 v[24:25], v3
	v_mfma_f32_4x4x4_16b_f16 a[0:3], v[34:35], v[20:21], a[0:3] cbsz:4 abid:15
	s_nop 4
	v_accvgpr_read_b32 v19, a1
	v_accvgpr_read_b32 v18, a0
	s_waitcnt lgkmcnt(0)
	v_pk_mul_f32 v[18:19], v[18:19], s[4:5] op_sel_hi:[1,0]
	s_nop 0
	v_cvt_f16_f32_e32 v20, v18
	v_cvt_f16_f32_e32 v21, v19
	v_accvgpr_read_b32 v19, a3
	v_accvgpr_read_b32 v18, a2
	v_pk_mul_f32 v[18:19], v[18:19], s[4:5] op_sel_hi:[1,0]
	v_pack_b32_f16 v20, v20, v21
	v_cvt_f16_f32_e32 v21, v18
	v_cvt_f16_f32_e32 v26, v19
	v_cvt_pk_f32_fp8_e32 v[18:19], v2
	v_cvt_pk_f32_fp8_sdwa v[2:3], v3 src0_sel:WORD_1
	v_pack_b32_f16 v21, v21, v26
	v_cvt_pkrtz_f16_f32 v18, v18, v19
	v_cvt_pkrtz_f16_f32 v19, v22, v23
	;; [unrolled: 1-line block ×4, first 2 shown]
	v_mfma_f32_4x4x4_16b_f16 a[0:3], v[34:35], v[18:19], 0 cbsz:4
	v_cvt_pk_f32_fp8_e32 v[2:3], v4
	v_cvt_pk_f32_fp8_sdwa v[18:19], v4 src0_sel:WORD_1
	v_mfma_f32_4x4x4_16b_f16 a[0:3], v[34:35], v[22:23], a[0:3] cbsz:4 abid:1
	v_cvt_pk_f32_fp8_e32 v[22:23], v5
	v_cvt_pk_f32_fp8_sdwa v[4:5], v5 src0_sel:WORD_1
	v_cvt_pkrtz_f16_f32 v2, v2, v3
	v_cvt_pkrtz_f16_f32 v3, v18, v19
	;; [unrolled: 1-line block ×4, first 2 shown]
	v_mfma_f32_4x4x4_16b_f16 a[0:3], v[34:35], v[2:3], a[0:3] cbsz:4 abid:2
	v_cvt_pk_f32_fp8_e32 v[2:3], v6
	v_cvt_pk_f32_fp8_sdwa v[4:5], v6 src0_sel:WORD_1
	v_mfma_f32_4x4x4_16b_f16 a[0:3], v[34:35], v[18:19], a[0:3] cbsz:4 abid:3
	v_cvt_pk_f32_fp8_e32 v[18:19], v7
	v_cvt_pk_f32_fp8_sdwa v[6:7], v7 src0_sel:WORD_1
	v_cvt_pkrtz_f16_f32 v2, v2, v3
	v_cvt_pkrtz_f16_f32 v3, v4, v5
	;; [unrolled: 1-line block ×4, first 2 shown]
	v_mfma_f32_4x4x4_16b_f16 a[0:3], v[34:35], v[2:3], a[0:3] cbsz:4 abid:4
	v_cvt_pk_f32_fp8_e32 v[2:3], v8
	v_cvt_pk_f32_fp8_e32 v[6:7], v9
	v_mfma_f32_4x4x4_16b_f16 a[0:3], v[34:35], v[4:5], a[0:3] cbsz:4 abid:5
	v_cvt_pk_f32_fp8_sdwa v[4:5], v8 src0_sel:WORD_1
	v_cvt_pk_f32_fp8_sdwa v[8:9], v9 src0_sel:WORD_1
	v_cvt_pkrtz_f16_f32 v2, v2, v3
	v_cvt_pkrtz_f16_f32 v3, v4, v5
	v_cvt_pkrtz_f16_f32 v4, v6, v7
	s_nop 0
	v_mfma_f32_4x4x4_16b_f16 a[0:3], v[34:35], v[2:3], a[0:3] cbsz:4 abid:6
	v_cvt_pkrtz_f16_f32 v5, v8, v9
	v_cvt_pk_f32_fp8_e32 v[2:3], v10
	v_cvt_pk_f32_fp8_e32 v[6:7], v11
	v_mfma_f32_4x4x4_16b_f16 a[0:3], v[34:35], v[4:5], a[0:3] cbsz:4 abid:7
	v_cvt_pk_f32_fp8_sdwa v[4:5], v10 src0_sel:WORD_1
	v_cvt_pk_f32_fp8_sdwa v[8:9], v11 src0_sel:WORD_1
	v_cvt_pkrtz_f16_f32 v2, v2, v3
	v_cvt_pkrtz_f16_f32 v3, v4, v5
	v_cvt_pkrtz_f16_f32 v4, v6, v7
	s_nop 0
	v_mfma_f32_4x4x4_16b_f16 a[0:3], v[34:35], v[2:3], a[0:3] cbsz:4 abid:8
	v_cvt_pkrtz_f16_f32 v5, v8, v9
	;; [unrolled: 11-line block ×3, first 2 shown]
	s_waitcnt vmcnt(0)
	v_cvt_pk_f32_fp8_e32 v[2:3], v14
	v_cvt_pk_f32_fp8_e32 v[6:7], v15
	v_mfma_f32_4x4x4_16b_f16 a[0:3], v[34:35], v[4:5], a[0:3] cbsz:4 abid:11
	v_cvt_pk_f32_fp8_sdwa v[4:5], v14 src0_sel:WORD_1
	v_cvt_pk_f32_fp8_sdwa v[8:9], v15 src0_sel:WORD_1
	v_cvt_pkrtz_f16_f32 v2, v2, v3
	v_cvt_pkrtz_f16_f32 v3, v4, v5
	;; [unrolled: 1-line block ×3, first 2 shown]
	s_nop 0
	v_mfma_f32_4x4x4_16b_f16 a[0:3], v[34:35], v[2:3], a[0:3] cbsz:4 abid:12
	v_cvt_pkrtz_f16_f32 v5, v8, v9
	v_cvt_pk_f32_fp8_e32 v[2:3], v16
	v_cvt_pk_f32_fp8_e32 v[6:7], v17
	v_mfma_f32_4x4x4_16b_f16 a[0:3], v[34:35], v[4:5], a[0:3] cbsz:4 abid:13
	v_cvt_pk_f32_fp8_sdwa v[4:5], v16 src0_sel:WORD_1
	v_cvt_pk_f32_fp8_sdwa v[8:9], v17 src0_sel:WORD_1
	v_cvt_pkrtz_f16_f32 v2, v2, v3
	v_cvt_pkrtz_f16_f32 v3, v4, v5
	;; [unrolled: 1-line block ×3, first 2 shown]
	s_nop 0
	v_mfma_f32_4x4x4_16b_f16 a[0:3], v[34:35], v[2:3], a[0:3] cbsz:4 abid:14
	v_cvt_pkrtz_f16_f32 v5, v8, v9
	v_mad_u32_u24 v7, v1, 40, v38
	s_nop 0
	v_mfma_f32_4x4x4_16b_f16 a[0:3], v[34:35], v[4:5], a[0:3] cbsz:4 abid:15
	s_nop 4
	v_accvgpr_read_b32 v5, a1
	v_accvgpr_read_b32 v3, a3
	;; [unrolled: 1-line block ×4, first 2 shown]
	v_pk_mul_f32 v[2:3], v[2:3], s[4:5] op_sel_hi:[1,0]
	v_pk_mul_f32 v[4:5], v[4:5], s[4:5] op_sel_hi:[1,0]
	v_cvt_f16_f32_e32 v6, v2
	v_cvt_f16_f32_e32 v4, v4
	;; [unrolled: 1-line block ×4, first 2 shown]
	v_pack_b32_f16 v2, v4, v5
	v_pack_b32_f16 v3, v6, v3
	ds_write2st64_b64 v7, v[20:21], v[2:3] offset1:5
.LBB969_25:
	s_or_b64 exec, exec, s[2:3]
	v_cmp_gt_u32_e32 vcc, 64, v0
	s_waitcnt lgkmcnt(0)
	s_barrier
	s_and_saveexec_b64 s[2:3], vcc
	s_cbranch_execz .LBB969_27
; %bb.26:
	s_waitcnt vmcnt(4)
	v_mul_u32_u24_e32 v6, 40, v1
	ds_read2_b64 v[2:5], v6 offset1:1
	s_mov_b32 s1, 0
	s_waitcnt lgkmcnt(0)
	v_mov_b32_e32 v3, 0xa00
	s_lshl_b32 s0, s0, 7
	ds_read2_b64 v[6:9], v6 offset0:2 offset1:3
	v_mad_u32_u24 v3, v1, 40, v3
	v_pk_add_f16 v2, v2, 0
	s_lshl_b64 s[2:3], s[0:1], 1
	s_waitcnt lgkmcnt(0)
	v_pk_add_f16 v7, v2, v4
	v_mov_b32_e32 v9, 0xa10
	ds_read2_b64 v[2:5], v3 offset1:1
	s_add_u32 s2, s22, s2
	v_mad_u32_u24 v1, v1, 40, v9
	s_waitcnt vmcnt(2)
	ds_read2_b64 v[10:13], v1 offset1:1
	s_addc_u32 s3, s23, s3
	s_lshl_b32 s0, s20, 7
	s_lshl_b64 s[0:1], s[0:1], 1
	s_add_u32 s0, s2, s0
	v_pk_add_f16 v1, v7, v6
	s_addc_u32 s1, s3, s1
	s_lshl_b32 s2, s33, 7
	v_pk_add_f16 v6, v1, v8
	s_waitcnt lgkmcnt(1)
	v_pk_add_f16 v1, v2, 0
	s_mul_i32 s3, s2, s38
	v_pk_add_f16 v1, v1, v4
	v_or_b32_e32 v2, s3, v0
	v_mov_b32_e32 v3, 0
	s_add_i32 s3, s3, s2
	s_waitcnt lgkmcnt(0)
	v_pk_add_f16 v1, v1, v10
	v_lshl_add_u64 v[4:5], v[2:3], 1, s[0:1]
	v_or_b32_e32 v2, s3, v0
	v_pk_add_f16 v7, v1, v12
	v_lshl_add_u64 v[0:1], v[2:3], 1, s[0:1]
	global_store_short v[4:5], v6, off
	global_store_short_d16_hi v[0:1], v6, off
	global_store_short v[4:5], v7, off offset:128
	global_store_short_d16_hi v[0:1], v7, off offset:128
.LBB969_27:
	s_endpgm
	.section	.rodata,"a",@progbits
	.p2align	6, 0x0
	.amdhsa_kernel _Z38paged_attention_ll4mi_QKV_mfma4_kernelIDF16_hLN4vllm18Fp8KVCacheDataTypeE1EDF16_Li16ELi128ELi256ELb1ELi2EEvPKT_PKT0_S7_ifPKiS9_S9_iPKfiiiPfSC_PS2_PT2_iSB_SB_
		.amdhsa_group_segment_fixed_size 5280
		.amdhsa_private_segment_fixed_size 0
		.amdhsa_kernarg_size 400
		.amdhsa_user_sgpr_count 2
		.amdhsa_user_sgpr_dispatch_ptr 0
		.amdhsa_user_sgpr_queue_ptr 0
		.amdhsa_user_sgpr_kernarg_segment_ptr 1
		.amdhsa_user_sgpr_dispatch_id 0
		.amdhsa_user_sgpr_kernarg_preload_length 0
		.amdhsa_user_sgpr_kernarg_preload_offset 0
		.amdhsa_user_sgpr_private_segment_size 0
		.amdhsa_uses_dynamic_stack 0
		.amdhsa_enable_private_segment 0
		.amdhsa_system_sgpr_workgroup_id_x 1
		.amdhsa_system_sgpr_workgroup_id_y 1
		.amdhsa_system_sgpr_workgroup_id_z 1
		.amdhsa_system_sgpr_workgroup_info 0
		.amdhsa_system_vgpr_workitem_id 0
		.amdhsa_next_free_vgpr 60
		.amdhsa_next_free_sgpr 44
		.amdhsa_accum_offset 56
		.amdhsa_reserve_vcc 1
		.amdhsa_float_round_mode_32 0
		.amdhsa_float_round_mode_16_64 0
		.amdhsa_float_denorm_mode_32 3
		.amdhsa_float_denorm_mode_16_64 3
		.amdhsa_dx10_clamp 1
		.amdhsa_ieee_mode 1
		.amdhsa_fp16_overflow 0
		.amdhsa_tg_split 0
		.amdhsa_exception_fp_ieee_invalid_op 0
		.amdhsa_exception_fp_denorm_src 0
		.amdhsa_exception_fp_ieee_div_zero 0
		.amdhsa_exception_fp_ieee_overflow 0
		.amdhsa_exception_fp_ieee_underflow 0
		.amdhsa_exception_fp_ieee_inexact 0
		.amdhsa_exception_int_div_zero 0
	.end_amdhsa_kernel
	.section	.text._Z38paged_attention_ll4mi_QKV_mfma4_kernelIDF16_hLN4vllm18Fp8KVCacheDataTypeE1EDF16_Li16ELi128ELi256ELb1ELi2EEvPKT_PKT0_S7_ifPKiS9_S9_iPKfiiiPfSC_PS2_PT2_iSB_SB_,"axG",@progbits,_Z38paged_attention_ll4mi_QKV_mfma4_kernelIDF16_hLN4vllm18Fp8KVCacheDataTypeE1EDF16_Li16ELi128ELi256ELb1ELi2EEvPKT_PKT0_S7_ifPKiS9_S9_iPKfiiiPfSC_PS2_PT2_iSB_SB_,comdat
.Lfunc_end969:
	.size	_Z38paged_attention_ll4mi_QKV_mfma4_kernelIDF16_hLN4vllm18Fp8KVCacheDataTypeE1EDF16_Li16ELi128ELi256ELb1ELi2EEvPKT_PKT0_S7_ifPKiS9_S9_iPKfiiiPfSC_PS2_PT2_iSB_SB_, .Lfunc_end969-_Z38paged_attention_ll4mi_QKV_mfma4_kernelIDF16_hLN4vllm18Fp8KVCacheDataTypeE1EDF16_Li16ELi128ELi256ELb1ELi2EEvPKT_PKT0_S7_ifPKiS9_S9_iPKfiiiPfSC_PS2_PT2_iSB_SB_
                                        ; -- End function
	.section	.AMDGPU.csdata,"",@progbits
; Kernel info:
; codeLenInByte = 5484
; NumSgprs: 50
; NumVgprs: 56
; NumAgprs: 4
; TotalNumVgprs: 60
; ScratchSize: 0
; MemoryBound: 0
; FloatMode: 240
; IeeeMode: 1
; LDSByteSize: 5280 bytes/workgroup (compile time only)
; SGPRBlocks: 6
; VGPRBlocks: 7
; NumSGPRsForWavesPerEU: 50
; NumVGPRsForWavesPerEU: 60
; AccumOffset: 56
; Occupancy: 8
; WaveLimiterHint : 1
; COMPUTE_PGM_RSRC2:SCRATCH_EN: 0
; COMPUTE_PGM_RSRC2:USER_SGPR: 2
; COMPUTE_PGM_RSRC2:TRAP_HANDLER: 0
; COMPUTE_PGM_RSRC2:TGID_X_EN: 1
; COMPUTE_PGM_RSRC2:TGID_Y_EN: 1
; COMPUTE_PGM_RSRC2:TGID_Z_EN: 1
; COMPUTE_PGM_RSRC2:TIDIG_COMP_CNT: 0
; COMPUTE_PGM_RSRC3_GFX90A:ACCUM_OFFSET: 13
; COMPUTE_PGM_RSRC3_GFX90A:TG_SPLIT: 0
	.section	.text._Z38paged_attention_ll4mi_QKV_mfma4_kernelIDF16_hLN4vllm18Fp8KVCacheDataTypeE1EDF16_Li16ELi128ELi256ELb1ELi3EEvPKT_PKT0_S7_ifPKiS9_S9_iPKfiiiPfSC_PS2_PT2_iSB_SB_,"axG",@progbits,_Z38paged_attention_ll4mi_QKV_mfma4_kernelIDF16_hLN4vllm18Fp8KVCacheDataTypeE1EDF16_Li16ELi128ELi256ELb1ELi3EEvPKT_PKT0_S7_ifPKiS9_S9_iPKfiiiPfSC_PS2_PT2_iSB_SB_,comdat
	.protected	_Z38paged_attention_ll4mi_QKV_mfma4_kernelIDF16_hLN4vllm18Fp8KVCacheDataTypeE1EDF16_Li16ELi128ELi256ELb1ELi3EEvPKT_PKT0_S7_ifPKiS9_S9_iPKfiiiPfSC_PS2_PT2_iSB_SB_ ; -- Begin function _Z38paged_attention_ll4mi_QKV_mfma4_kernelIDF16_hLN4vllm18Fp8KVCacheDataTypeE1EDF16_Li16ELi128ELi256ELb1ELi3EEvPKT_PKT0_S7_ifPKiS9_S9_iPKfiiiPfSC_PS2_PT2_iSB_SB_
	.globl	_Z38paged_attention_ll4mi_QKV_mfma4_kernelIDF16_hLN4vllm18Fp8KVCacheDataTypeE1EDF16_Li16ELi128ELi256ELb1ELi3EEvPKT_PKT0_S7_ifPKiS9_S9_iPKfiiiPfSC_PS2_PT2_iSB_SB_
	.p2align	8
	.type	_Z38paged_attention_ll4mi_QKV_mfma4_kernelIDF16_hLN4vllm18Fp8KVCacheDataTypeE1EDF16_Li16ELi128ELi256ELb1ELi3EEvPKT_PKT0_S7_ifPKiS9_S9_iPKfiiiPfSC_PS2_PT2_iSB_SB_,@function
_Z38paged_attention_ll4mi_QKV_mfma4_kernelIDF16_hLN4vllm18Fp8KVCacheDataTypeE1EDF16_Li16ELi128ELi256ELb1ELi3EEvPKT_PKT0_S7_ifPKiS9_S9_iPKfiiiPfSC_PS2_PT2_iSB_SB_: ; @_Z38paged_attention_ll4mi_QKV_mfma4_kernelIDF16_hLN4vllm18Fp8KVCacheDataTypeE1EDF16_Li16ELi128ELi256ELb1ELi3EEvPKT_PKT0_S7_ifPKiS9_S9_iPKfiiiPfSC_PS2_PT2_iSB_SB_
; %bb.0:
	s_load_dwordx2 s[16:17], s[0:1], 0x30
	s_mov_b32 s20, s3
	s_mov_b64 s[6:7], 0
	s_waitcnt lgkmcnt(0)
	s_cmp_lg_u64 s[16:17], 0
	s_cselect_b64 s[18:19], -1, 0
	s_and_b64 vcc, exec, s[18:19]
	s_cbranch_vccz .LBB970_10
; %bb.1:
	s_add_i32 s8, s2, 1
	s_mov_b32 s9, 0
	s_lshl_b64 s[10:11], s[8:9], 2
	s_add_u32 s10, s16, s10
	s_mov_b32 s3, s9
	s_addc_u32 s11, s17, s11
	s_lshl_b64 s[8:9], s[2:3], 2
	s_add_u32 s8, s16, s8
	s_addc_u32 s9, s17, s9
	s_load_dword s5, s[10:11], 0x0
	s_load_dword s12, s[8:9], 0x0
	s_waitcnt lgkmcnt(0)
	s_sub_i32 s5, s5, s12
	s_cmp_eq_u32 s5, 1
	s_cselect_b64 s[8:9], -1, 0
	s_andn2_b64 vcc, exec, s[6:7]
	s_cbranch_vccnz .LBB970_3
.LBB970_2:
	s_mov_b32 s3, 0
	s_mov_b64 s[8:9], -1
.LBB970_3:
	s_andn2_b64 vcc, exec, s[8:9]
	s_cbranch_vccnz .LBB970_27
; %bb.4:
	s_load_dword s5, s[0:1], 0x9c
	s_load_dwordx2 s[6:7], s[0:1], 0x28
	s_add_u32 s24, s0, 0x90
	s_addc_u32 s25, s1, 0
	s_lshl_b64 s[28:29], s[2:3], 2
	s_waitcnt lgkmcnt(0)
	s_and_b32 s5, s5, 0xffff
	s_add_u32 s6, s6, s28
	s_addc_u32 s7, s7, s29
	s_load_dword s3, s[6:7], 0x0
	s_mul_i32 s5, s20, s5
	s_waitcnt lgkmcnt(0)
	s_cmp_ge_i32 s5, s3
	s_cbranch_scc1 .LBB970_27
; %bb.5:
	v_and_b32_e32 v1, 0xc0, v0
	v_add_u32_e32 v4, s5, v1
	v_lshrrev_b32_e32 v42, 6, v0
	v_cmp_le_i32_e64 s[6:7], s3, v4
                                        ; implicit-def: $sgpr30
                                        ; implicit-def: $sgpr21
	s_and_saveexec_b64 s[8:9], s[6:7]
	s_xor_b64 s[8:9], exec, s[8:9]
	s_cbranch_execz .LBB970_7
; %bb.6:
	v_mul_u32_u24_e32 v1, 20, v42
	v_or_b32_e32 v1, 0x1400, v1
	v_mov_b32_e32 v2, 0x1450
	v_mov_b32_e32 v3, 0xff7fffff
	v_mad_u32_u24 v2, v42, 20, v2
	ds_write2_b32 v1, v3, v3 offset1:1
	v_mov_b32_e32 v1, 0
	ds_write2_b32 v2, v1, v1 offset1:1
	v_mov_b32_e32 v2, 0x1408
	v_mov_b32_e32 v4, 0x1458
	s_mov_b32 s21, 0xff7fffff
	s_mov_b32 s30, 0
	v_mad_u32_u24 v2, v42, 20, v2
	v_mad_u32_u24 v4, v42, 20, v4
	ds_write2_b32 v2, v3, v3 offset1:1
	ds_write2_b32 v4, v1, v1 offset1:1
                                        ; implicit-def: $vgpr4
.LBB970_7:
	s_or_saveexec_b64 s[26:27], s[8:9]
	s_load_dwordx2 s[22:23], s[0:1], 0x68
	s_load_dwordx4 s[12:15], s[0:1], 0x58
	s_load_dword s33, s[24:25], 0x4
	s_load_dwordx4 s[8:11], s[0:1], 0x80
	v_and_b32_e32 v1, 63, v0
	v_and_b32_e32 v43, 3, v0
	s_mul_i32 s38, s4, 3
	v_mov_b32_e32 v37, s30
	v_mov_b32_e32 v39, s21
	;; [unrolled: 1-line block ×5, first 2 shown]
                                        ; implicit-def: $vgpr18_vgpr19
                                        ; implicit-def: $vgpr22_vgpr23
                                        ; implicit-def: $vgpr26_vgpr27
                                        ; implicit-def: $vgpr30_vgpr31
                                        ; implicit-def: $vgpr2_vgpr3
                                        ; implicit-def: $vgpr6_vgpr7
                                        ; implicit-def: $vgpr10_vgpr11
                                        ; implicit-def: $vgpr14_vgpr15
	s_xor_b64 exec, exec, s[26:27]
	s_cbranch_execz .LBB970_19
; %bb.8:
	s_load_dwordx2 s[30:31], s[0:1], 0x20
	s_load_dword s21, s[0:1], 0x38
	s_add_i32 s34, s3, 15
	s_ashr_i32 s35, s34, 31
	s_lshr_b32 s35, s35, 28
	v_add_u32_e32 v44, s5, v0
	s_add_i32 s34, s34, s35
	v_ashrrev_i32_e32 v2, 31, v44
	s_ashr_i32 s34, s34, 4
	v_lshrrev_b32_e32 v2, 28, v2
	s_add_i32 s36, s34, -1
	s_waitcnt lgkmcnt(0)
	s_mul_i32 s34, s2, s21
	s_mov_b32 s35, 0
	v_add_u32_e32 v2, v44, v2
	s_lshl_b64 s[34:35], s[34:35], 2
	v_ashrrev_i32_e32 v2, 4, v2
	v_mov_b32_e32 v3, s36
	v_cmp_gt_i32_e32 vcc, s3, v44
	s_add_u32 s30, s30, s34
	s_addc_u32 s31, s31, s35
	v_cndmask_b32_e32 v2, v3, v2, vcc
	v_ashrrev_i32_e32 v3, 31, v2
	v_lshl_add_u64 v[6:7], v[2:3], 2, s[30:31]
	v_ashrrev_i32_e32 v2, 31, v4
	v_lshrrev_b32_e32 v2, 28, v2
	v_add_u32_e32 v2, v4, v2
	v_ashrrev_i32_e32 v12, 4, v2
	v_min_i32_e32 v2, s36, v12
	v_ashrrev_i32_e32 v3, 31, v2
	v_lshl_add_u64 v[4:5], v[2:3], 2, s[30:31]
	v_add_u32_e32 v2, 1, v12
	v_min_i32_e32 v2, s36, v2
	v_ashrrev_i32_e32 v3, 31, v2
	v_lshl_add_u64 v[8:9], v[2:3], 2, s[30:31]
	v_add_u32_e32 v2, 2, v12
	;; [unrolled: 4-line block ×3, first 2 shown]
	v_min_i32_e32 v2, s36, v2
	v_ashrrev_i32_e32 v3, 31, v2
	v_lshl_add_u64 v[12:13], v[2:3], 2, s[30:31]
	global_load_dword v2, v[6:7], off
	global_load_dword v48, v[4:5], off
	;; [unrolled: 1-line block ×5, first 2 shown]
	s_load_dwordx2 s[30:31], s[0:1], 0x8
	s_andn2_b64 vcc, exec, s[18:19]
	s_cbranch_vccnz .LBB970_11
; %bb.9:
	s_add_u32 s16, s16, s28
	s_addc_u32 s17, s17, s29
	s_load_dword s5, s[16:17], 0x0
	s_branch .LBB970_12
.LBB970_10:
	s_mov_b64 s[8:9], 0
	s_branch .LBB970_2
.LBB970_11:
	s_mov_b32 s5, s2
.LBB970_12:
	s_load_dwordx2 s[28:29], s[0:1], 0x10
	s_load_dwordx4 s[16:19], s[0:1], 0x48
	v_cmp_ne_u32_e32 vcc, 3, v43
	s_mov_b32 s37, 0
	v_mov_b32_e32 v41, 0
	v_mov_b32_e32 v14, 0
	;; [unrolled: 1-line block ×5, first 2 shown]
	s_and_saveexec_b64 s[34:35], vcc
	s_cbranch_execz .LBB970_14
; %bb.13:
	s_load_dwordx2 s[40:41], s[0:1], 0x0
	s_waitcnt lgkmcnt(0)
	s_ashr_i32 s19, s16, 31
	s_mul_hi_u32 s21, s5, s16
	s_mul_i32 s19, s5, s19
	s_add_i32 s43, s21, s19
	s_mul_i32 s42, s5, s16
	s_lshl_b64 s[42:43], s[42:43], 1
	s_add_u32 s5, s40, s42
	s_mul_i32 s36, s4, 0x180
	s_addc_u32 s16, s41, s43
	s_lshl_b64 s[36:37], s[36:37], 1
	v_lshlrev_b32_e32 v3, 2, v1
	s_add_u32 s36, s5, s36
	v_and_b32_e32 v3, 0xf0, v3
	s_addc_u32 s37, s16, s37
	v_lshl_or_b32 v3, v43, 8, v3
	global_load_dwordx4 v[14:17], v3, s[36:37]
.LBB970_14:
	s_or_b64 exec, exec, s[34:35]
	s_waitcnt lgkmcnt(0)
	s_mul_i32 s16, s4, s18
	s_add_u32 s4, s16, s30
	s_addc_u32 s5, 0, s31
	v_mov_b64_e32 v[4:5], s[4:5]
	s_waitcnt vmcnt(4)
	v_mad_i64_i32 v[2:3], s[4:5], v2, s17, v[4:5]
	v_lshlrev_b32_e32 v4, 4, v0
	v_and_b32_e32 v40, 0xf0, v4
	v_lshl_add_u64 v[38:39], v[2:3], 0, v[40:41]
	global_load_dwordx4 v[22:25], v[38:39], off
	global_load_dwordx4 v[18:21], v[38:39], off offset:256
	global_load_dwordx4 v[2:5], v[38:39], off offset:512
	;; [unrolled: 1-line block ×7, first 2 shown]
	v_mov_b32_e32 v39, 1.0
	v_mov_b32_e32 v38, 0
	s_and_saveexec_b64 s[4:5], vcc
	s_cbranch_execz .LBB970_16
; %bb.15:
	s_load_dwordx2 s[18:19], s[0:1], 0x40
	v_add_u32_e32 v38, s38, v43
	v_mov_b32_e32 v39, 0
	s_waitcnt lgkmcnt(0)
	v_lshl_add_u64 v[50:51], v[38:39], 2, s[18:19]
	global_load_dword v38, v[50:51], off
.LBB970_16:
	s_or_b64 exec, exec, s[4:5]
	s_waitcnt vmcnt(11)
	v_mul_hi_i32 v40, v48, s17
	v_ashrrev_i32_e32 v40, 31, v40
	v_lshrrev_b32_e32 v50, 29, v40
	s_waitcnt vmcnt(10)
	v_mul_hi_i32 v40, v47, s17
	v_mov_b32_e32 v51, 0
	v_ashrrev_i32_e32 v40, 31, v40
	v_mad_i64_i32 v[48:49], s[4:5], v48, s17, v[50:51]
	v_lshrrev_b32_e32 v50, 29, v40
	s_waitcnt vmcnt(9)
	v_mul_hi_i32 v40, v46, s17
	v_ashrrev_i32_e32 v40, 31, v40
	v_mad_i64_i32 v[52:53], s[4:5], v47, s17, v[50:51]
	v_lshrrev_b32_e32 v50, 29, v40
	s_waitcnt vmcnt(8)
	v_mul_hi_i32 v40, v45, s17
	v_ashrrev_i32_e32 v40, 31, v40
	v_mad_i64_i32 v[46:47], s[4:5], v46, s17, v[50:51]
	v_lshrrev_b32_e32 v50, 29, v40
	v_mad_i64_i32 v[50:51], s[4:5], v45, s17, v[50:51]
	s_add_u32 s4, s28, s16
	s_addc_u32 s5, s29, 0
	v_and_b32_e32 v48, -8, v48
	v_and_b32_e32 v52, -8, v52
	;; [unrolled: 1-line block ×4, first 2 shown]
	v_lshl_add_u64 v[48:49], s[4:5], 0, v[48:49]
	v_lshlrev_b32_e32 v40, 4, v1
	v_lshl_add_u64 v[52:53], s[4:5], 0, v[52:53]
	v_lshl_add_u64 v[46:47], s[4:5], 0, v[46:47]
	;; [unrolled: 1-line block ×7, first 2 shown]
	s_waitcnt vmcnt(7)
	v_cvt_pk_f32_fp8_e32 v[50:51], v22
	v_cvt_pk_f32_fp8_sdwa v[54:55], v22 src0_sel:WORD_1
	s_load_dword s0, s[0:1], 0x1c
	v_cmp_eq_u32_e32 vcc, 0, v43
	v_cvt_pkrtz_f16_f32 v50, v50, v51
	v_cvt_pkrtz_f16_f32 v51, v54, v55
	s_waitcnt vmcnt(5)
	v_cvt_pk_f32_fp8_sdwa v[54:55], v5 src0_sel:WORD_1
	s_load_dword s1, s[8:9], 0x0
	v_mfma_f32_4x4x4_16b_f16 a[0:3], v[14:15], v[50:51], 0 cbsz:4
	v_cvt_pk_f32_fp8_e32 v[50:51], v23
	v_cvt_pkrtz_f16_f32 v22, v50, v51
	v_cvt_pk_f32_fp8_sdwa v[50:51], v23 src0_sel:WORD_1
	s_nop 0
	v_cvt_pkrtz_f16_f32 v23, v50, v51
	s_nop 1
	v_mfma_f32_4x4x4_16b_f16 a[0:3], v[16:17], v[22:23], a[0:3] cbsz:4
	v_cvt_pk_f32_fp8_e32 v[22:23], v24
	v_cvt_pk_f32_fp8_sdwa v[50:51], v24 src0_sel:WORD_1
	v_cvt_pkrtz_f16_f32 v22, v22, v23
	v_cvt_pkrtz_f16_f32 v23, v50, v51
	v_cvt_pk_f32_fp8_e32 v[50:51], v25
	v_cvt_pk_f32_fp8_sdwa v[24:25], v25 src0_sel:WORD_1
	v_mfma_f32_4x4x4_16b_f16 a[0:3], v[14:15], v[22:23], a[0:3] cbsz:4 abid:1
	v_cvt_pk_f32_fp8_e32 v[22:23], v18
	v_cvt_pkrtz_f16_f32 v50, v50, v51
	v_cvt_pkrtz_f16_f32 v51, v24, v25
	v_cvt_pk_f32_fp8_sdwa v[24:25], v18 src0_sel:WORD_1
	v_cvt_pkrtz_f16_f32 v22, v22, v23
	v_mfma_f32_4x4x4_16b_f16 a[0:3], v[16:17], v[50:51], a[0:3] cbsz:4 abid:1
	v_cvt_pk_f32_fp8_e32 v[50:51], v19
	v_cvt_pk_f32_fp8_sdwa v[18:19], v19 src0_sel:WORD_1
	v_cvt_pkrtz_f16_f32 v23, v24, v25
	v_cvt_pkrtz_f16_f32 v24, v50, v51
	s_nop 0
	v_mfma_f32_4x4x4_16b_f16 a[0:3], v[14:15], v[22:23], a[0:3] cbsz:4 abid:2
	v_cvt_pkrtz_f16_f32 v25, v18, v19
	v_cvt_pk_f32_fp8_e32 v[18:19], v20
	v_cvt_pk_f32_fp8_sdwa v[22:23], v20 src0_sel:WORD_1
	v_mfma_f32_4x4x4_16b_f16 a[0:3], v[16:17], v[24:25], a[0:3] cbsz:4 abid:2
	v_cvt_pk_f32_fp8_e32 v[24:25], v21
	v_cvt_pk_f32_fp8_sdwa v[20:21], v21 src0_sel:WORD_1
	v_cvt_pkrtz_f16_f32 v18, v18, v19
	v_cvt_pkrtz_f16_f32 v19, v22, v23
	;; [unrolled: 1-line block ×4, first 2 shown]
	v_mfma_f32_4x4x4_16b_f16 a[0:3], v[14:15], v[18:19], a[0:3] cbsz:4 abid:3
	v_cvt_pk_f32_fp8_e32 v[18:19], v2
	v_cvt_pk_f32_fp8_sdwa v[20:21], v2 src0_sel:WORD_1
	v_mfma_f32_4x4x4_16b_f16 a[0:3], v[16:17], v[22:23], a[0:3] cbsz:4 abid:3
	v_cvt_pk_f32_fp8_e32 v[22:23], v3
	v_cvt_pk_f32_fp8_sdwa v[24:25], v3 src0_sel:WORD_1
	v_cvt_pkrtz_f16_f32 v2, v18, v19
	v_cvt_pkrtz_f16_f32 v3, v20, v21
	;; [unrolled: 1-line block ×4, first 2 shown]
	v_mfma_f32_4x4x4_16b_f16 a[0:3], v[14:15], v[2:3], a[0:3] cbsz:4 abid:4
	v_cvt_pk_f32_fp8_sdwa v[24:25], v4 src0_sel:WORD_1
	v_cvt_pk_f32_fp8_e32 v[50:51], v5
	v_mfma_f32_4x4x4_16b_f16 a[0:3], v[16:17], v[22:23], a[0:3] cbsz:4 abid:4
	v_cvt_pk_f32_fp8_e32 v[22:23], v4
	global_load_dwordx4 v[18:21], v[48:49], off
	global_load_dwordx4 v[2:5], v[48:49], off offset:1024
	s_waitcnt vmcnt(6)
	v_cvt_pk_f32_fp8_e32 v[48:49], v7
	v_cvt_pkrtz_f16_f32 v22, v22, v23
	v_cvt_pkrtz_f16_f32 v23, v24, v25
	;; [unrolled: 1-line block ×4, first 2 shown]
	v_mfma_f32_4x4x4_16b_f16 a[0:3], v[14:15], v[22:23], a[0:3] cbsz:4 abid:5
	v_cvt_pk_f32_fp8_e32 v[22:23], v6
	s_waitcnt vmcnt(5)
	v_cvt_pk_f32_fp8_sdwa v[50:51], v26 src0_sel:WORD_1
	v_mfma_f32_4x4x4_16b_f16 a[0:3], v[16:17], v[24:25], a[0:3] cbsz:4 abid:5
	v_cvt_pk_f32_fp8_sdwa v[24:25], v6 src0_sel:WORD_1
	v_cvt_pk_f32_fp8_sdwa v[6:7], v7 src0_sel:WORD_1
	v_cvt_pkrtz_f16_f32 v22, v22, v23
	v_cvt_pk_f32_fp8_e32 v[54:55], v27
	v_cvt_pkrtz_f16_f32 v23, v24, v25
	v_cvt_pkrtz_f16_f32 v25, v6, v7
	v_cvt_pk_f32_fp8_e32 v[6:7], v8
	v_mfma_f32_4x4x4_16b_f16 a[0:3], v[14:15], v[22:23], a[0:3] cbsz:4 abid:6
	v_cvt_pk_f32_fp8_sdwa v[22:23], v8 src0_sel:WORD_1
	v_cvt_pkrtz_f16_f32 v24, v48, v49
	v_cvt_pk_f32_fp8_e32 v[48:49], v9
	v_cvt_pk_f32_fp8_sdwa v[8:9], v9 src0_sel:WORD_1
	v_mfma_f32_4x4x4_16b_f16 a[0:3], v[16:17], v[24:25], a[0:3] cbsz:4 abid:6
	v_cvt_pkrtz_f16_f32 v6, v6, v7
	v_cvt_pkrtz_f16_f32 v7, v22, v23
	;; [unrolled: 1-line block ×4, first 2 shown]
	v_mfma_f32_4x4x4_16b_f16 a[0:3], v[14:15], v[6:7], a[0:3] cbsz:4 abid:7
	v_cvt_pk_f32_fp8_e32 v[6:7], v26
	v_cvt_pk_f32_fp8_sdwa v[26:27], v27 src0_sel:WORD_1
	v_mfma_f32_4x4x4_16b_f16 a[0:3], v[16:17], v[48:49], a[0:3] cbsz:4 abid:7
	v_cvt_pkrtz_f16_f32 v49, v50, v51
	v_cvt_pkrtz_f16_f32 v48, v6, v7
	;; [unrolled: 1-line block ×4, first 2 shown]
	v_mfma_f32_4x4x4_16b_f16 a[0:3], v[14:15], v[48:49], a[0:3] cbsz:4 abid:8
	v_cvt_pk_f32_fp8_e32 v[26:27], v28
	v_cvt_pk_f32_fp8_sdwa v[48:49], v28 src0_sel:WORD_1
	v_mfma_f32_4x4x4_16b_f16 a[0:3], v[16:17], v[50:51], a[0:3] cbsz:4 abid:8
	v_cvt_pk_f32_fp8_e32 v[50:51], v29
	v_cvt_pk_f32_fp8_sdwa v[28:29], v29 src0_sel:WORD_1
	v_cvt_pkrtz_f16_f32 v26, v26, v27
	v_cvt_pkrtz_f16_f32 v27, v48, v49
	;; [unrolled: 1-line block ×4, first 2 shown]
	v_mfma_f32_4x4x4_16b_f16 a[0:3], v[14:15], v[26:27], a[0:3] cbsz:4 abid:9
	s_waitcnt vmcnt(4)
	v_cvt_pk_f32_fp8_e32 v[26:27], v10
	v_cvt_pk_f32_fp8_sdwa v[28:29], v10 src0_sel:WORD_1
	v_mfma_f32_4x4x4_16b_f16 a[0:3], v[16:17], v[48:49], a[0:3] cbsz:4 abid:9
	v_cvt_pk_f32_fp8_e32 v[48:49], v11
	v_cvt_pk_f32_fp8_sdwa v[50:51], v11 src0_sel:WORD_1
	v_cvt_pkrtz_f16_f32 v10, v26, v27
	v_cvt_pkrtz_f16_f32 v11, v28, v29
	;; [unrolled: 1-line block ×4, first 2 shown]
	v_mfma_f32_4x4x4_16b_f16 a[0:3], v[14:15], v[10:11], a[0:3] cbsz:4 abid:10
	v_cvt_pk_f32_fp8_sdwa v[50:51], v12 src0_sel:WORD_1
	global_load_dwordx4 v[22:25], v[52:53], off
	global_load_dwordx4 v[6:9], v[52:53], off offset:1024
	v_mfma_f32_4x4x4_16b_f16 a[0:3], v[16:17], v[48:49], a[0:3] cbsz:4 abid:10
	v_cvt_pk_f32_fp8_e32 v[48:49], v12
	v_cvt_pk_f32_fp8_e32 v[52:53], v13
	v_cvt_pk_f32_fp8_sdwa v[54:55], v13 src0_sel:WORD_1
	global_load_dwordx4 v[26:29], v[46:47], off
	global_load_dwordx4 v[10:13], v[46:47], off offset:1024
	v_cvt_pkrtz_f16_f32 v46, v48, v49
	v_cvt_pkrtz_f16_f32 v47, v50, v51
	;; [unrolled: 1-line block ×4, first 2 shown]
	v_mfma_f32_4x4x4_16b_f16 a[0:3], v[14:15], v[46:47], a[0:3] cbsz:4 abid:11
	s_waitcnt vmcnt(7)
	v_cvt_pk_f32_fp8_e32 v[46:47], v34
	v_cvt_pk_f32_fp8_e32 v[50:51], v35
	v_mfma_f32_4x4x4_16b_f16 a[0:3], v[16:17], v[48:49], a[0:3] cbsz:4 abid:11
	v_cvt_pk_f32_fp8_sdwa v[48:49], v34 src0_sel:WORD_1
	v_cvt_pkrtz_f16_f32 v34, v46, v47
	v_cvt_pk_f32_fp8_sdwa v[46:47], v35 src0_sel:WORD_1
	v_cvt_pkrtz_f16_f32 v35, v48, v49
	v_cvt_pkrtz_f16_f32 v48, v50, v51
	s_nop 0
	v_mfma_f32_4x4x4_16b_f16 a[0:3], v[14:15], v[34:35], a[0:3] cbsz:4 abid:12
	v_cvt_pkrtz_f16_f32 v49, v46, v47
	v_cvt_pk_f32_fp8_e32 v[34:35], v36
	v_cvt_pk_f32_fp8_sdwa v[46:47], v36 src0_sel:WORD_1
	v_mfma_f32_4x4x4_16b_f16 a[0:3], v[16:17], v[48:49], a[0:3] cbsz:4 abid:12
	v_cvt_pk_f32_fp8_e32 v[48:49], v37
	v_cvt_pk_f32_fp8_sdwa v[36:37], v37 src0_sel:WORD_1
	v_cvt_pkrtz_f16_f32 v34, v34, v35
	v_cvt_pkrtz_f16_f32 v35, v46, v47
	;; [unrolled: 1-line block ×4, first 2 shown]
	v_mfma_f32_4x4x4_16b_f16 a[0:3], v[14:15], v[34:35], a[0:3] cbsz:4 abid:13
	s_waitcnt vmcnt(6)
	v_cvt_pk_f32_fp8_e32 v[34:35], v30
	v_cvt_pk_f32_fp8_sdwa v[36:37], v30 src0_sel:WORD_1
	v_mfma_f32_4x4x4_16b_f16 a[0:3], v[16:17], v[46:47], a[0:3] cbsz:4 abid:13
	v_cvt_pk_f32_fp8_e32 v[46:47], v31
	v_cvt_pkrtz_f16_f32 v30, v34, v35
	v_cvt_pk_f32_fp8_sdwa v[34:35], v31 src0_sel:WORD_1
	v_cvt_pkrtz_f16_f32 v31, v36, v37
	v_cvt_pkrtz_f16_f32 v36, v46, v47
	;; [unrolled: 1-line block ×3, first 2 shown]
	v_mfma_f32_4x4x4_16b_f16 a[0:3], v[14:15], v[30:31], a[0:3] cbsz:4 abid:14
	v_cvt_pk_f32_fp8_e32 v[30:31], v32
	v_cvt_pk_f32_fp8_sdwa v[34:35], v32 src0_sel:WORD_1
	v_mfma_f32_4x4x4_16b_f16 a[0:3], v[16:17], v[36:37], a[0:3] cbsz:4 abid:14
	v_cvt_pk_f32_fp8_e32 v[36:37], v33
	v_cvt_pk_f32_fp8_sdwa v[32:33], v33 src0_sel:WORD_1
	v_cvt_pkrtz_f16_f32 v30, v30, v31
	v_cvt_pkrtz_f16_f32 v31, v34, v35
	;; [unrolled: 1-line block ×4, first 2 shown]
	v_mfma_f32_4x4x4_16b_f16 a[0:3], v[14:15], v[30:31], a[0:3] cbsz:4 abid:15
	s_waitcnt lgkmcnt(0)
	v_mov_b32_e32 v14, s0
	v_mfma_f32_4x4x4_16b_f16 a[0:3], v[16:17], v[34:35], a[0:3] cbsz:4 abid:15
	v_mul_f32_e32 v16, s1, v14
	s_nop 3
	v_accvgpr_read_b32 v31, a1
	v_accvgpr_read_b32 v30, a0
	v_pk_mul_f32 v[30:31], v[30:31], v[16:17] op_sel_hi:[1,0]
	v_accvgpr_read_b32 v15, a3
	v_accvgpr_read_b32 v14, a2
	v_pk_mul_f32 v[34:35], v[14:15], v[16:17] op_sel_hi:[1,0]
	v_cndmask_b32_e64 v14, 0, 1.0, vcc
	v_cmp_eq_u32_e32 vcc, 1, v43
	s_nop 0
	v_mfma_f32_4x4x1_16b_f32 a[0:3], v30, v14, 0
	v_cndmask_b32_e64 v14, 0, 1.0, vcc
	v_cmp_eq_u32_e32 vcc, 2, v43
	s_nop 0
	v_mfma_f32_4x4x1_16b_f32 a[0:3], v31, v14, a[0:3]
	v_cndmask_b32_e64 v14, 0, 1.0, vcc
	s_nop 1
	v_mfma_f32_4x4x1_16b_f32 a[0:3], v34, v14, a[0:3]
	global_load_dwordx4 v[30:33], v[40:41], off
	global_load_dwordx4 v[14:17], v[40:41], off offset:1024
	v_and_b32_e32 v34, -4, v44
	v_mfma_f32_4x4x1_16b_f32 a[0:3], v35, v39, a[0:3]
	v_subrev_u32_e32 v35, s3, v34
	v_add_u32_e32 v36, 1, v35
	v_cvt_f32_i32_e32 v36, v36
	v_add_u32_e32 v37, 2, v35
	v_cvt_f32_i32_e32 v37, v37
	v_accvgpr_read_b32 v39, a0
	v_fma_f32 v36, v38, v36, v39
	v_accvgpr_read_b32 v39, a1
	v_fma_f32 v37, v38, v37, v39
	v_add_u32_e32 v39, 3, v35
	v_add_u32_e32 v35, 4, v35
	v_cvt_f32_i32_e32 v39, v39
	v_cvt_f32_i32_e32 v35, v35
	v_accvgpr_read_b32 v40, a2
	v_accvgpr_read_b32 v41, a3
	v_fma_f32 v40, v38, v39, v40
	v_fmac_f32_e32 v41, v38, v35
	v_max_f32_e32 v38, 0xff7fffff, v36
	v_mov_b32_e32 v39, 0xff7fffff
	v_cmp_gt_i32_e32 vcc, s3, v34
	v_lshlrev_b32_e32 v35, 2, v0
	v_and_or_b32 v35, v35, 48, v43
	v_cndmask_b32_e32 v38, v39, v38, vcc
	v_or_b32_e32 v39, 1, v34
	v_max_f32_e32 v45, v38, v37
	v_cmp_gt_i32_e64 s[0:1], s3, v39
	v_or_b32_e32 v34, 2, v34
	v_cmp_gt_i32_e64 s[4:5], s3, v34
	v_cndmask_b32_e64 v38, v38, v45, s[0:1]
	v_max_f32_e32 v39, v38, v40
	v_cndmask_b32_e64 v34, v38, v39, s[4:5]
	v_or_b32_e32 v38, 3, v44
	v_max_f32_e32 v39, v34, v41
	v_cmp_gt_i32_e64 s[8:9], s3, v38
	v_lshlrev_b32_e32 v38, 2, v35
	s_nop 0
	v_cndmask_b32_e64 v34, v34, v39, s[8:9]
	;;#ASMSTART
	v_nop
 v_nop
 v_max_f32_dpp v34, v34, v34 row_ror:4
	;;#ASMEND
	s_nop 0
	;;#ASMSTART
	v_nop
 v_nop
 v_max_f32_dpp v34, v34, v34 row_ror:8
	;;#ASMEND
	ds_bpermute_b32 v34, v38, v34
	s_waitcnt lgkmcnt(0)
	;;#ASMSTART
	v_nop
 v_nop
 v_max_f32_dpp v34, v34, v34 row_ror:4
	;;#ASMEND
	s_nop 0
	;;#ASMSTART
	v_nop
 v_nop
 v_max_f32_dpp v39, v34, v34 row_ror:8
	;;#ASMEND
	s_nop 0
	v_sub_f32_e32 v34, v36, v39
	v_mul_f32_e32 v34, 0x3fb8aa3b, v34
	v_sub_f32_e32 v35, v37, v39
	v_exp_f32_e32 v34, v34
	v_mul_f32_e32 v35, 0x3fb8aa3b, v35
	v_sub_f32_e32 v37, v40, v39
	v_exp_f32_e32 v35, v35
	;; [unrolled: 3-line block ×3, first 2 shown]
	v_mul_f32_e32 v40, 0x3fb8aa3b, v40
	v_exp_f32_e32 v40, v40
	v_cndmask_b32_e32 v34, 0, v34, vcc
	v_add_f32_e32 v36, 0, v34
	v_cndmask_b32_e64 v35, 0, v35, s[0:1]
	v_add_f32_e32 v41, v36, v35
	v_cndmask_b32_e64 v36, 0, v37, s[4:5]
	;; [unrolled: 2-line block ×3, first 2 shown]
	v_add_f32_e32 v40, v41, v37
	;;#ASMSTART
	v_nop
 v_nop
 v_add_f32_dpp v40, v40, v40 row_ror:4
	;;#ASMEND
	v_cmp_gt_u32_e32 vcc, 4, v1
	;;#ASMSTART
	v_nop
 v_nop
 v_add_f32_dpp v40, v40, v40 row_ror:8
	;;#ASMEND
	ds_bpermute_b32 v38, v38, v40
	s_waitcnt lgkmcnt(0)
	;;#ASMSTART
	v_nop
 v_nop
 v_add_f32_dpp v38, v38, v38 row_ror:4
	;;#ASMEND
	s_nop 0
	;;#ASMSTART
	v_nop
 v_nop
 v_add_f32_dpp v38, v38, v38 row_ror:8
	;;#ASMEND
	s_and_saveexec_b64 s[0:1], vcc
	s_cbranch_execz .LBB970_18
; %bb.17:
	v_mul_u32_u24_e32 v40, 20, v42
	v_lshl_add_u32 v40, v43, 2, v40
	v_add_u32_e32 v40, 0x1400, v40
	ds_write2_b32 v40, v39, v38 offset1:20
.LBB970_18:
	s_or_b64 exec, exec, s[0:1]
.LBB970_19:
	s_or_b64 exec, exec, s[26:27]
	s_waitcnt lgkmcnt(0)
	s_barrier
	s_load_dword s0, s[24:25], 0x8
	v_lshlrev_b32_e32 v38, 2, v43
	v_add_u32_e32 v38, 0x1400, v38
	ds_read2_b32 v[44:45], v38 offset1:5
	ds_read2_b32 v[46:47], v38 offset0:10 offset1:15
	s_mul_i32 s1, s2, s33
	s_waitcnt lgkmcnt(0)
	s_mul_i32 s0, s1, s0
	s_mov_b32 s1, 0xff7fffff
	v_max3_f32 v40, v44, s1, v45
	v_max3_f32 v40, v40, v46, v47
	v_sub_f32_e32 v41, v44, v40
	v_sub_f32_e32 v44, v45, v40
	ds_read2_b32 v[48:49], v38 offset0:20 offset1:25
	v_mul_f32_e32 v41, 0x3fb8aa3b, v41
	v_mul_f32_e32 v44, 0x3fb8aa3b, v44
	v_exp_f32_e32 v41, v41
	v_exp_f32_e32 v50, v44
	ds_read2_b32 v[44:45], v38 offset0:30 offset1:35
	v_sub_f32_e32 v38, v46, v40
	v_mul_f32_e32 v38, 0x3fb8aa3b, v38
	v_sub_f32_e32 v46, v47, v40
	v_exp_f32_e32 v38, v38
	v_mul_f32_e32 v46, 0x3fb8aa3b, v46
	v_exp_f32_e32 v46, v46
	s_waitcnt lgkmcnt(1)
	v_fma_f32 v41, v41, v48, 0
	v_fmac_f32_e32 v41, v50, v49
	s_waitcnt lgkmcnt(0)
	v_fmac_f32_e32 v41, v38, v44
	s_mul_i32 s0, s0, 3
	v_fmac_f32_e32 v41, v46, v45
	v_cmp_ne_u32_e32 vcc, 3, v43
	s_and_saveexec_b64 s[2:3], vcc
	s_cbranch_execz .LBB970_21
; %bb.20:
	s_mov_b32 s1, 0
	s_lshl_b64 s[4:5], s[0:1], 2
	s_add_u32 s12, s12, s4
	s_mov_b32 s21, s1
	s_addc_u32 s13, s13, s5
	s_lshl_b64 s[8:9], s[20:21], 2
	s_add_u32 s12, s12, s8
	s_addc_u32 s13, s13, s9
	s_add_u32 s1, s14, s4
	s_addc_u32 s5, s15, s5
	v_add_u32_e32 v38, s38, v43
	s_add_u32 s4, s1, s8
	v_mul_lo_u32 v44, s33, v38
	v_mov_b32_e32 v45, 0
	s_addc_u32 s5, s5, s9
	v_lshlrev_b64 v[44:45], 2, v[44:45]
	v_lshl_add_u64 v[46:47], s[12:13], 0, v[44:45]
	v_lshl_add_u64 v[44:45], s[4:5], 0, v[44:45]
	global_store_dword v[44:45], v40, off
	global_store_dword v[46:47], v41, off
.LBB970_21:
	s_or_b64 exec, exec, s[2:3]
	v_lshlrev_b32_e32 v38, 3, v42
	s_and_saveexec_b64 s[2:3], s[6:7]
	s_xor_b64 s[2:3], exec, s[2:3]
	s_cbranch_execz .LBB970_23
; %bb.22:
	s_mov_b32 s4, 0
	s_mov_b32 s5, s4
	s_waitcnt vmcnt(6)
	v_mad_u32_u24 v4, v1, 40, v38
	v_mov_b64_e32 v[2:3], s[4:5]
	ds_write2st64_b64 v4, v[2:3], v[2:3] offset1:5
                                        ; implicit-def: $vgpr37
                                        ; implicit-def: $vgpr35
                                        ; implicit-def: $vgpr39
                                        ; implicit-def: $vgpr18_vgpr19
                                        ; implicit-def: $vgpr22_vgpr23
                                        ; implicit-def: $vgpr26_vgpr27
                                        ; implicit-def: $vgpr30_vgpr31
                                        ; implicit-def: $vgpr2_vgpr3
                                        ; implicit-def: $vgpr6_vgpr7
                                        ; implicit-def: $vgpr10_vgpr11
                                        ; implicit-def: $vgpr14_vgpr15
                                        ; implicit-def: $vgpr40
                                        ; implicit-def: $vgpr41
                                        ; implicit-def: $vgpr38
.LBB970_23:
	s_andn2_saveexec_b64 s[2:3], s[2:3]
	s_cbranch_execz .LBB970_25
; %bb.24:
	v_add_f32_e32 v41, 0x358637bd, v41
	v_div_scale_f32 v42, s[4:5], v41, v41, 1.0
	v_rcp_f32_e32 v43, v42
	v_sub_f32_e32 v39, v39, v40
	v_mul_f32_e32 v39, 0x3fb8aa3b, v39
	v_exp_f32_e32 v39, v39
	v_fma_f32 v40, -v42, v43, 1.0
	v_fmac_f32_e32 v43, v40, v43
	v_div_scale_f32 v40, vcc, 1.0, v41, 1.0
	v_mul_f32_e32 v44, v40, v43
	v_fma_f32 v45, -v42, v44, v40
	v_fmac_f32_e32 v44, v45, v43
	v_fma_f32 v40, -v42, v44, v40
	v_div_fmas_f32 v40, v40, v43, v44
	v_div_fixup_f32 v40, v40, v41, 1.0
	v_mul_f32_e32 v40, v39, v40
	v_pk_mul_f32 v[36:37], v[36:37], v[40:41] op_sel_hi:[1,0]
	v_pk_mul_f32 v[34:35], v[34:35], v[40:41] op_sel_hi:[1,0]
	v_cvt_f16_f32_e32 v36, v36
	v_cvt_f16_f32_e32 v34, v34
	;; [unrolled: 1-line block ×4, first 2 shown]
	s_waitcnt vmcnt(7)
	v_cvt_pk_f32_fp8_sdwa v[40:41], v18 src0_sel:WORD_1
	v_cvt_pk_f32_fp8_e32 v[42:43], v19
	v_pack_b32_f16 v34, v34, v35
	v_pack_b32_f16 v35, v36, v37
	v_cvt_pk_f32_fp8_e32 v[36:37], v18
	v_cvt_pk_f32_fp8_sdwa v[18:19], v19 src0_sel:WORD_1
	s_load_dword s4, s[10:11], 0x0
	v_cvt_pkrtz_f16_f32 v36, v36, v37
	v_cvt_pkrtz_f16_f32 v37, v40, v41
	;; [unrolled: 1-line block ×4, first 2 shown]
	v_mfma_f32_4x4x4_16b_f16 a[0:3], v[34:35], v[36:37], 0 cbsz:4
	v_cvt_pk_f32_fp8_e32 v[18:19], v20
	v_cvt_pk_f32_fp8_sdwa v[36:37], v20 src0_sel:WORD_1
	v_mfma_f32_4x4x4_16b_f16 a[0:3], v[34:35], v[40:41], a[0:3] cbsz:4 abid:1
	v_cvt_pk_f32_fp8_e32 v[40:41], v21
	v_cvt_pk_f32_fp8_sdwa v[20:21], v21 src0_sel:WORD_1
	v_cvt_pkrtz_f16_f32 v18, v18, v19
	v_cvt_pkrtz_f16_f32 v19, v36, v37
	v_cvt_pkrtz_f16_f32 v36, v40, v41
	v_cvt_pkrtz_f16_f32 v37, v20, v21
	v_mfma_f32_4x4x4_16b_f16 a[0:3], v[34:35], v[18:19], a[0:3] cbsz:4 abid:2
	s_waitcnt vmcnt(5)
	v_cvt_pk_f32_fp8_e32 v[18:19], v22
	v_cvt_pk_f32_fp8_sdwa v[20:21], v22 src0_sel:WORD_1
	v_mfma_f32_4x4x4_16b_f16 a[0:3], v[34:35], v[36:37], a[0:3] cbsz:4 abid:3
	v_cvt_pk_f32_fp8_e32 v[36:37], v23
	v_cvt_pk_f32_fp8_sdwa v[22:23], v23 src0_sel:WORD_1
	v_cvt_pkrtz_f16_f32 v18, v18, v19
	v_cvt_pkrtz_f16_f32 v19, v20, v21
	;; [unrolled: 1-line block ×4, first 2 shown]
	v_mfma_f32_4x4x4_16b_f16 a[0:3], v[34:35], v[18:19], a[0:3] cbsz:4 abid:4
	v_cvt_pk_f32_fp8_e32 v[18:19], v24
	v_cvt_pk_f32_fp8_e32 v[22:23], v25
	v_mfma_f32_4x4x4_16b_f16 a[0:3], v[34:35], v[20:21], a[0:3] cbsz:4 abid:5
	v_cvt_pk_f32_fp8_sdwa v[20:21], v24 src0_sel:WORD_1
	v_cvt_pk_f32_fp8_sdwa v[24:25], v25 src0_sel:WORD_1
	v_cvt_pkrtz_f16_f32 v18, v18, v19
	v_cvt_pkrtz_f16_f32 v19, v20, v21
	;; [unrolled: 1-line block ×3, first 2 shown]
	s_nop 0
	v_mfma_f32_4x4x4_16b_f16 a[0:3], v[34:35], v[18:19], a[0:3] cbsz:4 abid:6
	v_cvt_pkrtz_f16_f32 v21, v24, v25
	s_waitcnt vmcnt(3)
	v_cvt_pk_f32_fp8_e32 v[18:19], v26
	v_cvt_pk_f32_fp8_e32 v[22:23], v27
	v_mfma_f32_4x4x4_16b_f16 a[0:3], v[34:35], v[20:21], a[0:3] cbsz:4 abid:7
	v_cvt_pk_f32_fp8_sdwa v[20:21], v26 src0_sel:WORD_1
	v_cvt_pk_f32_fp8_sdwa v[24:25], v27 src0_sel:WORD_1
	v_cvt_pkrtz_f16_f32 v18, v18, v19
	v_cvt_pkrtz_f16_f32 v19, v20, v21
	;; [unrolled: 1-line block ×3, first 2 shown]
	s_nop 0
	v_mfma_f32_4x4x4_16b_f16 a[0:3], v[34:35], v[18:19], a[0:3] cbsz:4 abid:8
	v_cvt_pkrtz_f16_f32 v21, v24, v25
	v_cvt_pk_f32_fp8_e32 v[18:19], v28
	v_cvt_pk_f32_fp8_e32 v[22:23], v29
	v_mfma_f32_4x4x4_16b_f16 a[0:3], v[34:35], v[20:21], a[0:3] cbsz:4 abid:9
	v_cvt_pk_f32_fp8_sdwa v[20:21], v28 src0_sel:WORD_1
	v_cvt_pk_f32_fp8_sdwa v[24:25], v29 src0_sel:WORD_1
	v_cvt_pkrtz_f16_f32 v18, v18, v19
	v_cvt_pkrtz_f16_f32 v19, v20, v21
	;; [unrolled: 1-line block ×3, first 2 shown]
	s_nop 0
	v_mfma_f32_4x4x4_16b_f16 a[0:3], v[34:35], v[18:19], a[0:3] cbsz:4 abid:10
	v_cvt_pkrtz_f16_f32 v21, v24, v25
	s_waitcnt vmcnt(1)
	v_cvt_pk_f32_fp8_e32 v[18:19], v30
	v_cvt_pk_f32_fp8_e32 v[22:23], v31
	v_mfma_f32_4x4x4_16b_f16 a[0:3], v[34:35], v[20:21], a[0:3] cbsz:4 abid:11
	v_cvt_pk_f32_fp8_sdwa v[20:21], v30 src0_sel:WORD_1
	v_cvt_pk_f32_fp8_sdwa v[24:25], v31 src0_sel:WORD_1
	v_cvt_pkrtz_f16_f32 v18, v18, v19
	v_cvt_pkrtz_f16_f32 v19, v20, v21
	;; [unrolled: 1-line block ×3, first 2 shown]
	s_nop 0
	v_mfma_f32_4x4x4_16b_f16 a[0:3], v[34:35], v[18:19], a[0:3] cbsz:4 abid:12
	v_cvt_pkrtz_f16_f32 v21, v24, v25
	v_cvt_pk_f32_fp8_e32 v[18:19], v32
	v_cvt_pk_f32_fp8_e32 v[22:23], v33
	v_mfma_f32_4x4x4_16b_f16 a[0:3], v[34:35], v[20:21], a[0:3] cbsz:4 abid:13
	v_cvt_pk_f32_fp8_sdwa v[20:21], v32 src0_sel:WORD_1
	v_cvt_pk_f32_fp8_sdwa v[24:25], v33 src0_sel:WORD_1
	v_cvt_pkrtz_f16_f32 v18, v18, v19
	v_cvt_pkrtz_f16_f32 v19, v20, v21
	;; [unrolled: 1-line block ×3, first 2 shown]
	s_nop 0
	v_mfma_f32_4x4x4_16b_f16 a[0:3], v[34:35], v[18:19], a[0:3] cbsz:4 abid:14
	v_cvt_pkrtz_f16_f32 v21, v24, v25
	v_cvt_pk_f32_fp8_sdwa v[22:23], v2 src0_sel:WORD_1
	v_cvt_pk_f32_fp8_e32 v[24:25], v3
	v_mfma_f32_4x4x4_16b_f16 a[0:3], v[34:35], v[20:21], a[0:3] cbsz:4 abid:15
	s_nop 4
	v_accvgpr_read_b32 v19, a1
	v_accvgpr_read_b32 v18, a0
	s_waitcnt lgkmcnt(0)
	v_pk_mul_f32 v[18:19], v[18:19], s[4:5] op_sel_hi:[1,0]
	s_nop 0
	v_cvt_f16_f32_e32 v20, v18
	v_cvt_f16_f32_e32 v21, v19
	v_accvgpr_read_b32 v19, a3
	v_accvgpr_read_b32 v18, a2
	v_pk_mul_f32 v[18:19], v[18:19], s[4:5] op_sel_hi:[1,0]
	v_pack_b32_f16 v20, v20, v21
	v_cvt_f16_f32_e32 v21, v18
	v_cvt_f16_f32_e32 v26, v19
	v_cvt_pk_f32_fp8_e32 v[18:19], v2
	v_cvt_pk_f32_fp8_sdwa v[2:3], v3 src0_sel:WORD_1
	v_pack_b32_f16 v21, v21, v26
	v_cvt_pkrtz_f16_f32 v18, v18, v19
	v_cvt_pkrtz_f16_f32 v19, v22, v23
	v_cvt_pkrtz_f16_f32 v22, v24, v25
	v_cvt_pkrtz_f16_f32 v23, v2, v3
	v_mfma_f32_4x4x4_16b_f16 a[0:3], v[34:35], v[18:19], 0 cbsz:4
	v_cvt_pk_f32_fp8_e32 v[2:3], v4
	v_cvt_pk_f32_fp8_sdwa v[18:19], v4 src0_sel:WORD_1
	v_mfma_f32_4x4x4_16b_f16 a[0:3], v[34:35], v[22:23], a[0:3] cbsz:4 abid:1
	v_cvt_pk_f32_fp8_e32 v[22:23], v5
	v_cvt_pk_f32_fp8_sdwa v[4:5], v5 src0_sel:WORD_1
	v_cvt_pkrtz_f16_f32 v2, v2, v3
	v_cvt_pkrtz_f16_f32 v3, v18, v19
	v_cvt_pkrtz_f16_f32 v18, v22, v23
	v_cvt_pkrtz_f16_f32 v19, v4, v5
	v_mfma_f32_4x4x4_16b_f16 a[0:3], v[34:35], v[2:3], a[0:3] cbsz:4 abid:2
	v_cvt_pk_f32_fp8_e32 v[2:3], v6
	v_cvt_pk_f32_fp8_sdwa v[4:5], v6 src0_sel:WORD_1
	v_mfma_f32_4x4x4_16b_f16 a[0:3], v[34:35], v[18:19], a[0:3] cbsz:4 abid:3
	v_cvt_pk_f32_fp8_e32 v[18:19], v7
	v_cvt_pk_f32_fp8_sdwa v[6:7], v7 src0_sel:WORD_1
	v_cvt_pkrtz_f16_f32 v2, v2, v3
	v_cvt_pkrtz_f16_f32 v3, v4, v5
	;; [unrolled: 1-line block ×4, first 2 shown]
	v_mfma_f32_4x4x4_16b_f16 a[0:3], v[34:35], v[2:3], a[0:3] cbsz:4 abid:4
	v_cvt_pk_f32_fp8_e32 v[2:3], v8
	v_cvt_pk_f32_fp8_e32 v[6:7], v9
	v_mfma_f32_4x4x4_16b_f16 a[0:3], v[34:35], v[4:5], a[0:3] cbsz:4 abid:5
	v_cvt_pk_f32_fp8_sdwa v[4:5], v8 src0_sel:WORD_1
	v_cvt_pk_f32_fp8_sdwa v[8:9], v9 src0_sel:WORD_1
	v_cvt_pkrtz_f16_f32 v2, v2, v3
	v_cvt_pkrtz_f16_f32 v3, v4, v5
	v_cvt_pkrtz_f16_f32 v4, v6, v7
	s_nop 0
	v_mfma_f32_4x4x4_16b_f16 a[0:3], v[34:35], v[2:3], a[0:3] cbsz:4 abid:6
	v_cvt_pkrtz_f16_f32 v5, v8, v9
	v_cvt_pk_f32_fp8_e32 v[2:3], v10
	v_cvt_pk_f32_fp8_e32 v[6:7], v11
	v_mfma_f32_4x4x4_16b_f16 a[0:3], v[34:35], v[4:5], a[0:3] cbsz:4 abid:7
	v_cvt_pk_f32_fp8_sdwa v[4:5], v10 src0_sel:WORD_1
	v_cvt_pk_f32_fp8_sdwa v[8:9], v11 src0_sel:WORD_1
	v_cvt_pkrtz_f16_f32 v2, v2, v3
	v_cvt_pkrtz_f16_f32 v3, v4, v5
	v_cvt_pkrtz_f16_f32 v4, v6, v7
	s_nop 0
	v_mfma_f32_4x4x4_16b_f16 a[0:3], v[34:35], v[2:3], a[0:3] cbsz:4 abid:8
	v_cvt_pkrtz_f16_f32 v5, v8, v9
	;; [unrolled: 11-line block ×3, first 2 shown]
	s_waitcnt vmcnt(0)
	v_cvt_pk_f32_fp8_e32 v[2:3], v14
	v_cvt_pk_f32_fp8_e32 v[6:7], v15
	v_mfma_f32_4x4x4_16b_f16 a[0:3], v[34:35], v[4:5], a[0:3] cbsz:4 abid:11
	v_cvt_pk_f32_fp8_sdwa v[4:5], v14 src0_sel:WORD_1
	v_cvt_pk_f32_fp8_sdwa v[8:9], v15 src0_sel:WORD_1
	v_cvt_pkrtz_f16_f32 v2, v2, v3
	v_cvt_pkrtz_f16_f32 v3, v4, v5
	;; [unrolled: 1-line block ×3, first 2 shown]
	s_nop 0
	v_mfma_f32_4x4x4_16b_f16 a[0:3], v[34:35], v[2:3], a[0:3] cbsz:4 abid:12
	v_cvt_pkrtz_f16_f32 v5, v8, v9
	v_cvt_pk_f32_fp8_e32 v[2:3], v16
	v_cvt_pk_f32_fp8_e32 v[6:7], v17
	v_mfma_f32_4x4x4_16b_f16 a[0:3], v[34:35], v[4:5], a[0:3] cbsz:4 abid:13
	v_cvt_pk_f32_fp8_sdwa v[4:5], v16 src0_sel:WORD_1
	v_cvt_pk_f32_fp8_sdwa v[8:9], v17 src0_sel:WORD_1
	v_cvt_pkrtz_f16_f32 v2, v2, v3
	v_cvt_pkrtz_f16_f32 v3, v4, v5
	;; [unrolled: 1-line block ×3, first 2 shown]
	s_nop 0
	v_mfma_f32_4x4x4_16b_f16 a[0:3], v[34:35], v[2:3], a[0:3] cbsz:4 abid:14
	v_cvt_pkrtz_f16_f32 v5, v8, v9
	v_mad_u32_u24 v7, v1, 40, v38
	s_nop 0
	v_mfma_f32_4x4x4_16b_f16 a[0:3], v[34:35], v[4:5], a[0:3] cbsz:4 abid:15
	s_nop 4
	v_accvgpr_read_b32 v5, a1
	v_accvgpr_read_b32 v3, a3
	;; [unrolled: 1-line block ×4, first 2 shown]
	v_pk_mul_f32 v[2:3], v[2:3], s[4:5] op_sel_hi:[1,0]
	v_pk_mul_f32 v[4:5], v[4:5], s[4:5] op_sel_hi:[1,0]
	v_cvt_f16_f32_e32 v6, v2
	v_cvt_f16_f32_e32 v4, v4
	;; [unrolled: 1-line block ×4, first 2 shown]
	v_pack_b32_f16 v2, v4, v5
	v_pack_b32_f16 v3, v6, v3
	ds_write2st64_b64 v7, v[20:21], v[2:3] offset1:5
.LBB970_25:
	s_or_b64 exec, exec, s[2:3]
	v_cmp_gt_u32_e32 vcc, 64, v0
	s_waitcnt lgkmcnt(0)
	s_barrier
	s_and_saveexec_b64 s[2:3], vcc
	s_cbranch_execz .LBB970_27
; %bb.26:
	s_waitcnt vmcnt(4)
	v_mul_u32_u24_e32 v6, 40, v1
	ds_read2_b64 v[2:5], v6 offset1:1
	ds_read2_b64 v[6:9], v6 offset0:2 offset1:3
	s_mov_b32 s1, 0
	s_lshl_b32 s0, s0, 7
	s_lshl_b64 s[2:3], s[0:1], 1
	s_waitcnt lgkmcnt(1)
	v_pk_add_f16 v2, v2, 0
	v_pk_add_f16 v3, v3, 0
	;; [unrolled: 1-line block ×4, first 2 shown]
	s_waitcnt lgkmcnt(0)
	v_pk_add_f16 v2, v2, v6
	v_pk_add_f16 v6, v3, v7
	s_waitcnt vmcnt(2)
	v_pk_add_f16 v10, v2, v8
	v_mov_b32_e32 v2, 0xa00
	v_mad_u32_u24 v2, v1, 40, v2
	ds_read2_b64 v[2:5], v2 offset1:1
	v_pk_add_f16 v11, v6, v9
	v_mov_b32_e32 v6, 0xa10
	v_mad_u32_u24 v1, v1, 40, v6
	ds_read2_b64 v[6:9], v1 offset1:1
	s_add_u32 s2, s22, s2
	s_addc_u32 s3, s23, s3
	s_lshl_b32 s0, s20, 7
	s_lshl_b64 s[0:1], s[0:1], 1
	s_waitcnt lgkmcnt(1)
	v_pk_add_f16 v1, v2, 0
	v_pk_add_f16 v2, v3, 0
	s_add_u32 s0, s2, s0
	v_pk_add_f16 v2, v2, v5
	s_addc_u32 s1, s3, s1
	s_lshl_b32 s2, s33, 7
	s_waitcnt lgkmcnt(0)
	v_pk_add_f16 v2, v2, v7
	s_mul_i32 s3, s2, s38
	v_pk_add_f16 v9, v2, v9
	v_or_b32_e32 v2, s3, v0
	v_mov_b32_e32 v3, 0
	s_add_i32 s3, s3, s2
	v_pk_add_f16 v1, v1, v4
	v_lshl_add_u64 v[4:5], v[2:3], 1, s[0:1]
	v_or_b32_e32 v2, s3, v0
	s_add_i32 s3, s3, s2
	v_pk_add_f16 v1, v1, v6
	v_lshl_add_u64 v[6:7], v[2:3], 1, s[0:1]
	v_or_b32_e32 v2, s3, v0
	v_pk_add_f16 v8, v1, v8
	v_lshl_add_u64 v[0:1], v[2:3], 1, s[0:1]
	global_store_short v[4:5], v10, off
	global_store_short_d16_hi v[6:7], v10, off
	global_store_short v[0:1], v11, off
	global_store_short v[4:5], v8, off offset:128
	global_store_short_d16_hi v[6:7], v8, off offset:128
	global_store_short v[0:1], v9, off offset:128
.LBB970_27:
	s_endpgm
	.section	.rodata,"a",@progbits
	.p2align	6, 0x0
	.amdhsa_kernel _Z38paged_attention_ll4mi_QKV_mfma4_kernelIDF16_hLN4vllm18Fp8KVCacheDataTypeE1EDF16_Li16ELi128ELi256ELb1ELi3EEvPKT_PKT0_S7_ifPKiS9_S9_iPKfiiiPfSC_PS2_PT2_iSB_SB_
		.amdhsa_group_segment_fixed_size 5280
		.amdhsa_private_segment_fixed_size 0
		.amdhsa_kernarg_size 400
		.amdhsa_user_sgpr_count 2
		.amdhsa_user_sgpr_dispatch_ptr 0
		.amdhsa_user_sgpr_queue_ptr 0
		.amdhsa_user_sgpr_kernarg_segment_ptr 1
		.amdhsa_user_sgpr_dispatch_id 0
		.amdhsa_user_sgpr_kernarg_preload_length 0
		.amdhsa_user_sgpr_kernarg_preload_offset 0
		.amdhsa_user_sgpr_private_segment_size 0
		.amdhsa_uses_dynamic_stack 0
		.amdhsa_enable_private_segment 0
		.amdhsa_system_sgpr_workgroup_id_x 1
		.amdhsa_system_sgpr_workgroup_id_y 1
		.amdhsa_system_sgpr_workgroup_id_z 1
		.amdhsa_system_sgpr_workgroup_info 0
		.amdhsa_system_vgpr_workitem_id 0
		.amdhsa_next_free_vgpr 60
		.amdhsa_next_free_sgpr 44
		.amdhsa_accum_offset 56
		.amdhsa_reserve_vcc 1
		.amdhsa_float_round_mode_32 0
		.amdhsa_float_round_mode_16_64 0
		.amdhsa_float_denorm_mode_32 3
		.amdhsa_float_denorm_mode_16_64 3
		.amdhsa_dx10_clamp 1
		.amdhsa_ieee_mode 1
		.amdhsa_fp16_overflow 0
		.amdhsa_tg_split 0
		.amdhsa_exception_fp_ieee_invalid_op 0
		.amdhsa_exception_fp_denorm_src 0
		.amdhsa_exception_fp_ieee_div_zero 0
		.amdhsa_exception_fp_ieee_overflow 0
		.amdhsa_exception_fp_ieee_underflow 0
		.amdhsa_exception_fp_ieee_inexact 0
		.amdhsa_exception_int_div_zero 0
	.end_amdhsa_kernel
	.section	.text._Z38paged_attention_ll4mi_QKV_mfma4_kernelIDF16_hLN4vllm18Fp8KVCacheDataTypeE1EDF16_Li16ELi128ELi256ELb1ELi3EEvPKT_PKT0_S7_ifPKiS9_S9_iPKfiiiPfSC_PS2_PT2_iSB_SB_,"axG",@progbits,_Z38paged_attention_ll4mi_QKV_mfma4_kernelIDF16_hLN4vllm18Fp8KVCacheDataTypeE1EDF16_Li16ELi128ELi256ELb1ELi3EEvPKT_PKT0_S7_ifPKiS9_S9_iPKfiiiPfSC_PS2_PT2_iSB_SB_,comdat
.Lfunc_end970:
	.size	_Z38paged_attention_ll4mi_QKV_mfma4_kernelIDF16_hLN4vllm18Fp8KVCacheDataTypeE1EDF16_Li16ELi128ELi256ELb1ELi3EEvPKT_PKT0_S7_ifPKiS9_S9_iPKfiiiPfSC_PS2_PT2_iSB_SB_, .Lfunc_end970-_Z38paged_attention_ll4mi_QKV_mfma4_kernelIDF16_hLN4vllm18Fp8KVCacheDataTypeE1EDF16_Li16ELi128ELi256ELb1ELi3EEvPKT_PKT0_S7_ifPKiS9_S9_iPKfiiiPfSC_PS2_PT2_iSB_SB_
                                        ; -- End function
	.section	.AMDGPU.csdata,"",@progbits
; Kernel info:
; codeLenInByte = 5592
; NumSgprs: 50
; NumVgprs: 56
; NumAgprs: 4
; TotalNumVgprs: 60
; ScratchSize: 0
; MemoryBound: 0
; FloatMode: 240
; IeeeMode: 1
; LDSByteSize: 5280 bytes/workgroup (compile time only)
; SGPRBlocks: 6
; VGPRBlocks: 7
; NumSGPRsForWavesPerEU: 50
; NumVGPRsForWavesPerEU: 60
; AccumOffset: 56
; Occupancy: 8
; WaveLimiterHint : 1
; COMPUTE_PGM_RSRC2:SCRATCH_EN: 0
; COMPUTE_PGM_RSRC2:USER_SGPR: 2
; COMPUTE_PGM_RSRC2:TRAP_HANDLER: 0
; COMPUTE_PGM_RSRC2:TGID_X_EN: 1
; COMPUTE_PGM_RSRC2:TGID_Y_EN: 1
; COMPUTE_PGM_RSRC2:TGID_Z_EN: 1
; COMPUTE_PGM_RSRC2:TIDIG_COMP_CNT: 0
; COMPUTE_PGM_RSRC3_GFX90A:ACCUM_OFFSET: 13
; COMPUTE_PGM_RSRC3_GFX90A:TG_SPLIT: 0
	.section	.text._Z38paged_attention_ll4mi_QKV_mfma4_kernelIDF16_hLN4vllm18Fp8KVCacheDataTypeE1EDF16_Li16ELi128ELi256ELb1ELi4EEvPKT_PKT0_S7_ifPKiS9_S9_iPKfiiiPfSC_PS2_PT2_iSB_SB_,"axG",@progbits,_Z38paged_attention_ll4mi_QKV_mfma4_kernelIDF16_hLN4vllm18Fp8KVCacheDataTypeE1EDF16_Li16ELi128ELi256ELb1ELi4EEvPKT_PKT0_S7_ifPKiS9_S9_iPKfiiiPfSC_PS2_PT2_iSB_SB_,comdat
	.protected	_Z38paged_attention_ll4mi_QKV_mfma4_kernelIDF16_hLN4vllm18Fp8KVCacheDataTypeE1EDF16_Li16ELi128ELi256ELb1ELi4EEvPKT_PKT0_S7_ifPKiS9_S9_iPKfiiiPfSC_PS2_PT2_iSB_SB_ ; -- Begin function _Z38paged_attention_ll4mi_QKV_mfma4_kernelIDF16_hLN4vllm18Fp8KVCacheDataTypeE1EDF16_Li16ELi128ELi256ELb1ELi4EEvPKT_PKT0_S7_ifPKiS9_S9_iPKfiiiPfSC_PS2_PT2_iSB_SB_
	.globl	_Z38paged_attention_ll4mi_QKV_mfma4_kernelIDF16_hLN4vllm18Fp8KVCacheDataTypeE1EDF16_Li16ELi128ELi256ELb1ELi4EEvPKT_PKT0_S7_ifPKiS9_S9_iPKfiiiPfSC_PS2_PT2_iSB_SB_
	.p2align	8
	.type	_Z38paged_attention_ll4mi_QKV_mfma4_kernelIDF16_hLN4vllm18Fp8KVCacheDataTypeE1EDF16_Li16ELi128ELi256ELb1ELi4EEvPKT_PKT0_S7_ifPKiS9_S9_iPKfiiiPfSC_PS2_PT2_iSB_SB_,@function
_Z38paged_attention_ll4mi_QKV_mfma4_kernelIDF16_hLN4vllm18Fp8KVCacheDataTypeE1EDF16_Li16ELi128ELi256ELb1ELi4EEvPKT_PKT0_S7_ifPKiS9_S9_iPKfiiiPfSC_PS2_PT2_iSB_SB_: ; @_Z38paged_attention_ll4mi_QKV_mfma4_kernelIDF16_hLN4vllm18Fp8KVCacheDataTypeE1EDF16_Li16ELi128ELi256ELb1ELi4EEvPKT_PKT0_S7_ifPKiS9_S9_iPKfiiiPfSC_PS2_PT2_iSB_SB_
; %bb.0:
	s_load_dwordx2 s[16:17], s[0:1], 0x30
	s_mov_b32 s24, s3
	s_mov_b64 s[6:7], 0
	s_waitcnt lgkmcnt(0)
	s_cmp_lg_u64 s[16:17], 0
	s_cselect_b64 s[18:19], -1, 0
	s_and_b64 vcc, exec, s[18:19]
	s_cbranch_vccz .LBB971_20
; %bb.1:
	s_add_i32 s8, s2, 1
	s_mov_b32 s9, 0
	s_lshl_b64 s[10:11], s[8:9], 2
	s_add_u32 s10, s16, s10
	s_mov_b32 s3, s9
	s_addc_u32 s11, s17, s11
	s_lshl_b64 s[8:9], s[2:3], 2
	s_add_u32 s8, s16, s8
	s_addc_u32 s9, s17, s9
	s_load_dword s5, s[10:11], 0x0
	s_load_dword s12, s[8:9], 0x0
	s_mov_b64 s[34:35], s[2:3]
	s_waitcnt lgkmcnt(0)
	s_sub_i32 s5, s5, s12
	s_cmp_eq_u32 s5, 1
	s_cselect_b64 s[8:9], -1, 0
	s_andn2_b64 vcc, exec, s[6:7]
	s_cbranch_vccnz .LBB971_3
.LBB971_2:
	s_mov_b32 s3, 0
	s_mov_b64 s[8:9], -1
	s_mov_b64 s[34:35], s[2:3]
.LBB971_3:
	s_andn2_b64 vcc, exec, s[8:9]
	s_cbranch_vccnz .LBB971_19
; %bb.4:
	s_load_dword s3, s[0:1], 0x9c
	s_load_dwordx2 s[6:7], s[0:1], 0x28
	s_add_u32 s28, s0, 0x90
	s_addc_u32 s29, s1, 0
	s_lshl_b64 s[42:43], s[34:35], 2
	s_waitcnt lgkmcnt(0)
	s_and_b32 s5, s3, 0xffff
	s_add_u32 s6, s6, s42
	s_addc_u32 s7, s7, s43
	s_load_dword s3, s[6:7], 0x0
	s_mul_i32 s5, s24, s5
	s_waitcnt lgkmcnt(0)
	s_cmp_ge_i32 s5, s3
	s_cbranch_scc1 .LBB971_19
; %bb.5:
	v_and_b32_e32 v1, 0xc0, v0
	v_and_b32_e32 v41, 3, v0
	s_lshl_b32 s33, s4, 2
	v_add_u32_e32 v4, s5, v1
	v_lshrrev_b32_e32 v40, 6, v0
	v_cmp_le_i32_e64 s[6:7], s3, v4
	v_or_b32_e32 v38, s33, v41
                                        ; implicit-def: $sgpr21
                                        ; implicit-def: $sgpr20
	s_and_saveexec_b64 s[8:9], s[6:7]
	s_xor_b64 s[8:9], exec, s[8:9]
	s_cbranch_execz .LBB971_7
; %bb.6:
	v_mul_u32_u24_e32 v1, 20, v40
	v_or_b32_e32 v1, 0x1400, v1
	v_mov_b32_e32 v2, 0x1450
	v_mov_b32_e32 v3, 0xff7fffff
	v_mad_u32_u24 v2, v40, 20, v2
	ds_write2_b32 v1, v3, v3 offset1:1
	v_mov_b32_e32 v1, 0
	ds_write2_b32 v2, v1, v1 offset1:1
	v_mov_b32_e32 v2, 0x1408
	v_mov_b32_e32 v4, 0x1458
	s_mov_b32 s20, 0xff7fffff
	s_mov_b32 s21, 0
	v_mad_u32_u24 v2, v40, 20, v2
	v_mad_u32_u24 v4, v40, 20, v4
	v_or_b32_e32 v38, s33, v41
	ds_write2_b32 v2, v3, v3 offset1:1
	ds_write2_b32 v4, v1, v1 offset1:1
                                        ; implicit-def: $vgpr4
.LBB971_7:
	s_or_saveexec_b64 s[30:31], s[8:9]
	s_load_dwordx2 s[26:27], s[0:1], 0x68
	s_load_dwordx4 s[12:15], s[0:1], 0x58
	s_load_dword s44, s[28:29], 0x4
	s_load_dwordx4 s[8:11], s[0:1], 0x80
	v_and_b32_e32 v1, 63, v0
	v_mov_b32_e32 v37, s21
	v_mov_b32_e32 v39, s20
	;; [unrolled: 1-line block ×5, first 2 shown]
                                        ; implicit-def: $vgpr22_vgpr23
                                        ; implicit-def: $vgpr18_vgpr19
                                        ; implicit-def: $vgpr26_vgpr27
                                        ; implicit-def: $vgpr30_vgpr31
                                        ; implicit-def: $vgpr6_vgpr7
                                        ; implicit-def: $vgpr2_vgpr3
                                        ; implicit-def: $vgpr10_vgpr11
                                        ; implicit-def: $vgpr14_vgpr15
	s_xor_b64 exec, exec, s[30:31]
	s_cbranch_execz .LBB971_13
; %bb.8:
	s_load_dwordx2 s[20:21], s[0:1], 0x20
	s_load_dword s22, s[0:1], 0x38
	s_add_i32 s23, s3, 15
	s_ashr_i32 s25, s23, 31
	s_lshr_b32 s25, s25, 28
	v_add_u32_e32 v42, s5, v0
	s_add_i32 s23, s23, s25
	v_ashrrev_i32_e32 v2, 31, v42
	s_ashr_i32 s23, s23, 4
	v_lshrrev_b32_e32 v2, 28, v2
	s_add_i32 s25, s23, -1
	s_waitcnt lgkmcnt(0)
	s_mul_i32 s36, s2, s22
	s_mov_b32 s37, 0
	v_add_u32_e32 v2, v42, v2
	s_lshl_b64 s[22:23], s[36:37], 2
	v_ashrrev_i32_e32 v2, 4, v2
	v_mov_b32_e32 v3, s25
	v_cmp_gt_i32_e32 vcc, s3, v42
	s_add_u32 s20, s20, s22
	s_addc_u32 s21, s21, s23
	v_cndmask_b32_e32 v2, v3, v2, vcc
	v_ashrrev_i32_e32 v3, 31, v2
	v_lshl_add_u64 v[8:9], v[2:3], 2, s[20:21]
	v_ashrrev_i32_e32 v2, 31, v4
	v_lshrrev_b32_e32 v2, 28, v2
	v_add_u32_e32 v2, v4, v2
	v_ashrrev_i32_e32 v4, 4, v2
	v_min_i32_e32 v2, s25, v4
	v_ashrrev_i32_e32 v3, 31, v2
	v_lshl_add_u64 v[10:11], v[2:3], 2, s[20:21]
	v_add_u32_e32 v2, 1, v4
	v_min_i32_e32 v2, s25, v2
	v_ashrrev_i32_e32 v3, 31, v2
	v_lshl_add_u64 v[12:13], v[2:3], 2, s[20:21]
	v_add_u32_e32 v2, 2, v4
	;; [unrolled: 4-line block ×3, first 2 shown]
	v_min_i32_e32 v2, s25, v2
	v_ashrrev_i32_e32 v3, 31, v2
	v_lshl_add_u64 v[16:17], v[2:3], 2, s[20:21]
	global_load_dword v6, v[8:9], off
	global_load_dword v2, v[10:11], off
	;; [unrolled: 1-line block ×5, first 2 shown]
	s_load_dwordx2 s[40:41], s[0:1], 0x40
	s_load_dwordx4 s[20:23], s[0:1], 0x0
	s_load_dwordx2 s[38:39], s[0:1], 0x10
	s_andn2_b64 vcc, exec, s[18:19]
	s_cbranch_vccnz .LBB971_10
; %bb.9:
	s_add_u32 s16, s16, s42
	s_addc_u32 s17, s17, s43
	s_load_dword s36, s[16:17], 0x0
	s_waitcnt lgkmcnt(0)
	s_mov_b64 s[34:35], s[36:37]
.LBB971_10:
	s_load_dwordx4 s[16:19], s[0:1], 0x48
	s_load_dword s5, s[0:1], 0x1c
	v_lshlrev_b32_e32 v14, 2, v1
	v_mov_b32_e32 v19, 0
	v_and_b32_e32 v14, 0xf0, v14
	s_waitcnt lgkmcnt(0)
	s_ashr_i32 s1, s16, 31
	s_mul_hi_u32 s19, s34, s16
	s_mul_i32 s1, s34, s1
	s_mul_i32 s25, s35, s16
	s_add_i32 s1, s19, s1
	s_mul_i32 s0, s34, s16
	s_add_i32 s1, s1, s25
	s_lshl_b64 s[0:1], s[0:1], 1
	s_add_u32 s16, s20, s0
	s_addc_u32 s19, s21, s1
	s_lshl_b32 s36, s4, 9
	s_lshl_b64 s[0:1], s[36:37], 1
	s_add_u32 s0, s16, s0
	s_addc_u32 s1, s19, s1
	s_mul_i32 s4, s4, s18
	s_add_u32 s18, s4, s22
	s_addc_u32 s19, 0, s23
	v_mov_b64_e32 v[8:9], s[18:19]
	s_waitcnt vmcnt(4)
	v_mad_i64_i32 v[6:7], s[18:19], v6, s17, v[8:9]
	v_lshlrev_b32_e32 v8, 4, v0
	v_and_b32_e32 v18, 0xf0, v8
	v_lshl_add_u64 v[20:21], v[6:7], 0, v[18:19]
	v_lshl_or_b32 v14, v41, 8, v14
	global_load_dwordx4 v[6:9], v[20:21], off
	global_load_dwordx4 v[10:13], v[20:21], off offset:256
	global_load_dwordx4 v[44:47], v14, s[0:1]
	v_mov_b32_e32 v39, v19
	v_lshl_add_u64 v[14:15], v[38:39], 2, s[40:41]
	global_load_dword v39, v[14:15], off
	s_waitcnt vmcnt(7)
	v_mul_hi_i32 v14, v2, s17
	v_ashrrev_i32_e32 v32, 31, v14
	global_load_dwordx4 v[14:17], v[20:21], off offset:512
	s_waitcnt vmcnt(6)
	v_mul_hi_i32 v22, v4, s17
	s_waitcnt vmcnt(5)
	v_mul_hi_i32 v24, v5, s17
	v_ashrrev_i32_e32 v26, 31, v22
	v_ashrrev_i32_e32 v28, 31, v24
	v_lshrrev_b32_e32 v24, 29, v26
	v_lshrrev_b32_e32 v26, 29, v28
	global_load_dwordx4 v[28:31], v[20:21], off offset:768
	global_load_dwordx4 v[48:51], v[20:21], off offset:1024
	;; [unrolled: 1-line block ×5, first 2 shown]
	v_mul_hi_i32 v18, v3, s17
	v_ashrrev_i32_e32 v18, 31, v18
	v_mov_b32_e32 v23, v19
	v_mov_b32_e32 v25, v19
	v_mov_b32_e32 v27, v19
	v_lshrrev_b32_e32 v22, 29, v18
	v_mad_i64_i32 v[22:23], s[0:1], v3, s17, v[22:23]
	v_mad_i64_i32 v[24:25], s[0:1], v4, s17, v[24:25]
	;; [unrolled: 1-line block ×3, first 2 shown]
	v_lshrrev_b32_e32 v18, 29, v32
	s_add_u32 s0, s38, s4
	v_mad_i64_i32 v[2:3], s[16:17], v2, s17, v[18:19]
	v_and_b32_e32 v22, -8, v22
	v_and_b32_e32 v24, -8, v24
	;; [unrolled: 1-line block ×3, first 2 shown]
	s_addc_u32 s1, s39, 0
	v_and_b32_e32 v2, -8, v2
	v_lshl_add_u64 v[22:23], s[0:1], 0, v[22:23]
	v_lshl_add_u64 v[24:25], s[0:1], 0, v[24:25]
	;; [unrolled: 1-line block ×3, first 2 shown]
	v_lshlrev_b32_e32 v18, 4, v1
	v_lshl_add_u64 v[2:3], s[0:1], 0, v[2:3]
	v_lshl_add_u64 v[26:27], v[22:23], 0, v[18:19]
	;; [unrolled: 1-line block ×5, first 2 shown]
	v_cmp_eq_u32_e32 vcc, 0, v41
	s_waitcnt vmcnt(9)
	v_cvt_pk_f32_fp8_e32 v[4:5], v6
	v_cvt_pk_f32_fp8_sdwa v[18:19], v6 src0_sel:WORD_1
	v_cvt_pk_f32_fp8_e32 v[20:21], v7
	v_cvt_pk_f32_fp8_sdwa v[62:63], v7 src0_sel:WORD_1
	;; [unrolled: 2-line block ×3, first 2 shown]
	v_cvt_pkrtz_f16_f32 v4, v4, v5
	v_cvt_pkrtz_f16_f32 v5, v18, v19
	v_cvt_pk_f32_fp8_e32 v[68:69], v9
	v_cvt_pk_f32_fp8_sdwa v[70:71], v9 src0_sel:WORD_1
	s_waitcnt vmcnt(7)
	v_mfma_f32_4x4x4_16b_f16 a[0:3], v[44:45], v[4:5], 0 cbsz:4
	global_load_dwordx4 v[22:25], v[2:3], off
	global_load_dwordx4 v[6:9], v[2:3], off offset:1024
	v_cvt_pkrtz_f16_f32 v2, v20, v21
	v_cvt_pkrtz_f16_f32 v3, v62, v63
	v_cvt_pk_f32_fp8_e32 v[72:73], v10
	v_cvt_pk_f32_fp8_sdwa v[74:75], v10 src0_sel:WORD_1
	v_mfma_f32_4x4x4_16b_f16 a[0:3], v[46:47], v[2:3], a[0:3] cbsz:4
	v_cvt_pkrtz_f16_f32 v18, v64, v65
	v_cvt_pkrtz_f16_f32 v19, v66, v67
	v_cvt_pk_f32_fp8_e32 v[76:77], v11
	v_cvt_pk_f32_fp8_sdwa v[10:11], v11 src0_sel:WORD_1
	v_mfma_f32_4x4x4_16b_f16 a[0:3], v[44:45], v[18:19], a[0:3] cbsz:4 abid:1
	v_cvt_pkrtz_f16_f32 v20, v68, v69
	v_cvt_pkrtz_f16_f32 v21, v70, v71
	v_cvt_pk_f32_fp8_e32 v[78:79], v12
	v_cvt_pk_f32_fp8_sdwa v[80:81], v12 src0_sel:WORD_1
	v_mfma_f32_4x4x4_16b_f16 a[0:3], v[46:47], v[20:21], a[0:3] cbsz:4 abid:1
	;; [unrolled: 5-line block ×3, first 2 shown]
	v_cvt_pkrtz_f16_f32 v4, v76, v77
	v_cvt_pkrtz_f16_f32 v5, v10, v11
	;; [unrolled: 1-line block ×4, first 2 shown]
	v_mfma_f32_4x4x4_16b_f16 a[0:3], v[46:47], v[4:5], a[0:3] cbsz:4 abid:2
	global_load_dwordx4 v[18:21], v[26:27], off
	global_load_dwordx4 v[2:5], v[26:27], off offset:1024
	v_mfma_f32_4x4x4_16b_f16 a[0:3], v[44:45], v[10:11], a[0:3] cbsz:4 abid:3
	v_cvt_pkrtz_f16_f32 v26, v82, v83
	v_cvt_pkrtz_f16_f32 v27, v12, v13
	s_waitcnt vmcnt(9)
	v_cvt_pk_f32_fp8_e32 v[10:11], v14
	v_cvt_pk_f32_fp8_sdwa v[12:13], v14 src0_sel:WORD_1
	v_mfma_f32_4x4x4_16b_f16 a[0:3], v[46:47], v[26:27], a[0:3] cbsz:4 abid:3
	v_cvt_pk_f32_fp8_e32 v[26:27], v15
	v_cvt_pk_f32_fp8_sdwa v[14:15], v15 src0_sel:WORD_1
	v_cvt_pkrtz_f16_f32 v10, v10, v11
	v_cvt_pkrtz_f16_f32 v11, v12, v13
	;; [unrolled: 1-line block ×4, first 2 shown]
	v_mfma_f32_4x4x4_16b_f16 a[0:3], v[44:45], v[10:11], a[0:3] cbsz:4 abid:4
	v_cvt_pk_f32_fp8_e32 v[10:11], v16
	v_cvt_pk_f32_fp8_sdwa v[14:15], v16 src0_sel:WORD_1
	v_mfma_f32_4x4x4_16b_f16 a[0:3], v[46:47], v[12:13], a[0:3] cbsz:4 abid:4
	v_cvt_pk_f32_fp8_e32 v[12:13], v17
	v_cvt_pkrtz_f16_f32 v10, v10, v11
	v_cvt_pkrtz_f16_f32 v11, v14, v15
	v_cvt_pk_f32_fp8_sdwa v[14:15], v17 src0_sel:WORD_1
	s_waitcnt vmcnt(8)
	v_cvt_pk_f32_fp8_sdwa v[16:17], v28 src0_sel:WORD_1
	v_mfma_f32_4x4x4_16b_f16 a[0:3], v[44:45], v[10:11], a[0:3] cbsz:4 abid:5
	v_cvt_pk_f32_fp8_e32 v[10:11], v28
	v_cvt_pkrtz_f16_f32 v12, v12, v13
	v_cvt_pkrtz_f16_f32 v13, v14, v15
	;; [unrolled: 1-line block ×3, first 2 shown]
	v_cvt_pk_f32_fp8_e32 v[16:17], v29
	v_cvt_pk_f32_fp8_sdwa v[62:63], v29 src0_sel:WORD_1
	v_mfma_f32_4x4x4_16b_f16 a[0:3], v[46:47], v[12:13], a[0:3] cbsz:4 abid:5
	v_cvt_pkrtz_f16_f32 v14, v10, v11
	v_cvt_pkrtz_f16_f32 v16, v16, v17
	;; [unrolled: 1-line block ×3, first 2 shown]
	v_mfma_f32_4x4x4_16b_f16 a[0:3], v[44:45], v[14:15], a[0:3] cbsz:4 abid:6
	v_cvt_pk_f32_fp8_e32 v[14:15], v30
	global_load_dwordx4 v[26:29], v[32:33], off
	global_load_dwordx4 v[10:13], v[32:33], off offset:1024
	v_mfma_f32_4x4x4_16b_f16 a[0:3], v[46:47], v[16:17], a[0:3] cbsz:4 abid:6
	v_cvt_pk_f32_fp8_sdwa v[16:17], v30 src0_sel:WORD_1
	v_cvt_pk_f32_fp8_e32 v[32:33], v31
	v_cvt_pk_f32_fp8_sdwa v[30:31], v31 src0_sel:WORD_1
	v_cvt_pkrtz_f16_f32 v14, v14, v15
	v_cvt_pkrtz_f16_f32 v15, v16, v17
	v_cvt_pkrtz_f16_f32 v16, v32, v33
	v_cvt_pkrtz_f16_f32 v17, v30, v31
	v_mfma_f32_4x4x4_16b_f16 a[0:3], v[44:45], v[14:15], a[0:3] cbsz:4 abid:7
	s_waitcnt vmcnt(9)
	v_cvt_pk_f32_fp8_e32 v[14:15], v48
	v_cvt_pk_f32_fp8_e32 v[30:31], v49
	v_mfma_f32_4x4x4_16b_f16 a[0:3], v[46:47], v[16:17], a[0:3] cbsz:4 abid:7
	v_cvt_pk_f32_fp8_sdwa v[16:17], v48 src0_sel:WORD_1
	v_cvt_pk_f32_fp8_sdwa v[32:33], v49 src0_sel:WORD_1
	v_cvt_pkrtz_f16_f32 v14, v14, v15
	v_cvt_pk_f32_fp8_e32 v[48:49], v50
	v_cvt_pkrtz_f16_f32 v15, v16, v17
	v_cvt_pk_f32_fp8_sdwa v[62:63], v50 src0_sel:WORD_1
	v_cvt_pk_f32_fp8_e32 v[64:65], v51
	v_mfma_f32_4x4x4_16b_f16 a[0:3], v[44:45], v[14:15], a[0:3] cbsz:4 abid:8
	v_cvt_pk_f32_fp8_sdwa v[50:51], v51 src0_sel:WORD_1
	v_cvt_pkrtz_f16_f32 v16, v30, v31
	v_cvt_pkrtz_f16_f32 v17, v32, v33
	v_cvt_pkrtz_f16_f32 v48, v48, v49
	v_cvt_pkrtz_f16_f32 v49, v62, v63
	v_mfma_f32_4x4x4_16b_f16 a[0:3], v[46:47], v[16:17], a[0:3] cbsz:4 abid:8
	global_load_dwordx4 v[30:33], v[60:61], off
	global_load_dwordx4 v[14:17], v[60:61], off offset:1024
	v_cvt_pkrtz_f16_f32 v61, v50, v51
	v_mfma_f32_4x4x4_16b_f16 a[0:3], v[44:45], v[48:49], a[0:3] cbsz:4 abid:9
	s_waitcnt vmcnt(10)
	v_cvt_pk_f32_fp8_e32 v[48:49], v52
	v_cvt_pk_f32_fp8_sdwa v[50:51], v52 src0_sel:WORD_1
	v_cvt_pkrtz_f16_f32 v60, v64, v65
	s_load_dword s0, s[8:9], 0x0
	v_cvt_pkrtz_f16_f32 v48, v48, v49
	v_mfma_f32_4x4x4_16b_f16 a[0:3], v[46:47], v[60:61], a[0:3] cbsz:4 abid:9
	v_cvt_pk_f32_fp8_e32 v[60:61], v53
	v_cvt_pk_f32_fp8_sdwa v[52:53], v53 src0_sel:WORD_1
	v_cvt_pkrtz_f16_f32 v49, v50, v51
	v_cvt_pkrtz_f16_f32 v50, v60, v61
	s_nop 0
	v_mfma_f32_4x4x4_16b_f16 a[0:3], v[44:45], v[48:49], a[0:3] cbsz:4 abid:10
	v_cvt_pkrtz_f16_f32 v51, v52, v53
	v_cvt_pk_f32_fp8_e32 v[48:49], v54
	v_cvt_pk_f32_fp8_e32 v[52:53], v55
	v_mfma_f32_4x4x4_16b_f16 a[0:3], v[46:47], v[50:51], a[0:3] cbsz:4 abid:10
	v_cvt_pk_f32_fp8_sdwa v[50:51], v54 src0_sel:WORD_1
	v_cvt_pk_f32_fp8_sdwa v[54:55], v55 src0_sel:WORD_1
	v_cvt_pkrtz_f16_f32 v48, v48, v49
	v_cvt_pkrtz_f16_f32 v49, v50, v51
	;; [unrolled: 1-line block ×3, first 2 shown]
	s_nop 0
	v_mfma_f32_4x4x4_16b_f16 a[0:3], v[44:45], v[48:49], a[0:3] cbsz:4 abid:11
	v_cvt_pkrtz_f16_f32 v51, v54, v55
	s_waitcnt vmcnt(9)
	v_cvt_pk_f32_fp8_e32 v[48:49], v56
	v_cvt_pk_f32_fp8_e32 v[52:53], v57
	v_mfma_f32_4x4x4_16b_f16 a[0:3], v[46:47], v[50:51], a[0:3] cbsz:4 abid:11
	v_cvt_pk_f32_fp8_sdwa v[50:51], v56 src0_sel:WORD_1
	v_cvt_pk_f32_fp8_sdwa v[54:55], v57 src0_sel:WORD_1
	v_cvt_pkrtz_f16_f32 v48, v48, v49
	v_cvt_pkrtz_f16_f32 v49, v50, v51
	;; [unrolled: 1-line block ×3, first 2 shown]
	s_nop 0
	v_mfma_f32_4x4x4_16b_f16 a[0:3], v[44:45], v[48:49], a[0:3] cbsz:4 abid:12
	v_cvt_pkrtz_f16_f32 v51, v54, v55
	v_cvt_pk_f32_fp8_e32 v[48:49], v58
	v_cvt_pk_f32_fp8_e32 v[52:53], v59
	v_mfma_f32_4x4x4_16b_f16 a[0:3], v[46:47], v[50:51], a[0:3] cbsz:4 abid:12
	v_cvt_pk_f32_fp8_sdwa v[50:51], v58 src0_sel:WORD_1
	v_cvt_pk_f32_fp8_sdwa v[54:55], v59 src0_sel:WORD_1
	v_cvt_pkrtz_f16_f32 v48, v48, v49
	v_cvt_pkrtz_f16_f32 v49, v50, v51
	;; [unrolled: 1-line block ×3, first 2 shown]
	s_nop 0
	v_mfma_f32_4x4x4_16b_f16 a[0:3], v[44:45], v[48:49], a[0:3] cbsz:4 abid:13
	s_waitcnt vmcnt(8)
	v_cvt_pk_f32_fp8_e32 v[48:49], v34
	v_cvt_pkrtz_f16_f32 v51, v54, v55
	v_cvt_pk_f32_fp8_e32 v[52:53], v35
	s_nop 0
	v_mfma_f32_4x4x4_16b_f16 a[0:3], v[46:47], v[50:51], a[0:3] cbsz:4 abid:13
	v_cvt_pk_f32_fp8_sdwa v[50:51], v34 src0_sel:WORD_1
	v_cvt_pkrtz_f16_f32 v34, v48, v49
	v_cvt_pk_f32_fp8_sdwa v[48:49], v35 src0_sel:WORD_1
	v_cvt_pkrtz_f16_f32 v35, v50, v51
	v_cvt_pkrtz_f16_f32 v50, v52, v53
	s_nop 0
	v_mfma_f32_4x4x4_16b_f16 a[0:3], v[44:45], v[34:35], a[0:3] cbsz:4 abid:14
	v_cvt_pkrtz_f16_f32 v51, v48, v49
	v_cvt_pk_f32_fp8_e32 v[34:35], v36
	v_cvt_pk_f32_fp8_sdwa v[48:49], v36 src0_sel:WORD_1
	v_mfma_f32_4x4x4_16b_f16 a[0:3], v[46:47], v[50:51], a[0:3] cbsz:4 abid:14
	v_cvt_pk_f32_fp8_e32 v[50:51], v37
	v_cvt_pk_f32_fp8_sdwa v[36:37], v37 src0_sel:WORD_1
	v_cvt_pkrtz_f16_f32 v34, v34, v35
	v_cvt_pkrtz_f16_f32 v35, v48, v49
	v_cvt_pkrtz_f16_f32 v48, v50, v51
	v_cvt_pkrtz_f16_f32 v49, v36, v37
	v_mfma_f32_4x4x4_16b_f16 a[0:3], v[44:45], v[34:35], a[0:3] cbsz:4 abid:15
	v_mov_b32_e32 v34, s5
	s_waitcnt lgkmcnt(0)
	v_mul_f32_e32 v36, s0, v34
	v_mfma_f32_4x4x4_16b_f16 a[0:3], v[46:47], v[48:49], a[0:3] cbsz:4 abid:15
	s_nop 4
	v_accvgpr_read_b32 v45, a1
	v_accvgpr_read_b32 v44, a0
	v_pk_mul_f32 v[44:45], v[44:45], v[36:37] op_sel_hi:[1,0]
	v_accvgpr_read_b32 v35, a3
	v_accvgpr_read_b32 v34, a2
	v_pk_mul_f32 v[34:35], v[34:35], v[36:37] op_sel_hi:[1,0]
	v_cndmask_b32_e64 v36, 0, 1.0, vcc
	v_cmp_eq_u32_e32 vcc, 1, v41
	s_nop 0
	v_mfma_f32_4x4x1_16b_f32 a[0:3], v44, v36, 0
	v_cndmask_b32_e64 v36, 0, 1.0, vcc
	v_cmp_eq_u32_e32 vcc, 2, v41
	s_nop 0
	v_mfma_f32_4x4x1_16b_f32 a[0:3], v45, v36, a[0:3]
	v_cndmask_b32_e64 v36, 0, 1.0, vcc
	v_cmp_eq_u32_e32 vcc, 3, v41
	v_mov_b32_e32 v45, 0xff7fffff
	v_mfma_f32_4x4x1_16b_f32 a[0:3], v34, v36, a[0:3]
	v_cndmask_b32_e64 v34, 0, 1.0, vcc
	s_nop 1
	v_mfma_f32_4x4x1_16b_f32 a[0:3], v35, v34, a[0:3]
	v_and_b32_e32 v34, -4, v42
	v_subrev_u32_e32 v35, s3, v34
	v_add_u32_e32 v36, 1, v35
	v_cvt_f32_i32_e32 v36, v36
	v_add_u32_e32 v37, 2, v35
	v_cvt_f32_i32_e32 v37, v37
	v_accvgpr_read_b32 v43, a0
	v_fma_f32 v36, v39, v36, v43
	v_accvgpr_read_b32 v43, a1
	v_fma_f32 v37, v39, v37, v43
	v_add_u32_e32 v43, 3, v35
	v_cvt_f32_i32_e32 v43, v43
	v_add_u32_e32 v35, 4, v35
	v_cvt_f32_i32_e32 v35, v35
	v_accvgpr_read_b32 v44, a2
	v_fma_f32 v43, v39, v43, v44
	v_accvgpr_read_b32 v44, a3
	v_fmac_f32_e32 v44, v39, v35
	v_max_f32_e32 v39, 0xff7fffff, v36
	v_cmp_gt_i32_e32 vcc, s3, v34
	v_lshlrev_b32_e32 v35, 2, v0
	v_and_or_b32 v35, v35, 48, v41
	v_cndmask_b32_e32 v39, v45, v39, vcc
	v_or_b32_e32 v45, 1, v34
	v_max_f32_e32 v46, v39, v37
	v_cmp_gt_i32_e64 s[0:1], s3, v45
	v_or_b32_e32 v34, 2, v34
	v_cmp_gt_i32_e64 s[4:5], s3, v34
	v_cndmask_b32_e64 v39, v39, v46, s[0:1]
	v_max_f32_e32 v45, v39, v43
	v_cndmask_b32_e64 v34, v39, v45, s[4:5]
	v_or_b32_e32 v39, 3, v42
	v_max_f32_e32 v42, v34, v44
	v_cmp_gt_i32_e64 s[8:9], s3, v39
	s_nop 1
	v_cndmask_b32_e64 v34, v34, v42, s[8:9]
	;;#ASMSTART
	v_nop
 v_nop
 v_max_f32_dpp v34, v34, v34 row_ror:4
	;;#ASMEND
	v_lshlrev_b32_e32 v42, 2, v35
	;;#ASMSTART
	v_nop
 v_nop
 v_max_f32_dpp v34, v34, v34 row_ror:8
	;;#ASMEND
	ds_bpermute_b32 v34, v42, v34
	s_waitcnt lgkmcnt(0)
	;;#ASMSTART
	v_nop
 v_nop
 v_max_f32_dpp v34, v34, v34 row_ror:4
	;;#ASMEND
	s_nop 0
	;;#ASMSTART
	v_nop
 v_nop
 v_max_f32_dpp v39, v34, v34 row_ror:8
	;;#ASMEND
	s_nop 0
	v_sub_f32_e32 v34, v36, v39
	v_mul_f32_e32 v34, 0x3fb8aa3b, v34
	v_sub_f32_e32 v35, v37, v39
	v_exp_f32_e32 v34, v34
	v_mul_f32_e32 v35, 0x3fb8aa3b, v35
	v_sub_f32_e32 v37, v43, v39
	v_exp_f32_e32 v35, v35
	;; [unrolled: 3-line block ×3, first 2 shown]
	v_mul_f32_e32 v43, 0x3fb8aa3b, v43
	v_exp_f32_e32 v43, v43
	v_cndmask_b32_e32 v34, 0, v34, vcc
	v_add_f32_e32 v36, 0, v34
	v_cndmask_b32_e64 v35, 0, v35, s[0:1]
	v_add_f32_e32 v44, v36, v35
	v_cndmask_b32_e64 v36, 0, v37, s[4:5]
	;; [unrolled: 2-line block ×3, first 2 shown]
	v_add_f32_e32 v43, v44, v37
	;;#ASMSTART
	v_nop
 v_nop
 v_add_f32_dpp v43, v43, v43 row_ror:4
	;;#ASMEND
	v_cmp_gt_u32_e32 vcc, 4, v1
	;;#ASMSTART
	v_nop
 v_nop
 v_add_f32_dpp v43, v43, v43 row_ror:8
	;;#ASMEND
	ds_bpermute_b32 v42, v42, v43
	s_waitcnt lgkmcnt(0)
	;;#ASMSTART
	v_nop
 v_nop
 v_add_f32_dpp v42, v42, v42 row_ror:4
	;;#ASMEND
	s_nop 0
	;;#ASMSTART
	v_nop
 v_nop
 v_add_f32_dpp v42, v42, v42 row_ror:8
	;;#ASMEND
	s_and_saveexec_b64 s[0:1], vcc
	s_cbranch_execz .LBB971_12
; %bb.11:
	v_mul_u32_u24_e32 v43, 20, v40
	v_lshl_add_u32 v43, v41, 2, v43
	v_add_u32_e32 v43, 0x1400, v43
	ds_write2_b32 v43, v39, v42 offset1:20
.LBB971_12:
	s_or_b64 exec, exec, s[0:1]
.LBB971_13:
	s_or_b64 exec, exec, s[30:31]
	v_lshlrev_b32_e32 v41, 2, v41
	v_add_u32_e32 v48, 0x1400, v41
	s_waitcnt lgkmcnt(0)
	s_barrier
	s_load_dword s0, s[28:29], 0x8
	ds_read2_b32 v[42:43], v48 offset1:5
	ds_read2_b32 v[44:45], v48 offset0:10 offset1:15
	s_mov_b32 s4, 0xff7fffff
	s_mul_i32 s1, s2, s44
	ds_read2_b32 v[46:47], v48 offset0:20 offset1:25
	s_waitcnt lgkmcnt(0)
	v_max3_f32 v41, v42, s4, v43
	v_max3_f32 v41, v41, v44, v45
	s_mul_i32 s1, s1, s0
	v_sub_f32_e32 v42, v42, v41
	s_lshl_b32 s0, s1, 2
	s_mov_b32 s1, 0
	v_mul_f32_e32 v42, 0x3fb8aa3b, v42
	v_sub_f32_e32 v43, v43, v41
	s_lshl_b64 s[2:3], s[0:1], 2
	v_exp_f32_e32 v42, v42
	v_mul_f32_e32 v43, 0x3fb8aa3b, v43
	v_sub_f32_e32 v44, v44, v41
	s_add_u32 s8, s12, s2
	v_exp_f32_e32 v43, v43
	ds_read2_b32 v[48:49], v48 offset0:30 offset1:35
	v_mul_f32_e32 v44, 0x3fb8aa3b, v44
	v_sub_f32_e32 v45, v45, v41
	s_addc_u32 s9, s13, s3
	v_exp_f32_e32 v44, v44
	v_mul_f32_e32 v45, 0x3fb8aa3b, v45
	s_mov_b32 s25, s1
	s_add_u32 s4, s14, s2
	v_exp_f32_e32 v45, v45
	s_addc_u32 s5, s15, s3
	s_lshl_b64 s[2:3], s[24:25], 2
	v_fma_f32 v42, v42, v46, 0
	s_add_u32 s4, s4, s2
	v_fmac_f32_e32 v42, v43, v47
	s_addc_u32 s5, s5, s3
	s_waitcnt lgkmcnt(0)
	v_fmac_f32_e32 v42, v44, v48
	v_fmac_f32_e32 v42, v45, v49
	s_add_u32 s2, s8, s2
	v_mul_lo_u32 v44, s44, v38
	v_mov_b32_e32 v45, 0
	s_addc_u32 s3, s9, s3
	v_lshlrev_b64 v[44:45], 2, v[44:45]
	v_lshl_add_u64 v[46:47], s[4:5], 0, v[44:45]
	v_lshl_add_u64 v[44:45], s[2:3], 0, v[44:45]
	v_lshlrev_b32_e32 v38, 3, v40
	global_store_dword v[46:47], v41, off
	global_store_dword v[44:45], v42, off
	s_and_saveexec_b64 s[2:3], s[6:7]
	s_xor_b64 s[2:3], exec, s[2:3]
	s_cbranch_execz .LBB971_15
; %bb.14:
	s_mov_b32 s4, s1
	s_mov_b32 s5, s1
	s_waitcnt vmcnt(6)
	v_mad_u32_u24 v4, v1, 40, v38
	v_mov_b64_e32 v[2:3], s[4:5]
	ds_write2st64_b64 v4, v[2:3], v[2:3] offset1:5
                                        ; implicit-def: $vgpr37
                                        ; implicit-def: $vgpr35
                                        ; implicit-def: $vgpr39
                                        ; implicit-def: $vgpr22_vgpr23
                                        ; implicit-def: $vgpr18_vgpr19
                                        ; implicit-def: $vgpr26_vgpr27
                                        ; implicit-def: $vgpr30_vgpr31
                                        ; implicit-def: $vgpr6_vgpr7
                                        ; implicit-def: $vgpr2_vgpr3
                                        ; implicit-def: $vgpr10_vgpr11
                                        ; implicit-def: $vgpr14_vgpr15
                                        ; implicit-def: $vgpr41
                                        ; implicit-def: $vgpr42
                                        ; implicit-def: $vgpr38
.LBB971_15:
	s_andn2_saveexec_b64 s[2:3], s[2:3]
	s_cbranch_execz .LBB971_17
; %bb.16:
	v_add_f32_e32 v40, 0x358637bd, v42
	v_div_scale_f32 v42, s[4:5], v40, v40, 1.0
	v_rcp_f32_e32 v43, v42
	v_sub_f32_e32 v39, v39, v41
	v_mul_f32_e32 v39, 0x3fb8aa3b, v39
	v_exp_f32_e32 v39, v39
	v_fma_f32 v41, -v42, v43, 1.0
	v_fmac_f32_e32 v43, v41, v43
	v_div_scale_f32 v41, vcc, 1.0, v40, 1.0
	v_mul_f32_e32 v44, v41, v43
	v_fma_f32 v45, -v42, v44, v41
	v_fmac_f32_e32 v44, v45, v43
	v_fma_f32 v41, -v42, v44, v41
	v_div_fmas_f32 v41, v41, v43, v44
	v_div_fixup_f32 v40, v41, v40, 1.0
	v_mul_f32_e32 v40, v39, v40
	v_pk_mul_f32 v[36:37], v[36:37], v[40:41] op_sel_hi:[1,0]
	v_pk_mul_f32 v[34:35], v[34:35], v[40:41] op_sel_hi:[1,0]
	v_cvt_f16_f32_e32 v36, v36
	v_cvt_f16_f32_e32 v34, v34
	;; [unrolled: 1-line block ×4, first 2 shown]
	s_waitcnt vmcnt(9)
	v_cvt_pk_f32_fp8_sdwa v[40:41], v22 src0_sel:WORD_1
	v_cvt_pk_f32_fp8_e32 v[42:43], v23
	v_pack_b32_f16 v34, v34, v35
	v_pack_b32_f16 v35, v36, v37
	v_cvt_pk_f32_fp8_e32 v[36:37], v22
	v_cvt_pk_f32_fp8_sdwa v[22:23], v23 src0_sel:WORD_1
	s_load_dword s4, s[10:11], 0x0
	v_cvt_pkrtz_f16_f32 v36, v36, v37
	v_cvt_pkrtz_f16_f32 v37, v40, v41
	;; [unrolled: 1-line block ×4, first 2 shown]
	v_mfma_f32_4x4x4_16b_f16 a[0:3], v[34:35], v[36:37], 0 cbsz:4
	v_cvt_pk_f32_fp8_e32 v[22:23], v24
	v_cvt_pk_f32_fp8_sdwa v[36:37], v24 src0_sel:WORD_1
	v_mfma_f32_4x4x4_16b_f16 a[0:3], v[34:35], v[40:41], a[0:3] cbsz:4 abid:1
	v_cvt_pk_f32_fp8_e32 v[40:41], v25
	v_cvt_pk_f32_fp8_sdwa v[24:25], v25 src0_sel:WORD_1
	v_cvt_pkrtz_f16_f32 v22, v22, v23
	v_cvt_pkrtz_f16_f32 v23, v36, v37
	;; [unrolled: 1-line block ×4, first 2 shown]
	v_mfma_f32_4x4x4_16b_f16 a[0:3], v[34:35], v[22:23], a[0:3] cbsz:4 abid:2
	s_waitcnt vmcnt(7)
	v_cvt_pk_f32_fp8_e32 v[22:23], v18
	v_cvt_pk_f32_fp8_sdwa v[24:25], v18 src0_sel:WORD_1
	v_mfma_f32_4x4x4_16b_f16 a[0:3], v[34:35], v[36:37], a[0:3] cbsz:4 abid:3
	v_cvt_pk_f32_fp8_e32 v[36:37], v19
	v_cvt_pk_f32_fp8_sdwa v[18:19], v19 src0_sel:WORD_1
	v_cvt_pkrtz_f16_f32 v22, v22, v23
	v_cvt_pkrtz_f16_f32 v23, v24, v25
	;; [unrolled: 1-line block ×4, first 2 shown]
	v_mfma_f32_4x4x4_16b_f16 a[0:3], v[34:35], v[22:23], a[0:3] cbsz:4 abid:4
	v_cvt_pk_f32_fp8_e32 v[18:19], v20
	v_cvt_pk_f32_fp8_sdwa v[22:23], v20 src0_sel:WORD_1
	v_mfma_f32_4x4x4_16b_f16 a[0:3], v[34:35], v[24:25], a[0:3] cbsz:4 abid:5
	v_cvt_pk_f32_fp8_e32 v[24:25], v21
	v_cvt_pk_f32_fp8_sdwa v[20:21], v21 src0_sel:WORD_1
	v_cvt_pkrtz_f16_f32 v18, v18, v19
	v_cvt_pkrtz_f16_f32 v19, v22, v23
	;; [unrolled: 1-line block ×4, first 2 shown]
	v_mfma_f32_4x4x4_16b_f16 a[0:3], v[34:35], v[18:19], a[0:3] cbsz:4 abid:6
	s_waitcnt vmcnt(5)
	v_cvt_pk_f32_fp8_e32 v[18:19], v26
	v_cvt_pk_f32_fp8_sdwa v[20:21], v26 src0_sel:WORD_1
	v_mfma_f32_4x4x4_16b_f16 a[0:3], v[34:35], v[22:23], a[0:3] cbsz:4 abid:7
	v_cvt_pk_f32_fp8_e32 v[22:23], v27
	v_cvt_pk_f32_fp8_sdwa v[24:25], v27 src0_sel:WORD_1
	v_cvt_pkrtz_f16_f32 v18, v18, v19
	v_cvt_pkrtz_f16_f32 v19, v20, v21
	;; [unrolled: 1-line block ×4, first 2 shown]
	v_mfma_f32_4x4x4_16b_f16 a[0:3], v[34:35], v[18:19], a[0:3] cbsz:4 abid:8
	v_cvt_pk_f32_fp8_e32 v[18:19], v28
	v_cvt_pk_f32_fp8_e32 v[22:23], v29
	v_mfma_f32_4x4x4_16b_f16 a[0:3], v[34:35], v[20:21], a[0:3] cbsz:4 abid:9
	v_cvt_pk_f32_fp8_sdwa v[20:21], v28 src0_sel:WORD_1
	v_cvt_pk_f32_fp8_sdwa v[24:25], v29 src0_sel:WORD_1
	v_cvt_pkrtz_f16_f32 v18, v18, v19
	v_cvt_pkrtz_f16_f32 v19, v20, v21
	;; [unrolled: 1-line block ×3, first 2 shown]
	s_nop 0
	v_mfma_f32_4x4x4_16b_f16 a[0:3], v[34:35], v[18:19], a[0:3] cbsz:4 abid:10
	v_cvt_pkrtz_f16_f32 v21, v24, v25
	s_waitcnt vmcnt(3)
	v_cvt_pk_f32_fp8_e32 v[18:19], v30
	v_cvt_pk_f32_fp8_e32 v[22:23], v31
	v_mfma_f32_4x4x4_16b_f16 a[0:3], v[34:35], v[20:21], a[0:3] cbsz:4 abid:11
	v_cvt_pk_f32_fp8_sdwa v[20:21], v30 src0_sel:WORD_1
	v_cvt_pk_f32_fp8_sdwa v[24:25], v31 src0_sel:WORD_1
	v_cvt_pkrtz_f16_f32 v18, v18, v19
	v_cvt_pkrtz_f16_f32 v19, v20, v21
	v_cvt_pkrtz_f16_f32 v20, v22, v23
	s_nop 0
	v_mfma_f32_4x4x4_16b_f16 a[0:3], v[34:35], v[18:19], a[0:3] cbsz:4 abid:12
	v_cvt_pkrtz_f16_f32 v21, v24, v25
	v_cvt_pk_f32_fp8_e32 v[18:19], v32
	v_cvt_pk_f32_fp8_e32 v[22:23], v33
	v_mfma_f32_4x4x4_16b_f16 a[0:3], v[34:35], v[20:21], a[0:3] cbsz:4 abid:13
	v_cvt_pk_f32_fp8_sdwa v[20:21], v32 src0_sel:WORD_1
	v_cvt_pk_f32_fp8_sdwa v[24:25], v33 src0_sel:WORD_1
	v_cvt_pkrtz_f16_f32 v18, v18, v19
	v_cvt_pkrtz_f16_f32 v19, v20, v21
	;; [unrolled: 1-line block ×3, first 2 shown]
	s_nop 0
	v_mfma_f32_4x4x4_16b_f16 a[0:3], v[34:35], v[18:19], a[0:3] cbsz:4 abid:14
	v_cvt_pkrtz_f16_f32 v21, v24, v25
	v_cvt_pk_f32_fp8_sdwa v[22:23], v6 src0_sel:WORD_1
	v_cvt_pk_f32_fp8_e32 v[24:25], v7
	v_mfma_f32_4x4x4_16b_f16 a[0:3], v[34:35], v[20:21], a[0:3] cbsz:4 abid:15
	s_nop 4
	v_accvgpr_read_b32 v19, a1
	v_accvgpr_read_b32 v18, a0
	s_waitcnt lgkmcnt(0)
	v_pk_mul_f32 v[18:19], v[18:19], s[4:5] op_sel_hi:[1,0]
	s_nop 0
	v_cvt_f16_f32_e32 v20, v18
	v_cvt_f16_f32_e32 v21, v19
	v_accvgpr_read_b32 v19, a3
	v_accvgpr_read_b32 v18, a2
	v_pk_mul_f32 v[18:19], v[18:19], s[4:5] op_sel_hi:[1,0]
	v_pack_b32_f16 v20, v20, v21
	v_cvt_f16_f32_e32 v21, v18
	v_cvt_f16_f32_e32 v26, v19
	v_cvt_pk_f32_fp8_e32 v[18:19], v6
	v_cvt_pk_f32_fp8_sdwa v[6:7], v7 src0_sel:WORD_1
	v_pack_b32_f16 v21, v21, v26
	v_cvt_pkrtz_f16_f32 v18, v18, v19
	v_cvt_pkrtz_f16_f32 v19, v22, v23
	;; [unrolled: 1-line block ×4, first 2 shown]
	v_mfma_f32_4x4x4_16b_f16 a[0:3], v[34:35], v[18:19], 0 cbsz:4
	v_cvt_pk_f32_fp8_e32 v[6:7], v8
	v_cvt_pk_f32_fp8_sdwa v[18:19], v8 src0_sel:WORD_1
	v_mfma_f32_4x4x4_16b_f16 a[0:3], v[34:35], v[22:23], a[0:3] cbsz:4 abid:1
	v_cvt_pk_f32_fp8_e32 v[22:23], v9
	v_cvt_pk_f32_fp8_sdwa v[8:9], v9 src0_sel:WORD_1
	v_cvt_pkrtz_f16_f32 v6, v6, v7
	v_cvt_pkrtz_f16_f32 v7, v18, v19
	v_cvt_pkrtz_f16_f32 v18, v22, v23
	v_cvt_pkrtz_f16_f32 v19, v8, v9
	v_mfma_f32_4x4x4_16b_f16 a[0:3], v[34:35], v[6:7], a[0:3] cbsz:4 abid:2
	v_cvt_pk_f32_fp8_e32 v[6:7], v2
	v_cvt_pk_f32_fp8_sdwa v[8:9], v2 src0_sel:WORD_1
	v_mfma_f32_4x4x4_16b_f16 a[0:3], v[34:35], v[18:19], a[0:3] cbsz:4 abid:3
	v_cvt_pk_f32_fp8_e32 v[18:19], v3
	v_cvt_pk_f32_fp8_sdwa v[2:3], v3 src0_sel:WORD_1
	v_cvt_pkrtz_f16_f32 v6, v6, v7
	v_cvt_pkrtz_f16_f32 v7, v8, v9
	v_cvt_pkrtz_f16_f32 v8, v18, v19
	v_cvt_pkrtz_f16_f32 v9, v2, v3
	v_mfma_f32_4x4x4_16b_f16 a[0:3], v[34:35], v[6:7], a[0:3] cbsz:4 abid:4
	;; [unrolled: 10-line block ×4, first 2 shown]
	v_cvt_pk_f32_fp8_e32 v[2:3], v12
	v_cvt_pk_f32_fp8_e32 v[6:7], v13
	v_mfma_f32_4x4x4_16b_f16 a[0:3], v[34:35], v[4:5], a[0:3] cbsz:4 abid:9
	v_cvt_pk_f32_fp8_sdwa v[4:5], v12 src0_sel:WORD_1
	v_cvt_pk_f32_fp8_sdwa v[8:9], v13 src0_sel:WORD_1
	v_cvt_pkrtz_f16_f32 v2, v2, v3
	v_cvt_pkrtz_f16_f32 v3, v4, v5
	;; [unrolled: 1-line block ×3, first 2 shown]
	s_nop 0
	v_mfma_f32_4x4x4_16b_f16 a[0:3], v[34:35], v[2:3], a[0:3] cbsz:4 abid:10
	v_cvt_pkrtz_f16_f32 v5, v8, v9
	s_waitcnt vmcnt(2)
	v_cvt_pk_f32_fp8_e32 v[2:3], v14
	v_cvt_pk_f32_fp8_e32 v[6:7], v15
	v_mfma_f32_4x4x4_16b_f16 a[0:3], v[34:35], v[4:5], a[0:3] cbsz:4 abid:11
	v_cvt_pk_f32_fp8_sdwa v[4:5], v14 src0_sel:WORD_1
	v_cvt_pk_f32_fp8_sdwa v[8:9], v15 src0_sel:WORD_1
	v_cvt_pkrtz_f16_f32 v2, v2, v3
	v_cvt_pkrtz_f16_f32 v3, v4, v5
	;; [unrolled: 1-line block ×3, first 2 shown]
	s_nop 0
	v_mfma_f32_4x4x4_16b_f16 a[0:3], v[34:35], v[2:3], a[0:3] cbsz:4 abid:12
	v_cvt_pkrtz_f16_f32 v5, v8, v9
	v_cvt_pk_f32_fp8_e32 v[2:3], v16
	v_cvt_pk_f32_fp8_e32 v[6:7], v17
	v_mfma_f32_4x4x4_16b_f16 a[0:3], v[34:35], v[4:5], a[0:3] cbsz:4 abid:13
	v_cvt_pk_f32_fp8_sdwa v[4:5], v16 src0_sel:WORD_1
	v_cvt_pk_f32_fp8_sdwa v[8:9], v17 src0_sel:WORD_1
	v_cvt_pkrtz_f16_f32 v2, v2, v3
	v_cvt_pkrtz_f16_f32 v3, v4, v5
	;; [unrolled: 1-line block ×3, first 2 shown]
	s_nop 0
	v_mfma_f32_4x4x4_16b_f16 a[0:3], v[34:35], v[2:3], a[0:3] cbsz:4 abid:14
	v_cvt_pkrtz_f16_f32 v5, v8, v9
	v_mad_u32_u24 v7, v1, 40, v38
	s_nop 0
	v_mfma_f32_4x4x4_16b_f16 a[0:3], v[34:35], v[4:5], a[0:3] cbsz:4 abid:15
	s_nop 4
	v_accvgpr_read_b32 v5, a1
	v_accvgpr_read_b32 v3, a3
	;; [unrolled: 1-line block ×4, first 2 shown]
	v_pk_mul_f32 v[2:3], v[2:3], s[4:5] op_sel_hi:[1,0]
	v_pk_mul_f32 v[4:5], v[4:5], s[4:5] op_sel_hi:[1,0]
	v_cvt_f16_f32_e32 v6, v2
	v_cvt_f16_f32_e32 v4, v4
	;; [unrolled: 1-line block ×4, first 2 shown]
	v_pack_b32_f16 v2, v4, v5
	v_pack_b32_f16 v3, v6, v3
	ds_write2st64_b64 v7, v[20:21], v[2:3] offset1:5
.LBB971_17:
	s_or_b64 exec, exec, s[2:3]
	v_cmp_gt_u32_e32 vcc, 64, v0
	s_waitcnt lgkmcnt(0)
	s_barrier
	s_and_saveexec_b64 s[2:3], vcc
	s_cbranch_execz .LBB971_19
; %bb.18:
	s_waitcnt vmcnt(8)
	v_mul_u32_u24_e32 v6, 40, v1
	s_waitcnt vmcnt(6)
	ds_read2_b64 v[2:5], v6 offset1:1
	ds_read2_b64 v[6:9], v6 offset0:2 offset1:3
	s_lshl_b32 s0, s0, 7
	s_lshl_b64 s[2:3], s[0:1], 1
	s_add_u32 s2, s26, s2
	s_waitcnt lgkmcnt(1)
	v_pk_add_f16 v2, v2, 0
	v_pk_add_f16 v3, v3, 0
	;; [unrolled: 1-line block ×4, first 2 shown]
	s_waitcnt lgkmcnt(0)
	v_pk_add_f16 v2, v2, v6
	v_pk_add_f16 v6, v3, v7
	s_waitcnt vmcnt(4)
	v_pk_add_f16 v10, v2, v8
	v_mov_b32_e32 v2, 0xa00
	v_mad_u32_u24 v2, v1, 40, v2
	ds_read2_b64 v[2:5], v2 offset1:1
	v_pk_add_f16 v11, v6, v9
	v_mov_b32_e32 v6, 0xa10
	v_mad_u32_u24 v1, v1, 40, v6
	ds_read2_b64 v[6:9], v1 offset1:1
	s_addc_u32 s3, s27, s3
	s_lshl_b32 s0, s24, 7
	s_lshl_b64 s[0:1], s[0:1], 1
	s_waitcnt lgkmcnt(1)
	v_pk_add_f16 v1, v2, 0
	v_pk_add_f16 v2, v3, 0
	s_add_u32 s0, s2, s0
	v_pk_add_f16 v2, v2, v5
	s_addc_u32 s1, s3, s1
	s_lshl_b32 s2, s44, 7
	s_waitcnt lgkmcnt(0)
	v_pk_add_f16 v2, v2, v7
	s_mul_i32 s3, s2, s33
	v_pk_add_f16 v13, v2, v9
	v_or_b32_e32 v2, s3, v0
	v_mov_b32_e32 v3, 0
	s_add_i32 s3, s3, s2
	v_pk_add_f16 v1, v1, v4
	v_lshl_add_u64 v[4:5], v[2:3], 1, s[0:1]
	v_or_b32_e32 v2, s3, v0
	s_add_i32 s3, s3, s2
	v_pk_add_f16 v1, v1, v6
	v_lshl_add_u64 v[6:7], v[2:3], 1, s[0:1]
	v_or_b32_e32 v2, s3, v0
	;; [unrolled: 4-line block ×3, first 2 shown]
	v_lshl_add_u64 v[0:1], v[2:3], 1, s[0:1]
	global_store_short v[4:5], v10, off
	global_store_short_d16_hi v[6:7], v10, off
	global_store_short v[8:9], v11, off
	global_store_short_d16_hi v[0:1], v11, off
	global_store_short v[4:5], v12, off offset:128
	global_store_short_d16_hi v[6:7], v12, off offset:128
	global_store_short v[8:9], v13, off offset:128
	global_store_short_d16_hi v[0:1], v13, off offset:128
.LBB971_19:
	s_endpgm
.LBB971_20:
	s_mov_b64 s[8:9], 0
                                        ; implicit-def: $sgpr34_sgpr35
	s_branch .LBB971_2
	.section	.rodata,"a",@progbits
	.p2align	6, 0x0
	.amdhsa_kernel _Z38paged_attention_ll4mi_QKV_mfma4_kernelIDF16_hLN4vllm18Fp8KVCacheDataTypeE1EDF16_Li16ELi128ELi256ELb1ELi4EEvPKT_PKT0_S7_ifPKiS9_S9_iPKfiiiPfSC_PS2_PT2_iSB_SB_
		.amdhsa_group_segment_fixed_size 5280
		.amdhsa_private_segment_fixed_size 0
		.amdhsa_kernarg_size 400
		.amdhsa_user_sgpr_count 2
		.amdhsa_user_sgpr_dispatch_ptr 0
		.amdhsa_user_sgpr_queue_ptr 0
		.amdhsa_user_sgpr_kernarg_segment_ptr 1
		.amdhsa_user_sgpr_dispatch_id 0
		.amdhsa_user_sgpr_kernarg_preload_length 0
		.amdhsa_user_sgpr_kernarg_preload_offset 0
		.amdhsa_user_sgpr_private_segment_size 0
		.amdhsa_uses_dynamic_stack 0
		.amdhsa_enable_private_segment 0
		.amdhsa_system_sgpr_workgroup_id_x 1
		.amdhsa_system_sgpr_workgroup_id_y 1
		.amdhsa_system_sgpr_workgroup_id_z 1
		.amdhsa_system_sgpr_workgroup_info 0
		.amdhsa_system_vgpr_workitem_id 0
		.amdhsa_next_free_vgpr 88
		.amdhsa_next_free_sgpr 45
		.amdhsa_accum_offset 84
		.amdhsa_reserve_vcc 1
		.amdhsa_float_round_mode_32 0
		.amdhsa_float_round_mode_16_64 0
		.amdhsa_float_denorm_mode_32 3
		.amdhsa_float_denorm_mode_16_64 3
		.amdhsa_dx10_clamp 1
		.amdhsa_ieee_mode 1
		.amdhsa_fp16_overflow 0
		.amdhsa_tg_split 0
		.amdhsa_exception_fp_ieee_invalid_op 0
		.amdhsa_exception_fp_denorm_src 0
		.amdhsa_exception_fp_ieee_div_zero 0
		.amdhsa_exception_fp_ieee_overflow 0
		.amdhsa_exception_fp_ieee_underflow 0
		.amdhsa_exception_fp_ieee_inexact 0
		.amdhsa_exception_int_div_zero 0
	.end_amdhsa_kernel
	.section	.text._Z38paged_attention_ll4mi_QKV_mfma4_kernelIDF16_hLN4vllm18Fp8KVCacheDataTypeE1EDF16_Li16ELi128ELi256ELb1ELi4EEvPKT_PKT0_S7_ifPKiS9_S9_iPKfiiiPfSC_PS2_PT2_iSB_SB_,"axG",@progbits,_Z38paged_attention_ll4mi_QKV_mfma4_kernelIDF16_hLN4vllm18Fp8KVCacheDataTypeE1EDF16_Li16ELi128ELi256ELb1ELi4EEvPKT_PKT0_S7_ifPKiS9_S9_iPKfiiiPfSC_PS2_PT2_iSB_SB_,comdat
.Lfunc_end971:
	.size	_Z38paged_attention_ll4mi_QKV_mfma4_kernelIDF16_hLN4vllm18Fp8KVCacheDataTypeE1EDF16_Li16ELi128ELi256ELb1ELi4EEvPKT_PKT0_S7_ifPKiS9_S9_iPKfiiiPfSC_PS2_PT2_iSB_SB_, .Lfunc_end971-_Z38paged_attention_ll4mi_QKV_mfma4_kernelIDF16_hLN4vllm18Fp8KVCacheDataTypeE1EDF16_Li16ELi128ELi256ELb1ELi4EEvPKT_PKT0_S7_ifPKiS9_S9_iPKfiiiPfSC_PS2_PT2_iSB_SB_
                                        ; -- End function
	.section	.AMDGPU.csdata,"",@progbits
; Kernel info:
; codeLenInByte = 5552
; NumSgprs: 51
; NumVgprs: 84
; NumAgprs: 4
; TotalNumVgprs: 88
; ScratchSize: 0
; MemoryBound: 0
; FloatMode: 240
; IeeeMode: 1
; LDSByteSize: 5280 bytes/workgroup (compile time only)
; SGPRBlocks: 6
; VGPRBlocks: 10
; NumSGPRsForWavesPerEU: 51
; NumVGPRsForWavesPerEU: 88
; AccumOffset: 84
; Occupancy: 5
; WaveLimiterHint : 1
; COMPUTE_PGM_RSRC2:SCRATCH_EN: 0
; COMPUTE_PGM_RSRC2:USER_SGPR: 2
; COMPUTE_PGM_RSRC2:TRAP_HANDLER: 0
; COMPUTE_PGM_RSRC2:TGID_X_EN: 1
; COMPUTE_PGM_RSRC2:TGID_Y_EN: 1
; COMPUTE_PGM_RSRC2:TGID_Z_EN: 1
; COMPUTE_PGM_RSRC2:TIDIG_COMP_CNT: 0
; COMPUTE_PGM_RSRC3_GFX90A:ACCUM_OFFSET: 20
; COMPUTE_PGM_RSRC3_GFX90A:TG_SPLIT: 0
	.section	.text._Z39paged_attention_ll4mi_QKV_mfma16_kernelIDF16_hLN4vllm18Fp8KVCacheDataTypeE1EDF16_Li16ELi128ELi256ELb1ELi5EEvPKT_PKT0_S7_ifPKiS9_S9_iPKfiiiPfSC_PS2_PT2_iSB_SB_,"axG",@progbits,_Z39paged_attention_ll4mi_QKV_mfma16_kernelIDF16_hLN4vllm18Fp8KVCacheDataTypeE1EDF16_Li16ELi128ELi256ELb1ELi5EEvPKT_PKT0_S7_ifPKiS9_S9_iPKfiiiPfSC_PS2_PT2_iSB_SB_,comdat
	.protected	_Z39paged_attention_ll4mi_QKV_mfma16_kernelIDF16_hLN4vllm18Fp8KVCacheDataTypeE1EDF16_Li16ELi128ELi256ELb1ELi5EEvPKT_PKT0_S7_ifPKiS9_S9_iPKfiiiPfSC_PS2_PT2_iSB_SB_ ; -- Begin function _Z39paged_attention_ll4mi_QKV_mfma16_kernelIDF16_hLN4vllm18Fp8KVCacheDataTypeE1EDF16_Li16ELi128ELi256ELb1ELi5EEvPKT_PKT0_S7_ifPKiS9_S9_iPKfiiiPfSC_PS2_PT2_iSB_SB_
	.globl	_Z39paged_attention_ll4mi_QKV_mfma16_kernelIDF16_hLN4vllm18Fp8KVCacheDataTypeE1EDF16_Li16ELi128ELi256ELb1ELi5EEvPKT_PKT0_S7_ifPKiS9_S9_iPKfiiiPfSC_PS2_PT2_iSB_SB_
	.p2align	8
	.type	_Z39paged_attention_ll4mi_QKV_mfma16_kernelIDF16_hLN4vllm18Fp8KVCacheDataTypeE1EDF16_Li16ELi128ELi256ELb1ELi5EEvPKT_PKT0_S7_ifPKiS9_S9_iPKfiiiPfSC_PS2_PT2_iSB_SB_,@function
_Z39paged_attention_ll4mi_QKV_mfma16_kernelIDF16_hLN4vllm18Fp8KVCacheDataTypeE1EDF16_Li16ELi128ELi256ELb1ELi5EEvPKT_PKT0_S7_ifPKiS9_S9_iPKfiiiPfSC_PS2_PT2_iSB_SB_: ; @_Z39paged_attention_ll4mi_QKV_mfma16_kernelIDF16_hLN4vllm18Fp8KVCacheDataTypeE1EDF16_Li16ELi128ELi256ELb1ELi5EEvPKT_PKT0_S7_ifPKiS9_S9_iPKfiiiPfSC_PS2_PT2_iSB_SB_
; %bb.0:
	s_load_dwordx2 s[10:11], s[0:1], 0x30
	s_mov_b32 s6, s3
	s_mov_b64 s[8:9], 0
	s_waitcnt lgkmcnt(0)
	s_cmp_lg_u64 s[10:11], 0
	s_cselect_b64 s[12:13], -1, 0
	s_and_b64 vcc, exec, s[12:13]
	s_cbranch_vccz .LBB972_7
; %bb.1:
	s_add_i32 s14, s2, 1
	s_mov_b32 s15, 0
	s_lshl_b64 s[16:17], s[14:15], 2
	s_add_u32 s16, s10, s16
	s_mov_b32 s3, s15
	s_addc_u32 s17, s11, s17
	s_lshl_b64 s[14:15], s[2:3], 2
	s_add_u32 s14, s10, s14
	s_addc_u32 s15, s11, s15
	s_load_dword s5, s[16:17], 0x0
	s_load_dword s7, s[14:15], 0x0
	s_waitcnt lgkmcnt(0)
	s_sub_i32 s5, s5, s7
	s_cmp_eq_u32 s5, 1
	s_cselect_b64 s[14:15], -1, 0
	s_andn2_b64 vcc, exec, s[8:9]
	s_cbranch_vccnz .LBB972_3
.LBB972_2:
	s_mov_b32 s3, 0
	s_mov_b64 s[14:15], -1
.LBB972_3:
	s_andn2_b64 vcc, exec, s[14:15]
	s_cbranch_vccnz .LBB972_20
; %bb.4:
	s_load_dwordx2 s[8:9], s[0:1], 0x28
	s_lshl_b64 s[14:15], s[2:3], 2
	s_waitcnt lgkmcnt(0)
	s_add_u32 s8, s8, s14
	s_addc_u32 s9, s9, s15
	s_load_dword s7, s[8:9], 0x0
	s_lshl_b32 s18, s6, 8
	s_waitcnt lgkmcnt(0)
	s_cmp_ge_i32 s18, s7
	s_cbranch_scc1 .LBB972_20
; %bb.5:
	s_load_dwordx2 s[8:9], s[0:1], 0x20
	s_load_dword s5, s[0:1], 0x38
	s_add_i32 s16, s7, 15
	s_ashr_i32 s17, s16, 31
	v_and_b32_e32 v1, 0xcf, v0
	s_lshr_b32 s17, s17, 28
	v_add_u32_e32 v1, s18, v1
	s_add_i32 s16, s16, s17
	v_ashrrev_i32_e32 v2, 31, v1
	s_ashr_i32 s19, s16, 4
	v_lshrrev_b32_e32 v4, 28, v2
	s_add_i32 s19, s19, -1
	s_waitcnt lgkmcnt(0)
	s_mul_i32 s16, s2, s5
	s_mov_b32 s17, 0
	v_add_u32_e32 v2, v1, v4
	s_lshl_b64 s[16:17], s[16:17], 2
	v_ashrrev_i32_e32 v2, 4, v2
	v_mov_b32_e32 v5, s19
	v_cmp_gt_i32_e32 vcc, s7, v1
	s_add_u32 s8, s8, s16
	s_addc_u32 s9, s9, s17
	v_cndmask_b32_e32 v2, v5, v2, vcc
	v_ashrrev_i32_e32 v3, 31, v2
	v_lshl_add_u64 v[6:7], v[2:3], 2, s[8:9]
	v_or_b32_e32 v2, 16, v1
	v_add_u32_e32 v3, v2, v4
	v_ashrrev_i32_e32 v3, 4, v3
	v_cmp_gt_i32_e32 vcc, s7, v2
	s_load_dwordx2 s[16:17], s[0:1], 0x8
	s_nop 0
	v_cndmask_b32_e32 v2, v5, v3, vcc
	v_ashrrev_i32_e32 v3, 31, v2
	v_lshl_add_u64 v[8:9], v[2:3], 2, s[8:9]
	v_or_b32_e32 v2, 32, v1
	v_add_u32_e32 v3, v2, v4
	v_ashrrev_i32_e32 v3, 4, v3
	v_cmp_gt_i32_e32 vcc, s7, v2
	v_or_b32_e32 v1, 48, v1
	s_nop 0
	v_cndmask_b32_e32 v2, v5, v3, vcc
	v_ashrrev_i32_e32 v3, 31, v2
	v_lshl_add_u64 v[12:13], v[2:3], 2, s[8:9]
	v_add_u32_e32 v2, v1, v4
	v_ashrrev_i32_e32 v2, 4, v2
	v_cmp_gt_i32_e32 vcc, s7, v1
	s_nop 1
	v_cndmask_b32_e32 v2, v5, v2, vcc
	v_ashrrev_i32_e32 v3, 31, v2
	v_lshl_add_u64 v[14:15], v[2:3], 2, s[8:9]
	global_load_dword v4, v[6:7], off
	global_load_dword v3, v[8:9], off
	;; [unrolled: 1-line block ×4, first 2 shown]
	s_andn2_b64 vcc, exec, s[12:13]
	s_cbranch_vccnz .LBB972_8
; %bb.6:
	s_add_u32 s10, s10, s14
	s_addc_u32 s11, s11, s15
	s_load_dword s5, s[10:11], 0x0
	s_branch .LBB972_9
.LBB972_7:
	s_mov_b64 s[14:15], 0
	s_branch .LBB972_2
.LBB972_8:
	s_mov_b32 s5, s2
.LBB972_9:
	s_load_dwordx2 s[10:11], s[0:1], 0x10
	s_load_dwordx4 s[44:47], s[0:1], 0x48
	v_lshrrev_b32_e32 v57, 6, v0
	v_bfe_u32 v60, v0, 4, 2
	v_and_b32_e32 v56, 15, v0
	v_lshl_or_b32 v5, v57, 2, v60
	v_lshlrev_b32_e32 v1, 3, v56
	s_mul_i32 s48, s4, 5
	v_cmp_gt_u32_e32 vcc, 5, v5
	v_lshlrev_b32_e32 v54, 1, v1
	v_lshlrev_b32_e32 v1, 4, v0
	s_and_saveexec_b64 s[12:13], vcc
	s_cbranch_execz .LBB972_11
; %bb.10:
	s_load_dwordx2 s[14:15], s[0:1], 0x0
	s_waitcnt lgkmcnt(0)
	s_ashr_i32 s20, s44, 31
	s_mul_hi_u32 s21, s5, s44
	s_mul_i32 s20, s5, s20
	s_add_i32 s21, s21, s20
	s_mul_i32 s20, s5, s44
	s_lshl_b64 s[20:21], s[20:21], 1
	s_add_u32 s14, s14, s20
	v_add_lshl_u32 v6, v5, s48, 7
	s_addc_u32 s15, s15, s21
	v_ashrrev_i32_e32 v7, 31, v6
	v_lshl_add_u64 v[6:7], v[6:7], 1, s[14:15]
	v_mov_b32_e32 v55, 0
	v_lshl_add_u64 v[6:7], v[6:7], 0, v[54:55]
	global_load_dwordx4 v[6:9], v[6:7], off
	v_lshlrev_b32_e32 v12, 8, v0
	v_lshlrev_b32_e32 v11, 8, v56
	v_and_b32_e32 v12, 0x600, v12
	s_movk_i32 s5, 0x800
	v_and_or_b32 v11, v11, s5, v12
	v_lshlrev_b32_e32 v5, 5, v5
	v_and_b32_e32 v12, 16, v1
	v_or3_b32 v5, v11, v5, v12
	s_waitcnt vmcnt(0)
	ds_write_b128 v5, v[6:9]
.LBB972_11:
	s_or_b64 exec, exec, s[12:13]
	s_waitcnt lgkmcnt(0)
	s_mul_i32 s12, s4, s46
	s_add_u32 s4, s16, s12
	s_addc_u32 s5, s17, 0
	v_and_b32_e32 v58, 0xf0, v1
	v_mov_b32_e32 v59, 0
	v_and_b32_e32 v34, 48, v0
	v_lshl_add_u64 v[12:13], s[4:5], 0, v[58:59]
	v_lshlrev_b32_e32 v58, 4, v34
	s_waitcnt vmcnt(3)
	v_mad_i64_i32 v[4:5], s[4:5], v4, s45, v[12:13]
	v_lshl_add_u64 v[4:5], v[4:5], 0, v[58:59]
	s_barrier
	global_load_dwordx4 v[50:53], v[4:5], off
	global_load_dwordx4 v[46:49], v[4:5], off offset:1024
	s_waitcnt vmcnt(4)
	v_mad_i64_i32 v[4:5], s[4:5], v3, s45, v[12:13]
	s_waitcnt vmcnt(3)
	v_mad_i64_i32 v[2:3], s[4:5], v2, s45, v[12:13]
	v_lshl_add_u64 v[4:5], v[4:5], 0, v[58:59]
	v_lshl_add_u64 v[14:15], v[2:3], 0, v[58:59]
	s_waitcnt vmcnt(2)
	v_mad_i64_i32 v[10:11], s[4:5], v10, s45, v[12:13]
	global_load_dwordx4 v[36:39], v[4:5], off
	global_load_dwordx4 v[6:9], v[4:5], off offset:1024
	s_nop 0
	global_load_dwordx4 v[2:5], v[14:15], off
	global_load_dwordx4 v[42:45], v[14:15], off offset:1024
	v_lshl_add_u64 v[14:15], v[10:11], 0, v[58:59]
	global_load_dwordx4 v[22:25], v[14:15], off
	global_load_dwordx4 v[10:13], v[14:15], off offset:1024
	v_mul_lo_u16_e32 v14, 52, v56
	v_mov_b32_e32 v15, 5
	v_mul_lo_u16_sdwa v14, v14, v15 dst_sel:DWORD dst_unused:UNUSED_PAD src0_sel:BYTE_1 src1_sel:DWORD
	v_sub_u16_e32 v14, v56, v14
	v_lshlrev_b32_sdwa v14, v15, v14 dst_sel:DWORD dst_unused:UNUSED_PAD src0_sel:DWORD src1_sel:BYTE_0
	v_lshl_add_u32 v14, v60, 9, v14
	ds_read_b128 v[30:33], v14
	ds_read_b128 v[26:29], v14 offset:16
	ds_read_b128 v[18:21], v14 offset:2048
	;; [unrolled: 1-line block ×3, first 2 shown]
	v_and_b32_e32 v55, 63, v0
	v_cmp_gt_u32_e32 vcc, 5, v56
	v_mov_b32_e32 v61, 0
	s_and_saveexec_b64 s[4:5], vcc
	s_cbranch_execz .LBB972_13
; %bb.12:
	s_load_dwordx2 s[14:15], s[0:1], 0x40
	v_add_u32_e32 v40, s48, v56
	v_ashrrev_i32_e32 v41, 31, v40
	s_waitcnt lgkmcnt(0)
	v_lshl_add_u64 v[40:41], v[40:41], 2, s[14:15]
	global_load_dword v61, v[40:41], off
.LBB972_13:
	s_or_b64 exec, exec, s[4:5]
	v_or_b32_e32 v58, s18, v34
	v_ashrrev_i32_e32 v34, 4, v58
	v_mov_b32_e32 v63, s19
	v_cmp_gt_i32_e32 vcc, s7, v58
	s_waitcnt vmcnt(7)
	v_cvt_pk_f32_fp8_e32 v[40:41], v50
	v_cvt_pk_f32_fp8_sdwa v[64:65], v50 src0_sel:WORD_1
	v_cndmask_b32_e32 v34, v63, v34, vcc
	v_ashrrev_i32_e32 v35, 31, v34
	v_lshl_add_u64 v[34:35], v[34:35], 2, s[8:9]
	global_load_dword v62, v[34:35], off
	v_or_b32_e32 v34, 64, v58
	v_ashrrev_i32_e32 v35, 4, v34
	v_cmp_gt_i32_e32 vcc, s7, v34
	v_or_b32_e32 v66, 0x80, v58
	v_ashrrev_i32_e32 v67, 4, v66
	v_cndmask_b32_e32 v34, v63, v35, vcc
	v_cmp_gt_i32_e32 vcc, s7, v66
	v_cvt_pkrtz_f16_f32 v40, v40, v41
	v_cvt_pkrtz_f16_f32 v41, v64, v65
	v_cndmask_b32_e32 v50, v63, v67, vcc
	v_cvt_pk_f32_fp8_e32 v[64:65], v51
	v_cvt_pk_f32_fp8_sdwa v[66:67], v51 src0_sel:WORD_1
	v_ashrrev_i32_e32 v51, 31, v50
	v_lshl_add_u64 v[68:69], v[50:51], 2, s[8:9]
	v_cvt_pkrtz_f16_f32 v50, v64, v65
	v_cvt_pkrtz_f16_f32 v51, v66, v67
	s_waitcnt lgkmcnt(3)
	v_mfma_f32_16x16x16_f16 v[64:67], v[40:41], v[30:31], 0
	v_cvt_pk_f32_fp8_e32 v[40:41], v52
	v_cvt_pk_f32_fp8_sdwa v[70:71], v52 src0_sel:WORD_1
	s_waitcnt vmcnt(7)
	v_cvt_pk_f32_fp8_e32 v[72:73], v46
	v_mfma_f32_16x16x16_f16 v[64:67], v[50:51], v[32:33], v[64:67]
	v_cvt_pk_f32_fp8_e32 v[50:51], v53
	v_cvt_pkrtz_f16_f32 v40, v40, v41
	v_cvt_pkrtz_f16_f32 v41, v70, v71
	v_cvt_pk_f32_fp8_sdwa v[52:53], v53 src0_sel:WORD_1
	v_cvt_pkrtz_f16_f32 v70, v50, v51
	v_cvt_pk_f32_fp8_sdwa v[74:75], v46 src0_sel:WORD_1
	v_ashrrev_i32_e32 v35, 31, v34
	v_cvt_pkrtz_f16_f32 v71, v52, v53
	s_waitcnt lgkmcnt(2)
	v_mfma_f32_16x16x16_f16 v[50:53], v[40:41], v[26:27], v[64:67]
	v_cvt_pkrtz_f16_f32 v40, v72, v73
	v_cvt_pkrtz_f16_f32 v41, v74, v75
	v_or_b32_e32 v58, 0xc0, v58
	v_cvt_pk_f32_fp8_e32 v[64:65], v47
	v_cvt_pk_f32_fp8_sdwa v[46:47], v47 src0_sel:WORD_1
	v_mfma_f32_16x16x16_f16 v[50:53], v[70:71], v[28:29], v[50:53]
	v_lshl_add_u64 v[34:35], v[34:35], 2, s[8:9]
	v_cvt_pkrtz_f16_f32 v64, v64, v65
	v_cvt_pkrtz_f16_f32 v65, v46, v47
	s_waitcnt lgkmcnt(1)
	v_mfma_f32_16x16x16_f16 v[50:53], v[40:41], v[18:19], v[50:53]
	v_ashrrev_i32_e32 v66, 4, v58
	v_cmp_gt_i32_e32 vcc, s7, v58
	v_cvt_pk_f32_fp8_e32 v[46:47], v48
	s_waitcnt vmcnt(6)
	v_cvt_pk_f32_fp8_sdwa v[70:71], v36 src0_sel:WORD_1
	v_cndmask_b32_e32 v40, v63, v66, vcc
	v_mfma_f32_16x16x16_f16 v[64:67], v[64:65], v[20:21], v[50:53]
	v_ashrrev_i32_e32 v41, 31, v40
	v_lshl_add_u64 v[40:41], v[40:41], 2, s[8:9]
	v_cvt_pkrtz_f16_f32 v46, v46, v47
	global_load_dword v53, v[34:35], off
	global_load_dword v63, v[40:41], off
	v_cvt_pk_f32_fp8_sdwa v[50:51], v48 src0_sel:WORD_1
	v_cvt_pk_f32_fp8_e32 v[34:35], v49
	v_cvt_pk_f32_fp8_sdwa v[48:49], v49 src0_sel:WORD_1
	s_add_u32 s46, s10, s12
	v_cvt_pkrtz_f16_f32 v47, v50, v51
	v_cvt_pkrtz_f16_f32 v34, v34, v35
	;; [unrolled: 1-line block ×3, first 2 shown]
	s_waitcnt lgkmcnt(0)
	v_mfma_f32_16x16x16_f16 v[46:49], v[46:47], v[14:15], v[64:67]
	v_cvt_pk_f32_fp8_e32 v[50:51], v36
	s_nop 1
	global_load_dword v64, v[68:69], off
	v_cvt_pk_f32_fp8_e32 v[66:67], v37
	s_waitcnt vmcnt(8)
	v_cvt_pk_f32_fp8_e32 v[68:69], v6
	v_cvt_pkrtz_f16_f32 v50, v50, v51
	v_cvt_pkrtz_f16_f32 v51, v70, v71
	v_cvt_pk_f32_fp8_sdwa v[70:71], v37 src0_sel:WORD_1
	v_cvt_pkrtz_f16_f32 v40, v66, v67
	v_mfma_f32_16x16x16_f16 v[34:37], v[34:35], v[16:17], v[46:49]
	v_cvt_pk_f32_fp8_sdwa v[66:67], v38 src0_sel:WORD_1
	v_cvt_pkrtz_f16_f32 v41, v70, v71
	v_cvt_pk_f32_fp8_sdwa v[70:71], v6 src0_sel:WORD_1
	v_mfma_f32_16x16x16_f16 v[46:49], v[50:51], v[30:31], 0
	v_cvt_pk_f32_fp8_e32 v[50:51], v38
	v_lshl_or_b32 v52, v57, 4, v56
	s_waitcnt vmcnt(6)
	v_cvt_pk_f32_fp8_e32 v[72:73], v43
	v_mfma_f32_16x16x16_f16 v[46:49], v[40:41], v[32:33], v[46:49]
	v_cvt_pk_f32_fp8_e32 v[40:41], v39
	v_cvt_pkrtz_f16_f32 v50, v50, v51
	v_cvt_pkrtz_f16_f32 v51, v66, v67
	v_cvt_pk_f32_fp8_sdwa v[38:39], v39 src0_sel:WORD_1
	v_cvt_pkrtz_f16_f32 v66, v40, v41
	s_addc_u32 s47, s11, 0
	v_lshlrev_b32_e32 v58, 4, v52
	v_cvt_pkrtz_f16_f32 v67, v38, v39
	v_mfma_f32_16x16x16_f16 v[38:41], v[50:51], v[26:27], v[46:49]
	v_cvt_pk_f32_fp8_sdwa v[50:51], v2 src0_sel:WORD_1
	s_nop 1
	v_cvt_pkrtz_f16_f32 v46, v68, v69
	v_cvt_pkrtz_f16_f32 v47, v70, v71
	v_cvt_pk_f32_fp8_e32 v[48:49], v7
	v_cvt_pk_f32_fp8_sdwa v[6:7], v7 src0_sel:WORD_1
	v_mfma_f32_16x16x16_f16 v[38:41], v[66:67], v[28:29], v[38:41]
	v_lshl_add_u64 v[70:71], s[46:47], 0, v[58:59]
	v_cvt_pkrtz_f16_f32 v48, v48, v49
	v_cvt_pkrtz_f16_f32 v49, v6, v7
	v_mfma_f32_16x16x16_f16 v[38:41], v[46:47], v[18:19], v[38:41]
	v_cvt_pk_f32_fp8_e32 v[6:7], v8
	v_cvt_pk_f32_fp8_sdwa v[46:47], v8 src0_sel:WORD_1
	v_or_b32_e32 v58, 0x400, v58
	v_mfma_f32_16x16x16_f16 v[38:41], v[48:49], v[20:21], v[38:41]
	v_cvt_pk_f32_fp8_e32 v[48:49], v9
	v_cvt_pkrtz_f16_f32 v6, v6, v7
	v_cvt_pkrtz_f16_f32 v7, v46, v47
	v_cvt_pk_f32_fp8_sdwa v[8:9], v9 src0_sel:WORD_1
	v_cvt_pkrtz_f16_f32 v46, v48, v49
	v_cvt_pk_f32_fp8_e32 v[48:49], v2
	v_cvt_pkrtz_f16_f32 v47, v8, v9
	v_mfma_f32_16x16x16_f16 v[6:9], v[6:7], v[14:15], v[38:41]
	v_cvt_pkrtz_f16_f32 v48, v48, v49
	v_cvt_pkrtz_f16_f32 v49, v50, v51
	v_cvt_pk_f32_fp8_e32 v[50:51], v3
	v_cvt_pk_f32_fp8_sdwa v[2:3], v3 src0_sel:WORD_1
	v_mfma_f32_16x16x16_f16 v[38:41], v[46:47], v[16:17], v[6:9]
	v_cvt_pkrtz_f16_f32 v46, v50, v51
	v_cvt_pkrtz_f16_f32 v47, v2, v3
	v_mfma_f32_16x16x16_f16 v[6:9], v[48:49], v[30:31], 0
	v_cvt_pk_f32_fp8_e32 v[2:3], v4
	v_cvt_pk_f32_fp8_sdwa v[48:49], v4 src0_sel:WORD_1
	s_waitcnt vmcnt(3)
	v_mad_i64_i32 v[50:51], s[4:5], v62, s45, v[70:71]
	v_cvt_pkrtz_f16_f32 v2, v2, v3
	v_cvt_pkrtz_f16_f32 v3, v48, v49
	v_mfma_f32_16x16x16_f16 v[6:9], v[46:47], v[32:33], v[6:9]
	v_cvt_pk_f32_fp8_e32 v[46:47], v5
	v_cvt_pk_f32_fp8_sdwa v[4:5], v5 src0_sel:WORD_1
	s_waitcnt vmcnt(2)
	v_mad_i64_i32 v[66:67], s[4:5], v53, s45, v[70:71]
	v_cvt_pkrtz_f16_f32 v46, v46, v47
	v_cvt_pkrtz_f16_f32 v47, v4, v5
	v_mfma_f32_16x16x16_f16 v[2:5], v[2:3], v[26:27], v[6:9]
	s_nop 2
	v_cvt_pk_f32_fp8_e32 v[6:7], v42
	v_cvt_pk_f32_fp8_sdwa v[8:9], v42 src0_sel:WORD_1
	v_cvt_pk_f32_fp8_sdwa v[42:43], v43 src0_sel:WORD_1
	v_mfma_f32_16x16x16_f16 v[46:49], v[46:47], v[28:29], v[2:5]
	v_cvt_pkrtz_f16_f32 v68, v6, v7
	v_cvt_pkrtz_f16_f32 v69, v8, v9
	global_load_dwordx4 v[6:9], v[50:51], off
	global_load_dwordx4 v[2:5], v[66:67], off
	v_cvt_pkrtz_f16_f32 v66, v72, v73
	v_cvt_pkrtz_f16_f32 v67, v42, v43
	v_mfma_f32_16x16x16_f16 v[48:51], v[68:69], v[18:19], v[46:49]
	v_cvt_pk_f32_fp8_e32 v[42:43], v44
	v_cvt_pk_f32_fp8_sdwa v[72:73], v44 src0_sel:WORD_1
	s_waitcnt vmcnt(2)
	v_mad_i64_i32 v[46:47], s[4:5], v64, s45, v[70:71]
	v_mfma_f32_16x16x16_f16 v[66:69], v[66:67], v[20:21], v[48:51]
	v_cvt_pkrtz_f16_f32 v42, v42, v43
	v_cvt_pkrtz_f16_f32 v43, v72, v73
	v_cvt_pk_f32_fp8_sdwa v[72:73], v22 src0_sel:WORD_1
	v_cvt_pk_f32_fp8_e32 v[50:51], v45
	v_cvt_pk_f32_fp8_sdwa v[44:45], v45 src0_sel:WORD_1
	v_mad_i64_i32 v[48:49], s[4:5], v63, s45, v[70:71]
	v_cvt_pkrtz_f16_f32 v50, v50, v51
	v_cvt_pkrtz_f16_f32 v51, v44, v45
	v_mfma_f32_16x16x16_f16 v[42:45], v[42:43], v[14:15], v[66:69]
	v_cvt_pk_f32_fp8_e32 v[70:71], v22
	s_load_dword s4, s[0:1], 0x1c
	s_load_dwordx4 s[40:43], s[0:1], 0x80
	s_load_dword s33, s[0:1], 0x98
	s_waitcnt lgkmcnt(0)
	s_load_dword s5, s[40:41], 0x0
	v_mfma_f32_16x16x16_f16 v[66:69], v[50:51], v[16:17], v[42:45]
	s_mov_b32 s40, 0xff7fffff
	s_nop 1
	v_cvt_pk_f32_fp8_e32 v[42:43], v23
	v_cvt_pkrtz_f16_f32 v44, v70, v71
	v_cvt_pkrtz_f16_f32 v45, v72, v73
	v_cvt_pk_f32_fp8_sdwa v[22:23], v23 src0_sel:WORD_1
	v_cvt_pkrtz_f16_f32 v50, v42, v43
	v_cvt_pk_f32_fp8_e32 v[70:71], v24
	v_cvt_pk_f32_fp8_sdwa v[72:73], v24 src0_sel:WORD_1
	v_cvt_pkrtz_f16_f32 v51, v22, v23
	v_mfma_f32_16x16x16_f16 v[42:45], v[44:45], v[30:31], 0
	v_cvt_pkrtz_f16_f32 v30, v70, v71
	v_cvt_pkrtz_f16_f32 v31, v72, v73
	v_cvt_pk_f32_fp8_e32 v[70:71], v25
	v_cvt_pk_f32_fp8_sdwa v[72:73], v25 src0_sel:WORD_1
	v_mfma_f32_16x16x16_f16 v[22:25], v[50:51], v[32:33], v[42:45]
	v_mov_b32_e32 v32, s4
	s_waitcnt lgkmcnt(0)
	v_mul_f32_e32 v50, s5, v32
	v_pk_mul_f32 v[32:33], v[50:51], v[34:35] op_sel_hi:[0,1]
	v_cvt_pkrtz_f16_f32 v42, v70, v71
	v_cvt_pkrtz_f16_f32 v43, v72, v73
	v_mfma_f32_16x16x16_f16 v[22:25], v[30:31], v[26:27], v[22:25]
	v_pk_mul_f32 v[30:31], v[50:51], v[36:37] op_sel_hi:[0,1]
	v_cvt_pk_f32_fp8_e32 v[26:27], v11
	v_cvt_pk_f32_fp8_sdwa v[70:71], v12 src0_sel:WORD_1
	v_mfma_f32_16x16x16_f16 v[34:37], v[42:43], v[28:29], v[22:25]
	v_pk_mul_f32 v[40:41], v[50:51], v[40:41] op_sel_hi:[0,1]
	v_cvt_pkrtz_f16_f32 v44, v26, v27
	s_nop 0
	v_cvt_pk_f32_fp8_e32 v[22:23], v10
	v_cvt_pk_f32_fp8_sdwa v[24:25], v10 src0_sel:WORD_1
	v_cvt_pk_f32_fp8_sdwa v[10:11], v11 src0_sel:WORD_1
	v_cvt_pkrtz_f16_f32 v42, v22, v23
	v_cvt_pkrtz_f16_f32 v43, v24, v25
	;; [unrolled: 1-line block ×3, first 2 shown]
	v_cvt_pk_f32_fp8_e32 v[10:11], v12
	v_mfma_f32_16x16x16_f16 v[34:37], v[42:43], v[18:19], v[34:37]
	global_load_dwordx4 v[26:29], v[46:47], off
	global_load_dwordx4 v[22:25], v[48:49], off
	v_cvt_pkrtz_f16_f32 v18, v10, v11
	v_cvt_pkrtz_f16_f32 v19, v70, v71
	v_cvt_pk_f32_fp8_e32 v[42:43], v13
	v_cvt_pk_f32_fp8_sdwa v[46:47], v13 src0_sel:WORD_1
	v_mfma_f32_16x16x16_f16 v[10:13], v[44:45], v[20:21], v[34:37]
	v_pk_mul_f32 v[44:45], v[50:51], v[38:39] op_sel_hi:[0,1]
	v_cvt_pkrtz_f16_f32 v20, v42, v43
	v_cvt_pkrtz_f16_f32 v21, v46, v47
	v_mfma_f32_16x16x16_f16 v[10:13], v[18:19], v[14:15], v[10:13]
	v_pk_mul_f32 v[38:39], v[50:51], v[68:69] op_sel_hi:[0,1]
	v_pk_mul_f32 v[42:43], v[50:51], v[66:67] op_sel_hi:[0,1]
	v_mfma_f32_16x16x16_f16 v[10:13], v[20:21], v[16:17], v[10:13]
	s_nop 6
	v_pk_mul_f32 v[36:37], v[50:51], v[10:11] op_sel_hi:[0,1]
	v_and_b32_e32 v10, 0xc0, v0
	v_add_u32_e32 v10, s18, v10
	v_lshl_or_b32 v10, v60, 2, v10
	v_or_b32_e32 v11, 1, v10
	v_pk_mul_f32 v[34:35], v[50:51], v[12:13] op_sel_hi:[0,1]
	v_subrev_u32_e32 v12, s7, v11
	v_add_u32_e32 v14, 1, v12
	v_add_u32_e32 v15, 2, v12
	v_cvt_f32_i32_e32 v13, v12
	v_cvt_f32_i32_e32 v14, v14
	;; [unrolled: 1-line block ×3, first 2 shown]
	v_add_u32_e32 v16, 3, v12
	v_fma_f32 v18, v61, v13, v32
	v_fmac_f32_e32 v33, v61, v14
	v_fma_f32 v48, v61, v15, v30
	v_add_u32_e32 v13, 16, v12
	v_add_u32_e32 v14, 17, v12
	;; [unrolled: 1-line block ×3, first 2 shown]
	v_cvt_f32_i32_e32 v16, v16
	v_cvt_f32_i32_e32 v13, v13
	;; [unrolled: 1-line block ×4, first 2 shown]
	v_fmac_f32_e32 v31, v61, v16
	v_add_u32_e32 v16, 19, v12
	v_fma_f32 v44, v61, v13, v44
	v_fmac_f32_e32 v45, v61, v14
	v_fma_f32 v40, v61, v15, v40
	v_add_u32_e32 v13, 32, v12
	v_add_u32_e32 v14, 33, v12
	;; [unrolled: 1-line block ×3, first 2 shown]
	v_cvt_f32_i32_e32 v16, v16
	v_cvt_f32_i32_e32 v13, v13
	;; [unrolled: 1-line block ×4, first 2 shown]
	v_fmac_f32_e32 v41, v61, v16
	v_add_u32_e32 v16, 35, v12
	v_fma_f32 v42, v61, v13, v42
	v_fmac_f32_e32 v43, v61, v14
	v_fma_f32 v38, v61, v15, v38
	v_add_u32_e32 v13, 48, v12
	v_add_u32_e32 v14, 49, v12
	;; [unrolled: 1-line block ×4, first 2 shown]
	v_cvt_f32_i32_e32 v12, v12
	v_cvt_f32_i32_e32 v13, v13
	;; [unrolled: 1-line block ×3, first 2 shown]
	v_cmp_gt_i32_e64 s[8:9], s7, v10
	v_fmac_f32_e32 v35, v61, v12
	v_mov_b32_e32 v12, 0xff7fffff
	v_cmp_gt_i32_e64 s[10:11], s7, v11
	v_fma_f32 v36, v61, v13, v36
	v_cndmask_b32_e64 v13, v12, v18, s[8:9]
	v_cndmask_b32_e64 v11, v12, v33, s[10:11]
	v_fmac_f32_e32 v37, v61, v14
	v_max3_f32 v11, v13, s40, v11
	v_or_b32_e32 v13, 2, v10
	v_or_b32_e32 v14, 3, v10
	v_cmp_gt_i32_e64 s[12:13], s7, v13
	v_cmp_gt_i32_e64 s[14:15], s7, v14
	v_cvt_f32_i32_e32 v16, v16
	v_cndmask_b32_e64 v13, v12, v48, s[12:13]
	v_cndmask_b32_e64 v14, v12, v31, s[14:15]
	v_max3_f32 v11, v11, v13, v14
	v_or_b32_e32 v13, 16, v10
	v_or_b32_e32 v14, 17, v10
	v_cmp_gt_i32_e64 s[16:17], s7, v13
	v_cmp_gt_i32_e64 s[18:19], s7, v14
	v_fmac_f32_e32 v39, v61, v16
	v_cndmask_b32_e64 v13, v12, v44, s[16:17]
	v_cndmask_b32_e64 v14, v12, v45, s[18:19]
	v_max3_f32 v11, v11, v13, v14
	v_or_b32_e32 v13, 18, v10
	v_or_b32_e32 v14, 19, v10
	v_cmp_gt_i32_e64 s[20:21], s7, v13
	v_cmp_gt_i32_e64 s[22:23], s7, v14
	v_cvt_f32_i32_e32 v15, v15
	v_cndmask_b32_e64 v13, v12, v40, s[20:21]
	v_cndmask_b32_e64 v14, v12, v41, s[22:23]
	v_max3_f32 v11, v11, v13, v14
	v_or_b32_e32 v13, 32, v10
	v_or_b32_e32 v14, 33, v10
	v_cmp_gt_i32_e64 s[24:25], s7, v13
	v_cmp_gt_i32_e64 s[26:27], s7, v14
	v_fma_f32 v34, v61, v15, v34
	v_cndmask_b32_e64 v13, v12, v42, s[24:25]
	v_cndmask_b32_e64 v14, v12, v43, s[26:27]
	v_max3_f32 v11, v11, v13, v14
	v_or_b32_e32 v13, 34, v10
	v_or_b32_e32 v14, 35, v10
	v_cmp_gt_i32_e64 s[28:29], s7, v13
	v_cmp_gt_i32_e64 s[30:31], s7, v14
	s_nop 0
	v_cndmask_b32_e64 v13, v12, v38, s[28:29]
	v_cndmask_b32_e64 v14, v12, v39, s[30:31]
	v_max3_f32 v11, v11, v13, v14
	v_or_b32_e32 v13, 48, v10
	v_or_b32_e32 v14, 49, v10
	v_cmp_gt_i32_e64 s[34:35], s7, v13
	v_cmp_gt_i32_e64 s[36:37], s7, v14
	s_nop 0
	v_cndmask_b32_e64 v13, v12, v36, s[34:35]
	v_cndmask_b32_e64 v14, v12, v37, s[36:37]
	v_max3_f32 v11, v11, v13, v14
	v_or_b32_e32 v13, 50, v10
	v_or_b32_e32 v10, 51, v10
	v_cmp_gt_i32_e32 vcc, s7, v13
	v_cmp_gt_i32_e64 s[4:5], s7, v10
	s_nop 0
	v_cndmask_b32_e32 v13, v12, v34, vcc
	v_cndmask_b32_e64 v10, v12, v35, s[4:5]
	v_max3_f32 v14, v11, v13, v10
	v_mbcnt_lo_u32_b32 v10, -1, 0
	v_mbcnt_hi_u32_b32 v15, -1, v10
	v_and_b32_e32 v10, 64, v15
	v_add_u32_e32 v16, 64, v10
	v_xor_b32_e32 v10, 32, v15
	v_cmp_lt_i32_e64 s[38:39], v10, v16
	s_nop 1
	v_cndmask_b32_e64 v10, v15, v10, s[38:39]
	v_lshlrev_b32_e32 v51, 2, v10
	ds_bpermute_b32 v17, v51, v14
	v_lshl_add_u64 v[10:11], s[46:47], 0, v[58:59]
	v_mad_i64_i32 v[12:13], s[38:39], v62, s45, v[10:11]
	s_waitcnt lgkmcnt(0)
	v_max_f32_e32 v17, v17, v17
	v_max_f32_e32 v19, v14, v17
	v_xor_b32_e32 v14, 16, v15
	v_cmp_lt_i32_e64 s[38:39], v14, v16
	s_nop 1
	v_cndmask_b32_e64 v14, v15, v14, s[38:39]
	v_lshlrev_b32_e32 v58, 2, v14
	ds_bpermute_b32 v20, v58, v19
	v_mad_i64_i32 v[14:15], s[38:39], v53, s45, v[10:11]
	v_mad_i64_i32 v[16:17], s[38:39], v64, s45, v[10:11]
	s_waitcnt lgkmcnt(0)
	v_max_f32_e32 v20, v20, v20
	v_max_f32_e32 v50, v19, v20
	v_sub_f32_e32 v18, v18, v50
	v_sub_f32_e32 v19, v33, v50
	v_mul_f32_e32 v18, 0x3fb8aa3b, v18
	v_mul_f32_e32 v19, 0x3fb8aa3b, v19
	v_exp_f32_e32 v18, v18
	v_exp_f32_e32 v19, v19
	v_sub_f32_e32 v49, v31, v50
	v_mad_i64_i32 v[10:11], s[38:39], v63, s45, v[10:11]
	v_cndmask_b32_e64 v46, 0, v18, s[8:9]
	v_cndmask_b32_e64 v47, 0, v19, s[10:11]
	global_load_dwordx4 v[30:33], v[12:13], off
	global_load_dwordx4 v[18:21], v[14:15], off
	v_sub_f32_e32 v12, v48, v50
	v_mul_f32_e32 v12, 0x3fb8aa3b, v12
	v_exp_f32_e32 v48, v12
	global_load_dwordx4 v[14:17], v[16:17], off
	s_nop 0
	global_load_dwordx4 v[10:13], v[10:11], off
	v_sub_f32_e32 v40, v40, v50
	v_sub_f32_e32 v42, v42, v50
	v_mul_f32_e32 v40, 0x3fb8aa3b, v40
	v_mul_f32_e32 v42, 0x3fb8aa3b, v42
	v_exp_f32_e32 v40, v40
	v_exp_f32_e32 v53, v42
	v_mul_f32_e32 v49, 0x3fb8aa3b, v49
	v_sub_f32_e32 v44, v44, v50
	v_exp_f32_e32 v49, v49
	v_mul_f32_e32 v44, 0x3fb8aa3b, v44
	v_sub_f32_e32 v45, v45, v50
	v_sub_f32_e32 v42, v43, v50
	v_exp_f32_e32 v44, v44
	v_mul_f32_e32 v45, 0x3fb8aa3b, v45
	v_mul_f32_e32 v42, 0x3fb8aa3b, v42
	v_exp_f32_e32 v45, v45
	v_sub_f32_e32 v41, v41, v50
	v_exp_f32_e32 v59, v42
	v_cndmask_b32_e64 v42, 0, v40, s[20:21]
	v_cndmask_b32_e64 v40, 0, v53, s[24:25]
	v_add_f32_e32 v53, 0, v46
	v_cndmask_b32_e64 v48, 0, v48, s[12:13]
	v_mul_f32_e32 v41, 0x3fb8aa3b, v41
	v_add_f32_e32 v53, v53, v47
	v_cndmask_b32_e64 v49, 0, v49, s[14:15]
	v_exp_f32_e32 v41, v41
	v_add_f32_e32 v53, v53, v48
	v_cndmask_b32_e64 v44, 0, v44, s[16:17]
	v_sub_f32_e32 v38, v38, v50
	v_add_f32_e32 v53, v53, v49
	v_cndmask_b32_e64 v45, 0, v45, s[18:19]
	v_sub_f32_e32 v39, v39, v50
	v_mul_f32_e32 v38, 0x3fb8aa3b, v38
	v_add_f32_e32 v53, v53, v44
	v_exp_f32_e32 v38, v38
	v_mul_f32_e32 v39, 0x3fb8aa3b, v39
	v_sub_f32_e32 v36, v36, v50
	v_add_f32_e32 v53, v53, v45
	v_cndmask_b32_e64 v43, 0, v41, s[22:23]
	v_exp_f32_e32 v39, v39
	v_mul_f32_e32 v36, 0x3fb8aa3b, v36
	v_sub_f32_e32 v37, v37, v50
	v_add_f32_e32 v53, v53, v42
	v_exp_f32_e32 v36, v36
	v_mul_f32_e32 v37, 0x3fb8aa3b, v37
	v_add_f32_e32 v53, v53, v43
	v_sub_f32_e32 v34, v34, v50
	v_cndmask_b32_e64 v41, 0, v59, s[26:27]
	v_exp_f32_e32 v37, v37
	v_add_f32_e32 v53, v53, v40
	v_mul_f32_e32 v34, 0x3fb8aa3b, v34
	v_sub_f32_e32 v35, v35, v50
	v_cndmask_b32_e64 v38, 0, v38, s[28:29]
	v_add_f32_e32 v53, v53, v41
	v_exp_f32_e32 v34, v34
	v_mul_f32_e32 v35, 0x3fb8aa3b, v35
	v_cndmask_b32_e64 v39, 0, v39, s[30:31]
	v_add_f32_e32 v53, v53, v38
	v_exp_f32_e32 v35, v35
	v_cndmask_b32_e64 v36, 0, v36, s[34:35]
	v_add_f32_e32 v53, v53, v39
	v_cndmask_b32_e64 v37, 0, v37, s[36:37]
	v_add_f32_e32 v53, v53, v36
	v_add_f32_e32 v53, v53, v37
	v_cndmask_b32_e32 v34, 0, v34, vcc
	v_add_f32_e32 v53, v53, v34
	v_cndmask_b32_e64 v35, 0, v35, s[4:5]
	v_add_f32_e32 v53, v53, v35
	ds_bpermute_b32 v51, v51, v53
	v_cmp_gt_u32_e64 s[4:5], 16, v55
	s_waitcnt lgkmcnt(0)
	s_barrier
	v_add_f32_e32 v51, v53, v51
	ds_bpermute_b32 v53, v58, v51
	s_and_saveexec_b64 s[8:9], s[4:5]
	s_cbranch_execz .LBB972_15
; %bb.14:
	s_waitcnt lgkmcnt(0)
	v_add_f32_e32 v51, v51, v53
	v_lshlrev_b32_e32 v52, 2, v52
	ds_write2st64_b32 v52, v50, v51 offset1:1
.LBB972_15:
	s_or_b64 exec, exec, s[8:9]
	v_lshlrev_b32_e32 v51, 2, v56
	s_load_dword s7, s[0:1], 0x94
	s_waitcnt lgkmcnt(0)
	s_barrier
	ds_read2_b32 v[52:53], v51 offset1:16
	ds_read2_b32 v[58:59], v51 offset0:32 offset1:48
	ds_read2_b32 v[62:63], v51 offset0:64 offset1:80
	s_mul_i32 s10, s33, 5
	s_waitcnt lgkmcnt(2)
	v_max3_f32 v50, v52, s40, v53
	s_waitcnt lgkmcnt(1)
	v_max3_f32 v50, v50, v58, v59
	v_sub_f32_e32 v52, v52, v50
	v_mul_f32_e32 v52, 0x3fb8aa3b, v52
	v_exp_f32_e32 v55, v52
	v_sub_f32_e32 v52, v53, v50
	v_mul_f32_e32 v52, 0x3fb8aa3b, v52
	v_exp_f32_e32 v61, v52
	;; [unrolled: 3-line block ×3, first 2 shown]
	ds_read2_b32 v[52:53], v51 offset0:96 offset1:112
	v_sub_f32_e32 v51, v59, v50
	v_mul_f32_e32 v51, 0x3fb8aa3b, v51
	v_exp_f32_e32 v59, v51
	s_waitcnt lgkmcnt(1)
	v_fma_f32 v51, v55, v62, 0
	v_fmac_f32_e32 v51, v61, v63
	s_waitcnt lgkmcnt(0)
	v_fmac_f32_e32 v51, v58, v52
	v_fmac_f32_e32 v51, v59, v53
	v_add_f32_e32 v52, 0x358637bd, v51
	v_div_scale_f32 v53, s[8:9], v52, v52, 1.0
	v_rcp_f32_e32 v62, v53
	s_barrier
	v_fma_f32 v63, -v53, v62, 1.0
	v_fmac_f32_e32 v62, v63, v62
	v_div_scale_f32 v63, vcc, 1.0, v52, 1.0
	v_mul_f32_e32 v64, v63, v62
	v_fma_f32 v65, -v53, v64, v63
	v_fmac_f32_e32 v64, v65, v62
	v_fma_f32 v53, -v53, v64, v63
	v_div_fmas_f32 v53, v53, v62, v64
	v_cmp_eq_u32_e32 vcc, 1, v57
	v_div_fixup_f32 v52, v53, v52, 1.0
	s_nop 0
	v_cndmask_b32_e32 v53, v55, v61, vcc
	v_cmp_eq_u32_e32 vcc, 2, v57
	s_nop 1
	v_cndmask_b32_e32 v53, v53, v58, vcc
	v_cmp_eq_u32_e32 vcc, 3, v57
	s_nop 1
	v_cndmask_b32_e32 v53, v53, v59, vcc
	v_mul_f32_e32 v52, v53, v52
	v_pk_mul_f32 v[48:49], v[52:53], v[48:49] op_sel_hi:[0,1]
	v_pk_mul_f32 v[46:47], v[52:53], v[46:47] op_sel_hi:[0,1]
	v_cvt_f16_f32_e32 v53, v48
	v_cvt_f16_f32_e32 v49, v49
	;; [unrolled: 1-line block ×4, first 2 shown]
	v_pk_mul_f32 v[42:43], v[52:53], v[42:43] op_sel_hi:[0,1]
	v_pk_mul_f32 v[44:45], v[52:53], v[44:45] op_sel_hi:[0,1]
	v_pack_b32_f16 v49, v53, v49
	v_cvt_f16_f32_e32 v44, v44
	v_cvt_f16_f32_e32 v45, v45
	;; [unrolled: 1-line block ×4, first 2 shown]
	v_pack_b32_f16 v48, v46, v47
	v_lshlrev_b32_e32 v47, 3, v60
	v_lshlrev_b32_e32 v46, 5, v56
	;; [unrolled: 1-line block ×3, first 2 shown]
	v_or3_b32 v55, v42, v46, v47
	v_pack_b32_f16 v42, v44, v45
	v_pack_b32_f16 v43, v53, v43
	v_pk_mul_f32 v[38:39], v[52:53], v[38:39] op_sel_hi:[0,1]
	v_pk_mul_f32 v[40:41], v[52:53], v[40:41] op_sel_hi:[0,1]
	v_pk_mul_f32 v[34:35], v[52:53], v[34:35] op_sel_hi:[0,1]
	v_pk_mul_f32 v[36:37], v[52:53], v[36:37] op_sel_hi:[0,1]
	ds_write2st64_b64 v55, v[48:49], v[42:43] offset1:1
	v_cvt_f16_f32_e32 v40, v40
	v_cvt_f16_f32_e32 v41, v41
	;; [unrolled: 1-line block ×8, first 2 shown]
	v_pack_b32_f16 v34, v40, v41
	v_pack_b32_f16 v35, v38, v39
	;; [unrolled: 1-line block ×4, first 2 shown]
	v_cmp_gt_u32_e32 vcc, 5, v0
	ds_write2st64_b64 v55, v[34:35], v[36:37] offset0:2 offset1:3
	s_and_saveexec_b64 s[8:9], vcc
	s_cbranch_execz .LBB972_17
; %bb.16:
	s_mov_b32 s49, 0
	v_mov_b32_e32 v57, 0
	v_lshl_add_u64 v[34:35], s[48:49], 0, v[56:57]
	v_mov_b32_e32 v36, s10
	v_mad_u64_u32 v[34:35], s[16:17], s2, v36, v[34:35]
	s_mul_i32 s3, s3, s10
	v_mov_b32_e32 v36, s6
	v_mov_b32_e32 v37, v57
	s_load_dwordx4 s[12:15], s[0:1], 0x58
	v_add_u32_e32 v38, s3, v35
	v_mad_u64_u32 v[34:35], s[16:17], v34, s7, v[36:37]
	v_mov_b32_e32 v36, v35
	v_mad_u64_u32 v[36:37], s[16:17], v38, s7, v[36:37]
	v_mov_b32_e32 v35, v36
	v_lshlrev_b64 v[34:35], 2, v[34:35]
	s_waitcnt lgkmcnt(0)
	v_lshl_add_u64 v[36:37], s[14:15], 0, v[34:35]
	v_lshl_add_u64 v[34:35], s[12:13], 0, v[34:35]
	global_store_dword v[36:37], v50, off
	global_store_dword v[34:35], v51, off
.LBB972_17:
	s_or_b64 exec, exec, s[8:9]
	s_waitcnt vmcnt(7)
	v_cvt_pk_f32_fp8_e32 v[34:35], v6
	v_cvt_pk_f32_fp8_sdwa v[36:37], v6 src0_sel:WORD_1
	v_lshl_or_b32 v50, v60, 9, v46
	s_waitcnt lgkmcnt(0)
	s_barrier
	v_cvt_pk_f32_fp8_e32 v[38:39], v7
	v_cvt_pkrtz_f16_f32 v6, v34, v35
	v_cvt_pk_f32_fp8_sdwa v[40:41], v7 src0_sel:WORD_1
	v_cvt_pkrtz_f16_f32 v7, v36, v37
	ds_read_b128 v[34:37], v50
	v_cvt_pkrtz_f16_f32 v46, v38, v39
	v_cvt_pkrtz_f16_f32 v47, v40, v41
	ds_read_b128 v[38:41], v50 offset:16
	v_cvt_pk_f32_fp8_e32 v[48:49], v8
	v_cvt_pk_f32_fp8_sdwa v[52:53], v8 src0_sel:WORD_1
	s_waitcnt lgkmcnt(1)
	v_mfma_f32_16x16x16_f16 v[42:45], v[6:7], v[34:35], 0
	s_waitcnt vmcnt(6)
	v_cvt_pk_f32_fp8_e32 v[58:59], v4
	v_cvt_pkrtz_f16_f32 v6, v48, v49
	v_cvt_pkrtz_f16_f32 v7, v52, v53
	v_cvt_pk_f32_fp8_e32 v[48:49], v9
	v_mfma_f32_16x16x16_f16 v[42:45], v[46:47], v[36:37], v[42:45]
	v_cvt_pk_f32_fp8_sdwa v[46:47], v9 src0_sel:WORD_1
	v_cvt_pk_f32_fp8_sdwa v[62:63], v4 src0_sel:WORD_1
	v_cvt_pkrtz_f16_f32 v48, v48, v49
	s_waitcnt lgkmcnt(0)
	v_mfma_f32_16x16x16_f16 v[6:9], v[6:7], v[38:39], v[42:45]
	v_cvt_pkrtz_f16_f32 v49, v46, v47
	s_waitcnt vmcnt(5)
	v_cvt_pk_f32_fp8_sdwa v[66:67], v28 src0_sel:WORD_1
	s_waitcnt vmcnt(4)
	v_cvt_pk_f32_fp8_sdwa v[68:69], v24 src0_sel:WORD_1
	v_cvt_pk_f32_fp8_e32 v[42:43], v2
	v_mfma_f32_16x16x16_f16 v[46:49], v[48:49], v[40:41], v[6:9]
	s_waitcnt vmcnt(3)
	v_cvt_pk_f32_fp8_sdwa v[70:71], v32 src0_sel:WORD_1
	s_load_dword s8, s[42:43], 0x0
	v_cvt_pk_f32_fp8_sdwa v[6:7], v2 src0_sel:WORD_1
	v_cvt_pk_f32_fp8_e32 v[8:9], v3
	v_cvt_pkrtz_f16_f32 v2, v42, v43
	v_cvt_pk_f32_fp8_sdwa v[42:43], v3 src0_sel:WORD_1
	v_cvt_pkrtz_f16_f32 v3, v6, v7
	v_cvt_pkrtz_f16_f32 v52, v8, v9
	ds_read_b128 v[6:9], v50 offset:2048
	v_cvt_pkrtz_f16_f32 v53, v42, v43
	ds_read_b128 v[42:45], v50 offset:2064
	s_waitcnt lgkmcnt(0)
	v_mfma_f32_16x16x16_f16 v[46:49], v[2:3], v[6:7], v[46:49]
	v_cvt_pkrtz_f16_f32 v2, v58, v59
	v_cvt_pkrtz_f16_f32 v3, v62, v63
	v_cvt_pk_f32_fp8_e32 v[58:59], v5
	v_mfma_f32_16x16x16_f16 v[46:49], v[52:53], v[8:9], v[46:49]
	v_cvt_pk_f32_fp8_sdwa v[52:53], v5 src0_sel:WORD_1
	s_mov_b32 s3, 0
	v_cvt_pkrtz_f16_f32 v58, v58, v59
	v_mfma_f32_16x16x16_f16 v[2:5], v[2:3], v[42:43], v[46:49]
	v_cvt_pkrtz_f16_f32 v59, v52, v53
	v_cmp_gt_u32_e32 vcc, 64, v0
	s_nop 0
	v_cvt_pk_f32_fp8_e32 v[46:47], v26
	v_mfma_f32_16x16x16_f16 v[62:65], v[58:59], v[44:45], v[2:5]
	v_cvt_pk_f32_fp8_e32 v[58:59], v28
	s_nop 1
	v_cvt_pk_f32_fp8_sdwa v[2:3], v26 src0_sel:WORD_1
	v_cvt_pk_f32_fp8_e32 v[4:5], v27
	v_cvt_pkrtz_f16_f32 v26, v46, v47
	v_cvt_pk_f32_fp8_sdwa v[46:47], v27 src0_sel:WORD_1
	v_cvt_pkrtz_f16_f32 v27, v2, v3
	v_cvt_pkrtz_f16_f32 v52, v4, v5
	ds_read_b128 v[2:5], v50 offset:4096
	v_cvt_pkrtz_f16_f32 v53, v46, v47
	ds_read_b128 v[46:49], v50 offset:4112
	s_waitcnt lgkmcnt(1)
	v_mfma_f32_16x16x16_f16 v[62:65], v[26:27], v[2:3], v[62:65]
	v_cvt_pkrtz_f16_f32 v26, v58, v59
	v_cvt_pkrtz_f16_f32 v27, v66, v67
	v_cvt_pk_f32_fp8_e32 v[58:59], v29
	v_mfma_f32_16x16x16_f16 v[62:65], v[52:53], v[4:5], v[62:65]
	v_cvt_pk_f32_fp8_sdwa v[52:53], v29 src0_sel:WORD_1
	v_cvt_pk_f32_fp8_e32 v[66:67], v24
	v_cvt_pkrtz_f16_f32 v58, v58, v59
	s_waitcnt lgkmcnt(0)
	v_mfma_f32_16x16x16_f16 v[26:29], v[26:27], v[46:47], v[62:65]
	v_cvt_pkrtz_f16_f32 v59, v52, v53
	v_cvt_pk_f32_fp8_e32 v[52:53], v22
	s_nop 0
	v_mfma_f32_16x16x16_f16 v[62:65], v[58:59], v[48:49], v[26:29]
	s_nop 2
	v_cvt_pk_f32_fp8_sdwa v[26:27], v22 src0_sel:WORD_1
	v_cvt_pk_f32_fp8_e32 v[28:29], v23
	v_cvt_pkrtz_f16_f32 v22, v52, v53
	v_cvt_pk_f32_fp8_sdwa v[52:53], v23 src0_sel:WORD_1
	v_cvt_pkrtz_f16_f32 v23, v26, v27
	v_cvt_pkrtz_f16_f32 v58, v28, v29
	ds_read_b128 v[26:29], v50 offset:6144
	v_cvt_pkrtz_f16_f32 v59, v52, v53
	s_waitcnt lgkmcnt(0)
	v_mfma_f32_16x16x16_f16 v[62:65], v[22:23], v[26:27], v[62:65]
	ds_read_b128 v[50:53], v50 offset:6160
	v_cvt_pkrtz_f16_f32 v22, v66, v67
	v_cvt_pkrtz_f16_f32 v23, v68, v69
	v_cvt_pk_f32_fp8_e32 v[66:67], v25
	v_mfma_f32_16x16x16_f16 v[62:65], v[58:59], v[28:29], v[62:65]
	v_cvt_pk_f32_fp8_sdwa v[58:59], v25 src0_sel:WORD_1
	v_cvt_pk_f32_fp8_e32 v[68:69], v32
	v_cvt_pkrtz_f16_f32 v66, v66, v67
	s_waitcnt lgkmcnt(0)
	v_mfma_f32_16x16x16_f16 v[22:25], v[22:23], v[50:51], v[62:65]
	v_cvt_pkrtz_f16_f32 v67, v58, v59
	v_cvt_pk_f32_fp8_e32 v[58:59], v30
	s_nop 0
	v_cvt_pk_f32_fp8_sdwa v[62:63], v30 src0_sel:WORD_1
	v_cvt_pk_f32_fp8_e32 v[64:65], v31
	v_cvt_pkrtz_f16_f32 v58, v58, v59
	v_cvt_pk_f32_fp8_sdwa v[30:31], v31 src0_sel:WORD_1
	v_cvt_pkrtz_f16_f32 v59, v62, v63
	v_mfma_f32_16x16x16_f16 v[22:25], v[66:67], v[52:53], v[22:25]
	v_cvt_pkrtz_f16_f32 v66, v64, v65
	v_cvt_pkrtz_f16_f32 v67, v30, v31
	;; [unrolled: 1-line block ×3, first 2 shown]
	v_mfma_f32_16x16x16_f16 v[62:65], v[58:59], v[34:35], 0
	v_cvt_pkrtz_f16_f32 v31, v70, v71
	v_cvt_pk_f32_fp8_e32 v[58:59], v33
	s_barrier
	v_mfma_f32_16x16x16_f16 v[34:37], v[66:67], v[36:37], v[62:65]
	v_cvt_pkrtz_f16_f32 v58, v58, v59
	s_nop 1
	v_cvt_pk_f32_fp8_sdwa v[62:63], v33 src0_sel:WORD_1
	v_mfma_f32_16x16x16_f16 v[30:33], v[30:31], v[38:39], v[34:37]
	s_waitcnt vmcnt(2)
	v_cvt_pk_f32_fp8_e32 v[38:39], v19
	v_cvt_pkrtz_f16_f32 v59, v62, v63
	v_cvt_pk_f32_fp8_e32 v[34:35], v18
	v_cvt_pk_f32_fp8_sdwa v[36:37], v18 src0_sel:WORD_1
	v_cvt_pk_f32_fp8_sdwa v[18:19], v19 src0_sel:WORD_1
	v_mfma_f32_16x16x16_f16 v[30:33], v[58:59], v[40:41], v[30:33]
	v_cvt_pkrtz_f16_f32 v34, v34, v35
	v_cvt_pkrtz_f16_f32 v35, v36, v37
	;; [unrolled: 1-line block ×3, first 2 shown]
	v_cvt_pk_f32_fp8_e32 v[38:39], v20
	v_cvt_pk_f32_fp8_sdwa v[40:41], v20 src0_sel:WORD_1
	v_cvt_pkrtz_f16_f32 v37, v18, v19
	v_mfma_f32_16x16x16_f16 v[30:33], v[34:35], v[6:7], v[30:33]
	v_cvt_pkrtz_f16_f32 v18, v38, v39
	v_cvt_pkrtz_f16_f32 v19, v40, v41
	v_cvt_pk_f32_fp8_e32 v[34:35], v21
	v_cvt_pk_f32_fp8_sdwa v[20:21], v21 src0_sel:WORD_1
	v_mfma_f32_16x16x16_f16 v[6:9], v[36:37], v[8:9], v[30:33]
	s_nop 2
	v_cvt_pkrtz_f16_f32 v30, v34, v35
	v_cvt_pkrtz_f16_f32 v31, v20, v21
	v_mfma_f32_16x16x16_f16 v[6:9], v[18:19], v[42:43], v[6:9]
	s_waitcnt vmcnt(1)
	v_cvt_pk_f32_fp8_e32 v[18:19], v14
	v_cvt_pk_f32_fp8_sdwa v[20:21], v14 src0_sel:WORD_1
	v_cvt_pk_f32_fp8_sdwa v[32:33], v16 src0_sel:WORD_1
	v_mfma_f32_16x16x16_f16 v[6:9], v[30:31], v[44:45], v[6:9]
	v_cvt_pk_f32_fp8_e32 v[30:31], v15
	v_cvt_pkrtz_f16_f32 v18, v18, v19
	v_cvt_pkrtz_f16_f32 v19, v20, v21
	v_cvt_pk_f32_fp8_sdwa v[14:15], v15 src0_sel:WORD_1
	v_cvt_pkrtz_f16_f32 v20, v30, v31
	v_cvt_pk_f32_fp8_e32 v[30:31], v16
	v_mfma_f32_16x16x16_f16 v[6:9], v[18:19], v[2:3], v[6:9]
	v_cvt_pkrtz_f16_f32 v21, v14, v15
	v_cvt_pkrtz_f16_f32 v14, v30, v31
	;; [unrolled: 1-line block ×3, first 2 shown]
	v_cvt_pk_f32_fp8_e32 v[18:19], v17
	v_cvt_pk_f32_fp8_sdwa v[16:17], v17 src0_sel:WORD_1
	v_mfma_f32_16x16x16_f16 v[2:5], v[20:21], v[4:5], v[6:9]
	s_waitcnt vmcnt(0)
	v_cvt_pk_f32_fp8_sdwa v[20:21], v12 src0_sel:WORD_1
	s_nop 0
	v_cvt_pkrtz_f16_f32 v8, v18, v19
	v_cvt_pkrtz_f16_f32 v9, v16, v17
	v_mfma_f32_16x16x16_f16 v[2:5], v[14:15], v[46:47], v[2:5]
	v_cvt_pk_f32_fp8_e32 v[16:17], v10
	v_cvt_pk_f32_fp8_sdwa v[18:19], v10 src0_sel:WORD_1
	v_pk_mul_f32 v[6:7], v[24:25], s[8:9] op_sel_hi:[1,0]
	v_mfma_f32_16x16x16_f16 v[2:5], v[8:9], v[48:49], v[2:5]
	v_cvt_pk_f32_fp8_e32 v[8:9], v11
	v_cvt_pkrtz_f16_f32 v16, v16, v17
	v_cvt_pkrtz_f16_f32 v17, v18, v19
	v_cvt_pk_f32_fp8_sdwa v[10:11], v11 src0_sel:WORD_1
	v_cvt_pkrtz_f16_f32 v8, v8, v9
	v_cvt_pk_f32_fp8_e32 v[18:19], v12
	v_mfma_f32_16x16x16_f16 v[2:5], v[16:17], v[26:27], v[2:5]
	v_cvt_pkrtz_f16_f32 v9, v10, v11
	v_cvt_pkrtz_f16_f32 v10, v18, v19
	;; [unrolled: 1-line block ×3, first 2 shown]
	v_cvt_pk_f32_fp8_e32 v[16:17], v13
	v_cvt_pk_f32_fp8_sdwa v[12:13], v13 src0_sel:WORD_1
	v_mfma_f32_16x16x16_f16 v[2:5], v[8:9], v[28:29], v[2:5]
	v_pk_mul_f32 v[14:15], v[22:23], s[8:9] op_sel_hi:[1,0]
	v_cvt_pkrtz_f16_f32 v8, v16, v17
	v_cvt_pkrtz_f16_f32 v9, v12, v13
	v_mfma_f32_16x16x16_f16 v[2:5], v[10:11], v[50:51], v[2:5]
	v_cvt_f16_f32_e32 v14, v14
	v_cvt_f16_f32_e32 v10, v15
	;; [unrolled: 1-line block ×3, first 2 shown]
	v_mfma_f32_16x16x16_f16 v[2:5], v[8:9], v[52:53], v[2:5]
	v_cvt_f16_f32_e32 v7, v7
	s_nop 5
	v_pk_mul_f32 v[4:5], v[4:5], s[8:9] op_sel_hi:[1,0]
	v_pk_mul_f32 v[2:3], v[2:3], s[8:9] op_sel_hi:[1,0]
	v_cvt_f16_f32_e32 v11, v4
	v_cvt_f16_f32_e32 v8, v2
	v_cvt_f16_f32_e32 v9, v3
	v_cvt_f16_f32_e32 v5, v5
	v_pack_b32_f16 v2, v14, v10
	v_pack_b32_f16 v3, v6, v7
	;; [unrolled: 1-line block ×4, first 2 shown]
	ds_write2st64_b64 v55, v[2:3], v[4:5] offset1:1
	s_waitcnt lgkmcnt(0)
	s_barrier
	s_and_saveexec_b64 s[8:9], vcc
	s_cbranch_execz .LBB972_20
; %bb.18:
	s_load_dwordx2 s[8:9], s[0:1], 0x68
	s_lshl_b32 s0, s7, 7
	s_mul_i32 s1, s10, s2
	v_lshlrev_b32_e32 v3, 6, v56
	s_mul_hi_u32 s11, s1, s0
	s_mul_i32 s10, s1, s0
	v_lshl_or_b32 v0, v0, 10, v3
	s_lshl_b64 s[10:11], s[10:11], 1
	v_lshlrev_b32_e32 v2, 5, v60
	v_and_b32_e32 v1, 16, v1
	v_and_b32_e32 v0, 0x1a00, v0
	s_waitcnt lgkmcnt(0)
	s_add_u32 s1, s8, s10
	v_or3_b32 v2, v0, v2, v1
	s_addc_u32 s7, s9, s11
	s_lshl_b32 s2, s6, 7
	s_lshl_b64 s[2:3], s[2:3], 1
	ds_read_b128 v[4:7], v2
	s_add_u32 s2, s1, s2
	s_addc_u32 s3, s7, s3
	v_mov_b32_e32 v55, 0
	v_add_u32_e32 v3, s48, v60
	v_lshl_add_u64 v[0:1], s[2:3], 0, v[54:55]
	v_mad_u64_u32 v[8:9], s[2:3], v3, s0, 0
	v_lshl_add_u64 v[8:9], v[8:9], 1, v[0:1]
	s_waitcnt lgkmcnt(0)
	global_store_dwordx4 v[8:9], v[4:7], off
	s_and_b64 exec, exec, s[4:5]
	s_cbranch_execz .LBB972_20
; %bb.19:
	ds_read_b128 v[2:5], v2 offset:128
	v_add3_u32 v6, s48, v60, 4
	v_mad_u64_u32 v[6:7], s[0:1], v6, s0, 0
	v_lshl_add_u64 v[0:1], v[6:7], 1, v[0:1]
	s_waitcnt lgkmcnt(0)
	global_store_dwordx4 v[0:1], v[2:5], off
.LBB972_20:
	s_endpgm
	.section	.rodata,"a",@progbits
	.p2align	6, 0x0
	.amdhsa_kernel _Z39paged_attention_ll4mi_QKV_mfma16_kernelIDF16_hLN4vllm18Fp8KVCacheDataTypeE1EDF16_Li16ELi128ELi256ELb1ELi5EEvPKT_PKT0_S7_ifPKiS9_S9_iPKfiiiPfSC_PS2_PT2_iSB_SB_
		.amdhsa_group_segment_fixed_size 8192
		.amdhsa_private_segment_fixed_size 0
		.amdhsa_kernarg_size 400
		.amdhsa_user_sgpr_count 2
		.amdhsa_user_sgpr_dispatch_ptr 0
		.amdhsa_user_sgpr_queue_ptr 0
		.amdhsa_user_sgpr_kernarg_segment_ptr 1
		.amdhsa_user_sgpr_dispatch_id 0
		.amdhsa_user_sgpr_kernarg_preload_length 0
		.amdhsa_user_sgpr_kernarg_preload_offset 0
		.amdhsa_user_sgpr_private_segment_size 0
		.amdhsa_uses_dynamic_stack 0
		.amdhsa_enable_private_segment 0
		.amdhsa_system_sgpr_workgroup_id_x 1
		.amdhsa_system_sgpr_workgroup_id_y 1
		.amdhsa_system_sgpr_workgroup_id_z 1
		.amdhsa_system_sgpr_workgroup_info 0
		.amdhsa_system_vgpr_workitem_id 0
		.amdhsa_next_free_vgpr 76
		.amdhsa_next_free_sgpr 50
		.amdhsa_accum_offset 76
		.amdhsa_reserve_vcc 1
		.amdhsa_float_round_mode_32 0
		.amdhsa_float_round_mode_16_64 0
		.amdhsa_float_denorm_mode_32 3
		.amdhsa_float_denorm_mode_16_64 3
		.amdhsa_dx10_clamp 1
		.amdhsa_ieee_mode 1
		.amdhsa_fp16_overflow 0
		.amdhsa_tg_split 0
		.amdhsa_exception_fp_ieee_invalid_op 0
		.amdhsa_exception_fp_denorm_src 0
		.amdhsa_exception_fp_ieee_div_zero 0
		.amdhsa_exception_fp_ieee_overflow 0
		.amdhsa_exception_fp_ieee_underflow 0
		.amdhsa_exception_fp_ieee_inexact 0
		.amdhsa_exception_int_div_zero 0
	.end_amdhsa_kernel
	.section	.text._Z39paged_attention_ll4mi_QKV_mfma16_kernelIDF16_hLN4vllm18Fp8KVCacheDataTypeE1EDF16_Li16ELi128ELi256ELb1ELi5EEvPKT_PKT0_S7_ifPKiS9_S9_iPKfiiiPfSC_PS2_PT2_iSB_SB_,"axG",@progbits,_Z39paged_attention_ll4mi_QKV_mfma16_kernelIDF16_hLN4vllm18Fp8KVCacheDataTypeE1EDF16_Li16ELi128ELi256ELb1ELi5EEvPKT_PKT0_S7_ifPKiS9_S9_iPKfiiiPfSC_PS2_PT2_iSB_SB_,comdat
.Lfunc_end972:
	.size	_Z39paged_attention_ll4mi_QKV_mfma16_kernelIDF16_hLN4vllm18Fp8KVCacheDataTypeE1EDF16_Li16ELi128ELi256ELb1ELi5EEvPKT_PKT0_S7_ifPKiS9_S9_iPKfiiiPfSC_PS2_PT2_iSB_SB_, .Lfunc_end972-_Z39paged_attention_ll4mi_QKV_mfma16_kernelIDF16_hLN4vllm18Fp8KVCacheDataTypeE1EDF16_Li16ELi128ELi256ELb1ELi5EEvPKT_PKT0_S7_ifPKiS9_S9_iPKfiiiPfSC_PS2_PT2_iSB_SB_
                                        ; -- End function
	.section	.AMDGPU.csdata,"",@progbits
; Kernel info:
; codeLenInByte = 6288
; NumSgprs: 56
; NumVgprs: 76
; NumAgprs: 0
; TotalNumVgprs: 76
; ScratchSize: 0
; MemoryBound: 0
; FloatMode: 240
; IeeeMode: 1
; LDSByteSize: 8192 bytes/workgroup (compile time only)
; SGPRBlocks: 6
; VGPRBlocks: 9
; NumSGPRsForWavesPerEU: 56
; NumVGPRsForWavesPerEU: 76
; AccumOffset: 76
; Occupancy: 6
; WaveLimiterHint : 1
; COMPUTE_PGM_RSRC2:SCRATCH_EN: 0
; COMPUTE_PGM_RSRC2:USER_SGPR: 2
; COMPUTE_PGM_RSRC2:TRAP_HANDLER: 0
; COMPUTE_PGM_RSRC2:TGID_X_EN: 1
; COMPUTE_PGM_RSRC2:TGID_Y_EN: 1
; COMPUTE_PGM_RSRC2:TGID_Z_EN: 1
; COMPUTE_PGM_RSRC2:TIDIG_COMP_CNT: 0
; COMPUTE_PGM_RSRC3_GFX90A:ACCUM_OFFSET: 18
; COMPUTE_PGM_RSRC3_GFX90A:TG_SPLIT: 0
	.section	.text._Z39paged_attention_ll4mi_QKV_mfma16_kernelIDF16_hLN4vllm18Fp8KVCacheDataTypeE1EDF16_Li16ELi128ELi256ELb1ELi6EEvPKT_PKT0_S7_ifPKiS9_S9_iPKfiiiPfSC_PS2_PT2_iSB_SB_,"axG",@progbits,_Z39paged_attention_ll4mi_QKV_mfma16_kernelIDF16_hLN4vllm18Fp8KVCacheDataTypeE1EDF16_Li16ELi128ELi256ELb1ELi6EEvPKT_PKT0_S7_ifPKiS9_S9_iPKfiiiPfSC_PS2_PT2_iSB_SB_,comdat
	.protected	_Z39paged_attention_ll4mi_QKV_mfma16_kernelIDF16_hLN4vllm18Fp8KVCacheDataTypeE1EDF16_Li16ELi128ELi256ELb1ELi6EEvPKT_PKT0_S7_ifPKiS9_S9_iPKfiiiPfSC_PS2_PT2_iSB_SB_ ; -- Begin function _Z39paged_attention_ll4mi_QKV_mfma16_kernelIDF16_hLN4vllm18Fp8KVCacheDataTypeE1EDF16_Li16ELi128ELi256ELb1ELi6EEvPKT_PKT0_S7_ifPKiS9_S9_iPKfiiiPfSC_PS2_PT2_iSB_SB_
	.globl	_Z39paged_attention_ll4mi_QKV_mfma16_kernelIDF16_hLN4vllm18Fp8KVCacheDataTypeE1EDF16_Li16ELi128ELi256ELb1ELi6EEvPKT_PKT0_S7_ifPKiS9_S9_iPKfiiiPfSC_PS2_PT2_iSB_SB_
	.p2align	8
	.type	_Z39paged_attention_ll4mi_QKV_mfma16_kernelIDF16_hLN4vllm18Fp8KVCacheDataTypeE1EDF16_Li16ELi128ELi256ELb1ELi6EEvPKT_PKT0_S7_ifPKiS9_S9_iPKfiiiPfSC_PS2_PT2_iSB_SB_,@function
_Z39paged_attention_ll4mi_QKV_mfma16_kernelIDF16_hLN4vllm18Fp8KVCacheDataTypeE1EDF16_Li16ELi128ELi256ELb1ELi6EEvPKT_PKT0_S7_ifPKiS9_S9_iPKfiiiPfSC_PS2_PT2_iSB_SB_: ; @_Z39paged_attention_ll4mi_QKV_mfma16_kernelIDF16_hLN4vllm18Fp8KVCacheDataTypeE1EDF16_Li16ELi128ELi256ELb1ELi6EEvPKT_PKT0_S7_ifPKiS9_S9_iPKfiiiPfSC_PS2_PT2_iSB_SB_
; %bb.0:
	s_load_dwordx2 s[10:11], s[0:1], 0x30
	s_mov_b32 s6, s3
	s_mov_b64 s[8:9], 0
	s_waitcnt lgkmcnt(0)
	s_cmp_lg_u64 s[10:11], 0
	s_cselect_b64 s[12:13], -1, 0
	s_and_b64 vcc, exec, s[12:13]
	s_cbranch_vccz .LBB973_7
; %bb.1:
	s_add_i32 s14, s2, 1
	s_mov_b32 s15, 0
	s_lshl_b64 s[16:17], s[14:15], 2
	s_add_u32 s16, s10, s16
	s_mov_b32 s3, s15
	s_addc_u32 s17, s11, s17
	s_lshl_b64 s[14:15], s[2:3], 2
	s_add_u32 s14, s10, s14
	s_addc_u32 s15, s11, s15
	s_load_dword s5, s[16:17], 0x0
	s_load_dword s7, s[14:15], 0x0
	s_waitcnt lgkmcnt(0)
	s_sub_i32 s5, s5, s7
	s_cmp_eq_u32 s5, 1
	s_cselect_b64 s[14:15], -1, 0
	s_andn2_b64 vcc, exec, s[8:9]
	s_cbranch_vccnz .LBB973_3
.LBB973_2:
	s_mov_b32 s3, 0
	s_mov_b64 s[14:15], -1
.LBB973_3:
	s_andn2_b64 vcc, exec, s[14:15]
	s_cbranch_vccnz .LBB973_20
; %bb.4:
	s_load_dwordx2 s[8:9], s[0:1], 0x28
	s_lshl_b64 s[16:17], s[2:3], 2
	s_waitcnt lgkmcnt(0)
	s_add_u32 s8, s8, s16
	s_addc_u32 s9, s9, s17
	s_load_dword s7, s[8:9], 0x0
	s_lshl_b32 s18, s6, 8
	s_waitcnt lgkmcnt(0)
	s_cmp_ge_i32 s18, s7
	s_cbranch_scc1 .LBB973_20
; %bb.5:
	s_load_dwordx2 s[8:9], s[0:1], 0x20
	s_load_dword s5, s[0:1], 0x38
	s_add_i32 s14, s7, 15
	s_ashr_i32 s15, s14, 31
	v_and_b32_e32 v1, 0xcf, v0
	s_lshr_b32 s15, s15, 28
	v_add_u32_e32 v1, s18, v1
	s_add_i32 s14, s14, s15
	v_ashrrev_i32_e32 v2, 31, v1
	s_ashr_i32 s19, s14, 4
	v_lshrrev_b32_e32 v4, 28, v2
	s_add_i32 s19, s19, -1
	s_waitcnt lgkmcnt(0)
	s_mul_i32 s14, s2, s5
	s_mov_b32 s15, 0
	v_add_u32_e32 v2, v1, v4
	s_lshl_b64 s[14:15], s[14:15], 2
	v_ashrrev_i32_e32 v2, 4, v2
	v_mov_b32_e32 v5, s19
	v_cmp_gt_i32_e32 vcc, s7, v1
	s_add_u32 s8, s8, s14
	s_addc_u32 s9, s9, s15
	v_cndmask_b32_e32 v2, v5, v2, vcc
	v_ashrrev_i32_e32 v3, 31, v2
	v_lshl_add_u64 v[6:7], v[2:3], 2, s[8:9]
	v_or_b32_e32 v2, 16, v1
	v_add_u32_e32 v3, v2, v4
	v_ashrrev_i32_e32 v3, 4, v3
	v_cmp_gt_i32_e32 vcc, s7, v2
	s_load_dwordx2 s[14:15], s[0:1], 0x8
	s_nop 0
	v_cndmask_b32_e32 v2, v5, v3, vcc
	v_ashrrev_i32_e32 v3, 31, v2
	v_lshl_add_u64 v[8:9], v[2:3], 2, s[8:9]
	v_or_b32_e32 v2, 32, v1
	v_add_u32_e32 v3, v2, v4
	v_ashrrev_i32_e32 v3, 4, v3
	v_cmp_gt_i32_e32 vcc, s7, v2
	v_or_b32_e32 v1, 48, v1
	s_nop 0
	v_cndmask_b32_e32 v2, v5, v3, vcc
	v_ashrrev_i32_e32 v3, 31, v2
	v_lshl_add_u64 v[12:13], v[2:3], 2, s[8:9]
	v_add_u32_e32 v2, v1, v4
	v_ashrrev_i32_e32 v2, 4, v2
	v_cmp_gt_i32_e32 vcc, s7, v1
	s_nop 1
	v_cndmask_b32_e32 v2, v5, v2, vcc
	v_ashrrev_i32_e32 v3, 31, v2
	v_lshl_add_u64 v[14:15], v[2:3], 2, s[8:9]
	global_load_dword v4, v[6:7], off
	global_load_dword v3, v[8:9], off
	;; [unrolled: 1-line block ×4, first 2 shown]
	s_andn2_b64 vcc, exec, s[12:13]
	s_cbranch_vccnz .LBB973_8
; %bb.6:
	s_add_u32 s10, s10, s16
	s_addc_u32 s11, s11, s17
	s_load_dword s5, s[10:11], 0x0
	s_branch .LBB973_9
.LBB973_7:
	s_mov_b64 s[14:15], 0
	s_branch .LBB973_2
.LBB973_8:
	s_mov_b32 s5, s2
.LBB973_9:
	s_load_dwordx2 s[10:11], s[0:1], 0x10
	s_load_dwordx4 s[44:47], s[0:1], 0x48
	v_lshrrev_b32_e32 v57, 6, v0
	v_bfe_u32 v60, v0, 4, 2
	v_and_b32_e32 v56, 15, v0
	v_lshl_or_b32 v5, v57, 2, v60
	v_lshlrev_b32_e32 v1, 3, v56
	s_mul_i32 s48, s4, 6
	v_cmp_gt_u32_e32 vcc, 6, v5
	v_lshlrev_b32_e32 v54, 1, v1
	v_lshlrev_b32_e32 v1, 4, v0
	s_and_saveexec_b64 s[12:13], vcc
	s_cbranch_execz .LBB973_11
; %bb.10:
	s_load_dwordx2 s[16:17], s[0:1], 0x0
	s_waitcnt lgkmcnt(0)
	s_ashr_i32 s20, s44, 31
	s_mul_hi_u32 s21, s5, s44
	s_mul_i32 s20, s5, s20
	s_add_i32 s21, s21, s20
	s_mul_i32 s20, s5, s44
	s_lshl_b64 s[20:21], s[20:21], 1
	s_add_u32 s16, s16, s20
	v_add_lshl_u32 v6, v5, s48, 7
	s_addc_u32 s17, s17, s21
	v_ashrrev_i32_e32 v7, 31, v6
	v_lshl_add_u64 v[6:7], v[6:7], 1, s[16:17]
	v_mov_b32_e32 v55, 0
	v_lshl_add_u64 v[6:7], v[6:7], 0, v[54:55]
	global_load_dwordx4 v[6:9], v[6:7], off
	v_lshlrev_b32_e32 v12, 8, v0
	v_lshlrev_b32_e32 v11, 8, v56
	v_and_b32_e32 v12, 0x600, v12
	s_movk_i32 s5, 0x800
	v_and_or_b32 v11, v11, s5, v12
	v_lshlrev_b32_e32 v5, 5, v5
	v_and_b32_e32 v12, 16, v1
	v_or3_b32 v5, v11, v5, v12
	s_waitcnt vmcnt(0)
	ds_write_b128 v5, v[6:9]
.LBB973_11:
	s_or_b64 exec, exec, s[12:13]
	s_waitcnt lgkmcnt(0)
	s_mul_i32 s12, s4, s46
	s_add_u32 s4, s14, s12
	s_addc_u32 s5, s15, 0
	v_and_b32_e32 v58, 0xf0, v1
	v_mov_b32_e32 v59, 0
	v_and_b32_e32 v34, 48, v0
	v_lshl_add_u64 v[12:13], s[4:5], 0, v[58:59]
	v_lshlrev_b32_e32 v58, 4, v34
	s_waitcnt vmcnt(3)
	v_mad_i64_i32 v[4:5], s[4:5], v4, s45, v[12:13]
	v_lshl_add_u64 v[4:5], v[4:5], 0, v[58:59]
	s_barrier
	global_load_dwordx4 v[50:53], v[4:5], off
	global_load_dwordx4 v[46:49], v[4:5], off offset:1024
	s_waitcnt vmcnt(4)
	v_mad_i64_i32 v[4:5], s[4:5], v3, s45, v[12:13]
	s_waitcnt vmcnt(3)
	v_mad_i64_i32 v[2:3], s[4:5], v2, s45, v[12:13]
	v_lshl_add_u64 v[4:5], v[4:5], 0, v[58:59]
	v_lshl_add_u64 v[14:15], v[2:3], 0, v[58:59]
	s_waitcnt vmcnt(2)
	v_mad_i64_i32 v[10:11], s[4:5], v10, s45, v[12:13]
	global_load_dwordx4 v[36:39], v[4:5], off
	global_load_dwordx4 v[6:9], v[4:5], off offset:1024
	s_nop 0
	global_load_dwordx4 v[2:5], v[14:15], off
	global_load_dwordx4 v[42:45], v[14:15], off offset:1024
	v_lshl_add_u64 v[14:15], v[10:11], 0, v[58:59]
	global_load_dwordx4 v[22:25], v[14:15], off
	global_load_dwordx4 v[10:13], v[14:15], off offset:1024
	v_mul_lo_u16_e32 v14, 43, v56
	v_mov_b32_e32 v15, 6
	v_mul_lo_u16_sdwa v14, v14, v15 dst_sel:DWORD dst_unused:UNUSED_PAD src0_sel:BYTE_1 src1_sel:DWORD
	v_sub_u16_e32 v14, v56, v14
	v_mov_b32_e32 v15, 5
	v_lshlrev_b32_sdwa v14, v15, v14 dst_sel:DWORD dst_unused:UNUSED_PAD src0_sel:DWORD src1_sel:BYTE_0
	v_lshl_add_u32 v14, v60, 9, v14
	ds_read_b128 v[30:33], v14
	ds_read_b128 v[26:29], v14 offset:16
	ds_read_b128 v[18:21], v14 offset:2048
	;; [unrolled: 1-line block ×3, first 2 shown]
	v_and_b32_e32 v55, 63, v0
	v_cmp_gt_u32_e32 vcc, 6, v56
	v_mov_b32_e32 v61, 0
	s_and_saveexec_b64 s[4:5], vcc
	s_cbranch_execz .LBB973_13
; %bb.12:
	s_load_dwordx2 s[14:15], s[0:1], 0x40
	v_add_u32_e32 v40, s48, v56
	v_ashrrev_i32_e32 v41, 31, v40
	s_waitcnt lgkmcnt(0)
	v_lshl_add_u64 v[40:41], v[40:41], 2, s[14:15]
	global_load_dword v61, v[40:41], off
.LBB973_13:
	s_or_b64 exec, exec, s[4:5]
	v_or_b32_e32 v58, s18, v34
	v_ashrrev_i32_e32 v34, 4, v58
	v_mov_b32_e32 v63, s19
	v_cmp_gt_i32_e32 vcc, s7, v58
	s_waitcnt vmcnt(7)
	v_cvt_pk_f32_fp8_e32 v[40:41], v50
	v_cvt_pk_f32_fp8_sdwa v[64:65], v50 src0_sel:WORD_1
	v_cndmask_b32_e32 v34, v63, v34, vcc
	v_ashrrev_i32_e32 v35, 31, v34
	v_lshl_add_u64 v[34:35], v[34:35], 2, s[8:9]
	global_load_dword v62, v[34:35], off
	v_or_b32_e32 v34, 64, v58
	v_ashrrev_i32_e32 v35, 4, v34
	v_cmp_gt_i32_e32 vcc, s7, v34
	v_or_b32_e32 v66, 0x80, v58
	v_ashrrev_i32_e32 v67, 4, v66
	v_cndmask_b32_e32 v34, v63, v35, vcc
	v_cmp_gt_i32_e32 vcc, s7, v66
	v_cvt_pkrtz_f16_f32 v40, v40, v41
	v_cvt_pkrtz_f16_f32 v41, v64, v65
	v_cndmask_b32_e32 v50, v63, v67, vcc
	v_cvt_pk_f32_fp8_e32 v[64:65], v51
	v_cvt_pk_f32_fp8_sdwa v[66:67], v51 src0_sel:WORD_1
	v_ashrrev_i32_e32 v51, 31, v50
	v_lshl_add_u64 v[68:69], v[50:51], 2, s[8:9]
	v_cvt_pkrtz_f16_f32 v50, v64, v65
	v_cvt_pkrtz_f16_f32 v51, v66, v67
	s_waitcnt lgkmcnt(3)
	v_mfma_f32_16x16x16_f16 v[64:67], v[40:41], v[30:31], 0
	v_cvt_pk_f32_fp8_e32 v[40:41], v52
	v_cvt_pk_f32_fp8_sdwa v[70:71], v52 src0_sel:WORD_1
	s_waitcnt vmcnt(7)
	v_cvt_pk_f32_fp8_e32 v[72:73], v46
	v_mfma_f32_16x16x16_f16 v[64:67], v[50:51], v[32:33], v[64:67]
	v_cvt_pk_f32_fp8_e32 v[50:51], v53
	v_cvt_pkrtz_f16_f32 v40, v40, v41
	v_cvt_pkrtz_f16_f32 v41, v70, v71
	v_cvt_pk_f32_fp8_sdwa v[52:53], v53 src0_sel:WORD_1
	v_cvt_pkrtz_f16_f32 v70, v50, v51
	v_cvt_pk_f32_fp8_sdwa v[74:75], v46 src0_sel:WORD_1
	v_ashrrev_i32_e32 v35, 31, v34
	v_cvt_pkrtz_f16_f32 v71, v52, v53
	s_waitcnt lgkmcnt(2)
	v_mfma_f32_16x16x16_f16 v[50:53], v[40:41], v[26:27], v[64:67]
	v_cvt_pkrtz_f16_f32 v40, v72, v73
	v_cvt_pkrtz_f16_f32 v41, v74, v75
	v_or_b32_e32 v58, 0xc0, v58
	v_cvt_pk_f32_fp8_e32 v[64:65], v47
	v_cvt_pk_f32_fp8_sdwa v[46:47], v47 src0_sel:WORD_1
	v_mfma_f32_16x16x16_f16 v[50:53], v[70:71], v[28:29], v[50:53]
	v_lshl_add_u64 v[34:35], v[34:35], 2, s[8:9]
	v_cvt_pkrtz_f16_f32 v64, v64, v65
	v_cvt_pkrtz_f16_f32 v65, v46, v47
	s_waitcnt lgkmcnt(1)
	v_mfma_f32_16x16x16_f16 v[50:53], v[40:41], v[18:19], v[50:53]
	v_ashrrev_i32_e32 v66, 4, v58
	v_cmp_gt_i32_e32 vcc, s7, v58
	v_cvt_pk_f32_fp8_e32 v[46:47], v48
	s_waitcnt vmcnt(6)
	v_cvt_pk_f32_fp8_sdwa v[70:71], v36 src0_sel:WORD_1
	v_cndmask_b32_e32 v40, v63, v66, vcc
	v_mfma_f32_16x16x16_f16 v[64:67], v[64:65], v[20:21], v[50:53]
	v_ashrrev_i32_e32 v41, 31, v40
	v_lshl_add_u64 v[40:41], v[40:41], 2, s[8:9]
	v_cvt_pkrtz_f16_f32 v46, v46, v47
	global_load_dword v53, v[34:35], off
	global_load_dword v63, v[40:41], off
	v_cvt_pk_f32_fp8_sdwa v[50:51], v48 src0_sel:WORD_1
	v_cvt_pk_f32_fp8_e32 v[34:35], v49
	v_cvt_pk_f32_fp8_sdwa v[48:49], v49 src0_sel:WORD_1
	s_add_u32 s46, s10, s12
	v_cvt_pkrtz_f16_f32 v47, v50, v51
	v_cvt_pkrtz_f16_f32 v34, v34, v35
	;; [unrolled: 1-line block ×3, first 2 shown]
	s_waitcnt lgkmcnt(0)
	v_mfma_f32_16x16x16_f16 v[46:49], v[46:47], v[14:15], v[64:67]
	v_cvt_pk_f32_fp8_e32 v[50:51], v36
	s_nop 1
	global_load_dword v64, v[68:69], off
	v_cvt_pk_f32_fp8_e32 v[66:67], v37
	s_waitcnt vmcnt(8)
	v_cvt_pk_f32_fp8_e32 v[68:69], v6
	v_cvt_pkrtz_f16_f32 v50, v50, v51
	v_cvt_pkrtz_f16_f32 v51, v70, v71
	v_cvt_pk_f32_fp8_sdwa v[70:71], v37 src0_sel:WORD_1
	v_cvt_pkrtz_f16_f32 v40, v66, v67
	v_mfma_f32_16x16x16_f16 v[34:37], v[34:35], v[16:17], v[46:49]
	v_cvt_pk_f32_fp8_sdwa v[66:67], v38 src0_sel:WORD_1
	v_cvt_pkrtz_f16_f32 v41, v70, v71
	v_cvt_pk_f32_fp8_sdwa v[70:71], v6 src0_sel:WORD_1
	v_mfma_f32_16x16x16_f16 v[46:49], v[50:51], v[30:31], 0
	v_cvt_pk_f32_fp8_e32 v[50:51], v38
	v_lshl_or_b32 v52, v57, 4, v56
	s_waitcnt vmcnt(6)
	v_cvt_pk_f32_fp8_e32 v[72:73], v43
	v_mfma_f32_16x16x16_f16 v[46:49], v[40:41], v[32:33], v[46:49]
	v_cvt_pk_f32_fp8_e32 v[40:41], v39
	v_cvt_pkrtz_f16_f32 v50, v50, v51
	v_cvt_pkrtz_f16_f32 v51, v66, v67
	v_cvt_pk_f32_fp8_sdwa v[38:39], v39 src0_sel:WORD_1
	v_cvt_pkrtz_f16_f32 v66, v40, v41
	s_addc_u32 s47, s11, 0
	v_lshlrev_b32_e32 v58, 4, v52
	v_cvt_pkrtz_f16_f32 v67, v38, v39
	v_mfma_f32_16x16x16_f16 v[38:41], v[50:51], v[26:27], v[46:49]
	v_cvt_pk_f32_fp8_sdwa v[50:51], v2 src0_sel:WORD_1
	s_nop 1
	v_cvt_pkrtz_f16_f32 v46, v68, v69
	v_cvt_pkrtz_f16_f32 v47, v70, v71
	v_cvt_pk_f32_fp8_e32 v[48:49], v7
	v_cvt_pk_f32_fp8_sdwa v[6:7], v7 src0_sel:WORD_1
	v_mfma_f32_16x16x16_f16 v[38:41], v[66:67], v[28:29], v[38:41]
	v_lshl_add_u64 v[70:71], s[46:47], 0, v[58:59]
	v_cvt_pkrtz_f16_f32 v48, v48, v49
	v_cvt_pkrtz_f16_f32 v49, v6, v7
	v_mfma_f32_16x16x16_f16 v[38:41], v[46:47], v[18:19], v[38:41]
	v_cvt_pk_f32_fp8_e32 v[6:7], v8
	v_cvt_pk_f32_fp8_sdwa v[46:47], v8 src0_sel:WORD_1
	v_or_b32_e32 v58, 0x400, v58
	v_mfma_f32_16x16x16_f16 v[38:41], v[48:49], v[20:21], v[38:41]
	v_cvt_pk_f32_fp8_e32 v[48:49], v9
	v_cvt_pkrtz_f16_f32 v6, v6, v7
	v_cvt_pkrtz_f16_f32 v7, v46, v47
	v_cvt_pk_f32_fp8_sdwa v[8:9], v9 src0_sel:WORD_1
	v_cvt_pkrtz_f16_f32 v46, v48, v49
	v_cvt_pk_f32_fp8_e32 v[48:49], v2
	v_cvt_pkrtz_f16_f32 v47, v8, v9
	v_mfma_f32_16x16x16_f16 v[6:9], v[6:7], v[14:15], v[38:41]
	v_cvt_pkrtz_f16_f32 v48, v48, v49
	v_cvt_pkrtz_f16_f32 v49, v50, v51
	v_cvt_pk_f32_fp8_e32 v[50:51], v3
	v_cvt_pk_f32_fp8_sdwa v[2:3], v3 src0_sel:WORD_1
	v_mfma_f32_16x16x16_f16 v[38:41], v[46:47], v[16:17], v[6:9]
	v_cvt_pkrtz_f16_f32 v46, v50, v51
	v_cvt_pkrtz_f16_f32 v47, v2, v3
	v_mfma_f32_16x16x16_f16 v[6:9], v[48:49], v[30:31], 0
	v_cvt_pk_f32_fp8_e32 v[2:3], v4
	v_cvt_pk_f32_fp8_sdwa v[48:49], v4 src0_sel:WORD_1
	s_waitcnt vmcnt(3)
	v_mad_i64_i32 v[50:51], s[4:5], v62, s45, v[70:71]
	v_cvt_pkrtz_f16_f32 v2, v2, v3
	v_cvt_pkrtz_f16_f32 v3, v48, v49
	v_mfma_f32_16x16x16_f16 v[6:9], v[46:47], v[32:33], v[6:9]
	v_cvt_pk_f32_fp8_e32 v[46:47], v5
	v_cvt_pk_f32_fp8_sdwa v[4:5], v5 src0_sel:WORD_1
	s_waitcnt vmcnt(2)
	v_mad_i64_i32 v[66:67], s[4:5], v53, s45, v[70:71]
	v_cvt_pkrtz_f16_f32 v46, v46, v47
	v_cvt_pkrtz_f16_f32 v47, v4, v5
	v_mfma_f32_16x16x16_f16 v[2:5], v[2:3], v[26:27], v[6:9]
	s_nop 2
	v_cvt_pk_f32_fp8_e32 v[6:7], v42
	v_cvt_pk_f32_fp8_sdwa v[8:9], v42 src0_sel:WORD_1
	v_cvt_pk_f32_fp8_sdwa v[42:43], v43 src0_sel:WORD_1
	v_mfma_f32_16x16x16_f16 v[46:49], v[46:47], v[28:29], v[2:5]
	v_cvt_pkrtz_f16_f32 v68, v6, v7
	v_cvt_pkrtz_f16_f32 v69, v8, v9
	global_load_dwordx4 v[6:9], v[50:51], off
	global_load_dwordx4 v[2:5], v[66:67], off
	v_cvt_pkrtz_f16_f32 v66, v72, v73
	v_cvt_pkrtz_f16_f32 v67, v42, v43
	v_mfma_f32_16x16x16_f16 v[48:51], v[68:69], v[18:19], v[46:49]
	v_cvt_pk_f32_fp8_e32 v[42:43], v44
	v_cvt_pk_f32_fp8_sdwa v[72:73], v44 src0_sel:WORD_1
	s_waitcnt vmcnt(2)
	v_mad_i64_i32 v[46:47], s[4:5], v64, s45, v[70:71]
	v_mfma_f32_16x16x16_f16 v[66:69], v[66:67], v[20:21], v[48:51]
	v_cvt_pkrtz_f16_f32 v42, v42, v43
	v_cvt_pkrtz_f16_f32 v43, v72, v73
	v_cvt_pk_f32_fp8_sdwa v[72:73], v22 src0_sel:WORD_1
	v_cvt_pk_f32_fp8_e32 v[50:51], v45
	v_cvt_pk_f32_fp8_sdwa v[44:45], v45 src0_sel:WORD_1
	v_mad_i64_i32 v[48:49], s[4:5], v63, s45, v[70:71]
	v_cvt_pkrtz_f16_f32 v50, v50, v51
	v_cvt_pkrtz_f16_f32 v51, v44, v45
	v_mfma_f32_16x16x16_f16 v[42:45], v[42:43], v[14:15], v[66:69]
	v_cvt_pk_f32_fp8_e32 v[70:71], v22
	s_load_dword s4, s[0:1], 0x1c
	s_load_dwordx4 s[40:43], s[0:1], 0x80
	s_load_dword s33, s[0:1], 0x98
	s_waitcnt lgkmcnt(0)
	s_load_dword s5, s[40:41], 0x0
	v_mfma_f32_16x16x16_f16 v[66:69], v[50:51], v[16:17], v[42:45]
	s_mov_b32 s40, 0xff7fffff
	s_nop 1
	v_cvt_pk_f32_fp8_e32 v[42:43], v23
	v_cvt_pkrtz_f16_f32 v44, v70, v71
	v_cvt_pkrtz_f16_f32 v45, v72, v73
	v_cvt_pk_f32_fp8_sdwa v[22:23], v23 src0_sel:WORD_1
	v_cvt_pkrtz_f16_f32 v50, v42, v43
	v_cvt_pk_f32_fp8_e32 v[70:71], v24
	v_cvt_pk_f32_fp8_sdwa v[72:73], v24 src0_sel:WORD_1
	v_cvt_pkrtz_f16_f32 v51, v22, v23
	v_mfma_f32_16x16x16_f16 v[42:45], v[44:45], v[30:31], 0
	v_cvt_pkrtz_f16_f32 v30, v70, v71
	v_cvt_pkrtz_f16_f32 v31, v72, v73
	v_cvt_pk_f32_fp8_e32 v[70:71], v25
	v_cvt_pk_f32_fp8_sdwa v[72:73], v25 src0_sel:WORD_1
	v_mfma_f32_16x16x16_f16 v[22:25], v[50:51], v[32:33], v[42:45]
	v_mov_b32_e32 v32, s4
	s_waitcnt lgkmcnt(0)
	v_mul_f32_e32 v50, s5, v32
	v_pk_mul_f32 v[32:33], v[50:51], v[34:35] op_sel_hi:[0,1]
	v_cvt_pkrtz_f16_f32 v42, v70, v71
	v_cvt_pkrtz_f16_f32 v43, v72, v73
	v_mfma_f32_16x16x16_f16 v[22:25], v[30:31], v[26:27], v[22:25]
	v_pk_mul_f32 v[30:31], v[50:51], v[36:37] op_sel_hi:[0,1]
	v_cvt_pk_f32_fp8_e32 v[26:27], v11
	v_cvt_pk_f32_fp8_sdwa v[70:71], v12 src0_sel:WORD_1
	v_mfma_f32_16x16x16_f16 v[34:37], v[42:43], v[28:29], v[22:25]
	v_pk_mul_f32 v[40:41], v[50:51], v[40:41] op_sel_hi:[0,1]
	v_cvt_pkrtz_f16_f32 v44, v26, v27
	s_nop 0
	v_cvt_pk_f32_fp8_e32 v[22:23], v10
	v_cvt_pk_f32_fp8_sdwa v[24:25], v10 src0_sel:WORD_1
	v_cvt_pk_f32_fp8_sdwa v[10:11], v11 src0_sel:WORD_1
	v_cvt_pkrtz_f16_f32 v42, v22, v23
	v_cvt_pkrtz_f16_f32 v43, v24, v25
	;; [unrolled: 1-line block ×3, first 2 shown]
	v_cvt_pk_f32_fp8_e32 v[10:11], v12
	v_mfma_f32_16x16x16_f16 v[34:37], v[42:43], v[18:19], v[34:37]
	global_load_dwordx4 v[26:29], v[46:47], off
	global_load_dwordx4 v[22:25], v[48:49], off
	v_cvt_pkrtz_f16_f32 v18, v10, v11
	v_cvt_pkrtz_f16_f32 v19, v70, v71
	v_cvt_pk_f32_fp8_e32 v[42:43], v13
	v_cvt_pk_f32_fp8_sdwa v[46:47], v13 src0_sel:WORD_1
	v_mfma_f32_16x16x16_f16 v[10:13], v[44:45], v[20:21], v[34:37]
	v_pk_mul_f32 v[44:45], v[50:51], v[38:39] op_sel_hi:[0,1]
	v_cvt_pkrtz_f16_f32 v20, v42, v43
	v_cvt_pkrtz_f16_f32 v21, v46, v47
	v_mfma_f32_16x16x16_f16 v[10:13], v[18:19], v[14:15], v[10:13]
	v_pk_mul_f32 v[38:39], v[50:51], v[68:69] op_sel_hi:[0,1]
	v_pk_mul_f32 v[42:43], v[50:51], v[66:67] op_sel_hi:[0,1]
	v_mfma_f32_16x16x16_f16 v[10:13], v[20:21], v[16:17], v[10:13]
	s_nop 6
	v_pk_mul_f32 v[36:37], v[50:51], v[10:11] op_sel_hi:[0,1]
	v_and_b32_e32 v10, 0xc0, v0
	v_add_u32_e32 v10, s18, v10
	v_lshl_or_b32 v10, v60, 2, v10
	v_or_b32_e32 v11, 1, v10
	v_pk_mul_f32 v[34:35], v[50:51], v[12:13] op_sel_hi:[0,1]
	v_subrev_u32_e32 v12, s7, v11
	v_add_u32_e32 v14, 1, v12
	v_add_u32_e32 v15, 2, v12
	v_cvt_f32_i32_e32 v13, v12
	v_cvt_f32_i32_e32 v14, v14
	;; [unrolled: 1-line block ×3, first 2 shown]
	v_add_u32_e32 v16, 3, v12
	v_fma_f32 v18, v61, v13, v32
	v_fmac_f32_e32 v33, v61, v14
	v_fma_f32 v48, v61, v15, v30
	v_add_u32_e32 v13, 16, v12
	v_add_u32_e32 v14, 17, v12
	;; [unrolled: 1-line block ×3, first 2 shown]
	v_cvt_f32_i32_e32 v16, v16
	v_cvt_f32_i32_e32 v13, v13
	;; [unrolled: 1-line block ×4, first 2 shown]
	v_fmac_f32_e32 v31, v61, v16
	v_add_u32_e32 v16, 19, v12
	v_fma_f32 v44, v61, v13, v44
	v_fmac_f32_e32 v45, v61, v14
	v_fma_f32 v40, v61, v15, v40
	v_add_u32_e32 v13, 32, v12
	v_add_u32_e32 v14, 33, v12
	;; [unrolled: 1-line block ×3, first 2 shown]
	v_cvt_f32_i32_e32 v16, v16
	v_cvt_f32_i32_e32 v13, v13
	;; [unrolled: 1-line block ×4, first 2 shown]
	v_fmac_f32_e32 v41, v61, v16
	v_add_u32_e32 v16, 35, v12
	v_fma_f32 v42, v61, v13, v42
	v_fmac_f32_e32 v43, v61, v14
	v_fma_f32 v38, v61, v15, v38
	v_add_u32_e32 v13, 48, v12
	v_add_u32_e32 v14, 49, v12
	;; [unrolled: 1-line block ×4, first 2 shown]
	v_cvt_f32_i32_e32 v12, v12
	v_cvt_f32_i32_e32 v13, v13
	;; [unrolled: 1-line block ×3, first 2 shown]
	v_cmp_gt_i32_e64 s[8:9], s7, v10
	v_fmac_f32_e32 v35, v61, v12
	v_mov_b32_e32 v12, 0xff7fffff
	v_cmp_gt_i32_e64 s[10:11], s7, v11
	v_fma_f32 v36, v61, v13, v36
	v_cndmask_b32_e64 v13, v12, v18, s[8:9]
	v_cndmask_b32_e64 v11, v12, v33, s[10:11]
	v_fmac_f32_e32 v37, v61, v14
	v_max3_f32 v11, v13, s40, v11
	v_or_b32_e32 v13, 2, v10
	v_or_b32_e32 v14, 3, v10
	v_cmp_gt_i32_e64 s[12:13], s7, v13
	v_cmp_gt_i32_e64 s[14:15], s7, v14
	v_cvt_f32_i32_e32 v16, v16
	v_cndmask_b32_e64 v13, v12, v48, s[12:13]
	v_cndmask_b32_e64 v14, v12, v31, s[14:15]
	v_max3_f32 v11, v11, v13, v14
	v_or_b32_e32 v13, 16, v10
	v_or_b32_e32 v14, 17, v10
	v_cmp_gt_i32_e64 s[16:17], s7, v13
	v_cmp_gt_i32_e64 s[18:19], s7, v14
	v_fmac_f32_e32 v39, v61, v16
	v_cndmask_b32_e64 v13, v12, v44, s[16:17]
	v_cndmask_b32_e64 v14, v12, v45, s[18:19]
	v_max3_f32 v11, v11, v13, v14
	v_or_b32_e32 v13, 18, v10
	v_or_b32_e32 v14, 19, v10
	v_cmp_gt_i32_e64 s[20:21], s7, v13
	v_cmp_gt_i32_e64 s[22:23], s7, v14
	v_cvt_f32_i32_e32 v15, v15
	v_cndmask_b32_e64 v13, v12, v40, s[20:21]
	v_cndmask_b32_e64 v14, v12, v41, s[22:23]
	v_max3_f32 v11, v11, v13, v14
	v_or_b32_e32 v13, 32, v10
	v_or_b32_e32 v14, 33, v10
	v_cmp_gt_i32_e64 s[24:25], s7, v13
	v_cmp_gt_i32_e64 s[26:27], s7, v14
	v_fma_f32 v34, v61, v15, v34
	v_cndmask_b32_e64 v13, v12, v42, s[24:25]
	v_cndmask_b32_e64 v14, v12, v43, s[26:27]
	v_max3_f32 v11, v11, v13, v14
	v_or_b32_e32 v13, 34, v10
	v_or_b32_e32 v14, 35, v10
	v_cmp_gt_i32_e64 s[28:29], s7, v13
	v_cmp_gt_i32_e64 s[30:31], s7, v14
	s_nop 0
	v_cndmask_b32_e64 v13, v12, v38, s[28:29]
	v_cndmask_b32_e64 v14, v12, v39, s[30:31]
	v_max3_f32 v11, v11, v13, v14
	v_or_b32_e32 v13, 48, v10
	v_or_b32_e32 v14, 49, v10
	v_cmp_gt_i32_e64 s[34:35], s7, v13
	v_cmp_gt_i32_e64 s[36:37], s7, v14
	s_nop 0
	v_cndmask_b32_e64 v13, v12, v36, s[34:35]
	v_cndmask_b32_e64 v14, v12, v37, s[36:37]
	v_max3_f32 v11, v11, v13, v14
	v_or_b32_e32 v13, 50, v10
	v_or_b32_e32 v10, 51, v10
	v_cmp_gt_i32_e32 vcc, s7, v13
	v_cmp_gt_i32_e64 s[4:5], s7, v10
	s_nop 0
	v_cndmask_b32_e32 v13, v12, v34, vcc
	v_cndmask_b32_e64 v10, v12, v35, s[4:5]
	v_max3_f32 v14, v11, v13, v10
	v_mbcnt_lo_u32_b32 v10, -1, 0
	v_mbcnt_hi_u32_b32 v15, -1, v10
	v_and_b32_e32 v10, 64, v15
	v_add_u32_e32 v16, 64, v10
	v_xor_b32_e32 v10, 32, v15
	v_cmp_lt_i32_e64 s[38:39], v10, v16
	s_nop 1
	v_cndmask_b32_e64 v10, v15, v10, s[38:39]
	v_lshlrev_b32_e32 v51, 2, v10
	ds_bpermute_b32 v17, v51, v14
	v_lshl_add_u64 v[10:11], s[46:47], 0, v[58:59]
	v_mad_i64_i32 v[12:13], s[38:39], v62, s45, v[10:11]
	s_waitcnt lgkmcnt(0)
	v_max_f32_e32 v17, v17, v17
	v_max_f32_e32 v19, v14, v17
	v_xor_b32_e32 v14, 16, v15
	v_cmp_lt_i32_e64 s[38:39], v14, v16
	s_nop 1
	v_cndmask_b32_e64 v14, v15, v14, s[38:39]
	v_lshlrev_b32_e32 v58, 2, v14
	ds_bpermute_b32 v20, v58, v19
	v_mad_i64_i32 v[14:15], s[38:39], v53, s45, v[10:11]
	v_mad_i64_i32 v[16:17], s[38:39], v64, s45, v[10:11]
	s_waitcnt lgkmcnt(0)
	v_max_f32_e32 v20, v20, v20
	v_max_f32_e32 v50, v19, v20
	v_sub_f32_e32 v18, v18, v50
	v_sub_f32_e32 v19, v33, v50
	v_mul_f32_e32 v18, 0x3fb8aa3b, v18
	v_mul_f32_e32 v19, 0x3fb8aa3b, v19
	v_exp_f32_e32 v18, v18
	v_exp_f32_e32 v19, v19
	v_sub_f32_e32 v49, v31, v50
	v_mad_i64_i32 v[10:11], s[38:39], v63, s45, v[10:11]
	v_cndmask_b32_e64 v46, 0, v18, s[8:9]
	v_cndmask_b32_e64 v47, 0, v19, s[10:11]
	global_load_dwordx4 v[30:33], v[12:13], off
	global_load_dwordx4 v[18:21], v[14:15], off
	v_sub_f32_e32 v12, v48, v50
	v_mul_f32_e32 v12, 0x3fb8aa3b, v12
	v_exp_f32_e32 v48, v12
	global_load_dwordx4 v[14:17], v[16:17], off
	s_nop 0
	global_load_dwordx4 v[10:13], v[10:11], off
	v_sub_f32_e32 v40, v40, v50
	v_sub_f32_e32 v42, v42, v50
	v_mul_f32_e32 v40, 0x3fb8aa3b, v40
	v_mul_f32_e32 v42, 0x3fb8aa3b, v42
	v_exp_f32_e32 v40, v40
	v_exp_f32_e32 v53, v42
	v_mul_f32_e32 v49, 0x3fb8aa3b, v49
	v_sub_f32_e32 v44, v44, v50
	v_exp_f32_e32 v49, v49
	v_mul_f32_e32 v44, 0x3fb8aa3b, v44
	v_sub_f32_e32 v45, v45, v50
	v_sub_f32_e32 v42, v43, v50
	v_exp_f32_e32 v44, v44
	v_mul_f32_e32 v45, 0x3fb8aa3b, v45
	v_mul_f32_e32 v42, 0x3fb8aa3b, v42
	v_exp_f32_e32 v45, v45
	v_sub_f32_e32 v41, v41, v50
	v_exp_f32_e32 v59, v42
	v_cndmask_b32_e64 v42, 0, v40, s[20:21]
	v_cndmask_b32_e64 v40, 0, v53, s[24:25]
	v_add_f32_e32 v53, 0, v46
	v_cndmask_b32_e64 v48, 0, v48, s[12:13]
	v_mul_f32_e32 v41, 0x3fb8aa3b, v41
	v_add_f32_e32 v53, v53, v47
	v_cndmask_b32_e64 v49, 0, v49, s[14:15]
	v_exp_f32_e32 v41, v41
	v_add_f32_e32 v53, v53, v48
	v_cndmask_b32_e64 v44, 0, v44, s[16:17]
	v_sub_f32_e32 v38, v38, v50
	v_add_f32_e32 v53, v53, v49
	v_cndmask_b32_e64 v45, 0, v45, s[18:19]
	v_sub_f32_e32 v39, v39, v50
	v_mul_f32_e32 v38, 0x3fb8aa3b, v38
	v_add_f32_e32 v53, v53, v44
	v_exp_f32_e32 v38, v38
	v_mul_f32_e32 v39, 0x3fb8aa3b, v39
	v_sub_f32_e32 v36, v36, v50
	v_add_f32_e32 v53, v53, v45
	v_cndmask_b32_e64 v43, 0, v41, s[22:23]
	v_exp_f32_e32 v39, v39
	v_mul_f32_e32 v36, 0x3fb8aa3b, v36
	v_sub_f32_e32 v37, v37, v50
	v_add_f32_e32 v53, v53, v42
	v_exp_f32_e32 v36, v36
	v_mul_f32_e32 v37, 0x3fb8aa3b, v37
	v_add_f32_e32 v53, v53, v43
	v_sub_f32_e32 v34, v34, v50
	v_cndmask_b32_e64 v41, 0, v59, s[26:27]
	v_exp_f32_e32 v37, v37
	v_add_f32_e32 v53, v53, v40
	v_mul_f32_e32 v34, 0x3fb8aa3b, v34
	v_sub_f32_e32 v35, v35, v50
	v_cndmask_b32_e64 v38, 0, v38, s[28:29]
	v_add_f32_e32 v53, v53, v41
	v_exp_f32_e32 v34, v34
	v_mul_f32_e32 v35, 0x3fb8aa3b, v35
	v_cndmask_b32_e64 v39, 0, v39, s[30:31]
	v_add_f32_e32 v53, v53, v38
	v_exp_f32_e32 v35, v35
	v_cndmask_b32_e64 v36, 0, v36, s[34:35]
	v_add_f32_e32 v53, v53, v39
	v_cndmask_b32_e64 v37, 0, v37, s[36:37]
	v_add_f32_e32 v53, v53, v36
	v_add_f32_e32 v53, v53, v37
	v_cndmask_b32_e32 v34, 0, v34, vcc
	v_add_f32_e32 v53, v53, v34
	v_cndmask_b32_e64 v35, 0, v35, s[4:5]
	v_add_f32_e32 v53, v53, v35
	ds_bpermute_b32 v51, v51, v53
	v_cmp_gt_u32_e32 vcc, 16, v55
	s_waitcnt lgkmcnt(0)
	s_barrier
	v_add_f32_e32 v51, v53, v51
	ds_bpermute_b32 v53, v58, v51
	s_and_saveexec_b64 s[4:5], vcc
	s_cbranch_execz .LBB973_15
; %bb.14:
	s_waitcnt lgkmcnt(0)
	v_add_f32_e32 v51, v51, v53
	v_lshlrev_b32_e32 v52, 2, v52
	ds_write2st64_b32 v52, v50, v51 offset1:1
.LBB973_15:
	s_or_b64 exec, exec, s[4:5]
	v_lshlrev_b32_e32 v51, 2, v56
	s_load_dword s7, s[0:1], 0x94
	s_waitcnt lgkmcnt(0)
	s_barrier
	ds_read2_b32 v[52:53], v51 offset1:16
	ds_read2_b32 v[58:59], v51 offset0:32 offset1:48
	ds_read2_b32 v[62:63], v51 offset0:64 offset1:80
	s_mul_i32 s8, s33, 6
	s_waitcnt lgkmcnt(2)
	v_max3_f32 v50, v52, s40, v53
	s_waitcnt lgkmcnt(1)
	v_max3_f32 v50, v50, v58, v59
	v_sub_f32_e32 v52, v52, v50
	v_mul_f32_e32 v52, 0x3fb8aa3b, v52
	v_exp_f32_e32 v55, v52
	v_sub_f32_e32 v52, v53, v50
	v_mul_f32_e32 v52, 0x3fb8aa3b, v52
	v_exp_f32_e32 v61, v52
	;; [unrolled: 3-line block ×3, first 2 shown]
	ds_read2_b32 v[52:53], v51 offset0:96 offset1:112
	v_sub_f32_e32 v51, v59, v50
	v_mul_f32_e32 v51, 0x3fb8aa3b, v51
	v_exp_f32_e32 v59, v51
	s_waitcnt lgkmcnt(1)
	v_fma_f32 v51, v55, v62, 0
	v_fmac_f32_e32 v51, v61, v63
	s_waitcnt lgkmcnt(0)
	v_fmac_f32_e32 v51, v58, v52
	v_fmac_f32_e32 v51, v59, v53
	v_add_f32_e32 v52, 0x358637bd, v51
	v_div_scale_f32 v53, s[4:5], v52, v52, 1.0
	v_rcp_f32_e32 v62, v53
	s_barrier
	v_fma_f32 v63, -v53, v62, 1.0
	v_fmac_f32_e32 v62, v63, v62
	v_div_scale_f32 v63, vcc, 1.0, v52, 1.0
	v_mul_f32_e32 v64, v63, v62
	v_fma_f32 v65, -v53, v64, v63
	v_fmac_f32_e32 v64, v65, v62
	v_fma_f32 v53, -v53, v64, v63
	v_div_fmas_f32 v53, v53, v62, v64
	v_cmp_eq_u32_e32 vcc, 1, v57
	v_div_fixup_f32 v52, v53, v52, 1.0
	s_nop 0
	v_cndmask_b32_e32 v53, v55, v61, vcc
	v_cmp_eq_u32_e32 vcc, 2, v57
	s_nop 1
	v_cndmask_b32_e32 v53, v53, v58, vcc
	v_cmp_eq_u32_e32 vcc, 3, v57
	s_nop 1
	v_cndmask_b32_e32 v53, v53, v59, vcc
	v_mul_f32_e32 v52, v53, v52
	v_pk_mul_f32 v[48:49], v[52:53], v[48:49] op_sel_hi:[0,1]
	v_pk_mul_f32 v[46:47], v[52:53], v[46:47] op_sel_hi:[0,1]
	v_cvt_f16_f32_e32 v53, v48
	v_cvt_f16_f32_e32 v49, v49
	v_cvt_f16_f32_e32 v46, v46
	v_cvt_f16_f32_e32 v47, v47
	v_pk_mul_f32 v[42:43], v[52:53], v[42:43] op_sel_hi:[0,1]
	v_pk_mul_f32 v[44:45], v[52:53], v[44:45] op_sel_hi:[0,1]
	v_pack_b32_f16 v49, v53, v49
	v_cvt_f16_f32_e32 v44, v44
	v_cvt_f16_f32_e32 v45, v45
	;; [unrolled: 1-line block ×4, first 2 shown]
	v_pack_b32_f16 v48, v46, v47
	v_lshlrev_b32_e32 v47, 3, v60
	v_lshlrev_b32_e32 v46, 5, v56
	;; [unrolled: 1-line block ×3, first 2 shown]
	v_or3_b32 v55, v42, v46, v47
	v_pack_b32_f16 v42, v44, v45
	v_pack_b32_f16 v43, v53, v43
	v_pk_mul_f32 v[38:39], v[52:53], v[38:39] op_sel_hi:[0,1]
	v_pk_mul_f32 v[40:41], v[52:53], v[40:41] op_sel_hi:[0,1]
	;; [unrolled: 1-line block ×4, first 2 shown]
	ds_write2st64_b64 v55, v[48:49], v[42:43] offset1:1
	v_cvt_f16_f32_e32 v40, v40
	v_cvt_f16_f32_e32 v41, v41
	;; [unrolled: 1-line block ×8, first 2 shown]
	v_pack_b32_f16 v34, v40, v41
	v_pack_b32_f16 v35, v38, v39
	;; [unrolled: 1-line block ×4, first 2 shown]
	v_cmp_gt_u32_e32 vcc, 6, v0
	ds_write2st64_b64 v55, v[34:35], v[36:37] offset0:2 offset1:3
	s_and_saveexec_b64 s[4:5], vcc
	s_cbranch_execz .LBB973_17
; %bb.16:
	s_mov_b32 s49, 0
	v_mov_b32_e32 v57, 0
	v_lshl_add_u64 v[34:35], s[48:49], 0, v[56:57]
	v_mov_b32_e32 v36, s8
	v_mad_u64_u32 v[34:35], s[10:11], s2, v36, v[34:35]
	s_mul_i32 s3, s3, s8
	v_mov_b32_e32 v36, s6
	v_mov_b32_e32 v37, v57
	s_load_dwordx4 s[12:15], s[0:1], 0x58
	v_add_u32_e32 v38, s3, v35
	v_mad_u64_u32 v[34:35], s[10:11], v34, s7, v[36:37]
	v_mov_b32_e32 v36, v35
	v_mad_u64_u32 v[36:37], s[10:11], v38, s7, v[36:37]
	v_mov_b32_e32 v35, v36
	v_lshlrev_b64 v[34:35], 2, v[34:35]
	s_waitcnt lgkmcnt(0)
	v_lshl_add_u64 v[36:37], s[14:15], 0, v[34:35]
	v_lshl_add_u64 v[34:35], s[12:13], 0, v[34:35]
	global_store_dword v[36:37], v50, off
	global_store_dword v[34:35], v51, off
.LBB973_17:
	s_or_b64 exec, exec, s[4:5]
	s_waitcnt vmcnt(7)
	v_cvt_pk_f32_fp8_e32 v[34:35], v6
	v_cvt_pk_f32_fp8_sdwa v[36:37], v6 src0_sel:WORD_1
	v_lshl_or_b32 v50, v60, 9, v46
	s_waitcnt lgkmcnt(0)
	s_barrier
	v_cvt_pk_f32_fp8_e32 v[38:39], v7
	v_cvt_pkrtz_f16_f32 v6, v34, v35
	v_cvt_pk_f32_fp8_sdwa v[40:41], v7 src0_sel:WORD_1
	v_cvt_pkrtz_f16_f32 v7, v36, v37
	ds_read_b128 v[34:37], v50
	v_cvt_pkrtz_f16_f32 v46, v38, v39
	v_cvt_pkrtz_f16_f32 v47, v40, v41
	ds_read_b128 v[38:41], v50 offset:16
	v_cvt_pk_f32_fp8_e32 v[48:49], v8
	v_cvt_pk_f32_fp8_sdwa v[52:53], v8 src0_sel:WORD_1
	s_waitcnt lgkmcnt(1)
	v_mfma_f32_16x16x16_f16 v[42:45], v[6:7], v[34:35], 0
	s_waitcnt vmcnt(6)
	v_cvt_pk_f32_fp8_e32 v[58:59], v4
	v_cvt_pkrtz_f16_f32 v6, v48, v49
	v_cvt_pkrtz_f16_f32 v7, v52, v53
	v_cvt_pk_f32_fp8_e32 v[48:49], v9
	v_mfma_f32_16x16x16_f16 v[42:45], v[46:47], v[36:37], v[42:45]
	v_cvt_pk_f32_fp8_sdwa v[46:47], v9 src0_sel:WORD_1
	v_cvt_pk_f32_fp8_sdwa v[62:63], v4 src0_sel:WORD_1
	v_cvt_pkrtz_f16_f32 v48, v48, v49
	s_waitcnt lgkmcnt(0)
	v_mfma_f32_16x16x16_f16 v[6:9], v[6:7], v[38:39], v[42:45]
	v_cvt_pkrtz_f16_f32 v49, v46, v47
	s_waitcnt vmcnt(5)
	v_cvt_pk_f32_fp8_sdwa v[66:67], v28 src0_sel:WORD_1
	s_waitcnt vmcnt(4)
	v_cvt_pk_f32_fp8_sdwa v[68:69], v24 src0_sel:WORD_1
	v_cvt_pk_f32_fp8_e32 v[42:43], v2
	v_mfma_f32_16x16x16_f16 v[46:49], v[48:49], v[40:41], v[6:9]
	s_waitcnt vmcnt(3)
	v_cvt_pk_f32_fp8_sdwa v[70:71], v32 src0_sel:WORD_1
	s_load_dword s4, s[42:43], 0x0
	v_cvt_pk_f32_fp8_sdwa v[6:7], v2 src0_sel:WORD_1
	v_cvt_pk_f32_fp8_e32 v[8:9], v3
	v_cvt_pkrtz_f16_f32 v2, v42, v43
	v_cvt_pk_f32_fp8_sdwa v[42:43], v3 src0_sel:WORD_1
	v_cvt_pkrtz_f16_f32 v3, v6, v7
	v_cvt_pkrtz_f16_f32 v52, v8, v9
	ds_read_b128 v[6:9], v50 offset:2048
	v_cvt_pkrtz_f16_f32 v53, v42, v43
	ds_read_b128 v[42:45], v50 offset:2064
	s_waitcnt lgkmcnt(0)
	v_mfma_f32_16x16x16_f16 v[46:49], v[2:3], v[6:7], v[46:49]
	v_cvt_pkrtz_f16_f32 v2, v58, v59
	v_cvt_pkrtz_f16_f32 v3, v62, v63
	v_cvt_pk_f32_fp8_e32 v[58:59], v5
	v_mfma_f32_16x16x16_f16 v[46:49], v[52:53], v[8:9], v[46:49]
	v_cvt_pk_f32_fp8_sdwa v[52:53], v5 src0_sel:WORD_1
	s_mov_b32 s3, 0
	v_cvt_pkrtz_f16_f32 v58, v58, v59
	v_mfma_f32_16x16x16_f16 v[2:5], v[2:3], v[42:43], v[46:49]
	v_cvt_pkrtz_f16_f32 v59, v52, v53
	v_cmp_gt_u32_e32 vcc, 64, v0
	s_nop 0
	v_cvt_pk_f32_fp8_e32 v[46:47], v26
	v_mfma_f32_16x16x16_f16 v[62:65], v[58:59], v[44:45], v[2:5]
	v_cvt_pk_f32_fp8_e32 v[58:59], v28
	s_nop 1
	v_cvt_pk_f32_fp8_sdwa v[2:3], v26 src0_sel:WORD_1
	v_cvt_pk_f32_fp8_e32 v[4:5], v27
	v_cvt_pkrtz_f16_f32 v26, v46, v47
	v_cvt_pk_f32_fp8_sdwa v[46:47], v27 src0_sel:WORD_1
	v_cvt_pkrtz_f16_f32 v27, v2, v3
	v_cvt_pkrtz_f16_f32 v52, v4, v5
	ds_read_b128 v[2:5], v50 offset:4096
	v_cvt_pkrtz_f16_f32 v53, v46, v47
	ds_read_b128 v[46:49], v50 offset:4112
	s_waitcnt lgkmcnt(1)
	v_mfma_f32_16x16x16_f16 v[62:65], v[26:27], v[2:3], v[62:65]
	v_cvt_pkrtz_f16_f32 v26, v58, v59
	v_cvt_pkrtz_f16_f32 v27, v66, v67
	v_cvt_pk_f32_fp8_e32 v[58:59], v29
	v_mfma_f32_16x16x16_f16 v[62:65], v[52:53], v[4:5], v[62:65]
	v_cvt_pk_f32_fp8_sdwa v[52:53], v29 src0_sel:WORD_1
	v_cvt_pk_f32_fp8_e32 v[66:67], v24
	v_cvt_pkrtz_f16_f32 v58, v58, v59
	s_waitcnt lgkmcnt(0)
	v_mfma_f32_16x16x16_f16 v[26:29], v[26:27], v[46:47], v[62:65]
	v_cvt_pkrtz_f16_f32 v59, v52, v53
	v_cvt_pk_f32_fp8_e32 v[52:53], v22
	s_nop 0
	v_mfma_f32_16x16x16_f16 v[62:65], v[58:59], v[48:49], v[26:29]
	s_nop 2
	v_cvt_pk_f32_fp8_sdwa v[26:27], v22 src0_sel:WORD_1
	v_cvt_pk_f32_fp8_e32 v[28:29], v23
	v_cvt_pkrtz_f16_f32 v22, v52, v53
	v_cvt_pk_f32_fp8_sdwa v[52:53], v23 src0_sel:WORD_1
	v_cvt_pkrtz_f16_f32 v23, v26, v27
	v_cvt_pkrtz_f16_f32 v58, v28, v29
	ds_read_b128 v[26:29], v50 offset:6144
	v_cvt_pkrtz_f16_f32 v59, v52, v53
	s_waitcnt lgkmcnt(0)
	v_mfma_f32_16x16x16_f16 v[62:65], v[22:23], v[26:27], v[62:65]
	ds_read_b128 v[50:53], v50 offset:6160
	v_cvt_pkrtz_f16_f32 v22, v66, v67
	v_cvt_pkrtz_f16_f32 v23, v68, v69
	v_cvt_pk_f32_fp8_e32 v[66:67], v25
	v_mfma_f32_16x16x16_f16 v[62:65], v[58:59], v[28:29], v[62:65]
	v_cvt_pk_f32_fp8_sdwa v[58:59], v25 src0_sel:WORD_1
	v_cvt_pk_f32_fp8_e32 v[68:69], v32
	v_cvt_pkrtz_f16_f32 v66, v66, v67
	s_waitcnt lgkmcnt(0)
	v_mfma_f32_16x16x16_f16 v[22:25], v[22:23], v[50:51], v[62:65]
	v_cvt_pkrtz_f16_f32 v67, v58, v59
	v_cvt_pk_f32_fp8_e32 v[58:59], v30
	s_nop 0
	v_cvt_pk_f32_fp8_sdwa v[62:63], v30 src0_sel:WORD_1
	v_cvt_pk_f32_fp8_e32 v[64:65], v31
	v_cvt_pkrtz_f16_f32 v58, v58, v59
	v_cvt_pk_f32_fp8_sdwa v[30:31], v31 src0_sel:WORD_1
	v_cvt_pkrtz_f16_f32 v59, v62, v63
	v_mfma_f32_16x16x16_f16 v[22:25], v[66:67], v[52:53], v[22:25]
	v_cvt_pkrtz_f16_f32 v66, v64, v65
	v_cvt_pkrtz_f16_f32 v67, v30, v31
	;; [unrolled: 1-line block ×3, first 2 shown]
	v_mfma_f32_16x16x16_f16 v[62:65], v[58:59], v[34:35], 0
	v_cvt_pkrtz_f16_f32 v31, v70, v71
	v_cvt_pk_f32_fp8_e32 v[58:59], v33
	s_barrier
	v_mfma_f32_16x16x16_f16 v[34:37], v[66:67], v[36:37], v[62:65]
	v_cvt_pkrtz_f16_f32 v58, v58, v59
	s_nop 1
	v_cvt_pk_f32_fp8_sdwa v[62:63], v33 src0_sel:WORD_1
	v_mfma_f32_16x16x16_f16 v[30:33], v[30:31], v[38:39], v[34:37]
	s_waitcnt vmcnt(2)
	v_cvt_pk_f32_fp8_e32 v[38:39], v19
	v_cvt_pkrtz_f16_f32 v59, v62, v63
	v_cvt_pk_f32_fp8_e32 v[34:35], v18
	v_cvt_pk_f32_fp8_sdwa v[36:37], v18 src0_sel:WORD_1
	v_cvt_pk_f32_fp8_sdwa v[18:19], v19 src0_sel:WORD_1
	v_mfma_f32_16x16x16_f16 v[30:33], v[58:59], v[40:41], v[30:33]
	v_cvt_pkrtz_f16_f32 v34, v34, v35
	v_cvt_pkrtz_f16_f32 v35, v36, v37
	;; [unrolled: 1-line block ×3, first 2 shown]
	v_cvt_pk_f32_fp8_e32 v[38:39], v20
	v_cvt_pk_f32_fp8_sdwa v[40:41], v20 src0_sel:WORD_1
	v_cvt_pkrtz_f16_f32 v37, v18, v19
	v_mfma_f32_16x16x16_f16 v[30:33], v[34:35], v[6:7], v[30:33]
	v_cvt_pkrtz_f16_f32 v18, v38, v39
	v_cvt_pkrtz_f16_f32 v19, v40, v41
	v_cvt_pk_f32_fp8_e32 v[34:35], v21
	v_cvt_pk_f32_fp8_sdwa v[20:21], v21 src0_sel:WORD_1
	v_mfma_f32_16x16x16_f16 v[6:9], v[36:37], v[8:9], v[30:33]
	s_nop 2
	v_cvt_pkrtz_f16_f32 v30, v34, v35
	v_cvt_pkrtz_f16_f32 v31, v20, v21
	v_mfma_f32_16x16x16_f16 v[6:9], v[18:19], v[42:43], v[6:9]
	s_waitcnt vmcnt(1)
	v_cvt_pk_f32_fp8_e32 v[18:19], v14
	v_cvt_pk_f32_fp8_sdwa v[20:21], v14 src0_sel:WORD_1
	v_cvt_pk_f32_fp8_sdwa v[32:33], v16 src0_sel:WORD_1
	v_mfma_f32_16x16x16_f16 v[6:9], v[30:31], v[44:45], v[6:9]
	v_cvt_pk_f32_fp8_e32 v[30:31], v15
	v_cvt_pkrtz_f16_f32 v18, v18, v19
	v_cvt_pkrtz_f16_f32 v19, v20, v21
	v_cvt_pk_f32_fp8_sdwa v[14:15], v15 src0_sel:WORD_1
	v_cvt_pkrtz_f16_f32 v20, v30, v31
	v_cvt_pk_f32_fp8_e32 v[30:31], v16
	v_mfma_f32_16x16x16_f16 v[6:9], v[18:19], v[2:3], v[6:9]
	v_cvt_pkrtz_f16_f32 v21, v14, v15
	v_cvt_pkrtz_f16_f32 v14, v30, v31
	;; [unrolled: 1-line block ×3, first 2 shown]
	v_cvt_pk_f32_fp8_e32 v[18:19], v17
	v_cvt_pk_f32_fp8_sdwa v[16:17], v17 src0_sel:WORD_1
	v_mfma_f32_16x16x16_f16 v[2:5], v[20:21], v[4:5], v[6:9]
	s_waitcnt vmcnt(0)
	v_cvt_pk_f32_fp8_sdwa v[20:21], v12 src0_sel:WORD_1
	s_nop 0
	v_cvt_pkrtz_f16_f32 v8, v18, v19
	v_cvt_pkrtz_f16_f32 v9, v16, v17
	v_mfma_f32_16x16x16_f16 v[2:5], v[14:15], v[46:47], v[2:5]
	v_cvt_pk_f32_fp8_e32 v[16:17], v10
	v_cvt_pk_f32_fp8_sdwa v[18:19], v10 src0_sel:WORD_1
	v_pk_mul_f32 v[6:7], v[24:25], s[4:5] op_sel_hi:[1,0]
	v_mfma_f32_16x16x16_f16 v[2:5], v[8:9], v[48:49], v[2:5]
	v_cvt_pk_f32_fp8_e32 v[8:9], v11
	v_cvt_pkrtz_f16_f32 v16, v16, v17
	v_cvt_pkrtz_f16_f32 v17, v18, v19
	v_cvt_pk_f32_fp8_sdwa v[10:11], v11 src0_sel:WORD_1
	v_cvt_pkrtz_f16_f32 v8, v8, v9
	v_cvt_pk_f32_fp8_e32 v[18:19], v12
	v_mfma_f32_16x16x16_f16 v[2:5], v[16:17], v[26:27], v[2:5]
	v_cvt_pkrtz_f16_f32 v9, v10, v11
	v_cvt_pkrtz_f16_f32 v10, v18, v19
	;; [unrolled: 1-line block ×3, first 2 shown]
	v_cvt_pk_f32_fp8_e32 v[16:17], v13
	v_cvt_pk_f32_fp8_sdwa v[12:13], v13 src0_sel:WORD_1
	v_mfma_f32_16x16x16_f16 v[2:5], v[8:9], v[28:29], v[2:5]
	v_pk_mul_f32 v[14:15], v[22:23], s[4:5] op_sel_hi:[1,0]
	v_cvt_pkrtz_f16_f32 v8, v16, v17
	v_cvt_pkrtz_f16_f32 v9, v12, v13
	v_mfma_f32_16x16x16_f16 v[2:5], v[10:11], v[50:51], v[2:5]
	v_cvt_f16_f32_e32 v14, v14
	v_cvt_f16_f32_e32 v10, v15
	;; [unrolled: 1-line block ×3, first 2 shown]
	v_mfma_f32_16x16x16_f16 v[2:5], v[8:9], v[52:53], v[2:5]
	v_cvt_f16_f32_e32 v7, v7
	s_nop 5
	v_pk_mul_f32 v[4:5], v[4:5], s[4:5] op_sel_hi:[1,0]
	v_pk_mul_f32 v[2:3], v[2:3], s[4:5] op_sel_hi:[1,0]
	v_cvt_f16_f32_e32 v11, v4
	v_cvt_f16_f32_e32 v8, v2
	;; [unrolled: 1-line block ×4, first 2 shown]
	v_pack_b32_f16 v2, v14, v10
	v_pack_b32_f16 v3, v6, v7
	;; [unrolled: 1-line block ×4, first 2 shown]
	ds_write2st64_b64 v55, v[2:3], v[4:5] offset1:1
	s_waitcnt lgkmcnt(0)
	s_barrier
	s_and_saveexec_b64 s[4:5], vcc
	s_cbranch_execz .LBB973_20
; %bb.18:
	s_load_dwordx2 s[4:5], s[0:1], 0x68
	s_lshl_b32 s0, s7, 7
	s_mul_i32 s1, s8, s2
	v_lshlrev_b32_e32 v4, 6, v56
	s_mul_hi_u32 s9, s1, s0
	s_mul_i32 s8, s1, s0
	v_lshl_or_b32 v0, v0, 10, v4
	s_lshl_b64 s[8:9], s[8:9], 1
	v_lshlrev_b32_e32 v3, 5, v60
	v_and_b32_e32 v1, 16, v1
	v_and_b32_e32 v0, 0x1a00, v0
	s_waitcnt lgkmcnt(0)
	s_add_u32 s1, s4, s8
	v_or3_b32 v3, v0, v3, v1
	s_addc_u32 s4, s5, s9
	s_lshl_b32 s2, s6, 7
	s_lshl_b64 s[2:3], s[2:3], 1
	ds_read_b128 v[4:7], v3
	s_add_u32 s2, s1, s2
	s_addc_u32 s3, s4, s3
	v_mov_b32_e32 v55, 0
	v_add_u32_e32 v8, s48, v60
	v_or_b32_e32 v2, 4, v60
	v_lshl_add_u64 v[0:1], s[2:3], 0, v[54:55]
	v_mad_u64_u32 v[8:9], s[2:3], v8, s0, 0
	v_lshl_add_u64 v[8:9], v[8:9], 1, v[0:1]
	v_cmp_gt_u32_e32 vcc, 6, v2
	s_waitcnt lgkmcnt(0)
	global_store_dwordx4 v[8:9], v[4:7], off
	s_and_b64 exec, exec, vcc
	s_cbranch_execz .LBB973_20
; %bb.19:
	ds_read_b128 v[4:7], v3 offset:128
	v_add_u32_e32 v2, s48, v2
	v_mad_u64_u32 v[2:3], s[0:1], v2, s0, 0
	v_lshl_add_u64 v[0:1], v[2:3], 1, v[0:1]
	s_waitcnt lgkmcnt(0)
	global_store_dwordx4 v[0:1], v[4:7], off
.LBB973_20:
	s_endpgm
	.section	.rodata,"a",@progbits
	.p2align	6, 0x0
	.amdhsa_kernel _Z39paged_attention_ll4mi_QKV_mfma16_kernelIDF16_hLN4vllm18Fp8KVCacheDataTypeE1EDF16_Li16ELi128ELi256ELb1ELi6EEvPKT_PKT0_S7_ifPKiS9_S9_iPKfiiiPfSC_PS2_PT2_iSB_SB_
		.amdhsa_group_segment_fixed_size 8192
		.amdhsa_private_segment_fixed_size 0
		.amdhsa_kernarg_size 400
		.amdhsa_user_sgpr_count 2
		.amdhsa_user_sgpr_dispatch_ptr 0
		.amdhsa_user_sgpr_queue_ptr 0
		.amdhsa_user_sgpr_kernarg_segment_ptr 1
		.amdhsa_user_sgpr_dispatch_id 0
		.amdhsa_user_sgpr_kernarg_preload_length 0
		.amdhsa_user_sgpr_kernarg_preload_offset 0
		.amdhsa_user_sgpr_private_segment_size 0
		.amdhsa_uses_dynamic_stack 0
		.amdhsa_enable_private_segment 0
		.amdhsa_system_sgpr_workgroup_id_x 1
		.amdhsa_system_sgpr_workgroup_id_y 1
		.amdhsa_system_sgpr_workgroup_id_z 1
		.amdhsa_system_sgpr_workgroup_info 0
		.amdhsa_system_vgpr_workitem_id 0
		.amdhsa_next_free_vgpr 76
		.amdhsa_next_free_sgpr 50
		.amdhsa_accum_offset 76
		.amdhsa_reserve_vcc 1
		.amdhsa_float_round_mode_32 0
		.amdhsa_float_round_mode_16_64 0
		.amdhsa_float_denorm_mode_32 3
		.amdhsa_float_denorm_mode_16_64 3
		.amdhsa_dx10_clamp 1
		.amdhsa_ieee_mode 1
		.amdhsa_fp16_overflow 0
		.amdhsa_tg_split 0
		.amdhsa_exception_fp_ieee_invalid_op 0
		.amdhsa_exception_fp_denorm_src 0
		.amdhsa_exception_fp_ieee_div_zero 0
		.amdhsa_exception_fp_ieee_overflow 0
		.amdhsa_exception_fp_ieee_underflow 0
		.amdhsa_exception_fp_ieee_inexact 0
		.amdhsa_exception_int_div_zero 0
	.end_amdhsa_kernel
	.section	.text._Z39paged_attention_ll4mi_QKV_mfma16_kernelIDF16_hLN4vllm18Fp8KVCacheDataTypeE1EDF16_Li16ELi128ELi256ELb1ELi6EEvPKT_PKT0_S7_ifPKiS9_S9_iPKfiiiPfSC_PS2_PT2_iSB_SB_,"axG",@progbits,_Z39paged_attention_ll4mi_QKV_mfma16_kernelIDF16_hLN4vllm18Fp8KVCacheDataTypeE1EDF16_Li16ELi128ELi256ELb1ELi6EEvPKT_PKT0_S7_ifPKiS9_S9_iPKfiiiPfSC_PS2_PT2_iSB_SB_,comdat
.Lfunc_end973:
	.size	_Z39paged_attention_ll4mi_QKV_mfma16_kernelIDF16_hLN4vllm18Fp8KVCacheDataTypeE1EDF16_Li16ELi128ELi256ELb1ELi6EEvPKT_PKT0_S7_ifPKiS9_S9_iPKfiiiPfSC_PS2_PT2_iSB_SB_, .Lfunc_end973-_Z39paged_attention_ll4mi_QKV_mfma16_kernelIDF16_hLN4vllm18Fp8KVCacheDataTypeE1EDF16_Li16ELi128ELi256ELb1ELi6EEvPKT_PKT0_S7_ifPKiS9_S9_iPKfiiiPfSC_PS2_PT2_iSB_SB_
                                        ; -- End function
	.section	.AMDGPU.csdata,"",@progbits
; Kernel info:
; codeLenInByte = 6292
; NumSgprs: 56
; NumVgprs: 76
; NumAgprs: 0
; TotalNumVgprs: 76
; ScratchSize: 0
; MemoryBound: 0
; FloatMode: 240
; IeeeMode: 1
; LDSByteSize: 8192 bytes/workgroup (compile time only)
; SGPRBlocks: 6
; VGPRBlocks: 9
; NumSGPRsForWavesPerEU: 56
; NumVGPRsForWavesPerEU: 76
; AccumOffset: 76
; Occupancy: 6
; WaveLimiterHint : 1
; COMPUTE_PGM_RSRC2:SCRATCH_EN: 0
; COMPUTE_PGM_RSRC2:USER_SGPR: 2
; COMPUTE_PGM_RSRC2:TRAP_HANDLER: 0
; COMPUTE_PGM_RSRC2:TGID_X_EN: 1
; COMPUTE_PGM_RSRC2:TGID_Y_EN: 1
; COMPUTE_PGM_RSRC2:TGID_Z_EN: 1
; COMPUTE_PGM_RSRC2:TIDIG_COMP_CNT: 0
; COMPUTE_PGM_RSRC3_GFX90A:ACCUM_OFFSET: 18
; COMPUTE_PGM_RSRC3_GFX90A:TG_SPLIT: 0
	.section	.text._Z39paged_attention_ll4mi_QKV_mfma16_kernelIDF16_hLN4vllm18Fp8KVCacheDataTypeE1EDF16_Li16ELi128ELi256ELb1ELi7EEvPKT_PKT0_S7_ifPKiS9_S9_iPKfiiiPfSC_PS2_PT2_iSB_SB_,"axG",@progbits,_Z39paged_attention_ll4mi_QKV_mfma16_kernelIDF16_hLN4vllm18Fp8KVCacheDataTypeE1EDF16_Li16ELi128ELi256ELb1ELi7EEvPKT_PKT0_S7_ifPKiS9_S9_iPKfiiiPfSC_PS2_PT2_iSB_SB_,comdat
	.protected	_Z39paged_attention_ll4mi_QKV_mfma16_kernelIDF16_hLN4vllm18Fp8KVCacheDataTypeE1EDF16_Li16ELi128ELi256ELb1ELi7EEvPKT_PKT0_S7_ifPKiS9_S9_iPKfiiiPfSC_PS2_PT2_iSB_SB_ ; -- Begin function _Z39paged_attention_ll4mi_QKV_mfma16_kernelIDF16_hLN4vllm18Fp8KVCacheDataTypeE1EDF16_Li16ELi128ELi256ELb1ELi7EEvPKT_PKT0_S7_ifPKiS9_S9_iPKfiiiPfSC_PS2_PT2_iSB_SB_
	.globl	_Z39paged_attention_ll4mi_QKV_mfma16_kernelIDF16_hLN4vllm18Fp8KVCacheDataTypeE1EDF16_Li16ELi128ELi256ELb1ELi7EEvPKT_PKT0_S7_ifPKiS9_S9_iPKfiiiPfSC_PS2_PT2_iSB_SB_
	.p2align	8
	.type	_Z39paged_attention_ll4mi_QKV_mfma16_kernelIDF16_hLN4vllm18Fp8KVCacheDataTypeE1EDF16_Li16ELi128ELi256ELb1ELi7EEvPKT_PKT0_S7_ifPKiS9_S9_iPKfiiiPfSC_PS2_PT2_iSB_SB_,@function
_Z39paged_attention_ll4mi_QKV_mfma16_kernelIDF16_hLN4vllm18Fp8KVCacheDataTypeE1EDF16_Li16ELi128ELi256ELb1ELi7EEvPKT_PKT0_S7_ifPKiS9_S9_iPKfiiiPfSC_PS2_PT2_iSB_SB_: ; @_Z39paged_attention_ll4mi_QKV_mfma16_kernelIDF16_hLN4vllm18Fp8KVCacheDataTypeE1EDF16_Li16ELi128ELi256ELb1ELi7EEvPKT_PKT0_S7_ifPKiS9_S9_iPKfiiiPfSC_PS2_PT2_iSB_SB_
; %bb.0:
	s_load_dwordx2 s[10:11], s[0:1], 0x30
	s_mov_b32 s6, s3
	s_mov_b64 s[8:9], 0
	s_waitcnt lgkmcnt(0)
	s_cmp_lg_u64 s[10:11], 0
	s_cselect_b64 s[12:13], -1, 0
	s_and_b64 vcc, exec, s[12:13]
	s_cbranch_vccz .LBB974_7
; %bb.1:
	s_add_i32 s14, s2, 1
	s_mov_b32 s15, 0
	s_lshl_b64 s[16:17], s[14:15], 2
	s_add_u32 s16, s10, s16
	s_mov_b32 s3, s15
	s_addc_u32 s17, s11, s17
	s_lshl_b64 s[14:15], s[2:3], 2
	s_add_u32 s14, s10, s14
	s_addc_u32 s15, s11, s15
	s_load_dword s5, s[16:17], 0x0
	s_load_dword s7, s[14:15], 0x0
	s_waitcnt lgkmcnt(0)
	s_sub_i32 s5, s5, s7
	s_cmp_eq_u32 s5, 1
	s_cselect_b64 s[14:15], -1, 0
	s_andn2_b64 vcc, exec, s[8:9]
	s_cbranch_vccnz .LBB974_3
.LBB974_2:
	s_mov_b32 s3, 0
	s_mov_b64 s[14:15], -1
.LBB974_3:
	s_andn2_b64 vcc, exec, s[14:15]
	s_cbranch_vccnz .LBB974_20
; %bb.4:
	s_load_dwordx2 s[8:9], s[0:1], 0x28
	s_lshl_b64 s[16:17], s[2:3], 2
	s_waitcnt lgkmcnt(0)
	s_add_u32 s8, s8, s16
	s_addc_u32 s9, s9, s17
	s_load_dword s7, s[8:9], 0x0
	s_lshl_b32 s18, s6, 8
	s_waitcnt lgkmcnt(0)
	s_cmp_ge_i32 s18, s7
	s_cbranch_scc1 .LBB974_20
; %bb.5:
	s_load_dwordx2 s[8:9], s[0:1], 0x20
	s_load_dword s5, s[0:1], 0x38
	s_add_i32 s14, s7, 15
	s_ashr_i32 s15, s14, 31
	v_and_b32_e32 v1, 0xcf, v0
	s_lshr_b32 s15, s15, 28
	v_add_u32_e32 v1, s18, v1
	s_add_i32 s14, s14, s15
	v_ashrrev_i32_e32 v2, 31, v1
	s_ashr_i32 s19, s14, 4
	v_lshrrev_b32_e32 v4, 28, v2
	s_add_i32 s19, s19, -1
	s_waitcnt lgkmcnt(0)
	s_mul_i32 s14, s2, s5
	s_mov_b32 s15, 0
	v_add_u32_e32 v2, v1, v4
	s_lshl_b64 s[14:15], s[14:15], 2
	v_ashrrev_i32_e32 v2, 4, v2
	v_mov_b32_e32 v5, s19
	v_cmp_gt_i32_e32 vcc, s7, v1
	s_add_u32 s8, s8, s14
	s_addc_u32 s9, s9, s15
	v_cndmask_b32_e32 v2, v5, v2, vcc
	v_ashrrev_i32_e32 v3, 31, v2
	v_lshl_add_u64 v[6:7], v[2:3], 2, s[8:9]
	v_or_b32_e32 v2, 16, v1
	v_add_u32_e32 v3, v2, v4
	v_ashrrev_i32_e32 v3, 4, v3
	v_cmp_gt_i32_e32 vcc, s7, v2
	s_load_dwordx2 s[14:15], s[0:1], 0x8
	s_nop 0
	v_cndmask_b32_e32 v2, v5, v3, vcc
	v_ashrrev_i32_e32 v3, 31, v2
	v_lshl_add_u64 v[8:9], v[2:3], 2, s[8:9]
	v_or_b32_e32 v2, 32, v1
	v_add_u32_e32 v3, v2, v4
	v_ashrrev_i32_e32 v3, 4, v3
	v_cmp_gt_i32_e32 vcc, s7, v2
	v_or_b32_e32 v1, 48, v1
	s_nop 0
	v_cndmask_b32_e32 v2, v5, v3, vcc
	v_ashrrev_i32_e32 v3, 31, v2
	v_lshl_add_u64 v[12:13], v[2:3], 2, s[8:9]
	v_add_u32_e32 v2, v1, v4
	v_ashrrev_i32_e32 v2, 4, v2
	v_cmp_gt_i32_e32 vcc, s7, v1
	s_nop 1
	v_cndmask_b32_e32 v2, v5, v2, vcc
	v_ashrrev_i32_e32 v3, 31, v2
	v_lshl_add_u64 v[14:15], v[2:3], 2, s[8:9]
	global_load_dword v4, v[6:7], off
	global_load_dword v3, v[8:9], off
	;; [unrolled: 1-line block ×4, first 2 shown]
	s_andn2_b64 vcc, exec, s[12:13]
	s_cbranch_vccnz .LBB974_8
; %bb.6:
	s_add_u32 s10, s10, s16
	s_addc_u32 s11, s11, s17
	s_load_dword s5, s[10:11], 0x0
	s_branch .LBB974_9
.LBB974_7:
	s_mov_b64 s[14:15], 0
	s_branch .LBB974_2
.LBB974_8:
	s_mov_b32 s5, s2
.LBB974_9:
	s_load_dwordx2 s[10:11], s[0:1], 0x10
	s_load_dwordx4 s[44:47], s[0:1], 0x48
	v_lshrrev_b32_e32 v57, 6, v0
	v_bfe_u32 v60, v0, 4, 2
	v_and_b32_e32 v56, 15, v0
	v_lshl_or_b32 v5, v57, 2, v60
	v_lshlrev_b32_e32 v1, 3, v56
	s_mul_i32 s48, s4, 7
	v_cmp_gt_u32_e32 vcc, 7, v5
	v_lshlrev_b32_e32 v54, 1, v1
	v_lshlrev_b32_e32 v1, 4, v0
	s_and_saveexec_b64 s[12:13], vcc
	s_cbranch_execz .LBB974_11
; %bb.10:
	s_load_dwordx2 s[16:17], s[0:1], 0x0
	s_waitcnt lgkmcnt(0)
	s_ashr_i32 s20, s44, 31
	s_mul_hi_u32 s21, s5, s44
	s_mul_i32 s20, s5, s20
	s_add_i32 s21, s21, s20
	s_mul_i32 s20, s5, s44
	s_lshl_b64 s[20:21], s[20:21], 1
	s_add_u32 s16, s16, s20
	v_add_lshl_u32 v6, v5, s48, 7
	s_addc_u32 s17, s17, s21
	v_ashrrev_i32_e32 v7, 31, v6
	v_lshl_add_u64 v[6:7], v[6:7], 1, s[16:17]
	v_mov_b32_e32 v55, 0
	v_lshl_add_u64 v[6:7], v[6:7], 0, v[54:55]
	global_load_dwordx4 v[6:9], v[6:7], off
	v_lshlrev_b32_e32 v12, 8, v0
	v_lshlrev_b32_e32 v11, 8, v56
	v_and_b32_e32 v12, 0x600, v12
	s_movk_i32 s5, 0x800
	v_and_or_b32 v11, v11, s5, v12
	v_lshlrev_b32_e32 v5, 5, v5
	v_and_b32_e32 v12, 16, v1
	v_or3_b32 v5, v11, v5, v12
	s_waitcnt vmcnt(0)
	ds_write_b128 v5, v[6:9]
.LBB974_11:
	s_or_b64 exec, exec, s[12:13]
	s_waitcnt lgkmcnt(0)
	s_mul_i32 s12, s4, s46
	s_add_u32 s4, s14, s12
	s_addc_u32 s5, s15, 0
	v_and_b32_e32 v58, 0xf0, v1
	v_mov_b32_e32 v59, 0
	v_and_b32_e32 v34, 48, v0
	v_lshl_add_u64 v[12:13], s[4:5], 0, v[58:59]
	v_lshlrev_b32_e32 v58, 4, v34
	s_waitcnt vmcnt(3)
	v_mad_i64_i32 v[4:5], s[4:5], v4, s45, v[12:13]
	v_lshl_add_u64 v[4:5], v[4:5], 0, v[58:59]
	s_barrier
	global_load_dwordx4 v[50:53], v[4:5], off
	global_load_dwordx4 v[46:49], v[4:5], off offset:1024
	s_waitcnt vmcnt(4)
	v_mad_i64_i32 v[4:5], s[4:5], v3, s45, v[12:13]
	s_waitcnt vmcnt(3)
	v_mad_i64_i32 v[2:3], s[4:5], v2, s45, v[12:13]
	v_lshl_add_u64 v[4:5], v[4:5], 0, v[58:59]
	v_lshl_add_u64 v[14:15], v[2:3], 0, v[58:59]
	s_waitcnt vmcnt(2)
	v_mad_i64_i32 v[10:11], s[4:5], v10, s45, v[12:13]
	global_load_dwordx4 v[36:39], v[4:5], off
	global_load_dwordx4 v[6:9], v[4:5], off offset:1024
	s_nop 0
	global_load_dwordx4 v[2:5], v[14:15], off
	global_load_dwordx4 v[42:45], v[14:15], off offset:1024
	v_lshl_add_u64 v[14:15], v[10:11], 0, v[58:59]
	global_load_dwordx4 v[22:25], v[14:15], off
	global_load_dwordx4 v[10:13], v[14:15], off offset:1024
	v_mul_lo_u16_e32 v14, 37, v56
	v_mov_b32_e32 v15, 7
	v_mul_lo_u16_sdwa v14, v14, v15 dst_sel:DWORD dst_unused:UNUSED_PAD src0_sel:BYTE_1 src1_sel:DWORD
	v_sub_u16_e32 v14, v56, v14
	v_mov_b32_e32 v15, 5
	v_lshlrev_b32_sdwa v14, v15, v14 dst_sel:DWORD dst_unused:UNUSED_PAD src0_sel:DWORD src1_sel:BYTE_0
	v_lshl_add_u32 v14, v60, 9, v14
	ds_read_b128 v[30:33], v14
	ds_read_b128 v[26:29], v14 offset:16
	ds_read_b128 v[18:21], v14 offset:2048
	ds_read_b128 v[14:17], v14 offset:2064
	v_and_b32_e32 v55, 63, v0
	v_cmp_gt_u32_e32 vcc, 7, v56
	v_mov_b32_e32 v61, 0
	s_and_saveexec_b64 s[4:5], vcc
	s_cbranch_execz .LBB974_13
; %bb.12:
	s_load_dwordx2 s[14:15], s[0:1], 0x40
	v_add_u32_e32 v40, s48, v56
	v_ashrrev_i32_e32 v41, 31, v40
	s_waitcnt lgkmcnt(0)
	v_lshl_add_u64 v[40:41], v[40:41], 2, s[14:15]
	global_load_dword v61, v[40:41], off
.LBB974_13:
	s_or_b64 exec, exec, s[4:5]
	v_or_b32_e32 v58, s18, v34
	v_ashrrev_i32_e32 v34, 4, v58
	v_mov_b32_e32 v63, s19
	v_cmp_gt_i32_e32 vcc, s7, v58
	s_waitcnt vmcnt(7)
	v_cvt_pk_f32_fp8_e32 v[40:41], v50
	v_cvt_pk_f32_fp8_sdwa v[64:65], v50 src0_sel:WORD_1
	v_cndmask_b32_e32 v34, v63, v34, vcc
	v_ashrrev_i32_e32 v35, 31, v34
	v_lshl_add_u64 v[34:35], v[34:35], 2, s[8:9]
	global_load_dword v62, v[34:35], off
	v_or_b32_e32 v34, 64, v58
	v_ashrrev_i32_e32 v35, 4, v34
	v_cmp_gt_i32_e32 vcc, s7, v34
	v_or_b32_e32 v66, 0x80, v58
	v_ashrrev_i32_e32 v67, 4, v66
	v_cndmask_b32_e32 v34, v63, v35, vcc
	v_cmp_gt_i32_e32 vcc, s7, v66
	v_cvt_pkrtz_f16_f32 v40, v40, v41
	v_cvt_pkrtz_f16_f32 v41, v64, v65
	v_cndmask_b32_e32 v50, v63, v67, vcc
	v_cvt_pk_f32_fp8_e32 v[64:65], v51
	v_cvt_pk_f32_fp8_sdwa v[66:67], v51 src0_sel:WORD_1
	v_ashrrev_i32_e32 v51, 31, v50
	v_lshl_add_u64 v[68:69], v[50:51], 2, s[8:9]
	v_cvt_pkrtz_f16_f32 v50, v64, v65
	v_cvt_pkrtz_f16_f32 v51, v66, v67
	s_waitcnt lgkmcnt(3)
	v_mfma_f32_16x16x16_f16 v[64:67], v[40:41], v[30:31], 0
	v_cvt_pk_f32_fp8_e32 v[40:41], v52
	v_cvt_pk_f32_fp8_sdwa v[70:71], v52 src0_sel:WORD_1
	s_waitcnt vmcnt(7)
	v_cvt_pk_f32_fp8_e32 v[72:73], v46
	v_mfma_f32_16x16x16_f16 v[64:67], v[50:51], v[32:33], v[64:67]
	v_cvt_pk_f32_fp8_e32 v[50:51], v53
	v_cvt_pkrtz_f16_f32 v40, v40, v41
	v_cvt_pkrtz_f16_f32 v41, v70, v71
	v_cvt_pk_f32_fp8_sdwa v[52:53], v53 src0_sel:WORD_1
	v_cvt_pkrtz_f16_f32 v70, v50, v51
	v_cvt_pk_f32_fp8_sdwa v[74:75], v46 src0_sel:WORD_1
	v_ashrrev_i32_e32 v35, 31, v34
	v_cvt_pkrtz_f16_f32 v71, v52, v53
	s_waitcnt lgkmcnt(2)
	v_mfma_f32_16x16x16_f16 v[50:53], v[40:41], v[26:27], v[64:67]
	v_cvt_pkrtz_f16_f32 v40, v72, v73
	v_cvt_pkrtz_f16_f32 v41, v74, v75
	v_or_b32_e32 v58, 0xc0, v58
	v_cvt_pk_f32_fp8_e32 v[64:65], v47
	v_cvt_pk_f32_fp8_sdwa v[46:47], v47 src0_sel:WORD_1
	v_mfma_f32_16x16x16_f16 v[50:53], v[70:71], v[28:29], v[50:53]
	v_lshl_add_u64 v[34:35], v[34:35], 2, s[8:9]
	v_cvt_pkrtz_f16_f32 v64, v64, v65
	v_cvt_pkrtz_f16_f32 v65, v46, v47
	s_waitcnt lgkmcnt(1)
	v_mfma_f32_16x16x16_f16 v[50:53], v[40:41], v[18:19], v[50:53]
	v_ashrrev_i32_e32 v66, 4, v58
	v_cmp_gt_i32_e32 vcc, s7, v58
	v_cvt_pk_f32_fp8_e32 v[46:47], v48
	s_waitcnt vmcnt(6)
	v_cvt_pk_f32_fp8_sdwa v[70:71], v36 src0_sel:WORD_1
	v_cndmask_b32_e32 v40, v63, v66, vcc
	v_mfma_f32_16x16x16_f16 v[64:67], v[64:65], v[20:21], v[50:53]
	v_ashrrev_i32_e32 v41, 31, v40
	v_lshl_add_u64 v[40:41], v[40:41], 2, s[8:9]
	v_cvt_pkrtz_f16_f32 v46, v46, v47
	global_load_dword v53, v[34:35], off
	global_load_dword v63, v[40:41], off
	v_cvt_pk_f32_fp8_sdwa v[50:51], v48 src0_sel:WORD_1
	v_cvt_pk_f32_fp8_e32 v[34:35], v49
	v_cvt_pk_f32_fp8_sdwa v[48:49], v49 src0_sel:WORD_1
	s_add_u32 s46, s10, s12
	v_cvt_pkrtz_f16_f32 v47, v50, v51
	v_cvt_pkrtz_f16_f32 v34, v34, v35
	;; [unrolled: 1-line block ×3, first 2 shown]
	s_waitcnt lgkmcnt(0)
	v_mfma_f32_16x16x16_f16 v[46:49], v[46:47], v[14:15], v[64:67]
	v_cvt_pk_f32_fp8_e32 v[50:51], v36
	s_nop 1
	global_load_dword v64, v[68:69], off
	v_cvt_pk_f32_fp8_e32 v[66:67], v37
	s_waitcnt vmcnt(8)
	v_cvt_pk_f32_fp8_e32 v[68:69], v6
	v_cvt_pkrtz_f16_f32 v50, v50, v51
	v_cvt_pkrtz_f16_f32 v51, v70, v71
	v_cvt_pk_f32_fp8_sdwa v[70:71], v37 src0_sel:WORD_1
	v_cvt_pkrtz_f16_f32 v40, v66, v67
	v_mfma_f32_16x16x16_f16 v[34:37], v[34:35], v[16:17], v[46:49]
	v_cvt_pk_f32_fp8_sdwa v[66:67], v38 src0_sel:WORD_1
	v_cvt_pkrtz_f16_f32 v41, v70, v71
	v_cvt_pk_f32_fp8_sdwa v[70:71], v6 src0_sel:WORD_1
	v_mfma_f32_16x16x16_f16 v[46:49], v[50:51], v[30:31], 0
	v_cvt_pk_f32_fp8_e32 v[50:51], v38
	v_lshl_or_b32 v52, v57, 4, v56
	s_waitcnt vmcnt(6)
	v_cvt_pk_f32_fp8_e32 v[72:73], v43
	v_mfma_f32_16x16x16_f16 v[46:49], v[40:41], v[32:33], v[46:49]
	v_cvt_pk_f32_fp8_e32 v[40:41], v39
	v_cvt_pkrtz_f16_f32 v50, v50, v51
	v_cvt_pkrtz_f16_f32 v51, v66, v67
	v_cvt_pk_f32_fp8_sdwa v[38:39], v39 src0_sel:WORD_1
	v_cvt_pkrtz_f16_f32 v66, v40, v41
	s_addc_u32 s47, s11, 0
	v_lshlrev_b32_e32 v58, 4, v52
	v_cvt_pkrtz_f16_f32 v67, v38, v39
	v_mfma_f32_16x16x16_f16 v[38:41], v[50:51], v[26:27], v[46:49]
	v_cvt_pk_f32_fp8_sdwa v[50:51], v2 src0_sel:WORD_1
	s_nop 1
	v_cvt_pkrtz_f16_f32 v46, v68, v69
	v_cvt_pkrtz_f16_f32 v47, v70, v71
	v_cvt_pk_f32_fp8_e32 v[48:49], v7
	v_cvt_pk_f32_fp8_sdwa v[6:7], v7 src0_sel:WORD_1
	v_mfma_f32_16x16x16_f16 v[38:41], v[66:67], v[28:29], v[38:41]
	v_lshl_add_u64 v[70:71], s[46:47], 0, v[58:59]
	v_cvt_pkrtz_f16_f32 v48, v48, v49
	v_cvt_pkrtz_f16_f32 v49, v6, v7
	v_mfma_f32_16x16x16_f16 v[38:41], v[46:47], v[18:19], v[38:41]
	v_cvt_pk_f32_fp8_e32 v[6:7], v8
	v_cvt_pk_f32_fp8_sdwa v[46:47], v8 src0_sel:WORD_1
	v_or_b32_e32 v58, 0x400, v58
	v_mfma_f32_16x16x16_f16 v[38:41], v[48:49], v[20:21], v[38:41]
	v_cvt_pk_f32_fp8_e32 v[48:49], v9
	v_cvt_pkrtz_f16_f32 v6, v6, v7
	v_cvt_pkrtz_f16_f32 v7, v46, v47
	v_cvt_pk_f32_fp8_sdwa v[8:9], v9 src0_sel:WORD_1
	v_cvt_pkrtz_f16_f32 v46, v48, v49
	v_cvt_pk_f32_fp8_e32 v[48:49], v2
	v_cvt_pkrtz_f16_f32 v47, v8, v9
	v_mfma_f32_16x16x16_f16 v[6:9], v[6:7], v[14:15], v[38:41]
	v_cvt_pkrtz_f16_f32 v48, v48, v49
	v_cvt_pkrtz_f16_f32 v49, v50, v51
	v_cvt_pk_f32_fp8_e32 v[50:51], v3
	v_cvt_pk_f32_fp8_sdwa v[2:3], v3 src0_sel:WORD_1
	v_mfma_f32_16x16x16_f16 v[38:41], v[46:47], v[16:17], v[6:9]
	v_cvt_pkrtz_f16_f32 v46, v50, v51
	v_cvt_pkrtz_f16_f32 v47, v2, v3
	v_mfma_f32_16x16x16_f16 v[6:9], v[48:49], v[30:31], 0
	v_cvt_pk_f32_fp8_e32 v[2:3], v4
	v_cvt_pk_f32_fp8_sdwa v[48:49], v4 src0_sel:WORD_1
	s_waitcnt vmcnt(3)
	v_mad_i64_i32 v[50:51], s[4:5], v62, s45, v[70:71]
	v_cvt_pkrtz_f16_f32 v2, v2, v3
	v_cvt_pkrtz_f16_f32 v3, v48, v49
	v_mfma_f32_16x16x16_f16 v[6:9], v[46:47], v[32:33], v[6:9]
	v_cvt_pk_f32_fp8_e32 v[46:47], v5
	v_cvt_pk_f32_fp8_sdwa v[4:5], v5 src0_sel:WORD_1
	s_waitcnt vmcnt(2)
	v_mad_i64_i32 v[66:67], s[4:5], v53, s45, v[70:71]
	v_cvt_pkrtz_f16_f32 v46, v46, v47
	v_cvt_pkrtz_f16_f32 v47, v4, v5
	v_mfma_f32_16x16x16_f16 v[2:5], v[2:3], v[26:27], v[6:9]
	s_nop 2
	v_cvt_pk_f32_fp8_e32 v[6:7], v42
	v_cvt_pk_f32_fp8_sdwa v[8:9], v42 src0_sel:WORD_1
	v_cvt_pk_f32_fp8_sdwa v[42:43], v43 src0_sel:WORD_1
	v_mfma_f32_16x16x16_f16 v[46:49], v[46:47], v[28:29], v[2:5]
	v_cvt_pkrtz_f16_f32 v68, v6, v7
	v_cvt_pkrtz_f16_f32 v69, v8, v9
	global_load_dwordx4 v[6:9], v[50:51], off
	global_load_dwordx4 v[2:5], v[66:67], off
	v_cvt_pkrtz_f16_f32 v66, v72, v73
	v_cvt_pkrtz_f16_f32 v67, v42, v43
	v_mfma_f32_16x16x16_f16 v[48:51], v[68:69], v[18:19], v[46:49]
	v_cvt_pk_f32_fp8_e32 v[42:43], v44
	v_cvt_pk_f32_fp8_sdwa v[72:73], v44 src0_sel:WORD_1
	s_waitcnt vmcnt(2)
	v_mad_i64_i32 v[46:47], s[4:5], v64, s45, v[70:71]
	v_mfma_f32_16x16x16_f16 v[66:69], v[66:67], v[20:21], v[48:51]
	v_cvt_pkrtz_f16_f32 v42, v42, v43
	v_cvt_pkrtz_f16_f32 v43, v72, v73
	v_cvt_pk_f32_fp8_sdwa v[72:73], v22 src0_sel:WORD_1
	v_cvt_pk_f32_fp8_e32 v[50:51], v45
	v_cvt_pk_f32_fp8_sdwa v[44:45], v45 src0_sel:WORD_1
	v_mad_i64_i32 v[48:49], s[4:5], v63, s45, v[70:71]
	v_cvt_pkrtz_f16_f32 v50, v50, v51
	v_cvt_pkrtz_f16_f32 v51, v44, v45
	v_mfma_f32_16x16x16_f16 v[42:45], v[42:43], v[14:15], v[66:69]
	v_cvt_pk_f32_fp8_e32 v[70:71], v22
	s_load_dword s4, s[0:1], 0x1c
	s_load_dwordx4 s[40:43], s[0:1], 0x80
	s_load_dword s33, s[0:1], 0x98
	s_waitcnt lgkmcnt(0)
	s_load_dword s5, s[40:41], 0x0
	v_mfma_f32_16x16x16_f16 v[66:69], v[50:51], v[16:17], v[42:45]
	s_mov_b32 s40, 0xff7fffff
	s_nop 1
	v_cvt_pk_f32_fp8_e32 v[42:43], v23
	v_cvt_pkrtz_f16_f32 v44, v70, v71
	v_cvt_pkrtz_f16_f32 v45, v72, v73
	v_cvt_pk_f32_fp8_sdwa v[22:23], v23 src0_sel:WORD_1
	v_cvt_pkrtz_f16_f32 v50, v42, v43
	v_cvt_pk_f32_fp8_e32 v[70:71], v24
	v_cvt_pk_f32_fp8_sdwa v[72:73], v24 src0_sel:WORD_1
	v_cvt_pkrtz_f16_f32 v51, v22, v23
	v_mfma_f32_16x16x16_f16 v[42:45], v[44:45], v[30:31], 0
	v_cvt_pkrtz_f16_f32 v30, v70, v71
	v_cvt_pkrtz_f16_f32 v31, v72, v73
	v_cvt_pk_f32_fp8_e32 v[70:71], v25
	v_cvt_pk_f32_fp8_sdwa v[72:73], v25 src0_sel:WORD_1
	v_mfma_f32_16x16x16_f16 v[22:25], v[50:51], v[32:33], v[42:45]
	v_mov_b32_e32 v32, s4
	s_waitcnt lgkmcnt(0)
	v_mul_f32_e32 v50, s5, v32
	v_pk_mul_f32 v[32:33], v[50:51], v[34:35] op_sel_hi:[0,1]
	v_cvt_pkrtz_f16_f32 v42, v70, v71
	v_cvt_pkrtz_f16_f32 v43, v72, v73
	v_mfma_f32_16x16x16_f16 v[22:25], v[30:31], v[26:27], v[22:25]
	v_pk_mul_f32 v[30:31], v[50:51], v[36:37] op_sel_hi:[0,1]
	v_cvt_pk_f32_fp8_e32 v[26:27], v11
	v_cvt_pk_f32_fp8_sdwa v[70:71], v12 src0_sel:WORD_1
	v_mfma_f32_16x16x16_f16 v[34:37], v[42:43], v[28:29], v[22:25]
	v_pk_mul_f32 v[40:41], v[50:51], v[40:41] op_sel_hi:[0,1]
	v_cvt_pkrtz_f16_f32 v44, v26, v27
	s_nop 0
	v_cvt_pk_f32_fp8_e32 v[22:23], v10
	v_cvt_pk_f32_fp8_sdwa v[24:25], v10 src0_sel:WORD_1
	v_cvt_pk_f32_fp8_sdwa v[10:11], v11 src0_sel:WORD_1
	v_cvt_pkrtz_f16_f32 v42, v22, v23
	v_cvt_pkrtz_f16_f32 v43, v24, v25
	;; [unrolled: 1-line block ×3, first 2 shown]
	v_cvt_pk_f32_fp8_e32 v[10:11], v12
	v_mfma_f32_16x16x16_f16 v[34:37], v[42:43], v[18:19], v[34:37]
	global_load_dwordx4 v[26:29], v[46:47], off
	global_load_dwordx4 v[22:25], v[48:49], off
	v_cvt_pkrtz_f16_f32 v18, v10, v11
	v_cvt_pkrtz_f16_f32 v19, v70, v71
	v_cvt_pk_f32_fp8_e32 v[42:43], v13
	v_cvt_pk_f32_fp8_sdwa v[46:47], v13 src0_sel:WORD_1
	v_mfma_f32_16x16x16_f16 v[10:13], v[44:45], v[20:21], v[34:37]
	v_pk_mul_f32 v[44:45], v[50:51], v[38:39] op_sel_hi:[0,1]
	v_cvt_pkrtz_f16_f32 v20, v42, v43
	v_cvt_pkrtz_f16_f32 v21, v46, v47
	v_mfma_f32_16x16x16_f16 v[10:13], v[18:19], v[14:15], v[10:13]
	v_pk_mul_f32 v[38:39], v[50:51], v[68:69] op_sel_hi:[0,1]
	v_pk_mul_f32 v[42:43], v[50:51], v[66:67] op_sel_hi:[0,1]
	v_mfma_f32_16x16x16_f16 v[10:13], v[20:21], v[16:17], v[10:13]
	s_nop 6
	v_pk_mul_f32 v[36:37], v[50:51], v[10:11] op_sel_hi:[0,1]
	v_and_b32_e32 v10, 0xc0, v0
	v_add_u32_e32 v10, s18, v10
	v_lshl_or_b32 v10, v60, 2, v10
	v_or_b32_e32 v11, 1, v10
	v_pk_mul_f32 v[34:35], v[50:51], v[12:13] op_sel_hi:[0,1]
	v_subrev_u32_e32 v12, s7, v11
	v_add_u32_e32 v14, 1, v12
	v_add_u32_e32 v15, 2, v12
	v_cvt_f32_i32_e32 v13, v12
	v_cvt_f32_i32_e32 v14, v14
	v_cvt_f32_i32_e32 v15, v15
	v_add_u32_e32 v16, 3, v12
	v_fma_f32 v18, v61, v13, v32
	v_fmac_f32_e32 v33, v61, v14
	v_fma_f32 v48, v61, v15, v30
	v_add_u32_e32 v13, 16, v12
	v_add_u32_e32 v14, 17, v12
	;; [unrolled: 1-line block ×3, first 2 shown]
	v_cvt_f32_i32_e32 v16, v16
	v_cvt_f32_i32_e32 v13, v13
	;; [unrolled: 1-line block ×4, first 2 shown]
	v_fmac_f32_e32 v31, v61, v16
	v_add_u32_e32 v16, 19, v12
	v_fma_f32 v44, v61, v13, v44
	v_fmac_f32_e32 v45, v61, v14
	v_fma_f32 v40, v61, v15, v40
	v_add_u32_e32 v13, 32, v12
	v_add_u32_e32 v14, 33, v12
	;; [unrolled: 1-line block ×3, first 2 shown]
	v_cvt_f32_i32_e32 v16, v16
	v_cvt_f32_i32_e32 v13, v13
	;; [unrolled: 1-line block ×4, first 2 shown]
	v_fmac_f32_e32 v41, v61, v16
	v_add_u32_e32 v16, 35, v12
	v_fma_f32 v42, v61, v13, v42
	v_fmac_f32_e32 v43, v61, v14
	v_fma_f32 v38, v61, v15, v38
	v_add_u32_e32 v13, 48, v12
	v_add_u32_e32 v14, 49, v12
	;; [unrolled: 1-line block ×4, first 2 shown]
	v_cvt_f32_i32_e32 v12, v12
	v_cvt_f32_i32_e32 v13, v13
	;; [unrolled: 1-line block ×3, first 2 shown]
	v_cmp_gt_i32_e64 s[8:9], s7, v10
	v_fmac_f32_e32 v35, v61, v12
	v_mov_b32_e32 v12, 0xff7fffff
	v_cmp_gt_i32_e64 s[10:11], s7, v11
	v_fma_f32 v36, v61, v13, v36
	v_cndmask_b32_e64 v13, v12, v18, s[8:9]
	v_cndmask_b32_e64 v11, v12, v33, s[10:11]
	v_fmac_f32_e32 v37, v61, v14
	v_max3_f32 v11, v13, s40, v11
	v_or_b32_e32 v13, 2, v10
	v_or_b32_e32 v14, 3, v10
	v_cmp_gt_i32_e64 s[12:13], s7, v13
	v_cmp_gt_i32_e64 s[14:15], s7, v14
	v_cvt_f32_i32_e32 v16, v16
	v_cndmask_b32_e64 v13, v12, v48, s[12:13]
	v_cndmask_b32_e64 v14, v12, v31, s[14:15]
	v_max3_f32 v11, v11, v13, v14
	v_or_b32_e32 v13, 16, v10
	v_or_b32_e32 v14, 17, v10
	v_cmp_gt_i32_e64 s[16:17], s7, v13
	v_cmp_gt_i32_e64 s[18:19], s7, v14
	v_fmac_f32_e32 v39, v61, v16
	v_cndmask_b32_e64 v13, v12, v44, s[16:17]
	v_cndmask_b32_e64 v14, v12, v45, s[18:19]
	v_max3_f32 v11, v11, v13, v14
	v_or_b32_e32 v13, 18, v10
	v_or_b32_e32 v14, 19, v10
	v_cmp_gt_i32_e64 s[20:21], s7, v13
	v_cmp_gt_i32_e64 s[22:23], s7, v14
	v_cvt_f32_i32_e32 v15, v15
	v_cndmask_b32_e64 v13, v12, v40, s[20:21]
	v_cndmask_b32_e64 v14, v12, v41, s[22:23]
	v_max3_f32 v11, v11, v13, v14
	v_or_b32_e32 v13, 32, v10
	v_or_b32_e32 v14, 33, v10
	v_cmp_gt_i32_e64 s[24:25], s7, v13
	v_cmp_gt_i32_e64 s[26:27], s7, v14
	v_fma_f32 v34, v61, v15, v34
	v_cndmask_b32_e64 v13, v12, v42, s[24:25]
	v_cndmask_b32_e64 v14, v12, v43, s[26:27]
	v_max3_f32 v11, v11, v13, v14
	v_or_b32_e32 v13, 34, v10
	v_or_b32_e32 v14, 35, v10
	v_cmp_gt_i32_e64 s[28:29], s7, v13
	v_cmp_gt_i32_e64 s[30:31], s7, v14
	s_nop 0
	v_cndmask_b32_e64 v13, v12, v38, s[28:29]
	v_cndmask_b32_e64 v14, v12, v39, s[30:31]
	v_max3_f32 v11, v11, v13, v14
	v_or_b32_e32 v13, 48, v10
	v_or_b32_e32 v14, 49, v10
	v_cmp_gt_i32_e64 s[34:35], s7, v13
	v_cmp_gt_i32_e64 s[36:37], s7, v14
	s_nop 0
	v_cndmask_b32_e64 v13, v12, v36, s[34:35]
	v_cndmask_b32_e64 v14, v12, v37, s[36:37]
	v_max3_f32 v11, v11, v13, v14
	v_or_b32_e32 v13, 50, v10
	v_or_b32_e32 v10, 51, v10
	v_cmp_gt_i32_e32 vcc, s7, v13
	v_cmp_gt_i32_e64 s[4:5], s7, v10
	s_nop 0
	v_cndmask_b32_e32 v13, v12, v34, vcc
	v_cndmask_b32_e64 v10, v12, v35, s[4:5]
	v_max3_f32 v14, v11, v13, v10
	v_mbcnt_lo_u32_b32 v10, -1, 0
	v_mbcnt_hi_u32_b32 v15, -1, v10
	v_and_b32_e32 v10, 64, v15
	v_add_u32_e32 v16, 64, v10
	v_xor_b32_e32 v10, 32, v15
	v_cmp_lt_i32_e64 s[38:39], v10, v16
	s_nop 1
	v_cndmask_b32_e64 v10, v15, v10, s[38:39]
	v_lshlrev_b32_e32 v51, 2, v10
	ds_bpermute_b32 v17, v51, v14
	v_lshl_add_u64 v[10:11], s[46:47], 0, v[58:59]
	v_mad_i64_i32 v[12:13], s[38:39], v62, s45, v[10:11]
	s_waitcnt lgkmcnt(0)
	v_max_f32_e32 v17, v17, v17
	v_max_f32_e32 v19, v14, v17
	v_xor_b32_e32 v14, 16, v15
	v_cmp_lt_i32_e64 s[38:39], v14, v16
	s_nop 1
	v_cndmask_b32_e64 v14, v15, v14, s[38:39]
	v_lshlrev_b32_e32 v58, 2, v14
	ds_bpermute_b32 v20, v58, v19
	v_mad_i64_i32 v[14:15], s[38:39], v53, s45, v[10:11]
	v_mad_i64_i32 v[16:17], s[38:39], v64, s45, v[10:11]
	s_waitcnt lgkmcnt(0)
	v_max_f32_e32 v20, v20, v20
	v_max_f32_e32 v50, v19, v20
	v_sub_f32_e32 v18, v18, v50
	v_sub_f32_e32 v19, v33, v50
	v_mul_f32_e32 v18, 0x3fb8aa3b, v18
	v_mul_f32_e32 v19, 0x3fb8aa3b, v19
	v_exp_f32_e32 v18, v18
	v_exp_f32_e32 v19, v19
	v_sub_f32_e32 v49, v31, v50
	v_mad_i64_i32 v[10:11], s[38:39], v63, s45, v[10:11]
	v_cndmask_b32_e64 v46, 0, v18, s[8:9]
	v_cndmask_b32_e64 v47, 0, v19, s[10:11]
	global_load_dwordx4 v[30:33], v[12:13], off
	global_load_dwordx4 v[18:21], v[14:15], off
	v_sub_f32_e32 v12, v48, v50
	v_mul_f32_e32 v12, 0x3fb8aa3b, v12
	v_exp_f32_e32 v48, v12
	global_load_dwordx4 v[14:17], v[16:17], off
	s_nop 0
	global_load_dwordx4 v[10:13], v[10:11], off
	v_sub_f32_e32 v40, v40, v50
	v_sub_f32_e32 v42, v42, v50
	v_mul_f32_e32 v40, 0x3fb8aa3b, v40
	v_mul_f32_e32 v42, 0x3fb8aa3b, v42
	v_exp_f32_e32 v40, v40
	v_exp_f32_e32 v53, v42
	v_mul_f32_e32 v49, 0x3fb8aa3b, v49
	v_sub_f32_e32 v44, v44, v50
	v_exp_f32_e32 v49, v49
	v_mul_f32_e32 v44, 0x3fb8aa3b, v44
	v_sub_f32_e32 v45, v45, v50
	v_sub_f32_e32 v42, v43, v50
	v_exp_f32_e32 v44, v44
	v_mul_f32_e32 v45, 0x3fb8aa3b, v45
	v_mul_f32_e32 v42, 0x3fb8aa3b, v42
	v_exp_f32_e32 v45, v45
	v_sub_f32_e32 v41, v41, v50
	v_exp_f32_e32 v59, v42
	v_cndmask_b32_e64 v42, 0, v40, s[20:21]
	v_cndmask_b32_e64 v40, 0, v53, s[24:25]
	v_add_f32_e32 v53, 0, v46
	v_cndmask_b32_e64 v48, 0, v48, s[12:13]
	v_mul_f32_e32 v41, 0x3fb8aa3b, v41
	v_add_f32_e32 v53, v53, v47
	v_cndmask_b32_e64 v49, 0, v49, s[14:15]
	v_exp_f32_e32 v41, v41
	v_add_f32_e32 v53, v53, v48
	v_cndmask_b32_e64 v44, 0, v44, s[16:17]
	v_sub_f32_e32 v38, v38, v50
	v_add_f32_e32 v53, v53, v49
	v_cndmask_b32_e64 v45, 0, v45, s[18:19]
	v_sub_f32_e32 v39, v39, v50
	v_mul_f32_e32 v38, 0x3fb8aa3b, v38
	v_add_f32_e32 v53, v53, v44
	v_exp_f32_e32 v38, v38
	v_mul_f32_e32 v39, 0x3fb8aa3b, v39
	v_sub_f32_e32 v36, v36, v50
	v_add_f32_e32 v53, v53, v45
	v_cndmask_b32_e64 v43, 0, v41, s[22:23]
	v_exp_f32_e32 v39, v39
	v_mul_f32_e32 v36, 0x3fb8aa3b, v36
	v_sub_f32_e32 v37, v37, v50
	v_add_f32_e32 v53, v53, v42
	v_exp_f32_e32 v36, v36
	v_mul_f32_e32 v37, 0x3fb8aa3b, v37
	v_add_f32_e32 v53, v53, v43
	v_sub_f32_e32 v34, v34, v50
	v_cndmask_b32_e64 v41, 0, v59, s[26:27]
	v_exp_f32_e32 v37, v37
	v_add_f32_e32 v53, v53, v40
	v_mul_f32_e32 v34, 0x3fb8aa3b, v34
	v_sub_f32_e32 v35, v35, v50
	v_cndmask_b32_e64 v38, 0, v38, s[28:29]
	v_add_f32_e32 v53, v53, v41
	v_exp_f32_e32 v34, v34
	v_mul_f32_e32 v35, 0x3fb8aa3b, v35
	v_cndmask_b32_e64 v39, 0, v39, s[30:31]
	v_add_f32_e32 v53, v53, v38
	v_exp_f32_e32 v35, v35
	v_cndmask_b32_e64 v36, 0, v36, s[34:35]
	v_add_f32_e32 v53, v53, v39
	v_cndmask_b32_e64 v37, 0, v37, s[36:37]
	v_add_f32_e32 v53, v53, v36
	v_add_f32_e32 v53, v53, v37
	v_cndmask_b32_e32 v34, 0, v34, vcc
	v_add_f32_e32 v53, v53, v34
	v_cndmask_b32_e64 v35, 0, v35, s[4:5]
	v_add_f32_e32 v53, v53, v35
	ds_bpermute_b32 v51, v51, v53
	v_cmp_gt_u32_e32 vcc, 16, v55
	s_waitcnt lgkmcnt(0)
	s_barrier
	v_add_f32_e32 v51, v53, v51
	ds_bpermute_b32 v53, v58, v51
	s_and_saveexec_b64 s[4:5], vcc
	s_cbranch_execz .LBB974_15
; %bb.14:
	s_waitcnt lgkmcnt(0)
	v_add_f32_e32 v51, v51, v53
	v_lshlrev_b32_e32 v52, 2, v52
	ds_write2st64_b32 v52, v50, v51 offset1:1
.LBB974_15:
	s_or_b64 exec, exec, s[4:5]
	v_lshlrev_b32_e32 v51, 2, v56
	s_load_dword s7, s[0:1], 0x94
	s_waitcnt lgkmcnt(0)
	s_barrier
	ds_read2_b32 v[52:53], v51 offset1:16
	ds_read2_b32 v[58:59], v51 offset0:32 offset1:48
	ds_read2_b32 v[62:63], v51 offset0:64 offset1:80
	s_mul_i32 s8, s33, 7
	s_waitcnt lgkmcnt(2)
	v_max3_f32 v50, v52, s40, v53
	s_waitcnt lgkmcnt(1)
	v_max3_f32 v50, v50, v58, v59
	v_sub_f32_e32 v52, v52, v50
	v_mul_f32_e32 v52, 0x3fb8aa3b, v52
	v_exp_f32_e32 v55, v52
	v_sub_f32_e32 v52, v53, v50
	v_mul_f32_e32 v52, 0x3fb8aa3b, v52
	v_exp_f32_e32 v61, v52
	;; [unrolled: 3-line block ×3, first 2 shown]
	ds_read2_b32 v[52:53], v51 offset0:96 offset1:112
	v_sub_f32_e32 v51, v59, v50
	v_mul_f32_e32 v51, 0x3fb8aa3b, v51
	v_exp_f32_e32 v59, v51
	s_waitcnt lgkmcnt(1)
	v_fma_f32 v51, v55, v62, 0
	v_fmac_f32_e32 v51, v61, v63
	s_waitcnt lgkmcnt(0)
	v_fmac_f32_e32 v51, v58, v52
	v_fmac_f32_e32 v51, v59, v53
	v_add_f32_e32 v52, 0x358637bd, v51
	v_div_scale_f32 v53, s[4:5], v52, v52, 1.0
	v_rcp_f32_e32 v62, v53
	s_barrier
	v_fma_f32 v63, -v53, v62, 1.0
	v_fmac_f32_e32 v62, v63, v62
	v_div_scale_f32 v63, vcc, 1.0, v52, 1.0
	v_mul_f32_e32 v64, v63, v62
	v_fma_f32 v65, -v53, v64, v63
	v_fmac_f32_e32 v64, v65, v62
	v_fma_f32 v53, -v53, v64, v63
	v_div_fmas_f32 v53, v53, v62, v64
	v_cmp_eq_u32_e32 vcc, 1, v57
	v_div_fixup_f32 v52, v53, v52, 1.0
	s_nop 0
	v_cndmask_b32_e32 v53, v55, v61, vcc
	v_cmp_eq_u32_e32 vcc, 2, v57
	s_nop 1
	v_cndmask_b32_e32 v53, v53, v58, vcc
	v_cmp_eq_u32_e32 vcc, 3, v57
	s_nop 1
	v_cndmask_b32_e32 v53, v53, v59, vcc
	v_mul_f32_e32 v52, v53, v52
	v_pk_mul_f32 v[48:49], v[52:53], v[48:49] op_sel_hi:[0,1]
	v_pk_mul_f32 v[46:47], v[52:53], v[46:47] op_sel_hi:[0,1]
	v_cvt_f16_f32_e32 v53, v48
	v_cvt_f16_f32_e32 v49, v49
	;; [unrolled: 1-line block ×4, first 2 shown]
	v_pk_mul_f32 v[42:43], v[52:53], v[42:43] op_sel_hi:[0,1]
	v_pk_mul_f32 v[44:45], v[52:53], v[44:45] op_sel_hi:[0,1]
	v_pack_b32_f16 v49, v53, v49
	v_cvt_f16_f32_e32 v44, v44
	v_cvt_f16_f32_e32 v45, v45
	;; [unrolled: 1-line block ×4, first 2 shown]
	v_pack_b32_f16 v48, v46, v47
	v_lshlrev_b32_e32 v47, 3, v60
	v_lshlrev_b32_e32 v46, 5, v56
	;; [unrolled: 1-line block ×3, first 2 shown]
	v_or3_b32 v55, v42, v46, v47
	v_pack_b32_f16 v42, v44, v45
	v_pack_b32_f16 v43, v53, v43
	v_pk_mul_f32 v[38:39], v[52:53], v[38:39] op_sel_hi:[0,1]
	v_pk_mul_f32 v[40:41], v[52:53], v[40:41] op_sel_hi:[0,1]
	;; [unrolled: 1-line block ×4, first 2 shown]
	ds_write2st64_b64 v55, v[48:49], v[42:43] offset1:1
	v_cvt_f16_f32_e32 v40, v40
	v_cvt_f16_f32_e32 v41, v41
	;; [unrolled: 1-line block ×8, first 2 shown]
	v_pack_b32_f16 v34, v40, v41
	v_pack_b32_f16 v35, v38, v39
	;; [unrolled: 1-line block ×4, first 2 shown]
	v_cmp_gt_u32_e32 vcc, 7, v0
	ds_write2st64_b64 v55, v[34:35], v[36:37] offset0:2 offset1:3
	s_and_saveexec_b64 s[4:5], vcc
	s_cbranch_execz .LBB974_17
; %bb.16:
	s_mov_b32 s49, 0
	v_mov_b32_e32 v57, 0
	v_lshl_add_u64 v[34:35], s[48:49], 0, v[56:57]
	v_mov_b32_e32 v36, s8
	v_mad_u64_u32 v[34:35], s[10:11], s2, v36, v[34:35]
	s_mul_i32 s3, s3, s8
	v_mov_b32_e32 v36, s6
	v_mov_b32_e32 v37, v57
	s_load_dwordx4 s[12:15], s[0:1], 0x58
	v_add_u32_e32 v38, s3, v35
	v_mad_u64_u32 v[34:35], s[10:11], v34, s7, v[36:37]
	v_mov_b32_e32 v36, v35
	v_mad_u64_u32 v[36:37], s[10:11], v38, s7, v[36:37]
	v_mov_b32_e32 v35, v36
	v_lshlrev_b64 v[34:35], 2, v[34:35]
	s_waitcnt lgkmcnt(0)
	v_lshl_add_u64 v[36:37], s[14:15], 0, v[34:35]
	v_lshl_add_u64 v[34:35], s[12:13], 0, v[34:35]
	global_store_dword v[36:37], v50, off
	global_store_dword v[34:35], v51, off
.LBB974_17:
	s_or_b64 exec, exec, s[4:5]
	s_waitcnt vmcnt(7)
	v_cvt_pk_f32_fp8_e32 v[34:35], v6
	v_cvt_pk_f32_fp8_sdwa v[36:37], v6 src0_sel:WORD_1
	v_lshl_or_b32 v50, v60, 9, v46
	s_waitcnt lgkmcnt(0)
	s_barrier
	v_cvt_pk_f32_fp8_e32 v[38:39], v7
	v_cvt_pkrtz_f16_f32 v6, v34, v35
	v_cvt_pk_f32_fp8_sdwa v[40:41], v7 src0_sel:WORD_1
	v_cvt_pkrtz_f16_f32 v7, v36, v37
	ds_read_b128 v[34:37], v50
	v_cvt_pkrtz_f16_f32 v46, v38, v39
	v_cvt_pkrtz_f16_f32 v47, v40, v41
	ds_read_b128 v[38:41], v50 offset:16
	v_cvt_pk_f32_fp8_e32 v[48:49], v8
	v_cvt_pk_f32_fp8_sdwa v[52:53], v8 src0_sel:WORD_1
	s_waitcnt lgkmcnt(1)
	v_mfma_f32_16x16x16_f16 v[42:45], v[6:7], v[34:35], 0
	s_waitcnt vmcnt(6)
	v_cvt_pk_f32_fp8_e32 v[58:59], v4
	v_cvt_pkrtz_f16_f32 v6, v48, v49
	v_cvt_pkrtz_f16_f32 v7, v52, v53
	v_cvt_pk_f32_fp8_e32 v[48:49], v9
	v_mfma_f32_16x16x16_f16 v[42:45], v[46:47], v[36:37], v[42:45]
	v_cvt_pk_f32_fp8_sdwa v[46:47], v9 src0_sel:WORD_1
	v_cvt_pk_f32_fp8_sdwa v[62:63], v4 src0_sel:WORD_1
	v_cvt_pkrtz_f16_f32 v48, v48, v49
	s_waitcnt lgkmcnt(0)
	v_mfma_f32_16x16x16_f16 v[6:9], v[6:7], v[38:39], v[42:45]
	v_cvt_pkrtz_f16_f32 v49, v46, v47
	s_waitcnt vmcnt(5)
	v_cvt_pk_f32_fp8_sdwa v[66:67], v28 src0_sel:WORD_1
	s_waitcnt vmcnt(4)
	v_cvt_pk_f32_fp8_sdwa v[68:69], v24 src0_sel:WORD_1
	v_cvt_pk_f32_fp8_e32 v[42:43], v2
	v_mfma_f32_16x16x16_f16 v[46:49], v[48:49], v[40:41], v[6:9]
	s_waitcnt vmcnt(3)
	v_cvt_pk_f32_fp8_sdwa v[70:71], v32 src0_sel:WORD_1
	s_load_dword s4, s[42:43], 0x0
	v_cvt_pk_f32_fp8_sdwa v[6:7], v2 src0_sel:WORD_1
	v_cvt_pk_f32_fp8_e32 v[8:9], v3
	v_cvt_pkrtz_f16_f32 v2, v42, v43
	v_cvt_pk_f32_fp8_sdwa v[42:43], v3 src0_sel:WORD_1
	v_cvt_pkrtz_f16_f32 v3, v6, v7
	v_cvt_pkrtz_f16_f32 v52, v8, v9
	ds_read_b128 v[6:9], v50 offset:2048
	v_cvt_pkrtz_f16_f32 v53, v42, v43
	ds_read_b128 v[42:45], v50 offset:2064
	s_waitcnt lgkmcnt(0)
	v_mfma_f32_16x16x16_f16 v[46:49], v[2:3], v[6:7], v[46:49]
	v_cvt_pkrtz_f16_f32 v2, v58, v59
	v_cvt_pkrtz_f16_f32 v3, v62, v63
	v_cvt_pk_f32_fp8_e32 v[58:59], v5
	v_mfma_f32_16x16x16_f16 v[46:49], v[52:53], v[8:9], v[46:49]
	v_cvt_pk_f32_fp8_sdwa v[52:53], v5 src0_sel:WORD_1
	s_mov_b32 s3, 0
	v_cvt_pkrtz_f16_f32 v58, v58, v59
	v_mfma_f32_16x16x16_f16 v[2:5], v[2:3], v[42:43], v[46:49]
	v_cvt_pkrtz_f16_f32 v59, v52, v53
	v_cmp_gt_u32_e32 vcc, 64, v0
	s_nop 0
	v_cvt_pk_f32_fp8_e32 v[46:47], v26
	v_mfma_f32_16x16x16_f16 v[62:65], v[58:59], v[44:45], v[2:5]
	v_cvt_pk_f32_fp8_e32 v[58:59], v28
	s_nop 1
	v_cvt_pk_f32_fp8_sdwa v[2:3], v26 src0_sel:WORD_1
	v_cvt_pk_f32_fp8_e32 v[4:5], v27
	v_cvt_pkrtz_f16_f32 v26, v46, v47
	v_cvt_pk_f32_fp8_sdwa v[46:47], v27 src0_sel:WORD_1
	v_cvt_pkrtz_f16_f32 v27, v2, v3
	v_cvt_pkrtz_f16_f32 v52, v4, v5
	ds_read_b128 v[2:5], v50 offset:4096
	v_cvt_pkrtz_f16_f32 v53, v46, v47
	ds_read_b128 v[46:49], v50 offset:4112
	s_waitcnt lgkmcnt(1)
	v_mfma_f32_16x16x16_f16 v[62:65], v[26:27], v[2:3], v[62:65]
	v_cvt_pkrtz_f16_f32 v26, v58, v59
	v_cvt_pkrtz_f16_f32 v27, v66, v67
	v_cvt_pk_f32_fp8_e32 v[58:59], v29
	v_mfma_f32_16x16x16_f16 v[62:65], v[52:53], v[4:5], v[62:65]
	v_cvt_pk_f32_fp8_sdwa v[52:53], v29 src0_sel:WORD_1
	v_cvt_pk_f32_fp8_e32 v[66:67], v24
	v_cvt_pkrtz_f16_f32 v58, v58, v59
	s_waitcnt lgkmcnt(0)
	v_mfma_f32_16x16x16_f16 v[26:29], v[26:27], v[46:47], v[62:65]
	v_cvt_pkrtz_f16_f32 v59, v52, v53
	v_cvt_pk_f32_fp8_e32 v[52:53], v22
	s_nop 0
	v_mfma_f32_16x16x16_f16 v[62:65], v[58:59], v[48:49], v[26:29]
	s_nop 2
	v_cvt_pk_f32_fp8_sdwa v[26:27], v22 src0_sel:WORD_1
	v_cvt_pk_f32_fp8_e32 v[28:29], v23
	v_cvt_pkrtz_f16_f32 v22, v52, v53
	v_cvt_pk_f32_fp8_sdwa v[52:53], v23 src0_sel:WORD_1
	v_cvt_pkrtz_f16_f32 v23, v26, v27
	v_cvt_pkrtz_f16_f32 v58, v28, v29
	ds_read_b128 v[26:29], v50 offset:6144
	v_cvt_pkrtz_f16_f32 v59, v52, v53
	s_waitcnt lgkmcnt(0)
	v_mfma_f32_16x16x16_f16 v[62:65], v[22:23], v[26:27], v[62:65]
	ds_read_b128 v[50:53], v50 offset:6160
	v_cvt_pkrtz_f16_f32 v22, v66, v67
	v_cvt_pkrtz_f16_f32 v23, v68, v69
	v_cvt_pk_f32_fp8_e32 v[66:67], v25
	v_mfma_f32_16x16x16_f16 v[62:65], v[58:59], v[28:29], v[62:65]
	v_cvt_pk_f32_fp8_sdwa v[58:59], v25 src0_sel:WORD_1
	v_cvt_pk_f32_fp8_e32 v[68:69], v32
	v_cvt_pkrtz_f16_f32 v66, v66, v67
	s_waitcnt lgkmcnt(0)
	v_mfma_f32_16x16x16_f16 v[22:25], v[22:23], v[50:51], v[62:65]
	v_cvt_pkrtz_f16_f32 v67, v58, v59
	v_cvt_pk_f32_fp8_e32 v[58:59], v30
	s_nop 0
	v_cvt_pk_f32_fp8_sdwa v[62:63], v30 src0_sel:WORD_1
	v_cvt_pk_f32_fp8_e32 v[64:65], v31
	v_cvt_pkrtz_f16_f32 v58, v58, v59
	v_cvt_pk_f32_fp8_sdwa v[30:31], v31 src0_sel:WORD_1
	v_cvt_pkrtz_f16_f32 v59, v62, v63
	v_mfma_f32_16x16x16_f16 v[22:25], v[66:67], v[52:53], v[22:25]
	v_cvt_pkrtz_f16_f32 v66, v64, v65
	v_cvt_pkrtz_f16_f32 v67, v30, v31
	;; [unrolled: 1-line block ×3, first 2 shown]
	v_mfma_f32_16x16x16_f16 v[62:65], v[58:59], v[34:35], 0
	v_cvt_pkrtz_f16_f32 v31, v70, v71
	v_cvt_pk_f32_fp8_e32 v[58:59], v33
	s_barrier
	v_mfma_f32_16x16x16_f16 v[34:37], v[66:67], v[36:37], v[62:65]
	v_cvt_pkrtz_f16_f32 v58, v58, v59
	s_nop 1
	v_cvt_pk_f32_fp8_sdwa v[62:63], v33 src0_sel:WORD_1
	v_mfma_f32_16x16x16_f16 v[30:33], v[30:31], v[38:39], v[34:37]
	s_waitcnt vmcnt(2)
	v_cvt_pk_f32_fp8_e32 v[38:39], v19
	v_cvt_pkrtz_f16_f32 v59, v62, v63
	v_cvt_pk_f32_fp8_e32 v[34:35], v18
	v_cvt_pk_f32_fp8_sdwa v[36:37], v18 src0_sel:WORD_1
	v_cvt_pk_f32_fp8_sdwa v[18:19], v19 src0_sel:WORD_1
	v_mfma_f32_16x16x16_f16 v[30:33], v[58:59], v[40:41], v[30:33]
	v_cvt_pkrtz_f16_f32 v34, v34, v35
	v_cvt_pkrtz_f16_f32 v35, v36, v37
	;; [unrolled: 1-line block ×3, first 2 shown]
	v_cvt_pk_f32_fp8_e32 v[38:39], v20
	v_cvt_pk_f32_fp8_sdwa v[40:41], v20 src0_sel:WORD_1
	v_cvt_pkrtz_f16_f32 v37, v18, v19
	v_mfma_f32_16x16x16_f16 v[30:33], v[34:35], v[6:7], v[30:33]
	v_cvt_pkrtz_f16_f32 v18, v38, v39
	v_cvt_pkrtz_f16_f32 v19, v40, v41
	v_cvt_pk_f32_fp8_e32 v[34:35], v21
	v_cvt_pk_f32_fp8_sdwa v[20:21], v21 src0_sel:WORD_1
	v_mfma_f32_16x16x16_f16 v[6:9], v[36:37], v[8:9], v[30:33]
	s_nop 2
	v_cvt_pkrtz_f16_f32 v30, v34, v35
	v_cvt_pkrtz_f16_f32 v31, v20, v21
	v_mfma_f32_16x16x16_f16 v[6:9], v[18:19], v[42:43], v[6:9]
	s_waitcnt vmcnt(1)
	v_cvt_pk_f32_fp8_e32 v[18:19], v14
	v_cvt_pk_f32_fp8_sdwa v[20:21], v14 src0_sel:WORD_1
	v_cvt_pk_f32_fp8_sdwa v[32:33], v16 src0_sel:WORD_1
	v_mfma_f32_16x16x16_f16 v[6:9], v[30:31], v[44:45], v[6:9]
	v_cvt_pk_f32_fp8_e32 v[30:31], v15
	v_cvt_pkrtz_f16_f32 v18, v18, v19
	v_cvt_pkrtz_f16_f32 v19, v20, v21
	v_cvt_pk_f32_fp8_sdwa v[14:15], v15 src0_sel:WORD_1
	v_cvt_pkrtz_f16_f32 v20, v30, v31
	v_cvt_pk_f32_fp8_e32 v[30:31], v16
	v_mfma_f32_16x16x16_f16 v[6:9], v[18:19], v[2:3], v[6:9]
	v_cvt_pkrtz_f16_f32 v21, v14, v15
	v_cvt_pkrtz_f16_f32 v14, v30, v31
	;; [unrolled: 1-line block ×3, first 2 shown]
	v_cvt_pk_f32_fp8_e32 v[18:19], v17
	v_cvt_pk_f32_fp8_sdwa v[16:17], v17 src0_sel:WORD_1
	v_mfma_f32_16x16x16_f16 v[2:5], v[20:21], v[4:5], v[6:9]
	s_waitcnt vmcnt(0)
	v_cvt_pk_f32_fp8_sdwa v[20:21], v12 src0_sel:WORD_1
	s_nop 0
	v_cvt_pkrtz_f16_f32 v8, v18, v19
	v_cvt_pkrtz_f16_f32 v9, v16, v17
	v_mfma_f32_16x16x16_f16 v[2:5], v[14:15], v[46:47], v[2:5]
	v_cvt_pk_f32_fp8_e32 v[16:17], v10
	v_cvt_pk_f32_fp8_sdwa v[18:19], v10 src0_sel:WORD_1
	v_pk_mul_f32 v[6:7], v[24:25], s[4:5] op_sel_hi:[1,0]
	v_mfma_f32_16x16x16_f16 v[2:5], v[8:9], v[48:49], v[2:5]
	v_cvt_pk_f32_fp8_e32 v[8:9], v11
	v_cvt_pkrtz_f16_f32 v16, v16, v17
	v_cvt_pkrtz_f16_f32 v17, v18, v19
	v_cvt_pk_f32_fp8_sdwa v[10:11], v11 src0_sel:WORD_1
	v_cvt_pkrtz_f16_f32 v8, v8, v9
	v_cvt_pk_f32_fp8_e32 v[18:19], v12
	v_mfma_f32_16x16x16_f16 v[2:5], v[16:17], v[26:27], v[2:5]
	v_cvt_pkrtz_f16_f32 v9, v10, v11
	v_cvt_pkrtz_f16_f32 v10, v18, v19
	;; [unrolled: 1-line block ×3, first 2 shown]
	v_cvt_pk_f32_fp8_e32 v[16:17], v13
	v_cvt_pk_f32_fp8_sdwa v[12:13], v13 src0_sel:WORD_1
	v_mfma_f32_16x16x16_f16 v[2:5], v[8:9], v[28:29], v[2:5]
	v_pk_mul_f32 v[14:15], v[22:23], s[4:5] op_sel_hi:[1,0]
	v_cvt_pkrtz_f16_f32 v8, v16, v17
	v_cvt_pkrtz_f16_f32 v9, v12, v13
	v_mfma_f32_16x16x16_f16 v[2:5], v[10:11], v[50:51], v[2:5]
	v_cvt_f16_f32_e32 v14, v14
	v_cvt_f16_f32_e32 v10, v15
	;; [unrolled: 1-line block ×3, first 2 shown]
	v_mfma_f32_16x16x16_f16 v[2:5], v[8:9], v[52:53], v[2:5]
	v_cvt_f16_f32_e32 v7, v7
	s_nop 5
	v_pk_mul_f32 v[4:5], v[4:5], s[4:5] op_sel_hi:[1,0]
	v_pk_mul_f32 v[2:3], v[2:3], s[4:5] op_sel_hi:[1,0]
	v_cvt_f16_f32_e32 v11, v4
	v_cvt_f16_f32_e32 v8, v2
	;; [unrolled: 1-line block ×4, first 2 shown]
	v_pack_b32_f16 v2, v14, v10
	v_pack_b32_f16 v3, v6, v7
	;; [unrolled: 1-line block ×4, first 2 shown]
	ds_write2st64_b64 v55, v[2:3], v[4:5] offset1:1
	s_waitcnt lgkmcnt(0)
	s_barrier
	s_and_saveexec_b64 s[4:5], vcc
	s_cbranch_execz .LBB974_20
; %bb.18:
	s_load_dwordx2 s[4:5], s[0:1], 0x68
	s_lshl_b32 s0, s7, 7
	s_mul_i32 s1, s8, s2
	v_lshlrev_b32_e32 v3, 6, v56
	s_mul_hi_u32 s9, s1, s0
	s_mul_i32 s8, s1, s0
	v_lshl_or_b32 v0, v0, 10, v3
	s_lshl_b64 s[8:9], s[8:9], 1
	v_lshlrev_b32_e32 v2, 5, v60
	v_and_b32_e32 v1, 16, v1
	v_and_b32_e32 v0, 0x1a00, v0
	s_waitcnt lgkmcnt(0)
	s_add_u32 s1, s4, s8
	v_or3_b32 v2, v0, v2, v1
	s_addc_u32 s4, s5, s9
	s_lshl_b32 s2, s6, 7
	s_lshl_b64 s[2:3], s[2:3], 1
	ds_read_b128 v[4:7], v2
	s_add_u32 s2, s1, s2
	s_addc_u32 s3, s4, s3
	v_mov_b32_e32 v55, 0
	v_add_u32_e32 v3, s48, v60
	v_lshl_add_u64 v[0:1], s[2:3], 0, v[54:55]
	v_mad_u64_u32 v[8:9], s[2:3], v3, s0, 0
	v_lshl_add_u64 v[8:9], v[8:9], 1, v[0:1]
	v_cmp_ne_u32_e32 vcc, 3, v60
	s_waitcnt lgkmcnt(0)
	global_store_dwordx4 v[8:9], v[4:7], off
	s_and_b64 exec, exec, vcc
	s_cbranch_execz .LBB974_20
; %bb.19:
	ds_read_b128 v[2:5], v2 offset:128
	v_add3_u32 v6, s48, v60, 4
	v_mad_u64_u32 v[6:7], s[0:1], v6, s0, 0
	v_lshl_add_u64 v[0:1], v[6:7], 1, v[0:1]
	s_waitcnt lgkmcnt(0)
	global_store_dwordx4 v[0:1], v[2:5], off
.LBB974_20:
	s_endpgm
	.section	.rodata,"a",@progbits
	.p2align	6, 0x0
	.amdhsa_kernel _Z39paged_attention_ll4mi_QKV_mfma16_kernelIDF16_hLN4vllm18Fp8KVCacheDataTypeE1EDF16_Li16ELi128ELi256ELb1ELi7EEvPKT_PKT0_S7_ifPKiS9_S9_iPKfiiiPfSC_PS2_PT2_iSB_SB_
		.amdhsa_group_segment_fixed_size 8192
		.amdhsa_private_segment_fixed_size 0
		.amdhsa_kernarg_size 400
		.amdhsa_user_sgpr_count 2
		.amdhsa_user_sgpr_dispatch_ptr 0
		.amdhsa_user_sgpr_queue_ptr 0
		.amdhsa_user_sgpr_kernarg_segment_ptr 1
		.amdhsa_user_sgpr_dispatch_id 0
		.amdhsa_user_sgpr_kernarg_preload_length 0
		.amdhsa_user_sgpr_kernarg_preload_offset 0
		.amdhsa_user_sgpr_private_segment_size 0
		.amdhsa_uses_dynamic_stack 0
		.amdhsa_enable_private_segment 0
		.amdhsa_system_sgpr_workgroup_id_x 1
		.amdhsa_system_sgpr_workgroup_id_y 1
		.amdhsa_system_sgpr_workgroup_id_z 1
		.amdhsa_system_sgpr_workgroup_info 0
		.amdhsa_system_vgpr_workitem_id 0
		.amdhsa_next_free_vgpr 76
		.amdhsa_next_free_sgpr 50
		.amdhsa_accum_offset 76
		.amdhsa_reserve_vcc 1
		.amdhsa_float_round_mode_32 0
		.amdhsa_float_round_mode_16_64 0
		.amdhsa_float_denorm_mode_32 3
		.amdhsa_float_denorm_mode_16_64 3
		.amdhsa_dx10_clamp 1
		.amdhsa_ieee_mode 1
		.amdhsa_fp16_overflow 0
		.amdhsa_tg_split 0
		.amdhsa_exception_fp_ieee_invalid_op 0
		.amdhsa_exception_fp_denorm_src 0
		.amdhsa_exception_fp_ieee_div_zero 0
		.amdhsa_exception_fp_ieee_overflow 0
		.amdhsa_exception_fp_ieee_underflow 0
		.amdhsa_exception_fp_ieee_inexact 0
		.amdhsa_exception_int_div_zero 0
	.end_amdhsa_kernel
	.section	.text._Z39paged_attention_ll4mi_QKV_mfma16_kernelIDF16_hLN4vllm18Fp8KVCacheDataTypeE1EDF16_Li16ELi128ELi256ELb1ELi7EEvPKT_PKT0_S7_ifPKiS9_S9_iPKfiiiPfSC_PS2_PT2_iSB_SB_,"axG",@progbits,_Z39paged_attention_ll4mi_QKV_mfma16_kernelIDF16_hLN4vllm18Fp8KVCacheDataTypeE1EDF16_Li16ELi128ELi256ELb1ELi7EEvPKT_PKT0_S7_ifPKiS9_S9_iPKfiiiPfSC_PS2_PT2_iSB_SB_,comdat
.Lfunc_end974:
	.size	_Z39paged_attention_ll4mi_QKV_mfma16_kernelIDF16_hLN4vllm18Fp8KVCacheDataTypeE1EDF16_Li16ELi128ELi256ELb1ELi7EEvPKT_PKT0_S7_ifPKiS9_S9_iPKfiiiPfSC_PS2_PT2_iSB_SB_, .Lfunc_end974-_Z39paged_attention_ll4mi_QKV_mfma16_kernelIDF16_hLN4vllm18Fp8KVCacheDataTypeE1EDF16_Li16ELi128ELi256ELb1ELi7EEvPKT_PKT0_S7_ifPKiS9_S9_iPKfiiiPfSC_PS2_PT2_iSB_SB_
                                        ; -- End function
	.section	.AMDGPU.csdata,"",@progbits
; Kernel info:
; codeLenInByte = 6292
; NumSgprs: 56
; NumVgprs: 76
; NumAgprs: 0
; TotalNumVgprs: 76
; ScratchSize: 0
; MemoryBound: 0
; FloatMode: 240
; IeeeMode: 1
; LDSByteSize: 8192 bytes/workgroup (compile time only)
; SGPRBlocks: 6
; VGPRBlocks: 9
; NumSGPRsForWavesPerEU: 56
; NumVGPRsForWavesPerEU: 76
; AccumOffset: 76
; Occupancy: 6
; WaveLimiterHint : 1
; COMPUTE_PGM_RSRC2:SCRATCH_EN: 0
; COMPUTE_PGM_RSRC2:USER_SGPR: 2
; COMPUTE_PGM_RSRC2:TRAP_HANDLER: 0
; COMPUTE_PGM_RSRC2:TGID_X_EN: 1
; COMPUTE_PGM_RSRC2:TGID_Y_EN: 1
; COMPUTE_PGM_RSRC2:TGID_Z_EN: 1
; COMPUTE_PGM_RSRC2:TIDIG_COMP_CNT: 0
; COMPUTE_PGM_RSRC3_GFX90A:ACCUM_OFFSET: 18
; COMPUTE_PGM_RSRC3_GFX90A:TG_SPLIT: 0
	.section	.text._Z39paged_attention_ll4mi_QKV_mfma16_kernelIDF16_hLN4vllm18Fp8KVCacheDataTypeE1EDF16_Li16ELi128ELi256ELb1ELi8EEvPKT_PKT0_S7_ifPKiS9_S9_iPKfiiiPfSC_PS2_PT2_iSB_SB_,"axG",@progbits,_Z39paged_attention_ll4mi_QKV_mfma16_kernelIDF16_hLN4vllm18Fp8KVCacheDataTypeE1EDF16_Li16ELi128ELi256ELb1ELi8EEvPKT_PKT0_S7_ifPKiS9_S9_iPKfiiiPfSC_PS2_PT2_iSB_SB_,comdat
	.protected	_Z39paged_attention_ll4mi_QKV_mfma16_kernelIDF16_hLN4vllm18Fp8KVCacheDataTypeE1EDF16_Li16ELi128ELi256ELb1ELi8EEvPKT_PKT0_S7_ifPKiS9_S9_iPKfiiiPfSC_PS2_PT2_iSB_SB_ ; -- Begin function _Z39paged_attention_ll4mi_QKV_mfma16_kernelIDF16_hLN4vllm18Fp8KVCacheDataTypeE1EDF16_Li16ELi128ELi256ELb1ELi8EEvPKT_PKT0_S7_ifPKiS9_S9_iPKfiiiPfSC_PS2_PT2_iSB_SB_
	.globl	_Z39paged_attention_ll4mi_QKV_mfma16_kernelIDF16_hLN4vllm18Fp8KVCacheDataTypeE1EDF16_Li16ELi128ELi256ELb1ELi8EEvPKT_PKT0_S7_ifPKiS9_S9_iPKfiiiPfSC_PS2_PT2_iSB_SB_
	.p2align	8
	.type	_Z39paged_attention_ll4mi_QKV_mfma16_kernelIDF16_hLN4vllm18Fp8KVCacheDataTypeE1EDF16_Li16ELi128ELi256ELb1ELi8EEvPKT_PKT0_S7_ifPKiS9_S9_iPKfiiiPfSC_PS2_PT2_iSB_SB_,@function
_Z39paged_attention_ll4mi_QKV_mfma16_kernelIDF16_hLN4vllm18Fp8KVCacheDataTypeE1EDF16_Li16ELi128ELi256ELb1ELi8EEvPKT_PKT0_S7_ifPKiS9_S9_iPKfiiiPfSC_PS2_PT2_iSB_SB_: ; @_Z39paged_attention_ll4mi_QKV_mfma16_kernelIDF16_hLN4vllm18Fp8KVCacheDataTypeE1EDF16_Li16ELi128ELi256ELb1ELi8EEvPKT_PKT0_S7_ifPKiS9_S9_iPKfiiiPfSC_PS2_PT2_iSB_SB_
; %bb.0:
	s_load_dwordx2 s[8:9], s[0:1], 0x30
	s_mov_b32 s10, s3
	s_mov_b64 s[6:7], 0
	s_waitcnt lgkmcnt(0)
	s_cmp_lg_u64 s[8:9], 0
	s_cselect_b64 s[12:13], -1, 0
	s_and_b64 vcc, exec, s[12:13]
	s_cbranch_vccz .LBB975_7
; %bb.1:
	s_add_i32 s14, s2, 1
	s_mov_b32 s15, 0
	s_lshl_b64 s[16:17], s[14:15], 2
	s_add_u32 s16, s8, s16
	s_mov_b32 s3, s15
	s_addc_u32 s17, s9, s17
	s_lshl_b64 s[14:15], s[2:3], 2
	s_add_u32 s14, s8, s14
	s_addc_u32 s15, s9, s15
	s_load_dword s5, s[16:17], 0x0
	s_load_dword s11, s[14:15], 0x0
	s_waitcnt lgkmcnt(0)
	s_sub_i32 s5, s5, s11
	s_cmp_eq_u32 s5, 1
	s_cselect_b64 s[14:15], -1, 0
	s_andn2_b64 vcc, exec, s[6:7]
	s_cbranch_vccnz .LBB975_3
.LBB975_2:
	s_mov_b32 s3, 0
	s_mov_b64 s[14:15], -1
.LBB975_3:
	s_andn2_b64 vcc, exec, s[14:15]
	s_cbranch_vccnz .LBB975_19
; %bb.4:
	s_load_dwordx2 s[6:7], s[0:1], 0x28
	s_lshl_b64 s[14:15], s[2:3], 2
	s_waitcnt lgkmcnt(0)
	s_add_u32 s6, s6, s14
	s_addc_u32 s7, s7, s15
	s_load_dword s33, s[6:7], 0x0
	s_lshl_b32 s18, s10, 8
	s_waitcnt lgkmcnt(0)
	s_cmp_ge_i32 s18, s33
	s_cbranch_scc1 .LBB975_19
; %bb.5:
	s_load_dwordx2 s[6:7], s[0:1], 0x20
	s_load_dword s5, s[0:1], 0x38
	s_add_i32 s11, s33, 15
	s_ashr_i32 s16, s11, 31
	v_and_b32_e32 v1, 0xcf, v0
	s_lshr_b32 s16, s16, 28
	v_add_u32_e32 v1, s18, v1
	s_add_i32 s11, s11, s16
	v_ashrrev_i32_e32 v2, 31, v1
	s_ashr_i32 s19, s11, 4
	v_lshrrev_b32_e32 v4, 28, v2
	s_add_i32 s19, s19, -1
	s_waitcnt lgkmcnt(0)
	s_mul_i32 s16, s2, s5
	s_mov_b32 s17, 0
	v_add_u32_e32 v2, v1, v4
	s_lshl_b64 s[16:17], s[16:17], 2
	v_ashrrev_i32_e32 v2, 4, v2
	v_mov_b32_e32 v5, s19
	v_cmp_gt_i32_e32 vcc, s33, v1
	s_add_u32 s6, s6, s16
	s_addc_u32 s7, s7, s17
	v_cndmask_b32_e32 v2, v5, v2, vcc
	v_ashrrev_i32_e32 v3, 31, v2
	v_lshl_add_u64 v[6:7], v[2:3], 2, s[6:7]
	v_or_b32_e32 v2, 16, v1
	v_add_u32_e32 v3, v2, v4
	v_ashrrev_i32_e32 v3, 4, v3
	v_cmp_gt_i32_e32 vcc, s33, v2
	s_load_dwordx2 s[16:17], s[0:1], 0x8
	s_nop 0
	v_cndmask_b32_e32 v2, v5, v3, vcc
	v_ashrrev_i32_e32 v3, 31, v2
	v_lshl_add_u64 v[8:9], v[2:3], 2, s[6:7]
	v_or_b32_e32 v2, 32, v1
	v_add_u32_e32 v3, v2, v4
	v_ashrrev_i32_e32 v3, 4, v3
	v_cmp_gt_i32_e32 vcc, s33, v2
	v_or_b32_e32 v1, 48, v1
	s_nop 0
	v_cndmask_b32_e32 v2, v5, v3, vcc
	v_ashrrev_i32_e32 v3, 31, v2
	v_lshl_add_u64 v[10:11], v[2:3], 2, s[6:7]
	v_add_u32_e32 v2, v1, v4
	v_ashrrev_i32_e32 v2, 4, v2
	v_cmp_gt_i32_e32 vcc, s33, v1
	s_nop 1
	v_cndmask_b32_e32 v2, v5, v2, vcc
	v_ashrrev_i32_e32 v3, 31, v2
	v_lshl_add_u64 v[12:13], v[2:3], 2, s[6:7]
	global_load_dword v4, v[6:7], off
	global_load_dword v3, v[8:9], off
	;; [unrolled: 1-line block ×4, first 2 shown]
	s_andn2_b64 vcc, exec, s[12:13]
	s_cbranch_vccnz .LBB975_8
; %bb.6:
	s_add_u32 s8, s8, s14
	s_addc_u32 s9, s9, s15
	s_load_dword s5, s[8:9], 0x0
	s_branch .LBB975_9
.LBB975_7:
	s_mov_b64 s[14:15], 0
	s_branch .LBB975_2
.LBB975_8:
	s_mov_b32 s5, s2
.LBB975_9:
	s_load_dwordx2 s[8:9], s[0:1], 0x10
	s_load_dwordx4 s[44:47], s[0:1], 0x48
	v_and_b32_e32 v60, 15, v0
	v_lshlrev_b32_e32 v5, 3, v60
	s_movk_i32 s12, 0x80
	v_lshrrev_b32_e32 v62, 6, v0
	v_bfe_u32 v1, v0, 4, 2
	s_lshl_b32 s11, s4, 3
	v_cmp_gt_u32_e32 vcc, s12, v0
	v_lshlrev_b32_e32 v54, 1, v5
	v_lshlrev_b32_e32 v61, 4, v0
	s_and_saveexec_b64 s[12:13], vcc
	s_cbranch_execz .LBB975_11
; %bb.10:
	s_load_dwordx2 s[14:15], s[0:1], 0x0
	s_waitcnt lgkmcnt(0)
	s_ashr_i32 s20, s44, 31
	s_mul_hi_u32 s21, s5, s44
	s_mul_i32 s20, s5, s20
	s_add_i32 s21, s21, s20
	s_mul_i32 s20, s5, s44
	v_lshl_or_b32 v5, v62, 2, v1
	s_lshl_b64 s[20:21], s[20:21], 1
	s_add_u32 s14, s14, s20
	v_add_lshl_u32 v6, v5, s11, 7
	s_addc_u32 s15, s15, s21
	v_ashrrev_i32_e32 v7, 31, v6
	v_lshl_add_u64 v[6:7], v[6:7], 1, s[14:15]
	v_mov_b32_e32 v55, 0
	v_lshl_add_u64 v[6:7], v[6:7], 0, v[54:55]
	global_load_dwordx4 v[6:9], v[6:7], off
	v_lshlrev_b32_e32 v11, 8, v0
	v_lshlrev_b32_e32 v10, 8, v60
	v_and_b32_e32 v11, 0x600, v11
	s_movk_i32 s5, 0x800
	v_and_or_b32 v10, v10, s5, v11
	v_lshlrev_b32_e32 v5, 5, v5
	v_and_b32_e32 v11, 16, v61
	v_or3_b32 v5, v10, v5, v11
	s_waitcnt vmcnt(0)
	ds_write_b128 v5, v[6:9]
.LBB975_11:
	s_or_b64 exec, exec, s[12:13]
	s_waitcnt lgkmcnt(0)
	s_mul_i32 s12, s4, s46
	s_add_u32 s4, s16, s12
	s_addc_u32 s5, s17, 0
	v_and_b32_e32 v56, 0xf0, v61
	v_mov_b32_e32 v57, 0
	v_and_b32_e32 v46, 48, v0
	v_lshl_add_u64 v[20:21], s[4:5], 0, v[56:57]
	v_lshlrev_b32_e32 v56, 4, v46
	s_waitcnt vmcnt(3)
	v_mad_i64_i32 v[4:5], s[4:5], v4, s45, v[20:21]
	v_lshl_add_u64 v[4:5], v[4:5], 0, v[56:57]
	s_barrier
	global_load_dwordx4 v[42:45], v[4:5], off
	global_load_dwordx4 v[14:17], v[4:5], off offset:1024
	s_waitcnt vmcnt(4)
	v_mad_i64_i32 v[4:5], s[4:5], v3, s45, v[20:21]
	s_waitcnt vmcnt(3)
	v_mad_i64_i32 v[2:3], s[4:5], v2, s45, v[20:21]
	;; [unrolled: 2-line block ×3, first 2 shown]
	v_lshl_add_u64 v[4:5], v[4:5], 0, v[56:57]
	v_lshl_add_u64 v[22:23], v[2:3], 0, v[56:57]
	;; [unrolled: 1-line block ×3, first 2 shown]
	global_load_dwordx4 v[10:13], v[4:5], off
	global_load_dwordx4 v[6:9], v[4:5], off offset:1024
	s_nop 0
	global_load_dwordx4 v[2:5], v[22:23], off
	global_load_dwordx4 v[50:53], v[22:23], off offset:1024
	global_load_dwordx4 v[34:37], v[18:19], off
	s_nop 0
	global_load_dwordx4 v[22:25], v[18:19], off offset:1024
	v_and_b32_e32 v18, 7, v0
	v_lshlrev_b32_e32 v18, 5, v18
	v_lshl_or_b32 v18, v1, 9, v18
	ds_read_b128 v[38:41], v18
	ds_read_b128 v[30:33], v18 offset:16
	ds_read_b128 v[26:29], v18 offset:2048
	;; [unrolled: 1-line block ×3, first 2 shown]
	v_and_b32_e32 v55, 63, v0
	v_cmp_gt_u32_e32 vcc, 8, v60
	v_mov_b32_e32 v63, 0
	s_and_saveexec_b64 s[4:5], vcc
	s_cbranch_execz .LBB975_13
; %bb.12:
	s_load_dwordx2 s[14:15], s[0:1], 0x40
	v_or_b32_e32 v48, s11, v60
	v_ashrrev_i32_e32 v49, 31, v48
	s_waitcnt lgkmcnt(0)
	v_lshl_add_u64 v[48:49], v[48:49], 2, s[14:15]
	global_load_dword v63, v[48:49], off
.LBB975_13:
	s_or_b64 exec, exec, s[4:5]
	s_waitcnt vmcnt(7)
	v_cvt_pk_f32_fp8_e32 v[58:59], v42
	v_cvt_pk_f32_fp8_sdwa v[66:67], v42 src0_sel:WORD_1
	v_cvt_pk_f32_fp8_e32 v[68:69], v43
	v_cvt_pk_f32_fp8_sdwa v[42:43], v43 src0_sel:WORD_1
	v_cvt_pkrtz_f16_f32 v58, v58, v59
	v_cvt_pkrtz_f16_f32 v59, v66, v67
	;; [unrolled: 1-line block ×3, first 2 shown]
	v_cvt_pk_f32_fp8_e32 v[72:73], v44
	v_cvt_pk_f32_fp8_sdwa v[74:75], v44 src0_sel:WORD_1
	v_cvt_pkrtz_f16_f32 v71, v42, v43
	s_waitcnt lgkmcnt(3)
	v_mfma_f32_16x16x16_f16 v[66:69], v[58:59], v[38:39], 0
	v_or_b32_e32 v56, s18, v46
	v_ashrrev_i32_e32 v46, 4, v56
	v_mov_b32_e32 v65, s19
	v_cmp_gt_i32_e32 vcc, s33, v56
	v_cvt_pkrtz_f16_f32 v58, v72, v73
	v_cvt_pkrtz_f16_f32 v59, v74, v75
	v_cvt_pk_f32_fp8_e32 v[72:73], v45
	v_cvt_pk_f32_fp8_sdwa v[74:75], v45 src0_sel:WORD_1
	v_cndmask_b32_e32 v46, v65, v46, vcc
	v_mfma_f32_16x16x16_f16 v[42:45], v[70:71], v[40:41], v[66:69]
	v_ashrrev_i32_e32 v47, 31, v46
	v_lshl_add_u64 v[46:47], v[46:47], 2, s[6:7]
	global_load_dword v64, v[46:47], off
	v_or_b32_e32 v46, 64, v56
	v_cvt_pkrtz_f16_f32 v66, v72, v73
	v_cvt_pkrtz_f16_f32 v67, v74, v75
	v_ashrrev_i32_e32 v47, 4, v46
	v_cmp_gt_i32_e32 vcc, s33, v46
	s_waitcnt lgkmcnt(2)
	v_mfma_f32_16x16x16_f16 v[42:45], v[58:59], v[30:31], v[42:45]
	s_waitcnt vmcnt(7)
	v_cvt_pk_f32_fp8_sdwa v[70:71], v14 src0_sel:WORD_1
	v_cndmask_b32_e32 v46, v65, v47, vcc
	v_ashrrev_i32_e32 v47, 31, v46
	v_lshl_add_u64 v[48:49], v[46:47], 2, s[6:7]
	v_or_b32_e32 v46, 0x80, v56
	v_mfma_f32_16x16x16_f16 v[42:45], v[66:67], v[32:33], v[42:45]
	global_load_dword v66, v[48:49], off
	v_ashrrev_i32_e32 v47, 4, v46
	v_cmp_gt_i32_e32 vcc, s33, v46
	v_or_b32_e32 v56, 0xc0, v56
	v_ashrrev_i32_e32 v68, 4, v56
	v_cndmask_b32_e32 v46, v65, v47, vcc
	v_cmp_gt_i32_e32 vcc, s33, v56
	v_ashrrev_i32_e32 v47, 31, v46
	v_lshl_add_u64 v[46:47], v[46:47], 2, s[6:7]
	v_cndmask_b32_e32 v58, v65, v68, vcc
	v_cvt_pk_f32_fp8_e32 v[68:69], v14
	v_ashrrev_i32_e32 v59, 31, v58
	v_lshl_add_u64 v[58:59], v[58:59], 2, s[6:7]
	v_cvt_pk_f32_fp8_sdwa v[72:73], v16 src0_sel:WORD_1
	v_cvt_pkrtz_f16_f32 v68, v68, v69
	v_cvt_pkrtz_f16_f32 v69, v70, v71
	v_cvt_pk_f32_fp8_e32 v[70:71], v16
	v_cvt_pk_f32_fp8_sdwa v[74:75], v17 src0_sel:WORD_1
	s_waitcnt lgkmcnt(1)
	v_mfma_f32_16x16x16_f16 v[42:45], v[68:69], v[26:27], v[42:45]
	global_load_dword v68, v[58:59], off
	global_load_dword v67, v[46:47], off
	v_cvt_pk_f32_fp8_e32 v[48:49], v15
	v_cvt_pk_f32_fp8_sdwa v[14:15], v15 src0_sel:WORD_1
	v_cvt_pkrtz_f16_f32 v70, v70, v71
	v_cvt_pkrtz_f16_f32 v71, v72, v73
	;; [unrolled: 1-line block ×4, first 2 shown]
	v_cvt_pk_f32_fp8_e32 v[72:73], v17
	s_waitcnt vmcnt(9)
	v_cvt_pk_f32_fp8_e32 v[46:47], v10
	v_mfma_f32_16x16x16_f16 v[14:17], v[48:49], v[28:29], v[42:45]
	v_cvt_pk_f32_fp8_sdwa v[48:49], v10 src0_sel:WORD_1
	s_nop 1
	v_cvt_pkrtz_f16_f32 v42, v72, v73
	v_cvt_pkrtz_f16_f32 v43, v74, v75
	s_waitcnt lgkmcnt(0)
	v_mfma_f32_16x16x16_f16 v[14:17], v[70:71], v[18:19], v[14:17]
	v_cvt_pk_f32_fp8_sdwa v[58:59], v12 src0_sel:WORD_1
	v_cvt_pk_f32_fp8_sdwa v[70:71], v13 src0_sel:WORD_1
	s_add_u32 s4, s8, s12
	v_mfma_f32_16x16x16_f16 v[42:45], v[42:43], v[20:21], v[14:17]
	v_lshl_or_b32 v65, v62, 4, v60
	s_waitcnt vmcnt(7)
	v_cvt_pk_f32_fp8_e32 v[72:73], v5
	s_addc_u32 s5, s9, 0
	v_cvt_pk_f32_fp8_e32 v[14:15], v11
	v_cvt_pkrtz_f16_f32 v16, v46, v47
	v_cvt_pkrtz_f16_f32 v17, v48, v49
	v_cvt_pk_f32_fp8_sdwa v[10:11], v11 src0_sel:WORD_1
	v_cvt_pkrtz_f16_f32 v46, v14, v15
	v_cvt_pk_f32_fp8_e32 v[48:49], v12
	v_mfma_f32_16x16x16_f16 v[14:17], v[16:17], v[38:39], 0
	v_cvt_pkrtz_f16_f32 v47, v10, v11
	v_cvt_pkrtz_f16_f32 v48, v48, v49
	;; [unrolled: 1-line block ×3, first 2 shown]
	v_cvt_pk_f32_fp8_e32 v[58:59], v13
	v_mfma_f32_16x16x16_f16 v[10:13], v[46:47], v[40:41], v[14:17]
	v_cvt_pk_f32_fp8_sdwa v[46:47], v6 src0_sel:WORD_1
	v_lshlrev_b32_e32 v56, 4, v65
	s_nop 0
	v_cvt_pkrtz_f16_f32 v14, v58, v59
	v_cvt_pkrtz_f16_f32 v15, v70, v71
	v_mfma_f32_16x16x16_f16 v[10:13], v[48:49], v[30:31], v[10:13]
	v_cvt_pk_f32_fp8_e32 v[16:17], v6
	v_cvt_pk_f32_fp8_sdwa v[48:49], v8 src0_sel:WORD_1
	v_lshl_add_u64 v[58:59], s[4:5], 0, v[56:57]
	v_mfma_f32_16x16x16_f16 v[10:13], v[14:15], v[32:33], v[10:13]
	v_cvt_pk_f32_fp8_e32 v[14:15], v7
	v_cvt_pkrtz_f16_f32 v16, v16, v17
	v_cvt_pkrtz_f16_f32 v17, v46, v47
	v_cvt_pk_f32_fp8_sdwa v[6:7], v7 src0_sel:WORD_1
	v_cvt_pkrtz_f16_f32 v14, v14, v15
	v_cvt_pk_f32_fp8_e32 v[46:47], v8
	v_mfma_f32_16x16x16_f16 v[10:13], v[16:17], v[26:27], v[10:13]
	v_cvt_pkrtz_f16_f32 v15, v6, v7
	v_cvt_pkrtz_f16_f32 v16, v46, v47
	;; [unrolled: 1-line block ×3, first 2 shown]
	v_cvt_pk_f32_fp8_e32 v[46:47], v9
	v_cvt_pk_f32_fp8_sdwa v[48:49], v9 src0_sel:WORD_1
	v_mfma_f32_16x16x16_f16 v[6:9], v[14:15], v[28:29], v[10:13]
	v_cvt_pk_f32_fp8_sdwa v[14:15], v2 src0_sel:WORD_1
	s_waitcnt vmcnt(2)
	v_mad_i64_i32 v[70:71], s[6:7], v66, s45, v[58:59]
	v_cvt_pkrtz_f16_f32 v10, v46, v47
	v_cvt_pkrtz_f16_f32 v11, v48, v49
	v_mfma_f32_16x16x16_f16 v[6:9], v[16:17], v[18:19], v[6:9]
	v_cvt_pk_f32_fp8_e32 v[12:13], v2
	v_cvt_pk_f32_fp8_sdwa v[78:79], v52 src0_sel:WORD_1
	v_or_b32_e32 v56, 0x400, v56
	v_mfma_f32_16x16x16_f16 v[46:49], v[10:11], v[20:21], v[6:9]
	v_mad_i64_i32 v[10:11], s[6:7], v64, s45, v[58:59]
	s_waitcnt vmcnt(0)
	v_mad_i64_i32 v[74:75], s[6:7], v67, s45, v[58:59]
	v_cvt_pkrtz_f16_f32 v6, v12, v13
	v_cvt_pkrtz_f16_f32 v7, v14, v15
	v_cvt_pk_f32_fp8_e32 v[8:9], v3
	v_cvt_pk_f32_fp8_sdwa v[2:3], v3 src0_sel:WORD_1
	v_cvt_pk_f32_fp8_sdwa v[14:15], v4 src0_sel:WORD_1
	v_mad_i64_i32 v[58:59], s[6:7], v68, s45, v[58:59]
	v_cvt_pkrtz_f16_f32 v12, v8, v9
	v_cvt_pkrtz_f16_f32 v13, v2, v3
	v_cvt_pk_f32_fp8_e32 v[2:3], v4
	v_mfma_f32_16x16x16_f16 v[6:9], v[6:7], v[38:39], 0
	v_cvt_pk_f32_fp8_sdwa v[4:5], v5 src0_sel:WORD_1
	v_cvt_pkrtz_f16_f32 v2, v2, v3
	v_cvt_pkrtz_f16_f32 v3, v14, v15
	v_mfma_f32_16x16x16_f16 v[6:9], v[12:13], v[40:41], v[6:9]
	global_load_dwordx4 v[14:17], v[10:11], off
	s_nop 0
	global_load_dwordx4 v[10:13], v[70:71], off
	v_cvt_pkrtz_f16_f32 v70, v72, v73
	v_cvt_pkrtz_f16_f32 v71, v4, v5
	v_mfma_f32_16x16x16_f16 v[2:5], v[2:3], v[30:31], v[6:9]
	s_nop 2
	v_cvt_pk_f32_fp8_e32 v[6:7], v50
	v_cvt_pk_f32_fp8_sdwa v[8:9], v50 src0_sel:WORD_1
	v_mfma_f32_16x16x16_f16 v[2:5], v[70:71], v[32:33], v[2:5]
	v_cvt_pkrtz_f16_f32 v6, v6, v7
	v_cvt_pkrtz_f16_f32 v7, v8, v9
	v_cvt_pk_f32_fp8_e32 v[8:9], v51
	v_cvt_pk_f32_fp8_sdwa v[50:51], v51 src0_sel:WORD_1
	v_mfma_f32_16x16x16_f16 v[70:73], v[6:7], v[26:27], v[2:5]
	v_cvt_pkrtz_f16_f32 v76, v8, v9
	v_cvt_pkrtz_f16_f32 v77, v50, v51
	v_cvt_pk_f32_fp8_e32 v[50:51], v52
	global_load_dwordx4 v[6:9], v[74:75], off
	global_load_dwordx4 v[2:5], v[58:59], off
	v_cvt_pkrtz_f16_f32 v75, v78, v79
	v_cvt_pk_f32_fp8_e32 v[58:59], v53
	v_cvt_pkrtz_f16_f32 v74, v50, v51
	v_cvt_pk_f32_fp8_sdwa v[78:79], v53 src0_sel:WORD_1
	v_mfma_f32_16x16x16_f16 v[50:53], v[76:77], v[28:29], v[70:73]
	v_cvt_pkrtz_f16_f32 v58, v58, v59
	v_cvt_pk_f32_fp8_sdwa v[76:77], v36 src0_sel:WORD_1
	v_cvt_pkrtz_f16_f32 v59, v78, v79
	v_mfma_f32_16x16x16_f16 v[50:53], v[74:75], v[18:19], v[50:53]
	v_cvt_pk_f32_fp8_e32 v[70:71], v34
	v_cvt_pk_f32_fp8_sdwa v[72:73], v34 src0_sel:WORD_1
	v_cvt_pk_f32_fp8_e32 v[74:75], v36
	v_mfma_f32_16x16x16_f16 v[50:53], v[58:59], v[20:21], v[50:53]
	v_cvt_pk_f32_fp8_e32 v[58:59], v35
	v_cvt_pkrtz_f16_f32 v70, v70, v71
	v_cvt_pkrtz_f16_f32 v71, v72, v73
	v_cvt_pk_f32_fp8_sdwa v[34:35], v35 src0_sel:WORD_1
	v_cvt_pkrtz_f16_f32 v58, v58, v59
	v_mfma_f32_16x16x16_f16 v[70:73], v[70:71], v[38:39], 0
	v_cvt_pkrtz_f16_f32 v59, v34, v35
	v_cvt_pkrtz_f16_f32 v38, v74, v75
	;; [unrolled: 1-line block ×3, first 2 shown]
	v_cvt_pk_f32_fp8_e32 v[74:75], v37
	v_cvt_pk_f32_fp8_sdwa v[76:77], v37 src0_sel:WORD_1
	v_mfma_f32_16x16x16_f16 v[34:37], v[58:59], v[40:41], v[70:73]
	s_load_dword s6, s[0:1], 0x1c
	s_load_dwordx4 s[40:43], s[0:1], 0x80
	v_cvt_pkrtz_f16_f32 v58, v74, v75
	v_cvt_pkrtz_f16_f32 v59, v76, v77
	v_mfma_f32_16x16x16_f16 v[34:37], v[38:39], v[30:31], v[34:37]
	s_load_dword s44, s[0:1], 0x98
	s_waitcnt lgkmcnt(0)
	s_load_dword s7, s[40:41], 0x0
	v_cvt_pk_f32_fp8_sdwa v[38:39], v22 src0_sel:WORD_1
	v_mfma_f32_16x16x16_f16 v[32:35], v[58:59], v[32:33], v[34:37]
	v_mov_b32_e32 v40, s6
	s_mov_b32 s40, 0xff7fffff
	s_waitcnt lgkmcnt(0)
	v_mul_f32_e32 v70, s7, v40
	v_cvt_pk_f32_fp8_e32 v[36:37], v22
	v_pk_mul_f32 v[30:31], v[70:71], v[42:43] op_sel_hi:[0,1]
	v_cvt_pk_f32_fp8_e32 v[42:43], v23
	v_cvt_pk_f32_fp8_sdwa v[22:23], v23 src0_sel:WORD_1
	v_cvt_pkrtz_f16_f32 v36, v36, v37
	v_cvt_pkrtz_f16_f32 v37, v38, v39
	v_pk_mul_f32 v[40:41], v[70:71], v[44:45] op_sel_hi:[0,1]
	v_cvt_pkrtz_f16_f32 v38, v42, v43
	v_cvt_pkrtz_f16_f32 v39, v22, v23
	v_cvt_pk_f32_fp8_e32 v[42:43], v24
	v_cvt_pk_f32_fp8_sdwa v[44:45], v24 src0_sel:WORD_1
	v_mfma_f32_16x16x16_f16 v[32:35], v[36:37], v[26:27], v[32:35]
	v_lshl_add_u64 v[22:23], s[4:5], 0, v[56:57]
	v_cvt_pkrtz_f16_f32 v36, v42, v43
	v_cvt_pkrtz_f16_f32 v37, v44, v45
	v_cvt_pk_f32_fp8_e32 v[42:43], v25
	v_cvt_pk_f32_fp8_sdwa v[56:57], v25 src0_sel:WORD_1
	v_mfma_f32_16x16x16_f16 v[24:27], v[38:39], v[28:29], v[32:35]
	v_pk_mul_f32 v[44:45], v[70:71], v[48:49] op_sel_hi:[0,1]
	v_cvt_pkrtz_f16_f32 v28, v42, v43
	v_cvt_pkrtz_f16_f32 v29, v56, v57
	v_mfma_f32_16x16x16_f16 v[24:27], v[36:37], v[18:19], v[24:27]
	v_pk_mul_f32 v[42:43], v[70:71], v[50:51] op_sel_hi:[0,1]
	v_pk_mul_f32 v[46:47], v[70:71], v[46:47] op_sel_hi:[0,1]
	;; [unrolled: 1-line block ×3, first 2 shown]
	v_mfma_f32_16x16x16_f16 v[18:21], v[28:29], v[20:21], v[24:27]
	s_nop 6
	v_pk_mul_f32 v[36:37], v[70:71], v[18:19] op_sel_hi:[0,1]
	v_and_b32_e32 v18, 0xc0, v0
	v_add_u32_e32 v18, s18, v18
	v_lshl_or_b32 v18, v1, 2, v18
	v_or_b32_e32 v19, 1, v18
	v_pk_mul_f32 v[34:35], v[70:71], v[20:21] op_sel_hi:[0,1]
	v_subrev_u32_e32 v20, s33, v19
	v_add_u32_e32 v24, 1, v20
	v_add_u32_e32 v25, 2, v20
	v_cvt_f32_i32_e32 v21, v20
	v_cvt_f32_i32_e32 v24, v24
	;; [unrolled: 1-line block ×3, first 2 shown]
	v_add_u32_e32 v26, 3, v20
	v_fma_f32 v50, v63, v21, v30
	v_fmac_f32_e32 v31, v63, v24
	v_fma_f32 v40, v63, v25, v40
	v_add_u32_e32 v21, 16, v20
	v_add_u32_e32 v24, 17, v20
	v_add_u32_e32 v25, 18, v20
	v_cvt_f32_i32_e32 v26, v26
	v_cvt_f32_i32_e32 v21, v21
	;; [unrolled: 1-line block ×4, first 2 shown]
	v_fmac_f32_e32 v41, v63, v26
	v_add_u32_e32 v26, 19, v20
	v_fma_f32 v52, v63, v21, v46
	v_fmac_f32_e32 v47, v63, v24
	v_fma_f32 v44, v63, v25, v44
	v_add_u32_e32 v21, 32, v20
	v_add_u32_e32 v24, 33, v20
	;; [unrolled: 1-line block ×3, first 2 shown]
	v_cvt_f32_i32_e32 v26, v26
	v_cvt_f32_i32_e32 v21, v21
	;; [unrolled: 1-line block ×4, first 2 shown]
	v_fmac_f32_e32 v45, v63, v26
	v_add_u32_e32 v26, 35, v20
	v_fma_f32 v42, v63, v21, v42
	v_fmac_f32_e32 v43, v63, v24
	v_fma_f32 v38, v63, v25, v38
	v_add_u32_e32 v21, 48, v20
	v_add_u32_e32 v24, 49, v20
	;; [unrolled: 1-line block ×4, first 2 shown]
	v_cvt_f32_i32_e32 v20, v20
	v_cvt_f32_i32_e32 v21, v21
	;; [unrolled: 1-line block ×3, first 2 shown]
	v_cmp_gt_i32_e64 s[12:13], s33, v18
	v_fmac_f32_e32 v35, v63, v20
	v_mov_b32_e32 v20, 0xff7fffff
	v_cmp_gt_i32_e64 s[14:15], s33, v19
	v_fma_f32 v36, v63, v21, v36
	v_cndmask_b32_e64 v21, v20, v50, s[12:13]
	v_cndmask_b32_e64 v19, v20, v31, s[14:15]
	v_fmac_f32_e32 v37, v63, v24
	v_max3_f32 v19, v21, s40, v19
	v_or_b32_e32 v21, 2, v18
	v_or_b32_e32 v24, 3, v18
	v_cmp_gt_i32_e64 s[16:17], s33, v21
	v_cmp_gt_i32_e64 s[18:19], s33, v24
	v_cvt_f32_i32_e32 v26, v26
	v_cndmask_b32_e64 v21, v20, v40, s[16:17]
	v_cndmask_b32_e64 v24, v20, v41, s[18:19]
	v_max3_f32 v19, v19, v21, v24
	v_or_b32_e32 v21, 16, v18
	v_or_b32_e32 v24, 17, v18
	v_cmp_gt_i32_e64 s[20:21], s33, v21
	v_cmp_gt_i32_e64 s[22:23], s33, v24
	v_fmac_f32_e32 v39, v63, v26
	v_cndmask_b32_e64 v21, v20, v52, s[20:21]
	v_cndmask_b32_e64 v24, v20, v47, s[22:23]
	v_max3_f32 v19, v19, v21, v24
	v_or_b32_e32 v21, 18, v18
	v_or_b32_e32 v24, 19, v18
	v_cmp_gt_i32_e64 s[24:25], s33, v21
	v_cmp_gt_i32_e64 s[26:27], s33, v24
	v_cvt_f32_i32_e32 v25, v25
	v_cndmask_b32_e64 v21, v20, v44, s[24:25]
	v_cndmask_b32_e64 v24, v20, v45, s[26:27]
	v_max3_f32 v19, v19, v21, v24
	v_or_b32_e32 v21, 32, v18
	v_or_b32_e32 v24, 33, v18
	v_cmp_gt_i32_e64 s[28:29], s33, v21
	v_cmp_gt_i32_e64 s[30:31], s33, v24
	v_fma_f32 v34, v63, v25, v34
	v_cndmask_b32_e64 v21, v20, v42, s[28:29]
	v_cndmask_b32_e64 v24, v20, v43, s[30:31]
	v_max3_f32 v19, v19, v21, v24
	v_or_b32_e32 v21, 34, v18
	v_or_b32_e32 v24, 35, v18
	v_cmp_gt_i32_e64 s[34:35], s33, v21
	v_cmp_gt_i32_e64 s[36:37], s33, v24
	s_nop 0
	v_cndmask_b32_e64 v21, v20, v38, s[34:35]
	v_cndmask_b32_e64 v24, v20, v39, s[36:37]
	v_max3_f32 v19, v19, v21, v24
	v_or_b32_e32 v21, 48, v18
	v_or_b32_e32 v24, 49, v18
	v_cmp_gt_i32_e64 s[6:7], s33, v21
	v_cmp_gt_i32_e64 s[8:9], s33, v24
	s_nop 0
	v_cndmask_b32_e64 v21, v20, v36, s[6:7]
	v_cndmask_b32_e64 v24, v20, v37, s[8:9]
	v_max3_f32 v19, v19, v21, v24
	v_or_b32_e32 v21, 50, v18
	v_or_b32_e32 v18, 51, v18
	v_cmp_gt_i32_e32 vcc, s33, v21
	v_cmp_gt_i32_e64 s[4:5], s33, v18
	s_nop 0
	v_cndmask_b32_e32 v21, v20, v34, vcc
	v_cndmask_b32_e64 v18, v20, v35, s[4:5]
	v_max3_f32 v24, v19, v21, v18
	v_mbcnt_lo_u32_b32 v18, -1, 0
	v_mbcnt_hi_u32_b32 v25, -1, v18
	v_and_b32_e32 v18, 64, v25
	v_add_u32_e32 v26, 64, v18
	v_xor_b32_e32 v18, 32, v25
	v_cmp_lt_i32_e64 s[38:39], v18, v26
	s_nop 1
	v_cndmask_b32_e64 v18, v25, v18, s[38:39]
	v_lshlrev_b32_e32 v53, 2, v18
	ds_bpermute_b32 v27, v53, v24
	v_mad_i64_i32 v[18:19], s[38:39], v64, s45, v[22:23]
	v_mad_i64_i32 v[20:21], s[38:39], v66, s45, v[22:23]
	s_waitcnt lgkmcnt(0)
	v_max_f32_e32 v27, v27, v27
	v_max_f32_e32 v27, v24, v27
	v_xor_b32_e32 v24, 16, v25
	v_cmp_lt_i32_e64 s[38:39], v24, v26
	s_nop 1
	v_cndmask_b32_e64 v24, v25, v24, s[38:39]
	v_lshlrev_b32_e32 v56, 2, v24
	ds_bpermute_b32 v26, v56, v27
	v_mad_i64_i32 v[24:25], s[38:39], v67, s45, v[22:23]
	v_mad_i64_i32 v[48:49], s[38:39], v68, s45, v[22:23]
	s_waitcnt lgkmcnt(0)
	v_max_f32_e32 v22, v26, v26
	v_max_f32_e32 v46, v27, v22
	v_sub_f32_e32 v22, v31, v46
	global_load_dwordx4 v[30:33], v[18:19], off
	global_load_dwordx4 v[26:29], v[20:21], off
	v_sub_f32_e32 v18, v50, v46
	v_mul_f32_e32 v18, 0x3fb8aa3b, v18
	v_exp_f32_e32 v50, v18
	v_mul_f32_e32 v18, 0x3fb8aa3b, v22
	v_exp_f32_e32 v51, v18
	v_sub_f32_e32 v18, v40, v46
	v_mul_f32_e32 v18, 0x3fb8aa3b, v18
	v_exp_f32_e32 v40, v18
	v_sub_f32_e32 v18, v41, v46
	v_mul_f32_e32 v18, 0x3fb8aa3b, v18
	v_exp_f32_e32 v41, v18
	global_load_dwordx4 v[22:25], v[24:25], off
	s_nop 0
	global_load_dwordx4 v[18:21], v[48:49], off
	v_sub_f32_e32 v42, v42, v46
	v_sub_f32_e32 v38, v38, v46
	v_mul_f32_e32 v42, 0x3fb8aa3b, v42
	v_mul_f32_e32 v38, 0x3fb8aa3b, v38
	v_cndmask_b32_e64 v49, 0, v51, s[14:15]
	v_cndmask_b32_e64 v51, 0, v41, s[18:19]
	v_sub_f32_e32 v41, v47, v46
	v_exp_f32_e32 v42, v42
	v_exp_f32_e32 v47, v38
	v_cndmask_b32_e64 v48, 0, v50, s[12:13]
	v_cndmask_b32_e64 v50, 0, v40, s[16:17]
	v_sub_f32_e32 v40, v52, v46
	v_mul_f32_e32 v40, 0x3fb8aa3b, v40
	v_sub_f32_e32 v38, v39, v46
	v_exp_f32_e32 v40, v40
	v_mul_f32_e32 v41, 0x3fb8aa3b, v41
	v_sub_f32_e32 v44, v44, v46
	v_mul_f32_e32 v38, 0x3fb8aa3b, v38
	v_exp_f32_e32 v41, v41
	v_mul_f32_e32 v44, 0x3fb8aa3b, v44
	v_sub_f32_e32 v45, v45, v46
	v_exp_f32_e32 v52, v38
	v_cndmask_b32_e64 v38, 0, v42, s[28:29]
	v_cndmask_b32_e64 v42, 0, v47, s[34:35]
	v_add_f32_e32 v47, 0, v48
	v_exp_f32_e32 v44, v44
	v_mul_f32_e32 v45, 0x3fb8aa3b, v45
	v_add_f32_e32 v47, v47, v49
	v_exp_f32_e32 v45, v45
	v_sub_f32_e32 v43, v43, v46
	v_add_f32_e32 v47, v47, v50
	v_cndmask_b32_e64 v40, 0, v40, s[20:21]
	v_mul_f32_e32 v43, 0x3fb8aa3b, v43
	v_add_f32_e32 v47, v47, v51
	v_cndmask_b32_e64 v41, 0, v41, s[22:23]
	v_exp_f32_e32 v43, v43
	v_add_f32_e32 v47, v47, v40
	v_cndmask_b32_e64 v44, 0, v44, s[24:25]
	v_add_f32_e32 v47, v47, v41
	v_sub_f32_e32 v36, v36, v46
	v_cndmask_b32_e64 v45, 0, v45, s[26:27]
	v_add_f32_e32 v47, v47, v44
	v_mul_f32_e32 v36, 0x3fb8aa3b, v36
	v_sub_f32_e32 v37, v37, v46
	v_add_f32_e32 v47, v47, v45
	v_exp_f32_e32 v36, v36
	v_mul_f32_e32 v37, 0x3fb8aa3b, v37
	v_sub_f32_e32 v34, v34, v46
	v_cndmask_b32_e64 v39, 0, v43, s[30:31]
	v_add_f32_e32 v47, v47, v38
	v_exp_f32_e32 v37, v37
	v_mul_f32_e32 v34, 0x3fb8aa3b, v34
	v_sub_f32_e32 v35, v35, v46
	v_add_f32_e32 v47, v47, v39
	v_exp_f32_e32 v34, v34
	v_mul_f32_e32 v35, 0x3fb8aa3b, v35
	v_cndmask_b32_e64 v43, 0, v52, s[36:37]
	v_add_f32_e32 v47, v47, v42
	v_exp_f32_e32 v35, v35
	v_add_f32_e32 v47, v47, v43
	v_cndmask_b32_e64 v36, 0, v36, s[6:7]
	v_add_f32_e32 v47, v47, v36
	v_cndmask_b32_e64 v37, 0, v37, s[8:9]
	v_add_f32_e32 v47, v47, v37
	v_cndmask_b32_e32 v34, 0, v34, vcc
	v_add_f32_e32 v47, v47, v34
	v_cndmask_b32_e64 v35, 0, v35, s[4:5]
	v_add_f32_e32 v47, v47, v35
	ds_bpermute_b32 v52, v53, v47
	v_cmp_gt_u32_e32 vcc, 16, v55
	s_waitcnt lgkmcnt(0)
	s_barrier
	v_add_f32_e32 v47, v47, v52
	ds_bpermute_b32 v52, v56, v47
	s_and_saveexec_b64 s[4:5], vcc
	s_cbranch_execz .LBB975_15
; %bb.14:
	s_waitcnt lgkmcnt(0)
	v_add_f32_e32 v47, v47, v52
	v_lshlrev_b32_e32 v52, 2, v65
	ds_write2st64_b32 v52, v46, v47 offset1:1
.LBB975_15:
	s_or_b64 exec, exec, s[4:5]
	v_lshlrev_b32_e32 v47, 2, v60
	s_load_dword s6, s[0:1], 0x94
	s_waitcnt lgkmcnt(0)
	s_barrier
	ds_read2_b32 v[52:53], v47 offset1:16
	ds_read2_b32 v[56:57], v47 offset0:32 offset1:48
	ds_read2_b32 v[58:59], v47 offset0:64 offset1:80
	s_lshl_b32 s7, s44, 3
	s_waitcnt lgkmcnt(2)
	v_max3_f32 v46, v52, s40, v53
	s_waitcnt lgkmcnt(1)
	v_max3_f32 v46, v46, v56, v57
	v_sub_f32_e32 v52, v52, v46
	v_mul_f32_e32 v52, 0x3fb8aa3b, v52
	v_exp_f32_e32 v55, v52
	v_sub_f32_e32 v52, v53, v46
	v_mul_f32_e32 v52, 0x3fb8aa3b, v52
	v_exp_f32_e32 v63, v52
	;; [unrolled: 3-line block ×3, first 2 shown]
	ds_read2_b32 v[52:53], v47 offset0:96 offset1:112
	v_sub_f32_e32 v47, v57, v46
	v_mul_f32_e32 v47, 0x3fb8aa3b, v47
	v_exp_f32_e32 v57, v47
	s_waitcnt lgkmcnt(1)
	v_fma_f32 v47, v55, v58, 0
	v_fmac_f32_e32 v47, v63, v59
	s_waitcnt lgkmcnt(0)
	v_fmac_f32_e32 v47, v56, v52
	v_fmac_f32_e32 v47, v57, v53
	v_add_f32_e32 v52, 0x358637bd, v47
	v_div_scale_f32 v53, s[4:5], v52, v52, 1.0
	v_rcp_f32_e32 v58, v53
	s_barrier
	v_fma_f32 v59, -v53, v58, 1.0
	v_fmac_f32_e32 v58, v59, v58
	v_div_scale_f32 v59, vcc, 1.0, v52, 1.0
	v_mul_f32_e32 v64, v59, v58
	v_fma_f32 v65, -v53, v64, v59
	v_fmac_f32_e32 v64, v65, v58
	v_fma_f32 v53, -v53, v64, v59
	v_div_fmas_f32 v53, v53, v58, v64
	v_cmp_eq_u32_e32 vcc, 1, v62
	v_div_fixup_f32 v52, v53, v52, 1.0
	s_nop 0
	v_cndmask_b32_e32 v53, v55, v63, vcc
	v_cmp_eq_u32_e32 vcc, 2, v62
	s_nop 1
	v_cndmask_b32_e32 v53, v53, v56, vcc
	v_cmp_eq_u32_e32 vcc, 3, v62
	s_nop 1
	v_cndmask_b32_e32 v53, v53, v57, vcc
	v_mul_f32_e32 v52, v53, v52
	v_pk_mul_f32 v[50:51], v[52:53], v[50:51] op_sel_hi:[0,1]
	v_pk_mul_f32 v[48:49], v[52:53], v[48:49] op_sel_hi:[0,1]
	v_cvt_f16_f32_e32 v53, v50
	v_cvt_f16_f32_e32 v48, v48
	;; [unrolled: 1-line block ×4, first 2 shown]
	v_pk_mul_f32 v[44:45], v[52:53], v[44:45] op_sel_hi:[0,1]
	v_pk_mul_f32 v[40:41], v[52:53], v[40:41] op_sel_hi:[0,1]
	v_cvt_f16_f32_e32 v40, v40
	v_cvt_f16_f32_e32 v41, v41
	v_cvt_f16_f32_e32 v44, v44
	v_cvt_f16_f32_e32 v45, v45
	v_pack_b32_f16 v50, v48, v49
	v_pack_b32_f16 v51, v53, v51
	v_lshlrev_b32_e32 v49, 3, v1
	v_lshlrev_b32_e32 v48, 5, v60
	;; [unrolled: 1-line block ×3, first 2 shown]
	v_or3_b32 v55, v53, v48, v49
	v_pack_b32_f16 v40, v40, v41
	v_pack_b32_f16 v41, v44, v45
	ds_write2st64_b64 v55, v[50:51], v[40:41] offset1:1
	v_pk_mul_f32 v[40:41], v[52:53], v[42:43] op_sel_hi:[0,1]
	v_pk_mul_f32 v[38:39], v[52:53], v[38:39] op_sel_hi:[0,1]
	;; [unrolled: 1-line block ×4, first 2 shown]
	v_cvt_f16_f32_e32 v38, v38
	v_cvt_f16_f32_e32 v39, v39
	;; [unrolled: 1-line block ×8, first 2 shown]
	v_pack_b32_f16 v34, v38, v39
	v_pack_b32_f16 v35, v40, v41
	;; [unrolled: 1-line block ×4, first 2 shown]
	v_cmp_gt_u32_e32 vcc, 8, v0
	ds_write2st64_b64 v55, v[34:35], v[36:37] offset0:2 offset1:3
	s_and_saveexec_b64 s[4:5], vcc
	s_cbranch_execz .LBB975_17
; %bb.16:
	v_or_b32_e32 v34, s11, v0
	v_mov_b32_e32 v35, 0
	v_mov_b32_e32 v36, s7
	v_mad_u64_u32 v[36:37], s[8:9], s2, v36, v[34:35]
	v_mov_b32_e32 v34, s10
	s_load_dwordx4 s[12:15], s[0:1], 0x58
	s_mul_i32 s3, s3, s7
	v_mad_u64_u32 v[34:35], s[8:9], v36, s6, v[34:35]
	v_add_u32_e32 v37, s3, v37
	v_mov_b32_e32 v36, v35
	v_mad_u64_u32 v[36:37], s[8:9], v37, s6, v[36:37]
	v_mov_b32_e32 v35, v36
	v_lshlrev_b64 v[34:35], 2, v[34:35]
	s_waitcnt lgkmcnt(0)
	v_lshl_add_u64 v[36:37], s[14:15], 0, v[34:35]
	v_lshl_add_u64 v[34:35], s[12:13], 0, v[34:35]
	global_store_dword v[36:37], v46, off
	global_store_dword v[34:35], v47, off
.LBB975_17:
	s_or_b64 exec, exec, s[4:5]
	s_waitcnt vmcnt(7)
	v_cvt_pk_f32_fp8_e32 v[34:35], v14
	v_cvt_pk_f32_fp8_sdwa v[36:37], v14 src0_sel:WORD_1
	v_lshl_or_b32 v50, v1, 9, v48
	s_waitcnt lgkmcnt(0)
	s_barrier
	v_cvt_pk_f32_fp8_e32 v[38:39], v15
	v_cvt_pkrtz_f16_f32 v14, v34, v35
	v_cvt_pk_f32_fp8_sdwa v[40:41], v15 src0_sel:WORD_1
	v_cvt_pkrtz_f16_f32 v15, v36, v37
	ds_read_b128 v[34:37], v50
	v_cvt_pkrtz_f16_f32 v46, v38, v39
	v_cvt_pkrtz_f16_f32 v47, v40, v41
	ds_read_b128 v[38:41], v50 offset:16
	v_cvt_pk_f32_fp8_e32 v[48:49], v16
	v_cvt_pk_f32_fp8_sdwa v[52:53], v16 src0_sel:WORD_1
	s_waitcnt lgkmcnt(1)
	v_mfma_f32_16x16x16_f16 v[42:45], v[14:15], v[34:35], 0
	s_waitcnt vmcnt(6)
	v_cvt_pk_f32_fp8_e32 v[56:57], v12
	v_cvt_pkrtz_f16_f32 v14, v48, v49
	v_cvt_pkrtz_f16_f32 v15, v52, v53
	v_cvt_pk_f32_fp8_e32 v[48:49], v17
	v_mfma_f32_16x16x16_f16 v[42:45], v[46:47], v[36:37], v[42:45]
	v_cvt_pk_f32_fp8_sdwa v[46:47], v17 src0_sel:WORD_1
	v_cvt_pk_f32_fp8_sdwa v[58:59], v12 src0_sel:WORD_1
	v_cvt_pkrtz_f16_f32 v48, v48, v49
	s_waitcnt lgkmcnt(0)
	v_mfma_f32_16x16x16_f16 v[14:17], v[14:15], v[38:39], v[42:45]
	v_cvt_pkrtz_f16_f32 v49, v46, v47
	s_waitcnt vmcnt(5)
	v_cvt_pk_f32_fp8_e32 v[62:63], v8
	v_cvt_pk_f32_fp8_sdwa v[64:65], v8 src0_sel:WORD_1
	v_cvt_pk_f32_fp8_e32 v[42:43], v10
	v_mfma_f32_16x16x16_f16 v[46:49], v[48:49], v[40:41], v[14:17]
	s_waitcnt vmcnt(4)
	v_cvt_pk_f32_fp8_sdwa v[66:67], v4 src0_sel:WORD_1
	s_load_dword s4, s[42:43], 0x0
	v_cvt_pk_f32_fp8_sdwa v[14:15], v10 src0_sel:WORD_1
	v_cvt_pk_f32_fp8_e32 v[16:17], v11
	v_cvt_pkrtz_f16_f32 v10, v42, v43
	v_cvt_pk_f32_fp8_sdwa v[42:43], v11 src0_sel:WORD_1
	v_cvt_pkrtz_f16_f32 v11, v14, v15
	v_cvt_pkrtz_f16_f32 v52, v16, v17
	ds_read_b128 v[14:17], v50 offset:2048
	v_cvt_pkrtz_f16_f32 v53, v42, v43
	ds_read_b128 v[42:45], v50 offset:2064
	s_waitcnt lgkmcnt(0)
	v_mfma_f32_16x16x16_f16 v[46:49], v[10:11], v[14:15], v[46:49]
	v_cvt_pkrtz_f16_f32 v10, v56, v57
	v_cvt_pkrtz_f16_f32 v11, v58, v59
	v_cvt_pk_f32_fp8_e32 v[56:57], v13
	v_mfma_f32_16x16x16_f16 v[46:49], v[52:53], v[16:17], v[46:49]
	v_cvt_pk_f32_fp8_sdwa v[52:53], v13 src0_sel:WORD_1
	s_mov_b32 s3, 0
	v_cvt_pkrtz_f16_f32 v56, v56, v57
	v_mfma_f32_16x16x16_f16 v[10:13], v[10:11], v[42:43], v[46:49]
	v_cvt_pkrtz_f16_f32 v57, v52, v53
	v_cmp_gt_u32_e32 vcc, 64, v0
	s_nop 0
	v_cvt_pk_f32_fp8_e32 v[46:47], v6
	v_mfma_f32_16x16x16_f16 v[56:59], v[56:57], v[44:45], v[10:13]
	s_nop 2
	v_cvt_pk_f32_fp8_sdwa v[10:11], v6 src0_sel:WORD_1
	v_cvt_pk_f32_fp8_e32 v[12:13], v7
	v_cvt_pkrtz_f16_f32 v6, v46, v47
	v_cvt_pk_f32_fp8_sdwa v[46:47], v7 src0_sel:WORD_1
	v_cvt_pkrtz_f16_f32 v7, v10, v11
	v_cvt_pkrtz_f16_f32 v52, v12, v13
	ds_read_b128 v[10:13], v50 offset:4096
	v_cvt_pkrtz_f16_f32 v53, v46, v47
	ds_read_b128 v[46:49], v50 offset:4112
	s_waitcnt lgkmcnt(1)
	v_mfma_f32_16x16x16_f16 v[56:59], v[6:7], v[10:11], v[56:59]
	v_cvt_pkrtz_f16_f32 v6, v62, v63
	v_cvt_pkrtz_f16_f32 v7, v64, v65
	v_cvt_pk_f32_fp8_e32 v[62:63], v9
	v_mfma_f32_16x16x16_f16 v[56:59], v[52:53], v[12:13], v[56:59]
	v_cvt_pk_f32_fp8_sdwa v[52:53], v9 src0_sel:WORD_1
	v_cvt_pk_f32_fp8_e32 v[64:65], v4
	v_cvt_pkrtz_f16_f32 v62, v62, v63
	s_waitcnt lgkmcnt(0)
	v_mfma_f32_16x16x16_f16 v[6:9], v[6:7], v[46:47], v[56:59]
	v_cvt_pkrtz_f16_f32 v63, v52, v53
	v_cvt_pk_f32_fp8_e32 v[52:53], v2
	s_nop 0
	v_mfma_f32_16x16x16_f16 v[56:59], v[62:63], v[48:49], v[6:9]
	s_nop 2
	v_cvt_pk_f32_fp8_sdwa v[6:7], v2 src0_sel:WORD_1
	v_cvt_pk_f32_fp8_e32 v[8:9], v3
	v_cvt_pkrtz_f16_f32 v2, v52, v53
	v_cvt_pk_f32_fp8_sdwa v[52:53], v3 src0_sel:WORD_1
	v_cvt_pkrtz_f16_f32 v3, v6, v7
	v_cvt_pkrtz_f16_f32 v62, v8, v9
	ds_read_b128 v[6:9], v50 offset:6144
	v_cvt_pkrtz_f16_f32 v63, v52, v53
	s_waitcnt lgkmcnt(0)
	v_mfma_f32_16x16x16_f16 v[56:59], v[2:3], v[6:7], v[56:59]
	ds_read_b128 v[50:53], v50 offset:6160
	v_cvt_pkrtz_f16_f32 v2, v64, v65
	v_cvt_pkrtz_f16_f32 v3, v66, v67
	v_mfma_f32_16x16x16_f16 v[56:59], v[62:63], v[8:9], v[56:59]
	v_cvt_pk_f32_fp8_e32 v[64:65], v5
	v_cvt_pk_f32_fp8_sdwa v[62:63], v5 src0_sel:WORD_1
	s_waitcnt vmcnt(3)
	v_cvt_pk_f32_fp8_sdwa v[66:67], v32 src0_sel:WORD_1
	s_waitcnt lgkmcnt(0)
	v_mfma_f32_16x16x16_f16 v[2:5], v[2:3], v[50:51], v[56:59]
	v_cvt_pkrtz_f16_f32 v64, v64, v65
	v_cvt_pkrtz_f16_f32 v65, v62, v63
	v_cvt_pk_f32_fp8_e32 v[62:63], v31
	v_cvt_pk_f32_fp8_e32 v[56:57], v30
	v_cvt_pk_f32_fp8_sdwa v[58:59], v30 src0_sel:WORD_1
	v_cvt_pk_f32_fp8_sdwa v[30:31], v31 src0_sel:WORD_1
	v_mfma_f32_16x16x16_f16 v[2:5], v[64:65], v[52:53], v[2:5]
	v_cvt_pkrtz_f16_f32 v56, v56, v57
	v_cvt_pkrtz_f16_f32 v57, v58, v59
	;; [unrolled: 1-line block ×3, first 2 shown]
	v_cvt_pk_f32_fp8_e32 v[64:65], v32
	v_cvt_pkrtz_f16_f32 v63, v30, v31
	v_mfma_f32_16x16x16_f16 v[56:59], v[56:57], v[34:35], 0
	v_cvt_pkrtz_f16_f32 v30, v64, v65
	v_cvt_pkrtz_f16_f32 v31, v66, v67
	v_cvt_pk_f32_fp8_e32 v[64:65], v33
	v_mfma_f32_16x16x16_f16 v[34:37], v[62:63], v[36:37], v[56:59]
	s_barrier
	s_nop 1
	v_cvt_pk_f32_fp8_sdwa v[56:57], v33 src0_sel:WORD_1
	v_cvt_pkrtz_f16_f32 v58, v64, v65
	v_mfma_f32_16x16x16_f16 v[30:33], v[30:31], v[38:39], v[34:37]
	s_waitcnt vmcnt(2)
	v_cvt_pk_f32_fp8_e32 v[38:39], v27
	v_cvt_pkrtz_f16_f32 v59, v56, v57
	v_cvt_pk_f32_fp8_e32 v[34:35], v26
	v_cvt_pk_f32_fp8_sdwa v[36:37], v26 src0_sel:WORD_1
	v_cvt_pk_f32_fp8_sdwa v[26:27], v27 src0_sel:WORD_1
	v_mfma_f32_16x16x16_f16 v[30:33], v[58:59], v[40:41], v[30:33]
	v_cvt_pkrtz_f16_f32 v34, v34, v35
	v_cvt_pkrtz_f16_f32 v35, v36, v37
	;; [unrolled: 1-line block ×3, first 2 shown]
	v_cvt_pk_f32_fp8_e32 v[38:39], v28
	v_cvt_pk_f32_fp8_sdwa v[40:41], v28 src0_sel:WORD_1
	v_cvt_pkrtz_f16_f32 v37, v26, v27
	v_mfma_f32_16x16x16_f16 v[30:33], v[34:35], v[14:15], v[30:33]
	v_cvt_pkrtz_f16_f32 v26, v38, v39
	v_cvt_pkrtz_f16_f32 v27, v40, v41
	v_cvt_pk_f32_fp8_e32 v[34:35], v29
	v_cvt_pk_f32_fp8_sdwa v[28:29], v29 src0_sel:WORD_1
	v_mfma_f32_16x16x16_f16 v[14:17], v[36:37], v[16:17], v[30:33]
	s_nop 2
	v_cvt_pkrtz_f16_f32 v30, v34, v35
	v_cvt_pkrtz_f16_f32 v31, v28, v29
	v_mfma_f32_16x16x16_f16 v[14:17], v[26:27], v[42:43], v[14:17]
	s_waitcnt vmcnt(1)
	v_cvt_pk_f32_fp8_e32 v[26:27], v22
	v_cvt_pk_f32_fp8_sdwa v[28:29], v22 src0_sel:WORD_1
	v_cvt_pk_f32_fp8_sdwa v[32:33], v24 src0_sel:WORD_1
	v_mfma_f32_16x16x16_f16 v[14:17], v[30:31], v[44:45], v[14:17]
	v_cvt_pk_f32_fp8_e32 v[30:31], v23
	v_cvt_pkrtz_f16_f32 v26, v26, v27
	v_cvt_pkrtz_f16_f32 v27, v28, v29
	v_cvt_pk_f32_fp8_sdwa v[22:23], v23 src0_sel:WORD_1
	v_cvt_pkrtz_f16_f32 v28, v30, v31
	v_cvt_pk_f32_fp8_e32 v[30:31], v24
	v_mfma_f32_16x16x16_f16 v[14:17], v[26:27], v[10:11], v[14:17]
	v_cvt_pkrtz_f16_f32 v29, v22, v23
	v_cvt_pkrtz_f16_f32 v22, v30, v31
	;; [unrolled: 1-line block ×3, first 2 shown]
	v_cvt_pk_f32_fp8_e32 v[26:27], v25
	v_cvt_pk_f32_fp8_sdwa v[24:25], v25 src0_sel:WORD_1
	v_mfma_f32_16x16x16_f16 v[10:13], v[28:29], v[12:13], v[14:17]
	s_nop 2
	v_pk_mul_f32 v[14:15], v[4:5], s[4:5] op_sel_hi:[1,0]
	v_cvt_pkrtz_f16_f32 v4, v26, v27
	v_cvt_pkrtz_f16_f32 v5, v24, v25
	v_mfma_f32_16x16x16_f16 v[10:13], v[22:23], v[46:47], v[10:13]
	s_waitcnt vmcnt(0)
	v_cvt_pk_f32_fp8_e32 v[22:23], v18
	v_cvt_pk_f32_fp8_sdwa v[24:25], v18 src0_sel:WORD_1
	v_pk_mul_f32 v[16:17], v[2:3], s[4:5] op_sel_hi:[1,0]
	v_mfma_f32_16x16x16_f16 v[2:5], v[4:5], v[48:49], v[10:13]
	s_nop 2
	v_cvt_pk_f32_fp8_e32 v[10:11], v19
	v_cvt_pkrtz_f16_f32 v12, v22, v23
	v_cvt_pkrtz_f16_f32 v13, v24, v25
	v_cvt_pk_f32_fp8_sdwa v[18:19], v19 src0_sel:WORD_1
	v_cvt_pkrtz_f16_f32 v10, v10, v11
	v_cvt_pk_f32_fp8_e32 v[22:23], v20
	v_cvt_pk_f32_fp8_sdwa v[24:25], v20 src0_sel:WORD_1
	v_cvt_pkrtz_f16_f32 v11, v18, v19
	v_mfma_f32_16x16x16_f16 v[2:5], v[12:13], v[6:7], v[2:5]
	v_cvt_pkrtz_f16_f32 v6, v22, v23
	v_cvt_pkrtz_f16_f32 v7, v24, v25
	v_cvt_pk_f32_fp8_e32 v[12:13], v21
	v_cvt_pk_f32_fp8_sdwa v[18:19], v21 src0_sel:WORD_1
	v_mfma_f32_16x16x16_f16 v[2:5], v[10:11], v[8:9], v[2:5]
	v_cvt_f16_f32_e32 v10, v16
	v_cvt_pkrtz_f16_f32 v8, v12, v13
	v_cvt_pkrtz_f16_f32 v9, v18, v19
	v_mfma_f32_16x16x16_f16 v[2:5], v[6:7], v[50:51], v[2:5]
	v_cvt_f16_f32_e32 v6, v17
	v_cvt_f16_f32_e32 v7, v14
	;; [unrolled: 1-line block ×3, first 2 shown]
	v_mfma_f32_16x16x16_f16 v[2:5], v[8:9], v[52:53], v[2:5]
	s_nop 6
	v_pk_mul_f32 v[4:5], v[4:5], s[4:5] op_sel_hi:[1,0]
	v_pk_mul_f32 v[2:3], v[2:3], s[4:5] op_sel_hi:[1,0]
	v_cvt_f16_f32_e32 v12, v4
	v_cvt_f16_f32_e32 v8, v2
	;; [unrolled: 1-line block ×4, first 2 shown]
	v_pack_b32_f16 v2, v10, v6
	v_pack_b32_f16 v3, v7, v11
	;; [unrolled: 1-line block ×4, first 2 shown]
	ds_write2st64_b64 v55, v[2:3], v[4:5] offset1:1
	s_waitcnt lgkmcnt(0)
	s_barrier
	s_and_saveexec_b64 s[4:5], vcc
	s_cbranch_execz .LBB975_19
; %bb.18:
	s_load_dwordx2 s[0:1], s[0:1], 0x68
	s_lshl_b32 s6, s6, 7
	s_mul_i32 s2, s7, s2
	s_mul_hi_u32 s5, s2, s6
	s_mul_i32 s4, s2, s6
	v_lshlrev_b32_e32 v4, 6, v60
	s_lshl_b64 s[4:5], s[4:5], 1
	v_lshl_or_b32 v0, v0, 10, v4
	s_waitcnt lgkmcnt(0)
	s_add_u32 s4, s0, s4
	v_lshlrev_b32_e32 v2, 5, v1
	v_and_b32_e32 v3, 16, v61
	v_and_b32_e32 v0, 0x1a00, v0
	s_addc_u32 s5, s1, s5
	s_lshl_b32 s2, s10, 7
	v_or3_b32 v0, v0, v2, v3
	s_lshl_b64 s[0:1], s[2:3], 1
	ds_read_b128 v[2:5], v0
	ds_read_b128 v[6:9], v0 offset:128
	s_add_u32 s0, s4, s0
	s_addc_u32 s1, s5, s1
	v_mov_b32_e32 v55, 0
	v_or_b32_e32 v12, s11, v1
	v_lshl_add_u64 v[10:11], s[0:1], 0, v[54:55]
	v_mad_u64_u32 v[0:1], s[0:1], v12, s6, 0
	v_lshl_add_u64 v[0:1], v[0:1], 1, v[10:11]
	s_waitcnt lgkmcnt(1)
	global_store_dwordx4 v[0:1], v[2:5], off
	v_or_b32_e32 v0, 4, v12
	v_mad_u64_u32 v[0:1], s[0:1], v0, s6, 0
	v_lshl_add_u64 v[0:1], v[0:1], 1, v[10:11]
	s_waitcnt lgkmcnt(0)
	global_store_dwordx4 v[0:1], v[6:9], off
.LBB975_19:
	s_endpgm
	.section	.rodata,"a",@progbits
	.p2align	6, 0x0
	.amdhsa_kernel _Z39paged_attention_ll4mi_QKV_mfma16_kernelIDF16_hLN4vllm18Fp8KVCacheDataTypeE1EDF16_Li16ELi128ELi256ELb1ELi8EEvPKT_PKT0_S7_ifPKiS9_S9_iPKfiiiPfSC_PS2_PT2_iSB_SB_
		.amdhsa_group_segment_fixed_size 8192
		.amdhsa_private_segment_fixed_size 0
		.amdhsa_kernarg_size 400
		.amdhsa_user_sgpr_count 2
		.amdhsa_user_sgpr_dispatch_ptr 0
		.amdhsa_user_sgpr_queue_ptr 0
		.amdhsa_user_sgpr_kernarg_segment_ptr 1
		.amdhsa_user_sgpr_dispatch_id 0
		.amdhsa_user_sgpr_kernarg_preload_length 0
		.amdhsa_user_sgpr_kernarg_preload_offset 0
		.amdhsa_user_sgpr_private_segment_size 0
		.amdhsa_uses_dynamic_stack 0
		.amdhsa_enable_private_segment 0
		.amdhsa_system_sgpr_workgroup_id_x 1
		.amdhsa_system_sgpr_workgroup_id_y 1
		.amdhsa_system_sgpr_workgroup_id_z 1
		.amdhsa_system_sgpr_workgroup_info 0
		.amdhsa_system_vgpr_workitem_id 0
		.amdhsa_next_free_vgpr 80
		.amdhsa_next_free_sgpr 48
		.amdhsa_accum_offset 80
		.amdhsa_reserve_vcc 1
		.amdhsa_float_round_mode_32 0
		.amdhsa_float_round_mode_16_64 0
		.amdhsa_float_denorm_mode_32 3
		.amdhsa_float_denorm_mode_16_64 3
		.amdhsa_dx10_clamp 1
		.amdhsa_ieee_mode 1
		.amdhsa_fp16_overflow 0
		.amdhsa_tg_split 0
		.amdhsa_exception_fp_ieee_invalid_op 0
		.amdhsa_exception_fp_denorm_src 0
		.amdhsa_exception_fp_ieee_div_zero 0
		.amdhsa_exception_fp_ieee_overflow 0
		.amdhsa_exception_fp_ieee_underflow 0
		.amdhsa_exception_fp_ieee_inexact 0
		.amdhsa_exception_int_div_zero 0
	.end_amdhsa_kernel
	.section	.text._Z39paged_attention_ll4mi_QKV_mfma16_kernelIDF16_hLN4vllm18Fp8KVCacheDataTypeE1EDF16_Li16ELi128ELi256ELb1ELi8EEvPKT_PKT0_S7_ifPKiS9_S9_iPKfiiiPfSC_PS2_PT2_iSB_SB_,"axG",@progbits,_Z39paged_attention_ll4mi_QKV_mfma16_kernelIDF16_hLN4vllm18Fp8KVCacheDataTypeE1EDF16_Li16ELi128ELi256ELb1ELi8EEvPKT_PKT0_S7_ifPKiS9_S9_iPKfiiiPfSC_PS2_PT2_iSB_SB_,comdat
.Lfunc_end975:
	.size	_Z39paged_attention_ll4mi_QKV_mfma16_kernelIDF16_hLN4vllm18Fp8KVCacheDataTypeE1EDF16_Li16ELi128ELi256ELb1ELi8EEvPKT_PKT0_S7_ifPKiS9_S9_iPKfiiiPfSC_PS2_PT2_iSB_SB_, .Lfunc_end975-_Z39paged_attention_ll4mi_QKV_mfma16_kernelIDF16_hLN4vllm18Fp8KVCacheDataTypeE1EDF16_Li16ELi128ELi256ELb1ELi8EEvPKT_PKT0_S7_ifPKiS9_S9_iPKfiiiPfSC_PS2_PT2_iSB_SB_
                                        ; -- End function
	.section	.AMDGPU.csdata,"",@progbits
; Kernel info:
; codeLenInByte = 6236
; NumSgprs: 54
; NumVgprs: 80
; NumAgprs: 0
; TotalNumVgprs: 80
; ScratchSize: 0
; MemoryBound: 0
; FloatMode: 240
; IeeeMode: 1
; LDSByteSize: 8192 bytes/workgroup (compile time only)
; SGPRBlocks: 6
; VGPRBlocks: 9
; NumSGPRsForWavesPerEU: 54
; NumVGPRsForWavesPerEU: 80
; AccumOffset: 80
; Occupancy: 6
; WaveLimiterHint : 1
; COMPUTE_PGM_RSRC2:SCRATCH_EN: 0
; COMPUTE_PGM_RSRC2:USER_SGPR: 2
; COMPUTE_PGM_RSRC2:TRAP_HANDLER: 0
; COMPUTE_PGM_RSRC2:TGID_X_EN: 1
; COMPUTE_PGM_RSRC2:TGID_Y_EN: 1
; COMPUTE_PGM_RSRC2:TGID_Z_EN: 1
; COMPUTE_PGM_RSRC2:TIDIG_COMP_CNT: 0
; COMPUTE_PGM_RSRC3_GFX90A:ACCUM_OFFSET: 19
; COMPUTE_PGM_RSRC3_GFX90A:TG_SPLIT: 0
	.section	.text._Z39paged_attention_ll4mi_QKV_mfma16_kernelIDF16_hLN4vllm18Fp8KVCacheDataTypeE1EDF16_Li16ELi128ELi256ELb1ELi9EEvPKT_PKT0_S7_ifPKiS9_S9_iPKfiiiPfSC_PS2_PT2_iSB_SB_,"axG",@progbits,_Z39paged_attention_ll4mi_QKV_mfma16_kernelIDF16_hLN4vllm18Fp8KVCacheDataTypeE1EDF16_Li16ELi128ELi256ELb1ELi9EEvPKT_PKT0_S7_ifPKiS9_S9_iPKfiiiPfSC_PS2_PT2_iSB_SB_,comdat
	.protected	_Z39paged_attention_ll4mi_QKV_mfma16_kernelIDF16_hLN4vllm18Fp8KVCacheDataTypeE1EDF16_Li16ELi128ELi256ELb1ELi9EEvPKT_PKT0_S7_ifPKiS9_S9_iPKfiiiPfSC_PS2_PT2_iSB_SB_ ; -- Begin function _Z39paged_attention_ll4mi_QKV_mfma16_kernelIDF16_hLN4vllm18Fp8KVCacheDataTypeE1EDF16_Li16ELi128ELi256ELb1ELi9EEvPKT_PKT0_S7_ifPKiS9_S9_iPKfiiiPfSC_PS2_PT2_iSB_SB_
	.globl	_Z39paged_attention_ll4mi_QKV_mfma16_kernelIDF16_hLN4vllm18Fp8KVCacheDataTypeE1EDF16_Li16ELi128ELi256ELb1ELi9EEvPKT_PKT0_S7_ifPKiS9_S9_iPKfiiiPfSC_PS2_PT2_iSB_SB_
	.p2align	8
	.type	_Z39paged_attention_ll4mi_QKV_mfma16_kernelIDF16_hLN4vllm18Fp8KVCacheDataTypeE1EDF16_Li16ELi128ELi256ELb1ELi9EEvPKT_PKT0_S7_ifPKiS9_S9_iPKfiiiPfSC_PS2_PT2_iSB_SB_,@function
_Z39paged_attention_ll4mi_QKV_mfma16_kernelIDF16_hLN4vllm18Fp8KVCacheDataTypeE1EDF16_Li16ELi128ELi256ELb1ELi9EEvPKT_PKT0_S7_ifPKiS9_S9_iPKfiiiPfSC_PS2_PT2_iSB_SB_: ; @_Z39paged_attention_ll4mi_QKV_mfma16_kernelIDF16_hLN4vllm18Fp8KVCacheDataTypeE1EDF16_Li16ELi128ELi256ELb1ELi9EEvPKT_PKT0_S7_ifPKiS9_S9_iPKfiiiPfSC_PS2_PT2_iSB_SB_
; %bb.0:
	s_load_dwordx2 s[10:11], s[0:1], 0x30
	s_mov_b32 s6, s3
	s_mov_b64 s[8:9], 0
	s_waitcnt lgkmcnt(0)
	s_cmp_lg_u64 s[10:11], 0
	s_cselect_b64 s[12:13], -1, 0
	s_and_b64 vcc, exec, s[12:13]
	s_cbranch_vccz .LBB976_7
; %bb.1:
	s_add_i32 s14, s2, 1
	s_mov_b32 s15, 0
	s_lshl_b64 s[16:17], s[14:15], 2
	s_add_u32 s16, s10, s16
	s_mov_b32 s3, s15
	s_addc_u32 s17, s11, s17
	s_lshl_b64 s[14:15], s[2:3], 2
	s_add_u32 s14, s10, s14
	s_addc_u32 s15, s11, s15
	s_load_dword s5, s[16:17], 0x0
	s_load_dword s7, s[14:15], 0x0
	s_waitcnt lgkmcnt(0)
	s_sub_i32 s5, s5, s7
	s_cmp_eq_u32 s5, 1
	s_cselect_b64 s[14:15], -1, 0
	s_andn2_b64 vcc, exec, s[8:9]
	s_cbranch_vccnz .LBB976_3
.LBB976_2:
	s_mov_b32 s3, 0
	s_mov_b64 s[14:15], -1
.LBB976_3:
	s_andn2_b64 vcc, exec, s[14:15]
	s_cbranch_vccnz .LBB976_20
; %bb.4:
	s_load_dwordx2 s[8:9], s[0:1], 0x28
	s_lshl_b64 s[14:15], s[2:3], 2
	s_waitcnt lgkmcnt(0)
	s_add_u32 s8, s8, s14
	s_addc_u32 s9, s9, s15
	s_load_dword s7, s[8:9], 0x0
	s_lshl_b32 s18, s6, 8
	s_waitcnt lgkmcnt(0)
	s_cmp_ge_i32 s18, s7
	s_cbranch_scc1 .LBB976_20
; %bb.5:
	s_load_dwordx2 s[8:9], s[0:1], 0x20
	s_load_dword s5, s[0:1], 0x38
	s_add_i32 s16, s7, 15
	s_ashr_i32 s17, s16, 31
	v_and_b32_e32 v1, 0xcf, v0
	s_lshr_b32 s17, s17, 28
	v_add_u32_e32 v1, s18, v1
	s_add_i32 s16, s16, s17
	v_ashrrev_i32_e32 v2, 31, v1
	s_ashr_i32 s19, s16, 4
	v_lshrrev_b32_e32 v4, 28, v2
	s_add_i32 s19, s19, -1
	s_waitcnt lgkmcnt(0)
	s_mul_i32 s16, s2, s5
	s_mov_b32 s17, 0
	v_add_u32_e32 v2, v1, v4
	s_lshl_b64 s[16:17], s[16:17], 2
	v_ashrrev_i32_e32 v2, 4, v2
	v_mov_b32_e32 v5, s19
	v_cmp_gt_i32_e32 vcc, s7, v1
	s_add_u32 s8, s8, s16
	s_addc_u32 s9, s9, s17
	v_cndmask_b32_e32 v2, v5, v2, vcc
	v_ashrrev_i32_e32 v3, 31, v2
	v_lshl_add_u64 v[6:7], v[2:3], 2, s[8:9]
	v_or_b32_e32 v2, 16, v1
	v_add_u32_e32 v3, v2, v4
	v_ashrrev_i32_e32 v3, 4, v3
	v_cmp_gt_i32_e32 vcc, s7, v2
	s_load_dwordx2 s[16:17], s[0:1], 0x8
	s_nop 0
	v_cndmask_b32_e32 v2, v5, v3, vcc
	v_ashrrev_i32_e32 v3, 31, v2
	v_lshl_add_u64 v[8:9], v[2:3], 2, s[8:9]
	v_or_b32_e32 v2, 32, v1
	v_add_u32_e32 v3, v2, v4
	v_ashrrev_i32_e32 v3, 4, v3
	v_cmp_gt_i32_e32 vcc, s7, v2
	v_or_b32_e32 v1, 48, v1
	s_nop 0
	v_cndmask_b32_e32 v2, v5, v3, vcc
	v_ashrrev_i32_e32 v3, 31, v2
	v_lshl_add_u64 v[12:13], v[2:3], 2, s[8:9]
	v_add_u32_e32 v2, v1, v4
	v_ashrrev_i32_e32 v2, 4, v2
	v_cmp_gt_i32_e32 vcc, s7, v1
	s_nop 1
	v_cndmask_b32_e32 v2, v5, v2, vcc
	v_ashrrev_i32_e32 v3, 31, v2
	v_lshl_add_u64 v[14:15], v[2:3], 2, s[8:9]
	global_load_dword v4, v[6:7], off
	global_load_dword v3, v[8:9], off
	;; [unrolled: 1-line block ×4, first 2 shown]
	s_andn2_b64 vcc, exec, s[12:13]
	s_cbranch_vccnz .LBB976_8
; %bb.6:
	s_add_u32 s10, s10, s14
	s_addc_u32 s11, s11, s15
	s_load_dword s5, s[10:11], 0x0
	s_branch .LBB976_9
.LBB976_7:
	s_mov_b64 s[14:15], 0
	s_branch .LBB976_2
.LBB976_8:
	s_mov_b32 s5, s2
.LBB976_9:
	s_load_dwordx2 s[10:11], s[0:1], 0x10
	s_load_dwordx4 s[44:47], s[0:1], 0x48
	v_lshrrev_b32_e32 v57, 6, v0
	v_bfe_u32 v60, v0, 4, 2
	v_and_b32_e32 v56, 15, v0
	v_lshl_or_b32 v5, v57, 2, v60
	v_lshlrev_b32_e32 v1, 3, v56
	s_mul_i32 s48, s4, 9
	v_cmp_gt_u32_e32 vcc, 9, v5
	v_lshlrev_b32_e32 v54, 1, v1
	v_lshlrev_b32_e32 v1, 4, v0
	s_and_saveexec_b64 s[12:13], vcc
	s_cbranch_execz .LBB976_11
; %bb.10:
	s_load_dwordx2 s[14:15], s[0:1], 0x0
	s_waitcnt lgkmcnt(0)
	s_ashr_i32 s20, s44, 31
	s_mul_hi_u32 s21, s5, s44
	s_mul_i32 s20, s5, s20
	s_add_i32 s21, s21, s20
	s_mul_i32 s20, s5, s44
	s_lshl_b64 s[20:21], s[20:21], 1
	s_add_u32 s14, s14, s20
	v_add_lshl_u32 v6, v5, s48, 7
	s_addc_u32 s15, s15, s21
	v_ashrrev_i32_e32 v7, 31, v6
	v_lshl_add_u64 v[6:7], v[6:7], 1, s[14:15]
	v_mov_b32_e32 v55, 0
	v_lshl_add_u64 v[6:7], v[6:7], 0, v[54:55]
	global_load_dwordx4 v[6:9], v[6:7], off
	v_lshlrev_b32_e32 v12, 8, v0
	v_lshlrev_b32_e32 v11, 8, v56
	v_and_b32_e32 v12, 0x600, v12
	s_movk_i32 s5, 0x800
	v_and_or_b32 v11, v11, s5, v12
	v_lshlrev_b32_e32 v5, 5, v5
	v_and_b32_e32 v12, 16, v1
	v_or3_b32 v5, v11, v5, v12
	s_waitcnt vmcnt(0)
	ds_write_b128 v5, v[6:9]
.LBB976_11:
	s_or_b64 exec, exec, s[12:13]
	s_waitcnt lgkmcnt(0)
	s_mul_i32 s12, s4, s46
	s_add_u32 s4, s16, s12
	s_addc_u32 s5, s17, 0
	v_and_b32_e32 v58, 0xf0, v1
	v_mov_b32_e32 v59, 0
	v_and_b32_e32 v34, 48, v0
	v_lshl_add_u64 v[12:13], s[4:5], 0, v[58:59]
	v_lshlrev_b32_e32 v58, 4, v34
	s_waitcnt vmcnt(3)
	v_mad_i64_i32 v[4:5], s[4:5], v4, s45, v[12:13]
	v_lshl_add_u64 v[4:5], v[4:5], 0, v[58:59]
	s_barrier
	global_load_dwordx4 v[50:53], v[4:5], off
	global_load_dwordx4 v[46:49], v[4:5], off offset:1024
	s_waitcnt vmcnt(4)
	v_mad_i64_i32 v[4:5], s[4:5], v3, s45, v[12:13]
	s_waitcnt vmcnt(3)
	v_mad_i64_i32 v[2:3], s[4:5], v2, s45, v[12:13]
	v_lshl_add_u64 v[4:5], v[4:5], 0, v[58:59]
	v_lshl_add_u64 v[14:15], v[2:3], 0, v[58:59]
	s_waitcnt vmcnt(2)
	v_mad_i64_i32 v[10:11], s[4:5], v10, s45, v[12:13]
	global_load_dwordx4 v[36:39], v[4:5], off
	global_load_dwordx4 v[6:9], v[4:5], off offset:1024
	s_nop 0
	global_load_dwordx4 v[2:5], v[14:15], off
	global_load_dwordx4 v[42:45], v[14:15], off offset:1024
	v_lshl_add_u64 v[14:15], v[10:11], 0, v[58:59]
	global_load_dwordx4 v[26:29], v[14:15], off
	global_load_dwordx4 v[10:13], v[14:15], off offset:1024
	v_add_u32_e32 v14, -9, v56
	v_cmp_gt_u32_e32 vcc, 9, v56
	v_and_b32_e32 v55, 63, v0
	v_mov_b32_e32 v61, 0
	v_cndmask_b32_e32 v14, v14, v56, vcc
	v_lshlrev_b32_e32 v14, 5, v14
	v_lshl_add_u32 v14, v60, 9, v14
	ds_read_b128 v[30:33], v14
	ds_read_b128 v[22:25], v14 offset:16
	ds_read_b128 v[18:21], v14 offset:2048
	;; [unrolled: 1-line block ×3, first 2 shown]
	s_and_saveexec_b64 s[4:5], vcc
	s_cbranch_execz .LBB976_13
; %bb.12:
	s_load_dwordx2 s[14:15], s[0:1], 0x40
	v_add_u32_e32 v40, s48, v56
	v_ashrrev_i32_e32 v41, 31, v40
	s_waitcnt lgkmcnt(0)
	v_lshl_add_u64 v[40:41], v[40:41], 2, s[14:15]
	global_load_dword v61, v[40:41], off
.LBB976_13:
	s_or_b64 exec, exec, s[4:5]
	v_or_b32_e32 v58, s18, v34
	v_ashrrev_i32_e32 v34, 4, v58
	v_mov_b32_e32 v63, s19
	v_cmp_gt_i32_e32 vcc, s7, v58
	s_waitcnt vmcnt(7)
	v_cvt_pk_f32_fp8_e32 v[40:41], v50
	v_cvt_pk_f32_fp8_sdwa v[64:65], v50 src0_sel:WORD_1
	v_cndmask_b32_e32 v34, v63, v34, vcc
	v_ashrrev_i32_e32 v35, 31, v34
	v_lshl_add_u64 v[34:35], v[34:35], 2, s[8:9]
	global_load_dword v62, v[34:35], off
	v_or_b32_e32 v34, 64, v58
	v_ashrrev_i32_e32 v35, 4, v34
	v_cmp_gt_i32_e32 vcc, s7, v34
	v_or_b32_e32 v66, 0x80, v58
	v_ashrrev_i32_e32 v67, 4, v66
	v_cndmask_b32_e32 v34, v63, v35, vcc
	v_cmp_gt_i32_e32 vcc, s7, v66
	v_cvt_pkrtz_f16_f32 v40, v40, v41
	v_cvt_pkrtz_f16_f32 v41, v64, v65
	v_cndmask_b32_e32 v50, v63, v67, vcc
	v_cvt_pk_f32_fp8_e32 v[64:65], v51
	v_cvt_pk_f32_fp8_sdwa v[66:67], v51 src0_sel:WORD_1
	v_ashrrev_i32_e32 v51, 31, v50
	v_lshl_add_u64 v[68:69], v[50:51], 2, s[8:9]
	v_cvt_pkrtz_f16_f32 v50, v64, v65
	v_cvt_pkrtz_f16_f32 v51, v66, v67
	s_waitcnt lgkmcnt(3)
	v_mfma_f32_16x16x16_f16 v[64:67], v[40:41], v[30:31], 0
	v_cvt_pk_f32_fp8_e32 v[40:41], v52
	v_cvt_pk_f32_fp8_sdwa v[70:71], v52 src0_sel:WORD_1
	s_waitcnt vmcnt(7)
	v_cvt_pk_f32_fp8_e32 v[72:73], v46
	v_mfma_f32_16x16x16_f16 v[64:67], v[50:51], v[32:33], v[64:67]
	v_cvt_pk_f32_fp8_e32 v[50:51], v53
	v_cvt_pkrtz_f16_f32 v40, v40, v41
	v_cvt_pkrtz_f16_f32 v41, v70, v71
	v_cvt_pk_f32_fp8_sdwa v[52:53], v53 src0_sel:WORD_1
	v_cvt_pkrtz_f16_f32 v70, v50, v51
	v_cvt_pk_f32_fp8_sdwa v[74:75], v46 src0_sel:WORD_1
	v_ashrrev_i32_e32 v35, 31, v34
	v_cvt_pkrtz_f16_f32 v71, v52, v53
	s_waitcnt lgkmcnt(2)
	v_mfma_f32_16x16x16_f16 v[50:53], v[40:41], v[22:23], v[64:67]
	v_cvt_pkrtz_f16_f32 v40, v72, v73
	v_cvt_pkrtz_f16_f32 v41, v74, v75
	v_or_b32_e32 v58, 0xc0, v58
	v_cvt_pk_f32_fp8_e32 v[64:65], v47
	v_cvt_pk_f32_fp8_sdwa v[46:47], v47 src0_sel:WORD_1
	v_mfma_f32_16x16x16_f16 v[50:53], v[70:71], v[24:25], v[50:53]
	v_lshl_add_u64 v[34:35], v[34:35], 2, s[8:9]
	v_cvt_pkrtz_f16_f32 v64, v64, v65
	v_cvt_pkrtz_f16_f32 v65, v46, v47
	s_waitcnt lgkmcnt(1)
	v_mfma_f32_16x16x16_f16 v[50:53], v[40:41], v[18:19], v[50:53]
	v_ashrrev_i32_e32 v66, 4, v58
	v_cmp_gt_i32_e32 vcc, s7, v58
	v_cvt_pk_f32_fp8_e32 v[46:47], v48
	s_waitcnt vmcnt(6)
	v_cvt_pk_f32_fp8_sdwa v[70:71], v36 src0_sel:WORD_1
	v_cndmask_b32_e32 v40, v63, v66, vcc
	v_mfma_f32_16x16x16_f16 v[64:67], v[64:65], v[20:21], v[50:53]
	v_ashrrev_i32_e32 v41, 31, v40
	v_lshl_add_u64 v[40:41], v[40:41], 2, s[8:9]
	v_cvt_pkrtz_f16_f32 v46, v46, v47
	global_load_dword v53, v[34:35], off
	global_load_dword v63, v[40:41], off
	v_cvt_pk_f32_fp8_sdwa v[50:51], v48 src0_sel:WORD_1
	v_cvt_pk_f32_fp8_e32 v[34:35], v49
	v_cvt_pk_f32_fp8_sdwa v[48:49], v49 src0_sel:WORD_1
	s_add_u32 s46, s10, s12
	v_cvt_pkrtz_f16_f32 v47, v50, v51
	v_cvt_pkrtz_f16_f32 v34, v34, v35
	;; [unrolled: 1-line block ×3, first 2 shown]
	s_waitcnt lgkmcnt(0)
	v_mfma_f32_16x16x16_f16 v[46:49], v[46:47], v[14:15], v[64:67]
	v_cvt_pk_f32_fp8_e32 v[50:51], v36
	s_nop 1
	global_load_dword v64, v[68:69], off
	v_cvt_pk_f32_fp8_e32 v[66:67], v37
	s_waitcnt vmcnt(8)
	v_cvt_pk_f32_fp8_e32 v[68:69], v6
	v_cvt_pkrtz_f16_f32 v50, v50, v51
	v_cvt_pkrtz_f16_f32 v51, v70, v71
	v_cvt_pk_f32_fp8_sdwa v[70:71], v37 src0_sel:WORD_1
	v_cvt_pkrtz_f16_f32 v40, v66, v67
	v_mfma_f32_16x16x16_f16 v[34:37], v[34:35], v[16:17], v[46:49]
	v_cvt_pk_f32_fp8_sdwa v[66:67], v38 src0_sel:WORD_1
	v_cvt_pkrtz_f16_f32 v41, v70, v71
	v_cvt_pk_f32_fp8_sdwa v[70:71], v6 src0_sel:WORD_1
	v_mfma_f32_16x16x16_f16 v[46:49], v[50:51], v[30:31], 0
	v_cvt_pk_f32_fp8_e32 v[50:51], v38
	v_lshl_or_b32 v52, v57, 4, v56
	s_waitcnt vmcnt(6)
	v_cvt_pk_f32_fp8_e32 v[72:73], v43
	v_mfma_f32_16x16x16_f16 v[46:49], v[40:41], v[32:33], v[46:49]
	v_cvt_pk_f32_fp8_e32 v[40:41], v39
	v_cvt_pkrtz_f16_f32 v50, v50, v51
	v_cvt_pkrtz_f16_f32 v51, v66, v67
	v_cvt_pk_f32_fp8_sdwa v[38:39], v39 src0_sel:WORD_1
	v_cvt_pkrtz_f16_f32 v66, v40, v41
	s_addc_u32 s47, s11, 0
	v_lshlrev_b32_e32 v58, 4, v52
	v_cvt_pkrtz_f16_f32 v67, v38, v39
	v_mfma_f32_16x16x16_f16 v[38:41], v[50:51], v[22:23], v[46:49]
	v_cvt_pk_f32_fp8_sdwa v[50:51], v2 src0_sel:WORD_1
	s_nop 1
	v_cvt_pkrtz_f16_f32 v46, v68, v69
	v_cvt_pkrtz_f16_f32 v47, v70, v71
	v_cvt_pk_f32_fp8_e32 v[48:49], v7
	v_cvt_pk_f32_fp8_sdwa v[6:7], v7 src0_sel:WORD_1
	v_mfma_f32_16x16x16_f16 v[38:41], v[66:67], v[24:25], v[38:41]
	v_lshl_add_u64 v[70:71], s[46:47], 0, v[58:59]
	v_cvt_pkrtz_f16_f32 v48, v48, v49
	v_cvt_pkrtz_f16_f32 v49, v6, v7
	v_mfma_f32_16x16x16_f16 v[38:41], v[46:47], v[18:19], v[38:41]
	v_cvt_pk_f32_fp8_e32 v[6:7], v8
	v_cvt_pk_f32_fp8_sdwa v[46:47], v8 src0_sel:WORD_1
	v_or_b32_e32 v58, 0x400, v58
	v_mfma_f32_16x16x16_f16 v[38:41], v[48:49], v[20:21], v[38:41]
	v_cvt_pk_f32_fp8_e32 v[48:49], v9
	v_cvt_pkrtz_f16_f32 v6, v6, v7
	v_cvt_pkrtz_f16_f32 v7, v46, v47
	v_cvt_pk_f32_fp8_sdwa v[8:9], v9 src0_sel:WORD_1
	v_cvt_pkrtz_f16_f32 v46, v48, v49
	v_cvt_pk_f32_fp8_e32 v[48:49], v2
	v_cvt_pkrtz_f16_f32 v47, v8, v9
	v_mfma_f32_16x16x16_f16 v[6:9], v[6:7], v[14:15], v[38:41]
	v_cvt_pkrtz_f16_f32 v48, v48, v49
	v_cvt_pkrtz_f16_f32 v49, v50, v51
	v_cvt_pk_f32_fp8_e32 v[50:51], v3
	v_cvt_pk_f32_fp8_sdwa v[2:3], v3 src0_sel:WORD_1
	v_mfma_f32_16x16x16_f16 v[38:41], v[46:47], v[16:17], v[6:9]
	v_cvt_pkrtz_f16_f32 v46, v50, v51
	v_cvt_pkrtz_f16_f32 v47, v2, v3
	v_mfma_f32_16x16x16_f16 v[6:9], v[48:49], v[30:31], 0
	v_cvt_pk_f32_fp8_e32 v[2:3], v4
	v_cvt_pk_f32_fp8_sdwa v[48:49], v4 src0_sel:WORD_1
	s_waitcnt vmcnt(3)
	v_mad_i64_i32 v[50:51], s[4:5], v62, s45, v[70:71]
	v_cvt_pkrtz_f16_f32 v2, v2, v3
	v_cvt_pkrtz_f16_f32 v3, v48, v49
	v_mfma_f32_16x16x16_f16 v[6:9], v[46:47], v[32:33], v[6:9]
	v_cvt_pk_f32_fp8_e32 v[46:47], v5
	v_cvt_pk_f32_fp8_sdwa v[4:5], v5 src0_sel:WORD_1
	s_waitcnt vmcnt(2)
	v_mad_i64_i32 v[66:67], s[4:5], v53, s45, v[70:71]
	v_cvt_pkrtz_f16_f32 v46, v46, v47
	v_cvt_pkrtz_f16_f32 v47, v4, v5
	v_mfma_f32_16x16x16_f16 v[2:5], v[2:3], v[22:23], v[6:9]
	s_nop 2
	v_cvt_pk_f32_fp8_e32 v[6:7], v42
	v_cvt_pk_f32_fp8_sdwa v[8:9], v42 src0_sel:WORD_1
	v_cvt_pk_f32_fp8_sdwa v[42:43], v43 src0_sel:WORD_1
	v_mfma_f32_16x16x16_f16 v[46:49], v[46:47], v[24:25], v[2:5]
	v_cvt_pkrtz_f16_f32 v68, v6, v7
	v_cvt_pkrtz_f16_f32 v69, v8, v9
	global_load_dwordx4 v[6:9], v[50:51], off
	global_load_dwordx4 v[2:5], v[66:67], off
	v_cvt_pkrtz_f16_f32 v66, v72, v73
	v_cvt_pkrtz_f16_f32 v67, v42, v43
	v_mfma_f32_16x16x16_f16 v[48:51], v[68:69], v[18:19], v[46:49]
	v_cvt_pk_f32_fp8_e32 v[42:43], v44
	v_cvt_pk_f32_fp8_sdwa v[72:73], v44 src0_sel:WORD_1
	s_waitcnt vmcnt(2)
	v_mad_i64_i32 v[46:47], s[4:5], v64, s45, v[70:71]
	v_mfma_f32_16x16x16_f16 v[66:69], v[66:67], v[20:21], v[48:51]
	v_cvt_pkrtz_f16_f32 v42, v42, v43
	v_cvt_pkrtz_f16_f32 v43, v72, v73
	v_cvt_pk_f32_fp8_sdwa v[72:73], v26 src0_sel:WORD_1
	v_cvt_pk_f32_fp8_e32 v[50:51], v45
	v_cvt_pk_f32_fp8_sdwa v[44:45], v45 src0_sel:WORD_1
	v_mad_i64_i32 v[48:49], s[4:5], v63, s45, v[70:71]
	v_cvt_pkrtz_f16_f32 v50, v50, v51
	v_cvt_pkrtz_f16_f32 v51, v44, v45
	v_mfma_f32_16x16x16_f16 v[42:45], v[42:43], v[14:15], v[66:69]
	v_cvt_pk_f32_fp8_e32 v[70:71], v26
	s_load_dword s4, s[0:1], 0x1c
	s_load_dwordx4 s[40:43], s[0:1], 0x80
	s_load_dword s33, s[0:1], 0x98
	s_waitcnt lgkmcnt(0)
	s_load_dword s5, s[40:41], 0x0
	v_mfma_f32_16x16x16_f16 v[66:69], v[50:51], v[16:17], v[42:45]
	s_mov_b32 s40, 0xff7fffff
	s_nop 1
	v_cvt_pk_f32_fp8_e32 v[42:43], v27
	v_cvt_pkrtz_f16_f32 v44, v70, v71
	v_cvt_pkrtz_f16_f32 v45, v72, v73
	v_cvt_pk_f32_fp8_sdwa v[26:27], v27 src0_sel:WORD_1
	v_cvt_pkrtz_f16_f32 v50, v42, v43
	v_cvt_pk_f32_fp8_e32 v[70:71], v28
	v_cvt_pk_f32_fp8_sdwa v[72:73], v28 src0_sel:WORD_1
	v_cvt_pkrtz_f16_f32 v51, v26, v27
	v_mfma_f32_16x16x16_f16 v[42:45], v[44:45], v[30:31], 0
	v_cvt_pkrtz_f16_f32 v30, v70, v71
	v_cvt_pkrtz_f16_f32 v31, v72, v73
	v_cvt_pk_f32_fp8_e32 v[70:71], v29
	v_cvt_pk_f32_fp8_sdwa v[72:73], v29 src0_sel:WORD_1
	v_mfma_f32_16x16x16_f16 v[26:29], v[50:51], v[32:33], v[42:45]
	v_mov_b32_e32 v32, s4
	s_waitcnt lgkmcnt(0)
	v_mul_f32_e32 v50, s5, v32
	v_pk_mul_f32 v[32:33], v[50:51], v[34:35] op_sel_hi:[0,1]
	v_cvt_pkrtz_f16_f32 v42, v70, v71
	v_cvt_pkrtz_f16_f32 v43, v72, v73
	v_mfma_f32_16x16x16_f16 v[26:29], v[30:31], v[22:23], v[26:29]
	v_pk_mul_f32 v[30:31], v[50:51], v[36:37] op_sel_hi:[0,1]
	v_cvt_pk_f32_fp8_e32 v[22:23], v10
	v_cvt_pk_f32_fp8_sdwa v[70:71], v12 src0_sel:WORD_1
	v_mfma_f32_16x16x16_f16 v[34:37], v[42:43], v[24:25], v[26:29]
	v_cvt_pk_f32_fp8_sdwa v[24:25], v10 src0_sel:WORD_1
	v_cvt_pkrtz_f16_f32 v42, v22, v23
	v_pk_mul_f32 v[40:41], v[50:51], v[40:41] op_sel_hi:[0,1]
	v_cvt_pk_f32_fp8_e32 v[26:27], v11
	v_cvt_pk_f32_fp8_sdwa v[10:11], v11 src0_sel:WORD_1
	v_cvt_pkrtz_f16_f32 v43, v24, v25
	v_cvt_pkrtz_f16_f32 v44, v26, v27
	;; [unrolled: 1-line block ×3, first 2 shown]
	v_cvt_pk_f32_fp8_e32 v[10:11], v12
	v_mfma_f32_16x16x16_f16 v[34:37], v[42:43], v[18:19], v[34:37]
	global_load_dwordx4 v[26:29], v[46:47], off
	global_load_dwordx4 v[22:25], v[48:49], off
	v_cvt_pkrtz_f16_f32 v19, v70, v71
	v_cvt_pkrtz_f16_f32 v18, v10, v11
	v_cvt_pk_f32_fp8_e32 v[42:43], v13
	v_cvt_pk_f32_fp8_sdwa v[46:47], v13 src0_sel:WORD_1
	v_mfma_f32_16x16x16_f16 v[10:13], v[44:45], v[20:21], v[34:37]
	v_pk_mul_f32 v[44:45], v[50:51], v[38:39] op_sel_hi:[0,1]
	v_cvt_pkrtz_f16_f32 v20, v42, v43
	v_cvt_pkrtz_f16_f32 v21, v46, v47
	v_mfma_f32_16x16x16_f16 v[10:13], v[18:19], v[14:15], v[10:13]
	v_pk_mul_f32 v[38:39], v[50:51], v[68:69] op_sel_hi:[0,1]
	v_pk_mul_f32 v[42:43], v[50:51], v[66:67] op_sel_hi:[0,1]
	v_mfma_f32_16x16x16_f16 v[10:13], v[20:21], v[16:17], v[10:13]
	s_nop 6
	v_pk_mul_f32 v[36:37], v[50:51], v[10:11] op_sel_hi:[0,1]
	v_and_b32_e32 v10, 0xc0, v0
	v_add_u32_e32 v10, s18, v10
	v_lshl_or_b32 v10, v60, 2, v10
	v_or_b32_e32 v11, 1, v10
	v_pk_mul_f32 v[34:35], v[50:51], v[12:13] op_sel_hi:[0,1]
	v_subrev_u32_e32 v12, s7, v11
	v_add_u32_e32 v14, 1, v12
	v_add_u32_e32 v15, 2, v12
	v_cvt_f32_i32_e32 v13, v12
	v_cvt_f32_i32_e32 v14, v14
	;; [unrolled: 1-line block ×3, first 2 shown]
	v_add_u32_e32 v16, 3, v12
	v_fma_f32 v18, v61, v13, v32
	v_fmac_f32_e32 v33, v61, v14
	v_fma_f32 v48, v61, v15, v30
	v_add_u32_e32 v13, 16, v12
	v_add_u32_e32 v14, 17, v12
	;; [unrolled: 1-line block ×3, first 2 shown]
	v_cvt_f32_i32_e32 v16, v16
	v_cvt_f32_i32_e32 v13, v13
	;; [unrolled: 1-line block ×4, first 2 shown]
	v_fmac_f32_e32 v31, v61, v16
	v_add_u32_e32 v16, 19, v12
	v_fma_f32 v44, v61, v13, v44
	v_fmac_f32_e32 v45, v61, v14
	v_fma_f32 v40, v61, v15, v40
	v_add_u32_e32 v13, 32, v12
	v_add_u32_e32 v14, 33, v12
	;; [unrolled: 1-line block ×3, first 2 shown]
	v_cvt_f32_i32_e32 v16, v16
	v_cvt_f32_i32_e32 v13, v13
	;; [unrolled: 1-line block ×4, first 2 shown]
	v_fmac_f32_e32 v41, v61, v16
	v_add_u32_e32 v16, 35, v12
	v_fma_f32 v42, v61, v13, v42
	v_fmac_f32_e32 v43, v61, v14
	v_fma_f32 v38, v61, v15, v38
	v_add_u32_e32 v13, 48, v12
	v_add_u32_e32 v14, 49, v12
	;; [unrolled: 1-line block ×4, first 2 shown]
	v_cvt_f32_i32_e32 v12, v12
	v_cvt_f32_i32_e32 v13, v13
	;; [unrolled: 1-line block ×3, first 2 shown]
	v_cmp_gt_i32_e64 s[8:9], s7, v10
	v_fmac_f32_e32 v35, v61, v12
	v_mov_b32_e32 v12, 0xff7fffff
	v_cmp_gt_i32_e64 s[10:11], s7, v11
	v_fma_f32 v36, v61, v13, v36
	v_cndmask_b32_e64 v13, v12, v18, s[8:9]
	v_cndmask_b32_e64 v11, v12, v33, s[10:11]
	v_fmac_f32_e32 v37, v61, v14
	v_max3_f32 v11, v13, s40, v11
	v_or_b32_e32 v13, 2, v10
	v_or_b32_e32 v14, 3, v10
	v_cmp_gt_i32_e64 s[12:13], s7, v13
	v_cmp_gt_i32_e64 s[14:15], s7, v14
	v_cvt_f32_i32_e32 v16, v16
	v_cndmask_b32_e64 v13, v12, v48, s[12:13]
	v_cndmask_b32_e64 v14, v12, v31, s[14:15]
	v_max3_f32 v11, v11, v13, v14
	v_or_b32_e32 v13, 16, v10
	v_or_b32_e32 v14, 17, v10
	v_cmp_gt_i32_e64 s[16:17], s7, v13
	v_cmp_gt_i32_e64 s[18:19], s7, v14
	v_fmac_f32_e32 v39, v61, v16
	v_cndmask_b32_e64 v13, v12, v44, s[16:17]
	v_cndmask_b32_e64 v14, v12, v45, s[18:19]
	v_max3_f32 v11, v11, v13, v14
	v_or_b32_e32 v13, 18, v10
	v_or_b32_e32 v14, 19, v10
	v_cmp_gt_i32_e64 s[20:21], s7, v13
	v_cmp_gt_i32_e64 s[22:23], s7, v14
	v_cvt_f32_i32_e32 v15, v15
	v_cndmask_b32_e64 v13, v12, v40, s[20:21]
	v_cndmask_b32_e64 v14, v12, v41, s[22:23]
	v_max3_f32 v11, v11, v13, v14
	v_or_b32_e32 v13, 32, v10
	v_or_b32_e32 v14, 33, v10
	v_cmp_gt_i32_e64 s[24:25], s7, v13
	v_cmp_gt_i32_e64 s[26:27], s7, v14
	v_fma_f32 v34, v61, v15, v34
	v_cndmask_b32_e64 v13, v12, v42, s[24:25]
	v_cndmask_b32_e64 v14, v12, v43, s[26:27]
	v_max3_f32 v11, v11, v13, v14
	v_or_b32_e32 v13, 34, v10
	v_or_b32_e32 v14, 35, v10
	v_cmp_gt_i32_e64 s[28:29], s7, v13
	v_cmp_gt_i32_e64 s[30:31], s7, v14
	s_nop 0
	v_cndmask_b32_e64 v13, v12, v38, s[28:29]
	v_cndmask_b32_e64 v14, v12, v39, s[30:31]
	v_max3_f32 v11, v11, v13, v14
	v_or_b32_e32 v13, 48, v10
	v_or_b32_e32 v14, 49, v10
	v_cmp_gt_i32_e64 s[34:35], s7, v13
	v_cmp_gt_i32_e64 s[36:37], s7, v14
	s_nop 0
	v_cndmask_b32_e64 v13, v12, v36, s[34:35]
	v_cndmask_b32_e64 v14, v12, v37, s[36:37]
	v_max3_f32 v11, v11, v13, v14
	v_or_b32_e32 v13, 50, v10
	v_or_b32_e32 v10, 51, v10
	v_cmp_gt_i32_e32 vcc, s7, v13
	v_cmp_gt_i32_e64 s[4:5], s7, v10
	s_nop 0
	v_cndmask_b32_e32 v13, v12, v34, vcc
	v_cndmask_b32_e64 v10, v12, v35, s[4:5]
	v_max3_f32 v14, v11, v13, v10
	v_mbcnt_lo_u32_b32 v10, -1, 0
	v_mbcnt_hi_u32_b32 v15, -1, v10
	v_and_b32_e32 v10, 64, v15
	v_add_u32_e32 v16, 64, v10
	v_xor_b32_e32 v10, 32, v15
	v_cmp_lt_i32_e64 s[38:39], v10, v16
	s_nop 1
	v_cndmask_b32_e64 v10, v15, v10, s[38:39]
	v_lshlrev_b32_e32 v51, 2, v10
	ds_bpermute_b32 v17, v51, v14
	v_lshl_add_u64 v[10:11], s[46:47], 0, v[58:59]
	v_mad_i64_i32 v[12:13], s[38:39], v62, s45, v[10:11]
	s_waitcnt lgkmcnt(0)
	v_max_f32_e32 v17, v17, v17
	v_max_f32_e32 v19, v14, v17
	v_xor_b32_e32 v14, 16, v15
	v_cmp_lt_i32_e64 s[38:39], v14, v16
	s_nop 1
	v_cndmask_b32_e64 v14, v15, v14, s[38:39]
	v_lshlrev_b32_e32 v58, 2, v14
	ds_bpermute_b32 v20, v58, v19
	v_mad_i64_i32 v[14:15], s[38:39], v53, s45, v[10:11]
	v_mad_i64_i32 v[16:17], s[38:39], v64, s45, v[10:11]
	s_waitcnt lgkmcnt(0)
	v_max_f32_e32 v20, v20, v20
	v_max_f32_e32 v50, v19, v20
	v_sub_f32_e32 v18, v18, v50
	v_sub_f32_e32 v19, v33, v50
	v_mul_f32_e32 v18, 0x3fb8aa3b, v18
	v_mul_f32_e32 v19, 0x3fb8aa3b, v19
	v_exp_f32_e32 v18, v18
	v_exp_f32_e32 v19, v19
	v_sub_f32_e32 v49, v31, v50
	v_mad_i64_i32 v[10:11], s[38:39], v63, s45, v[10:11]
	v_cndmask_b32_e64 v46, 0, v18, s[8:9]
	v_cndmask_b32_e64 v47, 0, v19, s[10:11]
	global_load_dwordx4 v[30:33], v[12:13], off
	global_load_dwordx4 v[18:21], v[14:15], off
	v_sub_f32_e32 v12, v48, v50
	v_mul_f32_e32 v12, 0x3fb8aa3b, v12
	v_exp_f32_e32 v48, v12
	global_load_dwordx4 v[14:17], v[16:17], off
	s_nop 0
	global_load_dwordx4 v[10:13], v[10:11], off
	v_sub_f32_e32 v40, v40, v50
	v_sub_f32_e32 v42, v42, v50
	v_mul_f32_e32 v40, 0x3fb8aa3b, v40
	v_mul_f32_e32 v42, 0x3fb8aa3b, v42
	v_exp_f32_e32 v40, v40
	v_exp_f32_e32 v53, v42
	v_mul_f32_e32 v49, 0x3fb8aa3b, v49
	v_sub_f32_e32 v44, v44, v50
	v_exp_f32_e32 v49, v49
	v_mul_f32_e32 v44, 0x3fb8aa3b, v44
	v_sub_f32_e32 v45, v45, v50
	v_sub_f32_e32 v42, v43, v50
	v_exp_f32_e32 v44, v44
	v_mul_f32_e32 v45, 0x3fb8aa3b, v45
	v_mul_f32_e32 v42, 0x3fb8aa3b, v42
	v_exp_f32_e32 v45, v45
	v_sub_f32_e32 v41, v41, v50
	v_exp_f32_e32 v59, v42
	v_cndmask_b32_e64 v42, 0, v40, s[20:21]
	v_cndmask_b32_e64 v40, 0, v53, s[24:25]
	v_add_f32_e32 v53, 0, v46
	v_cndmask_b32_e64 v48, 0, v48, s[12:13]
	v_mul_f32_e32 v41, 0x3fb8aa3b, v41
	v_add_f32_e32 v53, v53, v47
	v_cndmask_b32_e64 v49, 0, v49, s[14:15]
	v_exp_f32_e32 v41, v41
	v_add_f32_e32 v53, v53, v48
	v_cndmask_b32_e64 v44, 0, v44, s[16:17]
	v_sub_f32_e32 v38, v38, v50
	v_add_f32_e32 v53, v53, v49
	v_cndmask_b32_e64 v45, 0, v45, s[18:19]
	v_sub_f32_e32 v39, v39, v50
	v_mul_f32_e32 v38, 0x3fb8aa3b, v38
	v_add_f32_e32 v53, v53, v44
	v_exp_f32_e32 v38, v38
	v_mul_f32_e32 v39, 0x3fb8aa3b, v39
	v_sub_f32_e32 v36, v36, v50
	v_add_f32_e32 v53, v53, v45
	v_cndmask_b32_e64 v43, 0, v41, s[22:23]
	v_exp_f32_e32 v39, v39
	v_mul_f32_e32 v36, 0x3fb8aa3b, v36
	v_sub_f32_e32 v37, v37, v50
	v_add_f32_e32 v53, v53, v42
	v_exp_f32_e32 v36, v36
	v_mul_f32_e32 v37, 0x3fb8aa3b, v37
	v_add_f32_e32 v53, v53, v43
	v_sub_f32_e32 v34, v34, v50
	v_cndmask_b32_e64 v41, 0, v59, s[26:27]
	v_exp_f32_e32 v37, v37
	v_add_f32_e32 v53, v53, v40
	v_mul_f32_e32 v34, 0x3fb8aa3b, v34
	v_sub_f32_e32 v35, v35, v50
	v_cndmask_b32_e64 v38, 0, v38, s[28:29]
	v_add_f32_e32 v53, v53, v41
	v_exp_f32_e32 v34, v34
	v_mul_f32_e32 v35, 0x3fb8aa3b, v35
	v_cndmask_b32_e64 v39, 0, v39, s[30:31]
	v_add_f32_e32 v53, v53, v38
	v_exp_f32_e32 v35, v35
	v_cndmask_b32_e64 v36, 0, v36, s[34:35]
	v_add_f32_e32 v53, v53, v39
	v_cndmask_b32_e64 v37, 0, v37, s[36:37]
	v_add_f32_e32 v53, v53, v36
	v_add_f32_e32 v53, v53, v37
	v_cndmask_b32_e32 v34, 0, v34, vcc
	v_add_f32_e32 v53, v53, v34
	v_cndmask_b32_e64 v35, 0, v35, s[4:5]
	v_add_f32_e32 v53, v53, v35
	ds_bpermute_b32 v51, v51, v53
	v_cmp_gt_u32_e64 s[4:5], 16, v55
	s_waitcnt lgkmcnt(0)
	s_barrier
	v_add_f32_e32 v51, v53, v51
	ds_bpermute_b32 v53, v58, v51
	s_and_saveexec_b64 s[8:9], s[4:5]
	s_cbranch_execz .LBB976_15
; %bb.14:
	s_waitcnt lgkmcnt(0)
	v_add_f32_e32 v51, v51, v53
	v_lshlrev_b32_e32 v52, 2, v52
	ds_write2st64_b32 v52, v50, v51 offset1:1
.LBB976_15:
	s_or_b64 exec, exec, s[8:9]
	v_lshlrev_b32_e32 v51, 2, v56
	s_load_dword s7, s[0:1], 0x94
	s_waitcnt lgkmcnt(0)
	s_barrier
	ds_read2_b32 v[52:53], v51 offset1:16
	ds_read2_b32 v[58:59], v51 offset0:32 offset1:48
	ds_read2_b32 v[62:63], v51 offset0:64 offset1:80
	s_mul_i32 s10, s33, 9
	s_waitcnt lgkmcnt(2)
	v_max3_f32 v50, v52, s40, v53
	s_waitcnt lgkmcnt(1)
	v_max3_f32 v50, v50, v58, v59
	v_sub_f32_e32 v52, v52, v50
	v_mul_f32_e32 v52, 0x3fb8aa3b, v52
	v_exp_f32_e32 v55, v52
	v_sub_f32_e32 v52, v53, v50
	v_mul_f32_e32 v52, 0x3fb8aa3b, v52
	v_exp_f32_e32 v61, v52
	v_sub_f32_e32 v52, v58, v50
	v_mul_f32_e32 v52, 0x3fb8aa3b, v52
	v_exp_f32_e32 v58, v52
	ds_read2_b32 v[52:53], v51 offset0:96 offset1:112
	v_sub_f32_e32 v51, v59, v50
	v_mul_f32_e32 v51, 0x3fb8aa3b, v51
	v_exp_f32_e32 v59, v51
	s_waitcnt lgkmcnt(1)
	v_fma_f32 v51, v55, v62, 0
	v_fmac_f32_e32 v51, v61, v63
	s_waitcnt lgkmcnt(0)
	v_fmac_f32_e32 v51, v58, v52
	v_fmac_f32_e32 v51, v59, v53
	v_add_f32_e32 v52, 0x358637bd, v51
	v_div_scale_f32 v53, s[8:9], v52, v52, 1.0
	v_rcp_f32_e32 v62, v53
	s_barrier
	v_fma_f32 v63, -v53, v62, 1.0
	v_fmac_f32_e32 v62, v63, v62
	v_div_scale_f32 v63, vcc, 1.0, v52, 1.0
	v_mul_f32_e32 v64, v63, v62
	v_fma_f32 v65, -v53, v64, v63
	v_fmac_f32_e32 v64, v65, v62
	v_fma_f32 v53, -v53, v64, v63
	v_div_fmas_f32 v53, v53, v62, v64
	v_cmp_eq_u32_e32 vcc, 1, v57
	v_div_fixup_f32 v52, v53, v52, 1.0
	s_nop 0
	v_cndmask_b32_e32 v53, v55, v61, vcc
	v_cmp_eq_u32_e32 vcc, 2, v57
	s_nop 1
	v_cndmask_b32_e32 v53, v53, v58, vcc
	v_cmp_eq_u32_e32 vcc, 3, v57
	s_nop 1
	v_cndmask_b32_e32 v53, v53, v59, vcc
	v_mul_f32_e32 v52, v53, v52
	v_pk_mul_f32 v[48:49], v[52:53], v[48:49] op_sel_hi:[0,1]
	v_pk_mul_f32 v[46:47], v[52:53], v[46:47] op_sel_hi:[0,1]
	v_cvt_f16_f32_e32 v53, v48
	v_cvt_f16_f32_e32 v49, v49
	v_cvt_f16_f32_e32 v46, v46
	v_cvt_f16_f32_e32 v47, v47
	v_pk_mul_f32 v[42:43], v[52:53], v[42:43] op_sel_hi:[0,1]
	v_pk_mul_f32 v[44:45], v[52:53], v[44:45] op_sel_hi:[0,1]
	v_pack_b32_f16 v49, v53, v49
	v_cvt_f16_f32_e32 v44, v44
	v_cvt_f16_f32_e32 v45, v45
	;; [unrolled: 1-line block ×4, first 2 shown]
	v_pack_b32_f16 v48, v46, v47
	v_lshlrev_b32_e32 v47, 3, v60
	v_lshlrev_b32_e32 v46, 5, v56
	v_lshlrev_b32_e32 v42, 11, v57
	v_or3_b32 v55, v42, v46, v47
	v_pack_b32_f16 v42, v44, v45
	v_pack_b32_f16 v43, v53, v43
	v_pk_mul_f32 v[38:39], v[52:53], v[38:39] op_sel_hi:[0,1]
	v_pk_mul_f32 v[40:41], v[52:53], v[40:41] op_sel_hi:[0,1]
	;; [unrolled: 1-line block ×4, first 2 shown]
	ds_write2st64_b64 v55, v[48:49], v[42:43] offset1:1
	v_cvt_f16_f32_e32 v40, v40
	v_cvt_f16_f32_e32 v41, v41
	;; [unrolled: 1-line block ×8, first 2 shown]
	v_pack_b32_f16 v34, v40, v41
	v_pack_b32_f16 v35, v38, v39
	;; [unrolled: 1-line block ×4, first 2 shown]
	v_cmp_gt_u32_e32 vcc, 9, v0
	ds_write2st64_b64 v55, v[34:35], v[36:37] offset0:2 offset1:3
	s_and_saveexec_b64 s[8:9], vcc
	s_cbranch_execz .LBB976_17
; %bb.16:
	s_mov_b32 s49, 0
	v_mov_b32_e32 v57, 0
	v_lshl_add_u64 v[34:35], s[48:49], 0, v[56:57]
	v_mov_b32_e32 v36, s10
	v_mad_u64_u32 v[34:35], s[16:17], s2, v36, v[34:35]
	s_mul_i32 s3, s3, s10
	v_mov_b32_e32 v36, s6
	v_mov_b32_e32 v37, v57
	s_load_dwordx4 s[12:15], s[0:1], 0x58
	v_add_u32_e32 v38, s3, v35
	v_mad_u64_u32 v[34:35], s[16:17], v34, s7, v[36:37]
	v_mov_b32_e32 v36, v35
	v_mad_u64_u32 v[36:37], s[16:17], v38, s7, v[36:37]
	v_mov_b32_e32 v35, v36
	v_lshlrev_b64 v[34:35], 2, v[34:35]
	s_waitcnt lgkmcnt(0)
	v_lshl_add_u64 v[36:37], s[14:15], 0, v[34:35]
	v_lshl_add_u64 v[34:35], s[12:13], 0, v[34:35]
	global_store_dword v[36:37], v50, off
	global_store_dword v[34:35], v51, off
.LBB976_17:
	s_or_b64 exec, exec, s[8:9]
	s_waitcnt vmcnt(7)
	v_cvt_pk_f32_fp8_e32 v[34:35], v6
	v_cvt_pk_f32_fp8_sdwa v[36:37], v6 src0_sel:WORD_1
	v_lshl_or_b32 v50, v60, 9, v46
	s_waitcnt lgkmcnt(0)
	s_barrier
	v_cvt_pk_f32_fp8_e32 v[38:39], v7
	v_cvt_pkrtz_f16_f32 v6, v34, v35
	v_cvt_pk_f32_fp8_sdwa v[40:41], v7 src0_sel:WORD_1
	v_cvt_pkrtz_f16_f32 v7, v36, v37
	ds_read_b128 v[34:37], v50
	v_cvt_pkrtz_f16_f32 v46, v38, v39
	v_cvt_pkrtz_f16_f32 v47, v40, v41
	ds_read_b128 v[38:41], v50 offset:16
	v_cvt_pk_f32_fp8_e32 v[48:49], v8
	v_cvt_pk_f32_fp8_sdwa v[52:53], v8 src0_sel:WORD_1
	s_waitcnt lgkmcnt(1)
	v_mfma_f32_16x16x16_f16 v[42:45], v[6:7], v[34:35], 0
	s_waitcnt vmcnt(6)
	v_cvt_pk_f32_fp8_e32 v[58:59], v4
	v_cvt_pkrtz_f16_f32 v6, v48, v49
	v_cvt_pkrtz_f16_f32 v7, v52, v53
	v_cvt_pk_f32_fp8_e32 v[48:49], v9
	v_mfma_f32_16x16x16_f16 v[42:45], v[46:47], v[36:37], v[42:45]
	v_cvt_pk_f32_fp8_sdwa v[46:47], v9 src0_sel:WORD_1
	v_cvt_pk_f32_fp8_sdwa v[62:63], v4 src0_sel:WORD_1
	v_cvt_pkrtz_f16_f32 v48, v48, v49
	s_waitcnt lgkmcnt(0)
	v_mfma_f32_16x16x16_f16 v[6:9], v[6:7], v[38:39], v[42:45]
	v_cvt_pkrtz_f16_f32 v49, v46, v47
	s_waitcnt vmcnt(5)
	v_cvt_pk_f32_fp8_sdwa v[66:67], v28 src0_sel:WORD_1
	s_waitcnt vmcnt(4)
	v_cvt_pk_f32_fp8_sdwa v[68:69], v24 src0_sel:WORD_1
	v_cvt_pk_f32_fp8_e32 v[42:43], v2
	v_mfma_f32_16x16x16_f16 v[46:49], v[48:49], v[40:41], v[6:9]
	s_waitcnt vmcnt(3)
	v_cvt_pk_f32_fp8_sdwa v[70:71], v32 src0_sel:WORD_1
	s_load_dword s8, s[42:43], 0x0
	v_cvt_pk_f32_fp8_sdwa v[6:7], v2 src0_sel:WORD_1
	v_cvt_pk_f32_fp8_e32 v[8:9], v3
	v_cvt_pkrtz_f16_f32 v2, v42, v43
	v_cvt_pk_f32_fp8_sdwa v[42:43], v3 src0_sel:WORD_1
	v_cvt_pkrtz_f16_f32 v3, v6, v7
	v_cvt_pkrtz_f16_f32 v52, v8, v9
	ds_read_b128 v[6:9], v50 offset:2048
	v_cvt_pkrtz_f16_f32 v53, v42, v43
	ds_read_b128 v[42:45], v50 offset:2064
	s_waitcnt lgkmcnt(0)
	v_mfma_f32_16x16x16_f16 v[46:49], v[2:3], v[6:7], v[46:49]
	v_cvt_pkrtz_f16_f32 v2, v58, v59
	v_cvt_pkrtz_f16_f32 v3, v62, v63
	v_cvt_pk_f32_fp8_e32 v[58:59], v5
	v_mfma_f32_16x16x16_f16 v[46:49], v[52:53], v[8:9], v[46:49]
	v_cvt_pk_f32_fp8_sdwa v[52:53], v5 src0_sel:WORD_1
	s_mov_b32 s3, 0
	v_cvt_pkrtz_f16_f32 v58, v58, v59
	v_mfma_f32_16x16x16_f16 v[2:5], v[2:3], v[42:43], v[46:49]
	v_cvt_pkrtz_f16_f32 v59, v52, v53
	v_cmp_gt_u32_e32 vcc, 64, v0
	s_nop 0
	v_cvt_pk_f32_fp8_e32 v[46:47], v26
	v_mfma_f32_16x16x16_f16 v[62:65], v[58:59], v[44:45], v[2:5]
	v_cvt_pk_f32_fp8_e32 v[58:59], v28
	s_nop 1
	v_cvt_pk_f32_fp8_sdwa v[2:3], v26 src0_sel:WORD_1
	v_cvt_pk_f32_fp8_e32 v[4:5], v27
	v_cvt_pkrtz_f16_f32 v26, v46, v47
	v_cvt_pk_f32_fp8_sdwa v[46:47], v27 src0_sel:WORD_1
	v_cvt_pkrtz_f16_f32 v27, v2, v3
	v_cvt_pkrtz_f16_f32 v52, v4, v5
	ds_read_b128 v[2:5], v50 offset:4096
	v_cvt_pkrtz_f16_f32 v53, v46, v47
	ds_read_b128 v[46:49], v50 offset:4112
	s_waitcnt lgkmcnt(1)
	v_mfma_f32_16x16x16_f16 v[62:65], v[26:27], v[2:3], v[62:65]
	v_cvt_pkrtz_f16_f32 v26, v58, v59
	v_cvt_pkrtz_f16_f32 v27, v66, v67
	v_cvt_pk_f32_fp8_e32 v[58:59], v29
	v_mfma_f32_16x16x16_f16 v[62:65], v[52:53], v[4:5], v[62:65]
	v_cvt_pk_f32_fp8_sdwa v[52:53], v29 src0_sel:WORD_1
	v_cvt_pk_f32_fp8_e32 v[66:67], v24
	v_cvt_pkrtz_f16_f32 v58, v58, v59
	s_waitcnt lgkmcnt(0)
	v_mfma_f32_16x16x16_f16 v[26:29], v[26:27], v[46:47], v[62:65]
	v_cvt_pkrtz_f16_f32 v59, v52, v53
	v_cvt_pk_f32_fp8_e32 v[52:53], v22
	s_nop 0
	v_mfma_f32_16x16x16_f16 v[62:65], v[58:59], v[48:49], v[26:29]
	s_nop 2
	v_cvt_pk_f32_fp8_sdwa v[26:27], v22 src0_sel:WORD_1
	v_cvt_pk_f32_fp8_e32 v[28:29], v23
	v_cvt_pkrtz_f16_f32 v22, v52, v53
	v_cvt_pk_f32_fp8_sdwa v[52:53], v23 src0_sel:WORD_1
	v_cvt_pkrtz_f16_f32 v23, v26, v27
	v_cvt_pkrtz_f16_f32 v58, v28, v29
	ds_read_b128 v[26:29], v50 offset:6144
	v_cvt_pkrtz_f16_f32 v59, v52, v53
	s_waitcnt lgkmcnt(0)
	v_mfma_f32_16x16x16_f16 v[62:65], v[22:23], v[26:27], v[62:65]
	ds_read_b128 v[50:53], v50 offset:6160
	v_cvt_pkrtz_f16_f32 v22, v66, v67
	v_cvt_pkrtz_f16_f32 v23, v68, v69
	v_cvt_pk_f32_fp8_e32 v[66:67], v25
	v_mfma_f32_16x16x16_f16 v[62:65], v[58:59], v[28:29], v[62:65]
	v_cvt_pk_f32_fp8_sdwa v[58:59], v25 src0_sel:WORD_1
	v_cvt_pk_f32_fp8_e32 v[68:69], v32
	v_cvt_pkrtz_f16_f32 v66, v66, v67
	s_waitcnt lgkmcnt(0)
	v_mfma_f32_16x16x16_f16 v[22:25], v[22:23], v[50:51], v[62:65]
	v_cvt_pkrtz_f16_f32 v67, v58, v59
	v_cvt_pk_f32_fp8_e32 v[58:59], v30
	s_nop 0
	v_cvt_pk_f32_fp8_sdwa v[62:63], v30 src0_sel:WORD_1
	v_cvt_pk_f32_fp8_e32 v[64:65], v31
	v_cvt_pkrtz_f16_f32 v58, v58, v59
	v_cvt_pk_f32_fp8_sdwa v[30:31], v31 src0_sel:WORD_1
	v_cvt_pkrtz_f16_f32 v59, v62, v63
	v_mfma_f32_16x16x16_f16 v[22:25], v[66:67], v[52:53], v[22:25]
	v_cvt_pkrtz_f16_f32 v66, v64, v65
	v_cvt_pkrtz_f16_f32 v67, v30, v31
	;; [unrolled: 1-line block ×3, first 2 shown]
	v_mfma_f32_16x16x16_f16 v[62:65], v[58:59], v[34:35], 0
	v_cvt_pkrtz_f16_f32 v31, v70, v71
	v_cvt_pk_f32_fp8_e32 v[58:59], v33
	s_barrier
	v_mfma_f32_16x16x16_f16 v[34:37], v[66:67], v[36:37], v[62:65]
	v_cvt_pkrtz_f16_f32 v58, v58, v59
	s_nop 1
	v_cvt_pk_f32_fp8_sdwa v[62:63], v33 src0_sel:WORD_1
	v_mfma_f32_16x16x16_f16 v[30:33], v[30:31], v[38:39], v[34:37]
	s_waitcnt vmcnt(2)
	v_cvt_pk_f32_fp8_e32 v[38:39], v19
	v_cvt_pkrtz_f16_f32 v59, v62, v63
	v_cvt_pk_f32_fp8_e32 v[34:35], v18
	v_cvt_pk_f32_fp8_sdwa v[36:37], v18 src0_sel:WORD_1
	v_cvt_pk_f32_fp8_sdwa v[18:19], v19 src0_sel:WORD_1
	v_mfma_f32_16x16x16_f16 v[30:33], v[58:59], v[40:41], v[30:33]
	v_cvt_pkrtz_f16_f32 v34, v34, v35
	v_cvt_pkrtz_f16_f32 v35, v36, v37
	;; [unrolled: 1-line block ×3, first 2 shown]
	v_cvt_pk_f32_fp8_e32 v[38:39], v20
	v_cvt_pk_f32_fp8_sdwa v[40:41], v20 src0_sel:WORD_1
	v_cvt_pkrtz_f16_f32 v37, v18, v19
	v_mfma_f32_16x16x16_f16 v[30:33], v[34:35], v[6:7], v[30:33]
	v_cvt_pkrtz_f16_f32 v18, v38, v39
	v_cvt_pkrtz_f16_f32 v19, v40, v41
	v_cvt_pk_f32_fp8_e32 v[34:35], v21
	v_cvt_pk_f32_fp8_sdwa v[20:21], v21 src0_sel:WORD_1
	v_mfma_f32_16x16x16_f16 v[6:9], v[36:37], v[8:9], v[30:33]
	s_nop 2
	v_cvt_pkrtz_f16_f32 v30, v34, v35
	v_cvt_pkrtz_f16_f32 v31, v20, v21
	v_mfma_f32_16x16x16_f16 v[6:9], v[18:19], v[42:43], v[6:9]
	s_waitcnt vmcnt(1)
	v_cvt_pk_f32_fp8_e32 v[18:19], v14
	v_cvt_pk_f32_fp8_sdwa v[20:21], v14 src0_sel:WORD_1
	v_cvt_pk_f32_fp8_sdwa v[32:33], v16 src0_sel:WORD_1
	v_mfma_f32_16x16x16_f16 v[6:9], v[30:31], v[44:45], v[6:9]
	v_cvt_pk_f32_fp8_e32 v[30:31], v15
	v_cvt_pkrtz_f16_f32 v18, v18, v19
	v_cvt_pkrtz_f16_f32 v19, v20, v21
	v_cvt_pk_f32_fp8_sdwa v[14:15], v15 src0_sel:WORD_1
	v_cvt_pkrtz_f16_f32 v20, v30, v31
	v_cvt_pk_f32_fp8_e32 v[30:31], v16
	v_mfma_f32_16x16x16_f16 v[6:9], v[18:19], v[2:3], v[6:9]
	v_cvt_pkrtz_f16_f32 v21, v14, v15
	v_cvt_pkrtz_f16_f32 v14, v30, v31
	;; [unrolled: 1-line block ×3, first 2 shown]
	v_cvt_pk_f32_fp8_e32 v[18:19], v17
	v_cvt_pk_f32_fp8_sdwa v[16:17], v17 src0_sel:WORD_1
	v_mfma_f32_16x16x16_f16 v[2:5], v[20:21], v[4:5], v[6:9]
	s_waitcnt vmcnt(0)
	v_cvt_pk_f32_fp8_sdwa v[20:21], v12 src0_sel:WORD_1
	s_nop 0
	v_cvt_pkrtz_f16_f32 v8, v18, v19
	v_cvt_pkrtz_f16_f32 v9, v16, v17
	v_mfma_f32_16x16x16_f16 v[2:5], v[14:15], v[46:47], v[2:5]
	v_cvt_pk_f32_fp8_e32 v[16:17], v10
	v_cvt_pk_f32_fp8_sdwa v[18:19], v10 src0_sel:WORD_1
	v_pk_mul_f32 v[6:7], v[24:25], s[8:9] op_sel_hi:[1,0]
	v_mfma_f32_16x16x16_f16 v[2:5], v[8:9], v[48:49], v[2:5]
	v_cvt_pk_f32_fp8_e32 v[8:9], v11
	v_cvt_pkrtz_f16_f32 v16, v16, v17
	v_cvt_pkrtz_f16_f32 v17, v18, v19
	v_cvt_pk_f32_fp8_sdwa v[10:11], v11 src0_sel:WORD_1
	v_cvt_pkrtz_f16_f32 v8, v8, v9
	v_cvt_pk_f32_fp8_e32 v[18:19], v12
	v_mfma_f32_16x16x16_f16 v[2:5], v[16:17], v[26:27], v[2:5]
	v_cvt_pkrtz_f16_f32 v9, v10, v11
	v_cvt_pkrtz_f16_f32 v10, v18, v19
	;; [unrolled: 1-line block ×3, first 2 shown]
	v_cvt_pk_f32_fp8_e32 v[16:17], v13
	v_cvt_pk_f32_fp8_sdwa v[12:13], v13 src0_sel:WORD_1
	v_mfma_f32_16x16x16_f16 v[2:5], v[8:9], v[28:29], v[2:5]
	v_pk_mul_f32 v[14:15], v[22:23], s[8:9] op_sel_hi:[1,0]
	v_cvt_pkrtz_f16_f32 v8, v16, v17
	v_cvt_pkrtz_f16_f32 v9, v12, v13
	v_mfma_f32_16x16x16_f16 v[2:5], v[10:11], v[50:51], v[2:5]
	v_cvt_f16_f32_e32 v14, v14
	v_cvt_f16_f32_e32 v10, v15
	;; [unrolled: 1-line block ×3, first 2 shown]
	v_mfma_f32_16x16x16_f16 v[2:5], v[8:9], v[52:53], v[2:5]
	v_cvt_f16_f32_e32 v7, v7
	s_nop 5
	v_pk_mul_f32 v[4:5], v[4:5], s[8:9] op_sel_hi:[1,0]
	v_pk_mul_f32 v[2:3], v[2:3], s[8:9] op_sel_hi:[1,0]
	v_cvt_f16_f32_e32 v11, v4
	v_cvt_f16_f32_e32 v8, v2
	;; [unrolled: 1-line block ×4, first 2 shown]
	v_pack_b32_f16 v2, v14, v10
	v_pack_b32_f16 v3, v6, v7
	;; [unrolled: 1-line block ×4, first 2 shown]
	ds_write2st64_b64 v55, v[2:3], v[4:5] offset1:1
	s_waitcnt lgkmcnt(0)
	s_barrier
	s_and_saveexec_b64 s[8:9], vcc
	s_cbranch_execz .LBB976_20
; %bb.18:
	s_load_dwordx2 s[8:9], s[0:1], 0x68
	s_lshl_b32 s0, s7, 7
	s_mul_i32 s1, s10, s2
	v_lshlrev_b32_e32 v3, 6, v56
	s_mul_hi_u32 s11, s1, s0
	s_mul_i32 s10, s1, s0
	v_lshl_or_b32 v0, v0, 10, v3
	s_lshl_b64 s[10:11], s[10:11], 1
	v_lshlrev_b32_e32 v2, 5, v60
	v_and_b32_e32 v1, 16, v1
	v_and_b32_e32 v0, 0x1a00, v0
	s_waitcnt lgkmcnt(0)
	s_add_u32 s1, s8, s10
	v_or3_b32 v2, v0, v2, v1
	s_addc_u32 s7, s9, s11
	s_lshl_b32 s2, s6, 7
	s_lshl_b64 s[2:3], s[2:3], 1
	ds_read_b128 v[4:7], v2 offset:128
	ds_read_b128 v[8:11], v2
	s_add_u32 s2, s1, s2
	s_addc_u32 s3, s7, s3
	v_mov_b32_e32 v55, 0
	v_add_u32_e32 v3, s48, v60
	v_lshl_add_u64 v[0:1], s[2:3], 0, v[54:55]
	v_mad_u64_u32 v[12:13], s[2:3], v3, s0, 0
	v_lshl_add_u64 v[12:13], v[12:13], 1, v[0:1]
	v_add_u32_e32 v3, 4, v3
	s_waitcnt lgkmcnt(0)
	global_store_dwordx4 v[12:13], v[8:11], off
	s_nop 1
	v_mad_u64_u32 v[8:9], s[2:3], v3, s0, 0
	v_lshl_add_u64 v[8:9], v[8:9], 1, v[0:1]
	global_store_dwordx4 v[8:9], v[4:7], off
	s_and_b64 exec, exec, s[4:5]
	s_cbranch_execz .LBB976_20
; %bb.19:
	ds_read_b128 v[2:5], v2 offset:256
	v_add3_u32 v6, s48, v60, 8
	v_mad_u64_u32 v[6:7], s[0:1], v6, s0, 0
	v_lshl_add_u64 v[0:1], v[6:7], 1, v[0:1]
	s_waitcnt lgkmcnt(0)
	global_store_dwordx4 v[0:1], v[2:5], off
.LBB976_20:
	s_endpgm
	.section	.rodata,"a",@progbits
	.p2align	6, 0x0
	.amdhsa_kernel _Z39paged_attention_ll4mi_QKV_mfma16_kernelIDF16_hLN4vllm18Fp8KVCacheDataTypeE1EDF16_Li16ELi128ELi256ELb1ELi9EEvPKT_PKT0_S7_ifPKiS9_S9_iPKfiiiPfSC_PS2_PT2_iSB_SB_
		.amdhsa_group_segment_fixed_size 8192
		.amdhsa_private_segment_fixed_size 0
		.amdhsa_kernarg_size 400
		.amdhsa_user_sgpr_count 2
		.amdhsa_user_sgpr_dispatch_ptr 0
		.amdhsa_user_sgpr_queue_ptr 0
		.amdhsa_user_sgpr_kernarg_segment_ptr 1
		.amdhsa_user_sgpr_dispatch_id 0
		.amdhsa_user_sgpr_kernarg_preload_length 0
		.amdhsa_user_sgpr_kernarg_preload_offset 0
		.amdhsa_user_sgpr_private_segment_size 0
		.amdhsa_uses_dynamic_stack 0
		.amdhsa_enable_private_segment 0
		.amdhsa_system_sgpr_workgroup_id_x 1
		.amdhsa_system_sgpr_workgroup_id_y 1
		.amdhsa_system_sgpr_workgroup_id_z 1
		.amdhsa_system_sgpr_workgroup_info 0
		.amdhsa_system_vgpr_workitem_id 0
		.amdhsa_next_free_vgpr 76
		.amdhsa_next_free_sgpr 50
		.amdhsa_accum_offset 76
		.amdhsa_reserve_vcc 1
		.amdhsa_float_round_mode_32 0
		.amdhsa_float_round_mode_16_64 0
		.amdhsa_float_denorm_mode_32 3
		.amdhsa_float_denorm_mode_16_64 3
		.amdhsa_dx10_clamp 1
		.amdhsa_ieee_mode 1
		.amdhsa_fp16_overflow 0
		.amdhsa_tg_split 0
		.amdhsa_exception_fp_ieee_invalid_op 0
		.amdhsa_exception_fp_denorm_src 0
		.amdhsa_exception_fp_ieee_div_zero 0
		.amdhsa_exception_fp_ieee_overflow 0
		.amdhsa_exception_fp_ieee_underflow 0
		.amdhsa_exception_fp_ieee_inexact 0
		.amdhsa_exception_int_div_zero 0
	.end_amdhsa_kernel
	.section	.text._Z39paged_attention_ll4mi_QKV_mfma16_kernelIDF16_hLN4vllm18Fp8KVCacheDataTypeE1EDF16_Li16ELi128ELi256ELb1ELi9EEvPKT_PKT0_S7_ifPKiS9_S9_iPKfiiiPfSC_PS2_PT2_iSB_SB_,"axG",@progbits,_Z39paged_attention_ll4mi_QKV_mfma16_kernelIDF16_hLN4vllm18Fp8KVCacheDataTypeE1EDF16_Li16ELi128ELi256ELb1ELi9EEvPKT_PKT0_S7_ifPKiS9_S9_iPKfiiiPfSC_PS2_PT2_iSB_SB_,comdat
.Lfunc_end976:
	.size	_Z39paged_attention_ll4mi_QKV_mfma16_kernelIDF16_hLN4vllm18Fp8KVCacheDataTypeE1EDF16_Li16ELi128ELi256ELb1ELi9EEvPKT_PKT0_S7_ifPKiS9_S9_iPKfiiiPfSC_PS2_PT2_iSB_SB_, .Lfunc_end976-_Z39paged_attention_ll4mi_QKV_mfma16_kernelIDF16_hLN4vllm18Fp8KVCacheDataTypeE1EDF16_Li16ELi128ELi256ELb1ELi9EEvPKT_PKT0_S7_ifPKiS9_S9_iPKfiiiPfSC_PS2_PT2_iSB_SB_
                                        ; -- End function
	.section	.AMDGPU.csdata,"",@progbits
; Kernel info:
; codeLenInByte = 6308
; NumSgprs: 56
; NumVgprs: 76
; NumAgprs: 0
; TotalNumVgprs: 76
; ScratchSize: 0
; MemoryBound: 0
; FloatMode: 240
; IeeeMode: 1
; LDSByteSize: 8192 bytes/workgroup (compile time only)
; SGPRBlocks: 6
; VGPRBlocks: 9
; NumSGPRsForWavesPerEU: 56
; NumVGPRsForWavesPerEU: 76
; AccumOffset: 76
; Occupancy: 6
; WaveLimiterHint : 1
; COMPUTE_PGM_RSRC2:SCRATCH_EN: 0
; COMPUTE_PGM_RSRC2:USER_SGPR: 2
; COMPUTE_PGM_RSRC2:TRAP_HANDLER: 0
; COMPUTE_PGM_RSRC2:TGID_X_EN: 1
; COMPUTE_PGM_RSRC2:TGID_Y_EN: 1
; COMPUTE_PGM_RSRC2:TGID_Z_EN: 1
; COMPUTE_PGM_RSRC2:TIDIG_COMP_CNT: 0
; COMPUTE_PGM_RSRC3_GFX90A:ACCUM_OFFSET: 18
; COMPUTE_PGM_RSRC3_GFX90A:TG_SPLIT: 0
	.section	.text._Z39paged_attention_ll4mi_QKV_mfma16_kernelIDF16_hLN4vllm18Fp8KVCacheDataTypeE1EDF16_Li16ELi128ELi256ELb1ELi10EEvPKT_PKT0_S7_ifPKiS9_S9_iPKfiiiPfSC_PS2_PT2_iSB_SB_,"axG",@progbits,_Z39paged_attention_ll4mi_QKV_mfma16_kernelIDF16_hLN4vllm18Fp8KVCacheDataTypeE1EDF16_Li16ELi128ELi256ELb1ELi10EEvPKT_PKT0_S7_ifPKiS9_S9_iPKfiiiPfSC_PS2_PT2_iSB_SB_,comdat
	.protected	_Z39paged_attention_ll4mi_QKV_mfma16_kernelIDF16_hLN4vllm18Fp8KVCacheDataTypeE1EDF16_Li16ELi128ELi256ELb1ELi10EEvPKT_PKT0_S7_ifPKiS9_S9_iPKfiiiPfSC_PS2_PT2_iSB_SB_ ; -- Begin function _Z39paged_attention_ll4mi_QKV_mfma16_kernelIDF16_hLN4vllm18Fp8KVCacheDataTypeE1EDF16_Li16ELi128ELi256ELb1ELi10EEvPKT_PKT0_S7_ifPKiS9_S9_iPKfiiiPfSC_PS2_PT2_iSB_SB_
	.globl	_Z39paged_attention_ll4mi_QKV_mfma16_kernelIDF16_hLN4vllm18Fp8KVCacheDataTypeE1EDF16_Li16ELi128ELi256ELb1ELi10EEvPKT_PKT0_S7_ifPKiS9_S9_iPKfiiiPfSC_PS2_PT2_iSB_SB_
	.p2align	8
	.type	_Z39paged_attention_ll4mi_QKV_mfma16_kernelIDF16_hLN4vllm18Fp8KVCacheDataTypeE1EDF16_Li16ELi128ELi256ELb1ELi10EEvPKT_PKT0_S7_ifPKiS9_S9_iPKfiiiPfSC_PS2_PT2_iSB_SB_,@function
_Z39paged_attention_ll4mi_QKV_mfma16_kernelIDF16_hLN4vllm18Fp8KVCacheDataTypeE1EDF16_Li16ELi128ELi256ELb1ELi10EEvPKT_PKT0_S7_ifPKiS9_S9_iPKfiiiPfSC_PS2_PT2_iSB_SB_: ; @_Z39paged_attention_ll4mi_QKV_mfma16_kernelIDF16_hLN4vllm18Fp8KVCacheDataTypeE1EDF16_Li16ELi128ELi256ELb1ELi10EEvPKT_PKT0_S7_ifPKiS9_S9_iPKfiiiPfSC_PS2_PT2_iSB_SB_
; %bb.0:
	s_load_dwordx2 s[10:11], s[0:1], 0x30
	s_mov_b32 s6, s3
	s_mov_b64 s[8:9], 0
	s_waitcnt lgkmcnt(0)
	s_cmp_lg_u64 s[10:11], 0
	s_cselect_b64 s[12:13], -1, 0
	s_and_b64 vcc, exec, s[12:13]
	s_cbranch_vccz .LBB977_7
; %bb.1:
	s_add_i32 s14, s2, 1
	s_mov_b32 s15, 0
	s_lshl_b64 s[16:17], s[14:15], 2
	s_add_u32 s16, s10, s16
	s_mov_b32 s3, s15
	s_addc_u32 s17, s11, s17
	s_lshl_b64 s[14:15], s[2:3], 2
	s_add_u32 s14, s10, s14
	s_addc_u32 s15, s11, s15
	s_load_dword s5, s[16:17], 0x0
	s_load_dword s7, s[14:15], 0x0
	s_waitcnt lgkmcnt(0)
	s_sub_i32 s5, s5, s7
	s_cmp_eq_u32 s5, 1
	s_cselect_b64 s[14:15], -1, 0
	s_andn2_b64 vcc, exec, s[8:9]
	s_cbranch_vccnz .LBB977_3
.LBB977_2:
	s_mov_b32 s3, 0
	s_mov_b64 s[14:15], -1
.LBB977_3:
	s_andn2_b64 vcc, exec, s[14:15]
	s_cbranch_vccnz .LBB977_20
; %bb.4:
	s_load_dwordx2 s[8:9], s[0:1], 0x28
	s_lshl_b64 s[14:15], s[2:3], 2
	s_waitcnt lgkmcnt(0)
	s_add_u32 s8, s8, s14
	s_addc_u32 s9, s9, s15
	s_load_dword s7, s[8:9], 0x0
	s_lshl_b32 s18, s6, 8
	s_waitcnt lgkmcnt(0)
	s_cmp_ge_i32 s18, s7
	s_cbranch_scc1 .LBB977_20
; %bb.5:
	s_load_dwordx2 s[8:9], s[0:1], 0x20
	s_load_dword s5, s[0:1], 0x38
	s_add_i32 s16, s7, 15
	s_ashr_i32 s17, s16, 31
	v_and_b32_e32 v1, 0xcf, v0
	s_lshr_b32 s17, s17, 28
	v_add_u32_e32 v1, s18, v1
	s_add_i32 s16, s16, s17
	v_ashrrev_i32_e32 v2, 31, v1
	s_ashr_i32 s19, s16, 4
	v_lshrrev_b32_e32 v4, 28, v2
	s_add_i32 s19, s19, -1
	s_waitcnt lgkmcnt(0)
	s_mul_i32 s16, s2, s5
	s_mov_b32 s17, 0
	v_add_u32_e32 v2, v1, v4
	s_lshl_b64 s[16:17], s[16:17], 2
	v_ashrrev_i32_e32 v2, 4, v2
	v_mov_b32_e32 v5, s19
	v_cmp_gt_i32_e32 vcc, s7, v1
	s_add_u32 s8, s8, s16
	s_addc_u32 s9, s9, s17
	v_cndmask_b32_e32 v2, v5, v2, vcc
	v_ashrrev_i32_e32 v3, 31, v2
	v_lshl_add_u64 v[6:7], v[2:3], 2, s[8:9]
	v_or_b32_e32 v2, 16, v1
	v_add_u32_e32 v3, v2, v4
	v_ashrrev_i32_e32 v3, 4, v3
	v_cmp_gt_i32_e32 vcc, s7, v2
	s_load_dwordx2 s[16:17], s[0:1], 0x8
	s_nop 0
	v_cndmask_b32_e32 v2, v5, v3, vcc
	v_ashrrev_i32_e32 v3, 31, v2
	v_lshl_add_u64 v[8:9], v[2:3], 2, s[8:9]
	v_or_b32_e32 v2, 32, v1
	v_add_u32_e32 v3, v2, v4
	v_ashrrev_i32_e32 v3, 4, v3
	v_cmp_gt_i32_e32 vcc, s7, v2
	v_or_b32_e32 v1, 48, v1
	s_nop 0
	v_cndmask_b32_e32 v2, v5, v3, vcc
	v_ashrrev_i32_e32 v3, 31, v2
	v_lshl_add_u64 v[12:13], v[2:3], 2, s[8:9]
	v_add_u32_e32 v2, v1, v4
	v_ashrrev_i32_e32 v2, 4, v2
	v_cmp_gt_i32_e32 vcc, s7, v1
	s_nop 1
	v_cndmask_b32_e32 v2, v5, v2, vcc
	v_ashrrev_i32_e32 v3, 31, v2
	v_lshl_add_u64 v[14:15], v[2:3], 2, s[8:9]
	global_load_dword v4, v[6:7], off
	global_load_dword v3, v[8:9], off
	;; [unrolled: 1-line block ×4, first 2 shown]
	s_andn2_b64 vcc, exec, s[12:13]
	s_cbranch_vccnz .LBB977_8
; %bb.6:
	s_add_u32 s10, s10, s14
	s_addc_u32 s11, s11, s15
	s_load_dword s5, s[10:11], 0x0
	s_branch .LBB977_9
.LBB977_7:
	s_mov_b64 s[14:15], 0
	s_branch .LBB977_2
.LBB977_8:
	s_mov_b32 s5, s2
.LBB977_9:
	s_load_dwordx2 s[10:11], s[0:1], 0x10
	s_load_dwordx4 s[44:47], s[0:1], 0x48
	v_lshrrev_b32_e32 v57, 6, v0
	v_bfe_u32 v60, v0, 4, 2
	v_and_b32_e32 v56, 15, v0
	v_lshl_or_b32 v5, v57, 2, v60
	v_lshlrev_b32_e32 v1, 3, v56
	s_mul_i32 s48, s4, 10
	v_cmp_gt_u32_e32 vcc, 10, v5
	v_lshlrev_b32_e32 v54, 1, v1
	v_lshlrev_b32_e32 v1, 4, v0
	s_and_saveexec_b64 s[12:13], vcc
	s_cbranch_execz .LBB977_11
; %bb.10:
	s_load_dwordx2 s[14:15], s[0:1], 0x0
	s_waitcnt lgkmcnt(0)
	s_ashr_i32 s20, s44, 31
	s_mul_hi_u32 s21, s5, s44
	s_mul_i32 s20, s5, s20
	s_add_i32 s21, s21, s20
	s_mul_i32 s20, s5, s44
	s_lshl_b64 s[20:21], s[20:21], 1
	s_add_u32 s14, s14, s20
	v_add_lshl_u32 v6, v5, s48, 7
	s_addc_u32 s15, s15, s21
	v_ashrrev_i32_e32 v7, 31, v6
	v_lshl_add_u64 v[6:7], v[6:7], 1, s[14:15]
	v_mov_b32_e32 v55, 0
	v_lshl_add_u64 v[6:7], v[6:7], 0, v[54:55]
	global_load_dwordx4 v[6:9], v[6:7], off
	v_lshlrev_b32_e32 v12, 8, v0
	v_lshlrev_b32_e32 v11, 8, v56
	v_and_b32_e32 v12, 0x600, v12
	s_movk_i32 s5, 0x800
	v_and_or_b32 v11, v11, s5, v12
	v_lshlrev_b32_e32 v5, 5, v5
	v_and_b32_e32 v12, 16, v1
	v_or3_b32 v5, v11, v5, v12
	s_waitcnt vmcnt(0)
	ds_write_b128 v5, v[6:9]
.LBB977_11:
	s_or_b64 exec, exec, s[12:13]
	s_waitcnt lgkmcnt(0)
	s_mul_i32 s12, s4, s46
	s_add_u32 s4, s16, s12
	s_addc_u32 s5, s17, 0
	v_and_b32_e32 v58, 0xf0, v1
	v_mov_b32_e32 v59, 0
	v_and_b32_e32 v34, 48, v0
	v_lshl_add_u64 v[12:13], s[4:5], 0, v[58:59]
	v_lshlrev_b32_e32 v58, 4, v34
	s_waitcnt vmcnt(3)
	v_mad_i64_i32 v[4:5], s[4:5], v4, s45, v[12:13]
	v_lshl_add_u64 v[4:5], v[4:5], 0, v[58:59]
	s_barrier
	global_load_dwordx4 v[50:53], v[4:5], off
	global_load_dwordx4 v[46:49], v[4:5], off offset:1024
	s_waitcnt vmcnt(4)
	v_mad_i64_i32 v[4:5], s[4:5], v3, s45, v[12:13]
	s_waitcnt vmcnt(3)
	v_mad_i64_i32 v[2:3], s[4:5], v2, s45, v[12:13]
	v_lshl_add_u64 v[4:5], v[4:5], 0, v[58:59]
	v_lshl_add_u64 v[14:15], v[2:3], 0, v[58:59]
	s_waitcnt vmcnt(2)
	v_mad_i64_i32 v[10:11], s[4:5], v10, s45, v[12:13]
	global_load_dwordx4 v[36:39], v[4:5], off
	global_load_dwordx4 v[6:9], v[4:5], off offset:1024
	s_nop 0
	global_load_dwordx4 v[2:5], v[14:15], off
	global_load_dwordx4 v[42:45], v[14:15], off offset:1024
	v_lshl_add_u64 v[14:15], v[10:11], 0, v[58:59]
	global_load_dwordx4 v[26:29], v[14:15], off
	global_load_dwordx4 v[10:13], v[14:15], off offset:1024
	v_add_u32_e32 v14, -10, v56
	v_cmp_gt_u32_e32 vcc, 10, v56
	v_and_b32_e32 v55, 63, v0
	v_mov_b32_e32 v61, 0
	v_cndmask_b32_e32 v14, v14, v56, vcc
	v_lshlrev_b32_e32 v14, 5, v14
	v_lshl_add_u32 v14, v60, 9, v14
	ds_read_b128 v[30:33], v14
	ds_read_b128 v[22:25], v14 offset:16
	ds_read_b128 v[18:21], v14 offset:2048
	;; [unrolled: 1-line block ×3, first 2 shown]
	s_and_saveexec_b64 s[4:5], vcc
	s_cbranch_execz .LBB977_13
; %bb.12:
	s_load_dwordx2 s[14:15], s[0:1], 0x40
	v_add_u32_e32 v40, s48, v56
	v_ashrrev_i32_e32 v41, 31, v40
	s_waitcnt lgkmcnt(0)
	v_lshl_add_u64 v[40:41], v[40:41], 2, s[14:15]
	global_load_dword v61, v[40:41], off
.LBB977_13:
	s_or_b64 exec, exec, s[4:5]
	v_or_b32_e32 v58, s18, v34
	v_ashrrev_i32_e32 v34, 4, v58
	v_mov_b32_e32 v63, s19
	v_cmp_gt_i32_e32 vcc, s7, v58
	s_waitcnt vmcnt(7)
	v_cvt_pk_f32_fp8_e32 v[40:41], v50
	v_cvt_pk_f32_fp8_sdwa v[64:65], v50 src0_sel:WORD_1
	v_cndmask_b32_e32 v34, v63, v34, vcc
	v_ashrrev_i32_e32 v35, 31, v34
	v_lshl_add_u64 v[34:35], v[34:35], 2, s[8:9]
	global_load_dword v62, v[34:35], off
	v_or_b32_e32 v34, 64, v58
	v_ashrrev_i32_e32 v35, 4, v34
	v_cmp_gt_i32_e32 vcc, s7, v34
	v_or_b32_e32 v66, 0x80, v58
	v_ashrrev_i32_e32 v67, 4, v66
	v_cndmask_b32_e32 v34, v63, v35, vcc
	v_cmp_gt_i32_e32 vcc, s7, v66
	v_cvt_pkrtz_f16_f32 v40, v40, v41
	v_cvt_pkrtz_f16_f32 v41, v64, v65
	v_cndmask_b32_e32 v50, v63, v67, vcc
	v_cvt_pk_f32_fp8_e32 v[64:65], v51
	v_cvt_pk_f32_fp8_sdwa v[66:67], v51 src0_sel:WORD_1
	v_ashrrev_i32_e32 v51, 31, v50
	v_lshl_add_u64 v[68:69], v[50:51], 2, s[8:9]
	v_cvt_pkrtz_f16_f32 v50, v64, v65
	v_cvt_pkrtz_f16_f32 v51, v66, v67
	s_waitcnt lgkmcnt(3)
	v_mfma_f32_16x16x16_f16 v[64:67], v[40:41], v[30:31], 0
	v_cvt_pk_f32_fp8_e32 v[40:41], v52
	v_cvt_pk_f32_fp8_sdwa v[70:71], v52 src0_sel:WORD_1
	s_waitcnt vmcnt(7)
	v_cvt_pk_f32_fp8_e32 v[72:73], v46
	v_mfma_f32_16x16x16_f16 v[64:67], v[50:51], v[32:33], v[64:67]
	v_cvt_pk_f32_fp8_e32 v[50:51], v53
	v_cvt_pkrtz_f16_f32 v40, v40, v41
	v_cvt_pkrtz_f16_f32 v41, v70, v71
	v_cvt_pk_f32_fp8_sdwa v[52:53], v53 src0_sel:WORD_1
	v_cvt_pkrtz_f16_f32 v70, v50, v51
	v_cvt_pk_f32_fp8_sdwa v[74:75], v46 src0_sel:WORD_1
	v_ashrrev_i32_e32 v35, 31, v34
	v_cvt_pkrtz_f16_f32 v71, v52, v53
	s_waitcnt lgkmcnt(2)
	v_mfma_f32_16x16x16_f16 v[50:53], v[40:41], v[22:23], v[64:67]
	v_cvt_pkrtz_f16_f32 v40, v72, v73
	v_cvt_pkrtz_f16_f32 v41, v74, v75
	v_or_b32_e32 v58, 0xc0, v58
	v_cvt_pk_f32_fp8_e32 v[64:65], v47
	v_cvt_pk_f32_fp8_sdwa v[46:47], v47 src0_sel:WORD_1
	v_mfma_f32_16x16x16_f16 v[50:53], v[70:71], v[24:25], v[50:53]
	v_lshl_add_u64 v[34:35], v[34:35], 2, s[8:9]
	v_cvt_pkrtz_f16_f32 v64, v64, v65
	v_cvt_pkrtz_f16_f32 v65, v46, v47
	s_waitcnt lgkmcnt(1)
	v_mfma_f32_16x16x16_f16 v[50:53], v[40:41], v[18:19], v[50:53]
	v_ashrrev_i32_e32 v66, 4, v58
	v_cmp_gt_i32_e32 vcc, s7, v58
	v_cvt_pk_f32_fp8_e32 v[46:47], v48
	s_waitcnt vmcnt(6)
	v_cvt_pk_f32_fp8_sdwa v[70:71], v36 src0_sel:WORD_1
	v_cndmask_b32_e32 v40, v63, v66, vcc
	v_mfma_f32_16x16x16_f16 v[64:67], v[64:65], v[20:21], v[50:53]
	v_ashrrev_i32_e32 v41, 31, v40
	v_lshl_add_u64 v[40:41], v[40:41], 2, s[8:9]
	v_cvt_pkrtz_f16_f32 v46, v46, v47
	global_load_dword v53, v[34:35], off
	global_load_dword v63, v[40:41], off
	v_cvt_pk_f32_fp8_sdwa v[50:51], v48 src0_sel:WORD_1
	v_cvt_pk_f32_fp8_e32 v[34:35], v49
	v_cvt_pk_f32_fp8_sdwa v[48:49], v49 src0_sel:WORD_1
	s_add_u32 s46, s10, s12
	v_cvt_pkrtz_f16_f32 v47, v50, v51
	v_cvt_pkrtz_f16_f32 v34, v34, v35
	;; [unrolled: 1-line block ×3, first 2 shown]
	s_waitcnt lgkmcnt(0)
	v_mfma_f32_16x16x16_f16 v[46:49], v[46:47], v[14:15], v[64:67]
	v_cvt_pk_f32_fp8_e32 v[50:51], v36
	s_nop 1
	global_load_dword v64, v[68:69], off
	v_cvt_pk_f32_fp8_e32 v[66:67], v37
	s_waitcnt vmcnt(8)
	v_cvt_pk_f32_fp8_e32 v[68:69], v6
	v_cvt_pkrtz_f16_f32 v50, v50, v51
	v_cvt_pkrtz_f16_f32 v51, v70, v71
	v_cvt_pk_f32_fp8_sdwa v[70:71], v37 src0_sel:WORD_1
	v_cvt_pkrtz_f16_f32 v40, v66, v67
	v_mfma_f32_16x16x16_f16 v[34:37], v[34:35], v[16:17], v[46:49]
	v_cvt_pk_f32_fp8_sdwa v[66:67], v38 src0_sel:WORD_1
	v_cvt_pkrtz_f16_f32 v41, v70, v71
	v_cvt_pk_f32_fp8_sdwa v[70:71], v6 src0_sel:WORD_1
	v_mfma_f32_16x16x16_f16 v[46:49], v[50:51], v[30:31], 0
	v_cvt_pk_f32_fp8_e32 v[50:51], v38
	v_lshl_or_b32 v52, v57, 4, v56
	s_waitcnt vmcnt(6)
	v_cvt_pk_f32_fp8_e32 v[72:73], v43
	v_mfma_f32_16x16x16_f16 v[46:49], v[40:41], v[32:33], v[46:49]
	v_cvt_pk_f32_fp8_e32 v[40:41], v39
	v_cvt_pkrtz_f16_f32 v50, v50, v51
	v_cvt_pkrtz_f16_f32 v51, v66, v67
	v_cvt_pk_f32_fp8_sdwa v[38:39], v39 src0_sel:WORD_1
	v_cvt_pkrtz_f16_f32 v66, v40, v41
	s_addc_u32 s47, s11, 0
	v_lshlrev_b32_e32 v58, 4, v52
	v_cvt_pkrtz_f16_f32 v67, v38, v39
	v_mfma_f32_16x16x16_f16 v[38:41], v[50:51], v[22:23], v[46:49]
	v_cvt_pk_f32_fp8_sdwa v[50:51], v2 src0_sel:WORD_1
	s_nop 1
	v_cvt_pkrtz_f16_f32 v46, v68, v69
	v_cvt_pkrtz_f16_f32 v47, v70, v71
	v_cvt_pk_f32_fp8_e32 v[48:49], v7
	v_cvt_pk_f32_fp8_sdwa v[6:7], v7 src0_sel:WORD_1
	v_mfma_f32_16x16x16_f16 v[38:41], v[66:67], v[24:25], v[38:41]
	v_lshl_add_u64 v[70:71], s[46:47], 0, v[58:59]
	v_cvt_pkrtz_f16_f32 v48, v48, v49
	v_cvt_pkrtz_f16_f32 v49, v6, v7
	v_mfma_f32_16x16x16_f16 v[38:41], v[46:47], v[18:19], v[38:41]
	v_cvt_pk_f32_fp8_e32 v[6:7], v8
	v_cvt_pk_f32_fp8_sdwa v[46:47], v8 src0_sel:WORD_1
	v_or_b32_e32 v58, 0x400, v58
	v_mfma_f32_16x16x16_f16 v[38:41], v[48:49], v[20:21], v[38:41]
	v_cvt_pk_f32_fp8_e32 v[48:49], v9
	v_cvt_pkrtz_f16_f32 v6, v6, v7
	v_cvt_pkrtz_f16_f32 v7, v46, v47
	v_cvt_pk_f32_fp8_sdwa v[8:9], v9 src0_sel:WORD_1
	v_cvt_pkrtz_f16_f32 v46, v48, v49
	v_cvt_pk_f32_fp8_e32 v[48:49], v2
	v_cvt_pkrtz_f16_f32 v47, v8, v9
	v_mfma_f32_16x16x16_f16 v[6:9], v[6:7], v[14:15], v[38:41]
	v_cvt_pkrtz_f16_f32 v48, v48, v49
	v_cvt_pkrtz_f16_f32 v49, v50, v51
	v_cvt_pk_f32_fp8_e32 v[50:51], v3
	v_cvt_pk_f32_fp8_sdwa v[2:3], v3 src0_sel:WORD_1
	v_mfma_f32_16x16x16_f16 v[38:41], v[46:47], v[16:17], v[6:9]
	v_cvt_pkrtz_f16_f32 v46, v50, v51
	v_cvt_pkrtz_f16_f32 v47, v2, v3
	v_mfma_f32_16x16x16_f16 v[6:9], v[48:49], v[30:31], 0
	v_cvt_pk_f32_fp8_e32 v[2:3], v4
	v_cvt_pk_f32_fp8_sdwa v[48:49], v4 src0_sel:WORD_1
	s_waitcnt vmcnt(3)
	v_mad_i64_i32 v[50:51], s[4:5], v62, s45, v[70:71]
	v_cvt_pkrtz_f16_f32 v2, v2, v3
	v_cvt_pkrtz_f16_f32 v3, v48, v49
	v_mfma_f32_16x16x16_f16 v[6:9], v[46:47], v[32:33], v[6:9]
	v_cvt_pk_f32_fp8_e32 v[46:47], v5
	v_cvt_pk_f32_fp8_sdwa v[4:5], v5 src0_sel:WORD_1
	s_waitcnt vmcnt(2)
	v_mad_i64_i32 v[66:67], s[4:5], v53, s45, v[70:71]
	v_cvt_pkrtz_f16_f32 v46, v46, v47
	v_cvt_pkrtz_f16_f32 v47, v4, v5
	v_mfma_f32_16x16x16_f16 v[2:5], v[2:3], v[22:23], v[6:9]
	s_nop 2
	v_cvt_pk_f32_fp8_e32 v[6:7], v42
	v_cvt_pk_f32_fp8_sdwa v[8:9], v42 src0_sel:WORD_1
	v_cvt_pk_f32_fp8_sdwa v[42:43], v43 src0_sel:WORD_1
	v_mfma_f32_16x16x16_f16 v[46:49], v[46:47], v[24:25], v[2:5]
	v_cvt_pkrtz_f16_f32 v68, v6, v7
	v_cvt_pkrtz_f16_f32 v69, v8, v9
	global_load_dwordx4 v[6:9], v[50:51], off
	global_load_dwordx4 v[2:5], v[66:67], off
	v_cvt_pkrtz_f16_f32 v66, v72, v73
	v_cvt_pkrtz_f16_f32 v67, v42, v43
	v_mfma_f32_16x16x16_f16 v[48:51], v[68:69], v[18:19], v[46:49]
	v_cvt_pk_f32_fp8_e32 v[42:43], v44
	v_cvt_pk_f32_fp8_sdwa v[72:73], v44 src0_sel:WORD_1
	s_waitcnt vmcnt(2)
	v_mad_i64_i32 v[46:47], s[4:5], v64, s45, v[70:71]
	v_mfma_f32_16x16x16_f16 v[66:69], v[66:67], v[20:21], v[48:51]
	v_cvt_pkrtz_f16_f32 v42, v42, v43
	v_cvt_pkrtz_f16_f32 v43, v72, v73
	v_cvt_pk_f32_fp8_sdwa v[72:73], v26 src0_sel:WORD_1
	v_cvt_pk_f32_fp8_e32 v[50:51], v45
	v_cvt_pk_f32_fp8_sdwa v[44:45], v45 src0_sel:WORD_1
	v_mad_i64_i32 v[48:49], s[4:5], v63, s45, v[70:71]
	v_cvt_pkrtz_f16_f32 v50, v50, v51
	v_cvt_pkrtz_f16_f32 v51, v44, v45
	v_mfma_f32_16x16x16_f16 v[42:45], v[42:43], v[14:15], v[66:69]
	v_cvt_pk_f32_fp8_e32 v[70:71], v26
	s_load_dword s4, s[0:1], 0x1c
	s_load_dwordx4 s[40:43], s[0:1], 0x80
	s_load_dword s33, s[0:1], 0x98
	s_waitcnt lgkmcnt(0)
	s_load_dword s5, s[40:41], 0x0
	v_mfma_f32_16x16x16_f16 v[66:69], v[50:51], v[16:17], v[42:45]
	s_mov_b32 s40, 0xff7fffff
	s_nop 1
	v_cvt_pk_f32_fp8_e32 v[42:43], v27
	v_cvt_pkrtz_f16_f32 v44, v70, v71
	v_cvt_pkrtz_f16_f32 v45, v72, v73
	v_cvt_pk_f32_fp8_sdwa v[26:27], v27 src0_sel:WORD_1
	v_cvt_pkrtz_f16_f32 v50, v42, v43
	v_cvt_pk_f32_fp8_e32 v[70:71], v28
	v_cvt_pk_f32_fp8_sdwa v[72:73], v28 src0_sel:WORD_1
	v_cvt_pkrtz_f16_f32 v51, v26, v27
	v_mfma_f32_16x16x16_f16 v[42:45], v[44:45], v[30:31], 0
	v_cvt_pkrtz_f16_f32 v30, v70, v71
	v_cvt_pkrtz_f16_f32 v31, v72, v73
	v_cvt_pk_f32_fp8_e32 v[70:71], v29
	v_cvt_pk_f32_fp8_sdwa v[72:73], v29 src0_sel:WORD_1
	v_mfma_f32_16x16x16_f16 v[26:29], v[50:51], v[32:33], v[42:45]
	v_mov_b32_e32 v32, s4
	s_waitcnt lgkmcnt(0)
	v_mul_f32_e32 v50, s5, v32
	v_pk_mul_f32 v[32:33], v[50:51], v[34:35] op_sel_hi:[0,1]
	v_cvt_pkrtz_f16_f32 v42, v70, v71
	v_cvt_pkrtz_f16_f32 v43, v72, v73
	v_mfma_f32_16x16x16_f16 v[26:29], v[30:31], v[22:23], v[26:29]
	v_pk_mul_f32 v[30:31], v[50:51], v[36:37] op_sel_hi:[0,1]
	v_cvt_pk_f32_fp8_e32 v[22:23], v10
	v_cvt_pk_f32_fp8_sdwa v[70:71], v12 src0_sel:WORD_1
	v_mfma_f32_16x16x16_f16 v[34:37], v[42:43], v[24:25], v[26:29]
	v_cvt_pk_f32_fp8_sdwa v[24:25], v10 src0_sel:WORD_1
	v_cvt_pkrtz_f16_f32 v42, v22, v23
	v_pk_mul_f32 v[40:41], v[50:51], v[40:41] op_sel_hi:[0,1]
	v_cvt_pk_f32_fp8_e32 v[26:27], v11
	v_cvt_pk_f32_fp8_sdwa v[10:11], v11 src0_sel:WORD_1
	v_cvt_pkrtz_f16_f32 v43, v24, v25
	v_cvt_pkrtz_f16_f32 v44, v26, v27
	;; [unrolled: 1-line block ×3, first 2 shown]
	v_cvt_pk_f32_fp8_e32 v[10:11], v12
	v_mfma_f32_16x16x16_f16 v[34:37], v[42:43], v[18:19], v[34:37]
	global_load_dwordx4 v[26:29], v[46:47], off
	global_load_dwordx4 v[22:25], v[48:49], off
	v_cvt_pkrtz_f16_f32 v19, v70, v71
	v_cvt_pkrtz_f16_f32 v18, v10, v11
	v_cvt_pk_f32_fp8_e32 v[42:43], v13
	v_cvt_pk_f32_fp8_sdwa v[46:47], v13 src0_sel:WORD_1
	v_mfma_f32_16x16x16_f16 v[10:13], v[44:45], v[20:21], v[34:37]
	v_pk_mul_f32 v[44:45], v[50:51], v[38:39] op_sel_hi:[0,1]
	v_cvt_pkrtz_f16_f32 v20, v42, v43
	v_cvt_pkrtz_f16_f32 v21, v46, v47
	v_mfma_f32_16x16x16_f16 v[10:13], v[18:19], v[14:15], v[10:13]
	v_pk_mul_f32 v[38:39], v[50:51], v[68:69] op_sel_hi:[0,1]
	v_pk_mul_f32 v[42:43], v[50:51], v[66:67] op_sel_hi:[0,1]
	v_mfma_f32_16x16x16_f16 v[10:13], v[20:21], v[16:17], v[10:13]
	s_nop 6
	v_pk_mul_f32 v[36:37], v[50:51], v[10:11] op_sel_hi:[0,1]
	v_and_b32_e32 v10, 0xc0, v0
	v_add_u32_e32 v10, s18, v10
	v_lshl_or_b32 v10, v60, 2, v10
	v_or_b32_e32 v11, 1, v10
	v_pk_mul_f32 v[34:35], v[50:51], v[12:13] op_sel_hi:[0,1]
	v_subrev_u32_e32 v12, s7, v11
	v_add_u32_e32 v14, 1, v12
	v_add_u32_e32 v15, 2, v12
	v_cvt_f32_i32_e32 v13, v12
	v_cvt_f32_i32_e32 v14, v14
	;; [unrolled: 1-line block ×3, first 2 shown]
	v_add_u32_e32 v16, 3, v12
	v_fma_f32 v18, v61, v13, v32
	v_fmac_f32_e32 v33, v61, v14
	v_fma_f32 v48, v61, v15, v30
	v_add_u32_e32 v13, 16, v12
	v_add_u32_e32 v14, 17, v12
	;; [unrolled: 1-line block ×3, first 2 shown]
	v_cvt_f32_i32_e32 v16, v16
	v_cvt_f32_i32_e32 v13, v13
	;; [unrolled: 1-line block ×4, first 2 shown]
	v_fmac_f32_e32 v31, v61, v16
	v_add_u32_e32 v16, 19, v12
	v_fma_f32 v44, v61, v13, v44
	v_fmac_f32_e32 v45, v61, v14
	v_fma_f32 v40, v61, v15, v40
	v_add_u32_e32 v13, 32, v12
	v_add_u32_e32 v14, 33, v12
	;; [unrolled: 1-line block ×3, first 2 shown]
	v_cvt_f32_i32_e32 v16, v16
	v_cvt_f32_i32_e32 v13, v13
	;; [unrolled: 1-line block ×4, first 2 shown]
	v_fmac_f32_e32 v41, v61, v16
	v_add_u32_e32 v16, 35, v12
	v_fma_f32 v42, v61, v13, v42
	v_fmac_f32_e32 v43, v61, v14
	v_fma_f32 v38, v61, v15, v38
	v_add_u32_e32 v13, 48, v12
	v_add_u32_e32 v14, 49, v12
	;; [unrolled: 1-line block ×4, first 2 shown]
	v_cvt_f32_i32_e32 v12, v12
	v_cvt_f32_i32_e32 v13, v13
	;; [unrolled: 1-line block ×3, first 2 shown]
	v_cmp_gt_i32_e64 s[8:9], s7, v10
	v_fmac_f32_e32 v35, v61, v12
	v_mov_b32_e32 v12, 0xff7fffff
	v_cmp_gt_i32_e64 s[10:11], s7, v11
	v_fma_f32 v36, v61, v13, v36
	v_cndmask_b32_e64 v13, v12, v18, s[8:9]
	v_cndmask_b32_e64 v11, v12, v33, s[10:11]
	v_fmac_f32_e32 v37, v61, v14
	v_max3_f32 v11, v13, s40, v11
	v_or_b32_e32 v13, 2, v10
	v_or_b32_e32 v14, 3, v10
	v_cmp_gt_i32_e64 s[12:13], s7, v13
	v_cmp_gt_i32_e64 s[14:15], s7, v14
	v_cvt_f32_i32_e32 v16, v16
	v_cndmask_b32_e64 v13, v12, v48, s[12:13]
	v_cndmask_b32_e64 v14, v12, v31, s[14:15]
	v_max3_f32 v11, v11, v13, v14
	v_or_b32_e32 v13, 16, v10
	v_or_b32_e32 v14, 17, v10
	v_cmp_gt_i32_e64 s[16:17], s7, v13
	v_cmp_gt_i32_e64 s[18:19], s7, v14
	v_fmac_f32_e32 v39, v61, v16
	v_cndmask_b32_e64 v13, v12, v44, s[16:17]
	v_cndmask_b32_e64 v14, v12, v45, s[18:19]
	v_max3_f32 v11, v11, v13, v14
	v_or_b32_e32 v13, 18, v10
	v_or_b32_e32 v14, 19, v10
	v_cmp_gt_i32_e64 s[20:21], s7, v13
	v_cmp_gt_i32_e64 s[22:23], s7, v14
	v_cvt_f32_i32_e32 v15, v15
	v_cndmask_b32_e64 v13, v12, v40, s[20:21]
	v_cndmask_b32_e64 v14, v12, v41, s[22:23]
	v_max3_f32 v11, v11, v13, v14
	v_or_b32_e32 v13, 32, v10
	v_or_b32_e32 v14, 33, v10
	v_cmp_gt_i32_e64 s[24:25], s7, v13
	v_cmp_gt_i32_e64 s[26:27], s7, v14
	v_fma_f32 v34, v61, v15, v34
	v_cndmask_b32_e64 v13, v12, v42, s[24:25]
	v_cndmask_b32_e64 v14, v12, v43, s[26:27]
	v_max3_f32 v11, v11, v13, v14
	v_or_b32_e32 v13, 34, v10
	v_or_b32_e32 v14, 35, v10
	v_cmp_gt_i32_e64 s[28:29], s7, v13
	v_cmp_gt_i32_e64 s[30:31], s7, v14
	s_nop 0
	v_cndmask_b32_e64 v13, v12, v38, s[28:29]
	v_cndmask_b32_e64 v14, v12, v39, s[30:31]
	v_max3_f32 v11, v11, v13, v14
	v_or_b32_e32 v13, 48, v10
	v_or_b32_e32 v14, 49, v10
	v_cmp_gt_i32_e64 s[34:35], s7, v13
	v_cmp_gt_i32_e64 s[36:37], s7, v14
	s_nop 0
	v_cndmask_b32_e64 v13, v12, v36, s[34:35]
	v_cndmask_b32_e64 v14, v12, v37, s[36:37]
	v_max3_f32 v11, v11, v13, v14
	v_or_b32_e32 v13, 50, v10
	v_or_b32_e32 v10, 51, v10
	v_cmp_gt_i32_e32 vcc, s7, v13
	v_cmp_gt_i32_e64 s[4:5], s7, v10
	s_nop 0
	v_cndmask_b32_e32 v13, v12, v34, vcc
	v_cndmask_b32_e64 v10, v12, v35, s[4:5]
	v_max3_f32 v14, v11, v13, v10
	v_mbcnt_lo_u32_b32 v10, -1, 0
	v_mbcnt_hi_u32_b32 v15, -1, v10
	v_and_b32_e32 v10, 64, v15
	v_add_u32_e32 v16, 64, v10
	v_xor_b32_e32 v10, 32, v15
	v_cmp_lt_i32_e64 s[38:39], v10, v16
	s_nop 1
	v_cndmask_b32_e64 v10, v15, v10, s[38:39]
	v_lshlrev_b32_e32 v51, 2, v10
	ds_bpermute_b32 v17, v51, v14
	v_lshl_add_u64 v[10:11], s[46:47], 0, v[58:59]
	v_mad_i64_i32 v[12:13], s[38:39], v62, s45, v[10:11]
	s_waitcnt lgkmcnt(0)
	v_max_f32_e32 v17, v17, v17
	v_max_f32_e32 v19, v14, v17
	v_xor_b32_e32 v14, 16, v15
	v_cmp_lt_i32_e64 s[38:39], v14, v16
	s_nop 1
	v_cndmask_b32_e64 v14, v15, v14, s[38:39]
	v_lshlrev_b32_e32 v58, 2, v14
	ds_bpermute_b32 v20, v58, v19
	v_mad_i64_i32 v[14:15], s[38:39], v53, s45, v[10:11]
	v_mad_i64_i32 v[16:17], s[38:39], v64, s45, v[10:11]
	s_waitcnt lgkmcnt(0)
	v_max_f32_e32 v20, v20, v20
	v_max_f32_e32 v50, v19, v20
	v_sub_f32_e32 v18, v18, v50
	v_sub_f32_e32 v19, v33, v50
	v_mul_f32_e32 v18, 0x3fb8aa3b, v18
	v_mul_f32_e32 v19, 0x3fb8aa3b, v19
	v_exp_f32_e32 v18, v18
	v_exp_f32_e32 v19, v19
	v_sub_f32_e32 v49, v31, v50
	v_mad_i64_i32 v[10:11], s[38:39], v63, s45, v[10:11]
	v_cndmask_b32_e64 v46, 0, v18, s[8:9]
	v_cndmask_b32_e64 v47, 0, v19, s[10:11]
	global_load_dwordx4 v[30:33], v[12:13], off
	global_load_dwordx4 v[18:21], v[14:15], off
	v_sub_f32_e32 v12, v48, v50
	v_mul_f32_e32 v12, 0x3fb8aa3b, v12
	v_exp_f32_e32 v48, v12
	global_load_dwordx4 v[14:17], v[16:17], off
	s_nop 0
	global_load_dwordx4 v[10:13], v[10:11], off
	v_sub_f32_e32 v40, v40, v50
	v_sub_f32_e32 v42, v42, v50
	v_mul_f32_e32 v40, 0x3fb8aa3b, v40
	v_mul_f32_e32 v42, 0x3fb8aa3b, v42
	v_exp_f32_e32 v40, v40
	v_exp_f32_e32 v53, v42
	v_mul_f32_e32 v49, 0x3fb8aa3b, v49
	v_sub_f32_e32 v44, v44, v50
	v_exp_f32_e32 v49, v49
	v_mul_f32_e32 v44, 0x3fb8aa3b, v44
	v_sub_f32_e32 v45, v45, v50
	v_sub_f32_e32 v42, v43, v50
	v_exp_f32_e32 v44, v44
	v_mul_f32_e32 v45, 0x3fb8aa3b, v45
	v_mul_f32_e32 v42, 0x3fb8aa3b, v42
	v_exp_f32_e32 v45, v45
	v_sub_f32_e32 v41, v41, v50
	v_exp_f32_e32 v59, v42
	v_cndmask_b32_e64 v42, 0, v40, s[20:21]
	v_cndmask_b32_e64 v40, 0, v53, s[24:25]
	v_add_f32_e32 v53, 0, v46
	v_cndmask_b32_e64 v48, 0, v48, s[12:13]
	v_mul_f32_e32 v41, 0x3fb8aa3b, v41
	v_add_f32_e32 v53, v53, v47
	v_cndmask_b32_e64 v49, 0, v49, s[14:15]
	v_exp_f32_e32 v41, v41
	v_add_f32_e32 v53, v53, v48
	v_cndmask_b32_e64 v44, 0, v44, s[16:17]
	v_sub_f32_e32 v38, v38, v50
	v_add_f32_e32 v53, v53, v49
	v_cndmask_b32_e64 v45, 0, v45, s[18:19]
	v_sub_f32_e32 v39, v39, v50
	v_mul_f32_e32 v38, 0x3fb8aa3b, v38
	v_add_f32_e32 v53, v53, v44
	v_exp_f32_e32 v38, v38
	v_mul_f32_e32 v39, 0x3fb8aa3b, v39
	v_sub_f32_e32 v36, v36, v50
	v_add_f32_e32 v53, v53, v45
	v_cndmask_b32_e64 v43, 0, v41, s[22:23]
	v_exp_f32_e32 v39, v39
	v_mul_f32_e32 v36, 0x3fb8aa3b, v36
	v_sub_f32_e32 v37, v37, v50
	v_add_f32_e32 v53, v53, v42
	v_exp_f32_e32 v36, v36
	v_mul_f32_e32 v37, 0x3fb8aa3b, v37
	v_add_f32_e32 v53, v53, v43
	v_sub_f32_e32 v34, v34, v50
	v_cndmask_b32_e64 v41, 0, v59, s[26:27]
	v_exp_f32_e32 v37, v37
	v_add_f32_e32 v53, v53, v40
	v_mul_f32_e32 v34, 0x3fb8aa3b, v34
	v_sub_f32_e32 v35, v35, v50
	v_cndmask_b32_e64 v38, 0, v38, s[28:29]
	v_add_f32_e32 v53, v53, v41
	v_exp_f32_e32 v34, v34
	v_mul_f32_e32 v35, 0x3fb8aa3b, v35
	v_cndmask_b32_e64 v39, 0, v39, s[30:31]
	v_add_f32_e32 v53, v53, v38
	v_exp_f32_e32 v35, v35
	v_cndmask_b32_e64 v36, 0, v36, s[34:35]
	v_add_f32_e32 v53, v53, v39
	v_cndmask_b32_e64 v37, 0, v37, s[36:37]
	v_add_f32_e32 v53, v53, v36
	v_add_f32_e32 v53, v53, v37
	v_cndmask_b32_e32 v34, 0, v34, vcc
	v_add_f32_e32 v53, v53, v34
	v_cndmask_b32_e64 v35, 0, v35, s[4:5]
	v_add_f32_e32 v53, v53, v35
	ds_bpermute_b32 v51, v51, v53
	v_cmp_gt_u32_e32 vcc, 16, v55
	s_waitcnt lgkmcnt(0)
	s_barrier
	v_add_f32_e32 v51, v53, v51
	ds_bpermute_b32 v53, v58, v51
	s_and_saveexec_b64 s[4:5], vcc
	s_cbranch_execz .LBB977_15
; %bb.14:
	s_waitcnt lgkmcnt(0)
	v_add_f32_e32 v51, v51, v53
	v_lshlrev_b32_e32 v52, 2, v52
	ds_write2st64_b32 v52, v50, v51 offset1:1
.LBB977_15:
	s_or_b64 exec, exec, s[4:5]
	v_lshlrev_b32_e32 v51, 2, v56
	s_load_dword s7, s[0:1], 0x94
	s_waitcnt lgkmcnt(0)
	s_barrier
	ds_read2_b32 v[52:53], v51 offset1:16
	ds_read2_b32 v[58:59], v51 offset0:32 offset1:48
	ds_read2_b32 v[62:63], v51 offset0:64 offset1:80
	s_mul_i32 s8, s33, 10
	s_waitcnt lgkmcnt(2)
	v_max3_f32 v50, v52, s40, v53
	s_waitcnt lgkmcnt(1)
	v_max3_f32 v50, v50, v58, v59
	v_sub_f32_e32 v52, v52, v50
	v_mul_f32_e32 v52, 0x3fb8aa3b, v52
	v_exp_f32_e32 v55, v52
	v_sub_f32_e32 v52, v53, v50
	v_mul_f32_e32 v52, 0x3fb8aa3b, v52
	v_exp_f32_e32 v61, v52
	;; [unrolled: 3-line block ×3, first 2 shown]
	ds_read2_b32 v[52:53], v51 offset0:96 offset1:112
	v_sub_f32_e32 v51, v59, v50
	v_mul_f32_e32 v51, 0x3fb8aa3b, v51
	v_exp_f32_e32 v59, v51
	s_waitcnt lgkmcnt(1)
	v_fma_f32 v51, v55, v62, 0
	v_fmac_f32_e32 v51, v61, v63
	s_waitcnt lgkmcnt(0)
	v_fmac_f32_e32 v51, v58, v52
	v_fmac_f32_e32 v51, v59, v53
	v_add_f32_e32 v52, 0x358637bd, v51
	v_div_scale_f32 v53, s[4:5], v52, v52, 1.0
	v_rcp_f32_e32 v62, v53
	s_barrier
	v_fma_f32 v63, -v53, v62, 1.0
	v_fmac_f32_e32 v62, v63, v62
	v_div_scale_f32 v63, vcc, 1.0, v52, 1.0
	v_mul_f32_e32 v64, v63, v62
	v_fma_f32 v65, -v53, v64, v63
	v_fmac_f32_e32 v64, v65, v62
	v_fma_f32 v53, -v53, v64, v63
	v_div_fmas_f32 v53, v53, v62, v64
	v_cmp_eq_u32_e32 vcc, 1, v57
	v_div_fixup_f32 v52, v53, v52, 1.0
	s_nop 0
	v_cndmask_b32_e32 v53, v55, v61, vcc
	v_cmp_eq_u32_e32 vcc, 2, v57
	s_nop 1
	v_cndmask_b32_e32 v53, v53, v58, vcc
	v_cmp_eq_u32_e32 vcc, 3, v57
	s_nop 1
	v_cndmask_b32_e32 v53, v53, v59, vcc
	v_mul_f32_e32 v52, v53, v52
	v_pk_mul_f32 v[48:49], v[52:53], v[48:49] op_sel_hi:[0,1]
	v_pk_mul_f32 v[46:47], v[52:53], v[46:47] op_sel_hi:[0,1]
	v_cvt_f16_f32_e32 v53, v48
	v_cvt_f16_f32_e32 v49, v49
	;; [unrolled: 1-line block ×4, first 2 shown]
	v_pk_mul_f32 v[42:43], v[52:53], v[42:43] op_sel_hi:[0,1]
	v_pk_mul_f32 v[44:45], v[52:53], v[44:45] op_sel_hi:[0,1]
	v_pack_b32_f16 v49, v53, v49
	v_cvt_f16_f32_e32 v44, v44
	v_cvt_f16_f32_e32 v45, v45
	;; [unrolled: 1-line block ×4, first 2 shown]
	v_pack_b32_f16 v48, v46, v47
	v_lshlrev_b32_e32 v47, 3, v60
	v_lshlrev_b32_e32 v46, 5, v56
	;; [unrolled: 1-line block ×3, first 2 shown]
	v_or3_b32 v55, v42, v46, v47
	v_pack_b32_f16 v42, v44, v45
	v_pack_b32_f16 v43, v53, v43
	v_pk_mul_f32 v[38:39], v[52:53], v[38:39] op_sel_hi:[0,1]
	v_pk_mul_f32 v[40:41], v[52:53], v[40:41] op_sel_hi:[0,1]
	;; [unrolled: 1-line block ×4, first 2 shown]
	ds_write2st64_b64 v55, v[48:49], v[42:43] offset1:1
	v_cvt_f16_f32_e32 v40, v40
	v_cvt_f16_f32_e32 v41, v41
	;; [unrolled: 1-line block ×8, first 2 shown]
	v_pack_b32_f16 v34, v40, v41
	v_pack_b32_f16 v35, v38, v39
	;; [unrolled: 1-line block ×4, first 2 shown]
	v_cmp_gt_u32_e32 vcc, 10, v0
	ds_write2st64_b64 v55, v[34:35], v[36:37] offset0:2 offset1:3
	s_and_saveexec_b64 s[4:5], vcc
	s_cbranch_execz .LBB977_17
; %bb.16:
	s_mov_b32 s49, 0
	v_mov_b32_e32 v57, 0
	v_lshl_add_u64 v[34:35], s[48:49], 0, v[56:57]
	v_mov_b32_e32 v36, s8
	v_mad_u64_u32 v[34:35], s[10:11], s2, v36, v[34:35]
	s_mul_i32 s3, s3, s8
	v_mov_b32_e32 v36, s6
	v_mov_b32_e32 v37, v57
	s_load_dwordx4 s[12:15], s[0:1], 0x58
	v_add_u32_e32 v38, s3, v35
	v_mad_u64_u32 v[34:35], s[10:11], v34, s7, v[36:37]
	v_mov_b32_e32 v36, v35
	v_mad_u64_u32 v[36:37], s[10:11], v38, s7, v[36:37]
	v_mov_b32_e32 v35, v36
	v_lshlrev_b64 v[34:35], 2, v[34:35]
	s_waitcnt lgkmcnt(0)
	v_lshl_add_u64 v[36:37], s[14:15], 0, v[34:35]
	v_lshl_add_u64 v[34:35], s[12:13], 0, v[34:35]
	global_store_dword v[36:37], v50, off
	global_store_dword v[34:35], v51, off
.LBB977_17:
	s_or_b64 exec, exec, s[4:5]
	s_waitcnt vmcnt(7)
	v_cvt_pk_f32_fp8_e32 v[34:35], v6
	v_cvt_pk_f32_fp8_sdwa v[36:37], v6 src0_sel:WORD_1
	v_lshl_or_b32 v50, v60, 9, v46
	s_waitcnt lgkmcnt(0)
	s_barrier
	v_cvt_pk_f32_fp8_e32 v[38:39], v7
	v_cvt_pkrtz_f16_f32 v6, v34, v35
	v_cvt_pk_f32_fp8_sdwa v[40:41], v7 src0_sel:WORD_1
	v_cvt_pkrtz_f16_f32 v7, v36, v37
	ds_read_b128 v[34:37], v50
	v_cvt_pkrtz_f16_f32 v46, v38, v39
	v_cvt_pkrtz_f16_f32 v47, v40, v41
	ds_read_b128 v[38:41], v50 offset:16
	v_cvt_pk_f32_fp8_e32 v[48:49], v8
	v_cvt_pk_f32_fp8_sdwa v[52:53], v8 src0_sel:WORD_1
	s_waitcnt lgkmcnt(1)
	v_mfma_f32_16x16x16_f16 v[42:45], v[6:7], v[34:35], 0
	s_waitcnt vmcnt(6)
	v_cvt_pk_f32_fp8_e32 v[58:59], v4
	v_cvt_pkrtz_f16_f32 v6, v48, v49
	v_cvt_pkrtz_f16_f32 v7, v52, v53
	v_cvt_pk_f32_fp8_e32 v[48:49], v9
	v_mfma_f32_16x16x16_f16 v[42:45], v[46:47], v[36:37], v[42:45]
	v_cvt_pk_f32_fp8_sdwa v[46:47], v9 src0_sel:WORD_1
	v_cvt_pk_f32_fp8_sdwa v[62:63], v4 src0_sel:WORD_1
	v_cvt_pkrtz_f16_f32 v48, v48, v49
	s_waitcnt lgkmcnt(0)
	v_mfma_f32_16x16x16_f16 v[6:9], v[6:7], v[38:39], v[42:45]
	v_cvt_pkrtz_f16_f32 v49, v46, v47
	s_waitcnt vmcnt(5)
	v_cvt_pk_f32_fp8_sdwa v[66:67], v28 src0_sel:WORD_1
	s_waitcnt vmcnt(4)
	v_cvt_pk_f32_fp8_sdwa v[68:69], v24 src0_sel:WORD_1
	v_cvt_pk_f32_fp8_e32 v[42:43], v2
	v_mfma_f32_16x16x16_f16 v[46:49], v[48:49], v[40:41], v[6:9]
	s_waitcnt vmcnt(3)
	v_cvt_pk_f32_fp8_sdwa v[70:71], v32 src0_sel:WORD_1
	s_load_dword s4, s[42:43], 0x0
	v_cvt_pk_f32_fp8_sdwa v[6:7], v2 src0_sel:WORD_1
	v_cvt_pk_f32_fp8_e32 v[8:9], v3
	v_cvt_pkrtz_f16_f32 v2, v42, v43
	v_cvt_pk_f32_fp8_sdwa v[42:43], v3 src0_sel:WORD_1
	v_cvt_pkrtz_f16_f32 v3, v6, v7
	v_cvt_pkrtz_f16_f32 v52, v8, v9
	ds_read_b128 v[6:9], v50 offset:2048
	v_cvt_pkrtz_f16_f32 v53, v42, v43
	ds_read_b128 v[42:45], v50 offset:2064
	s_waitcnt lgkmcnt(0)
	v_mfma_f32_16x16x16_f16 v[46:49], v[2:3], v[6:7], v[46:49]
	v_cvt_pkrtz_f16_f32 v2, v58, v59
	v_cvt_pkrtz_f16_f32 v3, v62, v63
	v_cvt_pk_f32_fp8_e32 v[58:59], v5
	v_mfma_f32_16x16x16_f16 v[46:49], v[52:53], v[8:9], v[46:49]
	v_cvt_pk_f32_fp8_sdwa v[52:53], v5 src0_sel:WORD_1
	s_mov_b32 s3, 0
	v_cvt_pkrtz_f16_f32 v58, v58, v59
	v_mfma_f32_16x16x16_f16 v[2:5], v[2:3], v[42:43], v[46:49]
	v_cvt_pkrtz_f16_f32 v59, v52, v53
	v_cmp_gt_u32_e32 vcc, 64, v0
	s_nop 0
	v_cvt_pk_f32_fp8_e32 v[46:47], v26
	v_mfma_f32_16x16x16_f16 v[62:65], v[58:59], v[44:45], v[2:5]
	v_cvt_pk_f32_fp8_e32 v[58:59], v28
	s_nop 1
	v_cvt_pk_f32_fp8_sdwa v[2:3], v26 src0_sel:WORD_1
	v_cvt_pk_f32_fp8_e32 v[4:5], v27
	v_cvt_pkrtz_f16_f32 v26, v46, v47
	v_cvt_pk_f32_fp8_sdwa v[46:47], v27 src0_sel:WORD_1
	v_cvt_pkrtz_f16_f32 v27, v2, v3
	v_cvt_pkrtz_f16_f32 v52, v4, v5
	ds_read_b128 v[2:5], v50 offset:4096
	v_cvt_pkrtz_f16_f32 v53, v46, v47
	ds_read_b128 v[46:49], v50 offset:4112
	s_waitcnt lgkmcnt(1)
	v_mfma_f32_16x16x16_f16 v[62:65], v[26:27], v[2:3], v[62:65]
	v_cvt_pkrtz_f16_f32 v26, v58, v59
	v_cvt_pkrtz_f16_f32 v27, v66, v67
	v_cvt_pk_f32_fp8_e32 v[58:59], v29
	v_mfma_f32_16x16x16_f16 v[62:65], v[52:53], v[4:5], v[62:65]
	v_cvt_pk_f32_fp8_sdwa v[52:53], v29 src0_sel:WORD_1
	v_cvt_pk_f32_fp8_e32 v[66:67], v24
	v_cvt_pkrtz_f16_f32 v58, v58, v59
	s_waitcnt lgkmcnt(0)
	v_mfma_f32_16x16x16_f16 v[26:29], v[26:27], v[46:47], v[62:65]
	v_cvt_pkrtz_f16_f32 v59, v52, v53
	v_cvt_pk_f32_fp8_e32 v[52:53], v22
	s_nop 0
	v_mfma_f32_16x16x16_f16 v[62:65], v[58:59], v[48:49], v[26:29]
	s_nop 2
	v_cvt_pk_f32_fp8_sdwa v[26:27], v22 src0_sel:WORD_1
	v_cvt_pk_f32_fp8_e32 v[28:29], v23
	v_cvt_pkrtz_f16_f32 v22, v52, v53
	v_cvt_pk_f32_fp8_sdwa v[52:53], v23 src0_sel:WORD_1
	v_cvt_pkrtz_f16_f32 v23, v26, v27
	v_cvt_pkrtz_f16_f32 v58, v28, v29
	ds_read_b128 v[26:29], v50 offset:6144
	v_cvt_pkrtz_f16_f32 v59, v52, v53
	s_waitcnt lgkmcnt(0)
	v_mfma_f32_16x16x16_f16 v[62:65], v[22:23], v[26:27], v[62:65]
	ds_read_b128 v[50:53], v50 offset:6160
	v_cvt_pkrtz_f16_f32 v22, v66, v67
	v_cvt_pkrtz_f16_f32 v23, v68, v69
	v_cvt_pk_f32_fp8_e32 v[66:67], v25
	v_mfma_f32_16x16x16_f16 v[62:65], v[58:59], v[28:29], v[62:65]
	v_cvt_pk_f32_fp8_sdwa v[58:59], v25 src0_sel:WORD_1
	v_cvt_pk_f32_fp8_e32 v[68:69], v32
	v_cvt_pkrtz_f16_f32 v66, v66, v67
	s_waitcnt lgkmcnt(0)
	v_mfma_f32_16x16x16_f16 v[22:25], v[22:23], v[50:51], v[62:65]
	v_cvt_pkrtz_f16_f32 v67, v58, v59
	v_cvt_pk_f32_fp8_e32 v[58:59], v30
	s_nop 0
	v_cvt_pk_f32_fp8_sdwa v[62:63], v30 src0_sel:WORD_1
	v_cvt_pk_f32_fp8_e32 v[64:65], v31
	v_cvt_pkrtz_f16_f32 v58, v58, v59
	v_cvt_pk_f32_fp8_sdwa v[30:31], v31 src0_sel:WORD_1
	v_cvt_pkrtz_f16_f32 v59, v62, v63
	v_mfma_f32_16x16x16_f16 v[22:25], v[66:67], v[52:53], v[22:25]
	v_cvt_pkrtz_f16_f32 v66, v64, v65
	v_cvt_pkrtz_f16_f32 v67, v30, v31
	;; [unrolled: 1-line block ×3, first 2 shown]
	v_mfma_f32_16x16x16_f16 v[62:65], v[58:59], v[34:35], 0
	v_cvt_pkrtz_f16_f32 v31, v70, v71
	v_cvt_pk_f32_fp8_e32 v[58:59], v33
	s_barrier
	v_mfma_f32_16x16x16_f16 v[34:37], v[66:67], v[36:37], v[62:65]
	v_cvt_pkrtz_f16_f32 v58, v58, v59
	s_nop 1
	v_cvt_pk_f32_fp8_sdwa v[62:63], v33 src0_sel:WORD_1
	v_mfma_f32_16x16x16_f16 v[30:33], v[30:31], v[38:39], v[34:37]
	s_waitcnt vmcnt(2)
	v_cvt_pk_f32_fp8_e32 v[38:39], v19
	v_cvt_pkrtz_f16_f32 v59, v62, v63
	v_cvt_pk_f32_fp8_e32 v[34:35], v18
	v_cvt_pk_f32_fp8_sdwa v[36:37], v18 src0_sel:WORD_1
	v_cvt_pk_f32_fp8_sdwa v[18:19], v19 src0_sel:WORD_1
	v_mfma_f32_16x16x16_f16 v[30:33], v[58:59], v[40:41], v[30:33]
	v_cvt_pkrtz_f16_f32 v34, v34, v35
	v_cvt_pkrtz_f16_f32 v35, v36, v37
	;; [unrolled: 1-line block ×3, first 2 shown]
	v_cvt_pk_f32_fp8_e32 v[38:39], v20
	v_cvt_pk_f32_fp8_sdwa v[40:41], v20 src0_sel:WORD_1
	v_cvt_pkrtz_f16_f32 v37, v18, v19
	v_mfma_f32_16x16x16_f16 v[30:33], v[34:35], v[6:7], v[30:33]
	v_cvt_pkrtz_f16_f32 v18, v38, v39
	v_cvt_pkrtz_f16_f32 v19, v40, v41
	v_cvt_pk_f32_fp8_e32 v[34:35], v21
	v_cvt_pk_f32_fp8_sdwa v[20:21], v21 src0_sel:WORD_1
	v_mfma_f32_16x16x16_f16 v[6:9], v[36:37], v[8:9], v[30:33]
	s_nop 2
	v_cvt_pkrtz_f16_f32 v30, v34, v35
	v_cvt_pkrtz_f16_f32 v31, v20, v21
	v_mfma_f32_16x16x16_f16 v[6:9], v[18:19], v[42:43], v[6:9]
	s_waitcnt vmcnt(1)
	v_cvt_pk_f32_fp8_e32 v[18:19], v14
	v_cvt_pk_f32_fp8_sdwa v[20:21], v14 src0_sel:WORD_1
	v_cvt_pk_f32_fp8_sdwa v[32:33], v16 src0_sel:WORD_1
	v_mfma_f32_16x16x16_f16 v[6:9], v[30:31], v[44:45], v[6:9]
	v_cvt_pk_f32_fp8_e32 v[30:31], v15
	v_cvt_pkrtz_f16_f32 v18, v18, v19
	v_cvt_pkrtz_f16_f32 v19, v20, v21
	v_cvt_pk_f32_fp8_sdwa v[14:15], v15 src0_sel:WORD_1
	v_cvt_pkrtz_f16_f32 v20, v30, v31
	v_cvt_pk_f32_fp8_e32 v[30:31], v16
	v_mfma_f32_16x16x16_f16 v[6:9], v[18:19], v[2:3], v[6:9]
	v_cvt_pkrtz_f16_f32 v21, v14, v15
	v_cvt_pkrtz_f16_f32 v14, v30, v31
	;; [unrolled: 1-line block ×3, first 2 shown]
	v_cvt_pk_f32_fp8_e32 v[18:19], v17
	v_cvt_pk_f32_fp8_sdwa v[16:17], v17 src0_sel:WORD_1
	v_mfma_f32_16x16x16_f16 v[2:5], v[20:21], v[4:5], v[6:9]
	s_waitcnt vmcnt(0)
	v_cvt_pk_f32_fp8_sdwa v[20:21], v12 src0_sel:WORD_1
	s_nop 0
	v_cvt_pkrtz_f16_f32 v8, v18, v19
	v_cvt_pkrtz_f16_f32 v9, v16, v17
	v_mfma_f32_16x16x16_f16 v[2:5], v[14:15], v[46:47], v[2:5]
	v_cvt_pk_f32_fp8_e32 v[16:17], v10
	v_cvt_pk_f32_fp8_sdwa v[18:19], v10 src0_sel:WORD_1
	v_pk_mul_f32 v[6:7], v[24:25], s[4:5] op_sel_hi:[1,0]
	v_mfma_f32_16x16x16_f16 v[2:5], v[8:9], v[48:49], v[2:5]
	v_cvt_pk_f32_fp8_e32 v[8:9], v11
	v_cvt_pkrtz_f16_f32 v16, v16, v17
	v_cvt_pkrtz_f16_f32 v17, v18, v19
	v_cvt_pk_f32_fp8_sdwa v[10:11], v11 src0_sel:WORD_1
	v_cvt_pkrtz_f16_f32 v8, v8, v9
	v_cvt_pk_f32_fp8_e32 v[18:19], v12
	v_mfma_f32_16x16x16_f16 v[2:5], v[16:17], v[26:27], v[2:5]
	v_cvt_pkrtz_f16_f32 v9, v10, v11
	v_cvt_pkrtz_f16_f32 v10, v18, v19
	;; [unrolled: 1-line block ×3, first 2 shown]
	v_cvt_pk_f32_fp8_e32 v[16:17], v13
	v_cvt_pk_f32_fp8_sdwa v[12:13], v13 src0_sel:WORD_1
	v_mfma_f32_16x16x16_f16 v[2:5], v[8:9], v[28:29], v[2:5]
	v_pk_mul_f32 v[14:15], v[22:23], s[4:5] op_sel_hi:[1,0]
	v_cvt_pkrtz_f16_f32 v8, v16, v17
	v_cvt_pkrtz_f16_f32 v9, v12, v13
	v_mfma_f32_16x16x16_f16 v[2:5], v[10:11], v[50:51], v[2:5]
	v_cvt_f16_f32_e32 v14, v14
	v_cvt_f16_f32_e32 v10, v15
	v_cvt_f16_f32_e32 v6, v6
	v_mfma_f32_16x16x16_f16 v[2:5], v[8:9], v[52:53], v[2:5]
	v_cvt_f16_f32_e32 v7, v7
	s_nop 5
	v_pk_mul_f32 v[4:5], v[4:5], s[4:5] op_sel_hi:[1,0]
	v_pk_mul_f32 v[2:3], v[2:3], s[4:5] op_sel_hi:[1,0]
	v_cvt_f16_f32_e32 v11, v4
	v_cvt_f16_f32_e32 v8, v2
	;; [unrolled: 1-line block ×4, first 2 shown]
	v_pack_b32_f16 v2, v14, v10
	v_pack_b32_f16 v3, v6, v7
	;; [unrolled: 1-line block ×4, first 2 shown]
	ds_write2st64_b64 v55, v[2:3], v[4:5] offset1:1
	s_waitcnt lgkmcnt(0)
	s_barrier
	s_and_saveexec_b64 s[4:5], vcc
	s_cbranch_execz .LBB977_20
; %bb.18:
	s_load_dwordx2 s[4:5], s[0:1], 0x68
	s_lshl_b32 s0, s7, 7
	s_mul_i32 s1, s8, s2
	v_lshlrev_b32_e32 v3, 6, v56
	s_mul_hi_u32 s9, s1, s0
	s_mul_i32 s8, s1, s0
	v_lshl_or_b32 v0, v0, 10, v3
	s_lshl_b64 s[8:9], s[8:9], 1
	v_lshlrev_b32_e32 v2, 5, v60
	v_and_b32_e32 v1, 16, v1
	v_and_b32_e32 v0, 0x1a00, v0
	s_waitcnt lgkmcnt(0)
	s_add_u32 s1, s4, s8
	v_or3_b32 v2, v0, v2, v1
	s_addc_u32 s4, s5, s9
	s_lshl_b32 s2, s6, 7
	s_lshl_b64 s[2:3], s[2:3], 1
	ds_read_b128 v[4:7], v2 offset:128
	ds_read_b128 v[8:11], v2
	s_add_u32 s2, s1, s2
	s_addc_u32 s3, s4, s3
	v_mov_b32_e32 v55, 0
	v_add_u32_e32 v14, s48, v60
	v_lshl_add_u64 v[0:1], s[2:3], 0, v[54:55]
	v_mad_u64_u32 v[12:13], s[2:3], v14, s0, 0
	v_lshl_add_u64 v[12:13], v[12:13], 1, v[0:1]
	s_waitcnt lgkmcnt(0)
	global_store_dwordx4 v[12:13], v[8:11], off
	v_or_b32_e32 v3, 8, v60
	v_cmp_gt_u32_e32 vcc, 10, v3
	v_add_u32_e32 v8, 4, v14
	v_mad_u64_u32 v[8:9], s[2:3], v8, s0, 0
	v_lshl_add_u64 v[8:9], v[8:9], 1, v[0:1]
	global_store_dwordx4 v[8:9], v[4:7], off
	s_and_b64 exec, exec, vcc
	s_cbranch_execz .LBB977_20
; %bb.19:
	ds_read_b128 v[4:7], v2 offset:256
	v_add_u32_e32 v2, s48, v3
	v_mad_u64_u32 v[2:3], s[0:1], v2, s0, 0
	v_lshl_add_u64 v[0:1], v[2:3], 1, v[0:1]
	s_waitcnt lgkmcnt(0)
	global_store_dwordx4 v[0:1], v[4:7], off
.LBB977_20:
	s_endpgm
	.section	.rodata,"a",@progbits
	.p2align	6, 0x0
	.amdhsa_kernel _Z39paged_attention_ll4mi_QKV_mfma16_kernelIDF16_hLN4vllm18Fp8KVCacheDataTypeE1EDF16_Li16ELi128ELi256ELb1ELi10EEvPKT_PKT0_S7_ifPKiS9_S9_iPKfiiiPfSC_PS2_PT2_iSB_SB_
		.amdhsa_group_segment_fixed_size 8192
		.amdhsa_private_segment_fixed_size 0
		.amdhsa_kernarg_size 400
		.amdhsa_user_sgpr_count 2
		.amdhsa_user_sgpr_dispatch_ptr 0
		.amdhsa_user_sgpr_queue_ptr 0
		.amdhsa_user_sgpr_kernarg_segment_ptr 1
		.amdhsa_user_sgpr_dispatch_id 0
		.amdhsa_user_sgpr_kernarg_preload_length 0
		.amdhsa_user_sgpr_kernarg_preload_offset 0
		.amdhsa_user_sgpr_private_segment_size 0
		.amdhsa_uses_dynamic_stack 0
		.amdhsa_enable_private_segment 0
		.amdhsa_system_sgpr_workgroup_id_x 1
		.amdhsa_system_sgpr_workgroup_id_y 1
		.amdhsa_system_sgpr_workgroup_id_z 1
		.amdhsa_system_sgpr_workgroup_info 0
		.amdhsa_system_vgpr_workitem_id 0
		.amdhsa_next_free_vgpr 76
		.amdhsa_next_free_sgpr 50
		.amdhsa_accum_offset 76
		.amdhsa_reserve_vcc 1
		.amdhsa_float_round_mode_32 0
		.amdhsa_float_round_mode_16_64 0
		.amdhsa_float_denorm_mode_32 3
		.amdhsa_float_denorm_mode_16_64 3
		.amdhsa_dx10_clamp 1
		.amdhsa_ieee_mode 1
		.amdhsa_fp16_overflow 0
		.amdhsa_tg_split 0
		.amdhsa_exception_fp_ieee_invalid_op 0
		.amdhsa_exception_fp_denorm_src 0
		.amdhsa_exception_fp_ieee_div_zero 0
		.amdhsa_exception_fp_ieee_overflow 0
		.amdhsa_exception_fp_ieee_underflow 0
		.amdhsa_exception_fp_ieee_inexact 0
		.amdhsa_exception_int_div_zero 0
	.end_amdhsa_kernel
	.section	.text._Z39paged_attention_ll4mi_QKV_mfma16_kernelIDF16_hLN4vllm18Fp8KVCacheDataTypeE1EDF16_Li16ELi128ELi256ELb1ELi10EEvPKT_PKT0_S7_ifPKiS9_S9_iPKfiiiPfSC_PS2_PT2_iSB_SB_,"axG",@progbits,_Z39paged_attention_ll4mi_QKV_mfma16_kernelIDF16_hLN4vllm18Fp8KVCacheDataTypeE1EDF16_Li16ELi128ELi256ELb1ELi10EEvPKT_PKT0_S7_ifPKiS9_S9_iPKfiiiPfSC_PS2_PT2_iSB_SB_,comdat
.Lfunc_end977:
	.size	_Z39paged_attention_ll4mi_QKV_mfma16_kernelIDF16_hLN4vllm18Fp8KVCacheDataTypeE1EDF16_Li16ELi128ELi256ELb1ELi10EEvPKT_PKT0_S7_ifPKiS9_S9_iPKfiiiPfSC_PS2_PT2_iSB_SB_, .Lfunc_end977-_Z39paged_attention_ll4mi_QKV_mfma16_kernelIDF16_hLN4vllm18Fp8KVCacheDataTypeE1EDF16_Li16ELi128ELi256ELb1ELi10EEvPKT_PKT0_S7_ifPKiS9_S9_iPKfiiiPfSC_PS2_PT2_iSB_SB_
                                        ; -- End function
	.section	.AMDGPU.csdata,"",@progbits
; Kernel info:
; codeLenInByte = 6304
; NumSgprs: 56
; NumVgprs: 76
; NumAgprs: 0
; TotalNumVgprs: 76
; ScratchSize: 0
; MemoryBound: 0
; FloatMode: 240
; IeeeMode: 1
; LDSByteSize: 8192 bytes/workgroup (compile time only)
; SGPRBlocks: 6
; VGPRBlocks: 9
; NumSGPRsForWavesPerEU: 56
; NumVGPRsForWavesPerEU: 76
; AccumOffset: 76
; Occupancy: 6
; WaveLimiterHint : 1
; COMPUTE_PGM_RSRC2:SCRATCH_EN: 0
; COMPUTE_PGM_RSRC2:USER_SGPR: 2
; COMPUTE_PGM_RSRC2:TRAP_HANDLER: 0
; COMPUTE_PGM_RSRC2:TGID_X_EN: 1
; COMPUTE_PGM_RSRC2:TGID_Y_EN: 1
; COMPUTE_PGM_RSRC2:TGID_Z_EN: 1
; COMPUTE_PGM_RSRC2:TIDIG_COMP_CNT: 0
; COMPUTE_PGM_RSRC3_GFX90A:ACCUM_OFFSET: 18
; COMPUTE_PGM_RSRC3_GFX90A:TG_SPLIT: 0
	.section	.text._Z39paged_attention_ll4mi_QKV_mfma16_kernelIDF16_hLN4vllm18Fp8KVCacheDataTypeE1EDF16_Li16ELi128ELi256ELb1ELi11EEvPKT_PKT0_S7_ifPKiS9_S9_iPKfiiiPfSC_PS2_PT2_iSB_SB_,"axG",@progbits,_Z39paged_attention_ll4mi_QKV_mfma16_kernelIDF16_hLN4vllm18Fp8KVCacheDataTypeE1EDF16_Li16ELi128ELi256ELb1ELi11EEvPKT_PKT0_S7_ifPKiS9_S9_iPKfiiiPfSC_PS2_PT2_iSB_SB_,comdat
	.protected	_Z39paged_attention_ll4mi_QKV_mfma16_kernelIDF16_hLN4vllm18Fp8KVCacheDataTypeE1EDF16_Li16ELi128ELi256ELb1ELi11EEvPKT_PKT0_S7_ifPKiS9_S9_iPKfiiiPfSC_PS2_PT2_iSB_SB_ ; -- Begin function _Z39paged_attention_ll4mi_QKV_mfma16_kernelIDF16_hLN4vllm18Fp8KVCacheDataTypeE1EDF16_Li16ELi128ELi256ELb1ELi11EEvPKT_PKT0_S7_ifPKiS9_S9_iPKfiiiPfSC_PS2_PT2_iSB_SB_
	.globl	_Z39paged_attention_ll4mi_QKV_mfma16_kernelIDF16_hLN4vllm18Fp8KVCacheDataTypeE1EDF16_Li16ELi128ELi256ELb1ELi11EEvPKT_PKT0_S7_ifPKiS9_S9_iPKfiiiPfSC_PS2_PT2_iSB_SB_
	.p2align	8
	.type	_Z39paged_attention_ll4mi_QKV_mfma16_kernelIDF16_hLN4vllm18Fp8KVCacheDataTypeE1EDF16_Li16ELi128ELi256ELb1ELi11EEvPKT_PKT0_S7_ifPKiS9_S9_iPKfiiiPfSC_PS2_PT2_iSB_SB_,@function
_Z39paged_attention_ll4mi_QKV_mfma16_kernelIDF16_hLN4vllm18Fp8KVCacheDataTypeE1EDF16_Li16ELi128ELi256ELb1ELi11EEvPKT_PKT0_S7_ifPKiS9_S9_iPKfiiiPfSC_PS2_PT2_iSB_SB_: ; @_Z39paged_attention_ll4mi_QKV_mfma16_kernelIDF16_hLN4vllm18Fp8KVCacheDataTypeE1EDF16_Li16ELi128ELi256ELb1ELi11EEvPKT_PKT0_S7_ifPKiS9_S9_iPKfiiiPfSC_PS2_PT2_iSB_SB_
; %bb.0:
	s_load_dwordx2 s[10:11], s[0:1], 0x30
	s_mov_b32 s6, s3
	s_mov_b64 s[8:9], 0
	s_waitcnt lgkmcnt(0)
	s_cmp_lg_u64 s[10:11], 0
	s_cselect_b64 s[12:13], -1, 0
	s_and_b64 vcc, exec, s[12:13]
	s_cbranch_vccz .LBB978_7
; %bb.1:
	s_add_i32 s14, s2, 1
	s_mov_b32 s15, 0
	s_lshl_b64 s[16:17], s[14:15], 2
	s_add_u32 s16, s10, s16
	s_mov_b32 s3, s15
	s_addc_u32 s17, s11, s17
	s_lshl_b64 s[14:15], s[2:3], 2
	s_add_u32 s14, s10, s14
	s_addc_u32 s15, s11, s15
	s_load_dword s5, s[16:17], 0x0
	s_load_dword s7, s[14:15], 0x0
	s_waitcnt lgkmcnt(0)
	s_sub_i32 s5, s5, s7
	s_cmp_eq_u32 s5, 1
	s_cselect_b64 s[14:15], -1, 0
	s_andn2_b64 vcc, exec, s[8:9]
	s_cbranch_vccnz .LBB978_3
.LBB978_2:
	s_mov_b32 s3, 0
	s_mov_b64 s[14:15], -1
.LBB978_3:
	s_andn2_b64 vcc, exec, s[14:15]
	s_cbranch_vccnz .LBB978_20
; %bb.4:
	s_load_dwordx2 s[8:9], s[0:1], 0x28
	s_lshl_b64 s[14:15], s[2:3], 2
	s_waitcnt lgkmcnt(0)
	s_add_u32 s8, s8, s14
	s_addc_u32 s9, s9, s15
	s_load_dword s7, s[8:9], 0x0
	s_lshl_b32 s18, s6, 8
	s_waitcnt lgkmcnt(0)
	s_cmp_ge_i32 s18, s7
	s_cbranch_scc1 .LBB978_20
; %bb.5:
	s_load_dwordx2 s[8:9], s[0:1], 0x20
	s_load_dword s5, s[0:1], 0x38
	s_add_i32 s16, s7, 15
	s_ashr_i32 s17, s16, 31
	v_and_b32_e32 v1, 0xcf, v0
	s_lshr_b32 s17, s17, 28
	v_add_u32_e32 v1, s18, v1
	s_add_i32 s16, s16, s17
	v_ashrrev_i32_e32 v2, 31, v1
	s_ashr_i32 s19, s16, 4
	v_lshrrev_b32_e32 v4, 28, v2
	s_add_i32 s19, s19, -1
	s_waitcnt lgkmcnt(0)
	s_mul_i32 s16, s2, s5
	s_mov_b32 s17, 0
	v_add_u32_e32 v2, v1, v4
	s_lshl_b64 s[16:17], s[16:17], 2
	v_ashrrev_i32_e32 v2, 4, v2
	v_mov_b32_e32 v5, s19
	v_cmp_gt_i32_e32 vcc, s7, v1
	s_add_u32 s8, s8, s16
	s_addc_u32 s9, s9, s17
	v_cndmask_b32_e32 v2, v5, v2, vcc
	v_ashrrev_i32_e32 v3, 31, v2
	v_lshl_add_u64 v[6:7], v[2:3], 2, s[8:9]
	v_or_b32_e32 v2, 16, v1
	v_add_u32_e32 v3, v2, v4
	v_ashrrev_i32_e32 v3, 4, v3
	v_cmp_gt_i32_e32 vcc, s7, v2
	s_load_dwordx2 s[16:17], s[0:1], 0x8
	s_nop 0
	v_cndmask_b32_e32 v2, v5, v3, vcc
	v_ashrrev_i32_e32 v3, 31, v2
	v_lshl_add_u64 v[8:9], v[2:3], 2, s[8:9]
	v_or_b32_e32 v2, 32, v1
	v_add_u32_e32 v3, v2, v4
	v_ashrrev_i32_e32 v3, 4, v3
	v_cmp_gt_i32_e32 vcc, s7, v2
	v_or_b32_e32 v1, 48, v1
	s_nop 0
	v_cndmask_b32_e32 v2, v5, v3, vcc
	v_ashrrev_i32_e32 v3, 31, v2
	v_lshl_add_u64 v[12:13], v[2:3], 2, s[8:9]
	v_add_u32_e32 v2, v1, v4
	v_ashrrev_i32_e32 v2, 4, v2
	v_cmp_gt_i32_e32 vcc, s7, v1
	s_nop 1
	v_cndmask_b32_e32 v2, v5, v2, vcc
	v_ashrrev_i32_e32 v3, 31, v2
	v_lshl_add_u64 v[14:15], v[2:3], 2, s[8:9]
	global_load_dword v4, v[6:7], off
	global_load_dword v3, v[8:9], off
	;; [unrolled: 1-line block ×4, first 2 shown]
	s_andn2_b64 vcc, exec, s[12:13]
	s_cbranch_vccnz .LBB978_8
; %bb.6:
	s_add_u32 s10, s10, s14
	s_addc_u32 s11, s11, s15
	s_load_dword s5, s[10:11], 0x0
	s_branch .LBB978_9
.LBB978_7:
	s_mov_b64 s[14:15], 0
	s_branch .LBB978_2
.LBB978_8:
	s_mov_b32 s5, s2
.LBB978_9:
	s_load_dwordx2 s[10:11], s[0:1], 0x10
	s_load_dwordx4 s[44:47], s[0:1], 0x48
	v_lshrrev_b32_e32 v57, 6, v0
	v_bfe_u32 v60, v0, 4, 2
	v_and_b32_e32 v56, 15, v0
	v_lshl_or_b32 v5, v57, 2, v60
	v_lshlrev_b32_e32 v1, 3, v56
	s_mul_i32 s48, s4, 11
	v_cmp_gt_u32_e32 vcc, 11, v5
	v_lshlrev_b32_e32 v54, 1, v1
	v_lshlrev_b32_e32 v1, 4, v0
	s_and_saveexec_b64 s[12:13], vcc
	s_cbranch_execz .LBB978_11
; %bb.10:
	s_load_dwordx2 s[14:15], s[0:1], 0x0
	s_waitcnt lgkmcnt(0)
	s_ashr_i32 s20, s44, 31
	s_mul_hi_u32 s21, s5, s44
	s_mul_i32 s20, s5, s20
	s_add_i32 s21, s21, s20
	s_mul_i32 s20, s5, s44
	s_lshl_b64 s[20:21], s[20:21], 1
	s_add_u32 s14, s14, s20
	v_add_lshl_u32 v6, v5, s48, 7
	s_addc_u32 s15, s15, s21
	v_ashrrev_i32_e32 v7, 31, v6
	v_lshl_add_u64 v[6:7], v[6:7], 1, s[14:15]
	v_mov_b32_e32 v55, 0
	v_lshl_add_u64 v[6:7], v[6:7], 0, v[54:55]
	global_load_dwordx4 v[6:9], v[6:7], off
	v_lshlrev_b32_e32 v12, 8, v0
	v_lshlrev_b32_e32 v11, 8, v56
	v_and_b32_e32 v12, 0x600, v12
	s_movk_i32 s5, 0x800
	v_and_or_b32 v11, v11, s5, v12
	v_lshlrev_b32_e32 v5, 5, v5
	v_and_b32_e32 v12, 16, v1
	v_or3_b32 v5, v11, v5, v12
	s_waitcnt vmcnt(0)
	ds_write_b128 v5, v[6:9]
.LBB978_11:
	s_or_b64 exec, exec, s[12:13]
	s_waitcnt lgkmcnt(0)
	s_mul_i32 s12, s4, s46
	s_add_u32 s4, s16, s12
	s_addc_u32 s5, s17, 0
	v_and_b32_e32 v58, 0xf0, v1
	v_mov_b32_e32 v59, 0
	v_and_b32_e32 v34, 48, v0
	v_lshl_add_u64 v[12:13], s[4:5], 0, v[58:59]
	v_lshlrev_b32_e32 v58, 4, v34
	s_waitcnt vmcnt(3)
	v_mad_i64_i32 v[4:5], s[4:5], v4, s45, v[12:13]
	v_lshl_add_u64 v[4:5], v[4:5], 0, v[58:59]
	s_barrier
	global_load_dwordx4 v[50:53], v[4:5], off
	global_load_dwordx4 v[46:49], v[4:5], off offset:1024
	s_waitcnt vmcnt(4)
	v_mad_i64_i32 v[4:5], s[4:5], v3, s45, v[12:13]
	s_waitcnt vmcnt(3)
	v_mad_i64_i32 v[2:3], s[4:5], v2, s45, v[12:13]
	v_lshl_add_u64 v[4:5], v[4:5], 0, v[58:59]
	v_lshl_add_u64 v[14:15], v[2:3], 0, v[58:59]
	s_waitcnt vmcnt(2)
	v_mad_i64_i32 v[10:11], s[4:5], v10, s45, v[12:13]
	global_load_dwordx4 v[36:39], v[4:5], off
	global_load_dwordx4 v[6:9], v[4:5], off offset:1024
	s_nop 0
	global_load_dwordx4 v[2:5], v[14:15], off
	global_load_dwordx4 v[42:45], v[14:15], off offset:1024
	v_lshl_add_u64 v[14:15], v[10:11], 0, v[58:59]
	global_load_dwordx4 v[26:29], v[14:15], off
	global_load_dwordx4 v[10:13], v[14:15], off offset:1024
	v_add_u32_e32 v14, -11, v56
	v_cmp_gt_u32_e32 vcc, 11, v56
	v_and_b32_e32 v55, 63, v0
	v_mov_b32_e32 v61, 0
	v_cndmask_b32_e32 v14, v14, v56, vcc
	v_lshlrev_b32_e32 v14, 5, v14
	v_lshl_add_u32 v14, v60, 9, v14
	ds_read_b128 v[30:33], v14
	ds_read_b128 v[22:25], v14 offset:16
	ds_read_b128 v[18:21], v14 offset:2048
	;; [unrolled: 1-line block ×3, first 2 shown]
	s_and_saveexec_b64 s[4:5], vcc
	s_cbranch_execz .LBB978_13
; %bb.12:
	s_load_dwordx2 s[14:15], s[0:1], 0x40
	v_add_u32_e32 v40, s48, v56
	v_ashrrev_i32_e32 v41, 31, v40
	s_waitcnt lgkmcnt(0)
	v_lshl_add_u64 v[40:41], v[40:41], 2, s[14:15]
	global_load_dword v61, v[40:41], off
.LBB978_13:
	s_or_b64 exec, exec, s[4:5]
	v_or_b32_e32 v58, s18, v34
	v_ashrrev_i32_e32 v34, 4, v58
	v_mov_b32_e32 v63, s19
	v_cmp_gt_i32_e32 vcc, s7, v58
	s_waitcnt vmcnt(7)
	v_cvt_pk_f32_fp8_e32 v[40:41], v50
	v_cvt_pk_f32_fp8_sdwa v[64:65], v50 src0_sel:WORD_1
	v_cndmask_b32_e32 v34, v63, v34, vcc
	v_ashrrev_i32_e32 v35, 31, v34
	v_lshl_add_u64 v[34:35], v[34:35], 2, s[8:9]
	global_load_dword v62, v[34:35], off
	v_or_b32_e32 v34, 64, v58
	v_ashrrev_i32_e32 v35, 4, v34
	v_cmp_gt_i32_e32 vcc, s7, v34
	v_or_b32_e32 v66, 0x80, v58
	v_ashrrev_i32_e32 v67, 4, v66
	v_cndmask_b32_e32 v34, v63, v35, vcc
	v_cmp_gt_i32_e32 vcc, s7, v66
	v_cvt_pkrtz_f16_f32 v40, v40, v41
	v_cvt_pkrtz_f16_f32 v41, v64, v65
	v_cndmask_b32_e32 v50, v63, v67, vcc
	v_cvt_pk_f32_fp8_e32 v[64:65], v51
	v_cvt_pk_f32_fp8_sdwa v[66:67], v51 src0_sel:WORD_1
	v_ashrrev_i32_e32 v51, 31, v50
	v_lshl_add_u64 v[68:69], v[50:51], 2, s[8:9]
	v_cvt_pkrtz_f16_f32 v50, v64, v65
	v_cvt_pkrtz_f16_f32 v51, v66, v67
	s_waitcnt lgkmcnt(3)
	v_mfma_f32_16x16x16_f16 v[64:67], v[40:41], v[30:31], 0
	v_cvt_pk_f32_fp8_e32 v[40:41], v52
	v_cvt_pk_f32_fp8_sdwa v[70:71], v52 src0_sel:WORD_1
	s_waitcnt vmcnt(7)
	v_cvt_pk_f32_fp8_e32 v[72:73], v46
	v_mfma_f32_16x16x16_f16 v[64:67], v[50:51], v[32:33], v[64:67]
	v_cvt_pk_f32_fp8_e32 v[50:51], v53
	v_cvt_pkrtz_f16_f32 v40, v40, v41
	v_cvt_pkrtz_f16_f32 v41, v70, v71
	v_cvt_pk_f32_fp8_sdwa v[52:53], v53 src0_sel:WORD_1
	v_cvt_pkrtz_f16_f32 v70, v50, v51
	v_cvt_pk_f32_fp8_sdwa v[74:75], v46 src0_sel:WORD_1
	v_ashrrev_i32_e32 v35, 31, v34
	v_cvt_pkrtz_f16_f32 v71, v52, v53
	s_waitcnt lgkmcnt(2)
	v_mfma_f32_16x16x16_f16 v[50:53], v[40:41], v[22:23], v[64:67]
	v_cvt_pkrtz_f16_f32 v40, v72, v73
	v_cvt_pkrtz_f16_f32 v41, v74, v75
	v_or_b32_e32 v58, 0xc0, v58
	v_cvt_pk_f32_fp8_e32 v[64:65], v47
	v_cvt_pk_f32_fp8_sdwa v[46:47], v47 src0_sel:WORD_1
	v_mfma_f32_16x16x16_f16 v[50:53], v[70:71], v[24:25], v[50:53]
	v_lshl_add_u64 v[34:35], v[34:35], 2, s[8:9]
	v_cvt_pkrtz_f16_f32 v64, v64, v65
	v_cvt_pkrtz_f16_f32 v65, v46, v47
	s_waitcnt lgkmcnt(1)
	v_mfma_f32_16x16x16_f16 v[50:53], v[40:41], v[18:19], v[50:53]
	v_ashrrev_i32_e32 v66, 4, v58
	v_cmp_gt_i32_e32 vcc, s7, v58
	v_cvt_pk_f32_fp8_e32 v[46:47], v48
	s_waitcnt vmcnt(6)
	v_cvt_pk_f32_fp8_sdwa v[70:71], v36 src0_sel:WORD_1
	v_cndmask_b32_e32 v40, v63, v66, vcc
	v_mfma_f32_16x16x16_f16 v[64:67], v[64:65], v[20:21], v[50:53]
	v_ashrrev_i32_e32 v41, 31, v40
	v_lshl_add_u64 v[40:41], v[40:41], 2, s[8:9]
	v_cvt_pkrtz_f16_f32 v46, v46, v47
	global_load_dword v53, v[34:35], off
	global_load_dword v63, v[40:41], off
	v_cvt_pk_f32_fp8_sdwa v[50:51], v48 src0_sel:WORD_1
	v_cvt_pk_f32_fp8_e32 v[34:35], v49
	v_cvt_pk_f32_fp8_sdwa v[48:49], v49 src0_sel:WORD_1
	s_add_u32 s46, s10, s12
	v_cvt_pkrtz_f16_f32 v47, v50, v51
	v_cvt_pkrtz_f16_f32 v34, v34, v35
	;; [unrolled: 1-line block ×3, first 2 shown]
	s_waitcnt lgkmcnt(0)
	v_mfma_f32_16x16x16_f16 v[46:49], v[46:47], v[14:15], v[64:67]
	v_cvt_pk_f32_fp8_e32 v[50:51], v36
	s_nop 1
	global_load_dword v64, v[68:69], off
	v_cvt_pk_f32_fp8_e32 v[66:67], v37
	s_waitcnt vmcnt(8)
	v_cvt_pk_f32_fp8_e32 v[68:69], v6
	v_cvt_pkrtz_f16_f32 v50, v50, v51
	v_cvt_pkrtz_f16_f32 v51, v70, v71
	v_cvt_pk_f32_fp8_sdwa v[70:71], v37 src0_sel:WORD_1
	v_cvt_pkrtz_f16_f32 v40, v66, v67
	v_mfma_f32_16x16x16_f16 v[34:37], v[34:35], v[16:17], v[46:49]
	v_cvt_pk_f32_fp8_sdwa v[66:67], v38 src0_sel:WORD_1
	v_cvt_pkrtz_f16_f32 v41, v70, v71
	v_cvt_pk_f32_fp8_sdwa v[70:71], v6 src0_sel:WORD_1
	v_mfma_f32_16x16x16_f16 v[46:49], v[50:51], v[30:31], 0
	v_cvt_pk_f32_fp8_e32 v[50:51], v38
	v_lshl_or_b32 v52, v57, 4, v56
	s_waitcnt vmcnt(6)
	v_cvt_pk_f32_fp8_e32 v[72:73], v43
	v_mfma_f32_16x16x16_f16 v[46:49], v[40:41], v[32:33], v[46:49]
	v_cvt_pk_f32_fp8_e32 v[40:41], v39
	v_cvt_pkrtz_f16_f32 v50, v50, v51
	v_cvt_pkrtz_f16_f32 v51, v66, v67
	v_cvt_pk_f32_fp8_sdwa v[38:39], v39 src0_sel:WORD_1
	v_cvt_pkrtz_f16_f32 v66, v40, v41
	s_addc_u32 s47, s11, 0
	v_lshlrev_b32_e32 v58, 4, v52
	v_cvt_pkrtz_f16_f32 v67, v38, v39
	v_mfma_f32_16x16x16_f16 v[38:41], v[50:51], v[22:23], v[46:49]
	v_cvt_pk_f32_fp8_sdwa v[50:51], v2 src0_sel:WORD_1
	s_nop 1
	v_cvt_pkrtz_f16_f32 v46, v68, v69
	v_cvt_pkrtz_f16_f32 v47, v70, v71
	v_cvt_pk_f32_fp8_e32 v[48:49], v7
	v_cvt_pk_f32_fp8_sdwa v[6:7], v7 src0_sel:WORD_1
	v_mfma_f32_16x16x16_f16 v[38:41], v[66:67], v[24:25], v[38:41]
	v_lshl_add_u64 v[70:71], s[46:47], 0, v[58:59]
	v_cvt_pkrtz_f16_f32 v48, v48, v49
	v_cvt_pkrtz_f16_f32 v49, v6, v7
	v_mfma_f32_16x16x16_f16 v[38:41], v[46:47], v[18:19], v[38:41]
	v_cvt_pk_f32_fp8_e32 v[6:7], v8
	v_cvt_pk_f32_fp8_sdwa v[46:47], v8 src0_sel:WORD_1
	v_or_b32_e32 v58, 0x400, v58
	v_mfma_f32_16x16x16_f16 v[38:41], v[48:49], v[20:21], v[38:41]
	v_cvt_pk_f32_fp8_e32 v[48:49], v9
	v_cvt_pkrtz_f16_f32 v6, v6, v7
	v_cvt_pkrtz_f16_f32 v7, v46, v47
	v_cvt_pk_f32_fp8_sdwa v[8:9], v9 src0_sel:WORD_1
	v_cvt_pkrtz_f16_f32 v46, v48, v49
	v_cvt_pk_f32_fp8_e32 v[48:49], v2
	v_cvt_pkrtz_f16_f32 v47, v8, v9
	v_mfma_f32_16x16x16_f16 v[6:9], v[6:7], v[14:15], v[38:41]
	v_cvt_pkrtz_f16_f32 v48, v48, v49
	v_cvt_pkrtz_f16_f32 v49, v50, v51
	v_cvt_pk_f32_fp8_e32 v[50:51], v3
	v_cvt_pk_f32_fp8_sdwa v[2:3], v3 src0_sel:WORD_1
	v_mfma_f32_16x16x16_f16 v[38:41], v[46:47], v[16:17], v[6:9]
	v_cvt_pkrtz_f16_f32 v46, v50, v51
	v_cvt_pkrtz_f16_f32 v47, v2, v3
	v_mfma_f32_16x16x16_f16 v[6:9], v[48:49], v[30:31], 0
	v_cvt_pk_f32_fp8_e32 v[2:3], v4
	v_cvt_pk_f32_fp8_sdwa v[48:49], v4 src0_sel:WORD_1
	s_waitcnt vmcnt(3)
	v_mad_i64_i32 v[50:51], s[4:5], v62, s45, v[70:71]
	v_cvt_pkrtz_f16_f32 v2, v2, v3
	v_cvt_pkrtz_f16_f32 v3, v48, v49
	v_mfma_f32_16x16x16_f16 v[6:9], v[46:47], v[32:33], v[6:9]
	v_cvt_pk_f32_fp8_e32 v[46:47], v5
	v_cvt_pk_f32_fp8_sdwa v[4:5], v5 src0_sel:WORD_1
	s_waitcnt vmcnt(2)
	v_mad_i64_i32 v[66:67], s[4:5], v53, s45, v[70:71]
	v_cvt_pkrtz_f16_f32 v46, v46, v47
	v_cvt_pkrtz_f16_f32 v47, v4, v5
	v_mfma_f32_16x16x16_f16 v[2:5], v[2:3], v[22:23], v[6:9]
	s_nop 2
	v_cvt_pk_f32_fp8_e32 v[6:7], v42
	v_cvt_pk_f32_fp8_sdwa v[8:9], v42 src0_sel:WORD_1
	v_cvt_pk_f32_fp8_sdwa v[42:43], v43 src0_sel:WORD_1
	v_mfma_f32_16x16x16_f16 v[46:49], v[46:47], v[24:25], v[2:5]
	v_cvt_pkrtz_f16_f32 v68, v6, v7
	v_cvt_pkrtz_f16_f32 v69, v8, v9
	global_load_dwordx4 v[6:9], v[50:51], off
	global_load_dwordx4 v[2:5], v[66:67], off
	v_cvt_pkrtz_f16_f32 v66, v72, v73
	v_cvt_pkrtz_f16_f32 v67, v42, v43
	v_mfma_f32_16x16x16_f16 v[48:51], v[68:69], v[18:19], v[46:49]
	v_cvt_pk_f32_fp8_e32 v[42:43], v44
	v_cvt_pk_f32_fp8_sdwa v[72:73], v44 src0_sel:WORD_1
	s_waitcnt vmcnt(2)
	v_mad_i64_i32 v[46:47], s[4:5], v64, s45, v[70:71]
	v_mfma_f32_16x16x16_f16 v[66:69], v[66:67], v[20:21], v[48:51]
	v_cvt_pkrtz_f16_f32 v42, v42, v43
	v_cvt_pkrtz_f16_f32 v43, v72, v73
	v_cvt_pk_f32_fp8_sdwa v[72:73], v26 src0_sel:WORD_1
	v_cvt_pk_f32_fp8_e32 v[50:51], v45
	v_cvt_pk_f32_fp8_sdwa v[44:45], v45 src0_sel:WORD_1
	v_mad_i64_i32 v[48:49], s[4:5], v63, s45, v[70:71]
	v_cvt_pkrtz_f16_f32 v50, v50, v51
	v_cvt_pkrtz_f16_f32 v51, v44, v45
	v_mfma_f32_16x16x16_f16 v[42:45], v[42:43], v[14:15], v[66:69]
	v_cvt_pk_f32_fp8_e32 v[70:71], v26
	s_load_dword s4, s[0:1], 0x1c
	s_load_dwordx4 s[40:43], s[0:1], 0x80
	s_load_dword s33, s[0:1], 0x98
	s_waitcnt lgkmcnt(0)
	s_load_dword s5, s[40:41], 0x0
	v_mfma_f32_16x16x16_f16 v[66:69], v[50:51], v[16:17], v[42:45]
	s_mov_b32 s40, 0xff7fffff
	s_nop 1
	v_cvt_pk_f32_fp8_e32 v[42:43], v27
	v_cvt_pkrtz_f16_f32 v44, v70, v71
	v_cvt_pkrtz_f16_f32 v45, v72, v73
	v_cvt_pk_f32_fp8_sdwa v[26:27], v27 src0_sel:WORD_1
	v_cvt_pkrtz_f16_f32 v50, v42, v43
	v_cvt_pk_f32_fp8_e32 v[70:71], v28
	v_cvt_pk_f32_fp8_sdwa v[72:73], v28 src0_sel:WORD_1
	v_cvt_pkrtz_f16_f32 v51, v26, v27
	v_mfma_f32_16x16x16_f16 v[42:45], v[44:45], v[30:31], 0
	v_cvt_pkrtz_f16_f32 v30, v70, v71
	v_cvt_pkrtz_f16_f32 v31, v72, v73
	v_cvt_pk_f32_fp8_e32 v[70:71], v29
	v_cvt_pk_f32_fp8_sdwa v[72:73], v29 src0_sel:WORD_1
	v_mfma_f32_16x16x16_f16 v[26:29], v[50:51], v[32:33], v[42:45]
	v_mov_b32_e32 v32, s4
	s_waitcnt lgkmcnt(0)
	v_mul_f32_e32 v50, s5, v32
	v_pk_mul_f32 v[32:33], v[50:51], v[34:35] op_sel_hi:[0,1]
	v_cvt_pkrtz_f16_f32 v42, v70, v71
	v_cvt_pkrtz_f16_f32 v43, v72, v73
	v_mfma_f32_16x16x16_f16 v[26:29], v[30:31], v[22:23], v[26:29]
	v_pk_mul_f32 v[30:31], v[50:51], v[36:37] op_sel_hi:[0,1]
	v_cvt_pk_f32_fp8_e32 v[22:23], v10
	v_cvt_pk_f32_fp8_sdwa v[70:71], v12 src0_sel:WORD_1
	v_mfma_f32_16x16x16_f16 v[34:37], v[42:43], v[24:25], v[26:29]
	v_cvt_pk_f32_fp8_sdwa v[24:25], v10 src0_sel:WORD_1
	v_cvt_pkrtz_f16_f32 v42, v22, v23
	v_pk_mul_f32 v[40:41], v[50:51], v[40:41] op_sel_hi:[0,1]
	v_cvt_pk_f32_fp8_e32 v[26:27], v11
	v_cvt_pk_f32_fp8_sdwa v[10:11], v11 src0_sel:WORD_1
	v_cvt_pkrtz_f16_f32 v43, v24, v25
	v_cvt_pkrtz_f16_f32 v44, v26, v27
	;; [unrolled: 1-line block ×3, first 2 shown]
	v_cvt_pk_f32_fp8_e32 v[10:11], v12
	v_mfma_f32_16x16x16_f16 v[34:37], v[42:43], v[18:19], v[34:37]
	global_load_dwordx4 v[26:29], v[46:47], off
	global_load_dwordx4 v[22:25], v[48:49], off
	v_cvt_pkrtz_f16_f32 v19, v70, v71
	v_cvt_pkrtz_f16_f32 v18, v10, v11
	v_cvt_pk_f32_fp8_e32 v[42:43], v13
	v_cvt_pk_f32_fp8_sdwa v[46:47], v13 src0_sel:WORD_1
	v_mfma_f32_16x16x16_f16 v[10:13], v[44:45], v[20:21], v[34:37]
	v_pk_mul_f32 v[44:45], v[50:51], v[38:39] op_sel_hi:[0,1]
	v_cvt_pkrtz_f16_f32 v20, v42, v43
	v_cvt_pkrtz_f16_f32 v21, v46, v47
	v_mfma_f32_16x16x16_f16 v[10:13], v[18:19], v[14:15], v[10:13]
	v_pk_mul_f32 v[38:39], v[50:51], v[68:69] op_sel_hi:[0,1]
	v_pk_mul_f32 v[42:43], v[50:51], v[66:67] op_sel_hi:[0,1]
	v_mfma_f32_16x16x16_f16 v[10:13], v[20:21], v[16:17], v[10:13]
	s_nop 6
	v_pk_mul_f32 v[36:37], v[50:51], v[10:11] op_sel_hi:[0,1]
	v_and_b32_e32 v10, 0xc0, v0
	v_add_u32_e32 v10, s18, v10
	v_lshl_or_b32 v10, v60, 2, v10
	v_or_b32_e32 v11, 1, v10
	v_pk_mul_f32 v[34:35], v[50:51], v[12:13] op_sel_hi:[0,1]
	v_subrev_u32_e32 v12, s7, v11
	v_add_u32_e32 v14, 1, v12
	v_add_u32_e32 v15, 2, v12
	v_cvt_f32_i32_e32 v13, v12
	v_cvt_f32_i32_e32 v14, v14
	;; [unrolled: 1-line block ×3, first 2 shown]
	v_add_u32_e32 v16, 3, v12
	v_fma_f32 v18, v61, v13, v32
	v_fmac_f32_e32 v33, v61, v14
	v_fma_f32 v48, v61, v15, v30
	v_add_u32_e32 v13, 16, v12
	v_add_u32_e32 v14, 17, v12
	;; [unrolled: 1-line block ×3, first 2 shown]
	v_cvt_f32_i32_e32 v16, v16
	v_cvt_f32_i32_e32 v13, v13
	;; [unrolled: 1-line block ×4, first 2 shown]
	v_fmac_f32_e32 v31, v61, v16
	v_add_u32_e32 v16, 19, v12
	v_fma_f32 v44, v61, v13, v44
	v_fmac_f32_e32 v45, v61, v14
	v_fma_f32 v40, v61, v15, v40
	v_add_u32_e32 v13, 32, v12
	v_add_u32_e32 v14, 33, v12
	;; [unrolled: 1-line block ×3, first 2 shown]
	v_cvt_f32_i32_e32 v16, v16
	v_cvt_f32_i32_e32 v13, v13
	;; [unrolled: 1-line block ×4, first 2 shown]
	v_fmac_f32_e32 v41, v61, v16
	v_add_u32_e32 v16, 35, v12
	v_fma_f32 v42, v61, v13, v42
	v_fmac_f32_e32 v43, v61, v14
	v_fma_f32 v38, v61, v15, v38
	v_add_u32_e32 v13, 48, v12
	v_add_u32_e32 v14, 49, v12
	;; [unrolled: 1-line block ×4, first 2 shown]
	v_cvt_f32_i32_e32 v12, v12
	v_cvt_f32_i32_e32 v13, v13
	;; [unrolled: 1-line block ×3, first 2 shown]
	v_cmp_gt_i32_e64 s[8:9], s7, v10
	v_fmac_f32_e32 v35, v61, v12
	v_mov_b32_e32 v12, 0xff7fffff
	v_cmp_gt_i32_e64 s[10:11], s7, v11
	v_fma_f32 v36, v61, v13, v36
	v_cndmask_b32_e64 v13, v12, v18, s[8:9]
	v_cndmask_b32_e64 v11, v12, v33, s[10:11]
	v_fmac_f32_e32 v37, v61, v14
	v_max3_f32 v11, v13, s40, v11
	v_or_b32_e32 v13, 2, v10
	v_or_b32_e32 v14, 3, v10
	v_cmp_gt_i32_e64 s[12:13], s7, v13
	v_cmp_gt_i32_e64 s[14:15], s7, v14
	v_cvt_f32_i32_e32 v16, v16
	v_cndmask_b32_e64 v13, v12, v48, s[12:13]
	v_cndmask_b32_e64 v14, v12, v31, s[14:15]
	v_max3_f32 v11, v11, v13, v14
	v_or_b32_e32 v13, 16, v10
	v_or_b32_e32 v14, 17, v10
	v_cmp_gt_i32_e64 s[16:17], s7, v13
	v_cmp_gt_i32_e64 s[18:19], s7, v14
	v_fmac_f32_e32 v39, v61, v16
	v_cndmask_b32_e64 v13, v12, v44, s[16:17]
	v_cndmask_b32_e64 v14, v12, v45, s[18:19]
	v_max3_f32 v11, v11, v13, v14
	v_or_b32_e32 v13, 18, v10
	v_or_b32_e32 v14, 19, v10
	v_cmp_gt_i32_e64 s[20:21], s7, v13
	v_cmp_gt_i32_e64 s[22:23], s7, v14
	v_cvt_f32_i32_e32 v15, v15
	v_cndmask_b32_e64 v13, v12, v40, s[20:21]
	v_cndmask_b32_e64 v14, v12, v41, s[22:23]
	v_max3_f32 v11, v11, v13, v14
	v_or_b32_e32 v13, 32, v10
	v_or_b32_e32 v14, 33, v10
	v_cmp_gt_i32_e64 s[24:25], s7, v13
	v_cmp_gt_i32_e64 s[26:27], s7, v14
	v_fma_f32 v34, v61, v15, v34
	v_cndmask_b32_e64 v13, v12, v42, s[24:25]
	v_cndmask_b32_e64 v14, v12, v43, s[26:27]
	v_max3_f32 v11, v11, v13, v14
	v_or_b32_e32 v13, 34, v10
	v_or_b32_e32 v14, 35, v10
	v_cmp_gt_i32_e64 s[28:29], s7, v13
	v_cmp_gt_i32_e64 s[30:31], s7, v14
	s_nop 0
	v_cndmask_b32_e64 v13, v12, v38, s[28:29]
	v_cndmask_b32_e64 v14, v12, v39, s[30:31]
	v_max3_f32 v11, v11, v13, v14
	v_or_b32_e32 v13, 48, v10
	v_or_b32_e32 v14, 49, v10
	v_cmp_gt_i32_e64 s[34:35], s7, v13
	v_cmp_gt_i32_e64 s[36:37], s7, v14
	s_nop 0
	v_cndmask_b32_e64 v13, v12, v36, s[34:35]
	v_cndmask_b32_e64 v14, v12, v37, s[36:37]
	v_max3_f32 v11, v11, v13, v14
	v_or_b32_e32 v13, 50, v10
	v_or_b32_e32 v10, 51, v10
	v_cmp_gt_i32_e32 vcc, s7, v13
	v_cmp_gt_i32_e64 s[4:5], s7, v10
	s_nop 0
	v_cndmask_b32_e32 v13, v12, v34, vcc
	v_cndmask_b32_e64 v10, v12, v35, s[4:5]
	v_max3_f32 v14, v11, v13, v10
	v_mbcnt_lo_u32_b32 v10, -1, 0
	v_mbcnt_hi_u32_b32 v15, -1, v10
	v_and_b32_e32 v10, 64, v15
	v_add_u32_e32 v16, 64, v10
	v_xor_b32_e32 v10, 32, v15
	v_cmp_lt_i32_e64 s[38:39], v10, v16
	s_nop 1
	v_cndmask_b32_e64 v10, v15, v10, s[38:39]
	v_lshlrev_b32_e32 v51, 2, v10
	ds_bpermute_b32 v17, v51, v14
	v_lshl_add_u64 v[10:11], s[46:47], 0, v[58:59]
	v_mad_i64_i32 v[12:13], s[38:39], v62, s45, v[10:11]
	s_waitcnt lgkmcnt(0)
	v_max_f32_e32 v17, v17, v17
	v_max_f32_e32 v19, v14, v17
	v_xor_b32_e32 v14, 16, v15
	v_cmp_lt_i32_e64 s[38:39], v14, v16
	s_nop 1
	v_cndmask_b32_e64 v14, v15, v14, s[38:39]
	v_lshlrev_b32_e32 v58, 2, v14
	ds_bpermute_b32 v20, v58, v19
	v_mad_i64_i32 v[14:15], s[38:39], v53, s45, v[10:11]
	v_mad_i64_i32 v[16:17], s[38:39], v64, s45, v[10:11]
	s_waitcnt lgkmcnt(0)
	v_max_f32_e32 v20, v20, v20
	v_max_f32_e32 v50, v19, v20
	v_sub_f32_e32 v18, v18, v50
	v_sub_f32_e32 v19, v33, v50
	v_mul_f32_e32 v18, 0x3fb8aa3b, v18
	v_mul_f32_e32 v19, 0x3fb8aa3b, v19
	v_exp_f32_e32 v18, v18
	v_exp_f32_e32 v19, v19
	v_sub_f32_e32 v49, v31, v50
	v_mad_i64_i32 v[10:11], s[38:39], v63, s45, v[10:11]
	v_cndmask_b32_e64 v46, 0, v18, s[8:9]
	v_cndmask_b32_e64 v47, 0, v19, s[10:11]
	global_load_dwordx4 v[30:33], v[12:13], off
	global_load_dwordx4 v[18:21], v[14:15], off
	v_sub_f32_e32 v12, v48, v50
	v_mul_f32_e32 v12, 0x3fb8aa3b, v12
	v_exp_f32_e32 v48, v12
	global_load_dwordx4 v[14:17], v[16:17], off
	s_nop 0
	global_load_dwordx4 v[10:13], v[10:11], off
	v_sub_f32_e32 v40, v40, v50
	v_sub_f32_e32 v42, v42, v50
	v_mul_f32_e32 v40, 0x3fb8aa3b, v40
	v_mul_f32_e32 v42, 0x3fb8aa3b, v42
	v_exp_f32_e32 v40, v40
	v_exp_f32_e32 v53, v42
	v_mul_f32_e32 v49, 0x3fb8aa3b, v49
	v_sub_f32_e32 v44, v44, v50
	v_exp_f32_e32 v49, v49
	v_mul_f32_e32 v44, 0x3fb8aa3b, v44
	v_sub_f32_e32 v45, v45, v50
	v_sub_f32_e32 v42, v43, v50
	v_exp_f32_e32 v44, v44
	v_mul_f32_e32 v45, 0x3fb8aa3b, v45
	v_mul_f32_e32 v42, 0x3fb8aa3b, v42
	v_exp_f32_e32 v45, v45
	v_sub_f32_e32 v41, v41, v50
	v_exp_f32_e32 v59, v42
	v_cndmask_b32_e64 v42, 0, v40, s[20:21]
	v_cndmask_b32_e64 v40, 0, v53, s[24:25]
	v_add_f32_e32 v53, 0, v46
	v_cndmask_b32_e64 v48, 0, v48, s[12:13]
	v_mul_f32_e32 v41, 0x3fb8aa3b, v41
	v_add_f32_e32 v53, v53, v47
	v_cndmask_b32_e64 v49, 0, v49, s[14:15]
	v_exp_f32_e32 v41, v41
	v_add_f32_e32 v53, v53, v48
	v_cndmask_b32_e64 v44, 0, v44, s[16:17]
	v_sub_f32_e32 v38, v38, v50
	v_add_f32_e32 v53, v53, v49
	v_cndmask_b32_e64 v45, 0, v45, s[18:19]
	v_sub_f32_e32 v39, v39, v50
	v_mul_f32_e32 v38, 0x3fb8aa3b, v38
	v_add_f32_e32 v53, v53, v44
	v_exp_f32_e32 v38, v38
	v_mul_f32_e32 v39, 0x3fb8aa3b, v39
	v_sub_f32_e32 v36, v36, v50
	v_add_f32_e32 v53, v53, v45
	v_cndmask_b32_e64 v43, 0, v41, s[22:23]
	v_exp_f32_e32 v39, v39
	v_mul_f32_e32 v36, 0x3fb8aa3b, v36
	v_sub_f32_e32 v37, v37, v50
	v_add_f32_e32 v53, v53, v42
	v_exp_f32_e32 v36, v36
	v_mul_f32_e32 v37, 0x3fb8aa3b, v37
	v_add_f32_e32 v53, v53, v43
	v_sub_f32_e32 v34, v34, v50
	v_cndmask_b32_e64 v41, 0, v59, s[26:27]
	v_exp_f32_e32 v37, v37
	v_add_f32_e32 v53, v53, v40
	v_mul_f32_e32 v34, 0x3fb8aa3b, v34
	v_sub_f32_e32 v35, v35, v50
	v_cndmask_b32_e64 v38, 0, v38, s[28:29]
	v_add_f32_e32 v53, v53, v41
	v_exp_f32_e32 v34, v34
	v_mul_f32_e32 v35, 0x3fb8aa3b, v35
	v_cndmask_b32_e64 v39, 0, v39, s[30:31]
	v_add_f32_e32 v53, v53, v38
	v_exp_f32_e32 v35, v35
	v_cndmask_b32_e64 v36, 0, v36, s[34:35]
	v_add_f32_e32 v53, v53, v39
	v_cndmask_b32_e64 v37, 0, v37, s[36:37]
	v_add_f32_e32 v53, v53, v36
	v_add_f32_e32 v53, v53, v37
	v_cndmask_b32_e32 v34, 0, v34, vcc
	v_add_f32_e32 v53, v53, v34
	v_cndmask_b32_e64 v35, 0, v35, s[4:5]
	v_add_f32_e32 v53, v53, v35
	ds_bpermute_b32 v51, v51, v53
	v_cmp_gt_u32_e32 vcc, 16, v55
	s_waitcnt lgkmcnt(0)
	s_barrier
	v_add_f32_e32 v51, v53, v51
	ds_bpermute_b32 v53, v58, v51
	s_and_saveexec_b64 s[4:5], vcc
	s_cbranch_execz .LBB978_15
; %bb.14:
	s_waitcnt lgkmcnt(0)
	v_add_f32_e32 v51, v51, v53
	v_lshlrev_b32_e32 v52, 2, v52
	ds_write2st64_b32 v52, v50, v51 offset1:1
.LBB978_15:
	s_or_b64 exec, exec, s[4:5]
	v_lshlrev_b32_e32 v51, 2, v56
	s_load_dword s7, s[0:1], 0x94
	s_waitcnt lgkmcnt(0)
	s_barrier
	ds_read2_b32 v[52:53], v51 offset1:16
	ds_read2_b32 v[58:59], v51 offset0:32 offset1:48
	ds_read2_b32 v[62:63], v51 offset0:64 offset1:80
	s_mul_i32 s8, s33, 11
	s_waitcnt lgkmcnt(2)
	v_max3_f32 v50, v52, s40, v53
	s_waitcnt lgkmcnt(1)
	v_max3_f32 v50, v50, v58, v59
	v_sub_f32_e32 v52, v52, v50
	v_mul_f32_e32 v52, 0x3fb8aa3b, v52
	v_exp_f32_e32 v55, v52
	v_sub_f32_e32 v52, v53, v50
	v_mul_f32_e32 v52, 0x3fb8aa3b, v52
	v_exp_f32_e32 v61, v52
	;; [unrolled: 3-line block ×3, first 2 shown]
	ds_read2_b32 v[52:53], v51 offset0:96 offset1:112
	v_sub_f32_e32 v51, v59, v50
	v_mul_f32_e32 v51, 0x3fb8aa3b, v51
	v_exp_f32_e32 v59, v51
	s_waitcnt lgkmcnt(1)
	v_fma_f32 v51, v55, v62, 0
	v_fmac_f32_e32 v51, v61, v63
	s_waitcnt lgkmcnt(0)
	v_fmac_f32_e32 v51, v58, v52
	v_fmac_f32_e32 v51, v59, v53
	v_add_f32_e32 v52, 0x358637bd, v51
	v_div_scale_f32 v53, s[4:5], v52, v52, 1.0
	v_rcp_f32_e32 v62, v53
	s_barrier
	v_fma_f32 v63, -v53, v62, 1.0
	v_fmac_f32_e32 v62, v63, v62
	v_div_scale_f32 v63, vcc, 1.0, v52, 1.0
	v_mul_f32_e32 v64, v63, v62
	v_fma_f32 v65, -v53, v64, v63
	v_fmac_f32_e32 v64, v65, v62
	v_fma_f32 v53, -v53, v64, v63
	v_div_fmas_f32 v53, v53, v62, v64
	v_cmp_eq_u32_e32 vcc, 1, v57
	v_div_fixup_f32 v52, v53, v52, 1.0
	s_nop 0
	v_cndmask_b32_e32 v53, v55, v61, vcc
	v_cmp_eq_u32_e32 vcc, 2, v57
	s_nop 1
	v_cndmask_b32_e32 v53, v53, v58, vcc
	v_cmp_eq_u32_e32 vcc, 3, v57
	s_nop 1
	v_cndmask_b32_e32 v53, v53, v59, vcc
	v_mul_f32_e32 v52, v53, v52
	v_pk_mul_f32 v[48:49], v[52:53], v[48:49] op_sel_hi:[0,1]
	v_pk_mul_f32 v[46:47], v[52:53], v[46:47] op_sel_hi:[0,1]
	v_cvt_f16_f32_e32 v53, v48
	v_cvt_f16_f32_e32 v49, v49
	;; [unrolled: 1-line block ×4, first 2 shown]
	v_pk_mul_f32 v[42:43], v[52:53], v[42:43] op_sel_hi:[0,1]
	v_pk_mul_f32 v[44:45], v[52:53], v[44:45] op_sel_hi:[0,1]
	v_pack_b32_f16 v49, v53, v49
	v_cvt_f16_f32_e32 v44, v44
	v_cvt_f16_f32_e32 v45, v45
	;; [unrolled: 1-line block ×4, first 2 shown]
	v_pack_b32_f16 v48, v46, v47
	v_lshlrev_b32_e32 v47, 3, v60
	v_lshlrev_b32_e32 v46, 5, v56
	;; [unrolled: 1-line block ×3, first 2 shown]
	v_or3_b32 v55, v42, v46, v47
	v_pack_b32_f16 v42, v44, v45
	v_pack_b32_f16 v43, v53, v43
	v_pk_mul_f32 v[38:39], v[52:53], v[38:39] op_sel_hi:[0,1]
	v_pk_mul_f32 v[40:41], v[52:53], v[40:41] op_sel_hi:[0,1]
	;; [unrolled: 1-line block ×4, first 2 shown]
	ds_write2st64_b64 v55, v[48:49], v[42:43] offset1:1
	v_cvt_f16_f32_e32 v40, v40
	v_cvt_f16_f32_e32 v41, v41
	;; [unrolled: 1-line block ×8, first 2 shown]
	v_pack_b32_f16 v34, v40, v41
	v_pack_b32_f16 v35, v38, v39
	;; [unrolled: 1-line block ×4, first 2 shown]
	v_cmp_gt_u32_e32 vcc, 11, v0
	ds_write2st64_b64 v55, v[34:35], v[36:37] offset0:2 offset1:3
	s_and_saveexec_b64 s[4:5], vcc
	s_cbranch_execz .LBB978_17
; %bb.16:
	s_mov_b32 s49, 0
	v_mov_b32_e32 v57, 0
	v_lshl_add_u64 v[34:35], s[48:49], 0, v[56:57]
	v_mov_b32_e32 v36, s8
	v_mad_u64_u32 v[34:35], s[10:11], s2, v36, v[34:35]
	s_mul_i32 s3, s3, s8
	v_mov_b32_e32 v36, s6
	v_mov_b32_e32 v37, v57
	s_load_dwordx4 s[12:15], s[0:1], 0x58
	v_add_u32_e32 v38, s3, v35
	v_mad_u64_u32 v[34:35], s[10:11], v34, s7, v[36:37]
	v_mov_b32_e32 v36, v35
	v_mad_u64_u32 v[36:37], s[10:11], v38, s7, v[36:37]
	v_mov_b32_e32 v35, v36
	v_lshlrev_b64 v[34:35], 2, v[34:35]
	s_waitcnt lgkmcnt(0)
	v_lshl_add_u64 v[36:37], s[14:15], 0, v[34:35]
	v_lshl_add_u64 v[34:35], s[12:13], 0, v[34:35]
	global_store_dword v[36:37], v50, off
	global_store_dword v[34:35], v51, off
.LBB978_17:
	s_or_b64 exec, exec, s[4:5]
	s_waitcnt vmcnt(7)
	v_cvt_pk_f32_fp8_e32 v[34:35], v6
	v_cvt_pk_f32_fp8_sdwa v[36:37], v6 src0_sel:WORD_1
	v_lshl_or_b32 v50, v60, 9, v46
	s_waitcnt lgkmcnt(0)
	s_barrier
	v_cvt_pk_f32_fp8_e32 v[38:39], v7
	v_cvt_pkrtz_f16_f32 v6, v34, v35
	v_cvt_pk_f32_fp8_sdwa v[40:41], v7 src0_sel:WORD_1
	v_cvt_pkrtz_f16_f32 v7, v36, v37
	ds_read_b128 v[34:37], v50
	v_cvt_pkrtz_f16_f32 v46, v38, v39
	v_cvt_pkrtz_f16_f32 v47, v40, v41
	ds_read_b128 v[38:41], v50 offset:16
	v_cvt_pk_f32_fp8_e32 v[48:49], v8
	v_cvt_pk_f32_fp8_sdwa v[52:53], v8 src0_sel:WORD_1
	s_waitcnt lgkmcnt(1)
	v_mfma_f32_16x16x16_f16 v[42:45], v[6:7], v[34:35], 0
	s_waitcnt vmcnt(6)
	v_cvt_pk_f32_fp8_e32 v[58:59], v4
	v_cvt_pkrtz_f16_f32 v6, v48, v49
	v_cvt_pkrtz_f16_f32 v7, v52, v53
	v_cvt_pk_f32_fp8_e32 v[48:49], v9
	v_mfma_f32_16x16x16_f16 v[42:45], v[46:47], v[36:37], v[42:45]
	v_cvt_pk_f32_fp8_sdwa v[46:47], v9 src0_sel:WORD_1
	v_cvt_pk_f32_fp8_sdwa v[62:63], v4 src0_sel:WORD_1
	v_cvt_pkrtz_f16_f32 v48, v48, v49
	s_waitcnt lgkmcnt(0)
	v_mfma_f32_16x16x16_f16 v[6:9], v[6:7], v[38:39], v[42:45]
	v_cvt_pkrtz_f16_f32 v49, v46, v47
	s_waitcnt vmcnt(5)
	v_cvt_pk_f32_fp8_sdwa v[66:67], v28 src0_sel:WORD_1
	s_waitcnt vmcnt(4)
	v_cvt_pk_f32_fp8_sdwa v[68:69], v24 src0_sel:WORD_1
	v_cvt_pk_f32_fp8_e32 v[42:43], v2
	v_mfma_f32_16x16x16_f16 v[46:49], v[48:49], v[40:41], v[6:9]
	s_waitcnt vmcnt(3)
	v_cvt_pk_f32_fp8_sdwa v[70:71], v32 src0_sel:WORD_1
	s_load_dword s4, s[42:43], 0x0
	v_cvt_pk_f32_fp8_sdwa v[6:7], v2 src0_sel:WORD_1
	v_cvt_pk_f32_fp8_e32 v[8:9], v3
	v_cvt_pkrtz_f16_f32 v2, v42, v43
	v_cvt_pk_f32_fp8_sdwa v[42:43], v3 src0_sel:WORD_1
	v_cvt_pkrtz_f16_f32 v3, v6, v7
	v_cvt_pkrtz_f16_f32 v52, v8, v9
	ds_read_b128 v[6:9], v50 offset:2048
	v_cvt_pkrtz_f16_f32 v53, v42, v43
	ds_read_b128 v[42:45], v50 offset:2064
	s_waitcnt lgkmcnt(0)
	v_mfma_f32_16x16x16_f16 v[46:49], v[2:3], v[6:7], v[46:49]
	v_cvt_pkrtz_f16_f32 v2, v58, v59
	v_cvt_pkrtz_f16_f32 v3, v62, v63
	v_cvt_pk_f32_fp8_e32 v[58:59], v5
	v_mfma_f32_16x16x16_f16 v[46:49], v[52:53], v[8:9], v[46:49]
	v_cvt_pk_f32_fp8_sdwa v[52:53], v5 src0_sel:WORD_1
	s_mov_b32 s3, 0
	v_cvt_pkrtz_f16_f32 v58, v58, v59
	v_mfma_f32_16x16x16_f16 v[2:5], v[2:3], v[42:43], v[46:49]
	v_cvt_pkrtz_f16_f32 v59, v52, v53
	v_cmp_gt_u32_e32 vcc, 64, v0
	s_nop 0
	v_cvt_pk_f32_fp8_e32 v[46:47], v26
	v_mfma_f32_16x16x16_f16 v[62:65], v[58:59], v[44:45], v[2:5]
	v_cvt_pk_f32_fp8_e32 v[58:59], v28
	s_nop 1
	v_cvt_pk_f32_fp8_sdwa v[2:3], v26 src0_sel:WORD_1
	v_cvt_pk_f32_fp8_e32 v[4:5], v27
	v_cvt_pkrtz_f16_f32 v26, v46, v47
	v_cvt_pk_f32_fp8_sdwa v[46:47], v27 src0_sel:WORD_1
	v_cvt_pkrtz_f16_f32 v27, v2, v3
	v_cvt_pkrtz_f16_f32 v52, v4, v5
	ds_read_b128 v[2:5], v50 offset:4096
	v_cvt_pkrtz_f16_f32 v53, v46, v47
	ds_read_b128 v[46:49], v50 offset:4112
	s_waitcnt lgkmcnt(1)
	v_mfma_f32_16x16x16_f16 v[62:65], v[26:27], v[2:3], v[62:65]
	v_cvt_pkrtz_f16_f32 v26, v58, v59
	v_cvt_pkrtz_f16_f32 v27, v66, v67
	v_cvt_pk_f32_fp8_e32 v[58:59], v29
	v_mfma_f32_16x16x16_f16 v[62:65], v[52:53], v[4:5], v[62:65]
	v_cvt_pk_f32_fp8_sdwa v[52:53], v29 src0_sel:WORD_1
	v_cvt_pk_f32_fp8_e32 v[66:67], v24
	v_cvt_pkrtz_f16_f32 v58, v58, v59
	s_waitcnt lgkmcnt(0)
	v_mfma_f32_16x16x16_f16 v[26:29], v[26:27], v[46:47], v[62:65]
	v_cvt_pkrtz_f16_f32 v59, v52, v53
	v_cvt_pk_f32_fp8_e32 v[52:53], v22
	s_nop 0
	v_mfma_f32_16x16x16_f16 v[62:65], v[58:59], v[48:49], v[26:29]
	s_nop 2
	v_cvt_pk_f32_fp8_sdwa v[26:27], v22 src0_sel:WORD_1
	v_cvt_pk_f32_fp8_e32 v[28:29], v23
	v_cvt_pkrtz_f16_f32 v22, v52, v53
	v_cvt_pk_f32_fp8_sdwa v[52:53], v23 src0_sel:WORD_1
	v_cvt_pkrtz_f16_f32 v23, v26, v27
	v_cvt_pkrtz_f16_f32 v58, v28, v29
	ds_read_b128 v[26:29], v50 offset:6144
	v_cvt_pkrtz_f16_f32 v59, v52, v53
	s_waitcnt lgkmcnt(0)
	v_mfma_f32_16x16x16_f16 v[62:65], v[22:23], v[26:27], v[62:65]
	ds_read_b128 v[50:53], v50 offset:6160
	v_cvt_pkrtz_f16_f32 v22, v66, v67
	v_cvt_pkrtz_f16_f32 v23, v68, v69
	v_cvt_pk_f32_fp8_e32 v[66:67], v25
	v_mfma_f32_16x16x16_f16 v[62:65], v[58:59], v[28:29], v[62:65]
	v_cvt_pk_f32_fp8_sdwa v[58:59], v25 src0_sel:WORD_1
	v_cvt_pk_f32_fp8_e32 v[68:69], v32
	v_cvt_pkrtz_f16_f32 v66, v66, v67
	s_waitcnt lgkmcnt(0)
	v_mfma_f32_16x16x16_f16 v[22:25], v[22:23], v[50:51], v[62:65]
	v_cvt_pkrtz_f16_f32 v67, v58, v59
	v_cvt_pk_f32_fp8_e32 v[58:59], v30
	s_nop 0
	v_cvt_pk_f32_fp8_sdwa v[62:63], v30 src0_sel:WORD_1
	v_cvt_pk_f32_fp8_e32 v[64:65], v31
	v_cvt_pkrtz_f16_f32 v58, v58, v59
	v_cvt_pk_f32_fp8_sdwa v[30:31], v31 src0_sel:WORD_1
	v_cvt_pkrtz_f16_f32 v59, v62, v63
	v_mfma_f32_16x16x16_f16 v[22:25], v[66:67], v[52:53], v[22:25]
	v_cvt_pkrtz_f16_f32 v66, v64, v65
	v_cvt_pkrtz_f16_f32 v67, v30, v31
	;; [unrolled: 1-line block ×3, first 2 shown]
	v_mfma_f32_16x16x16_f16 v[62:65], v[58:59], v[34:35], 0
	v_cvt_pkrtz_f16_f32 v31, v70, v71
	v_cvt_pk_f32_fp8_e32 v[58:59], v33
	s_barrier
	v_mfma_f32_16x16x16_f16 v[34:37], v[66:67], v[36:37], v[62:65]
	v_cvt_pkrtz_f16_f32 v58, v58, v59
	s_nop 1
	v_cvt_pk_f32_fp8_sdwa v[62:63], v33 src0_sel:WORD_1
	v_mfma_f32_16x16x16_f16 v[30:33], v[30:31], v[38:39], v[34:37]
	s_waitcnt vmcnt(2)
	v_cvt_pk_f32_fp8_e32 v[38:39], v19
	v_cvt_pkrtz_f16_f32 v59, v62, v63
	v_cvt_pk_f32_fp8_e32 v[34:35], v18
	v_cvt_pk_f32_fp8_sdwa v[36:37], v18 src0_sel:WORD_1
	v_cvt_pk_f32_fp8_sdwa v[18:19], v19 src0_sel:WORD_1
	v_mfma_f32_16x16x16_f16 v[30:33], v[58:59], v[40:41], v[30:33]
	v_cvt_pkrtz_f16_f32 v34, v34, v35
	v_cvt_pkrtz_f16_f32 v35, v36, v37
	;; [unrolled: 1-line block ×3, first 2 shown]
	v_cvt_pk_f32_fp8_e32 v[38:39], v20
	v_cvt_pk_f32_fp8_sdwa v[40:41], v20 src0_sel:WORD_1
	v_cvt_pkrtz_f16_f32 v37, v18, v19
	v_mfma_f32_16x16x16_f16 v[30:33], v[34:35], v[6:7], v[30:33]
	v_cvt_pkrtz_f16_f32 v18, v38, v39
	v_cvt_pkrtz_f16_f32 v19, v40, v41
	v_cvt_pk_f32_fp8_e32 v[34:35], v21
	v_cvt_pk_f32_fp8_sdwa v[20:21], v21 src0_sel:WORD_1
	v_mfma_f32_16x16x16_f16 v[6:9], v[36:37], v[8:9], v[30:33]
	s_nop 2
	v_cvt_pkrtz_f16_f32 v30, v34, v35
	v_cvt_pkrtz_f16_f32 v31, v20, v21
	v_mfma_f32_16x16x16_f16 v[6:9], v[18:19], v[42:43], v[6:9]
	s_waitcnt vmcnt(1)
	v_cvt_pk_f32_fp8_e32 v[18:19], v14
	v_cvt_pk_f32_fp8_sdwa v[20:21], v14 src0_sel:WORD_1
	v_cvt_pk_f32_fp8_sdwa v[32:33], v16 src0_sel:WORD_1
	v_mfma_f32_16x16x16_f16 v[6:9], v[30:31], v[44:45], v[6:9]
	v_cvt_pk_f32_fp8_e32 v[30:31], v15
	v_cvt_pkrtz_f16_f32 v18, v18, v19
	v_cvt_pkrtz_f16_f32 v19, v20, v21
	v_cvt_pk_f32_fp8_sdwa v[14:15], v15 src0_sel:WORD_1
	v_cvt_pkrtz_f16_f32 v20, v30, v31
	v_cvt_pk_f32_fp8_e32 v[30:31], v16
	v_mfma_f32_16x16x16_f16 v[6:9], v[18:19], v[2:3], v[6:9]
	v_cvt_pkrtz_f16_f32 v21, v14, v15
	v_cvt_pkrtz_f16_f32 v14, v30, v31
	;; [unrolled: 1-line block ×3, first 2 shown]
	v_cvt_pk_f32_fp8_e32 v[18:19], v17
	v_cvt_pk_f32_fp8_sdwa v[16:17], v17 src0_sel:WORD_1
	v_mfma_f32_16x16x16_f16 v[2:5], v[20:21], v[4:5], v[6:9]
	s_waitcnt vmcnt(0)
	v_cvt_pk_f32_fp8_sdwa v[20:21], v12 src0_sel:WORD_1
	s_nop 0
	v_cvt_pkrtz_f16_f32 v8, v18, v19
	v_cvt_pkrtz_f16_f32 v9, v16, v17
	v_mfma_f32_16x16x16_f16 v[2:5], v[14:15], v[46:47], v[2:5]
	v_cvt_pk_f32_fp8_e32 v[16:17], v10
	v_cvt_pk_f32_fp8_sdwa v[18:19], v10 src0_sel:WORD_1
	v_pk_mul_f32 v[6:7], v[24:25], s[4:5] op_sel_hi:[1,0]
	v_mfma_f32_16x16x16_f16 v[2:5], v[8:9], v[48:49], v[2:5]
	v_cvt_pk_f32_fp8_e32 v[8:9], v11
	v_cvt_pkrtz_f16_f32 v16, v16, v17
	v_cvt_pkrtz_f16_f32 v17, v18, v19
	v_cvt_pk_f32_fp8_sdwa v[10:11], v11 src0_sel:WORD_1
	v_cvt_pkrtz_f16_f32 v8, v8, v9
	v_cvt_pk_f32_fp8_e32 v[18:19], v12
	v_mfma_f32_16x16x16_f16 v[2:5], v[16:17], v[26:27], v[2:5]
	v_cvt_pkrtz_f16_f32 v9, v10, v11
	v_cvt_pkrtz_f16_f32 v10, v18, v19
	;; [unrolled: 1-line block ×3, first 2 shown]
	v_cvt_pk_f32_fp8_e32 v[16:17], v13
	v_cvt_pk_f32_fp8_sdwa v[12:13], v13 src0_sel:WORD_1
	v_mfma_f32_16x16x16_f16 v[2:5], v[8:9], v[28:29], v[2:5]
	v_pk_mul_f32 v[14:15], v[22:23], s[4:5] op_sel_hi:[1,0]
	v_cvt_pkrtz_f16_f32 v8, v16, v17
	v_cvt_pkrtz_f16_f32 v9, v12, v13
	v_mfma_f32_16x16x16_f16 v[2:5], v[10:11], v[50:51], v[2:5]
	v_cvt_f16_f32_e32 v14, v14
	v_cvt_f16_f32_e32 v10, v15
	;; [unrolled: 1-line block ×3, first 2 shown]
	v_mfma_f32_16x16x16_f16 v[2:5], v[8:9], v[52:53], v[2:5]
	v_cvt_f16_f32_e32 v7, v7
	s_nop 5
	v_pk_mul_f32 v[4:5], v[4:5], s[4:5] op_sel_hi:[1,0]
	v_pk_mul_f32 v[2:3], v[2:3], s[4:5] op_sel_hi:[1,0]
	v_cvt_f16_f32_e32 v11, v4
	v_cvt_f16_f32_e32 v8, v2
	;; [unrolled: 1-line block ×4, first 2 shown]
	v_pack_b32_f16 v2, v14, v10
	v_pack_b32_f16 v3, v6, v7
	;; [unrolled: 1-line block ×4, first 2 shown]
	ds_write2st64_b64 v55, v[2:3], v[4:5] offset1:1
	s_waitcnt lgkmcnt(0)
	s_barrier
	s_and_saveexec_b64 s[4:5], vcc
	s_cbranch_execz .LBB978_20
; %bb.18:
	s_load_dwordx2 s[4:5], s[0:1], 0x68
	s_lshl_b32 s0, s7, 7
	s_mul_i32 s1, s8, s2
	v_lshlrev_b32_e32 v3, 6, v56
	s_mul_hi_u32 s9, s1, s0
	s_mul_i32 s8, s1, s0
	v_lshl_or_b32 v0, v0, 10, v3
	s_lshl_b64 s[8:9], s[8:9], 1
	v_lshlrev_b32_e32 v2, 5, v60
	v_and_b32_e32 v1, 16, v1
	v_and_b32_e32 v0, 0x1a00, v0
	s_waitcnt lgkmcnt(0)
	s_add_u32 s1, s4, s8
	v_or3_b32 v2, v0, v2, v1
	s_addc_u32 s4, s5, s9
	s_lshl_b32 s2, s6, 7
	s_lshl_b64 s[2:3], s[2:3], 1
	ds_read_b128 v[4:7], v2 offset:128
	ds_read_b128 v[8:11], v2
	s_add_u32 s2, s1, s2
	s_addc_u32 s3, s4, s3
	v_mov_b32_e32 v55, 0
	v_add_u32_e32 v3, s48, v60
	v_lshl_add_u64 v[0:1], s[2:3], 0, v[54:55]
	v_mad_u64_u32 v[12:13], s[2:3], v3, s0, 0
	v_lshl_add_u64 v[12:13], v[12:13], 1, v[0:1]
	v_add_u32_e32 v3, 4, v3
	s_waitcnt lgkmcnt(0)
	global_store_dwordx4 v[12:13], v[8:11], off
	v_cmp_ne_u32_e32 vcc, 3, v60
	s_nop 0
	v_mad_u64_u32 v[8:9], s[2:3], v3, s0, 0
	v_lshl_add_u64 v[8:9], v[8:9], 1, v[0:1]
	global_store_dwordx4 v[8:9], v[4:7], off
	s_and_b64 exec, exec, vcc
	s_cbranch_execz .LBB978_20
; %bb.19:
	ds_read_b128 v[2:5], v2 offset:256
	v_add3_u32 v6, s48, v60, 8
	v_mad_u64_u32 v[6:7], s[0:1], v6, s0, 0
	v_lshl_add_u64 v[0:1], v[6:7], 1, v[0:1]
	s_waitcnt lgkmcnt(0)
	global_store_dwordx4 v[0:1], v[2:5], off
.LBB978_20:
	s_endpgm
	.section	.rodata,"a",@progbits
	.p2align	6, 0x0
	.amdhsa_kernel _Z39paged_attention_ll4mi_QKV_mfma16_kernelIDF16_hLN4vllm18Fp8KVCacheDataTypeE1EDF16_Li16ELi128ELi256ELb1ELi11EEvPKT_PKT0_S7_ifPKiS9_S9_iPKfiiiPfSC_PS2_PT2_iSB_SB_
		.amdhsa_group_segment_fixed_size 8192
		.amdhsa_private_segment_fixed_size 0
		.amdhsa_kernarg_size 400
		.amdhsa_user_sgpr_count 2
		.amdhsa_user_sgpr_dispatch_ptr 0
		.amdhsa_user_sgpr_queue_ptr 0
		.amdhsa_user_sgpr_kernarg_segment_ptr 1
		.amdhsa_user_sgpr_dispatch_id 0
		.amdhsa_user_sgpr_kernarg_preload_length 0
		.amdhsa_user_sgpr_kernarg_preload_offset 0
		.amdhsa_user_sgpr_private_segment_size 0
		.amdhsa_uses_dynamic_stack 0
		.amdhsa_enable_private_segment 0
		.amdhsa_system_sgpr_workgroup_id_x 1
		.amdhsa_system_sgpr_workgroup_id_y 1
		.amdhsa_system_sgpr_workgroup_id_z 1
		.amdhsa_system_sgpr_workgroup_info 0
		.amdhsa_system_vgpr_workitem_id 0
		.amdhsa_next_free_vgpr 76
		.amdhsa_next_free_sgpr 50
		.amdhsa_accum_offset 76
		.amdhsa_reserve_vcc 1
		.amdhsa_float_round_mode_32 0
		.amdhsa_float_round_mode_16_64 0
		.amdhsa_float_denorm_mode_32 3
		.amdhsa_float_denorm_mode_16_64 3
		.amdhsa_dx10_clamp 1
		.amdhsa_ieee_mode 1
		.amdhsa_fp16_overflow 0
		.amdhsa_tg_split 0
		.amdhsa_exception_fp_ieee_invalid_op 0
		.amdhsa_exception_fp_denorm_src 0
		.amdhsa_exception_fp_ieee_div_zero 0
		.amdhsa_exception_fp_ieee_overflow 0
		.amdhsa_exception_fp_ieee_underflow 0
		.amdhsa_exception_fp_ieee_inexact 0
		.amdhsa_exception_int_div_zero 0
	.end_amdhsa_kernel
	.section	.text._Z39paged_attention_ll4mi_QKV_mfma16_kernelIDF16_hLN4vllm18Fp8KVCacheDataTypeE1EDF16_Li16ELi128ELi256ELb1ELi11EEvPKT_PKT0_S7_ifPKiS9_S9_iPKfiiiPfSC_PS2_PT2_iSB_SB_,"axG",@progbits,_Z39paged_attention_ll4mi_QKV_mfma16_kernelIDF16_hLN4vllm18Fp8KVCacheDataTypeE1EDF16_Li16ELi128ELi256ELb1ELi11EEvPKT_PKT0_S7_ifPKiS9_S9_iPKfiiiPfSC_PS2_PT2_iSB_SB_,comdat
.Lfunc_end978:
	.size	_Z39paged_attention_ll4mi_QKV_mfma16_kernelIDF16_hLN4vllm18Fp8KVCacheDataTypeE1EDF16_Li16ELi128ELi256ELb1ELi11EEvPKT_PKT0_S7_ifPKiS9_S9_iPKfiiiPfSC_PS2_PT2_iSB_SB_, .Lfunc_end978-_Z39paged_attention_ll4mi_QKV_mfma16_kernelIDF16_hLN4vllm18Fp8KVCacheDataTypeE1EDF16_Li16ELi128ELi256ELb1ELi11EEvPKT_PKT0_S7_ifPKiS9_S9_iPKfiiiPfSC_PS2_PT2_iSB_SB_
                                        ; -- End function
	.section	.AMDGPU.csdata,"",@progbits
; Kernel info:
; codeLenInByte = 6308
; NumSgprs: 56
; NumVgprs: 76
; NumAgprs: 0
; TotalNumVgprs: 76
; ScratchSize: 0
; MemoryBound: 0
; FloatMode: 240
; IeeeMode: 1
; LDSByteSize: 8192 bytes/workgroup (compile time only)
; SGPRBlocks: 6
; VGPRBlocks: 9
; NumSGPRsForWavesPerEU: 56
; NumVGPRsForWavesPerEU: 76
; AccumOffset: 76
; Occupancy: 6
; WaveLimiterHint : 1
; COMPUTE_PGM_RSRC2:SCRATCH_EN: 0
; COMPUTE_PGM_RSRC2:USER_SGPR: 2
; COMPUTE_PGM_RSRC2:TRAP_HANDLER: 0
; COMPUTE_PGM_RSRC2:TGID_X_EN: 1
; COMPUTE_PGM_RSRC2:TGID_Y_EN: 1
; COMPUTE_PGM_RSRC2:TGID_Z_EN: 1
; COMPUTE_PGM_RSRC2:TIDIG_COMP_CNT: 0
; COMPUTE_PGM_RSRC3_GFX90A:ACCUM_OFFSET: 18
; COMPUTE_PGM_RSRC3_GFX90A:TG_SPLIT: 0
	.section	.text._Z39paged_attention_ll4mi_QKV_mfma16_kernelIDF16_hLN4vllm18Fp8KVCacheDataTypeE1EDF16_Li16ELi128ELi256ELb1ELi12EEvPKT_PKT0_S7_ifPKiS9_S9_iPKfiiiPfSC_PS2_PT2_iSB_SB_,"axG",@progbits,_Z39paged_attention_ll4mi_QKV_mfma16_kernelIDF16_hLN4vllm18Fp8KVCacheDataTypeE1EDF16_Li16ELi128ELi256ELb1ELi12EEvPKT_PKT0_S7_ifPKiS9_S9_iPKfiiiPfSC_PS2_PT2_iSB_SB_,comdat
	.protected	_Z39paged_attention_ll4mi_QKV_mfma16_kernelIDF16_hLN4vllm18Fp8KVCacheDataTypeE1EDF16_Li16ELi128ELi256ELb1ELi12EEvPKT_PKT0_S7_ifPKiS9_S9_iPKfiiiPfSC_PS2_PT2_iSB_SB_ ; -- Begin function _Z39paged_attention_ll4mi_QKV_mfma16_kernelIDF16_hLN4vllm18Fp8KVCacheDataTypeE1EDF16_Li16ELi128ELi256ELb1ELi12EEvPKT_PKT0_S7_ifPKiS9_S9_iPKfiiiPfSC_PS2_PT2_iSB_SB_
	.globl	_Z39paged_attention_ll4mi_QKV_mfma16_kernelIDF16_hLN4vllm18Fp8KVCacheDataTypeE1EDF16_Li16ELi128ELi256ELb1ELi12EEvPKT_PKT0_S7_ifPKiS9_S9_iPKfiiiPfSC_PS2_PT2_iSB_SB_
	.p2align	8
	.type	_Z39paged_attention_ll4mi_QKV_mfma16_kernelIDF16_hLN4vllm18Fp8KVCacheDataTypeE1EDF16_Li16ELi128ELi256ELb1ELi12EEvPKT_PKT0_S7_ifPKiS9_S9_iPKfiiiPfSC_PS2_PT2_iSB_SB_,@function
_Z39paged_attention_ll4mi_QKV_mfma16_kernelIDF16_hLN4vllm18Fp8KVCacheDataTypeE1EDF16_Li16ELi128ELi256ELb1ELi12EEvPKT_PKT0_S7_ifPKiS9_S9_iPKfiiiPfSC_PS2_PT2_iSB_SB_: ; @_Z39paged_attention_ll4mi_QKV_mfma16_kernelIDF16_hLN4vllm18Fp8KVCacheDataTypeE1EDF16_Li16ELi128ELi256ELb1ELi12EEvPKT_PKT0_S7_ifPKiS9_S9_iPKfiiiPfSC_PS2_PT2_iSB_SB_
; %bb.0:
	s_load_dwordx2 s[10:11], s[0:1], 0x30
	s_mov_b32 s6, s3
	s_mov_b64 s[8:9], 0
	s_waitcnt lgkmcnt(0)
	s_cmp_lg_u64 s[10:11], 0
	s_cselect_b64 s[12:13], -1, 0
	s_and_b64 vcc, exec, s[12:13]
	s_cbranch_vccz .LBB979_7
; %bb.1:
	s_add_i32 s14, s2, 1
	s_mov_b32 s15, 0
	s_lshl_b64 s[16:17], s[14:15], 2
	s_add_u32 s16, s10, s16
	s_mov_b32 s3, s15
	s_addc_u32 s17, s11, s17
	s_lshl_b64 s[14:15], s[2:3], 2
	s_add_u32 s14, s10, s14
	s_addc_u32 s15, s11, s15
	s_load_dword s5, s[16:17], 0x0
	s_load_dword s7, s[14:15], 0x0
	s_waitcnt lgkmcnt(0)
	s_sub_i32 s5, s5, s7
	s_cmp_eq_u32 s5, 1
	s_cselect_b64 s[14:15], -1, 0
	s_andn2_b64 vcc, exec, s[8:9]
	s_cbranch_vccnz .LBB979_3
.LBB979_2:
	s_mov_b32 s3, 0
	s_mov_b64 s[14:15], -1
.LBB979_3:
	s_andn2_b64 vcc, exec, s[14:15]
	s_cbranch_vccnz .LBB979_19
; %bb.4:
	s_load_dwordx2 s[8:9], s[0:1], 0x28
	s_lshl_b64 s[14:15], s[2:3], 2
	s_waitcnt lgkmcnt(0)
	s_add_u32 s8, s8, s14
	s_addc_u32 s9, s9, s15
	s_load_dword s7, s[8:9], 0x0
	s_lshl_b32 s18, s6, 8
	s_waitcnt lgkmcnt(0)
	s_cmp_ge_i32 s18, s7
	s_cbranch_scc1 .LBB979_19
; %bb.5:
	s_load_dwordx2 s[8:9], s[0:1], 0x20
	s_load_dword s5, s[0:1], 0x38
	s_add_i32 s16, s7, 15
	s_ashr_i32 s17, s16, 31
	v_and_b32_e32 v1, 0xcf, v0
	s_lshr_b32 s17, s17, 28
	v_add_u32_e32 v1, s18, v1
	s_add_i32 s16, s16, s17
	v_ashrrev_i32_e32 v2, 31, v1
	s_ashr_i32 s19, s16, 4
	v_lshrrev_b32_e32 v4, 28, v2
	s_add_i32 s19, s19, -1
	s_waitcnt lgkmcnt(0)
	s_mul_i32 s16, s2, s5
	s_mov_b32 s17, 0
	v_add_u32_e32 v2, v1, v4
	s_lshl_b64 s[16:17], s[16:17], 2
	v_ashrrev_i32_e32 v2, 4, v2
	v_mov_b32_e32 v5, s19
	v_cmp_gt_i32_e32 vcc, s7, v1
	s_add_u32 s8, s8, s16
	s_addc_u32 s9, s9, s17
	v_cndmask_b32_e32 v2, v5, v2, vcc
	v_ashrrev_i32_e32 v3, 31, v2
	v_lshl_add_u64 v[6:7], v[2:3], 2, s[8:9]
	v_or_b32_e32 v2, 16, v1
	v_add_u32_e32 v3, v2, v4
	v_ashrrev_i32_e32 v3, 4, v3
	v_cmp_gt_i32_e32 vcc, s7, v2
	s_load_dwordx2 s[16:17], s[0:1], 0x8
	s_nop 0
	v_cndmask_b32_e32 v2, v5, v3, vcc
	v_ashrrev_i32_e32 v3, 31, v2
	v_lshl_add_u64 v[8:9], v[2:3], 2, s[8:9]
	v_or_b32_e32 v2, 32, v1
	v_add_u32_e32 v3, v2, v4
	v_ashrrev_i32_e32 v3, 4, v3
	v_cmp_gt_i32_e32 vcc, s7, v2
	v_or_b32_e32 v1, 48, v1
	s_nop 0
	v_cndmask_b32_e32 v2, v5, v3, vcc
	v_ashrrev_i32_e32 v3, 31, v2
	v_lshl_add_u64 v[12:13], v[2:3], 2, s[8:9]
	v_add_u32_e32 v2, v1, v4
	v_ashrrev_i32_e32 v2, 4, v2
	v_cmp_gt_i32_e32 vcc, s7, v1
	s_nop 1
	v_cndmask_b32_e32 v2, v5, v2, vcc
	v_ashrrev_i32_e32 v3, 31, v2
	v_lshl_add_u64 v[14:15], v[2:3], 2, s[8:9]
	global_load_dword v4, v[6:7], off
	global_load_dword v3, v[8:9], off
	global_load_dword v2, v[12:13], off
	global_load_dword v10, v[14:15], off
	s_andn2_b64 vcc, exec, s[12:13]
	s_cbranch_vccnz .LBB979_8
; %bb.6:
	s_add_u32 s10, s10, s14
	s_addc_u32 s11, s11, s15
	s_load_dword s5, s[10:11], 0x0
	s_branch .LBB979_9
.LBB979_7:
	s_mov_b64 s[14:15], 0
	s_branch .LBB979_2
.LBB979_8:
	s_mov_b32 s5, s2
.LBB979_9:
	s_load_dwordx2 s[10:11], s[0:1], 0x10
	s_load_dwordx4 s[44:47], s[0:1], 0x48
	v_and_b32_e32 v56, 15, v0
	v_lshlrev_b32_e32 v5, 3, v56
	s_movk_i32 s12, 0xc0
	v_lshrrev_b32_e32 v57, 6, v0
	v_bfe_u32 v1, v0, 4, 2
	s_mul_i32 s48, s4, 12
	v_cmp_gt_u32_e32 vcc, s12, v0
	v_lshlrev_b32_e32 v54, 1, v5
	v_lshlrev_b32_e32 v60, 4, v0
	s_and_saveexec_b64 s[12:13], vcc
	s_cbranch_execz .LBB979_11
; %bb.10:
	s_load_dwordx2 s[14:15], s[0:1], 0x0
	s_waitcnt lgkmcnt(0)
	s_ashr_i32 s20, s44, 31
	s_mul_hi_u32 s21, s5, s44
	s_mul_i32 s20, s5, s20
	s_add_i32 s21, s21, s20
	s_mul_i32 s20, s5, s44
	v_lshl_or_b32 v5, v57, 2, v1
	s_lshl_b64 s[20:21], s[20:21], 1
	s_add_u32 s14, s14, s20
	v_add_lshl_u32 v6, v5, s48, 7
	s_addc_u32 s15, s15, s21
	v_ashrrev_i32_e32 v7, 31, v6
	v_lshl_add_u64 v[6:7], v[6:7], 1, s[14:15]
	v_mov_b32_e32 v55, 0
	v_lshl_add_u64 v[6:7], v[6:7], 0, v[54:55]
	global_load_dwordx4 v[6:9], v[6:7], off
	v_lshlrev_b32_e32 v12, 8, v0
	v_lshlrev_b32_e32 v11, 8, v56
	v_and_b32_e32 v12, 0x600, v12
	s_movk_i32 s5, 0x800
	v_and_or_b32 v11, v11, s5, v12
	v_lshlrev_b32_e32 v5, 5, v5
	v_and_b32_e32 v12, 16, v60
	v_or3_b32 v5, v11, v5, v12
	s_waitcnt vmcnt(0)
	ds_write_b128 v5, v[6:9]
.LBB979_11:
	s_or_b64 exec, exec, s[12:13]
	s_waitcnt lgkmcnt(0)
	s_mul_i32 s12, s4, s46
	s_add_u32 s4, s16, s12
	s_addc_u32 s5, s17, 0
	v_and_b32_e32 v58, 0xf0, v60
	v_mov_b32_e32 v59, 0
	v_and_b32_e32 v34, 48, v0
	v_lshl_add_u64 v[12:13], s[4:5], 0, v[58:59]
	v_lshlrev_b32_e32 v58, 4, v34
	s_waitcnt vmcnt(3)
	v_mad_i64_i32 v[4:5], s[4:5], v4, s45, v[12:13]
	v_lshl_add_u64 v[4:5], v[4:5], 0, v[58:59]
	s_barrier
	global_load_dwordx4 v[50:53], v[4:5], off
	global_load_dwordx4 v[46:49], v[4:5], off offset:1024
	s_waitcnt vmcnt(4)
	v_mad_i64_i32 v[4:5], s[4:5], v3, s45, v[12:13]
	s_waitcnt vmcnt(3)
	v_mad_i64_i32 v[2:3], s[4:5], v2, s45, v[12:13]
	v_lshl_add_u64 v[4:5], v[4:5], 0, v[58:59]
	v_lshl_add_u64 v[14:15], v[2:3], 0, v[58:59]
	s_waitcnt vmcnt(2)
	v_mad_i64_i32 v[10:11], s[4:5], v10, s45, v[12:13]
	global_load_dwordx4 v[36:39], v[4:5], off
	global_load_dwordx4 v[6:9], v[4:5], off offset:1024
	s_nop 0
	global_load_dwordx4 v[2:5], v[14:15], off
	global_load_dwordx4 v[42:45], v[14:15], off offset:1024
	v_lshl_add_u64 v[14:15], v[10:11], 0, v[58:59]
	global_load_dwordx4 v[26:29], v[14:15], off
	global_load_dwordx4 v[10:13], v[14:15], off offset:1024
	v_add_u32_e32 v14, -12, v56
	v_cmp_gt_u32_e32 vcc, 12, v56
	v_and_b32_e32 v55, 63, v0
	v_mov_b32_e32 v61, 0
	v_cndmask_b32_e32 v14, v14, v56, vcc
	v_lshlrev_b32_e32 v14, 5, v14
	v_lshl_add_u32 v14, v1, 9, v14
	ds_read_b128 v[30:33], v14
	ds_read_b128 v[22:25], v14 offset:16
	ds_read_b128 v[18:21], v14 offset:2048
	;; [unrolled: 1-line block ×3, first 2 shown]
	s_and_saveexec_b64 s[4:5], vcc
	s_cbranch_execz .LBB979_13
; %bb.12:
	s_load_dwordx2 s[14:15], s[0:1], 0x40
	v_add_u32_e32 v40, s48, v56
	v_ashrrev_i32_e32 v41, 31, v40
	s_waitcnt lgkmcnt(0)
	v_lshl_add_u64 v[40:41], v[40:41], 2, s[14:15]
	global_load_dword v61, v[40:41], off
.LBB979_13:
	s_or_b64 exec, exec, s[4:5]
	v_or_b32_e32 v58, s18, v34
	v_ashrrev_i32_e32 v34, 4, v58
	v_mov_b32_e32 v63, s19
	v_cmp_gt_i32_e32 vcc, s7, v58
	s_waitcnt vmcnt(7)
	v_cvt_pk_f32_fp8_e32 v[40:41], v50
	v_cvt_pk_f32_fp8_sdwa v[64:65], v50 src0_sel:WORD_1
	v_cndmask_b32_e32 v34, v63, v34, vcc
	v_ashrrev_i32_e32 v35, 31, v34
	v_lshl_add_u64 v[34:35], v[34:35], 2, s[8:9]
	global_load_dword v62, v[34:35], off
	v_or_b32_e32 v34, 64, v58
	v_ashrrev_i32_e32 v35, 4, v34
	v_cmp_gt_i32_e32 vcc, s7, v34
	v_or_b32_e32 v66, 0x80, v58
	v_ashrrev_i32_e32 v67, 4, v66
	v_cndmask_b32_e32 v34, v63, v35, vcc
	v_cmp_gt_i32_e32 vcc, s7, v66
	v_cvt_pkrtz_f16_f32 v40, v40, v41
	v_cvt_pkrtz_f16_f32 v41, v64, v65
	v_cndmask_b32_e32 v50, v63, v67, vcc
	v_cvt_pk_f32_fp8_e32 v[64:65], v51
	v_cvt_pk_f32_fp8_sdwa v[66:67], v51 src0_sel:WORD_1
	v_ashrrev_i32_e32 v51, 31, v50
	v_lshl_add_u64 v[68:69], v[50:51], 2, s[8:9]
	v_cvt_pkrtz_f16_f32 v50, v64, v65
	v_cvt_pkrtz_f16_f32 v51, v66, v67
	s_waitcnt lgkmcnt(3)
	v_mfma_f32_16x16x16_f16 v[64:67], v[40:41], v[30:31], 0
	v_cvt_pk_f32_fp8_e32 v[40:41], v52
	v_cvt_pk_f32_fp8_sdwa v[70:71], v52 src0_sel:WORD_1
	s_waitcnt vmcnt(7)
	v_cvt_pk_f32_fp8_e32 v[72:73], v46
	v_mfma_f32_16x16x16_f16 v[64:67], v[50:51], v[32:33], v[64:67]
	v_cvt_pk_f32_fp8_e32 v[50:51], v53
	v_cvt_pkrtz_f16_f32 v40, v40, v41
	v_cvt_pkrtz_f16_f32 v41, v70, v71
	v_cvt_pk_f32_fp8_sdwa v[52:53], v53 src0_sel:WORD_1
	v_cvt_pkrtz_f16_f32 v70, v50, v51
	v_cvt_pk_f32_fp8_sdwa v[74:75], v46 src0_sel:WORD_1
	v_ashrrev_i32_e32 v35, 31, v34
	v_cvt_pkrtz_f16_f32 v71, v52, v53
	s_waitcnt lgkmcnt(2)
	v_mfma_f32_16x16x16_f16 v[50:53], v[40:41], v[22:23], v[64:67]
	v_cvt_pkrtz_f16_f32 v40, v72, v73
	v_cvt_pkrtz_f16_f32 v41, v74, v75
	v_or_b32_e32 v58, 0xc0, v58
	v_cvt_pk_f32_fp8_e32 v[64:65], v47
	v_cvt_pk_f32_fp8_sdwa v[46:47], v47 src0_sel:WORD_1
	v_mfma_f32_16x16x16_f16 v[50:53], v[70:71], v[24:25], v[50:53]
	v_lshl_add_u64 v[34:35], v[34:35], 2, s[8:9]
	v_cvt_pkrtz_f16_f32 v64, v64, v65
	v_cvt_pkrtz_f16_f32 v65, v46, v47
	s_waitcnt lgkmcnt(1)
	v_mfma_f32_16x16x16_f16 v[50:53], v[40:41], v[18:19], v[50:53]
	v_ashrrev_i32_e32 v66, 4, v58
	v_cmp_gt_i32_e32 vcc, s7, v58
	v_cvt_pk_f32_fp8_e32 v[46:47], v48
	s_waitcnt vmcnt(6)
	v_cvt_pk_f32_fp8_sdwa v[70:71], v36 src0_sel:WORD_1
	v_cndmask_b32_e32 v40, v63, v66, vcc
	v_mfma_f32_16x16x16_f16 v[64:67], v[64:65], v[20:21], v[50:53]
	v_ashrrev_i32_e32 v41, 31, v40
	v_lshl_add_u64 v[40:41], v[40:41], 2, s[8:9]
	v_cvt_pkrtz_f16_f32 v46, v46, v47
	global_load_dword v53, v[34:35], off
	global_load_dword v63, v[40:41], off
	v_cvt_pk_f32_fp8_sdwa v[50:51], v48 src0_sel:WORD_1
	v_cvt_pk_f32_fp8_e32 v[34:35], v49
	v_cvt_pk_f32_fp8_sdwa v[48:49], v49 src0_sel:WORD_1
	s_add_u32 s46, s10, s12
	v_cvt_pkrtz_f16_f32 v47, v50, v51
	v_cvt_pkrtz_f16_f32 v34, v34, v35
	v_cvt_pkrtz_f16_f32 v35, v48, v49
	s_waitcnt lgkmcnt(0)
	v_mfma_f32_16x16x16_f16 v[46:49], v[46:47], v[14:15], v[64:67]
	v_cvt_pk_f32_fp8_e32 v[50:51], v36
	s_nop 1
	global_load_dword v64, v[68:69], off
	v_cvt_pk_f32_fp8_e32 v[66:67], v37
	s_waitcnt vmcnt(8)
	v_cvt_pk_f32_fp8_e32 v[68:69], v6
	v_cvt_pkrtz_f16_f32 v50, v50, v51
	v_cvt_pkrtz_f16_f32 v51, v70, v71
	v_cvt_pk_f32_fp8_sdwa v[70:71], v37 src0_sel:WORD_1
	v_cvt_pkrtz_f16_f32 v40, v66, v67
	v_mfma_f32_16x16x16_f16 v[34:37], v[34:35], v[16:17], v[46:49]
	v_cvt_pk_f32_fp8_sdwa v[66:67], v38 src0_sel:WORD_1
	v_cvt_pkrtz_f16_f32 v41, v70, v71
	v_cvt_pk_f32_fp8_sdwa v[70:71], v6 src0_sel:WORD_1
	v_mfma_f32_16x16x16_f16 v[46:49], v[50:51], v[30:31], 0
	v_cvt_pk_f32_fp8_e32 v[50:51], v38
	v_lshl_or_b32 v52, v57, 4, v56
	s_waitcnt vmcnt(6)
	v_cvt_pk_f32_fp8_e32 v[72:73], v43
	v_mfma_f32_16x16x16_f16 v[46:49], v[40:41], v[32:33], v[46:49]
	v_cvt_pk_f32_fp8_e32 v[40:41], v39
	v_cvt_pkrtz_f16_f32 v50, v50, v51
	v_cvt_pkrtz_f16_f32 v51, v66, v67
	v_cvt_pk_f32_fp8_sdwa v[38:39], v39 src0_sel:WORD_1
	v_cvt_pkrtz_f16_f32 v66, v40, v41
	s_addc_u32 s47, s11, 0
	v_lshlrev_b32_e32 v58, 4, v52
	v_cvt_pkrtz_f16_f32 v67, v38, v39
	v_mfma_f32_16x16x16_f16 v[38:41], v[50:51], v[22:23], v[46:49]
	v_cvt_pk_f32_fp8_sdwa v[50:51], v2 src0_sel:WORD_1
	s_nop 1
	v_cvt_pkrtz_f16_f32 v46, v68, v69
	v_cvt_pkrtz_f16_f32 v47, v70, v71
	v_cvt_pk_f32_fp8_e32 v[48:49], v7
	v_cvt_pk_f32_fp8_sdwa v[6:7], v7 src0_sel:WORD_1
	v_mfma_f32_16x16x16_f16 v[38:41], v[66:67], v[24:25], v[38:41]
	v_lshl_add_u64 v[70:71], s[46:47], 0, v[58:59]
	v_cvt_pkrtz_f16_f32 v48, v48, v49
	v_cvt_pkrtz_f16_f32 v49, v6, v7
	v_mfma_f32_16x16x16_f16 v[38:41], v[46:47], v[18:19], v[38:41]
	v_cvt_pk_f32_fp8_e32 v[6:7], v8
	v_cvt_pk_f32_fp8_sdwa v[46:47], v8 src0_sel:WORD_1
	v_or_b32_e32 v58, 0x400, v58
	v_mfma_f32_16x16x16_f16 v[38:41], v[48:49], v[20:21], v[38:41]
	v_cvt_pk_f32_fp8_e32 v[48:49], v9
	v_cvt_pkrtz_f16_f32 v6, v6, v7
	v_cvt_pkrtz_f16_f32 v7, v46, v47
	v_cvt_pk_f32_fp8_sdwa v[8:9], v9 src0_sel:WORD_1
	v_cvt_pkrtz_f16_f32 v46, v48, v49
	v_cvt_pk_f32_fp8_e32 v[48:49], v2
	v_cvt_pkrtz_f16_f32 v47, v8, v9
	v_mfma_f32_16x16x16_f16 v[6:9], v[6:7], v[14:15], v[38:41]
	v_cvt_pkrtz_f16_f32 v48, v48, v49
	v_cvt_pkrtz_f16_f32 v49, v50, v51
	v_cvt_pk_f32_fp8_e32 v[50:51], v3
	v_cvt_pk_f32_fp8_sdwa v[2:3], v3 src0_sel:WORD_1
	v_mfma_f32_16x16x16_f16 v[38:41], v[46:47], v[16:17], v[6:9]
	v_cvt_pkrtz_f16_f32 v46, v50, v51
	v_cvt_pkrtz_f16_f32 v47, v2, v3
	v_mfma_f32_16x16x16_f16 v[6:9], v[48:49], v[30:31], 0
	v_cvt_pk_f32_fp8_e32 v[2:3], v4
	v_cvt_pk_f32_fp8_sdwa v[48:49], v4 src0_sel:WORD_1
	s_waitcnt vmcnt(3)
	v_mad_i64_i32 v[50:51], s[4:5], v62, s45, v[70:71]
	v_cvt_pkrtz_f16_f32 v2, v2, v3
	v_cvt_pkrtz_f16_f32 v3, v48, v49
	v_mfma_f32_16x16x16_f16 v[6:9], v[46:47], v[32:33], v[6:9]
	v_cvt_pk_f32_fp8_e32 v[46:47], v5
	v_cvt_pk_f32_fp8_sdwa v[4:5], v5 src0_sel:WORD_1
	s_waitcnt vmcnt(2)
	v_mad_i64_i32 v[66:67], s[4:5], v53, s45, v[70:71]
	v_cvt_pkrtz_f16_f32 v46, v46, v47
	v_cvt_pkrtz_f16_f32 v47, v4, v5
	v_mfma_f32_16x16x16_f16 v[2:5], v[2:3], v[22:23], v[6:9]
	s_nop 2
	v_cvt_pk_f32_fp8_e32 v[6:7], v42
	v_cvt_pk_f32_fp8_sdwa v[8:9], v42 src0_sel:WORD_1
	v_cvt_pk_f32_fp8_sdwa v[42:43], v43 src0_sel:WORD_1
	v_mfma_f32_16x16x16_f16 v[46:49], v[46:47], v[24:25], v[2:5]
	v_cvt_pkrtz_f16_f32 v68, v6, v7
	v_cvt_pkrtz_f16_f32 v69, v8, v9
	global_load_dwordx4 v[6:9], v[50:51], off
	global_load_dwordx4 v[2:5], v[66:67], off
	v_cvt_pkrtz_f16_f32 v66, v72, v73
	v_cvt_pkrtz_f16_f32 v67, v42, v43
	v_mfma_f32_16x16x16_f16 v[48:51], v[68:69], v[18:19], v[46:49]
	v_cvt_pk_f32_fp8_e32 v[42:43], v44
	v_cvt_pk_f32_fp8_sdwa v[72:73], v44 src0_sel:WORD_1
	s_waitcnt vmcnt(2)
	v_mad_i64_i32 v[46:47], s[4:5], v64, s45, v[70:71]
	v_mfma_f32_16x16x16_f16 v[66:69], v[66:67], v[20:21], v[48:51]
	v_cvt_pkrtz_f16_f32 v42, v42, v43
	v_cvt_pkrtz_f16_f32 v43, v72, v73
	v_cvt_pk_f32_fp8_sdwa v[72:73], v26 src0_sel:WORD_1
	v_cvt_pk_f32_fp8_e32 v[50:51], v45
	v_cvt_pk_f32_fp8_sdwa v[44:45], v45 src0_sel:WORD_1
	v_mad_i64_i32 v[48:49], s[4:5], v63, s45, v[70:71]
	v_cvt_pkrtz_f16_f32 v50, v50, v51
	v_cvt_pkrtz_f16_f32 v51, v44, v45
	v_mfma_f32_16x16x16_f16 v[42:45], v[42:43], v[14:15], v[66:69]
	v_cvt_pk_f32_fp8_e32 v[70:71], v26
	s_load_dword s4, s[0:1], 0x1c
	s_load_dwordx4 s[40:43], s[0:1], 0x80
	s_load_dword s33, s[0:1], 0x98
	s_waitcnt lgkmcnt(0)
	s_load_dword s5, s[40:41], 0x0
	v_mfma_f32_16x16x16_f16 v[66:69], v[50:51], v[16:17], v[42:45]
	s_mov_b32 s40, 0xff7fffff
	s_nop 1
	v_cvt_pk_f32_fp8_e32 v[42:43], v27
	v_cvt_pkrtz_f16_f32 v44, v70, v71
	v_cvt_pkrtz_f16_f32 v45, v72, v73
	v_cvt_pk_f32_fp8_sdwa v[26:27], v27 src0_sel:WORD_1
	v_cvt_pkrtz_f16_f32 v50, v42, v43
	v_cvt_pk_f32_fp8_e32 v[70:71], v28
	v_cvt_pk_f32_fp8_sdwa v[72:73], v28 src0_sel:WORD_1
	v_cvt_pkrtz_f16_f32 v51, v26, v27
	v_mfma_f32_16x16x16_f16 v[42:45], v[44:45], v[30:31], 0
	v_cvt_pkrtz_f16_f32 v30, v70, v71
	v_cvt_pkrtz_f16_f32 v31, v72, v73
	v_cvt_pk_f32_fp8_e32 v[70:71], v29
	v_cvt_pk_f32_fp8_sdwa v[72:73], v29 src0_sel:WORD_1
	v_mfma_f32_16x16x16_f16 v[26:29], v[50:51], v[32:33], v[42:45]
	v_mov_b32_e32 v32, s4
	s_waitcnt lgkmcnt(0)
	v_mul_f32_e32 v50, s5, v32
	v_pk_mul_f32 v[32:33], v[50:51], v[34:35] op_sel_hi:[0,1]
	v_cvt_pkrtz_f16_f32 v42, v70, v71
	v_cvt_pkrtz_f16_f32 v43, v72, v73
	v_mfma_f32_16x16x16_f16 v[26:29], v[30:31], v[22:23], v[26:29]
	v_pk_mul_f32 v[30:31], v[50:51], v[36:37] op_sel_hi:[0,1]
	v_cvt_pk_f32_fp8_e32 v[22:23], v10
	v_cvt_pk_f32_fp8_sdwa v[70:71], v12 src0_sel:WORD_1
	v_mfma_f32_16x16x16_f16 v[34:37], v[42:43], v[24:25], v[26:29]
	v_cvt_pk_f32_fp8_sdwa v[24:25], v10 src0_sel:WORD_1
	v_cvt_pkrtz_f16_f32 v42, v22, v23
	v_pk_mul_f32 v[40:41], v[50:51], v[40:41] op_sel_hi:[0,1]
	v_cvt_pk_f32_fp8_e32 v[26:27], v11
	v_cvt_pk_f32_fp8_sdwa v[10:11], v11 src0_sel:WORD_1
	v_cvt_pkrtz_f16_f32 v43, v24, v25
	v_cvt_pkrtz_f16_f32 v44, v26, v27
	;; [unrolled: 1-line block ×3, first 2 shown]
	v_cvt_pk_f32_fp8_e32 v[10:11], v12
	v_mfma_f32_16x16x16_f16 v[34:37], v[42:43], v[18:19], v[34:37]
	global_load_dwordx4 v[26:29], v[46:47], off
	global_load_dwordx4 v[22:25], v[48:49], off
	v_cvt_pkrtz_f16_f32 v19, v70, v71
	v_cvt_pkrtz_f16_f32 v18, v10, v11
	v_cvt_pk_f32_fp8_e32 v[42:43], v13
	v_cvt_pk_f32_fp8_sdwa v[46:47], v13 src0_sel:WORD_1
	v_mfma_f32_16x16x16_f16 v[10:13], v[44:45], v[20:21], v[34:37]
	v_pk_mul_f32 v[44:45], v[50:51], v[38:39] op_sel_hi:[0,1]
	v_cvt_pkrtz_f16_f32 v20, v42, v43
	v_cvt_pkrtz_f16_f32 v21, v46, v47
	v_mfma_f32_16x16x16_f16 v[10:13], v[18:19], v[14:15], v[10:13]
	v_pk_mul_f32 v[38:39], v[50:51], v[68:69] op_sel_hi:[0,1]
	v_pk_mul_f32 v[42:43], v[50:51], v[66:67] op_sel_hi:[0,1]
	v_mfma_f32_16x16x16_f16 v[10:13], v[20:21], v[16:17], v[10:13]
	s_nop 6
	v_pk_mul_f32 v[36:37], v[50:51], v[10:11] op_sel_hi:[0,1]
	v_and_b32_e32 v10, 0xc0, v0
	v_add_u32_e32 v10, s18, v10
	v_lshl_or_b32 v10, v1, 2, v10
	v_or_b32_e32 v11, 1, v10
	v_pk_mul_f32 v[34:35], v[50:51], v[12:13] op_sel_hi:[0,1]
	v_subrev_u32_e32 v12, s7, v11
	v_add_u32_e32 v14, 1, v12
	v_add_u32_e32 v15, 2, v12
	v_cvt_f32_i32_e32 v13, v12
	v_cvt_f32_i32_e32 v14, v14
	;; [unrolled: 1-line block ×3, first 2 shown]
	v_add_u32_e32 v16, 3, v12
	v_fma_f32 v18, v61, v13, v32
	v_fmac_f32_e32 v33, v61, v14
	v_fma_f32 v48, v61, v15, v30
	v_add_u32_e32 v13, 16, v12
	v_add_u32_e32 v14, 17, v12
	;; [unrolled: 1-line block ×3, first 2 shown]
	v_cvt_f32_i32_e32 v16, v16
	v_cvt_f32_i32_e32 v13, v13
	;; [unrolled: 1-line block ×4, first 2 shown]
	v_fmac_f32_e32 v31, v61, v16
	v_add_u32_e32 v16, 19, v12
	v_fma_f32 v44, v61, v13, v44
	v_fmac_f32_e32 v45, v61, v14
	v_fma_f32 v40, v61, v15, v40
	v_add_u32_e32 v13, 32, v12
	v_add_u32_e32 v14, 33, v12
	;; [unrolled: 1-line block ×3, first 2 shown]
	v_cvt_f32_i32_e32 v16, v16
	v_cvt_f32_i32_e32 v13, v13
	;; [unrolled: 1-line block ×4, first 2 shown]
	v_fmac_f32_e32 v41, v61, v16
	v_add_u32_e32 v16, 35, v12
	v_fma_f32 v42, v61, v13, v42
	v_fmac_f32_e32 v43, v61, v14
	v_fma_f32 v38, v61, v15, v38
	v_add_u32_e32 v13, 48, v12
	v_add_u32_e32 v14, 49, v12
	;; [unrolled: 1-line block ×4, first 2 shown]
	v_cvt_f32_i32_e32 v12, v12
	v_cvt_f32_i32_e32 v13, v13
	v_cvt_f32_i32_e32 v14, v14
	v_cmp_gt_i32_e64 s[8:9], s7, v10
	v_fmac_f32_e32 v35, v61, v12
	v_mov_b32_e32 v12, 0xff7fffff
	v_cmp_gt_i32_e64 s[10:11], s7, v11
	v_fma_f32 v36, v61, v13, v36
	v_cndmask_b32_e64 v13, v12, v18, s[8:9]
	v_cndmask_b32_e64 v11, v12, v33, s[10:11]
	v_fmac_f32_e32 v37, v61, v14
	v_max3_f32 v11, v13, s40, v11
	v_or_b32_e32 v13, 2, v10
	v_or_b32_e32 v14, 3, v10
	v_cmp_gt_i32_e64 s[12:13], s7, v13
	v_cmp_gt_i32_e64 s[14:15], s7, v14
	v_cvt_f32_i32_e32 v16, v16
	v_cndmask_b32_e64 v13, v12, v48, s[12:13]
	v_cndmask_b32_e64 v14, v12, v31, s[14:15]
	v_max3_f32 v11, v11, v13, v14
	v_or_b32_e32 v13, 16, v10
	v_or_b32_e32 v14, 17, v10
	v_cmp_gt_i32_e64 s[16:17], s7, v13
	v_cmp_gt_i32_e64 s[18:19], s7, v14
	v_fmac_f32_e32 v39, v61, v16
	v_cndmask_b32_e64 v13, v12, v44, s[16:17]
	v_cndmask_b32_e64 v14, v12, v45, s[18:19]
	v_max3_f32 v11, v11, v13, v14
	v_or_b32_e32 v13, 18, v10
	v_or_b32_e32 v14, 19, v10
	v_cmp_gt_i32_e64 s[20:21], s7, v13
	v_cmp_gt_i32_e64 s[22:23], s7, v14
	v_cvt_f32_i32_e32 v15, v15
	v_cndmask_b32_e64 v13, v12, v40, s[20:21]
	v_cndmask_b32_e64 v14, v12, v41, s[22:23]
	v_max3_f32 v11, v11, v13, v14
	v_or_b32_e32 v13, 32, v10
	v_or_b32_e32 v14, 33, v10
	v_cmp_gt_i32_e64 s[24:25], s7, v13
	v_cmp_gt_i32_e64 s[26:27], s7, v14
	v_fma_f32 v34, v61, v15, v34
	v_cndmask_b32_e64 v13, v12, v42, s[24:25]
	v_cndmask_b32_e64 v14, v12, v43, s[26:27]
	v_max3_f32 v11, v11, v13, v14
	v_or_b32_e32 v13, 34, v10
	v_or_b32_e32 v14, 35, v10
	v_cmp_gt_i32_e64 s[28:29], s7, v13
	v_cmp_gt_i32_e64 s[30:31], s7, v14
	s_nop 0
	v_cndmask_b32_e64 v13, v12, v38, s[28:29]
	v_cndmask_b32_e64 v14, v12, v39, s[30:31]
	v_max3_f32 v11, v11, v13, v14
	v_or_b32_e32 v13, 48, v10
	v_or_b32_e32 v14, 49, v10
	v_cmp_gt_i32_e64 s[34:35], s7, v13
	v_cmp_gt_i32_e64 s[36:37], s7, v14
	s_nop 0
	v_cndmask_b32_e64 v13, v12, v36, s[34:35]
	v_cndmask_b32_e64 v14, v12, v37, s[36:37]
	v_max3_f32 v11, v11, v13, v14
	v_or_b32_e32 v13, 50, v10
	v_or_b32_e32 v10, 51, v10
	v_cmp_gt_i32_e32 vcc, s7, v13
	v_cmp_gt_i32_e64 s[4:5], s7, v10
	s_nop 0
	v_cndmask_b32_e32 v13, v12, v34, vcc
	v_cndmask_b32_e64 v10, v12, v35, s[4:5]
	v_max3_f32 v14, v11, v13, v10
	v_mbcnt_lo_u32_b32 v10, -1, 0
	v_mbcnt_hi_u32_b32 v15, -1, v10
	v_and_b32_e32 v10, 64, v15
	v_add_u32_e32 v16, 64, v10
	v_xor_b32_e32 v10, 32, v15
	v_cmp_lt_i32_e64 s[38:39], v10, v16
	s_nop 1
	v_cndmask_b32_e64 v10, v15, v10, s[38:39]
	v_lshlrev_b32_e32 v51, 2, v10
	ds_bpermute_b32 v17, v51, v14
	v_lshl_add_u64 v[10:11], s[46:47], 0, v[58:59]
	v_mad_i64_i32 v[12:13], s[38:39], v62, s45, v[10:11]
	s_waitcnt lgkmcnt(0)
	v_max_f32_e32 v17, v17, v17
	v_max_f32_e32 v19, v14, v17
	v_xor_b32_e32 v14, 16, v15
	v_cmp_lt_i32_e64 s[38:39], v14, v16
	s_nop 1
	v_cndmask_b32_e64 v14, v15, v14, s[38:39]
	v_lshlrev_b32_e32 v58, 2, v14
	ds_bpermute_b32 v20, v58, v19
	v_mad_i64_i32 v[14:15], s[38:39], v53, s45, v[10:11]
	v_mad_i64_i32 v[16:17], s[38:39], v64, s45, v[10:11]
	s_waitcnt lgkmcnt(0)
	v_max_f32_e32 v20, v20, v20
	v_max_f32_e32 v50, v19, v20
	v_sub_f32_e32 v18, v18, v50
	v_sub_f32_e32 v19, v33, v50
	v_mul_f32_e32 v18, 0x3fb8aa3b, v18
	v_mul_f32_e32 v19, 0x3fb8aa3b, v19
	v_exp_f32_e32 v18, v18
	v_exp_f32_e32 v19, v19
	v_sub_f32_e32 v49, v31, v50
	v_mad_i64_i32 v[10:11], s[38:39], v63, s45, v[10:11]
	v_cndmask_b32_e64 v46, 0, v18, s[8:9]
	v_cndmask_b32_e64 v47, 0, v19, s[10:11]
	global_load_dwordx4 v[30:33], v[12:13], off
	global_load_dwordx4 v[18:21], v[14:15], off
	v_sub_f32_e32 v12, v48, v50
	v_mul_f32_e32 v12, 0x3fb8aa3b, v12
	v_exp_f32_e32 v48, v12
	global_load_dwordx4 v[14:17], v[16:17], off
	s_nop 0
	global_load_dwordx4 v[10:13], v[10:11], off
	v_sub_f32_e32 v40, v40, v50
	v_sub_f32_e32 v42, v42, v50
	v_mul_f32_e32 v40, 0x3fb8aa3b, v40
	v_mul_f32_e32 v42, 0x3fb8aa3b, v42
	v_exp_f32_e32 v40, v40
	v_exp_f32_e32 v53, v42
	v_mul_f32_e32 v49, 0x3fb8aa3b, v49
	v_sub_f32_e32 v44, v44, v50
	v_exp_f32_e32 v49, v49
	v_mul_f32_e32 v44, 0x3fb8aa3b, v44
	v_sub_f32_e32 v45, v45, v50
	v_sub_f32_e32 v42, v43, v50
	v_exp_f32_e32 v44, v44
	v_mul_f32_e32 v45, 0x3fb8aa3b, v45
	v_mul_f32_e32 v42, 0x3fb8aa3b, v42
	v_exp_f32_e32 v45, v45
	v_sub_f32_e32 v41, v41, v50
	v_exp_f32_e32 v59, v42
	v_cndmask_b32_e64 v42, 0, v40, s[20:21]
	v_cndmask_b32_e64 v40, 0, v53, s[24:25]
	v_add_f32_e32 v53, 0, v46
	v_cndmask_b32_e64 v48, 0, v48, s[12:13]
	v_mul_f32_e32 v41, 0x3fb8aa3b, v41
	v_add_f32_e32 v53, v53, v47
	v_cndmask_b32_e64 v49, 0, v49, s[14:15]
	v_exp_f32_e32 v41, v41
	v_add_f32_e32 v53, v53, v48
	v_cndmask_b32_e64 v44, 0, v44, s[16:17]
	v_sub_f32_e32 v38, v38, v50
	v_add_f32_e32 v53, v53, v49
	v_cndmask_b32_e64 v45, 0, v45, s[18:19]
	v_sub_f32_e32 v39, v39, v50
	v_mul_f32_e32 v38, 0x3fb8aa3b, v38
	v_add_f32_e32 v53, v53, v44
	v_exp_f32_e32 v38, v38
	v_mul_f32_e32 v39, 0x3fb8aa3b, v39
	v_sub_f32_e32 v36, v36, v50
	v_add_f32_e32 v53, v53, v45
	v_cndmask_b32_e64 v43, 0, v41, s[22:23]
	v_exp_f32_e32 v39, v39
	v_mul_f32_e32 v36, 0x3fb8aa3b, v36
	v_sub_f32_e32 v37, v37, v50
	v_add_f32_e32 v53, v53, v42
	v_exp_f32_e32 v36, v36
	v_mul_f32_e32 v37, 0x3fb8aa3b, v37
	v_add_f32_e32 v53, v53, v43
	v_sub_f32_e32 v34, v34, v50
	v_cndmask_b32_e64 v41, 0, v59, s[26:27]
	v_exp_f32_e32 v37, v37
	v_add_f32_e32 v53, v53, v40
	v_mul_f32_e32 v34, 0x3fb8aa3b, v34
	v_sub_f32_e32 v35, v35, v50
	v_cndmask_b32_e64 v38, 0, v38, s[28:29]
	v_add_f32_e32 v53, v53, v41
	v_exp_f32_e32 v34, v34
	v_mul_f32_e32 v35, 0x3fb8aa3b, v35
	v_cndmask_b32_e64 v39, 0, v39, s[30:31]
	v_add_f32_e32 v53, v53, v38
	v_exp_f32_e32 v35, v35
	v_cndmask_b32_e64 v36, 0, v36, s[34:35]
	v_add_f32_e32 v53, v53, v39
	v_cndmask_b32_e64 v37, 0, v37, s[36:37]
	v_add_f32_e32 v53, v53, v36
	v_add_f32_e32 v53, v53, v37
	v_cndmask_b32_e32 v34, 0, v34, vcc
	v_add_f32_e32 v53, v53, v34
	v_cndmask_b32_e64 v35, 0, v35, s[4:5]
	v_add_f32_e32 v53, v53, v35
	ds_bpermute_b32 v51, v51, v53
	v_cmp_gt_u32_e32 vcc, 16, v55
	s_waitcnt lgkmcnt(0)
	s_barrier
	v_add_f32_e32 v51, v53, v51
	ds_bpermute_b32 v53, v58, v51
	s_and_saveexec_b64 s[4:5], vcc
	s_cbranch_execz .LBB979_15
; %bb.14:
	s_waitcnt lgkmcnt(0)
	v_add_f32_e32 v51, v51, v53
	v_lshlrev_b32_e32 v52, 2, v52
	ds_write2st64_b32 v52, v50, v51 offset1:1
.LBB979_15:
	s_or_b64 exec, exec, s[4:5]
	v_lshlrev_b32_e32 v51, 2, v56
	s_load_dword s7, s[0:1], 0x94
	s_waitcnt lgkmcnt(0)
	s_barrier
	ds_read2_b32 v[52:53], v51 offset1:16
	ds_read2_b32 v[58:59], v51 offset0:32 offset1:48
	ds_read2_b32 v[62:63], v51 offset0:64 offset1:80
	s_mul_i32 s8, s33, 12
	s_waitcnt lgkmcnt(2)
	v_max3_f32 v50, v52, s40, v53
	s_waitcnt lgkmcnt(1)
	v_max3_f32 v50, v50, v58, v59
	v_sub_f32_e32 v52, v52, v50
	v_mul_f32_e32 v52, 0x3fb8aa3b, v52
	v_exp_f32_e32 v55, v52
	v_sub_f32_e32 v52, v53, v50
	v_mul_f32_e32 v52, 0x3fb8aa3b, v52
	v_exp_f32_e32 v61, v52
	;; [unrolled: 3-line block ×3, first 2 shown]
	ds_read2_b32 v[52:53], v51 offset0:96 offset1:112
	v_sub_f32_e32 v51, v59, v50
	v_mul_f32_e32 v51, 0x3fb8aa3b, v51
	v_exp_f32_e32 v59, v51
	s_waitcnt lgkmcnt(1)
	v_fma_f32 v51, v55, v62, 0
	v_fmac_f32_e32 v51, v61, v63
	s_waitcnt lgkmcnt(0)
	v_fmac_f32_e32 v51, v58, v52
	v_fmac_f32_e32 v51, v59, v53
	v_add_f32_e32 v52, 0x358637bd, v51
	v_div_scale_f32 v53, s[4:5], v52, v52, 1.0
	v_rcp_f32_e32 v62, v53
	s_barrier
	v_fma_f32 v63, -v53, v62, 1.0
	v_fmac_f32_e32 v62, v63, v62
	v_div_scale_f32 v63, vcc, 1.0, v52, 1.0
	v_mul_f32_e32 v64, v63, v62
	v_fma_f32 v65, -v53, v64, v63
	v_fmac_f32_e32 v64, v65, v62
	v_fma_f32 v53, -v53, v64, v63
	v_div_fmas_f32 v53, v53, v62, v64
	v_cmp_eq_u32_e32 vcc, 1, v57
	v_div_fixup_f32 v52, v53, v52, 1.0
	s_nop 0
	v_cndmask_b32_e32 v53, v55, v61, vcc
	v_cmp_eq_u32_e32 vcc, 2, v57
	s_nop 1
	v_cndmask_b32_e32 v53, v53, v58, vcc
	v_cmp_eq_u32_e32 vcc, 3, v57
	s_nop 1
	v_cndmask_b32_e32 v53, v53, v59, vcc
	v_mul_f32_e32 v52, v53, v52
	v_pk_mul_f32 v[48:49], v[52:53], v[48:49] op_sel_hi:[0,1]
	v_pk_mul_f32 v[46:47], v[52:53], v[46:47] op_sel_hi:[0,1]
	v_cvt_f16_f32_e32 v53, v48
	v_cvt_f16_f32_e32 v49, v49
	;; [unrolled: 1-line block ×4, first 2 shown]
	v_pk_mul_f32 v[42:43], v[52:53], v[42:43] op_sel_hi:[0,1]
	v_pk_mul_f32 v[44:45], v[52:53], v[44:45] op_sel_hi:[0,1]
	v_pack_b32_f16 v49, v53, v49
	v_cvt_f16_f32_e32 v44, v44
	v_cvt_f16_f32_e32 v45, v45
	;; [unrolled: 1-line block ×4, first 2 shown]
	v_pack_b32_f16 v48, v46, v47
	v_lshlrev_b32_e32 v47, 3, v1
	v_lshlrev_b32_e32 v46, 5, v56
	;; [unrolled: 1-line block ×3, first 2 shown]
	v_or3_b32 v55, v42, v46, v47
	v_pack_b32_f16 v42, v44, v45
	v_pack_b32_f16 v43, v53, v43
	v_pk_mul_f32 v[38:39], v[52:53], v[38:39] op_sel_hi:[0,1]
	v_pk_mul_f32 v[40:41], v[52:53], v[40:41] op_sel_hi:[0,1]
	;; [unrolled: 1-line block ×4, first 2 shown]
	ds_write2st64_b64 v55, v[48:49], v[42:43] offset1:1
	v_cvt_f16_f32_e32 v40, v40
	v_cvt_f16_f32_e32 v41, v41
	;; [unrolled: 1-line block ×8, first 2 shown]
	v_pack_b32_f16 v34, v40, v41
	v_pack_b32_f16 v35, v38, v39
	;; [unrolled: 1-line block ×4, first 2 shown]
	v_cmp_gt_u32_e32 vcc, 12, v0
	ds_write2st64_b64 v55, v[34:35], v[36:37] offset0:2 offset1:3
	s_and_saveexec_b64 s[4:5], vcc
	s_cbranch_execz .LBB979_17
; %bb.16:
	s_mov_b32 s49, 0
	v_mov_b32_e32 v57, 0
	v_lshl_add_u64 v[34:35], s[48:49], 0, v[56:57]
	v_mov_b32_e32 v36, s8
	v_mad_u64_u32 v[34:35], s[10:11], s2, v36, v[34:35]
	s_mul_i32 s3, s3, s8
	v_mov_b32_e32 v36, s6
	v_mov_b32_e32 v37, v57
	s_load_dwordx4 s[12:15], s[0:1], 0x58
	v_add_u32_e32 v38, s3, v35
	v_mad_u64_u32 v[34:35], s[10:11], v34, s7, v[36:37]
	v_mov_b32_e32 v36, v35
	v_mad_u64_u32 v[36:37], s[10:11], v38, s7, v[36:37]
	v_mov_b32_e32 v35, v36
	v_lshlrev_b64 v[34:35], 2, v[34:35]
	s_waitcnt lgkmcnt(0)
	v_lshl_add_u64 v[36:37], s[14:15], 0, v[34:35]
	v_lshl_add_u64 v[34:35], s[12:13], 0, v[34:35]
	global_store_dword v[36:37], v50, off
	global_store_dword v[34:35], v51, off
.LBB979_17:
	s_or_b64 exec, exec, s[4:5]
	s_waitcnt vmcnt(7)
	v_cvt_pk_f32_fp8_e32 v[34:35], v6
	v_cvt_pk_f32_fp8_sdwa v[36:37], v6 src0_sel:WORD_1
	v_lshl_or_b32 v50, v1, 9, v46
	s_waitcnt lgkmcnt(0)
	s_barrier
	v_cvt_pk_f32_fp8_e32 v[38:39], v7
	v_cvt_pkrtz_f16_f32 v6, v34, v35
	v_cvt_pk_f32_fp8_sdwa v[40:41], v7 src0_sel:WORD_1
	v_cvt_pkrtz_f16_f32 v7, v36, v37
	ds_read_b128 v[34:37], v50
	v_cvt_pkrtz_f16_f32 v46, v38, v39
	v_cvt_pkrtz_f16_f32 v47, v40, v41
	ds_read_b128 v[38:41], v50 offset:16
	v_cvt_pk_f32_fp8_e32 v[48:49], v8
	v_cvt_pk_f32_fp8_sdwa v[52:53], v8 src0_sel:WORD_1
	s_waitcnt lgkmcnt(1)
	v_mfma_f32_16x16x16_f16 v[42:45], v[6:7], v[34:35], 0
	s_waitcnt vmcnt(6)
	v_cvt_pk_f32_fp8_e32 v[58:59], v4
	v_cvt_pkrtz_f16_f32 v6, v48, v49
	v_cvt_pkrtz_f16_f32 v7, v52, v53
	v_cvt_pk_f32_fp8_e32 v[48:49], v9
	v_mfma_f32_16x16x16_f16 v[42:45], v[46:47], v[36:37], v[42:45]
	v_cvt_pk_f32_fp8_sdwa v[46:47], v9 src0_sel:WORD_1
	v_cvt_pk_f32_fp8_sdwa v[62:63], v4 src0_sel:WORD_1
	v_cvt_pkrtz_f16_f32 v48, v48, v49
	s_waitcnt lgkmcnt(0)
	v_mfma_f32_16x16x16_f16 v[6:9], v[6:7], v[38:39], v[42:45]
	v_cvt_pkrtz_f16_f32 v49, v46, v47
	s_waitcnt vmcnt(5)
	v_cvt_pk_f32_fp8_sdwa v[66:67], v28 src0_sel:WORD_1
	s_waitcnt vmcnt(4)
	v_cvt_pk_f32_fp8_sdwa v[68:69], v24 src0_sel:WORD_1
	v_cvt_pk_f32_fp8_e32 v[42:43], v2
	v_mfma_f32_16x16x16_f16 v[46:49], v[48:49], v[40:41], v[6:9]
	s_waitcnt vmcnt(3)
	v_cvt_pk_f32_fp8_sdwa v[70:71], v32 src0_sel:WORD_1
	s_load_dword s4, s[42:43], 0x0
	v_cvt_pk_f32_fp8_sdwa v[6:7], v2 src0_sel:WORD_1
	v_cvt_pk_f32_fp8_e32 v[8:9], v3
	v_cvt_pkrtz_f16_f32 v2, v42, v43
	v_cvt_pk_f32_fp8_sdwa v[42:43], v3 src0_sel:WORD_1
	v_cvt_pkrtz_f16_f32 v3, v6, v7
	v_cvt_pkrtz_f16_f32 v52, v8, v9
	ds_read_b128 v[6:9], v50 offset:2048
	v_cvt_pkrtz_f16_f32 v53, v42, v43
	ds_read_b128 v[42:45], v50 offset:2064
	s_waitcnt lgkmcnt(0)
	v_mfma_f32_16x16x16_f16 v[46:49], v[2:3], v[6:7], v[46:49]
	v_cvt_pkrtz_f16_f32 v2, v58, v59
	v_cvt_pkrtz_f16_f32 v3, v62, v63
	v_cvt_pk_f32_fp8_e32 v[58:59], v5
	v_mfma_f32_16x16x16_f16 v[46:49], v[52:53], v[8:9], v[46:49]
	v_cvt_pk_f32_fp8_sdwa v[52:53], v5 src0_sel:WORD_1
	s_mov_b32 s3, 0
	v_cvt_pkrtz_f16_f32 v58, v58, v59
	v_mfma_f32_16x16x16_f16 v[2:5], v[2:3], v[42:43], v[46:49]
	v_cvt_pkrtz_f16_f32 v59, v52, v53
	v_cmp_gt_u32_e32 vcc, 64, v0
	s_nop 0
	v_cvt_pk_f32_fp8_e32 v[46:47], v26
	v_mfma_f32_16x16x16_f16 v[62:65], v[58:59], v[44:45], v[2:5]
	v_cvt_pk_f32_fp8_e32 v[58:59], v28
	s_nop 1
	v_cvt_pk_f32_fp8_sdwa v[2:3], v26 src0_sel:WORD_1
	v_cvt_pk_f32_fp8_e32 v[4:5], v27
	v_cvt_pkrtz_f16_f32 v26, v46, v47
	v_cvt_pk_f32_fp8_sdwa v[46:47], v27 src0_sel:WORD_1
	v_cvt_pkrtz_f16_f32 v27, v2, v3
	v_cvt_pkrtz_f16_f32 v52, v4, v5
	ds_read_b128 v[2:5], v50 offset:4096
	v_cvt_pkrtz_f16_f32 v53, v46, v47
	ds_read_b128 v[46:49], v50 offset:4112
	s_waitcnt lgkmcnt(1)
	v_mfma_f32_16x16x16_f16 v[62:65], v[26:27], v[2:3], v[62:65]
	v_cvt_pkrtz_f16_f32 v26, v58, v59
	v_cvt_pkrtz_f16_f32 v27, v66, v67
	v_cvt_pk_f32_fp8_e32 v[58:59], v29
	v_mfma_f32_16x16x16_f16 v[62:65], v[52:53], v[4:5], v[62:65]
	v_cvt_pk_f32_fp8_sdwa v[52:53], v29 src0_sel:WORD_1
	v_cvt_pk_f32_fp8_e32 v[66:67], v24
	v_cvt_pkrtz_f16_f32 v58, v58, v59
	s_waitcnt lgkmcnt(0)
	v_mfma_f32_16x16x16_f16 v[26:29], v[26:27], v[46:47], v[62:65]
	v_cvt_pkrtz_f16_f32 v59, v52, v53
	v_cvt_pk_f32_fp8_e32 v[52:53], v22
	s_nop 0
	v_mfma_f32_16x16x16_f16 v[62:65], v[58:59], v[48:49], v[26:29]
	s_nop 2
	v_cvt_pk_f32_fp8_sdwa v[26:27], v22 src0_sel:WORD_1
	v_cvt_pk_f32_fp8_e32 v[28:29], v23
	v_cvt_pkrtz_f16_f32 v22, v52, v53
	v_cvt_pk_f32_fp8_sdwa v[52:53], v23 src0_sel:WORD_1
	v_cvt_pkrtz_f16_f32 v23, v26, v27
	v_cvt_pkrtz_f16_f32 v58, v28, v29
	ds_read_b128 v[26:29], v50 offset:6144
	v_cvt_pkrtz_f16_f32 v59, v52, v53
	s_waitcnt lgkmcnt(0)
	v_mfma_f32_16x16x16_f16 v[62:65], v[22:23], v[26:27], v[62:65]
	ds_read_b128 v[50:53], v50 offset:6160
	v_cvt_pkrtz_f16_f32 v22, v66, v67
	v_cvt_pkrtz_f16_f32 v23, v68, v69
	v_cvt_pk_f32_fp8_e32 v[66:67], v25
	v_mfma_f32_16x16x16_f16 v[62:65], v[58:59], v[28:29], v[62:65]
	v_cvt_pk_f32_fp8_sdwa v[58:59], v25 src0_sel:WORD_1
	v_cvt_pk_f32_fp8_e32 v[68:69], v32
	v_cvt_pkrtz_f16_f32 v66, v66, v67
	s_waitcnt lgkmcnt(0)
	v_mfma_f32_16x16x16_f16 v[22:25], v[22:23], v[50:51], v[62:65]
	v_cvt_pkrtz_f16_f32 v67, v58, v59
	v_cvt_pk_f32_fp8_e32 v[58:59], v30
	s_nop 0
	v_cvt_pk_f32_fp8_sdwa v[62:63], v30 src0_sel:WORD_1
	v_cvt_pk_f32_fp8_e32 v[64:65], v31
	v_cvt_pkrtz_f16_f32 v58, v58, v59
	v_cvt_pk_f32_fp8_sdwa v[30:31], v31 src0_sel:WORD_1
	v_cvt_pkrtz_f16_f32 v59, v62, v63
	v_mfma_f32_16x16x16_f16 v[22:25], v[66:67], v[52:53], v[22:25]
	v_cvt_pkrtz_f16_f32 v66, v64, v65
	v_cvt_pkrtz_f16_f32 v67, v30, v31
	;; [unrolled: 1-line block ×3, first 2 shown]
	v_mfma_f32_16x16x16_f16 v[62:65], v[58:59], v[34:35], 0
	v_cvt_pkrtz_f16_f32 v31, v70, v71
	v_cvt_pk_f32_fp8_e32 v[58:59], v33
	s_barrier
	v_mfma_f32_16x16x16_f16 v[34:37], v[66:67], v[36:37], v[62:65]
	v_cvt_pkrtz_f16_f32 v58, v58, v59
	s_nop 1
	v_cvt_pk_f32_fp8_sdwa v[62:63], v33 src0_sel:WORD_1
	v_mfma_f32_16x16x16_f16 v[30:33], v[30:31], v[38:39], v[34:37]
	s_waitcnt vmcnt(2)
	v_cvt_pk_f32_fp8_e32 v[38:39], v19
	v_cvt_pkrtz_f16_f32 v59, v62, v63
	v_cvt_pk_f32_fp8_e32 v[34:35], v18
	v_cvt_pk_f32_fp8_sdwa v[36:37], v18 src0_sel:WORD_1
	v_cvt_pk_f32_fp8_sdwa v[18:19], v19 src0_sel:WORD_1
	v_mfma_f32_16x16x16_f16 v[30:33], v[58:59], v[40:41], v[30:33]
	v_cvt_pkrtz_f16_f32 v34, v34, v35
	v_cvt_pkrtz_f16_f32 v35, v36, v37
	;; [unrolled: 1-line block ×3, first 2 shown]
	v_cvt_pk_f32_fp8_e32 v[38:39], v20
	v_cvt_pk_f32_fp8_sdwa v[40:41], v20 src0_sel:WORD_1
	v_cvt_pkrtz_f16_f32 v37, v18, v19
	v_mfma_f32_16x16x16_f16 v[30:33], v[34:35], v[6:7], v[30:33]
	v_cvt_pkrtz_f16_f32 v18, v38, v39
	v_cvt_pkrtz_f16_f32 v19, v40, v41
	v_cvt_pk_f32_fp8_e32 v[34:35], v21
	v_cvt_pk_f32_fp8_sdwa v[20:21], v21 src0_sel:WORD_1
	v_mfma_f32_16x16x16_f16 v[6:9], v[36:37], v[8:9], v[30:33]
	s_nop 2
	v_cvt_pkrtz_f16_f32 v30, v34, v35
	v_cvt_pkrtz_f16_f32 v31, v20, v21
	v_mfma_f32_16x16x16_f16 v[6:9], v[18:19], v[42:43], v[6:9]
	s_waitcnt vmcnt(1)
	v_cvt_pk_f32_fp8_e32 v[18:19], v14
	v_cvt_pk_f32_fp8_sdwa v[20:21], v14 src0_sel:WORD_1
	v_cvt_pk_f32_fp8_sdwa v[32:33], v16 src0_sel:WORD_1
	v_mfma_f32_16x16x16_f16 v[6:9], v[30:31], v[44:45], v[6:9]
	v_cvt_pk_f32_fp8_e32 v[30:31], v15
	v_cvt_pkrtz_f16_f32 v18, v18, v19
	v_cvt_pkrtz_f16_f32 v19, v20, v21
	v_cvt_pk_f32_fp8_sdwa v[14:15], v15 src0_sel:WORD_1
	v_cvt_pkrtz_f16_f32 v20, v30, v31
	v_cvt_pk_f32_fp8_e32 v[30:31], v16
	v_mfma_f32_16x16x16_f16 v[6:9], v[18:19], v[2:3], v[6:9]
	v_cvt_pkrtz_f16_f32 v21, v14, v15
	v_cvt_pkrtz_f16_f32 v14, v30, v31
	;; [unrolled: 1-line block ×3, first 2 shown]
	v_cvt_pk_f32_fp8_e32 v[18:19], v17
	v_cvt_pk_f32_fp8_sdwa v[16:17], v17 src0_sel:WORD_1
	v_mfma_f32_16x16x16_f16 v[2:5], v[20:21], v[4:5], v[6:9]
	s_waitcnt vmcnt(0)
	v_cvt_pk_f32_fp8_sdwa v[20:21], v12 src0_sel:WORD_1
	s_nop 0
	v_cvt_pkrtz_f16_f32 v8, v18, v19
	v_cvt_pkrtz_f16_f32 v9, v16, v17
	v_mfma_f32_16x16x16_f16 v[2:5], v[14:15], v[46:47], v[2:5]
	v_cvt_pk_f32_fp8_e32 v[16:17], v10
	v_cvt_pk_f32_fp8_sdwa v[18:19], v10 src0_sel:WORD_1
	v_pk_mul_f32 v[6:7], v[24:25], s[4:5] op_sel_hi:[1,0]
	v_mfma_f32_16x16x16_f16 v[2:5], v[8:9], v[48:49], v[2:5]
	v_cvt_pk_f32_fp8_e32 v[8:9], v11
	v_cvt_pkrtz_f16_f32 v16, v16, v17
	v_cvt_pkrtz_f16_f32 v17, v18, v19
	v_cvt_pk_f32_fp8_sdwa v[10:11], v11 src0_sel:WORD_1
	v_cvt_pkrtz_f16_f32 v8, v8, v9
	v_cvt_pk_f32_fp8_e32 v[18:19], v12
	v_mfma_f32_16x16x16_f16 v[2:5], v[16:17], v[26:27], v[2:5]
	v_cvt_pkrtz_f16_f32 v9, v10, v11
	v_cvt_pkrtz_f16_f32 v10, v18, v19
	;; [unrolled: 1-line block ×3, first 2 shown]
	v_cvt_pk_f32_fp8_e32 v[16:17], v13
	v_cvt_pk_f32_fp8_sdwa v[12:13], v13 src0_sel:WORD_1
	v_mfma_f32_16x16x16_f16 v[2:5], v[8:9], v[28:29], v[2:5]
	v_pk_mul_f32 v[14:15], v[22:23], s[4:5] op_sel_hi:[1,0]
	v_cvt_pkrtz_f16_f32 v8, v16, v17
	v_cvt_pkrtz_f16_f32 v9, v12, v13
	v_mfma_f32_16x16x16_f16 v[2:5], v[10:11], v[50:51], v[2:5]
	v_cvt_f16_f32_e32 v14, v14
	v_cvt_f16_f32_e32 v10, v15
	v_cvt_f16_f32_e32 v6, v6
	v_mfma_f32_16x16x16_f16 v[2:5], v[8:9], v[52:53], v[2:5]
	v_cvt_f16_f32_e32 v7, v7
	s_nop 5
	v_pk_mul_f32 v[4:5], v[4:5], s[4:5] op_sel_hi:[1,0]
	v_pk_mul_f32 v[2:3], v[2:3], s[4:5] op_sel_hi:[1,0]
	v_cvt_f16_f32_e32 v11, v4
	v_cvt_f16_f32_e32 v8, v2
	v_cvt_f16_f32_e32 v9, v3
	v_cvt_f16_f32_e32 v5, v5
	v_pack_b32_f16 v2, v14, v10
	v_pack_b32_f16 v3, v6, v7
	;; [unrolled: 1-line block ×4, first 2 shown]
	ds_write2st64_b64 v55, v[2:3], v[4:5] offset1:1
	s_waitcnt lgkmcnt(0)
	s_barrier
	s_and_saveexec_b64 s[4:5], vcc
	s_cbranch_execz .LBB979_19
; %bb.18:
	s_load_dwordx2 s[0:1], s[0:1], 0x68
	s_lshl_b32 s7, s7, 7
	s_mul_i32 s2, s8, s2
	s_mul_hi_u32 s5, s2, s7
	s_mul_i32 s4, s2, s7
	s_lshl_b64 s[4:5], s[4:5], 1
	v_lshlrev_b32_e32 v4, 6, v56
	s_waitcnt lgkmcnt(0)
	s_add_u32 s4, s0, s4
	v_lshl_or_b32 v0, v0, 10, v4
	s_addc_u32 s5, s1, s5
	s_lshl_b32 s2, s6, 7
	v_lshlrev_b32_e32 v2, 5, v1
	v_and_b32_e32 v3, 16, v60
	v_and_b32_e32 v0, 0x1a00, v0
	s_lshl_b64 s[0:1], s[2:3], 1
	v_or3_b32 v0, v0, v2, v3
	s_add_u32 s0, s4, s0
	ds_read_b128 v[2:5], v0
	ds_read_b128 v[6:9], v0 offset:128
	ds_read_b128 v[10:13], v0 offset:256
	s_addc_u32 s1, s5, s1
	v_or_b32_e32 v16, s48, v1
	v_mov_b32_e32 v55, 0
	v_lshl_add_u64 v[0:1], s[0:1], 0, v[54:55]
	v_mad_u64_u32 v[14:15], s[0:1], v16, s7, 0
	v_lshl_add_u64 v[14:15], v[14:15], 1, v[0:1]
	s_waitcnt lgkmcnt(2)
	global_store_dwordx4 v[14:15], v[2:5], off
	s_nop 1
	v_add_u32_e32 v2, 4, v16
	v_mad_u64_u32 v[2:3], s[0:1], v2, s7, 0
	v_lshl_add_u64 v[2:3], v[2:3], 1, v[0:1]
	s_waitcnt lgkmcnt(1)
	global_store_dwordx4 v[2:3], v[6:9], off
	v_add_u32_e32 v2, 8, v16
	v_mad_u64_u32 v[2:3], s[0:1], v2, s7, 0
	v_lshl_add_u64 v[0:1], v[2:3], 1, v[0:1]
	s_waitcnt lgkmcnt(0)
	global_store_dwordx4 v[0:1], v[10:13], off
.LBB979_19:
	s_endpgm
	.section	.rodata,"a",@progbits
	.p2align	6, 0x0
	.amdhsa_kernel _Z39paged_attention_ll4mi_QKV_mfma16_kernelIDF16_hLN4vllm18Fp8KVCacheDataTypeE1EDF16_Li16ELi128ELi256ELb1ELi12EEvPKT_PKT0_S7_ifPKiS9_S9_iPKfiiiPfSC_PS2_PT2_iSB_SB_
		.amdhsa_group_segment_fixed_size 8192
		.amdhsa_private_segment_fixed_size 0
		.amdhsa_kernarg_size 400
		.amdhsa_user_sgpr_count 2
		.amdhsa_user_sgpr_dispatch_ptr 0
		.amdhsa_user_sgpr_queue_ptr 0
		.amdhsa_user_sgpr_kernarg_segment_ptr 1
		.amdhsa_user_sgpr_dispatch_id 0
		.amdhsa_user_sgpr_kernarg_preload_length 0
		.amdhsa_user_sgpr_kernarg_preload_offset 0
		.amdhsa_user_sgpr_private_segment_size 0
		.amdhsa_uses_dynamic_stack 0
		.amdhsa_enable_private_segment 0
		.amdhsa_system_sgpr_workgroup_id_x 1
		.amdhsa_system_sgpr_workgroup_id_y 1
		.amdhsa_system_sgpr_workgroup_id_z 1
		.amdhsa_system_sgpr_workgroup_info 0
		.amdhsa_system_vgpr_workitem_id 0
		.amdhsa_next_free_vgpr 76
		.amdhsa_next_free_sgpr 50
		.amdhsa_accum_offset 76
		.amdhsa_reserve_vcc 1
		.amdhsa_float_round_mode_32 0
		.amdhsa_float_round_mode_16_64 0
		.amdhsa_float_denorm_mode_32 3
		.amdhsa_float_denorm_mode_16_64 3
		.amdhsa_dx10_clamp 1
		.amdhsa_ieee_mode 1
		.amdhsa_fp16_overflow 0
		.amdhsa_tg_split 0
		.amdhsa_exception_fp_ieee_invalid_op 0
		.amdhsa_exception_fp_denorm_src 0
		.amdhsa_exception_fp_ieee_div_zero 0
		.amdhsa_exception_fp_ieee_overflow 0
		.amdhsa_exception_fp_ieee_underflow 0
		.amdhsa_exception_fp_ieee_inexact 0
		.amdhsa_exception_int_div_zero 0
	.end_amdhsa_kernel
	.section	.text._Z39paged_attention_ll4mi_QKV_mfma16_kernelIDF16_hLN4vllm18Fp8KVCacheDataTypeE1EDF16_Li16ELi128ELi256ELb1ELi12EEvPKT_PKT0_S7_ifPKiS9_S9_iPKfiiiPfSC_PS2_PT2_iSB_SB_,"axG",@progbits,_Z39paged_attention_ll4mi_QKV_mfma16_kernelIDF16_hLN4vllm18Fp8KVCacheDataTypeE1EDF16_Li16ELi128ELi256ELb1ELi12EEvPKT_PKT0_S7_ifPKiS9_S9_iPKfiiiPfSC_PS2_PT2_iSB_SB_,comdat
.Lfunc_end979:
	.size	_Z39paged_attention_ll4mi_QKV_mfma16_kernelIDF16_hLN4vllm18Fp8KVCacheDataTypeE1EDF16_Li16ELi128ELi256ELb1ELi12EEvPKT_PKT0_S7_ifPKiS9_S9_iPKfiiiPfSC_PS2_PT2_iSB_SB_, .Lfunc_end979-_Z39paged_attention_ll4mi_QKV_mfma16_kernelIDF16_hLN4vllm18Fp8KVCacheDataTypeE1EDF16_Li16ELi128ELi256ELb1ELi12EEvPKT_PKT0_S7_ifPKiS9_S9_iPKfiiiPfSC_PS2_PT2_iSB_SB_
                                        ; -- End function
	.section	.AMDGPU.csdata,"",@progbits
; Kernel info:
; codeLenInByte = 6300
; NumSgprs: 56
; NumVgprs: 76
; NumAgprs: 0
; TotalNumVgprs: 76
; ScratchSize: 0
; MemoryBound: 0
; FloatMode: 240
; IeeeMode: 1
; LDSByteSize: 8192 bytes/workgroup (compile time only)
; SGPRBlocks: 6
; VGPRBlocks: 9
; NumSGPRsForWavesPerEU: 56
; NumVGPRsForWavesPerEU: 76
; AccumOffset: 76
; Occupancy: 6
; WaveLimiterHint : 1
; COMPUTE_PGM_RSRC2:SCRATCH_EN: 0
; COMPUTE_PGM_RSRC2:USER_SGPR: 2
; COMPUTE_PGM_RSRC2:TRAP_HANDLER: 0
; COMPUTE_PGM_RSRC2:TGID_X_EN: 1
; COMPUTE_PGM_RSRC2:TGID_Y_EN: 1
; COMPUTE_PGM_RSRC2:TGID_Z_EN: 1
; COMPUTE_PGM_RSRC2:TIDIG_COMP_CNT: 0
; COMPUTE_PGM_RSRC3_GFX90A:ACCUM_OFFSET: 18
; COMPUTE_PGM_RSRC3_GFX90A:TG_SPLIT: 0
	.section	.text._Z39paged_attention_ll4mi_QKV_mfma16_kernelIDF16_hLN4vllm18Fp8KVCacheDataTypeE1EDF16_Li16ELi128ELi256ELb1ELi13EEvPKT_PKT0_S7_ifPKiS9_S9_iPKfiiiPfSC_PS2_PT2_iSB_SB_,"axG",@progbits,_Z39paged_attention_ll4mi_QKV_mfma16_kernelIDF16_hLN4vllm18Fp8KVCacheDataTypeE1EDF16_Li16ELi128ELi256ELb1ELi13EEvPKT_PKT0_S7_ifPKiS9_S9_iPKfiiiPfSC_PS2_PT2_iSB_SB_,comdat
	.protected	_Z39paged_attention_ll4mi_QKV_mfma16_kernelIDF16_hLN4vllm18Fp8KVCacheDataTypeE1EDF16_Li16ELi128ELi256ELb1ELi13EEvPKT_PKT0_S7_ifPKiS9_S9_iPKfiiiPfSC_PS2_PT2_iSB_SB_ ; -- Begin function _Z39paged_attention_ll4mi_QKV_mfma16_kernelIDF16_hLN4vllm18Fp8KVCacheDataTypeE1EDF16_Li16ELi128ELi256ELb1ELi13EEvPKT_PKT0_S7_ifPKiS9_S9_iPKfiiiPfSC_PS2_PT2_iSB_SB_
	.globl	_Z39paged_attention_ll4mi_QKV_mfma16_kernelIDF16_hLN4vllm18Fp8KVCacheDataTypeE1EDF16_Li16ELi128ELi256ELb1ELi13EEvPKT_PKT0_S7_ifPKiS9_S9_iPKfiiiPfSC_PS2_PT2_iSB_SB_
	.p2align	8
	.type	_Z39paged_attention_ll4mi_QKV_mfma16_kernelIDF16_hLN4vllm18Fp8KVCacheDataTypeE1EDF16_Li16ELi128ELi256ELb1ELi13EEvPKT_PKT0_S7_ifPKiS9_S9_iPKfiiiPfSC_PS2_PT2_iSB_SB_,@function
_Z39paged_attention_ll4mi_QKV_mfma16_kernelIDF16_hLN4vllm18Fp8KVCacheDataTypeE1EDF16_Li16ELi128ELi256ELb1ELi13EEvPKT_PKT0_S7_ifPKiS9_S9_iPKfiiiPfSC_PS2_PT2_iSB_SB_: ; @_Z39paged_attention_ll4mi_QKV_mfma16_kernelIDF16_hLN4vllm18Fp8KVCacheDataTypeE1EDF16_Li16ELi128ELi256ELb1ELi13EEvPKT_PKT0_S7_ifPKiS9_S9_iPKfiiiPfSC_PS2_PT2_iSB_SB_
; %bb.0:
	s_load_dwordx2 s[10:11], s[0:1], 0x30
	s_mov_b32 s6, s3
	s_mov_b64 s[8:9], 0
	s_waitcnt lgkmcnt(0)
	s_cmp_lg_u64 s[10:11], 0
	s_cselect_b64 s[12:13], -1, 0
	s_and_b64 vcc, exec, s[12:13]
	s_cbranch_vccz .LBB980_7
; %bb.1:
	s_add_i32 s14, s2, 1
	s_mov_b32 s15, 0
	s_lshl_b64 s[16:17], s[14:15], 2
	s_add_u32 s16, s10, s16
	s_mov_b32 s3, s15
	s_addc_u32 s17, s11, s17
	s_lshl_b64 s[14:15], s[2:3], 2
	s_add_u32 s14, s10, s14
	s_addc_u32 s15, s11, s15
	s_load_dword s5, s[16:17], 0x0
	s_load_dword s7, s[14:15], 0x0
	s_waitcnt lgkmcnt(0)
	s_sub_i32 s5, s5, s7
	s_cmp_eq_u32 s5, 1
	s_cselect_b64 s[14:15], -1, 0
	s_andn2_b64 vcc, exec, s[8:9]
	s_cbranch_vccnz .LBB980_3
.LBB980_2:
	s_mov_b32 s3, 0
	s_mov_b64 s[14:15], -1
.LBB980_3:
	s_andn2_b64 vcc, exec, s[14:15]
	s_cbranch_vccnz .LBB980_20
; %bb.4:
	s_load_dwordx2 s[8:9], s[0:1], 0x28
	s_lshl_b64 s[14:15], s[2:3], 2
	s_waitcnt lgkmcnt(0)
	s_add_u32 s8, s8, s14
	s_addc_u32 s9, s9, s15
	s_load_dword s7, s[8:9], 0x0
	s_lshl_b32 s18, s6, 8
	s_waitcnt lgkmcnt(0)
	s_cmp_ge_i32 s18, s7
	s_cbranch_scc1 .LBB980_20
; %bb.5:
	s_load_dwordx2 s[8:9], s[0:1], 0x20
	s_load_dword s5, s[0:1], 0x38
	s_add_i32 s16, s7, 15
	s_ashr_i32 s17, s16, 31
	v_and_b32_e32 v1, 0xcf, v0
	s_lshr_b32 s17, s17, 28
	v_add_u32_e32 v1, s18, v1
	s_add_i32 s16, s16, s17
	v_ashrrev_i32_e32 v2, 31, v1
	s_ashr_i32 s19, s16, 4
	v_lshrrev_b32_e32 v4, 28, v2
	s_add_i32 s19, s19, -1
	s_waitcnt lgkmcnt(0)
	s_mul_i32 s16, s2, s5
	s_mov_b32 s17, 0
	v_add_u32_e32 v2, v1, v4
	s_lshl_b64 s[16:17], s[16:17], 2
	v_ashrrev_i32_e32 v2, 4, v2
	v_mov_b32_e32 v5, s19
	v_cmp_gt_i32_e32 vcc, s7, v1
	s_add_u32 s8, s8, s16
	s_addc_u32 s9, s9, s17
	v_cndmask_b32_e32 v2, v5, v2, vcc
	v_ashrrev_i32_e32 v3, 31, v2
	v_lshl_add_u64 v[6:7], v[2:3], 2, s[8:9]
	v_or_b32_e32 v2, 16, v1
	v_add_u32_e32 v3, v2, v4
	v_ashrrev_i32_e32 v3, 4, v3
	v_cmp_gt_i32_e32 vcc, s7, v2
	s_load_dwordx2 s[16:17], s[0:1], 0x8
	s_nop 0
	v_cndmask_b32_e32 v2, v5, v3, vcc
	v_ashrrev_i32_e32 v3, 31, v2
	v_lshl_add_u64 v[8:9], v[2:3], 2, s[8:9]
	v_or_b32_e32 v2, 32, v1
	v_add_u32_e32 v3, v2, v4
	v_ashrrev_i32_e32 v3, 4, v3
	v_cmp_gt_i32_e32 vcc, s7, v2
	v_or_b32_e32 v1, 48, v1
	s_nop 0
	v_cndmask_b32_e32 v2, v5, v3, vcc
	v_ashrrev_i32_e32 v3, 31, v2
	v_lshl_add_u64 v[12:13], v[2:3], 2, s[8:9]
	v_add_u32_e32 v2, v1, v4
	v_ashrrev_i32_e32 v2, 4, v2
	v_cmp_gt_i32_e32 vcc, s7, v1
	s_nop 1
	v_cndmask_b32_e32 v2, v5, v2, vcc
	v_ashrrev_i32_e32 v3, 31, v2
	v_lshl_add_u64 v[14:15], v[2:3], 2, s[8:9]
	global_load_dword v4, v[6:7], off
	global_load_dword v3, v[8:9], off
	;; [unrolled: 1-line block ×4, first 2 shown]
	s_andn2_b64 vcc, exec, s[12:13]
	s_cbranch_vccnz .LBB980_8
; %bb.6:
	s_add_u32 s10, s10, s14
	s_addc_u32 s11, s11, s15
	s_load_dword s5, s[10:11], 0x0
	s_branch .LBB980_9
.LBB980_7:
	s_mov_b64 s[14:15], 0
	s_branch .LBB980_2
.LBB980_8:
	s_mov_b32 s5, s2
.LBB980_9:
	s_load_dwordx2 s[10:11], s[0:1], 0x10
	s_load_dwordx4 s[44:47], s[0:1], 0x48
	v_lshrrev_b32_e32 v57, 6, v0
	v_bfe_u32 v60, v0, 4, 2
	v_and_b32_e32 v56, 15, v0
	v_lshl_or_b32 v5, v57, 2, v60
	v_lshlrev_b32_e32 v1, 3, v56
	s_mul_i32 s48, s4, 13
	v_cmp_gt_u32_e32 vcc, 13, v5
	v_lshlrev_b32_e32 v54, 1, v1
	v_lshlrev_b32_e32 v1, 4, v0
	s_and_saveexec_b64 s[12:13], vcc
	s_cbranch_execz .LBB980_11
; %bb.10:
	s_load_dwordx2 s[14:15], s[0:1], 0x0
	s_waitcnt lgkmcnt(0)
	s_ashr_i32 s20, s44, 31
	s_mul_hi_u32 s21, s5, s44
	s_mul_i32 s20, s5, s20
	s_add_i32 s21, s21, s20
	s_mul_i32 s20, s5, s44
	s_lshl_b64 s[20:21], s[20:21], 1
	s_add_u32 s14, s14, s20
	v_add_lshl_u32 v6, v5, s48, 7
	s_addc_u32 s15, s15, s21
	v_ashrrev_i32_e32 v7, 31, v6
	v_lshl_add_u64 v[6:7], v[6:7], 1, s[14:15]
	v_mov_b32_e32 v55, 0
	v_lshl_add_u64 v[6:7], v[6:7], 0, v[54:55]
	global_load_dwordx4 v[6:9], v[6:7], off
	v_lshlrev_b32_e32 v12, 8, v0
	v_lshlrev_b32_e32 v11, 8, v56
	v_and_b32_e32 v12, 0x600, v12
	s_movk_i32 s5, 0x800
	v_and_or_b32 v11, v11, s5, v12
	v_lshlrev_b32_e32 v5, 5, v5
	v_and_b32_e32 v12, 16, v1
	v_or3_b32 v5, v11, v5, v12
	s_waitcnt vmcnt(0)
	ds_write_b128 v5, v[6:9]
.LBB980_11:
	s_or_b64 exec, exec, s[12:13]
	s_waitcnt lgkmcnt(0)
	s_mul_i32 s12, s4, s46
	s_add_u32 s4, s16, s12
	s_addc_u32 s5, s17, 0
	v_and_b32_e32 v58, 0xf0, v1
	v_mov_b32_e32 v59, 0
	v_and_b32_e32 v34, 48, v0
	v_lshl_add_u64 v[12:13], s[4:5], 0, v[58:59]
	v_lshlrev_b32_e32 v58, 4, v34
	s_waitcnt vmcnt(3)
	v_mad_i64_i32 v[4:5], s[4:5], v4, s45, v[12:13]
	v_lshl_add_u64 v[4:5], v[4:5], 0, v[58:59]
	s_barrier
	global_load_dwordx4 v[50:53], v[4:5], off
	global_load_dwordx4 v[46:49], v[4:5], off offset:1024
	s_waitcnt vmcnt(4)
	v_mad_i64_i32 v[4:5], s[4:5], v3, s45, v[12:13]
	s_waitcnt vmcnt(3)
	v_mad_i64_i32 v[2:3], s[4:5], v2, s45, v[12:13]
	v_lshl_add_u64 v[4:5], v[4:5], 0, v[58:59]
	v_lshl_add_u64 v[14:15], v[2:3], 0, v[58:59]
	s_waitcnt vmcnt(2)
	v_mad_i64_i32 v[10:11], s[4:5], v10, s45, v[12:13]
	global_load_dwordx4 v[36:39], v[4:5], off
	global_load_dwordx4 v[6:9], v[4:5], off offset:1024
	s_nop 0
	global_load_dwordx4 v[2:5], v[14:15], off
	global_load_dwordx4 v[42:45], v[14:15], off offset:1024
	v_lshl_add_u64 v[14:15], v[10:11], 0, v[58:59]
	global_load_dwordx4 v[26:29], v[14:15], off
	global_load_dwordx4 v[10:13], v[14:15], off offset:1024
	v_add_u32_e32 v14, -13, v56
	v_cmp_gt_u32_e32 vcc, 13, v56
	v_and_b32_e32 v55, 63, v0
	v_mov_b32_e32 v61, 0
	v_cndmask_b32_e32 v14, v14, v56, vcc
	v_lshlrev_b32_e32 v14, 5, v14
	v_lshl_add_u32 v14, v60, 9, v14
	ds_read_b128 v[30:33], v14
	ds_read_b128 v[22:25], v14 offset:16
	ds_read_b128 v[18:21], v14 offset:2048
	;; [unrolled: 1-line block ×3, first 2 shown]
	s_and_saveexec_b64 s[4:5], vcc
	s_cbranch_execz .LBB980_13
; %bb.12:
	s_load_dwordx2 s[14:15], s[0:1], 0x40
	v_add_u32_e32 v40, s48, v56
	v_ashrrev_i32_e32 v41, 31, v40
	s_waitcnt lgkmcnt(0)
	v_lshl_add_u64 v[40:41], v[40:41], 2, s[14:15]
	global_load_dword v61, v[40:41], off
.LBB980_13:
	s_or_b64 exec, exec, s[4:5]
	v_or_b32_e32 v58, s18, v34
	v_ashrrev_i32_e32 v34, 4, v58
	v_mov_b32_e32 v63, s19
	v_cmp_gt_i32_e32 vcc, s7, v58
	s_waitcnt vmcnt(7)
	v_cvt_pk_f32_fp8_e32 v[40:41], v50
	v_cvt_pk_f32_fp8_sdwa v[64:65], v50 src0_sel:WORD_1
	v_cndmask_b32_e32 v34, v63, v34, vcc
	v_ashrrev_i32_e32 v35, 31, v34
	v_lshl_add_u64 v[34:35], v[34:35], 2, s[8:9]
	global_load_dword v62, v[34:35], off
	v_or_b32_e32 v34, 64, v58
	v_ashrrev_i32_e32 v35, 4, v34
	v_cmp_gt_i32_e32 vcc, s7, v34
	v_or_b32_e32 v66, 0x80, v58
	v_ashrrev_i32_e32 v67, 4, v66
	v_cndmask_b32_e32 v34, v63, v35, vcc
	v_cmp_gt_i32_e32 vcc, s7, v66
	v_cvt_pkrtz_f16_f32 v40, v40, v41
	v_cvt_pkrtz_f16_f32 v41, v64, v65
	v_cndmask_b32_e32 v50, v63, v67, vcc
	v_cvt_pk_f32_fp8_e32 v[64:65], v51
	v_cvt_pk_f32_fp8_sdwa v[66:67], v51 src0_sel:WORD_1
	v_ashrrev_i32_e32 v51, 31, v50
	v_lshl_add_u64 v[68:69], v[50:51], 2, s[8:9]
	v_cvt_pkrtz_f16_f32 v50, v64, v65
	v_cvt_pkrtz_f16_f32 v51, v66, v67
	s_waitcnt lgkmcnt(3)
	v_mfma_f32_16x16x16_f16 v[64:67], v[40:41], v[30:31], 0
	v_cvt_pk_f32_fp8_e32 v[40:41], v52
	v_cvt_pk_f32_fp8_sdwa v[70:71], v52 src0_sel:WORD_1
	s_waitcnt vmcnt(7)
	v_cvt_pk_f32_fp8_e32 v[72:73], v46
	v_mfma_f32_16x16x16_f16 v[64:67], v[50:51], v[32:33], v[64:67]
	v_cvt_pk_f32_fp8_e32 v[50:51], v53
	v_cvt_pkrtz_f16_f32 v40, v40, v41
	v_cvt_pkrtz_f16_f32 v41, v70, v71
	v_cvt_pk_f32_fp8_sdwa v[52:53], v53 src0_sel:WORD_1
	v_cvt_pkrtz_f16_f32 v70, v50, v51
	v_cvt_pk_f32_fp8_sdwa v[74:75], v46 src0_sel:WORD_1
	v_ashrrev_i32_e32 v35, 31, v34
	v_cvt_pkrtz_f16_f32 v71, v52, v53
	s_waitcnt lgkmcnt(2)
	v_mfma_f32_16x16x16_f16 v[50:53], v[40:41], v[22:23], v[64:67]
	v_cvt_pkrtz_f16_f32 v40, v72, v73
	v_cvt_pkrtz_f16_f32 v41, v74, v75
	v_or_b32_e32 v58, 0xc0, v58
	v_cvt_pk_f32_fp8_e32 v[64:65], v47
	v_cvt_pk_f32_fp8_sdwa v[46:47], v47 src0_sel:WORD_1
	v_mfma_f32_16x16x16_f16 v[50:53], v[70:71], v[24:25], v[50:53]
	v_lshl_add_u64 v[34:35], v[34:35], 2, s[8:9]
	v_cvt_pkrtz_f16_f32 v64, v64, v65
	v_cvt_pkrtz_f16_f32 v65, v46, v47
	s_waitcnt lgkmcnt(1)
	v_mfma_f32_16x16x16_f16 v[50:53], v[40:41], v[18:19], v[50:53]
	v_ashrrev_i32_e32 v66, 4, v58
	v_cmp_gt_i32_e32 vcc, s7, v58
	v_cvt_pk_f32_fp8_e32 v[46:47], v48
	s_waitcnt vmcnt(6)
	v_cvt_pk_f32_fp8_sdwa v[70:71], v36 src0_sel:WORD_1
	v_cndmask_b32_e32 v40, v63, v66, vcc
	v_mfma_f32_16x16x16_f16 v[64:67], v[64:65], v[20:21], v[50:53]
	v_ashrrev_i32_e32 v41, 31, v40
	v_lshl_add_u64 v[40:41], v[40:41], 2, s[8:9]
	v_cvt_pkrtz_f16_f32 v46, v46, v47
	global_load_dword v53, v[34:35], off
	global_load_dword v63, v[40:41], off
	v_cvt_pk_f32_fp8_sdwa v[50:51], v48 src0_sel:WORD_1
	v_cvt_pk_f32_fp8_e32 v[34:35], v49
	v_cvt_pk_f32_fp8_sdwa v[48:49], v49 src0_sel:WORD_1
	s_add_u32 s46, s10, s12
	v_cvt_pkrtz_f16_f32 v47, v50, v51
	v_cvt_pkrtz_f16_f32 v34, v34, v35
	;; [unrolled: 1-line block ×3, first 2 shown]
	s_waitcnt lgkmcnt(0)
	v_mfma_f32_16x16x16_f16 v[46:49], v[46:47], v[14:15], v[64:67]
	v_cvt_pk_f32_fp8_e32 v[50:51], v36
	s_nop 1
	global_load_dword v64, v[68:69], off
	v_cvt_pk_f32_fp8_e32 v[66:67], v37
	s_waitcnt vmcnt(8)
	v_cvt_pk_f32_fp8_e32 v[68:69], v6
	v_cvt_pkrtz_f16_f32 v50, v50, v51
	v_cvt_pkrtz_f16_f32 v51, v70, v71
	v_cvt_pk_f32_fp8_sdwa v[70:71], v37 src0_sel:WORD_1
	v_cvt_pkrtz_f16_f32 v40, v66, v67
	v_mfma_f32_16x16x16_f16 v[34:37], v[34:35], v[16:17], v[46:49]
	v_cvt_pk_f32_fp8_sdwa v[66:67], v38 src0_sel:WORD_1
	v_cvt_pkrtz_f16_f32 v41, v70, v71
	v_cvt_pk_f32_fp8_sdwa v[70:71], v6 src0_sel:WORD_1
	v_mfma_f32_16x16x16_f16 v[46:49], v[50:51], v[30:31], 0
	v_cvt_pk_f32_fp8_e32 v[50:51], v38
	v_lshl_or_b32 v52, v57, 4, v56
	s_waitcnt vmcnt(6)
	v_cvt_pk_f32_fp8_e32 v[72:73], v43
	v_mfma_f32_16x16x16_f16 v[46:49], v[40:41], v[32:33], v[46:49]
	v_cvt_pk_f32_fp8_e32 v[40:41], v39
	v_cvt_pkrtz_f16_f32 v50, v50, v51
	v_cvt_pkrtz_f16_f32 v51, v66, v67
	v_cvt_pk_f32_fp8_sdwa v[38:39], v39 src0_sel:WORD_1
	v_cvt_pkrtz_f16_f32 v66, v40, v41
	s_addc_u32 s47, s11, 0
	v_lshlrev_b32_e32 v58, 4, v52
	v_cvt_pkrtz_f16_f32 v67, v38, v39
	v_mfma_f32_16x16x16_f16 v[38:41], v[50:51], v[22:23], v[46:49]
	v_cvt_pk_f32_fp8_sdwa v[50:51], v2 src0_sel:WORD_1
	s_nop 1
	v_cvt_pkrtz_f16_f32 v46, v68, v69
	v_cvt_pkrtz_f16_f32 v47, v70, v71
	v_cvt_pk_f32_fp8_e32 v[48:49], v7
	v_cvt_pk_f32_fp8_sdwa v[6:7], v7 src0_sel:WORD_1
	v_mfma_f32_16x16x16_f16 v[38:41], v[66:67], v[24:25], v[38:41]
	v_lshl_add_u64 v[70:71], s[46:47], 0, v[58:59]
	v_cvt_pkrtz_f16_f32 v48, v48, v49
	v_cvt_pkrtz_f16_f32 v49, v6, v7
	v_mfma_f32_16x16x16_f16 v[38:41], v[46:47], v[18:19], v[38:41]
	v_cvt_pk_f32_fp8_e32 v[6:7], v8
	v_cvt_pk_f32_fp8_sdwa v[46:47], v8 src0_sel:WORD_1
	v_or_b32_e32 v58, 0x400, v58
	v_mfma_f32_16x16x16_f16 v[38:41], v[48:49], v[20:21], v[38:41]
	v_cvt_pk_f32_fp8_e32 v[48:49], v9
	v_cvt_pkrtz_f16_f32 v6, v6, v7
	v_cvt_pkrtz_f16_f32 v7, v46, v47
	v_cvt_pk_f32_fp8_sdwa v[8:9], v9 src0_sel:WORD_1
	v_cvt_pkrtz_f16_f32 v46, v48, v49
	v_cvt_pk_f32_fp8_e32 v[48:49], v2
	v_cvt_pkrtz_f16_f32 v47, v8, v9
	v_mfma_f32_16x16x16_f16 v[6:9], v[6:7], v[14:15], v[38:41]
	v_cvt_pkrtz_f16_f32 v48, v48, v49
	v_cvt_pkrtz_f16_f32 v49, v50, v51
	v_cvt_pk_f32_fp8_e32 v[50:51], v3
	v_cvt_pk_f32_fp8_sdwa v[2:3], v3 src0_sel:WORD_1
	v_mfma_f32_16x16x16_f16 v[38:41], v[46:47], v[16:17], v[6:9]
	v_cvt_pkrtz_f16_f32 v46, v50, v51
	v_cvt_pkrtz_f16_f32 v47, v2, v3
	v_mfma_f32_16x16x16_f16 v[6:9], v[48:49], v[30:31], 0
	v_cvt_pk_f32_fp8_e32 v[2:3], v4
	v_cvt_pk_f32_fp8_sdwa v[48:49], v4 src0_sel:WORD_1
	s_waitcnt vmcnt(3)
	v_mad_i64_i32 v[50:51], s[4:5], v62, s45, v[70:71]
	v_cvt_pkrtz_f16_f32 v2, v2, v3
	v_cvt_pkrtz_f16_f32 v3, v48, v49
	v_mfma_f32_16x16x16_f16 v[6:9], v[46:47], v[32:33], v[6:9]
	v_cvt_pk_f32_fp8_e32 v[46:47], v5
	v_cvt_pk_f32_fp8_sdwa v[4:5], v5 src0_sel:WORD_1
	s_waitcnt vmcnt(2)
	v_mad_i64_i32 v[66:67], s[4:5], v53, s45, v[70:71]
	v_cvt_pkrtz_f16_f32 v46, v46, v47
	v_cvt_pkrtz_f16_f32 v47, v4, v5
	v_mfma_f32_16x16x16_f16 v[2:5], v[2:3], v[22:23], v[6:9]
	s_nop 2
	v_cvt_pk_f32_fp8_e32 v[6:7], v42
	v_cvt_pk_f32_fp8_sdwa v[8:9], v42 src0_sel:WORD_1
	v_cvt_pk_f32_fp8_sdwa v[42:43], v43 src0_sel:WORD_1
	v_mfma_f32_16x16x16_f16 v[46:49], v[46:47], v[24:25], v[2:5]
	v_cvt_pkrtz_f16_f32 v68, v6, v7
	v_cvt_pkrtz_f16_f32 v69, v8, v9
	global_load_dwordx4 v[6:9], v[50:51], off
	global_load_dwordx4 v[2:5], v[66:67], off
	v_cvt_pkrtz_f16_f32 v66, v72, v73
	v_cvt_pkrtz_f16_f32 v67, v42, v43
	v_mfma_f32_16x16x16_f16 v[48:51], v[68:69], v[18:19], v[46:49]
	v_cvt_pk_f32_fp8_e32 v[42:43], v44
	v_cvt_pk_f32_fp8_sdwa v[72:73], v44 src0_sel:WORD_1
	s_waitcnt vmcnt(2)
	v_mad_i64_i32 v[46:47], s[4:5], v64, s45, v[70:71]
	v_mfma_f32_16x16x16_f16 v[66:69], v[66:67], v[20:21], v[48:51]
	v_cvt_pkrtz_f16_f32 v42, v42, v43
	v_cvt_pkrtz_f16_f32 v43, v72, v73
	v_cvt_pk_f32_fp8_sdwa v[72:73], v26 src0_sel:WORD_1
	v_cvt_pk_f32_fp8_e32 v[50:51], v45
	v_cvt_pk_f32_fp8_sdwa v[44:45], v45 src0_sel:WORD_1
	v_mad_i64_i32 v[48:49], s[4:5], v63, s45, v[70:71]
	v_cvt_pkrtz_f16_f32 v50, v50, v51
	v_cvt_pkrtz_f16_f32 v51, v44, v45
	v_mfma_f32_16x16x16_f16 v[42:45], v[42:43], v[14:15], v[66:69]
	v_cvt_pk_f32_fp8_e32 v[70:71], v26
	s_load_dword s4, s[0:1], 0x1c
	s_load_dwordx4 s[40:43], s[0:1], 0x80
	s_load_dword s33, s[0:1], 0x98
	s_waitcnt lgkmcnt(0)
	s_load_dword s5, s[40:41], 0x0
	v_mfma_f32_16x16x16_f16 v[66:69], v[50:51], v[16:17], v[42:45]
	s_mov_b32 s40, 0xff7fffff
	s_nop 1
	v_cvt_pk_f32_fp8_e32 v[42:43], v27
	v_cvt_pkrtz_f16_f32 v44, v70, v71
	v_cvt_pkrtz_f16_f32 v45, v72, v73
	v_cvt_pk_f32_fp8_sdwa v[26:27], v27 src0_sel:WORD_1
	v_cvt_pkrtz_f16_f32 v50, v42, v43
	v_cvt_pk_f32_fp8_e32 v[70:71], v28
	v_cvt_pk_f32_fp8_sdwa v[72:73], v28 src0_sel:WORD_1
	v_cvt_pkrtz_f16_f32 v51, v26, v27
	v_mfma_f32_16x16x16_f16 v[42:45], v[44:45], v[30:31], 0
	v_cvt_pkrtz_f16_f32 v30, v70, v71
	v_cvt_pkrtz_f16_f32 v31, v72, v73
	v_cvt_pk_f32_fp8_e32 v[70:71], v29
	v_cvt_pk_f32_fp8_sdwa v[72:73], v29 src0_sel:WORD_1
	v_mfma_f32_16x16x16_f16 v[26:29], v[50:51], v[32:33], v[42:45]
	v_mov_b32_e32 v32, s4
	s_waitcnt lgkmcnt(0)
	v_mul_f32_e32 v50, s5, v32
	v_pk_mul_f32 v[32:33], v[50:51], v[34:35] op_sel_hi:[0,1]
	v_cvt_pkrtz_f16_f32 v42, v70, v71
	v_cvt_pkrtz_f16_f32 v43, v72, v73
	v_mfma_f32_16x16x16_f16 v[26:29], v[30:31], v[22:23], v[26:29]
	v_pk_mul_f32 v[30:31], v[50:51], v[36:37] op_sel_hi:[0,1]
	v_cvt_pk_f32_fp8_e32 v[22:23], v10
	v_cvt_pk_f32_fp8_sdwa v[70:71], v12 src0_sel:WORD_1
	v_mfma_f32_16x16x16_f16 v[34:37], v[42:43], v[24:25], v[26:29]
	v_cvt_pk_f32_fp8_sdwa v[24:25], v10 src0_sel:WORD_1
	v_cvt_pkrtz_f16_f32 v42, v22, v23
	v_pk_mul_f32 v[40:41], v[50:51], v[40:41] op_sel_hi:[0,1]
	v_cvt_pk_f32_fp8_e32 v[26:27], v11
	v_cvt_pk_f32_fp8_sdwa v[10:11], v11 src0_sel:WORD_1
	v_cvt_pkrtz_f16_f32 v43, v24, v25
	v_cvt_pkrtz_f16_f32 v44, v26, v27
	;; [unrolled: 1-line block ×3, first 2 shown]
	v_cvt_pk_f32_fp8_e32 v[10:11], v12
	v_mfma_f32_16x16x16_f16 v[34:37], v[42:43], v[18:19], v[34:37]
	global_load_dwordx4 v[26:29], v[46:47], off
	global_load_dwordx4 v[22:25], v[48:49], off
	v_cvt_pkrtz_f16_f32 v19, v70, v71
	v_cvt_pkrtz_f16_f32 v18, v10, v11
	v_cvt_pk_f32_fp8_e32 v[42:43], v13
	v_cvt_pk_f32_fp8_sdwa v[46:47], v13 src0_sel:WORD_1
	v_mfma_f32_16x16x16_f16 v[10:13], v[44:45], v[20:21], v[34:37]
	v_pk_mul_f32 v[44:45], v[50:51], v[38:39] op_sel_hi:[0,1]
	v_cvt_pkrtz_f16_f32 v20, v42, v43
	v_cvt_pkrtz_f16_f32 v21, v46, v47
	v_mfma_f32_16x16x16_f16 v[10:13], v[18:19], v[14:15], v[10:13]
	v_pk_mul_f32 v[38:39], v[50:51], v[68:69] op_sel_hi:[0,1]
	v_pk_mul_f32 v[42:43], v[50:51], v[66:67] op_sel_hi:[0,1]
	v_mfma_f32_16x16x16_f16 v[10:13], v[20:21], v[16:17], v[10:13]
	s_nop 6
	v_pk_mul_f32 v[36:37], v[50:51], v[10:11] op_sel_hi:[0,1]
	v_and_b32_e32 v10, 0xc0, v0
	v_add_u32_e32 v10, s18, v10
	v_lshl_or_b32 v10, v60, 2, v10
	v_or_b32_e32 v11, 1, v10
	v_pk_mul_f32 v[34:35], v[50:51], v[12:13] op_sel_hi:[0,1]
	v_subrev_u32_e32 v12, s7, v11
	v_add_u32_e32 v14, 1, v12
	v_add_u32_e32 v15, 2, v12
	v_cvt_f32_i32_e32 v13, v12
	v_cvt_f32_i32_e32 v14, v14
	;; [unrolled: 1-line block ×3, first 2 shown]
	v_add_u32_e32 v16, 3, v12
	v_fma_f32 v18, v61, v13, v32
	v_fmac_f32_e32 v33, v61, v14
	v_fma_f32 v48, v61, v15, v30
	v_add_u32_e32 v13, 16, v12
	v_add_u32_e32 v14, 17, v12
	;; [unrolled: 1-line block ×3, first 2 shown]
	v_cvt_f32_i32_e32 v16, v16
	v_cvt_f32_i32_e32 v13, v13
	;; [unrolled: 1-line block ×4, first 2 shown]
	v_fmac_f32_e32 v31, v61, v16
	v_add_u32_e32 v16, 19, v12
	v_fma_f32 v44, v61, v13, v44
	v_fmac_f32_e32 v45, v61, v14
	v_fma_f32 v40, v61, v15, v40
	v_add_u32_e32 v13, 32, v12
	v_add_u32_e32 v14, 33, v12
	v_add_u32_e32 v15, 34, v12
	v_cvt_f32_i32_e32 v16, v16
	v_cvt_f32_i32_e32 v13, v13
	;; [unrolled: 1-line block ×4, first 2 shown]
	v_fmac_f32_e32 v41, v61, v16
	v_add_u32_e32 v16, 35, v12
	v_fma_f32 v42, v61, v13, v42
	v_fmac_f32_e32 v43, v61, v14
	v_fma_f32 v38, v61, v15, v38
	v_add_u32_e32 v13, 48, v12
	v_add_u32_e32 v14, 49, v12
	;; [unrolled: 1-line block ×4, first 2 shown]
	v_cvt_f32_i32_e32 v12, v12
	v_cvt_f32_i32_e32 v13, v13
	;; [unrolled: 1-line block ×3, first 2 shown]
	v_cmp_gt_i32_e64 s[8:9], s7, v10
	v_fmac_f32_e32 v35, v61, v12
	v_mov_b32_e32 v12, 0xff7fffff
	v_cmp_gt_i32_e64 s[10:11], s7, v11
	v_fma_f32 v36, v61, v13, v36
	v_cndmask_b32_e64 v13, v12, v18, s[8:9]
	v_cndmask_b32_e64 v11, v12, v33, s[10:11]
	v_fmac_f32_e32 v37, v61, v14
	v_max3_f32 v11, v13, s40, v11
	v_or_b32_e32 v13, 2, v10
	v_or_b32_e32 v14, 3, v10
	v_cmp_gt_i32_e64 s[12:13], s7, v13
	v_cmp_gt_i32_e64 s[14:15], s7, v14
	v_cvt_f32_i32_e32 v16, v16
	v_cndmask_b32_e64 v13, v12, v48, s[12:13]
	v_cndmask_b32_e64 v14, v12, v31, s[14:15]
	v_max3_f32 v11, v11, v13, v14
	v_or_b32_e32 v13, 16, v10
	v_or_b32_e32 v14, 17, v10
	v_cmp_gt_i32_e64 s[16:17], s7, v13
	v_cmp_gt_i32_e64 s[18:19], s7, v14
	v_fmac_f32_e32 v39, v61, v16
	v_cndmask_b32_e64 v13, v12, v44, s[16:17]
	v_cndmask_b32_e64 v14, v12, v45, s[18:19]
	v_max3_f32 v11, v11, v13, v14
	v_or_b32_e32 v13, 18, v10
	v_or_b32_e32 v14, 19, v10
	v_cmp_gt_i32_e64 s[20:21], s7, v13
	v_cmp_gt_i32_e64 s[22:23], s7, v14
	v_cvt_f32_i32_e32 v15, v15
	v_cndmask_b32_e64 v13, v12, v40, s[20:21]
	v_cndmask_b32_e64 v14, v12, v41, s[22:23]
	v_max3_f32 v11, v11, v13, v14
	v_or_b32_e32 v13, 32, v10
	v_or_b32_e32 v14, 33, v10
	v_cmp_gt_i32_e64 s[24:25], s7, v13
	v_cmp_gt_i32_e64 s[26:27], s7, v14
	v_fma_f32 v34, v61, v15, v34
	v_cndmask_b32_e64 v13, v12, v42, s[24:25]
	v_cndmask_b32_e64 v14, v12, v43, s[26:27]
	v_max3_f32 v11, v11, v13, v14
	v_or_b32_e32 v13, 34, v10
	v_or_b32_e32 v14, 35, v10
	v_cmp_gt_i32_e64 s[28:29], s7, v13
	v_cmp_gt_i32_e64 s[30:31], s7, v14
	s_nop 0
	v_cndmask_b32_e64 v13, v12, v38, s[28:29]
	v_cndmask_b32_e64 v14, v12, v39, s[30:31]
	v_max3_f32 v11, v11, v13, v14
	v_or_b32_e32 v13, 48, v10
	v_or_b32_e32 v14, 49, v10
	v_cmp_gt_i32_e64 s[34:35], s7, v13
	v_cmp_gt_i32_e64 s[36:37], s7, v14
	s_nop 0
	v_cndmask_b32_e64 v13, v12, v36, s[34:35]
	v_cndmask_b32_e64 v14, v12, v37, s[36:37]
	v_max3_f32 v11, v11, v13, v14
	v_or_b32_e32 v13, 50, v10
	v_or_b32_e32 v10, 51, v10
	v_cmp_gt_i32_e32 vcc, s7, v13
	v_cmp_gt_i32_e64 s[4:5], s7, v10
	s_nop 0
	v_cndmask_b32_e32 v13, v12, v34, vcc
	v_cndmask_b32_e64 v10, v12, v35, s[4:5]
	v_max3_f32 v14, v11, v13, v10
	v_mbcnt_lo_u32_b32 v10, -1, 0
	v_mbcnt_hi_u32_b32 v15, -1, v10
	v_and_b32_e32 v10, 64, v15
	v_add_u32_e32 v16, 64, v10
	v_xor_b32_e32 v10, 32, v15
	v_cmp_lt_i32_e64 s[38:39], v10, v16
	s_nop 1
	v_cndmask_b32_e64 v10, v15, v10, s[38:39]
	v_lshlrev_b32_e32 v51, 2, v10
	ds_bpermute_b32 v17, v51, v14
	v_lshl_add_u64 v[10:11], s[46:47], 0, v[58:59]
	v_mad_i64_i32 v[12:13], s[38:39], v62, s45, v[10:11]
	s_waitcnt lgkmcnt(0)
	v_max_f32_e32 v17, v17, v17
	v_max_f32_e32 v19, v14, v17
	v_xor_b32_e32 v14, 16, v15
	v_cmp_lt_i32_e64 s[38:39], v14, v16
	s_nop 1
	v_cndmask_b32_e64 v14, v15, v14, s[38:39]
	v_lshlrev_b32_e32 v58, 2, v14
	ds_bpermute_b32 v20, v58, v19
	v_mad_i64_i32 v[14:15], s[38:39], v53, s45, v[10:11]
	v_mad_i64_i32 v[16:17], s[38:39], v64, s45, v[10:11]
	s_waitcnt lgkmcnt(0)
	v_max_f32_e32 v20, v20, v20
	v_max_f32_e32 v50, v19, v20
	v_sub_f32_e32 v18, v18, v50
	v_sub_f32_e32 v19, v33, v50
	v_mul_f32_e32 v18, 0x3fb8aa3b, v18
	v_mul_f32_e32 v19, 0x3fb8aa3b, v19
	v_exp_f32_e32 v18, v18
	v_exp_f32_e32 v19, v19
	v_sub_f32_e32 v49, v31, v50
	v_mad_i64_i32 v[10:11], s[38:39], v63, s45, v[10:11]
	v_cndmask_b32_e64 v46, 0, v18, s[8:9]
	v_cndmask_b32_e64 v47, 0, v19, s[10:11]
	global_load_dwordx4 v[30:33], v[12:13], off
	global_load_dwordx4 v[18:21], v[14:15], off
	v_sub_f32_e32 v12, v48, v50
	v_mul_f32_e32 v12, 0x3fb8aa3b, v12
	v_exp_f32_e32 v48, v12
	global_load_dwordx4 v[14:17], v[16:17], off
	s_nop 0
	global_load_dwordx4 v[10:13], v[10:11], off
	v_sub_f32_e32 v40, v40, v50
	v_sub_f32_e32 v42, v42, v50
	v_mul_f32_e32 v40, 0x3fb8aa3b, v40
	v_mul_f32_e32 v42, 0x3fb8aa3b, v42
	v_exp_f32_e32 v40, v40
	v_exp_f32_e32 v53, v42
	v_mul_f32_e32 v49, 0x3fb8aa3b, v49
	v_sub_f32_e32 v44, v44, v50
	v_exp_f32_e32 v49, v49
	v_mul_f32_e32 v44, 0x3fb8aa3b, v44
	v_sub_f32_e32 v45, v45, v50
	v_sub_f32_e32 v42, v43, v50
	v_exp_f32_e32 v44, v44
	v_mul_f32_e32 v45, 0x3fb8aa3b, v45
	v_mul_f32_e32 v42, 0x3fb8aa3b, v42
	v_exp_f32_e32 v45, v45
	v_sub_f32_e32 v41, v41, v50
	v_exp_f32_e32 v59, v42
	v_cndmask_b32_e64 v42, 0, v40, s[20:21]
	v_cndmask_b32_e64 v40, 0, v53, s[24:25]
	v_add_f32_e32 v53, 0, v46
	v_cndmask_b32_e64 v48, 0, v48, s[12:13]
	v_mul_f32_e32 v41, 0x3fb8aa3b, v41
	v_add_f32_e32 v53, v53, v47
	v_cndmask_b32_e64 v49, 0, v49, s[14:15]
	v_exp_f32_e32 v41, v41
	v_add_f32_e32 v53, v53, v48
	v_cndmask_b32_e64 v44, 0, v44, s[16:17]
	v_sub_f32_e32 v38, v38, v50
	v_add_f32_e32 v53, v53, v49
	v_cndmask_b32_e64 v45, 0, v45, s[18:19]
	v_sub_f32_e32 v39, v39, v50
	v_mul_f32_e32 v38, 0x3fb8aa3b, v38
	v_add_f32_e32 v53, v53, v44
	v_exp_f32_e32 v38, v38
	v_mul_f32_e32 v39, 0x3fb8aa3b, v39
	v_sub_f32_e32 v36, v36, v50
	v_add_f32_e32 v53, v53, v45
	v_cndmask_b32_e64 v43, 0, v41, s[22:23]
	v_exp_f32_e32 v39, v39
	v_mul_f32_e32 v36, 0x3fb8aa3b, v36
	v_sub_f32_e32 v37, v37, v50
	v_add_f32_e32 v53, v53, v42
	v_exp_f32_e32 v36, v36
	v_mul_f32_e32 v37, 0x3fb8aa3b, v37
	v_add_f32_e32 v53, v53, v43
	v_sub_f32_e32 v34, v34, v50
	v_cndmask_b32_e64 v41, 0, v59, s[26:27]
	v_exp_f32_e32 v37, v37
	v_add_f32_e32 v53, v53, v40
	v_mul_f32_e32 v34, 0x3fb8aa3b, v34
	v_sub_f32_e32 v35, v35, v50
	v_cndmask_b32_e64 v38, 0, v38, s[28:29]
	v_add_f32_e32 v53, v53, v41
	v_exp_f32_e32 v34, v34
	v_mul_f32_e32 v35, 0x3fb8aa3b, v35
	v_cndmask_b32_e64 v39, 0, v39, s[30:31]
	v_add_f32_e32 v53, v53, v38
	v_exp_f32_e32 v35, v35
	v_cndmask_b32_e64 v36, 0, v36, s[34:35]
	v_add_f32_e32 v53, v53, v39
	v_cndmask_b32_e64 v37, 0, v37, s[36:37]
	v_add_f32_e32 v53, v53, v36
	v_add_f32_e32 v53, v53, v37
	v_cndmask_b32_e32 v34, 0, v34, vcc
	v_add_f32_e32 v53, v53, v34
	v_cndmask_b32_e64 v35, 0, v35, s[4:5]
	v_add_f32_e32 v53, v53, v35
	ds_bpermute_b32 v51, v51, v53
	v_cmp_gt_u32_e64 s[4:5], 16, v55
	s_waitcnt lgkmcnt(0)
	s_barrier
	v_add_f32_e32 v51, v53, v51
	ds_bpermute_b32 v53, v58, v51
	s_and_saveexec_b64 s[8:9], s[4:5]
	s_cbranch_execz .LBB980_15
; %bb.14:
	s_waitcnt lgkmcnt(0)
	v_add_f32_e32 v51, v51, v53
	v_lshlrev_b32_e32 v52, 2, v52
	ds_write2st64_b32 v52, v50, v51 offset1:1
.LBB980_15:
	s_or_b64 exec, exec, s[8:9]
	v_lshlrev_b32_e32 v51, 2, v56
	s_load_dword s7, s[0:1], 0x94
	s_waitcnt lgkmcnt(0)
	s_barrier
	ds_read2_b32 v[52:53], v51 offset1:16
	ds_read2_b32 v[58:59], v51 offset0:32 offset1:48
	ds_read2_b32 v[62:63], v51 offset0:64 offset1:80
	s_mul_i32 s10, s33, 13
	s_waitcnt lgkmcnt(2)
	v_max3_f32 v50, v52, s40, v53
	s_waitcnt lgkmcnt(1)
	v_max3_f32 v50, v50, v58, v59
	v_sub_f32_e32 v52, v52, v50
	v_mul_f32_e32 v52, 0x3fb8aa3b, v52
	v_exp_f32_e32 v55, v52
	v_sub_f32_e32 v52, v53, v50
	v_mul_f32_e32 v52, 0x3fb8aa3b, v52
	v_exp_f32_e32 v61, v52
	;; [unrolled: 3-line block ×3, first 2 shown]
	ds_read2_b32 v[52:53], v51 offset0:96 offset1:112
	v_sub_f32_e32 v51, v59, v50
	v_mul_f32_e32 v51, 0x3fb8aa3b, v51
	v_exp_f32_e32 v59, v51
	s_waitcnt lgkmcnt(1)
	v_fma_f32 v51, v55, v62, 0
	v_fmac_f32_e32 v51, v61, v63
	s_waitcnt lgkmcnt(0)
	v_fmac_f32_e32 v51, v58, v52
	v_fmac_f32_e32 v51, v59, v53
	v_add_f32_e32 v52, 0x358637bd, v51
	v_div_scale_f32 v53, s[8:9], v52, v52, 1.0
	v_rcp_f32_e32 v62, v53
	s_barrier
	v_fma_f32 v63, -v53, v62, 1.0
	v_fmac_f32_e32 v62, v63, v62
	v_div_scale_f32 v63, vcc, 1.0, v52, 1.0
	v_mul_f32_e32 v64, v63, v62
	v_fma_f32 v65, -v53, v64, v63
	v_fmac_f32_e32 v64, v65, v62
	v_fma_f32 v53, -v53, v64, v63
	v_div_fmas_f32 v53, v53, v62, v64
	v_cmp_eq_u32_e32 vcc, 1, v57
	v_div_fixup_f32 v52, v53, v52, 1.0
	s_nop 0
	v_cndmask_b32_e32 v53, v55, v61, vcc
	v_cmp_eq_u32_e32 vcc, 2, v57
	s_nop 1
	v_cndmask_b32_e32 v53, v53, v58, vcc
	v_cmp_eq_u32_e32 vcc, 3, v57
	s_nop 1
	v_cndmask_b32_e32 v53, v53, v59, vcc
	v_mul_f32_e32 v52, v53, v52
	v_pk_mul_f32 v[48:49], v[52:53], v[48:49] op_sel_hi:[0,1]
	v_pk_mul_f32 v[46:47], v[52:53], v[46:47] op_sel_hi:[0,1]
	v_cvt_f16_f32_e32 v53, v48
	v_cvt_f16_f32_e32 v49, v49
	;; [unrolled: 1-line block ×4, first 2 shown]
	v_pk_mul_f32 v[42:43], v[52:53], v[42:43] op_sel_hi:[0,1]
	v_pk_mul_f32 v[44:45], v[52:53], v[44:45] op_sel_hi:[0,1]
	v_pack_b32_f16 v49, v53, v49
	v_cvt_f16_f32_e32 v44, v44
	v_cvt_f16_f32_e32 v45, v45
	;; [unrolled: 1-line block ×4, first 2 shown]
	v_pack_b32_f16 v48, v46, v47
	v_lshlrev_b32_e32 v47, 3, v60
	v_lshlrev_b32_e32 v46, 5, v56
	v_lshlrev_b32_e32 v42, 11, v57
	v_or3_b32 v55, v42, v46, v47
	v_pack_b32_f16 v42, v44, v45
	v_pack_b32_f16 v43, v53, v43
	v_pk_mul_f32 v[38:39], v[52:53], v[38:39] op_sel_hi:[0,1]
	v_pk_mul_f32 v[40:41], v[52:53], v[40:41] op_sel_hi:[0,1]
	;; [unrolled: 1-line block ×4, first 2 shown]
	ds_write2st64_b64 v55, v[48:49], v[42:43] offset1:1
	v_cvt_f16_f32_e32 v40, v40
	v_cvt_f16_f32_e32 v41, v41
	;; [unrolled: 1-line block ×8, first 2 shown]
	v_pack_b32_f16 v34, v40, v41
	v_pack_b32_f16 v35, v38, v39
	;; [unrolled: 1-line block ×4, first 2 shown]
	v_cmp_gt_u32_e32 vcc, 13, v0
	ds_write2st64_b64 v55, v[34:35], v[36:37] offset0:2 offset1:3
	s_and_saveexec_b64 s[8:9], vcc
	s_cbranch_execz .LBB980_17
; %bb.16:
	s_mov_b32 s49, 0
	v_mov_b32_e32 v57, 0
	v_lshl_add_u64 v[34:35], s[48:49], 0, v[56:57]
	v_mov_b32_e32 v36, s10
	v_mad_u64_u32 v[34:35], s[16:17], s2, v36, v[34:35]
	s_mul_i32 s3, s3, s10
	v_mov_b32_e32 v36, s6
	v_mov_b32_e32 v37, v57
	s_load_dwordx4 s[12:15], s[0:1], 0x58
	v_add_u32_e32 v38, s3, v35
	v_mad_u64_u32 v[34:35], s[16:17], v34, s7, v[36:37]
	v_mov_b32_e32 v36, v35
	v_mad_u64_u32 v[36:37], s[16:17], v38, s7, v[36:37]
	v_mov_b32_e32 v35, v36
	v_lshlrev_b64 v[34:35], 2, v[34:35]
	s_waitcnt lgkmcnt(0)
	v_lshl_add_u64 v[36:37], s[14:15], 0, v[34:35]
	v_lshl_add_u64 v[34:35], s[12:13], 0, v[34:35]
	global_store_dword v[36:37], v50, off
	global_store_dword v[34:35], v51, off
.LBB980_17:
	s_or_b64 exec, exec, s[8:9]
	s_waitcnt vmcnt(7)
	v_cvt_pk_f32_fp8_e32 v[34:35], v6
	v_cvt_pk_f32_fp8_sdwa v[36:37], v6 src0_sel:WORD_1
	v_lshl_or_b32 v50, v60, 9, v46
	s_waitcnt lgkmcnt(0)
	s_barrier
	v_cvt_pk_f32_fp8_e32 v[38:39], v7
	v_cvt_pkrtz_f16_f32 v6, v34, v35
	v_cvt_pk_f32_fp8_sdwa v[40:41], v7 src0_sel:WORD_1
	v_cvt_pkrtz_f16_f32 v7, v36, v37
	ds_read_b128 v[34:37], v50
	v_cvt_pkrtz_f16_f32 v46, v38, v39
	v_cvt_pkrtz_f16_f32 v47, v40, v41
	ds_read_b128 v[38:41], v50 offset:16
	v_cvt_pk_f32_fp8_e32 v[48:49], v8
	v_cvt_pk_f32_fp8_sdwa v[52:53], v8 src0_sel:WORD_1
	s_waitcnt lgkmcnt(1)
	v_mfma_f32_16x16x16_f16 v[42:45], v[6:7], v[34:35], 0
	s_waitcnt vmcnt(6)
	v_cvt_pk_f32_fp8_e32 v[58:59], v4
	v_cvt_pkrtz_f16_f32 v6, v48, v49
	v_cvt_pkrtz_f16_f32 v7, v52, v53
	v_cvt_pk_f32_fp8_e32 v[48:49], v9
	v_mfma_f32_16x16x16_f16 v[42:45], v[46:47], v[36:37], v[42:45]
	v_cvt_pk_f32_fp8_sdwa v[46:47], v9 src0_sel:WORD_1
	v_cvt_pk_f32_fp8_sdwa v[62:63], v4 src0_sel:WORD_1
	v_cvt_pkrtz_f16_f32 v48, v48, v49
	s_waitcnt lgkmcnt(0)
	v_mfma_f32_16x16x16_f16 v[6:9], v[6:7], v[38:39], v[42:45]
	v_cvt_pkrtz_f16_f32 v49, v46, v47
	s_waitcnt vmcnt(5)
	v_cvt_pk_f32_fp8_sdwa v[66:67], v28 src0_sel:WORD_1
	s_waitcnt vmcnt(4)
	v_cvt_pk_f32_fp8_sdwa v[68:69], v24 src0_sel:WORD_1
	v_cvt_pk_f32_fp8_e32 v[42:43], v2
	v_mfma_f32_16x16x16_f16 v[46:49], v[48:49], v[40:41], v[6:9]
	s_waitcnt vmcnt(3)
	v_cvt_pk_f32_fp8_sdwa v[70:71], v32 src0_sel:WORD_1
	s_load_dword s8, s[42:43], 0x0
	v_cvt_pk_f32_fp8_sdwa v[6:7], v2 src0_sel:WORD_1
	v_cvt_pk_f32_fp8_e32 v[8:9], v3
	v_cvt_pkrtz_f16_f32 v2, v42, v43
	v_cvt_pk_f32_fp8_sdwa v[42:43], v3 src0_sel:WORD_1
	v_cvt_pkrtz_f16_f32 v3, v6, v7
	v_cvt_pkrtz_f16_f32 v52, v8, v9
	ds_read_b128 v[6:9], v50 offset:2048
	v_cvt_pkrtz_f16_f32 v53, v42, v43
	ds_read_b128 v[42:45], v50 offset:2064
	s_waitcnt lgkmcnt(0)
	v_mfma_f32_16x16x16_f16 v[46:49], v[2:3], v[6:7], v[46:49]
	v_cvt_pkrtz_f16_f32 v2, v58, v59
	v_cvt_pkrtz_f16_f32 v3, v62, v63
	v_cvt_pk_f32_fp8_e32 v[58:59], v5
	v_mfma_f32_16x16x16_f16 v[46:49], v[52:53], v[8:9], v[46:49]
	v_cvt_pk_f32_fp8_sdwa v[52:53], v5 src0_sel:WORD_1
	s_mov_b32 s3, 0
	v_cvt_pkrtz_f16_f32 v58, v58, v59
	v_mfma_f32_16x16x16_f16 v[2:5], v[2:3], v[42:43], v[46:49]
	v_cvt_pkrtz_f16_f32 v59, v52, v53
	v_cmp_gt_u32_e32 vcc, 64, v0
	s_nop 0
	v_cvt_pk_f32_fp8_e32 v[46:47], v26
	v_mfma_f32_16x16x16_f16 v[62:65], v[58:59], v[44:45], v[2:5]
	v_cvt_pk_f32_fp8_e32 v[58:59], v28
	s_nop 1
	v_cvt_pk_f32_fp8_sdwa v[2:3], v26 src0_sel:WORD_1
	v_cvt_pk_f32_fp8_e32 v[4:5], v27
	v_cvt_pkrtz_f16_f32 v26, v46, v47
	v_cvt_pk_f32_fp8_sdwa v[46:47], v27 src0_sel:WORD_1
	v_cvt_pkrtz_f16_f32 v27, v2, v3
	v_cvt_pkrtz_f16_f32 v52, v4, v5
	ds_read_b128 v[2:5], v50 offset:4096
	v_cvt_pkrtz_f16_f32 v53, v46, v47
	ds_read_b128 v[46:49], v50 offset:4112
	s_waitcnt lgkmcnt(1)
	v_mfma_f32_16x16x16_f16 v[62:65], v[26:27], v[2:3], v[62:65]
	v_cvt_pkrtz_f16_f32 v26, v58, v59
	v_cvt_pkrtz_f16_f32 v27, v66, v67
	v_cvt_pk_f32_fp8_e32 v[58:59], v29
	v_mfma_f32_16x16x16_f16 v[62:65], v[52:53], v[4:5], v[62:65]
	v_cvt_pk_f32_fp8_sdwa v[52:53], v29 src0_sel:WORD_1
	v_cvt_pk_f32_fp8_e32 v[66:67], v24
	v_cvt_pkrtz_f16_f32 v58, v58, v59
	s_waitcnt lgkmcnt(0)
	v_mfma_f32_16x16x16_f16 v[26:29], v[26:27], v[46:47], v[62:65]
	v_cvt_pkrtz_f16_f32 v59, v52, v53
	v_cvt_pk_f32_fp8_e32 v[52:53], v22
	s_nop 0
	v_mfma_f32_16x16x16_f16 v[62:65], v[58:59], v[48:49], v[26:29]
	s_nop 2
	v_cvt_pk_f32_fp8_sdwa v[26:27], v22 src0_sel:WORD_1
	v_cvt_pk_f32_fp8_e32 v[28:29], v23
	v_cvt_pkrtz_f16_f32 v22, v52, v53
	v_cvt_pk_f32_fp8_sdwa v[52:53], v23 src0_sel:WORD_1
	v_cvt_pkrtz_f16_f32 v23, v26, v27
	v_cvt_pkrtz_f16_f32 v58, v28, v29
	ds_read_b128 v[26:29], v50 offset:6144
	v_cvt_pkrtz_f16_f32 v59, v52, v53
	s_waitcnt lgkmcnt(0)
	v_mfma_f32_16x16x16_f16 v[62:65], v[22:23], v[26:27], v[62:65]
	ds_read_b128 v[50:53], v50 offset:6160
	v_cvt_pkrtz_f16_f32 v22, v66, v67
	v_cvt_pkrtz_f16_f32 v23, v68, v69
	v_cvt_pk_f32_fp8_e32 v[66:67], v25
	v_mfma_f32_16x16x16_f16 v[62:65], v[58:59], v[28:29], v[62:65]
	v_cvt_pk_f32_fp8_sdwa v[58:59], v25 src0_sel:WORD_1
	v_cvt_pk_f32_fp8_e32 v[68:69], v32
	v_cvt_pkrtz_f16_f32 v66, v66, v67
	s_waitcnt lgkmcnt(0)
	v_mfma_f32_16x16x16_f16 v[22:25], v[22:23], v[50:51], v[62:65]
	v_cvt_pkrtz_f16_f32 v67, v58, v59
	v_cvt_pk_f32_fp8_e32 v[58:59], v30
	s_nop 0
	v_cvt_pk_f32_fp8_sdwa v[62:63], v30 src0_sel:WORD_1
	v_cvt_pk_f32_fp8_e32 v[64:65], v31
	v_cvt_pkrtz_f16_f32 v58, v58, v59
	v_cvt_pk_f32_fp8_sdwa v[30:31], v31 src0_sel:WORD_1
	v_cvt_pkrtz_f16_f32 v59, v62, v63
	v_mfma_f32_16x16x16_f16 v[22:25], v[66:67], v[52:53], v[22:25]
	v_cvt_pkrtz_f16_f32 v66, v64, v65
	v_cvt_pkrtz_f16_f32 v67, v30, v31
	;; [unrolled: 1-line block ×3, first 2 shown]
	v_mfma_f32_16x16x16_f16 v[62:65], v[58:59], v[34:35], 0
	v_cvt_pkrtz_f16_f32 v31, v70, v71
	v_cvt_pk_f32_fp8_e32 v[58:59], v33
	s_barrier
	v_mfma_f32_16x16x16_f16 v[34:37], v[66:67], v[36:37], v[62:65]
	v_cvt_pkrtz_f16_f32 v58, v58, v59
	s_nop 1
	v_cvt_pk_f32_fp8_sdwa v[62:63], v33 src0_sel:WORD_1
	v_mfma_f32_16x16x16_f16 v[30:33], v[30:31], v[38:39], v[34:37]
	s_waitcnt vmcnt(2)
	v_cvt_pk_f32_fp8_e32 v[38:39], v19
	v_cvt_pkrtz_f16_f32 v59, v62, v63
	v_cvt_pk_f32_fp8_e32 v[34:35], v18
	v_cvt_pk_f32_fp8_sdwa v[36:37], v18 src0_sel:WORD_1
	v_cvt_pk_f32_fp8_sdwa v[18:19], v19 src0_sel:WORD_1
	v_mfma_f32_16x16x16_f16 v[30:33], v[58:59], v[40:41], v[30:33]
	v_cvt_pkrtz_f16_f32 v34, v34, v35
	v_cvt_pkrtz_f16_f32 v35, v36, v37
	;; [unrolled: 1-line block ×3, first 2 shown]
	v_cvt_pk_f32_fp8_e32 v[38:39], v20
	v_cvt_pk_f32_fp8_sdwa v[40:41], v20 src0_sel:WORD_1
	v_cvt_pkrtz_f16_f32 v37, v18, v19
	v_mfma_f32_16x16x16_f16 v[30:33], v[34:35], v[6:7], v[30:33]
	v_cvt_pkrtz_f16_f32 v18, v38, v39
	v_cvt_pkrtz_f16_f32 v19, v40, v41
	v_cvt_pk_f32_fp8_e32 v[34:35], v21
	v_cvt_pk_f32_fp8_sdwa v[20:21], v21 src0_sel:WORD_1
	v_mfma_f32_16x16x16_f16 v[6:9], v[36:37], v[8:9], v[30:33]
	s_nop 2
	v_cvt_pkrtz_f16_f32 v30, v34, v35
	v_cvt_pkrtz_f16_f32 v31, v20, v21
	v_mfma_f32_16x16x16_f16 v[6:9], v[18:19], v[42:43], v[6:9]
	s_waitcnt vmcnt(1)
	v_cvt_pk_f32_fp8_e32 v[18:19], v14
	v_cvt_pk_f32_fp8_sdwa v[20:21], v14 src0_sel:WORD_1
	v_cvt_pk_f32_fp8_sdwa v[32:33], v16 src0_sel:WORD_1
	v_mfma_f32_16x16x16_f16 v[6:9], v[30:31], v[44:45], v[6:9]
	v_cvt_pk_f32_fp8_e32 v[30:31], v15
	v_cvt_pkrtz_f16_f32 v18, v18, v19
	v_cvt_pkrtz_f16_f32 v19, v20, v21
	v_cvt_pk_f32_fp8_sdwa v[14:15], v15 src0_sel:WORD_1
	v_cvt_pkrtz_f16_f32 v20, v30, v31
	v_cvt_pk_f32_fp8_e32 v[30:31], v16
	v_mfma_f32_16x16x16_f16 v[6:9], v[18:19], v[2:3], v[6:9]
	v_cvt_pkrtz_f16_f32 v21, v14, v15
	v_cvt_pkrtz_f16_f32 v14, v30, v31
	;; [unrolled: 1-line block ×3, first 2 shown]
	v_cvt_pk_f32_fp8_e32 v[18:19], v17
	v_cvt_pk_f32_fp8_sdwa v[16:17], v17 src0_sel:WORD_1
	v_mfma_f32_16x16x16_f16 v[2:5], v[20:21], v[4:5], v[6:9]
	s_waitcnt vmcnt(0)
	v_cvt_pk_f32_fp8_sdwa v[20:21], v12 src0_sel:WORD_1
	s_nop 0
	v_cvt_pkrtz_f16_f32 v8, v18, v19
	v_cvt_pkrtz_f16_f32 v9, v16, v17
	v_mfma_f32_16x16x16_f16 v[2:5], v[14:15], v[46:47], v[2:5]
	v_cvt_pk_f32_fp8_e32 v[16:17], v10
	v_cvt_pk_f32_fp8_sdwa v[18:19], v10 src0_sel:WORD_1
	v_pk_mul_f32 v[6:7], v[24:25], s[8:9] op_sel_hi:[1,0]
	v_mfma_f32_16x16x16_f16 v[2:5], v[8:9], v[48:49], v[2:5]
	v_cvt_pk_f32_fp8_e32 v[8:9], v11
	v_cvt_pkrtz_f16_f32 v16, v16, v17
	v_cvt_pkrtz_f16_f32 v17, v18, v19
	v_cvt_pk_f32_fp8_sdwa v[10:11], v11 src0_sel:WORD_1
	v_cvt_pkrtz_f16_f32 v8, v8, v9
	v_cvt_pk_f32_fp8_e32 v[18:19], v12
	v_mfma_f32_16x16x16_f16 v[2:5], v[16:17], v[26:27], v[2:5]
	v_cvt_pkrtz_f16_f32 v9, v10, v11
	v_cvt_pkrtz_f16_f32 v10, v18, v19
	;; [unrolled: 1-line block ×3, first 2 shown]
	v_cvt_pk_f32_fp8_e32 v[16:17], v13
	v_cvt_pk_f32_fp8_sdwa v[12:13], v13 src0_sel:WORD_1
	v_mfma_f32_16x16x16_f16 v[2:5], v[8:9], v[28:29], v[2:5]
	v_pk_mul_f32 v[14:15], v[22:23], s[8:9] op_sel_hi:[1,0]
	v_cvt_pkrtz_f16_f32 v8, v16, v17
	v_cvt_pkrtz_f16_f32 v9, v12, v13
	v_mfma_f32_16x16x16_f16 v[2:5], v[10:11], v[50:51], v[2:5]
	v_cvt_f16_f32_e32 v14, v14
	v_cvt_f16_f32_e32 v10, v15
	;; [unrolled: 1-line block ×3, first 2 shown]
	v_mfma_f32_16x16x16_f16 v[2:5], v[8:9], v[52:53], v[2:5]
	v_cvt_f16_f32_e32 v7, v7
	s_nop 5
	v_pk_mul_f32 v[4:5], v[4:5], s[8:9] op_sel_hi:[1,0]
	v_pk_mul_f32 v[2:3], v[2:3], s[8:9] op_sel_hi:[1,0]
	v_cvt_f16_f32_e32 v11, v4
	v_cvt_f16_f32_e32 v8, v2
	;; [unrolled: 1-line block ×4, first 2 shown]
	v_pack_b32_f16 v2, v14, v10
	v_pack_b32_f16 v3, v6, v7
	;; [unrolled: 1-line block ×4, first 2 shown]
	ds_write2st64_b64 v55, v[2:3], v[4:5] offset1:1
	s_waitcnt lgkmcnt(0)
	s_barrier
	s_and_saveexec_b64 s[8:9], vcc
	s_cbranch_execz .LBB980_20
; %bb.18:
	s_load_dwordx2 s[8:9], s[0:1], 0x68
	s_lshl_b32 s0, s7, 7
	s_mul_i32 s1, s10, s2
	v_lshlrev_b32_e32 v3, 6, v56
	s_mul_hi_u32 s11, s1, s0
	s_mul_i32 s10, s1, s0
	v_lshl_or_b32 v0, v0, 10, v3
	s_lshl_b64 s[10:11], s[10:11], 1
	v_lshlrev_b32_e32 v2, 5, v60
	v_and_b32_e32 v1, 16, v1
	v_and_b32_e32 v0, 0x1a00, v0
	s_waitcnt lgkmcnt(0)
	s_add_u32 s1, s8, s10
	v_or3_b32 v2, v0, v2, v1
	s_addc_u32 s7, s9, s11
	s_lshl_b32 s2, s6, 7
	ds_read_b128 v[4:7], v2 offset:256
	s_lshl_b64 s[2:3], s[2:3], 1
	ds_read_b128 v[8:11], v2 offset:128
	ds_read_b128 v[12:15], v2
	s_add_u32 s2, s1, s2
	s_addc_u32 s3, s7, s3
	v_mov_b32_e32 v55, 0
	v_add_u32_e32 v3, s48, v60
	v_lshl_add_u64 v[0:1], s[2:3], 0, v[54:55]
	v_mad_u64_u32 v[16:17], s[2:3], v3, s0, 0
	v_lshl_add_u64 v[16:17], v[16:17], 1, v[0:1]
	s_waitcnt lgkmcnt(0)
	global_store_dwordx4 v[16:17], v[12:15], off
	s_nop 1
	v_add_u32_e32 v12, 4, v3
	v_mad_u64_u32 v[12:13], s[2:3], v12, s0, 0
	v_lshl_add_u64 v[12:13], v[12:13], 1, v[0:1]
	v_add_u32_e32 v3, 8, v3
	global_store_dwordx4 v[12:13], v[8:11], off
	s_nop 1
	v_mad_u64_u32 v[8:9], s[2:3], v3, s0, 0
	v_lshl_add_u64 v[8:9], v[8:9], 1, v[0:1]
	global_store_dwordx4 v[8:9], v[4:7], off
	s_and_b64 exec, exec, s[4:5]
	s_cbranch_execz .LBB980_20
; %bb.19:
	ds_read_b128 v[2:5], v2 offset:384
	v_add3_u32 v6, s48, v60, 12
	v_mad_u64_u32 v[6:7], s[0:1], v6, s0, 0
	v_lshl_add_u64 v[0:1], v[6:7], 1, v[0:1]
	s_waitcnt lgkmcnt(0)
	global_store_dwordx4 v[0:1], v[2:5], off
.LBB980_20:
	s_endpgm
	.section	.rodata,"a",@progbits
	.p2align	6, 0x0
	.amdhsa_kernel _Z39paged_attention_ll4mi_QKV_mfma16_kernelIDF16_hLN4vllm18Fp8KVCacheDataTypeE1EDF16_Li16ELi128ELi256ELb1ELi13EEvPKT_PKT0_S7_ifPKiS9_S9_iPKfiiiPfSC_PS2_PT2_iSB_SB_
		.amdhsa_group_segment_fixed_size 8192
		.amdhsa_private_segment_fixed_size 0
		.amdhsa_kernarg_size 400
		.amdhsa_user_sgpr_count 2
		.amdhsa_user_sgpr_dispatch_ptr 0
		.amdhsa_user_sgpr_queue_ptr 0
		.amdhsa_user_sgpr_kernarg_segment_ptr 1
		.amdhsa_user_sgpr_dispatch_id 0
		.amdhsa_user_sgpr_kernarg_preload_length 0
		.amdhsa_user_sgpr_kernarg_preload_offset 0
		.amdhsa_user_sgpr_private_segment_size 0
		.amdhsa_uses_dynamic_stack 0
		.amdhsa_enable_private_segment 0
		.amdhsa_system_sgpr_workgroup_id_x 1
		.amdhsa_system_sgpr_workgroup_id_y 1
		.amdhsa_system_sgpr_workgroup_id_z 1
		.amdhsa_system_sgpr_workgroup_info 0
		.amdhsa_system_vgpr_workitem_id 0
		.amdhsa_next_free_vgpr 76
		.amdhsa_next_free_sgpr 50
		.amdhsa_accum_offset 76
		.amdhsa_reserve_vcc 1
		.amdhsa_float_round_mode_32 0
		.amdhsa_float_round_mode_16_64 0
		.amdhsa_float_denorm_mode_32 3
		.amdhsa_float_denorm_mode_16_64 3
		.amdhsa_dx10_clamp 1
		.amdhsa_ieee_mode 1
		.amdhsa_fp16_overflow 0
		.amdhsa_tg_split 0
		.amdhsa_exception_fp_ieee_invalid_op 0
		.amdhsa_exception_fp_denorm_src 0
		.amdhsa_exception_fp_ieee_div_zero 0
		.amdhsa_exception_fp_ieee_overflow 0
		.amdhsa_exception_fp_ieee_underflow 0
		.amdhsa_exception_fp_ieee_inexact 0
		.amdhsa_exception_int_div_zero 0
	.end_amdhsa_kernel
	.section	.text._Z39paged_attention_ll4mi_QKV_mfma16_kernelIDF16_hLN4vllm18Fp8KVCacheDataTypeE1EDF16_Li16ELi128ELi256ELb1ELi13EEvPKT_PKT0_S7_ifPKiS9_S9_iPKfiiiPfSC_PS2_PT2_iSB_SB_,"axG",@progbits,_Z39paged_attention_ll4mi_QKV_mfma16_kernelIDF16_hLN4vllm18Fp8KVCacheDataTypeE1EDF16_Li16ELi128ELi256ELb1ELi13EEvPKT_PKT0_S7_ifPKiS9_S9_iPKfiiiPfSC_PS2_PT2_iSB_SB_,comdat
.Lfunc_end980:
	.size	_Z39paged_attention_ll4mi_QKV_mfma16_kernelIDF16_hLN4vllm18Fp8KVCacheDataTypeE1EDF16_Li16ELi128ELi256ELb1ELi13EEvPKT_PKT0_S7_ifPKiS9_S9_iPKfiiiPfSC_PS2_PT2_iSB_SB_, .Lfunc_end980-_Z39paged_attention_ll4mi_QKV_mfma16_kernelIDF16_hLN4vllm18Fp8KVCacheDataTypeE1EDF16_Li16ELi128ELi256ELb1ELi13EEvPKT_PKT0_S7_ifPKiS9_S9_iPKfiiiPfSC_PS2_PT2_iSB_SB_
                                        ; -- End function
	.section	.AMDGPU.csdata,"",@progbits
; Kernel info:
; codeLenInByte = 6348
; NumSgprs: 56
; NumVgprs: 76
; NumAgprs: 0
; TotalNumVgprs: 76
; ScratchSize: 0
; MemoryBound: 0
; FloatMode: 240
; IeeeMode: 1
; LDSByteSize: 8192 bytes/workgroup (compile time only)
; SGPRBlocks: 6
; VGPRBlocks: 9
; NumSGPRsForWavesPerEU: 56
; NumVGPRsForWavesPerEU: 76
; AccumOffset: 76
; Occupancy: 6
; WaveLimiterHint : 1
; COMPUTE_PGM_RSRC2:SCRATCH_EN: 0
; COMPUTE_PGM_RSRC2:USER_SGPR: 2
; COMPUTE_PGM_RSRC2:TRAP_HANDLER: 0
; COMPUTE_PGM_RSRC2:TGID_X_EN: 1
; COMPUTE_PGM_RSRC2:TGID_Y_EN: 1
; COMPUTE_PGM_RSRC2:TGID_Z_EN: 1
; COMPUTE_PGM_RSRC2:TIDIG_COMP_CNT: 0
; COMPUTE_PGM_RSRC3_GFX90A:ACCUM_OFFSET: 18
; COMPUTE_PGM_RSRC3_GFX90A:TG_SPLIT: 0
	.section	.text._Z39paged_attention_ll4mi_QKV_mfma16_kernelIDF16_hLN4vllm18Fp8KVCacheDataTypeE1EDF16_Li16ELi128ELi256ELb1ELi14EEvPKT_PKT0_S7_ifPKiS9_S9_iPKfiiiPfSC_PS2_PT2_iSB_SB_,"axG",@progbits,_Z39paged_attention_ll4mi_QKV_mfma16_kernelIDF16_hLN4vllm18Fp8KVCacheDataTypeE1EDF16_Li16ELi128ELi256ELb1ELi14EEvPKT_PKT0_S7_ifPKiS9_S9_iPKfiiiPfSC_PS2_PT2_iSB_SB_,comdat
	.protected	_Z39paged_attention_ll4mi_QKV_mfma16_kernelIDF16_hLN4vllm18Fp8KVCacheDataTypeE1EDF16_Li16ELi128ELi256ELb1ELi14EEvPKT_PKT0_S7_ifPKiS9_S9_iPKfiiiPfSC_PS2_PT2_iSB_SB_ ; -- Begin function _Z39paged_attention_ll4mi_QKV_mfma16_kernelIDF16_hLN4vllm18Fp8KVCacheDataTypeE1EDF16_Li16ELi128ELi256ELb1ELi14EEvPKT_PKT0_S7_ifPKiS9_S9_iPKfiiiPfSC_PS2_PT2_iSB_SB_
	.globl	_Z39paged_attention_ll4mi_QKV_mfma16_kernelIDF16_hLN4vllm18Fp8KVCacheDataTypeE1EDF16_Li16ELi128ELi256ELb1ELi14EEvPKT_PKT0_S7_ifPKiS9_S9_iPKfiiiPfSC_PS2_PT2_iSB_SB_
	.p2align	8
	.type	_Z39paged_attention_ll4mi_QKV_mfma16_kernelIDF16_hLN4vllm18Fp8KVCacheDataTypeE1EDF16_Li16ELi128ELi256ELb1ELi14EEvPKT_PKT0_S7_ifPKiS9_S9_iPKfiiiPfSC_PS2_PT2_iSB_SB_,@function
_Z39paged_attention_ll4mi_QKV_mfma16_kernelIDF16_hLN4vllm18Fp8KVCacheDataTypeE1EDF16_Li16ELi128ELi256ELb1ELi14EEvPKT_PKT0_S7_ifPKiS9_S9_iPKfiiiPfSC_PS2_PT2_iSB_SB_: ; @_Z39paged_attention_ll4mi_QKV_mfma16_kernelIDF16_hLN4vllm18Fp8KVCacheDataTypeE1EDF16_Li16ELi128ELi256ELb1ELi14EEvPKT_PKT0_S7_ifPKiS9_S9_iPKfiiiPfSC_PS2_PT2_iSB_SB_
; %bb.0:
	s_load_dwordx2 s[10:11], s[0:1], 0x30
	s_mov_b32 s6, s3
	s_mov_b64 s[8:9], 0
	s_waitcnt lgkmcnt(0)
	s_cmp_lg_u64 s[10:11], 0
	s_cselect_b64 s[12:13], -1, 0
	s_and_b64 vcc, exec, s[12:13]
	s_cbranch_vccz .LBB981_7
; %bb.1:
	s_add_i32 s14, s2, 1
	s_mov_b32 s15, 0
	s_lshl_b64 s[16:17], s[14:15], 2
	s_add_u32 s16, s10, s16
	s_mov_b32 s3, s15
	s_addc_u32 s17, s11, s17
	s_lshl_b64 s[14:15], s[2:3], 2
	s_add_u32 s14, s10, s14
	s_addc_u32 s15, s11, s15
	s_load_dword s5, s[16:17], 0x0
	s_load_dword s7, s[14:15], 0x0
	s_waitcnt lgkmcnt(0)
	s_sub_i32 s5, s5, s7
	s_cmp_eq_u32 s5, 1
	s_cselect_b64 s[14:15], -1, 0
	s_andn2_b64 vcc, exec, s[8:9]
	s_cbranch_vccnz .LBB981_3
.LBB981_2:
	s_mov_b32 s3, 0
	s_mov_b64 s[14:15], -1
.LBB981_3:
	s_andn2_b64 vcc, exec, s[14:15]
	s_cbranch_vccnz .LBB981_20
; %bb.4:
	s_load_dwordx2 s[8:9], s[0:1], 0x28
	s_lshl_b64 s[14:15], s[2:3], 2
	s_waitcnt lgkmcnt(0)
	s_add_u32 s8, s8, s14
	s_addc_u32 s9, s9, s15
	s_load_dword s7, s[8:9], 0x0
	s_lshl_b32 s18, s6, 8
	s_waitcnt lgkmcnt(0)
	s_cmp_ge_i32 s18, s7
	s_cbranch_scc1 .LBB981_20
; %bb.5:
	s_load_dwordx2 s[8:9], s[0:1], 0x20
	s_load_dword s5, s[0:1], 0x38
	s_add_i32 s16, s7, 15
	s_ashr_i32 s17, s16, 31
	v_and_b32_e32 v1, 0xcf, v0
	s_lshr_b32 s17, s17, 28
	v_add_u32_e32 v1, s18, v1
	s_add_i32 s16, s16, s17
	v_ashrrev_i32_e32 v2, 31, v1
	s_ashr_i32 s19, s16, 4
	v_lshrrev_b32_e32 v4, 28, v2
	s_add_i32 s19, s19, -1
	s_waitcnt lgkmcnt(0)
	s_mul_i32 s16, s2, s5
	s_mov_b32 s17, 0
	v_add_u32_e32 v2, v1, v4
	s_lshl_b64 s[16:17], s[16:17], 2
	v_ashrrev_i32_e32 v2, 4, v2
	v_mov_b32_e32 v5, s19
	v_cmp_gt_i32_e32 vcc, s7, v1
	s_add_u32 s8, s8, s16
	s_addc_u32 s9, s9, s17
	v_cndmask_b32_e32 v2, v5, v2, vcc
	v_ashrrev_i32_e32 v3, 31, v2
	v_lshl_add_u64 v[6:7], v[2:3], 2, s[8:9]
	v_or_b32_e32 v2, 16, v1
	v_add_u32_e32 v3, v2, v4
	v_ashrrev_i32_e32 v3, 4, v3
	v_cmp_gt_i32_e32 vcc, s7, v2
	s_load_dwordx2 s[16:17], s[0:1], 0x8
	s_nop 0
	v_cndmask_b32_e32 v2, v5, v3, vcc
	v_ashrrev_i32_e32 v3, 31, v2
	v_lshl_add_u64 v[8:9], v[2:3], 2, s[8:9]
	v_or_b32_e32 v2, 32, v1
	v_add_u32_e32 v3, v2, v4
	v_ashrrev_i32_e32 v3, 4, v3
	v_cmp_gt_i32_e32 vcc, s7, v2
	v_or_b32_e32 v1, 48, v1
	s_nop 0
	v_cndmask_b32_e32 v2, v5, v3, vcc
	v_ashrrev_i32_e32 v3, 31, v2
	v_lshl_add_u64 v[12:13], v[2:3], 2, s[8:9]
	v_add_u32_e32 v2, v1, v4
	v_ashrrev_i32_e32 v2, 4, v2
	v_cmp_gt_i32_e32 vcc, s7, v1
	s_nop 1
	v_cndmask_b32_e32 v2, v5, v2, vcc
	v_ashrrev_i32_e32 v3, 31, v2
	v_lshl_add_u64 v[14:15], v[2:3], 2, s[8:9]
	global_load_dword v4, v[6:7], off
	global_load_dword v3, v[8:9], off
	;; [unrolled: 1-line block ×4, first 2 shown]
	s_andn2_b64 vcc, exec, s[12:13]
	s_cbranch_vccnz .LBB981_8
; %bb.6:
	s_add_u32 s10, s10, s14
	s_addc_u32 s11, s11, s15
	s_load_dword s5, s[10:11], 0x0
	s_branch .LBB981_9
.LBB981_7:
	s_mov_b64 s[14:15], 0
	s_branch .LBB981_2
.LBB981_8:
	s_mov_b32 s5, s2
.LBB981_9:
	s_load_dwordx2 s[10:11], s[0:1], 0x10
	s_load_dwordx4 s[44:47], s[0:1], 0x48
	v_lshrrev_b32_e32 v57, 6, v0
	v_bfe_u32 v60, v0, 4, 2
	v_and_b32_e32 v56, 15, v0
	v_lshl_or_b32 v5, v57, 2, v60
	v_lshlrev_b32_e32 v1, 3, v56
	s_mul_i32 s48, s4, 14
	v_cmp_gt_u32_e32 vcc, 14, v5
	v_lshlrev_b32_e32 v54, 1, v1
	v_lshlrev_b32_e32 v1, 4, v0
	s_and_saveexec_b64 s[12:13], vcc
	s_cbranch_execz .LBB981_11
; %bb.10:
	s_load_dwordx2 s[14:15], s[0:1], 0x0
	s_waitcnt lgkmcnt(0)
	s_ashr_i32 s20, s44, 31
	s_mul_hi_u32 s21, s5, s44
	s_mul_i32 s20, s5, s20
	s_add_i32 s21, s21, s20
	s_mul_i32 s20, s5, s44
	s_lshl_b64 s[20:21], s[20:21], 1
	s_add_u32 s14, s14, s20
	v_add_lshl_u32 v6, v5, s48, 7
	s_addc_u32 s15, s15, s21
	v_ashrrev_i32_e32 v7, 31, v6
	v_lshl_add_u64 v[6:7], v[6:7], 1, s[14:15]
	v_mov_b32_e32 v55, 0
	v_lshl_add_u64 v[6:7], v[6:7], 0, v[54:55]
	global_load_dwordx4 v[6:9], v[6:7], off
	v_lshlrev_b32_e32 v12, 8, v0
	v_lshlrev_b32_e32 v11, 8, v56
	v_and_b32_e32 v12, 0x600, v12
	s_movk_i32 s5, 0x800
	v_and_or_b32 v11, v11, s5, v12
	v_lshlrev_b32_e32 v5, 5, v5
	v_and_b32_e32 v12, 16, v1
	v_or3_b32 v5, v11, v5, v12
	s_waitcnt vmcnt(0)
	ds_write_b128 v5, v[6:9]
.LBB981_11:
	s_or_b64 exec, exec, s[12:13]
	s_waitcnt lgkmcnt(0)
	s_mul_i32 s12, s4, s46
	s_add_u32 s4, s16, s12
	s_addc_u32 s5, s17, 0
	v_and_b32_e32 v58, 0xf0, v1
	v_mov_b32_e32 v59, 0
	v_and_b32_e32 v34, 48, v0
	v_lshl_add_u64 v[12:13], s[4:5], 0, v[58:59]
	v_lshlrev_b32_e32 v58, 4, v34
	s_waitcnt vmcnt(3)
	v_mad_i64_i32 v[4:5], s[4:5], v4, s45, v[12:13]
	v_lshl_add_u64 v[4:5], v[4:5], 0, v[58:59]
	s_barrier
	global_load_dwordx4 v[50:53], v[4:5], off
	global_load_dwordx4 v[46:49], v[4:5], off offset:1024
	s_waitcnt vmcnt(4)
	v_mad_i64_i32 v[4:5], s[4:5], v3, s45, v[12:13]
	s_waitcnt vmcnt(3)
	v_mad_i64_i32 v[2:3], s[4:5], v2, s45, v[12:13]
	v_lshl_add_u64 v[4:5], v[4:5], 0, v[58:59]
	v_lshl_add_u64 v[14:15], v[2:3], 0, v[58:59]
	s_waitcnt vmcnt(2)
	v_mad_i64_i32 v[10:11], s[4:5], v10, s45, v[12:13]
	global_load_dwordx4 v[36:39], v[4:5], off
	global_load_dwordx4 v[6:9], v[4:5], off offset:1024
	s_nop 0
	global_load_dwordx4 v[2:5], v[14:15], off
	global_load_dwordx4 v[42:45], v[14:15], off offset:1024
	v_lshl_add_u64 v[14:15], v[10:11], 0, v[58:59]
	global_load_dwordx4 v[26:29], v[14:15], off
	global_load_dwordx4 v[10:13], v[14:15], off offset:1024
	v_add_u32_e32 v14, -14, v56
	v_cmp_gt_u32_e32 vcc, 14, v56
	v_and_b32_e32 v55, 63, v0
	v_mov_b32_e32 v61, 0
	v_cndmask_b32_e32 v14, v14, v56, vcc
	v_lshlrev_b32_e32 v14, 5, v14
	v_lshl_add_u32 v14, v60, 9, v14
	ds_read_b128 v[30:33], v14
	ds_read_b128 v[22:25], v14 offset:16
	ds_read_b128 v[18:21], v14 offset:2048
	;; [unrolled: 1-line block ×3, first 2 shown]
	s_and_saveexec_b64 s[4:5], vcc
	s_cbranch_execz .LBB981_13
; %bb.12:
	s_load_dwordx2 s[14:15], s[0:1], 0x40
	v_add_u32_e32 v40, s48, v56
	v_ashrrev_i32_e32 v41, 31, v40
	s_waitcnt lgkmcnt(0)
	v_lshl_add_u64 v[40:41], v[40:41], 2, s[14:15]
	global_load_dword v61, v[40:41], off
.LBB981_13:
	s_or_b64 exec, exec, s[4:5]
	v_or_b32_e32 v58, s18, v34
	v_ashrrev_i32_e32 v34, 4, v58
	v_mov_b32_e32 v63, s19
	v_cmp_gt_i32_e32 vcc, s7, v58
	s_waitcnt vmcnt(7)
	v_cvt_pk_f32_fp8_e32 v[40:41], v50
	v_cvt_pk_f32_fp8_sdwa v[64:65], v50 src0_sel:WORD_1
	v_cndmask_b32_e32 v34, v63, v34, vcc
	v_ashrrev_i32_e32 v35, 31, v34
	v_lshl_add_u64 v[34:35], v[34:35], 2, s[8:9]
	global_load_dword v62, v[34:35], off
	v_or_b32_e32 v34, 64, v58
	v_ashrrev_i32_e32 v35, 4, v34
	v_cmp_gt_i32_e32 vcc, s7, v34
	v_or_b32_e32 v66, 0x80, v58
	v_ashrrev_i32_e32 v67, 4, v66
	v_cndmask_b32_e32 v34, v63, v35, vcc
	v_cmp_gt_i32_e32 vcc, s7, v66
	v_cvt_pkrtz_f16_f32 v40, v40, v41
	v_cvt_pkrtz_f16_f32 v41, v64, v65
	v_cndmask_b32_e32 v50, v63, v67, vcc
	v_cvt_pk_f32_fp8_e32 v[64:65], v51
	v_cvt_pk_f32_fp8_sdwa v[66:67], v51 src0_sel:WORD_1
	v_ashrrev_i32_e32 v51, 31, v50
	v_lshl_add_u64 v[68:69], v[50:51], 2, s[8:9]
	v_cvt_pkrtz_f16_f32 v50, v64, v65
	v_cvt_pkrtz_f16_f32 v51, v66, v67
	s_waitcnt lgkmcnt(3)
	v_mfma_f32_16x16x16_f16 v[64:67], v[40:41], v[30:31], 0
	v_cvt_pk_f32_fp8_e32 v[40:41], v52
	v_cvt_pk_f32_fp8_sdwa v[70:71], v52 src0_sel:WORD_1
	s_waitcnt vmcnt(7)
	v_cvt_pk_f32_fp8_e32 v[72:73], v46
	v_mfma_f32_16x16x16_f16 v[64:67], v[50:51], v[32:33], v[64:67]
	v_cvt_pk_f32_fp8_e32 v[50:51], v53
	v_cvt_pkrtz_f16_f32 v40, v40, v41
	v_cvt_pkrtz_f16_f32 v41, v70, v71
	v_cvt_pk_f32_fp8_sdwa v[52:53], v53 src0_sel:WORD_1
	v_cvt_pkrtz_f16_f32 v70, v50, v51
	v_cvt_pk_f32_fp8_sdwa v[74:75], v46 src0_sel:WORD_1
	v_ashrrev_i32_e32 v35, 31, v34
	v_cvt_pkrtz_f16_f32 v71, v52, v53
	s_waitcnt lgkmcnt(2)
	v_mfma_f32_16x16x16_f16 v[50:53], v[40:41], v[22:23], v[64:67]
	v_cvt_pkrtz_f16_f32 v40, v72, v73
	v_cvt_pkrtz_f16_f32 v41, v74, v75
	v_or_b32_e32 v58, 0xc0, v58
	v_cvt_pk_f32_fp8_e32 v[64:65], v47
	v_cvt_pk_f32_fp8_sdwa v[46:47], v47 src0_sel:WORD_1
	v_mfma_f32_16x16x16_f16 v[50:53], v[70:71], v[24:25], v[50:53]
	v_lshl_add_u64 v[34:35], v[34:35], 2, s[8:9]
	v_cvt_pkrtz_f16_f32 v64, v64, v65
	v_cvt_pkrtz_f16_f32 v65, v46, v47
	s_waitcnt lgkmcnt(1)
	v_mfma_f32_16x16x16_f16 v[50:53], v[40:41], v[18:19], v[50:53]
	v_ashrrev_i32_e32 v66, 4, v58
	v_cmp_gt_i32_e32 vcc, s7, v58
	v_cvt_pk_f32_fp8_e32 v[46:47], v48
	s_waitcnt vmcnt(6)
	v_cvt_pk_f32_fp8_sdwa v[70:71], v36 src0_sel:WORD_1
	v_cndmask_b32_e32 v40, v63, v66, vcc
	v_mfma_f32_16x16x16_f16 v[64:67], v[64:65], v[20:21], v[50:53]
	v_ashrrev_i32_e32 v41, 31, v40
	v_lshl_add_u64 v[40:41], v[40:41], 2, s[8:9]
	v_cvt_pkrtz_f16_f32 v46, v46, v47
	global_load_dword v53, v[34:35], off
	global_load_dword v63, v[40:41], off
	v_cvt_pk_f32_fp8_sdwa v[50:51], v48 src0_sel:WORD_1
	v_cvt_pk_f32_fp8_e32 v[34:35], v49
	v_cvt_pk_f32_fp8_sdwa v[48:49], v49 src0_sel:WORD_1
	s_add_u32 s46, s10, s12
	v_cvt_pkrtz_f16_f32 v47, v50, v51
	v_cvt_pkrtz_f16_f32 v34, v34, v35
	;; [unrolled: 1-line block ×3, first 2 shown]
	s_waitcnt lgkmcnt(0)
	v_mfma_f32_16x16x16_f16 v[46:49], v[46:47], v[14:15], v[64:67]
	v_cvt_pk_f32_fp8_e32 v[50:51], v36
	s_nop 1
	global_load_dword v64, v[68:69], off
	v_cvt_pk_f32_fp8_e32 v[66:67], v37
	s_waitcnt vmcnt(8)
	v_cvt_pk_f32_fp8_e32 v[68:69], v6
	v_cvt_pkrtz_f16_f32 v50, v50, v51
	v_cvt_pkrtz_f16_f32 v51, v70, v71
	v_cvt_pk_f32_fp8_sdwa v[70:71], v37 src0_sel:WORD_1
	v_cvt_pkrtz_f16_f32 v40, v66, v67
	v_mfma_f32_16x16x16_f16 v[34:37], v[34:35], v[16:17], v[46:49]
	v_cvt_pk_f32_fp8_sdwa v[66:67], v38 src0_sel:WORD_1
	v_cvt_pkrtz_f16_f32 v41, v70, v71
	v_cvt_pk_f32_fp8_sdwa v[70:71], v6 src0_sel:WORD_1
	v_mfma_f32_16x16x16_f16 v[46:49], v[50:51], v[30:31], 0
	v_cvt_pk_f32_fp8_e32 v[50:51], v38
	v_lshl_or_b32 v52, v57, 4, v56
	s_waitcnt vmcnt(6)
	v_cvt_pk_f32_fp8_e32 v[72:73], v43
	v_mfma_f32_16x16x16_f16 v[46:49], v[40:41], v[32:33], v[46:49]
	v_cvt_pk_f32_fp8_e32 v[40:41], v39
	v_cvt_pkrtz_f16_f32 v50, v50, v51
	v_cvt_pkrtz_f16_f32 v51, v66, v67
	v_cvt_pk_f32_fp8_sdwa v[38:39], v39 src0_sel:WORD_1
	v_cvt_pkrtz_f16_f32 v66, v40, v41
	s_addc_u32 s47, s11, 0
	v_lshlrev_b32_e32 v58, 4, v52
	v_cvt_pkrtz_f16_f32 v67, v38, v39
	v_mfma_f32_16x16x16_f16 v[38:41], v[50:51], v[22:23], v[46:49]
	v_cvt_pk_f32_fp8_sdwa v[50:51], v2 src0_sel:WORD_1
	s_nop 1
	v_cvt_pkrtz_f16_f32 v46, v68, v69
	v_cvt_pkrtz_f16_f32 v47, v70, v71
	v_cvt_pk_f32_fp8_e32 v[48:49], v7
	v_cvt_pk_f32_fp8_sdwa v[6:7], v7 src0_sel:WORD_1
	v_mfma_f32_16x16x16_f16 v[38:41], v[66:67], v[24:25], v[38:41]
	v_lshl_add_u64 v[70:71], s[46:47], 0, v[58:59]
	v_cvt_pkrtz_f16_f32 v48, v48, v49
	v_cvt_pkrtz_f16_f32 v49, v6, v7
	v_mfma_f32_16x16x16_f16 v[38:41], v[46:47], v[18:19], v[38:41]
	v_cvt_pk_f32_fp8_e32 v[6:7], v8
	v_cvt_pk_f32_fp8_sdwa v[46:47], v8 src0_sel:WORD_1
	v_or_b32_e32 v58, 0x400, v58
	v_mfma_f32_16x16x16_f16 v[38:41], v[48:49], v[20:21], v[38:41]
	v_cvt_pk_f32_fp8_e32 v[48:49], v9
	v_cvt_pkrtz_f16_f32 v6, v6, v7
	v_cvt_pkrtz_f16_f32 v7, v46, v47
	v_cvt_pk_f32_fp8_sdwa v[8:9], v9 src0_sel:WORD_1
	v_cvt_pkrtz_f16_f32 v46, v48, v49
	v_cvt_pk_f32_fp8_e32 v[48:49], v2
	v_cvt_pkrtz_f16_f32 v47, v8, v9
	v_mfma_f32_16x16x16_f16 v[6:9], v[6:7], v[14:15], v[38:41]
	v_cvt_pkrtz_f16_f32 v48, v48, v49
	v_cvt_pkrtz_f16_f32 v49, v50, v51
	v_cvt_pk_f32_fp8_e32 v[50:51], v3
	v_cvt_pk_f32_fp8_sdwa v[2:3], v3 src0_sel:WORD_1
	v_mfma_f32_16x16x16_f16 v[38:41], v[46:47], v[16:17], v[6:9]
	v_cvt_pkrtz_f16_f32 v46, v50, v51
	v_cvt_pkrtz_f16_f32 v47, v2, v3
	v_mfma_f32_16x16x16_f16 v[6:9], v[48:49], v[30:31], 0
	v_cvt_pk_f32_fp8_e32 v[2:3], v4
	v_cvt_pk_f32_fp8_sdwa v[48:49], v4 src0_sel:WORD_1
	s_waitcnt vmcnt(3)
	v_mad_i64_i32 v[50:51], s[4:5], v62, s45, v[70:71]
	v_cvt_pkrtz_f16_f32 v2, v2, v3
	v_cvt_pkrtz_f16_f32 v3, v48, v49
	v_mfma_f32_16x16x16_f16 v[6:9], v[46:47], v[32:33], v[6:9]
	v_cvt_pk_f32_fp8_e32 v[46:47], v5
	v_cvt_pk_f32_fp8_sdwa v[4:5], v5 src0_sel:WORD_1
	s_waitcnt vmcnt(2)
	v_mad_i64_i32 v[66:67], s[4:5], v53, s45, v[70:71]
	v_cvt_pkrtz_f16_f32 v46, v46, v47
	v_cvt_pkrtz_f16_f32 v47, v4, v5
	v_mfma_f32_16x16x16_f16 v[2:5], v[2:3], v[22:23], v[6:9]
	s_nop 2
	v_cvt_pk_f32_fp8_e32 v[6:7], v42
	v_cvt_pk_f32_fp8_sdwa v[8:9], v42 src0_sel:WORD_1
	v_cvt_pk_f32_fp8_sdwa v[42:43], v43 src0_sel:WORD_1
	v_mfma_f32_16x16x16_f16 v[46:49], v[46:47], v[24:25], v[2:5]
	v_cvt_pkrtz_f16_f32 v68, v6, v7
	v_cvt_pkrtz_f16_f32 v69, v8, v9
	global_load_dwordx4 v[6:9], v[50:51], off
	global_load_dwordx4 v[2:5], v[66:67], off
	v_cvt_pkrtz_f16_f32 v66, v72, v73
	v_cvt_pkrtz_f16_f32 v67, v42, v43
	v_mfma_f32_16x16x16_f16 v[48:51], v[68:69], v[18:19], v[46:49]
	v_cvt_pk_f32_fp8_e32 v[42:43], v44
	v_cvt_pk_f32_fp8_sdwa v[72:73], v44 src0_sel:WORD_1
	s_waitcnt vmcnt(2)
	v_mad_i64_i32 v[46:47], s[4:5], v64, s45, v[70:71]
	v_mfma_f32_16x16x16_f16 v[66:69], v[66:67], v[20:21], v[48:51]
	v_cvt_pkrtz_f16_f32 v42, v42, v43
	v_cvt_pkrtz_f16_f32 v43, v72, v73
	v_cvt_pk_f32_fp8_sdwa v[72:73], v26 src0_sel:WORD_1
	v_cvt_pk_f32_fp8_e32 v[50:51], v45
	v_cvt_pk_f32_fp8_sdwa v[44:45], v45 src0_sel:WORD_1
	v_mad_i64_i32 v[48:49], s[4:5], v63, s45, v[70:71]
	v_cvt_pkrtz_f16_f32 v50, v50, v51
	v_cvt_pkrtz_f16_f32 v51, v44, v45
	v_mfma_f32_16x16x16_f16 v[42:45], v[42:43], v[14:15], v[66:69]
	v_cvt_pk_f32_fp8_e32 v[70:71], v26
	s_load_dword s4, s[0:1], 0x1c
	s_load_dwordx4 s[40:43], s[0:1], 0x80
	s_load_dword s33, s[0:1], 0x98
	s_waitcnt lgkmcnt(0)
	s_load_dword s5, s[40:41], 0x0
	v_mfma_f32_16x16x16_f16 v[66:69], v[50:51], v[16:17], v[42:45]
	s_mov_b32 s40, 0xff7fffff
	s_nop 1
	v_cvt_pk_f32_fp8_e32 v[42:43], v27
	v_cvt_pkrtz_f16_f32 v44, v70, v71
	v_cvt_pkrtz_f16_f32 v45, v72, v73
	v_cvt_pk_f32_fp8_sdwa v[26:27], v27 src0_sel:WORD_1
	v_cvt_pkrtz_f16_f32 v50, v42, v43
	v_cvt_pk_f32_fp8_e32 v[70:71], v28
	v_cvt_pk_f32_fp8_sdwa v[72:73], v28 src0_sel:WORD_1
	v_cvt_pkrtz_f16_f32 v51, v26, v27
	v_mfma_f32_16x16x16_f16 v[42:45], v[44:45], v[30:31], 0
	v_cvt_pkrtz_f16_f32 v30, v70, v71
	v_cvt_pkrtz_f16_f32 v31, v72, v73
	v_cvt_pk_f32_fp8_e32 v[70:71], v29
	v_cvt_pk_f32_fp8_sdwa v[72:73], v29 src0_sel:WORD_1
	v_mfma_f32_16x16x16_f16 v[26:29], v[50:51], v[32:33], v[42:45]
	v_mov_b32_e32 v32, s4
	s_waitcnt lgkmcnt(0)
	v_mul_f32_e32 v50, s5, v32
	v_pk_mul_f32 v[32:33], v[50:51], v[34:35] op_sel_hi:[0,1]
	v_cvt_pkrtz_f16_f32 v42, v70, v71
	v_cvt_pkrtz_f16_f32 v43, v72, v73
	v_mfma_f32_16x16x16_f16 v[26:29], v[30:31], v[22:23], v[26:29]
	v_pk_mul_f32 v[30:31], v[50:51], v[36:37] op_sel_hi:[0,1]
	v_cvt_pk_f32_fp8_e32 v[22:23], v10
	v_cvt_pk_f32_fp8_sdwa v[70:71], v12 src0_sel:WORD_1
	v_mfma_f32_16x16x16_f16 v[34:37], v[42:43], v[24:25], v[26:29]
	v_cvt_pk_f32_fp8_sdwa v[24:25], v10 src0_sel:WORD_1
	v_cvt_pkrtz_f16_f32 v42, v22, v23
	v_pk_mul_f32 v[40:41], v[50:51], v[40:41] op_sel_hi:[0,1]
	v_cvt_pk_f32_fp8_e32 v[26:27], v11
	v_cvt_pk_f32_fp8_sdwa v[10:11], v11 src0_sel:WORD_1
	v_cvt_pkrtz_f16_f32 v43, v24, v25
	v_cvt_pkrtz_f16_f32 v44, v26, v27
	;; [unrolled: 1-line block ×3, first 2 shown]
	v_cvt_pk_f32_fp8_e32 v[10:11], v12
	v_mfma_f32_16x16x16_f16 v[34:37], v[42:43], v[18:19], v[34:37]
	global_load_dwordx4 v[26:29], v[46:47], off
	global_load_dwordx4 v[22:25], v[48:49], off
	v_cvt_pkrtz_f16_f32 v19, v70, v71
	v_cvt_pkrtz_f16_f32 v18, v10, v11
	v_cvt_pk_f32_fp8_e32 v[42:43], v13
	v_cvt_pk_f32_fp8_sdwa v[46:47], v13 src0_sel:WORD_1
	v_mfma_f32_16x16x16_f16 v[10:13], v[44:45], v[20:21], v[34:37]
	v_pk_mul_f32 v[44:45], v[50:51], v[38:39] op_sel_hi:[0,1]
	v_cvt_pkrtz_f16_f32 v20, v42, v43
	v_cvt_pkrtz_f16_f32 v21, v46, v47
	v_mfma_f32_16x16x16_f16 v[10:13], v[18:19], v[14:15], v[10:13]
	v_pk_mul_f32 v[38:39], v[50:51], v[68:69] op_sel_hi:[0,1]
	v_pk_mul_f32 v[42:43], v[50:51], v[66:67] op_sel_hi:[0,1]
	v_mfma_f32_16x16x16_f16 v[10:13], v[20:21], v[16:17], v[10:13]
	s_nop 6
	v_pk_mul_f32 v[36:37], v[50:51], v[10:11] op_sel_hi:[0,1]
	v_and_b32_e32 v10, 0xc0, v0
	v_add_u32_e32 v10, s18, v10
	v_lshl_or_b32 v10, v60, 2, v10
	v_or_b32_e32 v11, 1, v10
	v_pk_mul_f32 v[34:35], v[50:51], v[12:13] op_sel_hi:[0,1]
	v_subrev_u32_e32 v12, s7, v11
	v_add_u32_e32 v14, 1, v12
	v_add_u32_e32 v15, 2, v12
	v_cvt_f32_i32_e32 v13, v12
	v_cvt_f32_i32_e32 v14, v14
	;; [unrolled: 1-line block ×3, first 2 shown]
	v_add_u32_e32 v16, 3, v12
	v_fma_f32 v18, v61, v13, v32
	v_fmac_f32_e32 v33, v61, v14
	v_fma_f32 v48, v61, v15, v30
	v_add_u32_e32 v13, 16, v12
	v_add_u32_e32 v14, 17, v12
	;; [unrolled: 1-line block ×3, first 2 shown]
	v_cvt_f32_i32_e32 v16, v16
	v_cvt_f32_i32_e32 v13, v13
	;; [unrolled: 1-line block ×4, first 2 shown]
	v_fmac_f32_e32 v31, v61, v16
	v_add_u32_e32 v16, 19, v12
	v_fma_f32 v44, v61, v13, v44
	v_fmac_f32_e32 v45, v61, v14
	v_fma_f32 v40, v61, v15, v40
	v_add_u32_e32 v13, 32, v12
	v_add_u32_e32 v14, 33, v12
	;; [unrolled: 1-line block ×3, first 2 shown]
	v_cvt_f32_i32_e32 v16, v16
	v_cvt_f32_i32_e32 v13, v13
	;; [unrolled: 1-line block ×4, first 2 shown]
	v_fmac_f32_e32 v41, v61, v16
	v_add_u32_e32 v16, 35, v12
	v_fma_f32 v42, v61, v13, v42
	v_fmac_f32_e32 v43, v61, v14
	v_fma_f32 v38, v61, v15, v38
	v_add_u32_e32 v13, 48, v12
	v_add_u32_e32 v14, 49, v12
	;; [unrolled: 1-line block ×4, first 2 shown]
	v_cvt_f32_i32_e32 v12, v12
	v_cvt_f32_i32_e32 v13, v13
	;; [unrolled: 1-line block ×3, first 2 shown]
	v_cmp_gt_i32_e64 s[8:9], s7, v10
	v_fmac_f32_e32 v35, v61, v12
	v_mov_b32_e32 v12, 0xff7fffff
	v_cmp_gt_i32_e64 s[10:11], s7, v11
	v_fma_f32 v36, v61, v13, v36
	v_cndmask_b32_e64 v13, v12, v18, s[8:9]
	v_cndmask_b32_e64 v11, v12, v33, s[10:11]
	v_fmac_f32_e32 v37, v61, v14
	v_max3_f32 v11, v13, s40, v11
	v_or_b32_e32 v13, 2, v10
	v_or_b32_e32 v14, 3, v10
	v_cmp_gt_i32_e64 s[12:13], s7, v13
	v_cmp_gt_i32_e64 s[14:15], s7, v14
	v_cvt_f32_i32_e32 v16, v16
	v_cndmask_b32_e64 v13, v12, v48, s[12:13]
	v_cndmask_b32_e64 v14, v12, v31, s[14:15]
	v_max3_f32 v11, v11, v13, v14
	v_or_b32_e32 v13, 16, v10
	v_or_b32_e32 v14, 17, v10
	v_cmp_gt_i32_e64 s[16:17], s7, v13
	v_cmp_gt_i32_e64 s[18:19], s7, v14
	v_fmac_f32_e32 v39, v61, v16
	v_cndmask_b32_e64 v13, v12, v44, s[16:17]
	v_cndmask_b32_e64 v14, v12, v45, s[18:19]
	v_max3_f32 v11, v11, v13, v14
	v_or_b32_e32 v13, 18, v10
	v_or_b32_e32 v14, 19, v10
	v_cmp_gt_i32_e64 s[20:21], s7, v13
	v_cmp_gt_i32_e64 s[22:23], s7, v14
	v_cvt_f32_i32_e32 v15, v15
	v_cndmask_b32_e64 v13, v12, v40, s[20:21]
	v_cndmask_b32_e64 v14, v12, v41, s[22:23]
	v_max3_f32 v11, v11, v13, v14
	v_or_b32_e32 v13, 32, v10
	v_or_b32_e32 v14, 33, v10
	v_cmp_gt_i32_e64 s[24:25], s7, v13
	v_cmp_gt_i32_e64 s[26:27], s7, v14
	v_fma_f32 v34, v61, v15, v34
	v_cndmask_b32_e64 v13, v12, v42, s[24:25]
	v_cndmask_b32_e64 v14, v12, v43, s[26:27]
	v_max3_f32 v11, v11, v13, v14
	v_or_b32_e32 v13, 34, v10
	v_or_b32_e32 v14, 35, v10
	v_cmp_gt_i32_e64 s[28:29], s7, v13
	v_cmp_gt_i32_e64 s[30:31], s7, v14
	s_nop 0
	v_cndmask_b32_e64 v13, v12, v38, s[28:29]
	v_cndmask_b32_e64 v14, v12, v39, s[30:31]
	v_max3_f32 v11, v11, v13, v14
	v_or_b32_e32 v13, 48, v10
	v_or_b32_e32 v14, 49, v10
	v_cmp_gt_i32_e64 s[34:35], s7, v13
	v_cmp_gt_i32_e64 s[36:37], s7, v14
	s_nop 0
	v_cndmask_b32_e64 v13, v12, v36, s[34:35]
	v_cndmask_b32_e64 v14, v12, v37, s[36:37]
	v_max3_f32 v11, v11, v13, v14
	v_or_b32_e32 v13, 50, v10
	v_or_b32_e32 v10, 51, v10
	v_cmp_gt_i32_e32 vcc, s7, v13
	v_cmp_gt_i32_e64 s[4:5], s7, v10
	s_nop 0
	v_cndmask_b32_e32 v13, v12, v34, vcc
	v_cndmask_b32_e64 v10, v12, v35, s[4:5]
	v_max3_f32 v14, v11, v13, v10
	v_mbcnt_lo_u32_b32 v10, -1, 0
	v_mbcnt_hi_u32_b32 v15, -1, v10
	v_and_b32_e32 v10, 64, v15
	v_add_u32_e32 v16, 64, v10
	v_xor_b32_e32 v10, 32, v15
	v_cmp_lt_i32_e64 s[38:39], v10, v16
	s_nop 1
	v_cndmask_b32_e64 v10, v15, v10, s[38:39]
	v_lshlrev_b32_e32 v51, 2, v10
	ds_bpermute_b32 v17, v51, v14
	v_lshl_add_u64 v[10:11], s[46:47], 0, v[58:59]
	v_mad_i64_i32 v[12:13], s[38:39], v62, s45, v[10:11]
	s_waitcnt lgkmcnt(0)
	v_max_f32_e32 v17, v17, v17
	v_max_f32_e32 v19, v14, v17
	v_xor_b32_e32 v14, 16, v15
	v_cmp_lt_i32_e64 s[38:39], v14, v16
	s_nop 1
	v_cndmask_b32_e64 v14, v15, v14, s[38:39]
	v_lshlrev_b32_e32 v58, 2, v14
	ds_bpermute_b32 v20, v58, v19
	v_mad_i64_i32 v[14:15], s[38:39], v53, s45, v[10:11]
	v_mad_i64_i32 v[16:17], s[38:39], v64, s45, v[10:11]
	s_waitcnt lgkmcnt(0)
	v_max_f32_e32 v20, v20, v20
	v_max_f32_e32 v50, v19, v20
	v_sub_f32_e32 v18, v18, v50
	v_sub_f32_e32 v19, v33, v50
	v_mul_f32_e32 v18, 0x3fb8aa3b, v18
	v_mul_f32_e32 v19, 0x3fb8aa3b, v19
	v_exp_f32_e32 v18, v18
	v_exp_f32_e32 v19, v19
	v_sub_f32_e32 v49, v31, v50
	v_mad_i64_i32 v[10:11], s[38:39], v63, s45, v[10:11]
	v_cndmask_b32_e64 v46, 0, v18, s[8:9]
	v_cndmask_b32_e64 v47, 0, v19, s[10:11]
	global_load_dwordx4 v[30:33], v[12:13], off
	global_load_dwordx4 v[18:21], v[14:15], off
	v_sub_f32_e32 v12, v48, v50
	v_mul_f32_e32 v12, 0x3fb8aa3b, v12
	v_exp_f32_e32 v48, v12
	global_load_dwordx4 v[14:17], v[16:17], off
	s_nop 0
	global_load_dwordx4 v[10:13], v[10:11], off
	v_sub_f32_e32 v40, v40, v50
	v_sub_f32_e32 v42, v42, v50
	v_mul_f32_e32 v40, 0x3fb8aa3b, v40
	v_mul_f32_e32 v42, 0x3fb8aa3b, v42
	v_exp_f32_e32 v40, v40
	v_exp_f32_e32 v53, v42
	v_mul_f32_e32 v49, 0x3fb8aa3b, v49
	v_sub_f32_e32 v44, v44, v50
	v_exp_f32_e32 v49, v49
	v_mul_f32_e32 v44, 0x3fb8aa3b, v44
	v_sub_f32_e32 v45, v45, v50
	v_sub_f32_e32 v42, v43, v50
	v_exp_f32_e32 v44, v44
	v_mul_f32_e32 v45, 0x3fb8aa3b, v45
	v_mul_f32_e32 v42, 0x3fb8aa3b, v42
	v_exp_f32_e32 v45, v45
	v_sub_f32_e32 v41, v41, v50
	v_exp_f32_e32 v59, v42
	v_cndmask_b32_e64 v42, 0, v40, s[20:21]
	v_cndmask_b32_e64 v40, 0, v53, s[24:25]
	v_add_f32_e32 v53, 0, v46
	v_cndmask_b32_e64 v48, 0, v48, s[12:13]
	v_mul_f32_e32 v41, 0x3fb8aa3b, v41
	v_add_f32_e32 v53, v53, v47
	v_cndmask_b32_e64 v49, 0, v49, s[14:15]
	v_exp_f32_e32 v41, v41
	v_add_f32_e32 v53, v53, v48
	v_cndmask_b32_e64 v44, 0, v44, s[16:17]
	v_sub_f32_e32 v38, v38, v50
	v_add_f32_e32 v53, v53, v49
	v_cndmask_b32_e64 v45, 0, v45, s[18:19]
	v_sub_f32_e32 v39, v39, v50
	v_mul_f32_e32 v38, 0x3fb8aa3b, v38
	v_add_f32_e32 v53, v53, v44
	v_exp_f32_e32 v38, v38
	v_mul_f32_e32 v39, 0x3fb8aa3b, v39
	v_sub_f32_e32 v36, v36, v50
	v_add_f32_e32 v53, v53, v45
	v_cndmask_b32_e64 v43, 0, v41, s[22:23]
	v_exp_f32_e32 v39, v39
	v_mul_f32_e32 v36, 0x3fb8aa3b, v36
	v_sub_f32_e32 v37, v37, v50
	v_add_f32_e32 v53, v53, v42
	v_exp_f32_e32 v36, v36
	v_mul_f32_e32 v37, 0x3fb8aa3b, v37
	v_add_f32_e32 v53, v53, v43
	v_sub_f32_e32 v34, v34, v50
	v_cndmask_b32_e64 v41, 0, v59, s[26:27]
	v_exp_f32_e32 v37, v37
	v_add_f32_e32 v53, v53, v40
	v_mul_f32_e32 v34, 0x3fb8aa3b, v34
	v_sub_f32_e32 v35, v35, v50
	v_cndmask_b32_e64 v38, 0, v38, s[28:29]
	v_add_f32_e32 v53, v53, v41
	v_exp_f32_e32 v34, v34
	v_mul_f32_e32 v35, 0x3fb8aa3b, v35
	v_cndmask_b32_e64 v39, 0, v39, s[30:31]
	v_add_f32_e32 v53, v53, v38
	v_exp_f32_e32 v35, v35
	v_cndmask_b32_e64 v36, 0, v36, s[34:35]
	v_add_f32_e32 v53, v53, v39
	v_cndmask_b32_e64 v37, 0, v37, s[36:37]
	v_add_f32_e32 v53, v53, v36
	v_add_f32_e32 v53, v53, v37
	v_cndmask_b32_e32 v34, 0, v34, vcc
	v_add_f32_e32 v53, v53, v34
	v_cndmask_b32_e64 v35, 0, v35, s[4:5]
	v_add_f32_e32 v53, v53, v35
	ds_bpermute_b32 v51, v51, v53
	v_cmp_gt_u32_e32 vcc, 16, v55
	s_waitcnt lgkmcnt(0)
	s_barrier
	v_add_f32_e32 v51, v53, v51
	ds_bpermute_b32 v53, v58, v51
	s_and_saveexec_b64 s[4:5], vcc
	s_cbranch_execz .LBB981_15
; %bb.14:
	s_waitcnt lgkmcnt(0)
	v_add_f32_e32 v51, v51, v53
	v_lshlrev_b32_e32 v52, 2, v52
	ds_write2st64_b32 v52, v50, v51 offset1:1
.LBB981_15:
	s_or_b64 exec, exec, s[4:5]
	v_lshlrev_b32_e32 v51, 2, v56
	s_load_dword s7, s[0:1], 0x94
	s_waitcnt lgkmcnt(0)
	s_barrier
	ds_read2_b32 v[52:53], v51 offset1:16
	ds_read2_b32 v[58:59], v51 offset0:32 offset1:48
	ds_read2_b32 v[62:63], v51 offset0:64 offset1:80
	s_mul_i32 s8, s33, 14
	s_waitcnt lgkmcnt(2)
	v_max3_f32 v50, v52, s40, v53
	s_waitcnt lgkmcnt(1)
	v_max3_f32 v50, v50, v58, v59
	v_sub_f32_e32 v52, v52, v50
	v_mul_f32_e32 v52, 0x3fb8aa3b, v52
	v_exp_f32_e32 v55, v52
	v_sub_f32_e32 v52, v53, v50
	v_mul_f32_e32 v52, 0x3fb8aa3b, v52
	v_exp_f32_e32 v61, v52
	;; [unrolled: 3-line block ×3, first 2 shown]
	ds_read2_b32 v[52:53], v51 offset0:96 offset1:112
	v_sub_f32_e32 v51, v59, v50
	v_mul_f32_e32 v51, 0x3fb8aa3b, v51
	v_exp_f32_e32 v59, v51
	s_waitcnt lgkmcnt(1)
	v_fma_f32 v51, v55, v62, 0
	v_fmac_f32_e32 v51, v61, v63
	s_waitcnt lgkmcnt(0)
	v_fmac_f32_e32 v51, v58, v52
	v_fmac_f32_e32 v51, v59, v53
	v_add_f32_e32 v52, 0x358637bd, v51
	v_div_scale_f32 v53, s[4:5], v52, v52, 1.0
	v_rcp_f32_e32 v62, v53
	s_barrier
	v_fma_f32 v63, -v53, v62, 1.0
	v_fmac_f32_e32 v62, v63, v62
	v_div_scale_f32 v63, vcc, 1.0, v52, 1.0
	v_mul_f32_e32 v64, v63, v62
	v_fma_f32 v65, -v53, v64, v63
	v_fmac_f32_e32 v64, v65, v62
	v_fma_f32 v53, -v53, v64, v63
	v_div_fmas_f32 v53, v53, v62, v64
	v_cmp_eq_u32_e32 vcc, 1, v57
	v_div_fixup_f32 v52, v53, v52, 1.0
	s_nop 0
	v_cndmask_b32_e32 v53, v55, v61, vcc
	v_cmp_eq_u32_e32 vcc, 2, v57
	s_nop 1
	v_cndmask_b32_e32 v53, v53, v58, vcc
	v_cmp_eq_u32_e32 vcc, 3, v57
	s_nop 1
	v_cndmask_b32_e32 v53, v53, v59, vcc
	v_mul_f32_e32 v52, v53, v52
	v_pk_mul_f32 v[48:49], v[52:53], v[48:49] op_sel_hi:[0,1]
	v_pk_mul_f32 v[46:47], v[52:53], v[46:47] op_sel_hi:[0,1]
	v_cvt_f16_f32_e32 v53, v48
	v_cvt_f16_f32_e32 v49, v49
	;; [unrolled: 1-line block ×4, first 2 shown]
	v_pk_mul_f32 v[42:43], v[52:53], v[42:43] op_sel_hi:[0,1]
	v_pk_mul_f32 v[44:45], v[52:53], v[44:45] op_sel_hi:[0,1]
	v_pack_b32_f16 v49, v53, v49
	v_cvt_f16_f32_e32 v44, v44
	v_cvt_f16_f32_e32 v45, v45
	;; [unrolled: 1-line block ×4, first 2 shown]
	v_pack_b32_f16 v48, v46, v47
	v_lshlrev_b32_e32 v47, 3, v60
	v_lshlrev_b32_e32 v46, 5, v56
	;; [unrolled: 1-line block ×3, first 2 shown]
	v_or3_b32 v55, v42, v46, v47
	v_pack_b32_f16 v42, v44, v45
	v_pack_b32_f16 v43, v53, v43
	v_pk_mul_f32 v[38:39], v[52:53], v[38:39] op_sel_hi:[0,1]
	v_pk_mul_f32 v[40:41], v[52:53], v[40:41] op_sel_hi:[0,1]
	;; [unrolled: 1-line block ×4, first 2 shown]
	ds_write2st64_b64 v55, v[48:49], v[42:43] offset1:1
	v_cvt_f16_f32_e32 v40, v40
	v_cvt_f16_f32_e32 v41, v41
	;; [unrolled: 1-line block ×8, first 2 shown]
	v_pack_b32_f16 v34, v40, v41
	v_pack_b32_f16 v35, v38, v39
	;; [unrolled: 1-line block ×4, first 2 shown]
	v_cmp_gt_u32_e32 vcc, 14, v0
	ds_write2st64_b64 v55, v[34:35], v[36:37] offset0:2 offset1:3
	s_and_saveexec_b64 s[4:5], vcc
	s_cbranch_execz .LBB981_17
; %bb.16:
	s_mov_b32 s49, 0
	v_mov_b32_e32 v57, 0
	v_lshl_add_u64 v[34:35], s[48:49], 0, v[56:57]
	v_mov_b32_e32 v36, s8
	v_mad_u64_u32 v[34:35], s[10:11], s2, v36, v[34:35]
	s_mul_i32 s3, s3, s8
	v_mov_b32_e32 v36, s6
	v_mov_b32_e32 v37, v57
	s_load_dwordx4 s[12:15], s[0:1], 0x58
	v_add_u32_e32 v38, s3, v35
	v_mad_u64_u32 v[34:35], s[10:11], v34, s7, v[36:37]
	v_mov_b32_e32 v36, v35
	v_mad_u64_u32 v[36:37], s[10:11], v38, s7, v[36:37]
	v_mov_b32_e32 v35, v36
	v_lshlrev_b64 v[34:35], 2, v[34:35]
	s_waitcnt lgkmcnt(0)
	v_lshl_add_u64 v[36:37], s[14:15], 0, v[34:35]
	v_lshl_add_u64 v[34:35], s[12:13], 0, v[34:35]
	global_store_dword v[36:37], v50, off
	global_store_dword v[34:35], v51, off
.LBB981_17:
	s_or_b64 exec, exec, s[4:5]
	s_waitcnt vmcnt(7)
	v_cvt_pk_f32_fp8_e32 v[34:35], v6
	v_cvt_pk_f32_fp8_sdwa v[36:37], v6 src0_sel:WORD_1
	v_lshl_or_b32 v50, v60, 9, v46
	s_waitcnt lgkmcnt(0)
	s_barrier
	v_cvt_pk_f32_fp8_e32 v[38:39], v7
	v_cvt_pkrtz_f16_f32 v6, v34, v35
	v_cvt_pk_f32_fp8_sdwa v[40:41], v7 src0_sel:WORD_1
	v_cvt_pkrtz_f16_f32 v7, v36, v37
	ds_read_b128 v[34:37], v50
	v_cvt_pkrtz_f16_f32 v46, v38, v39
	v_cvt_pkrtz_f16_f32 v47, v40, v41
	ds_read_b128 v[38:41], v50 offset:16
	v_cvt_pk_f32_fp8_e32 v[48:49], v8
	v_cvt_pk_f32_fp8_sdwa v[52:53], v8 src0_sel:WORD_1
	s_waitcnt lgkmcnt(1)
	v_mfma_f32_16x16x16_f16 v[42:45], v[6:7], v[34:35], 0
	s_waitcnt vmcnt(6)
	v_cvt_pk_f32_fp8_e32 v[58:59], v4
	v_cvt_pkrtz_f16_f32 v6, v48, v49
	v_cvt_pkrtz_f16_f32 v7, v52, v53
	v_cvt_pk_f32_fp8_e32 v[48:49], v9
	v_mfma_f32_16x16x16_f16 v[42:45], v[46:47], v[36:37], v[42:45]
	v_cvt_pk_f32_fp8_sdwa v[46:47], v9 src0_sel:WORD_1
	v_cvt_pk_f32_fp8_sdwa v[62:63], v4 src0_sel:WORD_1
	v_cvt_pkrtz_f16_f32 v48, v48, v49
	s_waitcnt lgkmcnt(0)
	v_mfma_f32_16x16x16_f16 v[6:9], v[6:7], v[38:39], v[42:45]
	v_cvt_pkrtz_f16_f32 v49, v46, v47
	s_waitcnt vmcnt(5)
	v_cvt_pk_f32_fp8_sdwa v[66:67], v28 src0_sel:WORD_1
	s_waitcnt vmcnt(4)
	v_cvt_pk_f32_fp8_sdwa v[68:69], v24 src0_sel:WORD_1
	v_cvt_pk_f32_fp8_e32 v[42:43], v2
	v_mfma_f32_16x16x16_f16 v[46:49], v[48:49], v[40:41], v[6:9]
	s_waitcnt vmcnt(3)
	v_cvt_pk_f32_fp8_sdwa v[70:71], v32 src0_sel:WORD_1
	s_load_dword s4, s[42:43], 0x0
	v_cvt_pk_f32_fp8_sdwa v[6:7], v2 src0_sel:WORD_1
	v_cvt_pk_f32_fp8_e32 v[8:9], v3
	v_cvt_pkrtz_f16_f32 v2, v42, v43
	v_cvt_pk_f32_fp8_sdwa v[42:43], v3 src0_sel:WORD_1
	v_cvt_pkrtz_f16_f32 v3, v6, v7
	v_cvt_pkrtz_f16_f32 v52, v8, v9
	ds_read_b128 v[6:9], v50 offset:2048
	v_cvt_pkrtz_f16_f32 v53, v42, v43
	ds_read_b128 v[42:45], v50 offset:2064
	s_waitcnt lgkmcnt(0)
	v_mfma_f32_16x16x16_f16 v[46:49], v[2:3], v[6:7], v[46:49]
	v_cvt_pkrtz_f16_f32 v2, v58, v59
	v_cvt_pkrtz_f16_f32 v3, v62, v63
	v_cvt_pk_f32_fp8_e32 v[58:59], v5
	v_mfma_f32_16x16x16_f16 v[46:49], v[52:53], v[8:9], v[46:49]
	v_cvt_pk_f32_fp8_sdwa v[52:53], v5 src0_sel:WORD_1
	s_mov_b32 s3, 0
	v_cvt_pkrtz_f16_f32 v58, v58, v59
	v_mfma_f32_16x16x16_f16 v[2:5], v[2:3], v[42:43], v[46:49]
	v_cvt_pkrtz_f16_f32 v59, v52, v53
	v_cmp_gt_u32_e32 vcc, 64, v0
	s_nop 0
	v_cvt_pk_f32_fp8_e32 v[46:47], v26
	v_mfma_f32_16x16x16_f16 v[62:65], v[58:59], v[44:45], v[2:5]
	v_cvt_pk_f32_fp8_e32 v[58:59], v28
	s_nop 1
	v_cvt_pk_f32_fp8_sdwa v[2:3], v26 src0_sel:WORD_1
	v_cvt_pk_f32_fp8_e32 v[4:5], v27
	v_cvt_pkrtz_f16_f32 v26, v46, v47
	v_cvt_pk_f32_fp8_sdwa v[46:47], v27 src0_sel:WORD_1
	v_cvt_pkrtz_f16_f32 v27, v2, v3
	v_cvt_pkrtz_f16_f32 v52, v4, v5
	ds_read_b128 v[2:5], v50 offset:4096
	v_cvt_pkrtz_f16_f32 v53, v46, v47
	ds_read_b128 v[46:49], v50 offset:4112
	s_waitcnt lgkmcnt(1)
	v_mfma_f32_16x16x16_f16 v[62:65], v[26:27], v[2:3], v[62:65]
	v_cvt_pkrtz_f16_f32 v26, v58, v59
	v_cvt_pkrtz_f16_f32 v27, v66, v67
	v_cvt_pk_f32_fp8_e32 v[58:59], v29
	v_mfma_f32_16x16x16_f16 v[62:65], v[52:53], v[4:5], v[62:65]
	v_cvt_pk_f32_fp8_sdwa v[52:53], v29 src0_sel:WORD_1
	v_cvt_pk_f32_fp8_e32 v[66:67], v24
	v_cvt_pkrtz_f16_f32 v58, v58, v59
	s_waitcnt lgkmcnt(0)
	v_mfma_f32_16x16x16_f16 v[26:29], v[26:27], v[46:47], v[62:65]
	v_cvt_pkrtz_f16_f32 v59, v52, v53
	v_cvt_pk_f32_fp8_e32 v[52:53], v22
	s_nop 0
	v_mfma_f32_16x16x16_f16 v[62:65], v[58:59], v[48:49], v[26:29]
	s_nop 2
	v_cvt_pk_f32_fp8_sdwa v[26:27], v22 src0_sel:WORD_1
	v_cvt_pk_f32_fp8_e32 v[28:29], v23
	v_cvt_pkrtz_f16_f32 v22, v52, v53
	v_cvt_pk_f32_fp8_sdwa v[52:53], v23 src0_sel:WORD_1
	v_cvt_pkrtz_f16_f32 v23, v26, v27
	v_cvt_pkrtz_f16_f32 v58, v28, v29
	ds_read_b128 v[26:29], v50 offset:6144
	v_cvt_pkrtz_f16_f32 v59, v52, v53
	s_waitcnt lgkmcnt(0)
	v_mfma_f32_16x16x16_f16 v[62:65], v[22:23], v[26:27], v[62:65]
	ds_read_b128 v[50:53], v50 offset:6160
	v_cvt_pkrtz_f16_f32 v22, v66, v67
	v_cvt_pkrtz_f16_f32 v23, v68, v69
	v_cvt_pk_f32_fp8_e32 v[66:67], v25
	v_mfma_f32_16x16x16_f16 v[62:65], v[58:59], v[28:29], v[62:65]
	v_cvt_pk_f32_fp8_sdwa v[58:59], v25 src0_sel:WORD_1
	v_cvt_pk_f32_fp8_e32 v[68:69], v32
	v_cvt_pkrtz_f16_f32 v66, v66, v67
	s_waitcnt lgkmcnt(0)
	v_mfma_f32_16x16x16_f16 v[22:25], v[22:23], v[50:51], v[62:65]
	v_cvt_pkrtz_f16_f32 v67, v58, v59
	v_cvt_pk_f32_fp8_e32 v[58:59], v30
	s_nop 0
	v_cvt_pk_f32_fp8_sdwa v[62:63], v30 src0_sel:WORD_1
	v_cvt_pk_f32_fp8_e32 v[64:65], v31
	v_cvt_pkrtz_f16_f32 v58, v58, v59
	v_cvt_pk_f32_fp8_sdwa v[30:31], v31 src0_sel:WORD_1
	v_cvt_pkrtz_f16_f32 v59, v62, v63
	v_mfma_f32_16x16x16_f16 v[22:25], v[66:67], v[52:53], v[22:25]
	v_cvt_pkrtz_f16_f32 v66, v64, v65
	v_cvt_pkrtz_f16_f32 v67, v30, v31
	;; [unrolled: 1-line block ×3, first 2 shown]
	v_mfma_f32_16x16x16_f16 v[62:65], v[58:59], v[34:35], 0
	v_cvt_pkrtz_f16_f32 v31, v70, v71
	v_cvt_pk_f32_fp8_e32 v[58:59], v33
	s_barrier
	v_mfma_f32_16x16x16_f16 v[34:37], v[66:67], v[36:37], v[62:65]
	v_cvt_pkrtz_f16_f32 v58, v58, v59
	s_nop 1
	v_cvt_pk_f32_fp8_sdwa v[62:63], v33 src0_sel:WORD_1
	v_mfma_f32_16x16x16_f16 v[30:33], v[30:31], v[38:39], v[34:37]
	s_waitcnt vmcnt(2)
	v_cvt_pk_f32_fp8_e32 v[38:39], v19
	v_cvt_pkrtz_f16_f32 v59, v62, v63
	v_cvt_pk_f32_fp8_e32 v[34:35], v18
	v_cvt_pk_f32_fp8_sdwa v[36:37], v18 src0_sel:WORD_1
	v_cvt_pk_f32_fp8_sdwa v[18:19], v19 src0_sel:WORD_1
	v_mfma_f32_16x16x16_f16 v[30:33], v[58:59], v[40:41], v[30:33]
	v_cvt_pkrtz_f16_f32 v34, v34, v35
	v_cvt_pkrtz_f16_f32 v35, v36, v37
	;; [unrolled: 1-line block ×3, first 2 shown]
	v_cvt_pk_f32_fp8_e32 v[38:39], v20
	v_cvt_pk_f32_fp8_sdwa v[40:41], v20 src0_sel:WORD_1
	v_cvt_pkrtz_f16_f32 v37, v18, v19
	v_mfma_f32_16x16x16_f16 v[30:33], v[34:35], v[6:7], v[30:33]
	v_cvt_pkrtz_f16_f32 v18, v38, v39
	v_cvt_pkrtz_f16_f32 v19, v40, v41
	v_cvt_pk_f32_fp8_e32 v[34:35], v21
	v_cvt_pk_f32_fp8_sdwa v[20:21], v21 src0_sel:WORD_1
	v_mfma_f32_16x16x16_f16 v[6:9], v[36:37], v[8:9], v[30:33]
	s_nop 2
	v_cvt_pkrtz_f16_f32 v30, v34, v35
	v_cvt_pkrtz_f16_f32 v31, v20, v21
	v_mfma_f32_16x16x16_f16 v[6:9], v[18:19], v[42:43], v[6:9]
	s_waitcnt vmcnt(1)
	v_cvt_pk_f32_fp8_e32 v[18:19], v14
	v_cvt_pk_f32_fp8_sdwa v[20:21], v14 src0_sel:WORD_1
	v_cvt_pk_f32_fp8_sdwa v[32:33], v16 src0_sel:WORD_1
	v_mfma_f32_16x16x16_f16 v[6:9], v[30:31], v[44:45], v[6:9]
	v_cvt_pk_f32_fp8_e32 v[30:31], v15
	v_cvt_pkrtz_f16_f32 v18, v18, v19
	v_cvt_pkrtz_f16_f32 v19, v20, v21
	v_cvt_pk_f32_fp8_sdwa v[14:15], v15 src0_sel:WORD_1
	v_cvt_pkrtz_f16_f32 v20, v30, v31
	v_cvt_pk_f32_fp8_e32 v[30:31], v16
	v_mfma_f32_16x16x16_f16 v[6:9], v[18:19], v[2:3], v[6:9]
	v_cvt_pkrtz_f16_f32 v21, v14, v15
	v_cvt_pkrtz_f16_f32 v14, v30, v31
	;; [unrolled: 1-line block ×3, first 2 shown]
	v_cvt_pk_f32_fp8_e32 v[18:19], v17
	v_cvt_pk_f32_fp8_sdwa v[16:17], v17 src0_sel:WORD_1
	v_mfma_f32_16x16x16_f16 v[2:5], v[20:21], v[4:5], v[6:9]
	s_waitcnt vmcnt(0)
	v_cvt_pk_f32_fp8_sdwa v[20:21], v12 src0_sel:WORD_1
	s_nop 0
	v_cvt_pkrtz_f16_f32 v8, v18, v19
	v_cvt_pkrtz_f16_f32 v9, v16, v17
	v_mfma_f32_16x16x16_f16 v[2:5], v[14:15], v[46:47], v[2:5]
	v_cvt_pk_f32_fp8_e32 v[16:17], v10
	v_cvt_pk_f32_fp8_sdwa v[18:19], v10 src0_sel:WORD_1
	v_pk_mul_f32 v[6:7], v[24:25], s[4:5] op_sel_hi:[1,0]
	v_mfma_f32_16x16x16_f16 v[2:5], v[8:9], v[48:49], v[2:5]
	v_cvt_pk_f32_fp8_e32 v[8:9], v11
	v_cvt_pkrtz_f16_f32 v16, v16, v17
	v_cvt_pkrtz_f16_f32 v17, v18, v19
	v_cvt_pk_f32_fp8_sdwa v[10:11], v11 src0_sel:WORD_1
	v_cvt_pkrtz_f16_f32 v8, v8, v9
	v_cvt_pk_f32_fp8_e32 v[18:19], v12
	v_mfma_f32_16x16x16_f16 v[2:5], v[16:17], v[26:27], v[2:5]
	v_cvt_pkrtz_f16_f32 v9, v10, v11
	v_cvt_pkrtz_f16_f32 v10, v18, v19
	;; [unrolled: 1-line block ×3, first 2 shown]
	v_cvt_pk_f32_fp8_e32 v[16:17], v13
	v_cvt_pk_f32_fp8_sdwa v[12:13], v13 src0_sel:WORD_1
	v_mfma_f32_16x16x16_f16 v[2:5], v[8:9], v[28:29], v[2:5]
	v_pk_mul_f32 v[14:15], v[22:23], s[4:5] op_sel_hi:[1,0]
	v_cvt_pkrtz_f16_f32 v8, v16, v17
	v_cvt_pkrtz_f16_f32 v9, v12, v13
	v_mfma_f32_16x16x16_f16 v[2:5], v[10:11], v[50:51], v[2:5]
	v_cvt_f16_f32_e32 v14, v14
	v_cvt_f16_f32_e32 v10, v15
	;; [unrolled: 1-line block ×3, first 2 shown]
	v_mfma_f32_16x16x16_f16 v[2:5], v[8:9], v[52:53], v[2:5]
	v_cvt_f16_f32_e32 v7, v7
	s_nop 5
	v_pk_mul_f32 v[4:5], v[4:5], s[4:5] op_sel_hi:[1,0]
	v_pk_mul_f32 v[2:3], v[2:3], s[4:5] op_sel_hi:[1,0]
	v_cvt_f16_f32_e32 v11, v4
	v_cvt_f16_f32_e32 v8, v2
	;; [unrolled: 1-line block ×4, first 2 shown]
	v_pack_b32_f16 v2, v14, v10
	v_pack_b32_f16 v3, v6, v7
	;; [unrolled: 1-line block ×4, first 2 shown]
	ds_write2st64_b64 v55, v[2:3], v[4:5] offset1:1
	s_waitcnt lgkmcnt(0)
	s_barrier
	s_and_saveexec_b64 s[4:5], vcc
	s_cbranch_execz .LBB981_20
; %bb.18:
	s_load_dwordx2 s[4:5], s[0:1], 0x68
	s_lshl_b32 s0, s7, 7
	s_mul_i32 s1, s8, s2
	v_lshlrev_b32_e32 v3, 6, v56
	s_mul_hi_u32 s9, s1, s0
	s_mul_i32 s8, s1, s0
	v_lshl_or_b32 v0, v0, 10, v3
	s_lshl_b64 s[8:9], s[8:9], 1
	v_lshlrev_b32_e32 v2, 5, v60
	v_and_b32_e32 v1, 16, v1
	v_and_b32_e32 v0, 0x1a00, v0
	s_waitcnt lgkmcnt(0)
	s_add_u32 s1, s4, s8
	v_or3_b32 v2, v0, v2, v1
	s_addc_u32 s4, s5, s9
	s_lshl_b32 s2, s6, 7
	ds_read_b128 v[4:7], v2 offset:256
	s_lshl_b64 s[2:3], s[2:3], 1
	ds_read_b128 v[8:11], v2 offset:128
	ds_read_b128 v[12:15], v2
	s_add_u32 s2, s1, s2
	s_addc_u32 s3, s4, s3
	v_mov_b32_e32 v55, 0
	v_add_u32_e32 v18, s48, v60
	v_lshl_add_u64 v[0:1], s[2:3], 0, v[54:55]
	v_mad_u64_u32 v[16:17], s[2:3], v18, s0, 0
	v_lshl_add_u64 v[16:17], v[16:17], 1, v[0:1]
	s_waitcnt lgkmcnt(0)
	global_store_dwordx4 v[16:17], v[12:15], off
	v_or_b32_e32 v3, 12, v60
	v_cmp_gt_u32_e32 vcc, 14, v3
	v_add_u32_e32 v12, 4, v18
	v_mad_u64_u32 v[12:13], s[2:3], v12, s0, 0
	v_lshl_add_u64 v[12:13], v[12:13], 1, v[0:1]
	global_store_dwordx4 v[12:13], v[8:11], off
	s_nop 1
	v_add_u32_e32 v8, 8, v18
	v_mad_u64_u32 v[8:9], s[2:3], v8, s0, 0
	v_lshl_add_u64 v[8:9], v[8:9], 1, v[0:1]
	global_store_dwordx4 v[8:9], v[4:7], off
	s_and_b64 exec, exec, vcc
	s_cbranch_execz .LBB981_20
; %bb.19:
	ds_read_b128 v[4:7], v2 offset:384
	v_add_u32_e32 v2, s48, v3
	v_mad_u64_u32 v[2:3], s[0:1], v2, s0, 0
	v_lshl_add_u64 v[0:1], v[2:3], 1, v[0:1]
	s_waitcnt lgkmcnt(0)
	global_store_dwordx4 v[0:1], v[4:7], off
.LBB981_20:
	s_endpgm
	.section	.rodata,"a",@progbits
	.p2align	6, 0x0
	.amdhsa_kernel _Z39paged_attention_ll4mi_QKV_mfma16_kernelIDF16_hLN4vllm18Fp8KVCacheDataTypeE1EDF16_Li16ELi128ELi256ELb1ELi14EEvPKT_PKT0_S7_ifPKiS9_S9_iPKfiiiPfSC_PS2_PT2_iSB_SB_
		.amdhsa_group_segment_fixed_size 8192
		.amdhsa_private_segment_fixed_size 0
		.amdhsa_kernarg_size 400
		.amdhsa_user_sgpr_count 2
		.amdhsa_user_sgpr_dispatch_ptr 0
		.amdhsa_user_sgpr_queue_ptr 0
		.amdhsa_user_sgpr_kernarg_segment_ptr 1
		.amdhsa_user_sgpr_dispatch_id 0
		.amdhsa_user_sgpr_kernarg_preload_length 0
		.amdhsa_user_sgpr_kernarg_preload_offset 0
		.amdhsa_user_sgpr_private_segment_size 0
		.amdhsa_uses_dynamic_stack 0
		.amdhsa_enable_private_segment 0
		.amdhsa_system_sgpr_workgroup_id_x 1
		.amdhsa_system_sgpr_workgroup_id_y 1
		.amdhsa_system_sgpr_workgroup_id_z 1
		.amdhsa_system_sgpr_workgroup_info 0
		.amdhsa_system_vgpr_workitem_id 0
		.amdhsa_next_free_vgpr 76
		.amdhsa_next_free_sgpr 50
		.amdhsa_accum_offset 76
		.amdhsa_reserve_vcc 1
		.amdhsa_float_round_mode_32 0
		.amdhsa_float_round_mode_16_64 0
		.amdhsa_float_denorm_mode_32 3
		.amdhsa_float_denorm_mode_16_64 3
		.amdhsa_dx10_clamp 1
		.amdhsa_ieee_mode 1
		.amdhsa_fp16_overflow 0
		.amdhsa_tg_split 0
		.amdhsa_exception_fp_ieee_invalid_op 0
		.amdhsa_exception_fp_denorm_src 0
		.amdhsa_exception_fp_ieee_div_zero 0
		.amdhsa_exception_fp_ieee_overflow 0
		.amdhsa_exception_fp_ieee_underflow 0
		.amdhsa_exception_fp_ieee_inexact 0
		.amdhsa_exception_int_div_zero 0
	.end_amdhsa_kernel
	.section	.text._Z39paged_attention_ll4mi_QKV_mfma16_kernelIDF16_hLN4vllm18Fp8KVCacheDataTypeE1EDF16_Li16ELi128ELi256ELb1ELi14EEvPKT_PKT0_S7_ifPKiS9_S9_iPKfiiiPfSC_PS2_PT2_iSB_SB_,"axG",@progbits,_Z39paged_attention_ll4mi_QKV_mfma16_kernelIDF16_hLN4vllm18Fp8KVCacheDataTypeE1EDF16_Li16ELi128ELi256ELb1ELi14EEvPKT_PKT0_S7_ifPKiS9_S9_iPKfiiiPfSC_PS2_PT2_iSB_SB_,comdat
.Lfunc_end981:
	.size	_Z39paged_attention_ll4mi_QKV_mfma16_kernelIDF16_hLN4vllm18Fp8KVCacheDataTypeE1EDF16_Li16ELi128ELi256ELb1ELi14EEvPKT_PKT0_S7_ifPKiS9_S9_iPKfiiiPfSC_PS2_PT2_iSB_SB_, .Lfunc_end981-_Z39paged_attention_ll4mi_QKV_mfma16_kernelIDF16_hLN4vllm18Fp8KVCacheDataTypeE1EDF16_Li16ELi128ELi256ELb1ELi14EEvPKT_PKT0_S7_ifPKiS9_S9_iPKfiiiPfSC_PS2_PT2_iSB_SB_
                                        ; -- End function
	.section	.AMDGPU.csdata,"",@progbits
; Kernel info:
; codeLenInByte = 6344
; NumSgprs: 56
; NumVgprs: 76
; NumAgprs: 0
; TotalNumVgprs: 76
; ScratchSize: 0
; MemoryBound: 0
; FloatMode: 240
; IeeeMode: 1
; LDSByteSize: 8192 bytes/workgroup (compile time only)
; SGPRBlocks: 6
; VGPRBlocks: 9
; NumSGPRsForWavesPerEU: 56
; NumVGPRsForWavesPerEU: 76
; AccumOffset: 76
; Occupancy: 6
; WaveLimiterHint : 1
; COMPUTE_PGM_RSRC2:SCRATCH_EN: 0
; COMPUTE_PGM_RSRC2:USER_SGPR: 2
; COMPUTE_PGM_RSRC2:TRAP_HANDLER: 0
; COMPUTE_PGM_RSRC2:TGID_X_EN: 1
; COMPUTE_PGM_RSRC2:TGID_Y_EN: 1
; COMPUTE_PGM_RSRC2:TGID_Z_EN: 1
; COMPUTE_PGM_RSRC2:TIDIG_COMP_CNT: 0
; COMPUTE_PGM_RSRC3_GFX90A:ACCUM_OFFSET: 18
; COMPUTE_PGM_RSRC3_GFX90A:TG_SPLIT: 0
	.section	.text._Z39paged_attention_ll4mi_QKV_mfma16_kernelIDF16_hLN4vllm18Fp8KVCacheDataTypeE1EDF16_Li16ELi128ELi256ELb1ELi15EEvPKT_PKT0_S7_ifPKiS9_S9_iPKfiiiPfSC_PS2_PT2_iSB_SB_,"axG",@progbits,_Z39paged_attention_ll4mi_QKV_mfma16_kernelIDF16_hLN4vllm18Fp8KVCacheDataTypeE1EDF16_Li16ELi128ELi256ELb1ELi15EEvPKT_PKT0_S7_ifPKiS9_S9_iPKfiiiPfSC_PS2_PT2_iSB_SB_,comdat
	.protected	_Z39paged_attention_ll4mi_QKV_mfma16_kernelIDF16_hLN4vllm18Fp8KVCacheDataTypeE1EDF16_Li16ELi128ELi256ELb1ELi15EEvPKT_PKT0_S7_ifPKiS9_S9_iPKfiiiPfSC_PS2_PT2_iSB_SB_ ; -- Begin function _Z39paged_attention_ll4mi_QKV_mfma16_kernelIDF16_hLN4vllm18Fp8KVCacheDataTypeE1EDF16_Li16ELi128ELi256ELb1ELi15EEvPKT_PKT0_S7_ifPKiS9_S9_iPKfiiiPfSC_PS2_PT2_iSB_SB_
	.globl	_Z39paged_attention_ll4mi_QKV_mfma16_kernelIDF16_hLN4vllm18Fp8KVCacheDataTypeE1EDF16_Li16ELi128ELi256ELb1ELi15EEvPKT_PKT0_S7_ifPKiS9_S9_iPKfiiiPfSC_PS2_PT2_iSB_SB_
	.p2align	8
	.type	_Z39paged_attention_ll4mi_QKV_mfma16_kernelIDF16_hLN4vllm18Fp8KVCacheDataTypeE1EDF16_Li16ELi128ELi256ELb1ELi15EEvPKT_PKT0_S7_ifPKiS9_S9_iPKfiiiPfSC_PS2_PT2_iSB_SB_,@function
_Z39paged_attention_ll4mi_QKV_mfma16_kernelIDF16_hLN4vllm18Fp8KVCacheDataTypeE1EDF16_Li16ELi128ELi256ELb1ELi15EEvPKT_PKT0_S7_ifPKiS9_S9_iPKfiiiPfSC_PS2_PT2_iSB_SB_: ; @_Z39paged_attention_ll4mi_QKV_mfma16_kernelIDF16_hLN4vllm18Fp8KVCacheDataTypeE1EDF16_Li16ELi128ELi256ELb1ELi15EEvPKT_PKT0_S7_ifPKiS9_S9_iPKfiiiPfSC_PS2_PT2_iSB_SB_
; %bb.0:
	s_load_dwordx2 s[10:11], s[0:1], 0x30
	s_mov_b32 s6, s3
	s_mov_b64 s[8:9], 0
	s_waitcnt lgkmcnt(0)
	s_cmp_lg_u64 s[10:11], 0
	s_cselect_b64 s[12:13], -1, 0
	s_and_b64 vcc, exec, s[12:13]
	s_cbranch_vccz .LBB982_7
; %bb.1:
	s_add_i32 s14, s2, 1
	s_mov_b32 s15, 0
	s_lshl_b64 s[16:17], s[14:15], 2
	s_add_u32 s16, s10, s16
	s_mov_b32 s3, s15
	s_addc_u32 s17, s11, s17
	s_lshl_b64 s[14:15], s[2:3], 2
	s_add_u32 s14, s10, s14
	s_addc_u32 s15, s11, s15
	s_load_dword s5, s[16:17], 0x0
	s_load_dword s7, s[14:15], 0x0
	s_waitcnt lgkmcnt(0)
	s_sub_i32 s5, s5, s7
	s_cmp_eq_u32 s5, 1
	s_cselect_b64 s[14:15], -1, 0
	s_andn2_b64 vcc, exec, s[8:9]
	s_cbranch_vccnz .LBB982_3
.LBB982_2:
	s_mov_b32 s3, 0
	s_mov_b64 s[14:15], -1
.LBB982_3:
	s_andn2_b64 vcc, exec, s[14:15]
	s_cbranch_vccnz .LBB982_20
; %bb.4:
	s_load_dwordx2 s[8:9], s[0:1], 0x28
	s_lshl_b64 s[14:15], s[2:3], 2
	s_waitcnt lgkmcnt(0)
	s_add_u32 s8, s8, s14
	s_addc_u32 s9, s9, s15
	s_load_dword s7, s[8:9], 0x0
	s_lshl_b32 s18, s6, 8
	s_waitcnt lgkmcnt(0)
	s_cmp_ge_i32 s18, s7
	s_cbranch_scc1 .LBB982_20
; %bb.5:
	s_load_dwordx2 s[8:9], s[0:1], 0x20
	s_load_dword s5, s[0:1], 0x38
	s_add_i32 s16, s7, 15
	s_ashr_i32 s17, s16, 31
	v_and_b32_e32 v1, 0xcf, v0
	s_lshr_b32 s17, s17, 28
	v_add_u32_e32 v1, s18, v1
	s_add_i32 s16, s16, s17
	v_ashrrev_i32_e32 v2, 31, v1
	s_ashr_i32 s19, s16, 4
	v_lshrrev_b32_e32 v4, 28, v2
	s_add_i32 s19, s19, -1
	s_waitcnt lgkmcnt(0)
	s_mul_i32 s16, s2, s5
	s_mov_b32 s17, 0
	v_add_u32_e32 v2, v1, v4
	s_lshl_b64 s[16:17], s[16:17], 2
	v_ashrrev_i32_e32 v2, 4, v2
	v_mov_b32_e32 v5, s19
	v_cmp_gt_i32_e32 vcc, s7, v1
	s_add_u32 s8, s8, s16
	s_addc_u32 s9, s9, s17
	v_cndmask_b32_e32 v2, v5, v2, vcc
	v_ashrrev_i32_e32 v3, 31, v2
	v_lshl_add_u64 v[6:7], v[2:3], 2, s[8:9]
	v_or_b32_e32 v2, 16, v1
	v_add_u32_e32 v3, v2, v4
	v_ashrrev_i32_e32 v3, 4, v3
	v_cmp_gt_i32_e32 vcc, s7, v2
	s_load_dwordx2 s[16:17], s[0:1], 0x8
	s_nop 0
	v_cndmask_b32_e32 v2, v5, v3, vcc
	v_ashrrev_i32_e32 v3, 31, v2
	v_lshl_add_u64 v[8:9], v[2:3], 2, s[8:9]
	v_or_b32_e32 v2, 32, v1
	v_add_u32_e32 v3, v2, v4
	v_ashrrev_i32_e32 v3, 4, v3
	v_cmp_gt_i32_e32 vcc, s7, v2
	v_or_b32_e32 v1, 48, v1
	s_nop 0
	v_cndmask_b32_e32 v2, v5, v3, vcc
	v_ashrrev_i32_e32 v3, 31, v2
	v_lshl_add_u64 v[12:13], v[2:3], 2, s[8:9]
	v_add_u32_e32 v2, v1, v4
	v_ashrrev_i32_e32 v2, 4, v2
	v_cmp_gt_i32_e32 vcc, s7, v1
	s_nop 1
	v_cndmask_b32_e32 v2, v5, v2, vcc
	v_ashrrev_i32_e32 v3, 31, v2
	v_lshl_add_u64 v[14:15], v[2:3], 2, s[8:9]
	global_load_dword v4, v[6:7], off
	global_load_dword v3, v[8:9], off
	;; [unrolled: 1-line block ×4, first 2 shown]
	s_andn2_b64 vcc, exec, s[12:13]
	s_cbranch_vccnz .LBB982_8
; %bb.6:
	s_add_u32 s10, s10, s14
	s_addc_u32 s11, s11, s15
	s_load_dword s5, s[10:11], 0x0
	s_branch .LBB982_9
.LBB982_7:
	s_mov_b64 s[14:15], 0
	s_branch .LBB982_2
.LBB982_8:
	s_mov_b32 s5, s2
.LBB982_9:
	s_load_dwordx2 s[10:11], s[0:1], 0x10
	s_load_dwordx4 s[44:47], s[0:1], 0x48
	v_lshrrev_b32_e32 v57, 6, v0
	v_bfe_u32 v60, v0, 4, 2
	v_and_b32_e32 v56, 15, v0
	v_lshl_or_b32 v5, v57, 2, v60
	v_lshlrev_b32_e32 v1, 3, v56
	s_mul_i32 s48, s4, 15
	v_cmp_gt_u32_e32 vcc, 15, v5
	v_lshlrev_b32_e32 v54, 1, v1
	v_lshlrev_b32_e32 v1, 4, v0
	s_and_saveexec_b64 s[12:13], vcc
	s_cbranch_execz .LBB982_11
; %bb.10:
	s_load_dwordx2 s[14:15], s[0:1], 0x0
	s_waitcnt lgkmcnt(0)
	s_ashr_i32 s20, s44, 31
	s_mul_hi_u32 s21, s5, s44
	s_mul_i32 s20, s5, s20
	s_add_i32 s21, s21, s20
	s_mul_i32 s20, s5, s44
	s_lshl_b64 s[20:21], s[20:21], 1
	s_add_u32 s14, s14, s20
	v_add_lshl_u32 v6, v5, s48, 7
	s_addc_u32 s15, s15, s21
	v_ashrrev_i32_e32 v7, 31, v6
	v_lshl_add_u64 v[6:7], v[6:7], 1, s[14:15]
	v_mov_b32_e32 v55, 0
	v_lshl_add_u64 v[6:7], v[6:7], 0, v[54:55]
	global_load_dwordx4 v[6:9], v[6:7], off
	v_lshlrev_b32_e32 v12, 8, v0
	v_lshlrev_b32_e32 v11, 8, v56
	v_and_b32_e32 v12, 0x600, v12
	s_movk_i32 s5, 0x800
	v_and_or_b32 v11, v11, s5, v12
	v_lshlrev_b32_e32 v5, 5, v5
	v_and_b32_e32 v12, 16, v1
	v_or3_b32 v5, v11, v5, v12
	s_waitcnt vmcnt(0)
	ds_write_b128 v5, v[6:9]
.LBB982_11:
	s_or_b64 exec, exec, s[12:13]
	s_waitcnt lgkmcnt(0)
	s_mul_i32 s12, s4, s46
	s_add_u32 s4, s16, s12
	v_mov_b32_e32 v59, 0
	s_addc_u32 s5, s17, 0
	v_and_b32_e32 v58, 0xf0, v1
	v_and_b32_e32 v34, 48, v0
	v_lshl_add_u64 v[12:13], s[4:5], 0, v[58:59]
	v_lshlrev_b32_e32 v58, 4, v34
	s_waitcnt vmcnt(3)
	v_mad_i64_i32 v[4:5], s[4:5], v4, s45, v[12:13]
	v_lshl_add_u64 v[4:5], v[4:5], 0, v[58:59]
	s_barrier
	global_load_dwordx4 v[50:53], v[4:5], off
	global_load_dwordx4 v[46:49], v[4:5], off offset:1024
	s_waitcnt vmcnt(4)
	v_mad_i64_i32 v[4:5], s[4:5], v3, s45, v[12:13]
	s_waitcnt vmcnt(3)
	v_mad_i64_i32 v[2:3], s[4:5], v2, s45, v[12:13]
	s_waitcnt vmcnt(2)
	v_mad_i64_i32 v[10:11], s[4:5], v10, s45, v[12:13]
	v_lshl_add_u64 v[4:5], v[4:5], 0, v[58:59]
	v_lshl_add_u64 v[14:15], v[2:3], 0, v[58:59]
	;; [unrolled: 1-line block ×3, first 2 shown]
	global_load_dwordx4 v[36:39], v[4:5], off
	global_load_dwordx4 v[6:9], v[4:5], off offset:1024
	s_nop 0
	global_load_dwordx4 v[2:5], v[14:15], off
	global_load_dwordx4 v[42:45], v[14:15], off offset:1024
	global_load_dwordx4 v[26:29], v[10:11], off
	s_nop 0
	global_load_dwordx4 v[14:17], v[10:11], off offset:1024
	v_cmp_ne_u32_e32 vcc, 15, v56
	v_and_b32_e32 v55, 63, v0
	v_mov_b32_e32 v61, 0
	v_cndmask_b32_e32 v10, 0, v56, vcc
	v_lshlrev_b32_e32 v10, 5, v10
	v_lshl_or_b32 v10, v60, 9, v10
	ds_read_b128 v[30:33], v10
	ds_read_b128 v[22:25], v10 offset:16
	ds_read_b128 v[18:21], v10 offset:2048
	;; [unrolled: 1-line block ×3, first 2 shown]
	s_and_saveexec_b64 s[4:5], vcc
	s_cbranch_execz .LBB982_13
; %bb.12:
	s_load_dwordx2 s[14:15], s[0:1], 0x40
	v_add_u32_e32 v40, s48, v56
	v_ashrrev_i32_e32 v41, 31, v40
	s_waitcnt lgkmcnt(0)
	v_lshl_add_u64 v[40:41], v[40:41], 2, s[14:15]
	global_load_dword v61, v[40:41], off
.LBB982_13:
	s_or_b64 exec, exec, s[4:5]
	v_or_b32_e32 v58, s18, v34
	v_ashrrev_i32_e32 v34, 4, v58
	v_mov_b32_e32 v63, s19
	v_cmp_gt_i32_e32 vcc, s7, v58
	s_waitcnt vmcnt(7)
	v_cvt_pk_f32_fp8_e32 v[40:41], v50
	v_cvt_pk_f32_fp8_sdwa v[64:65], v50 src0_sel:WORD_1
	v_cndmask_b32_e32 v34, v63, v34, vcc
	v_ashrrev_i32_e32 v35, 31, v34
	v_lshl_add_u64 v[34:35], v[34:35], 2, s[8:9]
	global_load_dword v62, v[34:35], off
	v_or_b32_e32 v34, 64, v58
	v_ashrrev_i32_e32 v35, 4, v34
	v_cmp_gt_i32_e32 vcc, s7, v34
	v_or_b32_e32 v66, 0x80, v58
	v_ashrrev_i32_e32 v67, 4, v66
	v_cndmask_b32_e32 v34, v63, v35, vcc
	v_cmp_gt_i32_e32 vcc, s7, v66
	v_cvt_pkrtz_f16_f32 v40, v40, v41
	v_cvt_pkrtz_f16_f32 v41, v64, v65
	v_cndmask_b32_e32 v50, v63, v67, vcc
	v_cvt_pk_f32_fp8_e32 v[64:65], v51
	v_cvt_pk_f32_fp8_sdwa v[66:67], v51 src0_sel:WORD_1
	v_ashrrev_i32_e32 v51, 31, v50
	v_lshl_add_u64 v[68:69], v[50:51], 2, s[8:9]
	v_cvt_pkrtz_f16_f32 v50, v64, v65
	v_cvt_pkrtz_f16_f32 v51, v66, v67
	s_waitcnt lgkmcnt(3)
	v_mfma_f32_16x16x16_f16 v[64:67], v[40:41], v[30:31], 0
	v_cvt_pk_f32_fp8_e32 v[40:41], v52
	v_cvt_pk_f32_fp8_sdwa v[70:71], v52 src0_sel:WORD_1
	s_waitcnt vmcnt(7)
	v_cvt_pk_f32_fp8_e32 v[72:73], v46
	v_mfma_f32_16x16x16_f16 v[64:67], v[50:51], v[32:33], v[64:67]
	v_cvt_pk_f32_fp8_e32 v[50:51], v53
	v_cvt_pkrtz_f16_f32 v40, v40, v41
	v_cvt_pkrtz_f16_f32 v41, v70, v71
	v_cvt_pk_f32_fp8_sdwa v[52:53], v53 src0_sel:WORD_1
	v_cvt_pkrtz_f16_f32 v70, v50, v51
	v_cvt_pk_f32_fp8_sdwa v[74:75], v46 src0_sel:WORD_1
	v_ashrrev_i32_e32 v35, 31, v34
	v_cvt_pkrtz_f16_f32 v71, v52, v53
	s_waitcnt lgkmcnt(2)
	v_mfma_f32_16x16x16_f16 v[50:53], v[40:41], v[22:23], v[64:67]
	v_cvt_pkrtz_f16_f32 v40, v72, v73
	v_cvt_pkrtz_f16_f32 v41, v74, v75
	v_or_b32_e32 v58, 0xc0, v58
	v_cvt_pk_f32_fp8_e32 v[64:65], v47
	v_cvt_pk_f32_fp8_sdwa v[46:47], v47 src0_sel:WORD_1
	v_mfma_f32_16x16x16_f16 v[50:53], v[70:71], v[24:25], v[50:53]
	v_lshl_add_u64 v[34:35], v[34:35], 2, s[8:9]
	v_cvt_pkrtz_f16_f32 v64, v64, v65
	v_cvt_pkrtz_f16_f32 v65, v46, v47
	s_waitcnt lgkmcnt(1)
	v_mfma_f32_16x16x16_f16 v[50:53], v[40:41], v[18:19], v[50:53]
	v_ashrrev_i32_e32 v66, 4, v58
	v_cmp_gt_i32_e32 vcc, s7, v58
	v_cvt_pk_f32_fp8_e32 v[46:47], v48
	s_waitcnt vmcnt(6)
	v_cvt_pk_f32_fp8_sdwa v[70:71], v36 src0_sel:WORD_1
	v_cndmask_b32_e32 v40, v63, v66, vcc
	v_mfma_f32_16x16x16_f16 v[64:67], v[64:65], v[20:21], v[50:53]
	v_ashrrev_i32_e32 v41, 31, v40
	v_lshl_add_u64 v[40:41], v[40:41], 2, s[8:9]
	v_cvt_pkrtz_f16_f32 v46, v46, v47
	global_load_dword v53, v[34:35], off
	global_load_dword v63, v[40:41], off
	v_cvt_pk_f32_fp8_sdwa v[50:51], v48 src0_sel:WORD_1
	v_cvt_pk_f32_fp8_e32 v[34:35], v49
	v_cvt_pk_f32_fp8_sdwa v[48:49], v49 src0_sel:WORD_1
	s_add_u32 s46, s10, s12
	v_cvt_pkrtz_f16_f32 v47, v50, v51
	v_cvt_pkrtz_f16_f32 v34, v34, v35
	;; [unrolled: 1-line block ×3, first 2 shown]
	s_waitcnt lgkmcnt(0)
	v_mfma_f32_16x16x16_f16 v[46:49], v[46:47], v[10:11], v[64:67]
	v_cvt_pk_f32_fp8_e32 v[50:51], v36
	s_nop 1
	global_load_dword v64, v[68:69], off
	v_cvt_pk_f32_fp8_e32 v[66:67], v37
	s_waitcnt vmcnt(8)
	v_cvt_pk_f32_fp8_e32 v[68:69], v6
	v_cvt_pkrtz_f16_f32 v50, v50, v51
	v_cvt_pkrtz_f16_f32 v51, v70, v71
	v_cvt_pk_f32_fp8_sdwa v[70:71], v37 src0_sel:WORD_1
	v_cvt_pkrtz_f16_f32 v40, v66, v67
	v_mfma_f32_16x16x16_f16 v[34:37], v[34:35], v[12:13], v[46:49]
	v_cvt_pk_f32_fp8_sdwa v[66:67], v38 src0_sel:WORD_1
	v_cvt_pkrtz_f16_f32 v41, v70, v71
	v_cvt_pk_f32_fp8_sdwa v[70:71], v6 src0_sel:WORD_1
	v_mfma_f32_16x16x16_f16 v[46:49], v[50:51], v[30:31], 0
	v_cvt_pk_f32_fp8_e32 v[50:51], v38
	v_lshl_or_b32 v52, v57, 4, v56
	s_waitcnt vmcnt(6)
	v_cvt_pk_f32_fp8_e32 v[72:73], v43
	v_mfma_f32_16x16x16_f16 v[46:49], v[40:41], v[32:33], v[46:49]
	v_cvt_pk_f32_fp8_e32 v[40:41], v39
	v_cvt_pkrtz_f16_f32 v50, v50, v51
	v_cvt_pkrtz_f16_f32 v51, v66, v67
	v_cvt_pk_f32_fp8_sdwa v[38:39], v39 src0_sel:WORD_1
	v_cvt_pkrtz_f16_f32 v66, v40, v41
	s_addc_u32 s47, s11, 0
	v_lshlrev_b32_e32 v58, 4, v52
	v_cvt_pkrtz_f16_f32 v67, v38, v39
	v_mfma_f32_16x16x16_f16 v[38:41], v[50:51], v[22:23], v[46:49]
	v_cvt_pk_f32_fp8_sdwa v[50:51], v2 src0_sel:WORD_1
	s_nop 1
	v_cvt_pkrtz_f16_f32 v46, v68, v69
	v_cvt_pkrtz_f16_f32 v47, v70, v71
	v_cvt_pk_f32_fp8_e32 v[48:49], v7
	v_cvt_pk_f32_fp8_sdwa v[6:7], v7 src0_sel:WORD_1
	v_mfma_f32_16x16x16_f16 v[38:41], v[66:67], v[24:25], v[38:41]
	v_lshl_add_u64 v[70:71], s[46:47], 0, v[58:59]
	v_cvt_pkrtz_f16_f32 v48, v48, v49
	v_cvt_pkrtz_f16_f32 v49, v6, v7
	v_mfma_f32_16x16x16_f16 v[38:41], v[46:47], v[18:19], v[38:41]
	v_cvt_pk_f32_fp8_e32 v[6:7], v8
	v_cvt_pk_f32_fp8_sdwa v[46:47], v8 src0_sel:WORD_1
	v_or_b32_e32 v58, 0x400, v58
	v_mfma_f32_16x16x16_f16 v[38:41], v[48:49], v[20:21], v[38:41]
	v_cvt_pk_f32_fp8_e32 v[48:49], v9
	v_cvt_pkrtz_f16_f32 v6, v6, v7
	v_cvt_pkrtz_f16_f32 v7, v46, v47
	v_cvt_pk_f32_fp8_sdwa v[8:9], v9 src0_sel:WORD_1
	v_cvt_pkrtz_f16_f32 v46, v48, v49
	v_cvt_pk_f32_fp8_e32 v[48:49], v2
	v_cvt_pkrtz_f16_f32 v47, v8, v9
	v_mfma_f32_16x16x16_f16 v[6:9], v[6:7], v[10:11], v[38:41]
	v_cvt_pkrtz_f16_f32 v48, v48, v49
	v_cvt_pkrtz_f16_f32 v49, v50, v51
	v_cvt_pk_f32_fp8_e32 v[50:51], v3
	v_cvt_pk_f32_fp8_sdwa v[2:3], v3 src0_sel:WORD_1
	v_mfma_f32_16x16x16_f16 v[38:41], v[46:47], v[12:13], v[6:9]
	v_cvt_pkrtz_f16_f32 v46, v50, v51
	v_cvt_pkrtz_f16_f32 v47, v2, v3
	v_mfma_f32_16x16x16_f16 v[6:9], v[48:49], v[30:31], 0
	v_cvt_pk_f32_fp8_e32 v[2:3], v4
	v_cvt_pk_f32_fp8_sdwa v[48:49], v4 src0_sel:WORD_1
	s_waitcnt vmcnt(3)
	v_mad_i64_i32 v[50:51], s[4:5], v62, s45, v[70:71]
	v_cvt_pkrtz_f16_f32 v2, v2, v3
	v_cvt_pkrtz_f16_f32 v3, v48, v49
	v_mfma_f32_16x16x16_f16 v[6:9], v[46:47], v[32:33], v[6:9]
	v_cvt_pk_f32_fp8_e32 v[46:47], v5
	v_cvt_pk_f32_fp8_sdwa v[4:5], v5 src0_sel:WORD_1
	s_waitcnt vmcnt(2)
	v_mad_i64_i32 v[66:67], s[4:5], v53, s45, v[70:71]
	v_cvt_pkrtz_f16_f32 v46, v46, v47
	v_cvt_pkrtz_f16_f32 v47, v4, v5
	v_mfma_f32_16x16x16_f16 v[2:5], v[2:3], v[22:23], v[6:9]
	s_nop 2
	v_cvt_pk_f32_fp8_e32 v[6:7], v42
	v_cvt_pk_f32_fp8_sdwa v[8:9], v42 src0_sel:WORD_1
	v_cvt_pk_f32_fp8_sdwa v[42:43], v43 src0_sel:WORD_1
	v_mfma_f32_16x16x16_f16 v[46:49], v[46:47], v[24:25], v[2:5]
	v_cvt_pkrtz_f16_f32 v68, v6, v7
	v_cvt_pkrtz_f16_f32 v69, v8, v9
	global_load_dwordx4 v[6:9], v[50:51], off
	global_load_dwordx4 v[2:5], v[66:67], off
	v_cvt_pkrtz_f16_f32 v66, v72, v73
	v_cvt_pkrtz_f16_f32 v67, v42, v43
	v_mfma_f32_16x16x16_f16 v[48:51], v[68:69], v[18:19], v[46:49]
	v_cvt_pk_f32_fp8_e32 v[42:43], v44
	v_cvt_pk_f32_fp8_sdwa v[72:73], v44 src0_sel:WORD_1
	s_waitcnt vmcnt(2)
	v_mad_i64_i32 v[46:47], s[4:5], v64, s45, v[70:71]
	v_mfma_f32_16x16x16_f16 v[66:69], v[66:67], v[20:21], v[48:51]
	v_cvt_pkrtz_f16_f32 v42, v42, v43
	v_cvt_pkrtz_f16_f32 v43, v72, v73
	v_cvt_pk_f32_fp8_sdwa v[72:73], v26 src0_sel:WORD_1
	v_cvt_pk_f32_fp8_e32 v[50:51], v45
	v_cvt_pk_f32_fp8_sdwa v[44:45], v45 src0_sel:WORD_1
	v_mad_i64_i32 v[48:49], s[4:5], v63, s45, v[70:71]
	v_cvt_pkrtz_f16_f32 v50, v50, v51
	v_cvt_pkrtz_f16_f32 v51, v44, v45
	v_mfma_f32_16x16x16_f16 v[42:45], v[42:43], v[10:11], v[66:69]
	v_cvt_pk_f32_fp8_e32 v[70:71], v26
	s_load_dword s4, s[0:1], 0x1c
	s_load_dwordx4 s[40:43], s[0:1], 0x80
	s_load_dword s33, s[0:1], 0x98
	s_waitcnt lgkmcnt(0)
	s_load_dword s5, s[40:41], 0x0
	v_mfma_f32_16x16x16_f16 v[66:69], v[50:51], v[12:13], v[42:45]
	s_mov_b32 s40, 0xff7fffff
	s_nop 1
	v_cvt_pk_f32_fp8_e32 v[42:43], v27
	v_cvt_pkrtz_f16_f32 v44, v70, v71
	v_cvt_pkrtz_f16_f32 v45, v72, v73
	v_cvt_pk_f32_fp8_sdwa v[26:27], v27 src0_sel:WORD_1
	v_cvt_pkrtz_f16_f32 v50, v42, v43
	v_cvt_pk_f32_fp8_e32 v[70:71], v28
	v_cvt_pk_f32_fp8_sdwa v[72:73], v28 src0_sel:WORD_1
	v_cvt_pkrtz_f16_f32 v51, v26, v27
	v_mfma_f32_16x16x16_f16 v[42:45], v[44:45], v[30:31], 0
	v_cvt_pkrtz_f16_f32 v30, v70, v71
	v_cvt_pkrtz_f16_f32 v31, v72, v73
	v_cvt_pk_f32_fp8_e32 v[70:71], v29
	v_cvt_pk_f32_fp8_sdwa v[72:73], v29 src0_sel:WORD_1
	v_mfma_f32_16x16x16_f16 v[26:29], v[50:51], v[32:33], v[42:45]
	v_mov_b32_e32 v32, s4
	s_waitcnt lgkmcnt(0)
	v_mul_f32_e32 v50, s5, v32
	v_pk_mul_f32 v[32:33], v[50:51], v[34:35] op_sel_hi:[0,1]
	v_cvt_pkrtz_f16_f32 v42, v70, v71
	v_cvt_pkrtz_f16_f32 v43, v72, v73
	v_mfma_f32_16x16x16_f16 v[26:29], v[30:31], v[22:23], v[26:29]
	v_pk_mul_f32 v[30:31], v[50:51], v[36:37] op_sel_hi:[0,1]
	v_cvt_pk_f32_fp8_e32 v[22:23], v14
	v_cvt_pk_f32_fp8_sdwa v[70:71], v16 src0_sel:WORD_1
	v_mfma_f32_16x16x16_f16 v[34:37], v[42:43], v[24:25], v[26:29]
	v_cvt_pk_f32_fp8_sdwa v[24:25], v14 src0_sel:WORD_1
	v_cvt_pkrtz_f16_f32 v42, v22, v23
	v_pk_mul_f32 v[40:41], v[50:51], v[40:41] op_sel_hi:[0,1]
	v_cvt_pk_f32_fp8_e32 v[26:27], v15
	v_cvt_pk_f32_fp8_sdwa v[14:15], v15 src0_sel:WORD_1
	v_cvt_pkrtz_f16_f32 v43, v24, v25
	v_cvt_pkrtz_f16_f32 v44, v26, v27
	;; [unrolled: 1-line block ×3, first 2 shown]
	v_cvt_pk_f32_fp8_e32 v[14:15], v16
	v_mfma_f32_16x16x16_f16 v[34:37], v[42:43], v[18:19], v[34:37]
	global_load_dwordx4 v[26:29], v[46:47], off
	global_load_dwordx4 v[22:25], v[48:49], off
	v_cvt_pkrtz_f16_f32 v19, v70, v71
	v_cvt_pkrtz_f16_f32 v18, v14, v15
	v_cvt_pk_f32_fp8_e32 v[42:43], v17
	v_cvt_pk_f32_fp8_sdwa v[46:47], v17 src0_sel:WORD_1
	v_mfma_f32_16x16x16_f16 v[14:17], v[44:45], v[20:21], v[34:37]
	v_pk_mul_f32 v[44:45], v[50:51], v[38:39] op_sel_hi:[0,1]
	v_cvt_pkrtz_f16_f32 v20, v42, v43
	v_cvt_pkrtz_f16_f32 v21, v46, v47
	v_mfma_f32_16x16x16_f16 v[14:17], v[18:19], v[10:11], v[14:17]
	v_pk_mul_f32 v[38:39], v[50:51], v[68:69] op_sel_hi:[0,1]
	v_pk_mul_f32 v[42:43], v[50:51], v[66:67] op_sel_hi:[0,1]
	v_mfma_f32_16x16x16_f16 v[10:13], v[20:21], v[12:13], v[14:17]
	s_nop 6
	v_pk_mul_f32 v[36:37], v[50:51], v[10:11] op_sel_hi:[0,1]
	v_and_b32_e32 v10, 0xc0, v0
	v_add_u32_e32 v10, s18, v10
	v_lshl_or_b32 v10, v60, 2, v10
	v_or_b32_e32 v11, 1, v10
	v_pk_mul_f32 v[34:35], v[50:51], v[12:13] op_sel_hi:[0,1]
	v_subrev_u32_e32 v12, s7, v11
	v_add_u32_e32 v14, 1, v12
	v_add_u32_e32 v15, 2, v12
	v_cvt_f32_i32_e32 v13, v12
	v_cvt_f32_i32_e32 v14, v14
	;; [unrolled: 1-line block ×3, first 2 shown]
	v_add_u32_e32 v16, 3, v12
	v_fma_f32 v18, v61, v13, v32
	v_fmac_f32_e32 v33, v61, v14
	v_fma_f32 v48, v61, v15, v30
	v_add_u32_e32 v13, 16, v12
	v_add_u32_e32 v14, 17, v12
	;; [unrolled: 1-line block ×3, first 2 shown]
	v_cvt_f32_i32_e32 v16, v16
	v_cvt_f32_i32_e32 v13, v13
	;; [unrolled: 1-line block ×4, first 2 shown]
	v_fmac_f32_e32 v31, v61, v16
	v_add_u32_e32 v16, 19, v12
	v_fma_f32 v44, v61, v13, v44
	v_fmac_f32_e32 v45, v61, v14
	v_fma_f32 v40, v61, v15, v40
	v_add_u32_e32 v13, 32, v12
	v_add_u32_e32 v14, 33, v12
	;; [unrolled: 1-line block ×3, first 2 shown]
	v_cvt_f32_i32_e32 v16, v16
	v_cvt_f32_i32_e32 v13, v13
	;; [unrolled: 1-line block ×4, first 2 shown]
	v_fmac_f32_e32 v41, v61, v16
	v_add_u32_e32 v16, 35, v12
	v_fma_f32 v42, v61, v13, v42
	v_fmac_f32_e32 v43, v61, v14
	v_fma_f32 v38, v61, v15, v38
	v_add_u32_e32 v13, 48, v12
	v_add_u32_e32 v14, 49, v12
	;; [unrolled: 1-line block ×4, first 2 shown]
	v_cvt_f32_i32_e32 v12, v12
	v_cvt_f32_i32_e32 v13, v13
	;; [unrolled: 1-line block ×3, first 2 shown]
	v_cmp_gt_i32_e64 s[8:9], s7, v10
	v_fmac_f32_e32 v35, v61, v12
	v_mov_b32_e32 v12, 0xff7fffff
	v_cmp_gt_i32_e64 s[10:11], s7, v11
	v_fma_f32 v36, v61, v13, v36
	v_cndmask_b32_e64 v13, v12, v18, s[8:9]
	v_cndmask_b32_e64 v11, v12, v33, s[10:11]
	v_fmac_f32_e32 v37, v61, v14
	v_max3_f32 v11, v13, s40, v11
	v_or_b32_e32 v13, 2, v10
	v_or_b32_e32 v14, 3, v10
	v_cmp_gt_i32_e64 s[12:13], s7, v13
	v_cmp_gt_i32_e64 s[14:15], s7, v14
	v_cvt_f32_i32_e32 v16, v16
	v_cndmask_b32_e64 v13, v12, v48, s[12:13]
	v_cndmask_b32_e64 v14, v12, v31, s[14:15]
	v_max3_f32 v11, v11, v13, v14
	v_or_b32_e32 v13, 16, v10
	v_or_b32_e32 v14, 17, v10
	v_cmp_gt_i32_e64 s[16:17], s7, v13
	v_cmp_gt_i32_e64 s[18:19], s7, v14
	v_fmac_f32_e32 v39, v61, v16
	v_cndmask_b32_e64 v13, v12, v44, s[16:17]
	v_cndmask_b32_e64 v14, v12, v45, s[18:19]
	v_max3_f32 v11, v11, v13, v14
	v_or_b32_e32 v13, 18, v10
	v_or_b32_e32 v14, 19, v10
	v_cmp_gt_i32_e64 s[20:21], s7, v13
	v_cmp_gt_i32_e64 s[22:23], s7, v14
	v_cvt_f32_i32_e32 v15, v15
	v_cndmask_b32_e64 v13, v12, v40, s[20:21]
	v_cndmask_b32_e64 v14, v12, v41, s[22:23]
	v_max3_f32 v11, v11, v13, v14
	v_or_b32_e32 v13, 32, v10
	v_or_b32_e32 v14, 33, v10
	v_cmp_gt_i32_e64 s[24:25], s7, v13
	v_cmp_gt_i32_e64 s[26:27], s7, v14
	v_fma_f32 v34, v61, v15, v34
	v_cndmask_b32_e64 v13, v12, v42, s[24:25]
	v_cndmask_b32_e64 v14, v12, v43, s[26:27]
	v_max3_f32 v11, v11, v13, v14
	v_or_b32_e32 v13, 34, v10
	v_or_b32_e32 v14, 35, v10
	v_cmp_gt_i32_e64 s[28:29], s7, v13
	v_cmp_gt_i32_e64 s[30:31], s7, v14
	s_nop 0
	v_cndmask_b32_e64 v13, v12, v38, s[28:29]
	v_cndmask_b32_e64 v14, v12, v39, s[30:31]
	v_max3_f32 v11, v11, v13, v14
	v_or_b32_e32 v13, 48, v10
	v_or_b32_e32 v14, 49, v10
	v_cmp_gt_i32_e64 s[34:35], s7, v13
	v_cmp_gt_i32_e64 s[36:37], s7, v14
	s_nop 0
	v_cndmask_b32_e64 v13, v12, v36, s[34:35]
	v_cndmask_b32_e64 v14, v12, v37, s[36:37]
	v_max3_f32 v11, v11, v13, v14
	v_or_b32_e32 v13, 50, v10
	v_or_b32_e32 v10, 51, v10
	v_cmp_gt_i32_e32 vcc, s7, v13
	v_cmp_gt_i32_e64 s[4:5], s7, v10
	s_nop 0
	v_cndmask_b32_e32 v13, v12, v34, vcc
	v_cndmask_b32_e64 v10, v12, v35, s[4:5]
	v_max3_f32 v14, v11, v13, v10
	v_mbcnt_lo_u32_b32 v10, -1, 0
	v_mbcnt_hi_u32_b32 v15, -1, v10
	v_and_b32_e32 v10, 64, v15
	v_add_u32_e32 v16, 64, v10
	v_xor_b32_e32 v10, 32, v15
	v_cmp_lt_i32_e64 s[38:39], v10, v16
	s_nop 1
	v_cndmask_b32_e64 v10, v15, v10, s[38:39]
	v_lshlrev_b32_e32 v51, 2, v10
	ds_bpermute_b32 v17, v51, v14
	v_lshl_add_u64 v[10:11], s[46:47], 0, v[58:59]
	v_mad_i64_i32 v[12:13], s[38:39], v62, s45, v[10:11]
	s_waitcnt lgkmcnt(0)
	v_max_f32_e32 v17, v17, v17
	v_max_f32_e32 v19, v14, v17
	v_xor_b32_e32 v14, 16, v15
	v_cmp_lt_i32_e64 s[38:39], v14, v16
	s_nop 1
	v_cndmask_b32_e64 v14, v15, v14, s[38:39]
	v_lshlrev_b32_e32 v58, 2, v14
	ds_bpermute_b32 v20, v58, v19
	v_mad_i64_i32 v[14:15], s[38:39], v53, s45, v[10:11]
	v_mad_i64_i32 v[16:17], s[38:39], v64, s45, v[10:11]
	s_waitcnt lgkmcnt(0)
	v_max_f32_e32 v20, v20, v20
	v_max_f32_e32 v50, v19, v20
	v_sub_f32_e32 v18, v18, v50
	v_sub_f32_e32 v19, v33, v50
	v_mul_f32_e32 v18, 0x3fb8aa3b, v18
	v_mul_f32_e32 v19, 0x3fb8aa3b, v19
	v_exp_f32_e32 v18, v18
	v_exp_f32_e32 v19, v19
	v_sub_f32_e32 v49, v31, v50
	v_mad_i64_i32 v[10:11], s[38:39], v63, s45, v[10:11]
	v_cndmask_b32_e64 v46, 0, v18, s[8:9]
	v_cndmask_b32_e64 v47, 0, v19, s[10:11]
	global_load_dwordx4 v[30:33], v[12:13], off
	global_load_dwordx4 v[18:21], v[14:15], off
	v_sub_f32_e32 v12, v48, v50
	v_mul_f32_e32 v12, 0x3fb8aa3b, v12
	v_exp_f32_e32 v48, v12
	global_load_dwordx4 v[14:17], v[16:17], off
	s_nop 0
	global_load_dwordx4 v[10:13], v[10:11], off
	v_sub_f32_e32 v40, v40, v50
	v_sub_f32_e32 v42, v42, v50
	v_mul_f32_e32 v40, 0x3fb8aa3b, v40
	v_mul_f32_e32 v42, 0x3fb8aa3b, v42
	v_exp_f32_e32 v40, v40
	v_exp_f32_e32 v53, v42
	v_mul_f32_e32 v49, 0x3fb8aa3b, v49
	v_sub_f32_e32 v44, v44, v50
	v_exp_f32_e32 v49, v49
	v_mul_f32_e32 v44, 0x3fb8aa3b, v44
	v_sub_f32_e32 v45, v45, v50
	v_sub_f32_e32 v42, v43, v50
	v_exp_f32_e32 v44, v44
	v_mul_f32_e32 v45, 0x3fb8aa3b, v45
	v_mul_f32_e32 v42, 0x3fb8aa3b, v42
	v_exp_f32_e32 v45, v45
	v_sub_f32_e32 v41, v41, v50
	v_exp_f32_e32 v59, v42
	v_cndmask_b32_e64 v42, 0, v40, s[20:21]
	v_cndmask_b32_e64 v40, 0, v53, s[24:25]
	v_add_f32_e32 v53, 0, v46
	v_cndmask_b32_e64 v48, 0, v48, s[12:13]
	v_mul_f32_e32 v41, 0x3fb8aa3b, v41
	v_add_f32_e32 v53, v53, v47
	v_cndmask_b32_e64 v49, 0, v49, s[14:15]
	v_exp_f32_e32 v41, v41
	v_add_f32_e32 v53, v53, v48
	v_cndmask_b32_e64 v44, 0, v44, s[16:17]
	v_sub_f32_e32 v38, v38, v50
	v_add_f32_e32 v53, v53, v49
	v_cndmask_b32_e64 v45, 0, v45, s[18:19]
	v_sub_f32_e32 v39, v39, v50
	v_mul_f32_e32 v38, 0x3fb8aa3b, v38
	v_add_f32_e32 v53, v53, v44
	v_exp_f32_e32 v38, v38
	v_mul_f32_e32 v39, 0x3fb8aa3b, v39
	v_sub_f32_e32 v36, v36, v50
	v_add_f32_e32 v53, v53, v45
	v_cndmask_b32_e64 v43, 0, v41, s[22:23]
	v_exp_f32_e32 v39, v39
	v_mul_f32_e32 v36, 0x3fb8aa3b, v36
	v_sub_f32_e32 v37, v37, v50
	v_add_f32_e32 v53, v53, v42
	v_exp_f32_e32 v36, v36
	v_mul_f32_e32 v37, 0x3fb8aa3b, v37
	v_add_f32_e32 v53, v53, v43
	v_sub_f32_e32 v34, v34, v50
	v_cndmask_b32_e64 v41, 0, v59, s[26:27]
	v_exp_f32_e32 v37, v37
	v_add_f32_e32 v53, v53, v40
	v_mul_f32_e32 v34, 0x3fb8aa3b, v34
	v_sub_f32_e32 v35, v35, v50
	v_cndmask_b32_e64 v38, 0, v38, s[28:29]
	v_add_f32_e32 v53, v53, v41
	v_exp_f32_e32 v34, v34
	v_mul_f32_e32 v35, 0x3fb8aa3b, v35
	v_cndmask_b32_e64 v39, 0, v39, s[30:31]
	v_add_f32_e32 v53, v53, v38
	v_exp_f32_e32 v35, v35
	v_cndmask_b32_e64 v36, 0, v36, s[34:35]
	v_add_f32_e32 v53, v53, v39
	v_cndmask_b32_e64 v37, 0, v37, s[36:37]
	v_add_f32_e32 v53, v53, v36
	v_add_f32_e32 v53, v53, v37
	v_cndmask_b32_e32 v34, 0, v34, vcc
	v_add_f32_e32 v53, v53, v34
	v_cndmask_b32_e64 v35, 0, v35, s[4:5]
	v_add_f32_e32 v53, v53, v35
	ds_bpermute_b32 v51, v51, v53
	v_cmp_gt_u32_e32 vcc, 16, v55
	s_waitcnt lgkmcnt(0)
	s_barrier
	v_add_f32_e32 v51, v53, v51
	ds_bpermute_b32 v53, v58, v51
	s_and_saveexec_b64 s[4:5], vcc
	s_cbranch_execz .LBB982_15
; %bb.14:
	s_waitcnt lgkmcnt(0)
	v_add_f32_e32 v51, v51, v53
	v_lshlrev_b32_e32 v52, 2, v52
	ds_write2st64_b32 v52, v50, v51 offset1:1
.LBB982_15:
	s_or_b64 exec, exec, s[4:5]
	v_lshlrev_b32_e32 v51, 2, v56
	s_load_dword s7, s[0:1], 0x94
	s_waitcnt lgkmcnt(0)
	s_barrier
	ds_read2_b32 v[52:53], v51 offset1:16
	ds_read2_b32 v[58:59], v51 offset0:32 offset1:48
	ds_read2_b32 v[62:63], v51 offset0:64 offset1:80
	s_mul_i32 s8, s33, 15
	s_waitcnt lgkmcnt(2)
	v_max3_f32 v50, v52, s40, v53
	s_waitcnt lgkmcnt(1)
	v_max3_f32 v50, v50, v58, v59
	v_sub_f32_e32 v52, v52, v50
	v_mul_f32_e32 v52, 0x3fb8aa3b, v52
	v_exp_f32_e32 v55, v52
	v_sub_f32_e32 v52, v53, v50
	v_mul_f32_e32 v52, 0x3fb8aa3b, v52
	v_exp_f32_e32 v61, v52
	;; [unrolled: 3-line block ×3, first 2 shown]
	ds_read2_b32 v[52:53], v51 offset0:96 offset1:112
	v_sub_f32_e32 v51, v59, v50
	v_mul_f32_e32 v51, 0x3fb8aa3b, v51
	v_exp_f32_e32 v59, v51
	s_waitcnt lgkmcnt(1)
	v_fma_f32 v51, v55, v62, 0
	v_fmac_f32_e32 v51, v61, v63
	s_waitcnt lgkmcnt(0)
	v_fmac_f32_e32 v51, v58, v52
	v_fmac_f32_e32 v51, v59, v53
	v_add_f32_e32 v52, 0x358637bd, v51
	v_div_scale_f32 v53, s[4:5], v52, v52, 1.0
	v_rcp_f32_e32 v62, v53
	s_barrier
	v_fma_f32 v63, -v53, v62, 1.0
	v_fmac_f32_e32 v62, v63, v62
	v_div_scale_f32 v63, vcc, 1.0, v52, 1.0
	v_mul_f32_e32 v64, v63, v62
	v_fma_f32 v65, -v53, v64, v63
	v_fmac_f32_e32 v64, v65, v62
	v_fma_f32 v53, -v53, v64, v63
	v_div_fmas_f32 v53, v53, v62, v64
	v_cmp_eq_u32_e32 vcc, 1, v57
	v_div_fixup_f32 v52, v53, v52, 1.0
	s_nop 0
	v_cndmask_b32_e32 v53, v55, v61, vcc
	v_cmp_eq_u32_e32 vcc, 2, v57
	s_nop 1
	v_cndmask_b32_e32 v53, v53, v58, vcc
	v_cmp_eq_u32_e32 vcc, 3, v57
	s_nop 1
	v_cndmask_b32_e32 v53, v53, v59, vcc
	v_mul_f32_e32 v52, v53, v52
	v_pk_mul_f32 v[48:49], v[52:53], v[48:49] op_sel_hi:[0,1]
	v_pk_mul_f32 v[46:47], v[52:53], v[46:47] op_sel_hi:[0,1]
	v_cvt_f16_f32_e32 v53, v48
	v_cvt_f16_f32_e32 v49, v49
	;; [unrolled: 1-line block ×4, first 2 shown]
	v_pk_mul_f32 v[42:43], v[52:53], v[42:43] op_sel_hi:[0,1]
	v_pk_mul_f32 v[44:45], v[52:53], v[44:45] op_sel_hi:[0,1]
	v_pack_b32_f16 v49, v53, v49
	v_cvt_f16_f32_e32 v44, v44
	v_cvt_f16_f32_e32 v45, v45
	v_cvt_f16_f32_e32 v53, v42
	v_cvt_f16_f32_e32 v43, v43
	v_pack_b32_f16 v48, v46, v47
	v_lshlrev_b32_e32 v47, 3, v60
	v_lshlrev_b32_e32 v46, 5, v56
	;; [unrolled: 1-line block ×3, first 2 shown]
	v_or3_b32 v55, v42, v46, v47
	v_pack_b32_f16 v42, v44, v45
	v_pack_b32_f16 v43, v53, v43
	v_pk_mul_f32 v[38:39], v[52:53], v[38:39] op_sel_hi:[0,1]
	v_pk_mul_f32 v[40:41], v[52:53], v[40:41] op_sel_hi:[0,1]
	;; [unrolled: 1-line block ×4, first 2 shown]
	ds_write2st64_b64 v55, v[48:49], v[42:43] offset1:1
	v_cvt_f16_f32_e32 v40, v40
	v_cvt_f16_f32_e32 v41, v41
	;; [unrolled: 1-line block ×8, first 2 shown]
	v_pack_b32_f16 v34, v40, v41
	v_pack_b32_f16 v35, v38, v39
	;; [unrolled: 1-line block ×4, first 2 shown]
	v_cmp_gt_u32_e32 vcc, 15, v0
	ds_write2st64_b64 v55, v[34:35], v[36:37] offset0:2 offset1:3
	s_and_saveexec_b64 s[4:5], vcc
	s_cbranch_execz .LBB982_17
; %bb.16:
	s_mov_b32 s49, 0
	v_mov_b32_e32 v57, 0
	v_lshl_add_u64 v[34:35], s[48:49], 0, v[56:57]
	v_mov_b32_e32 v36, s8
	v_mad_u64_u32 v[34:35], s[10:11], s2, v36, v[34:35]
	s_mul_i32 s3, s3, s8
	v_mov_b32_e32 v36, s6
	v_mov_b32_e32 v37, v57
	s_load_dwordx4 s[12:15], s[0:1], 0x58
	v_add_u32_e32 v38, s3, v35
	v_mad_u64_u32 v[34:35], s[10:11], v34, s7, v[36:37]
	v_mov_b32_e32 v36, v35
	v_mad_u64_u32 v[36:37], s[10:11], v38, s7, v[36:37]
	v_mov_b32_e32 v35, v36
	v_lshlrev_b64 v[34:35], 2, v[34:35]
	s_waitcnt lgkmcnt(0)
	v_lshl_add_u64 v[36:37], s[14:15], 0, v[34:35]
	v_lshl_add_u64 v[34:35], s[12:13], 0, v[34:35]
	global_store_dword v[36:37], v50, off
	global_store_dword v[34:35], v51, off
.LBB982_17:
	s_or_b64 exec, exec, s[4:5]
	s_waitcnt vmcnt(7)
	v_cvt_pk_f32_fp8_e32 v[34:35], v6
	v_cvt_pk_f32_fp8_sdwa v[36:37], v6 src0_sel:WORD_1
	v_lshl_or_b32 v50, v60, 9, v46
	s_waitcnt lgkmcnt(0)
	s_barrier
	v_cvt_pk_f32_fp8_e32 v[38:39], v7
	v_cvt_pkrtz_f16_f32 v6, v34, v35
	v_cvt_pk_f32_fp8_sdwa v[40:41], v7 src0_sel:WORD_1
	v_cvt_pkrtz_f16_f32 v7, v36, v37
	ds_read_b128 v[34:37], v50
	v_cvt_pkrtz_f16_f32 v46, v38, v39
	v_cvt_pkrtz_f16_f32 v47, v40, v41
	ds_read_b128 v[38:41], v50 offset:16
	v_cvt_pk_f32_fp8_e32 v[48:49], v8
	v_cvt_pk_f32_fp8_sdwa v[52:53], v8 src0_sel:WORD_1
	s_waitcnt lgkmcnt(1)
	v_mfma_f32_16x16x16_f16 v[42:45], v[6:7], v[34:35], 0
	s_waitcnt vmcnt(6)
	v_cvt_pk_f32_fp8_e32 v[58:59], v4
	v_cvt_pkrtz_f16_f32 v6, v48, v49
	v_cvt_pkrtz_f16_f32 v7, v52, v53
	v_cvt_pk_f32_fp8_e32 v[48:49], v9
	v_mfma_f32_16x16x16_f16 v[42:45], v[46:47], v[36:37], v[42:45]
	v_cvt_pk_f32_fp8_sdwa v[46:47], v9 src0_sel:WORD_1
	v_cvt_pk_f32_fp8_sdwa v[62:63], v4 src0_sel:WORD_1
	v_cvt_pkrtz_f16_f32 v48, v48, v49
	s_waitcnt lgkmcnt(0)
	v_mfma_f32_16x16x16_f16 v[6:9], v[6:7], v[38:39], v[42:45]
	v_cvt_pkrtz_f16_f32 v49, v46, v47
	s_waitcnt vmcnt(5)
	v_cvt_pk_f32_fp8_sdwa v[66:67], v28 src0_sel:WORD_1
	s_waitcnt vmcnt(4)
	v_cvt_pk_f32_fp8_sdwa v[68:69], v24 src0_sel:WORD_1
	v_cvt_pk_f32_fp8_e32 v[42:43], v2
	v_mfma_f32_16x16x16_f16 v[46:49], v[48:49], v[40:41], v[6:9]
	s_waitcnt vmcnt(3)
	v_cvt_pk_f32_fp8_sdwa v[70:71], v32 src0_sel:WORD_1
	s_load_dword s4, s[42:43], 0x0
	v_cvt_pk_f32_fp8_sdwa v[6:7], v2 src0_sel:WORD_1
	v_cvt_pk_f32_fp8_e32 v[8:9], v3
	v_cvt_pkrtz_f16_f32 v2, v42, v43
	v_cvt_pk_f32_fp8_sdwa v[42:43], v3 src0_sel:WORD_1
	v_cvt_pkrtz_f16_f32 v3, v6, v7
	v_cvt_pkrtz_f16_f32 v52, v8, v9
	ds_read_b128 v[6:9], v50 offset:2048
	v_cvt_pkrtz_f16_f32 v53, v42, v43
	ds_read_b128 v[42:45], v50 offset:2064
	s_waitcnt lgkmcnt(0)
	v_mfma_f32_16x16x16_f16 v[46:49], v[2:3], v[6:7], v[46:49]
	v_cvt_pkrtz_f16_f32 v2, v58, v59
	v_cvt_pkrtz_f16_f32 v3, v62, v63
	v_cvt_pk_f32_fp8_e32 v[58:59], v5
	v_mfma_f32_16x16x16_f16 v[46:49], v[52:53], v[8:9], v[46:49]
	v_cvt_pk_f32_fp8_sdwa v[52:53], v5 src0_sel:WORD_1
	s_mov_b32 s3, 0
	v_cvt_pkrtz_f16_f32 v58, v58, v59
	v_mfma_f32_16x16x16_f16 v[2:5], v[2:3], v[42:43], v[46:49]
	v_cvt_pkrtz_f16_f32 v59, v52, v53
	v_cmp_gt_u32_e32 vcc, 64, v0
	s_nop 0
	v_cvt_pk_f32_fp8_e32 v[46:47], v26
	v_mfma_f32_16x16x16_f16 v[62:65], v[58:59], v[44:45], v[2:5]
	v_cvt_pk_f32_fp8_e32 v[58:59], v28
	s_nop 1
	v_cvt_pk_f32_fp8_sdwa v[2:3], v26 src0_sel:WORD_1
	v_cvt_pk_f32_fp8_e32 v[4:5], v27
	v_cvt_pkrtz_f16_f32 v26, v46, v47
	v_cvt_pk_f32_fp8_sdwa v[46:47], v27 src0_sel:WORD_1
	v_cvt_pkrtz_f16_f32 v27, v2, v3
	v_cvt_pkrtz_f16_f32 v52, v4, v5
	ds_read_b128 v[2:5], v50 offset:4096
	v_cvt_pkrtz_f16_f32 v53, v46, v47
	ds_read_b128 v[46:49], v50 offset:4112
	s_waitcnt lgkmcnt(1)
	v_mfma_f32_16x16x16_f16 v[62:65], v[26:27], v[2:3], v[62:65]
	v_cvt_pkrtz_f16_f32 v26, v58, v59
	v_cvt_pkrtz_f16_f32 v27, v66, v67
	v_cvt_pk_f32_fp8_e32 v[58:59], v29
	v_mfma_f32_16x16x16_f16 v[62:65], v[52:53], v[4:5], v[62:65]
	v_cvt_pk_f32_fp8_sdwa v[52:53], v29 src0_sel:WORD_1
	v_cvt_pk_f32_fp8_e32 v[66:67], v24
	v_cvt_pkrtz_f16_f32 v58, v58, v59
	s_waitcnt lgkmcnt(0)
	v_mfma_f32_16x16x16_f16 v[26:29], v[26:27], v[46:47], v[62:65]
	v_cvt_pkrtz_f16_f32 v59, v52, v53
	v_cvt_pk_f32_fp8_e32 v[52:53], v22
	s_nop 0
	v_mfma_f32_16x16x16_f16 v[62:65], v[58:59], v[48:49], v[26:29]
	s_nop 2
	v_cvt_pk_f32_fp8_sdwa v[26:27], v22 src0_sel:WORD_1
	v_cvt_pk_f32_fp8_e32 v[28:29], v23
	v_cvt_pkrtz_f16_f32 v22, v52, v53
	v_cvt_pk_f32_fp8_sdwa v[52:53], v23 src0_sel:WORD_1
	v_cvt_pkrtz_f16_f32 v23, v26, v27
	v_cvt_pkrtz_f16_f32 v58, v28, v29
	ds_read_b128 v[26:29], v50 offset:6144
	v_cvt_pkrtz_f16_f32 v59, v52, v53
	s_waitcnt lgkmcnt(0)
	v_mfma_f32_16x16x16_f16 v[62:65], v[22:23], v[26:27], v[62:65]
	ds_read_b128 v[50:53], v50 offset:6160
	v_cvt_pkrtz_f16_f32 v22, v66, v67
	v_cvt_pkrtz_f16_f32 v23, v68, v69
	v_cvt_pk_f32_fp8_e32 v[66:67], v25
	v_mfma_f32_16x16x16_f16 v[62:65], v[58:59], v[28:29], v[62:65]
	v_cvt_pk_f32_fp8_sdwa v[58:59], v25 src0_sel:WORD_1
	v_cvt_pk_f32_fp8_e32 v[68:69], v32
	v_cvt_pkrtz_f16_f32 v66, v66, v67
	s_waitcnt lgkmcnt(0)
	v_mfma_f32_16x16x16_f16 v[22:25], v[22:23], v[50:51], v[62:65]
	v_cvt_pkrtz_f16_f32 v67, v58, v59
	v_cvt_pk_f32_fp8_e32 v[58:59], v30
	s_nop 0
	v_cvt_pk_f32_fp8_sdwa v[62:63], v30 src0_sel:WORD_1
	v_cvt_pk_f32_fp8_e32 v[64:65], v31
	v_cvt_pkrtz_f16_f32 v58, v58, v59
	v_cvt_pk_f32_fp8_sdwa v[30:31], v31 src0_sel:WORD_1
	v_cvt_pkrtz_f16_f32 v59, v62, v63
	v_mfma_f32_16x16x16_f16 v[22:25], v[66:67], v[52:53], v[22:25]
	v_cvt_pkrtz_f16_f32 v66, v64, v65
	v_cvt_pkrtz_f16_f32 v67, v30, v31
	;; [unrolled: 1-line block ×3, first 2 shown]
	v_mfma_f32_16x16x16_f16 v[62:65], v[58:59], v[34:35], 0
	v_cvt_pkrtz_f16_f32 v31, v70, v71
	v_cvt_pk_f32_fp8_e32 v[58:59], v33
	s_barrier
	v_mfma_f32_16x16x16_f16 v[34:37], v[66:67], v[36:37], v[62:65]
	v_cvt_pkrtz_f16_f32 v58, v58, v59
	s_nop 1
	v_cvt_pk_f32_fp8_sdwa v[62:63], v33 src0_sel:WORD_1
	v_mfma_f32_16x16x16_f16 v[30:33], v[30:31], v[38:39], v[34:37]
	s_waitcnt vmcnt(2)
	v_cvt_pk_f32_fp8_e32 v[38:39], v19
	v_cvt_pkrtz_f16_f32 v59, v62, v63
	v_cvt_pk_f32_fp8_e32 v[34:35], v18
	v_cvt_pk_f32_fp8_sdwa v[36:37], v18 src0_sel:WORD_1
	v_cvt_pk_f32_fp8_sdwa v[18:19], v19 src0_sel:WORD_1
	v_mfma_f32_16x16x16_f16 v[30:33], v[58:59], v[40:41], v[30:33]
	v_cvt_pkrtz_f16_f32 v34, v34, v35
	v_cvt_pkrtz_f16_f32 v35, v36, v37
	;; [unrolled: 1-line block ×3, first 2 shown]
	v_cvt_pk_f32_fp8_e32 v[38:39], v20
	v_cvt_pk_f32_fp8_sdwa v[40:41], v20 src0_sel:WORD_1
	v_cvt_pkrtz_f16_f32 v37, v18, v19
	v_mfma_f32_16x16x16_f16 v[30:33], v[34:35], v[6:7], v[30:33]
	v_cvt_pkrtz_f16_f32 v18, v38, v39
	v_cvt_pkrtz_f16_f32 v19, v40, v41
	v_cvt_pk_f32_fp8_e32 v[34:35], v21
	v_cvt_pk_f32_fp8_sdwa v[20:21], v21 src0_sel:WORD_1
	v_mfma_f32_16x16x16_f16 v[6:9], v[36:37], v[8:9], v[30:33]
	s_nop 2
	v_cvt_pkrtz_f16_f32 v30, v34, v35
	v_cvt_pkrtz_f16_f32 v31, v20, v21
	v_mfma_f32_16x16x16_f16 v[6:9], v[18:19], v[42:43], v[6:9]
	s_waitcnt vmcnt(1)
	v_cvt_pk_f32_fp8_e32 v[18:19], v14
	v_cvt_pk_f32_fp8_sdwa v[20:21], v14 src0_sel:WORD_1
	v_cvt_pk_f32_fp8_sdwa v[32:33], v16 src0_sel:WORD_1
	v_mfma_f32_16x16x16_f16 v[6:9], v[30:31], v[44:45], v[6:9]
	v_cvt_pk_f32_fp8_e32 v[30:31], v15
	v_cvt_pkrtz_f16_f32 v18, v18, v19
	v_cvt_pkrtz_f16_f32 v19, v20, v21
	v_cvt_pk_f32_fp8_sdwa v[14:15], v15 src0_sel:WORD_1
	v_cvt_pkrtz_f16_f32 v20, v30, v31
	v_cvt_pk_f32_fp8_e32 v[30:31], v16
	v_mfma_f32_16x16x16_f16 v[6:9], v[18:19], v[2:3], v[6:9]
	v_cvt_pkrtz_f16_f32 v21, v14, v15
	v_cvt_pkrtz_f16_f32 v14, v30, v31
	;; [unrolled: 1-line block ×3, first 2 shown]
	v_cvt_pk_f32_fp8_e32 v[18:19], v17
	v_cvt_pk_f32_fp8_sdwa v[16:17], v17 src0_sel:WORD_1
	v_mfma_f32_16x16x16_f16 v[2:5], v[20:21], v[4:5], v[6:9]
	s_waitcnt vmcnt(0)
	v_cvt_pk_f32_fp8_sdwa v[20:21], v12 src0_sel:WORD_1
	s_nop 0
	v_cvt_pkrtz_f16_f32 v8, v18, v19
	v_cvt_pkrtz_f16_f32 v9, v16, v17
	v_mfma_f32_16x16x16_f16 v[2:5], v[14:15], v[46:47], v[2:5]
	v_cvt_pk_f32_fp8_e32 v[16:17], v10
	v_cvt_pk_f32_fp8_sdwa v[18:19], v10 src0_sel:WORD_1
	v_pk_mul_f32 v[6:7], v[24:25], s[4:5] op_sel_hi:[1,0]
	v_mfma_f32_16x16x16_f16 v[2:5], v[8:9], v[48:49], v[2:5]
	v_cvt_pk_f32_fp8_e32 v[8:9], v11
	v_cvt_pkrtz_f16_f32 v16, v16, v17
	v_cvt_pkrtz_f16_f32 v17, v18, v19
	v_cvt_pk_f32_fp8_sdwa v[10:11], v11 src0_sel:WORD_1
	v_cvt_pkrtz_f16_f32 v8, v8, v9
	v_cvt_pk_f32_fp8_e32 v[18:19], v12
	v_mfma_f32_16x16x16_f16 v[2:5], v[16:17], v[26:27], v[2:5]
	v_cvt_pkrtz_f16_f32 v9, v10, v11
	v_cvt_pkrtz_f16_f32 v10, v18, v19
	;; [unrolled: 1-line block ×3, first 2 shown]
	v_cvt_pk_f32_fp8_e32 v[16:17], v13
	v_cvt_pk_f32_fp8_sdwa v[12:13], v13 src0_sel:WORD_1
	v_mfma_f32_16x16x16_f16 v[2:5], v[8:9], v[28:29], v[2:5]
	v_pk_mul_f32 v[14:15], v[22:23], s[4:5] op_sel_hi:[1,0]
	v_cvt_pkrtz_f16_f32 v8, v16, v17
	v_cvt_pkrtz_f16_f32 v9, v12, v13
	v_mfma_f32_16x16x16_f16 v[2:5], v[10:11], v[50:51], v[2:5]
	v_cvt_f16_f32_e32 v14, v14
	v_cvt_f16_f32_e32 v10, v15
	v_cvt_f16_f32_e32 v6, v6
	v_mfma_f32_16x16x16_f16 v[2:5], v[8:9], v[52:53], v[2:5]
	v_cvt_f16_f32_e32 v7, v7
	s_nop 5
	v_pk_mul_f32 v[4:5], v[4:5], s[4:5] op_sel_hi:[1,0]
	v_pk_mul_f32 v[2:3], v[2:3], s[4:5] op_sel_hi:[1,0]
	v_cvt_f16_f32_e32 v11, v4
	v_cvt_f16_f32_e32 v8, v2
	;; [unrolled: 1-line block ×4, first 2 shown]
	v_pack_b32_f16 v2, v14, v10
	v_pack_b32_f16 v3, v6, v7
	;; [unrolled: 1-line block ×4, first 2 shown]
	ds_write2st64_b64 v55, v[2:3], v[4:5] offset1:1
	s_waitcnt lgkmcnt(0)
	s_barrier
	s_and_saveexec_b64 s[4:5], vcc
	s_cbranch_execz .LBB982_20
; %bb.18:
	s_load_dwordx2 s[4:5], s[0:1], 0x68
	s_lshl_b32 s0, s7, 7
	s_mul_i32 s1, s8, s2
	v_lshlrev_b32_e32 v3, 6, v56
	s_mul_hi_u32 s9, s1, s0
	s_mul_i32 s8, s1, s0
	v_lshl_or_b32 v0, v0, 10, v3
	s_lshl_b64 s[8:9], s[8:9], 1
	v_lshlrev_b32_e32 v2, 5, v60
	v_and_b32_e32 v1, 16, v1
	v_and_b32_e32 v0, 0x1a00, v0
	s_waitcnt lgkmcnt(0)
	s_add_u32 s1, s4, s8
	v_or3_b32 v2, v0, v2, v1
	s_addc_u32 s4, s5, s9
	s_lshl_b32 s2, s6, 7
	ds_read_b128 v[4:7], v2 offset:256
	s_lshl_b64 s[2:3], s[2:3], 1
	ds_read_b128 v[8:11], v2 offset:128
	ds_read_b128 v[12:15], v2
	s_add_u32 s2, s1, s2
	s_addc_u32 s3, s4, s3
	v_mov_b32_e32 v55, 0
	v_add_u32_e32 v3, s48, v60
	v_lshl_add_u64 v[0:1], s[2:3], 0, v[54:55]
	v_mad_u64_u32 v[16:17], s[2:3], v3, s0, 0
	v_lshl_add_u64 v[16:17], v[16:17], 1, v[0:1]
	s_waitcnt lgkmcnt(0)
	global_store_dwordx4 v[16:17], v[12:15], off
	v_cmp_ne_u32_e32 vcc, 3, v60
	s_nop 0
	v_add_u32_e32 v12, 4, v3
	v_mad_u64_u32 v[12:13], s[2:3], v12, s0, 0
	v_lshl_add_u64 v[12:13], v[12:13], 1, v[0:1]
	v_add_u32_e32 v3, 8, v3
	global_store_dwordx4 v[12:13], v[8:11], off
	s_nop 1
	v_mad_u64_u32 v[8:9], s[2:3], v3, s0, 0
	v_lshl_add_u64 v[8:9], v[8:9], 1, v[0:1]
	global_store_dwordx4 v[8:9], v[4:7], off
	s_and_b64 exec, exec, vcc
	s_cbranch_execz .LBB982_20
; %bb.19:
	ds_read_b128 v[2:5], v2 offset:384
	v_add3_u32 v6, s48, v60, 12
	v_mad_u64_u32 v[6:7], s[0:1], v6, s0, 0
	v_lshl_add_u64 v[0:1], v[6:7], 1, v[0:1]
	s_waitcnt lgkmcnt(0)
	global_store_dwordx4 v[0:1], v[2:5], off
.LBB982_20:
	s_endpgm
	.section	.rodata,"a",@progbits
	.p2align	6, 0x0
	.amdhsa_kernel _Z39paged_attention_ll4mi_QKV_mfma16_kernelIDF16_hLN4vllm18Fp8KVCacheDataTypeE1EDF16_Li16ELi128ELi256ELb1ELi15EEvPKT_PKT0_S7_ifPKiS9_S9_iPKfiiiPfSC_PS2_PT2_iSB_SB_
		.amdhsa_group_segment_fixed_size 8192
		.amdhsa_private_segment_fixed_size 0
		.amdhsa_kernarg_size 400
		.amdhsa_user_sgpr_count 2
		.amdhsa_user_sgpr_dispatch_ptr 0
		.amdhsa_user_sgpr_queue_ptr 0
		.amdhsa_user_sgpr_kernarg_segment_ptr 1
		.amdhsa_user_sgpr_dispatch_id 0
		.amdhsa_user_sgpr_kernarg_preload_length 0
		.amdhsa_user_sgpr_kernarg_preload_offset 0
		.amdhsa_user_sgpr_private_segment_size 0
		.amdhsa_uses_dynamic_stack 0
		.amdhsa_enable_private_segment 0
		.amdhsa_system_sgpr_workgroup_id_x 1
		.amdhsa_system_sgpr_workgroup_id_y 1
		.amdhsa_system_sgpr_workgroup_id_z 1
		.amdhsa_system_sgpr_workgroup_info 0
		.amdhsa_system_vgpr_workitem_id 0
		.amdhsa_next_free_vgpr 76
		.amdhsa_next_free_sgpr 50
		.amdhsa_accum_offset 76
		.amdhsa_reserve_vcc 1
		.amdhsa_float_round_mode_32 0
		.amdhsa_float_round_mode_16_64 0
		.amdhsa_float_denorm_mode_32 3
		.amdhsa_float_denorm_mode_16_64 3
		.amdhsa_dx10_clamp 1
		.amdhsa_ieee_mode 1
		.amdhsa_fp16_overflow 0
		.amdhsa_tg_split 0
		.amdhsa_exception_fp_ieee_invalid_op 0
		.amdhsa_exception_fp_denorm_src 0
		.amdhsa_exception_fp_ieee_div_zero 0
		.amdhsa_exception_fp_ieee_overflow 0
		.amdhsa_exception_fp_ieee_underflow 0
		.amdhsa_exception_fp_ieee_inexact 0
		.amdhsa_exception_int_div_zero 0
	.end_amdhsa_kernel
	.section	.text._Z39paged_attention_ll4mi_QKV_mfma16_kernelIDF16_hLN4vllm18Fp8KVCacheDataTypeE1EDF16_Li16ELi128ELi256ELb1ELi15EEvPKT_PKT0_S7_ifPKiS9_S9_iPKfiiiPfSC_PS2_PT2_iSB_SB_,"axG",@progbits,_Z39paged_attention_ll4mi_QKV_mfma16_kernelIDF16_hLN4vllm18Fp8KVCacheDataTypeE1EDF16_Li16ELi128ELi256ELb1ELi15EEvPKT_PKT0_S7_ifPKiS9_S9_iPKfiiiPfSC_PS2_PT2_iSB_SB_,comdat
.Lfunc_end982:
	.size	_Z39paged_attention_ll4mi_QKV_mfma16_kernelIDF16_hLN4vllm18Fp8KVCacheDataTypeE1EDF16_Li16ELi128ELi256ELb1ELi15EEvPKT_PKT0_S7_ifPKiS9_S9_iPKfiiiPfSC_PS2_PT2_iSB_SB_, .Lfunc_end982-_Z39paged_attention_ll4mi_QKV_mfma16_kernelIDF16_hLN4vllm18Fp8KVCacheDataTypeE1EDF16_Li16ELi128ELi256ELb1ELi15EEvPKT_PKT0_S7_ifPKiS9_S9_iPKfiiiPfSC_PS2_PT2_iSB_SB_
                                        ; -- End function
	.section	.AMDGPU.csdata,"",@progbits
; Kernel info:
; codeLenInByte = 6348
; NumSgprs: 56
; NumVgprs: 76
; NumAgprs: 0
; TotalNumVgprs: 76
; ScratchSize: 0
; MemoryBound: 0
; FloatMode: 240
; IeeeMode: 1
; LDSByteSize: 8192 bytes/workgroup (compile time only)
; SGPRBlocks: 6
; VGPRBlocks: 9
; NumSGPRsForWavesPerEU: 56
; NumVGPRsForWavesPerEU: 76
; AccumOffset: 76
; Occupancy: 6
; WaveLimiterHint : 1
; COMPUTE_PGM_RSRC2:SCRATCH_EN: 0
; COMPUTE_PGM_RSRC2:USER_SGPR: 2
; COMPUTE_PGM_RSRC2:TRAP_HANDLER: 0
; COMPUTE_PGM_RSRC2:TGID_X_EN: 1
; COMPUTE_PGM_RSRC2:TGID_Y_EN: 1
; COMPUTE_PGM_RSRC2:TGID_Z_EN: 1
; COMPUTE_PGM_RSRC2:TIDIG_COMP_CNT: 0
; COMPUTE_PGM_RSRC3_GFX90A:ACCUM_OFFSET: 18
; COMPUTE_PGM_RSRC3_GFX90A:TG_SPLIT: 0
	.section	.text._Z39paged_attention_ll4mi_QKV_mfma16_kernelIDF16_hLN4vllm18Fp8KVCacheDataTypeE1EDF16_Li16ELi128ELi256ELb1ELi16EEvPKT_PKT0_S7_ifPKiS9_S9_iPKfiiiPfSC_PS2_PT2_iSB_SB_,"axG",@progbits,_Z39paged_attention_ll4mi_QKV_mfma16_kernelIDF16_hLN4vllm18Fp8KVCacheDataTypeE1EDF16_Li16ELi128ELi256ELb1ELi16EEvPKT_PKT0_S7_ifPKiS9_S9_iPKfiiiPfSC_PS2_PT2_iSB_SB_,comdat
	.protected	_Z39paged_attention_ll4mi_QKV_mfma16_kernelIDF16_hLN4vllm18Fp8KVCacheDataTypeE1EDF16_Li16ELi128ELi256ELb1ELi16EEvPKT_PKT0_S7_ifPKiS9_S9_iPKfiiiPfSC_PS2_PT2_iSB_SB_ ; -- Begin function _Z39paged_attention_ll4mi_QKV_mfma16_kernelIDF16_hLN4vllm18Fp8KVCacheDataTypeE1EDF16_Li16ELi128ELi256ELb1ELi16EEvPKT_PKT0_S7_ifPKiS9_S9_iPKfiiiPfSC_PS2_PT2_iSB_SB_
	.globl	_Z39paged_attention_ll4mi_QKV_mfma16_kernelIDF16_hLN4vllm18Fp8KVCacheDataTypeE1EDF16_Li16ELi128ELi256ELb1ELi16EEvPKT_PKT0_S7_ifPKiS9_S9_iPKfiiiPfSC_PS2_PT2_iSB_SB_
	.p2align	8
	.type	_Z39paged_attention_ll4mi_QKV_mfma16_kernelIDF16_hLN4vllm18Fp8KVCacheDataTypeE1EDF16_Li16ELi128ELi256ELb1ELi16EEvPKT_PKT0_S7_ifPKiS9_S9_iPKfiiiPfSC_PS2_PT2_iSB_SB_,@function
_Z39paged_attention_ll4mi_QKV_mfma16_kernelIDF16_hLN4vllm18Fp8KVCacheDataTypeE1EDF16_Li16ELi128ELi256ELb1ELi16EEvPKT_PKT0_S7_ifPKiS9_S9_iPKfiiiPfSC_PS2_PT2_iSB_SB_: ; @_Z39paged_attention_ll4mi_QKV_mfma16_kernelIDF16_hLN4vllm18Fp8KVCacheDataTypeE1EDF16_Li16ELi128ELi256ELb1ELi16EEvPKT_PKT0_S7_ifPKiS9_S9_iPKfiiiPfSC_PS2_PT2_iSB_SB_
; %bb.0:
	s_load_dwordx2 s[14:15], s[0:1], 0x30
	s_mov_b32 s30, s3
	s_mov_b64 s[6:7], 0
	s_waitcnt lgkmcnt(0)
	s_cmp_lg_u64 s[14:15], 0
	s_cselect_b64 s[16:17], -1, 0
	s_and_b64 vcc, exec, s[16:17]
	s_cbranch_vccz .LBB983_7
; %bb.1:
	s_add_i32 s8, s2, 1
	s_mov_b32 s9, 0
	s_lshl_b64 s[10:11], s[8:9], 2
	s_add_u32 s10, s14, s10
	s_mov_b32 s3, s9
	s_addc_u32 s11, s15, s11
	s_lshl_b64 s[8:9], s[2:3], 2
	s_add_u32 s8, s14, s8
	s_addc_u32 s9, s15, s9
	s_load_dword s5, s[10:11], 0x0
	s_load_dword s12, s[8:9], 0x0
	s_waitcnt lgkmcnt(0)
	s_sub_i32 s5, s5, s12
	s_cmp_eq_u32 s5, 1
	s_cselect_b64 s[8:9], -1, 0
	s_andn2_b64 vcc, exec, s[6:7]
	s_cbranch_vccnz .LBB983_3
.LBB983_2:
	s_mov_b32 s3, 0
	s_mov_b64 s[8:9], -1
.LBB983_3:
	s_andn2_b64 vcc, exec, s[8:9]
	s_cbranch_vccnz .LBB983_17
; %bb.4:
	s_load_dwordx2 s[6:7], s[0:1], 0x28
	s_lshl_b64 s[18:19], s[2:3], 2
	s_waitcnt lgkmcnt(0)
	s_add_u32 s6, s6, s18
	s_addc_u32 s7, s7, s19
	s_load_dword s5, s[6:7], 0x0
	s_lshl_b32 s20, s30, 8
	s_waitcnt lgkmcnt(0)
	s_cmp_ge_i32 s20, s5
	s_cbranch_scc1 .LBB983_17
; %bb.5:
	s_load_dwordx2 s[6:7], s[0:1], 0x20
	s_load_dword s8, s[0:1], 0x38
	s_add_i32 s9, s5, 15
	s_ashr_i32 s10, s9, 31
	v_and_b32_e32 v1, 0xcf, v0
	s_lshr_b32 s10, s10, 28
	v_add_u32_e32 v1, s20, v1
	s_add_i32 s9, s9, s10
	v_ashrrev_i32_e32 v2, 31, v1
	s_ashr_i32 s21, s9, 4
	v_lshrrev_b32_e32 v10, 28, v2
	s_add_i32 s21, s21, -1
	s_waitcnt lgkmcnt(0)
	s_mul_i32 s8, s2, s8
	s_mov_b32 s9, 0
	v_add_u32_e32 v2, v1, v10
	s_lshl_b64 s[8:9], s[8:9], 2
	v_ashrrev_i32_e32 v2, 4, v2
	v_mov_b32_e32 v11, s21
	v_cmp_gt_i32_e32 vcc, s5, v1
	s_add_u32 s6, s6, s8
	s_addc_u32 s7, s7, s9
	v_cndmask_b32_e32 v2, v11, v2, vcc
	v_ashrrev_i32_e32 v3, 31, v2
	v_lshl_add_u64 v[4:5], v[2:3], 2, s[6:7]
	v_or_b32_e32 v2, 16, v1
	v_add_u32_e32 v3, v2, v10
	v_ashrrev_i32_e32 v3, 4, v3
	v_cmp_gt_i32_e32 vcc, s5, v2
	s_nop 1
	v_cndmask_b32_e32 v2, v11, v3, vcc
	v_ashrrev_i32_e32 v3, 31, v2
	v_lshl_add_u64 v[6:7], v[2:3], 2, s[6:7]
	v_or_b32_e32 v2, 32, v1
	v_add_u32_e32 v3, v2, v10
	v_ashrrev_i32_e32 v3, 4, v3
	v_cmp_gt_i32_e32 vcc, s5, v2
	v_or_b32_e32 v1, 48, v1
	s_nop 0
	v_cndmask_b32_e32 v2, v11, v3, vcc
	v_ashrrev_i32_e32 v3, 31, v2
	v_lshl_add_u64 v[8:9], v[2:3], 2, s[6:7]
	v_add_u32_e32 v2, v1, v10
	v_ashrrev_i32_e32 v2, 4, v2
	v_cmp_gt_i32_e32 vcc, s5, v1
	s_nop 1
	v_cndmask_b32_e32 v2, v11, v2, vcc
	v_ashrrev_i32_e32 v3, 31, v2
	v_lshl_add_u64 v[10:11], v[2:3], 2, s[6:7]
	global_load_dword v3, v[4:5], off
	global_load_dword v2, v[6:7], off
	;; [unrolled: 1-line block ×4, first 2 shown]
	s_load_dwordx2 s[12:13], s[0:1], 0x40
	s_load_dwordx4 s[8:11], s[0:1], 0x8
	s_andn2_b64 vcc, exec, s[16:17]
	s_cbranch_vccnz .LBB983_8
; %bb.6:
	s_add_u32 s14, s14, s18
	s_addc_u32 s15, s15, s19
	s_load_dword s16, s[14:15], 0x0
	s_branch .LBB983_9
.LBB983_7:
	s_mov_b64 s[8:9], 0
	s_branch .LBB983_2
.LBB983_8:
	s_mov_b32 s16, s2
.LBB983_9:
	s_load_dwordx4 s[44:47], s[0:1], 0x48
	v_and_b32_e32 v56, 15, v0
	v_lshlrev_b32_e32 v4, 3, v56
	s_movk_i32 s14, 0x100
	v_lshrrev_b32_e32 v58, 6, v0
	v_and_b32_e32 v59, 63, v0
	v_bfe_u32 v1, v0, 4, 2
	s_lshl_b32 s31, s4, 4
	v_cmp_gt_u32_e32 vcc, s14, v0
	v_lshlrev_b32_e32 v54, 1, v4
	v_lshlrev_b32_e32 v57, 4, v0
	s_and_saveexec_b64 s[14:15], vcc
	s_cbranch_execz .LBB983_11
; %bb.10:
	s_load_dwordx2 s[18:19], s[0:1], 0x0
	s_waitcnt lgkmcnt(0)
	s_ashr_i32 s17, s44, 31
	s_mul_hi_u32 s22, s16, s44
	s_mul_i32 s17, s16, s17
	s_add_i32 s17, s22, s17
	s_mul_i32 s16, s16, s44
	v_lshl_or_b32 v8, v58, 2, v1
	s_lshl_b64 s[16:17], s[16:17], 1
	s_add_u32 s16, s18, s16
	v_add_lshl_u32 v4, v8, s31, 7
	s_addc_u32 s17, s19, s17
	v_ashrrev_i32_e32 v5, 31, v4
	v_lshl_add_u64 v[4:5], v[4:5], 1, s[16:17]
	v_mov_b32_e32 v55, 0
	v_lshl_add_u64 v[4:5], v[4:5], 0, v[54:55]
	global_load_dwordx4 v[4:7], v[4:5], off
	v_lshlrev_b32_e32 v10, 8, v0
	v_lshlrev_b32_e32 v9, 8, v56
	v_and_b32_e32 v10, 0x600, v10
	s_movk_i32 s16, 0x800
	v_and_or_b32 v9, v9, s16, v10
	v_lshlrev_b32_e32 v8, 5, v8
	v_and_b32_e32 v10, 16, v57
	v_or3_b32 v8, v9, v8, v10
	s_waitcnt vmcnt(0)
	ds_write_b128 v8, v[4:7]
.LBB983_11:
	s_or_b64 exec, exec, s[14:15]
	s_waitcnt lgkmcnt(0)
	s_mul_i32 s14, s4, s46
	s_add_u32 s8, s8, s14
	s_addc_u32 s9, s9, 0
	v_and_b32_e32 v52, 0xf0, v57
	v_mov_b32_e32 v53, 0
	v_and_b32_e32 v6, 48, v0
	v_lshl_add_u64 v[30:31], s[8:9], 0, v[52:53]
	v_lshlrev_b32_e32 v52, 4, v6
	s_waitcnt vmcnt(3)
	v_mad_i64_i32 v[4:5], s[8:9], v3, s45, v[30:31]
	v_lshl_add_u64 v[4:5], v[4:5], 0, v[52:53]
	s_load_dword s33, s[0:1], 0x98
	s_load_dwordx4 s[40:43], s[0:1], 0x80
	s_waitcnt lgkmcnt(0)
	s_barrier
	global_load_dwordx4 v[26:29], v[4:5], off
	global_load_dwordx4 v[22:25], v[4:5], off offset:1024
	s_waitcnt vmcnt(4)
	v_mad_i64_i32 v[2:3], s[8:9], v2, s45, v[30:31]
	v_lshl_add_u64 v[32:33], v[2:3], 0, v[52:53]
	global_load_dwordx4 v[18:21], v[32:33], off
	v_or_b32_e32 v50, s31, v56
	v_lshlrev_b32_e32 v60, 5, v56
	v_ashrrev_i32_e32 v51, 31, v50
	v_or_b32_e32 v38, s20, v6
	v_mov_b32_e32 v42, s21
	v_lshl_or_b32 v55, v1, 9, v60
	v_lshl_add_u64 v[34:35], v[50:51], 2, s[12:13]
	v_ashrrev_i32_e32 v39, 4, v38
	v_cmp_gt_i32_e32 vcc, s5, v38
	ds_read_b128 v[14:17], v55
	ds_read_b128 v[10:13], v55 offset:16
	ds_read_b128 v[6:9], v55 offset:2048
	;; [unrolled: 1-line block ×3, first 2 shown]
	v_or_b32_e32 v43, 64, v38
	v_or_b32_e32 v46, 0x80, v38
	;; [unrolled: 1-line block ×3, first 2 shown]
	global_load_dword v63, v[34:35], off
	v_cndmask_b32_e32 v34, v42, v39, vcc
	global_load_dwordx4 v[38:41], v[32:33], off offset:1024
	v_ashrrev_i32_e32 v49, 4, v43
	v_cmp_gt_i32_e32 vcc, s5, v43
	v_ashrrev_i32_e32 v51, 4, v46
	s_waitcnt vmcnt(6)
	v_mad_i64_i32 v[44:45], s[8:9], v36, s45, v[30:31]
	s_waitcnt vmcnt(5)
	v_mad_i64_i32 v[30:31], s[8:9], v37, s45, v[30:31]
	v_cndmask_b32_e32 v32, v42, v49, vcc
	v_cmp_gt_i32_e32 vcc, s5, v46
	v_ashrrev_i32_e32 v48, 4, v47
	v_ashrrev_i32_e32 v35, 31, v34
	v_cndmask_b32_e32 v64, v42, v51, vcc
	v_cmp_gt_i32_e32 vcc, s5, v47
	v_lshl_add_u64 v[36:37], v[44:45], 0, v[52:53]
	v_ashrrev_i32_e32 v33, 31, v32
	v_lshl_add_u64 v[30:31], v[30:31], 0, v[52:53]
	v_cndmask_b32_e32 v70, v42, v48, vcc
	v_lshl_add_u64 v[72:73], v[34:35], 2, s[6:7]
	v_lshl_add_u64 v[74:75], v[32:33], 2, s[6:7]
	global_load_dwordx4 v[46:49], v[36:37], off
	global_load_dwordx4 v[42:45], v[36:37], off offset:1024
	s_nop 0
	global_load_dwordx4 v[34:37], v[30:31], off
	s_nop 0
	global_load_dwordx4 v[30:33], v[30:31], off offset:1024
	v_ashrrev_i32_e32 v65, 31, v64
	v_lshl_add_u64 v[76:77], v[64:65], 2, s[6:7]
	v_ashrrev_i32_e32 v71, 31, v70
	s_add_u32 s46, s10, s14
	v_lshl_or_b32 v51, v58, 4, v56
	s_addc_u32 s47, s11, 0
	v_lshlrev_b32_e32 v52, 4, v51
	s_load_dword s4, s[0:1], 0x1c
	s_waitcnt vmcnt(8)
	v_cvt_pk_f32_fp8_e32 v[64:65], v26
	v_cvt_pk_f32_fp8_sdwa v[66:67], v26 src0_sel:WORD_1
	v_cvt_pk_f32_fp8_e32 v[68:69], v27
	v_cvt_pk_f32_fp8_sdwa v[78:79], v27 src0_sel:WORD_1
	v_cvt_pkrtz_f16_f32 v64, v64, v65
	v_cvt_pkrtz_f16_f32 v65, v66, v67
	v_cvt_pk_f32_fp8_e32 v[80:81], v28
	v_cvt_pk_f32_fp8_sdwa v[82:83], v28 src0_sel:WORD_1
	v_cvt_pk_f32_fp8_e32 v[84:85], v29
	v_cvt_pk_f32_fp8_sdwa v[86:87], v29 src0_sel:WORD_1
	s_waitcnt vmcnt(6)
	v_cvt_pk_f32_fp8_e32 v[26:27], v18
	v_cvt_pk_f32_fp8_sdwa v[28:29], v18 src0_sel:WORD_1
	v_cvt_pk_f32_fp8_e32 v[88:89], v22
	v_cvt_pk_f32_fp8_sdwa v[90:91], v22 src0_sel:WORD_1
	v_cvt_pkrtz_f16_f32 v66, v26, v27
	v_cvt_pkrtz_f16_f32 v67, v28, v29
	s_waitcnt lgkmcnt(0)
	v_mfma_f32_16x16x16_f16 v[26:29], v[64:65], v[14:15], 0
	v_cvt_pkrtz_f16_f32 v64, v68, v69
	v_cvt_pkrtz_f16_f32 v65, v78, v79
	;; [unrolled: 1-line block ×4, first 2 shown]
	v_mfma_f32_16x16x16_f16 v[26:29], v[64:65], v[16:17], v[26:29]
	global_load_dword v64, v[72:73], off
	v_cvt_pkrtz_f16_f32 v82, v84, v85
	v_cvt_pkrtz_f16_f32 v83, v86, v87
	v_mfma_f32_16x16x16_f16 v[26:29], v[78:79], v[10:11], v[26:29]
	v_cvt_pk_f32_fp8_e32 v[92:93], v23
	v_cvt_pk_f32_fp8_sdwa v[22:23], v23 src0_sel:WORD_1
	v_cvt_pkrtz_f16_f32 v84, v88, v89
	v_cvt_pkrtz_f16_f32 v85, v90, v91
	v_mfma_f32_16x16x16_f16 v[26:29], v[82:83], v[12:13], v[26:29]
	v_cvt_pk_f32_fp8_e32 v[80:81], v24
	v_cvt_pk_f32_fp8_sdwa v[72:73], v24 src0_sel:WORD_1
	v_cvt_pkrtz_f16_f32 v86, v92, v93
	v_cvt_pkrtz_f16_f32 v87, v22, v23
	v_cvt_pk_f32_fp8_e32 v[78:79], v25
	v_cvt_pk_f32_fp8_sdwa v[82:83], v25 src0_sel:WORD_1
	v_mfma_f32_16x16x16_f16 v[22:25], v[84:85], v[6:7], v[26:29]
	s_nop 2
	v_cvt_pk_f32_fp8_e32 v[26:27], v19
	v_cvt_pkrtz_f16_f32 v28, v80, v81
	v_cvt_pkrtz_f16_f32 v29, v72, v73
	v_cvt_pk_f32_fp8_sdwa v[18:19], v19 src0_sel:WORD_1
	v_mfma_f32_16x16x16_f16 v[22:25], v[86:87], v[8:9], v[22:25]
	v_cvt_pkrtz_f16_f32 v26, v26, v27
	v_cvt_pkrtz_f16_f32 v72, v78, v79
	;; [unrolled: 1-line block ×3, first 2 shown]
	v_mfma_f32_16x16x16_f16 v[66:69], v[66:67], v[14:15], 0
	v_cvt_pk_f32_fp8_e32 v[18:19], v20
	v_cvt_pkrtz_f16_f32 v73, v82, v83
	v_cvt_pkrtz_f16_f32 v18, v18, v19
	v_mfma_f32_16x16x16_f16 v[22:25], v[28:29], v[2:3], v[22:25]
	v_lshl_add_u64 v[28:29], v[70:71], 2, s[6:7]
	v_cvt_pk_f32_fp8_sdwa v[70:71], v20 src0_sel:WORD_1
	global_load_dword v65, v[74:75], off
	global_load_dword v61, v[76:77], off
	;; [unrolled: 1-line block ×3, first 2 shown]
	v_mfma_f32_16x16x16_f16 v[26:29], v[26:27], v[16:17], v[66:69]
	v_cvt_pkrtz_f16_f32 v19, v70, v71
	s_waitcnt vmcnt(8)
	v_cvt_pk_f32_fp8_sdwa v[70:71], v38 src0_sel:WORD_1
	v_cvt_pk_f32_fp8_e32 v[66:67], v21
	v_cvt_pk_f32_fp8_sdwa v[20:21], v21 src0_sel:WORD_1
	v_cvt_pk_f32_fp8_e32 v[68:69], v38
	v_mfma_f32_16x16x16_f16 v[22:25], v[72:73], v[4:5], v[22:25]
	v_cvt_pkrtz_f16_f32 v66, v66, v67
	v_cvt_pkrtz_f16_f32 v67, v20, v21
	v_mfma_f32_16x16x16_f16 v[18:21], v[18:19], v[10:11], v[26:29]
	s_nop 2
	v_cvt_pkrtz_f16_f32 v26, v68, v69
	v_cvt_pkrtz_f16_f32 v27, v70, v71
	v_cvt_pk_f32_fp8_e32 v[28:29], v39
	v_cvt_pk_f32_fp8_sdwa v[38:39], v39 src0_sel:WORD_1
	v_mfma_f32_16x16x16_f16 v[18:21], v[66:67], v[12:13], v[18:21]
	s_waitcnt vmcnt(7)
	v_cvt_pk_f32_fp8_sdwa v[66:67], v46 src0_sel:WORD_1
	v_cvt_pkrtz_f16_f32 v28, v28, v29
	v_cvt_pkrtz_f16_f32 v29, v38, v39
	v_mfma_f32_16x16x16_f16 v[18:21], v[26:27], v[6:7], v[18:21]
	v_cvt_pk_f32_fp8_e32 v[26:27], v40
	v_cvt_pk_f32_fp8_sdwa v[38:39], v40 src0_sel:WORD_1
	v_cvt_pk_f32_fp8_sdwa v[68:69], v48 src0_sel:WORD_1
	v_mfma_f32_16x16x16_f16 v[18:21], v[28:29], v[8:9], v[18:21]
	v_cvt_pkrtz_f16_f32 v26, v26, v27
	v_cvt_pkrtz_f16_f32 v27, v38, v39
	v_cvt_pk_f32_fp8_e32 v[28:29], v41
	v_cvt_pk_f32_fp8_sdwa v[38:39], v41 src0_sel:WORD_1
	v_cvt_pk_f32_fp8_e32 v[40:41], v46
	v_mfma_f32_16x16x16_f16 v[18:21], v[26:27], v[2:3], v[18:21]
	v_cvt_pkrtz_f16_f32 v28, v28, v29
	v_cvt_pkrtz_f16_f32 v29, v38, v39
	;; [unrolled: 1-line block ×4, first 2 shown]
	v_cvt_pk_f32_fp8_e32 v[38:39], v47
	v_cvt_pk_f32_fp8_sdwa v[40:41], v47 src0_sel:WORD_1
	v_mfma_f32_16x16x16_f16 v[18:21], v[28:29], v[4:5], v[18:21]
	v_cvt_pk_f32_fp8_e32 v[66:67], v48
	v_cvt_pkrtz_f16_f32 v38, v38, v39
	v_cvt_pkrtz_f16_f32 v39, v40, v41
	v_mfma_f32_16x16x16_f16 v[26:29], v[26:27], v[14:15], 0
	v_lshl_add_u64 v[46:47], s[46:47], 0, v[52:53]
	s_waitcnt vmcnt(5)
	v_cvt_pk_f32_fp8_sdwa v[70:71], v37 src0_sel:WORD_1
	v_or_b32_e32 v52, 0x400, v52
	v_mfma_f32_16x16x16_f16 v[38:41], v[38:39], v[16:17], v[26:29]
	s_nop 2
	v_cvt_pkrtz_f16_f32 v28, v66, v67
	v_cvt_pkrtz_f16_f32 v29, v68, v69
	v_cvt_pk_f32_fp8_e32 v[66:67], v49
	v_cvt_pk_f32_fp8_sdwa v[48:49], v49 src0_sel:WORD_1
	v_mfma_f32_16x16x16_f16 v[38:41], v[28:29], v[10:11], v[38:41]
	v_cvt_pkrtz_f16_f32 v66, v66, v67
	v_cvt_pkrtz_f16_f32 v67, v48, v49
	v_cvt_pk_f32_fp8_e32 v[28:29], v42
	v_cvt_pk_f32_fp8_sdwa v[48:49], v42 src0_sel:WORD_1
	v_mfma_f32_16x16x16_f16 v[38:41], v[66:67], v[12:13], v[38:41]
	v_cvt_pk_f32_fp8_e32 v[66:67], v43
	v_cvt_pkrtz_f16_f32 v28, v28, v29
	v_cvt_pkrtz_f16_f32 v29, v48, v49
	v_cvt_pk_f32_fp8_sdwa v[42:43], v43 src0_sel:WORD_1
	v_cvt_pkrtz_f16_f32 v48, v66, v67
	v_cvt_pk_f32_fp8_e32 v[66:67], v44
	v_cvt_pk_f32_fp8_sdwa v[68:69], v44 src0_sel:WORD_1
	v_cvt_pkrtz_f16_f32 v49, v42, v43
	v_mfma_f32_16x16x16_f16 v[38:41], v[28:29], v[6:7], v[38:41]
	s_waitcnt vmcnt(3)
	v_mad_i64_i32 v[26:27], s[6:7], v64, s45, v[46:47]
	s_load_dword s6, s[40:41], 0x0
	v_cvt_pkrtz_f16_f32 v28, v66, v67
	v_cvt_pkrtz_f16_f32 v29, v68, v69
	v_cvt_pk_f32_fp8_e32 v[42:43], v45
	v_cvt_pk_f32_fp8_sdwa v[44:45], v45 src0_sel:WORD_1
	v_mfma_f32_16x16x16_f16 v[38:41], v[48:49], v[8:9], v[38:41]
	v_mov_b32_e32 v48, s4
	v_cvt_pkrtz_f16_f32 v42, v42, v43
	v_cvt_pkrtz_f16_f32 v43, v44, v45
	v_mfma_f32_16x16x16_f16 v[38:41], v[28:29], v[2:3], v[38:41]
	s_waitcnt lgkmcnt(0)
	v_mul_f32_e32 v28, s6, v48
	v_cvt_pk_f32_fp8_e32 v[44:45], v34
	v_cvt_pk_f32_fp8_sdwa v[48:49], v34 src0_sel:WORD_1
	v_mfma_f32_16x16x16_f16 v[66:69], v[42:43], v[4:5], v[38:41]
	s_mov_b32 s40, 0xff7fffff
	s_nop 1
	v_cvt_pk_f32_fp8_e32 v[38:39], v35
	v_cvt_pkrtz_f16_f32 v40, v44, v45
	v_cvt_pkrtz_f16_f32 v41, v48, v49
	v_cvt_pk_f32_fp8_sdwa v[34:35], v35 src0_sel:WORD_1
	v_cvt_pkrtz_f16_f32 v42, v38, v39
	v_cvt_pk_f32_fp8_e32 v[44:45], v36
	v_cvt_pk_f32_fp8_sdwa v[48:49], v36 src0_sel:WORD_1
	v_cvt_pkrtz_f16_f32 v43, v34, v35
	v_mfma_f32_16x16x16_f16 v[38:41], v[40:41], v[14:15], 0
	v_cvt_pkrtz_f16_f32 v44, v44, v45
	v_cvt_pkrtz_f16_f32 v45, v48, v49
	v_cvt_pk_f32_fp8_e32 v[48:49], v37
	v_mfma_f32_16x16x16_f16 v[34:37], v[42:43], v[16:17], v[38:41]
	v_pk_mul_f32 v[14:15], v[28:29], v[24:25] op_sel_hi:[0,1]
	v_cvt_pkrtz_f16_f32 v25, v70, v71
	v_cvt_pkrtz_f16_f32 v24, v48, v49
	v_mfma_f32_16x16x16_f16 v[34:37], v[44:45], v[10:11], v[34:37]
	v_pk_mul_f32 v[16:17], v[28:29], v[22:23] op_sel_hi:[0,1]
	v_cvt_pk_f32_fp8_e32 v[22:23], v30
	v_cvt_pk_f32_fp8_sdwa v[38:39], v30 src0_sel:WORD_1
	v_mfma_f32_16x16x16_f16 v[10:13], v[24:25], v[12:13], v[34:37]
	v_cvt_pk_f32_fp8_e32 v[24:25], v31
	v_cvt_pkrtz_f16_f32 v22, v22, v23
	v_cvt_pkrtz_f16_f32 v23, v38, v39
	v_cvt_pk_f32_fp8_sdwa v[30:31], v31 src0_sel:WORD_1
	v_cvt_pkrtz_f16_f32 v24, v24, v25
	v_cvt_pk_f32_fp8_e32 v[34:35], v32
	v_cvt_pk_f32_fp8_sdwa v[36:37], v32 src0_sel:WORD_1
	v_cvt_pkrtz_f16_f32 v25, v30, v31
	v_mfma_f32_16x16x16_f16 v[10:13], v[22:23], v[6:7], v[10:13]
	v_cvt_pkrtz_f16_f32 v22, v34, v35
	v_cvt_pkrtz_f16_f32 v23, v36, v37
	v_cvt_pk_f32_fp8_e32 v[30:31], v33
	v_cvt_pk_f32_fp8_sdwa v[32:33], v33 src0_sel:WORD_1
	v_mfma_f32_16x16x16_f16 v[6:9], v[24:25], v[8:9], v[10:13]
	v_pk_mul_f32 v[40:41], v[28:29], v[20:21] op_sel_hi:[0,1]
	v_pk_mul_f32 v[44:45], v[28:29], v[18:19] op_sel_hi:[0,1]
	;; [unrolled: 1-line block ×3, first 2 shown]
	v_cvt_pkrtz_f16_f32 v10, v30, v31
	v_cvt_pkrtz_f16_f32 v11, v32, v33
	v_mfma_f32_16x16x16_f16 v[6:9], v[22:23], v[2:3], v[6:9]
	v_pk_mul_f32 v[42:43], v[28:29], v[66:67] op_sel_hi:[0,1]
	v_mfma_f32_16x16x16_f16 v[2:5], v[10:11], v[4:5], v[6:9]
	s_nop 6
	v_pk_mul_f32 v[36:37], v[28:29], v[2:3] op_sel_hi:[0,1]
	v_and_b32_e32 v2, 0xc0, v0
	v_add_u32_e32 v2, s20, v2
	v_lshl_or_b32 v2, v1, 2, v2
	v_or_b32_e32 v3, 1, v2
	v_pk_mul_f32 v[34:35], v[28:29], v[4:5] op_sel_hi:[0,1]
	v_subrev_u32_e32 v4, s5, v3
	v_add_u32_e32 v6, 1, v4
	v_add_u32_e32 v7, 2, v4
	v_cvt_f32_i32_e32 v5, v4
	v_cvt_f32_i32_e32 v6, v6
	;; [unrolled: 1-line block ×3, first 2 shown]
	v_add_u32_e32 v8, 3, v4
	v_fma_f32 v9, v63, v5, v16
	v_fmac_f32_e32 v17, v63, v6
	v_fma_f32 v14, v63, v7, v14
	v_add_u32_e32 v5, 16, v4
	v_add_u32_e32 v6, 17, v4
	;; [unrolled: 1-line block ×3, first 2 shown]
	v_cvt_f32_i32_e32 v8, v8
	v_cvt_f32_i32_e32 v5, v5
	;; [unrolled: 1-line block ×4, first 2 shown]
	v_fmac_f32_e32 v15, v63, v8
	v_add_u32_e32 v8, 19, v4
	v_fma_f32 v44, v63, v5, v44
	v_fmac_f32_e32 v45, v63, v6
	v_fma_f32 v40, v63, v7, v40
	v_add_u32_e32 v5, 32, v4
	v_add_u32_e32 v6, 33, v4
	;; [unrolled: 1-line block ×3, first 2 shown]
	v_cvt_f32_i32_e32 v8, v8
	v_cvt_f32_i32_e32 v5, v5
	;; [unrolled: 1-line block ×4, first 2 shown]
	v_fmac_f32_e32 v41, v63, v8
	v_add_u32_e32 v8, 35, v4
	v_fma_f32 v42, v63, v5, v42
	v_fmac_f32_e32 v43, v63, v6
	v_fma_f32 v38, v63, v7, v38
	v_add_u32_e32 v5, 48, v4
	v_add_u32_e32 v6, 49, v4
	v_add_u32_e32 v7, 50, v4
	v_add_u32_e32 v4, 51, v4
	v_cvt_f32_i32_e32 v4, v4
	v_cvt_f32_i32_e32 v5, v5
	;; [unrolled: 1-line block ×3, first 2 shown]
	v_cmp_gt_i32_e64 s[34:35], s5, v2
	v_fmac_f32_e32 v35, v63, v4
	v_mov_b32_e32 v4, 0xff7fffff
	v_cmp_gt_i32_e64 s[36:37], s5, v3
	v_fma_f32 v36, v63, v5, v36
	v_cndmask_b32_e64 v5, v4, v9, s[34:35]
	v_cndmask_b32_e64 v3, v4, v17, s[36:37]
	v_fmac_f32_e32 v37, v63, v6
	v_max3_f32 v3, v5, s40, v3
	v_or_b32_e32 v5, 2, v2
	v_or_b32_e32 v6, 3, v2
	v_cmp_gt_i32_e64 s[12:13], s5, v5
	v_cmp_gt_i32_e64 s[18:19], s5, v6
	v_cvt_f32_i32_e32 v8, v8
	v_cndmask_b32_e64 v5, v4, v14, s[12:13]
	v_cndmask_b32_e64 v6, v4, v15, s[18:19]
	v_max3_f32 v3, v3, v5, v6
	v_or_b32_e32 v5, 16, v2
	v_or_b32_e32 v6, 17, v2
	v_cmp_gt_i32_e64 s[24:25], s5, v5
	v_cmp_gt_i32_e64 s[28:29], s5, v6
	v_fmac_f32_e32 v39, v63, v8
	v_cndmask_b32_e64 v5, v4, v44, s[24:25]
	v_cndmask_b32_e64 v6, v4, v45, s[28:29]
	v_max3_f32 v3, v3, v5, v6
	v_or_b32_e32 v5, 18, v2
	v_or_b32_e32 v6, 19, v2
	v_cmp_gt_i32_e64 s[8:9], s5, v5
	v_cmp_gt_i32_e64 s[14:15], s5, v6
	v_cvt_f32_i32_e32 v7, v7
	v_cndmask_b32_e64 v5, v4, v40, s[8:9]
	v_cndmask_b32_e64 v6, v4, v41, s[14:15]
	v_max3_f32 v3, v3, v5, v6
	v_or_b32_e32 v5, 32, v2
	v_or_b32_e32 v6, 33, v2
	v_cmp_gt_i32_e64 s[20:21], s5, v5
	v_cmp_gt_i32_e64 s[26:27], s5, v6
	v_fma_f32 v34, v63, v7, v34
	v_cndmask_b32_e64 v5, v4, v42, s[20:21]
	v_cndmask_b32_e64 v6, v4, v43, s[26:27]
	v_max3_f32 v3, v3, v5, v6
	v_or_b32_e32 v5, 34, v2
	v_or_b32_e32 v6, 35, v2
	v_cmp_gt_i32_e64 s[6:7], s5, v5
	v_cmp_gt_i32_e64 s[10:11], s5, v6
	s_nop 0
	v_cndmask_b32_e64 v5, v4, v38, s[6:7]
	v_cndmask_b32_e64 v6, v4, v39, s[10:11]
	v_max3_f32 v3, v3, v5, v6
	v_or_b32_e32 v5, 48, v2
	v_or_b32_e32 v6, 49, v2
	v_cmp_gt_i32_e64 s[16:17], s5, v5
	v_cmp_gt_i32_e64 s[22:23], s5, v6
	s_nop 0
	v_cndmask_b32_e64 v5, v4, v36, s[16:17]
	v_cndmask_b32_e64 v6, v4, v37, s[22:23]
	v_max3_f32 v3, v3, v5, v6
	v_or_b32_e32 v5, 50, v2
	v_or_b32_e32 v2, 51, v2
	v_cmp_gt_i32_e32 vcc, s5, v5
	v_cmp_gt_i32_e64 s[4:5], s5, v2
	s_nop 0
	v_cndmask_b32_e32 v5, v4, v34, vcc
	v_cndmask_b32_e64 v2, v4, v35, s[4:5]
	v_max3_f32 v4, v3, v5, v2
	v_mbcnt_lo_u32_b32 v2, -1, 0
	v_mbcnt_hi_u32_b32 v5, -1, v2
	v_and_b32_e32 v2, 64, v5
	v_add_u32_e32 v6, 64, v2
	v_xor_b32_e32 v2, 32, v5
	v_cmp_lt_i32_e64 s[38:39], v2, v6
	s_nop 1
	v_cndmask_b32_e64 v2, v5, v2, s[38:39]
	v_lshlrev_b32_e32 v66, 2, v2
	ds_bpermute_b32 v7, v66, v4
	s_waitcnt vmcnt(2)
	v_mad_i64_i32 v[2:3], s[38:39], v65, s45, v[46:47]
	global_load_dwordx4 v[30:33], v[26:27], off
	s_nop 0
	global_load_dwordx4 v[26:29], v[2:3], off
	s_waitcnt lgkmcnt(0)
	v_max_f32_e32 v2, v7, v7
	v_max_f32_e32 v7, v4, v2
	v_xor_b32_e32 v2, 16, v5
	v_cmp_lt_i32_e64 s[38:39], v2, v6
	s_nop 1
	v_cndmask_b32_e64 v2, v5, v2, s[38:39]
	v_lshlrev_b32_e32 v67, 2, v2
	ds_bpermute_b32 v6, v67, v7
	s_waitcnt vmcnt(3)
	v_mad_i64_i32 v[2:3], s[38:39], v61, s45, v[46:47]
	s_waitcnt vmcnt(2)
	v_mad_i64_i32 v[4:5], s[38:39], v62, s45, v[46:47]
	s_waitcnt lgkmcnt(0)
	v_max_f32_e32 v6, v6, v6
	v_max_f32_e32 v63, v7, v6
	global_load_dwordx4 v[22:25], v[2:3], off
	global_load_dwordx4 v[10:13], v[4:5], off
	v_sub_f32_e32 v2, v9, v63
	v_mul_f32_e32 v2, 0x3fb8aa3b, v2
	v_exp_f32_e32 v4, v2
	v_sub_f32_e32 v2, v17, v63
	v_mul_f32_e32 v2, 0x3fb8aa3b, v2
	v_exp_f32_e32 v5, v2
	v_lshl_add_u64 v[2:3], s[46:47], 0, v[52:53]
	v_sub_f32_e32 v8, v14, v63
	v_cndmask_b32_e64 v46, 0, v4, s[34:35]
	v_cndmask_b32_e64 v47, 0, v5, s[36:37]
	v_mad_i64_i32 v[4:5], s[34:35], v64, s45, v[2:3]
	v_mad_i64_i32 v[6:7], s[34:35], v65, s45, v[2:3]
	v_mul_f32_e32 v8, 0x3fb8aa3b, v8
	v_exp_f32_e32 v49, v8
	global_load_dwordx4 v[18:21], v[4:5], off
	s_nop 0
	global_load_dwordx4 v[6:9], v[6:7], off
	v_mad_i64_i32 v[4:5], s[34:35], v61, s45, v[2:3]
	v_mad_i64_i32 v[2:3], s[34:35], v62, s45, v[2:3]
	v_sub_f32_e32 v48, v15, v63
	global_load_dwordx4 v[14:17], v[4:5], off
	s_nop 0
	global_load_dwordx4 v[2:5], v[2:3], off
	v_mul_f32_e32 v48, 0x3fb8aa3b, v48
	v_exp_f32_e32 v52, v48
	v_sub_f32_e32 v40, v40, v63
	v_sub_f32_e32 v42, v42, v63
	v_mul_f32_e32 v40, 0x3fb8aa3b, v40
	v_mul_f32_e32 v42, 0x3fb8aa3b, v42
	v_cndmask_b32_e64 v48, 0, v49, s[12:13]
	v_cndmask_b32_e64 v49, 0, v52, s[18:19]
	v_exp_f32_e32 v40, v40
	v_exp_f32_e32 v52, v42
	v_sub_f32_e32 v44, v44, v63
	v_mul_f32_e32 v44, 0x3fb8aa3b, v44
	v_sub_f32_e32 v45, v45, v63
	v_sub_f32_e32 v42, v43, v63
	v_exp_f32_e32 v44, v44
	v_mul_f32_e32 v45, 0x3fb8aa3b, v45
	v_mul_f32_e32 v42, 0x3fb8aa3b, v42
	v_exp_f32_e32 v45, v45
	v_sub_f32_e32 v41, v41, v63
	v_exp_f32_e32 v53, v42
	v_cndmask_b32_e64 v42, 0, v40, s[8:9]
	v_cndmask_b32_e64 v40, 0, v52, s[20:21]
	v_add_f32_e32 v52, 0, v46
	v_mul_f32_e32 v41, 0x3fb8aa3b, v41
	v_add_f32_e32 v52, v52, v47
	v_exp_f32_e32 v41, v41
	v_add_f32_e32 v52, v52, v48
	v_cndmask_b32_e64 v44, 0, v44, s[24:25]
	v_sub_f32_e32 v38, v38, v63
	v_add_f32_e32 v52, v52, v49
	v_cndmask_b32_e64 v45, 0, v45, s[28:29]
	v_sub_f32_e32 v39, v39, v63
	v_mul_f32_e32 v38, 0x3fb8aa3b, v38
	v_add_f32_e32 v52, v52, v44
	v_exp_f32_e32 v38, v38
	v_mul_f32_e32 v39, 0x3fb8aa3b, v39
	v_sub_f32_e32 v36, v36, v63
	v_add_f32_e32 v52, v52, v45
	v_cndmask_b32_e64 v43, 0, v41, s[14:15]
	v_exp_f32_e32 v39, v39
	v_mul_f32_e32 v36, 0x3fb8aa3b, v36
	v_sub_f32_e32 v37, v37, v63
	v_add_f32_e32 v52, v52, v42
	v_exp_f32_e32 v36, v36
	v_mul_f32_e32 v37, 0x3fb8aa3b, v37
	v_add_f32_e32 v52, v52, v43
	v_sub_f32_e32 v34, v34, v63
	v_cndmask_b32_e64 v41, 0, v53, s[26:27]
	v_exp_f32_e32 v37, v37
	v_add_f32_e32 v52, v52, v40
	v_mul_f32_e32 v34, 0x3fb8aa3b, v34
	v_sub_f32_e32 v35, v35, v63
	v_cndmask_b32_e64 v38, 0, v38, s[6:7]
	v_add_f32_e32 v52, v52, v41
	v_exp_f32_e32 v34, v34
	v_mul_f32_e32 v35, 0x3fb8aa3b, v35
	v_cndmask_b32_e64 v39, 0, v39, s[10:11]
	v_add_f32_e32 v52, v52, v38
	v_exp_f32_e32 v35, v35
	v_cndmask_b32_e64 v36, 0, v36, s[16:17]
	v_add_f32_e32 v52, v52, v39
	v_cndmask_b32_e64 v37, 0, v37, s[22:23]
	v_add_f32_e32 v52, v52, v36
	v_add_f32_e32 v52, v52, v37
	v_cndmask_b32_e32 v34, 0, v34, vcc
	v_add_f32_e32 v52, v52, v34
	v_cndmask_b32_e64 v35, 0, v35, s[4:5]
	v_add_f32_e32 v52, v52, v35
	ds_bpermute_b32 v53, v66, v52
	v_cmp_gt_u32_e32 vcc, 16, v59
	s_waitcnt lgkmcnt(0)
	s_barrier
	v_add_f32_e32 v52, v52, v53
	ds_bpermute_b32 v53, v67, v52
	s_and_saveexec_b64 s[4:5], vcc
	s_cbranch_execz .LBB983_13
; %bb.12:
	s_waitcnt lgkmcnt(0)
	v_add_f32_e32 v52, v52, v53
	v_lshlrev_b32_e32 v51, 2, v51
	ds_write2st64_b32 v51, v63, v52 offset1:1
.LBB983_13:
	s_or_b64 exec, exec, s[4:5]
	v_lshlrev_b32_e32 v51, 2, v56
	s_load_dword s6, s[0:1], 0x94
	s_waitcnt lgkmcnt(0)
	s_barrier
	ds_read2_b32 v[62:63], v51 offset1:16
	ds_read2_b32 v[64:65], v51 offset0:32 offset1:48
	ds_read2_b32 v[66:67], v51 offset0:64 offset1:80
	s_lshl_b32 s7, s33, 4
	s_waitcnt lgkmcnt(2)
	v_max3_f32 v52, v62, s40, v63
	s_waitcnt lgkmcnt(1)
	v_max3_f32 v52, v52, v64, v65
	v_sub_f32_e32 v53, v62, v52
	v_mul_f32_e32 v53, 0x3fb8aa3b, v53
	v_exp_f32_e32 v59, v53
	v_sub_f32_e32 v53, v63, v52
	v_mul_f32_e32 v53, 0x3fb8aa3b, v53
	v_exp_f32_e32 v61, v53
	v_sub_f32_e32 v53, v64, v52
	v_mul_f32_e32 v53, 0x3fb8aa3b, v53
	ds_read2_b32 v[62:63], v51 offset0:96 offset1:112
	v_sub_f32_e32 v51, v65, v52
	v_exp_f32_e32 v64, v53
	v_mul_f32_e32 v51, 0x3fb8aa3b, v51
	v_exp_f32_e32 v51, v51
	s_waitcnt lgkmcnt(1)
	v_fma_f32 v53, v59, v66, 0
	v_fmac_f32_e32 v53, v61, v67
	s_waitcnt lgkmcnt(0)
	v_fmac_f32_e32 v53, v64, v62
	v_fmac_f32_e32 v53, v51, v63
	v_add_f32_e32 v62, 0x358637bd, v53
	v_div_scale_f32 v63, s[4:5], v62, v62, 1.0
	v_rcp_f32_e32 v65, v63
	s_barrier
	v_fma_f32 v66, -v63, v65, 1.0
	v_fmac_f32_e32 v65, v66, v65
	v_div_scale_f32 v66, vcc, 1.0, v62, 1.0
	v_mul_f32_e32 v67, v66, v65
	v_fma_f32 v68, -v63, v67, v66
	v_fmac_f32_e32 v67, v68, v65
	v_fma_f32 v63, -v63, v67, v66
	v_div_fmas_f32 v63, v63, v65, v67
	v_cmp_eq_u32_e32 vcc, 1, v58
	v_div_fixup_f32 v62, v63, v62, 1.0
	s_nop 0
	v_cndmask_b32_e32 v59, v59, v61, vcc
	v_cmp_eq_u32_e32 vcc, 2, v58
	s_nop 1
	v_cndmask_b32_e32 v59, v59, v64, vcc
	v_cmp_eq_u32_e32 vcc, 3, v58
	s_nop 1
	v_cndmask_b32_e32 v51, v59, v51, vcc
	v_mul_f32_e32 v62, v51, v62
	v_pk_mul_f32 v[48:49], v[62:63], v[48:49] op_sel_hi:[0,1]
	v_pk_mul_f32 v[46:47], v[62:63], v[46:47] op_sel_hi:[0,1]
	v_cvt_f16_f32_e32 v46, v46
	v_cvt_f16_f32_e32 v47, v47
	;; [unrolled: 1-line block ×4, first 2 shown]
	v_pk_mul_f32 v[42:43], v[62:63], v[42:43] op_sel_hi:[0,1]
	v_pk_mul_f32 v[44:45], v[62:63], v[44:45] op_sel_hi:[0,1]
	v_pack_b32_f16 v46, v46, v47
	v_pack_b32_f16 v47, v48, v49
	v_cvt_f16_f32_e32 v44, v44
	v_cvt_f16_f32_e32 v45, v45
	;; [unrolled: 1-line block ×4, first 2 shown]
	v_lshlrev_b32_e32 v48, 3, v1
	v_lshlrev_b32_e32 v42, 11, v58
	v_or3_b32 v58, v42, v60, v48
	v_pack_b32_f16 v42, v44, v45
	v_pack_b32_f16 v43, v49, v43
	v_pk_mul_f32 v[38:39], v[62:63], v[38:39] op_sel_hi:[0,1]
	v_pk_mul_f32 v[40:41], v[62:63], v[40:41] op_sel_hi:[0,1]
	;; [unrolled: 1-line block ×4, first 2 shown]
	ds_write2st64_b64 v58, v[46:47], v[42:43] offset1:1
	v_cvt_f16_f32_e32 v40, v40
	v_cvt_f16_f32_e32 v41, v41
	v_cvt_f16_f32_e32 v38, v38
	v_cvt_f16_f32_e32 v39, v39
	v_cvt_f16_f32_e32 v36, v36
	v_cvt_f16_f32_e32 v37, v37
	v_cvt_f16_f32_e32 v42, v34
	v_cvt_f16_f32_e32 v43, v35
	v_pack_b32_f16 v34, v40, v41
	v_pack_b32_f16 v35, v38, v39
	;; [unrolled: 1-line block ×4, first 2 shown]
	v_cmp_gt_u32_e32 vcc, 16, v0
	ds_write2st64_b64 v58, v[34:35], v[36:37] offset0:2 offset1:3
	s_and_saveexec_b64 s[4:5], vcc
	s_cbranch_execz .LBB983_15
; %bb.14:
	v_mov_b32_e32 v51, 0
	v_mov_b32_e32 v34, s7
	s_mul_i32 s3, s3, s7
	v_mad_u64_u32 v[34:35], s[12:13], s2, v34, v[50:51]
	v_mov_b32_e32 v50, s30
	s_load_dwordx4 s[8:11], s[0:1], 0x58
	v_add_u32_e32 v37, s3, v35
	v_mad_u64_u32 v[34:35], s[12:13], v34, s6, v[50:51]
	v_mov_b32_e32 v36, v35
	v_mad_u64_u32 v[36:37], s[12:13], v37, s6, v[36:37]
	v_mov_b32_e32 v35, v36
	v_lshlrev_b64 v[34:35], 2, v[34:35]
	s_waitcnt lgkmcnt(0)
	v_lshl_add_u64 v[36:37], s[10:11], 0, v[34:35]
	v_lshl_add_u64 v[34:35], s[8:9], 0, v[34:35]
	global_store_dword v[36:37], v52, off
	global_store_dword v[34:35], v53, off
.LBB983_15:
	s_or_b64 exec, exec, s[4:5]
	s_waitcnt vmcnt(7)
	v_cvt_pk_f32_fp8_e32 v[34:35], v30
	v_cvt_pk_f32_fp8_sdwa v[36:37], v30 src0_sel:WORD_1
	s_waitcnt lgkmcnt(0)
	s_barrier
	v_cvt_pk_f32_fp8_e32 v[38:39], v31
	v_cvt_pkrtz_f16_f32 v30, v34, v35
	v_cvt_pk_f32_fp8_sdwa v[40:41], v31 src0_sel:WORD_1
	v_cvt_pkrtz_f16_f32 v31, v36, v37
	ds_read_b128 v[34:37], v55
	v_cvt_pkrtz_f16_f32 v46, v38, v39
	v_cvt_pkrtz_f16_f32 v47, v40, v41
	ds_read_b128 v[38:41], v55 offset:16
	v_cvt_pk_f32_fp8_e32 v[48:49], v32
	v_cvt_pk_f32_fp8_sdwa v[50:51], v32 src0_sel:WORD_1
	s_waitcnt lgkmcnt(1)
	v_mfma_f32_16x16x16_f16 v[42:45], v[30:31], v[34:35], 0
	s_waitcnt vmcnt(6)
	v_cvt_pk_f32_fp8_e32 v[52:53], v28
	v_cvt_pkrtz_f16_f32 v30, v48, v49
	v_cvt_pkrtz_f16_f32 v31, v50, v51
	v_cvt_pk_f32_fp8_e32 v[48:49], v33
	v_mfma_f32_16x16x16_f16 v[42:45], v[46:47], v[36:37], v[42:45]
	v_cvt_pk_f32_fp8_sdwa v[46:47], v33 src0_sel:WORD_1
	v_cvt_pk_f32_fp8_sdwa v[60:61], v28 src0_sel:WORD_1
	v_cvt_pkrtz_f16_f32 v48, v48, v49
	s_waitcnt lgkmcnt(0)
	v_mfma_f32_16x16x16_f16 v[30:33], v[30:31], v[38:39], v[42:45]
	v_cvt_pkrtz_f16_f32 v49, v46, v47
	s_waitcnt vmcnt(5)
	v_cvt_pk_f32_fp8_e32 v[62:63], v24
	v_cvt_pk_f32_fp8_sdwa v[64:65], v24 src0_sel:WORD_1
	v_cvt_pk_f32_fp8_e32 v[42:43], v26
	v_mfma_f32_16x16x16_f16 v[46:49], v[48:49], v[40:41], v[30:33]
	s_waitcnt vmcnt(4)
	v_cvt_pk_f32_fp8_e32 v[66:67], v12
	v_cvt_pk_f32_fp8_sdwa v[68:69], v12 src0_sel:WORD_1
	v_cvt_pk_f32_fp8_sdwa v[30:31], v26 src0_sel:WORD_1
	v_cvt_pk_f32_fp8_e32 v[32:33], v27
	v_cvt_pkrtz_f16_f32 v26, v42, v43
	v_cvt_pk_f32_fp8_sdwa v[42:43], v27 src0_sel:WORD_1
	v_cvt_pkrtz_f16_f32 v27, v30, v31
	v_cvt_pkrtz_f16_f32 v50, v32, v33
	ds_read_b128 v[30:33], v55 offset:2048
	v_cvt_pkrtz_f16_f32 v51, v42, v43
	ds_read_b128 v[42:45], v55 offset:2064
	s_waitcnt lgkmcnt(1)
	v_mfma_f32_16x16x16_f16 v[46:49], v[26:27], v[30:31], v[46:49]
	v_cvt_pkrtz_f16_f32 v26, v52, v53
	v_cvt_pkrtz_f16_f32 v27, v60, v61
	v_cvt_pk_f32_fp8_e32 v[52:53], v29
	v_mfma_f32_16x16x16_f16 v[46:49], v[50:51], v[32:33], v[46:49]
	v_cvt_pk_f32_fp8_sdwa v[50:51], v29 src0_sel:WORD_1
	s_load_dword s4, s[42:43], 0x0
	v_cvt_pkrtz_f16_f32 v52, v52, v53
	s_waitcnt lgkmcnt(0)
	v_mfma_f32_16x16x16_f16 v[26:29], v[26:27], v[42:43], v[46:49]
	v_cvt_pkrtz_f16_f32 v53, v50, v51
	s_mov_b32 s3, 0
	v_cmp_gt_u32_e32 vcc, 64, v0
	v_cvt_pk_f32_fp8_e32 v[46:47], v22
	v_mfma_f32_16x16x16_f16 v[50:53], v[52:53], v[44:45], v[26:29]
	s_nop 2
	v_cvt_pk_f32_fp8_sdwa v[26:27], v22 src0_sel:WORD_1
	v_cvt_pk_f32_fp8_e32 v[28:29], v23
	v_cvt_pkrtz_f16_f32 v22, v46, v47
	v_cvt_pk_f32_fp8_sdwa v[46:47], v23 src0_sel:WORD_1
	v_cvt_pkrtz_f16_f32 v23, v26, v27
	v_cvt_pkrtz_f16_f32 v60, v28, v29
	ds_read_b128 v[26:29], v55 offset:4096
	v_cvt_pkrtz_f16_f32 v61, v46, v47
	ds_read_b128 v[46:49], v55 offset:4112
	s_waitcnt lgkmcnt(1)
	v_mfma_f32_16x16x16_f16 v[50:53], v[22:23], v[26:27], v[50:53]
	v_cvt_pkrtz_f16_f32 v22, v62, v63
	v_cvt_pkrtz_f16_f32 v23, v64, v65
	v_cvt_pk_f32_fp8_e32 v[62:63], v25
	v_mfma_f32_16x16x16_f16 v[50:53], v[60:61], v[28:29], v[50:53]
	v_cvt_pk_f32_fp8_sdwa v[60:61], v25 src0_sel:WORD_1
	v_cvt_pkrtz_f16_f32 v62, v62, v63
	s_waitcnt lgkmcnt(0)
	v_mfma_f32_16x16x16_f16 v[22:25], v[22:23], v[46:47], v[50:53]
	v_cvt_pkrtz_f16_f32 v63, v60, v61
	s_nop 1
	v_cvt_pk_f32_fp8_e32 v[50:51], v10
	v_mfma_f32_16x16x16_f16 v[60:63], v[62:63], v[48:49], v[22:25]
	s_nop 2
	v_cvt_pk_f32_fp8_sdwa v[22:23], v10 src0_sel:WORD_1
	v_cvt_pk_f32_fp8_e32 v[24:25], v11
	v_cvt_pkrtz_f16_f32 v10, v50, v51
	v_cvt_pk_f32_fp8_sdwa v[50:51], v11 src0_sel:WORD_1
	v_cvt_pkrtz_f16_f32 v11, v22, v23
	v_cvt_pkrtz_f16_f32 v64, v24, v25
	ds_read_b128 v[22:25], v55 offset:6144
	v_cvt_pkrtz_f16_f32 v65, v50, v51
	ds_read_b128 v[50:53], v55 offset:6160
	s_waitcnt lgkmcnt(1)
	v_mfma_f32_16x16x16_f16 v[60:63], v[10:11], v[22:23], v[60:63]
	v_cvt_pkrtz_f16_f32 v10, v66, v67
	v_cvt_pkrtz_f16_f32 v11, v68, v69
	v_cvt_pk_f32_fp8_e32 v[66:67], v13
	v_mfma_f32_16x16x16_f16 v[60:63], v[64:65], v[24:25], v[60:63]
	v_cvt_pk_f32_fp8_sdwa v[64:65], v13 src0_sel:WORD_1
	s_waitcnt vmcnt(3)
	v_cvt_pk_f32_fp8_sdwa v[68:69], v20 src0_sel:WORD_1
	v_cvt_pkrtz_f16_f32 v66, v66, v67
	s_waitcnt lgkmcnt(0)
	v_mfma_f32_16x16x16_f16 v[10:13], v[10:11], v[50:51], v[60:63]
	v_cvt_pkrtz_f16_f32 v67, v64, v65
	v_cvt_pk_f32_fp8_e32 v[64:65], v19
	s_nop 0
	v_cvt_pk_f32_fp8_e32 v[60:61], v18
	v_cvt_pk_f32_fp8_sdwa v[62:63], v18 src0_sel:WORD_1
	v_cvt_pk_f32_fp8_sdwa v[18:19], v19 src0_sel:WORD_1
	v_mfma_f32_16x16x16_f16 v[10:13], v[66:67], v[52:53], v[10:13]
	v_cvt_pkrtz_f16_f32 v60, v60, v61
	v_cvt_pkrtz_f16_f32 v61, v62, v63
	;; [unrolled: 1-line block ×3, first 2 shown]
	v_cvt_pk_f32_fp8_e32 v[66:67], v20
	v_cvt_pkrtz_f16_f32 v65, v18, v19
	v_mfma_f32_16x16x16_f16 v[60:63], v[60:61], v[34:35], 0
	v_cvt_pkrtz_f16_f32 v18, v66, v67
	v_cvt_pkrtz_f16_f32 v19, v68, v69
	v_cvt_pk_f32_fp8_e32 v[66:67], v21
	v_mfma_f32_16x16x16_f16 v[34:37], v[64:65], v[36:37], v[60:63]
	v_pk_mul_f32 v[12:13], v[12:13], s[4:5] op_sel_hi:[1,0]
	v_pk_mul_f32 v[10:11], v[10:11], s[4:5] op_sel_hi:[1,0]
	s_barrier
	v_cvt_pk_f32_fp8_sdwa v[60:61], v21 src0_sel:WORD_1
	v_cvt_pkrtz_f16_f32 v62, v66, v67
	v_mfma_f32_16x16x16_f16 v[18:21], v[18:19], v[38:39], v[34:37]
	s_waitcnt vmcnt(2)
	v_cvt_pk_f32_fp8_e32 v[38:39], v7
	v_cvt_pkrtz_f16_f32 v63, v60, v61
	v_cvt_pk_f32_fp8_e32 v[34:35], v6
	v_cvt_pk_f32_fp8_sdwa v[36:37], v6 src0_sel:WORD_1
	v_cvt_pk_f32_fp8_sdwa v[6:7], v7 src0_sel:WORD_1
	v_mfma_f32_16x16x16_f16 v[18:21], v[62:63], v[40:41], v[18:21]
	v_cvt_pkrtz_f16_f32 v34, v34, v35
	v_cvt_pkrtz_f16_f32 v35, v36, v37
	v_cvt_pkrtz_f16_f32 v36, v38, v39
	v_cvt_pk_f32_fp8_e32 v[38:39], v8
	v_cvt_pk_f32_fp8_sdwa v[40:41], v8 src0_sel:WORD_1
	v_cvt_pkrtz_f16_f32 v37, v6, v7
	v_mfma_f32_16x16x16_f16 v[18:21], v[34:35], v[30:31], v[18:21]
	v_cvt_pkrtz_f16_f32 v30, v38, v39
	v_cvt_pkrtz_f16_f32 v31, v40, v41
	v_cvt_pk_f32_fp8_e32 v[34:35], v9
	v_cvt_pk_f32_fp8_sdwa v[38:39], v9 src0_sel:WORD_1
	v_mfma_f32_16x16x16_f16 v[6:9], v[36:37], v[32:33], v[18:21]
	s_waitcnt vmcnt(1)
	v_cvt_pk_f32_fp8_sdwa v[32:33], v16 src0_sel:WORD_1
	s_nop 0
	v_cvt_pkrtz_f16_f32 v18, v34, v35
	v_cvt_pkrtz_f16_f32 v19, v38, v39
	v_mfma_f32_16x16x16_f16 v[6:9], v[30:31], v[42:43], v[6:9]
	v_cvt_pk_f32_fp8_e32 v[20:21], v14
	v_cvt_pk_f32_fp8_sdwa v[30:31], v14 src0_sel:WORD_1
	v_cvt_pkrtz_f16_f32 v20, v20, v21
	v_mfma_f32_16x16x16_f16 v[6:9], v[18:19], v[44:45], v[6:9]
	v_cvt_pk_f32_fp8_e32 v[18:19], v15
	v_cvt_pkrtz_f16_f32 v21, v30, v31
	v_cvt_pk_f32_fp8_sdwa v[14:15], v15 src0_sel:WORD_1
	v_cvt_pk_f32_fp8_e32 v[30:31], v16
	v_cvt_pkrtz_f16_f32 v18, v18, v19
	v_mfma_f32_16x16x16_f16 v[6:9], v[20:21], v[26:27], v[6:9]
	v_cvt_pkrtz_f16_f32 v19, v14, v15
	v_cvt_pkrtz_f16_f32 v14, v30, v31
	;; [unrolled: 1-line block ×3, first 2 shown]
	v_cvt_pk_f32_fp8_e32 v[20:21], v17
	v_cvt_pk_f32_fp8_sdwa v[16:17], v17 src0_sel:WORD_1
	v_mfma_f32_16x16x16_f16 v[6:9], v[18:19], v[28:29], v[6:9]
	v_cvt_pkrtz_f16_f32 v18, v20, v21
	v_cvt_pkrtz_f16_f32 v19, v16, v17
	v_mfma_f32_16x16x16_f16 v[6:9], v[14:15], v[46:47], v[6:9]
	s_waitcnt vmcnt(0)
	v_cvt_pk_f32_fp8_e32 v[14:15], v2
	v_cvt_pk_f32_fp8_sdwa v[16:17], v2 src0_sel:WORD_1
	v_cvt_pk_f32_fp8_sdwa v[20:21], v4 src0_sel:WORD_1
	v_mfma_f32_16x16x16_f16 v[6:9], v[18:19], v[48:49], v[6:9]
	v_cvt_pk_f32_fp8_e32 v[18:19], v3
	v_cvt_pkrtz_f16_f32 v14, v14, v15
	v_cvt_pkrtz_f16_f32 v15, v16, v17
	v_cvt_pk_f32_fp8_sdwa v[2:3], v3 src0_sel:WORD_1
	v_cvt_pkrtz_f16_f32 v16, v18, v19
	v_cvt_pk_f32_fp8_e32 v[18:19], v4
	v_mfma_f32_16x16x16_f16 v[6:9], v[14:15], v[22:23], v[6:9]
	v_cvt_pkrtz_f16_f32 v17, v2, v3
	v_cvt_pkrtz_f16_f32 v14, v18, v19
	;; [unrolled: 1-line block ×3, first 2 shown]
	v_cvt_pk_f32_fp8_e32 v[18:19], v5
	v_cvt_pk_f32_fp8_sdwa v[20:21], v5 src0_sel:WORD_1
	v_mfma_f32_16x16x16_f16 v[2:5], v[16:17], v[24:25], v[6:9]
	s_nop 2
	v_cvt_pkrtz_f16_f32 v6, v18, v19
	v_cvt_pkrtz_f16_f32 v7, v20, v21
	v_mfma_f32_16x16x16_f16 v[2:5], v[14:15], v[50:51], v[2:5]
	v_cvt_f16_f32_e32 v8, v10
	v_cvt_f16_f32_e32 v9, v11
	v_cvt_f16_f32_e32 v10, v12
	v_mfma_f32_16x16x16_f16 v[2:5], v[6:7], v[52:53], v[2:5]
	v_cvt_f16_f32_e32 v11, v13
	s_nop 5
	v_pk_mul_f32 v[4:5], v[4:5], s[4:5] op_sel_hi:[1,0]
	v_pk_mul_f32 v[2:3], v[2:3], s[4:5] op_sel_hi:[1,0]
	v_cvt_f16_f32_e32 v12, v4
	v_cvt_f16_f32_e32 v6, v2
	;; [unrolled: 1-line block ×4, first 2 shown]
	v_pack_b32_f16 v2, v8, v9
	v_pack_b32_f16 v3, v10, v11
	;; [unrolled: 1-line block ×4, first 2 shown]
	ds_write2st64_b64 v58, v[2:3], v[4:5] offset1:1
	s_waitcnt lgkmcnt(0)
	s_barrier
	s_and_saveexec_b64 s[4:5], vcc
	s_cbranch_execz .LBB983_17
; %bb.16:
	s_load_dwordx2 s[0:1], s[0:1], 0x68
	s_lshl_b32 s6, s6, 7
	s_mul_i32 s2, s7, s2
	s_mul_hi_u32 s5, s2, s6
	s_mul_i32 s4, s2, s6
	s_lshl_b64 s[4:5], s[4:5], 1
	s_waitcnt lgkmcnt(0)
	s_add_u32 s4, s0, s4
	v_lshlrev_b32_e32 v4, 6, v56
	s_addc_u32 s5, s1, s5
	s_lshl_b32 s2, s30, 7
	v_lshl_or_b32 v0, v0, 10, v4
	s_lshl_b64 s[0:1], s[2:3], 1
	v_lshlrev_b32_e32 v2, 5, v1
	v_and_b32_e32 v3, 16, v57
	v_and_b32_e32 v0, 0x1a00, v0
	s_add_u32 s0, s4, s0
	v_or3_b32 v0, v0, v2, v3
	s_addc_u32 s1, s5, s1
	v_mov_b32_e32 v55, 0
	v_or_b32_e32 v20, s31, v1
	ds_read_b128 v[2:5], v0
	ds_read_b128 v[6:9], v0 offset:128
	ds_read_b128 v[10:13], v0 offset:256
	;; [unrolled: 1-line block ×3, first 2 shown]
	v_lshl_add_u64 v[18:19], s[0:1], 0, v[54:55]
	v_mad_u64_u32 v[0:1], s[0:1], v20, s6, 0
	v_lshl_add_u64 v[0:1], v[0:1], 1, v[18:19]
	s_waitcnt lgkmcnt(3)
	global_store_dwordx4 v[0:1], v[2:5], off
	v_or_b32_e32 v0, 4, v20
	v_mad_u64_u32 v[0:1], s[0:1], v0, s6, 0
	v_lshl_add_u64 v[0:1], v[0:1], 1, v[18:19]
	s_waitcnt lgkmcnt(2)
	global_store_dwordx4 v[0:1], v[6:9], off
	v_or_b32_e32 v0, 8, v20
	;; [unrolled: 5-line block ×3, first 2 shown]
	v_mad_u64_u32 v[0:1], s[0:1], v0, s6, 0
	v_lshl_add_u64 v[0:1], v[0:1], 1, v[18:19]
	s_waitcnt lgkmcnt(0)
	global_store_dwordx4 v[0:1], v[14:17], off
.LBB983_17:
	s_endpgm
	.section	.rodata,"a",@progbits
	.p2align	6, 0x0
	.amdhsa_kernel _Z39paged_attention_ll4mi_QKV_mfma16_kernelIDF16_hLN4vllm18Fp8KVCacheDataTypeE1EDF16_Li16ELi128ELi256ELb1ELi16EEvPKT_PKT0_S7_ifPKiS9_S9_iPKfiiiPfSC_PS2_PT2_iSB_SB_
		.amdhsa_group_segment_fixed_size 8192
		.amdhsa_private_segment_fixed_size 0
		.amdhsa_kernarg_size 400
		.amdhsa_user_sgpr_count 2
		.amdhsa_user_sgpr_dispatch_ptr 0
		.amdhsa_user_sgpr_queue_ptr 0
		.amdhsa_user_sgpr_kernarg_segment_ptr 1
		.amdhsa_user_sgpr_dispatch_id 0
		.amdhsa_user_sgpr_kernarg_preload_length 0
		.amdhsa_user_sgpr_kernarg_preload_offset 0
		.amdhsa_user_sgpr_private_segment_size 0
		.amdhsa_uses_dynamic_stack 0
		.amdhsa_enable_private_segment 0
		.amdhsa_system_sgpr_workgroup_id_x 1
		.amdhsa_system_sgpr_workgroup_id_y 1
		.amdhsa_system_sgpr_workgroup_id_z 1
		.amdhsa_system_sgpr_workgroup_info 0
		.amdhsa_system_vgpr_workitem_id 0
		.amdhsa_next_free_vgpr 94
		.amdhsa_next_free_sgpr 48
		.amdhsa_accum_offset 96
		.amdhsa_reserve_vcc 1
		.amdhsa_float_round_mode_32 0
		.amdhsa_float_round_mode_16_64 0
		.amdhsa_float_denorm_mode_32 3
		.amdhsa_float_denorm_mode_16_64 3
		.amdhsa_dx10_clamp 1
		.amdhsa_ieee_mode 1
		.amdhsa_fp16_overflow 0
		.amdhsa_tg_split 0
		.amdhsa_exception_fp_ieee_invalid_op 0
		.amdhsa_exception_fp_denorm_src 0
		.amdhsa_exception_fp_ieee_div_zero 0
		.amdhsa_exception_fp_ieee_overflow 0
		.amdhsa_exception_fp_ieee_underflow 0
		.amdhsa_exception_fp_ieee_inexact 0
		.amdhsa_exception_int_div_zero 0
	.end_amdhsa_kernel
	.section	.text._Z39paged_attention_ll4mi_QKV_mfma16_kernelIDF16_hLN4vllm18Fp8KVCacheDataTypeE1EDF16_Li16ELi128ELi256ELb1ELi16EEvPKT_PKT0_S7_ifPKiS9_S9_iPKfiiiPfSC_PS2_PT2_iSB_SB_,"axG",@progbits,_Z39paged_attention_ll4mi_QKV_mfma16_kernelIDF16_hLN4vllm18Fp8KVCacheDataTypeE1EDF16_Li16ELi128ELi256ELb1ELi16EEvPKT_PKT0_S7_ifPKiS9_S9_iPKfiiiPfSC_PS2_PT2_iSB_SB_,comdat
.Lfunc_end983:
	.size	_Z39paged_attention_ll4mi_QKV_mfma16_kernelIDF16_hLN4vllm18Fp8KVCacheDataTypeE1EDF16_Li16ELi128ELi256ELb1ELi16EEvPKT_PKT0_S7_ifPKiS9_S9_iPKfiiiPfSC_PS2_PT2_iSB_SB_, .Lfunc_end983-_Z39paged_attention_ll4mi_QKV_mfma16_kernelIDF16_hLN4vllm18Fp8KVCacheDataTypeE1EDF16_Li16ELi128ELi256ELb1ELi16EEvPKT_PKT0_S7_ifPKiS9_S9_iPKfiiiPfSC_PS2_PT2_iSB_SB_
                                        ; -- End function
	.section	.AMDGPU.csdata,"",@progbits
; Kernel info:
; codeLenInByte = 6268
; NumSgprs: 54
; NumVgprs: 94
; NumAgprs: 0
; TotalNumVgprs: 94
; ScratchSize: 0
; MemoryBound: 0
; FloatMode: 240
; IeeeMode: 1
; LDSByteSize: 8192 bytes/workgroup (compile time only)
; SGPRBlocks: 6
; VGPRBlocks: 11
; NumSGPRsForWavesPerEU: 54
; NumVGPRsForWavesPerEU: 94
; AccumOffset: 96
; Occupancy: 5
; WaveLimiterHint : 1
; COMPUTE_PGM_RSRC2:SCRATCH_EN: 0
; COMPUTE_PGM_RSRC2:USER_SGPR: 2
; COMPUTE_PGM_RSRC2:TRAP_HANDLER: 0
; COMPUTE_PGM_RSRC2:TGID_X_EN: 1
; COMPUTE_PGM_RSRC2:TGID_Y_EN: 1
; COMPUTE_PGM_RSRC2:TGID_Z_EN: 1
; COMPUTE_PGM_RSRC2:TIDIG_COMP_CNT: 0
; COMPUTE_PGM_RSRC3_GFX90A:ACCUM_OFFSET: 23
; COMPUTE_PGM_RSRC3_GFX90A:TG_SPLIT: 0
	.section	.text._Z39paged_attention_ll4mi_QKV_mfma16_kernelIDF16_hLN4vllm18Fp8KVCacheDataTypeE1EDF16_Li16ELi128ELi256ELb1ELi1EEvPKT_PKT0_S7_ifPKiS9_S9_iPKfiiiPfSC_PS2_PT2_iSB_SB_,"axG",@progbits,_Z39paged_attention_ll4mi_QKV_mfma16_kernelIDF16_hLN4vllm18Fp8KVCacheDataTypeE1EDF16_Li16ELi128ELi256ELb1ELi1EEvPKT_PKT0_S7_ifPKiS9_S9_iPKfiiiPfSC_PS2_PT2_iSB_SB_,comdat
	.protected	_Z39paged_attention_ll4mi_QKV_mfma16_kernelIDF16_hLN4vllm18Fp8KVCacheDataTypeE1EDF16_Li16ELi128ELi256ELb1ELi1EEvPKT_PKT0_S7_ifPKiS9_S9_iPKfiiiPfSC_PS2_PT2_iSB_SB_ ; -- Begin function _Z39paged_attention_ll4mi_QKV_mfma16_kernelIDF16_hLN4vllm18Fp8KVCacheDataTypeE1EDF16_Li16ELi128ELi256ELb1ELi1EEvPKT_PKT0_S7_ifPKiS9_S9_iPKfiiiPfSC_PS2_PT2_iSB_SB_
	.globl	_Z39paged_attention_ll4mi_QKV_mfma16_kernelIDF16_hLN4vllm18Fp8KVCacheDataTypeE1EDF16_Li16ELi128ELi256ELb1ELi1EEvPKT_PKT0_S7_ifPKiS9_S9_iPKfiiiPfSC_PS2_PT2_iSB_SB_
	.p2align	8
	.type	_Z39paged_attention_ll4mi_QKV_mfma16_kernelIDF16_hLN4vllm18Fp8KVCacheDataTypeE1EDF16_Li16ELi128ELi256ELb1ELi1EEvPKT_PKT0_S7_ifPKiS9_S9_iPKfiiiPfSC_PS2_PT2_iSB_SB_,@function
_Z39paged_attention_ll4mi_QKV_mfma16_kernelIDF16_hLN4vllm18Fp8KVCacheDataTypeE1EDF16_Li16ELi128ELi256ELb1ELi1EEvPKT_PKT0_S7_ifPKiS9_S9_iPKfiiiPfSC_PS2_PT2_iSB_SB_: ; @_Z39paged_attention_ll4mi_QKV_mfma16_kernelIDF16_hLN4vllm18Fp8KVCacheDataTypeE1EDF16_Li16ELi128ELi256ELb1ELi1EEvPKT_PKT0_S7_ifPKiS9_S9_iPKfiiiPfSC_PS2_PT2_iSB_SB_
; %bb.0:
	s_load_dwordx2 s[8:9], s[0:1], 0x30
	s_mov_b32 s33, s3
	s_mov_b64 s[6:7], 0
	s_waitcnt lgkmcnt(0)
	s_cmp_lg_u64 s[8:9], 0
	s_cselect_b64 s[10:11], -1, 0
	s_and_b64 vcc, exec, s[10:11]
	s_cbranch_vccz .LBB984_7
; %bb.1:
	s_add_i32 s12, s2, 1
	s_mov_b32 s13, 0
	s_lshl_b64 s[14:15], s[12:13], 2
	s_add_u32 s14, s8, s14
	s_mov_b32 s3, s13
	s_addc_u32 s15, s9, s15
	s_lshl_b64 s[12:13], s[2:3], 2
	s_add_u32 s12, s8, s12
	s_addc_u32 s13, s9, s13
	s_load_dword s5, s[14:15], 0x0
	s_load_dword s16, s[12:13], 0x0
	s_waitcnt lgkmcnt(0)
	s_sub_i32 s5, s5, s16
	s_cmp_eq_u32 s5, 1
	s_cselect_b64 s[12:13], -1, 0
	s_andn2_b64 vcc, exec, s[6:7]
	s_cbranch_vccnz .LBB984_3
.LBB984_2:
	s_mov_b32 s3, 0
	s_mov_b64 s[12:13], -1
.LBB984_3:
	s_andn2_b64 vcc, exec, s[12:13]
	s_cbranch_vccnz .LBB984_19
; %bb.4:
	s_load_dwordx2 s[6:7], s[0:1], 0x28
	s_lshl_b64 s[12:13], s[2:3], 2
	s_waitcnt lgkmcnt(0)
	s_add_u32 s6, s6, s12
	s_addc_u32 s7, s7, s13
	s_load_dword s38, s[6:7], 0x0
	s_lshl_b32 s16, s33, 8
	s_waitcnt lgkmcnt(0)
	s_cmp_ge_i32 s16, s38
	s_cbranch_scc1 .LBB984_19
; %bb.5:
	s_load_dwordx2 s[6:7], s[0:1], 0x20
	s_load_dword s5, s[0:1], 0x38
	s_add_i32 s14, s38, 15
	s_ashr_i32 s15, s14, 31
	v_and_b32_e32 v1, 0xcf, v0
	s_lshr_b32 s15, s15, 28
	v_add_u32_e32 v1, s16, v1
	s_add_i32 s14, s14, s15
	v_ashrrev_i32_e32 v2, 31, v1
	s_ashr_i32 s17, s14, 4
	v_lshrrev_b32_e32 v4, 28, v2
	s_add_i32 s17, s17, -1
	s_waitcnt lgkmcnt(0)
	s_mul_i32 s14, s2, s5
	s_mov_b32 s15, 0
	v_add_u32_e32 v2, v1, v4
	s_lshl_b64 s[14:15], s[14:15], 2
	v_ashrrev_i32_e32 v2, 4, v2
	v_mov_b32_e32 v5, s17
	v_cmp_gt_i32_e32 vcc, s38, v1
	s_add_u32 s6, s6, s14
	s_addc_u32 s7, s7, s15
	v_cndmask_b32_e32 v2, v5, v2, vcc
	v_ashrrev_i32_e32 v3, 31, v2
	v_lshl_add_u64 v[6:7], v[2:3], 2, s[6:7]
	v_or_b32_e32 v2, 16, v1
	v_add_u32_e32 v3, v2, v4
	v_ashrrev_i32_e32 v3, 4, v3
	v_cmp_gt_i32_e32 vcc, s38, v2
	s_load_dwordx2 s[14:15], s[0:1], 0x8
	s_nop 0
	v_cndmask_b32_e32 v2, v5, v3, vcc
	v_ashrrev_i32_e32 v3, 31, v2
	v_lshl_add_u64 v[8:9], v[2:3], 2, s[6:7]
	v_or_b32_e32 v2, 32, v1
	v_add_u32_e32 v3, v2, v4
	v_ashrrev_i32_e32 v3, 4, v3
	v_cmp_gt_i32_e32 vcc, s38, v2
	v_or_b32_e32 v1, 48, v1
	s_nop 0
	v_cndmask_b32_e32 v2, v5, v3, vcc
	v_ashrrev_i32_e32 v3, 31, v2
	v_lshl_add_u64 v[10:11], v[2:3], 2, s[6:7]
	v_add_u32_e32 v2, v1, v4
	v_ashrrev_i32_e32 v2, 4, v2
	v_cmp_gt_i32_e32 vcc, s38, v1
	s_nop 1
	v_cndmask_b32_e32 v2, v5, v2, vcc
	v_ashrrev_i32_e32 v3, 31, v2
	v_lshl_add_u64 v[12:13], v[2:3], 2, s[6:7]
	global_load_dword v4, v[6:7], off
	global_load_dword v3, v[8:9], off
	;; [unrolled: 1-line block ×4, first 2 shown]
	s_andn2_b64 vcc, exec, s[10:11]
	s_cbranch_vccnz .LBB984_8
; %bb.6:
	s_add_u32 s8, s8, s12
	s_addc_u32 s9, s9, s13
	s_load_dword s5, s[8:9], 0x0
	s_branch .LBB984_9
.LBB984_7:
	s_mov_b64 s[12:13], 0
	s_branch .LBB984_2
.LBB984_8:
	s_mov_b32 s5, s2
.LBB984_9:
	s_load_dwordx2 s[8:9], s[0:1], 0x10
	s_load_dwordx4 s[44:47], s[0:1], 0x48
	v_lshrrev_b32_e32 v59, 6, v0
	v_bfe_u32 v56, v0, 4, 2
	v_and_b32_e32 v57, 15, v0
	v_lshl_or_b32 v1, v59, 2, v56
	v_lshlrev_b32_e32 v5, 3, v57
	v_cmp_eq_u32_e32 vcc, 0, v1
	v_lshlrev_b32_e32 v1, 1, v5
	v_lshlrev_b32_e32 v58, 4, v0
	s_and_saveexec_b64 s[10:11], vcc
	s_cbranch_execz .LBB984_11
; %bb.10:
	s_load_dwordx2 s[12:13], s[0:1], 0x0
	s_waitcnt lgkmcnt(0)
	s_ashr_i32 s18, s44, 31
	s_mul_hi_u32 s19, s5, s44
	s_mul_i32 s18, s5, s18
	s_add_i32 s19, s19, s18
	s_mul_i32 s18, s5, s44
	s_lshl_b64 s[18:19], s[18:19], 1
	s_add_u32 s5, s12, s18
	s_addc_u32 s18, s13, s19
	s_lshl_b32 s12, s4, 7
	s_ashr_i32 s13, s12, 31
	s_lshl_b64 s[12:13], s[12:13], 1
	s_add_u32 s12, s5, s12
	s_addc_u32 s13, s18, s13
	global_load_dwordx4 v[6:9], v1, s[12:13]
	v_lshlrev_b32_e32 v5, 8, v0
	v_lshlrev_b32_e32 v10, 8, v57
	v_and_b32_e32 v5, 0x600, v5
	v_and_b32_e32 v10, 0x800, v10
	;; [unrolled: 1-line block ×3, first 2 shown]
	v_or3_b32 v5, v10, v5, v11
	s_waitcnt vmcnt(0)
	ds_write_b128 v5, v[6:9]
.LBB984_11:
	s_or_b64 exec, exec, s[10:11]
	s_waitcnt lgkmcnt(0)
	s_mul_i32 s12, s4, s46
	s_add_u32 s10, s14, s12
	s_addc_u32 s11, s15, 0
	v_and_b32_e32 v54, 0xf0, v58
	v_mov_b32_e32 v55, 0
	v_and_b32_e32 v50, 48, v0
	v_lshl_add_u64 v[20:21], s[10:11], 0, v[54:55]
	v_lshlrev_b32_e32 v54, 4, v50
	s_waitcnt vmcnt(3)
	v_mad_i64_i32 v[4:5], s[10:11], v4, s45, v[20:21]
	v_lshl_add_u64 v[4:5], v[4:5], 0, v[54:55]
	s_barrier
	global_load_dwordx4 v[46:49], v[4:5], off
	global_load_dwordx4 v[14:17], v[4:5], off offset:1024
	s_waitcnt vmcnt(4)
	v_mad_i64_i32 v[4:5], s[10:11], v3, s45, v[20:21]
	s_waitcnt vmcnt(3)
	v_mad_i64_i32 v[2:3], s[10:11], v2, s45, v[20:21]
	;; [unrolled: 2-line block ×3, first 2 shown]
	v_lshl_add_u64 v[4:5], v[4:5], 0, v[54:55]
	v_lshl_add_u64 v[22:23], v[2:3], 0, v[54:55]
	;; [unrolled: 1-line block ×3, first 2 shown]
	global_load_dwordx4 v[10:13], v[4:5], off
	global_load_dwordx4 v[6:9], v[4:5], off offset:1024
	s_nop 0
	global_load_dwordx4 v[2:5], v[22:23], off
	global_load_dwordx4 v[42:45], v[22:23], off offset:1024
	global_load_dwordx4 v[34:37], v[18:19], off
	s_nop 0
	global_load_dwordx4 v[22:25], v[18:19], off offset:1024
	v_lshlrev_b32_e32 v18, 9, v56
	ds_read_b128 v[38:41], v18
	ds_read_b128 v[30:33], v18 offset:16
	ds_read_b128 v[26:29], v18 offset:2048
	;; [unrolled: 1-line block ×3, first 2 shown]
	v_and_b32_e32 v60, 63, v0
	v_cmp_eq_u32_e32 vcc, 0, v57
	v_mov_b32_e32 v61, 0
	s_and_saveexec_b64 s[10:11], vcc
	s_cbranch_execz .LBB984_13
; %bb.12:
	s_load_dwordx2 s[14:15], s[0:1], 0x40
	s_ashr_i32 s5, s4, 31
	s_lshl_b64 s[18:19], s[4:5], 2
	s_waitcnt lgkmcnt(0)
	s_add_u32 s14, s14, s18
	s_addc_u32 s15, s15, s19
	s_load_dword s5, s[14:15], 0x0
	s_waitcnt lgkmcnt(0)
	v_mov_b32_e32 v61, s5
.LBB984_13:
	s_or_b64 exec, exec, s[10:11]
	s_waitcnt vmcnt(7)
	v_cvt_pk_f32_fp8_e32 v[64:65], v46
	v_cvt_pk_f32_fp8_sdwa v[66:67], v46 src0_sel:WORD_1
	v_cvt_pk_f32_fp8_e32 v[68:69], v47
	v_cvt_pk_f32_fp8_sdwa v[46:47], v47 src0_sel:WORD_1
	v_cvt_pkrtz_f16_f32 v64, v64, v65
	v_cvt_pkrtz_f16_f32 v65, v66, v67
	;; [unrolled: 1-line block ×3, first 2 shown]
	v_cvt_pk_f32_fp8_e32 v[70:71], v48
	v_cvt_pk_f32_fp8_sdwa v[72:73], v48 src0_sel:WORD_1
	v_cvt_pkrtz_f16_f32 v69, v46, v47
	s_waitcnt lgkmcnt(3)
	v_mfma_f32_16x16x16_f16 v[64:67], v[64:65], v[38:39], 0
	v_or_b32_e32 v54, s16, v50
	v_ashrrev_i32_e32 v50, 4, v54
	v_mov_b32_e32 v63, s17
	v_cmp_gt_i32_e32 vcc, s38, v54
	v_cvt_pkrtz_f16_f32 v70, v70, v71
	v_cvt_pkrtz_f16_f32 v71, v72, v73
	v_cvt_pk_f32_fp8_e32 v[72:73], v49
	v_cvt_pk_f32_fp8_sdwa v[74:75], v49 src0_sel:WORD_1
	v_cndmask_b32_e32 v50, v63, v50, vcc
	v_mfma_f32_16x16x16_f16 v[46:49], v[68:69], v[40:41], v[64:67]
	v_ashrrev_i32_e32 v51, 31, v50
	v_lshl_add_u64 v[50:51], v[50:51], 2, s[6:7]
	s_load_dword s5, s[0:1], 0x1c
	s_load_dwordx4 s[40:43], s[0:1], 0x80
	global_load_dword v62, v[50:51], off
	v_or_b32_e32 v50, 64, v54
	v_cvt_pkrtz_f16_f32 v64, v72, v73
	v_cvt_pkrtz_f16_f32 v65, v74, v75
	v_ashrrev_i32_e32 v51, 4, v50
	v_cmp_gt_i32_e32 vcc, s38, v50
	s_waitcnt lgkmcnt(0)
	v_mfma_f32_16x16x16_f16 v[46:49], v[70:71], v[30:31], v[46:49]
	s_waitcnt vmcnt(7)
	v_cvt_pk_f32_fp8_e32 v[68:69], v14
	v_cndmask_b32_e32 v50, v63, v51, vcc
	v_ashrrev_i32_e32 v51, 31, v50
	v_lshl_add_u64 v[52:53], v[50:51], 2, s[6:7]
	v_mfma_f32_16x16x16_f16 v[46:49], v[64:65], v[32:33], v[46:49]
	global_load_dword v64, v[52:53], off
	v_or_b32_e32 v50, 0x80, v54
	v_ashrrev_i32_e32 v51, 4, v50
	v_cmp_gt_i32_e32 vcc, s38, v50
	v_or_b32_e32 v54, 0xc0, v54
	v_ashrrev_i32_e32 v66, 4, v54
	v_cndmask_b32_e32 v50, v63, v51, vcc
	v_cmp_gt_i32_e32 vcc, s38, v54
	v_ashrrev_i32_e32 v51, 31, v50
	v_lshl_add_u64 v[50:51], v[50:51], 2, s[6:7]
	v_cndmask_b32_e32 v66, v63, v66, vcc
	v_ashrrev_i32_e32 v67, 31, v66
	v_lshl_add_u64 v[66:67], v[66:67], 2, s[6:7]
	global_load_dword v66, v[66:67], off
	v_cvt_pk_f32_fp8_sdwa v[70:71], v14 src0_sel:WORD_1
	global_load_dword v65, v[50:51], off
	v_cvt_pk_f32_fp8_e32 v[52:53], v15
	v_cvt_pkrtz_f16_f32 v68, v68, v69
	v_cvt_pkrtz_f16_f32 v69, v70, v71
	v_cvt_pk_f32_fp8_sdwa v[14:15], v15 src0_sel:WORD_1
	v_cvt_pkrtz_f16_f32 v52, v52, v53
	v_cvt_pk_f32_fp8_e32 v[70:71], v16
	v_cvt_pk_f32_fp8_sdwa v[72:73], v16 src0_sel:WORD_1
	v_cvt_pkrtz_f16_f32 v53, v14, v15
	v_mfma_f32_16x16x16_f16 v[46:49], v[68:69], v[26:27], v[46:49]
	v_cvt_pkrtz_f16_f32 v68, v70, v71
	v_cvt_pkrtz_f16_f32 v69, v72, v73
	v_cvt_pk_f32_fp8_e32 v[70:71], v17
	v_cvt_pk_f32_fp8_sdwa v[72:73], v17 src0_sel:WORD_1
	v_mfma_f32_16x16x16_f16 v[14:17], v[52:53], v[28:29], v[46:49]
	s_waitcnt vmcnt(9)
	v_cvt_pk_f32_fp8_e32 v[50:51], v10
	v_cvt_pk_f32_fp8_sdwa v[52:53], v10 src0_sel:WORD_1
	s_add_u32 s6, s8, s12
	v_cvt_pkrtz_f16_f32 v46, v70, v71
	v_cvt_pkrtz_f16_f32 v47, v72, v73
	v_mfma_f32_16x16x16_f16 v[14:17], v[68:69], v[18:19], v[14:17]
	v_cvt_pk_f32_fp8_sdwa v[68:69], v12 src0_sel:WORD_1
	v_cvt_pk_f32_fp8_sdwa v[70:71], v13 src0_sel:WORD_1
	v_lshl_or_b32 v63, v59, 4, v57
	v_mfma_f32_16x16x16_f16 v[46:49], v[46:47], v[20:21], v[14:17]
	s_waitcnt vmcnt(7)
	v_cvt_pk_f32_fp8_e32 v[72:73], v5
	s_addc_u32 s7, s9, 0
	v_lshlrev_b32_e32 v54, 4, v63
	v_cvt_pk_f32_fp8_e32 v[14:15], v11
	v_cvt_pkrtz_f16_f32 v16, v50, v51
	v_cvt_pkrtz_f16_f32 v17, v52, v53
	v_cvt_pk_f32_fp8_sdwa v[10:11], v11 src0_sel:WORD_1
	v_cvt_pkrtz_f16_f32 v50, v14, v15
	v_cvt_pk_f32_fp8_e32 v[52:53], v12
	v_mfma_f32_16x16x16_f16 v[14:17], v[16:17], v[38:39], 0
	v_cvt_pkrtz_f16_f32 v51, v10, v11
	v_cvt_pkrtz_f16_f32 v52, v52, v53
	;; [unrolled: 1-line block ×3, first 2 shown]
	v_cvt_pk_f32_fp8_e32 v[68:69], v13
	v_mfma_f32_16x16x16_f16 v[10:13], v[50:51], v[40:41], v[14:17]
	v_cvt_pk_f32_fp8_sdwa v[50:51], v6 src0_sel:WORD_1
	s_waitcnt vmcnt(6)
	v_cvt_pk_f32_fp8_sdwa v[78:79], v44 src0_sel:WORD_1
	v_cvt_pkrtz_f16_f32 v14, v68, v69
	v_cvt_pkrtz_f16_f32 v15, v70, v71
	v_mfma_f32_16x16x16_f16 v[10:13], v[52:53], v[30:31], v[10:13]
	v_cvt_pk_f32_fp8_e32 v[16:17], v6
	v_cvt_pk_f32_fp8_sdwa v[52:53], v8 src0_sel:WORD_1
	v_lshl_add_u64 v[68:69], s[6:7], 0, v[54:55]
	v_mfma_f32_16x16x16_f16 v[10:13], v[14:15], v[32:33], v[10:13]
	v_cvt_pk_f32_fp8_e32 v[14:15], v7
	v_cvt_pkrtz_f16_f32 v16, v16, v17
	v_cvt_pkrtz_f16_f32 v17, v50, v51
	v_cvt_pk_f32_fp8_sdwa v[6:7], v7 src0_sel:WORD_1
	v_cvt_pkrtz_f16_f32 v14, v14, v15
	v_cvt_pk_f32_fp8_e32 v[50:51], v8
	v_mfma_f32_16x16x16_f16 v[10:13], v[16:17], v[26:27], v[10:13]
	v_cvt_pkrtz_f16_f32 v15, v6, v7
	v_cvt_pkrtz_f16_f32 v16, v50, v51
	;; [unrolled: 1-line block ×3, first 2 shown]
	v_cvt_pk_f32_fp8_e32 v[50:51], v9
	v_cvt_pk_f32_fp8_sdwa v[52:53], v9 src0_sel:WORD_1
	v_mfma_f32_16x16x16_f16 v[6:9], v[14:15], v[28:29], v[10:13]
	v_cvt_pk_f32_fp8_sdwa v[14:15], v2 src0_sel:WORD_1
	s_waitcnt vmcnt(2)
	v_mad_i64_i32 v[70:71], s[8:9], v64, s45, v[68:69]
	v_cvt_pkrtz_f16_f32 v10, v50, v51
	v_cvt_pkrtz_f16_f32 v11, v52, v53
	v_mfma_f32_16x16x16_f16 v[6:9], v[16:17], v[18:19], v[6:9]
	v_cvt_pk_f32_fp8_e32 v[12:13], v2
	v_or_b32_e32 v54, 0x400, v54
	s_waitcnt vmcnt(1)
	v_mad_i64_i32 v[74:75], s[8:9], v66, s45, v[68:69]
	v_mfma_f32_16x16x16_f16 v[50:53], v[10:11], v[20:21], v[6:9]
	v_mad_i64_i32 v[10:11], s[8:9], v62, s45, v[68:69]
	s_nop 1
	v_cvt_pkrtz_f16_f32 v6, v12, v13
	v_cvt_pkrtz_f16_f32 v7, v14, v15
	v_cvt_pk_f32_fp8_e32 v[8:9], v3
	v_cvt_pk_f32_fp8_sdwa v[2:3], v3 src0_sel:WORD_1
	v_cvt_pk_f32_fp8_sdwa v[14:15], v4 src0_sel:WORD_1
	v_cvt_pkrtz_f16_f32 v12, v8, v9
	v_cvt_pkrtz_f16_f32 v13, v2, v3
	v_cvt_pk_f32_fp8_e32 v[2:3], v4
	v_mfma_f32_16x16x16_f16 v[6:9], v[6:7], v[38:39], 0
	v_cvt_pk_f32_fp8_sdwa v[4:5], v5 src0_sel:WORD_1
	v_cvt_pkrtz_f16_f32 v2, v2, v3
	v_cvt_pkrtz_f16_f32 v3, v14, v15
	v_mfma_f32_16x16x16_f16 v[6:9], v[12:13], v[40:41], v[6:9]
	global_load_dwordx4 v[14:17], v[10:11], off
	s_nop 0
	global_load_dwordx4 v[10:13], v[70:71], off
	v_cvt_pkrtz_f16_f32 v70, v72, v73
	v_cvt_pkrtz_f16_f32 v71, v4, v5
	v_mfma_f32_16x16x16_f16 v[2:5], v[2:3], v[30:31], v[6:9]
	s_waitcnt vmcnt(2)
	v_mad_i64_i32 v[72:73], s[8:9], v65, s45, v[68:69]
	s_nop 0
	v_cvt_pk_f32_fp8_e32 v[6:7], v42
	v_cvt_pk_f32_fp8_sdwa v[8:9], v42 src0_sel:WORD_1
	v_mfma_f32_16x16x16_f16 v[2:5], v[70:71], v[32:33], v[2:5]
	v_cvt_pkrtz_f16_f32 v6, v6, v7
	v_cvt_pkrtz_f16_f32 v7, v8, v9
	v_cvt_pk_f32_fp8_e32 v[8:9], v43
	v_cvt_pk_f32_fp8_sdwa v[42:43], v43 src0_sel:WORD_1
	v_mfma_f32_16x16x16_f16 v[68:71], v[6:7], v[26:27], v[2:5]
	v_cvt_pkrtz_f16_f32 v76, v8, v9
	v_cvt_pkrtz_f16_f32 v77, v42, v43
	v_cvt_pk_f32_fp8_e32 v[42:43], v44
	global_load_dwordx4 v[6:9], v[72:73], off
	global_load_dwordx4 v[2:5], v[74:75], off
	v_cvt_pkrtz_f16_f32 v73, v78, v79
	v_cvt_pk_f32_fp8_e32 v[74:75], v45
	v_cvt_pkrtz_f16_f32 v72, v42, v43
	v_cvt_pk_f32_fp8_sdwa v[78:79], v45 src0_sel:WORD_1
	v_mfma_f32_16x16x16_f16 v[42:45], v[76:77], v[28:29], v[68:71]
	v_cvt_pk_f32_fp8_sdwa v[76:77], v36 src0_sel:WORD_1
	s_load_dword s8, s[40:41], 0x0
	s_nop 0
	v_cvt_pkrtz_f16_f32 v68, v74, v75
	v_cvt_pkrtz_f16_f32 v69, v78, v79
	v_mfma_f32_16x16x16_f16 v[42:45], v[72:73], v[18:19], v[42:45]
	v_cvt_pk_f32_fp8_e32 v[72:73], v34
	v_cvt_pk_f32_fp8_sdwa v[74:75], v34 src0_sel:WORD_1
	v_mfma_f32_16x16x16_f16 v[68:71], v[68:69], v[20:21], v[42:45]
	s_nop 3
	v_cvt_pk_f32_fp8_e32 v[42:43], v35
	v_cvt_pkrtz_f16_f32 v44, v72, v73
	v_cvt_pkrtz_f16_f32 v45, v74, v75
	v_cvt_pk_f32_fp8_sdwa v[34:35], v35 src0_sel:WORD_1
	v_cvt_pkrtz_f16_f32 v72, v42, v43
	v_cvt_pk_f32_fp8_e32 v[74:75], v36
	v_mfma_f32_16x16x16_f16 v[42:45], v[44:45], v[38:39], 0
	v_cvt_pkrtz_f16_f32 v73, v34, v35
	v_cvt_pkrtz_f16_f32 v38, v74, v75
	;; [unrolled: 1-line block ×3, first 2 shown]
	v_cvt_pk_f32_fp8_e32 v[74:75], v37
	v_cvt_pk_f32_fp8_sdwa v[76:77], v37 src0_sel:WORD_1
	v_mfma_f32_16x16x16_f16 v[34:37], v[72:73], v[40:41], v[42:45]
	v_cvt_pkrtz_f16_f32 v40, v74, v75
	v_cvt_pkrtz_f16_f32 v41, v76, v77
	v_mfma_f32_16x16x16_f16 v[34:37], v[38:39], v[30:31], v[34:37]
	v_cvt_pk_f32_fp8_sdwa v[38:39], v22 src0_sel:WORD_1
	v_mov_b32_e32 v42, s5
	s_waitcnt lgkmcnt(0)
	v_mul_f32_e32 v72, s8, v42
	v_mfma_f32_16x16x16_f16 v[32:35], v[40:41], v[32:33], v[34:37]
	v_cvt_pk_f32_fp8_e32 v[40:41], v23
	v_cvt_pk_f32_fp8_sdwa v[42:43], v24 src0_sel:WORD_1
	v_cvt_pk_f32_fp8_sdwa v[44:45], v25 src0_sel:WORD_1
	v_cvt_pk_f32_fp8_e32 v[36:37], v22
	v_cvt_pk_f32_fp8_sdwa v[22:23], v23 src0_sel:WORD_1
	v_pk_mul_f32 v[48:49], v[72:73], v[48:49] op_sel_hi:[0,1]
	v_pk_mul_f32 v[30:31], v[72:73], v[46:47] op_sel_hi:[0,1]
	v_cvt_pkrtz_f16_f32 v36, v36, v37
	v_cvt_pkrtz_f16_f32 v37, v38, v39
	;; [unrolled: 1-line block ×4, first 2 shown]
	v_cvt_pk_f32_fp8_e32 v[40:41], v24
	v_mfma_f32_16x16x16_f16 v[32:35], v[36:37], v[26:27], v[32:35]
	v_cvt_pkrtz_f16_f32 v37, v42, v43
	v_cvt_pkrtz_f16_f32 v36, v40, v41
	v_cvt_pk_f32_fp8_e32 v[42:43], v25
	v_mfma_f32_16x16x16_f16 v[24:27], v[38:39], v[28:29], v[32:35]
	v_cvt_pkrtz_f16_f32 v29, v44, v45
	v_pk_mul_f32 v[40:41], v[72:73], v[52:53] op_sel_hi:[0,1]
	v_cvt_pkrtz_f16_f32 v28, v42, v43
	v_mfma_f32_16x16x16_f16 v[24:27], v[36:37], v[18:19], v[24:27]
	v_pk_mul_f32 v[44:45], v[72:73], v[50:51] op_sel_hi:[0,1]
	v_pk_mul_f32 v[38:39], v[72:73], v[70:71] op_sel_hi:[0,1]
	;; [unrolled: 1-line block ×3, first 2 shown]
	v_mfma_f32_16x16x16_f16 v[18:21], v[28:29], v[20:21], v[24:27]
	s_mov_b32 s5, 0xff7fffff
	v_lshl_add_u64 v[22:23], s[6:7], 0, v[54:55]
	s_nop 4
	v_pk_mul_f32 v[36:37], v[72:73], v[18:19] op_sel_hi:[0,1]
	v_and_b32_e32 v18, 0xc0, v0
	v_add_u32_e32 v18, s16, v18
	v_lshl_or_b32 v18, v56, 2, v18
	v_or_b32_e32 v19, 1, v18
	v_pk_mul_f32 v[34:35], v[72:73], v[20:21] op_sel_hi:[0,1]
	v_subrev_u32_e32 v20, s38, v19
	v_add_u32_e32 v24, 1, v20
	v_add_u32_e32 v25, 2, v20
	v_cvt_f32_i32_e32 v21, v20
	v_cvt_f32_i32_e32 v24, v24
	;; [unrolled: 1-line block ×3, first 2 shown]
	v_add_u32_e32 v26, 3, v20
	v_fma_f32 v28, v61, v21, v30
	v_fmac_f32_e32 v31, v61, v24
	v_fma_f32 v29, v61, v25, v48
	v_add_u32_e32 v21, 16, v20
	v_add_u32_e32 v24, 17, v20
	;; [unrolled: 1-line block ×3, first 2 shown]
	v_cvt_f32_i32_e32 v26, v26
	v_cvt_f32_i32_e32 v21, v21
	;; [unrolled: 1-line block ×4, first 2 shown]
	v_fmac_f32_e32 v49, v61, v26
	v_add_u32_e32 v26, 19, v20
	v_fma_f32 v44, v61, v21, v44
	v_fmac_f32_e32 v45, v61, v24
	v_fma_f32 v40, v61, v25, v40
	v_add_u32_e32 v21, 32, v20
	v_add_u32_e32 v24, 33, v20
	;; [unrolled: 1-line block ×3, first 2 shown]
	v_cvt_f32_i32_e32 v26, v26
	v_cvt_f32_i32_e32 v21, v21
	v_cvt_f32_i32_e32 v24, v24
	v_cvt_f32_i32_e32 v25, v25
	v_fmac_f32_e32 v41, v61, v26
	v_add_u32_e32 v26, 35, v20
	v_fma_f32 v42, v61, v21, v42
	v_fmac_f32_e32 v43, v61, v24
	v_fma_f32 v38, v61, v25, v38
	v_add_u32_e32 v21, 48, v20
	v_add_u32_e32 v24, 49, v20
	;; [unrolled: 1-line block ×4, first 2 shown]
	v_cvt_f32_i32_e32 v20, v20
	v_cvt_f32_i32_e32 v21, v21
	v_cvt_f32_i32_e32 v24, v24
	v_cmp_gt_i32_e64 s[36:37], s38, v18
	v_fmac_f32_e32 v35, v61, v20
	v_mov_b32_e32 v20, 0xff7fffff
	v_cmp_gt_i32_e64 s[24:25], s38, v19
	v_fma_f32 v36, v61, v21, v36
	v_cndmask_b32_e64 v21, v20, v28, s[36:37]
	v_cndmask_b32_e64 v19, v20, v31, s[24:25]
	v_fmac_f32_e32 v37, v61, v24
	v_max3_f32 v19, v21, s5, v19
	v_or_b32_e32 v21, 2, v18
	v_or_b32_e32 v24, 3, v18
	v_cmp_gt_i32_e64 s[28:29], s38, v21
	v_cmp_gt_i32_e64 s[34:35], s38, v24
	v_cvt_f32_i32_e32 v26, v26
	v_cndmask_b32_e64 v21, v20, v29, s[28:29]
	v_cndmask_b32_e64 v24, v20, v49, s[34:35]
	v_max3_f32 v19, v19, v21, v24
	v_or_b32_e32 v21, 16, v18
	v_or_b32_e32 v24, 17, v18
	v_cmp_gt_i32_e64 s[18:19], s38, v21
	v_cmp_gt_i32_e64 s[22:23], s38, v24
	v_fmac_f32_e32 v39, v61, v26
	v_cndmask_b32_e64 v21, v20, v44, s[18:19]
	v_cndmask_b32_e64 v24, v20, v45, s[22:23]
	v_max3_f32 v19, v19, v21, v24
	v_or_b32_e32 v21, 18, v18
	v_or_b32_e32 v24, 19, v18
	v_cmp_gt_i32_e64 s[26:27], s38, v21
	v_cmp_gt_i32_e64 s[30:31], s38, v24
	v_cvt_f32_i32_e32 v25, v25
	v_cndmask_b32_e64 v21, v20, v40, s[26:27]
	v_cndmask_b32_e64 v24, v20, v41, s[30:31]
	v_max3_f32 v19, v19, v21, v24
	v_or_b32_e32 v21, 32, v18
	v_or_b32_e32 v24, 33, v18
	v_cmp_gt_i32_e64 s[12:13], s38, v21
	v_cmp_gt_i32_e64 s[14:15], s38, v24
	v_fma_f32 v34, v61, v25, v34
	v_cndmask_b32_e64 v21, v20, v42, s[12:13]
	v_cndmask_b32_e64 v24, v20, v43, s[14:15]
	v_max3_f32 v19, v19, v21, v24
	v_or_b32_e32 v21, 34, v18
	v_or_b32_e32 v24, 35, v18
	v_cmp_gt_i32_e64 s[16:17], s38, v21
	v_cmp_gt_i32_e64 s[20:21], s38, v24
	s_nop 0
	v_cndmask_b32_e64 v21, v20, v38, s[16:17]
	v_cndmask_b32_e64 v24, v20, v39, s[20:21]
	v_max3_f32 v19, v19, v21, v24
	v_or_b32_e32 v21, 48, v18
	v_or_b32_e32 v24, 49, v18
	v_cmp_gt_i32_e64 s[8:9], s38, v21
	v_cmp_gt_i32_e64 s[10:11], s38, v24
	s_nop 0
	v_cndmask_b32_e64 v21, v20, v36, s[8:9]
	v_cndmask_b32_e64 v24, v20, v37, s[10:11]
	v_max3_f32 v19, v19, v21, v24
	v_or_b32_e32 v21, 50, v18
	v_or_b32_e32 v18, 51, v18
	v_cmp_gt_i32_e32 vcc, s38, v21
	v_cmp_gt_i32_e64 s[6:7], s38, v18
	s_nop 0
	v_cndmask_b32_e32 v21, v20, v34, vcc
	v_cndmask_b32_e64 v18, v20, v35, s[6:7]
	v_max3_f32 v24, v19, v21, v18
	v_mbcnt_lo_u32_b32 v18, -1, 0
	v_mbcnt_hi_u32_b32 v25, -1, v18
	v_and_b32_e32 v18, 64, v25
	v_add_u32_e32 v26, 64, v18
	v_xor_b32_e32 v18, 32, v25
	v_cmp_lt_i32_e64 s[38:39], v18, v26
	s_nop 1
	v_cndmask_b32_e64 v18, v25, v18, s[38:39]
	v_lshlrev_b32_e32 v51, 2, v18
	ds_bpermute_b32 v27, v51, v24
	v_mad_i64_i32 v[18:19], s[38:39], v62, s45, v[22:23]
	v_mad_i64_i32 v[20:21], s[38:39], v64, s45, v[22:23]
	s_waitcnt lgkmcnt(0)
	v_max_f32_e32 v27, v27, v27
	v_max_f32_e32 v24, v24, v27
	v_xor_b32_e32 v27, 16, v25
	v_cmp_lt_i32_e64 s[38:39], v27, v26
	s_nop 1
	v_cndmask_b32_e64 v25, v25, v27, s[38:39]
	v_lshlrev_b32_e32 v54, 2, v25
	ds_bpermute_b32 v25, v54, v24
	v_mad_i64_i32 v[26:27], s[38:39], v65, s45, v[22:23]
	v_mad_i64_i32 v[52:53], s[38:39], v66, s45, v[22:23]
	s_waitcnt lgkmcnt(0)
	v_max_f32_e32 v22, v25, v25
	v_max_f32_e32 v50, v24, v22
	v_sub_f32_e32 v46, v31, v50
	global_load_dwordx4 v[30:33], v[18:19], off
	global_load_dwordx4 v[22:25], v[20:21], off
	v_sub_f32_e32 v18, v28, v50
	v_mul_f32_e32 v18, 0x3fb8aa3b, v18
	v_mul_f32_e32 v19, 0x3fb8aa3b, v46
	v_exp_f32_e32 v18, v18
	v_exp_f32_e32 v47, v19
	v_sub_f32_e32 v19, v29, v50
	v_mul_f32_e32 v19, 0x3fb8aa3b, v19
	v_exp_f32_e32 v48, v19
	v_sub_f32_e32 v19, v49, v50
	v_mul_f32_e32 v19, 0x3fb8aa3b, v19
	v_exp_f32_e32 v49, v19
	v_cndmask_b32_e64 v46, 0, v18, s[36:37]
	global_load_dwordx4 v[26:29], v[26:27], off
	s_nop 0
	global_load_dwordx4 v[18:21], v[52:53], off
	v_sub_f32_e32 v44, v44, v50
	v_sub_f32_e32 v40, v40, v50
	v_mul_f32_e32 v44, 0x3fb8aa3b, v44
	v_mul_f32_e32 v40, 0x3fb8aa3b, v40
	v_exp_f32_e32 v44, v44
	v_exp_f32_e32 v52, v40
	v_sub_f32_e32 v45, v45, v50
	v_sub_f32_e32 v40, v41, v50
	;; [unrolled: 1-line block ×4, first 2 shown]
	v_mul_f32_e32 v45, 0x3fb8aa3b, v45
	v_mul_f32_e32 v40, 0x3fb8aa3b, v40
	;; [unrolled: 1-line block ×4, first 2 shown]
	v_exp_f32_e32 v45, v45
	v_exp_f32_e32 v53, v40
	v_cndmask_b32_e64 v40, 0, v44, s[18:19]
	v_cndmask_b32_e64 v44, 0, v52, s[26:27]
	v_exp_f32_e32 v42, v42
	v_exp_f32_e32 v52, v38
	v_sub_f32_e32 v38, v39, v50
	v_mul_f32_e32 v38, 0x3fb8aa3b, v38
	v_cndmask_b32_e64 v47, 0, v47, s[24:25]
	v_cndmask_b32_e64 v41, 0, v45, s[22:23]
	;; [unrolled: 1-line block ×3, first 2 shown]
	v_exp_f32_e32 v53, v38
	v_cndmask_b32_e64 v38, 0, v42, s[12:13]
	v_cndmask_b32_e64 v42, 0, v52, s[16:17]
	v_add_f32_e32 v52, 0, v46
	v_cndmask_b32_e64 v48, 0, v48, s[28:29]
	v_add_f32_e32 v52, v52, v47
	v_cndmask_b32_e64 v49, 0, v49, s[34:35]
	v_sub_f32_e32 v43, v43, v50
	v_add_f32_e32 v52, v52, v48
	v_mul_f32_e32 v43, 0x3fb8aa3b, v43
	v_add_f32_e32 v52, v52, v49
	v_exp_f32_e32 v43, v43
	v_add_f32_e32 v52, v52, v40
	v_add_f32_e32 v52, v52, v41
	v_sub_f32_e32 v36, v36, v50
	v_add_f32_e32 v52, v52, v44
	v_mul_f32_e32 v36, 0x3fb8aa3b, v36
	v_sub_f32_e32 v37, v37, v50
	v_add_f32_e32 v52, v52, v45
	v_exp_f32_e32 v36, v36
	v_mul_f32_e32 v37, 0x3fb8aa3b, v37
	v_sub_f32_e32 v34, v34, v50
	v_cndmask_b32_e64 v39, 0, v43, s[14:15]
	v_add_f32_e32 v52, v52, v38
	v_exp_f32_e32 v37, v37
	v_mul_f32_e32 v34, 0x3fb8aa3b, v34
	v_sub_f32_e32 v35, v35, v50
	v_add_f32_e32 v52, v52, v39
	v_exp_f32_e32 v34, v34
	v_mul_f32_e32 v35, 0x3fb8aa3b, v35
	v_cndmask_b32_e64 v43, 0, v53, s[20:21]
	v_add_f32_e32 v52, v52, v42
	v_exp_f32_e32 v35, v35
	v_add_f32_e32 v52, v52, v43
	v_cndmask_b32_e64 v36, 0, v36, s[8:9]
	v_add_f32_e32 v52, v52, v36
	v_cndmask_b32_e64 v37, 0, v37, s[10:11]
	v_add_f32_e32 v52, v52, v37
	v_cndmask_b32_e32 v34, 0, v34, vcc
	v_add_f32_e32 v52, v52, v34
	v_cndmask_b32_e64 v35, 0, v35, s[6:7]
	v_add_f32_e32 v52, v52, v35
	ds_bpermute_b32 v51, v51, v52
	v_cmp_lt_u32_e64 s[6:7], 15, v60
	v_cmp_gt_u32_e32 vcc, 16, v60
	s_waitcnt lgkmcnt(0)
	s_barrier
	v_add_f32_e32 v51, v52, v51
	ds_bpermute_b32 v52, v54, v51
	s_waitcnt lgkmcnt(0)
	s_and_saveexec_b64 s[8:9], vcc
	s_cbranch_execz .LBB984_15
; %bb.14:
	v_add_f32_e32 v51, v51, v52
	v_lshlrev_b32_e32 v52, 2, v63
	ds_write2st64_b32 v52, v50, v51 offset1:1
.LBB984_15:
	s_or_b64 exec, exec, s[8:9]
	v_lshlrev_b32_e32 v51, 2, v57
	s_load_dwordx2 s[8:9], s[0:1], 0x94
	s_waitcnt lgkmcnt(0)
	s_barrier
	ds_read2_b32 v[52:53], v51 offset1:16
	ds_read2_b32 v[54:55], v51 offset0:32 offset1:48
	ds_read2_b32 v[60:61], v51 offset0:64 offset1:80
	s_waitcnt lgkmcnt(2)
	v_max3_f32 v50, v52, s5, v53
	s_waitcnt lgkmcnt(1)
	v_max3_f32 v50, v50, v54, v55
	v_sub_f32_e32 v52, v52, v50
	v_mul_f32_e32 v52, 0x3fb8aa3b, v52
	v_exp_f32_e32 v62, v52
	v_sub_f32_e32 v52, v53, v50
	v_mul_f32_e32 v52, 0x3fb8aa3b, v52
	v_exp_f32_e32 v63, v52
	;; [unrolled: 3-line block ×3, first 2 shown]
	ds_read2_b32 v[52:53], v51 offset0:96 offset1:112
	v_sub_f32_e32 v51, v55, v50
	v_mul_f32_e32 v51, 0x3fb8aa3b, v51
	v_exp_f32_e32 v55, v51
	s_waitcnt lgkmcnt(1)
	v_fma_f32 v51, v62, v60, 0
	v_fmac_f32_e32 v51, v63, v61
	s_waitcnt lgkmcnt(0)
	v_fmac_f32_e32 v51, v54, v52
	v_fmac_f32_e32 v51, v55, v53
	v_add_f32_e32 v53, 0x358637bd, v51
	v_div_scale_f32 v60, s[10:11], v53, v53, 1.0
	v_rcp_f32_e32 v61, v60
	s_barrier
	v_fma_f32 v64, -v60, v61, 1.0
	v_fmac_f32_e32 v61, v64, v61
	v_div_scale_f32 v64, vcc, 1.0, v53, 1.0
	v_mul_f32_e32 v65, v64, v61
	v_fma_f32 v66, -v60, v65, v64
	v_fmac_f32_e32 v65, v66, v61
	v_fma_f32 v60, -v60, v65, v64
	v_div_fmas_f32 v60, v60, v61, v65
	v_cmp_eq_u32_e32 vcc, 1, v59
	v_div_fixup_f32 v53, v60, v53, 1.0
	v_mov_b32_e32 v52, 0
	v_cndmask_b32_e32 v60, v62, v63, vcc
	v_cmp_eq_u32_e32 vcc, 2, v59
	s_nop 1
	v_cndmask_b32_e32 v54, v60, v54, vcc
	v_cmp_eq_u32_e32 vcc, 3, v59
	s_nop 1
	v_cndmask_b32_e32 v54, v54, v55, vcc
	v_mul_f32_e32 v60, v54, v53
	v_pk_mul_f32 v[48:49], v[60:61], v[48:49] op_sel_hi:[0,1]
	v_pk_mul_f32 v[46:47], v[60:61], v[46:47] op_sel_hi:[0,1]
	v_cvt_f16_f32_e32 v46, v46
	v_cvt_f16_f32_e32 v47, v47
	;; [unrolled: 1-line block ×4, first 2 shown]
	v_pk_mul_f32 v[44:45], v[60:61], v[44:45] op_sel_hi:[0,1]
	v_pk_mul_f32 v[40:41], v[60:61], v[40:41] op_sel_hi:[0,1]
	v_cvt_f16_f32_e32 v40, v40
	v_cvt_f16_f32_e32 v41, v41
	;; [unrolled: 1-line block ×4, first 2 shown]
	v_pack_b32_f16 v48, v46, v47
	v_pack_b32_f16 v49, v53, v49
	v_lshlrev_b32_e32 v47, 3, v56
	v_lshlrev_b32_e32 v46, 5, v57
	v_lshlrev_b32_e32 v53, 11, v59
	v_or3_b32 v54, v53, v46, v47
	v_pack_b32_f16 v40, v40, v41
	v_pack_b32_f16 v41, v44, v45
	ds_write2st64_b64 v54, v[48:49], v[40:41] offset1:1
	v_pk_mul_f32 v[40:41], v[60:61], v[42:43] op_sel_hi:[0,1]
	v_pk_mul_f32 v[38:39], v[60:61], v[38:39] op_sel_hi:[0,1]
	;; [unrolled: 1-line block ×4, first 2 shown]
	v_cvt_f16_f32_e32 v38, v38
	v_cvt_f16_f32_e32 v39, v39
	;; [unrolled: 1-line block ×8, first 2 shown]
	v_pack_b32_f16 v34, v38, v39
	v_pack_b32_f16 v35, v40, v41
	;; [unrolled: 1-line block ×4, first 2 shown]
	v_cmp_eq_u32_e32 vcc, 0, v0
	ds_write2st64_b64 v54, v[34:35], v[36:37] offset0:2 offset1:3
	s_and_saveexec_b64 s[10:11], vcc
	s_cbranch_execz .LBB984_17
; %bb.16:
	s_mul_i32 s3, s3, s9
	s_mul_hi_u32 s5, s2, s9
	s_add_i32 s5, s5, s3
	s_mul_i32 s3, s2, s9
	s_add_u32 s3, s3, s4
	s_addc_u32 s5, s5, 0
	s_load_dwordx4 s[12:15], s[0:1], 0x58
	s_mul_i32 s5, s5, s8
	s_mul_hi_u32 s16, s3, s8
	s_add_i32 s5, s16, s5
	s_mul_i32 s3, s3, s8
	s_add_u32 s16, s3, s33
	s_addc_u32 s17, s5, 0
	s_lshl_b64 s[16:17], s[16:17], 2
	s_waitcnt lgkmcnt(0)
	s_add_u32 s14, s14, s16
	s_addc_u32 s15, s15, s17
	s_add_u32 s12, s12, s16
	s_addc_u32 s13, s13, s17
	global_store_dword v52, v50, s[14:15]
	global_store_dword v52, v51, s[12:13]
.LBB984_17:
	s_or_b64 exec, exec, s[10:11]
	s_waitcnt vmcnt(7)
	v_cvt_pk_f32_fp8_e32 v[34:35], v14
	v_cvt_pk_f32_fp8_sdwa v[36:37], v14 src0_sel:WORD_1
	v_lshl_or_b32 v50, v56, 9, v46
	s_waitcnt lgkmcnt(0)
	s_barrier
	v_cvt_pk_f32_fp8_e32 v[38:39], v15
	v_cvt_pkrtz_f16_f32 v14, v34, v35
	v_cvt_pk_f32_fp8_sdwa v[40:41], v15 src0_sel:WORD_1
	v_cvt_pkrtz_f16_f32 v15, v36, v37
	ds_read_b128 v[34:37], v50
	v_cvt_pkrtz_f16_f32 v46, v38, v39
	v_cvt_pkrtz_f16_f32 v47, v40, v41
	ds_read_b128 v[38:41], v50 offset:16
	v_cvt_pk_f32_fp8_e32 v[48:49], v16
	v_cvt_pk_f32_fp8_sdwa v[52:53], v16 src0_sel:WORD_1
	s_waitcnt lgkmcnt(1)
	v_mfma_f32_16x16x16_f16 v[42:45], v[14:15], v[34:35], 0
	s_waitcnt vmcnt(6)
	v_cvt_pk_f32_fp8_e32 v[60:61], v12
	v_cvt_pkrtz_f16_f32 v14, v48, v49
	v_cvt_pkrtz_f16_f32 v15, v52, v53
	v_cvt_pk_f32_fp8_e32 v[48:49], v17
	v_mfma_f32_16x16x16_f16 v[42:45], v[46:47], v[36:37], v[42:45]
	v_cvt_pk_f32_fp8_sdwa v[46:47], v17 src0_sel:WORD_1
	v_cvt_pk_f32_fp8_sdwa v[62:63], v12 src0_sel:WORD_1
	v_cvt_pkrtz_f16_f32 v48, v48, v49
	s_waitcnt lgkmcnt(0)
	v_mfma_f32_16x16x16_f16 v[14:17], v[14:15], v[38:39], v[42:45]
	v_cvt_pkrtz_f16_f32 v49, v46, v47
	s_waitcnt vmcnt(5)
	v_cvt_pk_f32_fp8_e32 v[64:65], v8
	v_cvt_pk_f32_fp8_sdwa v[66:67], v8 src0_sel:WORD_1
	v_cvt_pk_f32_fp8_e32 v[42:43], v10
	v_mfma_f32_16x16x16_f16 v[46:49], v[48:49], v[40:41], v[14:17]
	s_waitcnt vmcnt(4)
	v_cvt_pk_f32_fp8_sdwa v[68:69], v4 src0_sel:WORD_1
	s_load_dword s10, s[42:43], 0x0
	v_cvt_pk_f32_fp8_sdwa v[14:15], v10 src0_sel:WORD_1
	v_cvt_pk_f32_fp8_e32 v[16:17], v11
	v_cvt_pkrtz_f16_f32 v10, v42, v43
	v_cvt_pk_f32_fp8_sdwa v[42:43], v11 src0_sel:WORD_1
	v_cvt_pkrtz_f16_f32 v11, v14, v15
	v_cvt_pkrtz_f16_f32 v52, v16, v17
	ds_read_b128 v[14:17], v50 offset:2048
	v_cvt_pkrtz_f16_f32 v53, v42, v43
	ds_read_b128 v[42:45], v50 offset:2064
	s_waitcnt lgkmcnt(0)
	v_mfma_f32_16x16x16_f16 v[46:49], v[10:11], v[14:15], v[46:49]
	v_cvt_pkrtz_f16_f32 v10, v60, v61
	v_cvt_pkrtz_f16_f32 v11, v62, v63
	v_cvt_pk_f32_fp8_e32 v[60:61], v13
	v_mfma_f32_16x16x16_f16 v[46:49], v[52:53], v[16:17], v[46:49]
	v_cvt_pk_f32_fp8_sdwa v[52:53], v13 src0_sel:WORD_1
	v_cmp_gt_u32_e32 vcc, 64, v0
	v_cvt_pkrtz_f16_f32 v60, v60, v61
	v_mfma_f32_16x16x16_f16 v[10:13], v[10:11], v[42:43], v[46:49]
	v_cvt_pkrtz_f16_f32 v61, v52, v53
	s_xor_b64 s[6:7], s[6:7], -1
	s_mov_b32 s3, 0
	v_cvt_pk_f32_fp8_e32 v[46:47], v6
	v_mfma_f32_16x16x16_f16 v[60:63], v[60:61], v[44:45], v[10:13]
	s_and_b64 s[6:7], vcc, s[6:7]
	s_nop 1
	v_cvt_pk_f32_fp8_sdwa v[10:11], v6 src0_sel:WORD_1
	v_cvt_pk_f32_fp8_e32 v[12:13], v7
	v_cvt_pkrtz_f16_f32 v6, v46, v47
	v_cvt_pk_f32_fp8_sdwa v[46:47], v7 src0_sel:WORD_1
	v_cvt_pkrtz_f16_f32 v7, v10, v11
	v_cvt_pkrtz_f16_f32 v52, v12, v13
	ds_read_b128 v[10:13], v50 offset:4096
	v_cvt_pkrtz_f16_f32 v53, v46, v47
	ds_read_b128 v[46:49], v50 offset:4112
	s_waitcnt lgkmcnt(1)
	v_mfma_f32_16x16x16_f16 v[60:63], v[6:7], v[10:11], v[60:63]
	v_cvt_pkrtz_f16_f32 v6, v64, v65
	v_cvt_pkrtz_f16_f32 v7, v66, v67
	v_cvt_pk_f32_fp8_e32 v[64:65], v9
	v_mfma_f32_16x16x16_f16 v[60:63], v[52:53], v[12:13], v[60:63]
	v_cvt_pk_f32_fp8_sdwa v[52:53], v9 src0_sel:WORD_1
	v_cvt_pk_f32_fp8_e32 v[66:67], v4
	v_cvt_pkrtz_f16_f32 v64, v64, v65
	s_waitcnt lgkmcnt(0)
	v_mfma_f32_16x16x16_f16 v[6:9], v[6:7], v[46:47], v[60:63]
	v_cvt_pkrtz_f16_f32 v65, v52, v53
	v_cvt_pk_f32_fp8_e32 v[52:53], v2
	s_nop 0
	v_mfma_f32_16x16x16_f16 v[60:63], v[64:65], v[48:49], v[6:9]
	s_nop 2
	v_cvt_pk_f32_fp8_sdwa v[6:7], v2 src0_sel:WORD_1
	v_cvt_pk_f32_fp8_e32 v[8:9], v3
	v_cvt_pkrtz_f16_f32 v2, v52, v53
	v_cvt_pk_f32_fp8_sdwa v[52:53], v3 src0_sel:WORD_1
	v_cvt_pkrtz_f16_f32 v3, v6, v7
	v_cvt_pkrtz_f16_f32 v64, v8, v9
	ds_read_b128 v[6:9], v50 offset:6144
	v_cvt_pkrtz_f16_f32 v65, v52, v53
	s_waitcnt lgkmcnt(0)
	v_mfma_f32_16x16x16_f16 v[60:63], v[2:3], v[6:7], v[60:63]
	ds_read_b128 v[50:53], v50 offset:6160
	v_cvt_pkrtz_f16_f32 v2, v66, v67
	v_cvt_pkrtz_f16_f32 v3, v68, v69
	v_mfma_f32_16x16x16_f16 v[60:63], v[64:65], v[8:9], v[60:63]
	v_cvt_pk_f32_fp8_e32 v[66:67], v5
	v_cvt_pk_f32_fp8_sdwa v[64:65], v5 src0_sel:WORD_1
	s_waitcnt vmcnt(3)
	v_cvt_pk_f32_fp8_sdwa v[68:69], v32 src0_sel:WORD_1
	s_waitcnt lgkmcnt(0)
	v_mfma_f32_16x16x16_f16 v[2:5], v[2:3], v[50:51], v[60:63]
	v_cvt_pkrtz_f16_f32 v66, v66, v67
	v_cvt_pkrtz_f16_f32 v67, v64, v65
	v_cvt_pk_f32_fp8_e32 v[64:65], v31
	v_cvt_pk_f32_fp8_e32 v[60:61], v30
	v_cvt_pk_f32_fp8_sdwa v[62:63], v30 src0_sel:WORD_1
	v_cvt_pk_f32_fp8_sdwa v[30:31], v31 src0_sel:WORD_1
	v_mfma_f32_16x16x16_f16 v[2:5], v[66:67], v[52:53], v[2:5]
	v_cvt_pkrtz_f16_f32 v60, v60, v61
	v_cvt_pkrtz_f16_f32 v61, v62, v63
	;; [unrolled: 1-line block ×3, first 2 shown]
	v_cvt_pk_f32_fp8_e32 v[66:67], v32
	v_cvt_pkrtz_f16_f32 v65, v30, v31
	v_mfma_f32_16x16x16_f16 v[60:63], v[60:61], v[34:35], 0
	v_cvt_pkrtz_f16_f32 v30, v66, v67
	v_cvt_pkrtz_f16_f32 v31, v68, v69
	v_cvt_pk_f32_fp8_e32 v[66:67], v33
	v_mfma_f32_16x16x16_f16 v[34:37], v[64:65], v[36:37], v[60:63]
	s_barrier
	s_nop 1
	v_cvt_pk_f32_fp8_sdwa v[60:61], v33 src0_sel:WORD_1
	v_cvt_pkrtz_f16_f32 v62, v66, v67
	v_mfma_f32_16x16x16_f16 v[30:33], v[30:31], v[38:39], v[34:37]
	s_waitcnt vmcnt(2)
	v_cvt_pk_f32_fp8_e32 v[38:39], v23
	v_cvt_pkrtz_f16_f32 v63, v60, v61
	v_cvt_pk_f32_fp8_e32 v[34:35], v22
	v_cvt_pk_f32_fp8_sdwa v[36:37], v22 src0_sel:WORD_1
	v_cvt_pk_f32_fp8_sdwa v[22:23], v23 src0_sel:WORD_1
	v_mfma_f32_16x16x16_f16 v[30:33], v[62:63], v[40:41], v[30:33]
	v_cvt_pkrtz_f16_f32 v34, v34, v35
	v_cvt_pkrtz_f16_f32 v35, v36, v37
	;; [unrolled: 1-line block ×3, first 2 shown]
	v_cvt_pk_f32_fp8_e32 v[38:39], v24
	v_cvt_pk_f32_fp8_sdwa v[40:41], v24 src0_sel:WORD_1
	v_cvt_pkrtz_f16_f32 v37, v22, v23
	v_mfma_f32_16x16x16_f16 v[30:33], v[34:35], v[14:15], v[30:33]
	v_cvt_pkrtz_f16_f32 v22, v38, v39
	v_cvt_pkrtz_f16_f32 v23, v40, v41
	v_cvt_pk_f32_fp8_e32 v[34:35], v25
	v_cvt_pk_f32_fp8_sdwa v[24:25], v25 src0_sel:WORD_1
	v_mfma_f32_16x16x16_f16 v[14:17], v[36:37], v[16:17], v[30:33]
	s_nop 2
	v_cvt_pkrtz_f16_f32 v30, v34, v35
	v_cvt_pkrtz_f16_f32 v31, v24, v25
	v_mfma_f32_16x16x16_f16 v[14:17], v[22:23], v[42:43], v[14:17]
	s_waitcnt vmcnt(1)
	v_cvt_pk_f32_fp8_e32 v[22:23], v26
	v_cvt_pk_f32_fp8_sdwa v[24:25], v26 src0_sel:WORD_1
	v_cvt_pk_f32_fp8_sdwa v[32:33], v28 src0_sel:WORD_1
	v_mfma_f32_16x16x16_f16 v[14:17], v[30:31], v[44:45], v[14:17]
	v_cvt_pk_f32_fp8_e32 v[30:31], v27
	v_cvt_pkrtz_f16_f32 v22, v22, v23
	v_cvt_pkrtz_f16_f32 v23, v24, v25
	v_cvt_pk_f32_fp8_sdwa v[24:25], v27 src0_sel:WORD_1
	v_cvt_pkrtz_f16_f32 v26, v30, v31
	v_cvt_pk_f32_fp8_e32 v[30:31], v28
	v_mfma_f32_16x16x16_f16 v[14:17], v[22:23], v[10:11], v[14:17]
	v_cvt_pkrtz_f16_f32 v27, v24, v25
	v_cvt_pkrtz_f16_f32 v22, v30, v31
	;; [unrolled: 1-line block ×3, first 2 shown]
	v_cvt_pk_f32_fp8_e32 v[24:25], v29
	v_cvt_pk_f32_fp8_sdwa v[28:29], v29 src0_sel:WORD_1
	v_mfma_f32_16x16x16_f16 v[10:13], v[26:27], v[12:13], v[14:17]
	s_nop 2
	v_pk_mul_f32 v[14:15], v[4:5], s[10:11] op_sel_hi:[1,0]
	v_cvt_pkrtz_f16_f32 v4, v24, v25
	v_cvt_pkrtz_f16_f32 v5, v28, v29
	v_mfma_f32_16x16x16_f16 v[10:13], v[22:23], v[46:47], v[10:13]
	s_waitcnt vmcnt(0)
	v_cvt_pk_f32_fp8_e32 v[22:23], v18
	v_cvt_pk_f32_fp8_sdwa v[24:25], v18 src0_sel:WORD_1
	v_pk_mul_f32 v[16:17], v[2:3], s[10:11] op_sel_hi:[1,0]
	v_mfma_f32_16x16x16_f16 v[2:5], v[4:5], v[48:49], v[10:13]
	s_nop 2
	v_cvt_pk_f32_fp8_e32 v[10:11], v19
	v_cvt_pkrtz_f16_f32 v12, v22, v23
	v_cvt_pkrtz_f16_f32 v13, v24, v25
	v_cvt_pk_f32_fp8_sdwa v[18:19], v19 src0_sel:WORD_1
	v_cvt_pkrtz_f16_f32 v10, v10, v11
	v_cvt_pk_f32_fp8_e32 v[22:23], v20
	v_cvt_pk_f32_fp8_sdwa v[24:25], v20 src0_sel:WORD_1
	v_cvt_pkrtz_f16_f32 v11, v18, v19
	v_mfma_f32_16x16x16_f16 v[2:5], v[12:13], v[6:7], v[2:5]
	v_cvt_pkrtz_f16_f32 v6, v22, v23
	v_cvt_pkrtz_f16_f32 v7, v24, v25
	v_cvt_pk_f32_fp8_e32 v[12:13], v21
	v_cvt_pk_f32_fp8_sdwa v[18:19], v21 src0_sel:WORD_1
	v_mfma_f32_16x16x16_f16 v[2:5], v[10:11], v[8:9], v[2:5]
	v_cvt_f16_f32_e32 v10, v16
	v_cvt_pkrtz_f16_f32 v8, v12, v13
	v_cvt_pkrtz_f16_f32 v9, v18, v19
	v_mfma_f32_16x16x16_f16 v[2:5], v[6:7], v[50:51], v[2:5]
	v_cvt_f16_f32_e32 v6, v17
	v_cvt_f16_f32_e32 v7, v14
	;; [unrolled: 1-line block ×3, first 2 shown]
	v_mfma_f32_16x16x16_f16 v[2:5], v[8:9], v[52:53], v[2:5]
	s_nop 6
	v_pk_mul_f32 v[4:5], v[4:5], s[10:11] op_sel_hi:[1,0]
	v_pk_mul_f32 v[2:3], v[2:3], s[10:11] op_sel_hi:[1,0]
	v_cvt_f16_f32_e32 v12, v4
	v_cvt_f16_f32_e32 v8, v2
	;; [unrolled: 1-line block ×4, first 2 shown]
	v_pack_b32_f16 v2, v10, v6
	v_pack_b32_f16 v3, v7, v11
	;; [unrolled: 1-line block ×4, first 2 shown]
	ds_write2st64_b64 v54, v[2:3], v[4:5] offset1:1
	s_waitcnt lgkmcnt(0)
	s_barrier
	s_and_saveexec_b64 s[10:11], s[6:7]
	s_cbranch_execz .LBB984_19
; %bb.18:
	s_load_dwordx2 s[0:1], s[0:1], 0x68
	s_mul_i32 s2, s9, s2
	s_lshl_b32 s5, s8, 7
	s_mul_hi_u32 s7, s2, s5
	s_mul_i32 s6, s2, s5
	v_lshlrev_b32_e32 v4, 6, v57
	s_lshl_b64 s[6:7], s[6:7], 1
	v_lshl_or_b32 v0, v0, 10, v4
	s_waitcnt lgkmcnt(0)
	s_add_u32 s6, s0, s6
	v_lshlrev_b32_e32 v2, 5, v56
	v_and_b32_e32 v3, 16, v58
	v_and_b32_e32 v0, 0x1a00, v0
	s_addc_u32 s7, s1, s7
	s_lshl_b32 s2, s33, 7
	v_or3_b32 v0, v0, v2, v3
	s_lshl_b64 s[0:1], s[2:3], 1
	ds_read_b128 v[2:5], v0
	s_add_u32 s2, s6, s0
	s_addc_u32 s3, s7, s1
	s_mul_hi_u32 s1, s5, s4
	s_mul_i32 s0, s5, s4
	s_lshl_b64 s[0:1], s[0:1], 1
	s_add_u32 s0, s2, s0
	s_addc_u32 s1, s3, s1
	s_waitcnt lgkmcnt(0)
	global_store_dwordx4 v1, v[2:5], s[0:1]
.LBB984_19:
	s_endpgm
	.section	.rodata,"a",@progbits
	.p2align	6, 0x0
	.amdhsa_kernel _Z39paged_attention_ll4mi_QKV_mfma16_kernelIDF16_hLN4vllm18Fp8KVCacheDataTypeE1EDF16_Li16ELi128ELi256ELb1ELi1EEvPKT_PKT0_S7_ifPKiS9_S9_iPKfiiiPfSC_PS2_PT2_iSB_SB_
		.amdhsa_group_segment_fixed_size 8192
		.amdhsa_private_segment_fixed_size 0
		.amdhsa_kernarg_size 400
		.amdhsa_user_sgpr_count 2
		.amdhsa_user_sgpr_dispatch_ptr 0
		.amdhsa_user_sgpr_queue_ptr 0
		.amdhsa_user_sgpr_kernarg_segment_ptr 1
		.amdhsa_user_sgpr_dispatch_id 0
		.amdhsa_user_sgpr_kernarg_preload_length 0
		.amdhsa_user_sgpr_kernarg_preload_offset 0
		.amdhsa_user_sgpr_private_segment_size 0
		.amdhsa_uses_dynamic_stack 0
		.amdhsa_enable_private_segment 0
		.amdhsa_system_sgpr_workgroup_id_x 1
		.amdhsa_system_sgpr_workgroup_id_y 1
		.amdhsa_system_sgpr_workgroup_id_z 1
		.amdhsa_system_sgpr_workgroup_info 0
		.amdhsa_system_vgpr_workitem_id 0
		.amdhsa_next_free_vgpr 80
		.amdhsa_next_free_sgpr 48
		.amdhsa_accum_offset 80
		.amdhsa_reserve_vcc 1
		.amdhsa_float_round_mode_32 0
		.amdhsa_float_round_mode_16_64 0
		.amdhsa_float_denorm_mode_32 3
		.amdhsa_float_denorm_mode_16_64 3
		.amdhsa_dx10_clamp 1
		.amdhsa_ieee_mode 1
		.amdhsa_fp16_overflow 0
		.amdhsa_tg_split 0
		.amdhsa_exception_fp_ieee_invalid_op 0
		.amdhsa_exception_fp_denorm_src 0
		.amdhsa_exception_fp_ieee_div_zero 0
		.amdhsa_exception_fp_ieee_overflow 0
		.amdhsa_exception_fp_ieee_underflow 0
		.amdhsa_exception_fp_ieee_inexact 0
		.amdhsa_exception_int_div_zero 0
	.end_amdhsa_kernel
	.section	.text._Z39paged_attention_ll4mi_QKV_mfma16_kernelIDF16_hLN4vllm18Fp8KVCacheDataTypeE1EDF16_Li16ELi128ELi256ELb1ELi1EEvPKT_PKT0_S7_ifPKiS9_S9_iPKfiiiPfSC_PS2_PT2_iSB_SB_,"axG",@progbits,_Z39paged_attention_ll4mi_QKV_mfma16_kernelIDF16_hLN4vllm18Fp8KVCacheDataTypeE1EDF16_Li16ELi128ELi256ELb1ELi1EEvPKT_PKT0_S7_ifPKiS9_S9_iPKfiiiPfSC_PS2_PT2_iSB_SB_,comdat
.Lfunc_end984:
	.size	_Z39paged_attention_ll4mi_QKV_mfma16_kernelIDF16_hLN4vllm18Fp8KVCacheDataTypeE1EDF16_Li16ELi128ELi256ELb1ELi1EEvPKT_PKT0_S7_ifPKiS9_S9_iPKfiiiPfSC_PS2_PT2_iSB_SB_, .Lfunc_end984-_Z39paged_attention_ll4mi_QKV_mfma16_kernelIDF16_hLN4vllm18Fp8KVCacheDataTypeE1EDF16_Li16ELi128ELi256ELb1ELi1EEvPKT_PKT0_S7_ifPKiS9_S9_iPKfiiiPfSC_PS2_PT2_iSB_SB_
                                        ; -- End function
	.section	.AMDGPU.csdata,"",@progbits
; Kernel info:
; codeLenInByte = 6140
; NumSgprs: 54
; NumVgprs: 80
; NumAgprs: 0
; TotalNumVgprs: 80
; ScratchSize: 0
; MemoryBound: 0
; FloatMode: 240
; IeeeMode: 1
; LDSByteSize: 8192 bytes/workgroup (compile time only)
; SGPRBlocks: 6
; VGPRBlocks: 9
; NumSGPRsForWavesPerEU: 54
; NumVGPRsForWavesPerEU: 80
; AccumOffset: 80
; Occupancy: 6
; WaveLimiterHint : 1
; COMPUTE_PGM_RSRC2:SCRATCH_EN: 0
; COMPUTE_PGM_RSRC2:USER_SGPR: 2
; COMPUTE_PGM_RSRC2:TRAP_HANDLER: 0
; COMPUTE_PGM_RSRC2:TGID_X_EN: 1
; COMPUTE_PGM_RSRC2:TGID_Y_EN: 1
; COMPUTE_PGM_RSRC2:TGID_Z_EN: 1
; COMPUTE_PGM_RSRC2:TIDIG_COMP_CNT: 0
; COMPUTE_PGM_RSRC3_GFX90A:ACCUM_OFFSET: 19
; COMPUTE_PGM_RSRC3_GFX90A:TG_SPLIT: 0
	.section	.text._Z39paged_attention_ll4mi_QKV_mfma16_kernelIDF16_hLN4vllm18Fp8KVCacheDataTypeE1EDF16_Li16ELi128ELi256ELb1ELi2EEvPKT_PKT0_S7_ifPKiS9_S9_iPKfiiiPfSC_PS2_PT2_iSB_SB_,"axG",@progbits,_Z39paged_attention_ll4mi_QKV_mfma16_kernelIDF16_hLN4vllm18Fp8KVCacheDataTypeE1EDF16_Li16ELi128ELi256ELb1ELi2EEvPKT_PKT0_S7_ifPKiS9_S9_iPKfiiiPfSC_PS2_PT2_iSB_SB_,comdat
	.protected	_Z39paged_attention_ll4mi_QKV_mfma16_kernelIDF16_hLN4vllm18Fp8KVCacheDataTypeE1EDF16_Li16ELi128ELi256ELb1ELi2EEvPKT_PKT0_S7_ifPKiS9_S9_iPKfiiiPfSC_PS2_PT2_iSB_SB_ ; -- Begin function _Z39paged_attention_ll4mi_QKV_mfma16_kernelIDF16_hLN4vllm18Fp8KVCacheDataTypeE1EDF16_Li16ELi128ELi256ELb1ELi2EEvPKT_PKT0_S7_ifPKiS9_S9_iPKfiiiPfSC_PS2_PT2_iSB_SB_
	.globl	_Z39paged_attention_ll4mi_QKV_mfma16_kernelIDF16_hLN4vllm18Fp8KVCacheDataTypeE1EDF16_Li16ELi128ELi256ELb1ELi2EEvPKT_PKT0_S7_ifPKiS9_S9_iPKfiiiPfSC_PS2_PT2_iSB_SB_
	.p2align	8
	.type	_Z39paged_attention_ll4mi_QKV_mfma16_kernelIDF16_hLN4vllm18Fp8KVCacheDataTypeE1EDF16_Li16ELi128ELi256ELb1ELi2EEvPKT_PKT0_S7_ifPKiS9_S9_iPKfiiiPfSC_PS2_PT2_iSB_SB_,@function
_Z39paged_attention_ll4mi_QKV_mfma16_kernelIDF16_hLN4vllm18Fp8KVCacheDataTypeE1EDF16_Li16ELi128ELi256ELb1ELi2EEvPKT_PKT0_S7_ifPKiS9_S9_iPKfiiiPfSC_PS2_PT2_iSB_SB_: ; @_Z39paged_attention_ll4mi_QKV_mfma16_kernelIDF16_hLN4vllm18Fp8KVCacheDataTypeE1EDF16_Li16ELi128ELi256ELb1ELi2EEvPKT_PKT0_S7_ifPKiS9_S9_iPKfiiiPfSC_PS2_PT2_iSB_SB_
; %bb.0:
	s_load_dwordx2 s[8:9], s[0:1], 0x30
	s_mov_b32 s10, s3
	s_mov_b64 s[6:7], 0
	s_waitcnt lgkmcnt(0)
	s_cmp_lg_u64 s[8:9], 0
	s_cselect_b64 s[12:13], -1, 0
	s_and_b64 vcc, exec, s[12:13]
	s_cbranch_vccz .LBB985_7
; %bb.1:
	s_add_i32 s14, s2, 1
	s_mov_b32 s15, 0
	s_lshl_b64 s[16:17], s[14:15], 2
	s_add_u32 s16, s8, s16
	s_mov_b32 s3, s15
	s_addc_u32 s17, s9, s17
	s_lshl_b64 s[14:15], s[2:3], 2
	s_add_u32 s14, s8, s14
	s_addc_u32 s15, s9, s15
	s_load_dword s5, s[16:17], 0x0
	s_load_dword s11, s[14:15], 0x0
	s_waitcnt lgkmcnt(0)
	s_sub_i32 s5, s5, s11
	s_cmp_eq_u32 s5, 1
	s_cselect_b64 s[14:15], -1, 0
	s_andn2_b64 vcc, exec, s[6:7]
	s_cbranch_vccnz .LBB985_3
.LBB985_2:
	s_mov_b32 s3, 0
	s_mov_b64 s[14:15], -1
.LBB985_3:
	s_andn2_b64 vcc, exec, s[14:15]
	s_cbranch_vccnz .LBB985_19
; %bb.4:
	s_load_dwordx2 s[6:7], s[0:1], 0x28
	s_lshl_b64 s[14:15], s[2:3], 2
	s_waitcnt lgkmcnt(0)
	s_add_u32 s6, s6, s14
	s_addc_u32 s7, s7, s15
	s_load_dword s33, s[6:7], 0x0
	s_lshl_b32 s18, s10, 8
	s_waitcnt lgkmcnt(0)
	s_cmp_ge_i32 s18, s33
	s_cbranch_scc1 .LBB985_19
; %bb.5:
	s_load_dwordx2 s[6:7], s[0:1], 0x20
	s_load_dword s5, s[0:1], 0x38
	s_add_i32 s11, s33, 15
	s_ashr_i32 s16, s11, 31
	v_and_b32_e32 v1, 0xcf, v0
	s_lshr_b32 s16, s16, 28
	v_add_u32_e32 v1, s18, v1
	s_add_i32 s11, s11, s16
	v_ashrrev_i32_e32 v2, 31, v1
	s_ashr_i32 s19, s11, 4
	v_lshrrev_b32_e32 v4, 28, v2
	s_add_i32 s19, s19, -1
	s_waitcnt lgkmcnt(0)
	s_mul_i32 s16, s2, s5
	s_mov_b32 s17, 0
	v_add_u32_e32 v2, v1, v4
	s_lshl_b64 s[16:17], s[16:17], 2
	v_ashrrev_i32_e32 v2, 4, v2
	v_mov_b32_e32 v5, s19
	v_cmp_gt_i32_e32 vcc, s33, v1
	s_add_u32 s6, s6, s16
	s_addc_u32 s7, s7, s17
	v_cndmask_b32_e32 v2, v5, v2, vcc
	v_ashrrev_i32_e32 v3, 31, v2
	v_lshl_add_u64 v[6:7], v[2:3], 2, s[6:7]
	v_or_b32_e32 v2, 16, v1
	v_add_u32_e32 v3, v2, v4
	v_ashrrev_i32_e32 v3, 4, v3
	v_cmp_gt_i32_e32 vcc, s33, v2
	s_load_dwordx2 s[16:17], s[0:1], 0x8
	s_nop 0
	v_cndmask_b32_e32 v2, v5, v3, vcc
	v_ashrrev_i32_e32 v3, 31, v2
	v_lshl_add_u64 v[8:9], v[2:3], 2, s[6:7]
	v_or_b32_e32 v2, 32, v1
	v_add_u32_e32 v3, v2, v4
	v_ashrrev_i32_e32 v3, 4, v3
	v_cmp_gt_i32_e32 vcc, s33, v2
	v_or_b32_e32 v1, 48, v1
	s_nop 0
	v_cndmask_b32_e32 v2, v5, v3, vcc
	v_ashrrev_i32_e32 v3, 31, v2
	v_lshl_add_u64 v[10:11], v[2:3], 2, s[6:7]
	v_add_u32_e32 v2, v1, v4
	v_ashrrev_i32_e32 v2, 4, v2
	v_cmp_gt_i32_e32 vcc, s33, v1
	s_nop 1
	v_cndmask_b32_e32 v2, v5, v2, vcc
	v_ashrrev_i32_e32 v3, 31, v2
	v_lshl_add_u64 v[12:13], v[2:3], 2, s[6:7]
	global_load_dword v4, v[6:7], off
	global_load_dword v3, v[8:9], off
	;; [unrolled: 1-line block ×4, first 2 shown]
	s_andn2_b64 vcc, exec, s[12:13]
	s_cbranch_vccnz .LBB985_8
; %bb.6:
	s_add_u32 s8, s8, s14
	s_addc_u32 s9, s9, s15
	s_load_dword s5, s[8:9], 0x0
	s_branch .LBB985_9
.LBB985_7:
	s_mov_b64 s[14:15], 0
	s_branch .LBB985_2
.LBB985_8:
	s_mov_b32 s5, s2
.LBB985_9:
	s_load_dwordx2 s[8:9], s[0:1], 0x10
	s_load_dwordx4 s[44:47], s[0:1], 0x48
	v_lshrrev_b32_e32 v62, 6, v0
	v_bfe_u32 v1, v0, 4, 2
	v_and_b32_e32 v60, 15, v0
	v_lshl_or_b32 v5, v62, 2, v1
	v_lshlrev_b32_e32 v6, 3, v60
	s_lshl_b32 s11, s4, 1
	v_cmp_gt_u32_e32 vcc, 2, v5
	v_lshlrev_b32_e32 v54, 1, v6
	v_lshlrev_b32_e32 v61, 4, v0
	s_and_saveexec_b64 s[12:13], vcc
	s_cbranch_execz .LBB985_11
; %bb.10:
	s_load_dwordx2 s[14:15], s[0:1], 0x0
	s_waitcnt lgkmcnt(0)
	s_ashr_i32 s20, s44, 31
	s_mul_hi_u32 s21, s5, s44
	s_mul_i32 s20, s5, s20
	s_add_i32 s21, s21, s20
	s_mul_i32 s20, s5, s44
	s_lshl_b64 s[20:21], s[20:21], 1
	s_add_u32 s14, s14, s20
	v_add_lshl_u32 v6, v1, s11, 7
	s_addc_u32 s15, s15, s21
	v_ashrrev_i32_e32 v7, 31, v6
	v_lshl_add_u64 v[6:7], v[6:7], 1, s[14:15]
	v_mov_b32_e32 v55, 0
	v_lshl_add_u64 v[6:7], v[6:7], 0, v[54:55]
	global_load_dwordx4 v[6:9], v[6:7], off
	v_lshlrev_b32_e32 v11, 8, v0
	v_lshlrev_b32_e32 v10, 8, v60
	v_and_b32_e32 v11, 0x600, v11
	s_movk_i32 s5, 0x800
	v_and_or_b32 v10, v10, s5, v11
	v_lshlrev_b32_e32 v5, 5, v5
	v_and_b32_e32 v11, 16, v61
	v_or3_b32 v5, v10, v5, v11
	s_waitcnt vmcnt(0)
	ds_write_b128 v5, v[6:9]
.LBB985_11:
	s_or_b64 exec, exec, s[12:13]
	s_waitcnt lgkmcnt(0)
	s_mul_i32 s12, s4, s46
	s_add_u32 s4, s16, s12
	s_addc_u32 s5, s17, 0
	v_and_b32_e32 v56, 0xf0, v61
	v_mov_b32_e32 v57, 0
	v_and_b32_e32 v46, 48, v0
	v_lshl_add_u64 v[20:21], s[4:5], 0, v[56:57]
	v_lshlrev_b32_e32 v56, 4, v46
	s_waitcnt vmcnt(3)
	v_mad_i64_i32 v[4:5], s[4:5], v4, s45, v[20:21]
	v_lshl_add_u64 v[4:5], v[4:5], 0, v[56:57]
	s_barrier
	global_load_dwordx4 v[42:45], v[4:5], off
	global_load_dwordx4 v[14:17], v[4:5], off offset:1024
	s_waitcnt vmcnt(4)
	v_mad_i64_i32 v[4:5], s[4:5], v3, s45, v[20:21]
	s_waitcnt vmcnt(3)
	v_mad_i64_i32 v[2:3], s[4:5], v2, s45, v[20:21]
	;; [unrolled: 2-line block ×3, first 2 shown]
	v_lshl_add_u64 v[4:5], v[4:5], 0, v[56:57]
	v_lshl_add_u64 v[22:23], v[2:3], 0, v[56:57]
	;; [unrolled: 1-line block ×3, first 2 shown]
	global_load_dwordx4 v[10:13], v[4:5], off
	global_load_dwordx4 v[6:9], v[4:5], off offset:1024
	s_nop 0
	global_load_dwordx4 v[2:5], v[22:23], off
	global_load_dwordx4 v[50:53], v[22:23], off offset:1024
	global_load_dwordx4 v[34:37], v[18:19], off
	s_nop 0
	global_load_dwordx4 v[22:25], v[18:19], off offset:1024
	v_and_b32_e32 v18, 1, v0
	v_lshlrev_b32_e32 v18, 5, v18
	v_lshl_or_b32 v18, v1, 9, v18
	ds_read_b128 v[38:41], v18
	ds_read_b128 v[30:33], v18 offset:16
	ds_read_b128 v[26:29], v18 offset:2048
	;; [unrolled: 1-line block ×3, first 2 shown]
	v_and_b32_e32 v55, 63, v0
	v_cmp_gt_u32_e32 vcc, 2, v60
	v_mov_b32_e32 v63, 0
	s_and_saveexec_b64 s[4:5], vcc
	s_cbranch_execz .LBB985_13
; %bb.12:
	s_load_dwordx2 s[14:15], s[0:1], 0x40
	v_or_b32_e32 v48, s11, v60
	v_ashrrev_i32_e32 v49, 31, v48
	s_waitcnt lgkmcnt(0)
	v_lshl_add_u64 v[48:49], v[48:49], 2, s[14:15]
	global_load_dword v63, v[48:49], off
.LBB985_13:
	s_or_b64 exec, exec, s[4:5]
	s_waitcnt vmcnt(7)
	v_cvt_pk_f32_fp8_e32 v[58:59], v42
	v_cvt_pk_f32_fp8_sdwa v[66:67], v42 src0_sel:WORD_1
	v_cvt_pk_f32_fp8_e32 v[68:69], v43
	v_cvt_pk_f32_fp8_sdwa v[42:43], v43 src0_sel:WORD_1
	v_cvt_pkrtz_f16_f32 v58, v58, v59
	v_cvt_pkrtz_f16_f32 v59, v66, v67
	;; [unrolled: 1-line block ×3, first 2 shown]
	v_cvt_pk_f32_fp8_e32 v[72:73], v44
	v_cvt_pk_f32_fp8_sdwa v[74:75], v44 src0_sel:WORD_1
	v_cvt_pkrtz_f16_f32 v71, v42, v43
	s_waitcnt lgkmcnt(3)
	v_mfma_f32_16x16x16_f16 v[66:69], v[58:59], v[38:39], 0
	v_or_b32_e32 v56, s18, v46
	v_ashrrev_i32_e32 v46, 4, v56
	v_mov_b32_e32 v65, s19
	v_cmp_gt_i32_e32 vcc, s33, v56
	v_cvt_pkrtz_f16_f32 v58, v72, v73
	v_cvt_pkrtz_f16_f32 v59, v74, v75
	v_cvt_pk_f32_fp8_e32 v[72:73], v45
	v_cvt_pk_f32_fp8_sdwa v[74:75], v45 src0_sel:WORD_1
	v_cndmask_b32_e32 v46, v65, v46, vcc
	v_mfma_f32_16x16x16_f16 v[42:45], v[70:71], v[40:41], v[66:69]
	v_ashrrev_i32_e32 v47, 31, v46
	v_lshl_add_u64 v[46:47], v[46:47], 2, s[6:7]
	global_load_dword v64, v[46:47], off
	v_or_b32_e32 v46, 64, v56
	v_cvt_pkrtz_f16_f32 v66, v72, v73
	v_cvt_pkrtz_f16_f32 v67, v74, v75
	v_ashrrev_i32_e32 v47, 4, v46
	v_cmp_gt_i32_e32 vcc, s33, v46
	s_waitcnt lgkmcnt(2)
	v_mfma_f32_16x16x16_f16 v[42:45], v[58:59], v[30:31], v[42:45]
	s_waitcnt vmcnt(7)
	v_cvt_pk_f32_fp8_sdwa v[70:71], v14 src0_sel:WORD_1
	v_cndmask_b32_e32 v46, v65, v47, vcc
	v_ashrrev_i32_e32 v47, 31, v46
	v_lshl_add_u64 v[48:49], v[46:47], 2, s[6:7]
	v_or_b32_e32 v46, 0x80, v56
	v_mfma_f32_16x16x16_f16 v[42:45], v[66:67], v[32:33], v[42:45]
	global_load_dword v66, v[48:49], off
	v_ashrrev_i32_e32 v47, 4, v46
	v_cmp_gt_i32_e32 vcc, s33, v46
	v_or_b32_e32 v56, 0xc0, v56
	v_ashrrev_i32_e32 v68, 4, v56
	v_cndmask_b32_e32 v46, v65, v47, vcc
	v_cmp_gt_i32_e32 vcc, s33, v56
	v_ashrrev_i32_e32 v47, 31, v46
	v_lshl_add_u64 v[46:47], v[46:47], 2, s[6:7]
	v_cndmask_b32_e32 v58, v65, v68, vcc
	v_cvt_pk_f32_fp8_e32 v[68:69], v14
	v_ashrrev_i32_e32 v59, 31, v58
	v_lshl_add_u64 v[58:59], v[58:59], 2, s[6:7]
	v_cvt_pk_f32_fp8_sdwa v[72:73], v16 src0_sel:WORD_1
	v_cvt_pkrtz_f16_f32 v68, v68, v69
	v_cvt_pkrtz_f16_f32 v69, v70, v71
	v_cvt_pk_f32_fp8_e32 v[70:71], v16
	v_cvt_pk_f32_fp8_sdwa v[74:75], v17 src0_sel:WORD_1
	s_waitcnt lgkmcnt(1)
	v_mfma_f32_16x16x16_f16 v[42:45], v[68:69], v[26:27], v[42:45]
	global_load_dword v68, v[58:59], off
	global_load_dword v67, v[46:47], off
	v_cvt_pk_f32_fp8_e32 v[48:49], v15
	v_cvt_pk_f32_fp8_sdwa v[14:15], v15 src0_sel:WORD_1
	v_cvt_pkrtz_f16_f32 v70, v70, v71
	v_cvt_pkrtz_f16_f32 v71, v72, v73
	;; [unrolled: 1-line block ×4, first 2 shown]
	v_cvt_pk_f32_fp8_e32 v[72:73], v17
	s_waitcnt vmcnt(9)
	v_cvt_pk_f32_fp8_e32 v[46:47], v10
	v_mfma_f32_16x16x16_f16 v[14:17], v[48:49], v[28:29], v[42:45]
	v_cvt_pk_f32_fp8_sdwa v[48:49], v10 src0_sel:WORD_1
	s_nop 1
	v_cvt_pkrtz_f16_f32 v42, v72, v73
	v_cvt_pkrtz_f16_f32 v43, v74, v75
	s_waitcnt lgkmcnt(0)
	v_mfma_f32_16x16x16_f16 v[14:17], v[70:71], v[18:19], v[14:17]
	v_cvt_pk_f32_fp8_sdwa v[58:59], v12 src0_sel:WORD_1
	v_cvt_pk_f32_fp8_sdwa v[70:71], v13 src0_sel:WORD_1
	s_add_u32 s4, s8, s12
	v_mfma_f32_16x16x16_f16 v[42:45], v[42:43], v[20:21], v[14:17]
	v_lshl_or_b32 v65, v62, 4, v60
	s_waitcnt vmcnt(7)
	v_cvt_pk_f32_fp8_e32 v[72:73], v5
	s_addc_u32 s5, s9, 0
	v_cvt_pk_f32_fp8_e32 v[14:15], v11
	v_cvt_pkrtz_f16_f32 v16, v46, v47
	v_cvt_pkrtz_f16_f32 v17, v48, v49
	v_cvt_pk_f32_fp8_sdwa v[10:11], v11 src0_sel:WORD_1
	v_cvt_pkrtz_f16_f32 v46, v14, v15
	v_cvt_pk_f32_fp8_e32 v[48:49], v12
	v_mfma_f32_16x16x16_f16 v[14:17], v[16:17], v[38:39], 0
	v_cvt_pkrtz_f16_f32 v47, v10, v11
	v_cvt_pkrtz_f16_f32 v48, v48, v49
	;; [unrolled: 1-line block ×3, first 2 shown]
	v_cvt_pk_f32_fp8_e32 v[58:59], v13
	v_mfma_f32_16x16x16_f16 v[10:13], v[46:47], v[40:41], v[14:17]
	v_cvt_pk_f32_fp8_sdwa v[46:47], v6 src0_sel:WORD_1
	v_lshlrev_b32_e32 v56, 4, v65
	s_nop 0
	v_cvt_pkrtz_f16_f32 v14, v58, v59
	v_cvt_pkrtz_f16_f32 v15, v70, v71
	v_mfma_f32_16x16x16_f16 v[10:13], v[48:49], v[30:31], v[10:13]
	v_cvt_pk_f32_fp8_e32 v[16:17], v6
	v_cvt_pk_f32_fp8_sdwa v[48:49], v8 src0_sel:WORD_1
	v_lshl_add_u64 v[58:59], s[4:5], 0, v[56:57]
	v_mfma_f32_16x16x16_f16 v[10:13], v[14:15], v[32:33], v[10:13]
	v_cvt_pk_f32_fp8_e32 v[14:15], v7
	v_cvt_pkrtz_f16_f32 v16, v16, v17
	v_cvt_pkrtz_f16_f32 v17, v46, v47
	v_cvt_pk_f32_fp8_sdwa v[6:7], v7 src0_sel:WORD_1
	v_cvt_pkrtz_f16_f32 v14, v14, v15
	v_cvt_pk_f32_fp8_e32 v[46:47], v8
	v_mfma_f32_16x16x16_f16 v[10:13], v[16:17], v[26:27], v[10:13]
	v_cvt_pkrtz_f16_f32 v15, v6, v7
	v_cvt_pkrtz_f16_f32 v16, v46, v47
	;; [unrolled: 1-line block ×3, first 2 shown]
	v_cvt_pk_f32_fp8_e32 v[46:47], v9
	v_cvt_pk_f32_fp8_sdwa v[48:49], v9 src0_sel:WORD_1
	v_mfma_f32_16x16x16_f16 v[6:9], v[14:15], v[28:29], v[10:13]
	v_cvt_pk_f32_fp8_sdwa v[14:15], v2 src0_sel:WORD_1
	s_waitcnt vmcnt(2)
	v_mad_i64_i32 v[70:71], s[6:7], v66, s45, v[58:59]
	v_cvt_pkrtz_f16_f32 v10, v46, v47
	v_cvt_pkrtz_f16_f32 v11, v48, v49
	v_mfma_f32_16x16x16_f16 v[6:9], v[16:17], v[18:19], v[6:9]
	v_cvt_pk_f32_fp8_e32 v[12:13], v2
	v_cvt_pk_f32_fp8_sdwa v[78:79], v52 src0_sel:WORD_1
	v_or_b32_e32 v56, 0x400, v56
	v_mfma_f32_16x16x16_f16 v[46:49], v[10:11], v[20:21], v[6:9]
	v_mad_i64_i32 v[10:11], s[6:7], v64, s45, v[58:59]
	s_waitcnt vmcnt(0)
	v_mad_i64_i32 v[74:75], s[6:7], v67, s45, v[58:59]
	v_cvt_pkrtz_f16_f32 v6, v12, v13
	v_cvt_pkrtz_f16_f32 v7, v14, v15
	v_cvt_pk_f32_fp8_e32 v[8:9], v3
	v_cvt_pk_f32_fp8_sdwa v[2:3], v3 src0_sel:WORD_1
	v_cvt_pk_f32_fp8_sdwa v[14:15], v4 src0_sel:WORD_1
	v_mad_i64_i32 v[58:59], s[6:7], v68, s45, v[58:59]
	v_cvt_pkrtz_f16_f32 v12, v8, v9
	v_cvt_pkrtz_f16_f32 v13, v2, v3
	v_cvt_pk_f32_fp8_e32 v[2:3], v4
	v_mfma_f32_16x16x16_f16 v[6:9], v[6:7], v[38:39], 0
	v_cvt_pk_f32_fp8_sdwa v[4:5], v5 src0_sel:WORD_1
	v_cvt_pkrtz_f16_f32 v2, v2, v3
	v_cvt_pkrtz_f16_f32 v3, v14, v15
	v_mfma_f32_16x16x16_f16 v[6:9], v[12:13], v[40:41], v[6:9]
	global_load_dwordx4 v[14:17], v[10:11], off
	s_nop 0
	global_load_dwordx4 v[10:13], v[70:71], off
	v_cvt_pkrtz_f16_f32 v70, v72, v73
	v_cvt_pkrtz_f16_f32 v71, v4, v5
	v_mfma_f32_16x16x16_f16 v[2:5], v[2:3], v[30:31], v[6:9]
	s_nop 2
	v_cvt_pk_f32_fp8_e32 v[6:7], v50
	v_cvt_pk_f32_fp8_sdwa v[8:9], v50 src0_sel:WORD_1
	v_mfma_f32_16x16x16_f16 v[2:5], v[70:71], v[32:33], v[2:5]
	v_cvt_pkrtz_f16_f32 v6, v6, v7
	v_cvt_pkrtz_f16_f32 v7, v8, v9
	v_cvt_pk_f32_fp8_e32 v[8:9], v51
	v_cvt_pk_f32_fp8_sdwa v[50:51], v51 src0_sel:WORD_1
	v_mfma_f32_16x16x16_f16 v[70:73], v[6:7], v[26:27], v[2:5]
	v_cvt_pkrtz_f16_f32 v76, v8, v9
	v_cvt_pkrtz_f16_f32 v77, v50, v51
	v_cvt_pk_f32_fp8_e32 v[50:51], v52
	global_load_dwordx4 v[6:9], v[74:75], off
	global_load_dwordx4 v[2:5], v[58:59], off
	v_cvt_pkrtz_f16_f32 v75, v78, v79
	v_cvt_pk_f32_fp8_e32 v[58:59], v53
	v_cvt_pkrtz_f16_f32 v74, v50, v51
	v_cvt_pk_f32_fp8_sdwa v[78:79], v53 src0_sel:WORD_1
	v_mfma_f32_16x16x16_f16 v[50:53], v[76:77], v[28:29], v[70:73]
	v_cvt_pkrtz_f16_f32 v58, v58, v59
	v_cvt_pk_f32_fp8_sdwa v[76:77], v36 src0_sel:WORD_1
	v_cvt_pkrtz_f16_f32 v59, v78, v79
	v_mfma_f32_16x16x16_f16 v[50:53], v[74:75], v[18:19], v[50:53]
	v_cvt_pk_f32_fp8_e32 v[70:71], v34
	v_cvt_pk_f32_fp8_sdwa v[72:73], v34 src0_sel:WORD_1
	v_cvt_pk_f32_fp8_e32 v[74:75], v36
	v_mfma_f32_16x16x16_f16 v[50:53], v[58:59], v[20:21], v[50:53]
	v_cvt_pk_f32_fp8_e32 v[58:59], v35
	v_cvt_pkrtz_f16_f32 v70, v70, v71
	v_cvt_pkrtz_f16_f32 v71, v72, v73
	v_cvt_pk_f32_fp8_sdwa v[34:35], v35 src0_sel:WORD_1
	v_cvt_pkrtz_f16_f32 v58, v58, v59
	v_mfma_f32_16x16x16_f16 v[70:73], v[70:71], v[38:39], 0
	v_cvt_pkrtz_f16_f32 v59, v34, v35
	v_cvt_pkrtz_f16_f32 v38, v74, v75
	;; [unrolled: 1-line block ×3, first 2 shown]
	v_cvt_pk_f32_fp8_e32 v[74:75], v37
	v_cvt_pk_f32_fp8_sdwa v[76:77], v37 src0_sel:WORD_1
	v_mfma_f32_16x16x16_f16 v[34:37], v[58:59], v[40:41], v[70:73]
	s_load_dword s6, s[0:1], 0x1c
	s_load_dwordx4 s[40:43], s[0:1], 0x80
	v_cvt_pkrtz_f16_f32 v58, v74, v75
	v_cvt_pkrtz_f16_f32 v59, v76, v77
	v_mfma_f32_16x16x16_f16 v[34:37], v[38:39], v[30:31], v[34:37]
	s_load_dword s44, s[0:1], 0x98
	s_waitcnt lgkmcnt(0)
	s_load_dword s7, s[40:41], 0x0
	v_cvt_pk_f32_fp8_sdwa v[38:39], v22 src0_sel:WORD_1
	v_mfma_f32_16x16x16_f16 v[32:35], v[58:59], v[32:33], v[34:37]
	v_mov_b32_e32 v40, s6
	s_mov_b32 s40, 0xff7fffff
	s_waitcnt lgkmcnt(0)
	v_mul_f32_e32 v70, s7, v40
	v_cvt_pk_f32_fp8_e32 v[36:37], v22
	v_pk_mul_f32 v[30:31], v[70:71], v[42:43] op_sel_hi:[0,1]
	v_cvt_pk_f32_fp8_e32 v[42:43], v23
	v_cvt_pk_f32_fp8_sdwa v[22:23], v23 src0_sel:WORD_1
	v_cvt_pkrtz_f16_f32 v36, v36, v37
	v_cvt_pkrtz_f16_f32 v37, v38, v39
	v_pk_mul_f32 v[40:41], v[70:71], v[44:45] op_sel_hi:[0,1]
	v_cvt_pkrtz_f16_f32 v38, v42, v43
	v_cvt_pkrtz_f16_f32 v39, v22, v23
	v_cvt_pk_f32_fp8_e32 v[42:43], v24
	v_cvt_pk_f32_fp8_sdwa v[44:45], v24 src0_sel:WORD_1
	v_mfma_f32_16x16x16_f16 v[32:35], v[36:37], v[26:27], v[32:35]
	v_lshl_add_u64 v[22:23], s[4:5], 0, v[56:57]
	v_cvt_pkrtz_f16_f32 v36, v42, v43
	v_cvt_pkrtz_f16_f32 v37, v44, v45
	v_cvt_pk_f32_fp8_e32 v[42:43], v25
	v_cvt_pk_f32_fp8_sdwa v[56:57], v25 src0_sel:WORD_1
	v_mfma_f32_16x16x16_f16 v[24:27], v[38:39], v[28:29], v[32:35]
	v_pk_mul_f32 v[44:45], v[70:71], v[48:49] op_sel_hi:[0,1]
	v_cvt_pkrtz_f16_f32 v28, v42, v43
	v_cvt_pkrtz_f16_f32 v29, v56, v57
	v_mfma_f32_16x16x16_f16 v[24:27], v[36:37], v[18:19], v[24:27]
	v_pk_mul_f32 v[42:43], v[70:71], v[50:51] op_sel_hi:[0,1]
	v_pk_mul_f32 v[46:47], v[70:71], v[46:47] op_sel_hi:[0,1]
	;; [unrolled: 1-line block ×3, first 2 shown]
	v_mfma_f32_16x16x16_f16 v[18:21], v[28:29], v[20:21], v[24:27]
	s_nop 6
	v_pk_mul_f32 v[36:37], v[70:71], v[18:19] op_sel_hi:[0,1]
	v_and_b32_e32 v18, 0xc0, v0
	v_add_u32_e32 v18, s18, v18
	v_lshl_or_b32 v18, v1, 2, v18
	v_or_b32_e32 v19, 1, v18
	v_pk_mul_f32 v[34:35], v[70:71], v[20:21] op_sel_hi:[0,1]
	v_subrev_u32_e32 v20, s33, v19
	v_add_u32_e32 v24, 1, v20
	v_add_u32_e32 v25, 2, v20
	v_cvt_f32_i32_e32 v21, v20
	v_cvt_f32_i32_e32 v24, v24
	;; [unrolled: 1-line block ×3, first 2 shown]
	v_add_u32_e32 v26, 3, v20
	v_fma_f32 v50, v63, v21, v30
	v_fmac_f32_e32 v31, v63, v24
	v_fma_f32 v40, v63, v25, v40
	v_add_u32_e32 v21, 16, v20
	v_add_u32_e32 v24, 17, v20
	;; [unrolled: 1-line block ×3, first 2 shown]
	v_cvt_f32_i32_e32 v26, v26
	v_cvt_f32_i32_e32 v21, v21
	;; [unrolled: 1-line block ×4, first 2 shown]
	v_fmac_f32_e32 v41, v63, v26
	v_add_u32_e32 v26, 19, v20
	v_fma_f32 v52, v63, v21, v46
	v_fmac_f32_e32 v47, v63, v24
	v_fma_f32 v44, v63, v25, v44
	v_add_u32_e32 v21, 32, v20
	v_add_u32_e32 v24, 33, v20
	v_add_u32_e32 v25, 34, v20
	v_cvt_f32_i32_e32 v26, v26
	v_cvt_f32_i32_e32 v21, v21
	;; [unrolled: 1-line block ×4, first 2 shown]
	v_fmac_f32_e32 v45, v63, v26
	v_add_u32_e32 v26, 35, v20
	v_fma_f32 v42, v63, v21, v42
	v_fmac_f32_e32 v43, v63, v24
	v_fma_f32 v38, v63, v25, v38
	v_add_u32_e32 v21, 48, v20
	v_add_u32_e32 v24, 49, v20
	;; [unrolled: 1-line block ×4, first 2 shown]
	v_cvt_f32_i32_e32 v20, v20
	v_cvt_f32_i32_e32 v21, v21
	;; [unrolled: 1-line block ×3, first 2 shown]
	v_cmp_gt_i32_e64 s[12:13], s33, v18
	v_fmac_f32_e32 v35, v63, v20
	v_mov_b32_e32 v20, 0xff7fffff
	v_cmp_gt_i32_e64 s[14:15], s33, v19
	v_fma_f32 v36, v63, v21, v36
	v_cndmask_b32_e64 v21, v20, v50, s[12:13]
	v_cndmask_b32_e64 v19, v20, v31, s[14:15]
	v_fmac_f32_e32 v37, v63, v24
	v_max3_f32 v19, v21, s40, v19
	v_or_b32_e32 v21, 2, v18
	v_or_b32_e32 v24, 3, v18
	v_cmp_gt_i32_e64 s[16:17], s33, v21
	v_cmp_gt_i32_e64 s[18:19], s33, v24
	v_cvt_f32_i32_e32 v26, v26
	v_cndmask_b32_e64 v21, v20, v40, s[16:17]
	v_cndmask_b32_e64 v24, v20, v41, s[18:19]
	v_max3_f32 v19, v19, v21, v24
	v_or_b32_e32 v21, 16, v18
	v_or_b32_e32 v24, 17, v18
	v_cmp_gt_i32_e64 s[20:21], s33, v21
	v_cmp_gt_i32_e64 s[22:23], s33, v24
	v_fmac_f32_e32 v39, v63, v26
	v_cndmask_b32_e64 v21, v20, v52, s[20:21]
	v_cndmask_b32_e64 v24, v20, v47, s[22:23]
	v_max3_f32 v19, v19, v21, v24
	v_or_b32_e32 v21, 18, v18
	v_or_b32_e32 v24, 19, v18
	v_cmp_gt_i32_e64 s[24:25], s33, v21
	v_cmp_gt_i32_e64 s[26:27], s33, v24
	v_cvt_f32_i32_e32 v25, v25
	v_cndmask_b32_e64 v21, v20, v44, s[24:25]
	v_cndmask_b32_e64 v24, v20, v45, s[26:27]
	v_max3_f32 v19, v19, v21, v24
	v_or_b32_e32 v21, 32, v18
	v_or_b32_e32 v24, 33, v18
	v_cmp_gt_i32_e64 s[28:29], s33, v21
	v_cmp_gt_i32_e64 s[30:31], s33, v24
	v_fma_f32 v34, v63, v25, v34
	v_cndmask_b32_e64 v21, v20, v42, s[28:29]
	v_cndmask_b32_e64 v24, v20, v43, s[30:31]
	v_max3_f32 v19, v19, v21, v24
	v_or_b32_e32 v21, 34, v18
	v_or_b32_e32 v24, 35, v18
	v_cmp_gt_i32_e64 s[34:35], s33, v21
	v_cmp_gt_i32_e64 s[36:37], s33, v24
	s_nop 0
	v_cndmask_b32_e64 v21, v20, v38, s[34:35]
	v_cndmask_b32_e64 v24, v20, v39, s[36:37]
	v_max3_f32 v19, v19, v21, v24
	v_or_b32_e32 v21, 48, v18
	v_or_b32_e32 v24, 49, v18
	v_cmp_gt_i32_e64 s[6:7], s33, v21
	v_cmp_gt_i32_e64 s[8:9], s33, v24
	s_nop 0
	v_cndmask_b32_e64 v21, v20, v36, s[6:7]
	v_cndmask_b32_e64 v24, v20, v37, s[8:9]
	v_max3_f32 v19, v19, v21, v24
	v_or_b32_e32 v21, 50, v18
	v_or_b32_e32 v18, 51, v18
	v_cmp_gt_i32_e32 vcc, s33, v21
	v_cmp_gt_i32_e64 s[4:5], s33, v18
	s_nop 0
	v_cndmask_b32_e32 v21, v20, v34, vcc
	v_cndmask_b32_e64 v18, v20, v35, s[4:5]
	v_max3_f32 v24, v19, v21, v18
	v_mbcnt_lo_u32_b32 v18, -1, 0
	v_mbcnt_hi_u32_b32 v25, -1, v18
	v_and_b32_e32 v18, 64, v25
	v_add_u32_e32 v26, 64, v18
	v_xor_b32_e32 v18, 32, v25
	v_cmp_lt_i32_e64 s[38:39], v18, v26
	s_nop 1
	v_cndmask_b32_e64 v18, v25, v18, s[38:39]
	v_lshlrev_b32_e32 v53, 2, v18
	ds_bpermute_b32 v27, v53, v24
	v_mad_i64_i32 v[18:19], s[38:39], v64, s45, v[22:23]
	v_mad_i64_i32 v[20:21], s[38:39], v66, s45, v[22:23]
	s_waitcnt lgkmcnt(0)
	v_max_f32_e32 v27, v27, v27
	v_max_f32_e32 v27, v24, v27
	v_xor_b32_e32 v24, 16, v25
	v_cmp_lt_i32_e64 s[38:39], v24, v26
	s_nop 1
	v_cndmask_b32_e64 v24, v25, v24, s[38:39]
	v_lshlrev_b32_e32 v56, 2, v24
	ds_bpermute_b32 v26, v56, v27
	v_mad_i64_i32 v[24:25], s[38:39], v67, s45, v[22:23]
	v_mad_i64_i32 v[48:49], s[38:39], v68, s45, v[22:23]
	s_waitcnt lgkmcnt(0)
	v_max_f32_e32 v22, v26, v26
	v_max_f32_e32 v46, v27, v22
	v_sub_f32_e32 v22, v31, v46
	global_load_dwordx4 v[30:33], v[18:19], off
	global_load_dwordx4 v[26:29], v[20:21], off
	v_sub_f32_e32 v18, v50, v46
	v_mul_f32_e32 v18, 0x3fb8aa3b, v18
	v_exp_f32_e32 v50, v18
	v_mul_f32_e32 v18, 0x3fb8aa3b, v22
	v_exp_f32_e32 v51, v18
	v_sub_f32_e32 v18, v40, v46
	v_mul_f32_e32 v18, 0x3fb8aa3b, v18
	v_exp_f32_e32 v40, v18
	v_sub_f32_e32 v18, v41, v46
	v_mul_f32_e32 v18, 0x3fb8aa3b, v18
	v_exp_f32_e32 v41, v18
	global_load_dwordx4 v[22:25], v[24:25], off
	s_nop 0
	global_load_dwordx4 v[18:21], v[48:49], off
	v_sub_f32_e32 v42, v42, v46
	v_sub_f32_e32 v38, v38, v46
	v_mul_f32_e32 v42, 0x3fb8aa3b, v42
	v_mul_f32_e32 v38, 0x3fb8aa3b, v38
	v_cndmask_b32_e64 v49, 0, v51, s[14:15]
	v_cndmask_b32_e64 v51, 0, v41, s[18:19]
	v_sub_f32_e32 v41, v47, v46
	v_exp_f32_e32 v42, v42
	v_exp_f32_e32 v47, v38
	v_cndmask_b32_e64 v48, 0, v50, s[12:13]
	v_cndmask_b32_e64 v50, 0, v40, s[16:17]
	v_sub_f32_e32 v40, v52, v46
	v_mul_f32_e32 v40, 0x3fb8aa3b, v40
	v_sub_f32_e32 v38, v39, v46
	v_exp_f32_e32 v40, v40
	v_mul_f32_e32 v41, 0x3fb8aa3b, v41
	v_sub_f32_e32 v44, v44, v46
	v_mul_f32_e32 v38, 0x3fb8aa3b, v38
	v_exp_f32_e32 v41, v41
	v_mul_f32_e32 v44, 0x3fb8aa3b, v44
	v_sub_f32_e32 v45, v45, v46
	v_exp_f32_e32 v52, v38
	v_cndmask_b32_e64 v38, 0, v42, s[28:29]
	v_cndmask_b32_e64 v42, 0, v47, s[34:35]
	v_add_f32_e32 v47, 0, v48
	v_exp_f32_e32 v44, v44
	v_mul_f32_e32 v45, 0x3fb8aa3b, v45
	v_add_f32_e32 v47, v47, v49
	v_exp_f32_e32 v45, v45
	v_sub_f32_e32 v43, v43, v46
	v_add_f32_e32 v47, v47, v50
	v_cndmask_b32_e64 v40, 0, v40, s[20:21]
	v_mul_f32_e32 v43, 0x3fb8aa3b, v43
	v_add_f32_e32 v47, v47, v51
	v_cndmask_b32_e64 v41, 0, v41, s[22:23]
	v_exp_f32_e32 v43, v43
	v_add_f32_e32 v47, v47, v40
	v_cndmask_b32_e64 v44, 0, v44, s[24:25]
	v_add_f32_e32 v47, v47, v41
	v_sub_f32_e32 v36, v36, v46
	v_cndmask_b32_e64 v45, 0, v45, s[26:27]
	v_add_f32_e32 v47, v47, v44
	v_mul_f32_e32 v36, 0x3fb8aa3b, v36
	v_sub_f32_e32 v37, v37, v46
	v_add_f32_e32 v47, v47, v45
	v_exp_f32_e32 v36, v36
	v_mul_f32_e32 v37, 0x3fb8aa3b, v37
	v_sub_f32_e32 v34, v34, v46
	v_cndmask_b32_e64 v39, 0, v43, s[30:31]
	v_add_f32_e32 v47, v47, v38
	v_exp_f32_e32 v37, v37
	v_mul_f32_e32 v34, 0x3fb8aa3b, v34
	v_sub_f32_e32 v35, v35, v46
	v_add_f32_e32 v47, v47, v39
	v_exp_f32_e32 v34, v34
	v_mul_f32_e32 v35, 0x3fb8aa3b, v35
	v_cndmask_b32_e64 v43, 0, v52, s[36:37]
	v_add_f32_e32 v47, v47, v42
	v_exp_f32_e32 v35, v35
	v_add_f32_e32 v47, v47, v43
	v_cndmask_b32_e64 v36, 0, v36, s[6:7]
	v_add_f32_e32 v47, v47, v36
	v_cndmask_b32_e64 v37, 0, v37, s[8:9]
	v_add_f32_e32 v47, v47, v37
	v_cndmask_b32_e32 v34, 0, v34, vcc
	v_add_f32_e32 v47, v47, v34
	v_cndmask_b32_e64 v35, 0, v35, s[4:5]
	v_add_f32_e32 v47, v47, v35
	ds_bpermute_b32 v52, v53, v47
	v_cmp_gt_u32_e32 vcc, 16, v55
	s_waitcnt lgkmcnt(0)
	s_barrier
	v_add_f32_e32 v47, v47, v52
	ds_bpermute_b32 v52, v56, v47
	s_and_saveexec_b64 s[4:5], vcc
	s_cbranch_execz .LBB985_15
; %bb.14:
	s_waitcnt lgkmcnt(0)
	v_add_f32_e32 v47, v47, v52
	v_lshlrev_b32_e32 v52, 2, v65
	ds_write2st64_b32 v52, v46, v47 offset1:1
.LBB985_15:
	s_or_b64 exec, exec, s[4:5]
	v_lshlrev_b32_e32 v47, 2, v60
	s_load_dword s6, s[0:1], 0x94
	s_waitcnt lgkmcnt(0)
	s_barrier
	ds_read2_b32 v[52:53], v47 offset1:16
	ds_read2_b32 v[56:57], v47 offset0:32 offset1:48
	ds_read2_b32 v[58:59], v47 offset0:64 offset1:80
	s_lshl_b32 s7, s44, 1
	s_waitcnt lgkmcnt(2)
	v_max3_f32 v46, v52, s40, v53
	s_waitcnt lgkmcnt(1)
	v_max3_f32 v46, v46, v56, v57
	v_sub_f32_e32 v52, v52, v46
	v_mul_f32_e32 v52, 0x3fb8aa3b, v52
	v_exp_f32_e32 v63, v52
	v_sub_f32_e32 v52, v53, v46
	v_mul_f32_e32 v52, 0x3fb8aa3b, v52
	v_exp_f32_e32 v64, v52
	;; [unrolled: 3-line block ×3, first 2 shown]
	ds_read2_b32 v[52:53], v47 offset0:96 offset1:112
	v_sub_f32_e32 v47, v57, v46
	v_mul_f32_e32 v47, 0x3fb8aa3b, v47
	v_exp_f32_e32 v57, v47
	s_waitcnt lgkmcnt(1)
	v_fma_f32 v47, v63, v58, 0
	v_fmac_f32_e32 v47, v64, v59
	s_waitcnt lgkmcnt(0)
	v_fmac_f32_e32 v47, v56, v52
	v_fmac_f32_e32 v47, v57, v53
	v_add_f32_e32 v52, 0x358637bd, v47
	v_div_scale_f32 v53, s[4:5], v52, v52, 1.0
	v_rcp_f32_e32 v58, v53
	s_barrier
	v_fma_f32 v59, -v53, v58, 1.0
	v_fmac_f32_e32 v58, v59, v58
	v_div_scale_f32 v59, vcc, 1.0, v52, 1.0
	v_mul_f32_e32 v65, v59, v58
	v_fma_f32 v66, -v53, v65, v59
	v_fmac_f32_e32 v65, v66, v58
	v_fma_f32 v53, -v53, v65, v59
	v_div_fmas_f32 v53, v53, v58, v65
	v_cmp_eq_u32_e32 vcc, 1, v62
	v_div_fixup_f32 v52, v53, v52, 1.0
	s_nop 0
	v_cndmask_b32_e32 v53, v63, v64, vcc
	v_cmp_eq_u32_e32 vcc, 2, v62
	s_nop 1
	v_cndmask_b32_e32 v53, v53, v56, vcc
	v_cmp_eq_u32_e32 vcc, 3, v62
	s_nop 1
	v_cndmask_b32_e32 v53, v53, v57, vcc
	v_mul_f32_e32 v52, v53, v52
	v_pk_mul_f32 v[50:51], v[52:53], v[50:51] op_sel_hi:[0,1]
	v_pk_mul_f32 v[48:49], v[52:53], v[48:49] op_sel_hi:[0,1]
	v_cvt_f16_f32_e32 v53, v50
	v_cvt_f16_f32_e32 v48, v48
	;; [unrolled: 1-line block ×4, first 2 shown]
	v_pk_mul_f32 v[44:45], v[52:53], v[44:45] op_sel_hi:[0,1]
	v_pk_mul_f32 v[40:41], v[52:53], v[40:41] op_sel_hi:[0,1]
	v_cvt_f16_f32_e32 v40, v40
	v_cvt_f16_f32_e32 v41, v41
	;; [unrolled: 1-line block ×4, first 2 shown]
	v_pack_b32_f16 v50, v48, v49
	v_pack_b32_f16 v51, v53, v51
	v_lshlrev_b32_e32 v49, 3, v1
	v_lshlrev_b32_e32 v48, 5, v60
	;; [unrolled: 1-line block ×3, first 2 shown]
	v_or3_b32 v56, v53, v48, v49
	v_pack_b32_f16 v40, v40, v41
	v_pack_b32_f16 v41, v44, v45
	ds_write2st64_b64 v56, v[50:51], v[40:41] offset1:1
	v_pk_mul_f32 v[40:41], v[52:53], v[42:43] op_sel_hi:[0,1]
	v_pk_mul_f32 v[38:39], v[52:53], v[38:39] op_sel_hi:[0,1]
	;; [unrolled: 1-line block ×4, first 2 shown]
	v_cvt_f16_f32_e32 v38, v38
	v_cvt_f16_f32_e32 v39, v39
	;; [unrolled: 1-line block ×8, first 2 shown]
	v_pack_b32_f16 v34, v38, v39
	v_pack_b32_f16 v35, v40, v41
	;; [unrolled: 1-line block ×4, first 2 shown]
	v_cmp_gt_u32_e32 vcc, 2, v0
	ds_write2st64_b64 v56, v[34:35], v[36:37] offset0:2 offset1:3
	s_and_saveexec_b64 s[4:5], vcc
	s_cbranch_execz .LBB985_17
; %bb.16:
	v_or_b32_e32 v34, s11, v0
	v_mov_b32_e32 v35, 0
	v_mov_b32_e32 v36, s7
	v_mad_u64_u32 v[36:37], s[8:9], s2, v36, v[34:35]
	v_mov_b32_e32 v34, s10
	s_load_dwordx4 s[12:15], s[0:1], 0x58
	s_mul_i32 s3, s3, s7
	v_mad_u64_u32 v[34:35], s[8:9], v36, s6, v[34:35]
	v_add_u32_e32 v37, s3, v37
	v_mov_b32_e32 v36, v35
	v_mad_u64_u32 v[36:37], s[8:9], v37, s6, v[36:37]
	v_mov_b32_e32 v35, v36
	v_lshlrev_b64 v[34:35], 2, v[34:35]
	s_waitcnt lgkmcnt(0)
	v_lshl_add_u64 v[36:37], s[14:15], 0, v[34:35]
	v_lshl_add_u64 v[34:35], s[12:13], 0, v[34:35]
	global_store_dword v[36:37], v46, off
	global_store_dword v[34:35], v47, off
.LBB985_17:
	s_or_b64 exec, exec, s[4:5]
	s_waitcnt vmcnt(7)
	v_cvt_pk_f32_fp8_e32 v[34:35], v14
	v_cvt_pk_f32_fp8_sdwa v[36:37], v14 src0_sel:WORD_1
	v_lshl_or_b32 v50, v1, 9, v48
	s_waitcnt lgkmcnt(0)
	s_barrier
	v_cvt_pk_f32_fp8_e32 v[38:39], v15
	v_cvt_pkrtz_f16_f32 v14, v34, v35
	v_cvt_pk_f32_fp8_sdwa v[40:41], v15 src0_sel:WORD_1
	v_cvt_pkrtz_f16_f32 v15, v36, v37
	ds_read_b128 v[34:37], v50
	v_cvt_pkrtz_f16_f32 v46, v38, v39
	v_cvt_pkrtz_f16_f32 v47, v40, v41
	ds_read_b128 v[38:41], v50 offset:16
	v_cvt_pk_f32_fp8_e32 v[48:49], v16
	v_cvt_pk_f32_fp8_sdwa v[52:53], v16 src0_sel:WORD_1
	s_waitcnt lgkmcnt(1)
	v_mfma_f32_16x16x16_f16 v[42:45], v[14:15], v[34:35], 0
	s_waitcnt vmcnt(6)
	v_cvt_pk_f32_fp8_e32 v[58:59], v12
	v_cvt_pkrtz_f16_f32 v14, v48, v49
	v_cvt_pkrtz_f16_f32 v15, v52, v53
	v_cvt_pk_f32_fp8_e32 v[48:49], v17
	v_mfma_f32_16x16x16_f16 v[42:45], v[46:47], v[36:37], v[42:45]
	v_cvt_pk_f32_fp8_sdwa v[46:47], v17 src0_sel:WORD_1
	v_cvt_pk_f32_fp8_sdwa v[62:63], v12 src0_sel:WORD_1
	v_cvt_pkrtz_f16_f32 v48, v48, v49
	s_waitcnt lgkmcnt(0)
	v_mfma_f32_16x16x16_f16 v[14:17], v[14:15], v[38:39], v[42:45]
	v_cvt_pkrtz_f16_f32 v49, v46, v47
	s_waitcnt vmcnt(5)
	v_cvt_pk_f32_fp8_sdwa v[66:67], v8 src0_sel:WORD_1
	s_waitcnt vmcnt(4)
	v_cvt_pk_f32_fp8_sdwa v[68:69], v4 src0_sel:WORD_1
	v_cvt_pk_f32_fp8_e32 v[42:43], v10
	v_mfma_f32_16x16x16_f16 v[46:49], v[48:49], v[40:41], v[14:17]
	s_waitcnt vmcnt(3)
	v_cvt_pk_f32_fp8_sdwa v[70:71], v32 src0_sel:WORD_1
	s_load_dword s4, s[42:43], 0x0
	v_cvt_pk_f32_fp8_sdwa v[14:15], v10 src0_sel:WORD_1
	v_cvt_pk_f32_fp8_e32 v[16:17], v11
	v_cvt_pkrtz_f16_f32 v10, v42, v43
	v_cvt_pk_f32_fp8_sdwa v[42:43], v11 src0_sel:WORD_1
	v_cvt_pkrtz_f16_f32 v11, v14, v15
	v_cvt_pkrtz_f16_f32 v52, v16, v17
	ds_read_b128 v[14:17], v50 offset:2048
	v_cvt_pkrtz_f16_f32 v53, v42, v43
	ds_read_b128 v[42:45], v50 offset:2064
	s_waitcnt lgkmcnt(0)
	v_mfma_f32_16x16x16_f16 v[46:49], v[10:11], v[14:15], v[46:49]
	v_cvt_pkrtz_f16_f32 v10, v58, v59
	v_cvt_pkrtz_f16_f32 v11, v62, v63
	v_cvt_pk_f32_fp8_e32 v[58:59], v13
	v_mfma_f32_16x16x16_f16 v[46:49], v[52:53], v[16:17], v[46:49]
	v_cvt_pk_f32_fp8_sdwa v[52:53], v13 src0_sel:WORD_1
	v_cmp_gt_u32_e32 vcc, 64, v0
	v_cvt_pkrtz_f16_f32 v58, v58, v59
	v_mfma_f32_16x16x16_f16 v[10:13], v[10:11], v[42:43], v[46:49]
	v_cvt_pkrtz_f16_f32 v59, v52, v53
	s_mov_b32 s3, 0
	s_nop 0
	v_cvt_pk_f32_fp8_e32 v[46:47], v6
	v_mfma_f32_16x16x16_f16 v[62:65], v[58:59], v[44:45], v[10:13]
	v_cvt_pk_f32_fp8_e32 v[58:59], v8
	s_nop 1
	v_cvt_pk_f32_fp8_sdwa v[10:11], v6 src0_sel:WORD_1
	v_cvt_pk_f32_fp8_e32 v[12:13], v7
	v_cvt_pkrtz_f16_f32 v6, v46, v47
	v_cvt_pk_f32_fp8_sdwa v[46:47], v7 src0_sel:WORD_1
	v_cvt_pkrtz_f16_f32 v7, v10, v11
	v_cvt_pkrtz_f16_f32 v52, v12, v13
	ds_read_b128 v[10:13], v50 offset:4096
	v_cvt_pkrtz_f16_f32 v53, v46, v47
	ds_read_b128 v[46:49], v50 offset:4112
	s_waitcnt lgkmcnt(1)
	v_mfma_f32_16x16x16_f16 v[62:65], v[6:7], v[10:11], v[62:65]
	v_cvt_pkrtz_f16_f32 v6, v58, v59
	v_cvt_pkrtz_f16_f32 v7, v66, v67
	v_cvt_pk_f32_fp8_e32 v[58:59], v9
	v_mfma_f32_16x16x16_f16 v[62:65], v[52:53], v[12:13], v[62:65]
	v_cvt_pk_f32_fp8_sdwa v[52:53], v9 src0_sel:WORD_1
	v_cvt_pk_f32_fp8_e32 v[66:67], v4
	v_cvt_pkrtz_f16_f32 v58, v58, v59
	s_waitcnt lgkmcnt(0)
	v_mfma_f32_16x16x16_f16 v[6:9], v[6:7], v[46:47], v[62:65]
	v_cvt_pkrtz_f16_f32 v59, v52, v53
	v_cvt_pk_f32_fp8_e32 v[52:53], v2
	s_nop 0
	v_mfma_f32_16x16x16_f16 v[62:65], v[58:59], v[48:49], v[6:9]
	s_nop 2
	v_cvt_pk_f32_fp8_sdwa v[6:7], v2 src0_sel:WORD_1
	v_cvt_pk_f32_fp8_e32 v[8:9], v3
	v_cvt_pkrtz_f16_f32 v2, v52, v53
	v_cvt_pk_f32_fp8_sdwa v[52:53], v3 src0_sel:WORD_1
	v_cvt_pkrtz_f16_f32 v3, v6, v7
	v_cvt_pkrtz_f16_f32 v58, v8, v9
	ds_read_b128 v[6:9], v50 offset:6144
	v_cvt_pkrtz_f16_f32 v59, v52, v53
	s_waitcnt lgkmcnt(0)
	v_mfma_f32_16x16x16_f16 v[62:65], v[2:3], v[6:7], v[62:65]
	ds_read_b128 v[50:53], v50 offset:6160
	v_cvt_pkrtz_f16_f32 v2, v66, v67
	v_cvt_pkrtz_f16_f32 v3, v68, v69
	v_cvt_pk_f32_fp8_e32 v[66:67], v5
	v_mfma_f32_16x16x16_f16 v[62:65], v[58:59], v[8:9], v[62:65]
	v_cvt_pk_f32_fp8_sdwa v[58:59], v5 src0_sel:WORD_1
	v_cvt_pk_f32_fp8_e32 v[68:69], v32
	v_cvt_pkrtz_f16_f32 v66, v66, v67
	s_waitcnt lgkmcnt(0)
	v_mfma_f32_16x16x16_f16 v[2:5], v[2:3], v[50:51], v[62:65]
	v_cvt_pkrtz_f16_f32 v67, v58, v59
	v_cvt_pk_f32_fp8_e32 v[58:59], v30
	s_nop 0
	v_cvt_pk_f32_fp8_sdwa v[62:63], v30 src0_sel:WORD_1
	v_cvt_pk_f32_fp8_e32 v[64:65], v31
	v_cvt_pkrtz_f16_f32 v58, v58, v59
	v_cvt_pk_f32_fp8_sdwa v[30:31], v31 src0_sel:WORD_1
	v_cvt_pkrtz_f16_f32 v59, v62, v63
	v_mfma_f32_16x16x16_f16 v[2:5], v[66:67], v[52:53], v[2:5]
	v_cvt_pkrtz_f16_f32 v66, v64, v65
	v_cvt_pkrtz_f16_f32 v67, v30, v31
	;; [unrolled: 1-line block ×3, first 2 shown]
	v_mfma_f32_16x16x16_f16 v[62:65], v[58:59], v[34:35], 0
	v_cvt_pkrtz_f16_f32 v31, v70, v71
	v_cvt_pk_f32_fp8_e32 v[58:59], v33
	s_barrier
	v_mfma_f32_16x16x16_f16 v[34:37], v[66:67], v[36:37], v[62:65]
	v_cvt_pkrtz_f16_f32 v58, v58, v59
	s_nop 1
	v_cvt_pk_f32_fp8_sdwa v[62:63], v33 src0_sel:WORD_1
	v_mfma_f32_16x16x16_f16 v[30:33], v[30:31], v[38:39], v[34:37]
	s_waitcnt vmcnt(2)
	v_cvt_pk_f32_fp8_e32 v[38:39], v27
	v_cvt_pkrtz_f16_f32 v59, v62, v63
	v_cvt_pk_f32_fp8_e32 v[34:35], v26
	v_cvt_pk_f32_fp8_sdwa v[36:37], v26 src0_sel:WORD_1
	v_cvt_pk_f32_fp8_sdwa v[26:27], v27 src0_sel:WORD_1
	v_mfma_f32_16x16x16_f16 v[30:33], v[58:59], v[40:41], v[30:33]
	v_cvt_pkrtz_f16_f32 v34, v34, v35
	v_cvt_pkrtz_f16_f32 v35, v36, v37
	;; [unrolled: 1-line block ×3, first 2 shown]
	v_cvt_pk_f32_fp8_e32 v[38:39], v28
	v_cvt_pk_f32_fp8_sdwa v[40:41], v28 src0_sel:WORD_1
	v_cvt_pkrtz_f16_f32 v37, v26, v27
	v_mfma_f32_16x16x16_f16 v[30:33], v[34:35], v[14:15], v[30:33]
	v_cvt_pkrtz_f16_f32 v26, v38, v39
	v_cvt_pkrtz_f16_f32 v27, v40, v41
	v_cvt_pk_f32_fp8_e32 v[34:35], v29
	v_cvt_pk_f32_fp8_sdwa v[28:29], v29 src0_sel:WORD_1
	v_mfma_f32_16x16x16_f16 v[14:17], v[36:37], v[16:17], v[30:33]
	s_nop 2
	v_cvt_pkrtz_f16_f32 v30, v34, v35
	v_cvt_pkrtz_f16_f32 v31, v28, v29
	v_mfma_f32_16x16x16_f16 v[14:17], v[26:27], v[42:43], v[14:17]
	s_waitcnt vmcnt(1)
	v_cvt_pk_f32_fp8_e32 v[26:27], v22
	v_cvt_pk_f32_fp8_sdwa v[28:29], v22 src0_sel:WORD_1
	v_cvt_pk_f32_fp8_sdwa v[32:33], v24 src0_sel:WORD_1
	v_mfma_f32_16x16x16_f16 v[14:17], v[30:31], v[44:45], v[14:17]
	v_cvt_pk_f32_fp8_e32 v[30:31], v23
	v_cvt_pkrtz_f16_f32 v26, v26, v27
	v_cvt_pkrtz_f16_f32 v27, v28, v29
	v_cvt_pk_f32_fp8_sdwa v[22:23], v23 src0_sel:WORD_1
	v_cvt_pkrtz_f16_f32 v28, v30, v31
	v_cvt_pk_f32_fp8_e32 v[30:31], v24
	v_mfma_f32_16x16x16_f16 v[14:17], v[26:27], v[10:11], v[14:17]
	v_cvt_pkrtz_f16_f32 v29, v22, v23
	v_cvt_pkrtz_f16_f32 v22, v30, v31
	;; [unrolled: 1-line block ×3, first 2 shown]
	v_cvt_pk_f32_fp8_e32 v[26:27], v25
	v_cvt_pk_f32_fp8_sdwa v[24:25], v25 src0_sel:WORD_1
	v_mfma_f32_16x16x16_f16 v[10:13], v[28:29], v[12:13], v[14:17]
	s_nop 2
	v_pk_mul_f32 v[14:15], v[4:5], s[4:5] op_sel_hi:[1,0]
	v_cvt_pkrtz_f16_f32 v4, v26, v27
	v_cvt_pkrtz_f16_f32 v5, v24, v25
	v_mfma_f32_16x16x16_f16 v[10:13], v[22:23], v[46:47], v[10:13]
	s_waitcnt vmcnt(0)
	v_cvt_pk_f32_fp8_e32 v[22:23], v18
	v_cvt_pk_f32_fp8_sdwa v[24:25], v18 src0_sel:WORD_1
	v_pk_mul_f32 v[16:17], v[2:3], s[4:5] op_sel_hi:[1,0]
	v_mfma_f32_16x16x16_f16 v[2:5], v[4:5], v[48:49], v[10:13]
	s_nop 2
	v_cvt_pk_f32_fp8_e32 v[10:11], v19
	v_cvt_pkrtz_f16_f32 v12, v22, v23
	v_cvt_pkrtz_f16_f32 v13, v24, v25
	v_cvt_pk_f32_fp8_sdwa v[18:19], v19 src0_sel:WORD_1
	v_cvt_pkrtz_f16_f32 v10, v10, v11
	v_cvt_pk_f32_fp8_e32 v[22:23], v20
	v_cvt_pk_f32_fp8_sdwa v[24:25], v20 src0_sel:WORD_1
	v_cvt_pkrtz_f16_f32 v11, v18, v19
	v_mfma_f32_16x16x16_f16 v[2:5], v[12:13], v[6:7], v[2:5]
	v_cvt_pkrtz_f16_f32 v6, v22, v23
	v_cvt_pkrtz_f16_f32 v7, v24, v25
	v_cvt_pk_f32_fp8_e32 v[12:13], v21
	v_cvt_pk_f32_fp8_sdwa v[18:19], v21 src0_sel:WORD_1
	v_mfma_f32_16x16x16_f16 v[2:5], v[10:11], v[8:9], v[2:5]
	v_cvt_f16_f32_e32 v10, v16
	v_cvt_pkrtz_f16_f32 v8, v12, v13
	v_cvt_pkrtz_f16_f32 v9, v18, v19
	v_mfma_f32_16x16x16_f16 v[2:5], v[6:7], v[50:51], v[2:5]
	v_cvt_f16_f32_e32 v6, v17
	v_cvt_f16_f32_e32 v7, v14
	v_cvt_f16_f32_e32 v11, v15
	v_mfma_f32_16x16x16_f16 v[2:5], v[8:9], v[52:53], v[2:5]
	s_nop 6
	v_pk_mul_f32 v[4:5], v[4:5], s[4:5] op_sel_hi:[1,0]
	v_pk_mul_f32 v[2:3], v[2:3], s[4:5] op_sel_hi:[1,0]
	v_cvt_f16_f32_e32 v12, v4
	v_cvt_f16_f32_e32 v8, v2
	;; [unrolled: 1-line block ×4, first 2 shown]
	v_cmp_gt_u32_e64 s[4:5], 32, v55
	v_pack_b32_f16 v2, v10, v6
	v_pack_b32_f16 v3, v7, v11
	;; [unrolled: 1-line block ×4, first 2 shown]
	s_and_b64 s[4:5], vcc, s[4:5]
	ds_write2st64_b64 v56, v[2:3], v[4:5] offset1:1
	s_waitcnt lgkmcnt(0)
	s_barrier
	s_and_saveexec_b64 s[8:9], s[4:5]
	s_cbranch_execz .LBB985_19
; %bb.18:
	s_load_dwordx2 s[0:1], s[0:1], 0x68
	s_mul_i32 s2, s7, s2
	s_lshl_b32 s6, s6, 7
	v_lshlrev_b32_e32 v4, 6, v60
	s_mul_hi_u32 s5, s2, s6
	s_mul_i32 s4, s2, s6
	v_lshl_or_b32 v0, v0, 10, v4
	s_lshl_b64 s[4:5], s[4:5], 1
	v_lshlrev_b32_e32 v2, 5, v1
	v_and_b32_e32 v3, 16, v61
	v_and_b32_e32 v0, 0x1a00, v0
	s_waitcnt lgkmcnt(0)
	s_add_u32 s4, s0, s4
	v_or3_b32 v0, v0, v2, v3
	s_addc_u32 s5, s1, s5
	s_lshl_b32 s2, s10, 7
	ds_read_b128 v[2:5], v0
	s_lshl_b64 s[0:1], s[2:3], 1
	s_add_u32 s0, s4, s0
	v_or_b32_e32 v0, s11, v1
	s_addc_u32 s1, s5, s1
	v_mad_u64_u32 v[0:1], s[2:3], s6, v0, 0
	v_lshl_add_u64 v[0:1], v[0:1], 1, s[0:1]
	v_mov_b32_e32 v55, 0
	v_lshl_add_u64 v[0:1], v[0:1], 0, v[54:55]
	s_waitcnt lgkmcnt(0)
	global_store_dwordx4 v[0:1], v[2:5], off
.LBB985_19:
	s_endpgm
	.section	.rodata,"a",@progbits
	.p2align	6, 0x0
	.amdhsa_kernel _Z39paged_attention_ll4mi_QKV_mfma16_kernelIDF16_hLN4vllm18Fp8KVCacheDataTypeE1EDF16_Li16ELi128ELi256ELb1ELi2EEvPKT_PKT0_S7_ifPKiS9_S9_iPKfiiiPfSC_PS2_PT2_iSB_SB_
		.amdhsa_group_segment_fixed_size 8192
		.amdhsa_private_segment_fixed_size 0
		.amdhsa_kernarg_size 400
		.amdhsa_user_sgpr_count 2
		.amdhsa_user_sgpr_dispatch_ptr 0
		.amdhsa_user_sgpr_queue_ptr 0
		.amdhsa_user_sgpr_kernarg_segment_ptr 1
		.amdhsa_user_sgpr_dispatch_id 0
		.amdhsa_user_sgpr_kernarg_preload_length 0
		.amdhsa_user_sgpr_kernarg_preload_offset 0
		.amdhsa_user_sgpr_private_segment_size 0
		.amdhsa_uses_dynamic_stack 0
		.amdhsa_enable_private_segment 0
		.amdhsa_system_sgpr_workgroup_id_x 1
		.amdhsa_system_sgpr_workgroup_id_y 1
		.amdhsa_system_sgpr_workgroup_id_z 1
		.amdhsa_system_sgpr_workgroup_info 0
		.amdhsa_system_vgpr_workitem_id 0
		.amdhsa_next_free_vgpr 80
		.amdhsa_next_free_sgpr 48
		.amdhsa_accum_offset 80
		.amdhsa_reserve_vcc 1
		.amdhsa_float_round_mode_32 0
		.amdhsa_float_round_mode_16_64 0
		.amdhsa_float_denorm_mode_32 3
		.amdhsa_float_denorm_mode_16_64 3
		.amdhsa_dx10_clamp 1
		.amdhsa_ieee_mode 1
		.amdhsa_fp16_overflow 0
		.amdhsa_tg_split 0
		.amdhsa_exception_fp_ieee_invalid_op 0
		.amdhsa_exception_fp_denorm_src 0
		.amdhsa_exception_fp_ieee_div_zero 0
		.amdhsa_exception_fp_ieee_overflow 0
		.amdhsa_exception_fp_ieee_underflow 0
		.amdhsa_exception_fp_ieee_inexact 0
		.amdhsa_exception_int_div_zero 0
	.end_amdhsa_kernel
	.section	.text._Z39paged_attention_ll4mi_QKV_mfma16_kernelIDF16_hLN4vllm18Fp8KVCacheDataTypeE1EDF16_Li16ELi128ELi256ELb1ELi2EEvPKT_PKT0_S7_ifPKiS9_S9_iPKfiiiPfSC_PS2_PT2_iSB_SB_,"axG",@progbits,_Z39paged_attention_ll4mi_QKV_mfma16_kernelIDF16_hLN4vllm18Fp8KVCacheDataTypeE1EDF16_Li16ELi128ELi256ELb1ELi2EEvPKT_PKT0_S7_ifPKiS9_S9_iPKfiiiPfSC_PS2_PT2_iSB_SB_,comdat
.Lfunc_end985:
	.size	_Z39paged_attention_ll4mi_QKV_mfma16_kernelIDF16_hLN4vllm18Fp8KVCacheDataTypeE1EDF16_Li16ELi128ELi256ELb1ELi2EEvPKT_PKT0_S7_ifPKiS9_S9_iPKfiiiPfSC_PS2_PT2_iSB_SB_, .Lfunc_end985-_Z39paged_attention_ll4mi_QKV_mfma16_kernelIDF16_hLN4vllm18Fp8KVCacheDataTypeE1EDF16_Li16ELi128ELi256ELb1ELi2EEvPKT_PKT0_S7_ifPKiS9_S9_iPKfiiiPfSC_PS2_PT2_iSB_SB_
                                        ; -- End function
	.section	.AMDGPU.csdata,"",@progbits
; Kernel info:
; codeLenInByte = 6208
; NumSgprs: 54
; NumVgprs: 80
; NumAgprs: 0
; TotalNumVgprs: 80
; ScratchSize: 0
; MemoryBound: 0
; FloatMode: 240
; IeeeMode: 1
; LDSByteSize: 8192 bytes/workgroup (compile time only)
; SGPRBlocks: 6
; VGPRBlocks: 9
; NumSGPRsForWavesPerEU: 54
; NumVGPRsForWavesPerEU: 80
; AccumOffset: 80
; Occupancy: 6
; WaveLimiterHint : 1
; COMPUTE_PGM_RSRC2:SCRATCH_EN: 0
; COMPUTE_PGM_RSRC2:USER_SGPR: 2
; COMPUTE_PGM_RSRC2:TRAP_HANDLER: 0
; COMPUTE_PGM_RSRC2:TGID_X_EN: 1
; COMPUTE_PGM_RSRC2:TGID_Y_EN: 1
; COMPUTE_PGM_RSRC2:TGID_Z_EN: 1
; COMPUTE_PGM_RSRC2:TIDIG_COMP_CNT: 0
; COMPUTE_PGM_RSRC3_GFX90A:ACCUM_OFFSET: 19
; COMPUTE_PGM_RSRC3_GFX90A:TG_SPLIT: 0
	.section	.text._Z39paged_attention_ll4mi_QKV_mfma16_kernelIDF16_hLN4vllm18Fp8KVCacheDataTypeE1EDF16_Li16ELi128ELi256ELb1ELi3EEvPKT_PKT0_S7_ifPKiS9_S9_iPKfiiiPfSC_PS2_PT2_iSB_SB_,"axG",@progbits,_Z39paged_attention_ll4mi_QKV_mfma16_kernelIDF16_hLN4vllm18Fp8KVCacheDataTypeE1EDF16_Li16ELi128ELi256ELb1ELi3EEvPKT_PKT0_S7_ifPKiS9_S9_iPKfiiiPfSC_PS2_PT2_iSB_SB_,comdat
	.protected	_Z39paged_attention_ll4mi_QKV_mfma16_kernelIDF16_hLN4vllm18Fp8KVCacheDataTypeE1EDF16_Li16ELi128ELi256ELb1ELi3EEvPKT_PKT0_S7_ifPKiS9_S9_iPKfiiiPfSC_PS2_PT2_iSB_SB_ ; -- Begin function _Z39paged_attention_ll4mi_QKV_mfma16_kernelIDF16_hLN4vllm18Fp8KVCacheDataTypeE1EDF16_Li16ELi128ELi256ELb1ELi3EEvPKT_PKT0_S7_ifPKiS9_S9_iPKfiiiPfSC_PS2_PT2_iSB_SB_
	.globl	_Z39paged_attention_ll4mi_QKV_mfma16_kernelIDF16_hLN4vllm18Fp8KVCacheDataTypeE1EDF16_Li16ELi128ELi256ELb1ELi3EEvPKT_PKT0_S7_ifPKiS9_S9_iPKfiiiPfSC_PS2_PT2_iSB_SB_
	.p2align	8
	.type	_Z39paged_attention_ll4mi_QKV_mfma16_kernelIDF16_hLN4vllm18Fp8KVCacheDataTypeE1EDF16_Li16ELi128ELi256ELb1ELi3EEvPKT_PKT0_S7_ifPKiS9_S9_iPKfiiiPfSC_PS2_PT2_iSB_SB_,@function
_Z39paged_attention_ll4mi_QKV_mfma16_kernelIDF16_hLN4vllm18Fp8KVCacheDataTypeE1EDF16_Li16ELi128ELi256ELb1ELi3EEvPKT_PKT0_S7_ifPKiS9_S9_iPKfiiiPfSC_PS2_PT2_iSB_SB_: ; @_Z39paged_attention_ll4mi_QKV_mfma16_kernelIDF16_hLN4vllm18Fp8KVCacheDataTypeE1EDF16_Li16ELi128ELi256ELb1ELi3EEvPKT_PKT0_S7_ifPKiS9_S9_iPKfiiiPfSC_PS2_PT2_iSB_SB_
; %bb.0:
	s_load_dwordx2 s[10:11], s[0:1], 0x30
	s_mov_b32 s6, s3
	s_mov_b64 s[8:9], 0
	s_waitcnt lgkmcnt(0)
	s_cmp_lg_u64 s[10:11], 0
	s_cselect_b64 s[12:13], -1, 0
	s_and_b64 vcc, exec, s[12:13]
	s_cbranch_vccz .LBB986_7
; %bb.1:
	s_add_i32 s14, s2, 1
	s_mov_b32 s15, 0
	s_lshl_b64 s[16:17], s[14:15], 2
	s_add_u32 s16, s10, s16
	s_mov_b32 s3, s15
	s_addc_u32 s17, s11, s17
	s_lshl_b64 s[14:15], s[2:3], 2
	s_add_u32 s14, s10, s14
	s_addc_u32 s15, s11, s15
	s_load_dword s5, s[16:17], 0x0
	s_load_dword s7, s[14:15], 0x0
	s_waitcnt lgkmcnt(0)
	s_sub_i32 s5, s5, s7
	s_cmp_eq_u32 s5, 1
	s_cselect_b64 s[14:15], -1, 0
	s_andn2_b64 vcc, exec, s[8:9]
	s_cbranch_vccnz .LBB986_3
.LBB986_2:
	s_mov_b32 s3, 0
	s_mov_b64 s[14:15], -1
.LBB986_3:
	s_andn2_b64 vcc, exec, s[14:15]
	s_cbranch_vccnz .LBB986_19
; %bb.4:
	s_load_dwordx2 s[8:9], s[0:1], 0x28
	s_lshl_b64 s[16:17], s[2:3], 2
	s_waitcnt lgkmcnt(0)
	s_add_u32 s8, s8, s16
	s_addc_u32 s9, s9, s17
	s_load_dword s7, s[8:9], 0x0
	s_lshl_b32 s18, s6, 8
	s_waitcnt lgkmcnt(0)
	s_cmp_ge_i32 s18, s7
	s_cbranch_scc1 .LBB986_19
; %bb.5:
	s_load_dwordx2 s[8:9], s[0:1], 0x20
	s_load_dword s5, s[0:1], 0x38
	s_add_i32 s14, s7, 15
	s_ashr_i32 s15, s14, 31
	v_and_b32_e32 v1, 0xcf, v0
	s_lshr_b32 s15, s15, 28
	v_add_u32_e32 v1, s18, v1
	s_add_i32 s14, s14, s15
	v_ashrrev_i32_e32 v2, 31, v1
	s_ashr_i32 s19, s14, 4
	v_lshrrev_b32_e32 v4, 28, v2
	s_add_i32 s19, s19, -1
	s_waitcnt lgkmcnt(0)
	s_mul_i32 s14, s2, s5
	s_mov_b32 s15, 0
	v_add_u32_e32 v2, v1, v4
	s_lshl_b64 s[14:15], s[14:15], 2
	v_ashrrev_i32_e32 v2, 4, v2
	v_mov_b32_e32 v5, s19
	v_cmp_gt_i32_e32 vcc, s7, v1
	s_add_u32 s8, s8, s14
	s_addc_u32 s9, s9, s15
	v_cndmask_b32_e32 v2, v5, v2, vcc
	v_ashrrev_i32_e32 v3, 31, v2
	v_lshl_add_u64 v[6:7], v[2:3], 2, s[8:9]
	v_or_b32_e32 v2, 16, v1
	v_add_u32_e32 v3, v2, v4
	v_ashrrev_i32_e32 v3, 4, v3
	v_cmp_gt_i32_e32 vcc, s7, v2
	s_load_dwordx2 s[14:15], s[0:1], 0x8
	s_nop 0
	v_cndmask_b32_e32 v2, v5, v3, vcc
	v_ashrrev_i32_e32 v3, 31, v2
	v_lshl_add_u64 v[8:9], v[2:3], 2, s[8:9]
	v_or_b32_e32 v2, 32, v1
	v_add_u32_e32 v3, v2, v4
	v_ashrrev_i32_e32 v3, 4, v3
	v_cmp_gt_i32_e32 vcc, s7, v2
	v_or_b32_e32 v1, 48, v1
	s_nop 0
	v_cndmask_b32_e32 v2, v5, v3, vcc
	v_ashrrev_i32_e32 v3, 31, v2
	v_lshl_add_u64 v[12:13], v[2:3], 2, s[8:9]
	v_add_u32_e32 v2, v1, v4
	v_ashrrev_i32_e32 v2, 4, v2
	v_cmp_gt_i32_e32 vcc, s7, v1
	s_nop 1
	v_cndmask_b32_e32 v2, v5, v2, vcc
	v_ashrrev_i32_e32 v3, 31, v2
	v_lshl_add_u64 v[14:15], v[2:3], 2, s[8:9]
	global_load_dword v4, v[6:7], off
	global_load_dword v3, v[8:9], off
	;; [unrolled: 1-line block ×4, first 2 shown]
	s_andn2_b64 vcc, exec, s[12:13]
	s_cbranch_vccnz .LBB986_8
; %bb.6:
	s_add_u32 s10, s10, s16
	s_addc_u32 s11, s11, s17
	s_load_dword s5, s[10:11], 0x0
	s_branch .LBB986_9
.LBB986_7:
	s_mov_b64 s[14:15], 0
	s_branch .LBB986_2
.LBB986_8:
	s_mov_b32 s5, s2
.LBB986_9:
	s_load_dwordx2 s[10:11], s[0:1], 0x10
	s_load_dwordx4 s[44:47], s[0:1], 0x48
	v_lshrrev_b32_e32 v57, 6, v0
	v_bfe_u32 v60, v0, 4, 2
	v_and_b32_e32 v56, 15, v0
	s_mul_i32 s48, s4, 3
	v_lshl_or_b32 v5, v57, 2, v60
	v_lshlrev_b32_e32 v6, 3, v56
	v_add_u32_e32 v1, s48, v60
	v_cmp_gt_u32_e32 vcc, 3, v5
	v_lshlrev_b32_e32 v54, 1, v6
	v_lshlrev_b32_e32 v61, 4, v0
	s_and_saveexec_b64 s[12:13], vcc
	s_cbranch_execz .LBB986_11
; %bb.10:
	s_load_dwordx2 s[16:17], s[0:1], 0x0
	s_waitcnt lgkmcnt(0)
	s_ashr_i32 s20, s44, 31
	s_mul_hi_u32 s21, s5, s44
	s_mul_i32 s20, s5, s20
	s_add_i32 s21, s21, s20
	s_mul_i32 s20, s5, s44
	s_lshl_b64 s[20:21], s[20:21], 1
	s_add_u32 s16, s16, s20
	v_lshlrev_b32_e32 v6, 7, v1
	s_addc_u32 s17, s17, s21
	v_ashrrev_i32_e32 v7, 31, v6
	v_lshl_add_u64 v[6:7], v[6:7], 1, s[16:17]
	v_mov_b32_e32 v55, 0
	v_lshl_add_u64 v[6:7], v[6:7], 0, v[54:55]
	global_load_dwordx4 v[6:9], v[6:7], off
	v_lshlrev_b32_e32 v12, 8, v0
	v_lshlrev_b32_e32 v11, 8, v56
	v_and_b32_e32 v12, 0x600, v12
	s_movk_i32 s5, 0x800
	v_and_or_b32 v11, v11, s5, v12
	v_lshlrev_b32_e32 v5, 5, v5
	v_and_b32_e32 v12, 16, v61
	v_or3_b32 v5, v11, v5, v12
	s_waitcnt vmcnt(0)
	ds_write_b128 v5, v[6:9]
.LBB986_11:
	s_or_b64 exec, exec, s[12:13]
	s_waitcnt lgkmcnt(0)
	s_mul_i32 s12, s4, s46
	s_add_u32 s4, s14, s12
	s_addc_u32 s5, s15, 0
	v_and_b32_e32 v58, 0xf0, v61
	v_mov_b32_e32 v59, 0
	v_and_b32_e32 v34, 48, v0
	v_lshl_add_u64 v[12:13], s[4:5], 0, v[58:59]
	v_lshlrev_b32_e32 v58, 4, v34
	s_waitcnt vmcnt(3)
	v_mad_i64_i32 v[4:5], s[4:5], v4, s45, v[12:13]
	v_lshl_add_u64 v[4:5], v[4:5], 0, v[58:59]
	s_barrier
	global_load_dwordx4 v[50:53], v[4:5], off
	global_load_dwordx4 v[46:49], v[4:5], off offset:1024
	s_waitcnt vmcnt(4)
	v_mad_i64_i32 v[4:5], s[4:5], v3, s45, v[12:13]
	s_waitcnt vmcnt(3)
	v_mad_i64_i32 v[2:3], s[4:5], v2, s45, v[12:13]
	v_lshl_add_u64 v[4:5], v[4:5], 0, v[58:59]
	v_lshl_add_u64 v[14:15], v[2:3], 0, v[58:59]
	s_waitcnt vmcnt(2)
	v_mad_i64_i32 v[10:11], s[4:5], v10, s45, v[12:13]
	global_load_dwordx4 v[36:39], v[4:5], off
	global_load_dwordx4 v[6:9], v[4:5], off offset:1024
	s_nop 0
	global_load_dwordx4 v[2:5], v[14:15], off
	global_load_dwordx4 v[42:45], v[14:15], off offset:1024
	v_lshl_add_u64 v[14:15], v[10:11], 0, v[58:59]
	global_load_dwordx4 v[22:25], v[14:15], off
	global_load_dwordx4 v[10:13], v[14:15], off offset:1024
	v_mul_lo_u16_e32 v14, 0x56, v56
	v_mov_b32_e32 v15, 3
	v_mul_lo_u16_sdwa v14, v14, v15 dst_sel:DWORD dst_unused:UNUSED_PAD src0_sel:BYTE_1 src1_sel:DWORD
	v_sub_u16_e32 v14, v56, v14
	v_mov_b32_e32 v15, 5
	v_lshlrev_b32_sdwa v14, v15, v14 dst_sel:DWORD dst_unused:UNUSED_PAD src0_sel:DWORD src1_sel:BYTE_0
	v_lshl_add_u32 v14, v60, 9, v14
	ds_read_b128 v[30:33], v14
	ds_read_b128 v[26:29], v14 offset:16
	ds_read_b128 v[18:21], v14 offset:2048
	;; [unrolled: 1-line block ×3, first 2 shown]
	v_and_b32_e32 v55, 63, v0
	v_cmp_gt_u32_e32 vcc, 3, v56
	v_mov_b32_e32 v62, 0
	s_and_saveexec_b64 s[4:5], vcc
	s_cbranch_execz .LBB986_13
; %bb.12:
	s_load_dwordx2 s[14:15], s[0:1], 0x40
	v_add_u32_e32 v40, s48, v56
	v_ashrrev_i32_e32 v41, 31, v40
	s_waitcnt lgkmcnt(0)
	v_lshl_add_u64 v[40:41], v[40:41], 2, s[14:15]
	global_load_dword v62, v[40:41], off
.LBB986_13:
	s_or_b64 exec, exec, s[4:5]
	v_or_b32_e32 v58, s18, v34
	v_ashrrev_i32_e32 v34, 4, v58
	v_mov_b32_e32 v76, s19
	v_cmp_gt_i32_e32 vcc, s7, v58
	s_waitcnt vmcnt(7)
	v_cvt_pk_f32_fp8_e32 v[40:41], v50
	v_cvt_pk_f32_fp8_sdwa v[64:65], v50 src0_sel:WORD_1
	v_cndmask_b32_e32 v34, v76, v34, vcc
	v_ashrrev_i32_e32 v35, 31, v34
	v_lshl_add_u64 v[34:35], v[34:35], 2, s[8:9]
	global_load_dword v63, v[34:35], off
	v_or_b32_e32 v34, 64, v58
	v_ashrrev_i32_e32 v35, 4, v34
	v_cmp_gt_i32_e32 vcc, s7, v34
	v_or_b32_e32 v66, 0x80, v58
	v_ashrrev_i32_e32 v67, 4, v66
	v_cndmask_b32_e32 v34, v76, v35, vcc
	v_cmp_gt_i32_e32 vcc, s7, v66
	v_cvt_pkrtz_f16_f32 v40, v40, v41
	v_cvt_pkrtz_f16_f32 v41, v64, v65
	v_cndmask_b32_e32 v50, v76, v67, vcc
	v_cvt_pk_f32_fp8_e32 v[64:65], v51
	v_cvt_pk_f32_fp8_sdwa v[66:67], v51 src0_sel:WORD_1
	v_ashrrev_i32_e32 v51, 31, v50
	v_lshl_add_u64 v[68:69], v[50:51], 2, s[8:9]
	v_cvt_pkrtz_f16_f32 v50, v64, v65
	v_cvt_pkrtz_f16_f32 v51, v66, v67
	s_waitcnt lgkmcnt(3)
	v_mfma_f32_16x16x16_f16 v[64:67], v[40:41], v[30:31], 0
	v_cvt_pk_f32_fp8_e32 v[40:41], v52
	v_cvt_pk_f32_fp8_sdwa v[70:71], v52 src0_sel:WORD_1
	s_waitcnt vmcnt(7)
	v_cvt_pk_f32_fp8_e32 v[72:73], v46
	v_mfma_f32_16x16x16_f16 v[64:67], v[50:51], v[32:33], v[64:67]
	v_cvt_pk_f32_fp8_e32 v[50:51], v53
	v_cvt_pkrtz_f16_f32 v40, v40, v41
	v_cvt_pkrtz_f16_f32 v41, v70, v71
	v_cvt_pk_f32_fp8_sdwa v[52:53], v53 src0_sel:WORD_1
	v_cvt_pkrtz_f16_f32 v70, v50, v51
	v_cvt_pk_f32_fp8_sdwa v[74:75], v46 src0_sel:WORD_1
	v_ashrrev_i32_e32 v35, 31, v34
	v_cvt_pkrtz_f16_f32 v71, v52, v53
	s_waitcnt lgkmcnt(2)
	v_mfma_f32_16x16x16_f16 v[50:53], v[40:41], v[26:27], v[64:67]
	v_cvt_pkrtz_f16_f32 v40, v72, v73
	v_cvt_pkrtz_f16_f32 v41, v74, v75
	v_or_b32_e32 v58, 0xc0, v58
	v_cvt_pk_f32_fp8_e32 v[64:65], v47
	v_cvt_pk_f32_fp8_sdwa v[46:47], v47 src0_sel:WORD_1
	v_mfma_f32_16x16x16_f16 v[50:53], v[70:71], v[28:29], v[50:53]
	v_lshl_add_u64 v[34:35], v[34:35], 2, s[8:9]
	v_cvt_pkrtz_f16_f32 v64, v64, v65
	v_cvt_pkrtz_f16_f32 v65, v46, v47
	s_waitcnt lgkmcnt(1)
	v_mfma_f32_16x16x16_f16 v[50:53], v[40:41], v[18:19], v[50:53]
	v_ashrrev_i32_e32 v66, 4, v58
	v_cmp_gt_i32_e32 vcc, s7, v58
	v_cvt_pk_f32_fp8_e32 v[46:47], v48
	s_waitcnt vmcnt(6)
	v_cvt_pk_f32_fp8_sdwa v[70:71], v36 src0_sel:WORD_1
	v_cndmask_b32_e32 v40, v76, v66, vcc
	v_mfma_f32_16x16x16_f16 v[64:67], v[64:65], v[20:21], v[50:53]
	v_cvt_pkrtz_f16_f32 v46, v46, v47
	v_ashrrev_i32_e32 v41, 31, v40
	v_lshl_add_u64 v[40:41], v[40:41], 2, s[8:9]
	global_load_dword v53, v[34:35], off
	v_cvt_pk_f32_fp8_sdwa v[50:51], v48 src0_sel:WORD_1
	v_cvt_pk_f32_fp8_e32 v[34:35], v49
	v_cvt_pk_f32_fp8_sdwa v[48:49], v49 src0_sel:WORD_1
	s_add_u32 s46, s10, s12
	v_cvt_pkrtz_f16_f32 v47, v50, v51
	v_cvt_pkrtz_f16_f32 v34, v34, v35
	;; [unrolled: 1-line block ×3, first 2 shown]
	s_waitcnt lgkmcnt(0)
	v_mfma_f32_16x16x16_f16 v[46:49], v[46:47], v[14:15], v[64:67]
	v_cvt_pk_f32_fp8_e32 v[50:51], v36
	s_nop 1
	global_load_dword v65, v[68:69], off
	global_load_dword v64, v[40:41], off
	v_cvt_pk_f32_fp8_e32 v[66:67], v37
	v_cvt_pkrtz_f16_f32 v50, v50, v51
	v_cvt_pkrtz_f16_f32 v51, v70, v71
	v_cvt_pk_f32_fp8_sdwa v[70:71], v37 src0_sel:WORD_1
	v_cvt_pkrtz_f16_f32 v40, v66, v67
	v_mfma_f32_16x16x16_f16 v[34:37], v[34:35], v[16:17], v[46:49]
	v_cvt_pk_f32_fp8_sdwa v[66:67], v38 src0_sel:WORD_1
	v_cvt_pkrtz_f16_f32 v41, v70, v71
	s_waitcnt vmcnt(8)
	v_cvt_pk_f32_fp8_e32 v[68:69], v6
	v_mfma_f32_16x16x16_f16 v[46:49], v[50:51], v[30:31], 0
	v_cvt_pk_f32_fp8_e32 v[50:51], v38
	v_cvt_pk_f32_fp8_sdwa v[70:71], v6 src0_sel:WORD_1
	v_lshl_or_b32 v52, v57, 4, v56
	v_mfma_f32_16x16x16_f16 v[46:49], v[40:41], v[32:33], v[46:49]
	v_cvt_pk_f32_fp8_e32 v[40:41], v39
	v_cvt_pkrtz_f16_f32 v50, v50, v51
	v_cvt_pkrtz_f16_f32 v51, v66, v67
	v_cvt_pk_f32_fp8_sdwa v[38:39], v39 src0_sel:WORD_1
	v_cvt_pkrtz_f16_f32 v66, v40, v41
	s_waitcnt vmcnt(6)
	v_cvt_pk_f32_fp8_e32 v[72:73], v43
	s_addc_u32 s47, s11, 0
	v_cvt_pkrtz_f16_f32 v67, v38, v39
	v_mfma_f32_16x16x16_f16 v[38:41], v[50:51], v[26:27], v[46:49]
	v_cvt_pk_f32_fp8_sdwa v[50:51], v2 src0_sel:WORD_1
	v_lshlrev_b32_e32 v58, 4, v52
	s_nop 0
	v_cvt_pkrtz_f16_f32 v46, v68, v69
	v_cvt_pkrtz_f16_f32 v47, v70, v71
	v_cvt_pk_f32_fp8_e32 v[48:49], v7
	v_cvt_pk_f32_fp8_sdwa v[6:7], v7 src0_sel:WORD_1
	v_mfma_f32_16x16x16_f16 v[38:41], v[66:67], v[28:29], v[38:41]
	v_lshl_add_u64 v[70:71], s[46:47], 0, v[58:59]
	v_cvt_pkrtz_f16_f32 v48, v48, v49
	v_cvt_pkrtz_f16_f32 v49, v6, v7
	v_mfma_f32_16x16x16_f16 v[38:41], v[46:47], v[18:19], v[38:41]
	v_cvt_pk_f32_fp8_e32 v[6:7], v8
	v_cvt_pk_f32_fp8_sdwa v[46:47], v8 src0_sel:WORD_1
	v_or_b32_e32 v58, 0x400, v58
	v_mfma_f32_16x16x16_f16 v[38:41], v[48:49], v[20:21], v[38:41]
	v_cvt_pk_f32_fp8_e32 v[48:49], v9
	v_cvt_pkrtz_f16_f32 v6, v6, v7
	v_cvt_pkrtz_f16_f32 v7, v46, v47
	v_cvt_pk_f32_fp8_sdwa v[8:9], v9 src0_sel:WORD_1
	v_cvt_pkrtz_f16_f32 v46, v48, v49
	v_cvt_pk_f32_fp8_e32 v[48:49], v2
	v_cvt_pkrtz_f16_f32 v47, v8, v9
	v_mfma_f32_16x16x16_f16 v[6:9], v[6:7], v[14:15], v[38:41]
	v_cvt_pkrtz_f16_f32 v48, v48, v49
	v_cvt_pkrtz_f16_f32 v49, v50, v51
	v_cvt_pk_f32_fp8_e32 v[50:51], v3
	v_cvt_pk_f32_fp8_sdwa v[2:3], v3 src0_sel:WORD_1
	v_mfma_f32_16x16x16_f16 v[38:41], v[46:47], v[16:17], v[6:9]
	v_cvt_pkrtz_f16_f32 v46, v50, v51
	v_cvt_pkrtz_f16_f32 v47, v2, v3
	v_mfma_f32_16x16x16_f16 v[6:9], v[48:49], v[30:31], 0
	v_cvt_pk_f32_fp8_e32 v[2:3], v4
	v_cvt_pk_f32_fp8_sdwa v[48:49], v4 src0_sel:WORD_1
	s_waitcnt vmcnt(3)
	v_mad_i64_i32 v[50:51], s[4:5], v63, s45, v[70:71]
	v_cvt_pkrtz_f16_f32 v2, v2, v3
	v_cvt_pkrtz_f16_f32 v3, v48, v49
	v_mfma_f32_16x16x16_f16 v[6:9], v[46:47], v[32:33], v[6:9]
	v_cvt_pk_f32_fp8_e32 v[46:47], v5
	v_cvt_pk_f32_fp8_sdwa v[4:5], v5 src0_sel:WORD_1
	s_waitcnt vmcnt(2)
	v_mad_i64_i32 v[66:67], s[4:5], v53, s45, v[70:71]
	v_cvt_pkrtz_f16_f32 v46, v46, v47
	v_cvt_pkrtz_f16_f32 v47, v4, v5
	v_mfma_f32_16x16x16_f16 v[2:5], v[2:3], v[26:27], v[6:9]
	s_nop 2
	v_cvt_pk_f32_fp8_e32 v[6:7], v42
	v_cvt_pk_f32_fp8_sdwa v[8:9], v42 src0_sel:WORD_1
	v_cvt_pk_f32_fp8_sdwa v[42:43], v43 src0_sel:WORD_1
	v_mfma_f32_16x16x16_f16 v[46:49], v[46:47], v[28:29], v[2:5]
	v_cvt_pkrtz_f16_f32 v68, v6, v7
	v_cvt_pkrtz_f16_f32 v69, v8, v9
	global_load_dwordx4 v[6:9], v[50:51], off
	global_load_dwordx4 v[2:5], v[66:67], off
	v_cvt_pkrtz_f16_f32 v66, v72, v73
	v_cvt_pkrtz_f16_f32 v67, v42, v43
	v_mfma_f32_16x16x16_f16 v[48:51], v[68:69], v[18:19], v[46:49]
	v_cvt_pk_f32_fp8_e32 v[42:43], v44
	v_cvt_pk_f32_fp8_sdwa v[72:73], v44 src0_sel:WORD_1
	s_waitcnt vmcnt(3)
	v_mad_i64_i32 v[46:47], s[4:5], v65, s45, v[70:71]
	v_mfma_f32_16x16x16_f16 v[66:69], v[66:67], v[20:21], v[48:51]
	v_cvt_pkrtz_f16_f32 v42, v42, v43
	v_cvt_pkrtz_f16_f32 v43, v72, v73
	v_cvt_pk_f32_fp8_sdwa v[72:73], v22 src0_sel:WORD_1
	v_cvt_pk_f32_fp8_e32 v[50:51], v45
	v_cvt_pk_f32_fp8_sdwa v[44:45], v45 src0_sel:WORD_1
	s_waitcnt vmcnt(2)
	v_mad_i64_i32 v[48:49], s[4:5], v64, s45, v[70:71]
	v_cvt_pkrtz_f16_f32 v50, v50, v51
	v_cvt_pkrtz_f16_f32 v51, v44, v45
	v_mfma_f32_16x16x16_f16 v[42:45], v[42:43], v[14:15], v[66:69]
	v_cvt_pk_f32_fp8_e32 v[70:71], v22
	s_load_dword s4, s[0:1], 0x1c
	s_load_dwordx4 s[40:43], s[0:1], 0x80
	s_load_dword s33, s[0:1], 0x98
	s_waitcnt lgkmcnt(0)
	s_load_dword s5, s[40:41], 0x0
	v_mfma_f32_16x16x16_f16 v[66:69], v[50:51], v[16:17], v[42:45]
	s_mov_b32 s40, 0xff7fffff
	s_nop 1
	v_cvt_pk_f32_fp8_e32 v[42:43], v23
	v_cvt_pkrtz_f16_f32 v44, v70, v71
	v_cvt_pkrtz_f16_f32 v45, v72, v73
	v_cvt_pk_f32_fp8_sdwa v[22:23], v23 src0_sel:WORD_1
	v_cvt_pkrtz_f16_f32 v50, v42, v43
	v_cvt_pk_f32_fp8_e32 v[70:71], v24
	v_cvt_pk_f32_fp8_sdwa v[72:73], v24 src0_sel:WORD_1
	v_cvt_pkrtz_f16_f32 v51, v22, v23
	v_mfma_f32_16x16x16_f16 v[42:45], v[44:45], v[30:31], 0
	v_cvt_pkrtz_f16_f32 v30, v70, v71
	v_cvt_pkrtz_f16_f32 v31, v72, v73
	v_cvt_pk_f32_fp8_e32 v[70:71], v25
	v_cvt_pk_f32_fp8_sdwa v[72:73], v25 src0_sel:WORD_1
	v_mfma_f32_16x16x16_f16 v[22:25], v[50:51], v[32:33], v[42:45]
	v_mov_b32_e32 v32, s4
	s_waitcnt lgkmcnt(0)
	v_mul_f32_e32 v50, s5, v32
	v_pk_mul_f32 v[32:33], v[50:51], v[34:35] op_sel_hi:[0,1]
	v_cvt_pkrtz_f16_f32 v42, v70, v71
	v_cvt_pkrtz_f16_f32 v43, v72, v73
	v_mfma_f32_16x16x16_f16 v[22:25], v[30:31], v[26:27], v[22:25]
	v_pk_mul_f32 v[30:31], v[50:51], v[36:37] op_sel_hi:[0,1]
	v_cvt_pk_f32_fp8_e32 v[26:27], v11
	v_cvt_pk_f32_fp8_sdwa v[70:71], v12 src0_sel:WORD_1
	v_mfma_f32_16x16x16_f16 v[34:37], v[42:43], v[28:29], v[22:25]
	v_pk_mul_f32 v[40:41], v[50:51], v[40:41] op_sel_hi:[0,1]
	v_cvt_pkrtz_f16_f32 v44, v26, v27
	s_nop 0
	v_cvt_pk_f32_fp8_e32 v[22:23], v10
	v_cvt_pk_f32_fp8_sdwa v[24:25], v10 src0_sel:WORD_1
	v_cvt_pk_f32_fp8_sdwa v[10:11], v11 src0_sel:WORD_1
	v_cvt_pkrtz_f16_f32 v42, v22, v23
	v_cvt_pkrtz_f16_f32 v43, v24, v25
	v_cvt_pkrtz_f16_f32 v45, v10, v11
	v_cvt_pk_f32_fp8_e32 v[10:11], v12
	v_mfma_f32_16x16x16_f16 v[34:37], v[42:43], v[18:19], v[34:37]
	global_load_dwordx4 v[26:29], v[46:47], off
	global_load_dwordx4 v[22:25], v[48:49], off
	v_cvt_pkrtz_f16_f32 v18, v10, v11
	v_cvt_pkrtz_f16_f32 v19, v70, v71
	v_cvt_pk_f32_fp8_e32 v[42:43], v13
	v_cvt_pk_f32_fp8_sdwa v[46:47], v13 src0_sel:WORD_1
	v_mfma_f32_16x16x16_f16 v[10:13], v[44:45], v[20:21], v[34:37]
	v_pk_mul_f32 v[44:45], v[50:51], v[38:39] op_sel_hi:[0,1]
	v_cvt_pkrtz_f16_f32 v20, v42, v43
	v_cvt_pkrtz_f16_f32 v21, v46, v47
	v_mfma_f32_16x16x16_f16 v[10:13], v[18:19], v[14:15], v[10:13]
	v_pk_mul_f32 v[38:39], v[50:51], v[68:69] op_sel_hi:[0,1]
	v_pk_mul_f32 v[42:43], v[50:51], v[66:67] op_sel_hi:[0,1]
	v_mfma_f32_16x16x16_f16 v[10:13], v[20:21], v[16:17], v[10:13]
	s_nop 6
	v_pk_mul_f32 v[36:37], v[50:51], v[10:11] op_sel_hi:[0,1]
	v_and_b32_e32 v10, 0xc0, v0
	v_add_u32_e32 v10, s18, v10
	v_lshl_or_b32 v10, v60, 2, v10
	v_or_b32_e32 v11, 1, v10
	v_pk_mul_f32 v[34:35], v[50:51], v[12:13] op_sel_hi:[0,1]
	v_subrev_u32_e32 v12, s7, v11
	v_add_u32_e32 v14, 1, v12
	v_add_u32_e32 v15, 2, v12
	v_cvt_f32_i32_e32 v13, v12
	v_cvt_f32_i32_e32 v14, v14
	;; [unrolled: 1-line block ×3, first 2 shown]
	v_add_u32_e32 v16, 3, v12
	v_fma_f32 v18, v62, v13, v32
	v_fmac_f32_e32 v33, v62, v14
	v_fma_f32 v48, v62, v15, v30
	v_add_u32_e32 v13, 16, v12
	v_add_u32_e32 v14, 17, v12
	;; [unrolled: 1-line block ×3, first 2 shown]
	v_cvt_f32_i32_e32 v16, v16
	v_cvt_f32_i32_e32 v13, v13
	;; [unrolled: 1-line block ×4, first 2 shown]
	v_fmac_f32_e32 v31, v62, v16
	v_add_u32_e32 v16, 19, v12
	v_fma_f32 v44, v62, v13, v44
	v_fmac_f32_e32 v45, v62, v14
	v_fma_f32 v40, v62, v15, v40
	v_add_u32_e32 v13, 32, v12
	v_add_u32_e32 v14, 33, v12
	;; [unrolled: 1-line block ×3, first 2 shown]
	v_cvt_f32_i32_e32 v16, v16
	v_cvt_f32_i32_e32 v13, v13
	;; [unrolled: 1-line block ×4, first 2 shown]
	v_fmac_f32_e32 v41, v62, v16
	v_add_u32_e32 v16, 35, v12
	v_fma_f32 v42, v62, v13, v42
	v_fmac_f32_e32 v43, v62, v14
	v_fma_f32 v38, v62, v15, v38
	v_add_u32_e32 v13, 48, v12
	v_add_u32_e32 v14, 49, v12
	;; [unrolled: 1-line block ×4, first 2 shown]
	v_cvt_f32_i32_e32 v12, v12
	v_cvt_f32_i32_e32 v13, v13
	;; [unrolled: 1-line block ×3, first 2 shown]
	v_cmp_gt_i32_e64 s[8:9], s7, v10
	v_fmac_f32_e32 v35, v62, v12
	v_mov_b32_e32 v12, 0xff7fffff
	v_cmp_gt_i32_e64 s[10:11], s7, v11
	v_fma_f32 v36, v62, v13, v36
	v_cndmask_b32_e64 v13, v12, v18, s[8:9]
	v_cndmask_b32_e64 v11, v12, v33, s[10:11]
	v_fmac_f32_e32 v37, v62, v14
	v_max3_f32 v11, v13, s40, v11
	v_or_b32_e32 v13, 2, v10
	v_or_b32_e32 v14, 3, v10
	v_cmp_gt_i32_e64 s[12:13], s7, v13
	v_cmp_gt_i32_e64 s[14:15], s7, v14
	v_cvt_f32_i32_e32 v16, v16
	v_cndmask_b32_e64 v13, v12, v48, s[12:13]
	v_cndmask_b32_e64 v14, v12, v31, s[14:15]
	v_max3_f32 v11, v11, v13, v14
	v_or_b32_e32 v13, 16, v10
	v_or_b32_e32 v14, 17, v10
	v_cmp_gt_i32_e64 s[16:17], s7, v13
	v_cmp_gt_i32_e64 s[18:19], s7, v14
	v_fmac_f32_e32 v39, v62, v16
	v_cndmask_b32_e64 v13, v12, v44, s[16:17]
	v_cndmask_b32_e64 v14, v12, v45, s[18:19]
	v_max3_f32 v11, v11, v13, v14
	v_or_b32_e32 v13, 18, v10
	v_or_b32_e32 v14, 19, v10
	v_cmp_gt_i32_e64 s[20:21], s7, v13
	v_cmp_gt_i32_e64 s[22:23], s7, v14
	v_cvt_f32_i32_e32 v15, v15
	v_cndmask_b32_e64 v13, v12, v40, s[20:21]
	v_cndmask_b32_e64 v14, v12, v41, s[22:23]
	v_max3_f32 v11, v11, v13, v14
	v_or_b32_e32 v13, 32, v10
	v_or_b32_e32 v14, 33, v10
	v_cmp_gt_i32_e64 s[24:25], s7, v13
	v_cmp_gt_i32_e64 s[26:27], s7, v14
	v_fma_f32 v34, v62, v15, v34
	v_cndmask_b32_e64 v13, v12, v42, s[24:25]
	v_cndmask_b32_e64 v14, v12, v43, s[26:27]
	v_max3_f32 v11, v11, v13, v14
	v_or_b32_e32 v13, 34, v10
	v_or_b32_e32 v14, 35, v10
	v_cmp_gt_i32_e64 s[28:29], s7, v13
	v_cmp_gt_i32_e64 s[30:31], s7, v14
	s_nop 0
	v_cndmask_b32_e64 v13, v12, v38, s[28:29]
	v_cndmask_b32_e64 v14, v12, v39, s[30:31]
	v_max3_f32 v11, v11, v13, v14
	v_or_b32_e32 v13, 48, v10
	v_or_b32_e32 v14, 49, v10
	v_cmp_gt_i32_e64 s[34:35], s7, v13
	v_cmp_gt_i32_e64 s[36:37], s7, v14
	s_nop 0
	v_cndmask_b32_e64 v13, v12, v36, s[34:35]
	v_cndmask_b32_e64 v14, v12, v37, s[36:37]
	v_max3_f32 v11, v11, v13, v14
	v_or_b32_e32 v13, 50, v10
	v_or_b32_e32 v10, 51, v10
	v_cmp_gt_i32_e32 vcc, s7, v13
	v_cmp_gt_i32_e64 s[4:5], s7, v10
	s_nop 0
	v_cndmask_b32_e32 v13, v12, v34, vcc
	v_cndmask_b32_e64 v10, v12, v35, s[4:5]
	v_max3_f32 v14, v11, v13, v10
	v_mbcnt_lo_u32_b32 v10, -1, 0
	v_mbcnt_hi_u32_b32 v15, -1, v10
	v_and_b32_e32 v10, 64, v15
	v_add_u32_e32 v16, 64, v10
	v_xor_b32_e32 v10, 32, v15
	v_cmp_lt_i32_e64 s[38:39], v10, v16
	s_nop 1
	v_cndmask_b32_e64 v10, v15, v10, s[38:39]
	v_lshlrev_b32_e32 v51, 2, v10
	ds_bpermute_b32 v17, v51, v14
	v_lshl_add_u64 v[10:11], s[46:47], 0, v[58:59]
	v_mad_i64_i32 v[12:13], s[38:39], v63, s45, v[10:11]
	s_waitcnt lgkmcnt(0)
	v_max_f32_e32 v17, v17, v17
	v_max_f32_e32 v19, v14, v17
	v_xor_b32_e32 v14, 16, v15
	v_cmp_lt_i32_e64 s[38:39], v14, v16
	s_nop 1
	v_cndmask_b32_e64 v14, v15, v14, s[38:39]
	v_lshlrev_b32_e32 v58, 2, v14
	ds_bpermute_b32 v20, v58, v19
	v_mad_i64_i32 v[14:15], s[38:39], v53, s45, v[10:11]
	v_mad_i64_i32 v[16:17], s[38:39], v65, s45, v[10:11]
	s_waitcnt lgkmcnt(0)
	v_max_f32_e32 v20, v20, v20
	v_max_f32_e32 v50, v19, v20
	v_sub_f32_e32 v18, v18, v50
	v_sub_f32_e32 v19, v33, v50
	v_mul_f32_e32 v18, 0x3fb8aa3b, v18
	v_mul_f32_e32 v19, 0x3fb8aa3b, v19
	v_exp_f32_e32 v18, v18
	v_exp_f32_e32 v19, v19
	v_sub_f32_e32 v49, v31, v50
	v_mad_i64_i32 v[10:11], s[38:39], v64, s45, v[10:11]
	v_cndmask_b32_e64 v46, 0, v18, s[8:9]
	v_cndmask_b32_e64 v47, 0, v19, s[10:11]
	global_load_dwordx4 v[30:33], v[12:13], off
	global_load_dwordx4 v[18:21], v[14:15], off
	v_sub_f32_e32 v12, v48, v50
	v_mul_f32_e32 v12, 0x3fb8aa3b, v12
	v_exp_f32_e32 v48, v12
	global_load_dwordx4 v[14:17], v[16:17], off
	s_nop 0
	global_load_dwordx4 v[10:13], v[10:11], off
	v_sub_f32_e32 v40, v40, v50
	v_sub_f32_e32 v42, v42, v50
	v_mul_f32_e32 v40, 0x3fb8aa3b, v40
	v_mul_f32_e32 v42, 0x3fb8aa3b, v42
	v_exp_f32_e32 v40, v40
	v_exp_f32_e32 v53, v42
	v_mul_f32_e32 v49, 0x3fb8aa3b, v49
	v_sub_f32_e32 v44, v44, v50
	v_exp_f32_e32 v49, v49
	v_mul_f32_e32 v44, 0x3fb8aa3b, v44
	v_sub_f32_e32 v45, v45, v50
	v_sub_f32_e32 v42, v43, v50
	v_exp_f32_e32 v44, v44
	v_mul_f32_e32 v45, 0x3fb8aa3b, v45
	v_mul_f32_e32 v42, 0x3fb8aa3b, v42
	v_exp_f32_e32 v45, v45
	v_sub_f32_e32 v41, v41, v50
	v_exp_f32_e32 v59, v42
	v_cndmask_b32_e64 v42, 0, v40, s[20:21]
	v_cndmask_b32_e64 v40, 0, v53, s[24:25]
	v_add_f32_e32 v53, 0, v46
	v_cndmask_b32_e64 v48, 0, v48, s[12:13]
	v_mul_f32_e32 v41, 0x3fb8aa3b, v41
	v_add_f32_e32 v53, v53, v47
	v_cndmask_b32_e64 v49, 0, v49, s[14:15]
	v_exp_f32_e32 v41, v41
	v_add_f32_e32 v53, v53, v48
	v_cndmask_b32_e64 v44, 0, v44, s[16:17]
	v_sub_f32_e32 v38, v38, v50
	v_add_f32_e32 v53, v53, v49
	v_cndmask_b32_e64 v45, 0, v45, s[18:19]
	v_sub_f32_e32 v39, v39, v50
	v_mul_f32_e32 v38, 0x3fb8aa3b, v38
	v_add_f32_e32 v53, v53, v44
	v_exp_f32_e32 v38, v38
	v_mul_f32_e32 v39, 0x3fb8aa3b, v39
	v_sub_f32_e32 v36, v36, v50
	v_add_f32_e32 v53, v53, v45
	v_cndmask_b32_e64 v43, 0, v41, s[22:23]
	v_exp_f32_e32 v39, v39
	v_mul_f32_e32 v36, 0x3fb8aa3b, v36
	v_sub_f32_e32 v37, v37, v50
	v_add_f32_e32 v53, v53, v42
	v_exp_f32_e32 v36, v36
	v_mul_f32_e32 v37, 0x3fb8aa3b, v37
	v_add_f32_e32 v53, v53, v43
	v_sub_f32_e32 v34, v34, v50
	v_cndmask_b32_e64 v41, 0, v59, s[26:27]
	v_exp_f32_e32 v37, v37
	v_add_f32_e32 v53, v53, v40
	v_mul_f32_e32 v34, 0x3fb8aa3b, v34
	v_sub_f32_e32 v35, v35, v50
	v_cndmask_b32_e64 v38, 0, v38, s[28:29]
	v_add_f32_e32 v53, v53, v41
	v_exp_f32_e32 v34, v34
	v_mul_f32_e32 v35, 0x3fb8aa3b, v35
	v_cndmask_b32_e64 v39, 0, v39, s[30:31]
	v_add_f32_e32 v53, v53, v38
	v_exp_f32_e32 v35, v35
	v_cndmask_b32_e64 v36, 0, v36, s[34:35]
	v_add_f32_e32 v53, v53, v39
	v_cndmask_b32_e64 v37, 0, v37, s[36:37]
	v_add_f32_e32 v53, v53, v36
	v_add_f32_e32 v53, v53, v37
	v_cndmask_b32_e32 v34, 0, v34, vcc
	v_add_f32_e32 v53, v53, v34
	v_cndmask_b32_e64 v35, 0, v35, s[4:5]
	v_add_f32_e32 v53, v53, v35
	ds_bpermute_b32 v51, v51, v53
	v_cmp_gt_u32_e32 vcc, 16, v55
	s_waitcnt lgkmcnt(0)
	s_barrier
	v_add_f32_e32 v51, v53, v51
	ds_bpermute_b32 v53, v58, v51
	s_and_saveexec_b64 s[4:5], vcc
	s_cbranch_execz .LBB986_15
; %bb.14:
	s_waitcnt lgkmcnt(0)
	v_add_f32_e32 v51, v51, v53
	v_lshlrev_b32_e32 v52, 2, v52
	ds_write2st64_b32 v52, v50, v51 offset1:1
.LBB986_15:
	s_or_b64 exec, exec, s[4:5]
	v_lshlrev_b32_e32 v51, 2, v56
	s_load_dword s7, s[0:1], 0x94
	s_waitcnt lgkmcnt(0)
	s_barrier
	ds_read2_b32 v[52:53], v51 offset1:16
	ds_read2_b32 v[58:59], v51 offset0:32 offset1:48
	ds_read2_b32 v[62:63], v51 offset0:64 offset1:80
	s_mul_i32 s8, s33, 3
	s_waitcnt lgkmcnt(2)
	v_max3_f32 v50, v52, s40, v53
	s_waitcnt lgkmcnt(1)
	v_max3_f32 v50, v50, v58, v59
	v_sub_f32_e32 v52, v52, v50
	v_mul_f32_e32 v52, 0x3fb8aa3b, v52
	v_exp_f32_e32 v55, v52
	v_sub_f32_e32 v52, v53, v50
	v_mul_f32_e32 v52, 0x3fb8aa3b, v52
	v_exp_f32_e32 v64, v52
	;; [unrolled: 3-line block ×3, first 2 shown]
	ds_read2_b32 v[52:53], v51 offset0:96 offset1:112
	v_sub_f32_e32 v51, v59, v50
	v_mul_f32_e32 v51, 0x3fb8aa3b, v51
	v_exp_f32_e32 v59, v51
	s_waitcnt lgkmcnt(1)
	v_fma_f32 v51, v55, v62, 0
	v_fmac_f32_e32 v51, v64, v63
	s_waitcnt lgkmcnt(0)
	v_fmac_f32_e32 v51, v58, v52
	v_fmac_f32_e32 v51, v59, v53
	v_add_f32_e32 v52, 0x358637bd, v51
	v_div_scale_f32 v53, s[4:5], v52, v52, 1.0
	v_rcp_f32_e32 v62, v53
	s_barrier
	v_fma_f32 v63, -v53, v62, 1.0
	v_fmac_f32_e32 v62, v63, v62
	v_div_scale_f32 v63, vcc, 1.0, v52, 1.0
	v_mul_f32_e32 v65, v63, v62
	v_fma_f32 v66, -v53, v65, v63
	v_fmac_f32_e32 v65, v66, v62
	v_fma_f32 v53, -v53, v65, v63
	v_div_fmas_f32 v53, v53, v62, v65
	v_cmp_eq_u32_e32 vcc, 1, v57
	v_div_fixup_f32 v52, v53, v52, 1.0
	s_nop 0
	v_cndmask_b32_e32 v53, v55, v64, vcc
	v_cmp_eq_u32_e32 vcc, 2, v57
	s_nop 1
	v_cndmask_b32_e32 v53, v53, v58, vcc
	v_cmp_eq_u32_e32 vcc, 3, v57
	s_nop 1
	v_cndmask_b32_e32 v53, v53, v59, vcc
	v_mul_f32_e32 v52, v53, v52
	v_pk_mul_f32 v[48:49], v[52:53], v[48:49] op_sel_hi:[0,1]
	v_pk_mul_f32 v[46:47], v[52:53], v[46:47] op_sel_hi:[0,1]
	v_cvt_f16_f32_e32 v53, v48
	v_cvt_f16_f32_e32 v49, v49
	;; [unrolled: 1-line block ×4, first 2 shown]
	v_pk_mul_f32 v[42:43], v[52:53], v[42:43] op_sel_hi:[0,1]
	v_pk_mul_f32 v[44:45], v[52:53], v[44:45] op_sel_hi:[0,1]
	v_pack_b32_f16 v49, v53, v49
	v_cvt_f16_f32_e32 v44, v44
	v_cvt_f16_f32_e32 v45, v45
	v_cvt_f16_f32_e32 v53, v42
	v_cvt_f16_f32_e32 v43, v43
	v_pack_b32_f16 v48, v46, v47
	v_lshlrev_b32_e32 v47, 3, v60
	v_lshlrev_b32_e32 v46, 5, v56
	;; [unrolled: 1-line block ×3, first 2 shown]
	v_or3_b32 v55, v42, v46, v47
	v_pack_b32_f16 v42, v44, v45
	v_pack_b32_f16 v43, v53, v43
	v_pk_mul_f32 v[38:39], v[52:53], v[38:39] op_sel_hi:[0,1]
	v_pk_mul_f32 v[40:41], v[52:53], v[40:41] op_sel_hi:[0,1]
	;; [unrolled: 1-line block ×4, first 2 shown]
	ds_write2st64_b64 v55, v[48:49], v[42:43] offset1:1
	v_cvt_f16_f32_e32 v40, v40
	v_cvt_f16_f32_e32 v41, v41
	;; [unrolled: 1-line block ×8, first 2 shown]
	v_pack_b32_f16 v34, v40, v41
	v_pack_b32_f16 v35, v38, v39
	;; [unrolled: 1-line block ×4, first 2 shown]
	v_cmp_gt_u32_e32 vcc, 3, v0
	ds_write2st64_b64 v55, v[34:35], v[36:37] offset0:2 offset1:3
	s_and_saveexec_b64 s[4:5], vcc
	s_cbranch_execz .LBB986_17
; %bb.16:
	s_mov_b32 s49, 0
	v_mov_b32_e32 v57, 0
	v_lshl_add_u64 v[34:35], s[48:49], 0, v[56:57]
	v_mov_b32_e32 v36, s8
	v_mad_u64_u32 v[34:35], s[10:11], s2, v36, v[34:35]
	s_mul_i32 s3, s3, s8
	v_mov_b32_e32 v36, s6
	v_mov_b32_e32 v37, v57
	s_load_dwordx4 s[12:15], s[0:1], 0x58
	v_add_u32_e32 v38, s3, v35
	v_mad_u64_u32 v[34:35], s[10:11], v34, s7, v[36:37]
	v_mov_b32_e32 v36, v35
	v_mad_u64_u32 v[36:37], s[10:11], v38, s7, v[36:37]
	v_mov_b32_e32 v35, v36
	v_lshlrev_b64 v[34:35], 2, v[34:35]
	s_waitcnt lgkmcnt(0)
	v_lshl_add_u64 v[36:37], s[14:15], 0, v[34:35]
	v_lshl_add_u64 v[34:35], s[12:13], 0, v[34:35]
	global_store_dword v[36:37], v50, off
	global_store_dword v[34:35], v51, off
.LBB986_17:
	s_or_b64 exec, exec, s[4:5]
	s_waitcnt vmcnt(7)
	v_cvt_pk_f32_fp8_e32 v[34:35], v6
	v_cvt_pk_f32_fp8_sdwa v[36:37], v6 src0_sel:WORD_1
	v_lshl_or_b32 v50, v60, 9, v46
	s_waitcnt lgkmcnt(0)
	s_barrier
	v_cvt_pk_f32_fp8_e32 v[38:39], v7
	v_cvt_pkrtz_f16_f32 v6, v34, v35
	v_cvt_pk_f32_fp8_sdwa v[40:41], v7 src0_sel:WORD_1
	v_cvt_pkrtz_f16_f32 v7, v36, v37
	ds_read_b128 v[34:37], v50
	v_cvt_pkrtz_f16_f32 v46, v38, v39
	v_cvt_pkrtz_f16_f32 v47, v40, v41
	ds_read_b128 v[38:41], v50 offset:16
	v_cvt_pk_f32_fp8_e32 v[48:49], v8
	v_cvt_pk_f32_fp8_sdwa v[52:53], v8 src0_sel:WORD_1
	s_waitcnt lgkmcnt(1)
	v_mfma_f32_16x16x16_f16 v[42:45], v[6:7], v[34:35], 0
	s_waitcnt vmcnt(6)
	v_cvt_pk_f32_fp8_e32 v[58:59], v4
	v_cvt_pkrtz_f16_f32 v6, v48, v49
	v_cvt_pkrtz_f16_f32 v7, v52, v53
	v_cvt_pk_f32_fp8_e32 v[48:49], v9
	v_mfma_f32_16x16x16_f16 v[42:45], v[46:47], v[36:37], v[42:45]
	v_cvt_pk_f32_fp8_sdwa v[46:47], v9 src0_sel:WORD_1
	v_cvt_pk_f32_fp8_sdwa v[62:63], v4 src0_sel:WORD_1
	v_cvt_pkrtz_f16_f32 v48, v48, v49
	s_waitcnt lgkmcnt(0)
	v_mfma_f32_16x16x16_f16 v[6:9], v[6:7], v[38:39], v[42:45]
	v_cvt_pkrtz_f16_f32 v49, v46, v47
	s_waitcnt vmcnt(5)
	v_cvt_pk_f32_fp8_sdwa v[66:67], v28 src0_sel:WORD_1
	s_waitcnt vmcnt(4)
	v_cvt_pk_f32_fp8_sdwa v[68:69], v24 src0_sel:WORD_1
	v_cvt_pk_f32_fp8_e32 v[42:43], v2
	v_mfma_f32_16x16x16_f16 v[46:49], v[48:49], v[40:41], v[6:9]
	s_waitcnt vmcnt(3)
	v_cvt_pk_f32_fp8_sdwa v[70:71], v32 src0_sel:WORD_1
	s_load_dword s4, s[42:43], 0x0
	v_cvt_pk_f32_fp8_sdwa v[6:7], v2 src0_sel:WORD_1
	v_cvt_pk_f32_fp8_e32 v[8:9], v3
	v_cvt_pkrtz_f16_f32 v2, v42, v43
	v_cvt_pk_f32_fp8_sdwa v[42:43], v3 src0_sel:WORD_1
	v_cvt_pkrtz_f16_f32 v3, v6, v7
	v_cvt_pkrtz_f16_f32 v52, v8, v9
	ds_read_b128 v[6:9], v50 offset:2048
	v_cvt_pkrtz_f16_f32 v53, v42, v43
	ds_read_b128 v[42:45], v50 offset:2064
	s_waitcnt lgkmcnt(0)
	v_mfma_f32_16x16x16_f16 v[46:49], v[2:3], v[6:7], v[46:49]
	v_cvt_pkrtz_f16_f32 v2, v58, v59
	v_cvt_pkrtz_f16_f32 v3, v62, v63
	v_cvt_pk_f32_fp8_e32 v[58:59], v5
	v_mfma_f32_16x16x16_f16 v[46:49], v[52:53], v[8:9], v[46:49]
	v_cvt_pk_f32_fp8_sdwa v[52:53], v5 src0_sel:WORD_1
	v_cmp_gt_u32_e32 vcc, 64, v0
	v_cvt_pkrtz_f16_f32 v58, v58, v59
	v_mfma_f32_16x16x16_f16 v[2:5], v[2:3], v[42:43], v[46:49]
	v_cvt_pkrtz_f16_f32 v59, v52, v53
	s_mov_b32 s3, 0
	s_nop 0
	v_cvt_pk_f32_fp8_e32 v[46:47], v26
	v_mfma_f32_16x16x16_f16 v[62:65], v[58:59], v[44:45], v[2:5]
	v_cvt_pk_f32_fp8_e32 v[58:59], v28
	s_nop 1
	v_cvt_pk_f32_fp8_sdwa v[2:3], v26 src0_sel:WORD_1
	v_cvt_pk_f32_fp8_e32 v[4:5], v27
	v_cvt_pkrtz_f16_f32 v26, v46, v47
	v_cvt_pk_f32_fp8_sdwa v[46:47], v27 src0_sel:WORD_1
	v_cvt_pkrtz_f16_f32 v27, v2, v3
	v_cvt_pkrtz_f16_f32 v52, v4, v5
	ds_read_b128 v[2:5], v50 offset:4096
	v_cvt_pkrtz_f16_f32 v53, v46, v47
	ds_read_b128 v[46:49], v50 offset:4112
	s_waitcnt lgkmcnt(1)
	v_mfma_f32_16x16x16_f16 v[62:65], v[26:27], v[2:3], v[62:65]
	v_cvt_pkrtz_f16_f32 v26, v58, v59
	v_cvt_pkrtz_f16_f32 v27, v66, v67
	v_cvt_pk_f32_fp8_e32 v[58:59], v29
	v_mfma_f32_16x16x16_f16 v[62:65], v[52:53], v[4:5], v[62:65]
	v_cvt_pk_f32_fp8_sdwa v[52:53], v29 src0_sel:WORD_1
	v_cvt_pk_f32_fp8_e32 v[66:67], v24
	v_cvt_pkrtz_f16_f32 v58, v58, v59
	s_waitcnt lgkmcnt(0)
	v_mfma_f32_16x16x16_f16 v[26:29], v[26:27], v[46:47], v[62:65]
	v_cvt_pkrtz_f16_f32 v59, v52, v53
	v_cvt_pk_f32_fp8_e32 v[52:53], v22
	s_nop 0
	v_mfma_f32_16x16x16_f16 v[62:65], v[58:59], v[48:49], v[26:29]
	s_nop 2
	v_cvt_pk_f32_fp8_sdwa v[26:27], v22 src0_sel:WORD_1
	v_cvt_pk_f32_fp8_e32 v[28:29], v23
	v_cvt_pkrtz_f16_f32 v22, v52, v53
	v_cvt_pk_f32_fp8_sdwa v[52:53], v23 src0_sel:WORD_1
	v_cvt_pkrtz_f16_f32 v23, v26, v27
	v_cvt_pkrtz_f16_f32 v58, v28, v29
	ds_read_b128 v[26:29], v50 offset:6144
	v_cvt_pkrtz_f16_f32 v59, v52, v53
	s_waitcnt lgkmcnt(0)
	v_mfma_f32_16x16x16_f16 v[62:65], v[22:23], v[26:27], v[62:65]
	ds_read_b128 v[50:53], v50 offset:6160
	v_cvt_pkrtz_f16_f32 v22, v66, v67
	v_cvt_pkrtz_f16_f32 v23, v68, v69
	v_cvt_pk_f32_fp8_e32 v[66:67], v25
	v_mfma_f32_16x16x16_f16 v[62:65], v[58:59], v[28:29], v[62:65]
	v_cvt_pk_f32_fp8_sdwa v[58:59], v25 src0_sel:WORD_1
	v_cvt_pk_f32_fp8_e32 v[68:69], v32
	v_cvt_pkrtz_f16_f32 v66, v66, v67
	s_waitcnt lgkmcnt(0)
	v_mfma_f32_16x16x16_f16 v[22:25], v[22:23], v[50:51], v[62:65]
	v_cvt_pkrtz_f16_f32 v67, v58, v59
	v_cvt_pk_f32_fp8_e32 v[58:59], v30
	s_nop 0
	v_cvt_pk_f32_fp8_sdwa v[62:63], v30 src0_sel:WORD_1
	v_cvt_pk_f32_fp8_e32 v[64:65], v31
	v_cvt_pkrtz_f16_f32 v58, v58, v59
	v_cvt_pk_f32_fp8_sdwa v[30:31], v31 src0_sel:WORD_1
	v_cvt_pkrtz_f16_f32 v59, v62, v63
	v_mfma_f32_16x16x16_f16 v[22:25], v[66:67], v[52:53], v[22:25]
	v_cvt_pkrtz_f16_f32 v66, v64, v65
	v_cvt_pkrtz_f16_f32 v67, v30, v31
	;; [unrolled: 1-line block ×3, first 2 shown]
	v_mfma_f32_16x16x16_f16 v[62:65], v[58:59], v[34:35], 0
	v_cvt_pkrtz_f16_f32 v31, v70, v71
	v_cvt_pk_f32_fp8_e32 v[58:59], v33
	s_barrier
	v_mfma_f32_16x16x16_f16 v[34:37], v[66:67], v[36:37], v[62:65]
	v_cvt_pkrtz_f16_f32 v58, v58, v59
	s_nop 1
	v_cvt_pk_f32_fp8_sdwa v[62:63], v33 src0_sel:WORD_1
	v_mfma_f32_16x16x16_f16 v[30:33], v[30:31], v[38:39], v[34:37]
	s_waitcnt vmcnt(2)
	v_cvt_pk_f32_fp8_e32 v[38:39], v19
	v_cvt_pkrtz_f16_f32 v59, v62, v63
	v_cvt_pk_f32_fp8_e32 v[34:35], v18
	v_cvt_pk_f32_fp8_sdwa v[36:37], v18 src0_sel:WORD_1
	v_cvt_pk_f32_fp8_sdwa v[18:19], v19 src0_sel:WORD_1
	v_mfma_f32_16x16x16_f16 v[30:33], v[58:59], v[40:41], v[30:33]
	v_cvt_pkrtz_f16_f32 v34, v34, v35
	v_cvt_pkrtz_f16_f32 v35, v36, v37
	v_cvt_pkrtz_f16_f32 v36, v38, v39
	v_cvt_pk_f32_fp8_e32 v[38:39], v20
	v_cvt_pk_f32_fp8_sdwa v[40:41], v20 src0_sel:WORD_1
	v_cvt_pkrtz_f16_f32 v37, v18, v19
	v_mfma_f32_16x16x16_f16 v[30:33], v[34:35], v[6:7], v[30:33]
	v_cvt_pkrtz_f16_f32 v18, v38, v39
	v_cvt_pkrtz_f16_f32 v19, v40, v41
	v_cvt_pk_f32_fp8_e32 v[34:35], v21
	v_cvt_pk_f32_fp8_sdwa v[20:21], v21 src0_sel:WORD_1
	v_mfma_f32_16x16x16_f16 v[6:9], v[36:37], v[8:9], v[30:33]
	s_nop 2
	v_cvt_pkrtz_f16_f32 v30, v34, v35
	v_cvt_pkrtz_f16_f32 v31, v20, v21
	v_mfma_f32_16x16x16_f16 v[6:9], v[18:19], v[42:43], v[6:9]
	s_waitcnt vmcnt(1)
	v_cvt_pk_f32_fp8_e32 v[18:19], v14
	v_cvt_pk_f32_fp8_sdwa v[20:21], v14 src0_sel:WORD_1
	v_cvt_pk_f32_fp8_sdwa v[32:33], v16 src0_sel:WORD_1
	v_mfma_f32_16x16x16_f16 v[6:9], v[30:31], v[44:45], v[6:9]
	v_cvt_pk_f32_fp8_e32 v[30:31], v15
	v_cvt_pkrtz_f16_f32 v18, v18, v19
	v_cvt_pkrtz_f16_f32 v19, v20, v21
	v_cvt_pk_f32_fp8_sdwa v[14:15], v15 src0_sel:WORD_1
	v_cvt_pkrtz_f16_f32 v20, v30, v31
	v_cvt_pk_f32_fp8_e32 v[30:31], v16
	v_mfma_f32_16x16x16_f16 v[6:9], v[18:19], v[2:3], v[6:9]
	v_cvt_pkrtz_f16_f32 v21, v14, v15
	v_cvt_pkrtz_f16_f32 v14, v30, v31
	;; [unrolled: 1-line block ×3, first 2 shown]
	v_cvt_pk_f32_fp8_e32 v[18:19], v17
	v_cvt_pk_f32_fp8_sdwa v[16:17], v17 src0_sel:WORD_1
	v_mfma_f32_16x16x16_f16 v[2:5], v[20:21], v[4:5], v[6:9]
	s_waitcnt vmcnt(0)
	v_cvt_pk_f32_fp8_sdwa v[20:21], v12 src0_sel:WORD_1
	s_nop 0
	v_cvt_pkrtz_f16_f32 v8, v18, v19
	v_cvt_pkrtz_f16_f32 v9, v16, v17
	v_mfma_f32_16x16x16_f16 v[2:5], v[14:15], v[46:47], v[2:5]
	v_cvt_pk_f32_fp8_e32 v[16:17], v10
	v_cvt_pk_f32_fp8_sdwa v[18:19], v10 src0_sel:WORD_1
	v_pk_mul_f32 v[6:7], v[24:25], s[4:5] op_sel_hi:[1,0]
	v_mfma_f32_16x16x16_f16 v[2:5], v[8:9], v[48:49], v[2:5]
	v_cvt_pk_f32_fp8_e32 v[8:9], v11
	v_cvt_pkrtz_f16_f32 v16, v16, v17
	v_cvt_pkrtz_f16_f32 v17, v18, v19
	v_cvt_pk_f32_fp8_sdwa v[10:11], v11 src0_sel:WORD_1
	v_cvt_pkrtz_f16_f32 v8, v8, v9
	v_cvt_pk_f32_fp8_e32 v[18:19], v12
	v_mfma_f32_16x16x16_f16 v[2:5], v[16:17], v[26:27], v[2:5]
	v_cvt_pkrtz_f16_f32 v9, v10, v11
	v_cvt_pkrtz_f16_f32 v10, v18, v19
	;; [unrolled: 1-line block ×3, first 2 shown]
	v_cvt_pk_f32_fp8_e32 v[16:17], v13
	v_cvt_pk_f32_fp8_sdwa v[12:13], v13 src0_sel:WORD_1
	v_mfma_f32_16x16x16_f16 v[2:5], v[8:9], v[28:29], v[2:5]
	v_pk_mul_f32 v[14:15], v[22:23], s[4:5] op_sel_hi:[1,0]
	v_cvt_pkrtz_f16_f32 v8, v16, v17
	v_cvt_pkrtz_f16_f32 v9, v12, v13
	v_mfma_f32_16x16x16_f16 v[2:5], v[10:11], v[50:51], v[2:5]
	v_cvt_f16_f32_e32 v14, v14
	v_cvt_f16_f32_e32 v10, v15
	;; [unrolled: 1-line block ×3, first 2 shown]
	v_mfma_f32_16x16x16_f16 v[2:5], v[8:9], v[52:53], v[2:5]
	v_cvt_f16_f32_e32 v7, v7
	s_nop 5
	v_pk_mul_f32 v[4:5], v[4:5], s[4:5] op_sel_hi:[1,0]
	v_pk_mul_f32 v[2:3], v[2:3], s[4:5] op_sel_hi:[1,0]
	v_cvt_f16_f32_e32 v11, v4
	v_cvt_f16_f32_e32 v8, v2
	;; [unrolled: 1-line block ×4, first 2 shown]
	v_cmp_ne_u32_e64 s[4:5], 3, v60
	v_pack_b32_f16 v2, v14, v10
	v_pack_b32_f16 v3, v6, v7
	;; [unrolled: 1-line block ×4, first 2 shown]
	s_and_b64 s[4:5], vcc, s[4:5]
	ds_write2st64_b64 v55, v[2:3], v[4:5] offset1:1
	s_waitcnt lgkmcnt(0)
	s_barrier
	s_and_saveexec_b64 s[10:11], s[4:5]
	s_cbranch_execz .LBB986_19
; %bb.18:
	s_load_dwordx2 s[0:1], s[0:1], 0x68
	s_mul_i32 s2, s8, s2
	s_lshl_b32 s7, s7, 7
	v_lshlrev_b32_e32 v4, 6, v56
	s_mul_hi_u32 s5, s2, s7
	s_mul_i32 s4, s2, s7
	v_lshl_or_b32 v0, v0, 10, v4
	s_lshl_b64 s[4:5], s[4:5], 1
	v_lshlrev_b32_e32 v2, 5, v60
	v_and_b32_e32 v3, 16, v61
	v_and_b32_e32 v0, 0x1a00, v0
	s_waitcnt lgkmcnt(0)
	s_add_u32 s4, s0, s4
	v_or3_b32 v0, v0, v2, v3
	s_addc_u32 s5, s1, s5
	s_lshl_b32 s2, s6, 7
	ds_read_b128 v[2:5], v0
	s_lshl_b64 s[0:1], s[2:3], 1
	s_add_u32 s0, s4, s0
	s_addc_u32 s1, s5, s1
	v_mad_u64_u32 v[0:1], s[2:3], s7, v1, 0
	v_lshl_add_u64 v[0:1], v[0:1], 1, s[0:1]
	v_mov_b32_e32 v55, 0
	v_lshl_add_u64 v[0:1], v[0:1], 0, v[54:55]
	s_waitcnt lgkmcnt(0)
	global_store_dwordx4 v[0:1], v[2:5], off
.LBB986_19:
	s_endpgm
	.section	.rodata,"a",@progbits
	.p2align	6, 0x0
	.amdhsa_kernel _Z39paged_attention_ll4mi_QKV_mfma16_kernelIDF16_hLN4vllm18Fp8KVCacheDataTypeE1EDF16_Li16ELi128ELi256ELb1ELi3EEvPKT_PKT0_S7_ifPKiS9_S9_iPKfiiiPfSC_PS2_PT2_iSB_SB_
		.amdhsa_group_segment_fixed_size 8192
		.amdhsa_private_segment_fixed_size 0
		.amdhsa_kernarg_size 400
		.amdhsa_user_sgpr_count 2
		.amdhsa_user_sgpr_dispatch_ptr 0
		.amdhsa_user_sgpr_queue_ptr 0
		.amdhsa_user_sgpr_kernarg_segment_ptr 1
		.amdhsa_user_sgpr_dispatch_id 0
		.amdhsa_user_sgpr_kernarg_preload_length 0
		.amdhsa_user_sgpr_kernarg_preload_offset 0
		.amdhsa_user_sgpr_private_segment_size 0
		.amdhsa_uses_dynamic_stack 0
		.amdhsa_enable_private_segment 0
		.amdhsa_system_sgpr_workgroup_id_x 1
		.amdhsa_system_sgpr_workgroup_id_y 1
		.amdhsa_system_sgpr_workgroup_id_z 1
		.amdhsa_system_sgpr_workgroup_info 0
		.amdhsa_system_vgpr_workitem_id 0
		.amdhsa_next_free_vgpr 77
		.amdhsa_next_free_sgpr 50
		.amdhsa_accum_offset 80
		.amdhsa_reserve_vcc 1
		.amdhsa_float_round_mode_32 0
		.amdhsa_float_round_mode_16_64 0
		.amdhsa_float_denorm_mode_32 3
		.amdhsa_float_denorm_mode_16_64 3
		.amdhsa_dx10_clamp 1
		.amdhsa_ieee_mode 1
		.amdhsa_fp16_overflow 0
		.amdhsa_tg_split 0
		.amdhsa_exception_fp_ieee_invalid_op 0
		.amdhsa_exception_fp_denorm_src 0
		.amdhsa_exception_fp_ieee_div_zero 0
		.amdhsa_exception_fp_ieee_overflow 0
		.amdhsa_exception_fp_ieee_underflow 0
		.amdhsa_exception_fp_ieee_inexact 0
		.amdhsa_exception_int_div_zero 0
	.end_amdhsa_kernel
	.section	.text._Z39paged_attention_ll4mi_QKV_mfma16_kernelIDF16_hLN4vllm18Fp8KVCacheDataTypeE1EDF16_Li16ELi128ELi256ELb1ELi3EEvPKT_PKT0_S7_ifPKiS9_S9_iPKfiiiPfSC_PS2_PT2_iSB_SB_,"axG",@progbits,_Z39paged_attention_ll4mi_QKV_mfma16_kernelIDF16_hLN4vllm18Fp8KVCacheDataTypeE1EDF16_Li16ELi128ELi256ELb1ELi3EEvPKT_PKT0_S7_ifPKiS9_S9_iPKfiiiPfSC_PS2_PT2_iSB_SB_,comdat
.Lfunc_end986:
	.size	_Z39paged_attention_ll4mi_QKV_mfma16_kernelIDF16_hLN4vllm18Fp8KVCacheDataTypeE1EDF16_Li16ELi128ELi256ELb1ELi3EEvPKT_PKT0_S7_ifPKiS9_S9_iPKfiiiPfSC_PS2_PT2_iSB_SB_, .Lfunc_end986-_Z39paged_attention_ll4mi_QKV_mfma16_kernelIDF16_hLN4vllm18Fp8KVCacheDataTypeE1EDF16_Li16ELi128ELi256ELb1ELi3EEvPKT_PKT0_S7_ifPKiS9_S9_iPKfiiiPfSC_PS2_PT2_iSB_SB_
                                        ; -- End function
	.section	.AMDGPU.csdata,"",@progbits
; Kernel info:
; codeLenInByte = 6252
; NumSgprs: 56
; NumVgprs: 77
; NumAgprs: 0
; TotalNumVgprs: 77
; ScratchSize: 0
; MemoryBound: 0
; FloatMode: 240
; IeeeMode: 1
; LDSByteSize: 8192 bytes/workgroup (compile time only)
; SGPRBlocks: 6
; VGPRBlocks: 9
; NumSGPRsForWavesPerEU: 56
; NumVGPRsForWavesPerEU: 77
; AccumOffset: 80
; Occupancy: 6
; WaveLimiterHint : 1
; COMPUTE_PGM_RSRC2:SCRATCH_EN: 0
; COMPUTE_PGM_RSRC2:USER_SGPR: 2
; COMPUTE_PGM_RSRC2:TRAP_HANDLER: 0
; COMPUTE_PGM_RSRC2:TGID_X_EN: 1
; COMPUTE_PGM_RSRC2:TGID_Y_EN: 1
; COMPUTE_PGM_RSRC2:TGID_Z_EN: 1
; COMPUTE_PGM_RSRC2:TIDIG_COMP_CNT: 0
; COMPUTE_PGM_RSRC3_GFX90A:ACCUM_OFFSET: 19
; COMPUTE_PGM_RSRC3_GFX90A:TG_SPLIT: 0
	.section	.text._Z39paged_attention_ll4mi_QKV_mfma16_kernelIDF16_hLN4vllm18Fp8KVCacheDataTypeE1EDF16_Li16ELi128ELi256ELb1ELi4EEvPKT_PKT0_S7_ifPKiS9_S9_iPKfiiiPfSC_PS2_PT2_iSB_SB_,"axG",@progbits,_Z39paged_attention_ll4mi_QKV_mfma16_kernelIDF16_hLN4vllm18Fp8KVCacheDataTypeE1EDF16_Li16ELi128ELi256ELb1ELi4EEvPKT_PKT0_S7_ifPKiS9_S9_iPKfiiiPfSC_PS2_PT2_iSB_SB_,comdat
	.protected	_Z39paged_attention_ll4mi_QKV_mfma16_kernelIDF16_hLN4vllm18Fp8KVCacheDataTypeE1EDF16_Li16ELi128ELi256ELb1ELi4EEvPKT_PKT0_S7_ifPKiS9_S9_iPKfiiiPfSC_PS2_PT2_iSB_SB_ ; -- Begin function _Z39paged_attention_ll4mi_QKV_mfma16_kernelIDF16_hLN4vllm18Fp8KVCacheDataTypeE1EDF16_Li16ELi128ELi256ELb1ELi4EEvPKT_PKT0_S7_ifPKiS9_S9_iPKfiiiPfSC_PS2_PT2_iSB_SB_
	.globl	_Z39paged_attention_ll4mi_QKV_mfma16_kernelIDF16_hLN4vllm18Fp8KVCacheDataTypeE1EDF16_Li16ELi128ELi256ELb1ELi4EEvPKT_PKT0_S7_ifPKiS9_S9_iPKfiiiPfSC_PS2_PT2_iSB_SB_
	.p2align	8
	.type	_Z39paged_attention_ll4mi_QKV_mfma16_kernelIDF16_hLN4vllm18Fp8KVCacheDataTypeE1EDF16_Li16ELi128ELi256ELb1ELi4EEvPKT_PKT0_S7_ifPKiS9_S9_iPKfiiiPfSC_PS2_PT2_iSB_SB_,@function
_Z39paged_attention_ll4mi_QKV_mfma16_kernelIDF16_hLN4vllm18Fp8KVCacheDataTypeE1EDF16_Li16ELi128ELi256ELb1ELi4EEvPKT_PKT0_S7_ifPKiS9_S9_iPKfiiiPfSC_PS2_PT2_iSB_SB_: ; @_Z39paged_attention_ll4mi_QKV_mfma16_kernelIDF16_hLN4vllm18Fp8KVCacheDataTypeE1EDF16_Li16ELi128ELi256ELb1ELi4EEvPKT_PKT0_S7_ifPKiS9_S9_iPKfiiiPfSC_PS2_PT2_iSB_SB_
; %bb.0:
	s_load_dwordx2 s[8:9], s[0:1], 0x30
	s_mov_b32 s12, s3
	s_mov_b64 s[6:7], 0
	s_waitcnt lgkmcnt(0)
	s_cmp_lg_u64 s[8:9], 0
	s_cselect_b64 s[10:11], -1, 0
	s_and_b64 vcc, exec, s[10:11]
	s_cbranch_vccz .LBB987_7
; %bb.1:
	s_add_i32 s14, s2, 1
	s_mov_b32 s15, 0
	s_lshl_b64 s[16:17], s[14:15], 2
	s_add_u32 s16, s8, s16
	s_mov_b32 s3, s15
	s_addc_u32 s17, s9, s17
	s_lshl_b64 s[14:15], s[2:3], 2
	s_add_u32 s14, s8, s14
	s_addc_u32 s15, s9, s15
	s_load_dword s5, s[16:17], 0x0
	s_load_dword s13, s[14:15], 0x0
	s_waitcnt lgkmcnt(0)
	s_sub_i32 s5, s5, s13
	s_cmp_eq_u32 s5, 1
	s_cselect_b64 s[14:15], -1, 0
	s_andn2_b64 vcc, exec, s[6:7]
	s_cbranch_vccnz .LBB987_3
.LBB987_2:
	s_mov_b32 s3, 0
	s_mov_b64 s[14:15], -1
.LBB987_3:
	s_andn2_b64 vcc, exec, s[14:15]
	s_cbranch_vccnz .LBB987_19
; %bb.4:
	s_load_dwordx2 s[6:7], s[0:1], 0x28
	s_lshl_b64 s[14:15], s[2:3], 2
	s_waitcnt lgkmcnt(0)
	s_add_u32 s6, s6, s14
	s_addc_u32 s7, s7, s15
	s_load_dword s33, s[6:7], 0x0
	s_lshl_b32 s18, s12, 8
	s_waitcnt lgkmcnt(0)
	s_cmp_ge_i32 s18, s33
	s_cbranch_scc1 .LBB987_19
; %bb.5:
	s_load_dwordx2 s[6:7], s[0:1], 0x20
	s_load_dword s5, s[0:1], 0x38
	s_add_i32 s13, s33, 15
	s_ashr_i32 s16, s13, 31
	v_and_b32_e32 v1, 0xcf, v0
	s_lshr_b32 s16, s16, 28
	v_add_u32_e32 v1, s18, v1
	s_add_i32 s13, s13, s16
	v_ashrrev_i32_e32 v2, 31, v1
	s_ashr_i32 s19, s13, 4
	v_lshrrev_b32_e32 v4, 28, v2
	s_add_i32 s19, s19, -1
	s_waitcnt lgkmcnt(0)
	s_mul_i32 s16, s2, s5
	s_mov_b32 s17, 0
	v_add_u32_e32 v2, v1, v4
	s_lshl_b64 s[16:17], s[16:17], 2
	v_ashrrev_i32_e32 v2, 4, v2
	v_mov_b32_e32 v5, s19
	v_cmp_gt_i32_e32 vcc, s33, v1
	s_add_u32 s6, s6, s16
	s_addc_u32 s7, s7, s17
	v_cndmask_b32_e32 v2, v5, v2, vcc
	v_ashrrev_i32_e32 v3, 31, v2
	v_lshl_add_u64 v[6:7], v[2:3], 2, s[6:7]
	v_or_b32_e32 v2, 16, v1
	v_add_u32_e32 v3, v2, v4
	v_ashrrev_i32_e32 v3, 4, v3
	v_cmp_gt_i32_e32 vcc, s33, v2
	s_load_dwordx2 s[16:17], s[0:1], 0x8
	s_nop 0
	v_cndmask_b32_e32 v2, v5, v3, vcc
	v_ashrrev_i32_e32 v3, 31, v2
	v_lshl_add_u64 v[8:9], v[2:3], 2, s[6:7]
	v_or_b32_e32 v2, 32, v1
	v_add_u32_e32 v3, v2, v4
	v_ashrrev_i32_e32 v3, 4, v3
	v_cmp_gt_i32_e32 vcc, s33, v2
	v_or_b32_e32 v1, 48, v1
	s_nop 0
	v_cndmask_b32_e32 v2, v5, v3, vcc
	v_ashrrev_i32_e32 v3, 31, v2
	v_lshl_add_u64 v[10:11], v[2:3], 2, s[6:7]
	v_add_u32_e32 v2, v1, v4
	v_ashrrev_i32_e32 v2, 4, v2
	v_cmp_gt_i32_e32 vcc, s33, v1
	s_nop 1
	v_cndmask_b32_e32 v2, v5, v2, vcc
	v_ashrrev_i32_e32 v3, 31, v2
	v_lshl_add_u64 v[12:13], v[2:3], 2, s[6:7]
	global_load_dword v4, v[6:7], off
	global_load_dword v3, v[8:9], off
	;; [unrolled: 1-line block ×4, first 2 shown]
	s_andn2_b64 vcc, exec, s[10:11]
	s_cbranch_vccnz .LBB987_8
; %bb.6:
	s_add_u32 s8, s8, s14
	s_addc_u32 s9, s9, s15
	s_load_dword s5, s[8:9], 0x0
	s_branch .LBB987_9
.LBB987_7:
	s_mov_b64 s[14:15], 0
	s_branch .LBB987_2
.LBB987_8:
	s_mov_b32 s5, s2
.LBB987_9:
	s_load_dwordx2 s[8:9], s[0:1], 0x10
	s_load_dwordx4 s[44:47], s[0:1], 0x48
	v_and_b32_e32 v60, 15, v0
	v_bfe_u32 v63, v0, 4, 2
	s_lshl_b32 s13, s4, 2
	v_lshlrev_b32_e32 v5, 3, v60
	v_lshrrev_b32_e32 v64, 6, v0
	v_or_b32_e32 v1, s13, v63
	v_cmp_gt_u32_e64 s[14:15], 64, v0
	v_lshlrev_b32_e32 v54, 1, v5
	v_lshlrev_b32_e32 v61, 5, v63
	;; [unrolled: 1-line block ×3, first 2 shown]
	s_and_saveexec_b64 s[10:11], s[14:15]
	s_cbranch_execz .LBB987_11
; %bb.10:
	s_load_dwordx2 s[20:21], s[0:1], 0x0
	s_waitcnt lgkmcnt(0)
	s_ashr_i32 s22, s44, 31
	s_mul_hi_u32 s23, s5, s44
	s_mul_i32 s22, s5, s22
	s_add_i32 s23, s23, s22
	s_mul_i32 s22, s5, s44
	s_lshl_b64 s[22:23], s[22:23], 1
	s_add_u32 s20, s20, s22
	v_lshlrev_b32_e32 v6, 7, v1
	s_addc_u32 s21, s21, s23
	v_ashrrev_i32_e32 v7, 31, v6
	v_lshl_add_u64 v[6:7], v[6:7], 1, s[20:21]
	v_mov_b32_e32 v55, 0
	v_lshl_add_u64 v[6:7], v[6:7], 0, v[54:55]
	global_load_dwordx4 v[6:9], v[6:7], off
	v_lshlrev_b32_e32 v10, 8, v0
	v_lshlrev_b32_e32 v5, 8, v60
	v_and_b32_e32 v10, 0x600, v10
	s_movk_i32 s5, 0x800
	v_and_or_b32 v5, v5, s5, v10
	v_lshl_or_b32 v10, v64, 7, v61
	v_and_b32_e32 v11, 16, v62
	v_or3_b32 v5, v5, v10, v11
	s_waitcnt vmcnt(0)
	ds_write_b128 v5, v[6:9]
.LBB987_11:
	s_or_b64 exec, exec, s[10:11]
	s_waitcnt lgkmcnt(0)
	s_mul_i32 s10, s4, s46
	s_add_u32 s4, s16, s10
	s_addc_u32 s5, s17, 0
	v_and_b32_e32 v56, 0xf0, v62
	v_mov_b32_e32 v57, 0
	v_and_b32_e32 v46, 48, v0
	v_lshl_add_u64 v[20:21], s[4:5], 0, v[56:57]
	v_lshlrev_b32_e32 v56, 4, v46
	s_waitcnt vmcnt(3)
	v_mad_i64_i32 v[4:5], s[4:5], v4, s45, v[20:21]
	v_lshl_add_u64 v[4:5], v[4:5], 0, v[56:57]
	s_barrier
	global_load_dwordx4 v[42:45], v[4:5], off
	global_load_dwordx4 v[14:17], v[4:5], off offset:1024
	s_waitcnt vmcnt(4)
	v_mad_i64_i32 v[4:5], s[4:5], v3, s45, v[20:21]
	s_waitcnt vmcnt(3)
	v_mad_i64_i32 v[2:3], s[4:5], v2, s45, v[20:21]
	;; [unrolled: 2-line block ×3, first 2 shown]
	v_lshl_add_u64 v[4:5], v[4:5], 0, v[56:57]
	v_lshl_add_u64 v[22:23], v[2:3], 0, v[56:57]
	;; [unrolled: 1-line block ×3, first 2 shown]
	global_load_dwordx4 v[10:13], v[4:5], off
	global_load_dwordx4 v[6:9], v[4:5], off offset:1024
	s_nop 0
	global_load_dwordx4 v[2:5], v[22:23], off
	global_load_dwordx4 v[50:53], v[22:23], off offset:1024
	global_load_dwordx4 v[34:37], v[18:19], off
	s_nop 0
	global_load_dwordx4 v[22:25], v[18:19], off offset:1024
	v_and_b32_e32 v18, 3, v0
	v_lshlrev_b32_e32 v18, 5, v18
	v_lshl_or_b32 v18, v63, 9, v18
	ds_read_b128 v[38:41], v18
	ds_read_b128 v[30:33], v18 offset:16
	ds_read_b128 v[26:29], v18 offset:2048
	ds_read_b128 v[18:21], v18 offset:2064
	v_and_b32_e32 v55, 63, v0
	v_cmp_gt_u32_e32 vcc, 4, v60
	v_mov_b32_e32 v65, 0
	s_and_saveexec_b64 s[4:5], vcc
	s_cbranch_execz .LBB987_13
; %bb.12:
	s_load_dwordx2 s[16:17], s[0:1], 0x40
	v_or_b32_e32 v48, s13, v60
	v_ashrrev_i32_e32 v49, 31, v48
	s_waitcnt lgkmcnt(0)
	v_lshl_add_u64 v[48:49], v[48:49], 2, s[16:17]
	global_load_dword v65, v[48:49], off
.LBB987_13:
	s_or_b64 exec, exec, s[4:5]
	s_waitcnt vmcnt(7)
	v_cvt_pk_f32_fp8_e32 v[58:59], v42
	v_cvt_pk_f32_fp8_sdwa v[68:69], v42 src0_sel:WORD_1
	v_cvt_pk_f32_fp8_e32 v[70:71], v43
	v_cvt_pk_f32_fp8_sdwa v[42:43], v43 src0_sel:WORD_1
	v_cvt_pkrtz_f16_f32 v58, v58, v59
	v_cvt_pkrtz_f16_f32 v59, v68, v69
	;; [unrolled: 1-line block ×3, first 2 shown]
	v_cvt_pk_f32_fp8_e32 v[74:75], v44
	v_cvt_pk_f32_fp8_sdwa v[76:77], v44 src0_sel:WORD_1
	v_cvt_pkrtz_f16_f32 v73, v42, v43
	s_waitcnt lgkmcnt(3)
	v_mfma_f32_16x16x16_f16 v[68:71], v[58:59], v[38:39], 0
	v_or_b32_e32 v56, s18, v46
	v_ashrrev_i32_e32 v46, 4, v56
	v_mov_b32_e32 v67, s19
	v_cmp_gt_i32_e32 vcc, s33, v56
	v_cvt_pkrtz_f16_f32 v58, v74, v75
	v_cvt_pkrtz_f16_f32 v59, v76, v77
	v_cvt_pk_f32_fp8_e32 v[74:75], v45
	v_cvt_pk_f32_fp8_sdwa v[76:77], v45 src0_sel:WORD_1
	v_cndmask_b32_e32 v46, v67, v46, vcc
	v_mfma_f32_16x16x16_f16 v[42:45], v[72:73], v[40:41], v[68:71]
	v_ashrrev_i32_e32 v47, 31, v46
	v_lshl_add_u64 v[46:47], v[46:47], 2, s[6:7]
	global_load_dword v66, v[46:47], off
	v_or_b32_e32 v46, 64, v56
	v_cvt_pkrtz_f16_f32 v68, v74, v75
	v_cvt_pkrtz_f16_f32 v69, v76, v77
	v_ashrrev_i32_e32 v47, 4, v46
	v_cmp_gt_i32_e32 vcc, s33, v46
	s_waitcnt lgkmcnt(2)
	v_mfma_f32_16x16x16_f16 v[42:45], v[58:59], v[30:31], v[42:45]
	s_waitcnt vmcnt(7)
	v_cvt_pk_f32_fp8_sdwa v[72:73], v14 src0_sel:WORD_1
	v_cndmask_b32_e32 v46, v67, v47, vcc
	v_ashrrev_i32_e32 v47, 31, v46
	v_lshl_add_u64 v[48:49], v[46:47], 2, s[6:7]
	v_or_b32_e32 v46, 0x80, v56
	v_mfma_f32_16x16x16_f16 v[42:45], v[68:69], v[32:33], v[42:45]
	global_load_dword v68, v[48:49], off
	v_ashrrev_i32_e32 v47, 4, v46
	v_cmp_gt_i32_e32 vcc, s33, v46
	v_or_b32_e32 v56, 0xc0, v56
	v_ashrrev_i32_e32 v70, 4, v56
	v_cndmask_b32_e32 v46, v67, v47, vcc
	v_cmp_gt_i32_e32 vcc, s33, v56
	v_ashrrev_i32_e32 v47, 31, v46
	v_lshl_add_u64 v[46:47], v[46:47], 2, s[6:7]
	v_cndmask_b32_e32 v58, v67, v70, vcc
	v_cvt_pk_f32_fp8_e32 v[70:71], v14
	v_ashrrev_i32_e32 v59, 31, v58
	v_lshl_add_u64 v[58:59], v[58:59], 2, s[6:7]
	v_cvt_pk_f32_fp8_sdwa v[74:75], v16 src0_sel:WORD_1
	v_cvt_pkrtz_f16_f32 v70, v70, v71
	v_cvt_pkrtz_f16_f32 v71, v72, v73
	v_cvt_pk_f32_fp8_e32 v[72:73], v16
	v_cvt_pk_f32_fp8_sdwa v[76:77], v17 src0_sel:WORD_1
	s_waitcnt lgkmcnt(1)
	v_mfma_f32_16x16x16_f16 v[42:45], v[70:71], v[26:27], v[42:45]
	global_load_dword v70, v[58:59], off
	global_load_dword v69, v[46:47], off
	v_cvt_pk_f32_fp8_e32 v[48:49], v15
	v_cvt_pk_f32_fp8_sdwa v[14:15], v15 src0_sel:WORD_1
	v_cvt_pkrtz_f16_f32 v72, v72, v73
	v_cvt_pkrtz_f16_f32 v73, v74, v75
	v_cvt_pkrtz_f16_f32 v48, v48, v49
	v_cvt_pkrtz_f16_f32 v49, v14, v15
	v_cvt_pk_f32_fp8_e32 v[74:75], v17
	s_waitcnt vmcnt(9)
	v_cvt_pk_f32_fp8_e32 v[46:47], v10
	v_mfma_f32_16x16x16_f16 v[14:17], v[48:49], v[28:29], v[42:45]
	v_cvt_pk_f32_fp8_sdwa v[48:49], v10 src0_sel:WORD_1
	s_nop 1
	v_cvt_pkrtz_f16_f32 v42, v74, v75
	v_cvt_pkrtz_f16_f32 v43, v76, v77
	s_waitcnt lgkmcnt(0)
	v_mfma_f32_16x16x16_f16 v[14:17], v[72:73], v[18:19], v[14:17]
	v_cvt_pk_f32_fp8_sdwa v[58:59], v12 src0_sel:WORD_1
	v_cvt_pk_f32_fp8_sdwa v[72:73], v13 src0_sel:WORD_1
	s_add_u32 s4, s8, s10
	v_mfma_f32_16x16x16_f16 v[42:45], v[42:43], v[20:21], v[14:17]
	v_lshl_or_b32 v67, v64, 4, v60
	s_waitcnt vmcnt(7)
	v_cvt_pk_f32_fp8_e32 v[74:75], v5
	s_addc_u32 s5, s9, 0
	v_cvt_pk_f32_fp8_e32 v[14:15], v11
	v_cvt_pkrtz_f16_f32 v16, v46, v47
	v_cvt_pkrtz_f16_f32 v17, v48, v49
	v_cvt_pk_f32_fp8_sdwa v[10:11], v11 src0_sel:WORD_1
	v_cvt_pkrtz_f16_f32 v46, v14, v15
	v_cvt_pk_f32_fp8_e32 v[48:49], v12
	v_mfma_f32_16x16x16_f16 v[14:17], v[16:17], v[38:39], 0
	v_cvt_pkrtz_f16_f32 v47, v10, v11
	v_cvt_pkrtz_f16_f32 v48, v48, v49
	;; [unrolled: 1-line block ×3, first 2 shown]
	v_cvt_pk_f32_fp8_e32 v[58:59], v13
	v_mfma_f32_16x16x16_f16 v[10:13], v[46:47], v[40:41], v[14:17]
	v_cvt_pk_f32_fp8_sdwa v[46:47], v6 src0_sel:WORD_1
	v_lshlrev_b32_e32 v56, 4, v67
	s_nop 0
	v_cvt_pkrtz_f16_f32 v14, v58, v59
	v_cvt_pkrtz_f16_f32 v15, v72, v73
	v_mfma_f32_16x16x16_f16 v[10:13], v[48:49], v[30:31], v[10:13]
	v_cvt_pk_f32_fp8_e32 v[16:17], v6
	v_cvt_pk_f32_fp8_sdwa v[48:49], v8 src0_sel:WORD_1
	v_lshl_add_u64 v[58:59], s[4:5], 0, v[56:57]
	v_mfma_f32_16x16x16_f16 v[10:13], v[14:15], v[32:33], v[10:13]
	v_cvt_pk_f32_fp8_e32 v[14:15], v7
	v_cvt_pkrtz_f16_f32 v16, v16, v17
	v_cvt_pkrtz_f16_f32 v17, v46, v47
	v_cvt_pk_f32_fp8_sdwa v[6:7], v7 src0_sel:WORD_1
	v_cvt_pkrtz_f16_f32 v14, v14, v15
	v_cvt_pk_f32_fp8_e32 v[46:47], v8
	v_mfma_f32_16x16x16_f16 v[10:13], v[16:17], v[26:27], v[10:13]
	v_cvt_pkrtz_f16_f32 v15, v6, v7
	v_cvt_pkrtz_f16_f32 v16, v46, v47
	;; [unrolled: 1-line block ×3, first 2 shown]
	v_cvt_pk_f32_fp8_e32 v[46:47], v9
	v_cvt_pk_f32_fp8_sdwa v[48:49], v9 src0_sel:WORD_1
	v_mfma_f32_16x16x16_f16 v[6:9], v[14:15], v[28:29], v[10:13]
	v_cvt_pk_f32_fp8_sdwa v[14:15], v2 src0_sel:WORD_1
	s_waitcnt vmcnt(2)
	v_mad_i64_i32 v[72:73], s[6:7], v68, s45, v[58:59]
	v_cvt_pkrtz_f16_f32 v10, v46, v47
	v_cvt_pkrtz_f16_f32 v11, v48, v49
	v_mfma_f32_16x16x16_f16 v[6:9], v[16:17], v[18:19], v[6:9]
	v_cvt_pk_f32_fp8_e32 v[12:13], v2
	v_cvt_pk_f32_fp8_sdwa v[80:81], v52 src0_sel:WORD_1
	v_or_b32_e32 v56, 0x400, v56
	v_mfma_f32_16x16x16_f16 v[46:49], v[10:11], v[20:21], v[6:9]
	v_mad_i64_i32 v[10:11], s[6:7], v66, s45, v[58:59]
	s_mov_b32 s46, 0xff7fffff
	s_nop 0
	v_cvt_pkrtz_f16_f32 v6, v12, v13
	v_cvt_pkrtz_f16_f32 v7, v14, v15
	v_cvt_pk_f32_fp8_e32 v[8:9], v3
	v_cvt_pk_f32_fp8_sdwa v[2:3], v3 src0_sel:WORD_1
	v_cvt_pk_f32_fp8_sdwa v[14:15], v4 src0_sel:WORD_1
	v_cvt_pkrtz_f16_f32 v12, v8, v9
	v_cvt_pkrtz_f16_f32 v13, v2, v3
	v_cvt_pk_f32_fp8_e32 v[2:3], v4
	v_mfma_f32_16x16x16_f16 v[6:9], v[6:7], v[38:39], 0
	v_cvt_pk_f32_fp8_sdwa v[4:5], v5 src0_sel:WORD_1
	s_waitcnt vmcnt(0)
	v_mad_i64_i32 v[76:77], s[6:7], v69, s45, v[58:59]
	v_cvt_pkrtz_f16_f32 v2, v2, v3
	v_cvt_pkrtz_f16_f32 v3, v14, v15
	v_mfma_f32_16x16x16_f16 v[6:9], v[12:13], v[40:41], v[6:9]
	global_load_dwordx4 v[14:17], v[10:11], off
	s_nop 0
	global_load_dwordx4 v[10:13], v[72:73], off
	v_cvt_pkrtz_f16_f32 v72, v74, v75
	v_cvt_pkrtz_f16_f32 v73, v4, v5
	v_mfma_f32_16x16x16_f16 v[2:5], v[2:3], v[30:31], v[6:9]
	v_mad_i64_i32 v[58:59], s[6:7], v70, s45, v[58:59]
	s_nop 1
	v_cvt_pk_f32_fp8_e32 v[6:7], v50
	v_cvt_pk_f32_fp8_sdwa v[8:9], v50 src0_sel:WORD_1
	v_mfma_f32_16x16x16_f16 v[2:5], v[72:73], v[32:33], v[2:5]
	v_cvt_pkrtz_f16_f32 v6, v6, v7
	v_cvt_pkrtz_f16_f32 v7, v8, v9
	v_cvt_pk_f32_fp8_e32 v[8:9], v51
	v_cvt_pk_f32_fp8_sdwa v[50:51], v51 src0_sel:WORD_1
	v_mfma_f32_16x16x16_f16 v[72:75], v[6:7], v[26:27], v[2:5]
	v_cvt_pkrtz_f16_f32 v78, v8, v9
	v_cvt_pkrtz_f16_f32 v79, v50, v51
	v_cvt_pk_f32_fp8_e32 v[50:51], v52
	global_load_dwordx4 v[6:9], v[76:77], off
	global_load_dwordx4 v[2:5], v[58:59], off
	v_cvt_pkrtz_f16_f32 v77, v80, v81
	v_cvt_pk_f32_fp8_e32 v[58:59], v53
	v_cvt_pkrtz_f16_f32 v76, v50, v51
	v_cvt_pk_f32_fp8_sdwa v[80:81], v53 src0_sel:WORD_1
	v_mfma_f32_16x16x16_f16 v[50:53], v[78:79], v[28:29], v[72:75]
	v_cvt_pkrtz_f16_f32 v58, v58, v59
	v_cvt_pk_f32_fp8_sdwa v[78:79], v36 src0_sel:WORD_1
	v_cvt_pkrtz_f16_f32 v59, v80, v81
	v_mfma_f32_16x16x16_f16 v[50:53], v[76:77], v[18:19], v[50:53]
	v_cvt_pk_f32_fp8_e32 v[72:73], v34
	v_cvt_pk_f32_fp8_sdwa v[74:75], v34 src0_sel:WORD_1
	v_cvt_pk_f32_fp8_e32 v[76:77], v36
	v_mfma_f32_16x16x16_f16 v[50:53], v[58:59], v[20:21], v[50:53]
	v_cvt_pk_f32_fp8_e32 v[58:59], v35
	v_cvt_pkrtz_f16_f32 v72, v72, v73
	v_cvt_pkrtz_f16_f32 v73, v74, v75
	v_cvt_pk_f32_fp8_sdwa v[34:35], v35 src0_sel:WORD_1
	v_cvt_pkrtz_f16_f32 v58, v58, v59
	v_mfma_f32_16x16x16_f16 v[72:75], v[72:73], v[38:39], 0
	v_cvt_pkrtz_f16_f32 v59, v34, v35
	v_cvt_pkrtz_f16_f32 v38, v76, v77
	;; [unrolled: 1-line block ×3, first 2 shown]
	v_cvt_pk_f32_fp8_e32 v[76:77], v37
	v_cvt_pk_f32_fp8_sdwa v[78:79], v37 src0_sel:WORD_1
	v_mfma_f32_16x16x16_f16 v[34:37], v[58:59], v[40:41], v[72:75]
	s_load_dword s6, s[0:1], 0x1c
	s_load_dwordx4 s[40:43], s[0:1], 0x80
	v_cvt_pkrtz_f16_f32 v58, v76, v77
	v_cvt_pkrtz_f16_f32 v59, v78, v79
	v_mfma_f32_16x16x16_f16 v[34:37], v[38:39], v[30:31], v[34:37]
	s_load_dword s44, s[0:1], 0x98
	s_waitcnt lgkmcnt(0)
	s_load_dword s7, s[40:41], 0x0
	v_cvt_pk_f32_fp8_sdwa v[38:39], v22 src0_sel:WORD_1
	v_mfma_f32_16x16x16_f16 v[32:35], v[58:59], v[32:33], v[34:37]
	v_mov_b32_e32 v40, s6
	s_waitcnt lgkmcnt(0)
	v_mul_f32_e32 v72, s7, v40
	v_cvt_pk_f32_fp8_e32 v[36:37], v22
	v_pk_mul_f32 v[30:31], v[72:73], v[42:43] op_sel_hi:[0,1]
	v_cvt_pk_f32_fp8_e32 v[42:43], v23
	v_cvt_pk_f32_fp8_sdwa v[22:23], v23 src0_sel:WORD_1
	v_cvt_pkrtz_f16_f32 v36, v36, v37
	v_cvt_pkrtz_f16_f32 v37, v38, v39
	v_pk_mul_f32 v[40:41], v[72:73], v[44:45] op_sel_hi:[0,1]
	v_cvt_pkrtz_f16_f32 v38, v42, v43
	v_cvt_pkrtz_f16_f32 v39, v22, v23
	v_cvt_pk_f32_fp8_e32 v[42:43], v24
	v_cvt_pk_f32_fp8_sdwa v[44:45], v24 src0_sel:WORD_1
	v_mfma_f32_16x16x16_f16 v[32:35], v[36:37], v[26:27], v[32:35]
	v_lshl_add_u64 v[22:23], s[4:5], 0, v[56:57]
	v_cvt_pkrtz_f16_f32 v36, v42, v43
	v_cvt_pkrtz_f16_f32 v37, v44, v45
	v_cvt_pk_f32_fp8_e32 v[42:43], v25
	v_cvt_pk_f32_fp8_sdwa v[56:57], v25 src0_sel:WORD_1
	v_mfma_f32_16x16x16_f16 v[24:27], v[38:39], v[28:29], v[32:35]
	v_pk_mul_f32 v[44:45], v[72:73], v[48:49] op_sel_hi:[0,1]
	v_cvt_pkrtz_f16_f32 v28, v42, v43
	v_cvt_pkrtz_f16_f32 v29, v56, v57
	v_mfma_f32_16x16x16_f16 v[24:27], v[36:37], v[18:19], v[24:27]
	v_pk_mul_f32 v[42:43], v[72:73], v[50:51] op_sel_hi:[0,1]
	v_pk_mul_f32 v[46:47], v[72:73], v[46:47] op_sel_hi:[0,1]
	;; [unrolled: 1-line block ×3, first 2 shown]
	v_mfma_f32_16x16x16_f16 v[18:21], v[28:29], v[20:21], v[24:27]
	s_nop 6
	v_pk_mul_f32 v[36:37], v[72:73], v[18:19] op_sel_hi:[0,1]
	v_and_b32_e32 v18, 0xc0, v0
	v_add_u32_e32 v18, s18, v18
	v_lshl_or_b32 v18, v63, 2, v18
	v_or_b32_e32 v19, 1, v18
	v_pk_mul_f32 v[34:35], v[72:73], v[20:21] op_sel_hi:[0,1]
	v_subrev_u32_e32 v20, s33, v19
	v_add_u32_e32 v24, 1, v20
	v_add_u32_e32 v25, 2, v20
	v_cvt_f32_i32_e32 v21, v20
	v_cvt_f32_i32_e32 v24, v24
	;; [unrolled: 1-line block ×3, first 2 shown]
	v_add_u32_e32 v26, 3, v20
	v_fma_f32 v50, v65, v21, v30
	v_fmac_f32_e32 v31, v65, v24
	v_fma_f32 v40, v65, v25, v40
	v_add_u32_e32 v21, 16, v20
	v_add_u32_e32 v24, 17, v20
	;; [unrolled: 1-line block ×3, first 2 shown]
	v_cvt_f32_i32_e32 v26, v26
	v_cvt_f32_i32_e32 v21, v21
	;; [unrolled: 1-line block ×4, first 2 shown]
	v_fmac_f32_e32 v41, v65, v26
	v_add_u32_e32 v26, 19, v20
	v_fma_f32 v52, v65, v21, v46
	v_fmac_f32_e32 v47, v65, v24
	v_fma_f32 v44, v65, v25, v44
	v_add_u32_e32 v21, 32, v20
	v_add_u32_e32 v24, 33, v20
	v_add_u32_e32 v25, 34, v20
	v_cvt_f32_i32_e32 v26, v26
	v_cvt_f32_i32_e32 v21, v21
	;; [unrolled: 1-line block ×4, first 2 shown]
	v_fmac_f32_e32 v45, v65, v26
	v_add_u32_e32 v26, 35, v20
	v_fma_f32 v42, v65, v21, v42
	v_fmac_f32_e32 v43, v65, v24
	v_fma_f32 v38, v65, v25, v38
	v_add_u32_e32 v21, 48, v20
	v_add_u32_e32 v24, 49, v20
	;; [unrolled: 1-line block ×4, first 2 shown]
	v_cvt_f32_i32_e32 v20, v20
	v_cvt_f32_i32_e32 v21, v21
	;; [unrolled: 1-line block ×3, first 2 shown]
	v_cmp_gt_i32_e64 s[4:5], s33, v18
	v_fmac_f32_e32 v35, v65, v20
	v_mov_b32_e32 v20, 0xff7fffff
	v_cmp_gt_i32_e64 s[16:17], s33, v19
	v_fma_f32 v36, v65, v21, v36
	v_cndmask_b32_e64 v21, v20, v50, s[4:5]
	v_cndmask_b32_e64 v19, v20, v31, s[16:17]
	v_fmac_f32_e32 v37, v65, v24
	v_max3_f32 v19, v21, s46, v19
	v_or_b32_e32 v21, 2, v18
	v_or_b32_e32 v24, 3, v18
	v_cmp_gt_i32_e64 s[18:19], s33, v21
	v_cmp_gt_i32_e64 s[20:21], s33, v24
	v_cvt_f32_i32_e32 v26, v26
	v_cndmask_b32_e64 v21, v20, v40, s[18:19]
	v_cndmask_b32_e64 v24, v20, v41, s[20:21]
	v_max3_f32 v19, v19, v21, v24
	v_or_b32_e32 v21, 16, v18
	v_or_b32_e32 v24, 17, v18
	v_cmp_gt_i32_e64 s[22:23], s33, v21
	v_cmp_gt_i32_e64 s[24:25], s33, v24
	v_fmac_f32_e32 v39, v65, v26
	v_cndmask_b32_e64 v21, v20, v52, s[22:23]
	v_cndmask_b32_e64 v24, v20, v47, s[24:25]
	v_max3_f32 v19, v19, v21, v24
	v_or_b32_e32 v21, 18, v18
	v_or_b32_e32 v24, 19, v18
	v_cmp_gt_i32_e64 s[26:27], s33, v21
	v_cmp_gt_i32_e64 s[28:29], s33, v24
	v_cvt_f32_i32_e32 v25, v25
	v_cndmask_b32_e64 v21, v20, v44, s[26:27]
	v_cndmask_b32_e64 v24, v20, v45, s[28:29]
	v_max3_f32 v19, v19, v21, v24
	v_or_b32_e32 v21, 32, v18
	v_or_b32_e32 v24, 33, v18
	v_cmp_gt_i32_e64 s[30:31], s33, v21
	v_cmp_gt_i32_e64 s[34:35], s33, v24
	v_fma_f32 v34, v65, v25, v34
	v_cndmask_b32_e64 v21, v20, v42, s[30:31]
	v_cndmask_b32_e64 v24, v20, v43, s[34:35]
	v_max3_f32 v19, v19, v21, v24
	v_or_b32_e32 v21, 34, v18
	v_or_b32_e32 v24, 35, v18
	v_cmp_gt_i32_e64 s[36:37], s33, v21
	v_cmp_gt_i32_e64 s[38:39], s33, v24
	s_nop 0
	v_cndmask_b32_e64 v21, v20, v38, s[36:37]
	v_cndmask_b32_e64 v24, v20, v39, s[38:39]
	v_max3_f32 v19, v19, v21, v24
	v_or_b32_e32 v21, 48, v18
	v_or_b32_e32 v24, 49, v18
	v_cmp_gt_i32_e64 s[8:9], s33, v21
	v_cmp_gt_i32_e64 s[10:11], s33, v24
	s_nop 0
	v_cndmask_b32_e64 v21, v20, v36, s[8:9]
	v_cndmask_b32_e64 v24, v20, v37, s[10:11]
	v_max3_f32 v19, v19, v21, v24
	v_or_b32_e32 v21, 50, v18
	v_or_b32_e32 v18, 51, v18
	v_cmp_gt_i32_e32 vcc, s33, v21
	v_cmp_gt_i32_e64 s[6:7], s33, v18
	s_nop 0
	v_cndmask_b32_e32 v21, v20, v34, vcc
	v_cndmask_b32_e64 v18, v20, v35, s[6:7]
	v_max3_f32 v24, v19, v21, v18
	v_mbcnt_lo_u32_b32 v18, -1, 0
	v_mbcnt_hi_u32_b32 v25, -1, v18
	v_and_b32_e32 v18, 64, v25
	v_add_u32_e32 v26, 64, v18
	v_xor_b32_e32 v18, 32, v25
	v_cmp_lt_i32_e64 s[40:41], v18, v26
	s_nop 1
	v_cndmask_b32_e64 v18, v25, v18, s[40:41]
	v_lshlrev_b32_e32 v53, 2, v18
	ds_bpermute_b32 v27, v53, v24
	v_mad_i64_i32 v[18:19], s[40:41], v66, s45, v[22:23]
	v_mad_i64_i32 v[20:21], s[40:41], v68, s45, v[22:23]
	s_waitcnt lgkmcnt(0)
	v_max_f32_e32 v27, v27, v27
	v_max_f32_e32 v27, v24, v27
	v_xor_b32_e32 v24, 16, v25
	v_cmp_lt_i32_e64 s[40:41], v24, v26
	s_nop 1
	v_cndmask_b32_e64 v24, v25, v24, s[40:41]
	v_lshlrev_b32_e32 v56, 2, v24
	ds_bpermute_b32 v26, v56, v27
	v_mad_i64_i32 v[24:25], s[40:41], v69, s45, v[22:23]
	v_mad_i64_i32 v[48:49], s[40:41], v70, s45, v[22:23]
	s_waitcnt lgkmcnt(0)
	v_max_f32_e32 v22, v26, v26
	v_max_f32_e32 v46, v27, v22
	v_sub_f32_e32 v22, v31, v46
	global_load_dwordx4 v[30:33], v[18:19], off
	global_load_dwordx4 v[26:29], v[20:21], off
	v_sub_f32_e32 v18, v50, v46
	v_mul_f32_e32 v18, 0x3fb8aa3b, v18
	v_exp_f32_e32 v50, v18
	v_mul_f32_e32 v18, 0x3fb8aa3b, v22
	v_exp_f32_e32 v51, v18
	v_sub_f32_e32 v18, v40, v46
	v_mul_f32_e32 v18, 0x3fb8aa3b, v18
	v_exp_f32_e32 v40, v18
	v_sub_f32_e32 v18, v41, v46
	v_mul_f32_e32 v18, 0x3fb8aa3b, v18
	v_exp_f32_e32 v41, v18
	global_load_dwordx4 v[22:25], v[24:25], off
	s_nop 0
	global_load_dwordx4 v[18:21], v[48:49], off
	v_sub_f32_e32 v42, v42, v46
	v_sub_f32_e32 v38, v38, v46
	v_mul_f32_e32 v42, 0x3fb8aa3b, v42
	v_mul_f32_e32 v38, 0x3fb8aa3b, v38
	v_cndmask_b32_e64 v49, 0, v51, s[16:17]
	v_cndmask_b32_e64 v51, 0, v41, s[20:21]
	v_sub_f32_e32 v41, v47, v46
	v_exp_f32_e32 v42, v42
	v_exp_f32_e32 v47, v38
	v_cndmask_b32_e64 v48, 0, v50, s[4:5]
	v_cndmask_b32_e64 v50, 0, v40, s[18:19]
	v_sub_f32_e32 v40, v52, v46
	v_mul_f32_e32 v40, 0x3fb8aa3b, v40
	v_sub_f32_e32 v38, v39, v46
	v_exp_f32_e32 v40, v40
	v_mul_f32_e32 v41, 0x3fb8aa3b, v41
	v_sub_f32_e32 v44, v44, v46
	v_mul_f32_e32 v38, 0x3fb8aa3b, v38
	v_exp_f32_e32 v41, v41
	v_mul_f32_e32 v44, 0x3fb8aa3b, v44
	v_sub_f32_e32 v45, v45, v46
	v_exp_f32_e32 v52, v38
	v_cndmask_b32_e64 v38, 0, v42, s[30:31]
	v_cndmask_b32_e64 v42, 0, v47, s[36:37]
	v_add_f32_e32 v47, 0, v48
	v_exp_f32_e32 v44, v44
	v_mul_f32_e32 v45, 0x3fb8aa3b, v45
	v_add_f32_e32 v47, v47, v49
	v_exp_f32_e32 v45, v45
	v_sub_f32_e32 v43, v43, v46
	v_add_f32_e32 v47, v47, v50
	v_cndmask_b32_e64 v40, 0, v40, s[22:23]
	v_mul_f32_e32 v43, 0x3fb8aa3b, v43
	v_add_f32_e32 v47, v47, v51
	v_cndmask_b32_e64 v41, 0, v41, s[24:25]
	v_exp_f32_e32 v43, v43
	v_add_f32_e32 v47, v47, v40
	v_cndmask_b32_e64 v44, 0, v44, s[26:27]
	v_add_f32_e32 v47, v47, v41
	v_sub_f32_e32 v36, v36, v46
	v_cndmask_b32_e64 v45, 0, v45, s[28:29]
	v_add_f32_e32 v47, v47, v44
	v_mul_f32_e32 v36, 0x3fb8aa3b, v36
	v_sub_f32_e32 v37, v37, v46
	v_add_f32_e32 v47, v47, v45
	v_exp_f32_e32 v36, v36
	v_mul_f32_e32 v37, 0x3fb8aa3b, v37
	v_sub_f32_e32 v34, v34, v46
	v_cndmask_b32_e64 v39, 0, v43, s[34:35]
	v_add_f32_e32 v47, v47, v38
	v_exp_f32_e32 v37, v37
	v_mul_f32_e32 v34, 0x3fb8aa3b, v34
	v_sub_f32_e32 v35, v35, v46
	v_add_f32_e32 v47, v47, v39
	v_exp_f32_e32 v34, v34
	v_mul_f32_e32 v35, 0x3fb8aa3b, v35
	v_cndmask_b32_e64 v43, 0, v52, s[38:39]
	v_add_f32_e32 v47, v47, v42
	v_exp_f32_e32 v35, v35
	v_add_f32_e32 v47, v47, v43
	v_cndmask_b32_e64 v36, 0, v36, s[8:9]
	v_add_f32_e32 v47, v47, v36
	v_cndmask_b32_e64 v37, 0, v37, s[10:11]
	v_add_f32_e32 v47, v47, v37
	v_cndmask_b32_e32 v34, 0, v34, vcc
	v_add_f32_e32 v47, v47, v34
	v_cndmask_b32_e64 v35, 0, v35, s[6:7]
	v_add_f32_e32 v47, v47, v35
	ds_bpermute_b32 v52, v53, v47
	v_cmp_gt_u32_e32 vcc, 16, v55
	s_waitcnt lgkmcnt(0)
	s_barrier
	v_add_f32_e32 v47, v47, v52
	ds_bpermute_b32 v52, v56, v47
	s_and_saveexec_b64 s[4:5], vcc
	s_cbranch_execz .LBB987_15
; %bb.14:
	s_waitcnt lgkmcnt(0)
	v_add_f32_e32 v47, v47, v52
	v_lshlrev_b32_e32 v52, 2, v67
	ds_write2st64_b32 v52, v46, v47 offset1:1
.LBB987_15:
	s_or_b64 exec, exec, s[4:5]
	v_lshlrev_b32_e32 v47, 2, v60
	s_load_dword s6, s[0:1], 0x94
	s_waitcnt lgkmcnt(0)
	s_barrier
	ds_read2_b32 v[52:53], v47 offset1:16
	ds_read2_b32 v[56:57], v47 offset0:32 offset1:48
	ds_read2_b32 v[58:59], v47 offset0:64 offset1:80
	s_lshl_b32 s7, s44, 2
	s_waitcnt lgkmcnt(2)
	v_max3_f32 v46, v52, s46, v53
	s_waitcnt lgkmcnt(1)
	v_max3_f32 v46, v46, v56, v57
	v_sub_f32_e32 v52, v52, v46
	v_mul_f32_e32 v52, 0x3fb8aa3b, v52
	v_exp_f32_e32 v55, v52
	v_sub_f32_e32 v52, v53, v46
	v_mul_f32_e32 v52, 0x3fb8aa3b, v52
	v_exp_f32_e32 v65, v52
	;; [unrolled: 3-line block ×3, first 2 shown]
	ds_read2_b32 v[52:53], v47 offset0:96 offset1:112
	v_sub_f32_e32 v47, v57, v46
	v_mul_f32_e32 v47, 0x3fb8aa3b, v47
	v_exp_f32_e32 v57, v47
	s_waitcnt lgkmcnt(1)
	v_fma_f32 v47, v55, v58, 0
	v_fmac_f32_e32 v47, v65, v59
	s_waitcnt lgkmcnt(0)
	v_fmac_f32_e32 v47, v56, v52
	v_fmac_f32_e32 v47, v57, v53
	v_add_f32_e32 v52, 0x358637bd, v47
	v_div_scale_f32 v53, s[4:5], v52, v52, 1.0
	v_rcp_f32_e32 v58, v53
	s_barrier
	v_fma_f32 v59, -v53, v58, 1.0
	v_fmac_f32_e32 v58, v59, v58
	v_div_scale_f32 v59, vcc, 1.0, v52, 1.0
	v_mul_f32_e32 v66, v59, v58
	v_fma_f32 v67, -v53, v66, v59
	v_fmac_f32_e32 v66, v67, v58
	v_fma_f32 v53, -v53, v66, v59
	v_div_fmas_f32 v53, v53, v58, v66
	v_cmp_eq_u32_e32 vcc, 1, v64
	v_div_fixup_f32 v52, v53, v52, 1.0
	s_nop 0
	v_cndmask_b32_e32 v53, v55, v65, vcc
	v_cmp_eq_u32_e32 vcc, 2, v64
	s_nop 1
	v_cndmask_b32_e32 v53, v53, v56, vcc
	v_cmp_eq_u32_e32 vcc, 3, v64
	s_nop 1
	v_cndmask_b32_e32 v53, v53, v57, vcc
	v_mul_f32_e32 v52, v53, v52
	v_pk_mul_f32 v[50:51], v[52:53], v[50:51] op_sel_hi:[0,1]
	v_pk_mul_f32 v[48:49], v[52:53], v[48:49] op_sel_hi:[0,1]
	v_cvt_f16_f32_e32 v53, v50
	v_cvt_f16_f32_e32 v48, v48
	;; [unrolled: 1-line block ×4, first 2 shown]
	v_pk_mul_f32 v[44:45], v[52:53], v[44:45] op_sel_hi:[0,1]
	v_pk_mul_f32 v[40:41], v[52:53], v[40:41] op_sel_hi:[0,1]
	v_cvt_f16_f32_e32 v40, v40
	v_cvt_f16_f32_e32 v41, v41
	;; [unrolled: 1-line block ×4, first 2 shown]
	v_pack_b32_f16 v50, v48, v49
	v_pack_b32_f16 v51, v53, v51
	v_lshlrev_b32_e32 v49, 3, v63
	v_lshlrev_b32_e32 v48, 5, v60
	;; [unrolled: 1-line block ×3, first 2 shown]
	v_or3_b32 v55, v53, v48, v49
	v_pack_b32_f16 v40, v40, v41
	v_pack_b32_f16 v41, v44, v45
	ds_write2st64_b64 v55, v[50:51], v[40:41] offset1:1
	v_pk_mul_f32 v[40:41], v[52:53], v[42:43] op_sel_hi:[0,1]
	v_pk_mul_f32 v[38:39], v[52:53], v[38:39] op_sel_hi:[0,1]
	;; [unrolled: 1-line block ×4, first 2 shown]
	v_cvt_f16_f32_e32 v38, v38
	v_cvt_f16_f32_e32 v39, v39
	;; [unrolled: 1-line block ×8, first 2 shown]
	v_pack_b32_f16 v34, v38, v39
	v_pack_b32_f16 v35, v40, v41
	;; [unrolled: 1-line block ×4, first 2 shown]
	v_cmp_gt_u32_e32 vcc, 4, v0
	ds_write2st64_b64 v55, v[34:35], v[36:37] offset0:2 offset1:3
	s_and_saveexec_b64 s[4:5], vcc
	s_cbranch_execz .LBB987_17
; %bb.16:
	v_or_b32_e32 v34, s13, v0
	v_mov_b32_e32 v35, 0
	v_mov_b32_e32 v36, s7
	v_mad_u64_u32 v[36:37], s[16:17], s2, v36, v[34:35]
	v_mov_b32_e32 v34, s12
	s_load_dwordx4 s[8:11], s[0:1], 0x58
	s_mul_i32 s3, s3, s7
	v_mad_u64_u32 v[34:35], s[16:17], v36, s6, v[34:35]
	v_add_u32_e32 v37, s3, v37
	v_mov_b32_e32 v36, v35
	v_mad_u64_u32 v[36:37], s[16:17], v37, s6, v[36:37]
	v_mov_b32_e32 v35, v36
	v_lshlrev_b64 v[34:35], 2, v[34:35]
	s_waitcnt lgkmcnt(0)
	v_lshl_add_u64 v[36:37], s[10:11], 0, v[34:35]
	v_lshl_add_u64 v[34:35], s[8:9], 0, v[34:35]
	global_store_dword v[36:37], v46, off
	global_store_dword v[34:35], v47, off
.LBB987_17:
	s_or_b64 exec, exec, s[4:5]
	s_waitcnt vmcnt(7)
	v_cvt_pk_f32_fp8_e32 v[34:35], v14
	v_cvt_pk_f32_fp8_sdwa v[36:37], v14 src0_sel:WORD_1
	v_lshl_or_b32 v50, v63, 9, v48
	s_waitcnt lgkmcnt(0)
	s_barrier
	v_cvt_pk_f32_fp8_e32 v[38:39], v15
	v_cvt_pkrtz_f16_f32 v14, v34, v35
	v_cvt_pk_f32_fp8_sdwa v[40:41], v15 src0_sel:WORD_1
	v_cvt_pkrtz_f16_f32 v15, v36, v37
	ds_read_b128 v[34:37], v50
	v_cvt_pkrtz_f16_f32 v46, v38, v39
	v_cvt_pkrtz_f16_f32 v47, v40, v41
	ds_read_b128 v[38:41], v50 offset:16
	v_cvt_pk_f32_fp8_e32 v[48:49], v16
	v_cvt_pk_f32_fp8_sdwa v[52:53], v16 src0_sel:WORD_1
	s_waitcnt lgkmcnt(1)
	v_mfma_f32_16x16x16_f16 v[42:45], v[14:15], v[34:35], 0
	s_waitcnt vmcnt(6)
	v_cvt_pk_f32_fp8_e32 v[56:57], v12
	v_cvt_pkrtz_f16_f32 v14, v48, v49
	v_cvt_pkrtz_f16_f32 v15, v52, v53
	v_cvt_pk_f32_fp8_e32 v[48:49], v17
	v_mfma_f32_16x16x16_f16 v[42:45], v[46:47], v[36:37], v[42:45]
	v_cvt_pk_f32_fp8_sdwa v[46:47], v17 src0_sel:WORD_1
	v_cvt_pk_f32_fp8_sdwa v[58:59], v12 src0_sel:WORD_1
	v_cvt_pkrtz_f16_f32 v48, v48, v49
	s_waitcnt lgkmcnt(0)
	v_mfma_f32_16x16x16_f16 v[14:17], v[14:15], v[38:39], v[42:45]
	v_cvt_pkrtz_f16_f32 v49, v46, v47
	s_waitcnt vmcnt(5)
	v_cvt_pk_f32_fp8_e32 v[64:65], v8
	v_cvt_pk_f32_fp8_sdwa v[66:67], v8 src0_sel:WORD_1
	v_cvt_pk_f32_fp8_e32 v[42:43], v10
	v_mfma_f32_16x16x16_f16 v[46:49], v[48:49], v[40:41], v[14:17]
	s_waitcnt vmcnt(4)
	v_cvt_pk_f32_fp8_sdwa v[68:69], v4 src0_sel:WORD_1
	s_load_dword s4, s[42:43], 0x0
	v_cvt_pk_f32_fp8_sdwa v[14:15], v10 src0_sel:WORD_1
	v_cvt_pk_f32_fp8_e32 v[16:17], v11
	v_cvt_pkrtz_f16_f32 v10, v42, v43
	v_cvt_pk_f32_fp8_sdwa v[42:43], v11 src0_sel:WORD_1
	v_cvt_pkrtz_f16_f32 v11, v14, v15
	v_cvt_pkrtz_f16_f32 v52, v16, v17
	ds_read_b128 v[14:17], v50 offset:2048
	v_cvt_pkrtz_f16_f32 v53, v42, v43
	ds_read_b128 v[42:45], v50 offset:2064
	s_waitcnt lgkmcnt(0)
	v_mfma_f32_16x16x16_f16 v[46:49], v[10:11], v[14:15], v[46:49]
	v_cvt_pkrtz_f16_f32 v10, v56, v57
	v_cvt_pkrtz_f16_f32 v11, v58, v59
	v_cvt_pk_f32_fp8_e32 v[56:57], v13
	v_mfma_f32_16x16x16_f16 v[46:49], v[52:53], v[16:17], v[46:49]
	v_cvt_pk_f32_fp8_sdwa v[52:53], v13 src0_sel:WORD_1
	s_mov_b32 s3, 0
	v_cvt_pkrtz_f16_f32 v56, v56, v57
	v_mfma_f32_16x16x16_f16 v[10:13], v[10:11], v[42:43], v[46:49]
	v_cvt_pkrtz_f16_f32 v57, v52, v53
	s_nop 1
	v_cvt_pk_f32_fp8_e32 v[46:47], v6
	v_mfma_f32_16x16x16_f16 v[56:59], v[56:57], v[44:45], v[10:13]
	s_nop 2
	v_cvt_pk_f32_fp8_sdwa v[10:11], v6 src0_sel:WORD_1
	v_cvt_pk_f32_fp8_e32 v[12:13], v7
	v_cvt_pkrtz_f16_f32 v6, v46, v47
	v_cvt_pk_f32_fp8_sdwa v[46:47], v7 src0_sel:WORD_1
	v_cvt_pkrtz_f16_f32 v7, v10, v11
	v_cvt_pkrtz_f16_f32 v52, v12, v13
	ds_read_b128 v[10:13], v50 offset:4096
	v_cvt_pkrtz_f16_f32 v53, v46, v47
	ds_read_b128 v[46:49], v50 offset:4112
	s_waitcnt lgkmcnt(1)
	v_mfma_f32_16x16x16_f16 v[56:59], v[6:7], v[10:11], v[56:59]
	v_cvt_pkrtz_f16_f32 v6, v64, v65
	v_cvt_pkrtz_f16_f32 v7, v66, v67
	v_cvt_pk_f32_fp8_e32 v[64:65], v9
	v_mfma_f32_16x16x16_f16 v[56:59], v[52:53], v[12:13], v[56:59]
	v_cvt_pk_f32_fp8_sdwa v[52:53], v9 src0_sel:WORD_1
	v_cvt_pk_f32_fp8_e32 v[66:67], v4
	v_cvt_pkrtz_f16_f32 v64, v64, v65
	s_waitcnt lgkmcnt(0)
	v_mfma_f32_16x16x16_f16 v[6:9], v[6:7], v[46:47], v[56:59]
	v_cvt_pkrtz_f16_f32 v65, v52, v53
	v_cvt_pk_f32_fp8_e32 v[52:53], v2
	s_nop 0
	v_mfma_f32_16x16x16_f16 v[56:59], v[64:65], v[48:49], v[6:9]
	s_nop 2
	v_cvt_pk_f32_fp8_sdwa v[6:7], v2 src0_sel:WORD_1
	v_cvt_pk_f32_fp8_e32 v[8:9], v3
	v_cvt_pkrtz_f16_f32 v2, v52, v53
	v_cvt_pk_f32_fp8_sdwa v[52:53], v3 src0_sel:WORD_1
	v_cvt_pkrtz_f16_f32 v3, v6, v7
	v_cvt_pkrtz_f16_f32 v64, v8, v9
	ds_read_b128 v[6:9], v50 offset:6144
	v_cvt_pkrtz_f16_f32 v65, v52, v53
	s_waitcnt lgkmcnt(0)
	v_mfma_f32_16x16x16_f16 v[56:59], v[2:3], v[6:7], v[56:59]
	ds_read_b128 v[50:53], v50 offset:6160
	v_cvt_pkrtz_f16_f32 v2, v66, v67
	v_cvt_pkrtz_f16_f32 v3, v68, v69
	v_mfma_f32_16x16x16_f16 v[56:59], v[64:65], v[8:9], v[56:59]
	v_cvt_pk_f32_fp8_e32 v[66:67], v5
	v_cvt_pk_f32_fp8_sdwa v[64:65], v5 src0_sel:WORD_1
	s_waitcnt vmcnt(3)
	v_cvt_pk_f32_fp8_sdwa v[68:69], v32 src0_sel:WORD_1
	s_waitcnt lgkmcnt(0)
	v_mfma_f32_16x16x16_f16 v[2:5], v[2:3], v[50:51], v[56:59]
	v_cvt_pkrtz_f16_f32 v66, v66, v67
	v_cvt_pkrtz_f16_f32 v67, v64, v65
	v_cvt_pk_f32_fp8_e32 v[64:65], v31
	v_cvt_pk_f32_fp8_e32 v[56:57], v30
	v_cvt_pk_f32_fp8_sdwa v[58:59], v30 src0_sel:WORD_1
	v_cvt_pk_f32_fp8_sdwa v[30:31], v31 src0_sel:WORD_1
	v_mfma_f32_16x16x16_f16 v[2:5], v[66:67], v[52:53], v[2:5]
	v_cvt_pkrtz_f16_f32 v56, v56, v57
	v_cvt_pkrtz_f16_f32 v57, v58, v59
	;; [unrolled: 1-line block ×3, first 2 shown]
	v_cvt_pk_f32_fp8_e32 v[66:67], v32
	v_cvt_pkrtz_f16_f32 v65, v30, v31
	v_mfma_f32_16x16x16_f16 v[56:59], v[56:57], v[34:35], 0
	v_cvt_pkrtz_f16_f32 v30, v66, v67
	v_cvt_pkrtz_f16_f32 v31, v68, v69
	v_cvt_pk_f32_fp8_e32 v[66:67], v33
	v_mfma_f32_16x16x16_f16 v[34:37], v[64:65], v[36:37], v[56:59]
	s_barrier
	s_nop 1
	v_cvt_pk_f32_fp8_sdwa v[56:57], v33 src0_sel:WORD_1
	v_cvt_pkrtz_f16_f32 v58, v66, v67
	v_mfma_f32_16x16x16_f16 v[30:33], v[30:31], v[38:39], v[34:37]
	s_waitcnt vmcnt(2)
	v_cvt_pk_f32_fp8_e32 v[38:39], v27
	v_cvt_pkrtz_f16_f32 v59, v56, v57
	v_cvt_pk_f32_fp8_e32 v[34:35], v26
	v_cvt_pk_f32_fp8_sdwa v[36:37], v26 src0_sel:WORD_1
	v_cvt_pk_f32_fp8_sdwa v[26:27], v27 src0_sel:WORD_1
	v_mfma_f32_16x16x16_f16 v[30:33], v[58:59], v[40:41], v[30:33]
	v_cvt_pkrtz_f16_f32 v34, v34, v35
	v_cvt_pkrtz_f16_f32 v35, v36, v37
	;; [unrolled: 1-line block ×3, first 2 shown]
	v_cvt_pk_f32_fp8_e32 v[38:39], v28
	v_cvt_pk_f32_fp8_sdwa v[40:41], v28 src0_sel:WORD_1
	v_cvt_pkrtz_f16_f32 v37, v26, v27
	v_mfma_f32_16x16x16_f16 v[30:33], v[34:35], v[14:15], v[30:33]
	v_cvt_pkrtz_f16_f32 v26, v38, v39
	v_cvt_pkrtz_f16_f32 v27, v40, v41
	v_cvt_pk_f32_fp8_e32 v[34:35], v29
	v_cvt_pk_f32_fp8_sdwa v[28:29], v29 src0_sel:WORD_1
	v_mfma_f32_16x16x16_f16 v[14:17], v[36:37], v[16:17], v[30:33]
	s_nop 2
	v_cvt_pkrtz_f16_f32 v30, v34, v35
	v_cvt_pkrtz_f16_f32 v31, v28, v29
	v_mfma_f32_16x16x16_f16 v[14:17], v[26:27], v[42:43], v[14:17]
	s_waitcnt vmcnt(1)
	v_cvt_pk_f32_fp8_e32 v[26:27], v22
	v_cvt_pk_f32_fp8_sdwa v[28:29], v22 src0_sel:WORD_1
	v_cvt_pk_f32_fp8_sdwa v[32:33], v24 src0_sel:WORD_1
	v_mfma_f32_16x16x16_f16 v[14:17], v[30:31], v[44:45], v[14:17]
	v_cvt_pk_f32_fp8_e32 v[30:31], v23
	v_cvt_pkrtz_f16_f32 v26, v26, v27
	v_cvt_pkrtz_f16_f32 v27, v28, v29
	v_cvt_pk_f32_fp8_sdwa v[22:23], v23 src0_sel:WORD_1
	v_cvt_pkrtz_f16_f32 v28, v30, v31
	v_cvt_pk_f32_fp8_e32 v[30:31], v24
	v_mfma_f32_16x16x16_f16 v[14:17], v[26:27], v[10:11], v[14:17]
	v_cvt_pkrtz_f16_f32 v29, v22, v23
	v_cvt_pkrtz_f16_f32 v22, v30, v31
	;; [unrolled: 1-line block ×3, first 2 shown]
	v_cvt_pk_f32_fp8_e32 v[26:27], v25
	v_cvt_pk_f32_fp8_sdwa v[24:25], v25 src0_sel:WORD_1
	v_mfma_f32_16x16x16_f16 v[10:13], v[28:29], v[12:13], v[14:17]
	s_nop 2
	v_pk_mul_f32 v[14:15], v[4:5], s[4:5] op_sel_hi:[1,0]
	v_cvt_pkrtz_f16_f32 v4, v26, v27
	v_cvt_pkrtz_f16_f32 v5, v24, v25
	v_mfma_f32_16x16x16_f16 v[10:13], v[22:23], v[46:47], v[10:13]
	s_waitcnt vmcnt(0)
	v_cvt_pk_f32_fp8_e32 v[22:23], v18
	v_cvt_pk_f32_fp8_sdwa v[24:25], v18 src0_sel:WORD_1
	v_pk_mul_f32 v[16:17], v[2:3], s[4:5] op_sel_hi:[1,0]
	v_mfma_f32_16x16x16_f16 v[2:5], v[4:5], v[48:49], v[10:13]
	s_nop 2
	v_cvt_pk_f32_fp8_e32 v[10:11], v19
	v_cvt_pkrtz_f16_f32 v12, v22, v23
	v_cvt_pkrtz_f16_f32 v13, v24, v25
	v_cvt_pk_f32_fp8_sdwa v[18:19], v19 src0_sel:WORD_1
	v_cvt_pkrtz_f16_f32 v10, v10, v11
	v_cvt_pk_f32_fp8_e32 v[22:23], v20
	v_cvt_pk_f32_fp8_sdwa v[24:25], v20 src0_sel:WORD_1
	v_cvt_pkrtz_f16_f32 v11, v18, v19
	v_mfma_f32_16x16x16_f16 v[2:5], v[12:13], v[6:7], v[2:5]
	v_cvt_pkrtz_f16_f32 v6, v22, v23
	v_cvt_pkrtz_f16_f32 v7, v24, v25
	v_cvt_pk_f32_fp8_e32 v[12:13], v21
	v_cvt_pk_f32_fp8_sdwa v[18:19], v21 src0_sel:WORD_1
	v_mfma_f32_16x16x16_f16 v[2:5], v[10:11], v[8:9], v[2:5]
	v_cvt_f16_f32_e32 v10, v16
	v_cvt_pkrtz_f16_f32 v8, v12, v13
	v_cvt_pkrtz_f16_f32 v9, v18, v19
	v_mfma_f32_16x16x16_f16 v[2:5], v[6:7], v[50:51], v[2:5]
	v_cvt_f16_f32_e32 v6, v17
	v_cvt_f16_f32_e32 v7, v14
	;; [unrolled: 1-line block ×3, first 2 shown]
	v_mfma_f32_16x16x16_f16 v[2:5], v[8:9], v[52:53], v[2:5]
	s_nop 6
	v_pk_mul_f32 v[4:5], v[4:5], s[4:5] op_sel_hi:[1,0]
	v_pk_mul_f32 v[2:3], v[2:3], s[4:5] op_sel_hi:[1,0]
	v_cvt_f16_f32_e32 v12, v4
	v_cvt_f16_f32_e32 v8, v2
	;; [unrolled: 1-line block ×4, first 2 shown]
	v_pack_b32_f16 v2, v10, v6
	v_pack_b32_f16 v3, v7, v11
	;; [unrolled: 1-line block ×4, first 2 shown]
	ds_write2st64_b64 v55, v[2:3], v[4:5] offset1:1
	s_waitcnt lgkmcnt(0)
	s_barrier
	s_and_saveexec_b64 s[4:5], s[14:15]
	s_cbranch_execz .LBB987_19
; %bb.18:
	s_load_dwordx2 s[0:1], s[0:1], 0x68
	s_lshl_b32 s6, s6, 7
	s_mul_i32 s2, s7, s2
	v_lshlrev_b32_e32 v3, 6, v60
	s_mul_hi_u32 s5, s2, s6
	s_mul_i32 s4, s2, s6
	v_lshl_or_b32 v0, v0, 10, v3
	s_lshl_b64 s[4:5], s[4:5], 1
	v_and_b32_e32 v2, 16, v62
	v_and_b32_e32 v0, 0x1a00, v0
	s_waitcnt lgkmcnt(0)
	s_add_u32 s4, s0, s4
	v_or3_b32 v0, v0, v61, v2
	s_addc_u32 s5, s1, s5
	s_lshl_b32 s2, s12, 7
	ds_read_b128 v[2:5], v0
	s_lshl_b64 s[0:1], s[2:3], 1
	s_add_u32 s0, s4, s0
	s_addc_u32 s1, s5, s1
	v_mad_u64_u32 v[0:1], s[2:3], s6, v1, 0
	v_lshl_add_u64 v[0:1], v[0:1], 1, s[0:1]
	v_mov_b32_e32 v55, 0
	v_lshl_add_u64 v[0:1], v[0:1], 0, v[54:55]
	s_waitcnt lgkmcnt(0)
	global_store_dwordx4 v[0:1], v[2:5], off
.LBB987_19:
	s_endpgm
	.section	.rodata,"a",@progbits
	.p2align	6, 0x0
	.amdhsa_kernel _Z39paged_attention_ll4mi_QKV_mfma16_kernelIDF16_hLN4vllm18Fp8KVCacheDataTypeE1EDF16_Li16ELi128ELi256ELb1ELi4EEvPKT_PKT0_S7_ifPKiS9_S9_iPKfiiiPfSC_PS2_PT2_iSB_SB_
		.amdhsa_group_segment_fixed_size 8192
		.amdhsa_private_segment_fixed_size 0
		.amdhsa_kernarg_size 400
		.amdhsa_user_sgpr_count 2
		.amdhsa_user_sgpr_dispatch_ptr 0
		.amdhsa_user_sgpr_queue_ptr 0
		.amdhsa_user_sgpr_kernarg_segment_ptr 1
		.amdhsa_user_sgpr_dispatch_id 0
		.amdhsa_user_sgpr_kernarg_preload_length 0
		.amdhsa_user_sgpr_kernarg_preload_offset 0
		.amdhsa_user_sgpr_private_segment_size 0
		.amdhsa_uses_dynamic_stack 0
		.amdhsa_enable_private_segment 0
		.amdhsa_system_sgpr_workgroup_id_x 1
		.amdhsa_system_sgpr_workgroup_id_y 1
		.amdhsa_system_sgpr_workgroup_id_z 1
		.amdhsa_system_sgpr_workgroup_info 0
		.amdhsa_system_vgpr_workitem_id 0
		.amdhsa_next_free_vgpr 82
		.amdhsa_next_free_sgpr 48
		.amdhsa_accum_offset 84
		.amdhsa_reserve_vcc 1
		.amdhsa_float_round_mode_32 0
		.amdhsa_float_round_mode_16_64 0
		.amdhsa_float_denorm_mode_32 3
		.amdhsa_float_denorm_mode_16_64 3
		.amdhsa_dx10_clamp 1
		.amdhsa_ieee_mode 1
		.amdhsa_fp16_overflow 0
		.amdhsa_tg_split 0
		.amdhsa_exception_fp_ieee_invalid_op 0
		.amdhsa_exception_fp_denorm_src 0
		.amdhsa_exception_fp_ieee_div_zero 0
		.amdhsa_exception_fp_ieee_overflow 0
		.amdhsa_exception_fp_ieee_underflow 0
		.amdhsa_exception_fp_ieee_inexact 0
		.amdhsa_exception_int_div_zero 0
	.end_amdhsa_kernel
	.section	.text._Z39paged_attention_ll4mi_QKV_mfma16_kernelIDF16_hLN4vllm18Fp8KVCacheDataTypeE1EDF16_Li16ELi128ELi256ELb1ELi4EEvPKT_PKT0_S7_ifPKiS9_S9_iPKfiiiPfSC_PS2_PT2_iSB_SB_,"axG",@progbits,_Z39paged_attention_ll4mi_QKV_mfma16_kernelIDF16_hLN4vllm18Fp8KVCacheDataTypeE1EDF16_Li16ELi128ELi256ELb1ELi4EEvPKT_PKT0_S7_ifPKiS9_S9_iPKfiiiPfSC_PS2_PT2_iSB_SB_,comdat
.Lfunc_end987:
	.size	_Z39paged_attention_ll4mi_QKV_mfma16_kernelIDF16_hLN4vllm18Fp8KVCacheDataTypeE1EDF16_Li16ELi128ELi256ELb1ELi4EEvPKT_PKT0_S7_ifPKiS9_S9_iPKfiiiPfSC_PS2_PT2_iSB_SB_, .Lfunc_end987-_Z39paged_attention_ll4mi_QKV_mfma16_kernelIDF16_hLN4vllm18Fp8KVCacheDataTypeE1EDF16_Li16ELi128ELi256ELb1ELi4EEvPKT_PKT0_S7_ifPKiS9_S9_iPKfiiiPfSC_PS2_PT2_iSB_SB_
                                        ; -- End function
	.section	.AMDGPU.csdata,"",@progbits
; Kernel info:
; codeLenInByte = 6188
; NumSgprs: 54
; NumVgprs: 82
; NumAgprs: 0
; TotalNumVgprs: 82
; ScratchSize: 0
; MemoryBound: 0
; FloatMode: 240
; IeeeMode: 1
; LDSByteSize: 8192 bytes/workgroup (compile time only)
; SGPRBlocks: 6
; VGPRBlocks: 10
; NumSGPRsForWavesPerEU: 54
; NumVGPRsForWavesPerEU: 82
; AccumOffset: 84
; Occupancy: 5
; WaveLimiterHint : 1
; COMPUTE_PGM_RSRC2:SCRATCH_EN: 0
; COMPUTE_PGM_RSRC2:USER_SGPR: 2
; COMPUTE_PGM_RSRC2:TRAP_HANDLER: 0
; COMPUTE_PGM_RSRC2:TGID_X_EN: 1
; COMPUTE_PGM_RSRC2:TGID_Y_EN: 1
; COMPUTE_PGM_RSRC2:TGID_Z_EN: 1
; COMPUTE_PGM_RSRC2:TIDIG_COMP_CNT: 0
; COMPUTE_PGM_RSRC3_GFX90A:ACCUM_OFFSET: 20
; COMPUTE_PGM_RSRC3_GFX90A:TG_SPLIT: 0
	.section	.text._Z38paged_attention_ll4mi_QKV_mfma4_kernelIDF16_hLN4vllm18Fp8KVCacheDataTypeE1EDF16_Li16ELi128ELi256ELb0ELi1EEvPKT_PKT0_S7_ifPKiS9_S9_iPKfiiiPfSC_PS2_PT2_iSB_SB_,"axG",@progbits,_Z38paged_attention_ll4mi_QKV_mfma4_kernelIDF16_hLN4vllm18Fp8KVCacheDataTypeE1EDF16_Li16ELi128ELi256ELb0ELi1EEvPKT_PKT0_S7_ifPKiS9_S9_iPKfiiiPfSC_PS2_PT2_iSB_SB_,comdat
	.protected	_Z38paged_attention_ll4mi_QKV_mfma4_kernelIDF16_hLN4vllm18Fp8KVCacheDataTypeE1EDF16_Li16ELi128ELi256ELb0ELi1EEvPKT_PKT0_S7_ifPKiS9_S9_iPKfiiiPfSC_PS2_PT2_iSB_SB_ ; -- Begin function _Z38paged_attention_ll4mi_QKV_mfma4_kernelIDF16_hLN4vllm18Fp8KVCacheDataTypeE1EDF16_Li16ELi128ELi256ELb0ELi1EEvPKT_PKT0_S7_ifPKiS9_S9_iPKfiiiPfSC_PS2_PT2_iSB_SB_
	.globl	_Z38paged_attention_ll4mi_QKV_mfma4_kernelIDF16_hLN4vllm18Fp8KVCacheDataTypeE1EDF16_Li16ELi128ELi256ELb0ELi1EEvPKT_PKT0_S7_ifPKiS9_S9_iPKfiiiPfSC_PS2_PT2_iSB_SB_
	.p2align	8
	.type	_Z38paged_attention_ll4mi_QKV_mfma4_kernelIDF16_hLN4vllm18Fp8KVCacheDataTypeE1EDF16_Li16ELi128ELi256ELb0ELi1EEvPKT_PKT0_S7_ifPKiS9_S9_iPKfiiiPfSC_PS2_PT2_iSB_SB_,@function
_Z38paged_attention_ll4mi_QKV_mfma4_kernelIDF16_hLN4vllm18Fp8KVCacheDataTypeE1EDF16_Li16ELi128ELi256ELb0ELi1EEvPKT_PKT0_S7_ifPKiS9_S9_iPKfiiiPfSC_PS2_PT2_iSB_SB_: ; @_Z38paged_attention_ll4mi_QKV_mfma4_kernelIDF16_hLN4vllm18Fp8KVCacheDataTypeE1EDF16_Li16ELi128ELi256ELb0ELi1EEvPKT_PKT0_S7_ifPKiS9_S9_iPKfiiiPfSC_PS2_PT2_iSB_SB_
; %bb.0:
	s_load_dwordx2 s[20:21], s[0:1], 0x30
	s_mov_b32 s24, s3
	s_mov_b64 s[6:7], 0
	s_waitcnt lgkmcnt(0)
	s_cmp_lg_u64 s[20:21], 0
	s_cselect_b64 s[22:23], -1, 0
	s_and_b64 vcc, exec, s[22:23]
	s_cbranch_vccz .LBB988_10
; %bb.1:
	s_add_i32 s8, s2, 1
	s_mov_b32 s9, 0
	s_lshl_b64 s[10:11], s[8:9], 2
	s_add_u32 s10, s20, s10
	s_mov_b32 s3, s9
	s_addc_u32 s11, s21, s11
	s_lshl_b64 s[8:9], s[2:3], 2
	s_add_u32 s8, s20, s8
	s_addc_u32 s9, s21, s9
	s_load_dword s5, s[10:11], 0x0
	s_load_dword s12, s[8:9], 0x0
	s_waitcnt lgkmcnt(0)
	s_sub_i32 s5, s5, s12
	s_cmp_eq_u32 s5, 1
	s_cselect_b64 s[8:9], -1, 0
	s_andn2_b64 vcc, exec, s[6:7]
	s_cbranch_vccnz .LBB988_3
.LBB988_2:
	s_mov_b32 s3, 0
	s_mov_b64 s[8:9], -1
.LBB988_3:
	s_andn2_b64 vcc, exec, s[8:9]
	s_cbranch_vccnz .LBB988_25
; %bb.4:
	s_load_dword s5, s[0:1], 0x9c
	s_load_dwordx2 s[6:7], s[0:1], 0x28
	s_add_u32 s28, s0, 0x90
	s_addc_u32 s29, s1, 0
	s_lshl_b64 s[34:35], s[2:3], 2
	s_waitcnt lgkmcnt(0)
	s_and_b32 s5, s5, 0xffff
	s_add_u32 s6, s6, s34
	s_addc_u32 s7, s7, s35
	s_load_dword s3, s[6:7], 0x0
	s_mul_i32 s10, s24, s5
	s_waitcnt lgkmcnt(0)
	s_cmp_ge_i32 s10, s3
	s_cbranch_scc1 .LBB988_25
; %bb.5:
	v_and_b32_e32 v1, 0xc0, v0
	v_add_u32_e32 v4, s10, v1
	v_lshrrev_b32_e32 v38, 6, v0
	v_cmp_le_i32_e64 s[6:7], s3, v4
                                        ; implicit-def: $sgpr25
                                        ; implicit-def: $sgpr11
	s_and_saveexec_b64 s[8:9], s[6:7]
	s_xor_b64 s[8:9], exec, s[8:9]
	s_cbranch_execz .LBB988_7
; %bb.6:
	v_mul_u32_u24_e32 v1, 20, v38
	v_or_b32_e32 v1, 0x1400, v1
	v_mov_b32_e32 v2, 0x1450
	v_mov_b32_e32 v3, 0xff7fffff
	v_mad_u32_u24 v2, v38, 20, v2
	ds_write2_b32 v1, v3, v3 offset1:1
	v_mov_b32_e32 v1, 0
	ds_write2_b32 v2, v1, v1 offset1:1
	v_mov_b32_e32 v2, 0x1408
	v_mov_b32_e32 v4, 0x1458
	s_mov_b32 s11, 0xff7fffff
	s_mov_b32 s25, 0
	v_mad_u32_u24 v2, v38, 20, v2
	v_mad_u32_u24 v4, v38, 20, v4
	ds_write2_b32 v2, v3, v3 offset1:1
	ds_write2_b32 v4, v1, v1 offset1:1
                                        ; implicit-def: $vgpr4
.LBB988_7:
	s_or_saveexec_b64 s[30:31], s[8:9]
	s_load_dwordx2 s[26:27], s[0:1], 0x68
	s_load_dwordx4 s[16:19], s[0:1], 0x58
	s_load_dword s5, s[28:29], 0x4
	s_load_dwordx4 s[12:15], s[0:1], 0x80
	v_and_b32_e32 v1, 63, v0
	v_and_b32_e32 v39, 3, v0
	v_mov_b32_e32 v37, s25
	v_mov_b32_e32 v40, s11
	;; [unrolled: 1-line block ×5, first 2 shown]
                                        ; implicit-def: $vgpr26_vgpr27
                                        ; implicit-def: $vgpr18_vgpr19
                                        ; implicit-def: $vgpr22_vgpr23
                                        ; implicit-def: $vgpr30_vgpr31
                                        ; implicit-def: $vgpr10_vgpr11
                                        ; implicit-def: $vgpr2_vgpr3
                                        ; implicit-def: $vgpr6_vgpr7
                                        ; implicit-def: $vgpr14_vgpr15
	s_xor_b64 exec, exec, s[30:31]
	s_cbranch_execz .LBB988_17
; %bb.8:
	s_load_dwordx2 s[8:9], s[0:1], 0x20
	s_load_dword s11, s[0:1], 0x38
	s_add_i32 s25, s3, 15
	s_ashr_i32 s33, s25, 31
	s_lshr_b32 s33, s33, 28
	v_add_u32_e32 v36, s10, v0
	s_add_i32 s25, s25, s33
	v_ashrrev_i32_e32 v2, 31, v36
	s_ashr_i32 s25, s25, 4
	v_lshrrev_b32_e32 v2, 28, v2
	s_add_i32 s25, s25, -1
	s_waitcnt lgkmcnt(0)
	s_mul_i32 s36, s2, s11
	s_mov_b32 s37, 0
	v_add_u32_e32 v2, v36, v2
	s_lshl_b64 s[36:37], s[36:37], 2
	v_ashrrev_i32_e32 v2, 4, v2
	v_mov_b32_e32 v3, s25
	v_cmp_gt_i32_e32 vcc, s3, v36
	s_add_u32 s8, s8, s36
	s_addc_u32 s9, s9, s37
	v_cndmask_b32_e32 v2, v3, v2, vcc
	v_ashrrev_i32_e32 v3, 31, v2
	v_lshl_add_u64 v[10:11], v[2:3], 2, s[8:9]
	v_ashrrev_i32_e32 v2, 31, v4
	v_lshrrev_b32_e32 v2, 28, v2
	v_add_u32_e32 v2, v4, v2
	v_ashrrev_i32_e32 v6, 4, v2
	v_min_i32_e32 v2, s25, v6
	v_ashrrev_i32_e32 v3, 31, v2
	v_lshl_add_u64 v[4:5], v[2:3], 2, s[8:9]
	v_add_u32_e32 v2, 1, v6
	v_min_i32_e32 v2, s25, v2
	v_ashrrev_i32_e32 v3, 31, v2
	v_lshl_add_u64 v[12:13], v[2:3], 2, s[8:9]
	v_add_u32_e32 v2, 2, v6
	;; [unrolled: 4-line block ×3, first 2 shown]
	v_min_i32_e32 v2, s25, v2
	v_ashrrev_i32_e32 v3, 31, v2
	v_lshl_add_u64 v[16:17], v[2:3], 2, s[8:9]
	global_load_dword v2, v[10:11], off
	global_load_dword v6, v[4:5], off
	;; [unrolled: 1-line block ×5, first 2 shown]
	s_load_dwordx4 s[8:11], s[0:1], 0x8
	s_andn2_b64 vcc, exec, s[22:23]
	s_cbranch_vccnz .LBB988_11
; %bb.9:
	s_add_u32 s20, s20, s34
	s_addc_u32 s21, s21, s35
	s_load_dword s25, s[20:21], 0x0
	s_branch .LBB988_12
.LBB988_10:
	s_mov_b64 s[8:9], 0
	s_branch .LBB988_2
.LBB988_11:
	s_mov_b32 s25, s2
.LBB988_12:
	s_load_dwordx4 s[20:23], s[0:1], 0x48
	v_cmp_eq_u32_e32 vcc, 0, v39
	s_mov_b32 s37, 0
	v_mov_b32_e32 v37, 0
	v_mov_b32_e32 v5, 0
	;; [unrolled: 1-line block ×6, first 2 shown]
	s_and_saveexec_b64 s[34:35], vcc
	s_cbranch_execz .LBB988_14
; %bb.13:
	s_load_dwordx2 s[38:39], s[0:1], 0x0
	s_waitcnt lgkmcnt(0)
	s_ashr_i32 s23, s20, 31
	s_mul_hi_u32 s33, s25, s20
	s_mul_i32 s23, s25, s23
	s_add_i32 s41, s33, s23
	s_mul_i32 s40, s25, s20
	s_lshl_b64 s[40:41], s[40:41], 1
	s_add_u32 s20, s38, s40
	s_addc_u32 s23, s39, s41
	s_lshl_b32 s36, s4, 7
	s_lshl_b64 s[36:37], s[36:37], 1
	s_add_u32 s36, s20, s36
	s_addc_u32 s37, s23, s37
	v_lshlrev_b32_e32 v3, 2, v1
	global_load_dwordx4 v[14:17], v3, s[36:37]
	v_mov_b32_e32 v37, 1.0
.LBB988_14:
	s_or_b64 exec, exec, s[34:35]
	s_waitcnt lgkmcnt(0)
	s_mul_i32 s20, s4, s22
	s_add_u32 s8, s20, s8
	s_addc_u32 s9, 0, s9
	v_mov_b64_e32 v[10:11], s[8:9]
	v_lshlrev_b32_e32 v4, 4, v0
	s_waitcnt vmcnt(4)
	v_mad_i64_i32 v[2:3], s[8:9], v2, s21, v[10:11]
	v_and_b32_e32 v4, 0xf0, v4
	v_lshl_add_u64 v[2:3], v[2:3], 0, v[4:5]
	global_load_dwordx4 v[10:13], v[2:3], off
	global_load_dwordx4 v[18:21], v[2:3], off offset:256
	s_waitcnt vmcnt(5)
	v_mul_hi_i32 v4, v6, s21
	s_waitcnt vmcnt(4)
	v_mul_hi_i32 v22, v7, s21
	;; [unrolled: 2-line block ×4, first 2 shown]
	v_ashrrev_i32_e32 v4, 31, v4
	v_ashrrev_i32_e32 v22, 31, v22
	;; [unrolled: 1-line block ×4, first 2 shown]
	v_mov_b32_e32 v23, v5
	v_mov_b32_e32 v25, v5
	;; [unrolled: 1-line block ×3, first 2 shown]
	v_lshrrev_b32_e32 v22, 29, v22
	v_lshrrev_b32_e32 v24, 29, v24
	;; [unrolled: 1-line block ×3, first 2 shown]
	s_add_u32 s8, s10, s20
	v_lshrrev_b32_e32 v4, 29, v4
	v_mad_i64_i32 v[22:23], s[22:23], v7, s21, v[22:23]
	v_mad_i64_i32 v[24:25], s[22:23], v8, s21, v[24:25]
	;; [unrolled: 1-line block ×3, first 2 shown]
	s_addc_u32 s9, s11, 0
	v_mad_i64_i32 v[6:7], s[10:11], v6, s21, v[4:5]
	v_and_b32_e32 v22, -8, v22
	v_and_b32_e32 v24, -8, v24
	;; [unrolled: 1-line block ×4, first 2 shown]
	v_lshl_add_u64 v[22:23], s[8:9], 0, v[22:23]
	v_lshl_add_u64 v[24:25], s[8:9], 0, v[24:25]
	;; [unrolled: 1-line block ×3, first 2 shown]
	v_lshlrev_b32_e32 v4, 4, v1
	v_lshl_add_u64 v[6:7], s[8:9], 0, v[6:7]
	v_lshl_add_u64 v[26:27], v[22:23], 0, v[4:5]
	;; [unrolled: 1-line block ×5, first 2 shown]
	s_load_dword s0, s[0:1], 0x1c
	v_cmp_eq_u32_e32 vcc, 1, v39
	s_load_dword s1, s[12:13], 0x0
	s_waitcnt vmcnt(1)
	v_cvt_pk_f32_fp8_e32 v[4:5], v10
	v_cvt_pk_f32_fp8_sdwa v[6:7], v10 src0_sel:WORD_1
	v_cvt_pk_f32_fp8_e32 v[8:9], v11
	v_cvt_pk_f32_fp8_sdwa v[10:11], v11 src0_sel:WORD_1
	v_cvt_pkrtz_f16_f32 v52, v4, v5
	v_cvt_pkrtz_f16_f32 v53, v6, v7
	global_load_dwordx4 v[4:7], v[2:3], off offset:512
	v_cvt_pkrtz_f16_f32 v54, v8, v9
	v_cvt_pkrtz_f16_f32 v55, v10, v11
	global_load_dwordx4 v[8:11], v[2:3], off offset:768
	v_cvt_pk_f32_fp8_e32 v[22:23], v12
	v_cvt_pk_f32_fp8_sdwa v[24:25], v12 src0_sel:WORD_1
	v_cvt_pk_f32_fp8_e32 v[28:29], v13
	v_cvt_pk_f32_fp8_sdwa v[12:13], v13 src0_sel:WORD_1
	v_cvt_pkrtz_f16_f32 v56, v22, v23
	v_cvt_pkrtz_f16_f32 v57, v24, v25
	global_load_dwordx4 v[22:25], v[2:3], off offset:1024
	s_waitcnt vmcnt(3)
	v_cvt_pk_f32_fp8_e32 v[30:31], v18
	v_cvt_pk_f32_fp8_sdwa v[32:33], v18 src0_sel:WORD_1
	v_cvt_pkrtz_f16_f32 v28, v28, v29
	v_cvt_pkrtz_f16_f32 v29, v12, v13
	;; [unrolled: 1-line block ×4, first 2 shown]
	global_load_dwordx4 v[30:33], v[2:3], off offset:1280
	v_cvt_pk_f32_fp8_e32 v[40:41], v19
	v_cvt_pk_f32_fp8_e32 v[42:43], v20
	v_cvt_pk_f32_fp8_sdwa v[44:45], v20 src0_sel:WORD_1
	v_cvt_pk_f32_fp8_e32 v[46:47], v21
	v_cvt_pkrtz_f16_f32 v58, v40, v41
	v_cvt_pkrtz_f16_f32 v60, v42, v43
	global_load_dwordx4 v[40:43], v[2:3], off offset:1536
	v_cvt_pkrtz_f16_f32 v61, v44, v45
	v_cvt_pkrtz_f16_f32 v62, v46, v47
	global_load_dwordx4 v[44:47], v[2:3], off offset:1792
	v_mfma_f32_4x4x4_16b_f16 a[0:3], v[14:15], v[52:53], 0 cbsz:4
	v_cvt_pk_f32_fp8_sdwa v[18:19], v19 src0_sel:WORD_1
	v_cvt_pk_f32_fp8_sdwa v[20:21], v21 src0_sel:WORD_1
	v_mfma_f32_4x4x4_16b_f16 a[0:3], v[16:17], v[54:55], a[0:3] cbsz:4
	v_cvt_pkrtz_f16_f32 v59, v18, v19
	s_nop 0
	v_mfma_f32_4x4x4_16b_f16 a[0:3], v[14:15], v[56:57], a[0:3] cbsz:4 abid:1
	v_cvt_pkrtz_f16_f32 v63, v20, v21
	s_waitcnt vmcnt(5)
	v_cvt_pk_f32_fp8_e32 v[18:19], v4
	v_mfma_f32_4x4x4_16b_f16 a[0:3], v[16:17], v[28:29], a[0:3] cbsz:4 abid:1
	v_cvt_pk_f32_fp8_sdwa v[20:21], v4 src0_sel:WORD_1
	v_cvt_pk_f32_fp8_sdwa v[28:29], v6 src0_sel:WORD_1
	v_mfma_f32_4x4x4_16b_f16 a[0:3], v[14:15], v[12:13], a[0:3] cbsz:4 abid:2
	v_cvt_pkrtz_f16_f32 v52, v18, v19
	v_cvt_pk_f32_fp8_e32 v[18:19], v5
	v_mfma_f32_4x4x4_16b_f16 a[0:3], v[16:17], v[58:59], a[0:3] cbsz:4 abid:2
	v_cvt_pk_f32_fp8_sdwa v[4:5], v5 src0_sel:WORD_1
	v_cvt_pkrtz_f16_f32 v53, v20, v21
	v_mfma_f32_4x4x4_16b_f16 a[0:3], v[14:15], v[60:61], a[0:3] cbsz:4 abid:3
	v_cvt_pkrtz_f16_f32 v12, v18, v19
	v_cvt_pkrtz_f16_f32 v13, v4, v5
	v_mfma_f32_4x4x4_16b_f16 a[0:3], v[16:17], v[62:63], a[0:3] cbsz:4 abid:3
	global_load_dwordx4 v[18:21], v[26:27], off
	global_load_dwordx4 v[2:5], v[26:27], off offset:1024
	v_cvt_pk_f32_fp8_e32 v[26:27], v6
	v_mfma_f32_4x4x4_16b_f16 a[0:3], v[14:15], v[52:53], a[0:3] cbsz:4 abid:4
	s_waitcnt vmcnt(6)
	v_cvt_pk_f32_fp8_e32 v[52:53], v9
	v_cvt_pk_f32_fp8_sdwa v[54:55], v11 src0_sel:WORD_1
	v_mfma_f32_4x4x4_16b_f16 a[0:3], v[16:17], v[12:13], a[0:3] cbsz:4 abid:4
	v_cvt_pk_f32_fp8_e32 v[12:13], v7
	v_cvt_pk_f32_fp8_sdwa v[6:7], v7 src0_sel:WORD_1
	v_cvt_pkrtz_f16_f32 v26, v26, v27
	v_cvt_pkrtz_f16_f32 v27, v28, v29
	v_cvt_pkrtz_f16_f32 v12, v12, v13
	v_cvt_pkrtz_f16_f32 v13, v6, v7
	v_mfma_f32_4x4x4_16b_f16 a[0:3], v[14:15], v[26:27], a[0:3] cbsz:4 abid:5
	v_cvt_pk_f32_fp8_e32 v[6:7], v8
	global_load_dwordx4 v[26:29], v[50:51], off
	v_mfma_f32_4x4x4_16b_f16 a[0:3], v[16:17], v[12:13], a[0:3] cbsz:4 abid:5
	v_cvt_pk_f32_fp8_sdwa v[12:13], v8 src0_sel:WORD_1
	v_cvt_pk_f32_fp8_sdwa v[8:9], v9 src0_sel:WORD_1
	v_cvt_pkrtz_f16_f32 v6, v6, v7
	v_cvt_pkrtz_f16_f32 v7, v12, v13
	v_cvt_pkrtz_f16_f32 v13, v8, v9
	s_nop 0
	v_mfma_f32_4x4x4_16b_f16 a[0:3], v[14:15], v[6:7], a[0:3] cbsz:4 abid:6
	v_cvt_pk_f32_fp8_e32 v[6:7], v10
	v_cvt_pk_f32_fp8_sdwa v[8:9], v10 src0_sel:WORD_1
	v_cvt_pkrtz_f16_f32 v12, v52, v53
	v_cvt_pk_f32_fp8_e32 v[52:53], v11
	v_cvt_pkrtz_f16_f32 v6, v6, v7
	v_mfma_f32_4x4x4_16b_f16 a[0:3], v[16:17], v[12:13], a[0:3] cbsz:4 abid:6
	global_load_dwordx4 v[10:13], v[50:51], off offset:1024
	v_cvt_pkrtz_f16_f32 v7, v8, v9
	v_cvt_pkrtz_f16_f32 v8, v52, v53
	;; [unrolled: 1-line block ×3, first 2 shown]
	v_mfma_f32_4x4x4_16b_f16 a[0:3], v[14:15], v[6:7], a[0:3] cbsz:4 abid:7
	s_waitcnt vmcnt(7)
	v_cvt_pk_f32_fp8_e32 v[6:7], v22
	v_cvt_pk_f32_fp8_e32 v[50:51], v23
	v_mfma_f32_4x4x4_16b_f16 a[0:3], v[16:17], v[8:9], a[0:3] cbsz:4 abid:7
	v_cvt_pk_f32_fp8_sdwa v[8:9], v22 src0_sel:WORD_1
	v_cvt_pk_f32_fp8_sdwa v[22:23], v23 src0_sel:WORD_1
	v_cvt_pkrtz_f16_f32 v6, v6, v7
	v_cvt_pk_f32_fp8_sdwa v[52:53], v25 src0_sel:WORD_1
	v_cvt_pkrtz_f16_f32 v7, v8, v9
	v_cvt_pkrtz_f16_f32 v8, v50, v51
	v_cvt_pkrtz_f16_f32 v9, v22, v23
	v_mfma_f32_4x4x4_16b_f16 a[0:3], v[14:15], v[6:7], a[0:3] cbsz:4 abid:8
	v_cvt_pk_f32_fp8_e32 v[6:7], v24
	v_cvt_pk_f32_fp8_e32 v[50:51], v25
	v_mfma_f32_4x4x4_16b_f16 a[0:3], v[16:17], v[8:9], a[0:3] cbsz:4 abid:8
	v_cvt_pk_f32_fp8_sdwa v[8:9], v24 src0_sel:WORD_1
	v_cvt_pkrtz_f16_f32 v6, v6, v7
	global_load_dwordx4 v[22:25], v[48:49], off
	v_cvt_pkrtz_f16_f32 v7, v8, v9
	v_cvt_pkrtz_f16_f32 v8, v50, v51
	s_nop 0
	v_mfma_f32_4x4x4_16b_f16 a[0:3], v[14:15], v[6:7], a[0:3] cbsz:4 abid:9
	v_cvt_pkrtz_f16_f32 v9, v52, v53
	s_waitcnt vmcnt(7)
	v_cvt_pk_f32_fp8_e32 v[6:7], v30
	v_cvt_pk_f32_fp8_e32 v[50:51], v31
	v_mfma_f32_4x4x4_16b_f16 a[0:3], v[16:17], v[8:9], a[0:3] cbsz:4 abid:9
	v_cvt_pk_f32_fp8_sdwa v[8:9], v30 src0_sel:WORD_1
	v_cvt_pk_f32_fp8_sdwa v[30:31], v31 src0_sel:WORD_1
	v_cvt_pkrtz_f16_f32 v52, v6, v7
	v_cvt_pkrtz_f16_f32 v53, v8, v9
	global_load_dwordx4 v[6:9], v[48:49], off offset:1024
	s_nop 0
	v_mfma_f32_4x4x4_16b_f16 a[0:3], v[14:15], v[52:53], a[0:3] cbsz:4 abid:10
	v_cvt_pkrtz_f16_f32 v48, v50, v51
	v_cvt_pkrtz_f16_f32 v49, v30, v31
	v_cvt_pk_f32_fp8_e32 v[30:31], v32
	v_cvt_pk_f32_fp8_e32 v[50:51], v33
	v_mfma_f32_4x4x4_16b_f16 a[0:3], v[16:17], v[48:49], a[0:3] cbsz:4 abid:10
	v_cvt_pk_f32_fp8_sdwa v[48:49], v32 src0_sel:WORD_1
	v_cvt_pk_f32_fp8_sdwa v[32:33], v33 src0_sel:WORD_1
	v_cvt_pkrtz_f16_f32 v30, v30, v31
	v_cvt_pkrtz_f16_f32 v31, v48, v49
	v_cvt_pkrtz_f16_f32 v49, v32, v33
	s_nop 0
	v_mfma_f32_4x4x4_16b_f16 a[0:3], v[14:15], v[30:31], a[0:3] cbsz:4 abid:11
	s_waitcnt vmcnt(7)
	v_cvt_pk_f32_fp8_e32 v[30:31], v40
	v_cvt_pk_f32_fp8_sdwa v[32:33], v40 src0_sel:WORD_1
	v_cvt_pkrtz_f16_f32 v48, v50, v51
	v_cvt_pkrtz_f16_f32 v30, v30, v31
	s_nop 0
	v_mfma_f32_4x4x4_16b_f16 a[0:3], v[16:17], v[48:49], a[0:3] cbsz:4 abid:11
	v_cvt_pk_f32_fp8_e32 v[48:49], v41
	v_cvt_pk_f32_fp8_sdwa v[40:41], v41 src0_sel:WORD_1
	v_cvt_pkrtz_f16_f32 v31, v32, v33
	v_cvt_pkrtz_f16_f32 v32, v48, v49
	s_nop 0
	v_mfma_f32_4x4x4_16b_f16 a[0:3], v[14:15], v[30:31], a[0:3] cbsz:4 abid:12
	v_cvt_pkrtz_f16_f32 v33, v40, v41
	v_cvt_pk_f32_fp8_e32 v[30:31], v42
	v_cvt_pk_f32_fp8_e32 v[40:41], v43
	v_mfma_f32_4x4x4_16b_f16 a[0:3], v[16:17], v[32:33], a[0:3] cbsz:4 abid:12
	v_cvt_pk_f32_fp8_sdwa v[32:33], v42 src0_sel:WORD_1
	v_cvt_pk_f32_fp8_sdwa v[42:43], v43 src0_sel:WORD_1
	v_cvt_pkrtz_f16_f32 v30, v30, v31
	v_cvt_pkrtz_f16_f32 v31, v32, v33
	;; [unrolled: 1-line block ×3, first 2 shown]
	s_nop 0
	v_mfma_f32_4x4x4_16b_f16 a[0:3], v[14:15], v[30:31], a[0:3] cbsz:4 abid:13
	v_cvt_pkrtz_f16_f32 v33, v42, v43
	s_waitcnt vmcnt(6)
	v_cvt_pk_f32_fp8_e32 v[30:31], v44
	v_cvt_pk_f32_fp8_e32 v[40:41], v45
	v_mfma_f32_4x4x4_16b_f16 a[0:3], v[16:17], v[32:33], a[0:3] cbsz:4 abid:13
	v_cvt_pk_f32_fp8_sdwa v[32:33], v44 src0_sel:WORD_1
	v_cvt_pk_f32_fp8_sdwa v[42:43], v45 src0_sel:WORD_1
	v_cvt_pkrtz_f16_f32 v30, v30, v31
	v_cvt_pkrtz_f16_f32 v31, v32, v33
	;; [unrolled: 1-line block ×3, first 2 shown]
	s_nop 0
	v_mfma_f32_4x4x4_16b_f16 a[0:3], v[14:15], v[30:31], a[0:3] cbsz:4 abid:14
	v_cvt_pk_f32_fp8_e32 v[30:31], v46
	v_cvt_pk_f32_fp8_sdwa v[40:41], v46 src0_sel:WORD_1
	v_cvt_pkrtz_f16_f32 v33, v42, v43
	v_cvt_pkrtz_f16_f32 v30, v30, v31
	s_nop 0
	v_mfma_f32_4x4x4_16b_f16 a[0:3], v[16:17], v[32:33], a[0:3] cbsz:4 abid:14
	v_cvt_pk_f32_fp8_e32 v[32:33], v47
	v_cvt_pkrtz_f16_f32 v31, v40, v41
	v_cvt_pk_f32_fp8_sdwa v[40:41], v47 src0_sel:WORD_1
	v_cvt_pkrtz_f16_f32 v32, v32, v33
	v_mfma_f32_4x4x4_16b_f16 a[0:3], v[14:15], v[30:31], a[0:3] cbsz:4 abid:15
	v_cvt_pkrtz_f16_f32 v33, v40, v41
	s_waitcnt lgkmcnt(0)
	v_mov_b32_e32 v14, s0
	v_mul_f32_e32 v40, s1, v14
	v_mfma_f32_4x4x4_16b_f16 a[0:3], v[16:17], v[32:33], a[0:3] cbsz:4 abid:15
	s_nop 4
	v_accvgpr_read_b32 v15, a1
	v_accvgpr_read_b32 v14, a0
	v_pk_mul_f32 v[42:43], v[14:15], v[40:41] op_sel_hi:[1,0]
	global_load_dwordx4 v[30:33], v[34:35], off
	global_load_dwordx4 v[14:17], v[34:35], off offset:1024
	v_accvgpr_read_b32 v35, a3
	v_accvgpr_read_b32 v34, a2
	v_pk_mul_f32 v[34:35], v[34:35], v[40:41] op_sel_hi:[1,0]
	v_mfma_f32_4x4x1_16b_f32 a[0:3], v42, v37, 0
	v_cndmask_b32_e64 v37, 0, 1.0, vcc
	v_cmp_eq_u32_e32 vcc, 2, v39
	v_mov_b32_e32 v41, 0xff7fffff
	v_mfma_f32_4x4x1_16b_f32 a[0:3], v43, v37, a[0:3]
	v_cndmask_b32_e64 v37, 0, 1.0, vcc
	v_cmp_eq_u32_e32 vcc, 3, v39
	s_nop 0
	v_mfma_f32_4x4x1_16b_f32 a[0:3], v34, v37, a[0:3]
	v_cndmask_b32_e64 v34, 0, 1.0, vcc
	s_nop 1
	v_mfma_f32_4x4x1_16b_f32 a[0:3], v35, v34, a[0:3]
	v_and_b32_e32 v34, -4, v36
	v_cmp_gt_i32_e32 vcc, s3, v34
	v_or_b32_e32 v36, 3, v36
	v_cmp_gt_i32_e64 s[10:11], s3, v36
	v_accvgpr_read_b32 v37, a0
	v_max_f32_e32 v40, v37, v37
	v_max_f32_e32 v40, 0xff7fffff, v40
	v_accvgpr_read_b32 v42, a1
	v_cndmask_b32_e32 v40, v41, v40, vcc
	v_or_b32_e32 v41, 1, v34
	v_max_f32_e32 v43, v42, v42
	v_max_f32_e32 v43, v40, v43
	v_cmp_gt_i32_e64 s[0:1], s3, v41
	v_accvgpr_read_b32 v41, a2
	v_or_b32_e32 v34, 2, v34
	v_cndmask_b32_e64 v40, v40, v43, s[0:1]
	v_max_f32_e32 v43, v41, v41
	v_max_f32_e32 v43, v40, v43
	v_cmp_gt_i32_e64 s[8:9], s3, v34
	v_lshlrev_b32_e32 v35, 2, v0
	v_and_or_b32 v35, v35, 48, v39
	v_cndmask_b32_e64 v34, v40, v43, s[8:9]
	v_accvgpr_read_b32 v43, a3
	v_max_f32_e32 v40, v43, v43
	v_max_f32_e32 v40, v34, v40
	v_cndmask_b32_e64 v34, v34, v40, s[10:11]
	;;#ASMSTART
	v_nop
 v_nop
 v_max_f32_dpp v34, v34, v34 row_ror:4
	;;#ASMEND
	v_lshlrev_b32_e32 v44, 2, v35
	;;#ASMSTART
	v_nop
 v_nop
 v_max_f32_dpp v34, v34, v34 row_ror:8
	;;#ASMEND
	ds_bpermute_b32 v34, v44, v34
	s_waitcnt lgkmcnt(0)
	;;#ASMSTART
	v_nop
 v_nop
 v_max_f32_dpp v34, v34, v34 row_ror:4
	;;#ASMEND
	s_nop 0
	;;#ASMSTART
	v_nop
 v_nop
 v_max_f32_dpp v40, v34, v34 row_ror:8
	;;#ASMEND
	s_nop 0
	v_sub_f32_e32 v34, v37, v40
	v_mul_f32_e32 v34, 0x3fb8aa3b, v34
	v_sub_f32_e32 v35, v42, v40
	v_exp_f32_e32 v34, v34
	v_mul_f32_e32 v35, 0x3fb8aa3b, v35
	v_sub_f32_e32 v37, v41, v40
	v_exp_f32_e32 v35, v35
	;; [unrolled: 3-line block ×3, first 2 shown]
	v_mul_f32_e32 v41, 0x3fb8aa3b, v41
	v_exp_f32_e32 v41, v41
	v_cndmask_b32_e32 v34, 0, v34, vcc
	v_add_f32_e32 v36, 0, v34
	v_cndmask_b32_e64 v35, 0, v35, s[0:1]
	v_add_f32_e32 v42, v36, v35
	v_cndmask_b32_e64 v36, 0, v37, s[8:9]
	;; [unrolled: 2-line block ×3, first 2 shown]
	v_add_f32_e32 v41, v42, v37
	;;#ASMSTART
	v_nop
 v_nop
 v_add_f32_dpp v41, v41, v41 row_ror:4
	;;#ASMEND
	v_cmp_gt_u32_e32 vcc, 4, v1
	;;#ASMSTART
	v_nop
 v_nop
 v_add_f32_dpp v41, v41, v41 row_ror:8
	;;#ASMEND
	ds_bpermute_b32 v41, v44, v41
	s_waitcnt lgkmcnt(0)
	;;#ASMSTART
	v_nop
 v_nop
 v_add_f32_dpp v41, v41, v41 row_ror:4
	;;#ASMEND
	s_nop 0
	;;#ASMSTART
	v_nop
 v_nop
 v_add_f32_dpp v41, v41, v41 row_ror:8
	;;#ASMEND
	s_and_saveexec_b64 s[0:1], vcc
	s_cbranch_execz .LBB988_16
; %bb.15:
	v_mul_u32_u24_e32 v42, 20, v38
	v_lshl_add_u32 v42, v39, 2, v42
	v_add_u32_e32 v42, 0x1400, v42
	ds_write2_b32 v42, v40, v41 offset1:20
.LBB988_16:
	s_or_b64 exec, exec, s[0:1]
.LBB988_17:
	s_or_b64 exec, exec, s[30:31]
	s_waitcnt lgkmcnt(0)
	s_barrier
	s_load_dword s0, s[28:29], 0x8
	v_lshlrev_b32_e32 v41, 2, v39
	v_add_u32_e32 v42, 0x1400, v41
	ds_read2_b32 v[44:45], v42 offset1:5
	ds_read2_b32 v[46:47], v42 offset0:10 offset1:15
	s_mul_i32 s1, s5, s2
	s_waitcnt lgkmcnt(0)
	s_mul_i32 s0, s1, s0
	s_mov_b32 s1, 0xff7fffff
	v_max3_f32 v41, v44, s1, v45
	v_max3_f32 v41, v41, v46, v47
	v_sub_f32_e32 v43, v44, v41
	v_sub_f32_e32 v44, v45, v41
	v_mul_f32_e32 v44, 0x3fb8aa3b, v44
	ds_read2_b32 v[48:49], v42 offset0:20 offset1:25
	v_mul_f32_e32 v43, 0x3fb8aa3b, v43
	v_exp_f32_e32 v51, v44
	ds_read2_b32 v[44:45], v42 offset0:30 offset1:35
	v_sub_f32_e32 v42, v46, v41
	v_exp_f32_e32 v50, v43
	v_mul_f32_e32 v42, 0x3fb8aa3b, v42
	v_exp_f32_e32 v46, v42
	v_sub_f32_e32 v42, v47, v41
	v_mul_f32_e32 v42, 0x3fb8aa3b, v42
	v_exp_f32_e32 v47, v42
	s_waitcnt lgkmcnt(1)
	v_fma_f32 v42, v50, v48, 0
	v_fmac_f32_e32 v42, v51, v49
	s_waitcnt lgkmcnt(0)
	v_fmac_f32_e32 v42, v46, v44
	v_mov_b32_e32 v43, 0
	v_fmac_f32_e32 v42, v47, v45
	s_mov_b32 s1, 0
	v_cmp_eq_u32_e32 vcc, 0, v39
	s_and_saveexec_b64 s[2:3], vcc
	s_cbranch_execz .LBB988_19
; %bb.18:
	s_lshl_b64 s[8:9], s[0:1], 2
	s_add_u32 s12, s16, s8
	s_mov_b32 s25, s1
	s_addc_u32 s13, s17, s9
	s_lshl_b64 s[10:11], s[24:25], 2
	s_add_u32 s12, s12, s10
	s_addc_u32 s13, s13, s11
	s_add_u32 s8, s18, s8
	s_addc_u32 s9, s19, s9
	;; [unrolled: 2-line block ×3, first 2 shown]
	s_mul_i32 s8, s5, s4
	s_mov_b32 s9, s1
	s_lshl_b64 s[8:9], s[8:9], 2
	s_add_u32 s10, s12, s8
	s_addc_u32 s11, s13, s9
	s_add_u32 s8, s16, s8
	s_addc_u32 s9, s17, s9
	global_store_dword v43, v41, s[8:9]
	global_store_dword v43, v42, s[10:11]
.LBB988_19:
	s_or_b64 exec, exec, s[2:3]
	v_lshlrev_b32_e32 v38, 3, v38
	s_and_saveexec_b64 s[2:3], s[6:7]
	s_xor_b64 s[2:3], exec, s[2:3]
	s_cbranch_execz .LBB988_21
; %bb.20:
	s_mov_b32 s6, 0
	s_mov_b32 s7, s6
	s_waitcnt vmcnt(6)
	v_mad_u32_u24 v4, v1, 40, v38
	v_mov_b64_e32 v[2:3], s[6:7]
	ds_write2st64_b64 v4, v[2:3], v[2:3] offset1:5
                                        ; implicit-def: $vgpr37
                                        ; implicit-def: $vgpr35
                                        ; implicit-def: $vgpr40
                                        ; implicit-def: $vgpr26_vgpr27
                                        ; implicit-def: $vgpr18_vgpr19
                                        ; implicit-def: $vgpr22_vgpr23
                                        ; implicit-def: $vgpr30_vgpr31
                                        ; implicit-def: $vgpr10_vgpr11
                                        ; implicit-def: $vgpr2_vgpr3
                                        ; implicit-def: $vgpr6_vgpr7
                                        ; implicit-def: $vgpr14_vgpr15
                                        ; implicit-def: $vgpr41
                                        ; implicit-def: $vgpr42
                                        ; implicit-def: $vgpr38
.LBB988_21:
	s_andn2_saveexec_b64 s[2:3], s[2:3]
	s_cbranch_execz .LBB988_23
; %bb.22:
	v_add_f32_e32 v39, 0x358637bd, v42
	v_div_scale_f32 v42, s[6:7], v39, v39, 1.0
	v_rcp_f32_e32 v43, v42
	v_sub_f32_e32 v40, v40, v41
	v_mul_f32_e32 v40, 0x3fb8aa3b, v40
	v_exp_f32_e32 v40, v40
	v_fma_f32 v41, -v42, v43, 1.0
	v_fmac_f32_e32 v43, v41, v43
	v_div_scale_f32 v41, vcc, 1.0, v39, 1.0
	v_mul_f32_e32 v44, v41, v43
	v_fma_f32 v45, -v42, v44, v41
	v_fmac_f32_e32 v44, v45, v43
	v_fma_f32 v41, -v42, v44, v41
	v_div_fmas_f32 v41, v41, v43, v44
	v_div_fixup_f32 v39, v41, v39, 1.0
	v_mul_f32_e32 v40, v40, v39
	v_pk_mul_f32 v[36:37], v[36:37], v[40:41] op_sel_hi:[1,0]
	v_pk_mul_f32 v[34:35], v[34:35], v[40:41] op_sel_hi:[1,0]
	v_cvt_f16_f32_e32 v36, v36
	v_cvt_f16_f32_e32 v34, v34
	;; [unrolled: 1-line block ×4, first 2 shown]
	s_waitcnt vmcnt(5)
	v_cvt_pk_f32_fp8_sdwa v[40:41], v26 src0_sel:WORD_1
	v_cvt_pk_f32_fp8_e32 v[42:43], v27
	v_pack_b32_f16 v34, v34, v35
	v_pack_b32_f16 v35, v36, v37
	v_cvt_pk_f32_fp8_e32 v[36:37], v26
	v_cvt_pk_f32_fp8_sdwa v[26:27], v27 src0_sel:WORD_1
	s_load_dword s6, s[14:15], 0x0
	v_cvt_pkrtz_f16_f32 v36, v36, v37
	v_cvt_pkrtz_f16_f32 v37, v40, v41
	;; [unrolled: 1-line block ×4, first 2 shown]
	v_mfma_f32_4x4x4_16b_f16 a[0:3], v[34:35], v[36:37], 0 cbsz:4
	v_cvt_pk_f32_fp8_e32 v[26:27], v28
	v_cvt_pk_f32_fp8_sdwa v[36:37], v28 src0_sel:WORD_1
	v_mfma_f32_4x4x4_16b_f16 a[0:3], v[34:35], v[40:41], a[0:3] cbsz:4 abid:1
	v_cvt_pk_f32_fp8_e32 v[40:41], v29
	v_cvt_pk_f32_fp8_sdwa v[28:29], v29 src0_sel:WORD_1
	v_cvt_pkrtz_f16_f32 v26, v26, v27
	v_cvt_pkrtz_f16_f32 v27, v36, v37
	v_cvt_pkrtz_f16_f32 v36, v40, v41
	v_cvt_pkrtz_f16_f32 v37, v28, v29
	v_mfma_f32_4x4x4_16b_f16 a[0:3], v[34:35], v[26:27], a[0:3] cbsz:4 abid:2
	v_cvt_pk_f32_fp8_e32 v[26:27], v18
	v_cvt_pk_f32_fp8_sdwa v[28:29], v18 src0_sel:WORD_1
	v_mfma_f32_4x4x4_16b_f16 a[0:3], v[34:35], v[36:37], a[0:3] cbsz:4 abid:3
	v_cvt_pk_f32_fp8_e32 v[36:37], v19
	v_cvt_pk_f32_fp8_sdwa v[18:19], v19 src0_sel:WORD_1
	v_cvt_pkrtz_f16_f32 v26, v26, v27
	v_cvt_pkrtz_f16_f32 v27, v28, v29
	v_cvt_pkrtz_f16_f32 v28, v36, v37
	v_cvt_pkrtz_f16_f32 v29, v18, v19
	v_mfma_f32_4x4x4_16b_f16 a[0:3], v[34:35], v[26:27], a[0:3] cbsz:4 abid:4
	;; [unrolled: 10-line block ×3, first 2 shown]
	s_waitcnt vmcnt(3)
	v_cvt_pk_f32_fp8_e32 v[18:19], v22
	v_cvt_pk_f32_fp8_sdwa v[20:21], v22 src0_sel:WORD_1
	v_mfma_f32_4x4x4_16b_f16 a[0:3], v[34:35], v[26:27], a[0:3] cbsz:4 abid:7
	v_cvt_pk_f32_fp8_e32 v[26:27], v23
	v_cvt_pk_f32_fp8_sdwa v[22:23], v23 src0_sel:WORD_1
	v_cvt_pkrtz_f16_f32 v18, v18, v19
	v_cvt_pkrtz_f16_f32 v19, v20, v21
	;; [unrolled: 1-line block ×4, first 2 shown]
	v_mfma_f32_4x4x4_16b_f16 a[0:3], v[34:35], v[18:19], a[0:3] cbsz:4 abid:8
	v_cvt_pk_f32_fp8_e32 v[18:19], v24
	v_cvt_pk_f32_fp8_e32 v[22:23], v25
	v_mfma_f32_4x4x4_16b_f16 a[0:3], v[34:35], v[20:21], a[0:3] cbsz:4 abid:9
	v_cvt_pk_f32_fp8_sdwa v[20:21], v24 src0_sel:WORD_1
	v_cvt_pk_f32_fp8_sdwa v[24:25], v25 src0_sel:WORD_1
	v_cvt_pkrtz_f16_f32 v18, v18, v19
	v_cvt_pkrtz_f16_f32 v19, v20, v21
	;; [unrolled: 1-line block ×3, first 2 shown]
	s_nop 0
	v_mfma_f32_4x4x4_16b_f16 a[0:3], v[34:35], v[18:19], a[0:3] cbsz:4 abid:10
	v_cvt_pkrtz_f16_f32 v21, v24, v25
	s_waitcnt vmcnt(1)
	v_cvt_pk_f32_fp8_e32 v[18:19], v30
	v_cvt_pk_f32_fp8_e32 v[22:23], v31
	v_mfma_f32_4x4x4_16b_f16 a[0:3], v[34:35], v[20:21], a[0:3] cbsz:4 abid:11
	v_cvt_pk_f32_fp8_sdwa v[20:21], v30 src0_sel:WORD_1
	v_cvt_pk_f32_fp8_sdwa v[24:25], v31 src0_sel:WORD_1
	v_cvt_pkrtz_f16_f32 v18, v18, v19
	v_cvt_pkrtz_f16_f32 v19, v20, v21
	v_cvt_pkrtz_f16_f32 v20, v22, v23
	s_nop 0
	v_mfma_f32_4x4x4_16b_f16 a[0:3], v[34:35], v[18:19], a[0:3] cbsz:4 abid:12
	v_cvt_pkrtz_f16_f32 v21, v24, v25
	v_cvt_pk_f32_fp8_e32 v[18:19], v32
	v_cvt_pk_f32_fp8_e32 v[22:23], v33
	v_mfma_f32_4x4x4_16b_f16 a[0:3], v[34:35], v[20:21], a[0:3] cbsz:4 abid:13
	v_cvt_pk_f32_fp8_sdwa v[20:21], v32 src0_sel:WORD_1
	v_cvt_pk_f32_fp8_sdwa v[24:25], v33 src0_sel:WORD_1
	v_cvt_pkrtz_f16_f32 v18, v18, v19
	v_cvt_pkrtz_f16_f32 v19, v20, v21
	;; [unrolled: 1-line block ×3, first 2 shown]
	s_nop 0
	v_mfma_f32_4x4x4_16b_f16 a[0:3], v[34:35], v[18:19], a[0:3] cbsz:4 abid:14
	v_cvt_pkrtz_f16_f32 v21, v24, v25
	v_cvt_pk_f32_fp8_sdwa v[22:23], v10 src0_sel:WORD_1
	v_cvt_pk_f32_fp8_e32 v[24:25], v11
	v_mfma_f32_4x4x4_16b_f16 a[0:3], v[34:35], v[20:21], a[0:3] cbsz:4 abid:15
	s_nop 4
	v_accvgpr_read_b32 v19, a1
	v_accvgpr_read_b32 v18, a0
	s_waitcnt lgkmcnt(0)
	v_pk_mul_f32 v[18:19], v[18:19], s[6:7] op_sel_hi:[1,0]
	s_nop 0
	v_cvt_f16_f32_e32 v20, v18
	v_cvt_f16_f32_e32 v21, v19
	v_accvgpr_read_b32 v19, a3
	v_accvgpr_read_b32 v18, a2
	v_pk_mul_f32 v[18:19], v[18:19], s[6:7] op_sel_hi:[1,0]
	v_pack_b32_f16 v20, v20, v21
	v_cvt_f16_f32_e32 v21, v18
	v_cvt_f16_f32_e32 v26, v19
	v_cvt_pk_f32_fp8_e32 v[18:19], v10
	v_cvt_pk_f32_fp8_sdwa v[10:11], v11 src0_sel:WORD_1
	v_pack_b32_f16 v21, v21, v26
	v_cvt_pkrtz_f16_f32 v18, v18, v19
	v_cvt_pkrtz_f16_f32 v19, v22, v23
	;; [unrolled: 1-line block ×4, first 2 shown]
	v_mfma_f32_4x4x4_16b_f16 a[0:3], v[34:35], v[18:19], 0 cbsz:4
	v_cvt_pk_f32_fp8_e32 v[10:11], v12
	v_cvt_pk_f32_fp8_sdwa v[18:19], v12 src0_sel:WORD_1
	v_mfma_f32_4x4x4_16b_f16 a[0:3], v[34:35], v[22:23], a[0:3] cbsz:4 abid:1
	v_cvt_pk_f32_fp8_e32 v[22:23], v13
	v_cvt_pk_f32_fp8_sdwa v[12:13], v13 src0_sel:WORD_1
	v_cvt_pkrtz_f16_f32 v10, v10, v11
	v_cvt_pkrtz_f16_f32 v11, v18, v19
	v_cvt_pkrtz_f16_f32 v18, v22, v23
	v_cvt_pkrtz_f16_f32 v19, v12, v13
	v_mfma_f32_4x4x4_16b_f16 a[0:3], v[34:35], v[10:11], a[0:3] cbsz:4 abid:2
	v_cvt_pk_f32_fp8_e32 v[10:11], v2
	v_cvt_pk_f32_fp8_sdwa v[12:13], v2 src0_sel:WORD_1
	v_mfma_f32_4x4x4_16b_f16 a[0:3], v[34:35], v[18:19], a[0:3] cbsz:4 abid:3
	v_cvt_pk_f32_fp8_e32 v[18:19], v3
	v_cvt_pk_f32_fp8_sdwa v[2:3], v3 src0_sel:WORD_1
	v_cvt_pkrtz_f16_f32 v10, v10, v11
	v_cvt_pkrtz_f16_f32 v11, v12, v13
	v_cvt_pkrtz_f16_f32 v12, v18, v19
	v_cvt_pkrtz_f16_f32 v13, v2, v3
	v_mfma_f32_4x4x4_16b_f16 a[0:3], v[34:35], v[10:11], a[0:3] cbsz:4 abid:4
	;; [unrolled: 10-line block ×4, first 2 shown]
	v_cvt_pk_f32_fp8_e32 v[2:3], v8
	v_cvt_pk_f32_fp8_e32 v[6:7], v9
	v_mfma_f32_4x4x4_16b_f16 a[0:3], v[34:35], v[4:5], a[0:3] cbsz:4 abid:9
	v_cvt_pk_f32_fp8_sdwa v[4:5], v8 src0_sel:WORD_1
	v_cvt_pk_f32_fp8_sdwa v[8:9], v9 src0_sel:WORD_1
	v_cvt_pkrtz_f16_f32 v2, v2, v3
	v_cvt_pkrtz_f16_f32 v3, v4, v5
	;; [unrolled: 1-line block ×3, first 2 shown]
	s_nop 0
	v_mfma_f32_4x4x4_16b_f16 a[0:3], v[34:35], v[2:3], a[0:3] cbsz:4 abid:10
	v_cvt_pkrtz_f16_f32 v5, v8, v9
	s_waitcnt vmcnt(0)
	v_cvt_pk_f32_fp8_e32 v[2:3], v14
	v_cvt_pk_f32_fp8_e32 v[6:7], v15
	v_mfma_f32_4x4x4_16b_f16 a[0:3], v[34:35], v[4:5], a[0:3] cbsz:4 abid:11
	v_cvt_pk_f32_fp8_sdwa v[4:5], v14 src0_sel:WORD_1
	v_cvt_pk_f32_fp8_sdwa v[8:9], v15 src0_sel:WORD_1
	v_cvt_pkrtz_f16_f32 v2, v2, v3
	v_cvt_pkrtz_f16_f32 v3, v4, v5
	v_cvt_pkrtz_f16_f32 v4, v6, v7
	s_nop 0
	v_mfma_f32_4x4x4_16b_f16 a[0:3], v[34:35], v[2:3], a[0:3] cbsz:4 abid:12
	v_cvt_pkrtz_f16_f32 v5, v8, v9
	v_cvt_pk_f32_fp8_e32 v[2:3], v16
	v_cvt_pk_f32_fp8_e32 v[6:7], v17
	v_mfma_f32_4x4x4_16b_f16 a[0:3], v[34:35], v[4:5], a[0:3] cbsz:4 abid:13
	v_cvt_pk_f32_fp8_sdwa v[4:5], v16 src0_sel:WORD_1
	v_cvt_pk_f32_fp8_sdwa v[8:9], v17 src0_sel:WORD_1
	v_cvt_pkrtz_f16_f32 v2, v2, v3
	v_cvt_pkrtz_f16_f32 v3, v4, v5
	;; [unrolled: 1-line block ×3, first 2 shown]
	s_nop 0
	v_mfma_f32_4x4x4_16b_f16 a[0:3], v[34:35], v[2:3], a[0:3] cbsz:4 abid:14
	v_cvt_pkrtz_f16_f32 v5, v8, v9
	v_mad_u32_u24 v7, v1, 40, v38
	s_nop 0
	v_mfma_f32_4x4x4_16b_f16 a[0:3], v[34:35], v[4:5], a[0:3] cbsz:4 abid:15
	s_nop 4
	v_accvgpr_read_b32 v5, a1
	v_accvgpr_read_b32 v3, a3
	;; [unrolled: 1-line block ×4, first 2 shown]
	v_pk_mul_f32 v[2:3], v[2:3], s[6:7] op_sel_hi:[1,0]
	v_pk_mul_f32 v[4:5], v[4:5], s[6:7] op_sel_hi:[1,0]
	v_cvt_f16_f32_e32 v6, v2
	v_cvt_f16_f32_e32 v4, v4
	;; [unrolled: 1-line block ×4, first 2 shown]
	v_pack_b32_f16 v2, v4, v5
	v_pack_b32_f16 v3, v6, v3
	ds_write2st64_b64 v7, v[20:21], v[2:3] offset1:5
.LBB988_23:
	s_or_b64 exec, exec, s[2:3]
	v_cmp_gt_u32_e32 vcc, 64, v0
	s_waitcnt lgkmcnt(0)
	s_barrier
	s_and_saveexec_b64 s[2:3], vcc
	s_cbranch_execz .LBB988_25
; %bb.24:
	s_waitcnt vmcnt(6)
	v_mov_b32_e32 v2, 0xa00
	v_mad_u32_u24 v2, v1, 40, v2
	s_waitcnt vmcnt(2)
	v_mov_b32_e32 v6, 0xa10
	ds_read2_b64 v[2:5], v2 offset1:1
	s_waitcnt lgkmcnt(0)
	v_mad_u32_u24 v3, v1, 40, v6
	ds_read2_b64 v[6:9], v3 offset1:1
	v_mul_u32_u24_e32 v1, 40, v1
	s_lshl_b32 s0, s0, 7
	v_pk_add_f16 v2, v2, 0
	s_lshl_b64 s[2:3], s[0:1], 1
	v_pk_add_f16 v2, v2, v4
	s_add_u32 s2, s26, s2
	s_waitcnt lgkmcnt(0)
	v_pk_add_f16 v2, v2, v6
	s_addc_u32 s3, s27, s3
	v_pk_add_f16 v10, v2, v8
	ds_read2_b64 v[2:5], v1 offset1:1
	ds_read2_b64 v[6:9], v1 offset0:2 offset1:3
	s_lshl_b32 s0, s24, 7
	s_lshl_b64 s[0:1], s[0:1], 1
	s_add_u32 s0, s2, s0
	s_waitcnt lgkmcnt(1)
	v_pk_add_f16 v2, v2, 0
	s_mul_i32 s4, s4, s5
	v_pk_add_f16 v2, v2, v4
	s_addc_u32 s1, s3, s1
	v_lshl_or_b32 v0, s4, 7, v0
	v_mov_b32_e32 v1, 0
	s_waitcnt lgkmcnt(0)
	v_pk_add_f16 v2, v2, v6
	v_lshl_add_u64 v[0:1], v[0:1], 1, s[0:1]
	v_pk_add_f16 v2, v2, v8
	global_store_short v[0:1], v2, off
	global_store_short v[0:1], v10, off offset:128
.LBB988_25:
	s_endpgm
	.section	.rodata,"a",@progbits
	.p2align	6, 0x0
	.amdhsa_kernel _Z38paged_attention_ll4mi_QKV_mfma4_kernelIDF16_hLN4vllm18Fp8KVCacheDataTypeE1EDF16_Li16ELi128ELi256ELb0ELi1EEvPKT_PKT0_S7_ifPKiS9_S9_iPKfiiiPfSC_PS2_PT2_iSB_SB_
		.amdhsa_group_segment_fixed_size 5280
		.amdhsa_private_segment_fixed_size 0
		.amdhsa_kernarg_size 400
		.amdhsa_user_sgpr_count 2
		.amdhsa_user_sgpr_dispatch_ptr 0
		.amdhsa_user_sgpr_queue_ptr 0
		.amdhsa_user_sgpr_kernarg_segment_ptr 1
		.amdhsa_user_sgpr_dispatch_id 0
		.amdhsa_user_sgpr_kernarg_preload_length 0
		.amdhsa_user_sgpr_kernarg_preload_offset 0
		.amdhsa_user_sgpr_private_segment_size 0
		.amdhsa_uses_dynamic_stack 0
		.amdhsa_enable_private_segment 0
		.amdhsa_system_sgpr_workgroup_id_x 1
		.amdhsa_system_sgpr_workgroup_id_y 1
		.amdhsa_system_sgpr_workgroup_id_z 1
		.amdhsa_system_sgpr_workgroup_info 0
		.amdhsa_system_vgpr_workitem_id 0
		.amdhsa_next_free_vgpr 68
		.amdhsa_next_free_sgpr 42
		.amdhsa_accum_offset 64
		.amdhsa_reserve_vcc 1
		.amdhsa_float_round_mode_32 0
		.amdhsa_float_round_mode_16_64 0
		.amdhsa_float_denorm_mode_32 3
		.amdhsa_float_denorm_mode_16_64 3
		.amdhsa_dx10_clamp 1
		.amdhsa_ieee_mode 1
		.amdhsa_fp16_overflow 0
		.amdhsa_tg_split 0
		.amdhsa_exception_fp_ieee_invalid_op 0
		.amdhsa_exception_fp_denorm_src 0
		.amdhsa_exception_fp_ieee_div_zero 0
		.amdhsa_exception_fp_ieee_overflow 0
		.amdhsa_exception_fp_ieee_underflow 0
		.amdhsa_exception_fp_ieee_inexact 0
		.amdhsa_exception_int_div_zero 0
	.end_amdhsa_kernel
	.section	.text._Z38paged_attention_ll4mi_QKV_mfma4_kernelIDF16_hLN4vllm18Fp8KVCacheDataTypeE1EDF16_Li16ELi128ELi256ELb0ELi1EEvPKT_PKT0_S7_ifPKiS9_S9_iPKfiiiPfSC_PS2_PT2_iSB_SB_,"axG",@progbits,_Z38paged_attention_ll4mi_QKV_mfma4_kernelIDF16_hLN4vllm18Fp8KVCacheDataTypeE1EDF16_Li16ELi128ELi256ELb0ELi1EEvPKT_PKT0_S7_ifPKiS9_S9_iPKfiiiPfSC_PS2_PT2_iSB_SB_,comdat
.Lfunc_end988:
	.size	_Z38paged_attention_ll4mi_QKV_mfma4_kernelIDF16_hLN4vllm18Fp8KVCacheDataTypeE1EDF16_Li16ELi128ELi256ELb0ELi1EEvPKT_PKT0_S7_ifPKiS9_S9_iPKfiiiPfSC_PS2_PT2_iSB_SB_, .Lfunc_end988-_Z38paged_attention_ll4mi_QKV_mfma4_kernelIDF16_hLN4vllm18Fp8KVCacheDataTypeE1EDF16_Li16ELi128ELi256ELb0ELi1EEvPKT_PKT0_S7_ifPKiS9_S9_iPKfiiiPfSC_PS2_PT2_iSB_SB_
                                        ; -- End function
	.section	.AMDGPU.csdata,"",@progbits
; Kernel info:
; codeLenInByte = 5324
; NumSgprs: 48
; NumVgprs: 64
; NumAgprs: 4
; TotalNumVgprs: 68
; ScratchSize: 0
; MemoryBound: 0
; FloatMode: 240
; IeeeMode: 1
; LDSByteSize: 5280 bytes/workgroup (compile time only)
; SGPRBlocks: 5
; VGPRBlocks: 8
; NumSGPRsForWavesPerEU: 48
; NumVGPRsForWavesPerEU: 68
; AccumOffset: 64
; Occupancy: 7
; WaveLimiterHint : 1
; COMPUTE_PGM_RSRC2:SCRATCH_EN: 0
; COMPUTE_PGM_RSRC2:USER_SGPR: 2
; COMPUTE_PGM_RSRC2:TRAP_HANDLER: 0
; COMPUTE_PGM_RSRC2:TGID_X_EN: 1
; COMPUTE_PGM_RSRC2:TGID_Y_EN: 1
; COMPUTE_PGM_RSRC2:TGID_Z_EN: 1
; COMPUTE_PGM_RSRC2:TIDIG_COMP_CNT: 0
; COMPUTE_PGM_RSRC3_GFX90A:ACCUM_OFFSET: 15
; COMPUTE_PGM_RSRC3_GFX90A:TG_SPLIT: 0
	.section	.text._Z38paged_attention_ll4mi_QKV_mfma4_kernelIDF16_hLN4vllm18Fp8KVCacheDataTypeE1EDF16_Li16ELi128ELi256ELb0ELi2EEvPKT_PKT0_S7_ifPKiS9_S9_iPKfiiiPfSC_PS2_PT2_iSB_SB_,"axG",@progbits,_Z38paged_attention_ll4mi_QKV_mfma4_kernelIDF16_hLN4vllm18Fp8KVCacheDataTypeE1EDF16_Li16ELi128ELi256ELb0ELi2EEvPKT_PKT0_S7_ifPKiS9_S9_iPKfiiiPfSC_PS2_PT2_iSB_SB_,comdat
	.protected	_Z38paged_attention_ll4mi_QKV_mfma4_kernelIDF16_hLN4vllm18Fp8KVCacheDataTypeE1EDF16_Li16ELi128ELi256ELb0ELi2EEvPKT_PKT0_S7_ifPKiS9_S9_iPKfiiiPfSC_PS2_PT2_iSB_SB_ ; -- Begin function _Z38paged_attention_ll4mi_QKV_mfma4_kernelIDF16_hLN4vllm18Fp8KVCacheDataTypeE1EDF16_Li16ELi128ELi256ELb0ELi2EEvPKT_PKT0_S7_ifPKiS9_S9_iPKfiiiPfSC_PS2_PT2_iSB_SB_
	.globl	_Z38paged_attention_ll4mi_QKV_mfma4_kernelIDF16_hLN4vllm18Fp8KVCacheDataTypeE1EDF16_Li16ELi128ELi256ELb0ELi2EEvPKT_PKT0_S7_ifPKiS9_S9_iPKfiiiPfSC_PS2_PT2_iSB_SB_
	.p2align	8
	.type	_Z38paged_attention_ll4mi_QKV_mfma4_kernelIDF16_hLN4vllm18Fp8KVCacheDataTypeE1EDF16_Li16ELi128ELi256ELb0ELi2EEvPKT_PKT0_S7_ifPKiS9_S9_iPKfiiiPfSC_PS2_PT2_iSB_SB_,@function
_Z38paged_attention_ll4mi_QKV_mfma4_kernelIDF16_hLN4vllm18Fp8KVCacheDataTypeE1EDF16_Li16ELi128ELi256ELb0ELi2EEvPKT_PKT0_S7_ifPKiS9_S9_iPKfiiiPfSC_PS2_PT2_iSB_SB_: ; @_Z38paged_attention_ll4mi_QKV_mfma4_kernelIDF16_hLN4vllm18Fp8KVCacheDataTypeE1EDF16_Li16ELi128ELi256ELb0ELi2EEvPKT_PKT0_S7_ifPKiS9_S9_iPKfiiiPfSC_PS2_PT2_iSB_SB_
; %bb.0:
	s_load_dwordx2 s[20:21], s[0:1], 0x30
	s_mov_b32 s24, s3
	s_mov_b64 s[6:7], 0
	s_waitcnt lgkmcnt(0)
	s_cmp_lg_u64 s[20:21], 0
	s_cselect_b64 s[22:23], -1, 0
	s_and_b64 vcc, exec, s[22:23]
	s_cbranch_vccz .LBB989_10
; %bb.1:
	s_add_i32 s8, s2, 1
	s_mov_b32 s9, 0
	s_lshl_b64 s[10:11], s[8:9], 2
	s_add_u32 s10, s20, s10
	s_mov_b32 s3, s9
	s_addc_u32 s11, s21, s11
	s_lshl_b64 s[8:9], s[2:3], 2
	s_add_u32 s8, s20, s8
	s_addc_u32 s9, s21, s9
	s_load_dword s5, s[10:11], 0x0
	s_load_dword s12, s[8:9], 0x0
	s_waitcnt lgkmcnt(0)
	s_sub_i32 s5, s5, s12
	s_cmp_eq_u32 s5, 1
	s_cselect_b64 s[8:9], -1, 0
	s_andn2_b64 vcc, exec, s[6:7]
	s_cbranch_vccnz .LBB989_3
.LBB989_2:
	s_mov_b32 s3, 0
	s_mov_b64 s[8:9], -1
.LBB989_3:
	s_andn2_b64 vcc, exec, s[8:9]
	s_cbranch_vccnz .LBB989_25
; %bb.4:
	s_load_dword s5, s[0:1], 0x9c
	s_load_dwordx2 s[6:7], s[0:1], 0x28
	s_add_u32 s28, s0, 0x90
	s_addc_u32 s29, s1, 0
	s_lshl_b64 s[34:35], s[2:3], 2
	s_waitcnt lgkmcnt(0)
	s_and_b32 s5, s5, 0xffff
	s_add_u32 s6, s6, s34
	s_addc_u32 s7, s7, s35
	s_load_dword s3, s[6:7], 0x0
	s_mul_i32 s10, s24, s5
	s_waitcnt lgkmcnt(0)
	s_cmp_ge_i32 s10, s3
	s_cbranch_scc1 .LBB989_25
; %bb.5:
	v_and_b32_e32 v1, 0xc0, v0
	v_add_u32_e32 v4, s10, v1
	v_lshrrev_b32_e32 v38, 6, v0
	v_cmp_le_i32_e64 s[6:7], s3, v4
                                        ; implicit-def: $sgpr25
                                        ; implicit-def: $sgpr11
	s_and_saveexec_b64 s[8:9], s[6:7]
	s_xor_b64 s[8:9], exec, s[8:9]
	s_cbranch_execz .LBB989_7
; %bb.6:
	v_mul_u32_u24_e32 v1, 20, v38
	v_or_b32_e32 v1, 0x1400, v1
	v_mov_b32_e32 v2, 0x1450
	v_mov_b32_e32 v3, 0xff7fffff
	v_mad_u32_u24 v2, v38, 20, v2
	ds_write2_b32 v1, v3, v3 offset1:1
	v_mov_b32_e32 v1, 0
	ds_write2_b32 v2, v1, v1 offset1:1
	v_mov_b32_e32 v2, 0x1408
	v_mov_b32_e32 v4, 0x1458
	s_mov_b32 s11, 0xff7fffff
	s_mov_b32 s25, 0
	v_mad_u32_u24 v2, v38, 20, v2
	v_mad_u32_u24 v4, v38, 20, v4
	ds_write2_b32 v2, v3, v3 offset1:1
	ds_write2_b32 v4, v1, v1 offset1:1
                                        ; implicit-def: $vgpr4
.LBB989_7:
	s_or_saveexec_b64 s[30:31], s[8:9]
	s_load_dwordx2 s[26:27], s[0:1], 0x68
	s_load_dwordx4 s[16:19], s[0:1], 0x58
	s_load_dword s5, s[28:29], 0x4
	s_load_dwordx4 s[12:15], s[0:1], 0x80
	v_and_b32_e32 v1, 63, v0
	v_and_b32_e32 v39, 3, v0
	v_mov_b32_e32 v37, s25
	v_mov_b32_e32 v40, s11
	;; [unrolled: 1-line block ×5, first 2 shown]
                                        ; implicit-def: $vgpr26_vgpr27
                                        ; implicit-def: $vgpr18_vgpr19
                                        ; implicit-def: $vgpr22_vgpr23
                                        ; implicit-def: $vgpr30_vgpr31
                                        ; implicit-def: $vgpr10_vgpr11
                                        ; implicit-def: $vgpr2_vgpr3
                                        ; implicit-def: $vgpr6_vgpr7
                                        ; implicit-def: $vgpr14_vgpr15
	s_xor_b64 exec, exec, s[30:31]
	s_cbranch_execz .LBB989_17
; %bb.8:
	s_load_dwordx2 s[8:9], s[0:1], 0x20
	s_load_dword s11, s[0:1], 0x38
	s_add_i32 s25, s3, 15
	s_ashr_i32 s33, s25, 31
	s_lshr_b32 s33, s33, 28
	v_add_u32_e32 v40, s10, v0
	s_add_i32 s25, s25, s33
	v_ashrrev_i32_e32 v2, 31, v40
	s_ashr_i32 s25, s25, 4
	v_lshrrev_b32_e32 v2, 28, v2
	s_add_i32 s25, s25, -1
	s_waitcnt lgkmcnt(0)
	s_mul_i32 s36, s2, s11
	s_mov_b32 s37, 0
	v_add_u32_e32 v2, v40, v2
	s_lshl_b64 s[36:37], s[36:37], 2
	v_ashrrev_i32_e32 v2, 4, v2
	v_mov_b32_e32 v3, s25
	v_cmp_gt_i32_e32 vcc, s3, v40
	s_add_u32 s8, s8, s36
	s_addc_u32 s9, s9, s37
	v_cndmask_b32_e32 v2, v3, v2, vcc
	v_ashrrev_i32_e32 v3, 31, v2
	v_lshl_add_u64 v[10:11], v[2:3], 2, s[8:9]
	v_ashrrev_i32_e32 v2, 31, v4
	v_lshrrev_b32_e32 v2, 28, v2
	v_add_u32_e32 v2, v4, v2
	v_ashrrev_i32_e32 v6, 4, v2
	v_min_i32_e32 v2, s25, v6
	v_ashrrev_i32_e32 v3, 31, v2
	v_lshl_add_u64 v[4:5], v[2:3], 2, s[8:9]
	v_add_u32_e32 v2, 1, v6
	v_min_i32_e32 v2, s25, v2
	v_ashrrev_i32_e32 v3, 31, v2
	v_lshl_add_u64 v[12:13], v[2:3], 2, s[8:9]
	v_add_u32_e32 v2, 2, v6
	;; [unrolled: 4-line block ×3, first 2 shown]
	v_min_i32_e32 v2, s25, v2
	v_ashrrev_i32_e32 v3, 31, v2
	v_lshl_add_u64 v[16:17], v[2:3], 2, s[8:9]
	global_load_dword v2, v[10:11], off
	global_load_dword v6, v[4:5], off
	;; [unrolled: 1-line block ×5, first 2 shown]
	s_load_dwordx4 s[8:11], s[0:1], 0x8
	s_andn2_b64 vcc, exec, s[22:23]
	s_cbranch_vccnz .LBB989_11
; %bb.9:
	s_add_u32 s20, s20, s34
	s_addc_u32 s21, s21, s35
	s_load_dword s25, s[20:21], 0x0
	s_branch .LBB989_12
.LBB989_10:
	s_mov_b64 s[8:9], 0
	s_branch .LBB989_2
.LBB989_11:
	s_mov_b32 s25, s2
.LBB989_12:
	s_load_dwordx4 s[20:23], s[0:1], 0x48
	v_cmp_gt_u32_e32 vcc, 2, v39
	s_mov_b32 s37, 0
	v_mov_b32_e32 v5, 0
	v_mov_b32_e32 v34, 0
	;; [unrolled: 1-line block ×5, first 2 shown]
	s_and_saveexec_b64 s[34:35], vcc
	s_cbranch_execz .LBB989_14
; %bb.13:
	s_load_dwordx2 s[38:39], s[0:1], 0x0
	s_waitcnt lgkmcnt(0)
	s_ashr_i32 s23, s20, 31
	s_mul_hi_u32 s33, s25, s20
	s_mul_i32 s23, s25, s23
	s_add_i32 s41, s33, s23
	s_mul_i32 s40, s25, s20
	s_lshl_b64 s[40:41], s[40:41], 1
	s_add_u32 s20, s38, s40
	s_addc_u32 s23, s39, s41
	s_lshl_b32 s36, s4, 8
	s_lshl_b64 s[36:37], s[36:37], 1
	v_lshlrev_b32_e32 v3, 2, v1
	s_add_u32 s36, s20, s36
	v_and_b32_e32 v3, 0xf0, v3
	s_addc_u32 s37, s23, s37
	v_lshl_or_b32 v3, v39, 8, v3
	global_load_dwordx4 v[34:37], v3, s[36:37]
.LBB989_14:
	s_or_b64 exec, exec, s[34:35]
	s_waitcnt lgkmcnt(0)
	s_mul_i32 s20, s4, s22
	s_add_u32 s8, s20, s8
	s_addc_u32 s9, 0, s9
	v_mov_b64_e32 v[10:11], s[8:9]
	v_lshlrev_b32_e32 v4, 4, v0
	s_waitcnt vmcnt(4)
	v_mad_i64_i32 v[2:3], s[8:9], v2, s21, v[10:11]
	v_and_b32_e32 v4, 0xf0, v4
	v_lshl_add_u64 v[2:3], v[2:3], 0, v[4:5]
	global_load_dwordx4 v[10:13], v[2:3], off
	global_load_dwordx4 v[16:19], v[2:3], off offset:256
	s_waitcnt vmcnt(5)
	v_mul_hi_i32 v4, v6, s21
	s_waitcnt vmcnt(4)
	v_mul_hi_i32 v14, v7, s21
	;; [unrolled: 2-line block ×4, first 2 shown]
	v_ashrrev_i32_e32 v4, 31, v4
	v_ashrrev_i32_e32 v14, 31, v14
	;; [unrolled: 1-line block ×4, first 2 shown]
	v_mov_b32_e32 v15, v5
	v_mov_b32_e32 v21, v5
	;; [unrolled: 1-line block ×3, first 2 shown]
	v_lshrrev_b32_e32 v14, 29, v14
	v_lshrrev_b32_e32 v20, 29, v20
	;; [unrolled: 1-line block ×3, first 2 shown]
	s_add_u32 s8, s10, s20
	v_lshrrev_b32_e32 v4, 29, v4
	v_mad_i64_i32 v[14:15], s[22:23], v7, s21, v[14:15]
	v_mad_i64_i32 v[20:21], s[22:23], v8, s21, v[20:21]
	;; [unrolled: 1-line block ×3, first 2 shown]
	s_addc_u32 s9, s11, 0
	v_mad_i64_i32 v[6:7], s[10:11], v6, s21, v[4:5]
	v_and_b32_e32 v14, -8, v14
	v_and_b32_e32 v20, -8, v20
	;; [unrolled: 1-line block ×4, first 2 shown]
	v_lshl_add_u64 v[14:15], s[8:9], 0, v[14:15]
	v_lshl_add_u64 v[20:21], s[8:9], 0, v[20:21]
	;; [unrolled: 1-line block ×3, first 2 shown]
	v_lshlrev_b32_e32 v4, 4, v1
	v_lshl_add_u64 v[6:7], s[8:9], 0, v[6:7]
	v_lshl_add_u64 v[26:27], v[14:15], 0, v[4:5]
	;; [unrolled: 1-line block ×5, first 2 shown]
	s_load_dword s0, s[0:1], 0x1c
	v_cmp_eq_u32_e32 vcc, 0, v39
	s_load_dword s1, s[12:13], 0x0
	v_mov_b32_e32 v41, 0xff7fffff
	s_waitcnt vmcnt(1)
	v_cvt_pk_f32_fp8_e32 v[4:5], v10
	v_cvt_pk_f32_fp8_sdwa v[6:7], v10 src0_sel:WORD_1
	v_cvt_pk_f32_fp8_e32 v[8:9], v11
	v_cvt_pk_f32_fp8_sdwa v[10:11], v11 src0_sel:WORD_1
	v_cvt_pkrtz_f16_f32 v48, v4, v5
	v_cvt_pkrtz_f16_f32 v49, v6, v7
	global_load_dwordx4 v[4:7], v[2:3], off offset:512
	v_cvt_pkrtz_f16_f32 v54, v8, v9
	v_cvt_pkrtz_f16_f32 v55, v10, v11
	global_load_dwordx4 v[8:11], v[2:3], off offset:768
	v_cvt_pk_f32_fp8_e32 v[20:21], v12
	v_cvt_pk_f32_fp8_sdwa v[22:23], v12 src0_sel:WORD_1
	v_cvt_pk_f32_fp8_e32 v[24:25], v13
	v_cvt_pk_f32_fp8_sdwa v[12:13], v13 src0_sel:WORD_1
	v_cvt_pkrtz_f16_f32 v20, v20, v21
	v_cvt_pkrtz_f16_f32 v21, v22, v23
	;; [unrolled: 1-line block ×3, first 2 shown]
	global_load_dwordx4 v[22:25], v[2:3], off offset:1024
	s_waitcnt vmcnt(3)
	v_cvt_pk_f32_fp8_e32 v[28:29], v16
	v_cvt_pk_f32_fp8_sdwa v[30:31], v16 src0_sel:WORD_1
	v_cvt_pk_f32_fp8_e32 v[32:33], v17
	v_cvt_pkrtz_f16_f32 v57, v12, v13
	v_cvt_pkrtz_f16_f32 v12, v28, v29
	;; [unrolled: 1-line block ×4, first 2 shown]
	global_load_dwordx4 v[30:33], v[2:3], off offset:1280
	v_cvt_pk_f32_fp8_sdwa v[16:17], v17 src0_sel:WORD_1
	v_cvt_pk_f32_fp8_e32 v[42:43], v18
	v_cvt_pk_f32_fp8_sdwa v[44:45], v18 src0_sel:WORD_1
	v_mfma_f32_4x4x4_16b_f16 a[0:3], v[34:35], v[48:49], 0 cbsz:4
	v_cvt_pkrtz_f16_f32 v29, v16, v17
	v_cvt_pkrtz_f16_f32 v16, v42, v43
	;; [unrolled: 1-line block ×3, first 2 shown]
	v_cvt_pk_f32_fp8_e32 v[46:47], v19
	v_mfma_f32_4x4x4_16b_f16 a[0:3], v[36:37], v[54:55], a[0:3] cbsz:4
	v_cvt_pk_f32_fp8_sdwa v[18:19], v19 src0_sel:WORD_1
	v_cvt_pkrtz_f16_f32 v58, v46, v47
	v_mfma_f32_4x4x4_16b_f16 a[0:3], v[34:35], v[20:21], a[0:3] cbsz:4 abid:1
	v_cvt_pkrtz_f16_f32 v59, v18, v19
	global_load_dwordx4 v[46:49], v[2:3], off offset:1792
	v_mfma_f32_4x4x4_16b_f16 a[0:3], v[36:37], v[56:57], a[0:3] cbsz:4 abid:1
	s_waitcnt vmcnt(4)
	v_cvt_pk_f32_fp8_sdwa v[42:43], v4 src0_sel:WORD_1
	v_cvt_pk_f32_fp8_e32 v[18:19], v4
	v_mfma_f32_4x4x4_16b_f16 a[0:3], v[34:35], v[12:13], a[0:3] cbsz:4 abid:2
	s_waitcnt vmcnt(3)
	v_cvt_pk_f32_fp8_sdwa v[54:55], v11 src0_sel:WORD_1
	v_cvt_pkrtz_f16_f32 v61, v42, v43
	global_load_dwordx4 v[42:45], v[2:3], off offset:1536
	v_mfma_f32_4x4x4_16b_f16 a[0:3], v[36:37], v[28:29], a[0:3] cbsz:4 abid:2
	v_cvt_pkrtz_f16_f32 v60, v18, v19
	v_cvt_pk_f32_fp8_e32 v[18:19], v5
	v_cvt_pk_f32_fp8_sdwa v[4:5], v5 src0_sel:WORD_1
	v_mfma_f32_4x4x4_16b_f16 a[0:3], v[34:35], v[16:17], a[0:3] cbsz:4 abid:3
	v_cvt_pk_f32_fp8_e32 v[16:17], v6
	v_cvt_pkrtz_f16_f32 v12, v18, v19
	v_mfma_f32_4x4x4_16b_f16 a[0:3], v[36:37], v[58:59], a[0:3] cbsz:4 abid:3
	v_cvt_pkrtz_f16_f32 v13, v4, v5
	global_load_dwordx4 v[18:21], v[26:27], off
	global_load_dwordx4 v[2:5], v[26:27], off offset:1024
	v_mfma_f32_4x4x4_16b_f16 a[0:3], v[34:35], v[60:61], a[0:3] cbsz:4 abid:4
	v_cvt_pk_f32_fp8_sdwa v[26:27], v6 src0_sel:WORD_1
	v_cvt_pkrtz_f16_f32 v16, v16, v17
	v_mfma_f32_4x4x4_16b_f16 a[0:3], v[36:37], v[12:13], a[0:3] cbsz:4 abid:4
	v_cvt_pk_f32_fp8_e32 v[12:13], v7
	v_cvt_pk_f32_fp8_sdwa v[6:7], v7 src0_sel:WORD_1
	v_cvt_pkrtz_f16_f32 v17, v26, v27
	v_cvt_pk_f32_fp8_sdwa v[26:27], v8 src0_sel:WORD_1
	v_cvt_pkrtz_f16_f32 v12, v12, v13
	v_mfma_f32_4x4x4_16b_f16 a[0:3], v[34:35], v[16:17], a[0:3] cbsz:4 abid:5
	v_cvt_pk_f32_fp8_e32 v[16:17], v8
	v_cvt_pkrtz_f16_f32 v13, v6, v7
	v_cvt_pkrtz_f16_f32 v7, v26, v27
	global_load_dwordx4 v[26:29], v[52:53], off
	v_mfma_f32_4x4x4_16b_f16 a[0:3], v[36:37], v[12:13], a[0:3] cbsz:4 abid:5
	v_cvt_pk_f32_fp8_e32 v[12:13], v9
	v_cvt_pk_f32_fp8_sdwa v[8:9], v9 src0_sel:WORD_1
	v_cvt_pkrtz_f16_f32 v6, v16, v17
	v_cvt_pk_f32_fp8_e32 v[16:17], v11
	v_cvt_pkrtz_f16_f32 v12, v12, v13
	v_mfma_f32_4x4x4_16b_f16 a[0:3], v[34:35], v[6:7], a[0:3] cbsz:4 abid:6
	v_cvt_pkrtz_f16_f32 v13, v8, v9
	v_cvt_pk_f32_fp8_e32 v[6:7], v10
	v_cvt_pk_f32_fp8_sdwa v[8:9], v10 src0_sel:WORD_1
	v_mfma_f32_4x4x4_16b_f16 a[0:3], v[36:37], v[12:13], a[0:3] cbsz:4 abid:6
	global_load_dwordx4 v[10:13], v[52:53], off offset:1024
	v_cvt_pkrtz_f16_f32 v6, v6, v7
	v_cvt_pkrtz_f16_f32 v7, v8, v9
	;; [unrolled: 1-line block ×4, first 2 shown]
	v_mfma_f32_4x4x4_16b_f16 a[0:3], v[34:35], v[6:7], a[0:3] cbsz:4 abid:7
	s_waitcnt vmcnt(7)
	v_cvt_pk_f32_fp8_e32 v[6:7], v22
	v_cvt_pk_f32_fp8_e32 v[16:17], v23
	v_mfma_f32_4x4x4_16b_f16 a[0:3], v[36:37], v[8:9], a[0:3] cbsz:4 abid:7
	v_cvt_pk_f32_fp8_sdwa v[8:9], v22 src0_sel:WORD_1
	v_cvt_pk_f32_fp8_sdwa v[22:23], v23 src0_sel:WORD_1
	v_cvt_pkrtz_f16_f32 v6, v6, v7
	v_cvt_pk_f32_fp8_sdwa v[52:53], v25 src0_sel:WORD_1
	v_cvt_pkrtz_f16_f32 v7, v8, v9
	v_cvt_pkrtz_f16_f32 v8, v16, v17
	;; [unrolled: 1-line block ×3, first 2 shown]
	v_mfma_f32_4x4x4_16b_f16 a[0:3], v[34:35], v[6:7], a[0:3] cbsz:4 abid:8
	v_cvt_pk_f32_fp8_e32 v[6:7], v24
	v_cvt_pk_f32_fp8_e32 v[16:17], v25
	v_mfma_f32_4x4x4_16b_f16 a[0:3], v[36:37], v[8:9], a[0:3] cbsz:4 abid:8
	v_cvt_pk_f32_fp8_sdwa v[8:9], v24 src0_sel:WORD_1
	v_cvt_pkrtz_f16_f32 v6, v6, v7
	global_load_dwordx4 v[22:25], v[50:51], off
	v_cvt_pkrtz_f16_f32 v7, v8, v9
	v_cvt_pkrtz_f16_f32 v8, v16, v17
	s_nop 0
	v_mfma_f32_4x4x4_16b_f16 a[0:3], v[34:35], v[6:7], a[0:3] cbsz:4 abid:9
	v_cvt_pkrtz_f16_f32 v9, v52, v53
	s_waitcnt vmcnt(7)
	v_cvt_pk_f32_fp8_e32 v[6:7], v30
	v_cvt_pk_f32_fp8_e32 v[16:17], v31
	v_mfma_f32_4x4x4_16b_f16 a[0:3], v[36:37], v[8:9], a[0:3] cbsz:4 abid:9
	v_cvt_pk_f32_fp8_sdwa v[8:9], v30 src0_sel:WORD_1
	v_cvt_pk_f32_fp8_sdwa v[52:53], v31 src0_sel:WORD_1
	v_cvt_pkrtz_f16_f32 v30, v6, v7
	v_cvt_pkrtz_f16_f32 v16, v16, v17
	;; [unrolled: 1-line block ×3, first 2 shown]
	global_load_dwordx4 v[6:9], v[50:51], off offset:1024
	v_cvt_pkrtz_f16_f32 v17, v52, v53
	v_mfma_f32_4x4x4_16b_f16 a[0:3], v[34:35], v[30:31], a[0:3] cbsz:4 abid:10
	v_cvt_pk_f32_fp8_sdwa v[30:31], v32 src0_sel:WORD_1
	v_cvt_pk_f32_fp8_e32 v[50:51], v33
	v_mfma_f32_4x4x4_16b_f16 a[0:3], v[36:37], v[16:17], a[0:3] cbsz:4 abid:10
	v_cvt_pk_f32_fp8_e32 v[16:17], v32
	v_cvt_pk_f32_fp8_sdwa v[32:33], v33 src0_sel:WORD_1
	s_waitcnt vmcnt(6)
	v_cvt_pk_f32_fp8_e32 v[52:53], v45
	v_cvt_pkrtz_f16_f32 v16, v16, v17
	v_cvt_pkrtz_f16_f32 v17, v30, v31
	v_cvt_pkrtz_f16_f32 v30, v50, v51
	v_cvt_pkrtz_f16_f32 v31, v32, v33
	v_mfma_f32_4x4x4_16b_f16 a[0:3], v[34:35], v[16:17], a[0:3] cbsz:4 abid:11
	v_cvt_pk_f32_fp8_e32 v[16:17], v42
	v_cvt_pk_f32_fp8_e32 v[50:51], v43
	v_mfma_f32_4x4x4_16b_f16 a[0:3], v[36:37], v[30:31], a[0:3] cbsz:4 abid:11
	v_cvt_pk_f32_fp8_sdwa v[30:31], v42 src0_sel:WORD_1
	v_cvt_pkrtz_f16_f32 v16, v16, v17
	v_cvt_pk_f32_fp8_sdwa v[42:43], v43 src0_sel:WORD_1
	v_cvt_pkrtz_f16_f32 v50, v50, v51
	v_cvt_pkrtz_f16_f32 v17, v30, v31
	global_load_dwordx4 v[30:33], v[14:15], off
	v_cvt_pkrtz_f16_f32 v51, v42, v43
	v_mfma_f32_4x4x4_16b_f16 a[0:3], v[34:35], v[16:17], a[0:3] cbsz:4 abid:12
	global_load_dwordx4 v[14:17], v[14:15], off offset:1024
	v_cvt_pk_f32_fp8_e32 v[42:43], v44
	v_mfma_f32_4x4x4_16b_f16 a[0:3], v[36:37], v[50:51], a[0:3] cbsz:4 abid:12
	v_cvt_pk_f32_fp8_sdwa v[50:51], v44 src0_sel:WORD_1
	v_cvt_pk_f32_fp8_sdwa v[44:45], v45 src0_sel:WORD_1
	v_cvt_pkrtz_f16_f32 v42, v42, v43
	v_cvt_pkrtz_f16_f32 v43, v50, v51
	;; [unrolled: 1-line block ×3, first 2 shown]
	s_nop 0
	v_mfma_f32_4x4x4_16b_f16 a[0:3], v[34:35], v[42:43], a[0:3] cbsz:4 abid:13
	v_cvt_pk_f32_fp8_e32 v[42:43], v46
	v_cvt_pk_f32_fp8_sdwa v[44:45], v46 src0_sel:WORD_1
	v_cvt_pkrtz_f16_f32 v50, v52, v53
	v_cvt_pkrtz_f16_f32 v42, v42, v43
	s_nop 0
	v_mfma_f32_4x4x4_16b_f16 a[0:3], v[36:37], v[50:51], a[0:3] cbsz:4 abid:13
	v_cvt_pk_f32_fp8_e32 v[50:51], v47
	v_cvt_pk_f32_fp8_sdwa v[46:47], v47 src0_sel:WORD_1
	v_cvt_pkrtz_f16_f32 v43, v44, v45
	v_cvt_pkrtz_f16_f32 v44, v50, v51
	s_nop 0
	v_mfma_f32_4x4x4_16b_f16 a[0:3], v[34:35], v[42:43], a[0:3] cbsz:4 abid:14
	v_cvt_pkrtz_f16_f32 v45, v46, v47
	v_cvt_pk_f32_fp8_e32 v[42:43], v48
	v_cvt_pk_f32_fp8_e32 v[46:47], v49
	v_mfma_f32_4x4x4_16b_f16 a[0:3], v[36:37], v[44:45], a[0:3] cbsz:4 abid:14
	v_cvt_pk_f32_fp8_sdwa v[44:45], v48 src0_sel:WORD_1
	v_cvt_pk_f32_fp8_sdwa v[48:49], v49 src0_sel:WORD_1
	v_cvt_pkrtz_f16_f32 v42, v42, v43
	v_cvt_pkrtz_f16_f32 v43, v44, v45
	;; [unrolled: 1-line block ×3, first 2 shown]
	s_nop 0
	v_mfma_f32_4x4x4_16b_f16 a[0:3], v[34:35], v[42:43], a[0:3] cbsz:4 abid:15
	v_cvt_pkrtz_f16_f32 v45, v48, v49
	s_waitcnt lgkmcnt(0)
	v_mov_b32_e32 v34, s0
	v_mfma_f32_4x4x4_16b_f16 a[0:3], v[36:37], v[44:45], a[0:3] cbsz:4 abid:15
	v_mul_f32_e32 v36, s1, v34
	s_nop 3
	v_accvgpr_read_b32 v43, a1
	v_accvgpr_read_b32 v42, a0
	v_pk_mul_f32 v[42:43], v[42:43], v[36:37] op_sel_hi:[1,0]
	v_accvgpr_read_b32 v35, a3
	v_accvgpr_read_b32 v34, a2
	v_pk_mul_f32 v[34:35], v[34:35], v[36:37] op_sel_hi:[1,0]
	v_cndmask_b32_e64 v36, 0, 1.0, vcc
	v_cmp_eq_u32_e32 vcc, 1, v39
	s_nop 0
	v_mfma_f32_4x4x1_16b_f32 a[0:3], v42, v36, 0
	v_cndmask_b32_e64 v36, 0, 1.0, vcc
	v_cmp_eq_u32_e32 vcc, 2, v39
	s_nop 0
	v_mfma_f32_4x4x1_16b_f32 a[0:3], v43, v36, a[0:3]
	;; [unrolled: 4-line block ×3, first 2 shown]
	v_cndmask_b32_e64 v34, 0, 1.0, vcc
	s_nop 1
	v_mfma_f32_4x4x1_16b_f32 a[0:3], v35, v34, a[0:3]
	v_and_b32_e32 v34, -4, v40
	v_cmp_gt_i32_e32 vcc, s3, v34
	v_lshlrev_b32_e32 v35, 2, v0
	v_and_or_b32 v35, v35, 48, v39
	v_accvgpr_read_b32 v36, a0
	v_max_f32_e32 v37, v36, v36
	v_max_f32_e32 v37, 0xff7fffff, v37
	v_accvgpr_read_b32 v42, a1
	v_cndmask_b32_e32 v37, v41, v37, vcc
	v_or_b32_e32 v41, 1, v34
	v_max_f32_e32 v43, v42, v42
	v_max_f32_e32 v43, v37, v43
	v_cmp_gt_i32_e64 s[0:1], s3, v41
	v_accvgpr_read_b32 v41, a2
	v_or_b32_e32 v34, 2, v34
	v_cndmask_b32_e64 v37, v37, v43, s[0:1]
	v_max_f32_e32 v43, v41, v41
	v_max_f32_e32 v43, v37, v43
	v_cmp_gt_i32_e64 s[8:9], s3, v34
	v_lshlrev_b32_e32 v44, 2, v35
	s_nop 0
	v_cndmask_b32_e64 v34, v37, v43, s[8:9]
	v_accvgpr_read_b32 v43, a3
	v_or_b32_e32 v37, 3, v40
	v_max_f32_e32 v40, v43, v43
	v_max_f32_e32 v40, v34, v40
	v_cmp_gt_i32_e64 s[10:11], s3, v37
	s_nop 1
	v_cndmask_b32_e64 v34, v34, v40, s[10:11]
	;;#ASMSTART
	v_nop
 v_nop
 v_max_f32_dpp v34, v34, v34 row_ror:4
	;;#ASMEND
	s_nop 0
	;;#ASMSTART
	v_nop
 v_nop
 v_max_f32_dpp v34, v34, v34 row_ror:8
	;;#ASMEND
	ds_bpermute_b32 v34, v44, v34
	s_waitcnt lgkmcnt(0)
	;;#ASMSTART
	v_nop
 v_nop
 v_max_f32_dpp v34, v34, v34 row_ror:4
	;;#ASMEND
	s_nop 0
	;;#ASMSTART
	v_nop
 v_nop
 v_max_f32_dpp v40, v34, v34 row_ror:8
	;;#ASMEND
	s_nop 0
	v_sub_f32_e32 v34, v36, v40
	v_mul_f32_e32 v34, 0x3fb8aa3b, v34
	v_sub_f32_e32 v35, v42, v40
	v_exp_f32_e32 v34, v34
	v_mul_f32_e32 v35, 0x3fb8aa3b, v35
	v_sub_f32_e32 v37, v41, v40
	v_exp_f32_e32 v35, v35
	;; [unrolled: 3-line block ×3, first 2 shown]
	v_mul_f32_e32 v41, 0x3fb8aa3b, v41
	v_exp_f32_e32 v41, v41
	v_cndmask_b32_e32 v34, 0, v34, vcc
	v_add_f32_e32 v36, 0, v34
	v_cndmask_b32_e64 v35, 0, v35, s[0:1]
	v_add_f32_e32 v42, v36, v35
	v_cndmask_b32_e64 v36, 0, v37, s[8:9]
	;; [unrolled: 2-line block ×3, first 2 shown]
	v_add_f32_e32 v41, v42, v37
	;;#ASMSTART
	v_nop
 v_nop
 v_add_f32_dpp v41, v41, v41 row_ror:4
	;;#ASMEND
	v_cmp_gt_u32_e32 vcc, 4, v1
	;;#ASMSTART
	v_nop
 v_nop
 v_add_f32_dpp v41, v41, v41 row_ror:8
	;;#ASMEND
	ds_bpermute_b32 v41, v44, v41
	s_waitcnt lgkmcnt(0)
	;;#ASMSTART
	v_nop
 v_nop
 v_add_f32_dpp v41, v41, v41 row_ror:4
	;;#ASMEND
	s_nop 0
	;;#ASMSTART
	v_nop
 v_nop
 v_add_f32_dpp v41, v41, v41 row_ror:8
	;;#ASMEND
	s_and_saveexec_b64 s[0:1], vcc
	s_cbranch_execz .LBB989_16
; %bb.15:
	v_mul_u32_u24_e32 v42, 20, v38
	v_lshl_add_u32 v42, v39, 2, v42
	v_add_u32_e32 v42, 0x1400, v42
	ds_write2_b32 v42, v40, v41 offset1:20
.LBB989_16:
	s_or_b64 exec, exec, s[0:1]
.LBB989_17:
	s_or_b64 exec, exec, s[30:31]
	s_waitcnt lgkmcnt(0)
	s_barrier
	s_load_dword s0, s[28:29], 0x8
	v_lshlrev_b32_e32 v41, 2, v39
	v_add_u32_e32 v48, 0x1400, v41
	ds_read2_b32 v[42:43], v48 offset1:5
	ds_read2_b32 v[44:45], v48 offset0:10 offset1:15
	s_mul_i32 s1, s2, s5
	s_waitcnt lgkmcnt(0)
	s_mul_i32 s1, s1, s0
	s_lshl_b32 s0, s1, 1
	s_mov_b32 s1, 0xff7fffff
	v_max3_f32 v41, v42, s1, v43
	v_max3_f32 v41, v41, v44, v45
	v_sub_f32_e32 v42, v42, v41
	ds_read2_b32 v[46:47], v48 offset0:20 offset1:25
	v_mul_f32_e32 v42, 0x3fb8aa3b, v42
	v_sub_f32_e32 v43, v43, v41
	v_exp_f32_e32 v42, v42
	v_mul_f32_e32 v43, 0x3fb8aa3b, v43
	v_sub_f32_e32 v44, v44, v41
	v_exp_f32_e32 v43, v43
	ds_read2_b32 v[48:49], v48 offset0:30 offset1:35
	v_mul_f32_e32 v44, 0x3fb8aa3b, v44
	v_sub_f32_e32 v45, v45, v41
	v_exp_f32_e32 v44, v44
	v_mul_f32_e32 v45, 0x3fb8aa3b, v45
	v_exp_f32_e32 v45, v45
	s_waitcnt lgkmcnt(1)
	v_fma_f32 v42, v42, v46, 0
	v_fmac_f32_e32 v42, v43, v47
	s_waitcnt lgkmcnt(0)
	v_fmac_f32_e32 v42, v44, v48
	s_lshl_b32 s8, s4, 1
	v_fmac_f32_e32 v42, v45, v49
	v_cmp_gt_u32_e32 vcc, 2, v39
	s_and_saveexec_b64 s[2:3], vcc
	s_cbranch_execz .LBB989_19
; %bb.18:
	s_mov_b32 s1, 0
	s_lshl_b64 s[10:11], s[0:1], 2
	s_add_u32 s4, s16, s10
	s_mov_b32 s25, s1
	s_addc_u32 s9, s17, s11
	s_lshl_b64 s[12:13], s[24:25], 2
	s_add_u32 s16, s4, s12
	s_addc_u32 s17, s9, s13
	s_add_u32 s1, s18, s10
	s_addc_u32 s4, s19, s11
	v_or_b32_e32 v39, s8, v39
	s_add_u32 s10, s1, s12
	v_mul_lo_u32 v44, s5, v39
	v_mov_b32_e32 v45, 0
	s_addc_u32 s11, s4, s13
	v_lshlrev_b64 v[44:45], 2, v[44:45]
	v_lshl_add_u64 v[46:47], s[16:17], 0, v[44:45]
	v_lshl_add_u64 v[44:45], s[10:11], 0, v[44:45]
	global_store_dword v[44:45], v41, off
	global_store_dword v[46:47], v42, off
.LBB989_19:
	s_or_b64 exec, exec, s[2:3]
	v_lshlrev_b32_e32 v38, 3, v38
	s_and_saveexec_b64 s[2:3], s[6:7]
	s_xor_b64 s[2:3], exec, s[2:3]
	s_cbranch_execz .LBB989_21
; %bb.20:
	s_mov_b32 s6, 0
	s_mov_b32 s7, s6
	s_waitcnt vmcnt(6)
	v_mad_u32_u24 v4, v1, 40, v38
	v_mov_b64_e32 v[2:3], s[6:7]
	ds_write2st64_b64 v4, v[2:3], v[2:3] offset1:5
                                        ; implicit-def: $vgpr37
                                        ; implicit-def: $vgpr35
                                        ; implicit-def: $vgpr40
                                        ; implicit-def: $vgpr26_vgpr27
                                        ; implicit-def: $vgpr18_vgpr19
                                        ; implicit-def: $vgpr22_vgpr23
                                        ; implicit-def: $vgpr30_vgpr31
                                        ; implicit-def: $vgpr10_vgpr11
                                        ; implicit-def: $vgpr2_vgpr3
                                        ; implicit-def: $vgpr6_vgpr7
                                        ; implicit-def: $vgpr14_vgpr15
                                        ; implicit-def: $vgpr41
                                        ; implicit-def: $vgpr42
                                        ; implicit-def: $vgpr38
.LBB989_21:
	s_andn2_saveexec_b64 s[2:3], s[2:3]
	s_cbranch_execz .LBB989_23
; %bb.22:
	v_add_f32_e32 v39, 0x358637bd, v42
	v_div_scale_f32 v42, s[6:7], v39, v39, 1.0
	v_rcp_f32_e32 v43, v42
	v_sub_f32_e32 v40, v40, v41
	v_mul_f32_e32 v40, 0x3fb8aa3b, v40
	v_exp_f32_e32 v40, v40
	v_fma_f32 v41, -v42, v43, 1.0
	v_fmac_f32_e32 v43, v41, v43
	v_div_scale_f32 v41, vcc, 1.0, v39, 1.0
	v_mul_f32_e32 v44, v41, v43
	v_fma_f32 v45, -v42, v44, v41
	v_fmac_f32_e32 v44, v45, v43
	v_fma_f32 v41, -v42, v44, v41
	v_div_fmas_f32 v41, v41, v43, v44
	v_div_fixup_f32 v39, v41, v39, 1.0
	v_mul_f32_e32 v40, v40, v39
	v_pk_mul_f32 v[36:37], v[36:37], v[40:41] op_sel_hi:[1,0]
	v_pk_mul_f32 v[34:35], v[34:35], v[40:41] op_sel_hi:[1,0]
	v_cvt_f16_f32_e32 v36, v36
	v_cvt_f16_f32_e32 v34, v34
	;; [unrolled: 1-line block ×4, first 2 shown]
	s_waitcnt vmcnt(5)
	v_cvt_pk_f32_fp8_sdwa v[40:41], v26 src0_sel:WORD_1
	v_cvt_pk_f32_fp8_e32 v[42:43], v27
	v_pack_b32_f16 v34, v34, v35
	v_pack_b32_f16 v35, v36, v37
	v_cvt_pk_f32_fp8_e32 v[36:37], v26
	v_cvt_pk_f32_fp8_sdwa v[26:27], v27 src0_sel:WORD_1
	s_load_dword s4, s[14:15], 0x0
	v_cvt_pkrtz_f16_f32 v36, v36, v37
	v_cvt_pkrtz_f16_f32 v37, v40, v41
	;; [unrolled: 1-line block ×4, first 2 shown]
	v_mfma_f32_4x4x4_16b_f16 a[0:3], v[34:35], v[36:37], 0 cbsz:4
	v_cvt_pk_f32_fp8_e32 v[26:27], v28
	v_cvt_pk_f32_fp8_sdwa v[36:37], v28 src0_sel:WORD_1
	v_mfma_f32_4x4x4_16b_f16 a[0:3], v[34:35], v[40:41], a[0:3] cbsz:4 abid:1
	v_cvt_pk_f32_fp8_e32 v[40:41], v29
	v_cvt_pk_f32_fp8_sdwa v[28:29], v29 src0_sel:WORD_1
	v_cvt_pkrtz_f16_f32 v26, v26, v27
	v_cvt_pkrtz_f16_f32 v27, v36, v37
	v_cvt_pkrtz_f16_f32 v36, v40, v41
	v_cvt_pkrtz_f16_f32 v37, v28, v29
	v_mfma_f32_4x4x4_16b_f16 a[0:3], v[34:35], v[26:27], a[0:3] cbsz:4 abid:2
	v_cvt_pk_f32_fp8_e32 v[26:27], v18
	v_cvt_pk_f32_fp8_sdwa v[28:29], v18 src0_sel:WORD_1
	v_mfma_f32_4x4x4_16b_f16 a[0:3], v[34:35], v[36:37], a[0:3] cbsz:4 abid:3
	v_cvt_pk_f32_fp8_e32 v[36:37], v19
	v_cvt_pk_f32_fp8_sdwa v[18:19], v19 src0_sel:WORD_1
	v_cvt_pkrtz_f16_f32 v26, v26, v27
	v_cvt_pkrtz_f16_f32 v27, v28, v29
	v_cvt_pkrtz_f16_f32 v28, v36, v37
	v_cvt_pkrtz_f16_f32 v29, v18, v19
	v_mfma_f32_4x4x4_16b_f16 a[0:3], v[34:35], v[26:27], a[0:3] cbsz:4 abid:4
	;; [unrolled: 10-line block ×3, first 2 shown]
	s_waitcnt vmcnt(3)
	v_cvt_pk_f32_fp8_e32 v[18:19], v22
	v_cvt_pk_f32_fp8_sdwa v[20:21], v22 src0_sel:WORD_1
	v_mfma_f32_4x4x4_16b_f16 a[0:3], v[34:35], v[26:27], a[0:3] cbsz:4 abid:7
	v_cvt_pk_f32_fp8_e32 v[26:27], v23
	v_cvt_pk_f32_fp8_sdwa v[22:23], v23 src0_sel:WORD_1
	v_cvt_pkrtz_f16_f32 v18, v18, v19
	v_cvt_pkrtz_f16_f32 v19, v20, v21
	v_cvt_pkrtz_f16_f32 v20, v26, v27
	v_cvt_pkrtz_f16_f32 v21, v22, v23
	v_mfma_f32_4x4x4_16b_f16 a[0:3], v[34:35], v[18:19], a[0:3] cbsz:4 abid:8
	v_cvt_pk_f32_fp8_e32 v[18:19], v24
	v_cvt_pk_f32_fp8_e32 v[22:23], v25
	v_mfma_f32_4x4x4_16b_f16 a[0:3], v[34:35], v[20:21], a[0:3] cbsz:4 abid:9
	v_cvt_pk_f32_fp8_sdwa v[20:21], v24 src0_sel:WORD_1
	v_cvt_pk_f32_fp8_sdwa v[24:25], v25 src0_sel:WORD_1
	v_cvt_pkrtz_f16_f32 v18, v18, v19
	v_cvt_pkrtz_f16_f32 v19, v20, v21
	;; [unrolled: 1-line block ×3, first 2 shown]
	s_nop 0
	v_mfma_f32_4x4x4_16b_f16 a[0:3], v[34:35], v[18:19], a[0:3] cbsz:4 abid:10
	v_cvt_pkrtz_f16_f32 v21, v24, v25
	s_waitcnt vmcnt(1)
	v_cvt_pk_f32_fp8_e32 v[18:19], v30
	v_cvt_pk_f32_fp8_e32 v[22:23], v31
	v_mfma_f32_4x4x4_16b_f16 a[0:3], v[34:35], v[20:21], a[0:3] cbsz:4 abid:11
	v_cvt_pk_f32_fp8_sdwa v[20:21], v30 src0_sel:WORD_1
	v_cvt_pk_f32_fp8_sdwa v[24:25], v31 src0_sel:WORD_1
	v_cvt_pkrtz_f16_f32 v18, v18, v19
	v_cvt_pkrtz_f16_f32 v19, v20, v21
	;; [unrolled: 1-line block ×3, first 2 shown]
	s_nop 0
	v_mfma_f32_4x4x4_16b_f16 a[0:3], v[34:35], v[18:19], a[0:3] cbsz:4 abid:12
	v_cvt_pkrtz_f16_f32 v21, v24, v25
	v_cvt_pk_f32_fp8_e32 v[18:19], v32
	v_cvt_pk_f32_fp8_e32 v[22:23], v33
	v_mfma_f32_4x4x4_16b_f16 a[0:3], v[34:35], v[20:21], a[0:3] cbsz:4 abid:13
	v_cvt_pk_f32_fp8_sdwa v[20:21], v32 src0_sel:WORD_1
	v_cvt_pk_f32_fp8_sdwa v[24:25], v33 src0_sel:WORD_1
	v_cvt_pkrtz_f16_f32 v18, v18, v19
	v_cvt_pkrtz_f16_f32 v19, v20, v21
	v_cvt_pkrtz_f16_f32 v20, v22, v23
	s_nop 0
	v_mfma_f32_4x4x4_16b_f16 a[0:3], v[34:35], v[18:19], a[0:3] cbsz:4 abid:14
	v_cvt_pkrtz_f16_f32 v21, v24, v25
	v_cvt_pk_f32_fp8_sdwa v[22:23], v10 src0_sel:WORD_1
	v_cvt_pk_f32_fp8_e32 v[24:25], v11
	v_mfma_f32_4x4x4_16b_f16 a[0:3], v[34:35], v[20:21], a[0:3] cbsz:4 abid:15
	s_nop 4
	v_accvgpr_read_b32 v19, a1
	v_accvgpr_read_b32 v18, a0
	s_waitcnt lgkmcnt(0)
	v_pk_mul_f32 v[18:19], v[18:19], s[4:5] op_sel_hi:[1,0]
	s_nop 0
	v_cvt_f16_f32_e32 v20, v18
	v_cvt_f16_f32_e32 v21, v19
	v_accvgpr_read_b32 v19, a3
	v_accvgpr_read_b32 v18, a2
	v_pk_mul_f32 v[18:19], v[18:19], s[4:5] op_sel_hi:[1,0]
	v_pack_b32_f16 v20, v20, v21
	v_cvt_f16_f32_e32 v21, v18
	v_cvt_f16_f32_e32 v26, v19
	v_cvt_pk_f32_fp8_e32 v[18:19], v10
	v_cvt_pk_f32_fp8_sdwa v[10:11], v11 src0_sel:WORD_1
	v_pack_b32_f16 v21, v21, v26
	v_cvt_pkrtz_f16_f32 v18, v18, v19
	v_cvt_pkrtz_f16_f32 v19, v22, v23
	;; [unrolled: 1-line block ×4, first 2 shown]
	v_mfma_f32_4x4x4_16b_f16 a[0:3], v[34:35], v[18:19], 0 cbsz:4
	v_cvt_pk_f32_fp8_e32 v[10:11], v12
	v_cvt_pk_f32_fp8_sdwa v[18:19], v12 src0_sel:WORD_1
	v_mfma_f32_4x4x4_16b_f16 a[0:3], v[34:35], v[22:23], a[0:3] cbsz:4 abid:1
	v_cvt_pk_f32_fp8_e32 v[22:23], v13
	v_cvt_pk_f32_fp8_sdwa v[12:13], v13 src0_sel:WORD_1
	v_cvt_pkrtz_f16_f32 v10, v10, v11
	v_cvt_pkrtz_f16_f32 v11, v18, v19
	v_cvt_pkrtz_f16_f32 v18, v22, v23
	v_cvt_pkrtz_f16_f32 v19, v12, v13
	v_mfma_f32_4x4x4_16b_f16 a[0:3], v[34:35], v[10:11], a[0:3] cbsz:4 abid:2
	v_cvt_pk_f32_fp8_e32 v[10:11], v2
	v_cvt_pk_f32_fp8_sdwa v[12:13], v2 src0_sel:WORD_1
	v_mfma_f32_4x4x4_16b_f16 a[0:3], v[34:35], v[18:19], a[0:3] cbsz:4 abid:3
	v_cvt_pk_f32_fp8_e32 v[18:19], v3
	v_cvt_pk_f32_fp8_sdwa v[2:3], v3 src0_sel:WORD_1
	v_cvt_pkrtz_f16_f32 v10, v10, v11
	v_cvt_pkrtz_f16_f32 v11, v12, v13
	v_cvt_pkrtz_f16_f32 v12, v18, v19
	v_cvt_pkrtz_f16_f32 v13, v2, v3
	v_mfma_f32_4x4x4_16b_f16 a[0:3], v[34:35], v[10:11], a[0:3] cbsz:4 abid:4
	;; [unrolled: 10-line block ×4, first 2 shown]
	v_cvt_pk_f32_fp8_e32 v[2:3], v8
	v_cvt_pk_f32_fp8_e32 v[6:7], v9
	v_mfma_f32_4x4x4_16b_f16 a[0:3], v[34:35], v[4:5], a[0:3] cbsz:4 abid:9
	v_cvt_pk_f32_fp8_sdwa v[4:5], v8 src0_sel:WORD_1
	v_cvt_pk_f32_fp8_sdwa v[8:9], v9 src0_sel:WORD_1
	v_cvt_pkrtz_f16_f32 v2, v2, v3
	v_cvt_pkrtz_f16_f32 v3, v4, v5
	;; [unrolled: 1-line block ×3, first 2 shown]
	s_nop 0
	v_mfma_f32_4x4x4_16b_f16 a[0:3], v[34:35], v[2:3], a[0:3] cbsz:4 abid:10
	v_cvt_pkrtz_f16_f32 v5, v8, v9
	s_waitcnt vmcnt(0)
	v_cvt_pk_f32_fp8_e32 v[2:3], v14
	v_cvt_pk_f32_fp8_e32 v[6:7], v15
	v_mfma_f32_4x4x4_16b_f16 a[0:3], v[34:35], v[4:5], a[0:3] cbsz:4 abid:11
	v_cvt_pk_f32_fp8_sdwa v[4:5], v14 src0_sel:WORD_1
	v_cvt_pk_f32_fp8_sdwa v[8:9], v15 src0_sel:WORD_1
	v_cvt_pkrtz_f16_f32 v2, v2, v3
	v_cvt_pkrtz_f16_f32 v3, v4, v5
	;; [unrolled: 1-line block ×3, first 2 shown]
	s_nop 0
	v_mfma_f32_4x4x4_16b_f16 a[0:3], v[34:35], v[2:3], a[0:3] cbsz:4 abid:12
	v_cvt_pkrtz_f16_f32 v5, v8, v9
	v_cvt_pk_f32_fp8_e32 v[2:3], v16
	v_cvt_pk_f32_fp8_e32 v[6:7], v17
	v_mfma_f32_4x4x4_16b_f16 a[0:3], v[34:35], v[4:5], a[0:3] cbsz:4 abid:13
	v_cvt_pk_f32_fp8_sdwa v[4:5], v16 src0_sel:WORD_1
	v_cvt_pk_f32_fp8_sdwa v[8:9], v17 src0_sel:WORD_1
	v_cvt_pkrtz_f16_f32 v2, v2, v3
	v_cvt_pkrtz_f16_f32 v3, v4, v5
	;; [unrolled: 1-line block ×3, first 2 shown]
	s_nop 0
	v_mfma_f32_4x4x4_16b_f16 a[0:3], v[34:35], v[2:3], a[0:3] cbsz:4 abid:14
	v_cvt_pkrtz_f16_f32 v5, v8, v9
	v_mad_u32_u24 v7, v1, 40, v38
	s_nop 0
	v_mfma_f32_4x4x4_16b_f16 a[0:3], v[34:35], v[4:5], a[0:3] cbsz:4 abid:15
	s_nop 4
	v_accvgpr_read_b32 v5, a1
	v_accvgpr_read_b32 v3, a3
	;; [unrolled: 1-line block ×4, first 2 shown]
	v_pk_mul_f32 v[2:3], v[2:3], s[4:5] op_sel_hi:[1,0]
	v_pk_mul_f32 v[4:5], v[4:5], s[4:5] op_sel_hi:[1,0]
	v_cvt_f16_f32_e32 v6, v2
	v_cvt_f16_f32_e32 v4, v4
	;; [unrolled: 1-line block ×4, first 2 shown]
	v_pack_b32_f16 v2, v4, v5
	v_pack_b32_f16 v3, v6, v3
	ds_write2st64_b64 v7, v[20:21], v[2:3] offset1:5
.LBB989_23:
	s_or_b64 exec, exec, s[2:3]
	v_cmp_gt_u32_e32 vcc, 64, v0
	s_waitcnt lgkmcnt(0)
	s_barrier
	s_and_saveexec_b64 s[2:3], vcc
	s_cbranch_execz .LBB989_25
; %bb.24:
	s_waitcnt vmcnt(2)
	v_mul_u32_u24_e32 v6, 40, v1
	ds_read2_b64 v[2:5], v6 offset1:1
	s_mov_b32 s1, 0
	s_waitcnt lgkmcnt(0)
	v_mov_b32_e32 v3, 0xa00
	s_lshl_b32 s0, s0, 7
	ds_read2_b64 v[6:9], v6 offset0:2 offset1:3
	v_mad_u32_u24 v3, v1, 40, v3
	v_pk_add_f16 v2, v2, 0
	s_lshl_b64 s[2:3], s[0:1], 1
	s_waitcnt lgkmcnt(0)
	v_pk_add_f16 v7, v2, v4
	v_mov_b32_e32 v9, 0xa10
	ds_read2_b64 v[2:5], v3 offset1:1
	s_add_u32 s2, s26, s2
	v_mad_u32_u24 v1, v1, 40, v9
	ds_read2_b64 v[10:13], v1 offset1:1
	s_addc_u32 s3, s27, s3
	s_lshl_b32 s0, s24, 7
	s_lshl_b64 s[0:1], s[0:1], 1
	s_add_u32 s0, s2, s0
	v_pk_add_f16 v1, v7, v6
	s_addc_u32 s1, s3, s1
	s_lshl_b32 s2, s5, 7
	v_pk_add_f16 v6, v1, v8
	s_waitcnt lgkmcnt(1)
	v_pk_add_f16 v1, v2, 0
	s_mul_i32 s3, s2, s8
	v_pk_add_f16 v1, v1, v4
	v_or_b32_e32 v2, s3, v0
	v_mov_b32_e32 v3, 0
	s_add_i32 s3, s3, s2
	s_waitcnt lgkmcnt(0)
	v_pk_add_f16 v1, v1, v10
	v_lshl_add_u64 v[4:5], v[2:3], 1, s[0:1]
	v_or_b32_e32 v2, s3, v0
	v_pk_add_f16 v7, v1, v12
	v_lshl_add_u64 v[0:1], v[2:3], 1, s[0:1]
	global_store_short v[4:5], v6, off
	global_store_short_d16_hi v[0:1], v6, off
	global_store_short v[4:5], v7, off offset:128
	global_store_short_d16_hi v[0:1], v7, off offset:128
.LBB989_25:
	s_endpgm
	.section	.rodata,"a",@progbits
	.p2align	6, 0x0
	.amdhsa_kernel _Z38paged_attention_ll4mi_QKV_mfma4_kernelIDF16_hLN4vllm18Fp8KVCacheDataTypeE1EDF16_Li16ELi128ELi256ELb0ELi2EEvPKT_PKT0_S7_ifPKiS9_S9_iPKfiiiPfSC_PS2_PT2_iSB_SB_
		.amdhsa_group_segment_fixed_size 5280
		.amdhsa_private_segment_fixed_size 0
		.amdhsa_kernarg_size 400
		.amdhsa_user_sgpr_count 2
		.amdhsa_user_sgpr_dispatch_ptr 0
		.amdhsa_user_sgpr_queue_ptr 0
		.amdhsa_user_sgpr_kernarg_segment_ptr 1
		.amdhsa_user_sgpr_dispatch_id 0
		.amdhsa_user_sgpr_kernarg_preload_length 0
		.amdhsa_user_sgpr_kernarg_preload_offset 0
		.amdhsa_user_sgpr_private_segment_size 0
		.amdhsa_uses_dynamic_stack 0
		.amdhsa_enable_private_segment 0
		.amdhsa_system_sgpr_workgroup_id_x 1
		.amdhsa_system_sgpr_workgroup_id_y 1
		.amdhsa_system_sgpr_workgroup_id_z 1
		.amdhsa_system_sgpr_workgroup_info 0
		.amdhsa_system_vgpr_workitem_id 0
		.amdhsa_next_free_vgpr 68
		.amdhsa_next_free_sgpr 42
		.amdhsa_accum_offset 64
		.amdhsa_reserve_vcc 1
		.amdhsa_float_round_mode_32 0
		.amdhsa_float_round_mode_16_64 0
		.amdhsa_float_denorm_mode_32 3
		.amdhsa_float_denorm_mode_16_64 3
		.amdhsa_dx10_clamp 1
		.amdhsa_ieee_mode 1
		.amdhsa_fp16_overflow 0
		.amdhsa_tg_split 0
		.amdhsa_exception_fp_ieee_invalid_op 0
		.amdhsa_exception_fp_denorm_src 0
		.amdhsa_exception_fp_ieee_div_zero 0
		.amdhsa_exception_fp_ieee_overflow 0
		.amdhsa_exception_fp_ieee_underflow 0
		.amdhsa_exception_fp_ieee_inexact 0
		.amdhsa_exception_int_div_zero 0
	.end_amdhsa_kernel
	.section	.text._Z38paged_attention_ll4mi_QKV_mfma4_kernelIDF16_hLN4vllm18Fp8KVCacheDataTypeE1EDF16_Li16ELi128ELi256ELb0ELi2EEvPKT_PKT0_S7_ifPKiS9_S9_iPKfiiiPfSC_PS2_PT2_iSB_SB_,"axG",@progbits,_Z38paged_attention_ll4mi_QKV_mfma4_kernelIDF16_hLN4vllm18Fp8KVCacheDataTypeE1EDF16_Li16ELi128ELi256ELb0ELi2EEvPKT_PKT0_S7_ifPKiS9_S9_iPKfiiiPfSC_PS2_PT2_iSB_SB_,comdat
.Lfunc_end989:
	.size	_Z38paged_attention_ll4mi_QKV_mfma4_kernelIDF16_hLN4vllm18Fp8KVCacheDataTypeE1EDF16_Li16ELi128ELi256ELb0ELi2EEvPKT_PKT0_S7_ifPKiS9_S9_iPKfiiiPfSC_PS2_PT2_iSB_SB_, .Lfunc_end989-_Z38paged_attention_ll4mi_QKV_mfma4_kernelIDF16_hLN4vllm18Fp8KVCacheDataTypeE1EDF16_Li16ELi128ELi256ELb0ELi2EEvPKT_PKT0_S7_ifPKiS9_S9_iPKfiiiPfSC_PS2_PT2_iSB_SB_
                                        ; -- End function
	.section	.AMDGPU.csdata,"",@progbits
; Kernel info:
; codeLenInByte = 5388
; NumSgprs: 48
; NumVgprs: 62
; NumAgprs: 4
; TotalNumVgprs: 68
; ScratchSize: 0
; MemoryBound: 0
; FloatMode: 240
; IeeeMode: 1
; LDSByteSize: 5280 bytes/workgroup (compile time only)
; SGPRBlocks: 5
; VGPRBlocks: 8
; NumSGPRsForWavesPerEU: 48
; NumVGPRsForWavesPerEU: 68
; AccumOffset: 64
; Occupancy: 7
; WaveLimiterHint : 1
; COMPUTE_PGM_RSRC2:SCRATCH_EN: 0
; COMPUTE_PGM_RSRC2:USER_SGPR: 2
; COMPUTE_PGM_RSRC2:TRAP_HANDLER: 0
; COMPUTE_PGM_RSRC2:TGID_X_EN: 1
; COMPUTE_PGM_RSRC2:TGID_Y_EN: 1
; COMPUTE_PGM_RSRC2:TGID_Z_EN: 1
; COMPUTE_PGM_RSRC2:TIDIG_COMP_CNT: 0
; COMPUTE_PGM_RSRC3_GFX90A:ACCUM_OFFSET: 15
; COMPUTE_PGM_RSRC3_GFX90A:TG_SPLIT: 0
	.section	.text._Z38paged_attention_ll4mi_QKV_mfma4_kernelIDF16_hLN4vllm18Fp8KVCacheDataTypeE1EDF16_Li16ELi128ELi256ELb0ELi3EEvPKT_PKT0_S7_ifPKiS9_S9_iPKfiiiPfSC_PS2_PT2_iSB_SB_,"axG",@progbits,_Z38paged_attention_ll4mi_QKV_mfma4_kernelIDF16_hLN4vllm18Fp8KVCacheDataTypeE1EDF16_Li16ELi128ELi256ELb0ELi3EEvPKT_PKT0_S7_ifPKiS9_S9_iPKfiiiPfSC_PS2_PT2_iSB_SB_,comdat
	.protected	_Z38paged_attention_ll4mi_QKV_mfma4_kernelIDF16_hLN4vllm18Fp8KVCacheDataTypeE1EDF16_Li16ELi128ELi256ELb0ELi3EEvPKT_PKT0_S7_ifPKiS9_S9_iPKfiiiPfSC_PS2_PT2_iSB_SB_ ; -- Begin function _Z38paged_attention_ll4mi_QKV_mfma4_kernelIDF16_hLN4vllm18Fp8KVCacheDataTypeE1EDF16_Li16ELi128ELi256ELb0ELi3EEvPKT_PKT0_S7_ifPKiS9_S9_iPKfiiiPfSC_PS2_PT2_iSB_SB_
	.globl	_Z38paged_attention_ll4mi_QKV_mfma4_kernelIDF16_hLN4vllm18Fp8KVCacheDataTypeE1EDF16_Li16ELi128ELi256ELb0ELi3EEvPKT_PKT0_S7_ifPKiS9_S9_iPKfiiiPfSC_PS2_PT2_iSB_SB_
	.p2align	8
	.type	_Z38paged_attention_ll4mi_QKV_mfma4_kernelIDF16_hLN4vllm18Fp8KVCacheDataTypeE1EDF16_Li16ELi128ELi256ELb0ELi3EEvPKT_PKT0_S7_ifPKiS9_S9_iPKfiiiPfSC_PS2_PT2_iSB_SB_,@function
_Z38paged_attention_ll4mi_QKV_mfma4_kernelIDF16_hLN4vllm18Fp8KVCacheDataTypeE1EDF16_Li16ELi128ELi256ELb0ELi3EEvPKT_PKT0_S7_ifPKiS9_S9_iPKfiiiPfSC_PS2_PT2_iSB_SB_: ; @_Z38paged_attention_ll4mi_QKV_mfma4_kernelIDF16_hLN4vllm18Fp8KVCacheDataTypeE1EDF16_Li16ELi128ELi256ELb0ELi3EEvPKT_PKT0_S7_ifPKiS9_S9_iPKfiiiPfSC_PS2_PT2_iSB_SB_
; %bb.0:
	s_load_dwordx2 s[20:21], s[0:1], 0x30
	s_mov_b32 s24, s3
	s_mov_b64 s[6:7], 0
	s_waitcnt lgkmcnt(0)
	s_cmp_lg_u64 s[20:21], 0
	s_cselect_b64 s[22:23], -1, 0
	s_and_b64 vcc, exec, s[22:23]
	s_cbranch_vccz .LBB990_10
; %bb.1:
	s_add_i32 s8, s2, 1
	s_mov_b32 s9, 0
	s_lshl_b64 s[10:11], s[8:9], 2
	s_add_u32 s10, s20, s10
	s_mov_b32 s3, s9
	s_addc_u32 s11, s21, s11
	s_lshl_b64 s[8:9], s[2:3], 2
	s_add_u32 s8, s20, s8
	s_addc_u32 s9, s21, s9
	s_load_dword s5, s[10:11], 0x0
	s_load_dword s12, s[8:9], 0x0
	s_waitcnt lgkmcnt(0)
	s_sub_i32 s5, s5, s12
	s_cmp_eq_u32 s5, 1
	s_cselect_b64 s[8:9], -1, 0
	s_andn2_b64 vcc, exec, s[6:7]
	s_cbranch_vccnz .LBB990_3
.LBB990_2:
	s_mov_b32 s3, 0
	s_mov_b64 s[8:9], -1
.LBB990_3:
	s_andn2_b64 vcc, exec, s[8:9]
	s_cbranch_vccnz .LBB990_25
; %bb.4:
	s_load_dword s5, s[0:1], 0x9c
	s_load_dwordx2 s[6:7], s[0:1], 0x28
	s_add_u32 s28, s0, 0x90
	s_addc_u32 s29, s1, 0
	s_lshl_b64 s[34:35], s[2:3], 2
	s_waitcnt lgkmcnt(0)
	s_and_b32 s5, s5, 0xffff
	s_add_u32 s6, s6, s34
	s_addc_u32 s7, s7, s35
	s_load_dword s3, s[6:7], 0x0
	s_mul_i32 s10, s24, s5
	s_waitcnt lgkmcnt(0)
	s_cmp_ge_i32 s10, s3
	s_cbranch_scc1 .LBB990_25
; %bb.5:
	v_and_b32_e32 v1, 0xc0, v0
	v_add_u32_e32 v4, s10, v1
	v_lshrrev_b32_e32 v38, 6, v0
	v_cmp_le_i32_e64 s[6:7], s3, v4
                                        ; implicit-def: $sgpr25
                                        ; implicit-def: $sgpr11
	s_and_saveexec_b64 s[8:9], s[6:7]
	s_xor_b64 s[8:9], exec, s[8:9]
	s_cbranch_execz .LBB990_7
; %bb.6:
	v_mul_u32_u24_e32 v1, 20, v38
	v_or_b32_e32 v1, 0x1400, v1
	v_mov_b32_e32 v2, 0x1450
	v_mov_b32_e32 v3, 0xff7fffff
	v_mad_u32_u24 v2, v38, 20, v2
	ds_write2_b32 v1, v3, v3 offset1:1
	v_mov_b32_e32 v1, 0
	ds_write2_b32 v2, v1, v1 offset1:1
	v_mov_b32_e32 v2, 0x1408
	v_mov_b32_e32 v4, 0x1458
	s_mov_b32 s11, 0xff7fffff
	s_mov_b32 s25, 0
	v_mad_u32_u24 v2, v38, 20, v2
	v_mad_u32_u24 v4, v38, 20, v4
	ds_write2_b32 v2, v3, v3 offset1:1
	ds_write2_b32 v4, v1, v1 offset1:1
                                        ; implicit-def: $vgpr4
.LBB990_7:
	s_or_saveexec_b64 s[30:31], s[8:9]
	s_load_dwordx2 s[26:27], s[0:1], 0x68
	s_load_dwordx4 s[16:19], s[0:1], 0x58
	s_load_dword s5, s[28:29], 0x4
	s_load_dwordx4 s[12:15], s[0:1], 0x80
	v_and_b32_e32 v1, 63, v0
	v_and_b32_e32 v39, 3, v0
	v_mov_b32_e32 v37, s25
	v_mov_b32_e32 v40, s11
	;; [unrolled: 1-line block ×5, first 2 shown]
                                        ; implicit-def: $vgpr26_vgpr27
                                        ; implicit-def: $vgpr18_vgpr19
                                        ; implicit-def: $vgpr22_vgpr23
                                        ; implicit-def: $vgpr30_vgpr31
                                        ; implicit-def: $vgpr10_vgpr11
                                        ; implicit-def: $vgpr2_vgpr3
                                        ; implicit-def: $vgpr6_vgpr7
                                        ; implicit-def: $vgpr14_vgpr15
	s_xor_b64 exec, exec, s[30:31]
	s_cbranch_execz .LBB990_17
; %bb.8:
	s_load_dwordx2 s[8:9], s[0:1], 0x20
	s_load_dword s11, s[0:1], 0x38
	s_add_i32 s25, s3, 15
	s_ashr_i32 s33, s25, 31
	s_lshr_b32 s33, s33, 28
	v_add_u32_e32 v36, s10, v0
	s_add_i32 s25, s25, s33
	v_ashrrev_i32_e32 v2, 31, v36
	s_ashr_i32 s25, s25, 4
	v_lshrrev_b32_e32 v2, 28, v2
	s_add_i32 s25, s25, -1
	s_waitcnt lgkmcnt(0)
	s_mul_i32 s36, s2, s11
	s_mov_b32 s37, 0
	v_add_u32_e32 v2, v36, v2
	s_lshl_b64 s[36:37], s[36:37], 2
	v_ashrrev_i32_e32 v2, 4, v2
	v_mov_b32_e32 v3, s25
	v_cmp_gt_i32_e32 vcc, s3, v36
	s_add_u32 s8, s8, s36
	s_addc_u32 s9, s9, s37
	v_cndmask_b32_e32 v2, v3, v2, vcc
	v_ashrrev_i32_e32 v3, 31, v2
	v_lshl_add_u64 v[10:11], v[2:3], 2, s[8:9]
	v_ashrrev_i32_e32 v2, 31, v4
	v_lshrrev_b32_e32 v2, 28, v2
	v_add_u32_e32 v2, v4, v2
	v_ashrrev_i32_e32 v6, 4, v2
	v_min_i32_e32 v2, s25, v6
	v_ashrrev_i32_e32 v3, 31, v2
	v_lshl_add_u64 v[4:5], v[2:3], 2, s[8:9]
	v_add_u32_e32 v2, 1, v6
	v_min_i32_e32 v2, s25, v2
	v_ashrrev_i32_e32 v3, 31, v2
	v_lshl_add_u64 v[12:13], v[2:3], 2, s[8:9]
	v_add_u32_e32 v2, 2, v6
	;; [unrolled: 4-line block ×3, first 2 shown]
	v_min_i32_e32 v2, s25, v2
	v_ashrrev_i32_e32 v3, 31, v2
	v_lshl_add_u64 v[16:17], v[2:3], 2, s[8:9]
	global_load_dword v2, v[10:11], off
	global_load_dword v6, v[4:5], off
	;; [unrolled: 1-line block ×5, first 2 shown]
	s_load_dwordx4 s[8:11], s[0:1], 0x8
	s_andn2_b64 vcc, exec, s[22:23]
	s_cbranch_vccnz .LBB990_11
; %bb.9:
	s_add_u32 s20, s20, s34
	s_addc_u32 s21, s21, s35
	s_load_dword s25, s[20:21], 0x0
	s_branch .LBB990_12
.LBB990_10:
	s_mov_b64 s[8:9], 0
	s_branch .LBB990_2
.LBB990_11:
	s_mov_b32 s25, s2
.LBB990_12:
	s_load_dwordx4 s[20:23], s[0:1], 0x48
	v_cmp_ne_u32_e32 vcc, 3, v39
	s_mov_b32 s37, 0
	v_mov_b32_e32 v37, 1.0
	v_mov_b32_e32 v5, 0
	v_mov_b32_e32 v14, 0
	;; [unrolled: 1-line block ×5, first 2 shown]
	s_and_saveexec_b64 s[34:35], vcc
	s_cbranch_execz .LBB990_14
; %bb.13:
	s_load_dwordx2 s[38:39], s[0:1], 0x0
	s_waitcnt lgkmcnt(0)
	s_ashr_i32 s23, s20, 31
	s_mul_hi_u32 s33, s25, s20
	s_mul_i32 s23, s25, s23
	s_add_i32 s41, s33, s23
	s_mul_i32 s40, s25, s20
	s_lshl_b64 s[40:41], s[40:41], 1
	s_add_u32 s20, s38, s40
	s_mul_i32 s36, s4, 0x180
	s_addc_u32 s23, s39, s41
	s_lshl_b64 s[36:37], s[36:37], 1
	v_lshlrev_b32_e32 v3, 2, v1
	s_add_u32 s36, s20, s36
	v_and_b32_e32 v3, 0xf0, v3
	s_addc_u32 s37, s23, s37
	v_lshl_or_b32 v3, v39, 8, v3
	global_load_dwordx4 v[14:17], v3, s[36:37]
	v_mov_b32_e32 v37, 0
.LBB990_14:
	s_or_b64 exec, exec, s[34:35]
	s_waitcnt lgkmcnt(0)
	s_mul_i32 s20, s4, s22
	s_add_u32 s8, s20, s8
	s_addc_u32 s9, 0, s9
	v_mov_b64_e32 v[10:11], s[8:9]
	v_lshlrev_b32_e32 v4, 4, v0
	s_waitcnt vmcnt(4)
	v_mad_i64_i32 v[2:3], s[8:9], v2, s21, v[10:11]
	v_and_b32_e32 v4, 0xf0, v4
	v_lshl_add_u64 v[2:3], v[2:3], 0, v[4:5]
	global_load_dwordx4 v[10:13], v[2:3], off
	global_load_dwordx4 v[18:21], v[2:3], off offset:256
	s_waitcnt vmcnt(5)
	v_mul_hi_i32 v4, v6, s21
	s_waitcnt vmcnt(4)
	v_mul_hi_i32 v22, v7, s21
	;; [unrolled: 2-line block ×4, first 2 shown]
	v_ashrrev_i32_e32 v4, 31, v4
	v_ashrrev_i32_e32 v22, 31, v22
	;; [unrolled: 1-line block ×4, first 2 shown]
	v_mov_b32_e32 v23, v5
	v_mov_b32_e32 v25, v5
	;; [unrolled: 1-line block ×3, first 2 shown]
	v_lshrrev_b32_e32 v22, 29, v22
	v_lshrrev_b32_e32 v24, 29, v24
	;; [unrolled: 1-line block ×3, first 2 shown]
	s_add_u32 s8, s10, s20
	v_lshrrev_b32_e32 v4, 29, v4
	v_mad_i64_i32 v[22:23], s[22:23], v7, s21, v[22:23]
	v_mad_i64_i32 v[24:25], s[22:23], v8, s21, v[24:25]
	;; [unrolled: 1-line block ×3, first 2 shown]
	s_addc_u32 s9, s11, 0
	v_mad_i64_i32 v[6:7], s[10:11], v6, s21, v[4:5]
	v_and_b32_e32 v22, -8, v22
	v_and_b32_e32 v24, -8, v24
	;; [unrolled: 1-line block ×4, first 2 shown]
	v_lshl_add_u64 v[22:23], s[8:9], 0, v[22:23]
	v_lshl_add_u64 v[24:25], s[8:9], 0, v[24:25]
	;; [unrolled: 1-line block ×3, first 2 shown]
	v_lshlrev_b32_e32 v4, 4, v1
	v_lshl_add_u64 v[6:7], s[8:9], 0, v[6:7]
	v_lshl_add_u64 v[26:27], v[22:23], 0, v[4:5]
	;; [unrolled: 1-line block ×5, first 2 shown]
	s_load_dword s0, s[0:1], 0x1c
	v_cmp_eq_u32_e32 vcc, 0, v39
	s_load_dword s1, s[12:13], 0x0
	s_waitcnt vmcnt(1)
	v_cvt_pk_f32_fp8_e32 v[4:5], v10
	v_cvt_pk_f32_fp8_sdwa v[6:7], v10 src0_sel:WORD_1
	v_cvt_pk_f32_fp8_e32 v[8:9], v11
	v_cvt_pk_f32_fp8_sdwa v[10:11], v11 src0_sel:WORD_1
	v_cvt_pkrtz_f16_f32 v52, v4, v5
	v_cvt_pkrtz_f16_f32 v53, v6, v7
	global_load_dwordx4 v[4:7], v[2:3], off offset:512
	v_cvt_pkrtz_f16_f32 v54, v8, v9
	v_cvt_pkrtz_f16_f32 v55, v10, v11
	global_load_dwordx4 v[8:11], v[2:3], off offset:768
	v_cvt_pk_f32_fp8_e32 v[22:23], v12
	v_cvt_pk_f32_fp8_sdwa v[24:25], v12 src0_sel:WORD_1
	v_cvt_pk_f32_fp8_e32 v[28:29], v13
	v_cvt_pk_f32_fp8_sdwa v[12:13], v13 src0_sel:WORD_1
	v_cvt_pkrtz_f16_f32 v56, v22, v23
	v_cvt_pkrtz_f16_f32 v57, v24, v25
	global_load_dwordx4 v[22:25], v[2:3], off offset:1024
	s_waitcnt vmcnt(3)
	v_cvt_pk_f32_fp8_e32 v[30:31], v18
	v_cvt_pk_f32_fp8_sdwa v[32:33], v18 src0_sel:WORD_1
	v_cvt_pkrtz_f16_f32 v28, v28, v29
	v_cvt_pkrtz_f16_f32 v29, v12, v13
	;; [unrolled: 1-line block ×4, first 2 shown]
	global_load_dwordx4 v[30:33], v[2:3], off offset:1280
	v_cvt_pk_f32_fp8_e32 v[40:41], v19
	v_cvt_pk_f32_fp8_e32 v[42:43], v20
	v_cvt_pk_f32_fp8_sdwa v[44:45], v20 src0_sel:WORD_1
	v_cvt_pk_f32_fp8_e32 v[46:47], v21
	v_cvt_pkrtz_f16_f32 v58, v40, v41
	v_cvt_pkrtz_f16_f32 v60, v42, v43
	global_load_dwordx4 v[40:43], v[2:3], off offset:1536
	v_cvt_pkrtz_f16_f32 v61, v44, v45
	v_cvt_pkrtz_f16_f32 v62, v46, v47
	global_load_dwordx4 v[44:47], v[2:3], off offset:1792
	v_mfma_f32_4x4x4_16b_f16 a[0:3], v[14:15], v[52:53], 0 cbsz:4
	v_cvt_pk_f32_fp8_sdwa v[18:19], v19 src0_sel:WORD_1
	v_cvt_pk_f32_fp8_sdwa v[20:21], v21 src0_sel:WORD_1
	v_mfma_f32_4x4x4_16b_f16 a[0:3], v[16:17], v[54:55], a[0:3] cbsz:4
	v_cvt_pkrtz_f16_f32 v59, v18, v19
	s_nop 0
	v_mfma_f32_4x4x4_16b_f16 a[0:3], v[14:15], v[56:57], a[0:3] cbsz:4 abid:1
	v_cvt_pkrtz_f16_f32 v63, v20, v21
	s_waitcnt vmcnt(5)
	v_cvt_pk_f32_fp8_e32 v[18:19], v4
	v_mfma_f32_4x4x4_16b_f16 a[0:3], v[16:17], v[28:29], a[0:3] cbsz:4 abid:1
	v_cvt_pk_f32_fp8_sdwa v[20:21], v4 src0_sel:WORD_1
	v_cvt_pk_f32_fp8_sdwa v[28:29], v6 src0_sel:WORD_1
	v_mfma_f32_4x4x4_16b_f16 a[0:3], v[14:15], v[12:13], a[0:3] cbsz:4 abid:2
	v_cvt_pkrtz_f16_f32 v52, v18, v19
	v_cvt_pk_f32_fp8_e32 v[18:19], v5
	v_mfma_f32_4x4x4_16b_f16 a[0:3], v[16:17], v[58:59], a[0:3] cbsz:4 abid:2
	v_cvt_pk_f32_fp8_sdwa v[4:5], v5 src0_sel:WORD_1
	v_cvt_pkrtz_f16_f32 v53, v20, v21
	v_mfma_f32_4x4x4_16b_f16 a[0:3], v[14:15], v[60:61], a[0:3] cbsz:4 abid:3
	v_cvt_pkrtz_f16_f32 v12, v18, v19
	v_cvt_pkrtz_f16_f32 v13, v4, v5
	v_mfma_f32_4x4x4_16b_f16 a[0:3], v[16:17], v[62:63], a[0:3] cbsz:4 abid:3
	global_load_dwordx4 v[18:21], v[26:27], off
	global_load_dwordx4 v[2:5], v[26:27], off offset:1024
	v_cvt_pk_f32_fp8_e32 v[26:27], v6
	v_mfma_f32_4x4x4_16b_f16 a[0:3], v[14:15], v[52:53], a[0:3] cbsz:4 abid:4
	s_waitcnt vmcnt(6)
	v_cvt_pk_f32_fp8_e32 v[52:53], v9
	v_cvt_pk_f32_fp8_sdwa v[54:55], v11 src0_sel:WORD_1
	v_mfma_f32_4x4x4_16b_f16 a[0:3], v[16:17], v[12:13], a[0:3] cbsz:4 abid:4
	v_cvt_pk_f32_fp8_e32 v[12:13], v7
	v_cvt_pk_f32_fp8_sdwa v[6:7], v7 src0_sel:WORD_1
	v_cvt_pkrtz_f16_f32 v26, v26, v27
	v_cvt_pkrtz_f16_f32 v27, v28, v29
	;; [unrolled: 1-line block ×4, first 2 shown]
	v_mfma_f32_4x4x4_16b_f16 a[0:3], v[14:15], v[26:27], a[0:3] cbsz:4 abid:5
	v_cvt_pk_f32_fp8_e32 v[6:7], v8
	global_load_dwordx4 v[26:29], v[50:51], off
	v_mfma_f32_4x4x4_16b_f16 a[0:3], v[16:17], v[12:13], a[0:3] cbsz:4 abid:5
	v_cvt_pk_f32_fp8_sdwa v[12:13], v8 src0_sel:WORD_1
	v_cvt_pk_f32_fp8_sdwa v[8:9], v9 src0_sel:WORD_1
	v_cvt_pkrtz_f16_f32 v6, v6, v7
	v_cvt_pkrtz_f16_f32 v7, v12, v13
	;; [unrolled: 1-line block ×3, first 2 shown]
	s_nop 0
	v_mfma_f32_4x4x4_16b_f16 a[0:3], v[14:15], v[6:7], a[0:3] cbsz:4 abid:6
	v_cvt_pk_f32_fp8_e32 v[6:7], v10
	v_cvt_pk_f32_fp8_sdwa v[8:9], v10 src0_sel:WORD_1
	v_cvt_pkrtz_f16_f32 v12, v52, v53
	v_cvt_pk_f32_fp8_e32 v[52:53], v11
	v_cvt_pkrtz_f16_f32 v6, v6, v7
	v_mfma_f32_4x4x4_16b_f16 a[0:3], v[16:17], v[12:13], a[0:3] cbsz:4 abid:6
	global_load_dwordx4 v[10:13], v[50:51], off offset:1024
	v_cvt_pkrtz_f16_f32 v7, v8, v9
	v_cvt_pkrtz_f16_f32 v8, v52, v53
	v_cvt_pkrtz_f16_f32 v9, v54, v55
	v_mfma_f32_4x4x4_16b_f16 a[0:3], v[14:15], v[6:7], a[0:3] cbsz:4 abid:7
	s_waitcnt vmcnt(7)
	v_cvt_pk_f32_fp8_e32 v[6:7], v22
	v_cvt_pk_f32_fp8_e32 v[50:51], v23
	v_mfma_f32_4x4x4_16b_f16 a[0:3], v[16:17], v[8:9], a[0:3] cbsz:4 abid:7
	v_cvt_pk_f32_fp8_sdwa v[8:9], v22 src0_sel:WORD_1
	v_cvt_pk_f32_fp8_sdwa v[22:23], v23 src0_sel:WORD_1
	v_cvt_pkrtz_f16_f32 v6, v6, v7
	v_cvt_pk_f32_fp8_sdwa v[52:53], v25 src0_sel:WORD_1
	v_cvt_pkrtz_f16_f32 v7, v8, v9
	v_cvt_pkrtz_f16_f32 v8, v50, v51
	;; [unrolled: 1-line block ×3, first 2 shown]
	v_mfma_f32_4x4x4_16b_f16 a[0:3], v[14:15], v[6:7], a[0:3] cbsz:4 abid:8
	v_cvt_pk_f32_fp8_e32 v[6:7], v24
	v_cvt_pk_f32_fp8_e32 v[50:51], v25
	v_mfma_f32_4x4x4_16b_f16 a[0:3], v[16:17], v[8:9], a[0:3] cbsz:4 abid:8
	v_cvt_pk_f32_fp8_sdwa v[8:9], v24 src0_sel:WORD_1
	v_cvt_pkrtz_f16_f32 v6, v6, v7
	global_load_dwordx4 v[22:25], v[48:49], off
	v_cvt_pkrtz_f16_f32 v7, v8, v9
	v_cvt_pkrtz_f16_f32 v8, v50, v51
	s_nop 0
	v_mfma_f32_4x4x4_16b_f16 a[0:3], v[14:15], v[6:7], a[0:3] cbsz:4 abid:9
	v_cvt_pkrtz_f16_f32 v9, v52, v53
	s_waitcnt vmcnt(7)
	v_cvt_pk_f32_fp8_e32 v[6:7], v30
	v_cvt_pk_f32_fp8_e32 v[50:51], v31
	v_mfma_f32_4x4x4_16b_f16 a[0:3], v[16:17], v[8:9], a[0:3] cbsz:4 abid:9
	v_cvt_pk_f32_fp8_sdwa v[8:9], v30 src0_sel:WORD_1
	v_cvt_pk_f32_fp8_sdwa v[52:53], v31 src0_sel:WORD_1
	v_cvt_pkrtz_f16_f32 v30, v6, v7
	v_cvt_pkrtz_f16_f32 v31, v8, v9
	global_load_dwordx4 v[6:9], v[48:49], off offset:1024
	s_nop 0
	v_mfma_f32_4x4x4_16b_f16 a[0:3], v[14:15], v[30:31], a[0:3] cbsz:4 abid:10
	v_cvt_pkrtz_f16_f32 v48, v50, v51
	v_cvt_pkrtz_f16_f32 v49, v52, v53
	v_cvt_pk_f32_fp8_e32 v[30:31], v32
	v_cvt_pk_f32_fp8_e32 v[50:51], v33
	v_mfma_f32_4x4x4_16b_f16 a[0:3], v[16:17], v[48:49], a[0:3] cbsz:4 abid:10
	v_cvt_pk_f32_fp8_sdwa v[48:49], v32 src0_sel:WORD_1
	v_cvt_pk_f32_fp8_sdwa v[32:33], v33 src0_sel:WORD_1
	v_cvt_pkrtz_f16_f32 v30, v30, v31
	v_cvt_pkrtz_f16_f32 v31, v48, v49
	;; [unrolled: 1-line block ×3, first 2 shown]
	s_nop 0
	v_mfma_f32_4x4x4_16b_f16 a[0:3], v[14:15], v[30:31], a[0:3] cbsz:4 abid:11
	s_waitcnt vmcnt(7)
	v_cvt_pk_f32_fp8_e32 v[30:31], v40
	v_cvt_pk_f32_fp8_sdwa v[32:33], v40 src0_sel:WORD_1
	v_cvt_pkrtz_f16_f32 v48, v50, v51
	v_cvt_pkrtz_f16_f32 v30, v30, v31
	s_nop 0
	v_mfma_f32_4x4x4_16b_f16 a[0:3], v[16:17], v[48:49], a[0:3] cbsz:4 abid:11
	v_cvt_pk_f32_fp8_e32 v[48:49], v41
	v_cvt_pk_f32_fp8_sdwa v[40:41], v41 src0_sel:WORD_1
	v_cvt_pkrtz_f16_f32 v31, v32, v33
	v_cvt_pkrtz_f16_f32 v32, v48, v49
	s_nop 0
	v_mfma_f32_4x4x4_16b_f16 a[0:3], v[14:15], v[30:31], a[0:3] cbsz:4 abid:12
	v_cvt_pkrtz_f16_f32 v33, v40, v41
	v_cvt_pk_f32_fp8_e32 v[30:31], v42
	v_cvt_pk_f32_fp8_e32 v[40:41], v43
	v_mfma_f32_4x4x4_16b_f16 a[0:3], v[16:17], v[32:33], a[0:3] cbsz:4 abid:12
	v_cvt_pk_f32_fp8_sdwa v[32:33], v42 src0_sel:WORD_1
	v_cvt_pk_f32_fp8_sdwa v[42:43], v43 src0_sel:WORD_1
	v_cvt_pkrtz_f16_f32 v30, v30, v31
	v_cvt_pkrtz_f16_f32 v31, v32, v33
	v_cvt_pkrtz_f16_f32 v32, v40, v41
	s_nop 0
	v_mfma_f32_4x4x4_16b_f16 a[0:3], v[14:15], v[30:31], a[0:3] cbsz:4 abid:13
	v_cvt_pkrtz_f16_f32 v33, v42, v43
	s_waitcnt vmcnt(6)
	v_cvt_pk_f32_fp8_e32 v[30:31], v44
	v_cvt_pk_f32_fp8_e32 v[40:41], v45
	v_mfma_f32_4x4x4_16b_f16 a[0:3], v[16:17], v[32:33], a[0:3] cbsz:4 abid:13
	v_cvt_pk_f32_fp8_sdwa v[32:33], v44 src0_sel:WORD_1
	v_cvt_pk_f32_fp8_sdwa v[42:43], v45 src0_sel:WORD_1
	v_cvt_pkrtz_f16_f32 v30, v30, v31
	v_cvt_pkrtz_f16_f32 v31, v32, v33
	;; [unrolled: 1-line block ×3, first 2 shown]
	s_nop 0
	v_mfma_f32_4x4x4_16b_f16 a[0:3], v[14:15], v[30:31], a[0:3] cbsz:4 abid:14
	v_cvt_pkrtz_f16_f32 v33, v42, v43
	v_cvt_pk_f32_fp8_e32 v[30:31], v46
	v_cvt_pk_f32_fp8_e32 v[40:41], v47
	v_mfma_f32_4x4x4_16b_f16 a[0:3], v[16:17], v[32:33], a[0:3] cbsz:4 abid:14
	v_cvt_pk_f32_fp8_sdwa v[32:33], v46 src0_sel:WORD_1
	v_cvt_pk_f32_fp8_sdwa v[42:43], v47 src0_sel:WORD_1
	v_cvt_pkrtz_f16_f32 v30, v30, v31
	v_cvt_pkrtz_f16_f32 v31, v32, v33
	;; [unrolled: 1-line block ×3, first 2 shown]
	s_nop 0
	v_mfma_f32_4x4x4_16b_f16 a[0:3], v[14:15], v[30:31], a[0:3] cbsz:4 abid:15
	v_cvt_pkrtz_f16_f32 v33, v42, v43
	s_waitcnt lgkmcnt(0)
	v_mov_b32_e32 v14, s0
	v_mfma_f32_4x4x4_16b_f16 a[0:3], v[16:17], v[32:33], a[0:3] cbsz:4 abid:15
	v_mul_f32_e32 v16, s1, v14
	s_nop 3
	v_accvgpr_read_b32 v31, a1
	v_accvgpr_read_b32 v30, a0
	v_pk_mul_f32 v[30:31], v[30:31], v[16:17] op_sel_hi:[1,0]
	v_accvgpr_read_b32 v15, a3
	v_accvgpr_read_b32 v14, a2
	v_pk_mul_f32 v[40:41], v[14:15], v[16:17] op_sel_hi:[1,0]
	v_cndmask_b32_e64 v14, 0, 1.0, vcc
	v_cmp_eq_u32_e32 vcc, 1, v39
	s_nop 0
	v_mfma_f32_4x4x1_16b_f32 a[0:3], v30, v14, 0
	v_cndmask_b32_e64 v14, 0, 1.0, vcc
	v_cmp_eq_u32_e32 vcc, 2, v39
	s_nop 0
	v_mfma_f32_4x4x1_16b_f32 a[0:3], v31, v14, a[0:3]
	v_cndmask_b32_e64 v14, 0, 1.0, vcc
	s_nop 1
	v_mfma_f32_4x4x1_16b_f32 a[0:3], v40, v14, a[0:3]
	global_load_dwordx4 v[30:33], v[34:35], off
	global_load_dwordx4 v[14:17], v[34:35], off offset:1024
	v_mfma_f32_4x4x1_16b_f32 a[0:3], v41, v37, a[0:3]
	v_and_b32_e32 v34, -4, v36
	v_mov_b32_e32 v41, 0xff7fffff
	v_cmp_gt_i32_e32 vcc, s3, v34
	v_or_b32_e32 v36, 3, v36
	v_accvgpr_read_b32 v37, a0
	v_max_f32_e32 v40, v37, v37
	v_max_f32_e32 v40, 0xff7fffff, v40
	v_accvgpr_read_b32 v42, a1
	v_cndmask_b32_e32 v40, v41, v40, vcc
	v_or_b32_e32 v41, 1, v34
	v_max_f32_e32 v43, v42, v42
	v_max_f32_e32 v43, v40, v43
	v_cmp_gt_i32_e64 s[0:1], s3, v41
	v_accvgpr_read_b32 v41, a2
	v_or_b32_e32 v34, 2, v34
	v_cndmask_b32_e64 v40, v40, v43, s[0:1]
	v_max_f32_e32 v43, v41, v41
	v_max_f32_e32 v43, v40, v43
	v_cmp_gt_i32_e64 s[8:9], s3, v34
	v_cmp_gt_i32_e64 s[10:11], s3, v36
	v_lshlrev_b32_e32 v35, 2, v0
	v_cndmask_b32_e64 v34, v40, v43, s[8:9]
	v_accvgpr_read_b32 v43, a3
	v_max_f32_e32 v40, v43, v43
	v_max_f32_e32 v40, v34, v40
	v_cndmask_b32_e64 v34, v34, v40, s[10:11]
	v_and_or_b32 v35, v35, 48, v39
	;;#ASMSTART
	v_nop
 v_nop
 v_max_f32_dpp v34, v34, v34 row_ror:4
	;;#ASMEND
	v_lshlrev_b32_e32 v44, 2, v35
	;;#ASMSTART
	v_nop
 v_nop
 v_max_f32_dpp v34, v34, v34 row_ror:8
	;;#ASMEND
	ds_bpermute_b32 v34, v44, v34
	s_waitcnt lgkmcnt(0)
	;;#ASMSTART
	v_nop
 v_nop
 v_max_f32_dpp v34, v34, v34 row_ror:4
	;;#ASMEND
	s_nop 0
	;;#ASMSTART
	v_nop
 v_nop
 v_max_f32_dpp v40, v34, v34 row_ror:8
	;;#ASMEND
	s_nop 0
	v_sub_f32_e32 v34, v37, v40
	v_mul_f32_e32 v34, 0x3fb8aa3b, v34
	v_sub_f32_e32 v35, v42, v40
	v_exp_f32_e32 v34, v34
	v_mul_f32_e32 v35, 0x3fb8aa3b, v35
	v_sub_f32_e32 v37, v41, v40
	v_exp_f32_e32 v35, v35
	;; [unrolled: 3-line block ×3, first 2 shown]
	v_mul_f32_e32 v41, 0x3fb8aa3b, v41
	v_exp_f32_e32 v41, v41
	v_cndmask_b32_e32 v34, 0, v34, vcc
	v_add_f32_e32 v36, 0, v34
	v_cndmask_b32_e64 v35, 0, v35, s[0:1]
	v_add_f32_e32 v42, v36, v35
	v_cndmask_b32_e64 v36, 0, v37, s[8:9]
	v_add_f32_e32 v42, v42, v36
	v_cndmask_b32_e64 v37, 0, v41, s[10:11]
	v_add_f32_e32 v41, v42, v37
	;;#ASMSTART
	v_nop
 v_nop
 v_add_f32_dpp v41, v41, v41 row_ror:4
	;;#ASMEND
	v_cmp_gt_u32_e32 vcc, 4, v1
	;;#ASMSTART
	v_nop
 v_nop
 v_add_f32_dpp v41, v41, v41 row_ror:8
	;;#ASMEND
	ds_bpermute_b32 v41, v44, v41
	s_waitcnt lgkmcnt(0)
	;;#ASMSTART
	v_nop
 v_nop
 v_add_f32_dpp v41, v41, v41 row_ror:4
	;;#ASMEND
	s_nop 0
	;;#ASMSTART
	v_nop
 v_nop
 v_add_f32_dpp v41, v41, v41 row_ror:8
	;;#ASMEND
	s_and_saveexec_b64 s[0:1], vcc
	s_cbranch_execz .LBB990_16
; %bb.15:
	v_mul_u32_u24_e32 v42, 20, v38
	v_lshl_add_u32 v42, v39, 2, v42
	v_add_u32_e32 v42, 0x1400, v42
	ds_write2_b32 v42, v40, v41 offset1:20
.LBB990_16:
	s_or_b64 exec, exec, s[0:1]
.LBB990_17:
	s_or_b64 exec, exec, s[30:31]
	s_waitcnt lgkmcnt(0)
	s_barrier
	s_load_dword s0, s[28:29], 0x8
	v_lshlrev_b32_e32 v41, 2, v39
	v_add_u32_e32 v48, 0x1400, v41
	ds_read2_b32 v[42:43], v48 offset1:5
	ds_read2_b32 v[44:45], v48 offset0:10 offset1:15
	s_mul_i32 s1, s2, s5
	s_waitcnt lgkmcnt(0)
	s_mul_i32 s0, s1, s0
	s_mov_b32 s1, 0xff7fffff
	v_max3_f32 v41, v42, s1, v43
	v_max3_f32 v41, v41, v44, v45
	v_sub_f32_e32 v42, v42, v41
	ds_read2_b32 v[46:47], v48 offset0:20 offset1:25
	v_mul_f32_e32 v42, 0x3fb8aa3b, v42
	v_sub_f32_e32 v43, v43, v41
	v_exp_f32_e32 v42, v42
	v_mul_f32_e32 v43, 0x3fb8aa3b, v43
	v_sub_f32_e32 v44, v44, v41
	v_exp_f32_e32 v43, v43
	ds_read2_b32 v[48:49], v48 offset0:30 offset1:35
	v_mul_f32_e32 v44, 0x3fb8aa3b, v44
	v_sub_f32_e32 v45, v45, v41
	v_exp_f32_e32 v44, v44
	v_mul_f32_e32 v45, 0x3fb8aa3b, v45
	v_exp_f32_e32 v45, v45
	s_waitcnt lgkmcnt(1)
	v_fma_f32 v42, v42, v46, 0
	v_fmac_f32_e32 v42, v43, v47
	s_waitcnt lgkmcnt(0)
	v_fmac_f32_e32 v42, v44, v48
	s_mul_i32 s8, s4, 3
	s_mul_i32 s0, s0, 3
	v_fmac_f32_e32 v42, v45, v49
	v_cmp_ne_u32_e32 vcc, 3, v39
	s_and_saveexec_b64 s[2:3], vcc
	s_cbranch_execz .LBB990_19
; %bb.18:
	s_mov_b32 s1, 0
	s_lshl_b64 s[10:11], s[0:1], 2
	s_add_u32 s4, s16, s10
	s_mov_b32 s25, s1
	s_addc_u32 s9, s17, s11
	s_lshl_b64 s[12:13], s[24:25], 2
	s_add_u32 s16, s4, s12
	s_addc_u32 s17, s9, s13
	s_add_u32 s1, s18, s10
	s_addc_u32 s4, s19, s11
	v_add_u32_e32 v39, s8, v39
	s_add_u32 s10, s1, s12
	v_mul_lo_u32 v44, s5, v39
	v_mov_b32_e32 v45, 0
	s_addc_u32 s11, s4, s13
	v_lshlrev_b64 v[44:45], 2, v[44:45]
	v_lshl_add_u64 v[46:47], s[16:17], 0, v[44:45]
	v_lshl_add_u64 v[44:45], s[10:11], 0, v[44:45]
	global_store_dword v[44:45], v41, off
	global_store_dword v[46:47], v42, off
.LBB990_19:
	s_or_b64 exec, exec, s[2:3]
	v_lshlrev_b32_e32 v38, 3, v38
	s_and_saveexec_b64 s[2:3], s[6:7]
	s_xor_b64 s[2:3], exec, s[2:3]
	s_cbranch_execz .LBB990_21
; %bb.20:
	s_mov_b32 s6, 0
	s_mov_b32 s7, s6
	s_waitcnt vmcnt(6)
	v_mad_u32_u24 v4, v1, 40, v38
	v_mov_b64_e32 v[2:3], s[6:7]
	ds_write2st64_b64 v4, v[2:3], v[2:3] offset1:5
                                        ; implicit-def: $vgpr37
                                        ; implicit-def: $vgpr35
                                        ; implicit-def: $vgpr40
                                        ; implicit-def: $vgpr26_vgpr27
                                        ; implicit-def: $vgpr18_vgpr19
                                        ; implicit-def: $vgpr22_vgpr23
                                        ; implicit-def: $vgpr30_vgpr31
                                        ; implicit-def: $vgpr10_vgpr11
                                        ; implicit-def: $vgpr2_vgpr3
                                        ; implicit-def: $vgpr6_vgpr7
                                        ; implicit-def: $vgpr14_vgpr15
                                        ; implicit-def: $vgpr41
                                        ; implicit-def: $vgpr42
                                        ; implicit-def: $vgpr38
.LBB990_21:
	s_andn2_saveexec_b64 s[2:3], s[2:3]
	s_cbranch_execz .LBB990_23
; %bb.22:
	v_add_f32_e32 v39, 0x358637bd, v42
	v_div_scale_f32 v42, s[6:7], v39, v39, 1.0
	v_rcp_f32_e32 v43, v42
	v_sub_f32_e32 v40, v40, v41
	v_mul_f32_e32 v40, 0x3fb8aa3b, v40
	v_exp_f32_e32 v40, v40
	v_fma_f32 v41, -v42, v43, 1.0
	v_fmac_f32_e32 v43, v41, v43
	v_div_scale_f32 v41, vcc, 1.0, v39, 1.0
	v_mul_f32_e32 v44, v41, v43
	v_fma_f32 v45, -v42, v44, v41
	v_fmac_f32_e32 v44, v45, v43
	v_fma_f32 v41, -v42, v44, v41
	v_div_fmas_f32 v41, v41, v43, v44
	v_div_fixup_f32 v39, v41, v39, 1.0
	v_mul_f32_e32 v40, v40, v39
	v_pk_mul_f32 v[36:37], v[36:37], v[40:41] op_sel_hi:[1,0]
	v_pk_mul_f32 v[34:35], v[34:35], v[40:41] op_sel_hi:[1,0]
	v_cvt_f16_f32_e32 v36, v36
	v_cvt_f16_f32_e32 v34, v34
	;; [unrolled: 1-line block ×4, first 2 shown]
	s_waitcnt vmcnt(5)
	v_cvt_pk_f32_fp8_sdwa v[40:41], v26 src0_sel:WORD_1
	v_cvt_pk_f32_fp8_e32 v[42:43], v27
	v_pack_b32_f16 v34, v34, v35
	v_pack_b32_f16 v35, v36, v37
	v_cvt_pk_f32_fp8_e32 v[36:37], v26
	v_cvt_pk_f32_fp8_sdwa v[26:27], v27 src0_sel:WORD_1
	s_load_dword s4, s[14:15], 0x0
	v_cvt_pkrtz_f16_f32 v36, v36, v37
	v_cvt_pkrtz_f16_f32 v37, v40, v41
	;; [unrolled: 1-line block ×4, first 2 shown]
	v_mfma_f32_4x4x4_16b_f16 a[0:3], v[34:35], v[36:37], 0 cbsz:4
	v_cvt_pk_f32_fp8_e32 v[26:27], v28
	v_cvt_pk_f32_fp8_sdwa v[36:37], v28 src0_sel:WORD_1
	v_mfma_f32_4x4x4_16b_f16 a[0:3], v[34:35], v[40:41], a[0:3] cbsz:4 abid:1
	v_cvt_pk_f32_fp8_e32 v[40:41], v29
	v_cvt_pk_f32_fp8_sdwa v[28:29], v29 src0_sel:WORD_1
	v_cvt_pkrtz_f16_f32 v26, v26, v27
	v_cvt_pkrtz_f16_f32 v27, v36, v37
	v_cvt_pkrtz_f16_f32 v36, v40, v41
	v_cvt_pkrtz_f16_f32 v37, v28, v29
	v_mfma_f32_4x4x4_16b_f16 a[0:3], v[34:35], v[26:27], a[0:3] cbsz:4 abid:2
	v_cvt_pk_f32_fp8_e32 v[26:27], v18
	v_cvt_pk_f32_fp8_sdwa v[28:29], v18 src0_sel:WORD_1
	v_mfma_f32_4x4x4_16b_f16 a[0:3], v[34:35], v[36:37], a[0:3] cbsz:4 abid:3
	v_cvt_pk_f32_fp8_e32 v[36:37], v19
	v_cvt_pk_f32_fp8_sdwa v[18:19], v19 src0_sel:WORD_1
	v_cvt_pkrtz_f16_f32 v26, v26, v27
	v_cvt_pkrtz_f16_f32 v27, v28, v29
	v_cvt_pkrtz_f16_f32 v28, v36, v37
	v_cvt_pkrtz_f16_f32 v29, v18, v19
	v_mfma_f32_4x4x4_16b_f16 a[0:3], v[34:35], v[26:27], a[0:3] cbsz:4 abid:4
	;; [unrolled: 10-line block ×3, first 2 shown]
	s_waitcnt vmcnt(3)
	v_cvt_pk_f32_fp8_e32 v[18:19], v22
	v_cvt_pk_f32_fp8_sdwa v[20:21], v22 src0_sel:WORD_1
	v_mfma_f32_4x4x4_16b_f16 a[0:3], v[34:35], v[26:27], a[0:3] cbsz:4 abid:7
	v_cvt_pk_f32_fp8_e32 v[26:27], v23
	v_cvt_pk_f32_fp8_sdwa v[22:23], v23 src0_sel:WORD_1
	v_cvt_pkrtz_f16_f32 v18, v18, v19
	v_cvt_pkrtz_f16_f32 v19, v20, v21
	;; [unrolled: 1-line block ×4, first 2 shown]
	v_mfma_f32_4x4x4_16b_f16 a[0:3], v[34:35], v[18:19], a[0:3] cbsz:4 abid:8
	v_cvt_pk_f32_fp8_e32 v[18:19], v24
	v_cvt_pk_f32_fp8_e32 v[22:23], v25
	v_mfma_f32_4x4x4_16b_f16 a[0:3], v[34:35], v[20:21], a[0:3] cbsz:4 abid:9
	v_cvt_pk_f32_fp8_sdwa v[20:21], v24 src0_sel:WORD_1
	v_cvt_pk_f32_fp8_sdwa v[24:25], v25 src0_sel:WORD_1
	v_cvt_pkrtz_f16_f32 v18, v18, v19
	v_cvt_pkrtz_f16_f32 v19, v20, v21
	;; [unrolled: 1-line block ×3, first 2 shown]
	s_nop 0
	v_mfma_f32_4x4x4_16b_f16 a[0:3], v[34:35], v[18:19], a[0:3] cbsz:4 abid:10
	v_cvt_pkrtz_f16_f32 v21, v24, v25
	s_waitcnt vmcnt(1)
	v_cvt_pk_f32_fp8_e32 v[18:19], v30
	v_cvt_pk_f32_fp8_e32 v[22:23], v31
	v_mfma_f32_4x4x4_16b_f16 a[0:3], v[34:35], v[20:21], a[0:3] cbsz:4 abid:11
	v_cvt_pk_f32_fp8_sdwa v[20:21], v30 src0_sel:WORD_1
	v_cvt_pk_f32_fp8_sdwa v[24:25], v31 src0_sel:WORD_1
	v_cvt_pkrtz_f16_f32 v18, v18, v19
	v_cvt_pkrtz_f16_f32 v19, v20, v21
	;; [unrolled: 1-line block ×3, first 2 shown]
	s_nop 0
	v_mfma_f32_4x4x4_16b_f16 a[0:3], v[34:35], v[18:19], a[0:3] cbsz:4 abid:12
	v_cvt_pkrtz_f16_f32 v21, v24, v25
	v_cvt_pk_f32_fp8_e32 v[18:19], v32
	v_cvt_pk_f32_fp8_e32 v[22:23], v33
	v_mfma_f32_4x4x4_16b_f16 a[0:3], v[34:35], v[20:21], a[0:3] cbsz:4 abid:13
	v_cvt_pk_f32_fp8_sdwa v[20:21], v32 src0_sel:WORD_1
	v_cvt_pk_f32_fp8_sdwa v[24:25], v33 src0_sel:WORD_1
	v_cvt_pkrtz_f16_f32 v18, v18, v19
	v_cvt_pkrtz_f16_f32 v19, v20, v21
	;; [unrolled: 1-line block ×3, first 2 shown]
	s_nop 0
	v_mfma_f32_4x4x4_16b_f16 a[0:3], v[34:35], v[18:19], a[0:3] cbsz:4 abid:14
	v_cvt_pkrtz_f16_f32 v21, v24, v25
	v_cvt_pk_f32_fp8_sdwa v[22:23], v10 src0_sel:WORD_1
	v_cvt_pk_f32_fp8_e32 v[24:25], v11
	v_mfma_f32_4x4x4_16b_f16 a[0:3], v[34:35], v[20:21], a[0:3] cbsz:4 abid:15
	s_nop 4
	v_accvgpr_read_b32 v19, a1
	v_accvgpr_read_b32 v18, a0
	s_waitcnt lgkmcnt(0)
	v_pk_mul_f32 v[18:19], v[18:19], s[4:5] op_sel_hi:[1,0]
	s_nop 0
	v_cvt_f16_f32_e32 v20, v18
	v_cvt_f16_f32_e32 v21, v19
	v_accvgpr_read_b32 v19, a3
	v_accvgpr_read_b32 v18, a2
	v_pk_mul_f32 v[18:19], v[18:19], s[4:5] op_sel_hi:[1,0]
	v_pack_b32_f16 v20, v20, v21
	v_cvt_f16_f32_e32 v21, v18
	v_cvt_f16_f32_e32 v26, v19
	v_cvt_pk_f32_fp8_e32 v[18:19], v10
	v_cvt_pk_f32_fp8_sdwa v[10:11], v11 src0_sel:WORD_1
	v_pack_b32_f16 v21, v21, v26
	v_cvt_pkrtz_f16_f32 v18, v18, v19
	v_cvt_pkrtz_f16_f32 v19, v22, v23
	;; [unrolled: 1-line block ×4, first 2 shown]
	v_mfma_f32_4x4x4_16b_f16 a[0:3], v[34:35], v[18:19], 0 cbsz:4
	v_cvt_pk_f32_fp8_e32 v[10:11], v12
	v_cvt_pk_f32_fp8_sdwa v[18:19], v12 src0_sel:WORD_1
	v_mfma_f32_4x4x4_16b_f16 a[0:3], v[34:35], v[22:23], a[0:3] cbsz:4 abid:1
	v_cvt_pk_f32_fp8_e32 v[22:23], v13
	v_cvt_pk_f32_fp8_sdwa v[12:13], v13 src0_sel:WORD_1
	v_cvt_pkrtz_f16_f32 v10, v10, v11
	v_cvt_pkrtz_f16_f32 v11, v18, v19
	v_cvt_pkrtz_f16_f32 v18, v22, v23
	v_cvt_pkrtz_f16_f32 v19, v12, v13
	v_mfma_f32_4x4x4_16b_f16 a[0:3], v[34:35], v[10:11], a[0:3] cbsz:4 abid:2
	v_cvt_pk_f32_fp8_e32 v[10:11], v2
	v_cvt_pk_f32_fp8_sdwa v[12:13], v2 src0_sel:WORD_1
	v_mfma_f32_4x4x4_16b_f16 a[0:3], v[34:35], v[18:19], a[0:3] cbsz:4 abid:3
	v_cvt_pk_f32_fp8_e32 v[18:19], v3
	v_cvt_pk_f32_fp8_sdwa v[2:3], v3 src0_sel:WORD_1
	v_cvt_pkrtz_f16_f32 v10, v10, v11
	v_cvt_pkrtz_f16_f32 v11, v12, v13
	v_cvt_pkrtz_f16_f32 v12, v18, v19
	v_cvt_pkrtz_f16_f32 v13, v2, v3
	v_mfma_f32_4x4x4_16b_f16 a[0:3], v[34:35], v[10:11], a[0:3] cbsz:4 abid:4
	;; [unrolled: 10-line block ×4, first 2 shown]
	v_cvt_pk_f32_fp8_e32 v[2:3], v8
	v_cvt_pk_f32_fp8_e32 v[6:7], v9
	v_mfma_f32_4x4x4_16b_f16 a[0:3], v[34:35], v[4:5], a[0:3] cbsz:4 abid:9
	v_cvt_pk_f32_fp8_sdwa v[4:5], v8 src0_sel:WORD_1
	v_cvt_pk_f32_fp8_sdwa v[8:9], v9 src0_sel:WORD_1
	v_cvt_pkrtz_f16_f32 v2, v2, v3
	v_cvt_pkrtz_f16_f32 v3, v4, v5
	;; [unrolled: 1-line block ×3, first 2 shown]
	s_nop 0
	v_mfma_f32_4x4x4_16b_f16 a[0:3], v[34:35], v[2:3], a[0:3] cbsz:4 abid:10
	v_cvt_pkrtz_f16_f32 v5, v8, v9
	s_waitcnt vmcnt(0)
	v_cvt_pk_f32_fp8_e32 v[2:3], v14
	v_cvt_pk_f32_fp8_e32 v[6:7], v15
	v_mfma_f32_4x4x4_16b_f16 a[0:3], v[34:35], v[4:5], a[0:3] cbsz:4 abid:11
	v_cvt_pk_f32_fp8_sdwa v[4:5], v14 src0_sel:WORD_1
	v_cvt_pk_f32_fp8_sdwa v[8:9], v15 src0_sel:WORD_1
	v_cvt_pkrtz_f16_f32 v2, v2, v3
	v_cvt_pkrtz_f16_f32 v3, v4, v5
	;; [unrolled: 1-line block ×3, first 2 shown]
	s_nop 0
	v_mfma_f32_4x4x4_16b_f16 a[0:3], v[34:35], v[2:3], a[0:3] cbsz:4 abid:12
	v_cvt_pkrtz_f16_f32 v5, v8, v9
	v_cvt_pk_f32_fp8_e32 v[2:3], v16
	v_cvt_pk_f32_fp8_e32 v[6:7], v17
	v_mfma_f32_4x4x4_16b_f16 a[0:3], v[34:35], v[4:5], a[0:3] cbsz:4 abid:13
	v_cvt_pk_f32_fp8_sdwa v[4:5], v16 src0_sel:WORD_1
	v_cvt_pk_f32_fp8_sdwa v[8:9], v17 src0_sel:WORD_1
	v_cvt_pkrtz_f16_f32 v2, v2, v3
	v_cvt_pkrtz_f16_f32 v3, v4, v5
	;; [unrolled: 1-line block ×3, first 2 shown]
	s_nop 0
	v_mfma_f32_4x4x4_16b_f16 a[0:3], v[34:35], v[2:3], a[0:3] cbsz:4 abid:14
	v_cvt_pkrtz_f16_f32 v5, v8, v9
	v_mad_u32_u24 v7, v1, 40, v38
	s_nop 0
	v_mfma_f32_4x4x4_16b_f16 a[0:3], v[34:35], v[4:5], a[0:3] cbsz:4 abid:15
	s_nop 4
	v_accvgpr_read_b32 v5, a1
	v_accvgpr_read_b32 v3, a3
	;; [unrolled: 1-line block ×4, first 2 shown]
	v_pk_mul_f32 v[2:3], v[2:3], s[4:5] op_sel_hi:[1,0]
	v_pk_mul_f32 v[4:5], v[4:5], s[4:5] op_sel_hi:[1,0]
	v_cvt_f16_f32_e32 v6, v2
	v_cvt_f16_f32_e32 v4, v4
	v_cvt_f16_f32_e32 v5, v5
	v_cvt_f16_f32_e32 v3, v3
	v_pack_b32_f16 v2, v4, v5
	v_pack_b32_f16 v3, v6, v3
	ds_write2st64_b64 v7, v[20:21], v[2:3] offset1:5
.LBB990_23:
	s_or_b64 exec, exec, s[2:3]
	v_cmp_gt_u32_e32 vcc, 64, v0
	s_waitcnt lgkmcnt(0)
	s_barrier
	s_and_saveexec_b64 s[2:3], vcc
	s_cbranch_execz .LBB990_25
; %bb.24:
	s_waitcnt vmcnt(2)
	v_mul_u32_u24_e32 v6, 40, v1
	ds_read2_b64 v[2:5], v6 offset1:1
	ds_read2_b64 v[6:9], v6 offset0:2 offset1:3
	s_mov_b32 s1, 0
	s_lshl_b32 s0, s0, 7
	s_lshl_b64 s[2:3], s[0:1], 1
	s_waitcnt lgkmcnt(1)
	v_pk_add_f16 v2, v2, 0
	v_pk_add_f16 v3, v3, 0
	v_pk_add_f16 v2, v2, v4
	v_pk_add_f16 v3, v3, v5
	s_waitcnt lgkmcnt(0)
	v_pk_add_f16 v2, v2, v6
	v_pk_add_f16 v6, v3, v7
	;; [unrolled: 1-line block ×3, first 2 shown]
	v_mov_b32_e32 v2, 0xa00
	v_mad_u32_u24 v2, v1, 40, v2
	ds_read2_b64 v[2:5], v2 offset1:1
	v_pk_add_f16 v11, v6, v9
	v_mov_b32_e32 v6, 0xa10
	v_mad_u32_u24 v1, v1, 40, v6
	ds_read2_b64 v[6:9], v1 offset1:1
	s_add_u32 s2, s26, s2
	s_addc_u32 s3, s27, s3
	s_lshl_b32 s0, s24, 7
	s_lshl_b64 s[0:1], s[0:1], 1
	s_waitcnt lgkmcnt(1)
	v_pk_add_f16 v1, v2, 0
	v_pk_add_f16 v2, v3, 0
	s_add_u32 s0, s2, s0
	v_pk_add_f16 v2, v2, v5
	s_addc_u32 s1, s3, s1
	s_lshl_b32 s2, s5, 7
	s_waitcnt lgkmcnt(0)
	v_pk_add_f16 v2, v2, v7
	s_mul_i32 s3, s2, s8
	v_pk_add_f16 v9, v2, v9
	v_or_b32_e32 v2, s3, v0
	v_mov_b32_e32 v3, 0
	s_add_i32 s3, s3, s2
	v_pk_add_f16 v1, v1, v4
	v_lshl_add_u64 v[4:5], v[2:3], 1, s[0:1]
	v_or_b32_e32 v2, s3, v0
	s_add_i32 s3, s3, s2
	v_pk_add_f16 v1, v1, v6
	v_lshl_add_u64 v[6:7], v[2:3], 1, s[0:1]
	v_or_b32_e32 v2, s3, v0
	v_pk_add_f16 v8, v1, v8
	v_lshl_add_u64 v[0:1], v[2:3], 1, s[0:1]
	global_store_short v[4:5], v10, off
	global_store_short_d16_hi v[6:7], v10, off
	global_store_short v[0:1], v11, off
	global_store_short v[4:5], v8, off offset:128
	global_store_short_d16_hi v[6:7], v8, off offset:128
	global_store_short v[0:1], v9, off offset:128
.LBB990_25:
	s_endpgm
	.section	.rodata,"a",@progbits
	.p2align	6, 0x0
	.amdhsa_kernel _Z38paged_attention_ll4mi_QKV_mfma4_kernelIDF16_hLN4vllm18Fp8KVCacheDataTypeE1EDF16_Li16ELi128ELi256ELb0ELi3EEvPKT_PKT0_S7_ifPKiS9_S9_iPKfiiiPfSC_PS2_PT2_iSB_SB_
		.amdhsa_group_segment_fixed_size 5280
		.amdhsa_private_segment_fixed_size 0
		.amdhsa_kernarg_size 400
		.amdhsa_user_sgpr_count 2
		.amdhsa_user_sgpr_dispatch_ptr 0
		.amdhsa_user_sgpr_queue_ptr 0
		.amdhsa_user_sgpr_kernarg_segment_ptr 1
		.amdhsa_user_sgpr_dispatch_id 0
		.amdhsa_user_sgpr_kernarg_preload_length 0
		.amdhsa_user_sgpr_kernarg_preload_offset 0
		.amdhsa_user_sgpr_private_segment_size 0
		.amdhsa_uses_dynamic_stack 0
		.amdhsa_enable_private_segment 0
		.amdhsa_system_sgpr_workgroup_id_x 1
		.amdhsa_system_sgpr_workgroup_id_y 1
		.amdhsa_system_sgpr_workgroup_id_z 1
		.amdhsa_system_sgpr_workgroup_info 0
		.amdhsa_system_vgpr_workitem_id 0
		.amdhsa_next_free_vgpr 68
		.amdhsa_next_free_sgpr 42
		.amdhsa_accum_offset 64
		.amdhsa_reserve_vcc 1
		.amdhsa_float_round_mode_32 0
		.amdhsa_float_round_mode_16_64 0
		.amdhsa_float_denorm_mode_32 3
		.amdhsa_float_denorm_mode_16_64 3
		.amdhsa_dx10_clamp 1
		.amdhsa_ieee_mode 1
		.amdhsa_fp16_overflow 0
		.amdhsa_tg_split 0
		.amdhsa_exception_fp_ieee_invalid_op 0
		.amdhsa_exception_fp_denorm_src 0
		.amdhsa_exception_fp_ieee_div_zero 0
		.amdhsa_exception_fp_ieee_overflow 0
		.amdhsa_exception_fp_ieee_underflow 0
		.amdhsa_exception_fp_ieee_inexact 0
		.amdhsa_exception_int_div_zero 0
	.end_amdhsa_kernel
	.section	.text._Z38paged_attention_ll4mi_QKV_mfma4_kernelIDF16_hLN4vllm18Fp8KVCacheDataTypeE1EDF16_Li16ELi128ELi256ELb0ELi3EEvPKT_PKT0_S7_ifPKiS9_S9_iPKfiiiPfSC_PS2_PT2_iSB_SB_,"axG",@progbits,_Z38paged_attention_ll4mi_QKV_mfma4_kernelIDF16_hLN4vllm18Fp8KVCacheDataTypeE1EDF16_Li16ELi128ELi256ELb0ELi3EEvPKT_PKT0_S7_ifPKiS9_S9_iPKfiiiPfSC_PS2_PT2_iSB_SB_,comdat
.Lfunc_end990:
	.size	_Z38paged_attention_ll4mi_QKV_mfma4_kernelIDF16_hLN4vllm18Fp8KVCacheDataTypeE1EDF16_Li16ELi128ELi256ELb0ELi3EEvPKT_PKT0_S7_ifPKiS9_S9_iPKfiiiPfSC_PS2_PT2_iSB_SB_, .Lfunc_end990-_Z38paged_attention_ll4mi_QKV_mfma4_kernelIDF16_hLN4vllm18Fp8KVCacheDataTypeE1EDF16_Li16ELi128ELi256ELb0ELi3EEvPKT_PKT0_S7_ifPKiS9_S9_iPKfiiiPfSC_PS2_PT2_iSB_SB_
                                        ; -- End function
	.section	.AMDGPU.csdata,"",@progbits
; Kernel info:
; codeLenInByte = 5492
; NumSgprs: 48
; NumVgprs: 64
; NumAgprs: 4
; TotalNumVgprs: 68
; ScratchSize: 0
; MemoryBound: 0
; FloatMode: 240
; IeeeMode: 1
; LDSByteSize: 5280 bytes/workgroup (compile time only)
; SGPRBlocks: 5
; VGPRBlocks: 8
; NumSGPRsForWavesPerEU: 48
; NumVGPRsForWavesPerEU: 68
; AccumOffset: 64
; Occupancy: 7
; WaveLimiterHint : 1
; COMPUTE_PGM_RSRC2:SCRATCH_EN: 0
; COMPUTE_PGM_RSRC2:USER_SGPR: 2
; COMPUTE_PGM_RSRC2:TRAP_HANDLER: 0
; COMPUTE_PGM_RSRC2:TGID_X_EN: 1
; COMPUTE_PGM_RSRC2:TGID_Y_EN: 1
; COMPUTE_PGM_RSRC2:TGID_Z_EN: 1
; COMPUTE_PGM_RSRC2:TIDIG_COMP_CNT: 0
; COMPUTE_PGM_RSRC3_GFX90A:ACCUM_OFFSET: 15
; COMPUTE_PGM_RSRC3_GFX90A:TG_SPLIT: 0
	.section	.text._Z38paged_attention_ll4mi_QKV_mfma4_kernelIDF16_hLN4vllm18Fp8KVCacheDataTypeE1EDF16_Li16ELi128ELi256ELb0ELi4EEvPKT_PKT0_S7_ifPKiS9_S9_iPKfiiiPfSC_PS2_PT2_iSB_SB_,"axG",@progbits,_Z38paged_attention_ll4mi_QKV_mfma4_kernelIDF16_hLN4vllm18Fp8KVCacheDataTypeE1EDF16_Li16ELi128ELi256ELb0ELi4EEvPKT_PKT0_S7_ifPKiS9_S9_iPKfiiiPfSC_PS2_PT2_iSB_SB_,comdat
	.protected	_Z38paged_attention_ll4mi_QKV_mfma4_kernelIDF16_hLN4vllm18Fp8KVCacheDataTypeE1EDF16_Li16ELi128ELi256ELb0ELi4EEvPKT_PKT0_S7_ifPKiS9_S9_iPKfiiiPfSC_PS2_PT2_iSB_SB_ ; -- Begin function _Z38paged_attention_ll4mi_QKV_mfma4_kernelIDF16_hLN4vllm18Fp8KVCacheDataTypeE1EDF16_Li16ELi128ELi256ELb0ELi4EEvPKT_PKT0_S7_ifPKiS9_S9_iPKfiiiPfSC_PS2_PT2_iSB_SB_
	.globl	_Z38paged_attention_ll4mi_QKV_mfma4_kernelIDF16_hLN4vllm18Fp8KVCacheDataTypeE1EDF16_Li16ELi128ELi256ELb0ELi4EEvPKT_PKT0_S7_ifPKiS9_S9_iPKfiiiPfSC_PS2_PT2_iSB_SB_
	.p2align	8
	.type	_Z38paged_attention_ll4mi_QKV_mfma4_kernelIDF16_hLN4vllm18Fp8KVCacheDataTypeE1EDF16_Li16ELi128ELi256ELb0ELi4EEvPKT_PKT0_S7_ifPKiS9_S9_iPKfiiiPfSC_PS2_PT2_iSB_SB_,@function
_Z38paged_attention_ll4mi_QKV_mfma4_kernelIDF16_hLN4vllm18Fp8KVCacheDataTypeE1EDF16_Li16ELi128ELi256ELb0ELi4EEvPKT_PKT0_S7_ifPKiS9_S9_iPKfiiiPfSC_PS2_PT2_iSB_SB_: ; @_Z38paged_attention_ll4mi_QKV_mfma4_kernelIDF16_hLN4vllm18Fp8KVCacheDataTypeE1EDF16_Li16ELi128ELi256ELb0ELi4EEvPKT_PKT0_S7_ifPKiS9_S9_iPKfiiiPfSC_PS2_PT2_iSB_SB_
; %bb.0:
	s_load_dwordx2 s[8:9], s[0:1], 0x30
	s_mov_b32 s24, s3
	s_mov_b64 s[6:7], 0
	s_waitcnt lgkmcnt(0)
	s_cmp_lg_u64 s[8:9], 0
	s_cselect_b64 s[10:11], -1, 0
	s_and_b64 vcc, exec, s[10:11]
	s_cbranch_vccz .LBB991_20
; %bb.1:
	s_add_i32 s12, s2, 1
	s_mov_b32 s13, 0
	s_lshl_b64 s[14:15], s[12:13], 2
	s_add_u32 s14, s8, s14
	s_mov_b32 s3, s13
	s_addc_u32 s15, s9, s15
	s_lshl_b64 s[12:13], s[2:3], 2
	s_add_u32 s12, s8, s12
	s_addc_u32 s13, s9, s13
	s_load_dword s5, s[14:15], 0x0
	s_load_dword s16, s[12:13], 0x0
	s_mov_b64 s[34:35], s[2:3]
	s_waitcnt lgkmcnt(0)
	s_sub_i32 s5, s5, s16
	s_cmp_eq_u32 s5, 1
	s_cselect_b64 s[12:13], -1, 0
	s_andn2_b64 vcc, exec, s[6:7]
	s_cbranch_vccnz .LBB991_3
.LBB991_2:
	s_mov_b32 s3, 0
	s_mov_b64 s[12:13], -1
	s_mov_b64 s[34:35], s[2:3]
.LBB991_3:
	s_andn2_b64 vcc, exec, s[12:13]
	s_cbranch_vccnz .LBB991_19
; %bb.4:
	s_load_dword s3, s[0:1], 0x9c
	s_load_dwordx2 s[6:7], s[0:1], 0x28
	s_add_u32 s28, s0, 0x90
	s_addc_u32 s29, s1, 0
	s_lshl_b64 s[38:39], s[34:35], 2
	s_waitcnt lgkmcnt(0)
	s_and_b32 s5, s3, 0xffff
	s_add_u32 s6, s6, s38
	s_addc_u32 s7, s7, s39
	s_load_dword s3, s[6:7], 0x0
	s_mul_i32 s20, s24, s5
	s_waitcnt lgkmcnt(0)
	s_cmp_ge_i32 s20, s3
	s_cbranch_scc1 .LBB991_19
; %bb.5:
	v_and_b32_e32 v1, 0xc0, v0
	v_add_u32_e32 v4, s20, v1
	v_lshrrev_b32_e32 v42, 6, v0
	v_cmp_le_i32_e64 s[6:7], s3, v4
                                        ; implicit-def: $sgpr22
                                        ; implicit-def: $sgpr21
	s_and_saveexec_b64 s[12:13], s[6:7]
	s_xor_b64 s[12:13], exec, s[12:13]
	s_cbranch_execz .LBB991_7
; %bb.6:
	v_mul_u32_u24_e32 v1, 20, v42
	v_or_b32_e32 v1, 0x1400, v1
	v_mov_b32_e32 v2, 0x1450
	v_mov_b32_e32 v3, 0xff7fffff
	v_mad_u32_u24 v2, v42, 20, v2
	ds_write2_b32 v1, v3, v3 offset1:1
	v_mov_b32_e32 v1, 0
	ds_write2_b32 v2, v1, v1 offset1:1
	v_mov_b32_e32 v2, 0x1408
	v_mov_b32_e32 v4, 0x1458
	s_mov_b32 s21, 0xff7fffff
	s_mov_b32 s22, 0
	v_mad_u32_u24 v2, v42, 20, v2
	v_mad_u32_u24 v4, v42, 20, v4
	ds_write2_b32 v2, v3, v3 offset1:1
	ds_write2_b32 v4, v1, v1 offset1:1
                                        ; implicit-def: $vgpr4
.LBB991_7:
	s_or_saveexec_b64 s[30:31], s[12:13]
	s_load_dwordx2 s[26:27], s[0:1], 0x68
	s_load_dwordx4 s[16:19], s[0:1], 0x58
	s_load_dword s5, s[28:29], 0x4
	s_load_dwordx4 s[12:15], s[0:1], 0x80
	v_and_b32_e32 v1, 63, v0
	v_and_b32_e32 v43, 3, v0
	v_mov_b32_e32 v37, s22
	v_mov_b32_e32 v39, s21
	;; [unrolled: 1-line block ×5, first 2 shown]
                                        ; implicit-def: $vgpr30_vgpr31
                                        ; implicit-def: $vgpr18_vgpr19
                                        ; implicit-def: $vgpr22_vgpr23
                                        ; implicit-def: $vgpr26_vgpr27
                                        ; implicit-def: $vgpr14_vgpr15
                                        ; implicit-def: $vgpr2_vgpr3
                                        ; implicit-def: $vgpr6_vgpr7
                                        ; implicit-def: $vgpr10_vgpr11
	s_xor_b64 exec, exec, s[30:31]
	s_cbranch_execz .LBB991_13
; %bb.8:
	s_load_dwordx2 s[22:23], s[0:1], 0x20
	s_load_dword s21, s[0:1], 0x38
	s_add_i32 s25, s3, 15
	s_ashr_i32 s33, s25, 31
	s_lshr_b32 s33, s33, 28
	v_add_u32_e32 v44, s20, v0
	s_add_i32 s25, s25, s33
	v_ashrrev_i32_e32 v2, 31, v44
	s_ashr_i32 s25, s25, 4
	v_lshrrev_b32_e32 v2, 28, v2
	s_add_i32 s25, s25, -1
	s_waitcnt lgkmcnt(0)
	s_mul_i32 s40, s2, s21
	s_mov_b32 s41, 0
	v_add_u32_e32 v2, v44, v2
	s_lshl_b64 s[36:37], s[40:41], 2
	v_ashrrev_i32_e32 v2, 4, v2
	v_mov_b32_e32 v3, s25
	v_cmp_gt_i32_e32 vcc, s3, v44
	s_add_u32 s22, s22, s36
	s_addc_u32 s23, s23, s37
	v_cndmask_b32_e32 v2, v3, v2, vcc
	v_ashrrev_i32_e32 v3, 31, v2
	v_lshl_add_u64 v[8:9], v[2:3], 2, s[22:23]
	v_ashrrev_i32_e32 v2, 31, v4
	v_lshrrev_b32_e32 v2, 28, v2
	v_add_u32_e32 v2, v4, v2
	v_ashrrev_i32_e32 v4, 4, v2
	v_min_i32_e32 v2, s25, v4
	v_ashrrev_i32_e32 v3, 31, v2
	v_lshl_add_u64 v[10:11], v[2:3], 2, s[22:23]
	v_add_u32_e32 v2, 1, v4
	v_min_i32_e32 v2, s25, v2
	v_ashrrev_i32_e32 v3, 31, v2
	v_lshl_add_u64 v[12:13], v[2:3], 2, s[22:23]
	v_add_u32_e32 v2, 2, v4
	;; [unrolled: 4-line block ×3, first 2 shown]
	v_min_i32_e32 v2, s25, v2
	v_ashrrev_i32_e32 v3, 31, v2
	v_lshl_add_u64 v[16:17], v[2:3], 2, s[22:23]
	global_load_dword v6, v[8:9], off
	global_load_dword v2, v[10:11], off
	;; [unrolled: 1-line block ×5, first 2 shown]
	s_load_dwordx4 s[20:23], s[0:1], 0x0
	s_load_dwordx2 s[36:37], s[0:1], 0x10
	s_andn2_b64 vcc, exec, s[10:11]
	s_cbranch_vccnz .LBB991_10
; %bb.9:
	s_add_u32 s8, s8, s38
	s_addc_u32 s9, s9, s39
	s_load_dword s40, s[8:9], 0x0
	s_waitcnt lgkmcnt(0)
	s_mov_b64 s[34:35], s[40:41]
.LBB991_10:
	s_load_dwordx4 s[8:11], s[0:1], 0x48
	s_waitcnt lgkmcnt(0)
	s_load_dword s11, s[0:1], 0x1c
                                        ; kill: killed $sgpr0 killed $sgpr1
	v_mov_b32_e32 v15, 0
	v_mov_b32_e32 v19, v15
	;; [unrolled: 1-line block ×3, first 2 shown]
	s_ashr_i32 s1, s8, 31
	s_mul_hi_u32 s25, s34, s8
	s_mul_i32 s1, s34, s1
	s_mul_i32 s33, s35, s8
	s_add_i32 s1, s25, s1
	s_mul_i32 s0, s34, s8
	s_add_i32 s1, s1, s33
	s_lshl_b64 s[0:1], s[0:1], 1
	s_add_u32 s8, s20, s0
	s_addc_u32 s20, s21, s1
	s_lshl_b32 s40, s4, 9
	s_lshl_b64 s[0:1], s[40:41], 1
	s_add_u32 s0, s8, s0
	s_addc_u32 s1, s20, s1
	s_mul_i32 s8, s4, s10
	s_add_u32 s20, s8, s22
	s_addc_u32 s21, 0, s23
	v_mov_b64_e32 v[8:9], s[20:21]
	s_waitcnt vmcnt(4)
	v_mad_i64_i32 v[6:7], s[20:21], v6, s9, v[8:9]
	v_lshlrev_b32_e32 v8, 4, v0
	v_and_b32_e32 v14, 0xf0, v8
	v_lshl_add_u64 v[16:17], v[6:7], 0, v[14:15]
	v_lshlrev_b32_e32 v14, 2, v1
	v_and_b32_e32 v14, 0xf0, v14
	v_lshl_or_b32 v14, v43, 8, v14
	global_load_dwordx4 v[10:13], v[16:17], off
	global_load_dwordx4 v[6:9], v[16:17], off offset:256
	global_load_dwordx4 v[34:37], v14, s[0:1]
	global_load_dwordx4 v[24:27], v[16:17], off offset:512
	global_load_dwordx4 v[46:49], v[16:17], off offset:768
	;; [unrolled: 1-line block ×6, first 2 shown]
	s_waitcnt vmcnt(11)
	v_mul_hi_i32 v18, v3, s9
	s_waitcnt vmcnt(10)
	v_mul_hi_i32 v20, v4, s9
	;; [unrolled: 2-line block ×3, first 2 shown]
	v_ashrrev_i32_e32 v18, 31, v18
	v_ashrrev_i32_e32 v20, 31, v20
	;; [unrolled: 1-line block ×3, first 2 shown]
	v_mov_b32_e32 v23, v15
	v_mul_hi_i32 v14, v2, s9
	v_lshrrev_b32_e32 v18, 29, v18
	v_lshrrev_b32_e32 v20, 29, v20
	;; [unrolled: 1-line block ×3, first 2 shown]
	v_ashrrev_i32_e32 v14, 31, v14
	v_mad_i64_i32 v[18:19], s[0:1], v3, s9, v[18:19]
	v_mad_i64_i32 v[20:21], s[0:1], v4, s9, v[20:21]
	v_mad_i64_i32 v[4:5], s[0:1], v5, s9, v[22:23]
	s_add_u32 s0, s36, s8
	v_lshrrev_b32_e32 v14, 29, v14
	v_and_b32_e32 v18, -8, v18
	s_addc_u32 s1, s37, 0
	v_mad_i64_i32 v[2:3], s[8:9], v2, s9, v[14:15]
	v_and_b32_e32 v20, -8, v20
	v_and_b32_e32 v4, -8, v4
	v_lshl_add_u64 v[18:19], s[0:1], 0, v[18:19]
	v_lshlrev_b32_e32 v14, 4, v1
	v_and_b32_e32 v2, -8, v2
	v_lshl_add_u64 v[20:21], s[0:1], 0, v[20:21]
	v_lshl_add_u64 v[4:5], s[0:1], 0, v[4:5]
	;; [unrolled: 1-line block ×6, first 2 shown]
	global_load_dwordx4 v[18:21], v[16:17], off
	global_load_dwordx4 v[2:5], v[16:17], off offset:1024
	v_lshl_add_u64 v[22:23], v[22:23], 0, v[14:15]
	v_cmp_eq_u32_e32 vcc, 0, v43
	s_waitcnt vmcnt(10)
	v_cvt_pk_f32_fp8_e32 v[14:15], v10
	v_cvt_pk_f32_fp8_sdwa v[16:17], v10 src0_sel:WORD_1
	v_cvt_pk_f32_fp8_e32 v[30:31], v11
	v_cvt_pk_f32_fp8_sdwa v[10:11], v11 src0_sel:WORD_1
	;; [unrolled: 2-line block ×3, first 2 shown]
	v_cvt_pkrtz_f16_f32 v82, v14, v15
	v_cvt_pkrtz_f16_f32 v83, v16, v17
	v_cvt_pk_f32_fp8_e32 v[68:69], v13
	v_cvt_pk_f32_fp8_sdwa v[12:13], v13 src0_sel:WORD_1
	s_waitcnt vmcnt(8)
	v_mfma_f32_4x4x4_16b_f16 a[0:3], v[34:35], v[82:83], 0 cbsz:4
	v_cvt_pkrtz_f16_f32 v84, v30, v31
	v_cvt_pkrtz_f16_f32 v85, v10, v11
	v_cvt_pk_f32_fp8_e32 v[70:71], v6
	v_cvt_pk_f32_fp8_sdwa v[72:73], v6 src0_sel:WORD_1
	v_mfma_f32_4x4x4_16b_f16 a[0:3], v[36:37], v[84:85], a[0:3] cbsz:4
	v_cvt_pkrtz_f16_f32 v10, v64, v65
	v_cvt_pkrtz_f16_f32 v11, v66, v67
	v_cvt_pk_f32_fp8_e32 v[74:75], v7
	v_cvt_pk_f32_fp8_sdwa v[6:7], v7 src0_sel:WORD_1
	v_mfma_f32_4x4x4_16b_f16 a[0:3], v[34:35], v[10:11], a[0:3] cbsz:4 abid:1
	global_load_dwordx4 v[30:33], v[22:23], off
	global_load_dwordx4 v[14:17], v[22:23], off offset:1024
	v_cvt_pkrtz_f16_f32 v22, v68, v69
	v_cvt_pkrtz_f16_f32 v23, v12, v13
	v_cvt_pk_f32_fp8_e32 v[76:77], v8
	v_cvt_pk_f32_fp8_sdwa v[78:79], v8 src0_sel:WORD_1
	v_mfma_f32_4x4x4_16b_f16 a[0:3], v[36:37], v[22:23], a[0:3] cbsz:4 abid:1
	v_cvt_pkrtz_f16_f32 v12, v70, v71
	v_cvt_pkrtz_f16_f32 v13, v72, v73
	v_cvt_pk_f32_fp8_e32 v[80:81], v9
	v_cvt_pk_f32_fp8_sdwa v[8:9], v9 src0_sel:WORD_1
	v_mfma_f32_4x4x4_16b_f16 a[0:3], v[34:35], v[12:13], a[0:3] cbsz:4 abid:2
	v_cvt_pkrtz_f16_f32 v64, v74, v75
	v_cvt_pkrtz_f16_f32 v65, v6, v7
	s_waitcnt vmcnt(9)
	v_cvt_pk_f32_fp8_sdwa v[12:13], v24 src0_sel:WORD_1
	v_cvt_pkrtz_f16_f32 v6, v76, v77
	v_mfma_f32_4x4x4_16b_f16 a[0:3], v[36:37], v[64:65], a[0:3] cbsz:4 abid:2
	v_cvt_pkrtz_f16_f32 v7, v78, v79
	v_cvt_pkrtz_f16_f32 v10, v80, v81
	;; [unrolled: 1-line block ×3, first 2 shown]
	v_mfma_f32_4x4x4_16b_f16 a[0:3], v[34:35], v[6:7], a[0:3] cbsz:4 abid:3
	v_cvt_pk_f32_fp8_e32 v[6:7], v24
	v_cvt_pk_f32_fp8_sdwa v[64:65], v25 src0_sel:WORD_1
	v_mfma_f32_4x4x4_16b_f16 a[0:3], v[36:37], v[10:11], a[0:3] cbsz:4 abid:3
	v_cvt_pkrtz_f16_f32 v11, v12, v13
	v_cvt_pk_f32_fp8_e32 v[12:13], v25
	v_cvt_pkrtz_f16_f32 v10, v6, v7
	global_load_dwordx4 v[22:25], v[28:29], off
	global_load_dwordx4 v[6:9], v[28:29], off offset:1024
	v_mfma_f32_4x4x4_16b_f16 a[0:3], v[34:35], v[10:11], a[0:3] cbsz:4 abid:4
	v_cvt_pkrtz_f16_f32 v12, v12, v13
	v_cvt_pkrtz_f16_f32 v13, v64, v65
	v_cvt_pk_f32_fp8_e32 v[10:11], v26
	v_cvt_pk_f32_fp8_e32 v[28:29], v27
	v_mfma_f32_4x4x4_16b_f16 a[0:3], v[36:37], v[12:13], a[0:3] cbsz:4 abid:4
	v_cvt_pk_f32_fp8_sdwa v[12:13], v26 src0_sel:WORD_1
	v_cvt_pk_f32_fp8_sdwa v[26:27], v27 src0_sel:WORD_1
	v_cvt_pkrtz_f16_f32 v10, v10, v11
	s_waitcnt vmcnt(10)
	v_cvt_pk_f32_fp8_sdwa v[64:65], v48 src0_sel:WORD_1
	v_cvt_pkrtz_f16_f32 v11, v12, v13
	v_cvt_pkrtz_f16_f32 v12, v28, v29
	;; [unrolled: 1-line block ×3, first 2 shown]
	v_mfma_f32_4x4x4_16b_f16 a[0:3], v[34:35], v[10:11], a[0:3] cbsz:4 abid:5
	v_cvt_pk_f32_fp8_e32 v[10:11], v46
	v_cvt_pk_f32_fp8_e32 v[26:27], v47
	v_mfma_f32_4x4x4_16b_f16 a[0:3], v[36:37], v[12:13], a[0:3] cbsz:4 abid:5
	v_cvt_pk_f32_fp8_sdwa v[12:13], v46 src0_sel:WORD_1
	v_cvt_pk_f32_fp8_sdwa v[28:29], v47 src0_sel:WORD_1
	v_cvt_pkrtz_f16_f32 v10, v10, v11
	v_cvt_pk_f32_fp8_e32 v[46:47], v48
	v_cvt_pkrtz_f16_f32 v11, v12, v13
	v_cvt_pk_f32_fp8_e32 v[66:67], v49
	v_cvt_pk_f32_fp8_sdwa v[48:49], v49 src0_sel:WORD_1
	v_mfma_f32_4x4x4_16b_f16 a[0:3], v[34:35], v[10:11], a[0:3] cbsz:4 abid:6
	v_cvt_pkrtz_f16_f32 v12, v26, v27
	v_cvt_pkrtz_f16_f32 v13, v28, v29
	;; [unrolled: 1-line block ×4, first 2 shown]
	v_mfma_f32_4x4x4_16b_f16 a[0:3], v[36:37], v[12:13], a[0:3] cbsz:4 abid:6
	global_load_dwordx4 v[26:29], v[62:63], off
	global_load_dwordx4 v[10:13], v[62:63], off offset:1024
	v_cvt_pkrtz_f16_f32 v63, v48, v49
	v_mfma_f32_4x4x4_16b_f16 a[0:3], v[34:35], v[46:47], a[0:3] cbsz:4 abid:7
	s_waitcnt vmcnt(11)
	v_cvt_pk_f32_fp8_e32 v[46:47], v50
	v_cvt_pk_f32_fp8_sdwa v[48:49], v50 src0_sel:WORD_1
	v_cvt_pkrtz_f16_f32 v62, v66, v67
	s_load_dword s0, s[12:13], 0x0
	v_cvt_pkrtz_f16_f32 v46, v46, v47
	v_mfma_f32_4x4x4_16b_f16 a[0:3], v[36:37], v[62:63], a[0:3] cbsz:4 abid:7
	v_cvt_pk_f32_fp8_e32 v[62:63], v51
	v_cvt_pk_f32_fp8_sdwa v[50:51], v51 src0_sel:WORD_1
	v_cvt_pkrtz_f16_f32 v47, v48, v49
	v_cvt_pkrtz_f16_f32 v48, v62, v63
	s_nop 0
	v_mfma_f32_4x4x4_16b_f16 a[0:3], v[34:35], v[46:47], a[0:3] cbsz:4 abid:8
	v_cvt_pkrtz_f16_f32 v49, v50, v51
	v_cvt_pk_f32_fp8_e32 v[46:47], v52
	v_cvt_pk_f32_fp8_e32 v[50:51], v53
	v_mfma_f32_4x4x4_16b_f16 a[0:3], v[36:37], v[48:49], a[0:3] cbsz:4 abid:8
	v_cvt_pk_f32_fp8_sdwa v[48:49], v52 src0_sel:WORD_1
	v_cvt_pk_f32_fp8_sdwa v[52:53], v53 src0_sel:WORD_1
	v_cvt_pkrtz_f16_f32 v46, v46, v47
	v_cvt_pkrtz_f16_f32 v47, v48, v49
	;; [unrolled: 1-line block ×3, first 2 shown]
	s_nop 0
	v_mfma_f32_4x4x4_16b_f16 a[0:3], v[34:35], v[46:47], a[0:3] cbsz:4 abid:9
	v_cvt_pkrtz_f16_f32 v49, v52, v53
	s_waitcnt vmcnt(10)
	v_cvt_pk_f32_fp8_e32 v[46:47], v54
	v_cvt_pk_f32_fp8_e32 v[50:51], v55
	v_mfma_f32_4x4x4_16b_f16 a[0:3], v[36:37], v[48:49], a[0:3] cbsz:4 abid:9
	v_cvt_pk_f32_fp8_sdwa v[48:49], v54 src0_sel:WORD_1
	v_cvt_pk_f32_fp8_sdwa v[52:53], v55 src0_sel:WORD_1
	v_cvt_pkrtz_f16_f32 v46, v46, v47
	v_cvt_pkrtz_f16_f32 v47, v48, v49
	;; [unrolled: 1-line block ×3, first 2 shown]
	s_nop 0
	v_mfma_f32_4x4x4_16b_f16 a[0:3], v[34:35], v[46:47], a[0:3] cbsz:4 abid:10
	v_cvt_pkrtz_f16_f32 v49, v52, v53
	v_cvt_pk_f32_fp8_e32 v[46:47], v56
	v_cvt_pk_f32_fp8_e32 v[50:51], v57
	v_mfma_f32_4x4x4_16b_f16 a[0:3], v[36:37], v[48:49], a[0:3] cbsz:4 abid:10
	v_cvt_pk_f32_fp8_sdwa v[48:49], v56 src0_sel:WORD_1
	v_cvt_pk_f32_fp8_sdwa v[52:53], v57 src0_sel:WORD_1
	v_cvt_pkrtz_f16_f32 v46, v46, v47
	v_cvt_pkrtz_f16_f32 v47, v48, v49
	;; [unrolled: 1-line block ×3, first 2 shown]
	s_nop 0
	v_mfma_f32_4x4x4_16b_f16 a[0:3], v[34:35], v[46:47], a[0:3] cbsz:4 abid:11
	v_cvt_pkrtz_f16_f32 v49, v52, v53
	s_waitcnt vmcnt(9)
	v_cvt_pk_f32_fp8_e32 v[46:47], v58
	v_cvt_pk_f32_fp8_e32 v[50:51], v59
	v_mfma_f32_4x4x4_16b_f16 a[0:3], v[36:37], v[48:49], a[0:3] cbsz:4 abid:11
	v_cvt_pk_f32_fp8_sdwa v[48:49], v58 src0_sel:WORD_1
	v_cvt_pk_f32_fp8_sdwa v[52:53], v59 src0_sel:WORD_1
	v_cvt_pkrtz_f16_f32 v46, v46, v47
	v_cvt_pkrtz_f16_f32 v47, v48, v49
	;; [unrolled: 1-line block ×3, first 2 shown]
	s_nop 0
	v_mfma_f32_4x4x4_16b_f16 a[0:3], v[34:35], v[46:47], a[0:3] cbsz:4 abid:12
	v_cvt_pkrtz_f16_f32 v49, v52, v53
	v_cvt_pk_f32_fp8_e32 v[46:47], v60
	v_cvt_pk_f32_fp8_e32 v[50:51], v61
	v_mfma_f32_4x4x4_16b_f16 a[0:3], v[36:37], v[48:49], a[0:3] cbsz:4 abid:12
	v_cvt_pk_f32_fp8_sdwa v[48:49], v60 src0_sel:WORD_1
	v_cvt_pk_f32_fp8_sdwa v[52:53], v61 src0_sel:WORD_1
	v_cvt_pkrtz_f16_f32 v46, v46, v47
	v_cvt_pkrtz_f16_f32 v47, v48, v49
	;; [unrolled: 1-line block ×3, first 2 shown]
	s_nop 0
	v_mfma_f32_4x4x4_16b_f16 a[0:3], v[34:35], v[46:47], a[0:3] cbsz:4 abid:13
	s_waitcnt vmcnt(8)
	v_cvt_pk_f32_fp8_e32 v[46:47], v38
	v_cvt_pkrtz_f16_f32 v49, v52, v53
	v_cvt_pk_f32_fp8_e32 v[50:51], v39
	s_nop 0
	v_mfma_f32_4x4x4_16b_f16 a[0:3], v[36:37], v[48:49], a[0:3] cbsz:4 abid:13
	v_cvt_pk_f32_fp8_sdwa v[48:49], v38 src0_sel:WORD_1
	v_cvt_pkrtz_f16_f32 v38, v46, v47
	v_cvt_pk_f32_fp8_sdwa v[46:47], v39 src0_sel:WORD_1
	v_cvt_pkrtz_f16_f32 v39, v48, v49
	v_cvt_pkrtz_f16_f32 v48, v50, v51
	s_nop 0
	v_mfma_f32_4x4x4_16b_f16 a[0:3], v[34:35], v[38:39], a[0:3] cbsz:4 abid:14
	v_cvt_pkrtz_f16_f32 v49, v46, v47
	v_cvt_pk_f32_fp8_e32 v[38:39], v40
	v_cvt_pk_f32_fp8_sdwa v[46:47], v40 src0_sel:WORD_1
	v_mfma_f32_4x4x4_16b_f16 a[0:3], v[36:37], v[48:49], a[0:3] cbsz:4 abid:14
	v_cvt_pk_f32_fp8_e32 v[48:49], v41
	v_cvt_pk_f32_fp8_sdwa v[40:41], v41 src0_sel:WORD_1
	v_cvt_pkrtz_f16_f32 v38, v38, v39
	v_cvt_pkrtz_f16_f32 v39, v46, v47
	;; [unrolled: 1-line block ×4, first 2 shown]
	v_mfma_f32_4x4x4_16b_f16 a[0:3], v[34:35], v[38:39], a[0:3] cbsz:4 abid:15
	s_waitcnt lgkmcnt(0)
	v_mov_b32_e32 v34, s11
	v_mfma_f32_4x4x4_16b_f16 a[0:3], v[36:37], v[46:47], a[0:3] cbsz:4 abid:15
	v_mul_f32_e32 v36, s0, v34
	s_nop 3
	v_accvgpr_read_b32 v39, a1
	v_accvgpr_read_b32 v38, a0
	v_pk_mul_f32 v[38:39], v[38:39], v[36:37] op_sel_hi:[1,0]
	v_accvgpr_read_b32 v35, a3
	v_accvgpr_read_b32 v34, a2
	v_pk_mul_f32 v[34:35], v[34:35], v[36:37] op_sel_hi:[1,0]
	v_cndmask_b32_e64 v36, 0, 1.0, vcc
	v_cmp_eq_u32_e32 vcc, 1, v43
	s_nop 0
	v_mfma_f32_4x4x1_16b_f32 a[0:3], v38, v36, 0
	v_cndmask_b32_e64 v36, 0, 1.0, vcc
	v_cmp_eq_u32_e32 vcc, 2, v43
	v_mov_b32_e32 v38, 0xff7fffff
	v_mfma_f32_4x4x1_16b_f32 a[0:3], v39, v36, a[0:3]
	v_cndmask_b32_e64 v36, 0, 1.0, vcc
	v_cmp_eq_u32_e32 vcc, 3, v43
	s_nop 0
	v_mfma_f32_4x4x1_16b_f32 a[0:3], v34, v36, a[0:3]
	v_cndmask_b32_e64 v34, 0, 1.0, vcc
	s_nop 1
	v_mfma_f32_4x4x1_16b_f32 a[0:3], v35, v34, a[0:3]
	v_and_b32_e32 v34, -4, v44
	v_cmp_gt_i32_e32 vcc, s3, v34
	v_lshlrev_b32_e32 v35, 2, v0
	v_and_or_b32 v35, v35, 48, v43
	v_accvgpr_read_b32 v36, a0
	v_max_f32_e32 v37, v36, v36
	v_max_f32_e32 v37, 0xff7fffff, v37
	v_accvgpr_read_b32 v40, a1
	v_cndmask_b32_e32 v37, v38, v37, vcc
	v_or_b32_e32 v38, 1, v34
	v_max_f32_e32 v39, v40, v40
	v_max_f32_e32 v39, v37, v39
	v_cmp_gt_i32_e64 s[0:1], s3, v38
	v_accvgpr_read_b32 v38, a2
	v_or_b32_e32 v34, 2, v34
	v_cndmask_b32_e64 v37, v37, v39, s[0:1]
	v_max_f32_e32 v39, v38, v38
	v_max_f32_e32 v39, v37, v39
	v_cmp_gt_i32_e64 s[8:9], s3, v34
	v_accvgpr_read_b32 v41, a3
	s_nop 0
	v_cndmask_b32_e64 v34, v37, v39, s[8:9]
	v_or_b32_e32 v37, 3, v44
	v_max_f32_e32 v39, v41, v41
	v_max_f32_e32 v39, v34, v39
	v_cmp_gt_i32_e64 s[10:11], s3, v37
	v_lshlrev_b32_e32 v44, 2, v35
	s_nop 0
	v_cndmask_b32_e64 v34, v34, v39, s[10:11]
	;;#ASMSTART
	v_nop
 v_nop
 v_max_f32_dpp v34, v34, v34 row_ror:4
	;;#ASMEND
	s_nop 0
	;;#ASMSTART
	v_nop
 v_nop
 v_max_f32_dpp v34, v34, v34 row_ror:8
	;;#ASMEND
	ds_bpermute_b32 v34, v44, v34
	s_waitcnt lgkmcnt(0)
	;;#ASMSTART
	v_nop
 v_nop
 v_max_f32_dpp v34, v34, v34 row_ror:4
	;;#ASMEND
	s_nop 0
	;;#ASMSTART
	v_nop
 v_nop
 v_max_f32_dpp v39, v34, v34 row_ror:8
	;;#ASMEND
	s_nop 0
	v_sub_f32_e32 v34, v36, v39
	v_mul_f32_e32 v34, 0x3fb8aa3b, v34
	v_sub_f32_e32 v35, v40, v39
	v_exp_f32_e32 v34, v34
	v_mul_f32_e32 v35, 0x3fb8aa3b, v35
	v_sub_f32_e32 v37, v38, v39
	v_exp_f32_e32 v35, v35
	;; [unrolled: 3-line block ×3, first 2 shown]
	v_mul_f32_e32 v38, 0x3fb8aa3b, v38
	v_exp_f32_e32 v38, v38
	v_cndmask_b32_e32 v34, 0, v34, vcc
	v_add_f32_e32 v36, 0, v34
	v_cndmask_b32_e64 v35, 0, v35, s[0:1]
	v_add_f32_e32 v40, v36, v35
	v_cndmask_b32_e64 v36, 0, v37, s[8:9]
	;; [unrolled: 2-line block ×3, first 2 shown]
	v_add_f32_e32 v38, v40, v37
	;;#ASMSTART
	v_nop
 v_nop
 v_add_f32_dpp v38, v38, v38 row_ror:4
	;;#ASMEND
	v_cmp_gt_u32_e32 vcc, 4, v1
	;;#ASMSTART
	v_nop
 v_nop
 v_add_f32_dpp v38, v38, v38 row_ror:8
	;;#ASMEND
	ds_bpermute_b32 v38, v44, v38
	s_waitcnt lgkmcnt(0)
	;;#ASMSTART
	v_nop
 v_nop
 v_add_f32_dpp v38, v38, v38 row_ror:4
	;;#ASMEND
	s_nop 0
	;;#ASMSTART
	v_nop
 v_nop
 v_add_f32_dpp v38, v38, v38 row_ror:8
	;;#ASMEND
	s_and_saveexec_b64 s[0:1], vcc
	s_cbranch_execz .LBB991_12
; %bb.11:
	v_mul_u32_u24_e32 v40, 20, v42
	v_lshl_add_u32 v40, v43, 2, v40
	v_add_u32_e32 v40, 0x1400, v40
	ds_write2_b32 v40, v39, v38 offset1:20
.LBB991_12:
	s_or_b64 exec, exec, s[0:1]
.LBB991_13:
	s_or_b64 exec, exec, s[30:31]
	v_lshlrev_b32_e32 v38, 2, v43
	v_add_u32_e32 v38, 0x1400, v38
	s_waitcnt lgkmcnt(0)
	s_barrier
	s_load_dword s0, s[28:29], 0x8
	ds_read2_b32 v[44:45], v38 offset1:5
	ds_read2_b32 v[46:47], v38 offset0:10 offset1:15
	s_mov_b32 s10, 0xff7fffff
	s_mul_i32 s1, s2, s5
	ds_read2_b32 v[48:49], v38 offset0:20 offset1:25
	s_waitcnt lgkmcnt(0)
	v_max3_f32 v40, v44, s10, v45
	v_max3_f32 v40, v40, v46, v47
	s_mul_i32 s1, s1, s0
	v_sub_f32_e32 v41, v44, v40
	v_sub_f32_e32 v44, v45, v40
	s_lshl_b32 s0, s1, 2
	s_mov_b32 s1, 0
	v_mul_f32_e32 v41, 0x3fb8aa3b, v41
	v_mul_f32_e32 v44, 0x3fb8aa3b, v44
	s_lshl_b32 s8, s4, 2
	s_lshl_b64 s[2:3], s[0:1], 2
	v_exp_f32_e32 v41, v41
	v_exp_f32_e32 v50, v44
	ds_read2_b32 v[44:45], v38 offset0:30 offset1:35
	v_sub_f32_e32 v38, v46, v40
	s_add_u32 s4, s16, s2
	v_mul_f32_e32 v38, 0x3fb8aa3b, v38
	v_sub_f32_e32 v46, v47, v40
	s_addc_u32 s9, s17, s3
	v_exp_f32_e32 v38, v38
	v_mul_f32_e32 v46, 0x3fb8aa3b, v46
	s_mov_b32 s25, s1
	s_add_u32 s10, s18, s2
	v_exp_f32_e32 v46, v46
	s_addc_u32 s11, s19, s3
	s_lshl_b64 s[2:3], s[24:25], 2
	v_fma_f32 v41, v41, v48, 0
	s_add_u32 s10, s10, s2
	v_fmac_f32_e32 v41, v50, v49
	s_addc_u32 s11, s11, s3
	s_waitcnt lgkmcnt(0)
	v_fmac_f32_e32 v41, v38, v44
	v_or_b32_e32 v38, s8, v43
	v_fmac_f32_e32 v41, v46, v45
	s_add_u32 s2, s4, s2
	v_mul_lo_u32 v44, s5, v38
	v_mov_b32_e32 v45, 0
	s_addc_u32 s3, s9, s3
	v_lshlrev_b64 v[44:45], 2, v[44:45]
	v_lshl_add_u64 v[46:47], s[10:11], 0, v[44:45]
	v_lshl_add_u64 v[44:45], s[2:3], 0, v[44:45]
	v_lshlrev_b32_e32 v38, 3, v42
	global_store_dword v[46:47], v40, off
	global_store_dword v[44:45], v41, off
	s_and_saveexec_b64 s[2:3], s[6:7]
	s_xor_b64 s[2:3], exec, s[2:3]
	s_cbranch_execz .LBB991_15
; %bb.14:
	s_mov_b32 s6, s1
	s_mov_b32 s7, s1
	s_waitcnt vmcnt(8)
	v_mad_u32_u24 v4, v1, 40, v38
	v_mov_b64_e32 v[2:3], s[6:7]
	ds_write2st64_b64 v4, v[2:3], v[2:3] offset1:5
                                        ; implicit-def: $vgpr37
                                        ; implicit-def: $vgpr35
                                        ; implicit-def: $vgpr39
                                        ; implicit-def: $vgpr30_vgpr31
                                        ; implicit-def: $vgpr18_vgpr19
                                        ; implicit-def: $vgpr22_vgpr23
                                        ; implicit-def: $vgpr26_vgpr27
                                        ; implicit-def: $vgpr14_vgpr15
                                        ; implicit-def: $vgpr2_vgpr3
                                        ; implicit-def: $vgpr6_vgpr7
                                        ; implicit-def: $vgpr10_vgpr11
                                        ; implicit-def: $vgpr40
                                        ; implicit-def: $vgpr41
                                        ; implicit-def: $vgpr38
.LBB991_15:
	s_andn2_saveexec_b64 s[2:3], s[2:3]
	s_cbranch_execz .LBB991_17
; %bb.16:
	v_add_f32_e32 v41, 0x358637bd, v41
	v_div_scale_f32 v42, s[6:7], v41, v41, 1.0
	v_rcp_f32_e32 v43, v42
	v_sub_f32_e32 v39, v39, v40
	v_mul_f32_e32 v39, 0x3fb8aa3b, v39
	v_exp_f32_e32 v39, v39
	v_fma_f32 v40, -v42, v43, 1.0
	v_fmac_f32_e32 v43, v40, v43
	v_div_scale_f32 v40, vcc, 1.0, v41, 1.0
	v_mul_f32_e32 v44, v40, v43
	v_fma_f32 v45, -v42, v44, v40
	v_fmac_f32_e32 v44, v45, v43
	v_fma_f32 v40, -v42, v44, v40
	v_div_fmas_f32 v40, v40, v43, v44
	v_div_fixup_f32 v40, v40, v41, 1.0
	v_mul_f32_e32 v40, v39, v40
	v_pk_mul_f32 v[36:37], v[36:37], v[40:41] op_sel_hi:[1,0]
	v_pk_mul_f32 v[34:35], v[34:35], v[40:41] op_sel_hi:[1,0]
	v_cvt_f16_f32_e32 v36, v36
	v_cvt_f16_f32_e32 v34, v34
	;; [unrolled: 1-line block ×4, first 2 shown]
	s_waitcnt vmcnt(7)
	v_cvt_pk_f32_fp8_sdwa v[40:41], v30 src0_sel:WORD_1
	v_cvt_pk_f32_fp8_e32 v[42:43], v31
	v_pack_b32_f16 v34, v34, v35
	v_pack_b32_f16 v35, v36, v37
	v_cvt_pk_f32_fp8_e32 v[36:37], v30
	v_cvt_pk_f32_fp8_sdwa v[30:31], v31 src0_sel:WORD_1
	s_load_dword s4, s[14:15], 0x0
	v_cvt_pkrtz_f16_f32 v36, v36, v37
	v_cvt_pkrtz_f16_f32 v37, v40, v41
	;; [unrolled: 1-line block ×4, first 2 shown]
	v_mfma_f32_4x4x4_16b_f16 a[0:3], v[34:35], v[36:37], 0 cbsz:4
	v_cvt_pk_f32_fp8_e32 v[30:31], v32
	v_cvt_pk_f32_fp8_sdwa v[36:37], v32 src0_sel:WORD_1
	v_mfma_f32_4x4x4_16b_f16 a[0:3], v[34:35], v[40:41], a[0:3] cbsz:4 abid:1
	v_cvt_pk_f32_fp8_e32 v[40:41], v33
	v_cvt_pk_f32_fp8_sdwa v[32:33], v33 src0_sel:WORD_1
	v_cvt_pkrtz_f16_f32 v30, v30, v31
	v_cvt_pkrtz_f16_f32 v31, v36, v37
	v_cvt_pkrtz_f16_f32 v36, v40, v41
	v_cvt_pkrtz_f16_f32 v37, v32, v33
	v_mfma_f32_4x4x4_16b_f16 a[0:3], v[34:35], v[30:31], a[0:3] cbsz:4 abid:2
	v_cvt_pk_f32_fp8_e32 v[30:31], v18
	v_cvt_pk_f32_fp8_sdwa v[32:33], v18 src0_sel:WORD_1
	v_mfma_f32_4x4x4_16b_f16 a[0:3], v[34:35], v[36:37], a[0:3] cbsz:4 abid:3
	v_cvt_pk_f32_fp8_e32 v[36:37], v19
	v_cvt_pk_f32_fp8_sdwa v[18:19], v19 src0_sel:WORD_1
	v_cvt_pkrtz_f16_f32 v30, v30, v31
	v_cvt_pkrtz_f16_f32 v31, v32, v33
	v_cvt_pkrtz_f16_f32 v32, v36, v37
	v_cvt_pkrtz_f16_f32 v33, v18, v19
	v_mfma_f32_4x4x4_16b_f16 a[0:3], v[34:35], v[30:31], a[0:3] cbsz:4 abid:4
	;; [unrolled: 10-line block ×3, first 2 shown]
	s_waitcnt vmcnt(5)
	v_cvt_pk_f32_fp8_e32 v[18:19], v22
	v_cvt_pk_f32_fp8_sdwa v[20:21], v22 src0_sel:WORD_1
	v_mfma_f32_4x4x4_16b_f16 a[0:3], v[34:35], v[30:31], a[0:3] cbsz:4 abid:7
	v_cvt_pk_f32_fp8_e32 v[30:31], v23
	v_cvt_pk_f32_fp8_sdwa v[22:23], v23 src0_sel:WORD_1
	v_cvt_pkrtz_f16_f32 v18, v18, v19
	v_cvt_pkrtz_f16_f32 v19, v20, v21
	;; [unrolled: 1-line block ×4, first 2 shown]
	v_mfma_f32_4x4x4_16b_f16 a[0:3], v[34:35], v[18:19], a[0:3] cbsz:4 abid:8
	v_cvt_pk_f32_fp8_e32 v[18:19], v24
	v_cvt_pk_f32_fp8_e32 v[22:23], v25
	v_mfma_f32_4x4x4_16b_f16 a[0:3], v[34:35], v[20:21], a[0:3] cbsz:4 abid:9
	v_cvt_pk_f32_fp8_sdwa v[20:21], v24 src0_sel:WORD_1
	v_cvt_pk_f32_fp8_sdwa v[24:25], v25 src0_sel:WORD_1
	v_cvt_pkrtz_f16_f32 v18, v18, v19
	v_cvt_pkrtz_f16_f32 v19, v20, v21
	;; [unrolled: 1-line block ×3, first 2 shown]
	s_nop 0
	v_mfma_f32_4x4x4_16b_f16 a[0:3], v[34:35], v[18:19], a[0:3] cbsz:4 abid:10
	v_cvt_pkrtz_f16_f32 v21, v24, v25
	s_waitcnt vmcnt(3)
	v_cvt_pk_f32_fp8_e32 v[18:19], v26
	v_cvt_pk_f32_fp8_e32 v[22:23], v27
	v_mfma_f32_4x4x4_16b_f16 a[0:3], v[34:35], v[20:21], a[0:3] cbsz:4 abid:11
	v_cvt_pk_f32_fp8_sdwa v[20:21], v26 src0_sel:WORD_1
	v_cvt_pk_f32_fp8_sdwa v[24:25], v27 src0_sel:WORD_1
	v_cvt_pkrtz_f16_f32 v18, v18, v19
	v_cvt_pkrtz_f16_f32 v19, v20, v21
	;; [unrolled: 1-line block ×3, first 2 shown]
	s_nop 0
	v_mfma_f32_4x4x4_16b_f16 a[0:3], v[34:35], v[18:19], a[0:3] cbsz:4 abid:12
	v_cvt_pkrtz_f16_f32 v21, v24, v25
	v_cvt_pk_f32_fp8_e32 v[18:19], v28
	v_cvt_pk_f32_fp8_e32 v[22:23], v29
	v_mfma_f32_4x4x4_16b_f16 a[0:3], v[34:35], v[20:21], a[0:3] cbsz:4 abid:13
	v_cvt_pk_f32_fp8_sdwa v[20:21], v28 src0_sel:WORD_1
	v_cvt_pk_f32_fp8_sdwa v[24:25], v29 src0_sel:WORD_1
	v_cvt_pkrtz_f16_f32 v18, v18, v19
	v_cvt_pkrtz_f16_f32 v19, v20, v21
	;; [unrolled: 1-line block ×3, first 2 shown]
	s_nop 0
	v_mfma_f32_4x4x4_16b_f16 a[0:3], v[34:35], v[18:19], a[0:3] cbsz:4 abid:14
	v_cvt_pkrtz_f16_f32 v21, v24, v25
	v_cvt_pk_f32_fp8_sdwa v[22:23], v14 src0_sel:WORD_1
	v_cvt_pk_f32_fp8_e32 v[24:25], v15
	v_mfma_f32_4x4x4_16b_f16 a[0:3], v[34:35], v[20:21], a[0:3] cbsz:4 abid:15
	s_nop 4
	v_accvgpr_read_b32 v19, a1
	v_accvgpr_read_b32 v18, a0
	s_waitcnt lgkmcnt(0)
	v_pk_mul_f32 v[18:19], v[18:19], s[4:5] op_sel_hi:[1,0]
	s_nop 0
	v_cvt_f16_f32_e32 v20, v18
	v_cvt_f16_f32_e32 v21, v19
	v_accvgpr_read_b32 v19, a3
	v_accvgpr_read_b32 v18, a2
	v_pk_mul_f32 v[18:19], v[18:19], s[4:5] op_sel_hi:[1,0]
	v_pack_b32_f16 v20, v20, v21
	v_cvt_f16_f32_e32 v21, v18
	v_cvt_f16_f32_e32 v26, v19
	v_cvt_pk_f32_fp8_e32 v[18:19], v14
	v_cvt_pk_f32_fp8_sdwa v[14:15], v15 src0_sel:WORD_1
	v_pack_b32_f16 v21, v21, v26
	v_cvt_pkrtz_f16_f32 v18, v18, v19
	v_cvt_pkrtz_f16_f32 v19, v22, v23
	;; [unrolled: 1-line block ×4, first 2 shown]
	v_mfma_f32_4x4x4_16b_f16 a[0:3], v[34:35], v[18:19], 0 cbsz:4
	v_cvt_pk_f32_fp8_e32 v[14:15], v16
	v_cvt_pk_f32_fp8_sdwa v[18:19], v16 src0_sel:WORD_1
	v_mfma_f32_4x4x4_16b_f16 a[0:3], v[34:35], v[22:23], a[0:3] cbsz:4 abid:1
	v_cvt_pk_f32_fp8_e32 v[22:23], v17
	v_cvt_pk_f32_fp8_sdwa v[16:17], v17 src0_sel:WORD_1
	v_cvt_pkrtz_f16_f32 v14, v14, v15
	v_cvt_pkrtz_f16_f32 v15, v18, v19
	v_cvt_pkrtz_f16_f32 v18, v22, v23
	v_cvt_pkrtz_f16_f32 v19, v16, v17
	v_mfma_f32_4x4x4_16b_f16 a[0:3], v[34:35], v[14:15], a[0:3] cbsz:4 abid:2
	v_cvt_pk_f32_fp8_e32 v[14:15], v2
	v_cvt_pk_f32_fp8_sdwa v[16:17], v2 src0_sel:WORD_1
	v_mfma_f32_4x4x4_16b_f16 a[0:3], v[34:35], v[18:19], a[0:3] cbsz:4 abid:3
	v_cvt_pk_f32_fp8_e32 v[18:19], v3
	v_cvt_pk_f32_fp8_sdwa v[2:3], v3 src0_sel:WORD_1
	v_cvt_pkrtz_f16_f32 v14, v14, v15
	v_cvt_pkrtz_f16_f32 v15, v16, v17
	v_cvt_pkrtz_f16_f32 v16, v18, v19
	v_cvt_pkrtz_f16_f32 v17, v2, v3
	v_mfma_f32_4x4x4_16b_f16 a[0:3], v[34:35], v[14:15], a[0:3] cbsz:4 abid:4
	;; [unrolled: 10-line block ×4, first 2 shown]
	v_cvt_pk_f32_fp8_e32 v[2:3], v8
	v_cvt_pk_f32_fp8_e32 v[6:7], v9
	v_mfma_f32_4x4x4_16b_f16 a[0:3], v[34:35], v[4:5], a[0:3] cbsz:4 abid:9
	v_cvt_pk_f32_fp8_sdwa v[4:5], v8 src0_sel:WORD_1
	v_cvt_pk_f32_fp8_sdwa v[8:9], v9 src0_sel:WORD_1
	v_cvt_pkrtz_f16_f32 v2, v2, v3
	v_cvt_pkrtz_f16_f32 v3, v4, v5
	;; [unrolled: 1-line block ×3, first 2 shown]
	s_nop 0
	v_mfma_f32_4x4x4_16b_f16 a[0:3], v[34:35], v[2:3], a[0:3] cbsz:4 abid:10
	v_cvt_pkrtz_f16_f32 v5, v8, v9
	s_waitcnt vmcnt(2)
	v_cvt_pk_f32_fp8_e32 v[2:3], v10
	v_cvt_pk_f32_fp8_e32 v[6:7], v11
	v_mfma_f32_4x4x4_16b_f16 a[0:3], v[34:35], v[4:5], a[0:3] cbsz:4 abid:11
	v_cvt_pk_f32_fp8_sdwa v[4:5], v10 src0_sel:WORD_1
	v_cvt_pk_f32_fp8_sdwa v[8:9], v11 src0_sel:WORD_1
	v_cvt_pkrtz_f16_f32 v2, v2, v3
	v_cvt_pkrtz_f16_f32 v3, v4, v5
	v_cvt_pkrtz_f16_f32 v4, v6, v7
	s_nop 0
	v_mfma_f32_4x4x4_16b_f16 a[0:3], v[34:35], v[2:3], a[0:3] cbsz:4 abid:12
	v_cvt_pkrtz_f16_f32 v5, v8, v9
	v_cvt_pk_f32_fp8_e32 v[2:3], v12
	v_cvt_pk_f32_fp8_e32 v[6:7], v13
	v_mfma_f32_4x4x4_16b_f16 a[0:3], v[34:35], v[4:5], a[0:3] cbsz:4 abid:13
	v_cvt_pk_f32_fp8_sdwa v[4:5], v12 src0_sel:WORD_1
	v_cvt_pk_f32_fp8_sdwa v[8:9], v13 src0_sel:WORD_1
	v_cvt_pkrtz_f16_f32 v2, v2, v3
	v_cvt_pkrtz_f16_f32 v3, v4, v5
	;; [unrolled: 1-line block ×3, first 2 shown]
	s_nop 0
	v_mfma_f32_4x4x4_16b_f16 a[0:3], v[34:35], v[2:3], a[0:3] cbsz:4 abid:14
	v_cvt_pkrtz_f16_f32 v5, v8, v9
	v_mad_u32_u24 v7, v1, 40, v38
	s_nop 0
	v_mfma_f32_4x4x4_16b_f16 a[0:3], v[34:35], v[4:5], a[0:3] cbsz:4 abid:15
	s_nop 4
	v_accvgpr_read_b32 v5, a1
	v_accvgpr_read_b32 v3, a3
	;; [unrolled: 1-line block ×4, first 2 shown]
	v_pk_mul_f32 v[2:3], v[2:3], s[4:5] op_sel_hi:[1,0]
	v_pk_mul_f32 v[4:5], v[4:5], s[4:5] op_sel_hi:[1,0]
	v_cvt_f16_f32_e32 v6, v2
	v_cvt_f16_f32_e32 v4, v4
	;; [unrolled: 1-line block ×4, first 2 shown]
	v_pack_b32_f16 v2, v4, v5
	v_pack_b32_f16 v3, v6, v3
	ds_write2st64_b64 v7, v[20:21], v[2:3] offset1:5
.LBB991_17:
	s_or_b64 exec, exec, s[2:3]
	v_cmp_gt_u32_e32 vcc, 64, v0
	s_waitcnt lgkmcnt(0)
	s_barrier
	s_and_saveexec_b64 s[2:3], vcc
	s_cbranch_execz .LBB991_19
; %bb.18:
	s_waitcnt vmcnt(4)
	v_mul_u32_u24_e32 v6, 40, v1
	ds_read2_b64 v[2:5], v6 offset1:1
	ds_read2_b64 v[6:9], v6 offset0:2 offset1:3
	s_lshl_b32 s0, s0, 7
	s_lshl_b64 s[2:3], s[0:1], 1
	s_add_u32 s2, s26, s2
	s_waitcnt lgkmcnt(1)
	v_pk_add_f16 v2, v2, 0
	v_pk_add_f16 v3, v3, 0
	;; [unrolled: 1-line block ×4, first 2 shown]
	s_waitcnt lgkmcnt(0)
	v_pk_add_f16 v2, v2, v6
	v_pk_add_f16 v6, v3, v7
	s_waitcnt vmcnt(2)
	v_pk_add_f16 v10, v2, v8
	v_mov_b32_e32 v2, 0xa00
	v_mad_u32_u24 v2, v1, 40, v2
	ds_read2_b64 v[2:5], v2 offset1:1
	v_pk_add_f16 v11, v6, v9
	v_mov_b32_e32 v6, 0xa10
	v_mad_u32_u24 v1, v1, 40, v6
	ds_read2_b64 v[6:9], v1 offset1:1
	s_addc_u32 s3, s27, s3
	s_lshl_b32 s0, s24, 7
	s_lshl_b64 s[0:1], s[0:1], 1
	s_waitcnt lgkmcnt(1)
	v_pk_add_f16 v1, v2, 0
	v_pk_add_f16 v2, v3, 0
	s_add_u32 s0, s2, s0
	v_pk_add_f16 v2, v2, v5
	s_addc_u32 s1, s3, s1
	s_lshl_b32 s2, s5, 7
	s_waitcnt lgkmcnt(0)
	v_pk_add_f16 v2, v2, v7
	s_mul_i32 s3, s2, s8
	v_pk_add_f16 v13, v2, v9
	v_or_b32_e32 v2, s3, v0
	v_mov_b32_e32 v3, 0
	s_add_i32 s3, s3, s2
	v_pk_add_f16 v1, v1, v4
	v_lshl_add_u64 v[4:5], v[2:3], 1, s[0:1]
	v_or_b32_e32 v2, s3, v0
	s_add_i32 s3, s3, s2
	v_pk_add_f16 v1, v1, v6
	v_lshl_add_u64 v[6:7], v[2:3], 1, s[0:1]
	v_or_b32_e32 v2, s3, v0
	;; [unrolled: 4-line block ×3, first 2 shown]
	v_lshl_add_u64 v[0:1], v[2:3], 1, s[0:1]
	global_store_short v[4:5], v10, off
	global_store_short_d16_hi v[6:7], v10, off
	global_store_short v[8:9], v11, off
	global_store_short_d16_hi v[0:1], v11, off
	global_store_short v[4:5], v12, off offset:128
	global_store_short_d16_hi v[6:7], v12, off offset:128
	global_store_short v[8:9], v13, off offset:128
	global_store_short_d16_hi v[0:1], v13, off offset:128
.LBB991_19:
	s_endpgm
.LBB991_20:
	s_mov_b64 s[12:13], 0
                                        ; implicit-def: $sgpr34_sgpr35
	s_branch .LBB991_2
	.section	.rodata,"a",@progbits
	.p2align	6, 0x0
	.amdhsa_kernel _Z38paged_attention_ll4mi_QKV_mfma4_kernelIDF16_hLN4vllm18Fp8KVCacheDataTypeE1EDF16_Li16ELi128ELi256ELb0ELi4EEvPKT_PKT0_S7_ifPKiS9_S9_iPKfiiiPfSC_PS2_PT2_iSB_SB_
		.amdhsa_group_segment_fixed_size 5280
		.amdhsa_private_segment_fixed_size 0
		.amdhsa_kernarg_size 400
		.amdhsa_user_sgpr_count 2
		.amdhsa_user_sgpr_dispatch_ptr 0
		.amdhsa_user_sgpr_queue_ptr 0
		.amdhsa_user_sgpr_kernarg_segment_ptr 1
		.amdhsa_user_sgpr_dispatch_id 0
		.amdhsa_user_sgpr_kernarg_preload_length 0
		.amdhsa_user_sgpr_kernarg_preload_offset 0
		.amdhsa_user_sgpr_private_segment_size 0
		.amdhsa_uses_dynamic_stack 0
		.amdhsa_enable_private_segment 0
		.amdhsa_system_sgpr_workgroup_id_x 1
		.amdhsa_system_sgpr_workgroup_id_y 1
		.amdhsa_system_sgpr_workgroup_id_z 1
		.amdhsa_system_sgpr_workgroup_info 0
		.amdhsa_system_vgpr_workitem_id 0
		.amdhsa_next_free_vgpr 92
		.amdhsa_next_free_sgpr 42
		.amdhsa_accum_offset 88
		.amdhsa_reserve_vcc 1
		.amdhsa_float_round_mode_32 0
		.amdhsa_float_round_mode_16_64 0
		.amdhsa_float_denorm_mode_32 3
		.amdhsa_float_denorm_mode_16_64 3
		.amdhsa_dx10_clamp 1
		.amdhsa_ieee_mode 1
		.amdhsa_fp16_overflow 0
		.amdhsa_tg_split 0
		.amdhsa_exception_fp_ieee_invalid_op 0
		.amdhsa_exception_fp_denorm_src 0
		.amdhsa_exception_fp_ieee_div_zero 0
		.amdhsa_exception_fp_ieee_overflow 0
		.amdhsa_exception_fp_ieee_underflow 0
		.amdhsa_exception_fp_ieee_inexact 0
		.amdhsa_exception_int_div_zero 0
	.end_amdhsa_kernel
	.section	.text._Z38paged_attention_ll4mi_QKV_mfma4_kernelIDF16_hLN4vllm18Fp8KVCacheDataTypeE1EDF16_Li16ELi128ELi256ELb0ELi4EEvPKT_PKT0_S7_ifPKiS9_S9_iPKfiiiPfSC_PS2_PT2_iSB_SB_,"axG",@progbits,_Z38paged_attention_ll4mi_QKV_mfma4_kernelIDF16_hLN4vllm18Fp8KVCacheDataTypeE1EDF16_Li16ELi128ELi256ELb0ELi4EEvPKT_PKT0_S7_ifPKiS9_S9_iPKfiiiPfSC_PS2_PT2_iSB_SB_,comdat
.Lfunc_end991:
	.size	_Z38paged_attention_ll4mi_QKV_mfma4_kernelIDF16_hLN4vllm18Fp8KVCacheDataTypeE1EDF16_Li16ELi128ELi256ELb0ELi4EEvPKT_PKT0_S7_ifPKiS9_S9_iPKfiiiPfSC_PS2_PT2_iSB_SB_, .Lfunc_end991-_Z38paged_attention_ll4mi_QKV_mfma4_kernelIDF16_hLN4vllm18Fp8KVCacheDataTypeE1EDF16_Li16ELi128ELi256ELb0ELi4EEvPKT_PKT0_S7_ifPKiS9_S9_iPKfiiiPfSC_PS2_PT2_iSB_SB_
                                        ; -- End function
	.section	.AMDGPU.csdata,"",@progbits
; Kernel info:
; codeLenInByte = 5480
; NumSgprs: 48
; NumVgprs: 86
; NumAgprs: 4
; TotalNumVgprs: 92
; ScratchSize: 0
; MemoryBound: 0
; FloatMode: 240
; IeeeMode: 1
; LDSByteSize: 5280 bytes/workgroup (compile time only)
; SGPRBlocks: 5
; VGPRBlocks: 11
; NumSGPRsForWavesPerEU: 48
; NumVGPRsForWavesPerEU: 92
; AccumOffset: 88
; Occupancy: 5
; WaveLimiterHint : 1
; COMPUTE_PGM_RSRC2:SCRATCH_EN: 0
; COMPUTE_PGM_RSRC2:USER_SGPR: 2
; COMPUTE_PGM_RSRC2:TRAP_HANDLER: 0
; COMPUTE_PGM_RSRC2:TGID_X_EN: 1
; COMPUTE_PGM_RSRC2:TGID_Y_EN: 1
; COMPUTE_PGM_RSRC2:TGID_Z_EN: 1
; COMPUTE_PGM_RSRC2:TIDIG_COMP_CNT: 0
; COMPUTE_PGM_RSRC3_GFX90A:ACCUM_OFFSET: 21
; COMPUTE_PGM_RSRC3_GFX90A:TG_SPLIT: 0
	.section	.text._Z39paged_attention_ll4mi_QKV_mfma16_kernelIDF16_hLN4vllm18Fp8KVCacheDataTypeE1EDF16_Li16ELi128ELi256ELb0ELi5EEvPKT_PKT0_S7_ifPKiS9_S9_iPKfiiiPfSC_PS2_PT2_iSB_SB_,"axG",@progbits,_Z39paged_attention_ll4mi_QKV_mfma16_kernelIDF16_hLN4vllm18Fp8KVCacheDataTypeE1EDF16_Li16ELi128ELi256ELb0ELi5EEvPKT_PKT0_S7_ifPKiS9_S9_iPKfiiiPfSC_PS2_PT2_iSB_SB_,comdat
	.protected	_Z39paged_attention_ll4mi_QKV_mfma16_kernelIDF16_hLN4vllm18Fp8KVCacheDataTypeE1EDF16_Li16ELi128ELi256ELb0ELi5EEvPKT_PKT0_S7_ifPKiS9_S9_iPKfiiiPfSC_PS2_PT2_iSB_SB_ ; -- Begin function _Z39paged_attention_ll4mi_QKV_mfma16_kernelIDF16_hLN4vllm18Fp8KVCacheDataTypeE1EDF16_Li16ELi128ELi256ELb0ELi5EEvPKT_PKT0_S7_ifPKiS9_S9_iPKfiiiPfSC_PS2_PT2_iSB_SB_
	.globl	_Z39paged_attention_ll4mi_QKV_mfma16_kernelIDF16_hLN4vllm18Fp8KVCacheDataTypeE1EDF16_Li16ELi128ELi256ELb0ELi5EEvPKT_PKT0_S7_ifPKiS9_S9_iPKfiiiPfSC_PS2_PT2_iSB_SB_
	.p2align	8
	.type	_Z39paged_attention_ll4mi_QKV_mfma16_kernelIDF16_hLN4vllm18Fp8KVCacheDataTypeE1EDF16_Li16ELi128ELi256ELb0ELi5EEvPKT_PKT0_S7_ifPKiS9_S9_iPKfiiiPfSC_PS2_PT2_iSB_SB_,@function
_Z39paged_attention_ll4mi_QKV_mfma16_kernelIDF16_hLN4vllm18Fp8KVCacheDataTypeE1EDF16_Li16ELi128ELi256ELb0ELi5EEvPKT_PKT0_S7_ifPKiS9_S9_iPKfiiiPfSC_PS2_PT2_iSB_SB_: ; @_Z39paged_attention_ll4mi_QKV_mfma16_kernelIDF16_hLN4vllm18Fp8KVCacheDataTypeE1EDF16_Li16ELi128ELi256ELb0ELi5EEvPKT_PKT0_S7_ifPKiS9_S9_iPKfiiiPfSC_PS2_PT2_iSB_SB_
; %bb.0:
	s_load_dwordx2 s[12:13], s[0:1], 0x30
	s_mov_b32 s24, s3
	s_mov_b64 s[6:7], 0
	s_waitcnt lgkmcnt(0)
	s_cmp_lg_u64 s[12:13], 0
	s_cselect_b64 s[14:15], -1, 0
	s_and_b64 vcc, exec, s[14:15]
	s_cbranch_vccz .LBB992_7
; %bb.1:
	s_add_i32 s8, s2, 1
	s_mov_b32 s9, 0
	s_lshl_b64 s[10:11], s[8:9], 2
	s_add_u32 s10, s12, s10
	s_mov_b32 s3, s9
	s_addc_u32 s11, s13, s11
	s_lshl_b64 s[8:9], s[2:3], 2
	s_add_u32 s8, s12, s8
	s_addc_u32 s9, s13, s9
	s_load_dword s5, s[10:11], 0x0
	s_load_dword s16, s[8:9], 0x0
	s_waitcnt lgkmcnt(0)
	s_sub_i32 s5, s5, s16
	s_cmp_eq_u32 s5, 1
	s_cselect_b64 s[8:9], -1, 0
	s_andn2_b64 vcc, exec, s[6:7]
	s_cbranch_vccnz .LBB992_3
.LBB992_2:
	s_mov_b32 s3, 0
	s_mov_b64 s[8:9], -1
.LBB992_3:
	s_andn2_b64 vcc, exec, s[8:9]
	s_cbranch_vccnz .LBB992_18
; %bb.4:
	s_load_dwordx2 s[6:7], s[0:1], 0x28
	s_lshl_b64 s[16:17], s[2:3], 2
	s_waitcnt lgkmcnt(0)
	s_add_u32 s6, s6, s16
	s_addc_u32 s7, s7, s17
	s_load_dword s33, s[6:7], 0x0
	s_lshl_b32 s18, s24, 8
	s_waitcnt lgkmcnt(0)
	s_cmp_ge_i32 s18, s33
	s_cbranch_scc1 .LBB992_18
; %bb.5:
	s_load_dwordx2 s[6:7], s[0:1], 0x20
	s_load_dword s8, s[0:1], 0x38
	s_add_i32 s5, s33, 15
	s_ashr_i32 s9, s5, 31
	v_and_b32_e32 v1, 0xcf, v0
	s_lshr_b32 s9, s9, 28
	v_add_u32_e32 v1, s18, v1
	s_add_i32 s5, s5, s9
	v_ashrrev_i32_e32 v2, 31, v1
	s_ashr_i32 s5, s5, 4
	v_lshrrev_b32_e32 v10, 28, v2
	s_add_i32 s5, s5, -1
	s_waitcnt lgkmcnt(0)
	s_mul_i32 s8, s2, s8
	s_mov_b32 s9, 0
	v_add_u32_e32 v2, v1, v10
	s_lshl_b64 s[8:9], s[8:9], 2
	v_ashrrev_i32_e32 v2, 4, v2
	v_mov_b32_e32 v11, s5
	v_cmp_gt_i32_e32 vcc, s33, v1
	s_add_u32 s6, s6, s8
	s_addc_u32 s7, s7, s9
	v_cndmask_b32_e32 v2, v11, v2, vcc
	v_ashrrev_i32_e32 v3, 31, v2
	v_lshl_add_u64 v[4:5], v[2:3], 2, s[6:7]
	v_or_b32_e32 v2, 16, v1
	v_add_u32_e32 v3, v2, v10
	v_ashrrev_i32_e32 v3, 4, v3
	v_cmp_gt_i32_e32 vcc, s33, v2
	s_load_dwordx4 s[8:11], s[0:1], 0x8
	s_nop 0
	v_cndmask_b32_e32 v2, v11, v3, vcc
	v_ashrrev_i32_e32 v3, 31, v2
	v_lshl_add_u64 v[6:7], v[2:3], 2, s[6:7]
	v_or_b32_e32 v2, 32, v1
	v_add_u32_e32 v3, v2, v10
	v_ashrrev_i32_e32 v3, 4, v3
	v_cmp_gt_i32_e32 vcc, s33, v2
	v_or_b32_e32 v1, 48, v1
	s_nop 0
	v_cndmask_b32_e32 v2, v11, v3, vcc
	v_ashrrev_i32_e32 v3, 31, v2
	v_lshl_add_u64 v[8:9], v[2:3], 2, s[6:7]
	v_add_u32_e32 v2, v1, v10
	v_ashrrev_i32_e32 v2, 4, v2
	v_cmp_gt_i32_e32 vcc, s33, v1
	s_nop 1
	v_cndmask_b32_e32 v2, v11, v2, vcc
	v_ashrrev_i32_e32 v3, 31, v2
	v_lshl_add_u64 v[10:11], v[2:3], 2, s[6:7]
	global_load_dword v3, v[4:5], off
	global_load_dword v2, v[6:7], off
	;; [unrolled: 1-line block ×4, first 2 shown]
	s_andn2_b64 vcc, exec, s[14:15]
	s_cbranch_vccnz .LBB992_8
; %bb.6:
	s_add_u32 s12, s12, s16
	s_addc_u32 s13, s13, s17
	s_load_dword s14, s[12:13], 0x0
	s_branch .LBB992_9
.LBB992_7:
	s_mov_b64 s[8:9], 0
	s_branch .LBB992_2
.LBB992_8:
	s_mov_b32 s14, s2
.LBB992_9:
	s_load_dwordx4 s[44:47], s[0:1], 0x48
	v_lshrrev_b32_e32 v61, 6, v0
	v_bfe_u32 v64, v0, 4, 2
	v_and_b32_e32 v60, 15, v0
	v_lshl_or_b32 v4, v61, 2, v64
	v_lshlrev_b32_e32 v1, 3, v60
	v_and_b32_e32 v65, 63, v0
	s_mul_i32 s48, s4, 5
	v_cmp_gt_u32_e32 vcc, 5, v4
	v_lshlrev_b32_e32 v58, 1, v1
	v_lshlrev_b32_e32 v1, 4, v0
	s_and_saveexec_b64 s[12:13], vcc
	s_cbranch_execz .LBB992_11
; %bb.10:
	s_load_dwordx2 s[16:17], s[0:1], 0x0
	s_waitcnt lgkmcnt(0)
	s_ashr_i32 s15, s44, 31
	s_mul_hi_u32 s19, s14, s44
	s_mul_i32 s15, s14, s15
	s_add_i32 s15, s19, s15
	s_mul_i32 s14, s14, s44
	s_lshl_b64 s[14:15], s[14:15], 1
	s_add_u32 s14, s16, s14
	v_add_lshl_u32 v6, v4, s48, 7
	s_addc_u32 s15, s17, s15
	v_ashrrev_i32_e32 v7, 31, v6
	v_lshl_add_u64 v[6:7], v[6:7], 1, s[14:15]
	v_mov_b32_e32 v59, 0
	v_lshl_add_u64 v[6:7], v[6:7], 0, v[58:59]
	global_load_dwordx4 v[6:9], v[6:7], off
	v_lshlrev_b32_e32 v10, 8, v0
	v_lshlrev_b32_e32 v5, 8, v60
	v_and_b32_e32 v10, 0x600, v10
	s_movk_i32 s14, 0x800
	v_and_or_b32 v5, v5, s14, v10
	v_lshlrev_b32_e32 v4, 5, v4
	v_and_b32_e32 v10, 16, v1
	v_or3_b32 v4, v5, v4, v10
	s_waitcnt vmcnt(0)
	ds_write_b128 v4, v[6:9]
.LBB992_11:
	s_or_b64 exec, exec, s[12:13]
	s_waitcnt lgkmcnt(0)
	s_mul_i32 s4, s4, s46
	s_add_u32 s8, s8, s4
	s_addc_u32 s9, s9, 0
	v_and_b32_e32 v62, 0xf0, v1
	v_mov_b32_e32 v63, 0
	v_and_b32_e32 v16, 48, v0
	v_lshl_add_u64 v[6:7], s[8:9], 0, v[62:63]
	v_lshlrev_b32_e32 v62, 4, v16
	s_waitcnt vmcnt(3)
	v_mad_i64_i32 v[4:5], s[8:9], v3, s45, v[6:7]
	v_lshl_add_u64 v[4:5], v[4:5], 0, v[62:63]
	s_load_dword s25, s[0:1], 0x98
	s_load_dwordx4 s[40:43], s[0:1], 0x80
	s_waitcnt lgkmcnt(0)
	s_barrier
	global_load_dwordx4 v[22:25], v[4:5], off
	global_load_dwordx4 v[10:13], v[4:5], off offset:1024
	s_waitcnt vmcnt(4)
	v_mad_i64_i32 v[2:3], s[8:9], v2, s45, v[6:7]
	v_lshl_add_u64 v[8:9], v[2:3], 0, v[62:63]
	global_load_dwordx4 v[2:5], v[8:9], off
	v_mul_lo_u16_e32 v17, 52, v60
	v_mov_b32_e32 v18, 5
	v_or_b32_e32 v16, s18, v16
	v_mov_b32_e32 v19, s5
	v_mul_lo_u16_sdwa v17, v17, v18 dst_sel:DWORD dst_unused:UNUSED_PAD src0_sel:BYTE_1 src1_sel:DWORD
	v_ashrrev_i32_e32 v20, 4, v16
	v_or_b32_e32 v21, 64, v16
	v_cmp_gt_i32_e32 vcc, s33, v16
	v_sub_u16_e32 v17, v60, v17
	v_or_b32_e32 v26, 0x80, v16
	v_or_b32_e32 v27, 0xc0, v16
	v_cndmask_b32_e32 v40, v19, v20, vcc
	v_ashrrev_i32_e32 v16, 4, v21
	v_cmp_gt_i32_e32 vcc, s33, v21
	v_lshlrev_b32_sdwa v17, v18, v17 dst_sel:DWORD dst_unused:UNUSED_PAD src0_sel:DWORD src1_sel:BYTE_0
	v_ashrrev_i32_e32 v18, 4, v26
	v_cndmask_b32_e32 v44, v19, v16, vcc
	v_cmp_gt_i32_e32 vcc, s33, v26
	v_ashrrev_i32_e32 v20, 4, v27
	v_lshl_add_u32 v36, v64, 9, v17
	v_cndmask_b32_e32 v46, v19, v18, vcc
	v_cmp_gt_i32_e32 vcc, s33, v27
	s_waitcnt vmcnt(4)
	v_mad_i64_i32 v[34:35], s[12:13], v14, s45, v[6:7]
	v_cndmask_b32_e32 v38, v19, v20, vcc
	ds_read_b128 v[26:29], v36
	ds_read_b128 v[18:21], v36 offset:16
	global_load_dwordx4 v[30:33], v[8:9], off offset:1024
	s_waitcnt vmcnt(4)
	v_mad_i64_i32 v[42:43], s[12:13], v15, s45, v[6:7]
	v_ashrrev_i32_e32 v41, 31, v40
	ds_read_b128 v[14:17], v36 offset:2048
	ds_read_b128 v[6:9], v36 offset:2064
	v_lshl_add_u64 v[36:37], v[34:35], 0, v[62:63]
	v_lshl_add_u64 v[34:35], v[42:43], 0, v[62:63]
	v_ashrrev_i32_e32 v45, 31, v44
	v_ashrrev_i32_e32 v47, 31, v46
	;; [unrolled: 1-line block ×3, first 2 shown]
	v_lshl_add_u64 v[50:51], v[40:41], 2, s[6:7]
	v_lshl_add_u64 v[52:53], v[44:45], 2, s[6:7]
	;; [unrolled: 1-line block ×4, first 2 shown]
	global_load_dwordx4 v[46:49], v[36:37], off
	global_load_dwordx4 v[42:45], v[36:37], off offset:1024
	global_load_dwordx4 v[38:41], v[34:35], off
	s_nop 0
	global_load_dwordx4 v[34:37], v[34:35], off offset:1024
	s_nop 0
	global_load_dword v69, v[50:51], off
	global_load_dword v68, v[52:53], off
	;; [unrolled: 1-line block ×4, first 2 shown]
	s_add_u32 s4, s10, s4
	v_lshl_or_b32 v59, v61, 4, v60
	s_addc_u32 s5, s11, 0
	v_lshlrev_b32_e32 v62, 4, v59
	s_load_dword s8, s[0:1], 0x1c
	s_waitcnt vmcnt(11)
	v_cvt_pk_f32_fp8_e32 v[50:51], v22
	v_cvt_pk_f32_fp8_sdwa v[52:53], v22 src0_sel:WORD_1
	v_cvt_pk_f32_fp8_e32 v[54:55], v23
	v_cvt_pk_f32_fp8_sdwa v[22:23], v23 src0_sel:WORD_1
	s_waitcnt vmcnt(10)
	v_cvt_pk_f32_fp8_e32 v[76:77], v10
	v_cvt_pk_f32_fp8_sdwa v[78:79], v10 src0_sel:WORD_1
	v_cvt_pk_f32_fp8_e32 v[80:81], v11
	v_cvt_pk_f32_fp8_sdwa v[82:83], v11 src0_sel:WORD_1
	v_cvt_pkrtz_f16_f32 v10, v50, v51
	v_cvt_pkrtz_f16_f32 v11, v52, v53
	v_cvt_pk_f32_fp8_e32 v[56:57], v24
	v_cvt_pk_f32_fp8_sdwa v[70:71], v24 src0_sel:WORD_1
	v_cvt_pkrtz_f16_f32 v54, v54, v55
	v_cvt_pkrtz_f16_f32 v55, v22, v23
	v_cvt_pk_f32_fp8_e32 v[72:73], v25
	v_cvt_pk_f32_fp8_sdwa v[74:75], v25 src0_sel:WORD_1
	s_waitcnt lgkmcnt(0)
	v_mfma_f32_16x16x16_f16 v[22:25], v[10:11], v[26:27], 0
	v_cvt_pkrtz_f16_f32 v10, v56, v57
	v_cvt_pkrtz_f16_f32 v11, v70, v71
	;; [unrolled: 1-line block ×3, first 2 shown]
	v_mfma_f32_16x16x16_f16 v[22:25], v[54:55], v[28:29], v[22:25]
	v_cvt_pkrtz_f16_f32 v57, v74, v75
	v_cvt_pk_f32_fp8_e32 v[50:51], v12
	v_cvt_pk_f32_fp8_sdwa v[52:53], v12 src0_sel:WORD_1
	v_cvt_pk_f32_fp8_e32 v[84:85], v13
	v_cvt_pk_f32_fp8_sdwa v[54:55], v13 src0_sel:WORD_1
	v_mfma_f32_16x16x16_f16 v[10:13], v[10:11], v[18:19], v[22:25]
	v_cvt_pkrtz_f16_f32 v70, v80, v81
	v_cvt_pkrtz_f16_f32 v71, v82, v83
	;; [unrolled: 1-line block ×5, first 2 shown]
	v_mfma_f32_16x16x16_f16 v[10:13], v[56:57], v[20:21], v[10:13]
	s_waitcnt vmcnt(9)
	v_cvt_pk_f32_fp8_e32 v[22:23], v2
	v_cvt_pk_f32_fp8_sdwa v[56:57], v2 src0_sel:WORD_1
	v_cvt_pkrtz_f16_f32 v51, v52, v53
	v_mfma_f32_16x16x16_f16 v[10:13], v[24:25], v[14:15], v[10:13]
	v_cvt_pk_f32_fp8_e32 v[24:25], v3
	v_cvt_pk_f32_fp8_sdwa v[2:3], v3 src0_sel:WORD_1
	v_cvt_pkrtz_f16_f32 v52, v84, v85
	v_mfma_f32_16x16x16_f16 v[10:13], v[70:71], v[16:17], v[10:13]
	v_cvt_pkrtz_f16_f32 v53, v54, v55
	v_cvt_pkrtz_f16_f32 v22, v22, v23
	;; [unrolled: 1-line block ×3, first 2 shown]
	v_mfma_f32_16x16x16_f16 v[10:13], v[50:51], v[6:7], v[10:13]
	v_cvt_pk_f32_fp8_e32 v[54:55], v4
	v_cvt_pk_f32_fp8_sdwa v[56:57], v4 src0_sel:WORD_1
	v_cvt_pkrtz_f16_f32 v24, v24, v25
	v_cvt_pkrtz_f16_f32 v25, v2, v3
	v_mfma_f32_16x16x16_f16 v[50:53], v[52:53], v[8:9], v[10:13]
	s_waitcnt vmcnt(7)
	v_cvt_pk_f32_fp8_e32 v[72:73], v49
	v_lshl_add_u64 v[70:71], s[4:5], 0, v[62:63]
	s_waitcnt vmcnt(6)
	v_cvt_pk_f32_fp8_sdwa v[76:77], v44 src0_sel:WORD_1
	v_mfma_f32_16x16x16_f16 v[10:13], v[22:23], v[26:27], 0
	v_cvt_pkrtz_f16_f32 v22, v54, v55
	v_cvt_pkrtz_f16_f32 v23, v56, v57
	v_cvt_pk_f32_fp8_e32 v[54:55], v5
	v_cvt_pk_f32_fp8_sdwa v[56:57], v5 src0_sel:WORD_1
	v_mfma_f32_16x16x16_f16 v[2:5], v[24:25], v[28:29], v[10:13]
	v_cvt_pk_f32_fp8_e32 v[24:25], v32
	v_or_b32_e32 v62, 0x400, v62
	s_nop 0
	v_cvt_pkrtz_f16_f32 v10, v54, v55
	v_cvt_pkrtz_f16_f32 v11, v56, v57
	v_mfma_f32_16x16x16_f16 v[2:5], v[22:23], v[18:19], v[2:5]
	v_cvt_pk_f32_fp8_e32 v[12:13], v30
	v_cvt_pk_f32_fp8_sdwa v[22:23], v30 src0_sel:WORD_1
	v_cvt_pkrtz_f16_f32 v12, v12, v13
	v_mfma_f32_16x16x16_f16 v[2:5], v[10:11], v[20:21], v[2:5]
	v_cvt_pk_f32_fp8_e32 v[10:11], v31
	v_cvt_pkrtz_f16_f32 v13, v22, v23
	v_cvt_pk_f32_fp8_sdwa v[22:23], v31 src0_sel:WORD_1
	v_cvt_pk_f32_fp8_sdwa v[30:31], v32 src0_sel:WORD_1
	v_cvt_pkrtz_f16_f32 v10, v10, v11
	v_mfma_f32_16x16x16_f16 v[2:5], v[12:13], v[14:15], v[2:5]
	v_cvt_pkrtz_f16_f32 v11, v22, v23
	v_cvt_pkrtz_f16_f32 v12, v24, v25
	;; [unrolled: 1-line block ×3, first 2 shown]
	v_cvt_pk_f32_fp8_e32 v[22:23], v33
	v_cvt_pk_f32_fp8_sdwa v[24:25], v33 src0_sel:WORD_1
	v_mfma_f32_16x16x16_f16 v[2:5], v[10:11], v[16:17], v[2:5]
	v_cvt_pkrtz_f16_f32 v10, v22, v23
	v_cvt_pkrtz_f16_f32 v11, v24, v25
	v_mfma_f32_16x16x16_f16 v[2:5], v[12:13], v[6:7], v[2:5]
	v_cvt_pk_f32_fp8_e32 v[12:13], v46
	v_cvt_pk_f32_fp8_sdwa v[22:23], v46 src0_sel:WORD_1
	v_cvt_pk_f32_fp8_sdwa v[24:25], v48 src0_sel:WORD_1
	v_mfma_f32_16x16x16_f16 v[54:57], v[10:11], v[8:9], v[2:5]
	v_cvt_pk_f32_fp8_sdwa v[10:11], v47 src0_sel:WORD_1
	s_nop 1
	v_cvt_pkrtz_f16_f32 v2, v12, v13
	v_cvt_pkrtz_f16_f32 v3, v22, v23
	v_cvt_pk_f32_fp8_e32 v[4:5], v47
	v_cvt_pkrtz_f16_f32 v23, v10, v11
	v_cvt_pk_f32_fp8_e32 v[10:11], v48
	v_cvt_pk_f32_fp8_sdwa v[48:49], v49 src0_sel:WORD_1
	v_cvt_pkrtz_f16_f32 v22, v4, v5
	v_mfma_f32_16x16x16_f16 v[2:5], v[2:3], v[26:27], 0
	v_cvt_pkrtz_f16_f32 v10, v10, v11
	v_cvt_pkrtz_f16_f32 v11, v24, v25
	s_waitcnt vmcnt(3)
	v_mad_i64_i32 v[12:13], s[6:7], v69, s45, v[70:71]
	v_mfma_f32_16x16x16_f16 v[2:5], v[22:23], v[28:29], v[2:5]
	s_waitcnt vmcnt(2)
	v_mad_i64_i32 v[46:47], s[6:7], v68, s45, v[70:71]
	global_load_dwordx4 v[30:33], v[12:13], off
	global_load_dwordx4 v[22:25], v[46:47], off
	v_cvt_pkrtz_f16_f32 v12, v72, v73
	v_cvt_pkrtz_f16_f32 v13, v48, v49
	v_mfma_f32_16x16x16_f16 v[2:5], v[10:11], v[18:19], v[2:5]
	v_cvt_pk_f32_fp8_e32 v[10:11], v42
	v_cvt_pk_f32_fp8_sdwa v[46:47], v42 src0_sel:WORD_1
	s_waitcnt vmcnt(3)
	v_mad_i64_i32 v[72:73], s[6:7], v67, s45, v[70:71]
	v_mfma_f32_16x16x16_f16 v[2:5], v[12:13], v[20:21], v[2:5]
	v_cvt_pkrtz_f16_f32 v10, v10, v11
	v_cvt_pkrtz_f16_f32 v11, v46, v47
	v_cvt_pk_f32_fp8_e32 v[12:13], v43
	v_cvt_pk_f32_fp8_sdwa v[42:43], v43 src0_sel:WORD_1
	v_mfma_f32_16x16x16_f16 v[46:49], v[10:11], v[14:15], v[2:5]
	v_cvt_pkrtz_f16_f32 v74, v12, v13
	v_cvt_pkrtz_f16_f32 v75, v42, v43
	v_cvt_pk_f32_fp8_e32 v[42:43], v44
	s_waitcnt vmcnt(2)
	v_mad_i64_i32 v[70:71], s[6:7], v66, s45, v[70:71]
	global_load_dwordx4 v[10:13], v[72:73], off
	global_load_dwordx4 v[2:5], v[70:71], off
	v_cvt_pkrtz_f16_f32 v70, v42, v43
	v_cvt_pkrtz_f16_f32 v71, v76, v77
	v_cvt_pk_f32_fp8_e32 v[72:73], v45
	v_cvt_pk_f32_fp8_sdwa v[76:77], v45 src0_sel:WORD_1
	v_mfma_f32_16x16x16_f16 v[44:47], v[74:75], v[16:17], v[46:49]
	v_lshl_add_u64 v[42:43], s[4:5], 0, v[62:63]
	v_cvt_pk_f32_fp8_e32 v[62:63], v38
	v_cvt_pk_f32_fp8_sdwa v[74:75], v38 src0_sel:WORD_1
	v_cvt_pkrtz_f16_f32 v48, v72, v73
	v_cvt_pkrtz_f16_f32 v49, v76, v77
	v_mfma_f32_16x16x16_f16 v[44:47], v[70:71], v[6:7], v[44:47]
	s_load_dword s4, s[40:41], 0x0
	s_mov_b32 s40, 0xff7fffff
	v_mfma_f32_16x16x16_f16 v[70:73], v[48:49], v[8:9], v[44:47]
	s_nop 3
	v_cvt_pk_f32_fp8_e32 v[44:45], v39
	v_cvt_pkrtz_f16_f32 v46, v62, v63
	v_cvt_pkrtz_f16_f32 v47, v74, v75
	v_cvt_pk_f32_fp8_sdwa v[38:39], v39 src0_sel:WORD_1
	v_cvt_pkrtz_f16_f32 v48, v44, v45
	v_cvt_pk_f32_fp8_e32 v[62:63], v40
	v_cvt_pk_f32_fp8_sdwa v[74:75], v40 src0_sel:WORD_1
	v_cvt_pkrtz_f16_f32 v49, v38, v39
	v_mfma_f32_16x16x16_f16 v[44:47], v[46:47], v[26:27], 0
	v_cvt_pkrtz_f16_f32 v38, v62, v63
	v_cvt_pkrtz_f16_f32 v39, v74, v75
	v_cvt_pk_f32_fp8_e32 v[62:63], v41
	v_cvt_pk_f32_fp8_sdwa v[74:75], v41 src0_sel:WORD_1
	v_mov_b32_e32 v26, s8
	s_waitcnt lgkmcnt(0)
	v_mul_f32_e32 v76, s4, v26
	v_mfma_f32_16x16x16_f16 v[26:29], v[48:49], v[28:29], v[44:47]
	v_cvt_pk_f32_fp8_sdwa v[48:49], v37 src0_sel:WORD_1
	v_pk_mul_f32 v[40:41], v[76:77], v[52:53] op_sel_hi:[0,1]
	v_pk_mul_f32 v[52:53], v[76:77], v[54:55] op_sel_hi:[0,1]
	v_cvt_pkrtz_f16_f32 v46, v62, v63
	v_cvt_pkrtz_f16_f32 v47, v74, v75
	v_mfma_f32_16x16x16_f16 v[26:29], v[38:39], v[18:19], v[26:29]
	v_cvt_pk_f32_fp8_e32 v[18:19], v34
	v_cvt_pk_f32_fp8_sdwa v[38:39], v34 src0_sel:WORD_1
	v_pk_mul_f32 v[44:45], v[76:77], v[50:51] op_sel_hi:[0,1]
	v_mfma_f32_16x16x16_f16 v[26:29], v[46:47], v[20:21], v[26:29]
	v_cvt_pkrtz_f16_f32 v20, v18, v19
	v_cvt_pkrtz_f16_f32 v21, v38, v39
	v_cvt_pk_f32_fp8_e32 v[38:39], v35
	v_cvt_pk_f32_fp8_sdwa v[34:35], v35 src0_sel:WORD_1
	v_mfma_f32_16x16x16_f16 v[26:29], v[20:21], v[14:15], v[26:29]
	v_cvt_pkrtz_f16_f32 v38, v38, v39
	v_cvt_pkrtz_f16_f32 v39, v34, v35
	v_cvt_pk_f32_fp8_e32 v[14:15], v36
	v_cvt_pk_f32_fp8_sdwa v[20:21], v36 src0_sel:WORD_1
	v_pk_mul_f32 v[50:51], v[76:77], v[70:71] op_sel_hi:[0,1]
	v_mad_i64_i32 v[18:19], s[4:5], v69, s45, v[42:43]
	v_cvt_pkrtz_f16_f32 v46, v14, v15
	v_cvt_pkrtz_f16_f32 v47, v20, v21
	v_cvt_pk_f32_fp8_e32 v[20:21], v37
	v_mfma_f32_16x16x16_f16 v[14:17], v[38:39], v[16:17], v[26:29]
	v_pk_mul_f32 v[36:37], v[76:77], v[56:57] op_sel_hi:[0,1]
	v_mad_i64_i32 v[34:35], s[4:5], v68, s45, v[42:43]
	v_cvt_pkrtz_f16_f32 v20, v20, v21
	v_cvt_pkrtz_f16_f32 v21, v48, v49
	v_mfma_f32_16x16x16_f16 v[14:17], v[46:47], v[6:7], v[14:17]
	v_pk_mul_f32 v[46:47], v[76:77], v[72:73] op_sel_hi:[0,1]
	v_mfma_f32_16x16x16_f16 v[6:9], v[20:21], v[8:9], v[14:17]
	global_load_dwordx4 v[26:29], v[18:19], off
	s_nop 0
	global_load_dwordx4 v[18:21], v[34:35], off
	s_nop 3
	v_pk_mul_f32 v[48:49], v[76:77], v[6:7] op_sel_hi:[0,1]
	v_and_b32_e32 v6, 0xc0, v0
	v_add_u32_e32 v6, s18, v6
	v_lshl_or_b32 v6, v64, 2, v6
	v_pk_mul_f32 v[38:39], v[76:77], v[8:9] op_sel_hi:[0,1]
	v_or_b32_e32 v9, 1, v6
	v_mov_b32_e32 v7, 0xff7fffff
	v_cmp_gt_i32_e64 s[26:27], s33, v6
	v_cmp_gt_i32_e64 s[28:29], s33, v9
	v_or_b32_e32 v14, 3, v6
	v_cndmask_b32_e64 v8, v7, v44, s[26:27]
	v_cndmask_b32_e64 v9, v7, v45, s[28:29]
	v_max3_f32 v8, v8, s40, v9
	v_or_b32_e32 v9, 2, v6
	v_cmp_gt_i32_e64 s[30:31], s33, v9
	v_cmp_gt_i32_e64 s[34:35], s33, v14
	s_nop 0
	v_cndmask_b32_e64 v9, v7, v40, s[30:31]
	v_cndmask_b32_e64 v14, v7, v41, s[34:35]
	v_max3_f32 v8, v8, v9, v14
	v_or_b32_e32 v9, 16, v6
	v_or_b32_e32 v14, 17, v6
	v_cmp_gt_i32_e64 s[18:19], s33, v9
	v_cmp_gt_i32_e64 s[20:21], s33, v14
	s_nop 0
	v_cndmask_b32_e64 v9, v7, v52, s[18:19]
	v_cndmask_b32_e64 v14, v7, v53, s[20:21]
	v_max3_f32 v8, v8, v9, v14
	v_or_b32_e32 v9, 18, v6
	;; [unrolled: 8-line block ×5, first 2 shown]
	v_or_b32_e32 v14, 49, v6
	v_cmp_gt_i32_e32 vcc, s33, v9
	v_cmp_gt_i32_e64 s[4:5], s33, v14
	s_nop 0
	v_cndmask_b32_e32 v9, v7, v48, vcc
	v_cndmask_b32_e64 v14, v7, v49, s[4:5]
	v_max3_f32 v8, v8, v9, v14
	v_or_b32_e32 v9, 50, v6
	v_or_b32_e32 v6, 51, v6
	v_cmp_gt_i32_e64 s[6:7], s33, v9
	v_cmp_gt_i32_e64 s[8:9], s33, v6
	s_nop 0
	v_cndmask_b32_e64 v9, v7, v38, s[6:7]
	v_cndmask_b32_e64 v6, v7, v39, s[8:9]
	v_max3_f32 v8, v8, v9, v6
	v_mbcnt_lo_u32_b32 v6, -1, 0
	v_mbcnt_hi_u32_b32 v9, -1, v6
	v_and_b32_e32 v6, 64, v9
	v_add_u32_e32 v14, 64, v6
	v_xor_b32_e32 v6, 32, v9
	v_cmp_lt_i32_e64 s[38:39], v6, v14
	s_nop 1
	v_cndmask_b32_e64 v6, v9, v6, s[38:39]
	v_lshlrev_b32_e32 v55, 2, v6
	ds_bpermute_b32 v15, v55, v8
	v_mad_i64_i32 v[6:7], s[38:39], v67, s45, v[42:43]
	s_waitcnt lgkmcnt(0)
	v_max_f32_e32 v15, v15, v15
	v_max_f32_e32 v34, v8, v15
	v_xor_b32_e32 v8, 16, v9
	v_cmp_lt_i32_e64 s[38:39], v8, v14
	s_nop 1
	v_cndmask_b32_e64 v8, v9, v8, s[38:39]
	v_lshlrev_b32_e32 v56, 2, v8
	v_mad_i64_i32 v[8:9], s[38:39], v66, s45, v[42:43]
	global_load_dwordx4 v[14:17], v[6:7], off
	s_nop 0
	global_load_dwordx4 v[6:9], v[8:9], off
	ds_bpermute_b32 v35, v56, v34
	s_waitcnt lgkmcnt(0)
	s_barrier
	v_max_f32_e32 v35, v35, v35
	v_max_f32_e32 v54, v34, v35
	v_sub_f32_e32 v42, v52, v54
	v_mul_f32_e32 v42, 0x3fb8aa3b, v42
	v_exp_f32_e32 v42, v42
	v_sub_f32_e32 v36, v36, v54
	v_sub_f32_e32 v34, v44, v54
	v_mul_f32_e32 v36, 0x3fb8aa3b, v36
	v_mul_f32_e32 v34, 0x3fb8aa3b, v34
	v_sub_f32_e32 v35, v45, v54
	v_sub_f32_e32 v43, v53, v54
	v_exp_f32_e32 v44, v36
	v_sub_f32_e32 v36, v37, v54
	v_sub_f32_e32 v48, v48, v54
	;; [unrolled: 1-line block ×3, first 2 shown]
	v_exp_f32_e32 v34, v34
	v_mul_f32_e32 v35, 0x3fb8aa3b, v35
	v_sub_f32_e32 v40, v40, v54
	v_mul_f32_e32 v43, 0x3fb8aa3b, v43
	v_mul_f32_e32 v36, 0x3fb8aa3b, v36
	v_mul_f32_e32 v48, 0x3fb8aa3b, v48
	v_mul_f32_e32 v38, 0x3fb8aa3b, v38
	v_exp_f32_e32 v35, v35
	v_mul_f32_e32 v40, 0x3fb8aa3b, v40
	v_sub_f32_e32 v41, v41, v54
	v_exp_f32_e32 v43, v43
	v_exp_f32_e32 v45, v36
	v_cndmask_b32_e64 v36, 0, v42, s[18:19]
	v_sub_f32_e32 v42, v50, v54
	v_exp_f32_e32 v48, v48
	v_exp_f32_e32 v50, v38
	;; [unrolled: 1-line block ×3, first 2 shown]
	v_mul_f32_e32 v41, 0x3fb8aa3b, v41
	v_exp_f32_e32 v41, v41
	v_sub_f32_e32 v38, v39, v54
	v_cndmask_b32_e64 v34, 0, v34, s[26:27]
	v_mul_f32_e32 v38, 0x3fb8aa3b, v38
	v_cndmask_b32_e64 v35, 0, v35, s[28:29]
	v_cndmask_b32_e64 v37, 0, v43, s[20:21]
	v_sub_f32_e32 v43, v51, v54
	v_exp_f32_e32 v51, v38
	v_cndmask_b32_e32 v38, 0, v48, vcc
	v_cndmask_b32_e64 v48, 0, v50, s[6:7]
	v_add_f32_e32 v50, 0, v34
	v_cndmask_b32_e64 v40, 0, v40, s[30:31]
	v_add_f32_e32 v50, v50, v35
	v_cndmask_b32_e64 v41, 0, v41, s[34:35]
	v_mul_f32_e32 v42, 0x3fb8aa3b, v42
	v_add_f32_e32 v50, v50, v40
	v_exp_f32_e32 v42, v42
	v_mul_f32_e32 v43, 0x3fb8aa3b, v43
	v_sub_f32_e32 v46, v46, v54
	v_add_f32_e32 v50, v50, v41
	v_exp_f32_e32 v43, v43
	v_mul_f32_e32 v46, 0x3fb8aa3b, v46
	v_sub_f32_e32 v47, v47, v54
	v_add_f32_e32 v50, v50, v36
	v_cndmask_b32_e64 v44, 0, v44, s[22:23]
	v_exp_f32_e32 v46, v46
	v_mul_f32_e32 v47, 0x3fb8aa3b, v47
	v_add_f32_e32 v50, v50, v37
	v_cndmask_b32_e64 v45, 0, v45, s[36:37]
	v_exp_f32_e32 v47, v47
	v_sub_f32_e32 v49, v49, v54
	v_add_f32_e32 v50, v50, v44
	v_cndmask_b32_e64 v42, 0, v42, s[10:11]
	v_mul_f32_e32 v49, 0x3fb8aa3b, v49
	v_add_f32_e32 v50, v50, v45
	v_cndmask_b32_e64 v43, 0, v43, s[12:13]
	v_exp_f32_e32 v49, v49
	v_add_f32_e32 v50, v50, v42
	v_cndmask_b32_e64 v46, 0, v46, s[14:15]
	v_add_f32_e32 v50, v50, v43
	v_cndmask_b32_e64 v47, 0, v47, s[16:17]
	v_add_f32_e32 v50, v50, v46
	v_add_f32_e32 v50, v50, v47
	v_cndmask_b32_e64 v39, 0, v49, s[4:5]
	v_add_f32_e32 v50, v50, v38
	;; [unrolled: 3-line block ×3, first 2 shown]
	v_add_f32_e32 v50, v50, v49
	ds_bpermute_b32 v51, v55, v50
	v_cmp_gt_u32_e64 s[4:5], 16, v65
	s_waitcnt lgkmcnt(0)
	v_add_f32_e32 v50, v50, v51
	ds_bpermute_b32 v51, v56, v50
	s_and_saveexec_b64 s[6:7], s[4:5]
	s_cbranch_execz .LBB992_13
; %bb.12:
	s_waitcnt lgkmcnt(0)
	v_add_f32_e32 v50, v50, v51
	v_lshlrev_b32_e32 v51, 2, v59
	ds_write2st64_b32 v51, v54, v50 offset1:1
.LBB992_13:
	s_or_b64 exec, exec, s[6:7]
	s_waitcnt lgkmcnt(0)
	v_lshlrev_b32_e32 v51, 2, v60
	s_load_dword s8, s[0:1], 0x94
	s_waitcnt lgkmcnt(0)
	s_barrier
	ds_read2_b32 v[52:53], v51 offset1:16
	ds_read2_b32 v[54:55], v51 offset0:32 offset1:48
	ds_read2_b32 v[56:57], v51 offset0:64 offset1:80
	s_mul_i32 s9, s25, 5
	s_waitcnt lgkmcnt(2)
	v_max3_f32 v50, v52, s40, v53
	s_waitcnt lgkmcnt(1)
	v_max3_f32 v50, v50, v54, v55
	v_sub_f32_e32 v52, v52, v50
	v_mul_f32_e32 v52, 0x3fb8aa3b, v52
	v_exp_f32_e32 v59, v52
	v_sub_f32_e32 v52, v53, v50
	v_mul_f32_e32 v52, 0x3fb8aa3b, v52
	v_exp_f32_e32 v62, v52
	;; [unrolled: 3-line block ×3, first 2 shown]
	ds_read2_b32 v[52:53], v51 offset0:96 offset1:112
	v_sub_f32_e32 v51, v55, v50
	v_mul_f32_e32 v51, 0x3fb8aa3b, v51
	v_exp_f32_e32 v55, v51
	s_waitcnt lgkmcnt(1)
	v_fma_f32 v51, v59, v56, 0
	v_fmac_f32_e32 v51, v62, v57
	s_waitcnt lgkmcnt(0)
	v_fmac_f32_e32 v51, v54, v52
	v_fmac_f32_e32 v51, v55, v53
	v_add_f32_e32 v52, 0x358637bd, v51
	v_div_scale_f32 v53, s[6:7], v52, v52, 1.0
	v_rcp_f32_e32 v56, v53
	s_barrier
	v_fma_f32 v57, -v53, v56, 1.0
	v_fmac_f32_e32 v56, v57, v56
	v_div_scale_f32 v57, vcc, 1.0, v52, 1.0
	v_mul_f32_e32 v63, v57, v56
	v_fma_f32 v65, -v53, v63, v57
	v_fmac_f32_e32 v63, v65, v56
	v_fma_f32 v53, -v53, v63, v57
	v_div_fmas_f32 v53, v53, v56, v63
	v_cmp_eq_u32_e32 vcc, 1, v61
	v_div_fixup_f32 v52, v53, v52, 1.0
	s_nop 0
	v_cndmask_b32_e32 v53, v59, v62, vcc
	v_cmp_eq_u32_e32 vcc, 2, v61
	s_nop 1
	v_cndmask_b32_e32 v53, v53, v54, vcc
	v_cmp_eq_u32_e32 vcc, 3, v61
	s_nop 1
	v_cndmask_b32_e32 v53, v53, v55, vcc
	v_mul_f32_e32 v52, v53, v52
	v_pk_mul_f32 v[40:41], v[52:53], v[40:41] op_sel_hi:[0,1]
	v_pk_mul_f32 v[34:35], v[52:53], v[34:35] op_sel_hi:[0,1]
	v_cvt_f16_f32_e32 v53, v40
	v_cvt_f16_f32_e32 v34, v34
	;; [unrolled: 1-line block ×4, first 2 shown]
	v_pk_mul_f32 v[44:45], v[52:53], v[44:45] op_sel_hi:[0,1]
	v_pk_mul_f32 v[36:37], v[52:53], v[36:37] op_sel_hi:[0,1]
	v_cvt_f16_f32_e32 v36, v36
	v_cvt_f16_f32_e32 v37, v37
	;; [unrolled: 1-line block ×4, first 2 shown]
	v_pack_b32_f16 v40, v34, v35
	v_pack_b32_f16 v41, v53, v41
	v_lshlrev_b32_e32 v35, 3, v64
	v_lshlrev_b32_e32 v34, 5, v60
	;; [unrolled: 1-line block ×3, first 2 shown]
	v_or3_b32 v54, v53, v34, v35
	v_pack_b32_f16 v36, v36, v37
	v_pack_b32_f16 v37, v44, v45
	ds_write2st64_b64 v54, v[40:41], v[36:37] offset1:1
	v_pk_mul_f32 v[36:37], v[52:53], v[46:47] op_sel_hi:[0,1]
	v_pk_mul_f32 v[40:41], v[52:53], v[42:43] op_sel_hi:[0,1]
	v_cvt_f16_f32_e32 v35, v40
	v_cvt_f16_f32_e32 v40, v41
	;; [unrolled: 1-line block ×4, first 2 shown]
	v_pk_mul_f32 v[36:37], v[52:53], v[48:49] op_sel_hi:[0,1]
	v_pk_mul_f32 v[38:39], v[52:53], v[38:39] op_sel_hi:[0,1]
	v_cvt_f16_f32_e32 v38, v38
	v_cvt_f16_f32_e32 v39, v39
	;; [unrolled: 1-line block ×4, first 2 shown]
	v_pack_b32_f16 v36, v35, v40
	v_pack_b32_f16 v37, v41, v42
	;; [unrolled: 1-line block ×4, first 2 shown]
	v_cmp_gt_u32_e32 vcc, 5, v0
	ds_write2st64_b64 v54, v[36:37], v[38:39] offset0:2 offset1:3
	s_and_saveexec_b64 s[6:7], vcc
	s_cbranch_execz .LBB992_15
; %bb.14:
	s_mov_b32 s49, 0
	v_mov_b32_e32 v61, 0
	v_lshl_add_u64 v[36:37], s[48:49], 0, v[60:61]
	v_mov_b32_e32 v35, s9
	v_mad_u64_u32 v[36:37], s[10:11], s2, v35, v[36:37]
	s_mul_i32 s3, s3, s9
	v_mov_b32_e32 v38, s24
	v_mov_b32_e32 v39, v61
	s_load_dwordx4 s[12:15], s[0:1], 0x58
	v_add_u32_e32 v35, s3, v37
	v_mad_u64_u32 v[36:37], s[10:11], v36, s8, v[38:39]
	v_mov_b32_e32 v38, v37
	v_mad_u64_u32 v[38:39], s[10:11], v35, s8, v[38:39]
	v_mov_b32_e32 v37, v38
	v_lshlrev_b64 v[36:37], 2, v[36:37]
	s_waitcnt lgkmcnt(0)
	v_lshl_add_u64 v[38:39], s[14:15], 0, v[36:37]
	v_lshl_add_u64 v[36:37], s[12:13], 0, v[36:37]
	global_store_dword v[38:39], v50, off
	global_store_dword v[36:37], v51, off
.LBB992_15:
	s_or_b64 exec, exec, s[6:7]
	s_waitcnt vmcnt(7)
	v_cvt_pk_f32_fp8_e32 v[36:37], v30
	v_lshl_or_b32 v50, v64, 9, v34
	v_cvt_pk_f32_fp8_sdwa v[34:35], v30 src0_sel:WORD_1
	s_waitcnt lgkmcnt(0)
	s_barrier
	v_cvt_pk_f32_fp8_e32 v[38:39], v31
	v_cvt_pkrtz_f16_f32 v30, v36, v37
	v_cvt_pk_f32_fp8_sdwa v[40:41], v31 src0_sel:WORD_1
	v_cvt_pkrtz_f16_f32 v31, v34, v35
	ds_read_b128 v[34:37], v50
	v_cvt_pkrtz_f16_f32 v46, v38, v39
	v_cvt_pkrtz_f16_f32 v47, v40, v41
	ds_read_b128 v[38:41], v50 offset:16
	v_cvt_pk_f32_fp8_e32 v[48:49], v32
	v_cvt_pk_f32_fp8_sdwa v[52:53], v32 src0_sel:WORD_1
	s_waitcnt lgkmcnt(1)
	v_mfma_f32_16x16x16_f16 v[42:45], v[30:31], v[34:35], 0
	s_waitcnt vmcnt(6)
	v_cvt_pk_f32_fp8_e32 v[56:57], v24
	v_cvt_pkrtz_f16_f32 v30, v48, v49
	v_cvt_pkrtz_f16_f32 v31, v52, v53
	v_cvt_pk_f32_fp8_e32 v[48:49], v33
	v_mfma_f32_16x16x16_f16 v[42:45], v[46:47], v[36:37], v[42:45]
	v_cvt_pk_f32_fp8_sdwa v[46:47], v33 src0_sel:WORD_1
	v_cvt_pk_f32_fp8_sdwa v[62:63], v24 src0_sel:WORD_1
	v_cvt_pkrtz_f16_f32 v48, v48, v49
	s_waitcnt lgkmcnt(0)
	v_mfma_f32_16x16x16_f16 v[30:33], v[30:31], v[38:39], v[42:45]
	v_cvt_pkrtz_f16_f32 v49, v46, v47
	s_waitcnt vmcnt(4)
	v_cvt_pk_f32_fp8_sdwa v[70:71], v4 src0_sel:WORD_1
	s_waitcnt vmcnt(3)
	v_cvt_pk_f32_fp8_sdwa v[72:73], v28 src0_sel:WORD_1
	v_cvt_pk_f32_fp8_e32 v[42:43], v22
	v_mfma_f32_16x16x16_f16 v[46:49], v[48:49], v[40:41], v[30:33]
	s_load_dword s6, s[42:43], 0x0
	s_mov_b32 s3, 0
	s_nop 0
	v_cvt_pk_f32_fp8_sdwa v[30:31], v22 src0_sel:WORD_1
	v_cvt_pk_f32_fp8_e32 v[32:33], v23
	v_cvt_pkrtz_f16_f32 v22, v42, v43
	v_cvt_pk_f32_fp8_sdwa v[42:43], v23 src0_sel:WORD_1
	v_cvt_pkrtz_f16_f32 v23, v30, v31
	v_cvt_pkrtz_f16_f32 v52, v32, v33
	ds_read_b128 v[30:33], v50 offset:2048
	v_cvt_pkrtz_f16_f32 v53, v42, v43
	ds_read_b128 v[42:45], v50 offset:2064
	s_waitcnt lgkmcnt(0)
	v_mfma_f32_16x16x16_f16 v[46:49], v[22:23], v[30:31], v[46:49]
	v_cvt_pkrtz_f16_f32 v22, v56, v57
	v_cvt_pkrtz_f16_f32 v23, v62, v63
	v_cvt_pk_f32_fp8_e32 v[56:57], v25
	v_mfma_f32_16x16x16_f16 v[46:49], v[52:53], v[32:33], v[46:49]
	v_cvt_pk_f32_fp8_sdwa v[52:53], v25 src0_sel:WORD_1
	v_cvt_pk_f32_fp8_sdwa v[62:63], v12 src0_sel:WORD_1
	v_cvt_pkrtz_f16_f32 v56, v56, v57
	v_mfma_f32_16x16x16_f16 v[22:25], v[22:23], v[42:43], v[46:49]
	v_cvt_pkrtz_f16_f32 v57, v52, v53
	v_cmp_gt_u32_e32 vcc, 64, v0
	s_nop 0
	v_cvt_pk_f32_fp8_e32 v[46:47], v10
	v_mfma_f32_16x16x16_f16 v[66:69], v[56:57], v[44:45], v[22:25]
	v_cvt_pk_f32_fp8_e32 v[56:57], v12
	s_nop 1
	v_cvt_pk_f32_fp8_sdwa v[22:23], v10 src0_sel:WORD_1
	v_cvt_pk_f32_fp8_e32 v[24:25], v11
	v_cvt_pkrtz_f16_f32 v10, v46, v47
	v_cvt_pk_f32_fp8_sdwa v[46:47], v11 src0_sel:WORD_1
	v_cvt_pkrtz_f16_f32 v11, v22, v23
	v_cvt_pkrtz_f16_f32 v52, v24, v25
	ds_read_b128 v[22:25], v50 offset:4096
	v_cvt_pkrtz_f16_f32 v53, v46, v47
	ds_read_b128 v[46:49], v50 offset:4112
	s_waitcnt lgkmcnt(1)
	v_mfma_f32_16x16x16_f16 v[66:69], v[10:11], v[22:23], v[66:69]
	v_cvt_pkrtz_f16_f32 v10, v56, v57
	v_cvt_pkrtz_f16_f32 v11, v62, v63
	v_cvt_pk_f32_fp8_e32 v[56:57], v13
	v_mfma_f32_16x16x16_f16 v[66:69], v[52:53], v[24:25], v[66:69]
	v_cvt_pk_f32_fp8_sdwa v[52:53], v13 src0_sel:WORD_1
	v_cvt_pk_f32_fp8_e32 v[62:63], v4
	v_cvt_pkrtz_f16_f32 v56, v56, v57
	s_waitcnt lgkmcnt(0)
	v_mfma_f32_16x16x16_f16 v[10:13], v[10:11], v[46:47], v[66:69]
	v_cvt_pkrtz_f16_f32 v57, v52, v53
	v_cvt_pk_f32_fp8_e32 v[52:53], v2
	s_nop 0
	v_mfma_f32_16x16x16_f16 v[66:69], v[56:57], v[48:49], v[10:13]
	s_nop 2
	v_cvt_pk_f32_fp8_sdwa v[10:11], v2 src0_sel:WORD_1
	v_cvt_pk_f32_fp8_e32 v[12:13], v3
	v_cvt_pkrtz_f16_f32 v2, v52, v53
	v_cvt_pk_f32_fp8_sdwa v[52:53], v3 src0_sel:WORD_1
	v_cvt_pkrtz_f16_f32 v3, v10, v11
	v_cvt_pkrtz_f16_f32 v56, v12, v13
	ds_read_b128 v[10:13], v50 offset:6144
	v_cvt_pkrtz_f16_f32 v57, v52, v53
	s_waitcnt lgkmcnt(0)
	v_mfma_f32_16x16x16_f16 v[66:69], v[2:3], v[10:11], v[66:69]
	ds_read_b128 v[50:53], v50 offset:6160
	v_cvt_pkrtz_f16_f32 v2, v62, v63
	v_cvt_pkrtz_f16_f32 v3, v70, v71
	v_cvt_pk_f32_fp8_e32 v[62:63], v5
	v_mfma_f32_16x16x16_f16 v[66:69], v[56:57], v[12:13], v[66:69]
	v_cvt_pk_f32_fp8_sdwa v[56:57], v5 src0_sel:WORD_1
	v_cvt_pk_f32_fp8_e32 v[70:71], v28
	v_cvt_pkrtz_f16_f32 v62, v62, v63
	s_waitcnt lgkmcnt(0)
	v_mfma_f32_16x16x16_f16 v[2:5], v[2:3], v[50:51], v[66:69]
	v_cvt_pkrtz_f16_f32 v63, v56, v57
	v_cvt_pk_f32_fp8_e32 v[56:57], v26
	s_nop 0
	v_cvt_pk_f32_fp8_sdwa v[66:67], v26 src0_sel:WORD_1
	v_mfma_f32_16x16x16_f16 v[2:5], v[62:63], v[52:53], v[2:5]
	v_cvt_pk_f32_fp8_e32 v[62:63], v27
	v_cvt_pkrtz_f16_f32 v56, v56, v57
	v_cvt_pkrtz_f16_f32 v57, v66, v67
	v_cvt_pk_f32_fp8_sdwa v[26:27], v27 src0_sel:WORD_1
	v_cvt_pkrtz_f16_f32 v62, v62, v63
	v_mfma_f32_16x16x16_f16 v[66:69], v[56:57], v[34:35], 0
	v_cvt_pkrtz_f16_f32 v63, v26, v27
	v_cvt_pkrtz_f16_f32 v26, v70, v71
	;; [unrolled: 1-line block ×3, first 2 shown]
	v_cvt_pk_f32_fp8_e32 v[56:57], v29
	v_mfma_f32_16x16x16_f16 v[34:37], v[62:63], v[36:37], v[66:69]
	v_cvt_pk_f32_fp8_sdwa v[62:63], v29 src0_sel:WORD_1
	v_cvt_pkrtz_f16_f32 v56, v56, v57
	s_barrier
	v_mfma_f32_16x16x16_f16 v[26:29], v[26:27], v[38:39], v[34:37]
	v_cvt_pkrtz_f16_f32 v57, v62, v63
	s_waitcnt vmcnt(2)
	v_cvt_pk_f32_fp8_e32 v[38:39], v19
	v_cvt_pk_f32_fp8_e32 v[34:35], v18
	v_cvt_pk_f32_fp8_sdwa v[36:37], v18 src0_sel:WORD_1
	v_cvt_pk_f32_fp8_sdwa v[18:19], v19 src0_sel:WORD_1
	v_mfma_f32_16x16x16_f16 v[26:29], v[56:57], v[40:41], v[26:29]
	v_cvt_pkrtz_f16_f32 v34, v34, v35
	v_cvt_pkrtz_f16_f32 v35, v36, v37
	;; [unrolled: 1-line block ×3, first 2 shown]
	v_cvt_pk_f32_fp8_e32 v[38:39], v20
	v_cvt_pk_f32_fp8_sdwa v[40:41], v20 src0_sel:WORD_1
	v_cvt_pkrtz_f16_f32 v37, v18, v19
	v_mfma_f32_16x16x16_f16 v[26:29], v[34:35], v[30:31], v[26:29]
	v_cvt_pkrtz_f16_f32 v30, v38, v39
	v_cvt_pkrtz_f16_f32 v31, v40, v41
	v_cvt_pk_f32_fp8_e32 v[34:35], v21
	v_cvt_pk_f32_fp8_sdwa v[38:39], v21 src0_sel:WORD_1
	v_mfma_f32_16x16x16_f16 v[18:21], v[36:37], v[32:33], v[26:29]
	s_waitcnt vmcnt(1)
	v_cvt_pk_f32_fp8_sdwa v[32:33], v16 src0_sel:WORD_1
	s_nop 0
	v_cvt_pkrtz_f16_f32 v26, v34, v35
	v_cvt_pkrtz_f16_f32 v27, v38, v39
	v_mfma_f32_16x16x16_f16 v[18:21], v[30:31], v[42:43], v[18:21]
	v_cvt_pk_f32_fp8_e32 v[28:29], v14
	v_cvt_pk_f32_fp8_sdwa v[30:31], v14 src0_sel:WORD_1
	v_cvt_pkrtz_f16_f32 v28, v28, v29
	v_mfma_f32_16x16x16_f16 v[18:21], v[26:27], v[44:45], v[18:21]
	v_cvt_pk_f32_fp8_e32 v[26:27], v15
	v_cvt_pkrtz_f16_f32 v29, v30, v31
	v_cvt_pk_f32_fp8_sdwa v[14:15], v15 src0_sel:WORD_1
	v_cvt_pk_f32_fp8_e32 v[30:31], v16
	v_cvt_pkrtz_f16_f32 v26, v26, v27
	v_mfma_f32_16x16x16_f16 v[18:21], v[28:29], v[22:23], v[18:21]
	v_cvt_pkrtz_f16_f32 v27, v14, v15
	v_cvt_pkrtz_f16_f32 v22, v30, v31
	;; [unrolled: 1-line block ×3, first 2 shown]
	v_cvt_pk_f32_fp8_e32 v[28:29], v17
	v_cvt_pk_f32_fp8_sdwa v[30:31], v17 src0_sel:WORD_1
	v_mfma_f32_16x16x16_f16 v[14:17], v[26:27], v[24:25], v[18:21]
	s_waitcnt vmcnt(0)
	v_cvt_pk_f32_fp8_sdwa v[24:25], v6 src0_sel:WORD_1
	s_nop 0
	v_pk_mul_f32 v[18:19], v[4:5], s[6:7] op_sel_hi:[1,0]
	v_cvt_pkrtz_f16_f32 v4, v28, v29
	v_cvt_pkrtz_f16_f32 v5, v30, v31
	v_mfma_f32_16x16x16_f16 v[14:17], v[22:23], v[46:47], v[14:17]
	v_cvt_pk_f32_fp8_e32 v[22:23], v6
	v_pk_mul_f32 v[20:21], v[2:3], s[6:7] op_sel_hi:[1,0]
	v_mfma_f32_16x16x16_f16 v[2:5], v[4:5], v[48:49], v[14:17]
	s_nop 3
	v_cvt_pk_f32_fp8_e32 v[14:15], v7
	v_cvt_pkrtz_f16_f32 v16, v22, v23
	v_cvt_pkrtz_f16_f32 v17, v24, v25
	v_cvt_pk_f32_fp8_sdwa v[6:7], v7 src0_sel:WORD_1
	v_cvt_pkrtz_f16_f32 v14, v14, v15
	v_cvt_pk_f32_fp8_e32 v[22:23], v8
	v_cvt_pk_f32_fp8_sdwa v[24:25], v8 src0_sel:WORD_1
	v_cvt_pkrtz_f16_f32 v15, v6, v7
	v_mfma_f32_16x16x16_f16 v[2:5], v[16:17], v[10:11], v[2:5]
	v_cvt_pkrtz_f16_f32 v6, v22, v23
	v_cvt_pkrtz_f16_f32 v7, v24, v25
	v_cvt_pk_f32_fp8_e32 v[10:11], v9
	v_cvt_pk_f32_fp8_sdwa v[8:9], v9 src0_sel:WORD_1
	v_mfma_f32_16x16x16_f16 v[2:5], v[14:15], v[12:13], v[2:5]
	v_cvt_f16_f32_e32 v12, v20
	v_cvt_pkrtz_f16_f32 v10, v10, v11
	v_cvt_pkrtz_f16_f32 v11, v8, v9
	v_mfma_f32_16x16x16_f16 v[2:5], v[6:7], v[50:51], v[2:5]
	v_cvt_f16_f32_e32 v6, v21
	v_cvt_f16_f32_e32 v7, v18
	;; [unrolled: 1-line block ×3, first 2 shown]
	v_mfma_f32_16x16x16_f16 v[2:5], v[10:11], v[52:53], v[2:5]
	s_nop 6
	v_pk_mul_f32 v[4:5], v[4:5], s[6:7] op_sel_hi:[1,0]
	v_pk_mul_f32 v[2:3], v[2:3], s[6:7] op_sel_hi:[1,0]
	v_cvt_f16_f32_e32 v11, v4
	v_cvt_f16_f32_e32 v9, v2
	;; [unrolled: 1-line block ×4, first 2 shown]
	v_pack_b32_f16 v2, v12, v6
	v_pack_b32_f16 v3, v7, v8
	;; [unrolled: 1-line block ×4, first 2 shown]
	ds_write2st64_b64 v54, v[2:3], v[4:5] offset1:1
	s_waitcnt lgkmcnt(0)
	s_barrier
	s_and_saveexec_b64 s[6:7], vcc
	s_cbranch_execz .LBB992_18
; %bb.16:
	s_load_dwordx2 s[6:7], s[0:1], 0x68
	s_lshl_b32 s0, s8, 7
	s_mul_i32 s1, s9, s2
	v_lshlrev_b32_e32 v3, 6, v60
	s_mul_hi_u32 s9, s1, s0
	s_mul_i32 s8, s1, s0
	v_lshl_or_b32 v0, v0, 10, v3
	s_lshl_b64 s[8:9], s[8:9], 1
	v_lshlrev_b32_e32 v2, 5, v64
	v_and_b32_e32 v1, 16, v1
	v_and_b32_e32 v0, 0x1a00, v0
	s_waitcnt lgkmcnt(0)
	s_add_u32 s1, s6, s8
	v_or3_b32 v2, v0, v2, v1
	s_addc_u32 s6, s7, s9
	s_lshl_b32 s2, s24, 7
	s_lshl_b64 s[2:3], s[2:3], 1
	ds_read_b128 v[4:7], v2
	s_add_u32 s2, s1, s2
	s_addc_u32 s3, s6, s3
	v_mov_b32_e32 v59, 0
	v_add_u32_e32 v3, s48, v64
	v_lshl_add_u64 v[0:1], s[2:3], 0, v[58:59]
	v_mad_u64_u32 v[8:9], s[2:3], v3, s0, 0
	v_lshl_add_u64 v[8:9], v[8:9], 1, v[0:1]
	s_waitcnt lgkmcnt(0)
	global_store_dwordx4 v[8:9], v[4:7], off
	s_and_b64 exec, exec, s[4:5]
	s_cbranch_execz .LBB992_18
; %bb.17:
	ds_read_b128 v[2:5], v2 offset:128
	v_add3_u32 v6, s48, v64, 4
	v_mad_u64_u32 v[6:7], s[0:1], v6, s0, 0
	v_lshl_add_u64 v[0:1], v[6:7], 1, v[0:1]
	s_waitcnt lgkmcnt(0)
	global_store_dwordx4 v[0:1], v[2:5], off
.LBB992_18:
	s_endpgm
	.section	.rodata,"a",@progbits
	.p2align	6, 0x0
	.amdhsa_kernel _Z39paged_attention_ll4mi_QKV_mfma16_kernelIDF16_hLN4vllm18Fp8KVCacheDataTypeE1EDF16_Li16ELi128ELi256ELb0ELi5EEvPKT_PKT0_S7_ifPKiS9_S9_iPKfiiiPfSC_PS2_PT2_iSB_SB_
		.amdhsa_group_segment_fixed_size 8192
		.amdhsa_private_segment_fixed_size 0
		.amdhsa_kernarg_size 400
		.amdhsa_user_sgpr_count 2
		.amdhsa_user_sgpr_dispatch_ptr 0
		.amdhsa_user_sgpr_queue_ptr 0
		.amdhsa_user_sgpr_kernarg_segment_ptr 1
		.amdhsa_user_sgpr_dispatch_id 0
		.amdhsa_user_sgpr_kernarg_preload_length 0
		.amdhsa_user_sgpr_kernarg_preload_offset 0
		.amdhsa_user_sgpr_private_segment_size 0
		.amdhsa_uses_dynamic_stack 0
		.amdhsa_enable_private_segment 0
		.amdhsa_system_sgpr_workgroup_id_x 1
		.amdhsa_system_sgpr_workgroup_id_y 1
		.amdhsa_system_sgpr_workgroup_id_z 1
		.amdhsa_system_sgpr_workgroup_info 0
		.amdhsa_system_vgpr_workitem_id 0
		.amdhsa_next_free_vgpr 86
		.amdhsa_next_free_sgpr 50
		.amdhsa_accum_offset 88
		.amdhsa_reserve_vcc 1
		.amdhsa_float_round_mode_32 0
		.amdhsa_float_round_mode_16_64 0
		.amdhsa_float_denorm_mode_32 3
		.amdhsa_float_denorm_mode_16_64 3
		.amdhsa_dx10_clamp 1
		.amdhsa_ieee_mode 1
		.amdhsa_fp16_overflow 0
		.amdhsa_tg_split 0
		.amdhsa_exception_fp_ieee_invalid_op 0
		.amdhsa_exception_fp_denorm_src 0
		.amdhsa_exception_fp_ieee_div_zero 0
		.amdhsa_exception_fp_ieee_overflow 0
		.amdhsa_exception_fp_ieee_underflow 0
		.amdhsa_exception_fp_ieee_inexact 0
		.amdhsa_exception_int_div_zero 0
	.end_amdhsa_kernel
	.section	.text._Z39paged_attention_ll4mi_QKV_mfma16_kernelIDF16_hLN4vllm18Fp8KVCacheDataTypeE1EDF16_Li16ELi128ELi256ELb0ELi5EEvPKT_PKT0_S7_ifPKiS9_S9_iPKfiiiPfSC_PS2_PT2_iSB_SB_,"axG",@progbits,_Z39paged_attention_ll4mi_QKV_mfma16_kernelIDF16_hLN4vllm18Fp8KVCacheDataTypeE1EDF16_Li16ELi128ELi256ELb0ELi5EEvPKT_PKT0_S7_ifPKiS9_S9_iPKfiiiPfSC_PS2_PT2_iSB_SB_,comdat
.Lfunc_end992:
	.size	_Z39paged_attention_ll4mi_QKV_mfma16_kernelIDF16_hLN4vllm18Fp8KVCacheDataTypeE1EDF16_Li16ELi128ELi256ELb0ELi5EEvPKT_PKT0_S7_ifPKiS9_S9_iPKfiiiPfSC_PS2_PT2_iSB_SB_, .Lfunc_end992-_Z39paged_attention_ll4mi_QKV_mfma16_kernelIDF16_hLN4vllm18Fp8KVCacheDataTypeE1EDF16_Li16ELi128ELi256ELb0ELi5EEvPKT_PKT0_S7_ifPKiS9_S9_iPKfiiiPfSC_PS2_PT2_iSB_SB_
                                        ; -- End function
	.section	.AMDGPU.csdata,"",@progbits
; Kernel info:
; codeLenInByte = 6012
; NumSgprs: 56
; NumVgprs: 86
; NumAgprs: 0
; TotalNumVgprs: 86
; ScratchSize: 0
; MemoryBound: 0
; FloatMode: 240
; IeeeMode: 1
; LDSByteSize: 8192 bytes/workgroup (compile time only)
; SGPRBlocks: 6
; VGPRBlocks: 10
; NumSGPRsForWavesPerEU: 56
; NumVGPRsForWavesPerEU: 86
; AccumOffset: 88
; Occupancy: 5
; WaveLimiterHint : 1
; COMPUTE_PGM_RSRC2:SCRATCH_EN: 0
; COMPUTE_PGM_RSRC2:USER_SGPR: 2
; COMPUTE_PGM_RSRC2:TRAP_HANDLER: 0
; COMPUTE_PGM_RSRC2:TGID_X_EN: 1
; COMPUTE_PGM_RSRC2:TGID_Y_EN: 1
; COMPUTE_PGM_RSRC2:TGID_Z_EN: 1
; COMPUTE_PGM_RSRC2:TIDIG_COMP_CNT: 0
; COMPUTE_PGM_RSRC3_GFX90A:ACCUM_OFFSET: 21
; COMPUTE_PGM_RSRC3_GFX90A:TG_SPLIT: 0
	.section	.text._Z39paged_attention_ll4mi_QKV_mfma16_kernelIDF16_hLN4vllm18Fp8KVCacheDataTypeE1EDF16_Li16ELi128ELi256ELb0ELi6EEvPKT_PKT0_S7_ifPKiS9_S9_iPKfiiiPfSC_PS2_PT2_iSB_SB_,"axG",@progbits,_Z39paged_attention_ll4mi_QKV_mfma16_kernelIDF16_hLN4vllm18Fp8KVCacheDataTypeE1EDF16_Li16ELi128ELi256ELb0ELi6EEvPKT_PKT0_S7_ifPKiS9_S9_iPKfiiiPfSC_PS2_PT2_iSB_SB_,comdat
	.protected	_Z39paged_attention_ll4mi_QKV_mfma16_kernelIDF16_hLN4vllm18Fp8KVCacheDataTypeE1EDF16_Li16ELi128ELi256ELb0ELi6EEvPKT_PKT0_S7_ifPKiS9_S9_iPKfiiiPfSC_PS2_PT2_iSB_SB_ ; -- Begin function _Z39paged_attention_ll4mi_QKV_mfma16_kernelIDF16_hLN4vllm18Fp8KVCacheDataTypeE1EDF16_Li16ELi128ELi256ELb0ELi6EEvPKT_PKT0_S7_ifPKiS9_S9_iPKfiiiPfSC_PS2_PT2_iSB_SB_
	.globl	_Z39paged_attention_ll4mi_QKV_mfma16_kernelIDF16_hLN4vllm18Fp8KVCacheDataTypeE1EDF16_Li16ELi128ELi256ELb0ELi6EEvPKT_PKT0_S7_ifPKiS9_S9_iPKfiiiPfSC_PS2_PT2_iSB_SB_
	.p2align	8
	.type	_Z39paged_attention_ll4mi_QKV_mfma16_kernelIDF16_hLN4vllm18Fp8KVCacheDataTypeE1EDF16_Li16ELi128ELi256ELb0ELi6EEvPKT_PKT0_S7_ifPKiS9_S9_iPKfiiiPfSC_PS2_PT2_iSB_SB_,@function
_Z39paged_attention_ll4mi_QKV_mfma16_kernelIDF16_hLN4vllm18Fp8KVCacheDataTypeE1EDF16_Li16ELi128ELi256ELb0ELi6EEvPKT_PKT0_S7_ifPKiS9_S9_iPKfiiiPfSC_PS2_PT2_iSB_SB_: ; @_Z39paged_attention_ll4mi_QKV_mfma16_kernelIDF16_hLN4vllm18Fp8KVCacheDataTypeE1EDF16_Li16ELi128ELi256ELb0ELi6EEvPKT_PKT0_S7_ifPKiS9_S9_iPKfiiiPfSC_PS2_PT2_iSB_SB_
; %bb.0:
	s_load_dwordx2 s[12:13], s[0:1], 0x30
	s_mov_b32 s24, s3
	s_mov_b64 s[6:7], 0
	s_waitcnt lgkmcnt(0)
	s_cmp_lg_u64 s[12:13], 0
	s_cselect_b64 s[14:15], -1, 0
	s_and_b64 vcc, exec, s[14:15]
	s_cbranch_vccz .LBB993_7
; %bb.1:
	s_add_i32 s8, s2, 1
	s_mov_b32 s9, 0
	s_lshl_b64 s[10:11], s[8:9], 2
	s_add_u32 s10, s12, s10
	s_mov_b32 s3, s9
	s_addc_u32 s11, s13, s11
	s_lshl_b64 s[8:9], s[2:3], 2
	s_add_u32 s8, s12, s8
	s_addc_u32 s9, s13, s9
	s_load_dword s5, s[10:11], 0x0
	s_load_dword s16, s[8:9], 0x0
	s_waitcnt lgkmcnt(0)
	s_sub_i32 s5, s5, s16
	s_cmp_eq_u32 s5, 1
	s_cselect_b64 s[8:9], -1, 0
	s_andn2_b64 vcc, exec, s[6:7]
	s_cbranch_vccnz .LBB993_3
.LBB993_2:
	s_mov_b32 s3, 0
	s_mov_b64 s[8:9], -1
.LBB993_3:
	s_andn2_b64 vcc, exec, s[8:9]
	s_cbranch_vccnz .LBB993_18
; %bb.4:
	s_load_dwordx2 s[6:7], s[0:1], 0x28
	s_lshl_b64 s[16:17], s[2:3], 2
	s_waitcnt lgkmcnt(0)
	s_add_u32 s6, s6, s16
	s_addc_u32 s7, s7, s17
	s_load_dword s33, s[6:7], 0x0
	s_lshl_b32 s18, s24, 8
	s_waitcnt lgkmcnt(0)
	s_cmp_ge_i32 s18, s33
	s_cbranch_scc1 .LBB993_18
; %bb.5:
	s_load_dwordx2 s[6:7], s[0:1], 0x20
	s_load_dword s8, s[0:1], 0x38
	s_add_i32 s5, s33, 15
	s_ashr_i32 s9, s5, 31
	v_and_b32_e32 v1, 0xcf, v0
	s_lshr_b32 s9, s9, 28
	v_add_u32_e32 v1, s18, v1
	s_add_i32 s5, s5, s9
	v_ashrrev_i32_e32 v2, 31, v1
	s_ashr_i32 s5, s5, 4
	v_lshrrev_b32_e32 v10, 28, v2
	s_add_i32 s5, s5, -1
	s_waitcnt lgkmcnt(0)
	s_mul_i32 s8, s2, s8
	s_mov_b32 s9, 0
	v_add_u32_e32 v2, v1, v10
	s_lshl_b64 s[8:9], s[8:9], 2
	v_ashrrev_i32_e32 v2, 4, v2
	v_mov_b32_e32 v11, s5
	v_cmp_gt_i32_e32 vcc, s33, v1
	s_add_u32 s6, s6, s8
	s_addc_u32 s7, s7, s9
	v_cndmask_b32_e32 v2, v11, v2, vcc
	v_ashrrev_i32_e32 v3, 31, v2
	v_lshl_add_u64 v[4:5], v[2:3], 2, s[6:7]
	v_or_b32_e32 v2, 16, v1
	v_add_u32_e32 v3, v2, v10
	v_ashrrev_i32_e32 v3, 4, v3
	v_cmp_gt_i32_e32 vcc, s33, v2
	s_load_dwordx4 s[8:11], s[0:1], 0x8
	s_nop 0
	v_cndmask_b32_e32 v2, v11, v3, vcc
	v_ashrrev_i32_e32 v3, 31, v2
	v_lshl_add_u64 v[6:7], v[2:3], 2, s[6:7]
	v_or_b32_e32 v2, 32, v1
	v_add_u32_e32 v3, v2, v10
	v_ashrrev_i32_e32 v3, 4, v3
	v_cmp_gt_i32_e32 vcc, s33, v2
	v_or_b32_e32 v1, 48, v1
	s_nop 0
	v_cndmask_b32_e32 v2, v11, v3, vcc
	v_ashrrev_i32_e32 v3, 31, v2
	v_lshl_add_u64 v[8:9], v[2:3], 2, s[6:7]
	v_add_u32_e32 v2, v1, v10
	v_ashrrev_i32_e32 v2, 4, v2
	v_cmp_gt_i32_e32 vcc, s33, v1
	s_nop 1
	v_cndmask_b32_e32 v2, v11, v2, vcc
	v_ashrrev_i32_e32 v3, 31, v2
	v_lshl_add_u64 v[10:11], v[2:3], 2, s[6:7]
	global_load_dword v3, v[4:5], off
	global_load_dword v2, v[6:7], off
	;; [unrolled: 1-line block ×4, first 2 shown]
	s_andn2_b64 vcc, exec, s[14:15]
	s_cbranch_vccnz .LBB993_8
; %bb.6:
	s_add_u32 s12, s12, s16
	s_addc_u32 s13, s13, s17
	s_load_dword s14, s[12:13], 0x0
	s_branch .LBB993_9
.LBB993_7:
	s_mov_b64 s[8:9], 0
	s_branch .LBB993_2
.LBB993_8:
	s_mov_b32 s14, s2
.LBB993_9:
	s_load_dwordx4 s[44:47], s[0:1], 0x48
	v_lshrrev_b32_e32 v61, 6, v0
	v_bfe_u32 v64, v0, 4, 2
	v_and_b32_e32 v60, 15, v0
	v_lshl_or_b32 v4, v61, 2, v64
	v_lshlrev_b32_e32 v1, 3, v60
	v_and_b32_e32 v65, 63, v0
	s_mul_i32 s48, s4, 6
	v_cmp_gt_u32_e32 vcc, 6, v4
	v_lshlrev_b32_e32 v58, 1, v1
	v_lshlrev_b32_e32 v1, 4, v0
	s_and_saveexec_b64 s[12:13], vcc
	s_cbranch_execz .LBB993_11
; %bb.10:
	s_load_dwordx2 s[16:17], s[0:1], 0x0
	s_waitcnt lgkmcnt(0)
	s_ashr_i32 s15, s44, 31
	s_mul_hi_u32 s19, s14, s44
	s_mul_i32 s15, s14, s15
	s_add_i32 s15, s19, s15
	s_mul_i32 s14, s14, s44
	s_lshl_b64 s[14:15], s[14:15], 1
	s_add_u32 s14, s16, s14
	v_add_lshl_u32 v6, v4, s48, 7
	s_addc_u32 s15, s17, s15
	v_ashrrev_i32_e32 v7, 31, v6
	v_lshl_add_u64 v[6:7], v[6:7], 1, s[14:15]
	v_mov_b32_e32 v59, 0
	v_lshl_add_u64 v[6:7], v[6:7], 0, v[58:59]
	global_load_dwordx4 v[6:9], v[6:7], off
	v_lshlrev_b32_e32 v10, 8, v0
	v_lshlrev_b32_e32 v5, 8, v60
	v_and_b32_e32 v10, 0x600, v10
	s_movk_i32 s14, 0x800
	v_and_or_b32 v5, v5, s14, v10
	v_lshlrev_b32_e32 v4, 5, v4
	v_and_b32_e32 v10, 16, v1
	v_or3_b32 v4, v5, v4, v10
	s_waitcnt vmcnt(0)
	ds_write_b128 v4, v[6:9]
.LBB993_11:
	s_or_b64 exec, exec, s[12:13]
	s_waitcnt lgkmcnt(0)
	s_mul_i32 s4, s4, s46
	s_add_u32 s8, s8, s4
	s_addc_u32 s9, s9, 0
	v_and_b32_e32 v62, 0xf0, v1
	v_mov_b32_e32 v63, 0
	v_and_b32_e32 v16, 48, v0
	v_lshl_add_u64 v[6:7], s[8:9], 0, v[62:63]
	v_lshlrev_b32_e32 v62, 4, v16
	s_waitcnt vmcnt(3)
	v_mad_i64_i32 v[4:5], s[8:9], v3, s45, v[6:7]
	v_lshl_add_u64 v[4:5], v[4:5], 0, v[62:63]
	s_load_dword s25, s[0:1], 0x98
	s_load_dwordx4 s[40:43], s[0:1], 0x80
	s_waitcnt lgkmcnt(0)
	s_barrier
	global_load_dwordx4 v[22:25], v[4:5], off
	global_load_dwordx4 v[10:13], v[4:5], off offset:1024
	s_waitcnt vmcnt(4)
	v_mad_i64_i32 v[2:3], s[12:13], v2, s45, v[6:7]
	v_lshl_add_u64 v[8:9], v[2:3], 0, v[62:63]
	global_load_dwordx4 v[2:5], v[8:9], off
	v_mul_lo_u16_e32 v17, 43, v60
	v_mov_b32_e32 v18, 6
	v_or_b32_e32 v16, s18, v16
	v_mov_b32_e32 v20, s5
	v_mul_lo_u16_sdwa v17, v17, v18 dst_sel:DWORD dst_unused:UNUSED_PAD src0_sel:BYTE_1 src1_sel:DWORD
	v_ashrrev_i32_e32 v18, 4, v16
	v_or_b32_e32 v21, 64, v16
	v_cmp_gt_i32_e32 vcc, s33, v16
	v_mov_b32_e32 v19, 5
	v_sub_u16_e32 v17, v60, v17
	v_or_b32_e32 v26, 0x80, v16
	v_or_b32_e32 v27, 0xc0, v16
	v_cndmask_b32_e32 v40, v20, v18, vcc
	v_ashrrev_i32_e32 v16, 4, v21
	v_cmp_gt_i32_e32 vcc, s33, v21
	v_lshlrev_b32_sdwa v17, v19, v17 dst_sel:DWORD dst_unused:UNUSED_PAD src0_sel:DWORD src1_sel:BYTE_0
	v_ashrrev_i32_e32 v18, 4, v26
	v_cndmask_b32_e32 v44, v20, v16, vcc
	v_cmp_gt_i32_e32 vcc, s33, v26
	v_ashrrev_i32_e32 v19, 4, v27
	v_lshl_add_u32 v36, v64, 9, v17
	v_cndmask_b32_e32 v46, v20, v18, vcc
	v_cmp_gt_i32_e32 vcc, s33, v27
	s_waitcnt vmcnt(4)
	v_mad_i64_i32 v[34:35], s[12:13], v14, s45, v[6:7]
	v_cndmask_b32_e32 v38, v20, v19, vcc
	ds_read_b128 v[26:29], v36
	ds_read_b128 v[18:21], v36 offset:16
	global_load_dwordx4 v[30:33], v[8:9], off offset:1024
	s_waitcnt vmcnt(4)
	v_mad_i64_i32 v[42:43], s[12:13], v15, s45, v[6:7]
	v_ashrrev_i32_e32 v41, 31, v40
	ds_read_b128 v[14:17], v36 offset:2048
	ds_read_b128 v[6:9], v36 offset:2064
	v_lshl_add_u64 v[36:37], v[34:35], 0, v[62:63]
	v_lshl_add_u64 v[34:35], v[42:43], 0, v[62:63]
	v_ashrrev_i32_e32 v45, 31, v44
	v_ashrrev_i32_e32 v47, 31, v46
	;; [unrolled: 1-line block ×3, first 2 shown]
	v_lshl_add_u64 v[50:51], v[40:41], 2, s[6:7]
	v_lshl_add_u64 v[52:53], v[44:45], 2, s[6:7]
	;; [unrolled: 1-line block ×4, first 2 shown]
	global_load_dwordx4 v[46:49], v[36:37], off
	global_load_dwordx4 v[42:45], v[36:37], off offset:1024
	global_load_dwordx4 v[38:41], v[34:35], off
	s_nop 0
	global_load_dwordx4 v[34:37], v[34:35], off offset:1024
	s_nop 0
	global_load_dword v69, v[50:51], off
	global_load_dword v68, v[52:53], off
	;; [unrolled: 1-line block ×4, first 2 shown]
	s_add_u32 s4, s10, s4
	v_lshl_or_b32 v59, v61, 4, v60
	s_addc_u32 s5, s11, 0
	v_lshlrev_b32_e32 v62, 4, v59
	s_load_dword s8, s[0:1], 0x1c
	s_waitcnt vmcnt(11)
	v_cvt_pk_f32_fp8_e32 v[50:51], v22
	v_cvt_pk_f32_fp8_sdwa v[52:53], v22 src0_sel:WORD_1
	v_cvt_pk_f32_fp8_e32 v[54:55], v23
	v_cvt_pk_f32_fp8_sdwa v[22:23], v23 src0_sel:WORD_1
	s_waitcnt vmcnt(10)
	v_cvt_pk_f32_fp8_e32 v[76:77], v10
	v_cvt_pk_f32_fp8_sdwa v[78:79], v10 src0_sel:WORD_1
	v_cvt_pk_f32_fp8_e32 v[80:81], v11
	v_cvt_pk_f32_fp8_sdwa v[82:83], v11 src0_sel:WORD_1
	v_cvt_pkrtz_f16_f32 v10, v50, v51
	v_cvt_pkrtz_f16_f32 v11, v52, v53
	v_cvt_pk_f32_fp8_e32 v[56:57], v24
	v_cvt_pk_f32_fp8_sdwa v[70:71], v24 src0_sel:WORD_1
	v_cvt_pkrtz_f16_f32 v54, v54, v55
	v_cvt_pkrtz_f16_f32 v55, v22, v23
	v_cvt_pk_f32_fp8_e32 v[72:73], v25
	v_cvt_pk_f32_fp8_sdwa v[74:75], v25 src0_sel:WORD_1
	s_waitcnt lgkmcnt(0)
	v_mfma_f32_16x16x16_f16 v[22:25], v[10:11], v[26:27], 0
	v_cvt_pkrtz_f16_f32 v10, v56, v57
	v_cvt_pkrtz_f16_f32 v11, v70, v71
	;; [unrolled: 1-line block ×3, first 2 shown]
	v_mfma_f32_16x16x16_f16 v[22:25], v[54:55], v[28:29], v[22:25]
	v_cvt_pkrtz_f16_f32 v57, v74, v75
	v_cvt_pk_f32_fp8_e32 v[50:51], v12
	v_cvt_pk_f32_fp8_sdwa v[52:53], v12 src0_sel:WORD_1
	v_cvt_pk_f32_fp8_e32 v[84:85], v13
	v_cvt_pk_f32_fp8_sdwa v[54:55], v13 src0_sel:WORD_1
	v_mfma_f32_16x16x16_f16 v[10:13], v[10:11], v[18:19], v[22:25]
	v_cvt_pkrtz_f16_f32 v70, v80, v81
	v_cvt_pkrtz_f16_f32 v71, v82, v83
	v_cvt_pkrtz_f16_f32 v50, v50, v51
	v_cvt_pkrtz_f16_f32 v24, v76, v77
	v_cvt_pkrtz_f16_f32 v25, v78, v79
	v_mfma_f32_16x16x16_f16 v[10:13], v[56:57], v[20:21], v[10:13]
	s_waitcnt vmcnt(9)
	v_cvt_pk_f32_fp8_e32 v[22:23], v2
	v_cvt_pk_f32_fp8_sdwa v[56:57], v2 src0_sel:WORD_1
	v_cvt_pkrtz_f16_f32 v51, v52, v53
	v_mfma_f32_16x16x16_f16 v[10:13], v[24:25], v[14:15], v[10:13]
	v_cvt_pk_f32_fp8_e32 v[24:25], v3
	v_cvt_pk_f32_fp8_sdwa v[2:3], v3 src0_sel:WORD_1
	v_cvt_pkrtz_f16_f32 v52, v84, v85
	v_mfma_f32_16x16x16_f16 v[10:13], v[70:71], v[16:17], v[10:13]
	v_cvt_pkrtz_f16_f32 v53, v54, v55
	v_cvt_pkrtz_f16_f32 v22, v22, v23
	;; [unrolled: 1-line block ×3, first 2 shown]
	v_mfma_f32_16x16x16_f16 v[10:13], v[50:51], v[6:7], v[10:13]
	v_cvt_pk_f32_fp8_e32 v[54:55], v4
	v_cvt_pk_f32_fp8_sdwa v[56:57], v4 src0_sel:WORD_1
	v_cvt_pkrtz_f16_f32 v24, v24, v25
	v_cvt_pkrtz_f16_f32 v25, v2, v3
	v_mfma_f32_16x16x16_f16 v[50:53], v[52:53], v[8:9], v[10:13]
	s_waitcnt vmcnt(7)
	v_cvt_pk_f32_fp8_e32 v[72:73], v49
	v_lshl_add_u64 v[70:71], s[4:5], 0, v[62:63]
	s_waitcnt vmcnt(6)
	v_cvt_pk_f32_fp8_sdwa v[76:77], v44 src0_sel:WORD_1
	v_mfma_f32_16x16x16_f16 v[10:13], v[22:23], v[26:27], 0
	v_cvt_pkrtz_f16_f32 v22, v54, v55
	v_cvt_pkrtz_f16_f32 v23, v56, v57
	v_cvt_pk_f32_fp8_e32 v[54:55], v5
	v_cvt_pk_f32_fp8_sdwa v[56:57], v5 src0_sel:WORD_1
	v_mfma_f32_16x16x16_f16 v[2:5], v[24:25], v[28:29], v[10:13]
	v_cvt_pk_f32_fp8_e32 v[24:25], v32
	v_or_b32_e32 v62, 0x400, v62
	s_nop 0
	v_cvt_pkrtz_f16_f32 v10, v54, v55
	v_cvt_pkrtz_f16_f32 v11, v56, v57
	v_mfma_f32_16x16x16_f16 v[2:5], v[22:23], v[18:19], v[2:5]
	v_cvt_pk_f32_fp8_e32 v[12:13], v30
	v_cvt_pk_f32_fp8_sdwa v[22:23], v30 src0_sel:WORD_1
	v_cvt_pkrtz_f16_f32 v12, v12, v13
	v_mfma_f32_16x16x16_f16 v[2:5], v[10:11], v[20:21], v[2:5]
	v_cvt_pk_f32_fp8_e32 v[10:11], v31
	v_cvt_pkrtz_f16_f32 v13, v22, v23
	v_cvt_pk_f32_fp8_sdwa v[22:23], v31 src0_sel:WORD_1
	v_cvt_pk_f32_fp8_sdwa v[30:31], v32 src0_sel:WORD_1
	v_cvt_pkrtz_f16_f32 v10, v10, v11
	v_mfma_f32_16x16x16_f16 v[2:5], v[12:13], v[14:15], v[2:5]
	v_cvt_pkrtz_f16_f32 v11, v22, v23
	v_cvt_pkrtz_f16_f32 v12, v24, v25
	;; [unrolled: 1-line block ×3, first 2 shown]
	v_cvt_pk_f32_fp8_e32 v[22:23], v33
	v_cvt_pk_f32_fp8_sdwa v[24:25], v33 src0_sel:WORD_1
	v_mfma_f32_16x16x16_f16 v[2:5], v[10:11], v[16:17], v[2:5]
	v_cvt_pkrtz_f16_f32 v10, v22, v23
	v_cvt_pkrtz_f16_f32 v11, v24, v25
	v_mfma_f32_16x16x16_f16 v[2:5], v[12:13], v[6:7], v[2:5]
	v_cvt_pk_f32_fp8_e32 v[12:13], v46
	v_cvt_pk_f32_fp8_sdwa v[22:23], v46 src0_sel:WORD_1
	v_cvt_pk_f32_fp8_sdwa v[24:25], v48 src0_sel:WORD_1
	v_mfma_f32_16x16x16_f16 v[54:57], v[10:11], v[8:9], v[2:5]
	v_cvt_pk_f32_fp8_sdwa v[10:11], v47 src0_sel:WORD_1
	s_nop 1
	v_cvt_pkrtz_f16_f32 v2, v12, v13
	v_cvt_pkrtz_f16_f32 v3, v22, v23
	v_cvt_pk_f32_fp8_e32 v[4:5], v47
	v_cvt_pkrtz_f16_f32 v23, v10, v11
	v_cvt_pk_f32_fp8_e32 v[10:11], v48
	v_cvt_pk_f32_fp8_sdwa v[48:49], v49 src0_sel:WORD_1
	v_cvt_pkrtz_f16_f32 v22, v4, v5
	v_mfma_f32_16x16x16_f16 v[2:5], v[2:3], v[26:27], 0
	v_cvt_pkrtz_f16_f32 v10, v10, v11
	v_cvt_pkrtz_f16_f32 v11, v24, v25
	s_waitcnt vmcnt(3)
	v_mad_i64_i32 v[12:13], s[6:7], v69, s45, v[70:71]
	v_mfma_f32_16x16x16_f16 v[2:5], v[22:23], v[28:29], v[2:5]
	s_waitcnt vmcnt(2)
	v_mad_i64_i32 v[46:47], s[6:7], v68, s45, v[70:71]
	global_load_dwordx4 v[30:33], v[12:13], off
	global_load_dwordx4 v[22:25], v[46:47], off
	v_cvt_pkrtz_f16_f32 v12, v72, v73
	v_cvt_pkrtz_f16_f32 v13, v48, v49
	v_mfma_f32_16x16x16_f16 v[2:5], v[10:11], v[18:19], v[2:5]
	v_cvt_pk_f32_fp8_e32 v[10:11], v42
	v_cvt_pk_f32_fp8_sdwa v[46:47], v42 src0_sel:WORD_1
	s_waitcnt vmcnt(3)
	v_mad_i64_i32 v[72:73], s[6:7], v67, s45, v[70:71]
	v_mfma_f32_16x16x16_f16 v[2:5], v[12:13], v[20:21], v[2:5]
	v_cvt_pkrtz_f16_f32 v10, v10, v11
	v_cvt_pkrtz_f16_f32 v11, v46, v47
	v_cvt_pk_f32_fp8_e32 v[12:13], v43
	v_cvt_pk_f32_fp8_sdwa v[42:43], v43 src0_sel:WORD_1
	v_mfma_f32_16x16x16_f16 v[46:49], v[10:11], v[14:15], v[2:5]
	v_cvt_pkrtz_f16_f32 v74, v12, v13
	v_cvt_pkrtz_f16_f32 v75, v42, v43
	v_cvt_pk_f32_fp8_e32 v[42:43], v44
	s_waitcnt vmcnt(2)
	v_mad_i64_i32 v[70:71], s[6:7], v66, s45, v[70:71]
	global_load_dwordx4 v[10:13], v[72:73], off
	global_load_dwordx4 v[2:5], v[70:71], off
	v_cvt_pkrtz_f16_f32 v70, v42, v43
	v_cvt_pkrtz_f16_f32 v71, v76, v77
	v_cvt_pk_f32_fp8_e32 v[72:73], v45
	v_cvt_pk_f32_fp8_sdwa v[76:77], v45 src0_sel:WORD_1
	v_mfma_f32_16x16x16_f16 v[44:47], v[74:75], v[16:17], v[46:49]
	v_lshl_add_u64 v[42:43], s[4:5], 0, v[62:63]
	v_cvt_pk_f32_fp8_e32 v[62:63], v38
	v_cvt_pk_f32_fp8_sdwa v[74:75], v38 src0_sel:WORD_1
	v_cvt_pkrtz_f16_f32 v48, v72, v73
	v_cvt_pkrtz_f16_f32 v49, v76, v77
	v_mfma_f32_16x16x16_f16 v[44:47], v[70:71], v[6:7], v[44:47]
	s_load_dword s4, s[40:41], 0x0
	s_mov_b32 s40, 0xff7fffff
	v_mfma_f32_16x16x16_f16 v[70:73], v[48:49], v[8:9], v[44:47]
	s_nop 3
	v_cvt_pk_f32_fp8_e32 v[44:45], v39
	v_cvt_pkrtz_f16_f32 v46, v62, v63
	v_cvt_pkrtz_f16_f32 v47, v74, v75
	v_cvt_pk_f32_fp8_sdwa v[38:39], v39 src0_sel:WORD_1
	v_cvt_pkrtz_f16_f32 v48, v44, v45
	v_cvt_pk_f32_fp8_e32 v[62:63], v40
	v_cvt_pk_f32_fp8_sdwa v[74:75], v40 src0_sel:WORD_1
	v_cvt_pkrtz_f16_f32 v49, v38, v39
	v_mfma_f32_16x16x16_f16 v[44:47], v[46:47], v[26:27], 0
	v_cvt_pkrtz_f16_f32 v38, v62, v63
	v_cvt_pkrtz_f16_f32 v39, v74, v75
	v_cvt_pk_f32_fp8_e32 v[62:63], v41
	v_cvt_pk_f32_fp8_sdwa v[74:75], v41 src0_sel:WORD_1
	v_mov_b32_e32 v26, s8
	s_waitcnt lgkmcnt(0)
	v_mul_f32_e32 v76, s4, v26
	v_mfma_f32_16x16x16_f16 v[26:29], v[48:49], v[28:29], v[44:47]
	v_cvt_pk_f32_fp8_sdwa v[48:49], v37 src0_sel:WORD_1
	v_pk_mul_f32 v[40:41], v[76:77], v[52:53] op_sel_hi:[0,1]
	v_pk_mul_f32 v[52:53], v[76:77], v[54:55] op_sel_hi:[0,1]
	v_cvt_pkrtz_f16_f32 v46, v62, v63
	v_cvt_pkrtz_f16_f32 v47, v74, v75
	v_mfma_f32_16x16x16_f16 v[26:29], v[38:39], v[18:19], v[26:29]
	v_cvt_pk_f32_fp8_e32 v[18:19], v34
	v_cvt_pk_f32_fp8_sdwa v[38:39], v34 src0_sel:WORD_1
	v_pk_mul_f32 v[44:45], v[76:77], v[50:51] op_sel_hi:[0,1]
	v_mfma_f32_16x16x16_f16 v[26:29], v[46:47], v[20:21], v[26:29]
	v_cvt_pkrtz_f16_f32 v20, v18, v19
	v_cvt_pkrtz_f16_f32 v21, v38, v39
	v_cvt_pk_f32_fp8_e32 v[38:39], v35
	v_cvt_pk_f32_fp8_sdwa v[34:35], v35 src0_sel:WORD_1
	v_mfma_f32_16x16x16_f16 v[26:29], v[20:21], v[14:15], v[26:29]
	v_cvt_pkrtz_f16_f32 v38, v38, v39
	v_cvt_pkrtz_f16_f32 v39, v34, v35
	v_cvt_pk_f32_fp8_e32 v[14:15], v36
	v_cvt_pk_f32_fp8_sdwa v[20:21], v36 src0_sel:WORD_1
	v_pk_mul_f32 v[50:51], v[76:77], v[70:71] op_sel_hi:[0,1]
	v_mad_i64_i32 v[18:19], s[4:5], v69, s45, v[42:43]
	v_cvt_pkrtz_f16_f32 v46, v14, v15
	v_cvt_pkrtz_f16_f32 v47, v20, v21
	v_cvt_pk_f32_fp8_e32 v[20:21], v37
	v_mfma_f32_16x16x16_f16 v[14:17], v[38:39], v[16:17], v[26:29]
	v_pk_mul_f32 v[36:37], v[76:77], v[56:57] op_sel_hi:[0,1]
	v_mad_i64_i32 v[34:35], s[4:5], v68, s45, v[42:43]
	v_cvt_pkrtz_f16_f32 v20, v20, v21
	v_cvt_pkrtz_f16_f32 v21, v48, v49
	v_mfma_f32_16x16x16_f16 v[14:17], v[46:47], v[6:7], v[14:17]
	v_pk_mul_f32 v[46:47], v[76:77], v[72:73] op_sel_hi:[0,1]
	v_mfma_f32_16x16x16_f16 v[6:9], v[20:21], v[8:9], v[14:17]
	global_load_dwordx4 v[26:29], v[18:19], off
	s_nop 0
	global_load_dwordx4 v[18:21], v[34:35], off
	s_nop 3
	v_pk_mul_f32 v[48:49], v[76:77], v[6:7] op_sel_hi:[0,1]
	v_and_b32_e32 v6, 0xc0, v0
	v_add_u32_e32 v6, s18, v6
	v_lshl_or_b32 v6, v64, 2, v6
	v_pk_mul_f32 v[38:39], v[76:77], v[8:9] op_sel_hi:[0,1]
	v_or_b32_e32 v9, 1, v6
	v_mov_b32_e32 v7, 0xff7fffff
	v_cmp_gt_i32_e64 s[26:27], s33, v6
	v_cmp_gt_i32_e64 s[28:29], s33, v9
	v_or_b32_e32 v14, 3, v6
	v_cndmask_b32_e64 v8, v7, v44, s[26:27]
	v_cndmask_b32_e64 v9, v7, v45, s[28:29]
	v_max3_f32 v8, v8, s40, v9
	v_or_b32_e32 v9, 2, v6
	v_cmp_gt_i32_e64 s[30:31], s33, v9
	v_cmp_gt_i32_e64 s[34:35], s33, v14
	s_nop 0
	v_cndmask_b32_e64 v9, v7, v40, s[30:31]
	v_cndmask_b32_e64 v14, v7, v41, s[34:35]
	v_max3_f32 v8, v8, v9, v14
	v_or_b32_e32 v9, 16, v6
	v_or_b32_e32 v14, 17, v6
	v_cmp_gt_i32_e64 s[18:19], s33, v9
	v_cmp_gt_i32_e64 s[20:21], s33, v14
	s_nop 0
	v_cndmask_b32_e64 v9, v7, v52, s[18:19]
	v_cndmask_b32_e64 v14, v7, v53, s[20:21]
	v_max3_f32 v8, v8, v9, v14
	v_or_b32_e32 v9, 18, v6
	;; [unrolled: 8-line block ×5, first 2 shown]
	v_or_b32_e32 v14, 49, v6
	v_cmp_gt_i32_e32 vcc, s33, v9
	v_cmp_gt_i32_e64 s[4:5], s33, v14
	s_nop 0
	v_cndmask_b32_e32 v9, v7, v48, vcc
	v_cndmask_b32_e64 v14, v7, v49, s[4:5]
	v_max3_f32 v8, v8, v9, v14
	v_or_b32_e32 v9, 50, v6
	v_or_b32_e32 v6, 51, v6
	v_cmp_gt_i32_e64 s[6:7], s33, v9
	v_cmp_gt_i32_e64 s[8:9], s33, v6
	s_nop 0
	v_cndmask_b32_e64 v9, v7, v38, s[6:7]
	v_cndmask_b32_e64 v6, v7, v39, s[8:9]
	v_max3_f32 v8, v8, v9, v6
	v_mbcnt_lo_u32_b32 v6, -1, 0
	v_mbcnt_hi_u32_b32 v9, -1, v6
	v_and_b32_e32 v6, 64, v9
	v_add_u32_e32 v14, 64, v6
	v_xor_b32_e32 v6, 32, v9
	v_cmp_lt_i32_e64 s[38:39], v6, v14
	s_nop 1
	v_cndmask_b32_e64 v6, v9, v6, s[38:39]
	v_lshlrev_b32_e32 v55, 2, v6
	ds_bpermute_b32 v15, v55, v8
	v_mad_i64_i32 v[6:7], s[38:39], v67, s45, v[42:43]
	s_waitcnt lgkmcnt(0)
	v_max_f32_e32 v15, v15, v15
	v_max_f32_e32 v34, v8, v15
	v_xor_b32_e32 v8, 16, v9
	v_cmp_lt_i32_e64 s[38:39], v8, v14
	s_nop 1
	v_cndmask_b32_e64 v8, v9, v8, s[38:39]
	v_lshlrev_b32_e32 v56, 2, v8
	v_mad_i64_i32 v[8:9], s[38:39], v66, s45, v[42:43]
	global_load_dwordx4 v[14:17], v[6:7], off
	s_nop 0
	global_load_dwordx4 v[6:9], v[8:9], off
	ds_bpermute_b32 v35, v56, v34
	s_waitcnt lgkmcnt(0)
	s_barrier
	v_max_f32_e32 v35, v35, v35
	v_max_f32_e32 v54, v34, v35
	v_sub_f32_e32 v42, v52, v54
	v_mul_f32_e32 v42, 0x3fb8aa3b, v42
	v_exp_f32_e32 v42, v42
	v_sub_f32_e32 v36, v36, v54
	v_sub_f32_e32 v34, v44, v54
	v_mul_f32_e32 v36, 0x3fb8aa3b, v36
	v_mul_f32_e32 v34, 0x3fb8aa3b, v34
	v_sub_f32_e32 v35, v45, v54
	v_sub_f32_e32 v43, v53, v54
	v_exp_f32_e32 v44, v36
	v_sub_f32_e32 v36, v37, v54
	v_sub_f32_e32 v48, v48, v54
	;; [unrolled: 1-line block ×3, first 2 shown]
	v_exp_f32_e32 v34, v34
	v_mul_f32_e32 v35, 0x3fb8aa3b, v35
	v_sub_f32_e32 v40, v40, v54
	v_mul_f32_e32 v43, 0x3fb8aa3b, v43
	v_mul_f32_e32 v36, 0x3fb8aa3b, v36
	;; [unrolled: 1-line block ×4, first 2 shown]
	v_exp_f32_e32 v35, v35
	v_mul_f32_e32 v40, 0x3fb8aa3b, v40
	v_sub_f32_e32 v41, v41, v54
	v_exp_f32_e32 v43, v43
	v_exp_f32_e32 v45, v36
	v_cndmask_b32_e64 v36, 0, v42, s[18:19]
	v_sub_f32_e32 v42, v50, v54
	v_exp_f32_e32 v48, v48
	v_exp_f32_e32 v50, v38
	;; [unrolled: 1-line block ×3, first 2 shown]
	v_mul_f32_e32 v41, 0x3fb8aa3b, v41
	v_exp_f32_e32 v41, v41
	v_sub_f32_e32 v38, v39, v54
	v_cndmask_b32_e64 v34, 0, v34, s[26:27]
	v_mul_f32_e32 v38, 0x3fb8aa3b, v38
	v_cndmask_b32_e64 v35, 0, v35, s[28:29]
	v_cndmask_b32_e64 v37, 0, v43, s[20:21]
	v_sub_f32_e32 v43, v51, v54
	v_exp_f32_e32 v51, v38
	v_cndmask_b32_e32 v38, 0, v48, vcc
	v_cndmask_b32_e64 v48, 0, v50, s[6:7]
	v_add_f32_e32 v50, 0, v34
	v_cndmask_b32_e64 v40, 0, v40, s[30:31]
	v_add_f32_e32 v50, v50, v35
	v_cndmask_b32_e64 v41, 0, v41, s[34:35]
	v_mul_f32_e32 v42, 0x3fb8aa3b, v42
	v_add_f32_e32 v50, v50, v40
	v_exp_f32_e32 v42, v42
	v_mul_f32_e32 v43, 0x3fb8aa3b, v43
	v_sub_f32_e32 v46, v46, v54
	v_add_f32_e32 v50, v50, v41
	v_exp_f32_e32 v43, v43
	v_mul_f32_e32 v46, 0x3fb8aa3b, v46
	v_sub_f32_e32 v47, v47, v54
	v_add_f32_e32 v50, v50, v36
	v_cndmask_b32_e64 v44, 0, v44, s[22:23]
	v_exp_f32_e32 v46, v46
	v_mul_f32_e32 v47, 0x3fb8aa3b, v47
	v_add_f32_e32 v50, v50, v37
	v_cndmask_b32_e64 v45, 0, v45, s[36:37]
	v_exp_f32_e32 v47, v47
	v_sub_f32_e32 v49, v49, v54
	v_add_f32_e32 v50, v50, v44
	v_cndmask_b32_e64 v42, 0, v42, s[10:11]
	v_mul_f32_e32 v49, 0x3fb8aa3b, v49
	v_add_f32_e32 v50, v50, v45
	v_cndmask_b32_e64 v43, 0, v43, s[12:13]
	v_exp_f32_e32 v49, v49
	v_add_f32_e32 v50, v50, v42
	v_cndmask_b32_e64 v46, 0, v46, s[14:15]
	v_add_f32_e32 v50, v50, v43
	v_cndmask_b32_e64 v47, 0, v47, s[16:17]
	v_add_f32_e32 v50, v50, v46
	v_add_f32_e32 v50, v50, v47
	v_cndmask_b32_e64 v39, 0, v49, s[4:5]
	v_add_f32_e32 v50, v50, v38
	;; [unrolled: 3-line block ×3, first 2 shown]
	v_add_f32_e32 v50, v50, v49
	ds_bpermute_b32 v51, v55, v50
	v_cmp_gt_u32_e32 vcc, 16, v65
	s_waitcnt lgkmcnt(0)
	v_add_f32_e32 v50, v50, v51
	ds_bpermute_b32 v51, v56, v50
	s_and_saveexec_b64 s[4:5], vcc
	s_cbranch_execz .LBB993_13
; %bb.12:
	s_waitcnt lgkmcnt(0)
	v_add_f32_e32 v50, v50, v51
	v_lshlrev_b32_e32 v51, 2, v59
	ds_write2st64_b32 v51, v54, v50 offset1:1
.LBB993_13:
	s_or_b64 exec, exec, s[4:5]
	s_waitcnt lgkmcnt(0)
	v_lshlrev_b32_e32 v51, 2, v60
	s_load_dword s6, s[0:1], 0x94
	s_waitcnt lgkmcnt(0)
	s_barrier
	ds_read2_b32 v[52:53], v51 offset1:16
	ds_read2_b32 v[54:55], v51 offset0:32 offset1:48
	ds_read2_b32 v[56:57], v51 offset0:64 offset1:80
	s_mul_i32 s7, s25, 6
	s_waitcnt lgkmcnt(2)
	v_max3_f32 v50, v52, s40, v53
	s_waitcnt lgkmcnt(1)
	v_max3_f32 v50, v50, v54, v55
	v_sub_f32_e32 v52, v52, v50
	v_mul_f32_e32 v52, 0x3fb8aa3b, v52
	v_exp_f32_e32 v59, v52
	v_sub_f32_e32 v52, v53, v50
	v_mul_f32_e32 v52, 0x3fb8aa3b, v52
	v_exp_f32_e32 v62, v52
	;; [unrolled: 3-line block ×3, first 2 shown]
	ds_read2_b32 v[52:53], v51 offset0:96 offset1:112
	v_sub_f32_e32 v51, v55, v50
	v_mul_f32_e32 v51, 0x3fb8aa3b, v51
	v_exp_f32_e32 v55, v51
	s_waitcnt lgkmcnt(1)
	v_fma_f32 v51, v59, v56, 0
	v_fmac_f32_e32 v51, v62, v57
	s_waitcnt lgkmcnt(0)
	v_fmac_f32_e32 v51, v54, v52
	v_fmac_f32_e32 v51, v55, v53
	v_add_f32_e32 v52, 0x358637bd, v51
	v_div_scale_f32 v53, s[4:5], v52, v52, 1.0
	v_rcp_f32_e32 v56, v53
	s_barrier
	v_fma_f32 v57, -v53, v56, 1.0
	v_fmac_f32_e32 v56, v57, v56
	v_div_scale_f32 v57, vcc, 1.0, v52, 1.0
	v_mul_f32_e32 v63, v57, v56
	v_fma_f32 v65, -v53, v63, v57
	v_fmac_f32_e32 v63, v65, v56
	v_fma_f32 v53, -v53, v63, v57
	v_div_fmas_f32 v53, v53, v56, v63
	v_cmp_eq_u32_e32 vcc, 1, v61
	v_div_fixup_f32 v52, v53, v52, 1.0
	s_nop 0
	v_cndmask_b32_e32 v53, v59, v62, vcc
	v_cmp_eq_u32_e32 vcc, 2, v61
	s_nop 1
	v_cndmask_b32_e32 v53, v53, v54, vcc
	v_cmp_eq_u32_e32 vcc, 3, v61
	s_nop 1
	v_cndmask_b32_e32 v53, v53, v55, vcc
	v_mul_f32_e32 v52, v53, v52
	v_pk_mul_f32 v[40:41], v[52:53], v[40:41] op_sel_hi:[0,1]
	v_pk_mul_f32 v[34:35], v[52:53], v[34:35] op_sel_hi:[0,1]
	v_cvt_f16_f32_e32 v53, v40
	v_cvt_f16_f32_e32 v34, v34
	;; [unrolled: 1-line block ×4, first 2 shown]
	v_pk_mul_f32 v[44:45], v[52:53], v[44:45] op_sel_hi:[0,1]
	v_pk_mul_f32 v[36:37], v[52:53], v[36:37] op_sel_hi:[0,1]
	v_cvt_f16_f32_e32 v36, v36
	v_cvt_f16_f32_e32 v37, v37
	;; [unrolled: 1-line block ×4, first 2 shown]
	v_pack_b32_f16 v40, v34, v35
	v_pack_b32_f16 v41, v53, v41
	v_lshlrev_b32_e32 v35, 3, v64
	v_lshlrev_b32_e32 v34, 5, v60
	;; [unrolled: 1-line block ×3, first 2 shown]
	v_or3_b32 v54, v53, v34, v35
	v_pack_b32_f16 v36, v36, v37
	v_pack_b32_f16 v37, v44, v45
	ds_write2st64_b64 v54, v[40:41], v[36:37] offset1:1
	v_pk_mul_f32 v[36:37], v[52:53], v[46:47] op_sel_hi:[0,1]
	v_pk_mul_f32 v[40:41], v[52:53], v[42:43] op_sel_hi:[0,1]
	v_cvt_f16_f32_e32 v35, v40
	v_cvt_f16_f32_e32 v40, v41
	;; [unrolled: 1-line block ×4, first 2 shown]
	v_pk_mul_f32 v[36:37], v[52:53], v[48:49] op_sel_hi:[0,1]
	v_pk_mul_f32 v[38:39], v[52:53], v[38:39] op_sel_hi:[0,1]
	v_cvt_f16_f32_e32 v38, v38
	v_cvt_f16_f32_e32 v39, v39
	;; [unrolled: 1-line block ×4, first 2 shown]
	v_pack_b32_f16 v36, v35, v40
	v_pack_b32_f16 v37, v41, v42
	;; [unrolled: 1-line block ×4, first 2 shown]
	v_cmp_gt_u32_e32 vcc, 6, v0
	ds_write2st64_b64 v54, v[36:37], v[38:39] offset0:2 offset1:3
	s_and_saveexec_b64 s[4:5], vcc
	s_cbranch_execz .LBB993_15
; %bb.14:
	s_mov_b32 s49, 0
	v_mov_b32_e32 v61, 0
	v_lshl_add_u64 v[36:37], s[48:49], 0, v[60:61]
	v_mov_b32_e32 v35, s7
	v_mad_u64_u32 v[36:37], s[12:13], s2, v35, v[36:37]
	s_mul_i32 s3, s3, s7
	v_mov_b32_e32 v38, s24
	v_mov_b32_e32 v39, v61
	s_load_dwordx4 s[8:11], s[0:1], 0x58
	v_add_u32_e32 v35, s3, v37
	v_mad_u64_u32 v[36:37], s[12:13], v36, s6, v[38:39]
	v_mov_b32_e32 v38, v37
	v_mad_u64_u32 v[38:39], s[12:13], v35, s6, v[38:39]
	v_mov_b32_e32 v37, v38
	v_lshlrev_b64 v[36:37], 2, v[36:37]
	s_waitcnt lgkmcnt(0)
	v_lshl_add_u64 v[38:39], s[10:11], 0, v[36:37]
	v_lshl_add_u64 v[36:37], s[8:9], 0, v[36:37]
	global_store_dword v[38:39], v50, off
	global_store_dword v[36:37], v51, off
.LBB993_15:
	s_or_b64 exec, exec, s[4:5]
	s_waitcnt vmcnt(7)
	v_cvt_pk_f32_fp8_e32 v[36:37], v30
	v_lshl_or_b32 v50, v64, 9, v34
	v_cvt_pk_f32_fp8_sdwa v[34:35], v30 src0_sel:WORD_1
	s_waitcnt lgkmcnt(0)
	s_barrier
	v_cvt_pk_f32_fp8_e32 v[38:39], v31
	v_cvt_pkrtz_f16_f32 v30, v36, v37
	v_cvt_pk_f32_fp8_sdwa v[40:41], v31 src0_sel:WORD_1
	v_cvt_pkrtz_f16_f32 v31, v34, v35
	ds_read_b128 v[34:37], v50
	v_cvt_pkrtz_f16_f32 v46, v38, v39
	v_cvt_pkrtz_f16_f32 v47, v40, v41
	ds_read_b128 v[38:41], v50 offset:16
	v_cvt_pk_f32_fp8_e32 v[48:49], v32
	v_cvt_pk_f32_fp8_sdwa v[52:53], v32 src0_sel:WORD_1
	s_waitcnt lgkmcnt(1)
	v_mfma_f32_16x16x16_f16 v[42:45], v[30:31], v[34:35], 0
	s_waitcnt vmcnt(6)
	v_cvt_pk_f32_fp8_e32 v[56:57], v24
	v_cvt_pkrtz_f16_f32 v30, v48, v49
	v_cvt_pkrtz_f16_f32 v31, v52, v53
	v_cvt_pk_f32_fp8_e32 v[48:49], v33
	v_mfma_f32_16x16x16_f16 v[42:45], v[46:47], v[36:37], v[42:45]
	v_cvt_pk_f32_fp8_sdwa v[46:47], v33 src0_sel:WORD_1
	v_cvt_pk_f32_fp8_sdwa v[62:63], v24 src0_sel:WORD_1
	v_cvt_pkrtz_f16_f32 v48, v48, v49
	s_waitcnt lgkmcnt(0)
	v_mfma_f32_16x16x16_f16 v[30:33], v[30:31], v[38:39], v[42:45]
	v_cvt_pkrtz_f16_f32 v49, v46, v47
	s_waitcnt vmcnt(4)
	v_cvt_pk_f32_fp8_sdwa v[70:71], v4 src0_sel:WORD_1
	s_waitcnt vmcnt(3)
	v_cvt_pk_f32_fp8_sdwa v[72:73], v28 src0_sel:WORD_1
	v_cvt_pk_f32_fp8_e32 v[42:43], v22
	v_mfma_f32_16x16x16_f16 v[46:49], v[48:49], v[40:41], v[30:33]
	s_load_dword s4, s[42:43], 0x0
	s_mov_b32 s3, 0
	s_nop 0
	v_cvt_pk_f32_fp8_sdwa v[30:31], v22 src0_sel:WORD_1
	v_cvt_pk_f32_fp8_e32 v[32:33], v23
	v_cvt_pkrtz_f16_f32 v22, v42, v43
	v_cvt_pk_f32_fp8_sdwa v[42:43], v23 src0_sel:WORD_1
	v_cvt_pkrtz_f16_f32 v23, v30, v31
	v_cvt_pkrtz_f16_f32 v52, v32, v33
	ds_read_b128 v[30:33], v50 offset:2048
	v_cvt_pkrtz_f16_f32 v53, v42, v43
	ds_read_b128 v[42:45], v50 offset:2064
	s_waitcnt lgkmcnt(0)
	v_mfma_f32_16x16x16_f16 v[46:49], v[22:23], v[30:31], v[46:49]
	v_cvt_pkrtz_f16_f32 v22, v56, v57
	v_cvt_pkrtz_f16_f32 v23, v62, v63
	v_cvt_pk_f32_fp8_e32 v[56:57], v25
	v_mfma_f32_16x16x16_f16 v[46:49], v[52:53], v[32:33], v[46:49]
	v_cvt_pk_f32_fp8_sdwa v[52:53], v25 src0_sel:WORD_1
	v_cvt_pk_f32_fp8_sdwa v[62:63], v12 src0_sel:WORD_1
	v_cvt_pkrtz_f16_f32 v56, v56, v57
	v_mfma_f32_16x16x16_f16 v[22:25], v[22:23], v[42:43], v[46:49]
	v_cvt_pkrtz_f16_f32 v57, v52, v53
	v_cmp_gt_u32_e32 vcc, 64, v0
	s_nop 0
	v_cvt_pk_f32_fp8_e32 v[46:47], v10
	v_mfma_f32_16x16x16_f16 v[66:69], v[56:57], v[44:45], v[22:25]
	v_cvt_pk_f32_fp8_e32 v[56:57], v12
	s_nop 1
	v_cvt_pk_f32_fp8_sdwa v[22:23], v10 src0_sel:WORD_1
	v_cvt_pk_f32_fp8_e32 v[24:25], v11
	v_cvt_pkrtz_f16_f32 v10, v46, v47
	v_cvt_pk_f32_fp8_sdwa v[46:47], v11 src0_sel:WORD_1
	v_cvt_pkrtz_f16_f32 v11, v22, v23
	v_cvt_pkrtz_f16_f32 v52, v24, v25
	ds_read_b128 v[22:25], v50 offset:4096
	v_cvt_pkrtz_f16_f32 v53, v46, v47
	ds_read_b128 v[46:49], v50 offset:4112
	s_waitcnt lgkmcnt(1)
	v_mfma_f32_16x16x16_f16 v[66:69], v[10:11], v[22:23], v[66:69]
	v_cvt_pkrtz_f16_f32 v10, v56, v57
	v_cvt_pkrtz_f16_f32 v11, v62, v63
	v_cvt_pk_f32_fp8_e32 v[56:57], v13
	v_mfma_f32_16x16x16_f16 v[66:69], v[52:53], v[24:25], v[66:69]
	v_cvt_pk_f32_fp8_sdwa v[52:53], v13 src0_sel:WORD_1
	v_cvt_pk_f32_fp8_e32 v[62:63], v4
	v_cvt_pkrtz_f16_f32 v56, v56, v57
	s_waitcnt lgkmcnt(0)
	v_mfma_f32_16x16x16_f16 v[10:13], v[10:11], v[46:47], v[66:69]
	v_cvt_pkrtz_f16_f32 v57, v52, v53
	v_cvt_pk_f32_fp8_e32 v[52:53], v2
	s_nop 0
	v_mfma_f32_16x16x16_f16 v[66:69], v[56:57], v[48:49], v[10:13]
	s_nop 2
	v_cvt_pk_f32_fp8_sdwa v[10:11], v2 src0_sel:WORD_1
	v_cvt_pk_f32_fp8_e32 v[12:13], v3
	v_cvt_pkrtz_f16_f32 v2, v52, v53
	v_cvt_pk_f32_fp8_sdwa v[52:53], v3 src0_sel:WORD_1
	v_cvt_pkrtz_f16_f32 v3, v10, v11
	v_cvt_pkrtz_f16_f32 v56, v12, v13
	ds_read_b128 v[10:13], v50 offset:6144
	v_cvt_pkrtz_f16_f32 v57, v52, v53
	s_waitcnt lgkmcnt(0)
	v_mfma_f32_16x16x16_f16 v[66:69], v[2:3], v[10:11], v[66:69]
	ds_read_b128 v[50:53], v50 offset:6160
	v_cvt_pkrtz_f16_f32 v2, v62, v63
	v_cvt_pkrtz_f16_f32 v3, v70, v71
	v_cvt_pk_f32_fp8_e32 v[62:63], v5
	v_mfma_f32_16x16x16_f16 v[66:69], v[56:57], v[12:13], v[66:69]
	v_cvt_pk_f32_fp8_sdwa v[56:57], v5 src0_sel:WORD_1
	v_cvt_pk_f32_fp8_e32 v[70:71], v28
	v_cvt_pkrtz_f16_f32 v62, v62, v63
	s_waitcnt lgkmcnt(0)
	v_mfma_f32_16x16x16_f16 v[2:5], v[2:3], v[50:51], v[66:69]
	v_cvt_pkrtz_f16_f32 v63, v56, v57
	v_cvt_pk_f32_fp8_e32 v[56:57], v26
	s_nop 0
	v_cvt_pk_f32_fp8_sdwa v[66:67], v26 src0_sel:WORD_1
	v_mfma_f32_16x16x16_f16 v[2:5], v[62:63], v[52:53], v[2:5]
	v_cvt_pk_f32_fp8_e32 v[62:63], v27
	v_cvt_pkrtz_f16_f32 v56, v56, v57
	v_cvt_pkrtz_f16_f32 v57, v66, v67
	v_cvt_pk_f32_fp8_sdwa v[26:27], v27 src0_sel:WORD_1
	v_cvt_pkrtz_f16_f32 v62, v62, v63
	v_mfma_f32_16x16x16_f16 v[66:69], v[56:57], v[34:35], 0
	v_cvt_pkrtz_f16_f32 v63, v26, v27
	v_cvt_pkrtz_f16_f32 v26, v70, v71
	v_cvt_pkrtz_f16_f32 v27, v72, v73
	v_cvt_pk_f32_fp8_e32 v[56:57], v29
	v_mfma_f32_16x16x16_f16 v[34:37], v[62:63], v[36:37], v[66:69]
	v_cvt_pk_f32_fp8_sdwa v[62:63], v29 src0_sel:WORD_1
	v_cvt_pkrtz_f16_f32 v56, v56, v57
	s_barrier
	v_mfma_f32_16x16x16_f16 v[26:29], v[26:27], v[38:39], v[34:37]
	v_cvt_pkrtz_f16_f32 v57, v62, v63
	s_waitcnt vmcnt(2)
	v_cvt_pk_f32_fp8_e32 v[38:39], v19
	v_cvt_pk_f32_fp8_e32 v[34:35], v18
	v_cvt_pk_f32_fp8_sdwa v[36:37], v18 src0_sel:WORD_1
	v_cvt_pk_f32_fp8_sdwa v[18:19], v19 src0_sel:WORD_1
	v_mfma_f32_16x16x16_f16 v[26:29], v[56:57], v[40:41], v[26:29]
	v_cvt_pkrtz_f16_f32 v34, v34, v35
	v_cvt_pkrtz_f16_f32 v35, v36, v37
	;; [unrolled: 1-line block ×3, first 2 shown]
	v_cvt_pk_f32_fp8_e32 v[38:39], v20
	v_cvt_pk_f32_fp8_sdwa v[40:41], v20 src0_sel:WORD_1
	v_cvt_pkrtz_f16_f32 v37, v18, v19
	v_mfma_f32_16x16x16_f16 v[26:29], v[34:35], v[30:31], v[26:29]
	v_cvt_pkrtz_f16_f32 v30, v38, v39
	v_cvt_pkrtz_f16_f32 v31, v40, v41
	v_cvt_pk_f32_fp8_e32 v[34:35], v21
	v_cvt_pk_f32_fp8_sdwa v[38:39], v21 src0_sel:WORD_1
	v_mfma_f32_16x16x16_f16 v[18:21], v[36:37], v[32:33], v[26:29]
	s_waitcnt vmcnt(1)
	v_cvt_pk_f32_fp8_sdwa v[32:33], v16 src0_sel:WORD_1
	s_nop 0
	v_cvt_pkrtz_f16_f32 v26, v34, v35
	v_cvt_pkrtz_f16_f32 v27, v38, v39
	v_mfma_f32_16x16x16_f16 v[18:21], v[30:31], v[42:43], v[18:21]
	v_cvt_pk_f32_fp8_e32 v[28:29], v14
	v_cvt_pk_f32_fp8_sdwa v[30:31], v14 src0_sel:WORD_1
	v_cvt_pkrtz_f16_f32 v28, v28, v29
	v_mfma_f32_16x16x16_f16 v[18:21], v[26:27], v[44:45], v[18:21]
	v_cvt_pk_f32_fp8_e32 v[26:27], v15
	v_cvt_pkrtz_f16_f32 v29, v30, v31
	v_cvt_pk_f32_fp8_sdwa v[14:15], v15 src0_sel:WORD_1
	v_cvt_pk_f32_fp8_e32 v[30:31], v16
	v_cvt_pkrtz_f16_f32 v26, v26, v27
	v_mfma_f32_16x16x16_f16 v[18:21], v[28:29], v[22:23], v[18:21]
	v_cvt_pkrtz_f16_f32 v27, v14, v15
	v_cvt_pkrtz_f16_f32 v22, v30, v31
	;; [unrolled: 1-line block ×3, first 2 shown]
	v_cvt_pk_f32_fp8_e32 v[28:29], v17
	v_cvt_pk_f32_fp8_sdwa v[30:31], v17 src0_sel:WORD_1
	v_mfma_f32_16x16x16_f16 v[14:17], v[26:27], v[24:25], v[18:21]
	s_waitcnt vmcnt(0)
	v_cvt_pk_f32_fp8_sdwa v[24:25], v6 src0_sel:WORD_1
	s_nop 0
	v_pk_mul_f32 v[18:19], v[4:5], s[4:5] op_sel_hi:[1,0]
	v_cvt_pkrtz_f16_f32 v4, v28, v29
	v_cvt_pkrtz_f16_f32 v5, v30, v31
	v_mfma_f32_16x16x16_f16 v[14:17], v[22:23], v[46:47], v[14:17]
	v_cvt_pk_f32_fp8_e32 v[22:23], v6
	v_pk_mul_f32 v[20:21], v[2:3], s[4:5] op_sel_hi:[1,0]
	v_mfma_f32_16x16x16_f16 v[2:5], v[4:5], v[48:49], v[14:17]
	s_nop 3
	v_cvt_pk_f32_fp8_e32 v[14:15], v7
	v_cvt_pkrtz_f16_f32 v16, v22, v23
	v_cvt_pkrtz_f16_f32 v17, v24, v25
	v_cvt_pk_f32_fp8_sdwa v[6:7], v7 src0_sel:WORD_1
	v_cvt_pkrtz_f16_f32 v14, v14, v15
	v_cvt_pk_f32_fp8_e32 v[22:23], v8
	v_cvt_pk_f32_fp8_sdwa v[24:25], v8 src0_sel:WORD_1
	v_cvt_pkrtz_f16_f32 v15, v6, v7
	v_mfma_f32_16x16x16_f16 v[2:5], v[16:17], v[10:11], v[2:5]
	v_cvt_pkrtz_f16_f32 v6, v22, v23
	v_cvt_pkrtz_f16_f32 v7, v24, v25
	v_cvt_pk_f32_fp8_e32 v[10:11], v9
	v_cvt_pk_f32_fp8_sdwa v[8:9], v9 src0_sel:WORD_1
	v_mfma_f32_16x16x16_f16 v[2:5], v[14:15], v[12:13], v[2:5]
	v_cvt_f16_f32_e32 v12, v20
	v_cvt_pkrtz_f16_f32 v10, v10, v11
	v_cvt_pkrtz_f16_f32 v11, v8, v9
	v_mfma_f32_16x16x16_f16 v[2:5], v[6:7], v[50:51], v[2:5]
	v_cvt_f16_f32_e32 v6, v21
	v_cvt_f16_f32_e32 v7, v18
	;; [unrolled: 1-line block ×3, first 2 shown]
	v_mfma_f32_16x16x16_f16 v[2:5], v[10:11], v[52:53], v[2:5]
	s_nop 6
	v_pk_mul_f32 v[4:5], v[4:5], s[4:5] op_sel_hi:[1,0]
	v_pk_mul_f32 v[2:3], v[2:3], s[4:5] op_sel_hi:[1,0]
	v_cvt_f16_f32_e32 v11, v4
	v_cvt_f16_f32_e32 v9, v2
	;; [unrolled: 1-line block ×4, first 2 shown]
	v_pack_b32_f16 v2, v12, v6
	v_pack_b32_f16 v3, v7, v8
	;; [unrolled: 1-line block ×4, first 2 shown]
	ds_write2st64_b64 v54, v[2:3], v[4:5] offset1:1
	s_waitcnt lgkmcnt(0)
	s_barrier
	s_and_saveexec_b64 s[4:5], vcc
	s_cbranch_execz .LBB993_18
; %bb.16:
	s_load_dwordx2 s[4:5], s[0:1], 0x68
	s_lshl_b32 s0, s6, 7
	s_mul_i32 s1, s7, s2
	v_lshlrev_b32_e32 v4, 6, v60
	s_mul_hi_u32 s7, s1, s0
	s_mul_i32 s6, s1, s0
	v_lshl_or_b32 v0, v0, 10, v4
	s_lshl_b64 s[6:7], s[6:7], 1
	v_lshlrev_b32_e32 v3, 5, v64
	v_and_b32_e32 v1, 16, v1
	v_and_b32_e32 v0, 0x1a00, v0
	s_waitcnt lgkmcnt(0)
	s_add_u32 s1, s4, s6
	v_or3_b32 v3, v0, v3, v1
	s_addc_u32 s4, s5, s7
	s_lshl_b32 s2, s24, 7
	s_lshl_b64 s[2:3], s[2:3], 1
	ds_read_b128 v[4:7], v3
	s_add_u32 s2, s1, s2
	s_addc_u32 s3, s4, s3
	v_mov_b32_e32 v59, 0
	v_add_u32_e32 v8, s48, v64
	v_or_b32_e32 v2, 4, v64
	v_lshl_add_u64 v[0:1], s[2:3], 0, v[58:59]
	v_mad_u64_u32 v[8:9], s[2:3], v8, s0, 0
	v_lshl_add_u64 v[8:9], v[8:9], 1, v[0:1]
	v_cmp_gt_u32_e32 vcc, 6, v2
	s_waitcnt lgkmcnt(0)
	global_store_dwordx4 v[8:9], v[4:7], off
	s_and_b64 exec, exec, vcc
	s_cbranch_execz .LBB993_18
; %bb.17:
	ds_read_b128 v[4:7], v3 offset:128
	v_add_u32_e32 v2, s48, v2
	v_mad_u64_u32 v[2:3], s[0:1], v2, s0, 0
	v_lshl_add_u64 v[0:1], v[2:3], 1, v[0:1]
	s_waitcnt lgkmcnt(0)
	global_store_dwordx4 v[0:1], v[4:7], off
.LBB993_18:
	s_endpgm
	.section	.rodata,"a",@progbits
	.p2align	6, 0x0
	.amdhsa_kernel _Z39paged_attention_ll4mi_QKV_mfma16_kernelIDF16_hLN4vllm18Fp8KVCacheDataTypeE1EDF16_Li16ELi128ELi256ELb0ELi6EEvPKT_PKT0_S7_ifPKiS9_S9_iPKfiiiPfSC_PS2_PT2_iSB_SB_
		.amdhsa_group_segment_fixed_size 8192
		.amdhsa_private_segment_fixed_size 0
		.amdhsa_kernarg_size 400
		.amdhsa_user_sgpr_count 2
		.amdhsa_user_sgpr_dispatch_ptr 0
		.amdhsa_user_sgpr_queue_ptr 0
		.amdhsa_user_sgpr_kernarg_segment_ptr 1
		.amdhsa_user_sgpr_dispatch_id 0
		.amdhsa_user_sgpr_kernarg_preload_length 0
		.amdhsa_user_sgpr_kernarg_preload_offset 0
		.amdhsa_user_sgpr_private_segment_size 0
		.amdhsa_uses_dynamic_stack 0
		.amdhsa_enable_private_segment 0
		.amdhsa_system_sgpr_workgroup_id_x 1
		.amdhsa_system_sgpr_workgroup_id_y 1
		.amdhsa_system_sgpr_workgroup_id_z 1
		.amdhsa_system_sgpr_workgroup_info 0
		.amdhsa_system_vgpr_workitem_id 0
		.amdhsa_next_free_vgpr 86
		.amdhsa_next_free_sgpr 50
		.amdhsa_accum_offset 88
		.amdhsa_reserve_vcc 1
		.amdhsa_float_round_mode_32 0
		.amdhsa_float_round_mode_16_64 0
		.amdhsa_float_denorm_mode_32 3
		.amdhsa_float_denorm_mode_16_64 3
		.amdhsa_dx10_clamp 1
		.amdhsa_ieee_mode 1
		.amdhsa_fp16_overflow 0
		.amdhsa_tg_split 0
		.amdhsa_exception_fp_ieee_invalid_op 0
		.amdhsa_exception_fp_denorm_src 0
		.amdhsa_exception_fp_ieee_div_zero 0
		.amdhsa_exception_fp_ieee_overflow 0
		.amdhsa_exception_fp_ieee_underflow 0
		.amdhsa_exception_fp_ieee_inexact 0
		.amdhsa_exception_int_div_zero 0
	.end_amdhsa_kernel
	.section	.text._Z39paged_attention_ll4mi_QKV_mfma16_kernelIDF16_hLN4vllm18Fp8KVCacheDataTypeE1EDF16_Li16ELi128ELi256ELb0ELi6EEvPKT_PKT0_S7_ifPKiS9_S9_iPKfiiiPfSC_PS2_PT2_iSB_SB_,"axG",@progbits,_Z39paged_attention_ll4mi_QKV_mfma16_kernelIDF16_hLN4vllm18Fp8KVCacheDataTypeE1EDF16_Li16ELi128ELi256ELb0ELi6EEvPKT_PKT0_S7_ifPKiS9_S9_iPKfiiiPfSC_PS2_PT2_iSB_SB_,comdat
.Lfunc_end993:
	.size	_Z39paged_attention_ll4mi_QKV_mfma16_kernelIDF16_hLN4vllm18Fp8KVCacheDataTypeE1EDF16_Li16ELi128ELi256ELb0ELi6EEvPKT_PKT0_S7_ifPKiS9_S9_iPKfiiiPfSC_PS2_PT2_iSB_SB_, .Lfunc_end993-_Z39paged_attention_ll4mi_QKV_mfma16_kernelIDF16_hLN4vllm18Fp8KVCacheDataTypeE1EDF16_Li16ELi128ELi256ELb0ELi6EEvPKT_PKT0_S7_ifPKiS9_S9_iPKfiiiPfSC_PS2_PT2_iSB_SB_
                                        ; -- End function
	.section	.AMDGPU.csdata,"",@progbits
; Kernel info:
; codeLenInByte = 6016
; NumSgprs: 56
; NumVgprs: 86
; NumAgprs: 0
; TotalNumVgprs: 86
; ScratchSize: 0
; MemoryBound: 0
; FloatMode: 240
; IeeeMode: 1
; LDSByteSize: 8192 bytes/workgroup (compile time only)
; SGPRBlocks: 6
; VGPRBlocks: 10
; NumSGPRsForWavesPerEU: 56
; NumVGPRsForWavesPerEU: 86
; AccumOffset: 88
; Occupancy: 5
; WaveLimiterHint : 1
; COMPUTE_PGM_RSRC2:SCRATCH_EN: 0
; COMPUTE_PGM_RSRC2:USER_SGPR: 2
; COMPUTE_PGM_RSRC2:TRAP_HANDLER: 0
; COMPUTE_PGM_RSRC2:TGID_X_EN: 1
; COMPUTE_PGM_RSRC2:TGID_Y_EN: 1
; COMPUTE_PGM_RSRC2:TGID_Z_EN: 1
; COMPUTE_PGM_RSRC2:TIDIG_COMP_CNT: 0
; COMPUTE_PGM_RSRC3_GFX90A:ACCUM_OFFSET: 21
; COMPUTE_PGM_RSRC3_GFX90A:TG_SPLIT: 0
	.section	.text._Z39paged_attention_ll4mi_QKV_mfma16_kernelIDF16_hLN4vllm18Fp8KVCacheDataTypeE1EDF16_Li16ELi128ELi256ELb0ELi7EEvPKT_PKT0_S7_ifPKiS9_S9_iPKfiiiPfSC_PS2_PT2_iSB_SB_,"axG",@progbits,_Z39paged_attention_ll4mi_QKV_mfma16_kernelIDF16_hLN4vllm18Fp8KVCacheDataTypeE1EDF16_Li16ELi128ELi256ELb0ELi7EEvPKT_PKT0_S7_ifPKiS9_S9_iPKfiiiPfSC_PS2_PT2_iSB_SB_,comdat
	.protected	_Z39paged_attention_ll4mi_QKV_mfma16_kernelIDF16_hLN4vllm18Fp8KVCacheDataTypeE1EDF16_Li16ELi128ELi256ELb0ELi7EEvPKT_PKT0_S7_ifPKiS9_S9_iPKfiiiPfSC_PS2_PT2_iSB_SB_ ; -- Begin function _Z39paged_attention_ll4mi_QKV_mfma16_kernelIDF16_hLN4vllm18Fp8KVCacheDataTypeE1EDF16_Li16ELi128ELi256ELb0ELi7EEvPKT_PKT0_S7_ifPKiS9_S9_iPKfiiiPfSC_PS2_PT2_iSB_SB_
	.globl	_Z39paged_attention_ll4mi_QKV_mfma16_kernelIDF16_hLN4vllm18Fp8KVCacheDataTypeE1EDF16_Li16ELi128ELi256ELb0ELi7EEvPKT_PKT0_S7_ifPKiS9_S9_iPKfiiiPfSC_PS2_PT2_iSB_SB_
	.p2align	8
	.type	_Z39paged_attention_ll4mi_QKV_mfma16_kernelIDF16_hLN4vllm18Fp8KVCacheDataTypeE1EDF16_Li16ELi128ELi256ELb0ELi7EEvPKT_PKT0_S7_ifPKiS9_S9_iPKfiiiPfSC_PS2_PT2_iSB_SB_,@function
_Z39paged_attention_ll4mi_QKV_mfma16_kernelIDF16_hLN4vllm18Fp8KVCacheDataTypeE1EDF16_Li16ELi128ELi256ELb0ELi7EEvPKT_PKT0_S7_ifPKiS9_S9_iPKfiiiPfSC_PS2_PT2_iSB_SB_: ; @_Z39paged_attention_ll4mi_QKV_mfma16_kernelIDF16_hLN4vllm18Fp8KVCacheDataTypeE1EDF16_Li16ELi128ELi256ELb0ELi7EEvPKT_PKT0_S7_ifPKiS9_S9_iPKfiiiPfSC_PS2_PT2_iSB_SB_
; %bb.0:
	s_load_dwordx2 s[12:13], s[0:1], 0x30
	s_mov_b32 s24, s3
	s_mov_b64 s[6:7], 0
	s_waitcnt lgkmcnt(0)
	s_cmp_lg_u64 s[12:13], 0
	s_cselect_b64 s[14:15], -1, 0
	s_and_b64 vcc, exec, s[14:15]
	s_cbranch_vccz .LBB994_7
; %bb.1:
	s_add_i32 s8, s2, 1
	s_mov_b32 s9, 0
	s_lshl_b64 s[10:11], s[8:9], 2
	s_add_u32 s10, s12, s10
	s_mov_b32 s3, s9
	s_addc_u32 s11, s13, s11
	s_lshl_b64 s[8:9], s[2:3], 2
	s_add_u32 s8, s12, s8
	s_addc_u32 s9, s13, s9
	s_load_dword s5, s[10:11], 0x0
	s_load_dword s16, s[8:9], 0x0
	s_waitcnt lgkmcnt(0)
	s_sub_i32 s5, s5, s16
	s_cmp_eq_u32 s5, 1
	s_cselect_b64 s[8:9], -1, 0
	s_andn2_b64 vcc, exec, s[6:7]
	s_cbranch_vccnz .LBB994_3
.LBB994_2:
	s_mov_b32 s3, 0
	s_mov_b64 s[8:9], -1
.LBB994_3:
	s_andn2_b64 vcc, exec, s[8:9]
	s_cbranch_vccnz .LBB994_18
; %bb.4:
	s_load_dwordx2 s[6:7], s[0:1], 0x28
	s_lshl_b64 s[16:17], s[2:3], 2
	s_waitcnt lgkmcnt(0)
	s_add_u32 s6, s6, s16
	s_addc_u32 s7, s7, s17
	s_load_dword s33, s[6:7], 0x0
	s_lshl_b32 s18, s24, 8
	s_waitcnt lgkmcnt(0)
	s_cmp_ge_i32 s18, s33
	s_cbranch_scc1 .LBB994_18
; %bb.5:
	s_load_dwordx2 s[6:7], s[0:1], 0x20
	s_load_dword s8, s[0:1], 0x38
	s_add_i32 s5, s33, 15
	s_ashr_i32 s9, s5, 31
	v_and_b32_e32 v1, 0xcf, v0
	s_lshr_b32 s9, s9, 28
	v_add_u32_e32 v1, s18, v1
	s_add_i32 s5, s5, s9
	v_ashrrev_i32_e32 v2, 31, v1
	s_ashr_i32 s5, s5, 4
	v_lshrrev_b32_e32 v10, 28, v2
	s_add_i32 s5, s5, -1
	s_waitcnt lgkmcnt(0)
	s_mul_i32 s8, s2, s8
	s_mov_b32 s9, 0
	v_add_u32_e32 v2, v1, v10
	s_lshl_b64 s[8:9], s[8:9], 2
	v_ashrrev_i32_e32 v2, 4, v2
	v_mov_b32_e32 v11, s5
	v_cmp_gt_i32_e32 vcc, s33, v1
	s_add_u32 s6, s6, s8
	s_addc_u32 s7, s7, s9
	v_cndmask_b32_e32 v2, v11, v2, vcc
	v_ashrrev_i32_e32 v3, 31, v2
	v_lshl_add_u64 v[4:5], v[2:3], 2, s[6:7]
	v_or_b32_e32 v2, 16, v1
	v_add_u32_e32 v3, v2, v10
	v_ashrrev_i32_e32 v3, 4, v3
	v_cmp_gt_i32_e32 vcc, s33, v2
	s_load_dwordx4 s[8:11], s[0:1], 0x8
	s_nop 0
	v_cndmask_b32_e32 v2, v11, v3, vcc
	v_ashrrev_i32_e32 v3, 31, v2
	v_lshl_add_u64 v[6:7], v[2:3], 2, s[6:7]
	v_or_b32_e32 v2, 32, v1
	v_add_u32_e32 v3, v2, v10
	v_ashrrev_i32_e32 v3, 4, v3
	v_cmp_gt_i32_e32 vcc, s33, v2
	v_or_b32_e32 v1, 48, v1
	s_nop 0
	v_cndmask_b32_e32 v2, v11, v3, vcc
	v_ashrrev_i32_e32 v3, 31, v2
	v_lshl_add_u64 v[8:9], v[2:3], 2, s[6:7]
	v_add_u32_e32 v2, v1, v10
	v_ashrrev_i32_e32 v2, 4, v2
	v_cmp_gt_i32_e32 vcc, s33, v1
	s_nop 1
	v_cndmask_b32_e32 v2, v11, v2, vcc
	v_ashrrev_i32_e32 v3, 31, v2
	v_lshl_add_u64 v[10:11], v[2:3], 2, s[6:7]
	global_load_dword v3, v[4:5], off
	global_load_dword v2, v[6:7], off
	;; [unrolled: 1-line block ×4, first 2 shown]
	s_andn2_b64 vcc, exec, s[14:15]
	s_cbranch_vccnz .LBB994_8
; %bb.6:
	s_add_u32 s12, s12, s16
	s_addc_u32 s13, s13, s17
	s_load_dword s14, s[12:13], 0x0
	s_branch .LBB994_9
.LBB994_7:
	s_mov_b64 s[8:9], 0
	s_branch .LBB994_2
.LBB994_8:
	s_mov_b32 s14, s2
.LBB994_9:
	s_load_dwordx4 s[44:47], s[0:1], 0x48
	v_lshrrev_b32_e32 v61, 6, v0
	v_bfe_u32 v64, v0, 4, 2
	v_and_b32_e32 v60, 15, v0
	v_lshl_or_b32 v4, v61, 2, v64
	v_lshlrev_b32_e32 v1, 3, v60
	v_and_b32_e32 v65, 63, v0
	s_mul_i32 s48, s4, 7
	v_cmp_gt_u32_e32 vcc, 7, v4
	v_lshlrev_b32_e32 v58, 1, v1
	v_lshlrev_b32_e32 v1, 4, v0
	s_and_saveexec_b64 s[12:13], vcc
	s_cbranch_execz .LBB994_11
; %bb.10:
	s_load_dwordx2 s[16:17], s[0:1], 0x0
	s_waitcnt lgkmcnt(0)
	s_ashr_i32 s15, s44, 31
	s_mul_hi_u32 s19, s14, s44
	s_mul_i32 s15, s14, s15
	s_add_i32 s15, s19, s15
	s_mul_i32 s14, s14, s44
	s_lshl_b64 s[14:15], s[14:15], 1
	s_add_u32 s14, s16, s14
	v_add_lshl_u32 v6, v4, s48, 7
	s_addc_u32 s15, s17, s15
	v_ashrrev_i32_e32 v7, 31, v6
	v_lshl_add_u64 v[6:7], v[6:7], 1, s[14:15]
	v_mov_b32_e32 v59, 0
	v_lshl_add_u64 v[6:7], v[6:7], 0, v[58:59]
	global_load_dwordx4 v[6:9], v[6:7], off
	v_lshlrev_b32_e32 v10, 8, v0
	v_lshlrev_b32_e32 v5, 8, v60
	v_and_b32_e32 v10, 0x600, v10
	s_movk_i32 s14, 0x800
	v_and_or_b32 v5, v5, s14, v10
	v_lshlrev_b32_e32 v4, 5, v4
	v_and_b32_e32 v10, 16, v1
	v_or3_b32 v4, v5, v4, v10
	s_waitcnt vmcnt(0)
	ds_write_b128 v4, v[6:9]
.LBB994_11:
	s_or_b64 exec, exec, s[12:13]
	s_waitcnt lgkmcnt(0)
	s_mul_i32 s4, s4, s46
	s_add_u32 s8, s8, s4
	s_addc_u32 s9, s9, 0
	v_and_b32_e32 v62, 0xf0, v1
	v_mov_b32_e32 v63, 0
	v_and_b32_e32 v16, 48, v0
	v_lshl_add_u64 v[6:7], s[8:9], 0, v[62:63]
	v_lshlrev_b32_e32 v62, 4, v16
	s_waitcnt vmcnt(3)
	v_mad_i64_i32 v[4:5], s[8:9], v3, s45, v[6:7]
	v_lshl_add_u64 v[4:5], v[4:5], 0, v[62:63]
	s_load_dword s25, s[0:1], 0x98
	s_load_dwordx4 s[40:43], s[0:1], 0x80
	s_waitcnt lgkmcnt(0)
	s_barrier
	global_load_dwordx4 v[22:25], v[4:5], off
	global_load_dwordx4 v[10:13], v[4:5], off offset:1024
	s_waitcnt vmcnt(4)
	v_mad_i64_i32 v[2:3], s[12:13], v2, s45, v[6:7]
	v_lshl_add_u64 v[8:9], v[2:3], 0, v[62:63]
	global_load_dwordx4 v[2:5], v[8:9], off
	v_mul_lo_u16_e32 v17, 37, v60
	v_mov_b32_e32 v18, 7
	v_or_b32_e32 v16, s18, v16
	v_mov_b32_e32 v20, s5
	v_mul_lo_u16_sdwa v17, v17, v18 dst_sel:DWORD dst_unused:UNUSED_PAD src0_sel:BYTE_1 src1_sel:DWORD
	v_ashrrev_i32_e32 v18, 4, v16
	v_or_b32_e32 v21, 64, v16
	v_cmp_gt_i32_e32 vcc, s33, v16
	v_mov_b32_e32 v19, 5
	v_sub_u16_e32 v17, v60, v17
	v_or_b32_e32 v26, 0x80, v16
	v_or_b32_e32 v27, 0xc0, v16
	v_cndmask_b32_e32 v40, v20, v18, vcc
	v_ashrrev_i32_e32 v16, 4, v21
	v_cmp_gt_i32_e32 vcc, s33, v21
	v_lshlrev_b32_sdwa v17, v19, v17 dst_sel:DWORD dst_unused:UNUSED_PAD src0_sel:DWORD src1_sel:BYTE_0
	v_ashrrev_i32_e32 v18, 4, v26
	v_cndmask_b32_e32 v44, v20, v16, vcc
	v_cmp_gt_i32_e32 vcc, s33, v26
	v_ashrrev_i32_e32 v19, 4, v27
	v_lshl_add_u32 v36, v64, 9, v17
	v_cndmask_b32_e32 v46, v20, v18, vcc
	v_cmp_gt_i32_e32 vcc, s33, v27
	s_waitcnt vmcnt(4)
	v_mad_i64_i32 v[34:35], s[12:13], v14, s45, v[6:7]
	v_cndmask_b32_e32 v38, v20, v19, vcc
	ds_read_b128 v[26:29], v36
	ds_read_b128 v[18:21], v36 offset:16
	global_load_dwordx4 v[30:33], v[8:9], off offset:1024
	s_waitcnt vmcnt(4)
	v_mad_i64_i32 v[42:43], s[12:13], v15, s45, v[6:7]
	v_ashrrev_i32_e32 v41, 31, v40
	ds_read_b128 v[14:17], v36 offset:2048
	ds_read_b128 v[6:9], v36 offset:2064
	v_lshl_add_u64 v[36:37], v[34:35], 0, v[62:63]
	v_lshl_add_u64 v[34:35], v[42:43], 0, v[62:63]
	v_ashrrev_i32_e32 v45, 31, v44
	v_ashrrev_i32_e32 v47, 31, v46
	;; [unrolled: 1-line block ×3, first 2 shown]
	v_lshl_add_u64 v[50:51], v[40:41], 2, s[6:7]
	v_lshl_add_u64 v[52:53], v[44:45], 2, s[6:7]
	;; [unrolled: 1-line block ×4, first 2 shown]
	global_load_dwordx4 v[46:49], v[36:37], off
	global_load_dwordx4 v[42:45], v[36:37], off offset:1024
	global_load_dwordx4 v[38:41], v[34:35], off
	s_nop 0
	global_load_dwordx4 v[34:37], v[34:35], off offset:1024
	s_nop 0
	global_load_dword v69, v[50:51], off
	global_load_dword v68, v[52:53], off
	;; [unrolled: 1-line block ×4, first 2 shown]
	s_add_u32 s4, s10, s4
	v_lshl_or_b32 v59, v61, 4, v60
	s_addc_u32 s5, s11, 0
	v_lshlrev_b32_e32 v62, 4, v59
	s_load_dword s8, s[0:1], 0x1c
	s_waitcnt vmcnt(11)
	v_cvt_pk_f32_fp8_e32 v[50:51], v22
	v_cvt_pk_f32_fp8_sdwa v[52:53], v22 src0_sel:WORD_1
	v_cvt_pk_f32_fp8_e32 v[54:55], v23
	v_cvt_pk_f32_fp8_sdwa v[22:23], v23 src0_sel:WORD_1
	s_waitcnt vmcnt(10)
	v_cvt_pk_f32_fp8_e32 v[76:77], v10
	v_cvt_pk_f32_fp8_sdwa v[78:79], v10 src0_sel:WORD_1
	v_cvt_pk_f32_fp8_e32 v[80:81], v11
	v_cvt_pk_f32_fp8_sdwa v[82:83], v11 src0_sel:WORD_1
	v_cvt_pkrtz_f16_f32 v10, v50, v51
	v_cvt_pkrtz_f16_f32 v11, v52, v53
	v_cvt_pk_f32_fp8_e32 v[56:57], v24
	v_cvt_pk_f32_fp8_sdwa v[70:71], v24 src0_sel:WORD_1
	v_cvt_pkrtz_f16_f32 v54, v54, v55
	v_cvt_pkrtz_f16_f32 v55, v22, v23
	v_cvt_pk_f32_fp8_e32 v[72:73], v25
	v_cvt_pk_f32_fp8_sdwa v[74:75], v25 src0_sel:WORD_1
	s_waitcnt lgkmcnt(0)
	v_mfma_f32_16x16x16_f16 v[22:25], v[10:11], v[26:27], 0
	v_cvt_pkrtz_f16_f32 v10, v56, v57
	v_cvt_pkrtz_f16_f32 v11, v70, v71
	v_cvt_pkrtz_f16_f32 v56, v72, v73
	v_mfma_f32_16x16x16_f16 v[22:25], v[54:55], v[28:29], v[22:25]
	v_cvt_pkrtz_f16_f32 v57, v74, v75
	v_cvt_pk_f32_fp8_e32 v[50:51], v12
	v_cvt_pk_f32_fp8_sdwa v[52:53], v12 src0_sel:WORD_1
	v_cvt_pk_f32_fp8_e32 v[84:85], v13
	v_cvt_pk_f32_fp8_sdwa v[54:55], v13 src0_sel:WORD_1
	v_mfma_f32_16x16x16_f16 v[10:13], v[10:11], v[18:19], v[22:25]
	v_cvt_pkrtz_f16_f32 v70, v80, v81
	v_cvt_pkrtz_f16_f32 v71, v82, v83
	;; [unrolled: 1-line block ×5, first 2 shown]
	v_mfma_f32_16x16x16_f16 v[10:13], v[56:57], v[20:21], v[10:13]
	s_waitcnt vmcnt(9)
	v_cvt_pk_f32_fp8_e32 v[22:23], v2
	v_cvt_pk_f32_fp8_sdwa v[56:57], v2 src0_sel:WORD_1
	v_cvt_pkrtz_f16_f32 v51, v52, v53
	v_mfma_f32_16x16x16_f16 v[10:13], v[24:25], v[14:15], v[10:13]
	v_cvt_pk_f32_fp8_e32 v[24:25], v3
	v_cvt_pk_f32_fp8_sdwa v[2:3], v3 src0_sel:WORD_1
	v_cvt_pkrtz_f16_f32 v52, v84, v85
	v_mfma_f32_16x16x16_f16 v[10:13], v[70:71], v[16:17], v[10:13]
	v_cvt_pkrtz_f16_f32 v53, v54, v55
	v_cvt_pkrtz_f16_f32 v22, v22, v23
	;; [unrolled: 1-line block ×3, first 2 shown]
	v_mfma_f32_16x16x16_f16 v[10:13], v[50:51], v[6:7], v[10:13]
	v_cvt_pk_f32_fp8_e32 v[54:55], v4
	v_cvt_pk_f32_fp8_sdwa v[56:57], v4 src0_sel:WORD_1
	v_cvt_pkrtz_f16_f32 v24, v24, v25
	v_cvt_pkrtz_f16_f32 v25, v2, v3
	v_mfma_f32_16x16x16_f16 v[50:53], v[52:53], v[8:9], v[10:13]
	s_waitcnt vmcnt(7)
	v_cvt_pk_f32_fp8_e32 v[72:73], v49
	v_lshl_add_u64 v[70:71], s[4:5], 0, v[62:63]
	s_waitcnt vmcnt(6)
	v_cvt_pk_f32_fp8_sdwa v[76:77], v44 src0_sel:WORD_1
	v_mfma_f32_16x16x16_f16 v[10:13], v[22:23], v[26:27], 0
	v_cvt_pkrtz_f16_f32 v22, v54, v55
	v_cvt_pkrtz_f16_f32 v23, v56, v57
	v_cvt_pk_f32_fp8_e32 v[54:55], v5
	v_cvt_pk_f32_fp8_sdwa v[56:57], v5 src0_sel:WORD_1
	v_mfma_f32_16x16x16_f16 v[2:5], v[24:25], v[28:29], v[10:13]
	v_cvt_pk_f32_fp8_e32 v[24:25], v32
	v_or_b32_e32 v62, 0x400, v62
	s_nop 0
	v_cvt_pkrtz_f16_f32 v10, v54, v55
	v_cvt_pkrtz_f16_f32 v11, v56, v57
	v_mfma_f32_16x16x16_f16 v[2:5], v[22:23], v[18:19], v[2:5]
	v_cvt_pk_f32_fp8_e32 v[12:13], v30
	v_cvt_pk_f32_fp8_sdwa v[22:23], v30 src0_sel:WORD_1
	v_cvt_pkrtz_f16_f32 v12, v12, v13
	v_mfma_f32_16x16x16_f16 v[2:5], v[10:11], v[20:21], v[2:5]
	v_cvt_pk_f32_fp8_e32 v[10:11], v31
	v_cvt_pkrtz_f16_f32 v13, v22, v23
	v_cvt_pk_f32_fp8_sdwa v[22:23], v31 src0_sel:WORD_1
	v_cvt_pk_f32_fp8_sdwa v[30:31], v32 src0_sel:WORD_1
	v_cvt_pkrtz_f16_f32 v10, v10, v11
	v_mfma_f32_16x16x16_f16 v[2:5], v[12:13], v[14:15], v[2:5]
	v_cvt_pkrtz_f16_f32 v11, v22, v23
	v_cvt_pkrtz_f16_f32 v12, v24, v25
	;; [unrolled: 1-line block ×3, first 2 shown]
	v_cvt_pk_f32_fp8_e32 v[22:23], v33
	v_cvt_pk_f32_fp8_sdwa v[24:25], v33 src0_sel:WORD_1
	v_mfma_f32_16x16x16_f16 v[2:5], v[10:11], v[16:17], v[2:5]
	v_cvt_pkrtz_f16_f32 v10, v22, v23
	v_cvt_pkrtz_f16_f32 v11, v24, v25
	v_mfma_f32_16x16x16_f16 v[2:5], v[12:13], v[6:7], v[2:5]
	v_cvt_pk_f32_fp8_e32 v[12:13], v46
	v_cvt_pk_f32_fp8_sdwa v[22:23], v46 src0_sel:WORD_1
	v_cvt_pk_f32_fp8_sdwa v[24:25], v48 src0_sel:WORD_1
	v_mfma_f32_16x16x16_f16 v[54:57], v[10:11], v[8:9], v[2:5]
	v_cvt_pk_f32_fp8_sdwa v[10:11], v47 src0_sel:WORD_1
	s_nop 1
	v_cvt_pkrtz_f16_f32 v2, v12, v13
	v_cvt_pkrtz_f16_f32 v3, v22, v23
	v_cvt_pk_f32_fp8_e32 v[4:5], v47
	v_cvt_pkrtz_f16_f32 v23, v10, v11
	v_cvt_pk_f32_fp8_e32 v[10:11], v48
	v_cvt_pk_f32_fp8_sdwa v[48:49], v49 src0_sel:WORD_1
	v_cvt_pkrtz_f16_f32 v22, v4, v5
	v_mfma_f32_16x16x16_f16 v[2:5], v[2:3], v[26:27], 0
	v_cvt_pkrtz_f16_f32 v10, v10, v11
	v_cvt_pkrtz_f16_f32 v11, v24, v25
	s_waitcnt vmcnt(3)
	v_mad_i64_i32 v[12:13], s[6:7], v69, s45, v[70:71]
	v_mfma_f32_16x16x16_f16 v[2:5], v[22:23], v[28:29], v[2:5]
	s_waitcnt vmcnt(2)
	v_mad_i64_i32 v[46:47], s[6:7], v68, s45, v[70:71]
	global_load_dwordx4 v[30:33], v[12:13], off
	global_load_dwordx4 v[22:25], v[46:47], off
	v_cvt_pkrtz_f16_f32 v12, v72, v73
	v_cvt_pkrtz_f16_f32 v13, v48, v49
	v_mfma_f32_16x16x16_f16 v[2:5], v[10:11], v[18:19], v[2:5]
	v_cvt_pk_f32_fp8_e32 v[10:11], v42
	v_cvt_pk_f32_fp8_sdwa v[46:47], v42 src0_sel:WORD_1
	s_waitcnt vmcnt(3)
	v_mad_i64_i32 v[72:73], s[6:7], v67, s45, v[70:71]
	v_mfma_f32_16x16x16_f16 v[2:5], v[12:13], v[20:21], v[2:5]
	v_cvt_pkrtz_f16_f32 v10, v10, v11
	v_cvt_pkrtz_f16_f32 v11, v46, v47
	v_cvt_pk_f32_fp8_e32 v[12:13], v43
	v_cvt_pk_f32_fp8_sdwa v[42:43], v43 src0_sel:WORD_1
	v_mfma_f32_16x16x16_f16 v[46:49], v[10:11], v[14:15], v[2:5]
	v_cvt_pkrtz_f16_f32 v74, v12, v13
	v_cvt_pkrtz_f16_f32 v75, v42, v43
	v_cvt_pk_f32_fp8_e32 v[42:43], v44
	s_waitcnt vmcnt(2)
	v_mad_i64_i32 v[70:71], s[6:7], v66, s45, v[70:71]
	global_load_dwordx4 v[10:13], v[72:73], off
	global_load_dwordx4 v[2:5], v[70:71], off
	v_cvt_pkrtz_f16_f32 v70, v42, v43
	v_cvt_pkrtz_f16_f32 v71, v76, v77
	v_cvt_pk_f32_fp8_e32 v[72:73], v45
	v_cvt_pk_f32_fp8_sdwa v[76:77], v45 src0_sel:WORD_1
	v_mfma_f32_16x16x16_f16 v[44:47], v[74:75], v[16:17], v[46:49]
	v_lshl_add_u64 v[42:43], s[4:5], 0, v[62:63]
	v_cvt_pk_f32_fp8_e32 v[62:63], v38
	v_cvt_pk_f32_fp8_sdwa v[74:75], v38 src0_sel:WORD_1
	v_cvt_pkrtz_f16_f32 v48, v72, v73
	v_cvt_pkrtz_f16_f32 v49, v76, v77
	v_mfma_f32_16x16x16_f16 v[44:47], v[70:71], v[6:7], v[44:47]
	s_load_dword s4, s[40:41], 0x0
	s_mov_b32 s40, 0xff7fffff
	v_mfma_f32_16x16x16_f16 v[70:73], v[48:49], v[8:9], v[44:47]
	s_nop 3
	v_cvt_pk_f32_fp8_e32 v[44:45], v39
	v_cvt_pkrtz_f16_f32 v46, v62, v63
	v_cvt_pkrtz_f16_f32 v47, v74, v75
	v_cvt_pk_f32_fp8_sdwa v[38:39], v39 src0_sel:WORD_1
	v_cvt_pkrtz_f16_f32 v48, v44, v45
	v_cvt_pk_f32_fp8_e32 v[62:63], v40
	v_cvt_pk_f32_fp8_sdwa v[74:75], v40 src0_sel:WORD_1
	v_cvt_pkrtz_f16_f32 v49, v38, v39
	v_mfma_f32_16x16x16_f16 v[44:47], v[46:47], v[26:27], 0
	v_cvt_pkrtz_f16_f32 v38, v62, v63
	v_cvt_pkrtz_f16_f32 v39, v74, v75
	v_cvt_pk_f32_fp8_e32 v[62:63], v41
	v_cvt_pk_f32_fp8_sdwa v[74:75], v41 src0_sel:WORD_1
	v_mov_b32_e32 v26, s8
	s_waitcnt lgkmcnt(0)
	v_mul_f32_e32 v76, s4, v26
	v_mfma_f32_16x16x16_f16 v[26:29], v[48:49], v[28:29], v[44:47]
	v_cvt_pk_f32_fp8_sdwa v[48:49], v37 src0_sel:WORD_1
	v_pk_mul_f32 v[40:41], v[76:77], v[52:53] op_sel_hi:[0,1]
	v_pk_mul_f32 v[52:53], v[76:77], v[54:55] op_sel_hi:[0,1]
	v_cvt_pkrtz_f16_f32 v46, v62, v63
	v_cvt_pkrtz_f16_f32 v47, v74, v75
	v_mfma_f32_16x16x16_f16 v[26:29], v[38:39], v[18:19], v[26:29]
	v_cvt_pk_f32_fp8_e32 v[18:19], v34
	v_cvt_pk_f32_fp8_sdwa v[38:39], v34 src0_sel:WORD_1
	v_pk_mul_f32 v[44:45], v[76:77], v[50:51] op_sel_hi:[0,1]
	v_mfma_f32_16x16x16_f16 v[26:29], v[46:47], v[20:21], v[26:29]
	v_cvt_pkrtz_f16_f32 v20, v18, v19
	v_cvt_pkrtz_f16_f32 v21, v38, v39
	v_cvt_pk_f32_fp8_e32 v[38:39], v35
	v_cvt_pk_f32_fp8_sdwa v[34:35], v35 src0_sel:WORD_1
	v_mfma_f32_16x16x16_f16 v[26:29], v[20:21], v[14:15], v[26:29]
	v_cvt_pkrtz_f16_f32 v38, v38, v39
	v_cvt_pkrtz_f16_f32 v39, v34, v35
	v_cvt_pk_f32_fp8_e32 v[14:15], v36
	v_cvt_pk_f32_fp8_sdwa v[20:21], v36 src0_sel:WORD_1
	v_pk_mul_f32 v[50:51], v[76:77], v[70:71] op_sel_hi:[0,1]
	v_mad_i64_i32 v[18:19], s[4:5], v69, s45, v[42:43]
	v_cvt_pkrtz_f16_f32 v46, v14, v15
	v_cvt_pkrtz_f16_f32 v47, v20, v21
	v_cvt_pk_f32_fp8_e32 v[20:21], v37
	v_mfma_f32_16x16x16_f16 v[14:17], v[38:39], v[16:17], v[26:29]
	v_pk_mul_f32 v[36:37], v[76:77], v[56:57] op_sel_hi:[0,1]
	v_mad_i64_i32 v[34:35], s[4:5], v68, s45, v[42:43]
	v_cvt_pkrtz_f16_f32 v20, v20, v21
	v_cvt_pkrtz_f16_f32 v21, v48, v49
	v_mfma_f32_16x16x16_f16 v[14:17], v[46:47], v[6:7], v[14:17]
	v_pk_mul_f32 v[46:47], v[76:77], v[72:73] op_sel_hi:[0,1]
	v_mfma_f32_16x16x16_f16 v[6:9], v[20:21], v[8:9], v[14:17]
	global_load_dwordx4 v[26:29], v[18:19], off
	s_nop 0
	global_load_dwordx4 v[18:21], v[34:35], off
	s_nop 3
	v_pk_mul_f32 v[48:49], v[76:77], v[6:7] op_sel_hi:[0,1]
	v_and_b32_e32 v6, 0xc0, v0
	v_add_u32_e32 v6, s18, v6
	v_lshl_or_b32 v6, v64, 2, v6
	v_pk_mul_f32 v[38:39], v[76:77], v[8:9] op_sel_hi:[0,1]
	v_or_b32_e32 v9, 1, v6
	v_mov_b32_e32 v7, 0xff7fffff
	v_cmp_gt_i32_e64 s[26:27], s33, v6
	v_cmp_gt_i32_e64 s[28:29], s33, v9
	v_or_b32_e32 v14, 3, v6
	v_cndmask_b32_e64 v8, v7, v44, s[26:27]
	v_cndmask_b32_e64 v9, v7, v45, s[28:29]
	v_max3_f32 v8, v8, s40, v9
	v_or_b32_e32 v9, 2, v6
	v_cmp_gt_i32_e64 s[30:31], s33, v9
	v_cmp_gt_i32_e64 s[34:35], s33, v14
	s_nop 0
	v_cndmask_b32_e64 v9, v7, v40, s[30:31]
	v_cndmask_b32_e64 v14, v7, v41, s[34:35]
	v_max3_f32 v8, v8, v9, v14
	v_or_b32_e32 v9, 16, v6
	v_or_b32_e32 v14, 17, v6
	v_cmp_gt_i32_e64 s[18:19], s33, v9
	v_cmp_gt_i32_e64 s[20:21], s33, v14
	s_nop 0
	v_cndmask_b32_e64 v9, v7, v52, s[18:19]
	v_cndmask_b32_e64 v14, v7, v53, s[20:21]
	v_max3_f32 v8, v8, v9, v14
	v_or_b32_e32 v9, 18, v6
	;; [unrolled: 8-line block ×5, first 2 shown]
	v_or_b32_e32 v14, 49, v6
	v_cmp_gt_i32_e32 vcc, s33, v9
	v_cmp_gt_i32_e64 s[4:5], s33, v14
	s_nop 0
	v_cndmask_b32_e32 v9, v7, v48, vcc
	v_cndmask_b32_e64 v14, v7, v49, s[4:5]
	v_max3_f32 v8, v8, v9, v14
	v_or_b32_e32 v9, 50, v6
	v_or_b32_e32 v6, 51, v6
	v_cmp_gt_i32_e64 s[6:7], s33, v9
	v_cmp_gt_i32_e64 s[8:9], s33, v6
	s_nop 0
	v_cndmask_b32_e64 v9, v7, v38, s[6:7]
	v_cndmask_b32_e64 v6, v7, v39, s[8:9]
	v_max3_f32 v8, v8, v9, v6
	v_mbcnt_lo_u32_b32 v6, -1, 0
	v_mbcnt_hi_u32_b32 v9, -1, v6
	v_and_b32_e32 v6, 64, v9
	v_add_u32_e32 v14, 64, v6
	v_xor_b32_e32 v6, 32, v9
	v_cmp_lt_i32_e64 s[38:39], v6, v14
	s_nop 1
	v_cndmask_b32_e64 v6, v9, v6, s[38:39]
	v_lshlrev_b32_e32 v55, 2, v6
	ds_bpermute_b32 v15, v55, v8
	v_mad_i64_i32 v[6:7], s[38:39], v67, s45, v[42:43]
	s_waitcnt lgkmcnt(0)
	v_max_f32_e32 v15, v15, v15
	v_max_f32_e32 v34, v8, v15
	v_xor_b32_e32 v8, 16, v9
	v_cmp_lt_i32_e64 s[38:39], v8, v14
	s_nop 1
	v_cndmask_b32_e64 v8, v9, v8, s[38:39]
	v_lshlrev_b32_e32 v56, 2, v8
	v_mad_i64_i32 v[8:9], s[38:39], v66, s45, v[42:43]
	global_load_dwordx4 v[14:17], v[6:7], off
	s_nop 0
	global_load_dwordx4 v[6:9], v[8:9], off
	ds_bpermute_b32 v35, v56, v34
	s_waitcnt lgkmcnt(0)
	s_barrier
	v_max_f32_e32 v35, v35, v35
	v_max_f32_e32 v54, v34, v35
	v_sub_f32_e32 v42, v52, v54
	v_mul_f32_e32 v42, 0x3fb8aa3b, v42
	v_exp_f32_e32 v42, v42
	v_sub_f32_e32 v36, v36, v54
	v_sub_f32_e32 v34, v44, v54
	v_mul_f32_e32 v36, 0x3fb8aa3b, v36
	v_mul_f32_e32 v34, 0x3fb8aa3b, v34
	v_sub_f32_e32 v35, v45, v54
	v_sub_f32_e32 v43, v53, v54
	v_exp_f32_e32 v44, v36
	v_sub_f32_e32 v36, v37, v54
	v_sub_f32_e32 v48, v48, v54
	;; [unrolled: 1-line block ×3, first 2 shown]
	v_exp_f32_e32 v34, v34
	v_mul_f32_e32 v35, 0x3fb8aa3b, v35
	v_sub_f32_e32 v40, v40, v54
	v_mul_f32_e32 v43, 0x3fb8aa3b, v43
	v_mul_f32_e32 v36, 0x3fb8aa3b, v36
	;; [unrolled: 1-line block ×4, first 2 shown]
	v_exp_f32_e32 v35, v35
	v_mul_f32_e32 v40, 0x3fb8aa3b, v40
	v_sub_f32_e32 v41, v41, v54
	v_exp_f32_e32 v43, v43
	v_exp_f32_e32 v45, v36
	v_cndmask_b32_e64 v36, 0, v42, s[18:19]
	v_sub_f32_e32 v42, v50, v54
	v_exp_f32_e32 v48, v48
	v_exp_f32_e32 v50, v38
	;; [unrolled: 1-line block ×3, first 2 shown]
	v_mul_f32_e32 v41, 0x3fb8aa3b, v41
	v_exp_f32_e32 v41, v41
	v_sub_f32_e32 v38, v39, v54
	v_cndmask_b32_e64 v34, 0, v34, s[26:27]
	v_mul_f32_e32 v38, 0x3fb8aa3b, v38
	v_cndmask_b32_e64 v35, 0, v35, s[28:29]
	v_cndmask_b32_e64 v37, 0, v43, s[20:21]
	v_sub_f32_e32 v43, v51, v54
	v_exp_f32_e32 v51, v38
	v_cndmask_b32_e32 v38, 0, v48, vcc
	v_cndmask_b32_e64 v48, 0, v50, s[6:7]
	v_add_f32_e32 v50, 0, v34
	v_cndmask_b32_e64 v40, 0, v40, s[30:31]
	v_add_f32_e32 v50, v50, v35
	v_cndmask_b32_e64 v41, 0, v41, s[34:35]
	v_mul_f32_e32 v42, 0x3fb8aa3b, v42
	v_add_f32_e32 v50, v50, v40
	v_exp_f32_e32 v42, v42
	v_mul_f32_e32 v43, 0x3fb8aa3b, v43
	v_sub_f32_e32 v46, v46, v54
	v_add_f32_e32 v50, v50, v41
	v_exp_f32_e32 v43, v43
	v_mul_f32_e32 v46, 0x3fb8aa3b, v46
	v_sub_f32_e32 v47, v47, v54
	v_add_f32_e32 v50, v50, v36
	v_cndmask_b32_e64 v44, 0, v44, s[22:23]
	v_exp_f32_e32 v46, v46
	v_mul_f32_e32 v47, 0x3fb8aa3b, v47
	v_add_f32_e32 v50, v50, v37
	v_cndmask_b32_e64 v45, 0, v45, s[36:37]
	v_exp_f32_e32 v47, v47
	v_sub_f32_e32 v49, v49, v54
	v_add_f32_e32 v50, v50, v44
	v_cndmask_b32_e64 v42, 0, v42, s[10:11]
	v_mul_f32_e32 v49, 0x3fb8aa3b, v49
	v_add_f32_e32 v50, v50, v45
	v_cndmask_b32_e64 v43, 0, v43, s[12:13]
	v_exp_f32_e32 v49, v49
	v_add_f32_e32 v50, v50, v42
	v_cndmask_b32_e64 v46, 0, v46, s[14:15]
	v_add_f32_e32 v50, v50, v43
	v_cndmask_b32_e64 v47, 0, v47, s[16:17]
	v_add_f32_e32 v50, v50, v46
	v_add_f32_e32 v50, v50, v47
	v_cndmask_b32_e64 v39, 0, v49, s[4:5]
	v_add_f32_e32 v50, v50, v38
	;; [unrolled: 3-line block ×3, first 2 shown]
	v_add_f32_e32 v50, v50, v49
	ds_bpermute_b32 v51, v55, v50
	v_cmp_gt_u32_e32 vcc, 16, v65
	s_waitcnt lgkmcnt(0)
	v_add_f32_e32 v50, v50, v51
	ds_bpermute_b32 v51, v56, v50
	s_and_saveexec_b64 s[4:5], vcc
	s_cbranch_execz .LBB994_13
; %bb.12:
	s_waitcnt lgkmcnt(0)
	v_add_f32_e32 v50, v50, v51
	v_lshlrev_b32_e32 v51, 2, v59
	ds_write2st64_b32 v51, v54, v50 offset1:1
.LBB994_13:
	s_or_b64 exec, exec, s[4:5]
	s_waitcnt lgkmcnt(0)
	v_lshlrev_b32_e32 v51, 2, v60
	s_load_dword s6, s[0:1], 0x94
	s_waitcnt lgkmcnt(0)
	s_barrier
	ds_read2_b32 v[52:53], v51 offset1:16
	ds_read2_b32 v[54:55], v51 offset0:32 offset1:48
	ds_read2_b32 v[56:57], v51 offset0:64 offset1:80
	s_mul_i32 s7, s25, 7
	s_waitcnt lgkmcnt(2)
	v_max3_f32 v50, v52, s40, v53
	s_waitcnt lgkmcnt(1)
	v_max3_f32 v50, v50, v54, v55
	v_sub_f32_e32 v52, v52, v50
	v_mul_f32_e32 v52, 0x3fb8aa3b, v52
	v_exp_f32_e32 v59, v52
	v_sub_f32_e32 v52, v53, v50
	v_mul_f32_e32 v52, 0x3fb8aa3b, v52
	v_exp_f32_e32 v62, v52
	;; [unrolled: 3-line block ×3, first 2 shown]
	ds_read2_b32 v[52:53], v51 offset0:96 offset1:112
	v_sub_f32_e32 v51, v55, v50
	v_mul_f32_e32 v51, 0x3fb8aa3b, v51
	v_exp_f32_e32 v55, v51
	s_waitcnt lgkmcnt(1)
	v_fma_f32 v51, v59, v56, 0
	v_fmac_f32_e32 v51, v62, v57
	s_waitcnt lgkmcnt(0)
	v_fmac_f32_e32 v51, v54, v52
	v_fmac_f32_e32 v51, v55, v53
	v_add_f32_e32 v52, 0x358637bd, v51
	v_div_scale_f32 v53, s[4:5], v52, v52, 1.0
	v_rcp_f32_e32 v56, v53
	s_barrier
	v_fma_f32 v57, -v53, v56, 1.0
	v_fmac_f32_e32 v56, v57, v56
	v_div_scale_f32 v57, vcc, 1.0, v52, 1.0
	v_mul_f32_e32 v63, v57, v56
	v_fma_f32 v65, -v53, v63, v57
	v_fmac_f32_e32 v63, v65, v56
	v_fma_f32 v53, -v53, v63, v57
	v_div_fmas_f32 v53, v53, v56, v63
	v_cmp_eq_u32_e32 vcc, 1, v61
	v_div_fixup_f32 v52, v53, v52, 1.0
	s_nop 0
	v_cndmask_b32_e32 v53, v59, v62, vcc
	v_cmp_eq_u32_e32 vcc, 2, v61
	s_nop 1
	v_cndmask_b32_e32 v53, v53, v54, vcc
	v_cmp_eq_u32_e32 vcc, 3, v61
	s_nop 1
	v_cndmask_b32_e32 v53, v53, v55, vcc
	v_mul_f32_e32 v52, v53, v52
	v_pk_mul_f32 v[40:41], v[52:53], v[40:41] op_sel_hi:[0,1]
	v_pk_mul_f32 v[34:35], v[52:53], v[34:35] op_sel_hi:[0,1]
	v_cvt_f16_f32_e32 v53, v40
	v_cvt_f16_f32_e32 v34, v34
	;; [unrolled: 1-line block ×4, first 2 shown]
	v_pk_mul_f32 v[44:45], v[52:53], v[44:45] op_sel_hi:[0,1]
	v_pk_mul_f32 v[36:37], v[52:53], v[36:37] op_sel_hi:[0,1]
	v_cvt_f16_f32_e32 v36, v36
	v_cvt_f16_f32_e32 v37, v37
	;; [unrolled: 1-line block ×4, first 2 shown]
	v_pack_b32_f16 v40, v34, v35
	v_pack_b32_f16 v41, v53, v41
	v_lshlrev_b32_e32 v35, 3, v64
	v_lshlrev_b32_e32 v34, 5, v60
	;; [unrolled: 1-line block ×3, first 2 shown]
	v_or3_b32 v54, v53, v34, v35
	v_pack_b32_f16 v36, v36, v37
	v_pack_b32_f16 v37, v44, v45
	ds_write2st64_b64 v54, v[40:41], v[36:37] offset1:1
	v_pk_mul_f32 v[36:37], v[52:53], v[46:47] op_sel_hi:[0,1]
	v_pk_mul_f32 v[40:41], v[52:53], v[42:43] op_sel_hi:[0,1]
	v_cvt_f16_f32_e32 v35, v40
	v_cvt_f16_f32_e32 v40, v41
	;; [unrolled: 1-line block ×4, first 2 shown]
	v_pk_mul_f32 v[36:37], v[52:53], v[48:49] op_sel_hi:[0,1]
	v_pk_mul_f32 v[38:39], v[52:53], v[38:39] op_sel_hi:[0,1]
	v_cvt_f16_f32_e32 v38, v38
	v_cvt_f16_f32_e32 v39, v39
	;; [unrolled: 1-line block ×4, first 2 shown]
	v_pack_b32_f16 v36, v35, v40
	v_pack_b32_f16 v37, v41, v42
	;; [unrolled: 1-line block ×4, first 2 shown]
	v_cmp_gt_u32_e32 vcc, 7, v0
	ds_write2st64_b64 v54, v[36:37], v[38:39] offset0:2 offset1:3
	s_and_saveexec_b64 s[4:5], vcc
	s_cbranch_execz .LBB994_15
; %bb.14:
	s_mov_b32 s49, 0
	v_mov_b32_e32 v61, 0
	v_lshl_add_u64 v[36:37], s[48:49], 0, v[60:61]
	v_mov_b32_e32 v35, s7
	v_mad_u64_u32 v[36:37], s[12:13], s2, v35, v[36:37]
	s_mul_i32 s3, s3, s7
	v_mov_b32_e32 v38, s24
	v_mov_b32_e32 v39, v61
	s_load_dwordx4 s[8:11], s[0:1], 0x58
	v_add_u32_e32 v35, s3, v37
	v_mad_u64_u32 v[36:37], s[12:13], v36, s6, v[38:39]
	v_mov_b32_e32 v38, v37
	v_mad_u64_u32 v[38:39], s[12:13], v35, s6, v[38:39]
	v_mov_b32_e32 v37, v38
	v_lshlrev_b64 v[36:37], 2, v[36:37]
	s_waitcnt lgkmcnt(0)
	v_lshl_add_u64 v[38:39], s[10:11], 0, v[36:37]
	v_lshl_add_u64 v[36:37], s[8:9], 0, v[36:37]
	global_store_dword v[38:39], v50, off
	global_store_dword v[36:37], v51, off
.LBB994_15:
	s_or_b64 exec, exec, s[4:5]
	s_waitcnt vmcnt(7)
	v_cvt_pk_f32_fp8_e32 v[36:37], v30
	v_lshl_or_b32 v50, v64, 9, v34
	v_cvt_pk_f32_fp8_sdwa v[34:35], v30 src0_sel:WORD_1
	s_waitcnt lgkmcnt(0)
	s_barrier
	v_cvt_pk_f32_fp8_e32 v[38:39], v31
	v_cvt_pkrtz_f16_f32 v30, v36, v37
	v_cvt_pk_f32_fp8_sdwa v[40:41], v31 src0_sel:WORD_1
	v_cvt_pkrtz_f16_f32 v31, v34, v35
	ds_read_b128 v[34:37], v50
	v_cvt_pkrtz_f16_f32 v46, v38, v39
	v_cvt_pkrtz_f16_f32 v47, v40, v41
	ds_read_b128 v[38:41], v50 offset:16
	v_cvt_pk_f32_fp8_e32 v[48:49], v32
	v_cvt_pk_f32_fp8_sdwa v[52:53], v32 src0_sel:WORD_1
	s_waitcnt lgkmcnt(1)
	v_mfma_f32_16x16x16_f16 v[42:45], v[30:31], v[34:35], 0
	s_waitcnt vmcnt(6)
	v_cvt_pk_f32_fp8_e32 v[56:57], v24
	v_cvt_pkrtz_f16_f32 v30, v48, v49
	v_cvt_pkrtz_f16_f32 v31, v52, v53
	v_cvt_pk_f32_fp8_e32 v[48:49], v33
	v_mfma_f32_16x16x16_f16 v[42:45], v[46:47], v[36:37], v[42:45]
	v_cvt_pk_f32_fp8_sdwa v[46:47], v33 src0_sel:WORD_1
	v_cvt_pk_f32_fp8_sdwa v[62:63], v24 src0_sel:WORD_1
	v_cvt_pkrtz_f16_f32 v48, v48, v49
	s_waitcnt lgkmcnt(0)
	v_mfma_f32_16x16x16_f16 v[30:33], v[30:31], v[38:39], v[42:45]
	v_cvt_pkrtz_f16_f32 v49, v46, v47
	s_waitcnt vmcnt(4)
	v_cvt_pk_f32_fp8_sdwa v[70:71], v4 src0_sel:WORD_1
	s_waitcnt vmcnt(3)
	v_cvt_pk_f32_fp8_sdwa v[72:73], v28 src0_sel:WORD_1
	v_cvt_pk_f32_fp8_e32 v[42:43], v22
	v_mfma_f32_16x16x16_f16 v[46:49], v[48:49], v[40:41], v[30:33]
	s_load_dword s4, s[42:43], 0x0
	s_mov_b32 s3, 0
	s_nop 0
	v_cvt_pk_f32_fp8_sdwa v[30:31], v22 src0_sel:WORD_1
	v_cvt_pk_f32_fp8_e32 v[32:33], v23
	v_cvt_pkrtz_f16_f32 v22, v42, v43
	v_cvt_pk_f32_fp8_sdwa v[42:43], v23 src0_sel:WORD_1
	v_cvt_pkrtz_f16_f32 v23, v30, v31
	v_cvt_pkrtz_f16_f32 v52, v32, v33
	ds_read_b128 v[30:33], v50 offset:2048
	v_cvt_pkrtz_f16_f32 v53, v42, v43
	ds_read_b128 v[42:45], v50 offset:2064
	s_waitcnt lgkmcnt(0)
	v_mfma_f32_16x16x16_f16 v[46:49], v[22:23], v[30:31], v[46:49]
	v_cvt_pkrtz_f16_f32 v22, v56, v57
	v_cvt_pkrtz_f16_f32 v23, v62, v63
	v_cvt_pk_f32_fp8_e32 v[56:57], v25
	v_mfma_f32_16x16x16_f16 v[46:49], v[52:53], v[32:33], v[46:49]
	v_cvt_pk_f32_fp8_sdwa v[52:53], v25 src0_sel:WORD_1
	v_cvt_pk_f32_fp8_sdwa v[62:63], v12 src0_sel:WORD_1
	v_cvt_pkrtz_f16_f32 v56, v56, v57
	v_mfma_f32_16x16x16_f16 v[22:25], v[22:23], v[42:43], v[46:49]
	v_cvt_pkrtz_f16_f32 v57, v52, v53
	v_cmp_gt_u32_e32 vcc, 64, v0
	s_nop 0
	v_cvt_pk_f32_fp8_e32 v[46:47], v10
	v_mfma_f32_16x16x16_f16 v[66:69], v[56:57], v[44:45], v[22:25]
	v_cvt_pk_f32_fp8_e32 v[56:57], v12
	s_nop 1
	v_cvt_pk_f32_fp8_sdwa v[22:23], v10 src0_sel:WORD_1
	v_cvt_pk_f32_fp8_e32 v[24:25], v11
	v_cvt_pkrtz_f16_f32 v10, v46, v47
	v_cvt_pk_f32_fp8_sdwa v[46:47], v11 src0_sel:WORD_1
	v_cvt_pkrtz_f16_f32 v11, v22, v23
	v_cvt_pkrtz_f16_f32 v52, v24, v25
	ds_read_b128 v[22:25], v50 offset:4096
	v_cvt_pkrtz_f16_f32 v53, v46, v47
	ds_read_b128 v[46:49], v50 offset:4112
	s_waitcnt lgkmcnt(1)
	v_mfma_f32_16x16x16_f16 v[66:69], v[10:11], v[22:23], v[66:69]
	v_cvt_pkrtz_f16_f32 v10, v56, v57
	v_cvt_pkrtz_f16_f32 v11, v62, v63
	v_cvt_pk_f32_fp8_e32 v[56:57], v13
	v_mfma_f32_16x16x16_f16 v[66:69], v[52:53], v[24:25], v[66:69]
	v_cvt_pk_f32_fp8_sdwa v[52:53], v13 src0_sel:WORD_1
	v_cvt_pk_f32_fp8_e32 v[62:63], v4
	v_cvt_pkrtz_f16_f32 v56, v56, v57
	s_waitcnt lgkmcnt(0)
	v_mfma_f32_16x16x16_f16 v[10:13], v[10:11], v[46:47], v[66:69]
	v_cvt_pkrtz_f16_f32 v57, v52, v53
	v_cvt_pk_f32_fp8_e32 v[52:53], v2
	s_nop 0
	v_mfma_f32_16x16x16_f16 v[66:69], v[56:57], v[48:49], v[10:13]
	s_nop 2
	v_cvt_pk_f32_fp8_sdwa v[10:11], v2 src0_sel:WORD_1
	v_cvt_pk_f32_fp8_e32 v[12:13], v3
	v_cvt_pkrtz_f16_f32 v2, v52, v53
	v_cvt_pk_f32_fp8_sdwa v[52:53], v3 src0_sel:WORD_1
	v_cvt_pkrtz_f16_f32 v3, v10, v11
	v_cvt_pkrtz_f16_f32 v56, v12, v13
	ds_read_b128 v[10:13], v50 offset:6144
	v_cvt_pkrtz_f16_f32 v57, v52, v53
	s_waitcnt lgkmcnt(0)
	v_mfma_f32_16x16x16_f16 v[66:69], v[2:3], v[10:11], v[66:69]
	ds_read_b128 v[50:53], v50 offset:6160
	v_cvt_pkrtz_f16_f32 v2, v62, v63
	v_cvt_pkrtz_f16_f32 v3, v70, v71
	v_cvt_pk_f32_fp8_e32 v[62:63], v5
	v_mfma_f32_16x16x16_f16 v[66:69], v[56:57], v[12:13], v[66:69]
	v_cvt_pk_f32_fp8_sdwa v[56:57], v5 src0_sel:WORD_1
	v_cvt_pk_f32_fp8_e32 v[70:71], v28
	v_cvt_pkrtz_f16_f32 v62, v62, v63
	s_waitcnt lgkmcnt(0)
	v_mfma_f32_16x16x16_f16 v[2:5], v[2:3], v[50:51], v[66:69]
	v_cvt_pkrtz_f16_f32 v63, v56, v57
	v_cvt_pk_f32_fp8_e32 v[56:57], v26
	s_nop 0
	v_cvt_pk_f32_fp8_sdwa v[66:67], v26 src0_sel:WORD_1
	v_mfma_f32_16x16x16_f16 v[2:5], v[62:63], v[52:53], v[2:5]
	v_cvt_pk_f32_fp8_e32 v[62:63], v27
	v_cvt_pkrtz_f16_f32 v56, v56, v57
	v_cvt_pkrtz_f16_f32 v57, v66, v67
	v_cvt_pk_f32_fp8_sdwa v[26:27], v27 src0_sel:WORD_1
	v_cvt_pkrtz_f16_f32 v62, v62, v63
	v_mfma_f32_16x16x16_f16 v[66:69], v[56:57], v[34:35], 0
	v_cvt_pkrtz_f16_f32 v63, v26, v27
	v_cvt_pkrtz_f16_f32 v26, v70, v71
	;; [unrolled: 1-line block ×3, first 2 shown]
	v_cvt_pk_f32_fp8_e32 v[56:57], v29
	v_mfma_f32_16x16x16_f16 v[34:37], v[62:63], v[36:37], v[66:69]
	v_cvt_pk_f32_fp8_sdwa v[62:63], v29 src0_sel:WORD_1
	v_cvt_pkrtz_f16_f32 v56, v56, v57
	s_barrier
	v_mfma_f32_16x16x16_f16 v[26:29], v[26:27], v[38:39], v[34:37]
	v_cvt_pkrtz_f16_f32 v57, v62, v63
	s_waitcnt vmcnt(2)
	v_cvt_pk_f32_fp8_e32 v[38:39], v19
	v_cvt_pk_f32_fp8_e32 v[34:35], v18
	v_cvt_pk_f32_fp8_sdwa v[36:37], v18 src0_sel:WORD_1
	v_cvt_pk_f32_fp8_sdwa v[18:19], v19 src0_sel:WORD_1
	v_mfma_f32_16x16x16_f16 v[26:29], v[56:57], v[40:41], v[26:29]
	v_cvt_pkrtz_f16_f32 v34, v34, v35
	v_cvt_pkrtz_f16_f32 v35, v36, v37
	v_cvt_pkrtz_f16_f32 v36, v38, v39
	v_cvt_pk_f32_fp8_e32 v[38:39], v20
	v_cvt_pk_f32_fp8_sdwa v[40:41], v20 src0_sel:WORD_1
	v_cvt_pkrtz_f16_f32 v37, v18, v19
	v_mfma_f32_16x16x16_f16 v[26:29], v[34:35], v[30:31], v[26:29]
	v_cvt_pkrtz_f16_f32 v30, v38, v39
	v_cvt_pkrtz_f16_f32 v31, v40, v41
	v_cvt_pk_f32_fp8_e32 v[34:35], v21
	v_cvt_pk_f32_fp8_sdwa v[38:39], v21 src0_sel:WORD_1
	v_mfma_f32_16x16x16_f16 v[18:21], v[36:37], v[32:33], v[26:29]
	s_waitcnt vmcnt(1)
	v_cvt_pk_f32_fp8_sdwa v[32:33], v16 src0_sel:WORD_1
	s_nop 0
	v_cvt_pkrtz_f16_f32 v26, v34, v35
	v_cvt_pkrtz_f16_f32 v27, v38, v39
	v_mfma_f32_16x16x16_f16 v[18:21], v[30:31], v[42:43], v[18:21]
	v_cvt_pk_f32_fp8_e32 v[28:29], v14
	v_cvt_pk_f32_fp8_sdwa v[30:31], v14 src0_sel:WORD_1
	v_cvt_pkrtz_f16_f32 v28, v28, v29
	v_mfma_f32_16x16x16_f16 v[18:21], v[26:27], v[44:45], v[18:21]
	v_cvt_pk_f32_fp8_e32 v[26:27], v15
	v_cvt_pkrtz_f16_f32 v29, v30, v31
	v_cvt_pk_f32_fp8_sdwa v[14:15], v15 src0_sel:WORD_1
	v_cvt_pk_f32_fp8_e32 v[30:31], v16
	v_cvt_pkrtz_f16_f32 v26, v26, v27
	v_mfma_f32_16x16x16_f16 v[18:21], v[28:29], v[22:23], v[18:21]
	v_cvt_pkrtz_f16_f32 v27, v14, v15
	v_cvt_pkrtz_f16_f32 v22, v30, v31
	;; [unrolled: 1-line block ×3, first 2 shown]
	v_cvt_pk_f32_fp8_e32 v[28:29], v17
	v_cvt_pk_f32_fp8_sdwa v[30:31], v17 src0_sel:WORD_1
	v_mfma_f32_16x16x16_f16 v[14:17], v[26:27], v[24:25], v[18:21]
	s_waitcnt vmcnt(0)
	v_cvt_pk_f32_fp8_sdwa v[24:25], v6 src0_sel:WORD_1
	s_nop 0
	v_pk_mul_f32 v[18:19], v[4:5], s[4:5] op_sel_hi:[1,0]
	v_cvt_pkrtz_f16_f32 v4, v28, v29
	v_cvt_pkrtz_f16_f32 v5, v30, v31
	v_mfma_f32_16x16x16_f16 v[14:17], v[22:23], v[46:47], v[14:17]
	v_cvt_pk_f32_fp8_e32 v[22:23], v6
	v_pk_mul_f32 v[20:21], v[2:3], s[4:5] op_sel_hi:[1,0]
	v_mfma_f32_16x16x16_f16 v[2:5], v[4:5], v[48:49], v[14:17]
	s_nop 3
	v_cvt_pk_f32_fp8_e32 v[14:15], v7
	v_cvt_pkrtz_f16_f32 v16, v22, v23
	v_cvt_pkrtz_f16_f32 v17, v24, v25
	v_cvt_pk_f32_fp8_sdwa v[6:7], v7 src0_sel:WORD_1
	v_cvt_pkrtz_f16_f32 v14, v14, v15
	v_cvt_pk_f32_fp8_e32 v[22:23], v8
	v_cvt_pk_f32_fp8_sdwa v[24:25], v8 src0_sel:WORD_1
	v_cvt_pkrtz_f16_f32 v15, v6, v7
	v_mfma_f32_16x16x16_f16 v[2:5], v[16:17], v[10:11], v[2:5]
	v_cvt_pkrtz_f16_f32 v6, v22, v23
	v_cvt_pkrtz_f16_f32 v7, v24, v25
	v_cvt_pk_f32_fp8_e32 v[10:11], v9
	v_cvt_pk_f32_fp8_sdwa v[8:9], v9 src0_sel:WORD_1
	v_mfma_f32_16x16x16_f16 v[2:5], v[14:15], v[12:13], v[2:5]
	v_cvt_f16_f32_e32 v12, v20
	v_cvt_pkrtz_f16_f32 v10, v10, v11
	v_cvt_pkrtz_f16_f32 v11, v8, v9
	v_mfma_f32_16x16x16_f16 v[2:5], v[6:7], v[50:51], v[2:5]
	v_cvt_f16_f32_e32 v6, v21
	v_cvt_f16_f32_e32 v7, v18
	;; [unrolled: 1-line block ×3, first 2 shown]
	v_mfma_f32_16x16x16_f16 v[2:5], v[10:11], v[52:53], v[2:5]
	s_nop 6
	v_pk_mul_f32 v[4:5], v[4:5], s[4:5] op_sel_hi:[1,0]
	v_pk_mul_f32 v[2:3], v[2:3], s[4:5] op_sel_hi:[1,0]
	v_cvt_f16_f32_e32 v11, v4
	v_cvt_f16_f32_e32 v9, v2
	;; [unrolled: 1-line block ×4, first 2 shown]
	v_pack_b32_f16 v2, v12, v6
	v_pack_b32_f16 v3, v7, v8
	;; [unrolled: 1-line block ×4, first 2 shown]
	ds_write2st64_b64 v54, v[2:3], v[4:5] offset1:1
	s_waitcnt lgkmcnt(0)
	s_barrier
	s_and_saveexec_b64 s[4:5], vcc
	s_cbranch_execz .LBB994_18
; %bb.16:
	s_load_dwordx2 s[4:5], s[0:1], 0x68
	s_lshl_b32 s0, s6, 7
	s_mul_i32 s1, s7, s2
	v_lshlrev_b32_e32 v3, 6, v60
	s_mul_hi_u32 s7, s1, s0
	s_mul_i32 s6, s1, s0
	v_lshl_or_b32 v0, v0, 10, v3
	s_lshl_b64 s[6:7], s[6:7], 1
	v_lshlrev_b32_e32 v2, 5, v64
	v_and_b32_e32 v1, 16, v1
	v_and_b32_e32 v0, 0x1a00, v0
	s_waitcnt lgkmcnt(0)
	s_add_u32 s1, s4, s6
	v_or3_b32 v2, v0, v2, v1
	s_addc_u32 s4, s5, s7
	s_lshl_b32 s2, s24, 7
	s_lshl_b64 s[2:3], s[2:3], 1
	ds_read_b128 v[4:7], v2
	s_add_u32 s2, s1, s2
	s_addc_u32 s3, s4, s3
	v_mov_b32_e32 v59, 0
	v_add_u32_e32 v3, s48, v64
	v_lshl_add_u64 v[0:1], s[2:3], 0, v[58:59]
	v_mad_u64_u32 v[8:9], s[2:3], v3, s0, 0
	v_lshl_add_u64 v[8:9], v[8:9], 1, v[0:1]
	v_cmp_ne_u32_e32 vcc, 3, v64
	s_waitcnt lgkmcnt(0)
	global_store_dwordx4 v[8:9], v[4:7], off
	s_and_b64 exec, exec, vcc
	s_cbranch_execz .LBB994_18
; %bb.17:
	ds_read_b128 v[2:5], v2 offset:128
	v_add3_u32 v6, s48, v64, 4
	v_mad_u64_u32 v[6:7], s[0:1], v6, s0, 0
	v_lshl_add_u64 v[0:1], v[6:7], 1, v[0:1]
	s_waitcnt lgkmcnt(0)
	global_store_dwordx4 v[0:1], v[2:5], off
.LBB994_18:
	s_endpgm
	.section	.rodata,"a",@progbits
	.p2align	6, 0x0
	.amdhsa_kernel _Z39paged_attention_ll4mi_QKV_mfma16_kernelIDF16_hLN4vllm18Fp8KVCacheDataTypeE1EDF16_Li16ELi128ELi256ELb0ELi7EEvPKT_PKT0_S7_ifPKiS9_S9_iPKfiiiPfSC_PS2_PT2_iSB_SB_
		.amdhsa_group_segment_fixed_size 8192
		.amdhsa_private_segment_fixed_size 0
		.amdhsa_kernarg_size 400
		.amdhsa_user_sgpr_count 2
		.amdhsa_user_sgpr_dispatch_ptr 0
		.amdhsa_user_sgpr_queue_ptr 0
		.amdhsa_user_sgpr_kernarg_segment_ptr 1
		.amdhsa_user_sgpr_dispatch_id 0
		.amdhsa_user_sgpr_kernarg_preload_length 0
		.amdhsa_user_sgpr_kernarg_preload_offset 0
		.amdhsa_user_sgpr_private_segment_size 0
		.amdhsa_uses_dynamic_stack 0
		.amdhsa_enable_private_segment 0
		.amdhsa_system_sgpr_workgroup_id_x 1
		.amdhsa_system_sgpr_workgroup_id_y 1
		.amdhsa_system_sgpr_workgroup_id_z 1
		.amdhsa_system_sgpr_workgroup_info 0
		.amdhsa_system_vgpr_workitem_id 0
		.amdhsa_next_free_vgpr 86
		.amdhsa_next_free_sgpr 50
		.amdhsa_accum_offset 88
		.amdhsa_reserve_vcc 1
		.amdhsa_float_round_mode_32 0
		.amdhsa_float_round_mode_16_64 0
		.amdhsa_float_denorm_mode_32 3
		.amdhsa_float_denorm_mode_16_64 3
		.amdhsa_dx10_clamp 1
		.amdhsa_ieee_mode 1
		.amdhsa_fp16_overflow 0
		.amdhsa_tg_split 0
		.amdhsa_exception_fp_ieee_invalid_op 0
		.amdhsa_exception_fp_denorm_src 0
		.amdhsa_exception_fp_ieee_div_zero 0
		.amdhsa_exception_fp_ieee_overflow 0
		.amdhsa_exception_fp_ieee_underflow 0
		.amdhsa_exception_fp_ieee_inexact 0
		.amdhsa_exception_int_div_zero 0
	.end_amdhsa_kernel
	.section	.text._Z39paged_attention_ll4mi_QKV_mfma16_kernelIDF16_hLN4vllm18Fp8KVCacheDataTypeE1EDF16_Li16ELi128ELi256ELb0ELi7EEvPKT_PKT0_S7_ifPKiS9_S9_iPKfiiiPfSC_PS2_PT2_iSB_SB_,"axG",@progbits,_Z39paged_attention_ll4mi_QKV_mfma16_kernelIDF16_hLN4vllm18Fp8KVCacheDataTypeE1EDF16_Li16ELi128ELi256ELb0ELi7EEvPKT_PKT0_S7_ifPKiS9_S9_iPKfiiiPfSC_PS2_PT2_iSB_SB_,comdat
.Lfunc_end994:
	.size	_Z39paged_attention_ll4mi_QKV_mfma16_kernelIDF16_hLN4vllm18Fp8KVCacheDataTypeE1EDF16_Li16ELi128ELi256ELb0ELi7EEvPKT_PKT0_S7_ifPKiS9_S9_iPKfiiiPfSC_PS2_PT2_iSB_SB_, .Lfunc_end994-_Z39paged_attention_ll4mi_QKV_mfma16_kernelIDF16_hLN4vllm18Fp8KVCacheDataTypeE1EDF16_Li16ELi128ELi256ELb0ELi7EEvPKT_PKT0_S7_ifPKiS9_S9_iPKfiiiPfSC_PS2_PT2_iSB_SB_
                                        ; -- End function
	.section	.AMDGPU.csdata,"",@progbits
; Kernel info:
; codeLenInByte = 6016
; NumSgprs: 56
; NumVgprs: 86
; NumAgprs: 0
; TotalNumVgprs: 86
; ScratchSize: 0
; MemoryBound: 0
; FloatMode: 240
; IeeeMode: 1
; LDSByteSize: 8192 bytes/workgroup (compile time only)
; SGPRBlocks: 6
; VGPRBlocks: 10
; NumSGPRsForWavesPerEU: 56
; NumVGPRsForWavesPerEU: 86
; AccumOffset: 88
; Occupancy: 5
; WaveLimiterHint : 1
; COMPUTE_PGM_RSRC2:SCRATCH_EN: 0
; COMPUTE_PGM_RSRC2:USER_SGPR: 2
; COMPUTE_PGM_RSRC2:TRAP_HANDLER: 0
; COMPUTE_PGM_RSRC2:TGID_X_EN: 1
; COMPUTE_PGM_RSRC2:TGID_Y_EN: 1
; COMPUTE_PGM_RSRC2:TGID_Z_EN: 1
; COMPUTE_PGM_RSRC2:TIDIG_COMP_CNT: 0
; COMPUTE_PGM_RSRC3_GFX90A:ACCUM_OFFSET: 21
; COMPUTE_PGM_RSRC3_GFX90A:TG_SPLIT: 0
	.section	.text._Z39paged_attention_ll4mi_QKV_mfma16_kernelIDF16_hLN4vllm18Fp8KVCacheDataTypeE1EDF16_Li16ELi128ELi256ELb0ELi8EEvPKT_PKT0_S7_ifPKiS9_S9_iPKfiiiPfSC_PS2_PT2_iSB_SB_,"axG",@progbits,_Z39paged_attention_ll4mi_QKV_mfma16_kernelIDF16_hLN4vllm18Fp8KVCacheDataTypeE1EDF16_Li16ELi128ELi256ELb0ELi8EEvPKT_PKT0_S7_ifPKiS9_S9_iPKfiiiPfSC_PS2_PT2_iSB_SB_,comdat
	.protected	_Z39paged_attention_ll4mi_QKV_mfma16_kernelIDF16_hLN4vllm18Fp8KVCacheDataTypeE1EDF16_Li16ELi128ELi256ELb0ELi8EEvPKT_PKT0_S7_ifPKiS9_S9_iPKfiiiPfSC_PS2_PT2_iSB_SB_ ; -- Begin function _Z39paged_attention_ll4mi_QKV_mfma16_kernelIDF16_hLN4vllm18Fp8KVCacheDataTypeE1EDF16_Li16ELi128ELi256ELb0ELi8EEvPKT_PKT0_S7_ifPKiS9_S9_iPKfiiiPfSC_PS2_PT2_iSB_SB_
	.globl	_Z39paged_attention_ll4mi_QKV_mfma16_kernelIDF16_hLN4vllm18Fp8KVCacheDataTypeE1EDF16_Li16ELi128ELi256ELb0ELi8EEvPKT_PKT0_S7_ifPKiS9_S9_iPKfiiiPfSC_PS2_PT2_iSB_SB_
	.p2align	8
	.type	_Z39paged_attention_ll4mi_QKV_mfma16_kernelIDF16_hLN4vllm18Fp8KVCacheDataTypeE1EDF16_Li16ELi128ELi256ELb0ELi8EEvPKT_PKT0_S7_ifPKiS9_S9_iPKfiiiPfSC_PS2_PT2_iSB_SB_,@function
_Z39paged_attention_ll4mi_QKV_mfma16_kernelIDF16_hLN4vllm18Fp8KVCacheDataTypeE1EDF16_Li16ELi128ELi256ELb0ELi8EEvPKT_PKT0_S7_ifPKiS9_S9_iPKfiiiPfSC_PS2_PT2_iSB_SB_: ; @_Z39paged_attention_ll4mi_QKV_mfma16_kernelIDF16_hLN4vllm18Fp8KVCacheDataTypeE1EDF16_Li16ELi128ELi256ELb0ELi8EEvPKT_PKT0_S7_ifPKiS9_S9_iPKfiiiPfSC_PS2_PT2_iSB_SB_
; %bb.0:
	s_load_dwordx2 s[12:13], s[0:1], 0x30
	s_mov_b32 s22, s3
	s_mov_b64 s[6:7], 0
	s_waitcnt lgkmcnt(0)
	s_cmp_lg_u64 s[12:13], 0
	s_cselect_b64 s[14:15], -1, 0
	s_and_b64 vcc, exec, s[14:15]
	s_cbranch_vccz .LBB995_7
; %bb.1:
	s_add_i32 s8, s2, 1
	s_mov_b32 s9, 0
	s_lshl_b64 s[10:11], s[8:9], 2
	s_add_u32 s10, s12, s10
	s_mov_b32 s3, s9
	s_addc_u32 s11, s13, s11
	s_lshl_b64 s[8:9], s[2:3], 2
	s_add_u32 s8, s12, s8
	s_addc_u32 s9, s13, s9
	s_load_dword s5, s[10:11], 0x0
	s_load_dword s16, s[8:9], 0x0
	s_waitcnt lgkmcnt(0)
	s_sub_i32 s5, s5, s16
	s_cmp_eq_u32 s5, 1
	s_cselect_b64 s[8:9], -1, 0
	s_andn2_b64 vcc, exec, s[6:7]
	s_cbranch_vccnz .LBB995_3
.LBB995_2:
	s_mov_b32 s3, 0
	s_mov_b64 s[8:9], -1
.LBB995_3:
	s_andn2_b64 vcc, exec, s[8:9]
	s_cbranch_vccnz .LBB995_17
; %bb.4:
	s_load_dwordx2 s[6:7], s[0:1], 0x28
	s_lshl_b64 s[16:17], s[2:3], 2
	s_waitcnt lgkmcnt(0)
	s_add_u32 s6, s6, s16
	s_addc_u32 s7, s7, s17
	s_load_dword s38, s[6:7], 0x0
	s_lshl_b32 s18, s22, 8
	s_waitcnt lgkmcnt(0)
	s_cmp_ge_i32 s18, s38
	s_cbranch_scc1 .LBB995_17
; %bb.5:
	s_load_dwordx2 s[6:7], s[0:1], 0x20
	s_load_dword s8, s[0:1], 0x38
	s_add_i32 s5, s38, 15
	s_ashr_i32 s9, s5, 31
	v_and_b32_e32 v1, 0xcf, v0
	s_lshr_b32 s9, s9, 28
	v_add_u32_e32 v1, s18, v1
	s_add_i32 s5, s5, s9
	v_ashrrev_i32_e32 v2, 31, v1
	s_ashr_i32 s5, s5, 4
	v_lshrrev_b32_e32 v10, 28, v2
	s_add_i32 s5, s5, -1
	s_waitcnt lgkmcnt(0)
	s_mul_i32 s8, s2, s8
	s_mov_b32 s9, 0
	v_add_u32_e32 v2, v1, v10
	s_lshl_b64 s[8:9], s[8:9], 2
	v_ashrrev_i32_e32 v2, 4, v2
	v_mov_b32_e32 v11, s5
	v_cmp_gt_i32_e32 vcc, s38, v1
	s_add_u32 s6, s6, s8
	s_addc_u32 s7, s7, s9
	v_cndmask_b32_e32 v2, v11, v2, vcc
	v_ashrrev_i32_e32 v3, 31, v2
	v_lshl_add_u64 v[4:5], v[2:3], 2, s[6:7]
	v_or_b32_e32 v2, 16, v1
	v_add_u32_e32 v3, v2, v10
	v_ashrrev_i32_e32 v3, 4, v3
	v_cmp_gt_i32_e32 vcc, s38, v2
	s_load_dwordx4 s[8:11], s[0:1], 0x8
	s_nop 0
	v_cndmask_b32_e32 v2, v11, v3, vcc
	v_ashrrev_i32_e32 v3, 31, v2
	v_lshl_add_u64 v[6:7], v[2:3], 2, s[6:7]
	v_or_b32_e32 v2, 32, v1
	v_add_u32_e32 v3, v2, v10
	v_ashrrev_i32_e32 v3, 4, v3
	v_cmp_gt_i32_e32 vcc, s38, v2
	v_or_b32_e32 v1, 48, v1
	s_nop 0
	v_cndmask_b32_e32 v2, v11, v3, vcc
	v_ashrrev_i32_e32 v3, 31, v2
	v_lshl_add_u64 v[8:9], v[2:3], 2, s[6:7]
	v_add_u32_e32 v2, v1, v10
	v_ashrrev_i32_e32 v2, 4, v2
	v_cmp_gt_i32_e32 vcc, s38, v1
	s_nop 1
	v_cndmask_b32_e32 v2, v11, v2, vcc
	v_ashrrev_i32_e32 v3, 31, v2
	v_lshl_add_u64 v[10:11], v[2:3], 2, s[6:7]
	global_load_dword v3, v[4:5], off
	global_load_dword v2, v[6:7], off
	;; [unrolled: 1-line block ×4, first 2 shown]
	s_andn2_b64 vcc, exec, s[14:15]
	s_cbranch_vccnz .LBB995_8
; %bb.6:
	s_add_u32 s12, s12, s16
	s_addc_u32 s13, s13, s17
	s_load_dword s14, s[12:13], 0x0
	s_branch .LBB995_9
.LBB995_7:
	s_mov_b64 s[8:9], 0
	s_branch .LBB995_2
.LBB995_8:
	s_mov_b32 s14, s2
.LBB995_9:
	s_load_dwordx4 s[44:47], s[0:1], 0x48
	v_and_b32_e32 v62, 15, v0
	v_lshlrev_b32_e32 v4, 3, v62
	s_movk_i32 s12, 0x80
	v_lshrrev_b32_e32 v64, 6, v0
	v_and_b32_e32 v65, 63, v0
	v_bfe_u32 v1, v0, 4, 2
	s_lshl_b32 s23, s4, 3
	v_cmp_gt_u32_e32 vcc, s12, v0
	v_lshlrev_b32_e32 v58, 1, v4
	v_lshlrev_b32_e32 v63, 4, v0
	s_and_saveexec_b64 s[12:13], vcc
	s_cbranch_execz .LBB995_11
; %bb.10:
	s_load_dwordx2 s[16:17], s[0:1], 0x0
	s_waitcnt lgkmcnt(0)
	s_ashr_i32 s15, s44, 31
	s_mul_hi_u32 s19, s14, s44
	s_mul_i32 s15, s14, s15
	s_add_i32 s15, s19, s15
	s_mul_i32 s14, s14, s44
	v_lshl_or_b32 v8, v64, 2, v1
	s_lshl_b64 s[14:15], s[14:15], 1
	s_add_u32 s14, s16, s14
	v_add_lshl_u32 v4, v8, s23, 7
	s_addc_u32 s15, s17, s15
	v_ashrrev_i32_e32 v5, 31, v4
	v_lshl_add_u64 v[4:5], v[4:5], 1, s[14:15]
	v_mov_b32_e32 v59, 0
	v_lshl_add_u64 v[4:5], v[4:5], 0, v[58:59]
	global_load_dwordx4 v[4:7], v[4:5], off
	v_lshlrev_b32_e32 v10, 8, v0
	v_lshlrev_b32_e32 v9, 8, v62
	v_and_b32_e32 v10, 0x600, v10
	s_movk_i32 s14, 0x800
	v_and_or_b32 v9, v9, s14, v10
	v_lshlrev_b32_e32 v8, 5, v8
	v_and_b32_e32 v10, 16, v63
	v_or3_b32 v8, v9, v8, v10
	s_waitcnt vmcnt(0)
	ds_write_b128 v8, v[4:7]
.LBB995_11:
	s_or_b64 exec, exec, s[12:13]
	s_waitcnt lgkmcnt(0)
	s_mul_i32 s4, s4, s46
	s_add_u32 s8, s8, s4
	s_addc_u32 s9, s9, 0
	v_and_b32_e32 v60, 0xf0, v63
	v_mov_b32_e32 v61, 0
	v_and_b32_e32 v6, 48, v0
	v_lshl_add_u64 v[30:31], s[8:9], 0, v[60:61]
	v_lshlrev_b32_e32 v60, 4, v6
	s_waitcnt vmcnt(3)
	v_mad_i64_i32 v[4:5], s[8:9], v3, s45, v[30:31]
	v_lshl_add_u64 v[4:5], v[4:5], 0, v[60:61]
	s_load_dword s33, s[0:1], 0x98
	s_load_dwordx4 s[40:43], s[0:1], 0x80
	s_waitcnt lgkmcnt(0)
	s_barrier
	global_load_dwordx4 v[22:25], v[4:5], off
	global_load_dwordx4 v[10:13], v[4:5], off offset:1024
	s_waitcnt vmcnt(4)
	v_mad_i64_i32 v[2:3], s[8:9], v2, s45, v[30:31]
	v_lshl_add_u64 v[32:33], v[2:3], 0, v[60:61]
	global_load_dwordx4 v[2:5], v[32:33], off
	v_and_b32_e32 v7, 7, v0
	v_lshlrev_b32_e32 v7, 5, v7
	v_or_b32_e32 v36, s18, v6
	v_mov_b32_e32 v41, s5
	v_lshl_or_b32 v6, v1, 9, v7
	v_ashrrev_i32_e32 v37, 4, v36
	v_cmp_gt_i32_e32 vcc, s38, v36
	v_or_b32_e32 v40, 64, v36
	v_or_b32_e32 v42, 0x80, v36
	;; [unrolled: 1-line block ×3, first 2 shown]
	ds_read_b128 v[26:29], v6
	ds_read_b128 v[18:21], v6 offset:16
	ds_read_b128 v[14:17], v6 offset:2048
	;; [unrolled: 1-line block ×3, first 2 shown]
	v_cndmask_b32_e32 v38, v41, v37, vcc
	s_waitcnt vmcnt(4)
	v_mad_i64_i32 v[36:37], s[12:13], v34, s45, v[30:31]
	s_waitcnt vmcnt(3)
	v_mad_i64_i32 v[34:35], s[12:13], v35, s45, v[30:31]
	global_load_dwordx4 v[30:33], v[32:33], off offset:1024
	v_ashrrev_i32_e32 v44, 4, v40
	v_cmp_gt_i32_e32 vcc, s38, v40
	v_ashrrev_i32_e32 v45, 4, v42
	v_ashrrev_i32_e32 v46, 4, v43
	v_cndmask_b32_e32 v40, v41, v44, vcc
	v_cmp_gt_i32_e32 vcc, s38, v42
	v_ashrrev_i32_e32 v39, 31, v38
	v_lshl_add_u64 v[36:37], v[36:37], 0, v[60:61]
	v_cndmask_b32_e32 v42, v41, v45, vcc
	v_cmp_gt_i32_e32 vcc, s38, v43
	v_lshl_add_u64 v[34:35], v[34:35], 0, v[60:61]
	v_ashrrev_i32_e32 v43, 31, v42
	v_cndmask_b32_e32 v44, v41, v46, vcc
	v_ashrrev_i32_e32 v41, 31, v40
	v_ashrrev_i32_e32 v45, 31, v44
	v_lshl_add_u64 v[50:51], v[38:39], 2, s[6:7]
	v_lshl_add_u64 v[52:53], v[40:41], 2, s[6:7]
	;; [unrolled: 1-line block ×4, first 2 shown]
	global_load_dwordx4 v[42:45], v[36:37], off
	global_load_dwordx4 v[46:49], v[36:37], off offset:1024
	global_load_dwordx4 v[38:41], v[34:35], off
	s_nop 0
	global_load_dwordx4 v[34:37], v[34:35], off offset:1024
	s_nop 0
	global_load_dword v69, v[50:51], off
	global_load_dword v68, v[52:53], off
	;; [unrolled: 1-line block ×4, first 2 shown]
	s_add_u32 s4, s10, s4
	v_lshl_or_b32 v59, v64, 4, v62
	s_addc_u32 s5, s11, 0
	v_lshlrev_b32_e32 v60, 4, v59
	s_load_dword s8, s[0:1], 0x1c
	s_waitcnt vmcnt(11)
	v_cvt_pk_f32_fp8_e32 v[50:51], v22
	v_cvt_pk_f32_fp8_sdwa v[52:53], v22 src0_sel:WORD_1
	v_cvt_pk_f32_fp8_e32 v[54:55], v23
	v_cvt_pk_f32_fp8_sdwa v[56:57], v23 src0_sel:WORD_1
	;; [unrolled: 2-line block ×4, first 2 shown]
	s_waitcnt vmcnt(9)
	v_cvt_pk_f32_fp8_e32 v[22:23], v2
	v_cvt_pk_f32_fp8_sdwa v[24:25], v2 src0_sel:WORD_1
	v_cvt_pkrtz_f16_f32 v50, v50, v51
	v_cvt_pkrtz_f16_f32 v51, v52, v53
	v_cvt_pk_f32_fp8_e32 v[78:79], v10
	v_cvt_pk_f32_fp8_sdwa v[80:81], v10 src0_sel:WORD_1
	v_cvt_pk_f32_fp8_e32 v[82:83], v11
	v_cvt_pk_f32_fp8_sdwa v[52:53], v11 src0_sel:WORD_1
	v_cvt_pkrtz_f16_f32 v10, v22, v23
	v_cvt_pkrtz_f16_f32 v11, v24, v25
	;; [unrolled: 1-line block ×4, first 2 shown]
	s_waitcnt lgkmcnt(0)
	v_mfma_f32_16x16x16_f16 v[22:25], v[50:51], v[26:27], 0
	v_cvt_pk_f32_fp8_e32 v[84:85], v12
	v_cvt_pk_f32_fp8_sdwa v[50:51], v12 src0_sel:WORD_1
	v_cvt_pk_f32_fp8_e32 v[88:89], v13
	v_mfma_f32_16x16x16_f16 v[54:57], v[10:11], v[26:27], 0
	v_cvt_pkrtz_f16_f32 v10, v70, v71
	v_cvt_pkrtz_f16_f32 v11, v72, v73
	;; [unrolled: 1-line block ×3, first 2 shown]
	v_mfma_f32_16x16x16_f16 v[22:25], v[86:87], v[28:29], v[22:25]
	v_cvt_pkrtz_f16_f32 v73, v76, v77
	v_cvt_pk_f32_fp8_sdwa v[70:71], v13 src0_sel:WORD_1
	s_waitcnt vmcnt(6)
	v_cvt_pk_f32_fp8_e32 v[74:75], v48
	v_mfma_f32_16x16x16_f16 v[10:13], v[10:11], v[18:19], v[22:25]
	v_cvt_pk_f32_fp8_sdwa v[76:77], v48 src0_sel:WORD_1
	s_nop 1
	v_cvt_pkrtz_f16_f32 v24, v78, v79
	v_cvt_pkrtz_f16_f32 v25, v80, v81
	v_mfma_f32_16x16x16_f16 v[10:13], v[72:73], v[20:21], v[10:13]
	v_cvt_pkrtz_f16_f32 v72, v82, v83
	v_cvt_pkrtz_f16_f32 v73, v52, v53
	;; [unrolled: 1-line block ×3, first 2 shown]
	v_mfma_f32_16x16x16_f16 v[10:13], v[24:25], v[14:15], v[10:13]
	v_cvt_pkrtz_f16_f32 v53, v50, v51
	v_cvt_pk_f32_fp8_e32 v[22:23], v3
	v_cvt_pk_f32_fp8_sdwa v[2:3], v3 src0_sel:WORD_1
	v_mfma_f32_16x16x16_f16 v[10:13], v[72:73], v[16:17], v[10:13]
	v_cvt_pkrtz_f16_f32 v50, v88, v89
	v_cvt_pkrtz_f16_f32 v51, v70, v71
	v_cvt_pk_f32_fp8_e32 v[24:25], v4
	v_cvt_pk_f32_fp8_sdwa v[72:73], v4 src0_sel:WORD_1
	v_mfma_f32_16x16x16_f16 v[10:13], v[52:53], v[6:7], v[10:13]
	v_cvt_pkrtz_f16_f32 v22, v22, v23
	v_cvt_pkrtz_f16_f32 v23, v2, v3
	;; [unrolled: 1-line block ×3, first 2 shown]
	v_mfma_f32_16x16x16_f16 v[50:53], v[50:51], v[8:9], v[10:13]
	v_cvt_pkrtz_f16_f32 v25, v72, v73
	v_cvt_pk_f32_fp8_e32 v[72:73], v45
	v_lshl_add_u64 v[70:71], s[4:5], 0, v[60:61]
	v_cvt_pk_f32_fp8_e32 v[10:11], v5
	v_cvt_pk_f32_fp8_sdwa v[12:13], v5 src0_sel:WORD_1
	v_mfma_f32_16x16x16_f16 v[2:5], v[22:23], v[28:29], v[54:57]
	v_cvt_pk_f32_fp8_sdwa v[22:23], v30 src0_sel:WORD_1
	v_cvt_pkrtz_f16_f32 v10, v10, v11
	v_cvt_pkrtz_f16_f32 v11, v12, v13
	v_mfma_f32_16x16x16_f16 v[2:5], v[24:25], v[18:19], v[2:5]
	v_cvt_pk_f32_fp8_e32 v[12:13], v30
	v_cvt_pk_f32_fp8_e32 v[24:25], v32
	v_or_b32_e32 v60, 0x400, v60
	v_mfma_f32_16x16x16_f16 v[2:5], v[10:11], v[20:21], v[2:5]
	v_cvt_pk_f32_fp8_e32 v[10:11], v31
	v_cvt_pkrtz_f16_f32 v12, v12, v13
	v_cvt_pkrtz_f16_f32 v13, v22, v23
	v_cvt_pk_f32_fp8_sdwa v[22:23], v31 src0_sel:WORD_1
	v_cvt_pkrtz_f16_f32 v10, v10, v11
	v_cvt_pk_f32_fp8_sdwa v[30:31], v32 src0_sel:WORD_1
	v_mfma_f32_16x16x16_f16 v[2:5], v[12:13], v[14:15], v[2:5]
	v_cvt_pkrtz_f16_f32 v11, v22, v23
	v_cvt_pkrtz_f16_f32 v12, v24, v25
	;; [unrolled: 1-line block ×3, first 2 shown]
	v_cvt_pk_f32_fp8_e32 v[22:23], v33
	v_cvt_pk_f32_fp8_sdwa v[24:25], v33 src0_sel:WORD_1
	v_mfma_f32_16x16x16_f16 v[2:5], v[10:11], v[16:17], v[2:5]
	v_cvt_pkrtz_f16_f32 v10, v22, v23
	v_cvt_pkrtz_f16_f32 v11, v24, v25
	v_mfma_f32_16x16x16_f16 v[2:5], v[12:13], v[6:7], v[2:5]
	v_cvt_pk_f32_fp8_e32 v[12:13], v42
	v_cvt_pk_f32_fp8_sdwa v[22:23], v42 src0_sel:WORD_1
	v_cvt_pk_f32_fp8_sdwa v[24:25], v44 src0_sel:WORD_1
	v_mfma_f32_16x16x16_f16 v[54:57], v[10:11], v[8:9], v[2:5]
	v_cvt_pk_f32_fp8_sdwa v[10:11], v43 src0_sel:WORD_1
	s_nop 1
	v_cvt_pkrtz_f16_f32 v2, v12, v13
	v_cvt_pkrtz_f16_f32 v3, v22, v23
	v_cvt_pk_f32_fp8_e32 v[4:5], v43
	v_cvt_pkrtz_f16_f32 v23, v10, v11
	v_cvt_pk_f32_fp8_e32 v[10:11], v44
	v_cvt_pk_f32_fp8_sdwa v[44:45], v45 src0_sel:WORD_1
	v_cvt_pkrtz_f16_f32 v22, v4, v5
	v_mfma_f32_16x16x16_f16 v[2:5], v[2:3], v[26:27], 0
	v_cvt_pkrtz_f16_f32 v10, v10, v11
	v_cvt_pkrtz_f16_f32 v11, v24, v25
	s_waitcnt vmcnt(3)
	v_mad_i64_i32 v[12:13], s[6:7], v69, s45, v[70:71]
	v_mfma_f32_16x16x16_f16 v[2:5], v[22:23], v[28:29], v[2:5]
	s_waitcnt vmcnt(2)
	v_mad_i64_i32 v[42:43], s[6:7], v68, s45, v[70:71]
	global_load_dwordx4 v[30:33], v[12:13], off
	global_load_dwordx4 v[22:25], v[42:43], off
	v_cvt_pkrtz_f16_f32 v12, v72, v73
	v_cvt_pkrtz_f16_f32 v13, v44, v45
	v_mfma_f32_16x16x16_f16 v[2:5], v[10:11], v[18:19], v[2:5]
	v_cvt_pk_f32_fp8_e32 v[10:11], v46
	v_cvt_pk_f32_fp8_sdwa v[42:43], v46 src0_sel:WORD_1
	s_waitcnt vmcnt(3)
	v_mad_i64_i32 v[72:73], s[6:7], v66, s45, v[70:71]
	v_mfma_f32_16x16x16_f16 v[2:5], v[12:13], v[20:21], v[2:5]
	v_cvt_pkrtz_f16_f32 v10, v10, v11
	v_cvt_pkrtz_f16_f32 v11, v42, v43
	v_cvt_pk_f32_fp8_e32 v[12:13], v47
	v_cvt_pk_f32_fp8_sdwa v[42:43], v47 src0_sel:WORD_1
	s_waitcnt vmcnt(2)
	v_mad_i64_i32 v[46:47], s[6:7], v67, s45, v[70:71]
	v_cvt_pkrtz_f16_f32 v70, v12, v13
	v_cvt_pkrtz_f16_f32 v71, v42, v43
	v_mfma_f32_16x16x16_f16 v[42:45], v[10:11], v[14:15], v[2:5]
	global_load_dwordx4 v[10:13], v[72:73], off
	s_nop 1
	global_load_dwordx4 v[2:5], v[46:47], off
	v_cvt_pkrtz_f16_f32 v72, v74, v75
	v_cvt_pkrtz_f16_f32 v73, v76, v77
	v_cvt_pk_f32_fp8_e32 v[74:75], v49
	v_cvt_pk_f32_fp8_sdwa v[48:49], v49 src0_sel:WORD_1
	v_mfma_f32_16x16x16_f16 v[44:47], v[70:71], v[16:17], v[42:45]
	s_nop 2
	v_lshl_add_u64 v[42:43], s[4:5], 0, v[60:61]
	v_cvt_pkrtz_f16_f32 v60, v74, v75
	v_cvt_pkrtz_f16_f32 v61, v48, v49
	v_mfma_f32_16x16x16_f16 v[44:47], v[72:73], v[6:7], v[44:47]
	v_cvt_pk_f32_fp8_e32 v[48:49], v38
	v_cvt_pk_f32_fp8_sdwa v[74:75], v38 src0_sel:WORD_1
	s_load_dword s4, s[40:41], 0x0
	v_mfma_f32_16x16x16_f16 v[70:73], v[60:61], v[8:9], v[44:47]
	v_cvt_pk_f32_fp8_e32 v[60:61], v40
	s_mov_b32 s40, 0xff7fffff
	s_nop 0
	v_cvt_pk_f32_fp8_e32 v[44:45], v39
	v_cvt_pkrtz_f16_f32 v46, v48, v49
	v_cvt_pkrtz_f16_f32 v47, v74, v75
	v_cvt_pk_f32_fp8_sdwa v[38:39], v39 src0_sel:WORD_1
	v_cvt_pkrtz_f16_f32 v48, v44, v45
	v_cvt_pk_f32_fp8_sdwa v[74:75], v40 src0_sel:WORD_1
	v_mfma_f32_16x16x16_f16 v[44:47], v[46:47], v[26:27], 0
	v_cvt_pkrtz_f16_f32 v49, v38, v39
	v_cvt_pkrtz_f16_f32 v38, v60, v61
	;; [unrolled: 1-line block ×3, first 2 shown]
	v_cvt_pk_f32_fp8_e32 v[60:61], v41
	v_cvt_pk_f32_fp8_sdwa v[40:41], v41 src0_sel:WORD_1
	v_mfma_f32_16x16x16_f16 v[26:29], v[48:49], v[28:29], v[44:47]
	s_nop 2
	v_cvt_pkrtz_f16_f32 v44, v60, v61
	v_cvt_pkrtz_f16_f32 v45, v40, v41
	v_mfma_f32_16x16x16_f16 v[26:29], v[38:39], v[18:19], v[26:29]
	v_mov_b32_e32 v46, s8
	s_waitcnt lgkmcnt(0)
	v_mul_f32_e32 v40, s4, v46
	v_pk_mul_f32 v[38:39], v[40:41], v[52:53] op_sel_hi:[0,1]
	v_mfma_f32_16x16x16_f16 v[18:21], v[44:45], v[20:21], v[26:29]
	v_cvt_pk_f32_fp8_e32 v[44:45], v35
	v_pk_mul_f32 v[46:47], v[40:41], v[50:51] op_sel_hi:[0,1]
	v_pk_mul_f32 v[48:49], v[40:41], v[56:57] op_sel_hi:[0,1]
	v_cvt_pk_f32_fp8_e32 v[26:27], v34
	v_cvt_pk_f32_fp8_sdwa v[28:29], v34 src0_sel:WORD_1
	v_cvt_pk_f32_fp8_sdwa v[34:35], v35 src0_sel:WORD_1
	v_pk_mul_f32 v[52:53], v[40:41], v[54:55] op_sel_hi:[0,1]
	v_cvt_pkrtz_f16_f32 v26, v26, v27
	v_cvt_pkrtz_f16_f32 v27, v28, v29
	;; [unrolled: 1-line block ×4, first 2 shown]
	v_cvt_pk_f32_fp8_e32 v[34:35], v36
	v_cvt_pk_f32_fp8_sdwa v[44:45], v36 src0_sel:WORD_1
	v_mfma_f32_16x16x16_f16 v[18:21], v[26:27], v[14:15], v[18:21]
	v_pk_mul_f32 v[50:51], v[40:41], v[70:71] op_sel_hi:[0,1]
	v_cvt_pkrtz_f16_f32 v26, v34, v35
	v_cvt_pkrtz_f16_f32 v27, v44, v45
	v_cvt_pk_f32_fp8_e32 v[34:35], v37
	v_cvt_pk_f32_fp8_sdwa v[36:37], v37 src0_sel:WORD_1
	v_mfma_f32_16x16x16_f16 v[14:17], v[28:29], v[16:17], v[18:21]
	v_pk_mul_f32 v[44:45], v[40:41], v[72:73] op_sel_hi:[0,1]
	v_mad_i64_i32 v[60:61], s[4:5], v69, s45, v[42:43]
	s_nop 0
	v_cvt_pkrtz_f16_f32 v18, v34, v35
	v_cvt_pkrtz_f16_f32 v19, v36, v37
	v_mfma_f32_16x16x16_f16 v[14:17], v[26:27], v[6:7], v[14:17]
	s_nop 0
	v_mfma_f32_16x16x16_f16 v[6:9], v[18:19], v[8:9], v[14:17]
	s_nop 6
	v_pk_mul_f32 v[34:35], v[40:41], v[8:9] op_sel_hi:[0,1]
	v_pk_mul_f32 v[40:41], v[40:41], v[6:7] op_sel_hi:[0,1]
	v_and_b32_e32 v6, 0xc0, v0
	v_add_u32_e32 v6, s18, v6
	v_lshl_or_b32 v6, v1, 2, v6
	v_or_b32_e32 v9, 1, v6
	v_mov_b32_e32 v7, 0xff7fffff
	v_cmp_gt_i32_e64 s[24:25], s38, v6
	v_cmp_gt_i32_e64 s[26:27], s38, v9
	v_or_b32_e32 v14, 3, v6
	v_cndmask_b32_e64 v8, v7, v46, s[24:25]
	v_cndmask_b32_e64 v9, v7, v47, s[26:27]
	v_max3_f32 v8, v8, s40, v9
	v_or_b32_e32 v9, 2, v6
	v_cmp_gt_i32_e64 s[28:29], s38, v9
	v_cmp_gt_i32_e64 s[30:31], s38, v14
	s_nop 0
	v_cndmask_b32_e64 v9, v7, v38, s[28:29]
	v_cndmask_b32_e64 v14, v7, v39, s[30:31]
	v_max3_f32 v8, v8, v9, v14
	v_or_b32_e32 v9, 16, v6
	v_or_b32_e32 v14, 17, v6
	v_cmp_gt_i32_e64 s[34:35], s38, v9
	v_cmp_gt_i32_e64 s[36:37], s38, v14
	s_nop 0
	v_cndmask_b32_e64 v9, v7, v52, s[34:35]
	v_cndmask_b32_e64 v14, v7, v53, s[36:37]
	v_max3_f32 v8, v8, v9, v14
	v_or_b32_e32 v9, 18, v6
	;; [unrolled: 8-line block ×6, first 2 shown]
	v_or_b32_e32 v6, 51, v6
	v_cmp_gt_i32_e32 vcc, s38, v9
	v_cmp_gt_i32_e64 s[4:5], s38, v6
	s_nop 0
	v_cndmask_b32_e32 v9, v7, v34, vcc
	v_cndmask_b32_e64 v6, v7, v35, s[4:5]
	v_max3_f32 v8, v8, v9, v6
	v_mbcnt_lo_u32_b32 v6, -1, 0
	v_mbcnt_hi_u32_b32 v9, -1, v6
	v_and_b32_e32 v6, 64, v9
	v_add_u32_e32 v14, 64, v6
	v_xor_b32_e32 v6, 32, v9
	v_cmp_lt_i32_e64 s[38:39], v6, v14
	s_nop 1
	v_cndmask_b32_e64 v6, v9, v6, s[38:39]
	v_lshlrev_b32_e32 v55, 2, v6
	ds_bpermute_b32 v15, v55, v8
	v_mad_i64_i32 v[6:7], s[38:39], v68, s45, v[42:43]
	global_load_dwordx4 v[26:29], v[60:61], off
	global_load_dwordx4 v[18:21], v[6:7], off
	s_waitcnt lgkmcnt(0)
	v_max_f32_e32 v6, v15, v15
	v_max_f32_e32 v15, v8, v6
	v_xor_b32_e32 v6, 16, v9
	v_cmp_lt_i32_e64 s[38:39], v6, v14
	s_nop 1
	v_cndmask_b32_e64 v6, v9, v6, s[38:39]
	v_lshlrev_b32_e32 v56, 2, v6
	ds_bpermute_b32 v14, v56, v15
	v_mad_i64_i32 v[6:7], s[38:39], v66, s45, v[42:43]
	v_mad_i64_i32 v[8:9], s[38:39], v67, s45, v[42:43]
	s_waitcnt lgkmcnt(0)
	v_max_f32_e32 v14, v14, v14
	v_max_f32_e32 v54, v15, v14
	v_sub_f32_e32 v14, v46, v54
	v_mul_f32_e32 v14, 0x3fb8aa3b, v14
	v_exp_f32_e32 v36, v14
	v_sub_f32_e32 v14, v47, v54
	v_mul_f32_e32 v14, 0x3fb8aa3b, v14
	v_exp_f32_e32 v37, v14
	global_load_dwordx4 v[14:17], v[6:7], off
	s_nop 0
	global_load_dwordx4 v[6:9], v[8:9], off
	v_sub_f32_e32 v38, v38, v54
	v_mul_f32_e32 v38, 0x3fb8aa3b, v38
	v_sub_f32_e32 v39, v39, v54
	v_exp_f32_e32 v38, v38
	v_mul_f32_e32 v39, 0x3fb8aa3b, v39
	v_exp_f32_e32 v39, v39
	v_cndmask_b32_e64 v36, 0, v36, s[24:25]
	v_add_f32_e32 v42, 0, v36
	v_cndmask_b32_e64 v37, 0, v37, s[26:27]
	v_add_f32_e32 v42, v42, v37
	;; [unrolled: 2-line block ×3, first 2 shown]
	v_cndmask_b32_e64 v47, 0, v39, s[30:31]
	v_sub_f32_e32 v39, v52, v54
	v_sub_f32_e32 v42, v53, v54
	v_mul_f32_e32 v39, 0x3fb8aa3b, v39
	v_mul_f32_e32 v42, 0x3fb8aa3b, v42
	v_exp_f32_e32 v39, v39
	v_exp_f32_e32 v42, v42
	v_add_f32_e32 v43, v38, v47
	v_sub_f32_e32 v44, v44, v54
	v_cndmask_b32_e64 v38, 0, v39, s[34:35]
	v_cndmask_b32_e64 v39, 0, v42, s[36:37]
	v_sub_f32_e32 v42, v48, v54
	v_mul_f32_e32 v42, 0x3fb8aa3b, v42
	v_exp_f32_e32 v42, v42
	v_sub_f32_e32 v48, v49, v54
	v_add_f32_e32 v43, v43, v38
	v_mul_f32_e32 v48, 0x3fb8aa3b, v48
	v_exp_f32_e32 v49, v48
	v_add_f32_e32 v43, v43, v39
	v_cndmask_b32_e64 v48, 0, v42, s[18:19]
	v_add_f32_e32 v42, v43, v48
	v_sub_f32_e32 v43, v50, v54
	v_mul_f32_e32 v43, 0x3fb8aa3b, v43
	v_sub_f32_e32 v50, v51, v54
	v_exp_f32_e32 v43, v43
	v_mul_f32_e32 v50, 0x3fb8aa3b, v50
	v_exp_f32_e32 v50, v50
	v_mul_f32_e32 v44, 0x3fb8aa3b, v44
	v_sub_f32_e32 v45, v45, v54
	v_exp_f32_e32 v44, v44
	v_mul_f32_e32 v45, 0x3fb8aa3b, v45
	v_sub_f32_e32 v40, v40, v54
	v_cndmask_b32_e64 v49, 0, v49, s[20:21]
	v_exp_f32_e32 v45, v45
	v_mul_f32_e32 v40, 0x3fb8aa3b, v40
	v_sub_f32_e32 v41, v41, v54
	v_add_f32_e32 v51, v42, v49
	v_cndmask_b32_e64 v42, 0, v43, s[14:15]
	v_exp_f32_e32 v40, v40
	v_mul_f32_e32 v41, 0x3fb8aa3b, v41
	v_sub_f32_e32 v34, v34, v54
	v_add_f32_e32 v51, v51, v42
	;; [unrolled: 5-line block ×3, first 2 shown]
	v_cndmask_b32_e64 v44, 0, v44, s[10:11]
	v_exp_f32_e32 v34, v34
	v_mul_f32_e32 v35, 0x3fb8aa3b, v35
	v_add_f32_e32 v50, v50, v44
	v_cndmask_b32_e64 v45, 0, v45, s[12:13]
	v_exp_f32_e32 v35, v35
	v_add_f32_e32 v50, v50, v45
	v_cndmask_b32_e64 v40, 0, v40, s[6:7]
	v_add_f32_e32 v50, v50, v40
	v_cndmask_b32_e64 v41, 0, v41, s[8:9]
	v_add_f32_e32 v50, v50, v41
	v_cndmask_b32_e32 v34, 0, v34, vcc
	v_add_f32_e32 v50, v50, v34
	v_cndmask_b32_e64 v35, 0, v35, s[4:5]
	v_add_f32_e32 v50, v50, v35
	ds_bpermute_b32 v51, v55, v50
	v_cmp_gt_u32_e32 vcc, 16, v65
	s_waitcnt lgkmcnt(0)
	s_barrier
	v_add_f32_e32 v50, v50, v51
	ds_bpermute_b32 v51, v56, v50
	s_and_saveexec_b64 s[4:5], vcc
	s_cbranch_execz .LBB995_13
; %bb.12:
	s_waitcnt lgkmcnt(0)
	v_add_f32_e32 v50, v50, v51
	v_lshlrev_b32_e32 v51, 2, v59
	ds_write2st64_b32 v51, v54, v50 offset1:1
.LBB995_13:
	s_or_b64 exec, exec, s[4:5]
	s_waitcnt lgkmcnt(0)
	v_lshlrev_b32_e32 v51, 2, v62
	s_load_dword s6, s[0:1], 0x94
	s_waitcnt lgkmcnt(0)
	s_barrier
	ds_read2_b32 v[52:53], v51 offset1:16
	ds_read2_b32 v[54:55], v51 offset0:32 offset1:48
	ds_read2_b32 v[56:57], v51 offset0:64 offset1:80
	s_lshl_b32 s7, s33, 3
	s_waitcnt lgkmcnt(2)
	v_max3_f32 v50, v52, s40, v53
	s_waitcnt lgkmcnt(1)
	v_max3_f32 v50, v50, v54, v55
	v_sub_f32_e32 v52, v52, v50
	v_mul_f32_e32 v52, 0x3fb8aa3b, v52
	v_exp_f32_e32 v59, v52
	v_sub_f32_e32 v52, v53, v50
	v_mul_f32_e32 v52, 0x3fb8aa3b, v52
	v_exp_f32_e32 v60, v52
	;; [unrolled: 3-line block ×3, first 2 shown]
	ds_read2_b32 v[52:53], v51 offset0:96 offset1:112
	v_sub_f32_e32 v51, v55, v50
	v_mul_f32_e32 v51, 0x3fb8aa3b, v51
	v_exp_f32_e32 v55, v51
	s_waitcnt lgkmcnt(1)
	v_fma_f32 v51, v59, v56, 0
	v_fmac_f32_e32 v51, v60, v57
	s_waitcnt lgkmcnt(0)
	v_fmac_f32_e32 v51, v54, v52
	v_fmac_f32_e32 v51, v55, v53
	v_add_f32_e32 v52, 0x358637bd, v51
	v_div_scale_f32 v53, s[4:5], v52, v52, 1.0
	v_rcp_f32_e32 v56, v53
	s_barrier
	v_fma_f32 v57, -v53, v56, 1.0
	v_fmac_f32_e32 v56, v57, v56
	v_div_scale_f32 v57, vcc, 1.0, v52, 1.0
	v_mul_f32_e32 v61, v57, v56
	v_fma_f32 v65, -v53, v61, v57
	v_fmac_f32_e32 v61, v65, v56
	v_fma_f32 v53, -v53, v61, v57
	v_div_fmas_f32 v53, v53, v56, v61
	v_cmp_eq_u32_e32 vcc, 1, v64
	v_div_fixup_f32 v52, v53, v52, 1.0
	s_nop 0
	v_cndmask_b32_e32 v53, v59, v60, vcc
	v_cmp_eq_u32_e32 vcc, 2, v64
	s_nop 1
	v_cndmask_b32_e32 v53, v53, v54, vcc
	v_cmp_eq_u32_e32 vcc, 3, v64
	s_nop 1
	v_cndmask_b32_e32 v53, v53, v55, vcc
	v_mul_f32_e32 v52, v53, v52
	v_pk_mul_f32 v[46:47], v[52:53], v[46:47] op_sel_hi:[0,1]
	v_pk_mul_f32 v[36:37], v[52:53], v[36:37] op_sel_hi:[0,1]
	v_cvt_f16_f32_e32 v53, v46
	v_cvt_f16_f32_e32 v36, v36
	;; [unrolled: 1-line block ×4, first 2 shown]
	v_pk_mul_f32 v[48:49], v[52:53], v[48:49] op_sel_hi:[0,1]
	v_pk_mul_f32 v[38:39], v[52:53], v[38:39] op_sel_hi:[0,1]
	v_cvt_f16_f32_e32 v38, v38
	v_cvt_f16_f32_e32 v39, v39
	;; [unrolled: 1-line block ×4, first 2 shown]
	v_pack_b32_f16 v46, v36, v37
	v_pack_b32_f16 v47, v53, v47
	v_lshlrev_b32_e32 v37, 3, v1
	v_lshlrev_b32_e32 v36, 5, v62
	;; [unrolled: 1-line block ×3, first 2 shown]
	v_or3_b32 v54, v53, v36, v37
	v_pack_b32_f16 v38, v38, v39
	v_pack_b32_f16 v39, v48, v49
	ds_write2st64_b64 v54, v[46:47], v[38:39] offset1:1
	v_pk_mul_f32 v[38:39], v[52:53], v[44:45] op_sel_hi:[0,1]
	v_pk_mul_f32 v[42:43], v[52:53], v[42:43] op_sel_hi:[0,1]
	v_cvt_f16_f32_e32 v37, v42
	v_cvt_f16_f32_e32 v42, v43
	;; [unrolled: 1-line block ×4, first 2 shown]
	v_pk_mul_f32 v[34:35], v[52:53], v[34:35] op_sel_hi:[0,1]
	v_pk_mul_f32 v[38:39], v[52:53], v[40:41] op_sel_hi:[0,1]
	v_cvt_f16_f32_e32 v38, v38
	v_cvt_f16_f32_e32 v39, v39
	;; [unrolled: 1-line block ×4, first 2 shown]
	v_pack_b32_f16 v34, v37, v42
	v_pack_b32_f16 v35, v43, v44
	;; [unrolled: 1-line block ×4, first 2 shown]
	v_cmp_gt_u32_e32 vcc, 8, v0
	ds_write2st64_b64 v54, v[34:35], v[38:39] offset0:2 offset1:3
	s_and_saveexec_b64 s[4:5], vcc
	s_cbranch_execz .LBB995_15
; %bb.14:
	v_or_b32_e32 v34, s23, v0
	v_mov_b32_e32 v35, 0
	v_mov_b32_e32 v37, s7
	v_mad_u64_u32 v[38:39], s[12:13], s2, v37, v[34:35]
	v_mov_b32_e32 v34, s22
	s_load_dwordx4 s[8:11], s[0:1], 0x58
	s_mul_i32 s3, s3, s7
	v_mad_u64_u32 v[34:35], s[12:13], v38, s6, v[34:35]
	v_add_u32_e32 v37, s3, v39
	v_mov_b32_e32 v38, v35
	v_mad_u64_u32 v[38:39], s[12:13], v37, s6, v[38:39]
	v_mov_b32_e32 v35, v38
	v_lshlrev_b64 v[34:35], 2, v[34:35]
	s_waitcnt lgkmcnt(0)
	v_lshl_add_u64 v[38:39], s[10:11], 0, v[34:35]
	v_lshl_add_u64 v[34:35], s[8:9], 0, v[34:35]
	global_store_dword v[38:39], v50, off
	global_store_dword v[34:35], v51, off
.LBB995_15:
	s_or_b64 exec, exec, s[4:5]
	s_waitcnt vmcnt(7)
	v_cvt_pk_f32_fp8_e32 v[34:35], v30
	v_lshl_or_b32 v50, v1, 9, v36
	v_cvt_pk_f32_fp8_sdwa v[36:37], v30 src0_sel:WORD_1
	s_waitcnt lgkmcnt(0)
	s_barrier
	v_cvt_pk_f32_fp8_e32 v[38:39], v31
	v_cvt_pkrtz_f16_f32 v30, v34, v35
	v_cvt_pk_f32_fp8_sdwa v[40:41], v31 src0_sel:WORD_1
	v_cvt_pkrtz_f16_f32 v31, v36, v37
	ds_read_b128 v[34:37], v50
	v_cvt_pkrtz_f16_f32 v46, v38, v39
	v_cvt_pkrtz_f16_f32 v47, v40, v41
	ds_read_b128 v[38:41], v50 offset:16
	v_cvt_pk_f32_fp8_e32 v[48:49], v32
	v_cvt_pk_f32_fp8_sdwa v[52:53], v32 src0_sel:WORD_1
	s_waitcnt lgkmcnt(1)
	v_mfma_f32_16x16x16_f16 v[42:45], v[30:31], v[34:35], 0
	s_waitcnt vmcnt(6)
	v_cvt_pk_f32_fp8_e32 v[56:57], v24
	v_cvt_pkrtz_f16_f32 v30, v48, v49
	v_cvt_pkrtz_f16_f32 v31, v52, v53
	v_cvt_pk_f32_fp8_e32 v[48:49], v33
	v_mfma_f32_16x16x16_f16 v[42:45], v[46:47], v[36:37], v[42:45]
	v_cvt_pk_f32_fp8_sdwa v[46:47], v33 src0_sel:WORD_1
	v_cvt_pk_f32_fp8_sdwa v[60:61], v24 src0_sel:WORD_1
	v_cvt_pkrtz_f16_f32 v48, v48, v49
	s_waitcnt lgkmcnt(0)
	v_mfma_f32_16x16x16_f16 v[30:33], v[30:31], v[38:39], v[42:45]
	v_cvt_pkrtz_f16_f32 v49, v46, v47
	s_waitcnt vmcnt(4)
	v_cvt_pk_f32_fp8_sdwa v[68:69], v4 src0_sel:WORD_1
	s_waitcnt vmcnt(3)
	v_cvt_pk_f32_fp8_sdwa v[70:71], v28 src0_sel:WORD_1
	v_cvt_pk_f32_fp8_e32 v[42:43], v22
	v_mfma_f32_16x16x16_f16 v[46:49], v[48:49], v[40:41], v[30:33]
	s_load_dword s4, s[42:43], 0x0
	s_mov_b32 s3, 0
	s_nop 0
	v_cvt_pk_f32_fp8_sdwa v[30:31], v22 src0_sel:WORD_1
	v_cvt_pk_f32_fp8_e32 v[32:33], v23
	v_cvt_pkrtz_f16_f32 v22, v42, v43
	v_cvt_pk_f32_fp8_sdwa v[42:43], v23 src0_sel:WORD_1
	v_cvt_pkrtz_f16_f32 v23, v30, v31
	v_cvt_pkrtz_f16_f32 v52, v32, v33
	ds_read_b128 v[30:33], v50 offset:2048
	v_cvt_pkrtz_f16_f32 v53, v42, v43
	ds_read_b128 v[42:45], v50 offset:2064
	s_waitcnt lgkmcnt(0)
	v_mfma_f32_16x16x16_f16 v[46:49], v[22:23], v[30:31], v[46:49]
	v_cvt_pkrtz_f16_f32 v22, v56, v57
	v_cvt_pkrtz_f16_f32 v23, v60, v61
	v_cvt_pk_f32_fp8_e32 v[56:57], v25
	v_mfma_f32_16x16x16_f16 v[46:49], v[52:53], v[32:33], v[46:49]
	v_cvt_pk_f32_fp8_sdwa v[52:53], v25 src0_sel:WORD_1
	v_cvt_pk_f32_fp8_sdwa v[60:61], v12 src0_sel:WORD_1
	v_cvt_pkrtz_f16_f32 v56, v56, v57
	v_mfma_f32_16x16x16_f16 v[22:25], v[22:23], v[42:43], v[46:49]
	v_cvt_pkrtz_f16_f32 v57, v52, v53
	v_cmp_gt_u32_e32 vcc, 64, v0
	s_nop 0
	v_cvt_pk_f32_fp8_e32 v[46:47], v10
	v_mfma_f32_16x16x16_f16 v[64:67], v[56:57], v[44:45], v[22:25]
	v_cvt_pk_f32_fp8_e32 v[56:57], v12
	s_nop 1
	v_cvt_pk_f32_fp8_sdwa v[22:23], v10 src0_sel:WORD_1
	v_cvt_pk_f32_fp8_e32 v[24:25], v11
	v_cvt_pkrtz_f16_f32 v10, v46, v47
	v_cvt_pk_f32_fp8_sdwa v[46:47], v11 src0_sel:WORD_1
	v_cvt_pkrtz_f16_f32 v11, v22, v23
	v_cvt_pkrtz_f16_f32 v52, v24, v25
	ds_read_b128 v[22:25], v50 offset:4096
	v_cvt_pkrtz_f16_f32 v53, v46, v47
	ds_read_b128 v[46:49], v50 offset:4112
	s_waitcnt lgkmcnt(1)
	v_mfma_f32_16x16x16_f16 v[64:67], v[10:11], v[22:23], v[64:67]
	v_cvt_pkrtz_f16_f32 v10, v56, v57
	v_cvt_pkrtz_f16_f32 v11, v60, v61
	v_cvt_pk_f32_fp8_e32 v[56:57], v13
	v_mfma_f32_16x16x16_f16 v[64:67], v[52:53], v[24:25], v[64:67]
	v_cvt_pk_f32_fp8_sdwa v[52:53], v13 src0_sel:WORD_1
	v_cvt_pk_f32_fp8_e32 v[60:61], v4
	v_cvt_pkrtz_f16_f32 v56, v56, v57
	s_waitcnt lgkmcnt(0)
	v_mfma_f32_16x16x16_f16 v[10:13], v[10:11], v[46:47], v[64:67]
	v_cvt_pkrtz_f16_f32 v57, v52, v53
	v_cvt_pk_f32_fp8_e32 v[52:53], v2
	s_nop 0
	v_mfma_f32_16x16x16_f16 v[64:67], v[56:57], v[48:49], v[10:13]
	s_nop 2
	v_cvt_pk_f32_fp8_sdwa v[10:11], v2 src0_sel:WORD_1
	v_cvt_pk_f32_fp8_e32 v[12:13], v3
	v_cvt_pkrtz_f16_f32 v2, v52, v53
	v_cvt_pk_f32_fp8_sdwa v[52:53], v3 src0_sel:WORD_1
	v_cvt_pkrtz_f16_f32 v3, v10, v11
	v_cvt_pkrtz_f16_f32 v56, v12, v13
	ds_read_b128 v[10:13], v50 offset:6144
	v_cvt_pkrtz_f16_f32 v57, v52, v53
	s_waitcnt lgkmcnt(0)
	v_mfma_f32_16x16x16_f16 v[64:67], v[2:3], v[10:11], v[64:67]
	ds_read_b128 v[50:53], v50 offset:6160
	v_cvt_pkrtz_f16_f32 v2, v60, v61
	v_cvt_pkrtz_f16_f32 v3, v68, v69
	v_cvt_pk_f32_fp8_e32 v[60:61], v5
	v_mfma_f32_16x16x16_f16 v[64:67], v[56:57], v[12:13], v[64:67]
	v_cvt_pk_f32_fp8_sdwa v[56:57], v5 src0_sel:WORD_1
	v_cvt_pk_f32_fp8_e32 v[68:69], v28
	v_cvt_pkrtz_f16_f32 v60, v60, v61
	s_waitcnt lgkmcnt(0)
	v_mfma_f32_16x16x16_f16 v[2:5], v[2:3], v[50:51], v[64:67]
	v_cvt_pkrtz_f16_f32 v61, v56, v57
	v_cvt_pk_f32_fp8_e32 v[56:57], v26
	s_nop 0
	v_cvt_pk_f32_fp8_sdwa v[64:65], v26 src0_sel:WORD_1
	v_mfma_f32_16x16x16_f16 v[2:5], v[60:61], v[52:53], v[2:5]
	v_cvt_pk_f32_fp8_e32 v[60:61], v27
	v_cvt_pkrtz_f16_f32 v56, v56, v57
	v_cvt_pkrtz_f16_f32 v57, v64, v65
	v_cvt_pk_f32_fp8_sdwa v[26:27], v27 src0_sel:WORD_1
	v_cvt_pkrtz_f16_f32 v60, v60, v61
	v_mfma_f32_16x16x16_f16 v[64:67], v[56:57], v[34:35], 0
	v_cvt_pkrtz_f16_f32 v61, v26, v27
	v_cvt_pkrtz_f16_f32 v26, v68, v69
	;; [unrolled: 1-line block ×3, first 2 shown]
	v_cvt_pk_f32_fp8_e32 v[56:57], v29
	v_mfma_f32_16x16x16_f16 v[34:37], v[60:61], v[36:37], v[64:67]
	v_cvt_pk_f32_fp8_sdwa v[60:61], v29 src0_sel:WORD_1
	v_cvt_pkrtz_f16_f32 v56, v56, v57
	s_barrier
	v_mfma_f32_16x16x16_f16 v[26:29], v[26:27], v[38:39], v[34:37]
	v_cvt_pkrtz_f16_f32 v57, v60, v61
	s_waitcnt vmcnt(2)
	v_cvt_pk_f32_fp8_e32 v[38:39], v19
	v_cvt_pk_f32_fp8_e32 v[34:35], v18
	v_cvt_pk_f32_fp8_sdwa v[36:37], v18 src0_sel:WORD_1
	v_cvt_pk_f32_fp8_sdwa v[18:19], v19 src0_sel:WORD_1
	v_mfma_f32_16x16x16_f16 v[26:29], v[56:57], v[40:41], v[26:29]
	v_cvt_pkrtz_f16_f32 v34, v34, v35
	v_cvt_pkrtz_f16_f32 v35, v36, v37
	v_cvt_pkrtz_f16_f32 v36, v38, v39
	v_cvt_pk_f32_fp8_e32 v[38:39], v20
	v_cvt_pk_f32_fp8_sdwa v[40:41], v20 src0_sel:WORD_1
	v_cvt_pkrtz_f16_f32 v37, v18, v19
	v_mfma_f32_16x16x16_f16 v[26:29], v[34:35], v[30:31], v[26:29]
	v_cvt_pkrtz_f16_f32 v30, v38, v39
	v_cvt_pkrtz_f16_f32 v31, v40, v41
	v_cvt_pk_f32_fp8_e32 v[34:35], v21
	v_cvt_pk_f32_fp8_sdwa v[38:39], v21 src0_sel:WORD_1
	v_mfma_f32_16x16x16_f16 v[18:21], v[36:37], v[32:33], v[26:29]
	s_waitcnt vmcnt(1)
	v_cvt_pk_f32_fp8_sdwa v[32:33], v16 src0_sel:WORD_1
	s_nop 0
	v_cvt_pkrtz_f16_f32 v26, v34, v35
	v_cvt_pkrtz_f16_f32 v27, v38, v39
	v_mfma_f32_16x16x16_f16 v[18:21], v[30:31], v[42:43], v[18:21]
	v_cvt_pk_f32_fp8_e32 v[28:29], v14
	v_cvt_pk_f32_fp8_sdwa v[30:31], v14 src0_sel:WORD_1
	v_cvt_pkrtz_f16_f32 v28, v28, v29
	v_mfma_f32_16x16x16_f16 v[18:21], v[26:27], v[44:45], v[18:21]
	v_cvt_pk_f32_fp8_e32 v[26:27], v15
	v_cvt_pkrtz_f16_f32 v29, v30, v31
	v_cvt_pk_f32_fp8_sdwa v[14:15], v15 src0_sel:WORD_1
	v_cvt_pk_f32_fp8_e32 v[30:31], v16
	v_cvt_pkrtz_f16_f32 v26, v26, v27
	v_mfma_f32_16x16x16_f16 v[18:21], v[28:29], v[22:23], v[18:21]
	v_cvt_pkrtz_f16_f32 v27, v14, v15
	v_cvt_pkrtz_f16_f32 v22, v30, v31
	;; [unrolled: 1-line block ×3, first 2 shown]
	v_cvt_pk_f32_fp8_e32 v[28:29], v17
	v_cvt_pk_f32_fp8_sdwa v[30:31], v17 src0_sel:WORD_1
	v_mfma_f32_16x16x16_f16 v[14:17], v[26:27], v[24:25], v[18:21]
	s_waitcnt vmcnt(0)
	v_cvt_pk_f32_fp8_sdwa v[24:25], v6 src0_sel:WORD_1
	s_nop 0
	v_pk_mul_f32 v[18:19], v[4:5], s[4:5] op_sel_hi:[1,0]
	v_cvt_pkrtz_f16_f32 v4, v28, v29
	v_cvt_pkrtz_f16_f32 v5, v30, v31
	v_mfma_f32_16x16x16_f16 v[14:17], v[22:23], v[46:47], v[14:17]
	v_cvt_pk_f32_fp8_e32 v[22:23], v6
	v_pk_mul_f32 v[20:21], v[2:3], s[4:5] op_sel_hi:[1,0]
	v_mfma_f32_16x16x16_f16 v[2:5], v[4:5], v[48:49], v[14:17]
	s_nop 3
	v_cvt_pk_f32_fp8_e32 v[14:15], v7
	v_cvt_pkrtz_f16_f32 v16, v22, v23
	v_cvt_pkrtz_f16_f32 v17, v24, v25
	v_cvt_pk_f32_fp8_sdwa v[6:7], v7 src0_sel:WORD_1
	v_cvt_pkrtz_f16_f32 v14, v14, v15
	v_cvt_pk_f32_fp8_e32 v[22:23], v8
	v_cvt_pk_f32_fp8_sdwa v[24:25], v8 src0_sel:WORD_1
	v_cvt_pkrtz_f16_f32 v15, v6, v7
	v_mfma_f32_16x16x16_f16 v[2:5], v[16:17], v[10:11], v[2:5]
	v_cvt_pkrtz_f16_f32 v6, v22, v23
	v_cvt_pkrtz_f16_f32 v7, v24, v25
	v_cvt_pk_f32_fp8_e32 v[10:11], v9
	v_cvt_pk_f32_fp8_sdwa v[8:9], v9 src0_sel:WORD_1
	v_mfma_f32_16x16x16_f16 v[2:5], v[14:15], v[12:13], v[2:5]
	v_cvt_f16_f32_e32 v12, v20
	v_cvt_pkrtz_f16_f32 v10, v10, v11
	v_cvt_pkrtz_f16_f32 v11, v8, v9
	v_mfma_f32_16x16x16_f16 v[2:5], v[6:7], v[50:51], v[2:5]
	v_cvt_f16_f32_e32 v6, v21
	v_cvt_f16_f32_e32 v7, v18
	v_cvt_f16_f32_e32 v8, v19
	v_mfma_f32_16x16x16_f16 v[2:5], v[10:11], v[52:53], v[2:5]
	s_nop 6
	v_pk_mul_f32 v[4:5], v[4:5], s[4:5] op_sel_hi:[1,0]
	v_pk_mul_f32 v[2:3], v[2:3], s[4:5] op_sel_hi:[1,0]
	v_cvt_f16_f32_e32 v11, v4
	v_cvt_f16_f32_e32 v9, v2
	;; [unrolled: 1-line block ×4, first 2 shown]
	v_pack_b32_f16 v2, v12, v6
	v_pack_b32_f16 v3, v7, v8
	;; [unrolled: 1-line block ×4, first 2 shown]
	ds_write2st64_b64 v54, v[2:3], v[4:5] offset1:1
	s_waitcnt lgkmcnt(0)
	s_barrier
	s_and_saveexec_b64 s[4:5], vcc
	s_cbranch_execz .LBB995_17
; %bb.16:
	s_load_dwordx2 s[0:1], s[0:1], 0x68
	s_lshl_b32 s6, s6, 7
	s_mul_i32 s2, s7, s2
	s_mul_hi_u32 s5, s2, s6
	s_mul_i32 s4, s2, s6
	v_lshlrev_b32_e32 v4, 6, v62
	s_lshl_b64 s[4:5], s[4:5], 1
	v_lshl_or_b32 v0, v0, 10, v4
	s_waitcnt lgkmcnt(0)
	s_add_u32 s4, s0, s4
	v_lshlrev_b32_e32 v2, 5, v1
	v_and_b32_e32 v3, 16, v63
	v_and_b32_e32 v0, 0x1a00, v0
	s_addc_u32 s5, s1, s5
	s_lshl_b32 s2, s22, 7
	v_or3_b32 v0, v0, v2, v3
	s_lshl_b64 s[0:1], s[2:3], 1
	ds_read_b128 v[2:5], v0
	ds_read_b128 v[6:9], v0 offset:128
	s_add_u32 s0, s4, s0
	s_addc_u32 s1, s5, s1
	v_mov_b32_e32 v59, 0
	v_or_b32_e32 v12, s23, v1
	v_lshl_add_u64 v[10:11], s[0:1], 0, v[58:59]
	v_mad_u64_u32 v[0:1], s[0:1], v12, s6, 0
	v_lshl_add_u64 v[0:1], v[0:1], 1, v[10:11]
	s_waitcnt lgkmcnt(1)
	global_store_dwordx4 v[0:1], v[2:5], off
	v_or_b32_e32 v0, 4, v12
	v_mad_u64_u32 v[0:1], s[0:1], v0, s6, 0
	v_lshl_add_u64 v[0:1], v[0:1], 1, v[10:11]
	s_waitcnt lgkmcnt(0)
	global_store_dwordx4 v[0:1], v[6:9], off
.LBB995_17:
	s_endpgm
	.section	.rodata,"a",@progbits
	.p2align	6, 0x0
	.amdhsa_kernel _Z39paged_attention_ll4mi_QKV_mfma16_kernelIDF16_hLN4vllm18Fp8KVCacheDataTypeE1EDF16_Li16ELi128ELi256ELb0ELi8EEvPKT_PKT0_S7_ifPKiS9_S9_iPKfiiiPfSC_PS2_PT2_iSB_SB_
		.amdhsa_group_segment_fixed_size 8192
		.amdhsa_private_segment_fixed_size 0
		.amdhsa_kernarg_size 400
		.amdhsa_user_sgpr_count 2
		.amdhsa_user_sgpr_dispatch_ptr 0
		.amdhsa_user_sgpr_queue_ptr 0
		.amdhsa_user_sgpr_kernarg_segment_ptr 1
		.amdhsa_user_sgpr_dispatch_id 0
		.amdhsa_user_sgpr_kernarg_preload_length 0
		.amdhsa_user_sgpr_kernarg_preload_offset 0
		.amdhsa_user_sgpr_private_segment_size 0
		.amdhsa_uses_dynamic_stack 0
		.amdhsa_enable_private_segment 0
		.amdhsa_system_sgpr_workgroup_id_x 1
		.amdhsa_system_sgpr_workgroup_id_y 1
		.amdhsa_system_sgpr_workgroup_id_z 1
		.amdhsa_system_sgpr_workgroup_info 0
		.amdhsa_system_vgpr_workitem_id 0
		.amdhsa_next_free_vgpr 90
		.amdhsa_next_free_sgpr 48
		.amdhsa_accum_offset 92
		.amdhsa_reserve_vcc 1
		.amdhsa_float_round_mode_32 0
		.amdhsa_float_round_mode_16_64 0
		.amdhsa_float_denorm_mode_32 3
		.amdhsa_float_denorm_mode_16_64 3
		.amdhsa_dx10_clamp 1
		.amdhsa_ieee_mode 1
		.amdhsa_fp16_overflow 0
		.amdhsa_tg_split 0
		.amdhsa_exception_fp_ieee_invalid_op 0
		.amdhsa_exception_fp_denorm_src 0
		.amdhsa_exception_fp_ieee_div_zero 0
		.amdhsa_exception_fp_ieee_overflow 0
		.amdhsa_exception_fp_ieee_underflow 0
		.amdhsa_exception_fp_ieee_inexact 0
		.amdhsa_exception_int_div_zero 0
	.end_amdhsa_kernel
	.section	.text._Z39paged_attention_ll4mi_QKV_mfma16_kernelIDF16_hLN4vllm18Fp8KVCacheDataTypeE1EDF16_Li16ELi128ELi256ELb0ELi8EEvPKT_PKT0_S7_ifPKiS9_S9_iPKfiiiPfSC_PS2_PT2_iSB_SB_,"axG",@progbits,_Z39paged_attention_ll4mi_QKV_mfma16_kernelIDF16_hLN4vllm18Fp8KVCacheDataTypeE1EDF16_Li16ELi128ELi256ELb0ELi8EEvPKT_PKT0_S7_ifPKiS9_S9_iPKfiiiPfSC_PS2_PT2_iSB_SB_,comdat
.Lfunc_end995:
	.size	_Z39paged_attention_ll4mi_QKV_mfma16_kernelIDF16_hLN4vllm18Fp8KVCacheDataTypeE1EDF16_Li16ELi128ELi256ELb0ELi8EEvPKT_PKT0_S7_ifPKiS9_S9_iPKfiiiPfSC_PS2_PT2_iSB_SB_, .Lfunc_end995-_Z39paged_attention_ll4mi_QKV_mfma16_kernelIDF16_hLN4vllm18Fp8KVCacheDataTypeE1EDF16_Li16ELi128ELi256ELb0ELi8EEvPKT_PKT0_S7_ifPKiS9_S9_iPKfiiiPfSC_PS2_PT2_iSB_SB_
                                        ; -- End function
	.section	.AMDGPU.csdata,"",@progbits
; Kernel info:
; codeLenInByte = 5976
; NumSgprs: 54
; NumVgprs: 90
; NumAgprs: 0
; TotalNumVgprs: 90
; ScratchSize: 0
; MemoryBound: 0
; FloatMode: 240
; IeeeMode: 1
; LDSByteSize: 8192 bytes/workgroup (compile time only)
; SGPRBlocks: 6
; VGPRBlocks: 11
; NumSGPRsForWavesPerEU: 54
; NumVGPRsForWavesPerEU: 90
; AccumOffset: 92
; Occupancy: 5
; WaveLimiterHint : 1
; COMPUTE_PGM_RSRC2:SCRATCH_EN: 0
; COMPUTE_PGM_RSRC2:USER_SGPR: 2
; COMPUTE_PGM_RSRC2:TRAP_HANDLER: 0
; COMPUTE_PGM_RSRC2:TGID_X_EN: 1
; COMPUTE_PGM_RSRC2:TGID_Y_EN: 1
; COMPUTE_PGM_RSRC2:TGID_Z_EN: 1
; COMPUTE_PGM_RSRC2:TIDIG_COMP_CNT: 0
; COMPUTE_PGM_RSRC3_GFX90A:ACCUM_OFFSET: 22
; COMPUTE_PGM_RSRC3_GFX90A:TG_SPLIT: 0
	.section	.text._Z39paged_attention_ll4mi_QKV_mfma16_kernelIDF16_hLN4vllm18Fp8KVCacheDataTypeE1EDF16_Li16ELi128ELi256ELb0ELi9EEvPKT_PKT0_S7_ifPKiS9_S9_iPKfiiiPfSC_PS2_PT2_iSB_SB_,"axG",@progbits,_Z39paged_attention_ll4mi_QKV_mfma16_kernelIDF16_hLN4vllm18Fp8KVCacheDataTypeE1EDF16_Li16ELi128ELi256ELb0ELi9EEvPKT_PKT0_S7_ifPKiS9_S9_iPKfiiiPfSC_PS2_PT2_iSB_SB_,comdat
	.protected	_Z39paged_attention_ll4mi_QKV_mfma16_kernelIDF16_hLN4vllm18Fp8KVCacheDataTypeE1EDF16_Li16ELi128ELi256ELb0ELi9EEvPKT_PKT0_S7_ifPKiS9_S9_iPKfiiiPfSC_PS2_PT2_iSB_SB_ ; -- Begin function _Z39paged_attention_ll4mi_QKV_mfma16_kernelIDF16_hLN4vllm18Fp8KVCacheDataTypeE1EDF16_Li16ELi128ELi256ELb0ELi9EEvPKT_PKT0_S7_ifPKiS9_S9_iPKfiiiPfSC_PS2_PT2_iSB_SB_
	.globl	_Z39paged_attention_ll4mi_QKV_mfma16_kernelIDF16_hLN4vllm18Fp8KVCacheDataTypeE1EDF16_Li16ELi128ELi256ELb0ELi9EEvPKT_PKT0_S7_ifPKiS9_S9_iPKfiiiPfSC_PS2_PT2_iSB_SB_
	.p2align	8
	.type	_Z39paged_attention_ll4mi_QKV_mfma16_kernelIDF16_hLN4vllm18Fp8KVCacheDataTypeE1EDF16_Li16ELi128ELi256ELb0ELi9EEvPKT_PKT0_S7_ifPKiS9_S9_iPKfiiiPfSC_PS2_PT2_iSB_SB_,@function
_Z39paged_attention_ll4mi_QKV_mfma16_kernelIDF16_hLN4vllm18Fp8KVCacheDataTypeE1EDF16_Li16ELi128ELi256ELb0ELi9EEvPKT_PKT0_S7_ifPKiS9_S9_iPKfiiiPfSC_PS2_PT2_iSB_SB_: ; @_Z39paged_attention_ll4mi_QKV_mfma16_kernelIDF16_hLN4vllm18Fp8KVCacheDataTypeE1EDF16_Li16ELi128ELi256ELb0ELi9EEvPKT_PKT0_S7_ifPKiS9_S9_iPKfiiiPfSC_PS2_PT2_iSB_SB_
; %bb.0:
	s_load_dwordx2 s[12:13], s[0:1], 0x30
	s_mov_b32 s24, s3
	s_mov_b64 s[6:7], 0
	s_waitcnt lgkmcnt(0)
	s_cmp_lg_u64 s[12:13], 0
	s_cselect_b64 s[14:15], -1, 0
	s_and_b64 vcc, exec, s[14:15]
	s_cbranch_vccz .LBB996_7
; %bb.1:
	s_add_i32 s8, s2, 1
	s_mov_b32 s9, 0
	s_lshl_b64 s[10:11], s[8:9], 2
	s_add_u32 s10, s12, s10
	s_mov_b32 s3, s9
	s_addc_u32 s11, s13, s11
	s_lshl_b64 s[8:9], s[2:3], 2
	s_add_u32 s8, s12, s8
	s_addc_u32 s9, s13, s9
	s_load_dword s5, s[10:11], 0x0
	s_load_dword s16, s[8:9], 0x0
	s_waitcnt lgkmcnt(0)
	s_sub_i32 s5, s5, s16
	s_cmp_eq_u32 s5, 1
	s_cselect_b64 s[8:9], -1, 0
	s_andn2_b64 vcc, exec, s[6:7]
	s_cbranch_vccnz .LBB996_3
.LBB996_2:
	s_mov_b32 s3, 0
	s_mov_b64 s[8:9], -1
.LBB996_3:
	s_andn2_b64 vcc, exec, s[8:9]
	s_cbranch_vccnz .LBB996_18
; %bb.4:
	s_load_dwordx2 s[6:7], s[0:1], 0x28
	s_lshl_b64 s[16:17], s[2:3], 2
	s_waitcnt lgkmcnt(0)
	s_add_u32 s6, s6, s16
	s_addc_u32 s7, s7, s17
	s_load_dword s33, s[6:7], 0x0
	s_lshl_b32 s18, s24, 8
	s_waitcnt lgkmcnt(0)
	s_cmp_ge_i32 s18, s33
	s_cbranch_scc1 .LBB996_18
; %bb.5:
	s_load_dwordx2 s[6:7], s[0:1], 0x20
	s_load_dword s8, s[0:1], 0x38
	s_add_i32 s5, s33, 15
	s_ashr_i32 s9, s5, 31
	v_and_b32_e32 v1, 0xcf, v0
	s_lshr_b32 s9, s9, 28
	v_add_u32_e32 v1, s18, v1
	s_add_i32 s5, s5, s9
	v_ashrrev_i32_e32 v2, 31, v1
	s_ashr_i32 s5, s5, 4
	v_lshrrev_b32_e32 v10, 28, v2
	s_add_i32 s5, s5, -1
	s_waitcnt lgkmcnt(0)
	s_mul_i32 s8, s2, s8
	s_mov_b32 s9, 0
	v_add_u32_e32 v2, v1, v10
	s_lshl_b64 s[8:9], s[8:9], 2
	v_ashrrev_i32_e32 v2, 4, v2
	v_mov_b32_e32 v11, s5
	v_cmp_gt_i32_e32 vcc, s33, v1
	s_add_u32 s6, s6, s8
	s_addc_u32 s7, s7, s9
	v_cndmask_b32_e32 v2, v11, v2, vcc
	v_ashrrev_i32_e32 v3, 31, v2
	v_lshl_add_u64 v[4:5], v[2:3], 2, s[6:7]
	v_or_b32_e32 v2, 16, v1
	v_add_u32_e32 v3, v2, v10
	v_ashrrev_i32_e32 v3, 4, v3
	v_cmp_gt_i32_e32 vcc, s33, v2
	s_load_dwordx4 s[8:11], s[0:1], 0x8
	s_nop 0
	v_cndmask_b32_e32 v2, v11, v3, vcc
	v_ashrrev_i32_e32 v3, 31, v2
	v_lshl_add_u64 v[6:7], v[2:3], 2, s[6:7]
	v_or_b32_e32 v2, 32, v1
	v_add_u32_e32 v3, v2, v10
	v_ashrrev_i32_e32 v3, 4, v3
	v_cmp_gt_i32_e32 vcc, s33, v2
	v_or_b32_e32 v1, 48, v1
	s_nop 0
	v_cndmask_b32_e32 v2, v11, v3, vcc
	v_ashrrev_i32_e32 v3, 31, v2
	v_lshl_add_u64 v[8:9], v[2:3], 2, s[6:7]
	v_add_u32_e32 v2, v1, v10
	v_ashrrev_i32_e32 v2, 4, v2
	v_cmp_gt_i32_e32 vcc, s33, v1
	s_nop 1
	v_cndmask_b32_e32 v2, v11, v2, vcc
	v_ashrrev_i32_e32 v3, 31, v2
	v_lshl_add_u64 v[10:11], v[2:3], 2, s[6:7]
	global_load_dword v3, v[4:5], off
	global_load_dword v2, v[6:7], off
	;; [unrolled: 1-line block ×4, first 2 shown]
	s_andn2_b64 vcc, exec, s[14:15]
	s_cbranch_vccnz .LBB996_8
; %bb.6:
	s_add_u32 s12, s12, s16
	s_addc_u32 s13, s13, s17
	s_load_dword s14, s[12:13], 0x0
	s_branch .LBB996_9
.LBB996_7:
	s_mov_b64 s[8:9], 0
	s_branch .LBB996_2
.LBB996_8:
	s_mov_b32 s14, s2
.LBB996_9:
	s_load_dwordx4 s[44:47], s[0:1], 0x48
	v_lshrrev_b32_e32 v61, 6, v0
	v_bfe_u32 v64, v0, 4, 2
	v_and_b32_e32 v60, 15, v0
	v_lshl_or_b32 v4, v61, 2, v64
	v_lshlrev_b32_e32 v1, 3, v60
	v_and_b32_e32 v65, 63, v0
	s_mul_i32 s48, s4, 9
	v_cmp_gt_u32_e32 vcc, 9, v4
	v_lshlrev_b32_e32 v58, 1, v1
	v_lshlrev_b32_e32 v1, 4, v0
	s_and_saveexec_b64 s[12:13], vcc
	s_cbranch_execz .LBB996_11
; %bb.10:
	s_load_dwordx2 s[16:17], s[0:1], 0x0
	s_waitcnt lgkmcnt(0)
	s_ashr_i32 s15, s44, 31
	s_mul_hi_u32 s19, s14, s44
	s_mul_i32 s15, s14, s15
	s_add_i32 s15, s19, s15
	s_mul_i32 s14, s14, s44
	s_lshl_b64 s[14:15], s[14:15], 1
	s_add_u32 s14, s16, s14
	v_add_lshl_u32 v6, v4, s48, 7
	s_addc_u32 s15, s17, s15
	v_ashrrev_i32_e32 v7, 31, v6
	v_lshl_add_u64 v[6:7], v[6:7], 1, s[14:15]
	v_mov_b32_e32 v59, 0
	v_lshl_add_u64 v[6:7], v[6:7], 0, v[58:59]
	global_load_dwordx4 v[6:9], v[6:7], off
	v_lshlrev_b32_e32 v10, 8, v0
	v_lshlrev_b32_e32 v5, 8, v60
	v_and_b32_e32 v10, 0x600, v10
	s_movk_i32 s14, 0x800
	v_and_or_b32 v5, v5, s14, v10
	v_lshlrev_b32_e32 v4, 5, v4
	v_and_b32_e32 v10, 16, v1
	v_or3_b32 v4, v5, v4, v10
	s_waitcnt vmcnt(0)
	ds_write_b128 v4, v[6:9]
.LBB996_11:
	s_or_b64 exec, exec, s[12:13]
	s_waitcnt lgkmcnt(0)
	s_mul_i32 s4, s4, s46
	s_add_u32 s8, s8, s4
	s_addc_u32 s9, s9, 0
	v_and_b32_e32 v62, 0xf0, v1
	v_mov_b32_e32 v63, 0
	v_and_b32_e32 v6, 48, v0
	v_lshl_add_u64 v[30:31], s[8:9], 0, v[62:63]
	v_lshlrev_b32_e32 v62, 4, v6
	s_waitcnt vmcnt(3)
	v_mad_i64_i32 v[4:5], s[8:9], v3, s45, v[30:31]
	v_lshl_add_u64 v[4:5], v[4:5], 0, v[62:63]
	s_load_dword s25, s[0:1], 0x98
	s_load_dwordx4 s[40:43], s[0:1], 0x80
	s_waitcnt lgkmcnt(0)
	s_barrier
	global_load_dwordx4 v[22:25], v[4:5], off
	global_load_dwordx4 v[10:13], v[4:5], off offset:1024
	s_waitcnt vmcnt(4)
	v_mad_i64_i32 v[2:3], s[8:9], v2, s45, v[30:31]
	v_lshl_add_u64 v[32:33], v[2:3], 0, v[62:63]
	global_load_dwordx4 v[2:5], v[32:33], off
	v_add_u32_e32 v7, -9, v60
	v_cmp_gt_u32_e32 vcc, 9, v60
	v_or_b32_e32 v6, s18, v6
	v_mov_b32_e32 v38, s5
	v_cndmask_b32_e32 v7, v7, v60, vcc
	v_lshlrev_b32_e32 v7, 5, v7
	v_ashrrev_i32_e32 v8, 4, v6
	v_lshl_add_u32 v7, v64, 9, v7
	v_cmp_gt_i32_e32 vcc, s33, v6
	v_or_b32_e32 v39, 64, v6
	v_or_b32_e32 v43, 0x80, v6
	;; [unrolled: 1-line block ×3, first 2 shown]
	v_cndmask_b32_e32 v40, v38, v8, vcc
	ds_read_b128 v[26:29], v7
	ds_read_b128 v[18:21], v7 offset:16
	ds_read_b128 v[14:17], v7 offset:2048
	;; [unrolled: 1-line block ×3, first 2 shown]
	s_waitcnt vmcnt(4)
	v_mad_i64_i32 v[36:37], s[12:13], v34, s45, v[30:31]
	s_waitcnt vmcnt(3)
	v_mad_i64_i32 v[34:35], s[12:13], v35, s45, v[30:31]
	global_load_dwordx4 v[30:33], v[32:33], off offset:1024
	v_ashrrev_i32_e32 v42, 4, v39
	v_cmp_gt_i32_e32 vcc, s33, v39
	v_ashrrev_i32_e32 v44, 4, v43
	v_ashrrev_i32_e32 v46, 4, v45
	v_cndmask_b32_e32 v42, v38, v42, vcc
	v_cmp_gt_i32_e32 vcc, s33, v43
	v_ashrrev_i32_e32 v41, 31, v40
	v_lshl_add_u64 v[36:37], v[36:37], 0, v[62:63]
	v_cndmask_b32_e32 v44, v38, v44, vcc
	v_cmp_gt_i32_e32 vcc, s33, v45
	v_lshl_add_u64 v[34:35], v[34:35], 0, v[62:63]
	v_ashrrev_i32_e32 v43, 31, v42
	v_cndmask_b32_e32 v38, v38, v46, vcc
	v_ashrrev_i32_e32 v45, 31, v44
	v_ashrrev_i32_e32 v39, 31, v38
	v_lshl_add_u64 v[50:51], v[40:41], 2, s[6:7]
	v_lshl_add_u64 v[52:53], v[42:43], 2, s[6:7]
	v_lshl_add_u64 v[54:55], v[44:45], 2, s[6:7]
	v_lshl_add_u64 v[56:57], v[38:39], 2, s[6:7]
	global_load_dwordx4 v[46:49], v[36:37], off
	global_load_dwordx4 v[42:45], v[36:37], off offset:1024
	global_load_dwordx4 v[38:41], v[34:35], off
	s_nop 0
	global_load_dwordx4 v[34:37], v[34:35], off offset:1024
	s_nop 0
	global_load_dword v69, v[50:51], off
	global_load_dword v68, v[52:53], off
	;; [unrolled: 1-line block ×4, first 2 shown]
	s_add_u32 s4, s10, s4
	v_lshl_or_b32 v59, v61, 4, v60
	s_addc_u32 s5, s11, 0
	v_lshlrev_b32_e32 v62, 4, v59
	s_load_dword s8, s[0:1], 0x1c
	s_waitcnt vmcnt(11)
	v_cvt_pk_f32_fp8_e32 v[50:51], v22
	v_cvt_pk_f32_fp8_sdwa v[52:53], v22 src0_sel:WORD_1
	v_cvt_pk_f32_fp8_e32 v[54:55], v23
	v_cvt_pk_f32_fp8_sdwa v[56:57], v23 src0_sel:WORD_1
	;; [unrolled: 2-line block ×4, first 2 shown]
	s_waitcnt vmcnt(9)
	v_cvt_pk_f32_fp8_e32 v[22:23], v2
	v_cvt_pk_f32_fp8_sdwa v[24:25], v2 src0_sel:WORD_1
	v_cvt_pkrtz_f16_f32 v50, v50, v51
	v_cvt_pkrtz_f16_f32 v51, v52, v53
	v_cvt_pk_f32_fp8_e32 v[78:79], v10
	v_cvt_pk_f32_fp8_sdwa v[80:81], v10 src0_sel:WORD_1
	v_cvt_pk_f32_fp8_e32 v[52:53], v11
	v_cvt_pk_f32_fp8_sdwa v[82:83], v11 src0_sel:WORD_1
	v_cvt_pkrtz_f16_f32 v10, v22, v23
	v_cvt_pkrtz_f16_f32 v11, v24, v25
	;; [unrolled: 1-line block ×4, first 2 shown]
	s_waitcnt lgkmcnt(0)
	v_mfma_f32_16x16x16_f16 v[22:25], v[50:51], v[26:27], 0
	v_cvt_pk_f32_fp8_e32 v[50:51], v12
	v_cvt_pk_f32_fp8_sdwa v[86:87], v12 src0_sel:WORD_1
	v_cvt_pkrtz_f16_f32 v50, v50, v51
	v_mfma_f32_16x16x16_f16 v[54:57], v[10:11], v[26:27], 0
	v_cvt_pkrtz_f16_f32 v10, v70, v71
	v_cvt_pkrtz_f16_f32 v11, v72, v73
	;; [unrolled: 1-line block ×3, first 2 shown]
	v_mfma_f32_16x16x16_f16 v[22:25], v[84:85], v[28:29], v[22:25]
	v_cvt_pkrtz_f16_f32 v73, v76, v77
	v_cvt_pkrtz_f16_f32 v76, v78, v79
	;; [unrolled: 1-line block ×3, first 2 shown]
	v_mfma_f32_16x16x16_f16 v[22:25], v[10:11], v[18:19], v[22:25]
	v_cvt_pk_f32_fp8_e32 v[70:71], v13
	v_cvt_pk_f32_fp8_sdwa v[74:75], v13 src0_sel:WORD_1
	v_cvt_pkrtz_f16_f32 v51, v86, v87
	v_mfma_f32_16x16x16_f16 v[10:13], v[72:73], v[20:21], v[22:25]
	s_waitcnt vmcnt(7)
	v_cvt_pk_f32_fp8_e32 v[72:73], v49
	s_nop 0
	v_cvt_pkrtz_f16_f32 v24, v52, v53
	v_cvt_pkrtz_f16_f32 v25, v82, v83
	v_mfma_f32_16x16x16_f16 v[10:13], v[76:77], v[14:15], v[10:13]
	v_cvt_pk_f32_fp8_e32 v[22:23], v3
	v_cvt_pk_f32_fp8_sdwa v[2:3], v3 src0_sel:WORD_1
	v_cvt_pkrtz_f16_f32 v52, v70, v71
	v_mfma_f32_16x16x16_f16 v[10:13], v[24:25], v[16:17], v[10:13]
	v_cvt_pkrtz_f16_f32 v53, v74, v75
	v_cvt_pk_f32_fp8_e32 v[24:25], v4
	v_cvt_pk_f32_fp8_sdwa v[70:71], v4 src0_sel:WORD_1
	v_mfma_f32_16x16x16_f16 v[10:13], v[50:51], v[6:7], v[10:13]
	v_cvt_pkrtz_f16_f32 v22, v22, v23
	v_cvt_pkrtz_f16_f32 v23, v2, v3
	s_waitcnt vmcnt(6)
	v_cvt_pk_f32_fp8_sdwa v[76:77], v44 src0_sel:WORD_1
	v_mfma_f32_16x16x16_f16 v[50:53], v[52:53], v[8:9], v[10:13]
	s_nop 2
	v_cvt_pkrtz_f16_f32 v10, v24, v25
	v_cvt_pkrtz_f16_f32 v11, v70, v71
	v_cvt_pk_f32_fp8_e32 v[12:13], v5
	v_cvt_pk_f32_fp8_sdwa v[24:25], v5 src0_sel:WORD_1
	v_mfma_f32_16x16x16_f16 v[2:5], v[22:23], v[28:29], v[54:57]
	v_cvt_pk_f32_fp8_sdwa v[22:23], v30 src0_sel:WORD_1
	v_cvt_pkrtz_f16_f32 v12, v12, v13
	v_cvt_pkrtz_f16_f32 v13, v24, v25
	v_mfma_f32_16x16x16_f16 v[2:5], v[10:11], v[18:19], v[2:5]
	v_cvt_pk_f32_fp8_e32 v[10:11], v30
	v_cvt_pk_f32_fp8_e32 v[24:25], v32
	v_lshl_add_u64 v[70:71], s[4:5], 0, v[62:63]
	v_mfma_f32_16x16x16_f16 v[2:5], v[12:13], v[20:21], v[2:5]
	v_cvt_pk_f32_fp8_e32 v[12:13], v31
	v_cvt_pkrtz_f16_f32 v10, v10, v11
	v_cvt_pkrtz_f16_f32 v11, v22, v23
	v_cvt_pk_f32_fp8_sdwa v[22:23], v31 src0_sel:WORD_1
	v_cvt_pkrtz_f16_f32 v12, v12, v13
	v_cvt_pk_f32_fp8_sdwa v[30:31], v32 src0_sel:WORD_1
	v_mfma_f32_16x16x16_f16 v[2:5], v[10:11], v[14:15], v[2:5]
	v_cvt_pkrtz_f16_f32 v13, v22, v23
	v_cvt_pkrtz_f16_f32 v10, v24, v25
	v_cvt_pkrtz_f16_f32 v11, v30, v31
	v_cvt_pk_f32_fp8_e32 v[22:23], v33
	v_cvt_pk_f32_fp8_sdwa v[24:25], v33 src0_sel:WORD_1
	v_mfma_f32_16x16x16_f16 v[2:5], v[12:13], v[16:17], v[2:5]
	v_or_b32_e32 v62, 0x400, v62
	v_cvt_pkrtz_f16_f32 v12, v22, v23
	v_cvt_pkrtz_f16_f32 v13, v24, v25
	v_mfma_f32_16x16x16_f16 v[2:5], v[10:11], v[6:7], v[2:5]
	v_cvt_pk_f32_fp8_e32 v[10:11], v46
	v_cvt_pk_f32_fp8_sdwa v[22:23], v46 src0_sel:WORD_1
	v_cvt_pk_f32_fp8_sdwa v[24:25], v48 src0_sel:WORD_1
	v_mfma_f32_16x16x16_f16 v[54:57], v[12:13], v[8:9], v[2:5]
	s_waitcnt vmcnt(3)
	v_mad_i64_i32 v[12:13], s[6:7], v69, s45, v[70:71]
	s_nop 0
	v_cvt_pkrtz_f16_f32 v2, v10, v11
	v_cvt_pkrtz_f16_f32 v3, v22, v23
	v_cvt_pk_f32_fp8_e32 v[4:5], v47
	v_cvt_pk_f32_fp8_sdwa v[10:11], v47 src0_sel:WORD_1
	s_waitcnt vmcnt(2)
	v_mad_i64_i32 v[46:47], s[6:7], v68, s45, v[70:71]
	v_cvt_pkrtz_f16_f32 v22, v4, v5
	v_cvt_pkrtz_f16_f32 v23, v10, v11
	v_cvt_pk_f32_fp8_e32 v[10:11], v48
	v_mfma_f32_16x16x16_f16 v[2:5], v[2:3], v[26:27], 0
	v_cvt_pk_f32_fp8_sdwa v[48:49], v49 src0_sel:WORD_1
	v_cvt_pkrtz_f16_f32 v10, v10, v11
	v_cvt_pkrtz_f16_f32 v11, v24, v25
	v_mfma_f32_16x16x16_f16 v[2:5], v[22:23], v[28:29], v[2:5]
	global_load_dwordx4 v[30:33], v[12:13], off
	global_load_dwordx4 v[22:25], v[46:47], off
	v_cvt_pkrtz_f16_f32 v12, v72, v73
	v_cvt_pkrtz_f16_f32 v13, v48, v49
	v_mfma_f32_16x16x16_f16 v[2:5], v[10:11], v[18:19], v[2:5]
	v_cvt_pk_f32_fp8_e32 v[10:11], v42
	v_cvt_pk_f32_fp8_sdwa v[46:47], v42 src0_sel:WORD_1
	s_waitcnt vmcnt(3)
	v_mad_i64_i32 v[72:73], s[6:7], v67, s45, v[70:71]
	v_mfma_f32_16x16x16_f16 v[2:5], v[12:13], v[20:21], v[2:5]
	v_cvt_pkrtz_f16_f32 v10, v10, v11
	v_cvt_pkrtz_f16_f32 v11, v46, v47
	v_cvt_pk_f32_fp8_e32 v[12:13], v43
	v_cvt_pk_f32_fp8_sdwa v[42:43], v43 src0_sel:WORD_1
	v_mfma_f32_16x16x16_f16 v[46:49], v[10:11], v[14:15], v[2:5]
	v_cvt_pkrtz_f16_f32 v74, v12, v13
	v_cvt_pkrtz_f16_f32 v75, v42, v43
	v_cvt_pk_f32_fp8_e32 v[42:43], v44
	s_waitcnt vmcnt(2)
	v_mad_i64_i32 v[70:71], s[6:7], v66, s45, v[70:71]
	global_load_dwordx4 v[10:13], v[72:73], off
	global_load_dwordx4 v[2:5], v[70:71], off
	v_cvt_pkrtz_f16_f32 v70, v42, v43
	v_cvt_pkrtz_f16_f32 v71, v76, v77
	v_cvt_pk_f32_fp8_e32 v[72:73], v45
	v_cvt_pk_f32_fp8_sdwa v[76:77], v45 src0_sel:WORD_1
	v_mfma_f32_16x16x16_f16 v[44:47], v[74:75], v[16:17], v[46:49]
	v_lshl_add_u64 v[42:43], s[4:5], 0, v[62:63]
	v_cvt_pk_f32_fp8_e32 v[62:63], v38
	v_cvt_pk_f32_fp8_sdwa v[74:75], v38 src0_sel:WORD_1
	v_cvt_pkrtz_f16_f32 v48, v72, v73
	v_cvt_pkrtz_f16_f32 v49, v76, v77
	v_mfma_f32_16x16x16_f16 v[44:47], v[70:71], v[6:7], v[44:47]
	s_load_dword s4, s[40:41], 0x0
	s_mov_b32 s40, 0xff7fffff
	v_mfma_f32_16x16x16_f16 v[70:73], v[48:49], v[8:9], v[44:47]
	s_nop 3
	v_cvt_pk_f32_fp8_e32 v[44:45], v39
	v_cvt_pkrtz_f16_f32 v46, v62, v63
	v_cvt_pkrtz_f16_f32 v47, v74, v75
	v_cvt_pk_f32_fp8_sdwa v[38:39], v39 src0_sel:WORD_1
	v_cvt_pkrtz_f16_f32 v48, v44, v45
	v_cvt_pk_f32_fp8_e32 v[62:63], v40
	v_cvt_pk_f32_fp8_sdwa v[74:75], v40 src0_sel:WORD_1
	v_cvt_pkrtz_f16_f32 v49, v38, v39
	v_mfma_f32_16x16x16_f16 v[44:47], v[46:47], v[26:27], 0
	v_cvt_pkrtz_f16_f32 v38, v62, v63
	v_cvt_pkrtz_f16_f32 v39, v74, v75
	v_cvt_pk_f32_fp8_e32 v[62:63], v41
	v_cvt_pk_f32_fp8_sdwa v[74:75], v41 src0_sel:WORD_1
	v_mov_b32_e32 v26, s8
	s_waitcnt lgkmcnt(0)
	v_mul_f32_e32 v76, s4, v26
	v_mfma_f32_16x16x16_f16 v[26:29], v[48:49], v[28:29], v[44:47]
	v_cvt_pk_f32_fp8_sdwa v[48:49], v37 src0_sel:WORD_1
	v_pk_mul_f32 v[40:41], v[76:77], v[52:53] op_sel_hi:[0,1]
	v_pk_mul_f32 v[52:53], v[76:77], v[54:55] op_sel_hi:[0,1]
	v_cvt_pkrtz_f16_f32 v46, v62, v63
	v_cvt_pkrtz_f16_f32 v47, v74, v75
	v_mfma_f32_16x16x16_f16 v[26:29], v[38:39], v[18:19], v[26:29]
	v_cvt_pk_f32_fp8_e32 v[18:19], v34
	v_cvt_pk_f32_fp8_sdwa v[38:39], v34 src0_sel:WORD_1
	v_pk_mul_f32 v[44:45], v[76:77], v[50:51] op_sel_hi:[0,1]
	v_mfma_f32_16x16x16_f16 v[26:29], v[46:47], v[20:21], v[26:29]
	v_cvt_pkrtz_f16_f32 v20, v18, v19
	v_cvt_pkrtz_f16_f32 v21, v38, v39
	v_cvt_pk_f32_fp8_e32 v[38:39], v35
	v_cvt_pk_f32_fp8_sdwa v[34:35], v35 src0_sel:WORD_1
	v_mfma_f32_16x16x16_f16 v[26:29], v[20:21], v[14:15], v[26:29]
	v_cvt_pkrtz_f16_f32 v38, v38, v39
	v_cvt_pkrtz_f16_f32 v39, v34, v35
	v_cvt_pk_f32_fp8_e32 v[14:15], v36
	v_cvt_pk_f32_fp8_sdwa v[20:21], v36 src0_sel:WORD_1
	v_pk_mul_f32 v[50:51], v[76:77], v[70:71] op_sel_hi:[0,1]
	v_mad_i64_i32 v[18:19], s[4:5], v69, s45, v[42:43]
	v_cvt_pkrtz_f16_f32 v46, v14, v15
	v_cvt_pkrtz_f16_f32 v47, v20, v21
	v_cvt_pk_f32_fp8_e32 v[20:21], v37
	v_mfma_f32_16x16x16_f16 v[14:17], v[38:39], v[16:17], v[26:29]
	v_pk_mul_f32 v[36:37], v[76:77], v[56:57] op_sel_hi:[0,1]
	v_mad_i64_i32 v[34:35], s[4:5], v68, s45, v[42:43]
	v_cvt_pkrtz_f16_f32 v20, v20, v21
	v_cvt_pkrtz_f16_f32 v21, v48, v49
	v_mfma_f32_16x16x16_f16 v[14:17], v[46:47], v[6:7], v[14:17]
	v_pk_mul_f32 v[46:47], v[76:77], v[72:73] op_sel_hi:[0,1]
	v_mfma_f32_16x16x16_f16 v[6:9], v[20:21], v[8:9], v[14:17]
	global_load_dwordx4 v[26:29], v[18:19], off
	s_nop 0
	global_load_dwordx4 v[18:21], v[34:35], off
	s_nop 3
	v_pk_mul_f32 v[48:49], v[76:77], v[6:7] op_sel_hi:[0,1]
	v_and_b32_e32 v6, 0xc0, v0
	v_add_u32_e32 v6, s18, v6
	v_lshl_or_b32 v6, v64, 2, v6
	v_pk_mul_f32 v[38:39], v[76:77], v[8:9] op_sel_hi:[0,1]
	v_or_b32_e32 v9, 1, v6
	v_mov_b32_e32 v7, 0xff7fffff
	v_cmp_gt_i32_e64 s[26:27], s33, v6
	v_cmp_gt_i32_e64 s[28:29], s33, v9
	v_or_b32_e32 v14, 3, v6
	v_cndmask_b32_e64 v8, v7, v44, s[26:27]
	v_cndmask_b32_e64 v9, v7, v45, s[28:29]
	v_max3_f32 v8, v8, s40, v9
	v_or_b32_e32 v9, 2, v6
	v_cmp_gt_i32_e64 s[30:31], s33, v9
	v_cmp_gt_i32_e64 s[34:35], s33, v14
	s_nop 0
	v_cndmask_b32_e64 v9, v7, v40, s[30:31]
	v_cndmask_b32_e64 v14, v7, v41, s[34:35]
	v_max3_f32 v8, v8, v9, v14
	v_or_b32_e32 v9, 16, v6
	v_or_b32_e32 v14, 17, v6
	v_cmp_gt_i32_e64 s[18:19], s33, v9
	v_cmp_gt_i32_e64 s[20:21], s33, v14
	s_nop 0
	v_cndmask_b32_e64 v9, v7, v52, s[18:19]
	v_cndmask_b32_e64 v14, v7, v53, s[20:21]
	v_max3_f32 v8, v8, v9, v14
	v_or_b32_e32 v9, 18, v6
	v_or_b32_e32 v14, 19, v6
	v_cmp_gt_i32_e64 s[22:23], s33, v9
	v_cmp_gt_i32_e64 s[36:37], s33, v14
	s_nop 0
	v_cndmask_b32_e64 v9, v7, v36, s[22:23]
	v_cndmask_b32_e64 v14, v7, v37, s[36:37]
	v_max3_f32 v8, v8, v9, v14
	v_or_b32_e32 v9, 32, v6
	v_or_b32_e32 v14, 33, v6
	v_cmp_gt_i32_e64 s[10:11], s33, v9
	v_cmp_gt_i32_e64 s[12:13], s33, v14
	s_nop 0
	v_cndmask_b32_e64 v9, v7, v50, s[10:11]
	v_cndmask_b32_e64 v14, v7, v51, s[12:13]
	v_max3_f32 v8, v8, v9, v14
	v_or_b32_e32 v9, 34, v6
	v_or_b32_e32 v14, 35, v6
	v_cmp_gt_i32_e64 s[14:15], s33, v9
	v_cmp_gt_i32_e64 s[16:17], s33, v14
	s_nop 0
	v_cndmask_b32_e64 v9, v7, v46, s[14:15]
	v_cndmask_b32_e64 v14, v7, v47, s[16:17]
	v_max3_f32 v8, v8, v9, v14
	v_or_b32_e32 v9, 48, v6
	v_or_b32_e32 v14, 49, v6
	v_cmp_gt_i32_e32 vcc, s33, v9
	v_cmp_gt_i32_e64 s[4:5], s33, v14
	s_nop 0
	v_cndmask_b32_e32 v9, v7, v48, vcc
	v_cndmask_b32_e64 v14, v7, v49, s[4:5]
	v_max3_f32 v8, v8, v9, v14
	v_or_b32_e32 v9, 50, v6
	v_or_b32_e32 v6, 51, v6
	v_cmp_gt_i32_e64 s[6:7], s33, v9
	v_cmp_gt_i32_e64 s[8:9], s33, v6
	s_nop 0
	v_cndmask_b32_e64 v9, v7, v38, s[6:7]
	v_cndmask_b32_e64 v6, v7, v39, s[8:9]
	v_max3_f32 v8, v8, v9, v6
	v_mbcnt_lo_u32_b32 v6, -1, 0
	v_mbcnt_hi_u32_b32 v9, -1, v6
	v_and_b32_e32 v6, 64, v9
	v_add_u32_e32 v14, 64, v6
	v_xor_b32_e32 v6, 32, v9
	v_cmp_lt_i32_e64 s[38:39], v6, v14
	s_nop 1
	v_cndmask_b32_e64 v6, v9, v6, s[38:39]
	v_lshlrev_b32_e32 v55, 2, v6
	ds_bpermute_b32 v15, v55, v8
	v_mad_i64_i32 v[6:7], s[38:39], v67, s45, v[42:43]
	s_waitcnt lgkmcnt(0)
	v_max_f32_e32 v15, v15, v15
	v_max_f32_e32 v34, v8, v15
	v_xor_b32_e32 v8, 16, v9
	v_cmp_lt_i32_e64 s[38:39], v8, v14
	s_nop 1
	v_cndmask_b32_e64 v8, v9, v8, s[38:39]
	v_lshlrev_b32_e32 v56, 2, v8
	v_mad_i64_i32 v[8:9], s[38:39], v66, s45, v[42:43]
	global_load_dwordx4 v[14:17], v[6:7], off
	s_nop 0
	global_load_dwordx4 v[6:9], v[8:9], off
	ds_bpermute_b32 v35, v56, v34
	s_waitcnt lgkmcnt(0)
	s_barrier
	v_max_f32_e32 v35, v35, v35
	v_max_f32_e32 v54, v34, v35
	v_sub_f32_e32 v42, v52, v54
	v_mul_f32_e32 v42, 0x3fb8aa3b, v42
	v_exp_f32_e32 v42, v42
	v_sub_f32_e32 v36, v36, v54
	v_sub_f32_e32 v34, v44, v54
	v_mul_f32_e32 v36, 0x3fb8aa3b, v36
	v_mul_f32_e32 v34, 0x3fb8aa3b, v34
	v_sub_f32_e32 v35, v45, v54
	v_sub_f32_e32 v43, v53, v54
	v_exp_f32_e32 v44, v36
	v_sub_f32_e32 v36, v37, v54
	v_sub_f32_e32 v48, v48, v54
	;; [unrolled: 1-line block ×3, first 2 shown]
	v_exp_f32_e32 v34, v34
	v_mul_f32_e32 v35, 0x3fb8aa3b, v35
	v_sub_f32_e32 v40, v40, v54
	v_mul_f32_e32 v43, 0x3fb8aa3b, v43
	v_mul_f32_e32 v36, 0x3fb8aa3b, v36
	;; [unrolled: 1-line block ×4, first 2 shown]
	v_exp_f32_e32 v35, v35
	v_mul_f32_e32 v40, 0x3fb8aa3b, v40
	v_sub_f32_e32 v41, v41, v54
	v_exp_f32_e32 v43, v43
	v_exp_f32_e32 v45, v36
	v_cndmask_b32_e64 v36, 0, v42, s[18:19]
	v_sub_f32_e32 v42, v50, v54
	v_exp_f32_e32 v48, v48
	v_exp_f32_e32 v50, v38
	;; [unrolled: 1-line block ×3, first 2 shown]
	v_mul_f32_e32 v41, 0x3fb8aa3b, v41
	v_exp_f32_e32 v41, v41
	v_sub_f32_e32 v38, v39, v54
	v_cndmask_b32_e64 v34, 0, v34, s[26:27]
	v_mul_f32_e32 v38, 0x3fb8aa3b, v38
	v_cndmask_b32_e64 v35, 0, v35, s[28:29]
	v_cndmask_b32_e64 v37, 0, v43, s[20:21]
	v_sub_f32_e32 v43, v51, v54
	v_exp_f32_e32 v51, v38
	v_cndmask_b32_e32 v38, 0, v48, vcc
	v_cndmask_b32_e64 v48, 0, v50, s[6:7]
	v_add_f32_e32 v50, 0, v34
	v_cndmask_b32_e64 v40, 0, v40, s[30:31]
	v_add_f32_e32 v50, v50, v35
	v_cndmask_b32_e64 v41, 0, v41, s[34:35]
	v_mul_f32_e32 v42, 0x3fb8aa3b, v42
	v_add_f32_e32 v50, v50, v40
	v_exp_f32_e32 v42, v42
	v_mul_f32_e32 v43, 0x3fb8aa3b, v43
	v_sub_f32_e32 v46, v46, v54
	v_add_f32_e32 v50, v50, v41
	v_exp_f32_e32 v43, v43
	v_mul_f32_e32 v46, 0x3fb8aa3b, v46
	v_sub_f32_e32 v47, v47, v54
	v_add_f32_e32 v50, v50, v36
	v_cndmask_b32_e64 v44, 0, v44, s[22:23]
	v_exp_f32_e32 v46, v46
	v_mul_f32_e32 v47, 0x3fb8aa3b, v47
	v_add_f32_e32 v50, v50, v37
	v_cndmask_b32_e64 v45, 0, v45, s[36:37]
	v_exp_f32_e32 v47, v47
	v_sub_f32_e32 v49, v49, v54
	v_add_f32_e32 v50, v50, v44
	v_cndmask_b32_e64 v42, 0, v42, s[10:11]
	v_mul_f32_e32 v49, 0x3fb8aa3b, v49
	v_add_f32_e32 v50, v50, v45
	v_cndmask_b32_e64 v43, 0, v43, s[12:13]
	v_exp_f32_e32 v49, v49
	v_add_f32_e32 v50, v50, v42
	v_cndmask_b32_e64 v46, 0, v46, s[14:15]
	v_add_f32_e32 v50, v50, v43
	v_cndmask_b32_e64 v47, 0, v47, s[16:17]
	v_add_f32_e32 v50, v50, v46
	v_add_f32_e32 v50, v50, v47
	v_cndmask_b32_e64 v39, 0, v49, s[4:5]
	v_add_f32_e32 v50, v50, v38
	;; [unrolled: 3-line block ×3, first 2 shown]
	v_add_f32_e32 v50, v50, v49
	ds_bpermute_b32 v51, v55, v50
	v_cmp_gt_u32_e64 s[4:5], 16, v65
	s_waitcnt lgkmcnt(0)
	v_add_f32_e32 v50, v50, v51
	ds_bpermute_b32 v51, v56, v50
	s_and_saveexec_b64 s[6:7], s[4:5]
	s_cbranch_execz .LBB996_13
; %bb.12:
	s_waitcnt lgkmcnt(0)
	v_add_f32_e32 v50, v50, v51
	v_lshlrev_b32_e32 v51, 2, v59
	ds_write2st64_b32 v51, v54, v50 offset1:1
.LBB996_13:
	s_or_b64 exec, exec, s[6:7]
	s_waitcnt lgkmcnt(0)
	v_lshlrev_b32_e32 v51, 2, v60
	s_load_dword s8, s[0:1], 0x94
	s_waitcnt lgkmcnt(0)
	s_barrier
	ds_read2_b32 v[52:53], v51 offset1:16
	ds_read2_b32 v[54:55], v51 offset0:32 offset1:48
	ds_read2_b32 v[56:57], v51 offset0:64 offset1:80
	s_mul_i32 s9, s25, 9
	s_waitcnt lgkmcnt(2)
	v_max3_f32 v50, v52, s40, v53
	s_waitcnt lgkmcnt(1)
	v_max3_f32 v50, v50, v54, v55
	v_sub_f32_e32 v52, v52, v50
	v_mul_f32_e32 v52, 0x3fb8aa3b, v52
	v_exp_f32_e32 v59, v52
	v_sub_f32_e32 v52, v53, v50
	v_mul_f32_e32 v52, 0x3fb8aa3b, v52
	v_exp_f32_e32 v62, v52
	v_sub_f32_e32 v52, v54, v50
	v_mul_f32_e32 v52, 0x3fb8aa3b, v52
	v_exp_f32_e32 v54, v52
	ds_read2_b32 v[52:53], v51 offset0:96 offset1:112
	v_sub_f32_e32 v51, v55, v50
	v_mul_f32_e32 v51, 0x3fb8aa3b, v51
	v_exp_f32_e32 v55, v51
	s_waitcnt lgkmcnt(1)
	v_fma_f32 v51, v59, v56, 0
	v_fmac_f32_e32 v51, v62, v57
	s_waitcnt lgkmcnt(0)
	v_fmac_f32_e32 v51, v54, v52
	v_fmac_f32_e32 v51, v55, v53
	v_add_f32_e32 v52, 0x358637bd, v51
	v_div_scale_f32 v53, s[6:7], v52, v52, 1.0
	v_rcp_f32_e32 v56, v53
	s_barrier
	v_fma_f32 v57, -v53, v56, 1.0
	v_fmac_f32_e32 v56, v57, v56
	v_div_scale_f32 v57, vcc, 1.0, v52, 1.0
	v_mul_f32_e32 v63, v57, v56
	v_fma_f32 v65, -v53, v63, v57
	v_fmac_f32_e32 v63, v65, v56
	v_fma_f32 v53, -v53, v63, v57
	v_div_fmas_f32 v53, v53, v56, v63
	v_cmp_eq_u32_e32 vcc, 1, v61
	v_div_fixup_f32 v52, v53, v52, 1.0
	s_nop 0
	v_cndmask_b32_e32 v53, v59, v62, vcc
	v_cmp_eq_u32_e32 vcc, 2, v61
	s_nop 1
	v_cndmask_b32_e32 v53, v53, v54, vcc
	v_cmp_eq_u32_e32 vcc, 3, v61
	s_nop 1
	v_cndmask_b32_e32 v53, v53, v55, vcc
	v_mul_f32_e32 v52, v53, v52
	v_pk_mul_f32 v[40:41], v[52:53], v[40:41] op_sel_hi:[0,1]
	v_pk_mul_f32 v[34:35], v[52:53], v[34:35] op_sel_hi:[0,1]
	v_cvt_f16_f32_e32 v53, v40
	v_cvt_f16_f32_e32 v34, v34
	v_cvt_f16_f32_e32 v35, v35
	v_cvt_f16_f32_e32 v41, v41
	v_pk_mul_f32 v[44:45], v[52:53], v[44:45] op_sel_hi:[0,1]
	v_pk_mul_f32 v[36:37], v[52:53], v[36:37] op_sel_hi:[0,1]
	v_cvt_f16_f32_e32 v36, v36
	v_cvt_f16_f32_e32 v37, v37
	;; [unrolled: 1-line block ×4, first 2 shown]
	v_pack_b32_f16 v40, v34, v35
	v_pack_b32_f16 v41, v53, v41
	v_lshlrev_b32_e32 v35, 3, v64
	v_lshlrev_b32_e32 v34, 5, v60
	;; [unrolled: 1-line block ×3, first 2 shown]
	v_or3_b32 v54, v53, v34, v35
	v_pack_b32_f16 v36, v36, v37
	v_pack_b32_f16 v37, v44, v45
	ds_write2st64_b64 v54, v[40:41], v[36:37] offset1:1
	v_pk_mul_f32 v[36:37], v[52:53], v[46:47] op_sel_hi:[0,1]
	v_pk_mul_f32 v[40:41], v[52:53], v[42:43] op_sel_hi:[0,1]
	v_cvt_f16_f32_e32 v35, v40
	v_cvt_f16_f32_e32 v40, v41
	;; [unrolled: 1-line block ×4, first 2 shown]
	v_pk_mul_f32 v[36:37], v[52:53], v[48:49] op_sel_hi:[0,1]
	v_pk_mul_f32 v[38:39], v[52:53], v[38:39] op_sel_hi:[0,1]
	v_cvt_f16_f32_e32 v38, v38
	v_cvt_f16_f32_e32 v39, v39
	;; [unrolled: 1-line block ×4, first 2 shown]
	v_pack_b32_f16 v36, v35, v40
	v_pack_b32_f16 v37, v41, v42
	;; [unrolled: 1-line block ×4, first 2 shown]
	v_cmp_gt_u32_e32 vcc, 9, v0
	ds_write2st64_b64 v54, v[36:37], v[38:39] offset0:2 offset1:3
	s_and_saveexec_b64 s[6:7], vcc
	s_cbranch_execz .LBB996_15
; %bb.14:
	s_mov_b32 s49, 0
	v_mov_b32_e32 v61, 0
	v_lshl_add_u64 v[36:37], s[48:49], 0, v[60:61]
	v_mov_b32_e32 v35, s9
	v_mad_u64_u32 v[36:37], s[10:11], s2, v35, v[36:37]
	s_mul_i32 s3, s3, s9
	v_mov_b32_e32 v38, s24
	v_mov_b32_e32 v39, v61
	s_load_dwordx4 s[12:15], s[0:1], 0x58
	v_add_u32_e32 v35, s3, v37
	v_mad_u64_u32 v[36:37], s[10:11], v36, s8, v[38:39]
	v_mov_b32_e32 v38, v37
	v_mad_u64_u32 v[38:39], s[10:11], v35, s8, v[38:39]
	v_mov_b32_e32 v37, v38
	v_lshlrev_b64 v[36:37], 2, v[36:37]
	s_waitcnt lgkmcnt(0)
	v_lshl_add_u64 v[38:39], s[14:15], 0, v[36:37]
	v_lshl_add_u64 v[36:37], s[12:13], 0, v[36:37]
	global_store_dword v[38:39], v50, off
	global_store_dword v[36:37], v51, off
.LBB996_15:
	s_or_b64 exec, exec, s[6:7]
	s_waitcnt vmcnt(7)
	v_cvt_pk_f32_fp8_e32 v[36:37], v30
	v_lshl_or_b32 v50, v64, 9, v34
	v_cvt_pk_f32_fp8_sdwa v[34:35], v30 src0_sel:WORD_1
	s_waitcnt lgkmcnt(0)
	s_barrier
	v_cvt_pk_f32_fp8_e32 v[38:39], v31
	v_cvt_pkrtz_f16_f32 v30, v36, v37
	v_cvt_pk_f32_fp8_sdwa v[40:41], v31 src0_sel:WORD_1
	v_cvt_pkrtz_f16_f32 v31, v34, v35
	ds_read_b128 v[34:37], v50
	v_cvt_pkrtz_f16_f32 v46, v38, v39
	v_cvt_pkrtz_f16_f32 v47, v40, v41
	ds_read_b128 v[38:41], v50 offset:16
	v_cvt_pk_f32_fp8_e32 v[48:49], v32
	v_cvt_pk_f32_fp8_sdwa v[52:53], v32 src0_sel:WORD_1
	s_waitcnt lgkmcnt(1)
	v_mfma_f32_16x16x16_f16 v[42:45], v[30:31], v[34:35], 0
	s_waitcnt vmcnt(6)
	v_cvt_pk_f32_fp8_e32 v[56:57], v24
	v_cvt_pkrtz_f16_f32 v30, v48, v49
	v_cvt_pkrtz_f16_f32 v31, v52, v53
	v_cvt_pk_f32_fp8_e32 v[48:49], v33
	v_mfma_f32_16x16x16_f16 v[42:45], v[46:47], v[36:37], v[42:45]
	v_cvt_pk_f32_fp8_sdwa v[46:47], v33 src0_sel:WORD_1
	v_cvt_pk_f32_fp8_sdwa v[62:63], v24 src0_sel:WORD_1
	v_cvt_pkrtz_f16_f32 v48, v48, v49
	s_waitcnt lgkmcnt(0)
	v_mfma_f32_16x16x16_f16 v[30:33], v[30:31], v[38:39], v[42:45]
	v_cvt_pkrtz_f16_f32 v49, v46, v47
	s_waitcnt vmcnt(4)
	v_cvt_pk_f32_fp8_sdwa v[70:71], v4 src0_sel:WORD_1
	s_waitcnt vmcnt(3)
	v_cvt_pk_f32_fp8_sdwa v[72:73], v28 src0_sel:WORD_1
	v_cvt_pk_f32_fp8_e32 v[42:43], v22
	v_mfma_f32_16x16x16_f16 v[46:49], v[48:49], v[40:41], v[30:33]
	s_load_dword s6, s[42:43], 0x0
	s_mov_b32 s3, 0
	s_nop 0
	v_cvt_pk_f32_fp8_sdwa v[30:31], v22 src0_sel:WORD_1
	v_cvt_pk_f32_fp8_e32 v[32:33], v23
	v_cvt_pkrtz_f16_f32 v22, v42, v43
	v_cvt_pk_f32_fp8_sdwa v[42:43], v23 src0_sel:WORD_1
	v_cvt_pkrtz_f16_f32 v23, v30, v31
	v_cvt_pkrtz_f16_f32 v52, v32, v33
	ds_read_b128 v[30:33], v50 offset:2048
	v_cvt_pkrtz_f16_f32 v53, v42, v43
	ds_read_b128 v[42:45], v50 offset:2064
	s_waitcnt lgkmcnt(0)
	v_mfma_f32_16x16x16_f16 v[46:49], v[22:23], v[30:31], v[46:49]
	v_cvt_pkrtz_f16_f32 v22, v56, v57
	v_cvt_pkrtz_f16_f32 v23, v62, v63
	v_cvt_pk_f32_fp8_e32 v[56:57], v25
	v_mfma_f32_16x16x16_f16 v[46:49], v[52:53], v[32:33], v[46:49]
	v_cvt_pk_f32_fp8_sdwa v[52:53], v25 src0_sel:WORD_1
	v_cvt_pk_f32_fp8_sdwa v[62:63], v12 src0_sel:WORD_1
	v_cvt_pkrtz_f16_f32 v56, v56, v57
	v_mfma_f32_16x16x16_f16 v[22:25], v[22:23], v[42:43], v[46:49]
	v_cvt_pkrtz_f16_f32 v57, v52, v53
	v_cmp_gt_u32_e32 vcc, 64, v0
	s_nop 0
	v_cvt_pk_f32_fp8_e32 v[46:47], v10
	v_mfma_f32_16x16x16_f16 v[66:69], v[56:57], v[44:45], v[22:25]
	v_cvt_pk_f32_fp8_e32 v[56:57], v12
	s_nop 1
	v_cvt_pk_f32_fp8_sdwa v[22:23], v10 src0_sel:WORD_1
	v_cvt_pk_f32_fp8_e32 v[24:25], v11
	v_cvt_pkrtz_f16_f32 v10, v46, v47
	v_cvt_pk_f32_fp8_sdwa v[46:47], v11 src0_sel:WORD_1
	v_cvt_pkrtz_f16_f32 v11, v22, v23
	v_cvt_pkrtz_f16_f32 v52, v24, v25
	ds_read_b128 v[22:25], v50 offset:4096
	v_cvt_pkrtz_f16_f32 v53, v46, v47
	ds_read_b128 v[46:49], v50 offset:4112
	s_waitcnt lgkmcnt(1)
	v_mfma_f32_16x16x16_f16 v[66:69], v[10:11], v[22:23], v[66:69]
	v_cvt_pkrtz_f16_f32 v10, v56, v57
	v_cvt_pkrtz_f16_f32 v11, v62, v63
	v_cvt_pk_f32_fp8_e32 v[56:57], v13
	v_mfma_f32_16x16x16_f16 v[66:69], v[52:53], v[24:25], v[66:69]
	v_cvt_pk_f32_fp8_sdwa v[52:53], v13 src0_sel:WORD_1
	v_cvt_pk_f32_fp8_e32 v[62:63], v4
	v_cvt_pkrtz_f16_f32 v56, v56, v57
	s_waitcnt lgkmcnt(0)
	v_mfma_f32_16x16x16_f16 v[10:13], v[10:11], v[46:47], v[66:69]
	v_cvt_pkrtz_f16_f32 v57, v52, v53
	v_cvt_pk_f32_fp8_e32 v[52:53], v2
	s_nop 0
	v_mfma_f32_16x16x16_f16 v[66:69], v[56:57], v[48:49], v[10:13]
	s_nop 2
	v_cvt_pk_f32_fp8_sdwa v[10:11], v2 src0_sel:WORD_1
	v_cvt_pk_f32_fp8_e32 v[12:13], v3
	v_cvt_pkrtz_f16_f32 v2, v52, v53
	v_cvt_pk_f32_fp8_sdwa v[52:53], v3 src0_sel:WORD_1
	v_cvt_pkrtz_f16_f32 v3, v10, v11
	v_cvt_pkrtz_f16_f32 v56, v12, v13
	ds_read_b128 v[10:13], v50 offset:6144
	v_cvt_pkrtz_f16_f32 v57, v52, v53
	s_waitcnt lgkmcnt(0)
	v_mfma_f32_16x16x16_f16 v[66:69], v[2:3], v[10:11], v[66:69]
	ds_read_b128 v[50:53], v50 offset:6160
	v_cvt_pkrtz_f16_f32 v2, v62, v63
	v_cvt_pkrtz_f16_f32 v3, v70, v71
	v_cvt_pk_f32_fp8_e32 v[62:63], v5
	v_mfma_f32_16x16x16_f16 v[66:69], v[56:57], v[12:13], v[66:69]
	v_cvt_pk_f32_fp8_sdwa v[56:57], v5 src0_sel:WORD_1
	v_cvt_pk_f32_fp8_e32 v[70:71], v28
	v_cvt_pkrtz_f16_f32 v62, v62, v63
	s_waitcnt lgkmcnt(0)
	v_mfma_f32_16x16x16_f16 v[2:5], v[2:3], v[50:51], v[66:69]
	v_cvt_pkrtz_f16_f32 v63, v56, v57
	v_cvt_pk_f32_fp8_e32 v[56:57], v26
	s_nop 0
	v_cvt_pk_f32_fp8_sdwa v[66:67], v26 src0_sel:WORD_1
	v_mfma_f32_16x16x16_f16 v[2:5], v[62:63], v[52:53], v[2:5]
	v_cvt_pk_f32_fp8_e32 v[62:63], v27
	v_cvt_pkrtz_f16_f32 v56, v56, v57
	v_cvt_pkrtz_f16_f32 v57, v66, v67
	v_cvt_pk_f32_fp8_sdwa v[26:27], v27 src0_sel:WORD_1
	v_cvt_pkrtz_f16_f32 v62, v62, v63
	v_mfma_f32_16x16x16_f16 v[66:69], v[56:57], v[34:35], 0
	v_cvt_pkrtz_f16_f32 v63, v26, v27
	v_cvt_pkrtz_f16_f32 v26, v70, v71
	v_cvt_pkrtz_f16_f32 v27, v72, v73
	v_cvt_pk_f32_fp8_e32 v[56:57], v29
	v_mfma_f32_16x16x16_f16 v[34:37], v[62:63], v[36:37], v[66:69]
	v_cvt_pk_f32_fp8_sdwa v[62:63], v29 src0_sel:WORD_1
	v_cvt_pkrtz_f16_f32 v56, v56, v57
	s_barrier
	v_mfma_f32_16x16x16_f16 v[26:29], v[26:27], v[38:39], v[34:37]
	v_cvt_pkrtz_f16_f32 v57, v62, v63
	s_waitcnt vmcnt(2)
	v_cvt_pk_f32_fp8_e32 v[38:39], v19
	v_cvt_pk_f32_fp8_e32 v[34:35], v18
	v_cvt_pk_f32_fp8_sdwa v[36:37], v18 src0_sel:WORD_1
	v_cvt_pk_f32_fp8_sdwa v[18:19], v19 src0_sel:WORD_1
	v_mfma_f32_16x16x16_f16 v[26:29], v[56:57], v[40:41], v[26:29]
	v_cvt_pkrtz_f16_f32 v34, v34, v35
	v_cvt_pkrtz_f16_f32 v35, v36, v37
	;; [unrolled: 1-line block ×3, first 2 shown]
	v_cvt_pk_f32_fp8_e32 v[38:39], v20
	v_cvt_pk_f32_fp8_sdwa v[40:41], v20 src0_sel:WORD_1
	v_cvt_pkrtz_f16_f32 v37, v18, v19
	v_mfma_f32_16x16x16_f16 v[26:29], v[34:35], v[30:31], v[26:29]
	v_cvt_pkrtz_f16_f32 v30, v38, v39
	v_cvt_pkrtz_f16_f32 v31, v40, v41
	v_cvt_pk_f32_fp8_e32 v[34:35], v21
	v_cvt_pk_f32_fp8_sdwa v[38:39], v21 src0_sel:WORD_1
	v_mfma_f32_16x16x16_f16 v[18:21], v[36:37], v[32:33], v[26:29]
	s_waitcnt vmcnt(1)
	v_cvt_pk_f32_fp8_sdwa v[32:33], v16 src0_sel:WORD_1
	s_nop 0
	v_cvt_pkrtz_f16_f32 v26, v34, v35
	v_cvt_pkrtz_f16_f32 v27, v38, v39
	v_mfma_f32_16x16x16_f16 v[18:21], v[30:31], v[42:43], v[18:21]
	v_cvt_pk_f32_fp8_e32 v[28:29], v14
	v_cvt_pk_f32_fp8_sdwa v[30:31], v14 src0_sel:WORD_1
	v_cvt_pkrtz_f16_f32 v28, v28, v29
	v_mfma_f32_16x16x16_f16 v[18:21], v[26:27], v[44:45], v[18:21]
	v_cvt_pk_f32_fp8_e32 v[26:27], v15
	v_cvt_pkrtz_f16_f32 v29, v30, v31
	v_cvt_pk_f32_fp8_sdwa v[14:15], v15 src0_sel:WORD_1
	v_cvt_pk_f32_fp8_e32 v[30:31], v16
	v_cvt_pkrtz_f16_f32 v26, v26, v27
	v_mfma_f32_16x16x16_f16 v[18:21], v[28:29], v[22:23], v[18:21]
	v_cvt_pkrtz_f16_f32 v27, v14, v15
	v_cvt_pkrtz_f16_f32 v22, v30, v31
	v_cvt_pkrtz_f16_f32 v23, v32, v33
	v_cvt_pk_f32_fp8_e32 v[28:29], v17
	v_cvt_pk_f32_fp8_sdwa v[30:31], v17 src0_sel:WORD_1
	v_mfma_f32_16x16x16_f16 v[14:17], v[26:27], v[24:25], v[18:21]
	s_waitcnt vmcnt(0)
	v_cvt_pk_f32_fp8_sdwa v[24:25], v6 src0_sel:WORD_1
	s_nop 0
	v_pk_mul_f32 v[18:19], v[4:5], s[6:7] op_sel_hi:[1,0]
	v_cvt_pkrtz_f16_f32 v4, v28, v29
	v_cvt_pkrtz_f16_f32 v5, v30, v31
	v_mfma_f32_16x16x16_f16 v[14:17], v[22:23], v[46:47], v[14:17]
	v_cvt_pk_f32_fp8_e32 v[22:23], v6
	v_pk_mul_f32 v[20:21], v[2:3], s[6:7] op_sel_hi:[1,0]
	v_mfma_f32_16x16x16_f16 v[2:5], v[4:5], v[48:49], v[14:17]
	s_nop 3
	v_cvt_pk_f32_fp8_e32 v[14:15], v7
	v_cvt_pkrtz_f16_f32 v16, v22, v23
	v_cvt_pkrtz_f16_f32 v17, v24, v25
	v_cvt_pk_f32_fp8_sdwa v[6:7], v7 src0_sel:WORD_1
	v_cvt_pkrtz_f16_f32 v14, v14, v15
	v_cvt_pk_f32_fp8_e32 v[22:23], v8
	v_cvt_pk_f32_fp8_sdwa v[24:25], v8 src0_sel:WORD_1
	v_cvt_pkrtz_f16_f32 v15, v6, v7
	v_mfma_f32_16x16x16_f16 v[2:5], v[16:17], v[10:11], v[2:5]
	v_cvt_pkrtz_f16_f32 v6, v22, v23
	v_cvt_pkrtz_f16_f32 v7, v24, v25
	v_cvt_pk_f32_fp8_e32 v[10:11], v9
	v_cvt_pk_f32_fp8_sdwa v[8:9], v9 src0_sel:WORD_1
	v_mfma_f32_16x16x16_f16 v[2:5], v[14:15], v[12:13], v[2:5]
	v_cvt_f16_f32_e32 v12, v20
	v_cvt_pkrtz_f16_f32 v10, v10, v11
	v_cvt_pkrtz_f16_f32 v11, v8, v9
	v_mfma_f32_16x16x16_f16 v[2:5], v[6:7], v[50:51], v[2:5]
	v_cvt_f16_f32_e32 v6, v21
	v_cvt_f16_f32_e32 v7, v18
	;; [unrolled: 1-line block ×3, first 2 shown]
	v_mfma_f32_16x16x16_f16 v[2:5], v[10:11], v[52:53], v[2:5]
	s_nop 6
	v_pk_mul_f32 v[4:5], v[4:5], s[6:7] op_sel_hi:[1,0]
	v_pk_mul_f32 v[2:3], v[2:3], s[6:7] op_sel_hi:[1,0]
	v_cvt_f16_f32_e32 v11, v4
	v_cvt_f16_f32_e32 v9, v2
	;; [unrolled: 1-line block ×4, first 2 shown]
	v_pack_b32_f16 v2, v12, v6
	v_pack_b32_f16 v3, v7, v8
	;; [unrolled: 1-line block ×4, first 2 shown]
	ds_write2st64_b64 v54, v[2:3], v[4:5] offset1:1
	s_waitcnt lgkmcnt(0)
	s_barrier
	s_and_saveexec_b64 s[6:7], vcc
	s_cbranch_execz .LBB996_18
; %bb.16:
	s_load_dwordx2 s[6:7], s[0:1], 0x68
	s_lshl_b32 s0, s8, 7
	s_mul_i32 s1, s9, s2
	v_lshlrev_b32_e32 v3, 6, v60
	s_mul_hi_u32 s9, s1, s0
	s_mul_i32 s8, s1, s0
	v_lshl_or_b32 v0, v0, 10, v3
	s_lshl_b64 s[8:9], s[8:9], 1
	v_lshlrev_b32_e32 v2, 5, v64
	v_and_b32_e32 v1, 16, v1
	v_and_b32_e32 v0, 0x1a00, v0
	s_waitcnt lgkmcnt(0)
	s_add_u32 s1, s6, s8
	v_or3_b32 v2, v0, v2, v1
	s_addc_u32 s6, s7, s9
	s_lshl_b32 s2, s24, 7
	s_lshl_b64 s[2:3], s[2:3], 1
	ds_read_b128 v[4:7], v2 offset:128
	ds_read_b128 v[8:11], v2
	s_add_u32 s2, s1, s2
	s_addc_u32 s3, s6, s3
	v_mov_b32_e32 v59, 0
	v_add_u32_e32 v3, s48, v64
	v_lshl_add_u64 v[0:1], s[2:3], 0, v[58:59]
	v_mad_u64_u32 v[12:13], s[2:3], v3, s0, 0
	v_lshl_add_u64 v[12:13], v[12:13], 1, v[0:1]
	v_add_u32_e32 v3, 4, v3
	s_waitcnt lgkmcnt(0)
	global_store_dwordx4 v[12:13], v[8:11], off
	s_nop 1
	v_mad_u64_u32 v[8:9], s[2:3], v3, s0, 0
	v_lshl_add_u64 v[8:9], v[8:9], 1, v[0:1]
	global_store_dwordx4 v[8:9], v[4:7], off
	s_and_b64 exec, exec, s[4:5]
	s_cbranch_execz .LBB996_18
; %bb.17:
	ds_read_b128 v[2:5], v2 offset:256
	v_add3_u32 v6, s48, v64, 8
	v_mad_u64_u32 v[6:7], s[0:1], v6, s0, 0
	v_lshl_add_u64 v[0:1], v[6:7], 1, v[0:1]
	s_waitcnt lgkmcnt(0)
	global_store_dwordx4 v[0:1], v[2:5], off
.LBB996_18:
	s_endpgm
	.section	.rodata,"a",@progbits
	.p2align	6, 0x0
	.amdhsa_kernel _Z39paged_attention_ll4mi_QKV_mfma16_kernelIDF16_hLN4vllm18Fp8KVCacheDataTypeE1EDF16_Li16ELi128ELi256ELb0ELi9EEvPKT_PKT0_S7_ifPKiS9_S9_iPKfiiiPfSC_PS2_PT2_iSB_SB_
		.amdhsa_group_segment_fixed_size 8192
		.amdhsa_private_segment_fixed_size 0
		.amdhsa_kernarg_size 400
		.amdhsa_user_sgpr_count 2
		.amdhsa_user_sgpr_dispatch_ptr 0
		.amdhsa_user_sgpr_queue_ptr 0
		.amdhsa_user_sgpr_kernarg_segment_ptr 1
		.amdhsa_user_sgpr_dispatch_id 0
		.amdhsa_user_sgpr_kernarg_preload_length 0
		.amdhsa_user_sgpr_kernarg_preload_offset 0
		.amdhsa_user_sgpr_private_segment_size 0
		.amdhsa_uses_dynamic_stack 0
		.amdhsa_enable_private_segment 0
		.amdhsa_system_sgpr_workgroup_id_x 1
		.amdhsa_system_sgpr_workgroup_id_y 1
		.amdhsa_system_sgpr_workgroup_id_z 1
		.amdhsa_system_sgpr_workgroup_info 0
		.amdhsa_system_vgpr_workitem_id 0
		.amdhsa_next_free_vgpr 88
		.amdhsa_next_free_sgpr 50
		.amdhsa_accum_offset 88
		.amdhsa_reserve_vcc 1
		.amdhsa_float_round_mode_32 0
		.amdhsa_float_round_mode_16_64 0
		.amdhsa_float_denorm_mode_32 3
		.amdhsa_float_denorm_mode_16_64 3
		.amdhsa_dx10_clamp 1
		.amdhsa_ieee_mode 1
		.amdhsa_fp16_overflow 0
		.amdhsa_tg_split 0
		.amdhsa_exception_fp_ieee_invalid_op 0
		.amdhsa_exception_fp_denorm_src 0
		.amdhsa_exception_fp_ieee_div_zero 0
		.amdhsa_exception_fp_ieee_overflow 0
		.amdhsa_exception_fp_ieee_underflow 0
		.amdhsa_exception_fp_ieee_inexact 0
		.amdhsa_exception_int_div_zero 0
	.end_amdhsa_kernel
	.section	.text._Z39paged_attention_ll4mi_QKV_mfma16_kernelIDF16_hLN4vllm18Fp8KVCacheDataTypeE1EDF16_Li16ELi128ELi256ELb0ELi9EEvPKT_PKT0_S7_ifPKiS9_S9_iPKfiiiPfSC_PS2_PT2_iSB_SB_,"axG",@progbits,_Z39paged_attention_ll4mi_QKV_mfma16_kernelIDF16_hLN4vllm18Fp8KVCacheDataTypeE1EDF16_Li16ELi128ELi256ELb0ELi9EEvPKT_PKT0_S7_ifPKiS9_S9_iPKfiiiPfSC_PS2_PT2_iSB_SB_,comdat
.Lfunc_end996:
	.size	_Z39paged_attention_ll4mi_QKV_mfma16_kernelIDF16_hLN4vllm18Fp8KVCacheDataTypeE1EDF16_Li16ELi128ELi256ELb0ELi9EEvPKT_PKT0_S7_ifPKiS9_S9_iPKfiiiPfSC_PS2_PT2_iSB_SB_, .Lfunc_end996-_Z39paged_attention_ll4mi_QKV_mfma16_kernelIDF16_hLN4vllm18Fp8KVCacheDataTypeE1EDF16_Li16ELi128ELi256ELb0ELi9EEvPKT_PKT0_S7_ifPKiS9_S9_iPKfiiiPfSC_PS2_PT2_iSB_SB_
                                        ; -- End function
	.section	.AMDGPU.csdata,"",@progbits
; Kernel info:
; codeLenInByte = 6040
; NumSgprs: 56
; NumVgprs: 88
; NumAgprs: 0
; TotalNumVgprs: 88
; ScratchSize: 0
; MemoryBound: 0
; FloatMode: 240
; IeeeMode: 1
; LDSByteSize: 8192 bytes/workgroup (compile time only)
; SGPRBlocks: 6
; VGPRBlocks: 10
; NumSGPRsForWavesPerEU: 56
; NumVGPRsForWavesPerEU: 88
; AccumOffset: 88
; Occupancy: 5
; WaveLimiterHint : 1
; COMPUTE_PGM_RSRC2:SCRATCH_EN: 0
; COMPUTE_PGM_RSRC2:USER_SGPR: 2
; COMPUTE_PGM_RSRC2:TRAP_HANDLER: 0
; COMPUTE_PGM_RSRC2:TGID_X_EN: 1
; COMPUTE_PGM_RSRC2:TGID_Y_EN: 1
; COMPUTE_PGM_RSRC2:TGID_Z_EN: 1
; COMPUTE_PGM_RSRC2:TIDIG_COMP_CNT: 0
; COMPUTE_PGM_RSRC3_GFX90A:ACCUM_OFFSET: 21
; COMPUTE_PGM_RSRC3_GFX90A:TG_SPLIT: 0
	.section	.text._Z39paged_attention_ll4mi_QKV_mfma16_kernelIDF16_hLN4vllm18Fp8KVCacheDataTypeE1EDF16_Li16ELi128ELi256ELb0ELi10EEvPKT_PKT0_S7_ifPKiS9_S9_iPKfiiiPfSC_PS2_PT2_iSB_SB_,"axG",@progbits,_Z39paged_attention_ll4mi_QKV_mfma16_kernelIDF16_hLN4vllm18Fp8KVCacheDataTypeE1EDF16_Li16ELi128ELi256ELb0ELi10EEvPKT_PKT0_S7_ifPKiS9_S9_iPKfiiiPfSC_PS2_PT2_iSB_SB_,comdat
	.protected	_Z39paged_attention_ll4mi_QKV_mfma16_kernelIDF16_hLN4vllm18Fp8KVCacheDataTypeE1EDF16_Li16ELi128ELi256ELb0ELi10EEvPKT_PKT0_S7_ifPKiS9_S9_iPKfiiiPfSC_PS2_PT2_iSB_SB_ ; -- Begin function _Z39paged_attention_ll4mi_QKV_mfma16_kernelIDF16_hLN4vllm18Fp8KVCacheDataTypeE1EDF16_Li16ELi128ELi256ELb0ELi10EEvPKT_PKT0_S7_ifPKiS9_S9_iPKfiiiPfSC_PS2_PT2_iSB_SB_
	.globl	_Z39paged_attention_ll4mi_QKV_mfma16_kernelIDF16_hLN4vllm18Fp8KVCacheDataTypeE1EDF16_Li16ELi128ELi256ELb0ELi10EEvPKT_PKT0_S7_ifPKiS9_S9_iPKfiiiPfSC_PS2_PT2_iSB_SB_
	.p2align	8
	.type	_Z39paged_attention_ll4mi_QKV_mfma16_kernelIDF16_hLN4vllm18Fp8KVCacheDataTypeE1EDF16_Li16ELi128ELi256ELb0ELi10EEvPKT_PKT0_S7_ifPKiS9_S9_iPKfiiiPfSC_PS2_PT2_iSB_SB_,@function
_Z39paged_attention_ll4mi_QKV_mfma16_kernelIDF16_hLN4vllm18Fp8KVCacheDataTypeE1EDF16_Li16ELi128ELi256ELb0ELi10EEvPKT_PKT0_S7_ifPKiS9_S9_iPKfiiiPfSC_PS2_PT2_iSB_SB_: ; @_Z39paged_attention_ll4mi_QKV_mfma16_kernelIDF16_hLN4vllm18Fp8KVCacheDataTypeE1EDF16_Li16ELi128ELi256ELb0ELi10EEvPKT_PKT0_S7_ifPKiS9_S9_iPKfiiiPfSC_PS2_PT2_iSB_SB_
; %bb.0:
	s_load_dwordx2 s[12:13], s[0:1], 0x30
	s_mov_b32 s24, s3
	s_mov_b64 s[6:7], 0
	s_waitcnt lgkmcnt(0)
	s_cmp_lg_u64 s[12:13], 0
	s_cselect_b64 s[14:15], -1, 0
	s_and_b64 vcc, exec, s[14:15]
	s_cbranch_vccz .LBB997_7
; %bb.1:
	s_add_i32 s8, s2, 1
	s_mov_b32 s9, 0
	s_lshl_b64 s[10:11], s[8:9], 2
	s_add_u32 s10, s12, s10
	s_mov_b32 s3, s9
	s_addc_u32 s11, s13, s11
	s_lshl_b64 s[8:9], s[2:3], 2
	s_add_u32 s8, s12, s8
	s_addc_u32 s9, s13, s9
	s_load_dword s5, s[10:11], 0x0
	s_load_dword s16, s[8:9], 0x0
	s_waitcnt lgkmcnt(0)
	s_sub_i32 s5, s5, s16
	s_cmp_eq_u32 s5, 1
	s_cselect_b64 s[8:9], -1, 0
	s_andn2_b64 vcc, exec, s[6:7]
	s_cbranch_vccnz .LBB997_3
.LBB997_2:
	s_mov_b32 s3, 0
	s_mov_b64 s[8:9], -1
.LBB997_3:
	s_andn2_b64 vcc, exec, s[8:9]
	s_cbranch_vccnz .LBB997_18
; %bb.4:
	s_load_dwordx2 s[6:7], s[0:1], 0x28
	s_lshl_b64 s[16:17], s[2:3], 2
	s_waitcnt lgkmcnt(0)
	s_add_u32 s6, s6, s16
	s_addc_u32 s7, s7, s17
	s_load_dword s33, s[6:7], 0x0
	s_lshl_b32 s18, s24, 8
	s_waitcnt lgkmcnt(0)
	s_cmp_ge_i32 s18, s33
	s_cbranch_scc1 .LBB997_18
; %bb.5:
	s_load_dwordx2 s[6:7], s[0:1], 0x20
	s_load_dword s8, s[0:1], 0x38
	s_add_i32 s5, s33, 15
	s_ashr_i32 s9, s5, 31
	v_and_b32_e32 v1, 0xcf, v0
	s_lshr_b32 s9, s9, 28
	v_add_u32_e32 v1, s18, v1
	s_add_i32 s5, s5, s9
	v_ashrrev_i32_e32 v2, 31, v1
	s_ashr_i32 s5, s5, 4
	v_lshrrev_b32_e32 v10, 28, v2
	s_add_i32 s5, s5, -1
	s_waitcnt lgkmcnt(0)
	s_mul_i32 s8, s2, s8
	s_mov_b32 s9, 0
	v_add_u32_e32 v2, v1, v10
	s_lshl_b64 s[8:9], s[8:9], 2
	v_ashrrev_i32_e32 v2, 4, v2
	v_mov_b32_e32 v11, s5
	v_cmp_gt_i32_e32 vcc, s33, v1
	s_add_u32 s6, s6, s8
	s_addc_u32 s7, s7, s9
	v_cndmask_b32_e32 v2, v11, v2, vcc
	v_ashrrev_i32_e32 v3, 31, v2
	v_lshl_add_u64 v[4:5], v[2:3], 2, s[6:7]
	v_or_b32_e32 v2, 16, v1
	v_add_u32_e32 v3, v2, v10
	v_ashrrev_i32_e32 v3, 4, v3
	v_cmp_gt_i32_e32 vcc, s33, v2
	s_load_dwordx4 s[8:11], s[0:1], 0x8
	s_nop 0
	v_cndmask_b32_e32 v2, v11, v3, vcc
	v_ashrrev_i32_e32 v3, 31, v2
	v_lshl_add_u64 v[6:7], v[2:3], 2, s[6:7]
	v_or_b32_e32 v2, 32, v1
	v_add_u32_e32 v3, v2, v10
	v_ashrrev_i32_e32 v3, 4, v3
	v_cmp_gt_i32_e32 vcc, s33, v2
	v_or_b32_e32 v1, 48, v1
	s_nop 0
	v_cndmask_b32_e32 v2, v11, v3, vcc
	v_ashrrev_i32_e32 v3, 31, v2
	v_lshl_add_u64 v[8:9], v[2:3], 2, s[6:7]
	v_add_u32_e32 v2, v1, v10
	v_ashrrev_i32_e32 v2, 4, v2
	v_cmp_gt_i32_e32 vcc, s33, v1
	s_nop 1
	v_cndmask_b32_e32 v2, v11, v2, vcc
	v_ashrrev_i32_e32 v3, 31, v2
	v_lshl_add_u64 v[10:11], v[2:3], 2, s[6:7]
	global_load_dword v3, v[4:5], off
	global_load_dword v2, v[6:7], off
	global_load_dword v34, v[8:9], off
	global_load_dword v35, v[10:11], off
	s_andn2_b64 vcc, exec, s[14:15]
	s_cbranch_vccnz .LBB997_8
; %bb.6:
	s_add_u32 s12, s12, s16
	s_addc_u32 s13, s13, s17
	s_load_dword s14, s[12:13], 0x0
	s_branch .LBB997_9
.LBB997_7:
	s_mov_b64 s[8:9], 0
	s_branch .LBB997_2
.LBB997_8:
	s_mov_b32 s14, s2
.LBB997_9:
	s_load_dwordx4 s[44:47], s[0:1], 0x48
	v_lshrrev_b32_e32 v61, 6, v0
	v_bfe_u32 v64, v0, 4, 2
	v_and_b32_e32 v60, 15, v0
	v_lshl_or_b32 v4, v61, 2, v64
	v_lshlrev_b32_e32 v1, 3, v60
	v_and_b32_e32 v65, 63, v0
	s_mul_i32 s48, s4, 10
	v_cmp_gt_u32_e32 vcc, 10, v4
	v_lshlrev_b32_e32 v58, 1, v1
	v_lshlrev_b32_e32 v1, 4, v0
	s_and_saveexec_b64 s[12:13], vcc
	s_cbranch_execz .LBB997_11
; %bb.10:
	s_load_dwordx2 s[16:17], s[0:1], 0x0
	s_waitcnt lgkmcnt(0)
	s_ashr_i32 s15, s44, 31
	s_mul_hi_u32 s19, s14, s44
	s_mul_i32 s15, s14, s15
	s_add_i32 s15, s19, s15
	s_mul_i32 s14, s14, s44
	s_lshl_b64 s[14:15], s[14:15], 1
	s_add_u32 s14, s16, s14
	v_add_lshl_u32 v6, v4, s48, 7
	s_addc_u32 s15, s17, s15
	v_ashrrev_i32_e32 v7, 31, v6
	v_lshl_add_u64 v[6:7], v[6:7], 1, s[14:15]
	v_mov_b32_e32 v59, 0
	v_lshl_add_u64 v[6:7], v[6:7], 0, v[58:59]
	global_load_dwordx4 v[6:9], v[6:7], off
	v_lshlrev_b32_e32 v10, 8, v0
	v_lshlrev_b32_e32 v5, 8, v60
	v_and_b32_e32 v10, 0x600, v10
	s_movk_i32 s14, 0x800
	v_and_or_b32 v5, v5, s14, v10
	v_lshlrev_b32_e32 v4, 5, v4
	v_and_b32_e32 v10, 16, v1
	v_or3_b32 v4, v5, v4, v10
	s_waitcnt vmcnt(0)
	ds_write_b128 v4, v[6:9]
.LBB997_11:
	s_or_b64 exec, exec, s[12:13]
	s_waitcnt lgkmcnt(0)
	s_mul_i32 s4, s4, s46
	s_add_u32 s8, s8, s4
	s_addc_u32 s9, s9, 0
	v_and_b32_e32 v62, 0xf0, v1
	v_mov_b32_e32 v63, 0
	v_and_b32_e32 v6, 48, v0
	v_lshl_add_u64 v[30:31], s[8:9], 0, v[62:63]
	v_lshlrev_b32_e32 v62, 4, v6
	s_waitcnt vmcnt(3)
	v_mad_i64_i32 v[4:5], s[8:9], v3, s45, v[30:31]
	v_lshl_add_u64 v[4:5], v[4:5], 0, v[62:63]
	s_load_dword s25, s[0:1], 0x98
	s_load_dwordx4 s[40:43], s[0:1], 0x80
	s_waitcnt lgkmcnt(0)
	s_barrier
	global_load_dwordx4 v[22:25], v[4:5], off
	global_load_dwordx4 v[10:13], v[4:5], off offset:1024
	s_waitcnt vmcnt(4)
	v_mad_i64_i32 v[2:3], s[8:9], v2, s45, v[30:31]
	v_lshl_add_u64 v[32:33], v[2:3], 0, v[62:63]
	global_load_dwordx4 v[2:5], v[32:33], off
	v_add_u32_e32 v7, -10, v60
	v_cmp_gt_u32_e32 vcc, 10, v60
	v_or_b32_e32 v6, s18, v6
	v_mov_b32_e32 v38, s5
	v_cndmask_b32_e32 v7, v7, v60, vcc
	v_lshlrev_b32_e32 v7, 5, v7
	v_ashrrev_i32_e32 v8, 4, v6
	v_lshl_add_u32 v7, v64, 9, v7
	v_cmp_gt_i32_e32 vcc, s33, v6
	v_or_b32_e32 v39, 64, v6
	v_or_b32_e32 v43, 0x80, v6
	v_or_b32_e32 v45, 0xc0, v6
	v_cndmask_b32_e32 v40, v38, v8, vcc
	ds_read_b128 v[26:29], v7
	ds_read_b128 v[18:21], v7 offset:16
	ds_read_b128 v[14:17], v7 offset:2048
	;; [unrolled: 1-line block ×3, first 2 shown]
	s_waitcnt vmcnt(4)
	v_mad_i64_i32 v[36:37], s[12:13], v34, s45, v[30:31]
	s_waitcnt vmcnt(3)
	v_mad_i64_i32 v[34:35], s[12:13], v35, s45, v[30:31]
	global_load_dwordx4 v[30:33], v[32:33], off offset:1024
	v_ashrrev_i32_e32 v42, 4, v39
	v_cmp_gt_i32_e32 vcc, s33, v39
	v_ashrrev_i32_e32 v44, 4, v43
	v_ashrrev_i32_e32 v46, 4, v45
	v_cndmask_b32_e32 v42, v38, v42, vcc
	v_cmp_gt_i32_e32 vcc, s33, v43
	v_ashrrev_i32_e32 v41, 31, v40
	v_lshl_add_u64 v[36:37], v[36:37], 0, v[62:63]
	v_cndmask_b32_e32 v44, v38, v44, vcc
	v_cmp_gt_i32_e32 vcc, s33, v45
	v_lshl_add_u64 v[34:35], v[34:35], 0, v[62:63]
	v_ashrrev_i32_e32 v43, 31, v42
	v_cndmask_b32_e32 v38, v38, v46, vcc
	v_ashrrev_i32_e32 v45, 31, v44
	v_ashrrev_i32_e32 v39, 31, v38
	v_lshl_add_u64 v[50:51], v[40:41], 2, s[6:7]
	v_lshl_add_u64 v[52:53], v[42:43], 2, s[6:7]
	;; [unrolled: 1-line block ×4, first 2 shown]
	global_load_dwordx4 v[46:49], v[36:37], off
	global_load_dwordx4 v[42:45], v[36:37], off offset:1024
	global_load_dwordx4 v[38:41], v[34:35], off
	s_nop 0
	global_load_dwordx4 v[34:37], v[34:35], off offset:1024
	s_nop 0
	global_load_dword v69, v[50:51], off
	global_load_dword v68, v[52:53], off
	;; [unrolled: 1-line block ×4, first 2 shown]
	s_add_u32 s4, s10, s4
	v_lshl_or_b32 v59, v61, 4, v60
	s_addc_u32 s5, s11, 0
	v_lshlrev_b32_e32 v62, 4, v59
	s_load_dword s8, s[0:1], 0x1c
	s_waitcnt vmcnt(11)
	v_cvt_pk_f32_fp8_e32 v[50:51], v22
	v_cvt_pk_f32_fp8_sdwa v[52:53], v22 src0_sel:WORD_1
	v_cvt_pk_f32_fp8_e32 v[54:55], v23
	v_cvt_pk_f32_fp8_sdwa v[56:57], v23 src0_sel:WORD_1
	v_cvt_pk_f32_fp8_e32 v[70:71], v24
	v_cvt_pk_f32_fp8_sdwa v[72:73], v24 src0_sel:WORD_1
	v_cvt_pk_f32_fp8_e32 v[74:75], v25
	v_cvt_pk_f32_fp8_sdwa v[76:77], v25 src0_sel:WORD_1
	s_waitcnt vmcnt(9)
	v_cvt_pk_f32_fp8_e32 v[22:23], v2
	v_cvt_pk_f32_fp8_sdwa v[24:25], v2 src0_sel:WORD_1
	v_cvt_pkrtz_f16_f32 v50, v50, v51
	v_cvt_pkrtz_f16_f32 v51, v52, v53
	v_cvt_pk_f32_fp8_e32 v[78:79], v10
	v_cvt_pk_f32_fp8_sdwa v[80:81], v10 src0_sel:WORD_1
	v_cvt_pk_f32_fp8_e32 v[52:53], v11
	v_cvt_pk_f32_fp8_sdwa v[82:83], v11 src0_sel:WORD_1
	v_cvt_pkrtz_f16_f32 v10, v22, v23
	v_cvt_pkrtz_f16_f32 v11, v24, v25
	;; [unrolled: 1-line block ×4, first 2 shown]
	s_waitcnt lgkmcnt(0)
	v_mfma_f32_16x16x16_f16 v[22:25], v[50:51], v[26:27], 0
	v_cvt_pk_f32_fp8_e32 v[50:51], v12
	v_cvt_pk_f32_fp8_sdwa v[86:87], v12 src0_sel:WORD_1
	v_cvt_pkrtz_f16_f32 v50, v50, v51
	v_mfma_f32_16x16x16_f16 v[54:57], v[10:11], v[26:27], 0
	v_cvt_pkrtz_f16_f32 v10, v70, v71
	v_cvt_pkrtz_f16_f32 v11, v72, v73
	;; [unrolled: 1-line block ×3, first 2 shown]
	v_mfma_f32_16x16x16_f16 v[22:25], v[84:85], v[28:29], v[22:25]
	v_cvt_pkrtz_f16_f32 v73, v76, v77
	v_cvt_pkrtz_f16_f32 v76, v78, v79
	;; [unrolled: 1-line block ×3, first 2 shown]
	v_mfma_f32_16x16x16_f16 v[22:25], v[10:11], v[18:19], v[22:25]
	v_cvt_pk_f32_fp8_e32 v[70:71], v13
	v_cvt_pk_f32_fp8_sdwa v[74:75], v13 src0_sel:WORD_1
	v_cvt_pkrtz_f16_f32 v51, v86, v87
	v_mfma_f32_16x16x16_f16 v[10:13], v[72:73], v[20:21], v[22:25]
	s_waitcnt vmcnt(7)
	v_cvt_pk_f32_fp8_e32 v[72:73], v49
	s_nop 0
	v_cvt_pkrtz_f16_f32 v24, v52, v53
	v_cvt_pkrtz_f16_f32 v25, v82, v83
	v_mfma_f32_16x16x16_f16 v[10:13], v[76:77], v[14:15], v[10:13]
	v_cvt_pk_f32_fp8_e32 v[22:23], v3
	v_cvt_pk_f32_fp8_sdwa v[2:3], v3 src0_sel:WORD_1
	v_cvt_pkrtz_f16_f32 v52, v70, v71
	v_mfma_f32_16x16x16_f16 v[10:13], v[24:25], v[16:17], v[10:13]
	v_cvt_pkrtz_f16_f32 v53, v74, v75
	v_cvt_pk_f32_fp8_e32 v[24:25], v4
	v_cvt_pk_f32_fp8_sdwa v[70:71], v4 src0_sel:WORD_1
	v_mfma_f32_16x16x16_f16 v[10:13], v[50:51], v[6:7], v[10:13]
	v_cvt_pkrtz_f16_f32 v22, v22, v23
	v_cvt_pkrtz_f16_f32 v23, v2, v3
	s_waitcnt vmcnt(6)
	v_cvt_pk_f32_fp8_sdwa v[76:77], v44 src0_sel:WORD_1
	v_mfma_f32_16x16x16_f16 v[50:53], v[52:53], v[8:9], v[10:13]
	s_nop 2
	v_cvt_pkrtz_f16_f32 v10, v24, v25
	v_cvt_pkrtz_f16_f32 v11, v70, v71
	v_cvt_pk_f32_fp8_e32 v[12:13], v5
	v_cvt_pk_f32_fp8_sdwa v[24:25], v5 src0_sel:WORD_1
	v_mfma_f32_16x16x16_f16 v[2:5], v[22:23], v[28:29], v[54:57]
	v_cvt_pk_f32_fp8_sdwa v[22:23], v30 src0_sel:WORD_1
	v_cvt_pkrtz_f16_f32 v12, v12, v13
	v_cvt_pkrtz_f16_f32 v13, v24, v25
	v_mfma_f32_16x16x16_f16 v[2:5], v[10:11], v[18:19], v[2:5]
	v_cvt_pk_f32_fp8_e32 v[10:11], v30
	v_cvt_pk_f32_fp8_e32 v[24:25], v32
	v_lshl_add_u64 v[70:71], s[4:5], 0, v[62:63]
	v_mfma_f32_16x16x16_f16 v[2:5], v[12:13], v[20:21], v[2:5]
	v_cvt_pk_f32_fp8_e32 v[12:13], v31
	v_cvt_pkrtz_f16_f32 v10, v10, v11
	v_cvt_pkrtz_f16_f32 v11, v22, v23
	v_cvt_pk_f32_fp8_sdwa v[22:23], v31 src0_sel:WORD_1
	v_cvt_pkrtz_f16_f32 v12, v12, v13
	v_cvt_pk_f32_fp8_sdwa v[30:31], v32 src0_sel:WORD_1
	v_mfma_f32_16x16x16_f16 v[2:5], v[10:11], v[14:15], v[2:5]
	v_cvt_pkrtz_f16_f32 v13, v22, v23
	v_cvt_pkrtz_f16_f32 v10, v24, v25
	v_cvt_pkrtz_f16_f32 v11, v30, v31
	v_cvt_pk_f32_fp8_e32 v[22:23], v33
	v_cvt_pk_f32_fp8_sdwa v[24:25], v33 src0_sel:WORD_1
	v_mfma_f32_16x16x16_f16 v[2:5], v[12:13], v[16:17], v[2:5]
	v_or_b32_e32 v62, 0x400, v62
	v_cvt_pkrtz_f16_f32 v12, v22, v23
	v_cvt_pkrtz_f16_f32 v13, v24, v25
	v_mfma_f32_16x16x16_f16 v[2:5], v[10:11], v[6:7], v[2:5]
	v_cvt_pk_f32_fp8_e32 v[10:11], v46
	v_cvt_pk_f32_fp8_sdwa v[22:23], v46 src0_sel:WORD_1
	v_cvt_pk_f32_fp8_sdwa v[24:25], v48 src0_sel:WORD_1
	v_mfma_f32_16x16x16_f16 v[54:57], v[12:13], v[8:9], v[2:5]
	s_waitcnt vmcnt(3)
	v_mad_i64_i32 v[12:13], s[6:7], v69, s45, v[70:71]
	s_nop 0
	v_cvt_pkrtz_f16_f32 v2, v10, v11
	v_cvt_pkrtz_f16_f32 v3, v22, v23
	v_cvt_pk_f32_fp8_e32 v[4:5], v47
	v_cvt_pk_f32_fp8_sdwa v[10:11], v47 src0_sel:WORD_1
	s_waitcnt vmcnt(2)
	v_mad_i64_i32 v[46:47], s[6:7], v68, s45, v[70:71]
	v_cvt_pkrtz_f16_f32 v22, v4, v5
	v_cvt_pkrtz_f16_f32 v23, v10, v11
	v_cvt_pk_f32_fp8_e32 v[10:11], v48
	v_mfma_f32_16x16x16_f16 v[2:5], v[2:3], v[26:27], 0
	v_cvt_pk_f32_fp8_sdwa v[48:49], v49 src0_sel:WORD_1
	v_cvt_pkrtz_f16_f32 v10, v10, v11
	v_cvt_pkrtz_f16_f32 v11, v24, v25
	v_mfma_f32_16x16x16_f16 v[2:5], v[22:23], v[28:29], v[2:5]
	global_load_dwordx4 v[30:33], v[12:13], off
	global_load_dwordx4 v[22:25], v[46:47], off
	v_cvt_pkrtz_f16_f32 v12, v72, v73
	v_cvt_pkrtz_f16_f32 v13, v48, v49
	v_mfma_f32_16x16x16_f16 v[2:5], v[10:11], v[18:19], v[2:5]
	v_cvt_pk_f32_fp8_e32 v[10:11], v42
	v_cvt_pk_f32_fp8_sdwa v[46:47], v42 src0_sel:WORD_1
	s_waitcnt vmcnt(3)
	v_mad_i64_i32 v[72:73], s[6:7], v67, s45, v[70:71]
	v_mfma_f32_16x16x16_f16 v[2:5], v[12:13], v[20:21], v[2:5]
	v_cvt_pkrtz_f16_f32 v10, v10, v11
	v_cvt_pkrtz_f16_f32 v11, v46, v47
	v_cvt_pk_f32_fp8_e32 v[12:13], v43
	v_cvt_pk_f32_fp8_sdwa v[42:43], v43 src0_sel:WORD_1
	v_mfma_f32_16x16x16_f16 v[46:49], v[10:11], v[14:15], v[2:5]
	v_cvt_pkrtz_f16_f32 v74, v12, v13
	v_cvt_pkrtz_f16_f32 v75, v42, v43
	v_cvt_pk_f32_fp8_e32 v[42:43], v44
	s_waitcnt vmcnt(2)
	v_mad_i64_i32 v[70:71], s[6:7], v66, s45, v[70:71]
	global_load_dwordx4 v[10:13], v[72:73], off
	global_load_dwordx4 v[2:5], v[70:71], off
	v_cvt_pkrtz_f16_f32 v70, v42, v43
	v_cvt_pkrtz_f16_f32 v71, v76, v77
	v_cvt_pk_f32_fp8_e32 v[72:73], v45
	v_cvt_pk_f32_fp8_sdwa v[76:77], v45 src0_sel:WORD_1
	v_mfma_f32_16x16x16_f16 v[44:47], v[74:75], v[16:17], v[46:49]
	v_lshl_add_u64 v[42:43], s[4:5], 0, v[62:63]
	v_cvt_pk_f32_fp8_e32 v[62:63], v38
	v_cvt_pk_f32_fp8_sdwa v[74:75], v38 src0_sel:WORD_1
	v_cvt_pkrtz_f16_f32 v48, v72, v73
	v_cvt_pkrtz_f16_f32 v49, v76, v77
	v_mfma_f32_16x16x16_f16 v[44:47], v[70:71], v[6:7], v[44:47]
	s_load_dword s4, s[40:41], 0x0
	s_mov_b32 s40, 0xff7fffff
	v_mfma_f32_16x16x16_f16 v[70:73], v[48:49], v[8:9], v[44:47]
	s_nop 3
	v_cvt_pk_f32_fp8_e32 v[44:45], v39
	v_cvt_pkrtz_f16_f32 v46, v62, v63
	v_cvt_pkrtz_f16_f32 v47, v74, v75
	v_cvt_pk_f32_fp8_sdwa v[38:39], v39 src0_sel:WORD_1
	v_cvt_pkrtz_f16_f32 v48, v44, v45
	v_cvt_pk_f32_fp8_e32 v[62:63], v40
	v_cvt_pk_f32_fp8_sdwa v[74:75], v40 src0_sel:WORD_1
	v_cvt_pkrtz_f16_f32 v49, v38, v39
	v_mfma_f32_16x16x16_f16 v[44:47], v[46:47], v[26:27], 0
	v_cvt_pkrtz_f16_f32 v38, v62, v63
	v_cvt_pkrtz_f16_f32 v39, v74, v75
	v_cvt_pk_f32_fp8_e32 v[62:63], v41
	v_cvt_pk_f32_fp8_sdwa v[74:75], v41 src0_sel:WORD_1
	v_mov_b32_e32 v26, s8
	s_waitcnt lgkmcnt(0)
	v_mul_f32_e32 v76, s4, v26
	v_mfma_f32_16x16x16_f16 v[26:29], v[48:49], v[28:29], v[44:47]
	v_cvt_pk_f32_fp8_sdwa v[48:49], v37 src0_sel:WORD_1
	v_pk_mul_f32 v[40:41], v[76:77], v[52:53] op_sel_hi:[0,1]
	v_pk_mul_f32 v[52:53], v[76:77], v[54:55] op_sel_hi:[0,1]
	v_cvt_pkrtz_f16_f32 v46, v62, v63
	v_cvt_pkrtz_f16_f32 v47, v74, v75
	v_mfma_f32_16x16x16_f16 v[26:29], v[38:39], v[18:19], v[26:29]
	v_cvt_pk_f32_fp8_e32 v[18:19], v34
	v_cvt_pk_f32_fp8_sdwa v[38:39], v34 src0_sel:WORD_1
	v_pk_mul_f32 v[44:45], v[76:77], v[50:51] op_sel_hi:[0,1]
	v_mfma_f32_16x16x16_f16 v[26:29], v[46:47], v[20:21], v[26:29]
	v_cvt_pkrtz_f16_f32 v20, v18, v19
	v_cvt_pkrtz_f16_f32 v21, v38, v39
	v_cvt_pk_f32_fp8_e32 v[38:39], v35
	v_cvt_pk_f32_fp8_sdwa v[34:35], v35 src0_sel:WORD_1
	v_mfma_f32_16x16x16_f16 v[26:29], v[20:21], v[14:15], v[26:29]
	v_cvt_pkrtz_f16_f32 v38, v38, v39
	v_cvt_pkrtz_f16_f32 v39, v34, v35
	v_cvt_pk_f32_fp8_e32 v[14:15], v36
	v_cvt_pk_f32_fp8_sdwa v[20:21], v36 src0_sel:WORD_1
	v_pk_mul_f32 v[50:51], v[76:77], v[70:71] op_sel_hi:[0,1]
	v_mad_i64_i32 v[18:19], s[4:5], v69, s45, v[42:43]
	v_cvt_pkrtz_f16_f32 v46, v14, v15
	v_cvt_pkrtz_f16_f32 v47, v20, v21
	v_cvt_pk_f32_fp8_e32 v[20:21], v37
	v_mfma_f32_16x16x16_f16 v[14:17], v[38:39], v[16:17], v[26:29]
	v_pk_mul_f32 v[36:37], v[76:77], v[56:57] op_sel_hi:[0,1]
	v_mad_i64_i32 v[34:35], s[4:5], v68, s45, v[42:43]
	v_cvt_pkrtz_f16_f32 v20, v20, v21
	v_cvt_pkrtz_f16_f32 v21, v48, v49
	v_mfma_f32_16x16x16_f16 v[14:17], v[46:47], v[6:7], v[14:17]
	v_pk_mul_f32 v[46:47], v[76:77], v[72:73] op_sel_hi:[0,1]
	v_mfma_f32_16x16x16_f16 v[6:9], v[20:21], v[8:9], v[14:17]
	global_load_dwordx4 v[26:29], v[18:19], off
	s_nop 0
	global_load_dwordx4 v[18:21], v[34:35], off
	s_nop 3
	v_pk_mul_f32 v[48:49], v[76:77], v[6:7] op_sel_hi:[0,1]
	v_and_b32_e32 v6, 0xc0, v0
	v_add_u32_e32 v6, s18, v6
	v_lshl_or_b32 v6, v64, 2, v6
	v_pk_mul_f32 v[38:39], v[76:77], v[8:9] op_sel_hi:[0,1]
	v_or_b32_e32 v9, 1, v6
	v_mov_b32_e32 v7, 0xff7fffff
	v_cmp_gt_i32_e64 s[26:27], s33, v6
	v_cmp_gt_i32_e64 s[28:29], s33, v9
	v_or_b32_e32 v14, 3, v6
	v_cndmask_b32_e64 v8, v7, v44, s[26:27]
	v_cndmask_b32_e64 v9, v7, v45, s[28:29]
	v_max3_f32 v8, v8, s40, v9
	v_or_b32_e32 v9, 2, v6
	v_cmp_gt_i32_e64 s[30:31], s33, v9
	v_cmp_gt_i32_e64 s[34:35], s33, v14
	s_nop 0
	v_cndmask_b32_e64 v9, v7, v40, s[30:31]
	v_cndmask_b32_e64 v14, v7, v41, s[34:35]
	v_max3_f32 v8, v8, v9, v14
	v_or_b32_e32 v9, 16, v6
	v_or_b32_e32 v14, 17, v6
	v_cmp_gt_i32_e64 s[18:19], s33, v9
	v_cmp_gt_i32_e64 s[20:21], s33, v14
	s_nop 0
	v_cndmask_b32_e64 v9, v7, v52, s[18:19]
	v_cndmask_b32_e64 v14, v7, v53, s[20:21]
	v_max3_f32 v8, v8, v9, v14
	v_or_b32_e32 v9, 18, v6
	;; [unrolled: 8-line block ×5, first 2 shown]
	v_or_b32_e32 v14, 49, v6
	v_cmp_gt_i32_e32 vcc, s33, v9
	v_cmp_gt_i32_e64 s[4:5], s33, v14
	s_nop 0
	v_cndmask_b32_e32 v9, v7, v48, vcc
	v_cndmask_b32_e64 v14, v7, v49, s[4:5]
	v_max3_f32 v8, v8, v9, v14
	v_or_b32_e32 v9, 50, v6
	v_or_b32_e32 v6, 51, v6
	v_cmp_gt_i32_e64 s[6:7], s33, v9
	v_cmp_gt_i32_e64 s[8:9], s33, v6
	s_nop 0
	v_cndmask_b32_e64 v9, v7, v38, s[6:7]
	v_cndmask_b32_e64 v6, v7, v39, s[8:9]
	v_max3_f32 v8, v8, v9, v6
	v_mbcnt_lo_u32_b32 v6, -1, 0
	v_mbcnt_hi_u32_b32 v9, -1, v6
	v_and_b32_e32 v6, 64, v9
	v_add_u32_e32 v14, 64, v6
	v_xor_b32_e32 v6, 32, v9
	v_cmp_lt_i32_e64 s[38:39], v6, v14
	s_nop 1
	v_cndmask_b32_e64 v6, v9, v6, s[38:39]
	v_lshlrev_b32_e32 v55, 2, v6
	ds_bpermute_b32 v15, v55, v8
	v_mad_i64_i32 v[6:7], s[38:39], v67, s45, v[42:43]
	s_waitcnt lgkmcnt(0)
	v_max_f32_e32 v15, v15, v15
	v_max_f32_e32 v34, v8, v15
	v_xor_b32_e32 v8, 16, v9
	v_cmp_lt_i32_e64 s[38:39], v8, v14
	s_nop 1
	v_cndmask_b32_e64 v8, v9, v8, s[38:39]
	v_lshlrev_b32_e32 v56, 2, v8
	v_mad_i64_i32 v[8:9], s[38:39], v66, s45, v[42:43]
	global_load_dwordx4 v[14:17], v[6:7], off
	s_nop 0
	global_load_dwordx4 v[6:9], v[8:9], off
	ds_bpermute_b32 v35, v56, v34
	s_waitcnt lgkmcnt(0)
	s_barrier
	v_max_f32_e32 v35, v35, v35
	v_max_f32_e32 v54, v34, v35
	v_sub_f32_e32 v42, v52, v54
	v_mul_f32_e32 v42, 0x3fb8aa3b, v42
	v_exp_f32_e32 v42, v42
	v_sub_f32_e32 v36, v36, v54
	v_sub_f32_e32 v34, v44, v54
	v_mul_f32_e32 v36, 0x3fb8aa3b, v36
	v_mul_f32_e32 v34, 0x3fb8aa3b, v34
	v_sub_f32_e32 v35, v45, v54
	v_sub_f32_e32 v43, v53, v54
	v_exp_f32_e32 v44, v36
	v_sub_f32_e32 v36, v37, v54
	v_sub_f32_e32 v48, v48, v54
	;; [unrolled: 1-line block ×3, first 2 shown]
	v_exp_f32_e32 v34, v34
	v_mul_f32_e32 v35, 0x3fb8aa3b, v35
	v_sub_f32_e32 v40, v40, v54
	v_mul_f32_e32 v43, 0x3fb8aa3b, v43
	v_mul_f32_e32 v36, 0x3fb8aa3b, v36
	;; [unrolled: 1-line block ×4, first 2 shown]
	v_exp_f32_e32 v35, v35
	v_mul_f32_e32 v40, 0x3fb8aa3b, v40
	v_sub_f32_e32 v41, v41, v54
	v_exp_f32_e32 v43, v43
	v_exp_f32_e32 v45, v36
	v_cndmask_b32_e64 v36, 0, v42, s[18:19]
	v_sub_f32_e32 v42, v50, v54
	v_exp_f32_e32 v48, v48
	v_exp_f32_e32 v50, v38
	;; [unrolled: 1-line block ×3, first 2 shown]
	v_mul_f32_e32 v41, 0x3fb8aa3b, v41
	v_exp_f32_e32 v41, v41
	v_sub_f32_e32 v38, v39, v54
	v_cndmask_b32_e64 v34, 0, v34, s[26:27]
	v_mul_f32_e32 v38, 0x3fb8aa3b, v38
	v_cndmask_b32_e64 v35, 0, v35, s[28:29]
	v_cndmask_b32_e64 v37, 0, v43, s[20:21]
	v_sub_f32_e32 v43, v51, v54
	v_exp_f32_e32 v51, v38
	v_cndmask_b32_e32 v38, 0, v48, vcc
	v_cndmask_b32_e64 v48, 0, v50, s[6:7]
	v_add_f32_e32 v50, 0, v34
	v_cndmask_b32_e64 v40, 0, v40, s[30:31]
	v_add_f32_e32 v50, v50, v35
	v_cndmask_b32_e64 v41, 0, v41, s[34:35]
	v_mul_f32_e32 v42, 0x3fb8aa3b, v42
	v_add_f32_e32 v50, v50, v40
	v_exp_f32_e32 v42, v42
	v_mul_f32_e32 v43, 0x3fb8aa3b, v43
	v_sub_f32_e32 v46, v46, v54
	v_add_f32_e32 v50, v50, v41
	v_exp_f32_e32 v43, v43
	v_mul_f32_e32 v46, 0x3fb8aa3b, v46
	v_sub_f32_e32 v47, v47, v54
	v_add_f32_e32 v50, v50, v36
	v_cndmask_b32_e64 v44, 0, v44, s[22:23]
	v_exp_f32_e32 v46, v46
	v_mul_f32_e32 v47, 0x3fb8aa3b, v47
	v_add_f32_e32 v50, v50, v37
	v_cndmask_b32_e64 v45, 0, v45, s[36:37]
	v_exp_f32_e32 v47, v47
	v_sub_f32_e32 v49, v49, v54
	v_add_f32_e32 v50, v50, v44
	v_cndmask_b32_e64 v42, 0, v42, s[10:11]
	v_mul_f32_e32 v49, 0x3fb8aa3b, v49
	v_add_f32_e32 v50, v50, v45
	v_cndmask_b32_e64 v43, 0, v43, s[12:13]
	v_exp_f32_e32 v49, v49
	v_add_f32_e32 v50, v50, v42
	v_cndmask_b32_e64 v46, 0, v46, s[14:15]
	v_add_f32_e32 v50, v50, v43
	v_cndmask_b32_e64 v47, 0, v47, s[16:17]
	v_add_f32_e32 v50, v50, v46
	v_add_f32_e32 v50, v50, v47
	v_cndmask_b32_e64 v39, 0, v49, s[4:5]
	v_add_f32_e32 v50, v50, v38
	;; [unrolled: 3-line block ×3, first 2 shown]
	v_add_f32_e32 v50, v50, v49
	ds_bpermute_b32 v51, v55, v50
	v_cmp_gt_u32_e32 vcc, 16, v65
	s_waitcnt lgkmcnt(0)
	v_add_f32_e32 v50, v50, v51
	ds_bpermute_b32 v51, v56, v50
	s_and_saveexec_b64 s[4:5], vcc
	s_cbranch_execz .LBB997_13
; %bb.12:
	s_waitcnt lgkmcnt(0)
	v_add_f32_e32 v50, v50, v51
	v_lshlrev_b32_e32 v51, 2, v59
	ds_write2st64_b32 v51, v54, v50 offset1:1
.LBB997_13:
	s_or_b64 exec, exec, s[4:5]
	s_waitcnt lgkmcnt(0)
	v_lshlrev_b32_e32 v51, 2, v60
	s_load_dword s6, s[0:1], 0x94
	s_waitcnt lgkmcnt(0)
	s_barrier
	ds_read2_b32 v[52:53], v51 offset1:16
	ds_read2_b32 v[54:55], v51 offset0:32 offset1:48
	ds_read2_b32 v[56:57], v51 offset0:64 offset1:80
	s_mul_i32 s7, s25, 10
	s_waitcnt lgkmcnt(2)
	v_max3_f32 v50, v52, s40, v53
	s_waitcnt lgkmcnt(1)
	v_max3_f32 v50, v50, v54, v55
	v_sub_f32_e32 v52, v52, v50
	v_mul_f32_e32 v52, 0x3fb8aa3b, v52
	v_exp_f32_e32 v59, v52
	v_sub_f32_e32 v52, v53, v50
	v_mul_f32_e32 v52, 0x3fb8aa3b, v52
	v_exp_f32_e32 v62, v52
	;; [unrolled: 3-line block ×3, first 2 shown]
	ds_read2_b32 v[52:53], v51 offset0:96 offset1:112
	v_sub_f32_e32 v51, v55, v50
	v_mul_f32_e32 v51, 0x3fb8aa3b, v51
	v_exp_f32_e32 v55, v51
	s_waitcnt lgkmcnt(1)
	v_fma_f32 v51, v59, v56, 0
	v_fmac_f32_e32 v51, v62, v57
	s_waitcnt lgkmcnt(0)
	v_fmac_f32_e32 v51, v54, v52
	v_fmac_f32_e32 v51, v55, v53
	v_add_f32_e32 v52, 0x358637bd, v51
	v_div_scale_f32 v53, s[4:5], v52, v52, 1.0
	v_rcp_f32_e32 v56, v53
	s_barrier
	v_fma_f32 v57, -v53, v56, 1.0
	v_fmac_f32_e32 v56, v57, v56
	v_div_scale_f32 v57, vcc, 1.0, v52, 1.0
	v_mul_f32_e32 v63, v57, v56
	v_fma_f32 v65, -v53, v63, v57
	v_fmac_f32_e32 v63, v65, v56
	v_fma_f32 v53, -v53, v63, v57
	v_div_fmas_f32 v53, v53, v56, v63
	v_cmp_eq_u32_e32 vcc, 1, v61
	v_div_fixup_f32 v52, v53, v52, 1.0
	s_nop 0
	v_cndmask_b32_e32 v53, v59, v62, vcc
	v_cmp_eq_u32_e32 vcc, 2, v61
	s_nop 1
	v_cndmask_b32_e32 v53, v53, v54, vcc
	v_cmp_eq_u32_e32 vcc, 3, v61
	s_nop 1
	v_cndmask_b32_e32 v53, v53, v55, vcc
	v_mul_f32_e32 v52, v53, v52
	v_pk_mul_f32 v[40:41], v[52:53], v[40:41] op_sel_hi:[0,1]
	v_pk_mul_f32 v[34:35], v[52:53], v[34:35] op_sel_hi:[0,1]
	v_cvt_f16_f32_e32 v53, v40
	v_cvt_f16_f32_e32 v34, v34
	;; [unrolled: 1-line block ×4, first 2 shown]
	v_pk_mul_f32 v[44:45], v[52:53], v[44:45] op_sel_hi:[0,1]
	v_pk_mul_f32 v[36:37], v[52:53], v[36:37] op_sel_hi:[0,1]
	v_cvt_f16_f32_e32 v36, v36
	v_cvt_f16_f32_e32 v37, v37
	;; [unrolled: 1-line block ×4, first 2 shown]
	v_pack_b32_f16 v40, v34, v35
	v_pack_b32_f16 v41, v53, v41
	v_lshlrev_b32_e32 v35, 3, v64
	v_lshlrev_b32_e32 v34, 5, v60
	;; [unrolled: 1-line block ×3, first 2 shown]
	v_or3_b32 v54, v53, v34, v35
	v_pack_b32_f16 v36, v36, v37
	v_pack_b32_f16 v37, v44, v45
	ds_write2st64_b64 v54, v[40:41], v[36:37] offset1:1
	v_pk_mul_f32 v[36:37], v[52:53], v[46:47] op_sel_hi:[0,1]
	v_pk_mul_f32 v[40:41], v[52:53], v[42:43] op_sel_hi:[0,1]
	v_cvt_f16_f32_e32 v35, v40
	v_cvt_f16_f32_e32 v40, v41
	;; [unrolled: 1-line block ×4, first 2 shown]
	v_pk_mul_f32 v[36:37], v[52:53], v[48:49] op_sel_hi:[0,1]
	v_pk_mul_f32 v[38:39], v[52:53], v[38:39] op_sel_hi:[0,1]
	v_cvt_f16_f32_e32 v38, v38
	v_cvt_f16_f32_e32 v39, v39
	;; [unrolled: 1-line block ×4, first 2 shown]
	v_pack_b32_f16 v36, v35, v40
	v_pack_b32_f16 v37, v41, v42
	;; [unrolled: 1-line block ×4, first 2 shown]
	v_cmp_gt_u32_e32 vcc, 10, v0
	ds_write2st64_b64 v54, v[36:37], v[38:39] offset0:2 offset1:3
	s_and_saveexec_b64 s[4:5], vcc
	s_cbranch_execz .LBB997_15
; %bb.14:
	s_mov_b32 s49, 0
	v_mov_b32_e32 v61, 0
	v_lshl_add_u64 v[36:37], s[48:49], 0, v[60:61]
	v_mov_b32_e32 v35, s7
	v_mad_u64_u32 v[36:37], s[12:13], s2, v35, v[36:37]
	s_mul_i32 s3, s3, s7
	v_mov_b32_e32 v38, s24
	v_mov_b32_e32 v39, v61
	s_load_dwordx4 s[8:11], s[0:1], 0x58
	v_add_u32_e32 v35, s3, v37
	v_mad_u64_u32 v[36:37], s[12:13], v36, s6, v[38:39]
	v_mov_b32_e32 v38, v37
	v_mad_u64_u32 v[38:39], s[12:13], v35, s6, v[38:39]
	v_mov_b32_e32 v37, v38
	v_lshlrev_b64 v[36:37], 2, v[36:37]
	s_waitcnt lgkmcnt(0)
	v_lshl_add_u64 v[38:39], s[10:11], 0, v[36:37]
	v_lshl_add_u64 v[36:37], s[8:9], 0, v[36:37]
	global_store_dword v[38:39], v50, off
	global_store_dword v[36:37], v51, off
.LBB997_15:
	s_or_b64 exec, exec, s[4:5]
	s_waitcnt vmcnt(7)
	v_cvt_pk_f32_fp8_e32 v[36:37], v30
	v_lshl_or_b32 v50, v64, 9, v34
	v_cvt_pk_f32_fp8_sdwa v[34:35], v30 src0_sel:WORD_1
	s_waitcnt lgkmcnt(0)
	s_barrier
	v_cvt_pk_f32_fp8_e32 v[38:39], v31
	v_cvt_pkrtz_f16_f32 v30, v36, v37
	v_cvt_pk_f32_fp8_sdwa v[40:41], v31 src0_sel:WORD_1
	v_cvt_pkrtz_f16_f32 v31, v34, v35
	ds_read_b128 v[34:37], v50
	v_cvt_pkrtz_f16_f32 v46, v38, v39
	v_cvt_pkrtz_f16_f32 v47, v40, v41
	ds_read_b128 v[38:41], v50 offset:16
	v_cvt_pk_f32_fp8_e32 v[48:49], v32
	v_cvt_pk_f32_fp8_sdwa v[52:53], v32 src0_sel:WORD_1
	s_waitcnt lgkmcnt(1)
	v_mfma_f32_16x16x16_f16 v[42:45], v[30:31], v[34:35], 0
	s_waitcnt vmcnt(6)
	v_cvt_pk_f32_fp8_e32 v[56:57], v24
	v_cvt_pkrtz_f16_f32 v30, v48, v49
	v_cvt_pkrtz_f16_f32 v31, v52, v53
	v_cvt_pk_f32_fp8_e32 v[48:49], v33
	v_mfma_f32_16x16x16_f16 v[42:45], v[46:47], v[36:37], v[42:45]
	v_cvt_pk_f32_fp8_sdwa v[46:47], v33 src0_sel:WORD_1
	v_cvt_pk_f32_fp8_sdwa v[62:63], v24 src0_sel:WORD_1
	v_cvt_pkrtz_f16_f32 v48, v48, v49
	s_waitcnt lgkmcnt(0)
	v_mfma_f32_16x16x16_f16 v[30:33], v[30:31], v[38:39], v[42:45]
	v_cvt_pkrtz_f16_f32 v49, v46, v47
	s_waitcnt vmcnt(4)
	v_cvt_pk_f32_fp8_sdwa v[70:71], v4 src0_sel:WORD_1
	s_waitcnt vmcnt(3)
	v_cvt_pk_f32_fp8_sdwa v[72:73], v28 src0_sel:WORD_1
	v_cvt_pk_f32_fp8_e32 v[42:43], v22
	v_mfma_f32_16x16x16_f16 v[46:49], v[48:49], v[40:41], v[30:33]
	s_load_dword s4, s[42:43], 0x0
	s_mov_b32 s3, 0
	s_nop 0
	v_cvt_pk_f32_fp8_sdwa v[30:31], v22 src0_sel:WORD_1
	v_cvt_pk_f32_fp8_e32 v[32:33], v23
	v_cvt_pkrtz_f16_f32 v22, v42, v43
	v_cvt_pk_f32_fp8_sdwa v[42:43], v23 src0_sel:WORD_1
	v_cvt_pkrtz_f16_f32 v23, v30, v31
	v_cvt_pkrtz_f16_f32 v52, v32, v33
	ds_read_b128 v[30:33], v50 offset:2048
	v_cvt_pkrtz_f16_f32 v53, v42, v43
	ds_read_b128 v[42:45], v50 offset:2064
	s_waitcnt lgkmcnt(0)
	v_mfma_f32_16x16x16_f16 v[46:49], v[22:23], v[30:31], v[46:49]
	v_cvt_pkrtz_f16_f32 v22, v56, v57
	v_cvt_pkrtz_f16_f32 v23, v62, v63
	v_cvt_pk_f32_fp8_e32 v[56:57], v25
	v_mfma_f32_16x16x16_f16 v[46:49], v[52:53], v[32:33], v[46:49]
	v_cvt_pk_f32_fp8_sdwa v[52:53], v25 src0_sel:WORD_1
	v_cvt_pk_f32_fp8_sdwa v[62:63], v12 src0_sel:WORD_1
	v_cvt_pkrtz_f16_f32 v56, v56, v57
	v_mfma_f32_16x16x16_f16 v[22:25], v[22:23], v[42:43], v[46:49]
	v_cvt_pkrtz_f16_f32 v57, v52, v53
	v_cmp_gt_u32_e32 vcc, 64, v0
	s_nop 0
	v_cvt_pk_f32_fp8_e32 v[46:47], v10
	v_mfma_f32_16x16x16_f16 v[66:69], v[56:57], v[44:45], v[22:25]
	v_cvt_pk_f32_fp8_e32 v[56:57], v12
	s_nop 1
	v_cvt_pk_f32_fp8_sdwa v[22:23], v10 src0_sel:WORD_1
	v_cvt_pk_f32_fp8_e32 v[24:25], v11
	v_cvt_pkrtz_f16_f32 v10, v46, v47
	v_cvt_pk_f32_fp8_sdwa v[46:47], v11 src0_sel:WORD_1
	v_cvt_pkrtz_f16_f32 v11, v22, v23
	v_cvt_pkrtz_f16_f32 v52, v24, v25
	ds_read_b128 v[22:25], v50 offset:4096
	v_cvt_pkrtz_f16_f32 v53, v46, v47
	ds_read_b128 v[46:49], v50 offset:4112
	s_waitcnt lgkmcnt(1)
	v_mfma_f32_16x16x16_f16 v[66:69], v[10:11], v[22:23], v[66:69]
	v_cvt_pkrtz_f16_f32 v10, v56, v57
	v_cvt_pkrtz_f16_f32 v11, v62, v63
	v_cvt_pk_f32_fp8_e32 v[56:57], v13
	v_mfma_f32_16x16x16_f16 v[66:69], v[52:53], v[24:25], v[66:69]
	v_cvt_pk_f32_fp8_sdwa v[52:53], v13 src0_sel:WORD_1
	v_cvt_pk_f32_fp8_e32 v[62:63], v4
	v_cvt_pkrtz_f16_f32 v56, v56, v57
	s_waitcnt lgkmcnt(0)
	v_mfma_f32_16x16x16_f16 v[10:13], v[10:11], v[46:47], v[66:69]
	v_cvt_pkrtz_f16_f32 v57, v52, v53
	v_cvt_pk_f32_fp8_e32 v[52:53], v2
	s_nop 0
	v_mfma_f32_16x16x16_f16 v[66:69], v[56:57], v[48:49], v[10:13]
	s_nop 2
	v_cvt_pk_f32_fp8_sdwa v[10:11], v2 src0_sel:WORD_1
	v_cvt_pk_f32_fp8_e32 v[12:13], v3
	v_cvt_pkrtz_f16_f32 v2, v52, v53
	v_cvt_pk_f32_fp8_sdwa v[52:53], v3 src0_sel:WORD_1
	v_cvt_pkrtz_f16_f32 v3, v10, v11
	v_cvt_pkrtz_f16_f32 v56, v12, v13
	ds_read_b128 v[10:13], v50 offset:6144
	v_cvt_pkrtz_f16_f32 v57, v52, v53
	s_waitcnt lgkmcnt(0)
	v_mfma_f32_16x16x16_f16 v[66:69], v[2:3], v[10:11], v[66:69]
	ds_read_b128 v[50:53], v50 offset:6160
	v_cvt_pkrtz_f16_f32 v2, v62, v63
	v_cvt_pkrtz_f16_f32 v3, v70, v71
	v_cvt_pk_f32_fp8_e32 v[62:63], v5
	v_mfma_f32_16x16x16_f16 v[66:69], v[56:57], v[12:13], v[66:69]
	v_cvt_pk_f32_fp8_sdwa v[56:57], v5 src0_sel:WORD_1
	v_cvt_pk_f32_fp8_e32 v[70:71], v28
	v_cvt_pkrtz_f16_f32 v62, v62, v63
	s_waitcnt lgkmcnt(0)
	v_mfma_f32_16x16x16_f16 v[2:5], v[2:3], v[50:51], v[66:69]
	v_cvt_pkrtz_f16_f32 v63, v56, v57
	v_cvt_pk_f32_fp8_e32 v[56:57], v26
	s_nop 0
	v_cvt_pk_f32_fp8_sdwa v[66:67], v26 src0_sel:WORD_1
	v_mfma_f32_16x16x16_f16 v[2:5], v[62:63], v[52:53], v[2:5]
	v_cvt_pk_f32_fp8_e32 v[62:63], v27
	v_cvt_pkrtz_f16_f32 v56, v56, v57
	v_cvt_pkrtz_f16_f32 v57, v66, v67
	v_cvt_pk_f32_fp8_sdwa v[26:27], v27 src0_sel:WORD_1
	v_cvt_pkrtz_f16_f32 v62, v62, v63
	v_mfma_f32_16x16x16_f16 v[66:69], v[56:57], v[34:35], 0
	v_cvt_pkrtz_f16_f32 v63, v26, v27
	v_cvt_pkrtz_f16_f32 v26, v70, v71
	;; [unrolled: 1-line block ×3, first 2 shown]
	v_cvt_pk_f32_fp8_e32 v[56:57], v29
	v_mfma_f32_16x16x16_f16 v[34:37], v[62:63], v[36:37], v[66:69]
	v_cvt_pk_f32_fp8_sdwa v[62:63], v29 src0_sel:WORD_1
	v_cvt_pkrtz_f16_f32 v56, v56, v57
	s_barrier
	v_mfma_f32_16x16x16_f16 v[26:29], v[26:27], v[38:39], v[34:37]
	v_cvt_pkrtz_f16_f32 v57, v62, v63
	s_waitcnt vmcnt(2)
	v_cvt_pk_f32_fp8_e32 v[38:39], v19
	v_cvt_pk_f32_fp8_e32 v[34:35], v18
	v_cvt_pk_f32_fp8_sdwa v[36:37], v18 src0_sel:WORD_1
	v_cvt_pk_f32_fp8_sdwa v[18:19], v19 src0_sel:WORD_1
	v_mfma_f32_16x16x16_f16 v[26:29], v[56:57], v[40:41], v[26:29]
	v_cvt_pkrtz_f16_f32 v34, v34, v35
	v_cvt_pkrtz_f16_f32 v35, v36, v37
	;; [unrolled: 1-line block ×3, first 2 shown]
	v_cvt_pk_f32_fp8_e32 v[38:39], v20
	v_cvt_pk_f32_fp8_sdwa v[40:41], v20 src0_sel:WORD_1
	v_cvt_pkrtz_f16_f32 v37, v18, v19
	v_mfma_f32_16x16x16_f16 v[26:29], v[34:35], v[30:31], v[26:29]
	v_cvt_pkrtz_f16_f32 v30, v38, v39
	v_cvt_pkrtz_f16_f32 v31, v40, v41
	v_cvt_pk_f32_fp8_e32 v[34:35], v21
	v_cvt_pk_f32_fp8_sdwa v[38:39], v21 src0_sel:WORD_1
	v_mfma_f32_16x16x16_f16 v[18:21], v[36:37], v[32:33], v[26:29]
	s_waitcnt vmcnt(1)
	v_cvt_pk_f32_fp8_sdwa v[32:33], v16 src0_sel:WORD_1
	s_nop 0
	v_cvt_pkrtz_f16_f32 v26, v34, v35
	v_cvt_pkrtz_f16_f32 v27, v38, v39
	v_mfma_f32_16x16x16_f16 v[18:21], v[30:31], v[42:43], v[18:21]
	v_cvt_pk_f32_fp8_e32 v[28:29], v14
	v_cvt_pk_f32_fp8_sdwa v[30:31], v14 src0_sel:WORD_1
	v_cvt_pkrtz_f16_f32 v28, v28, v29
	v_mfma_f32_16x16x16_f16 v[18:21], v[26:27], v[44:45], v[18:21]
	v_cvt_pk_f32_fp8_e32 v[26:27], v15
	v_cvt_pkrtz_f16_f32 v29, v30, v31
	v_cvt_pk_f32_fp8_sdwa v[14:15], v15 src0_sel:WORD_1
	v_cvt_pk_f32_fp8_e32 v[30:31], v16
	v_cvt_pkrtz_f16_f32 v26, v26, v27
	v_mfma_f32_16x16x16_f16 v[18:21], v[28:29], v[22:23], v[18:21]
	v_cvt_pkrtz_f16_f32 v27, v14, v15
	v_cvt_pkrtz_f16_f32 v22, v30, v31
	;; [unrolled: 1-line block ×3, first 2 shown]
	v_cvt_pk_f32_fp8_e32 v[28:29], v17
	v_cvt_pk_f32_fp8_sdwa v[30:31], v17 src0_sel:WORD_1
	v_mfma_f32_16x16x16_f16 v[14:17], v[26:27], v[24:25], v[18:21]
	s_waitcnt vmcnt(0)
	v_cvt_pk_f32_fp8_sdwa v[24:25], v6 src0_sel:WORD_1
	s_nop 0
	v_pk_mul_f32 v[18:19], v[4:5], s[4:5] op_sel_hi:[1,0]
	v_cvt_pkrtz_f16_f32 v4, v28, v29
	v_cvt_pkrtz_f16_f32 v5, v30, v31
	v_mfma_f32_16x16x16_f16 v[14:17], v[22:23], v[46:47], v[14:17]
	v_cvt_pk_f32_fp8_e32 v[22:23], v6
	v_pk_mul_f32 v[20:21], v[2:3], s[4:5] op_sel_hi:[1,0]
	v_mfma_f32_16x16x16_f16 v[2:5], v[4:5], v[48:49], v[14:17]
	s_nop 3
	v_cvt_pk_f32_fp8_e32 v[14:15], v7
	v_cvt_pkrtz_f16_f32 v16, v22, v23
	v_cvt_pkrtz_f16_f32 v17, v24, v25
	v_cvt_pk_f32_fp8_sdwa v[6:7], v7 src0_sel:WORD_1
	v_cvt_pkrtz_f16_f32 v14, v14, v15
	v_cvt_pk_f32_fp8_e32 v[22:23], v8
	v_cvt_pk_f32_fp8_sdwa v[24:25], v8 src0_sel:WORD_1
	v_cvt_pkrtz_f16_f32 v15, v6, v7
	v_mfma_f32_16x16x16_f16 v[2:5], v[16:17], v[10:11], v[2:5]
	v_cvt_pkrtz_f16_f32 v6, v22, v23
	v_cvt_pkrtz_f16_f32 v7, v24, v25
	v_cvt_pk_f32_fp8_e32 v[10:11], v9
	v_cvt_pk_f32_fp8_sdwa v[8:9], v9 src0_sel:WORD_1
	v_mfma_f32_16x16x16_f16 v[2:5], v[14:15], v[12:13], v[2:5]
	v_cvt_f16_f32_e32 v12, v20
	v_cvt_pkrtz_f16_f32 v10, v10, v11
	v_cvt_pkrtz_f16_f32 v11, v8, v9
	v_mfma_f32_16x16x16_f16 v[2:5], v[6:7], v[50:51], v[2:5]
	v_cvt_f16_f32_e32 v6, v21
	v_cvt_f16_f32_e32 v7, v18
	v_cvt_f16_f32_e32 v8, v19
	v_mfma_f32_16x16x16_f16 v[2:5], v[10:11], v[52:53], v[2:5]
	s_nop 6
	v_pk_mul_f32 v[4:5], v[4:5], s[4:5] op_sel_hi:[1,0]
	v_pk_mul_f32 v[2:3], v[2:3], s[4:5] op_sel_hi:[1,0]
	v_cvt_f16_f32_e32 v11, v4
	v_cvt_f16_f32_e32 v9, v2
	;; [unrolled: 1-line block ×4, first 2 shown]
	v_pack_b32_f16 v2, v12, v6
	v_pack_b32_f16 v3, v7, v8
	;; [unrolled: 1-line block ×4, first 2 shown]
	ds_write2st64_b64 v54, v[2:3], v[4:5] offset1:1
	s_waitcnt lgkmcnt(0)
	s_barrier
	s_and_saveexec_b64 s[4:5], vcc
	s_cbranch_execz .LBB997_18
; %bb.16:
	s_load_dwordx2 s[4:5], s[0:1], 0x68
	s_lshl_b32 s0, s6, 7
	s_mul_i32 s1, s7, s2
	v_lshlrev_b32_e32 v3, 6, v60
	s_mul_hi_u32 s7, s1, s0
	s_mul_i32 s6, s1, s0
	v_lshl_or_b32 v0, v0, 10, v3
	s_lshl_b64 s[6:7], s[6:7], 1
	v_lshlrev_b32_e32 v2, 5, v64
	v_and_b32_e32 v1, 16, v1
	v_and_b32_e32 v0, 0x1a00, v0
	s_waitcnt lgkmcnt(0)
	s_add_u32 s1, s4, s6
	v_or3_b32 v2, v0, v2, v1
	s_addc_u32 s4, s5, s7
	s_lshl_b32 s2, s24, 7
	s_lshl_b64 s[2:3], s[2:3], 1
	ds_read_b128 v[4:7], v2 offset:128
	ds_read_b128 v[8:11], v2
	s_add_u32 s2, s1, s2
	s_addc_u32 s3, s4, s3
	v_mov_b32_e32 v59, 0
	v_add_u32_e32 v14, s48, v64
	v_lshl_add_u64 v[0:1], s[2:3], 0, v[58:59]
	v_mad_u64_u32 v[12:13], s[2:3], v14, s0, 0
	v_lshl_add_u64 v[12:13], v[12:13], 1, v[0:1]
	s_waitcnt lgkmcnt(0)
	global_store_dwordx4 v[12:13], v[8:11], off
	v_or_b32_e32 v3, 8, v64
	v_cmp_gt_u32_e32 vcc, 10, v3
	v_add_u32_e32 v8, 4, v14
	v_mad_u64_u32 v[8:9], s[2:3], v8, s0, 0
	v_lshl_add_u64 v[8:9], v[8:9], 1, v[0:1]
	global_store_dwordx4 v[8:9], v[4:7], off
	s_and_b64 exec, exec, vcc
	s_cbranch_execz .LBB997_18
; %bb.17:
	ds_read_b128 v[4:7], v2 offset:256
	v_add_u32_e32 v2, s48, v3
	v_mad_u64_u32 v[2:3], s[0:1], v2, s0, 0
	v_lshl_add_u64 v[0:1], v[2:3], 1, v[0:1]
	s_waitcnt lgkmcnt(0)
	global_store_dwordx4 v[0:1], v[4:7], off
.LBB997_18:
	s_endpgm
	.section	.rodata,"a",@progbits
	.p2align	6, 0x0
	.amdhsa_kernel _Z39paged_attention_ll4mi_QKV_mfma16_kernelIDF16_hLN4vllm18Fp8KVCacheDataTypeE1EDF16_Li16ELi128ELi256ELb0ELi10EEvPKT_PKT0_S7_ifPKiS9_S9_iPKfiiiPfSC_PS2_PT2_iSB_SB_
		.amdhsa_group_segment_fixed_size 8192
		.amdhsa_private_segment_fixed_size 0
		.amdhsa_kernarg_size 400
		.amdhsa_user_sgpr_count 2
		.amdhsa_user_sgpr_dispatch_ptr 0
		.amdhsa_user_sgpr_queue_ptr 0
		.amdhsa_user_sgpr_kernarg_segment_ptr 1
		.amdhsa_user_sgpr_dispatch_id 0
		.amdhsa_user_sgpr_kernarg_preload_length 0
		.amdhsa_user_sgpr_kernarg_preload_offset 0
		.amdhsa_user_sgpr_private_segment_size 0
		.amdhsa_uses_dynamic_stack 0
		.amdhsa_enable_private_segment 0
		.amdhsa_system_sgpr_workgroup_id_x 1
		.amdhsa_system_sgpr_workgroup_id_y 1
		.amdhsa_system_sgpr_workgroup_id_z 1
		.amdhsa_system_sgpr_workgroup_info 0
		.amdhsa_system_vgpr_workitem_id 0
		.amdhsa_next_free_vgpr 88
		.amdhsa_next_free_sgpr 50
		.amdhsa_accum_offset 88
		.amdhsa_reserve_vcc 1
		.amdhsa_float_round_mode_32 0
		.amdhsa_float_round_mode_16_64 0
		.amdhsa_float_denorm_mode_32 3
		.amdhsa_float_denorm_mode_16_64 3
		.amdhsa_dx10_clamp 1
		.amdhsa_ieee_mode 1
		.amdhsa_fp16_overflow 0
		.amdhsa_tg_split 0
		.amdhsa_exception_fp_ieee_invalid_op 0
		.amdhsa_exception_fp_denorm_src 0
		.amdhsa_exception_fp_ieee_div_zero 0
		.amdhsa_exception_fp_ieee_overflow 0
		.amdhsa_exception_fp_ieee_underflow 0
		.amdhsa_exception_fp_ieee_inexact 0
		.amdhsa_exception_int_div_zero 0
	.end_amdhsa_kernel
	.section	.text._Z39paged_attention_ll4mi_QKV_mfma16_kernelIDF16_hLN4vllm18Fp8KVCacheDataTypeE1EDF16_Li16ELi128ELi256ELb0ELi10EEvPKT_PKT0_S7_ifPKiS9_S9_iPKfiiiPfSC_PS2_PT2_iSB_SB_,"axG",@progbits,_Z39paged_attention_ll4mi_QKV_mfma16_kernelIDF16_hLN4vllm18Fp8KVCacheDataTypeE1EDF16_Li16ELi128ELi256ELb0ELi10EEvPKT_PKT0_S7_ifPKiS9_S9_iPKfiiiPfSC_PS2_PT2_iSB_SB_,comdat
.Lfunc_end997:
	.size	_Z39paged_attention_ll4mi_QKV_mfma16_kernelIDF16_hLN4vllm18Fp8KVCacheDataTypeE1EDF16_Li16ELi128ELi256ELb0ELi10EEvPKT_PKT0_S7_ifPKiS9_S9_iPKfiiiPfSC_PS2_PT2_iSB_SB_, .Lfunc_end997-_Z39paged_attention_ll4mi_QKV_mfma16_kernelIDF16_hLN4vllm18Fp8KVCacheDataTypeE1EDF16_Li16ELi128ELi256ELb0ELi10EEvPKT_PKT0_S7_ifPKiS9_S9_iPKfiiiPfSC_PS2_PT2_iSB_SB_
                                        ; -- End function
	.section	.AMDGPU.csdata,"",@progbits
; Kernel info:
; codeLenInByte = 6036
; NumSgprs: 56
; NumVgprs: 88
; NumAgprs: 0
; TotalNumVgprs: 88
; ScratchSize: 0
; MemoryBound: 0
; FloatMode: 240
; IeeeMode: 1
; LDSByteSize: 8192 bytes/workgroup (compile time only)
; SGPRBlocks: 6
; VGPRBlocks: 10
; NumSGPRsForWavesPerEU: 56
; NumVGPRsForWavesPerEU: 88
; AccumOffset: 88
; Occupancy: 5
; WaveLimiterHint : 1
; COMPUTE_PGM_RSRC2:SCRATCH_EN: 0
; COMPUTE_PGM_RSRC2:USER_SGPR: 2
; COMPUTE_PGM_RSRC2:TRAP_HANDLER: 0
; COMPUTE_PGM_RSRC2:TGID_X_EN: 1
; COMPUTE_PGM_RSRC2:TGID_Y_EN: 1
; COMPUTE_PGM_RSRC2:TGID_Z_EN: 1
; COMPUTE_PGM_RSRC2:TIDIG_COMP_CNT: 0
; COMPUTE_PGM_RSRC3_GFX90A:ACCUM_OFFSET: 21
; COMPUTE_PGM_RSRC3_GFX90A:TG_SPLIT: 0
	.section	.text._Z39paged_attention_ll4mi_QKV_mfma16_kernelIDF16_hLN4vllm18Fp8KVCacheDataTypeE1EDF16_Li16ELi128ELi256ELb0ELi11EEvPKT_PKT0_S7_ifPKiS9_S9_iPKfiiiPfSC_PS2_PT2_iSB_SB_,"axG",@progbits,_Z39paged_attention_ll4mi_QKV_mfma16_kernelIDF16_hLN4vllm18Fp8KVCacheDataTypeE1EDF16_Li16ELi128ELi256ELb0ELi11EEvPKT_PKT0_S7_ifPKiS9_S9_iPKfiiiPfSC_PS2_PT2_iSB_SB_,comdat
	.protected	_Z39paged_attention_ll4mi_QKV_mfma16_kernelIDF16_hLN4vllm18Fp8KVCacheDataTypeE1EDF16_Li16ELi128ELi256ELb0ELi11EEvPKT_PKT0_S7_ifPKiS9_S9_iPKfiiiPfSC_PS2_PT2_iSB_SB_ ; -- Begin function _Z39paged_attention_ll4mi_QKV_mfma16_kernelIDF16_hLN4vllm18Fp8KVCacheDataTypeE1EDF16_Li16ELi128ELi256ELb0ELi11EEvPKT_PKT0_S7_ifPKiS9_S9_iPKfiiiPfSC_PS2_PT2_iSB_SB_
	.globl	_Z39paged_attention_ll4mi_QKV_mfma16_kernelIDF16_hLN4vllm18Fp8KVCacheDataTypeE1EDF16_Li16ELi128ELi256ELb0ELi11EEvPKT_PKT0_S7_ifPKiS9_S9_iPKfiiiPfSC_PS2_PT2_iSB_SB_
	.p2align	8
	.type	_Z39paged_attention_ll4mi_QKV_mfma16_kernelIDF16_hLN4vllm18Fp8KVCacheDataTypeE1EDF16_Li16ELi128ELi256ELb0ELi11EEvPKT_PKT0_S7_ifPKiS9_S9_iPKfiiiPfSC_PS2_PT2_iSB_SB_,@function
_Z39paged_attention_ll4mi_QKV_mfma16_kernelIDF16_hLN4vllm18Fp8KVCacheDataTypeE1EDF16_Li16ELi128ELi256ELb0ELi11EEvPKT_PKT0_S7_ifPKiS9_S9_iPKfiiiPfSC_PS2_PT2_iSB_SB_: ; @_Z39paged_attention_ll4mi_QKV_mfma16_kernelIDF16_hLN4vllm18Fp8KVCacheDataTypeE1EDF16_Li16ELi128ELi256ELb0ELi11EEvPKT_PKT0_S7_ifPKiS9_S9_iPKfiiiPfSC_PS2_PT2_iSB_SB_
; %bb.0:
	s_load_dwordx2 s[12:13], s[0:1], 0x30
	s_mov_b32 s24, s3
	s_mov_b64 s[6:7], 0
	s_waitcnt lgkmcnt(0)
	s_cmp_lg_u64 s[12:13], 0
	s_cselect_b64 s[14:15], -1, 0
	s_and_b64 vcc, exec, s[14:15]
	s_cbranch_vccz .LBB998_7
; %bb.1:
	s_add_i32 s8, s2, 1
	s_mov_b32 s9, 0
	s_lshl_b64 s[10:11], s[8:9], 2
	s_add_u32 s10, s12, s10
	s_mov_b32 s3, s9
	s_addc_u32 s11, s13, s11
	s_lshl_b64 s[8:9], s[2:3], 2
	s_add_u32 s8, s12, s8
	s_addc_u32 s9, s13, s9
	s_load_dword s5, s[10:11], 0x0
	s_load_dword s16, s[8:9], 0x0
	s_waitcnt lgkmcnt(0)
	s_sub_i32 s5, s5, s16
	s_cmp_eq_u32 s5, 1
	s_cselect_b64 s[8:9], -1, 0
	s_andn2_b64 vcc, exec, s[6:7]
	s_cbranch_vccnz .LBB998_3
.LBB998_2:
	s_mov_b32 s3, 0
	s_mov_b64 s[8:9], -1
.LBB998_3:
	s_andn2_b64 vcc, exec, s[8:9]
	s_cbranch_vccnz .LBB998_18
; %bb.4:
	s_load_dwordx2 s[6:7], s[0:1], 0x28
	s_lshl_b64 s[16:17], s[2:3], 2
	s_waitcnt lgkmcnt(0)
	s_add_u32 s6, s6, s16
	s_addc_u32 s7, s7, s17
	s_load_dword s33, s[6:7], 0x0
	s_lshl_b32 s18, s24, 8
	s_waitcnt lgkmcnt(0)
	s_cmp_ge_i32 s18, s33
	s_cbranch_scc1 .LBB998_18
; %bb.5:
	s_load_dwordx2 s[6:7], s[0:1], 0x20
	s_load_dword s8, s[0:1], 0x38
	s_add_i32 s5, s33, 15
	s_ashr_i32 s9, s5, 31
	v_and_b32_e32 v1, 0xcf, v0
	s_lshr_b32 s9, s9, 28
	v_add_u32_e32 v1, s18, v1
	s_add_i32 s5, s5, s9
	v_ashrrev_i32_e32 v2, 31, v1
	s_ashr_i32 s5, s5, 4
	v_lshrrev_b32_e32 v10, 28, v2
	s_add_i32 s5, s5, -1
	s_waitcnt lgkmcnt(0)
	s_mul_i32 s8, s2, s8
	s_mov_b32 s9, 0
	v_add_u32_e32 v2, v1, v10
	s_lshl_b64 s[8:9], s[8:9], 2
	v_ashrrev_i32_e32 v2, 4, v2
	v_mov_b32_e32 v11, s5
	v_cmp_gt_i32_e32 vcc, s33, v1
	s_add_u32 s6, s6, s8
	s_addc_u32 s7, s7, s9
	v_cndmask_b32_e32 v2, v11, v2, vcc
	v_ashrrev_i32_e32 v3, 31, v2
	v_lshl_add_u64 v[4:5], v[2:3], 2, s[6:7]
	v_or_b32_e32 v2, 16, v1
	v_add_u32_e32 v3, v2, v10
	v_ashrrev_i32_e32 v3, 4, v3
	v_cmp_gt_i32_e32 vcc, s33, v2
	s_load_dwordx4 s[8:11], s[0:1], 0x8
	s_nop 0
	v_cndmask_b32_e32 v2, v11, v3, vcc
	v_ashrrev_i32_e32 v3, 31, v2
	v_lshl_add_u64 v[6:7], v[2:3], 2, s[6:7]
	v_or_b32_e32 v2, 32, v1
	v_add_u32_e32 v3, v2, v10
	v_ashrrev_i32_e32 v3, 4, v3
	v_cmp_gt_i32_e32 vcc, s33, v2
	v_or_b32_e32 v1, 48, v1
	s_nop 0
	v_cndmask_b32_e32 v2, v11, v3, vcc
	v_ashrrev_i32_e32 v3, 31, v2
	v_lshl_add_u64 v[8:9], v[2:3], 2, s[6:7]
	v_add_u32_e32 v2, v1, v10
	v_ashrrev_i32_e32 v2, 4, v2
	v_cmp_gt_i32_e32 vcc, s33, v1
	s_nop 1
	v_cndmask_b32_e32 v2, v11, v2, vcc
	v_ashrrev_i32_e32 v3, 31, v2
	v_lshl_add_u64 v[10:11], v[2:3], 2, s[6:7]
	global_load_dword v3, v[4:5], off
	global_load_dword v2, v[6:7], off
	;; [unrolled: 1-line block ×4, first 2 shown]
	s_andn2_b64 vcc, exec, s[14:15]
	s_cbranch_vccnz .LBB998_8
; %bb.6:
	s_add_u32 s12, s12, s16
	s_addc_u32 s13, s13, s17
	s_load_dword s14, s[12:13], 0x0
	s_branch .LBB998_9
.LBB998_7:
	s_mov_b64 s[8:9], 0
	s_branch .LBB998_2
.LBB998_8:
	s_mov_b32 s14, s2
.LBB998_9:
	s_load_dwordx4 s[44:47], s[0:1], 0x48
	v_lshrrev_b32_e32 v61, 6, v0
	v_bfe_u32 v64, v0, 4, 2
	v_and_b32_e32 v60, 15, v0
	v_lshl_or_b32 v4, v61, 2, v64
	v_lshlrev_b32_e32 v1, 3, v60
	v_and_b32_e32 v65, 63, v0
	s_mul_i32 s48, s4, 11
	v_cmp_gt_u32_e32 vcc, 11, v4
	v_lshlrev_b32_e32 v58, 1, v1
	v_lshlrev_b32_e32 v1, 4, v0
	s_and_saveexec_b64 s[12:13], vcc
	s_cbranch_execz .LBB998_11
; %bb.10:
	s_load_dwordx2 s[16:17], s[0:1], 0x0
	s_waitcnt lgkmcnt(0)
	s_ashr_i32 s15, s44, 31
	s_mul_hi_u32 s19, s14, s44
	s_mul_i32 s15, s14, s15
	s_add_i32 s15, s19, s15
	s_mul_i32 s14, s14, s44
	s_lshl_b64 s[14:15], s[14:15], 1
	s_add_u32 s14, s16, s14
	v_add_lshl_u32 v6, v4, s48, 7
	s_addc_u32 s15, s17, s15
	v_ashrrev_i32_e32 v7, 31, v6
	v_lshl_add_u64 v[6:7], v[6:7], 1, s[14:15]
	v_mov_b32_e32 v59, 0
	v_lshl_add_u64 v[6:7], v[6:7], 0, v[58:59]
	global_load_dwordx4 v[6:9], v[6:7], off
	v_lshlrev_b32_e32 v10, 8, v0
	v_lshlrev_b32_e32 v5, 8, v60
	v_and_b32_e32 v10, 0x600, v10
	s_movk_i32 s14, 0x800
	v_and_or_b32 v5, v5, s14, v10
	v_lshlrev_b32_e32 v4, 5, v4
	v_and_b32_e32 v10, 16, v1
	v_or3_b32 v4, v5, v4, v10
	s_waitcnt vmcnt(0)
	ds_write_b128 v4, v[6:9]
.LBB998_11:
	s_or_b64 exec, exec, s[12:13]
	s_waitcnt lgkmcnt(0)
	s_mul_i32 s4, s4, s46
	s_add_u32 s8, s8, s4
	s_addc_u32 s9, s9, 0
	v_and_b32_e32 v62, 0xf0, v1
	v_mov_b32_e32 v63, 0
	v_and_b32_e32 v6, 48, v0
	v_lshl_add_u64 v[30:31], s[8:9], 0, v[62:63]
	v_lshlrev_b32_e32 v62, 4, v6
	s_waitcnt vmcnt(3)
	v_mad_i64_i32 v[4:5], s[8:9], v3, s45, v[30:31]
	v_lshl_add_u64 v[4:5], v[4:5], 0, v[62:63]
	s_load_dword s25, s[0:1], 0x98
	s_load_dwordx4 s[40:43], s[0:1], 0x80
	s_waitcnt lgkmcnt(0)
	s_barrier
	global_load_dwordx4 v[22:25], v[4:5], off
	global_load_dwordx4 v[10:13], v[4:5], off offset:1024
	s_waitcnt vmcnt(4)
	v_mad_i64_i32 v[2:3], s[8:9], v2, s45, v[30:31]
	v_lshl_add_u64 v[32:33], v[2:3], 0, v[62:63]
	global_load_dwordx4 v[2:5], v[32:33], off
	v_add_u32_e32 v7, -11, v60
	v_cmp_gt_u32_e32 vcc, 11, v60
	v_or_b32_e32 v6, s18, v6
	v_mov_b32_e32 v38, s5
	v_cndmask_b32_e32 v7, v7, v60, vcc
	v_lshlrev_b32_e32 v7, 5, v7
	v_ashrrev_i32_e32 v8, 4, v6
	v_lshl_add_u32 v7, v64, 9, v7
	v_cmp_gt_i32_e32 vcc, s33, v6
	v_or_b32_e32 v39, 64, v6
	v_or_b32_e32 v43, 0x80, v6
	;; [unrolled: 1-line block ×3, first 2 shown]
	v_cndmask_b32_e32 v40, v38, v8, vcc
	ds_read_b128 v[26:29], v7
	ds_read_b128 v[18:21], v7 offset:16
	ds_read_b128 v[14:17], v7 offset:2048
	;; [unrolled: 1-line block ×3, first 2 shown]
	s_waitcnt vmcnt(4)
	v_mad_i64_i32 v[36:37], s[12:13], v34, s45, v[30:31]
	s_waitcnt vmcnt(3)
	v_mad_i64_i32 v[34:35], s[12:13], v35, s45, v[30:31]
	global_load_dwordx4 v[30:33], v[32:33], off offset:1024
	v_ashrrev_i32_e32 v42, 4, v39
	v_cmp_gt_i32_e32 vcc, s33, v39
	v_ashrrev_i32_e32 v44, 4, v43
	v_ashrrev_i32_e32 v46, 4, v45
	v_cndmask_b32_e32 v42, v38, v42, vcc
	v_cmp_gt_i32_e32 vcc, s33, v43
	v_ashrrev_i32_e32 v41, 31, v40
	v_lshl_add_u64 v[36:37], v[36:37], 0, v[62:63]
	v_cndmask_b32_e32 v44, v38, v44, vcc
	v_cmp_gt_i32_e32 vcc, s33, v45
	v_lshl_add_u64 v[34:35], v[34:35], 0, v[62:63]
	v_ashrrev_i32_e32 v43, 31, v42
	v_cndmask_b32_e32 v38, v38, v46, vcc
	v_ashrrev_i32_e32 v45, 31, v44
	v_ashrrev_i32_e32 v39, 31, v38
	v_lshl_add_u64 v[50:51], v[40:41], 2, s[6:7]
	v_lshl_add_u64 v[52:53], v[42:43], 2, s[6:7]
	;; [unrolled: 1-line block ×4, first 2 shown]
	global_load_dwordx4 v[46:49], v[36:37], off
	global_load_dwordx4 v[42:45], v[36:37], off offset:1024
	global_load_dwordx4 v[38:41], v[34:35], off
	s_nop 0
	global_load_dwordx4 v[34:37], v[34:35], off offset:1024
	s_nop 0
	global_load_dword v69, v[50:51], off
	global_load_dword v68, v[52:53], off
	;; [unrolled: 1-line block ×4, first 2 shown]
	s_add_u32 s4, s10, s4
	v_lshl_or_b32 v59, v61, 4, v60
	s_addc_u32 s5, s11, 0
	v_lshlrev_b32_e32 v62, 4, v59
	s_load_dword s8, s[0:1], 0x1c
	s_waitcnt vmcnt(11)
	v_cvt_pk_f32_fp8_e32 v[50:51], v22
	v_cvt_pk_f32_fp8_sdwa v[52:53], v22 src0_sel:WORD_1
	v_cvt_pk_f32_fp8_e32 v[54:55], v23
	v_cvt_pk_f32_fp8_sdwa v[56:57], v23 src0_sel:WORD_1
	;; [unrolled: 2-line block ×4, first 2 shown]
	s_waitcnt vmcnt(9)
	v_cvt_pk_f32_fp8_e32 v[22:23], v2
	v_cvt_pk_f32_fp8_sdwa v[24:25], v2 src0_sel:WORD_1
	v_cvt_pkrtz_f16_f32 v50, v50, v51
	v_cvt_pkrtz_f16_f32 v51, v52, v53
	v_cvt_pk_f32_fp8_e32 v[78:79], v10
	v_cvt_pk_f32_fp8_sdwa v[80:81], v10 src0_sel:WORD_1
	v_cvt_pk_f32_fp8_e32 v[52:53], v11
	v_cvt_pk_f32_fp8_sdwa v[82:83], v11 src0_sel:WORD_1
	v_cvt_pkrtz_f16_f32 v10, v22, v23
	v_cvt_pkrtz_f16_f32 v11, v24, v25
	;; [unrolled: 1-line block ×4, first 2 shown]
	s_waitcnt lgkmcnt(0)
	v_mfma_f32_16x16x16_f16 v[22:25], v[50:51], v[26:27], 0
	v_cvt_pk_f32_fp8_e32 v[50:51], v12
	v_cvt_pk_f32_fp8_sdwa v[86:87], v12 src0_sel:WORD_1
	v_cvt_pkrtz_f16_f32 v50, v50, v51
	v_mfma_f32_16x16x16_f16 v[54:57], v[10:11], v[26:27], 0
	v_cvt_pkrtz_f16_f32 v10, v70, v71
	v_cvt_pkrtz_f16_f32 v11, v72, v73
	;; [unrolled: 1-line block ×3, first 2 shown]
	v_mfma_f32_16x16x16_f16 v[22:25], v[84:85], v[28:29], v[22:25]
	v_cvt_pkrtz_f16_f32 v73, v76, v77
	v_cvt_pkrtz_f16_f32 v76, v78, v79
	v_cvt_pkrtz_f16_f32 v77, v80, v81
	v_mfma_f32_16x16x16_f16 v[22:25], v[10:11], v[18:19], v[22:25]
	v_cvt_pk_f32_fp8_e32 v[70:71], v13
	v_cvt_pk_f32_fp8_sdwa v[74:75], v13 src0_sel:WORD_1
	v_cvt_pkrtz_f16_f32 v51, v86, v87
	v_mfma_f32_16x16x16_f16 v[10:13], v[72:73], v[20:21], v[22:25]
	s_waitcnt vmcnt(7)
	v_cvt_pk_f32_fp8_e32 v[72:73], v49
	s_nop 0
	v_cvt_pkrtz_f16_f32 v24, v52, v53
	v_cvt_pkrtz_f16_f32 v25, v82, v83
	v_mfma_f32_16x16x16_f16 v[10:13], v[76:77], v[14:15], v[10:13]
	v_cvt_pk_f32_fp8_e32 v[22:23], v3
	v_cvt_pk_f32_fp8_sdwa v[2:3], v3 src0_sel:WORD_1
	v_cvt_pkrtz_f16_f32 v52, v70, v71
	v_mfma_f32_16x16x16_f16 v[10:13], v[24:25], v[16:17], v[10:13]
	v_cvt_pkrtz_f16_f32 v53, v74, v75
	v_cvt_pk_f32_fp8_e32 v[24:25], v4
	v_cvt_pk_f32_fp8_sdwa v[70:71], v4 src0_sel:WORD_1
	v_mfma_f32_16x16x16_f16 v[10:13], v[50:51], v[6:7], v[10:13]
	v_cvt_pkrtz_f16_f32 v22, v22, v23
	v_cvt_pkrtz_f16_f32 v23, v2, v3
	s_waitcnt vmcnt(6)
	v_cvt_pk_f32_fp8_sdwa v[76:77], v44 src0_sel:WORD_1
	v_mfma_f32_16x16x16_f16 v[50:53], v[52:53], v[8:9], v[10:13]
	s_nop 2
	v_cvt_pkrtz_f16_f32 v10, v24, v25
	v_cvt_pkrtz_f16_f32 v11, v70, v71
	v_cvt_pk_f32_fp8_e32 v[12:13], v5
	v_cvt_pk_f32_fp8_sdwa v[24:25], v5 src0_sel:WORD_1
	v_mfma_f32_16x16x16_f16 v[2:5], v[22:23], v[28:29], v[54:57]
	v_cvt_pk_f32_fp8_sdwa v[22:23], v30 src0_sel:WORD_1
	v_cvt_pkrtz_f16_f32 v12, v12, v13
	v_cvt_pkrtz_f16_f32 v13, v24, v25
	v_mfma_f32_16x16x16_f16 v[2:5], v[10:11], v[18:19], v[2:5]
	v_cvt_pk_f32_fp8_e32 v[10:11], v30
	v_cvt_pk_f32_fp8_e32 v[24:25], v32
	v_lshl_add_u64 v[70:71], s[4:5], 0, v[62:63]
	v_mfma_f32_16x16x16_f16 v[2:5], v[12:13], v[20:21], v[2:5]
	v_cvt_pk_f32_fp8_e32 v[12:13], v31
	v_cvt_pkrtz_f16_f32 v10, v10, v11
	v_cvt_pkrtz_f16_f32 v11, v22, v23
	v_cvt_pk_f32_fp8_sdwa v[22:23], v31 src0_sel:WORD_1
	v_cvt_pkrtz_f16_f32 v12, v12, v13
	v_cvt_pk_f32_fp8_sdwa v[30:31], v32 src0_sel:WORD_1
	v_mfma_f32_16x16x16_f16 v[2:5], v[10:11], v[14:15], v[2:5]
	v_cvt_pkrtz_f16_f32 v13, v22, v23
	v_cvt_pkrtz_f16_f32 v10, v24, v25
	;; [unrolled: 1-line block ×3, first 2 shown]
	v_cvt_pk_f32_fp8_e32 v[22:23], v33
	v_cvt_pk_f32_fp8_sdwa v[24:25], v33 src0_sel:WORD_1
	v_mfma_f32_16x16x16_f16 v[2:5], v[12:13], v[16:17], v[2:5]
	v_or_b32_e32 v62, 0x400, v62
	v_cvt_pkrtz_f16_f32 v12, v22, v23
	v_cvt_pkrtz_f16_f32 v13, v24, v25
	v_mfma_f32_16x16x16_f16 v[2:5], v[10:11], v[6:7], v[2:5]
	v_cvt_pk_f32_fp8_e32 v[10:11], v46
	v_cvt_pk_f32_fp8_sdwa v[22:23], v46 src0_sel:WORD_1
	v_cvt_pk_f32_fp8_sdwa v[24:25], v48 src0_sel:WORD_1
	v_mfma_f32_16x16x16_f16 v[54:57], v[12:13], v[8:9], v[2:5]
	s_waitcnt vmcnt(3)
	v_mad_i64_i32 v[12:13], s[6:7], v69, s45, v[70:71]
	s_nop 0
	v_cvt_pkrtz_f16_f32 v2, v10, v11
	v_cvt_pkrtz_f16_f32 v3, v22, v23
	v_cvt_pk_f32_fp8_e32 v[4:5], v47
	v_cvt_pk_f32_fp8_sdwa v[10:11], v47 src0_sel:WORD_1
	s_waitcnt vmcnt(2)
	v_mad_i64_i32 v[46:47], s[6:7], v68, s45, v[70:71]
	v_cvt_pkrtz_f16_f32 v22, v4, v5
	v_cvt_pkrtz_f16_f32 v23, v10, v11
	v_cvt_pk_f32_fp8_e32 v[10:11], v48
	v_mfma_f32_16x16x16_f16 v[2:5], v[2:3], v[26:27], 0
	v_cvt_pk_f32_fp8_sdwa v[48:49], v49 src0_sel:WORD_1
	v_cvt_pkrtz_f16_f32 v10, v10, v11
	v_cvt_pkrtz_f16_f32 v11, v24, v25
	v_mfma_f32_16x16x16_f16 v[2:5], v[22:23], v[28:29], v[2:5]
	global_load_dwordx4 v[30:33], v[12:13], off
	global_load_dwordx4 v[22:25], v[46:47], off
	v_cvt_pkrtz_f16_f32 v12, v72, v73
	v_cvt_pkrtz_f16_f32 v13, v48, v49
	v_mfma_f32_16x16x16_f16 v[2:5], v[10:11], v[18:19], v[2:5]
	v_cvt_pk_f32_fp8_e32 v[10:11], v42
	v_cvt_pk_f32_fp8_sdwa v[46:47], v42 src0_sel:WORD_1
	s_waitcnt vmcnt(3)
	v_mad_i64_i32 v[72:73], s[6:7], v67, s45, v[70:71]
	v_mfma_f32_16x16x16_f16 v[2:5], v[12:13], v[20:21], v[2:5]
	v_cvt_pkrtz_f16_f32 v10, v10, v11
	v_cvt_pkrtz_f16_f32 v11, v46, v47
	v_cvt_pk_f32_fp8_e32 v[12:13], v43
	v_cvt_pk_f32_fp8_sdwa v[42:43], v43 src0_sel:WORD_1
	v_mfma_f32_16x16x16_f16 v[46:49], v[10:11], v[14:15], v[2:5]
	v_cvt_pkrtz_f16_f32 v74, v12, v13
	v_cvt_pkrtz_f16_f32 v75, v42, v43
	v_cvt_pk_f32_fp8_e32 v[42:43], v44
	s_waitcnt vmcnt(2)
	v_mad_i64_i32 v[70:71], s[6:7], v66, s45, v[70:71]
	global_load_dwordx4 v[10:13], v[72:73], off
	global_load_dwordx4 v[2:5], v[70:71], off
	v_cvt_pkrtz_f16_f32 v70, v42, v43
	v_cvt_pkrtz_f16_f32 v71, v76, v77
	v_cvt_pk_f32_fp8_e32 v[72:73], v45
	v_cvt_pk_f32_fp8_sdwa v[76:77], v45 src0_sel:WORD_1
	v_mfma_f32_16x16x16_f16 v[44:47], v[74:75], v[16:17], v[46:49]
	v_lshl_add_u64 v[42:43], s[4:5], 0, v[62:63]
	v_cvt_pk_f32_fp8_e32 v[62:63], v38
	v_cvt_pk_f32_fp8_sdwa v[74:75], v38 src0_sel:WORD_1
	v_cvt_pkrtz_f16_f32 v48, v72, v73
	v_cvt_pkrtz_f16_f32 v49, v76, v77
	v_mfma_f32_16x16x16_f16 v[44:47], v[70:71], v[6:7], v[44:47]
	s_load_dword s4, s[40:41], 0x0
	s_mov_b32 s40, 0xff7fffff
	v_mfma_f32_16x16x16_f16 v[70:73], v[48:49], v[8:9], v[44:47]
	s_nop 3
	v_cvt_pk_f32_fp8_e32 v[44:45], v39
	v_cvt_pkrtz_f16_f32 v46, v62, v63
	v_cvt_pkrtz_f16_f32 v47, v74, v75
	v_cvt_pk_f32_fp8_sdwa v[38:39], v39 src0_sel:WORD_1
	v_cvt_pkrtz_f16_f32 v48, v44, v45
	v_cvt_pk_f32_fp8_e32 v[62:63], v40
	v_cvt_pk_f32_fp8_sdwa v[74:75], v40 src0_sel:WORD_1
	v_cvt_pkrtz_f16_f32 v49, v38, v39
	v_mfma_f32_16x16x16_f16 v[44:47], v[46:47], v[26:27], 0
	v_cvt_pkrtz_f16_f32 v38, v62, v63
	v_cvt_pkrtz_f16_f32 v39, v74, v75
	v_cvt_pk_f32_fp8_e32 v[62:63], v41
	v_cvt_pk_f32_fp8_sdwa v[74:75], v41 src0_sel:WORD_1
	v_mov_b32_e32 v26, s8
	s_waitcnt lgkmcnt(0)
	v_mul_f32_e32 v76, s4, v26
	v_mfma_f32_16x16x16_f16 v[26:29], v[48:49], v[28:29], v[44:47]
	v_cvt_pk_f32_fp8_sdwa v[48:49], v37 src0_sel:WORD_1
	v_pk_mul_f32 v[40:41], v[76:77], v[52:53] op_sel_hi:[0,1]
	v_pk_mul_f32 v[52:53], v[76:77], v[54:55] op_sel_hi:[0,1]
	v_cvt_pkrtz_f16_f32 v46, v62, v63
	v_cvt_pkrtz_f16_f32 v47, v74, v75
	v_mfma_f32_16x16x16_f16 v[26:29], v[38:39], v[18:19], v[26:29]
	v_cvt_pk_f32_fp8_e32 v[18:19], v34
	v_cvt_pk_f32_fp8_sdwa v[38:39], v34 src0_sel:WORD_1
	v_pk_mul_f32 v[44:45], v[76:77], v[50:51] op_sel_hi:[0,1]
	v_mfma_f32_16x16x16_f16 v[26:29], v[46:47], v[20:21], v[26:29]
	v_cvt_pkrtz_f16_f32 v20, v18, v19
	v_cvt_pkrtz_f16_f32 v21, v38, v39
	v_cvt_pk_f32_fp8_e32 v[38:39], v35
	v_cvt_pk_f32_fp8_sdwa v[34:35], v35 src0_sel:WORD_1
	v_mfma_f32_16x16x16_f16 v[26:29], v[20:21], v[14:15], v[26:29]
	v_cvt_pkrtz_f16_f32 v38, v38, v39
	v_cvt_pkrtz_f16_f32 v39, v34, v35
	v_cvt_pk_f32_fp8_e32 v[14:15], v36
	v_cvt_pk_f32_fp8_sdwa v[20:21], v36 src0_sel:WORD_1
	v_pk_mul_f32 v[50:51], v[76:77], v[70:71] op_sel_hi:[0,1]
	v_mad_i64_i32 v[18:19], s[4:5], v69, s45, v[42:43]
	v_cvt_pkrtz_f16_f32 v46, v14, v15
	v_cvt_pkrtz_f16_f32 v47, v20, v21
	v_cvt_pk_f32_fp8_e32 v[20:21], v37
	v_mfma_f32_16x16x16_f16 v[14:17], v[38:39], v[16:17], v[26:29]
	v_pk_mul_f32 v[36:37], v[76:77], v[56:57] op_sel_hi:[0,1]
	v_mad_i64_i32 v[34:35], s[4:5], v68, s45, v[42:43]
	v_cvt_pkrtz_f16_f32 v20, v20, v21
	v_cvt_pkrtz_f16_f32 v21, v48, v49
	v_mfma_f32_16x16x16_f16 v[14:17], v[46:47], v[6:7], v[14:17]
	v_pk_mul_f32 v[46:47], v[76:77], v[72:73] op_sel_hi:[0,1]
	v_mfma_f32_16x16x16_f16 v[6:9], v[20:21], v[8:9], v[14:17]
	global_load_dwordx4 v[26:29], v[18:19], off
	s_nop 0
	global_load_dwordx4 v[18:21], v[34:35], off
	s_nop 3
	v_pk_mul_f32 v[48:49], v[76:77], v[6:7] op_sel_hi:[0,1]
	v_and_b32_e32 v6, 0xc0, v0
	v_add_u32_e32 v6, s18, v6
	v_lshl_or_b32 v6, v64, 2, v6
	v_pk_mul_f32 v[38:39], v[76:77], v[8:9] op_sel_hi:[0,1]
	v_or_b32_e32 v9, 1, v6
	v_mov_b32_e32 v7, 0xff7fffff
	v_cmp_gt_i32_e64 s[26:27], s33, v6
	v_cmp_gt_i32_e64 s[28:29], s33, v9
	v_or_b32_e32 v14, 3, v6
	v_cndmask_b32_e64 v8, v7, v44, s[26:27]
	v_cndmask_b32_e64 v9, v7, v45, s[28:29]
	v_max3_f32 v8, v8, s40, v9
	v_or_b32_e32 v9, 2, v6
	v_cmp_gt_i32_e64 s[30:31], s33, v9
	v_cmp_gt_i32_e64 s[34:35], s33, v14
	s_nop 0
	v_cndmask_b32_e64 v9, v7, v40, s[30:31]
	v_cndmask_b32_e64 v14, v7, v41, s[34:35]
	v_max3_f32 v8, v8, v9, v14
	v_or_b32_e32 v9, 16, v6
	v_or_b32_e32 v14, 17, v6
	v_cmp_gt_i32_e64 s[18:19], s33, v9
	v_cmp_gt_i32_e64 s[20:21], s33, v14
	s_nop 0
	v_cndmask_b32_e64 v9, v7, v52, s[18:19]
	v_cndmask_b32_e64 v14, v7, v53, s[20:21]
	v_max3_f32 v8, v8, v9, v14
	v_or_b32_e32 v9, 18, v6
	;; [unrolled: 8-line block ×5, first 2 shown]
	v_or_b32_e32 v14, 49, v6
	v_cmp_gt_i32_e32 vcc, s33, v9
	v_cmp_gt_i32_e64 s[4:5], s33, v14
	s_nop 0
	v_cndmask_b32_e32 v9, v7, v48, vcc
	v_cndmask_b32_e64 v14, v7, v49, s[4:5]
	v_max3_f32 v8, v8, v9, v14
	v_or_b32_e32 v9, 50, v6
	v_or_b32_e32 v6, 51, v6
	v_cmp_gt_i32_e64 s[6:7], s33, v9
	v_cmp_gt_i32_e64 s[8:9], s33, v6
	s_nop 0
	v_cndmask_b32_e64 v9, v7, v38, s[6:7]
	v_cndmask_b32_e64 v6, v7, v39, s[8:9]
	v_max3_f32 v8, v8, v9, v6
	v_mbcnt_lo_u32_b32 v6, -1, 0
	v_mbcnt_hi_u32_b32 v9, -1, v6
	v_and_b32_e32 v6, 64, v9
	v_add_u32_e32 v14, 64, v6
	v_xor_b32_e32 v6, 32, v9
	v_cmp_lt_i32_e64 s[38:39], v6, v14
	s_nop 1
	v_cndmask_b32_e64 v6, v9, v6, s[38:39]
	v_lshlrev_b32_e32 v55, 2, v6
	ds_bpermute_b32 v15, v55, v8
	v_mad_i64_i32 v[6:7], s[38:39], v67, s45, v[42:43]
	s_waitcnt lgkmcnt(0)
	v_max_f32_e32 v15, v15, v15
	v_max_f32_e32 v34, v8, v15
	v_xor_b32_e32 v8, 16, v9
	v_cmp_lt_i32_e64 s[38:39], v8, v14
	s_nop 1
	v_cndmask_b32_e64 v8, v9, v8, s[38:39]
	v_lshlrev_b32_e32 v56, 2, v8
	v_mad_i64_i32 v[8:9], s[38:39], v66, s45, v[42:43]
	global_load_dwordx4 v[14:17], v[6:7], off
	s_nop 0
	global_load_dwordx4 v[6:9], v[8:9], off
	ds_bpermute_b32 v35, v56, v34
	s_waitcnt lgkmcnt(0)
	s_barrier
	v_max_f32_e32 v35, v35, v35
	v_max_f32_e32 v54, v34, v35
	v_sub_f32_e32 v42, v52, v54
	v_mul_f32_e32 v42, 0x3fb8aa3b, v42
	v_exp_f32_e32 v42, v42
	v_sub_f32_e32 v36, v36, v54
	v_sub_f32_e32 v34, v44, v54
	v_mul_f32_e32 v36, 0x3fb8aa3b, v36
	v_mul_f32_e32 v34, 0x3fb8aa3b, v34
	v_sub_f32_e32 v35, v45, v54
	v_sub_f32_e32 v43, v53, v54
	v_exp_f32_e32 v44, v36
	v_sub_f32_e32 v36, v37, v54
	v_sub_f32_e32 v48, v48, v54
	;; [unrolled: 1-line block ×3, first 2 shown]
	v_exp_f32_e32 v34, v34
	v_mul_f32_e32 v35, 0x3fb8aa3b, v35
	v_sub_f32_e32 v40, v40, v54
	v_mul_f32_e32 v43, 0x3fb8aa3b, v43
	v_mul_f32_e32 v36, 0x3fb8aa3b, v36
	v_mul_f32_e32 v48, 0x3fb8aa3b, v48
	v_mul_f32_e32 v38, 0x3fb8aa3b, v38
	v_exp_f32_e32 v35, v35
	v_mul_f32_e32 v40, 0x3fb8aa3b, v40
	v_sub_f32_e32 v41, v41, v54
	v_exp_f32_e32 v43, v43
	v_exp_f32_e32 v45, v36
	v_cndmask_b32_e64 v36, 0, v42, s[18:19]
	v_sub_f32_e32 v42, v50, v54
	v_exp_f32_e32 v48, v48
	v_exp_f32_e32 v50, v38
	;; [unrolled: 1-line block ×3, first 2 shown]
	v_mul_f32_e32 v41, 0x3fb8aa3b, v41
	v_exp_f32_e32 v41, v41
	v_sub_f32_e32 v38, v39, v54
	v_cndmask_b32_e64 v34, 0, v34, s[26:27]
	v_mul_f32_e32 v38, 0x3fb8aa3b, v38
	v_cndmask_b32_e64 v35, 0, v35, s[28:29]
	v_cndmask_b32_e64 v37, 0, v43, s[20:21]
	v_sub_f32_e32 v43, v51, v54
	v_exp_f32_e32 v51, v38
	v_cndmask_b32_e32 v38, 0, v48, vcc
	v_cndmask_b32_e64 v48, 0, v50, s[6:7]
	v_add_f32_e32 v50, 0, v34
	v_cndmask_b32_e64 v40, 0, v40, s[30:31]
	v_add_f32_e32 v50, v50, v35
	v_cndmask_b32_e64 v41, 0, v41, s[34:35]
	v_mul_f32_e32 v42, 0x3fb8aa3b, v42
	v_add_f32_e32 v50, v50, v40
	v_exp_f32_e32 v42, v42
	v_mul_f32_e32 v43, 0x3fb8aa3b, v43
	v_sub_f32_e32 v46, v46, v54
	v_add_f32_e32 v50, v50, v41
	v_exp_f32_e32 v43, v43
	v_mul_f32_e32 v46, 0x3fb8aa3b, v46
	v_sub_f32_e32 v47, v47, v54
	v_add_f32_e32 v50, v50, v36
	v_cndmask_b32_e64 v44, 0, v44, s[22:23]
	v_exp_f32_e32 v46, v46
	v_mul_f32_e32 v47, 0x3fb8aa3b, v47
	v_add_f32_e32 v50, v50, v37
	v_cndmask_b32_e64 v45, 0, v45, s[36:37]
	v_exp_f32_e32 v47, v47
	v_sub_f32_e32 v49, v49, v54
	v_add_f32_e32 v50, v50, v44
	v_cndmask_b32_e64 v42, 0, v42, s[10:11]
	v_mul_f32_e32 v49, 0x3fb8aa3b, v49
	v_add_f32_e32 v50, v50, v45
	v_cndmask_b32_e64 v43, 0, v43, s[12:13]
	v_exp_f32_e32 v49, v49
	v_add_f32_e32 v50, v50, v42
	v_cndmask_b32_e64 v46, 0, v46, s[14:15]
	v_add_f32_e32 v50, v50, v43
	v_cndmask_b32_e64 v47, 0, v47, s[16:17]
	v_add_f32_e32 v50, v50, v46
	v_add_f32_e32 v50, v50, v47
	v_cndmask_b32_e64 v39, 0, v49, s[4:5]
	v_add_f32_e32 v50, v50, v38
	;; [unrolled: 3-line block ×3, first 2 shown]
	v_add_f32_e32 v50, v50, v49
	ds_bpermute_b32 v51, v55, v50
	v_cmp_gt_u32_e32 vcc, 16, v65
	s_waitcnt lgkmcnt(0)
	v_add_f32_e32 v50, v50, v51
	ds_bpermute_b32 v51, v56, v50
	s_and_saveexec_b64 s[4:5], vcc
	s_cbranch_execz .LBB998_13
; %bb.12:
	s_waitcnt lgkmcnt(0)
	v_add_f32_e32 v50, v50, v51
	v_lshlrev_b32_e32 v51, 2, v59
	ds_write2st64_b32 v51, v54, v50 offset1:1
.LBB998_13:
	s_or_b64 exec, exec, s[4:5]
	s_waitcnt lgkmcnt(0)
	v_lshlrev_b32_e32 v51, 2, v60
	s_load_dword s6, s[0:1], 0x94
	s_waitcnt lgkmcnt(0)
	s_barrier
	ds_read2_b32 v[52:53], v51 offset1:16
	ds_read2_b32 v[54:55], v51 offset0:32 offset1:48
	ds_read2_b32 v[56:57], v51 offset0:64 offset1:80
	s_mul_i32 s7, s25, 11
	s_waitcnt lgkmcnt(2)
	v_max3_f32 v50, v52, s40, v53
	s_waitcnt lgkmcnt(1)
	v_max3_f32 v50, v50, v54, v55
	v_sub_f32_e32 v52, v52, v50
	v_mul_f32_e32 v52, 0x3fb8aa3b, v52
	v_exp_f32_e32 v59, v52
	v_sub_f32_e32 v52, v53, v50
	v_mul_f32_e32 v52, 0x3fb8aa3b, v52
	v_exp_f32_e32 v62, v52
	;; [unrolled: 3-line block ×3, first 2 shown]
	ds_read2_b32 v[52:53], v51 offset0:96 offset1:112
	v_sub_f32_e32 v51, v55, v50
	v_mul_f32_e32 v51, 0x3fb8aa3b, v51
	v_exp_f32_e32 v55, v51
	s_waitcnt lgkmcnt(1)
	v_fma_f32 v51, v59, v56, 0
	v_fmac_f32_e32 v51, v62, v57
	s_waitcnt lgkmcnt(0)
	v_fmac_f32_e32 v51, v54, v52
	v_fmac_f32_e32 v51, v55, v53
	v_add_f32_e32 v52, 0x358637bd, v51
	v_div_scale_f32 v53, s[4:5], v52, v52, 1.0
	v_rcp_f32_e32 v56, v53
	s_barrier
	v_fma_f32 v57, -v53, v56, 1.0
	v_fmac_f32_e32 v56, v57, v56
	v_div_scale_f32 v57, vcc, 1.0, v52, 1.0
	v_mul_f32_e32 v63, v57, v56
	v_fma_f32 v65, -v53, v63, v57
	v_fmac_f32_e32 v63, v65, v56
	v_fma_f32 v53, -v53, v63, v57
	v_div_fmas_f32 v53, v53, v56, v63
	v_cmp_eq_u32_e32 vcc, 1, v61
	v_div_fixup_f32 v52, v53, v52, 1.0
	s_nop 0
	v_cndmask_b32_e32 v53, v59, v62, vcc
	v_cmp_eq_u32_e32 vcc, 2, v61
	s_nop 1
	v_cndmask_b32_e32 v53, v53, v54, vcc
	v_cmp_eq_u32_e32 vcc, 3, v61
	s_nop 1
	v_cndmask_b32_e32 v53, v53, v55, vcc
	v_mul_f32_e32 v52, v53, v52
	v_pk_mul_f32 v[40:41], v[52:53], v[40:41] op_sel_hi:[0,1]
	v_pk_mul_f32 v[34:35], v[52:53], v[34:35] op_sel_hi:[0,1]
	v_cvt_f16_f32_e32 v53, v40
	v_cvt_f16_f32_e32 v34, v34
	;; [unrolled: 1-line block ×4, first 2 shown]
	v_pk_mul_f32 v[44:45], v[52:53], v[44:45] op_sel_hi:[0,1]
	v_pk_mul_f32 v[36:37], v[52:53], v[36:37] op_sel_hi:[0,1]
	v_cvt_f16_f32_e32 v36, v36
	v_cvt_f16_f32_e32 v37, v37
	;; [unrolled: 1-line block ×4, first 2 shown]
	v_pack_b32_f16 v40, v34, v35
	v_pack_b32_f16 v41, v53, v41
	v_lshlrev_b32_e32 v35, 3, v64
	v_lshlrev_b32_e32 v34, 5, v60
	;; [unrolled: 1-line block ×3, first 2 shown]
	v_or3_b32 v54, v53, v34, v35
	v_pack_b32_f16 v36, v36, v37
	v_pack_b32_f16 v37, v44, v45
	ds_write2st64_b64 v54, v[40:41], v[36:37] offset1:1
	v_pk_mul_f32 v[36:37], v[52:53], v[46:47] op_sel_hi:[0,1]
	v_pk_mul_f32 v[40:41], v[52:53], v[42:43] op_sel_hi:[0,1]
	v_cvt_f16_f32_e32 v35, v40
	v_cvt_f16_f32_e32 v40, v41
	v_cvt_f16_f32_e32 v41, v36
	v_cvt_f16_f32_e32 v42, v37
	v_pk_mul_f32 v[36:37], v[52:53], v[48:49] op_sel_hi:[0,1]
	v_pk_mul_f32 v[38:39], v[52:53], v[38:39] op_sel_hi:[0,1]
	v_cvt_f16_f32_e32 v38, v38
	v_cvt_f16_f32_e32 v39, v39
	;; [unrolled: 1-line block ×4, first 2 shown]
	v_pack_b32_f16 v36, v35, v40
	v_pack_b32_f16 v37, v41, v42
	;; [unrolled: 1-line block ×4, first 2 shown]
	v_cmp_gt_u32_e32 vcc, 11, v0
	ds_write2st64_b64 v54, v[36:37], v[38:39] offset0:2 offset1:3
	s_and_saveexec_b64 s[4:5], vcc
	s_cbranch_execz .LBB998_15
; %bb.14:
	s_mov_b32 s49, 0
	v_mov_b32_e32 v61, 0
	v_lshl_add_u64 v[36:37], s[48:49], 0, v[60:61]
	v_mov_b32_e32 v35, s7
	v_mad_u64_u32 v[36:37], s[12:13], s2, v35, v[36:37]
	s_mul_i32 s3, s3, s7
	v_mov_b32_e32 v38, s24
	v_mov_b32_e32 v39, v61
	s_load_dwordx4 s[8:11], s[0:1], 0x58
	v_add_u32_e32 v35, s3, v37
	v_mad_u64_u32 v[36:37], s[12:13], v36, s6, v[38:39]
	v_mov_b32_e32 v38, v37
	v_mad_u64_u32 v[38:39], s[12:13], v35, s6, v[38:39]
	v_mov_b32_e32 v37, v38
	v_lshlrev_b64 v[36:37], 2, v[36:37]
	s_waitcnt lgkmcnt(0)
	v_lshl_add_u64 v[38:39], s[10:11], 0, v[36:37]
	v_lshl_add_u64 v[36:37], s[8:9], 0, v[36:37]
	global_store_dword v[38:39], v50, off
	global_store_dword v[36:37], v51, off
.LBB998_15:
	s_or_b64 exec, exec, s[4:5]
	s_waitcnt vmcnt(7)
	v_cvt_pk_f32_fp8_e32 v[36:37], v30
	v_lshl_or_b32 v50, v64, 9, v34
	v_cvt_pk_f32_fp8_sdwa v[34:35], v30 src0_sel:WORD_1
	s_waitcnt lgkmcnt(0)
	s_barrier
	v_cvt_pk_f32_fp8_e32 v[38:39], v31
	v_cvt_pkrtz_f16_f32 v30, v36, v37
	v_cvt_pk_f32_fp8_sdwa v[40:41], v31 src0_sel:WORD_1
	v_cvt_pkrtz_f16_f32 v31, v34, v35
	ds_read_b128 v[34:37], v50
	v_cvt_pkrtz_f16_f32 v46, v38, v39
	v_cvt_pkrtz_f16_f32 v47, v40, v41
	ds_read_b128 v[38:41], v50 offset:16
	v_cvt_pk_f32_fp8_e32 v[48:49], v32
	v_cvt_pk_f32_fp8_sdwa v[52:53], v32 src0_sel:WORD_1
	s_waitcnt lgkmcnt(1)
	v_mfma_f32_16x16x16_f16 v[42:45], v[30:31], v[34:35], 0
	s_waitcnt vmcnt(6)
	v_cvt_pk_f32_fp8_e32 v[56:57], v24
	v_cvt_pkrtz_f16_f32 v30, v48, v49
	v_cvt_pkrtz_f16_f32 v31, v52, v53
	v_cvt_pk_f32_fp8_e32 v[48:49], v33
	v_mfma_f32_16x16x16_f16 v[42:45], v[46:47], v[36:37], v[42:45]
	v_cvt_pk_f32_fp8_sdwa v[46:47], v33 src0_sel:WORD_1
	v_cvt_pk_f32_fp8_sdwa v[62:63], v24 src0_sel:WORD_1
	v_cvt_pkrtz_f16_f32 v48, v48, v49
	s_waitcnt lgkmcnt(0)
	v_mfma_f32_16x16x16_f16 v[30:33], v[30:31], v[38:39], v[42:45]
	v_cvt_pkrtz_f16_f32 v49, v46, v47
	s_waitcnt vmcnt(4)
	v_cvt_pk_f32_fp8_sdwa v[70:71], v4 src0_sel:WORD_1
	s_waitcnt vmcnt(3)
	v_cvt_pk_f32_fp8_sdwa v[72:73], v28 src0_sel:WORD_1
	v_cvt_pk_f32_fp8_e32 v[42:43], v22
	v_mfma_f32_16x16x16_f16 v[46:49], v[48:49], v[40:41], v[30:33]
	s_load_dword s4, s[42:43], 0x0
	s_mov_b32 s3, 0
	s_nop 0
	v_cvt_pk_f32_fp8_sdwa v[30:31], v22 src0_sel:WORD_1
	v_cvt_pk_f32_fp8_e32 v[32:33], v23
	v_cvt_pkrtz_f16_f32 v22, v42, v43
	v_cvt_pk_f32_fp8_sdwa v[42:43], v23 src0_sel:WORD_1
	v_cvt_pkrtz_f16_f32 v23, v30, v31
	v_cvt_pkrtz_f16_f32 v52, v32, v33
	ds_read_b128 v[30:33], v50 offset:2048
	v_cvt_pkrtz_f16_f32 v53, v42, v43
	ds_read_b128 v[42:45], v50 offset:2064
	s_waitcnt lgkmcnt(0)
	v_mfma_f32_16x16x16_f16 v[46:49], v[22:23], v[30:31], v[46:49]
	v_cvt_pkrtz_f16_f32 v22, v56, v57
	v_cvt_pkrtz_f16_f32 v23, v62, v63
	v_cvt_pk_f32_fp8_e32 v[56:57], v25
	v_mfma_f32_16x16x16_f16 v[46:49], v[52:53], v[32:33], v[46:49]
	v_cvt_pk_f32_fp8_sdwa v[52:53], v25 src0_sel:WORD_1
	v_cvt_pk_f32_fp8_sdwa v[62:63], v12 src0_sel:WORD_1
	v_cvt_pkrtz_f16_f32 v56, v56, v57
	v_mfma_f32_16x16x16_f16 v[22:25], v[22:23], v[42:43], v[46:49]
	v_cvt_pkrtz_f16_f32 v57, v52, v53
	v_cmp_gt_u32_e32 vcc, 64, v0
	s_nop 0
	v_cvt_pk_f32_fp8_e32 v[46:47], v10
	v_mfma_f32_16x16x16_f16 v[66:69], v[56:57], v[44:45], v[22:25]
	v_cvt_pk_f32_fp8_e32 v[56:57], v12
	s_nop 1
	v_cvt_pk_f32_fp8_sdwa v[22:23], v10 src0_sel:WORD_1
	v_cvt_pk_f32_fp8_e32 v[24:25], v11
	v_cvt_pkrtz_f16_f32 v10, v46, v47
	v_cvt_pk_f32_fp8_sdwa v[46:47], v11 src0_sel:WORD_1
	v_cvt_pkrtz_f16_f32 v11, v22, v23
	v_cvt_pkrtz_f16_f32 v52, v24, v25
	ds_read_b128 v[22:25], v50 offset:4096
	v_cvt_pkrtz_f16_f32 v53, v46, v47
	ds_read_b128 v[46:49], v50 offset:4112
	s_waitcnt lgkmcnt(1)
	v_mfma_f32_16x16x16_f16 v[66:69], v[10:11], v[22:23], v[66:69]
	v_cvt_pkrtz_f16_f32 v10, v56, v57
	v_cvt_pkrtz_f16_f32 v11, v62, v63
	v_cvt_pk_f32_fp8_e32 v[56:57], v13
	v_mfma_f32_16x16x16_f16 v[66:69], v[52:53], v[24:25], v[66:69]
	v_cvt_pk_f32_fp8_sdwa v[52:53], v13 src0_sel:WORD_1
	v_cvt_pk_f32_fp8_e32 v[62:63], v4
	v_cvt_pkrtz_f16_f32 v56, v56, v57
	s_waitcnt lgkmcnt(0)
	v_mfma_f32_16x16x16_f16 v[10:13], v[10:11], v[46:47], v[66:69]
	v_cvt_pkrtz_f16_f32 v57, v52, v53
	v_cvt_pk_f32_fp8_e32 v[52:53], v2
	s_nop 0
	v_mfma_f32_16x16x16_f16 v[66:69], v[56:57], v[48:49], v[10:13]
	s_nop 2
	v_cvt_pk_f32_fp8_sdwa v[10:11], v2 src0_sel:WORD_1
	v_cvt_pk_f32_fp8_e32 v[12:13], v3
	v_cvt_pkrtz_f16_f32 v2, v52, v53
	v_cvt_pk_f32_fp8_sdwa v[52:53], v3 src0_sel:WORD_1
	v_cvt_pkrtz_f16_f32 v3, v10, v11
	v_cvt_pkrtz_f16_f32 v56, v12, v13
	ds_read_b128 v[10:13], v50 offset:6144
	v_cvt_pkrtz_f16_f32 v57, v52, v53
	s_waitcnt lgkmcnt(0)
	v_mfma_f32_16x16x16_f16 v[66:69], v[2:3], v[10:11], v[66:69]
	ds_read_b128 v[50:53], v50 offset:6160
	v_cvt_pkrtz_f16_f32 v2, v62, v63
	v_cvt_pkrtz_f16_f32 v3, v70, v71
	v_cvt_pk_f32_fp8_e32 v[62:63], v5
	v_mfma_f32_16x16x16_f16 v[66:69], v[56:57], v[12:13], v[66:69]
	v_cvt_pk_f32_fp8_sdwa v[56:57], v5 src0_sel:WORD_1
	v_cvt_pk_f32_fp8_e32 v[70:71], v28
	v_cvt_pkrtz_f16_f32 v62, v62, v63
	s_waitcnt lgkmcnt(0)
	v_mfma_f32_16x16x16_f16 v[2:5], v[2:3], v[50:51], v[66:69]
	v_cvt_pkrtz_f16_f32 v63, v56, v57
	v_cvt_pk_f32_fp8_e32 v[56:57], v26
	s_nop 0
	v_cvt_pk_f32_fp8_sdwa v[66:67], v26 src0_sel:WORD_1
	v_mfma_f32_16x16x16_f16 v[2:5], v[62:63], v[52:53], v[2:5]
	v_cvt_pk_f32_fp8_e32 v[62:63], v27
	v_cvt_pkrtz_f16_f32 v56, v56, v57
	v_cvt_pkrtz_f16_f32 v57, v66, v67
	v_cvt_pk_f32_fp8_sdwa v[26:27], v27 src0_sel:WORD_1
	v_cvt_pkrtz_f16_f32 v62, v62, v63
	v_mfma_f32_16x16x16_f16 v[66:69], v[56:57], v[34:35], 0
	v_cvt_pkrtz_f16_f32 v63, v26, v27
	v_cvt_pkrtz_f16_f32 v26, v70, v71
	;; [unrolled: 1-line block ×3, first 2 shown]
	v_cvt_pk_f32_fp8_e32 v[56:57], v29
	v_mfma_f32_16x16x16_f16 v[34:37], v[62:63], v[36:37], v[66:69]
	v_cvt_pk_f32_fp8_sdwa v[62:63], v29 src0_sel:WORD_1
	v_cvt_pkrtz_f16_f32 v56, v56, v57
	s_barrier
	v_mfma_f32_16x16x16_f16 v[26:29], v[26:27], v[38:39], v[34:37]
	v_cvt_pkrtz_f16_f32 v57, v62, v63
	s_waitcnt vmcnt(2)
	v_cvt_pk_f32_fp8_e32 v[38:39], v19
	v_cvt_pk_f32_fp8_e32 v[34:35], v18
	v_cvt_pk_f32_fp8_sdwa v[36:37], v18 src0_sel:WORD_1
	v_cvt_pk_f32_fp8_sdwa v[18:19], v19 src0_sel:WORD_1
	v_mfma_f32_16x16x16_f16 v[26:29], v[56:57], v[40:41], v[26:29]
	v_cvt_pkrtz_f16_f32 v34, v34, v35
	v_cvt_pkrtz_f16_f32 v35, v36, v37
	;; [unrolled: 1-line block ×3, first 2 shown]
	v_cvt_pk_f32_fp8_e32 v[38:39], v20
	v_cvt_pk_f32_fp8_sdwa v[40:41], v20 src0_sel:WORD_1
	v_cvt_pkrtz_f16_f32 v37, v18, v19
	v_mfma_f32_16x16x16_f16 v[26:29], v[34:35], v[30:31], v[26:29]
	v_cvt_pkrtz_f16_f32 v30, v38, v39
	v_cvt_pkrtz_f16_f32 v31, v40, v41
	v_cvt_pk_f32_fp8_e32 v[34:35], v21
	v_cvt_pk_f32_fp8_sdwa v[38:39], v21 src0_sel:WORD_1
	v_mfma_f32_16x16x16_f16 v[18:21], v[36:37], v[32:33], v[26:29]
	s_waitcnt vmcnt(1)
	v_cvt_pk_f32_fp8_sdwa v[32:33], v16 src0_sel:WORD_1
	s_nop 0
	v_cvt_pkrtz_f16_f32 v26, v34, v35
	v_cvt_pkrtz_f16_f32 v27, v38, v39
	v_mfma_f32_16x16x16_f16 v[18:21], v[30:31], v[42:43], v[18:21]
	v_cvt_pk_f32_fp8_e32 v[28:29], v14
	v_cvt_pk_f32_fp8_sdwa v[30:31], v14 src0_sel:WORD_1
	v_cvt_pkrtz_f16_f32 v28, v28, v29
	v_mfma_f32_16x16x16_f16 v[18:21], v[26:27], v[44:45], v[18:21]
	v_cvt_pk_f32_fp8_e32 v[26:27], v15
	v_cvt_pkrtz_f16_f32 v29, v30, v31
	v_cvt_pk_f32_fp8_sdwa v[14:15], v15 src0_sel:WORD_1
	v_cvt_pk_f32_fp8_e32 v[30:31], v16
	v_cvt_pkrtz_f16_f32 v26, v26, v27
	v_mfma_f32_16x16x16_f16 v[18:21], v[28:29], v[22:23], v[18:21]
	v_cvt_pkrtz_f16_f32 v27, v14, v15
	v_cvt_pkrtz_f16_f32 v22, v30, v31
	v_cvt_pkrtz_f16_f32 v23, v32, v33
	v_cvt_pk_f32_fp8_e32 v[28:29], v17
	v_cvt_pk_f32_fp8_sdwa v[30:31], v17 src0_sel:WORD_1
	v_mfma_f32_16x16x16_f16 v[14:17], v[26:27], v[24:25], v[18:21]
	s_waitcnt vmcnt(0)
	v_cvt_pk_f32_fp8_sdwa v[24:25], v6 src0_sel:WORD_1
	s_nop 0
	v_pk_mul_f32 v[18:19], v[4:5], s[4:5] op_sel_hi:[1,0]
	v_cvt_pkrtz_f16_f32 v4, v28, v29
	v_cvt_pkrtz_f16_f32 v5, v30, v31
	v_mfma_f32_16x16x16_f16 v[14:17], v[22:23], v[46:47], v[14:17]
	v_cvt_pk_f32_fp8_e32 v[22:23], v6
	v_pk_mul_f32 v[20:21], v[2:3], s[4:5] op_sel_hi:[1,0]
	v_mfma_f32_16x16x16_f16 v[2:5], v[4:5], v[48:49], v[14:17]
	s_nop 3
	v_cvt_pk_f32_fp8_e32 v[14:15], v7
	v_cvt_pkrtz_f16_f32 v16, v22, v23
	v_cvt_pkrtz_f16_f32 v17, v24, v25
	v_cvt_pk_f32_fp8_sdwa v[6:7], v7 src0_sel:WORD_1
	v_cvt_pkrtz_f16_f32 v14, v14, v15
	v_cvt_pk_f32_fp8_e32 v[22:23], v8
	v_cvt_pk_f32_fp8_sdwa v[24:25], v8 src0_sel:WORD_1
	v_cvt_pkrtz_f16_f32 v15, v6, v7
	v_mfma_f32_16x16x16_f16 v[2:5], v[16:17], v[10:11], v[2:5]
	v_cvt_pkrtz_f16_f32 v6, v22, v23
	v_cvt_pkrtz_f16_f32 v7, v24, v25
	v_cvt_pk_f32_fp8_e32 v[10:11], v9
	v_cvt_pk_f32_fp8_sdwa v[8:9], v9 src0_sel:WORD_1
	v_mfma_f32_16x16x16_f16 v[2:5], v[14:15], v[12:13], v[2:5]
	v_cvt_f16_f32_e32 v12, v20
	v_cvt_pkrtz_f16_f32 v10, v10, v11
	v_cvt_pkrtz_f16_f32 v11, v8, v9
	v_mfma_f32_16x16x16_f16 v[2:5], v[6:7], v[50:51], v[2:5]
	v_cvt_f16_f32_e32 v6, v21
	v_cvt_f16_f32_e32 v7, v18
	;; [unrolled: 1-line block ×3, first 2 shown]
	v_mfma_f32_16x16x16_f16 v[2:5], v[10:11], v[52:53], v[2:5]
	s_nop 6
	v_pk_mul_f32 v[4:5], v[4:5], s[4:5] op_sel_hi:[1,0]
	v_pk_mul_f32 v[2:3], v[2:3], s[4:5] op_sel_hi:[1,0]
	v_cvt_f16_f32_e32 v11, v4
	v_cvt_f16_f32_e32 v9, v2
	;; [unrolled: 1-line block ×4, first 2 shown]
	v_pack_b32_f16 v2, v12, v6
	v_pack_b32_f16 v3, v7, v8
	;; [unrolled: 1-line block ×4, first 2 shown]
	ds_write2st64_b64 v54, v[2:3], v[4:5] offset1:1
	s_waitcnt lgkmcnt(0)
	s_barrier
	s_and_saveexec_b64 s[4:5], vcc
	s_cbranch_execz .LBB998_18
; %bb.16:
	s_load_dwordx2 s[4:5], s[0:1], 0x68
	s_lshl_b32 s0, s6, 7
	s_mul_i32 s1, s7, s2
	v_lshlrev_b32_e32 v3, 6, v60
	s_mul_hi_u32 s7, s1, s0
	s_mul_i32 s6, s1, s0
	v_lshl_or_b32 v0, v0, 10, v3
	s_lshl_b64 s[6:7], s[6:7], 1
	v_lshlrev_b32_e32 v2, 5, v64
	v_and_b32_e32 v1, 16, v1
	v_and_b32_e32 v0, 0x1a00, v0
	s_waitcnt lgkmcnt(0)
	s_add_u32 s1, s4, s6
	v_or3_b32 v2, v0, v2, v1
	s_addc_u32 s4, s5, s7
	s_lshl_b32 s2, s24, 7
	s_lshl_b64 s[2:3], s[2:3], 1
	ds_read_b128 v[4:7], v2 offset:128
	ds_read_b128 v[8:11], v2
	s_add_u32 s2, s1, s2
	s_addc_u32 s3, s4, s3
	v_mov_b32_e32 v59, 0
	v_add_u32_e32 v3, s48, v64
	v_lshl_add_u64 v[0:1], s[2:3], 0, v[58:59]
	v_mad_u64_u32 v[12:13], s[2:3], v3, s0, 0
	v_lshl_add_u64 v[12:13], v[12:13], 1, v[0:1]
	v_add_u32_e32 v3, 4, v3
	s_waitcnt lgkmcnt(0)
	global_store_dwordx4 v[12:13], v[8:11], off
	v_cmp_ne_u32_e32 vcc, 3, v64
	s_nop 0
	v_mad_u64_u32 v[8:9], s[2:3], v3, s0, 0
	v_lshl_add_u64 v[8:9], v[8:9], 1, v[0:1]
	global_store_dwordx4 v[8:9], v[4:7], off
	s_and_b64 exec, exec, vcc
	s_cbranch_execz .LBB998_18
; %bb.17:
	ds_read_b128 v[2:5], v2 offset:256
	v_add3_u32 v6, s48, v64, 8
	v_mad_u64_u32 v[6:7], s[0:1], v6, s0, 0
	v_lshl_add_u64 v[0:1], v[6:7], 1, v[0:1]
	s_waitcnt lgkmcnt(0)
	global_store_dwordx4 v[0:1], v[2:5], off
.LBB998_18:
	s_endpgm
	.section	.rodata,"a",@progbits
	.p2align	6, 0x0
	.amdhsa_kernel _Z39paged_attention_ll4mi_QKV_mfma16_kernelIDF16_hLN4vllm18Fp8KVCacheDataTypeE1EDF16_Li16ELi128ELi256ELb0ELi11EEvPKT_PKT0_S7_ifPKiS9_S9_iPKfiiiPfSC_PS2_PT2_iSB_SB_
		.amdhsa_group_segment_fixed_size 8192
		.amdhsa_private_segment_fixed_size 0
		.amdhsa_kernarg_size 400
		.amdhsa_user_sgpr_count 2
		.amdhsa_user_sgpr_dispatch_ptr 0
		.amdhsa_user_sgpr_queue_ptr 0
		.amdhsa_user_sgpr_kernarg_segment_ptr 1
		.amdhsa_user_sgpr_dispatch_id 0
		.amdhsa_user_sgpr_kernarg_preload_length 0
		.amdhsa_user_sgpr_kernarg_preload_offset 0
		.amdhsa_user_sgpr_private_segment_size 0
		.amdhsa_uses_dynamic_stack 0
		.amdhsa_enable_private_segment 0
		.amdhsa_system_sgpr_workgroup_id_x 1
		.amdhsa_system_sgpr_workgroup_id_y 1
		.amdhsa_system_sgpr_workgroup_id_z 1
		.amdhsa_system_sgpr_workgroup_info 0
		.amdhsa_system_vgpr_workitem_id 0
		.amdhsa_next_free_vgpr 88
		.amdhsa_next_free_sgpr 50
		.amdhsa_accum_offset 88
		.amdhsa_reserve_vcc 1
		.amdhsa_float_round_mode_32 0
		.amdhsa_float_round_mode_16_64 0
		.amdhsa_float_denorm_mode_32 3
		.amdhsa_float_denorm_mode_16_64 3
		.amdhsa_dx10_clamp 1
		.amdhsa_ieee_mode 1
		.amdhsa_fp16_overflow 0
		.amdhsa_tg_split 0
		.amdhsa_exception_fp_ieee_invalid_op 0
		.amdhsa_exception_fp_denorm_src 0
		.amdhsa_exception_fp_ieee_div_zero 0
		.amdhsa_exception_fp_ieee_overflow 0
		.amdhsa_exception_fp_ieee_underflow 0
		.amdhsa_exception_fp_ieee_inexact 0
		.amdhsa_exception_int_div_zero 0
	.end_amdhsa_kernel
	.section	.text._Z39paged_attention_ll4mi_QKV_mfma16_kernelIDF16_hLN4vllm18Fp8KVCacheDataTypeE1EDF16_Li16ELi128ELi256ELb0ELi11EEvPKT_PKT0_S7_ifPKiS9_S9_iPKfiiiPfSC_PS2_PT2_iSB_SB_,"axG",@progbits,_Z39paged_attention_ll4mi_QKV_mfma16_kernelIDF16_hLN4vllm18Fp8KVCacheDataTypeE1EDF16_Li16ELi128ELi256ELb0ELi11EEvPKT_PKT0_S7_ifPKiS9_S9_iPKfiiiPfSC_PS2_PT2_iSB_SB_,comdat
.Lfunc_end998:
	.size	_Z39paged_attention_ll4mi_QKV_mfma16_kernelIDF16_hLN4vllm18Fp8KVCacheDataTypeE1EDF16_Li16ELi128ELi256ELb0ELi11EEvPKT_PKT0_S7_ifPKiS9_S9_iPKfiiiPfSC_PS2_PT2_iSB_SB_, .Lfunc_end998-_Z39paged_attention_ll4mi_QKV_mfma16_kernelIDF16_hLN4vllm18Fp8KVCacheDataTypeE1EDF16_Li16ELi128ELi256ELb0ELi11EEvPKT_PKT0_S7_ifPKiS9_S9_iPKfiiiPfSC_PS2_PT2_iSB_SB_
                                        ; -- End function
	.section	.AMDGPU.csdata,"",@progbits
; Kernel info:
; codeLenInByte = 6040
; NumSgprs: 56
; NumVgprs: 88
; NumAgprs: 0
; TotalNumVgprs: 88
; ScratchSize: 0
; MemoryBound: 0
; FloatMode: 240
; IeeeMode: 1
; LDSByteSize: 8192 bytes/workgroup (compile time only)
; SGPRBlocks: 6
; VGPRBlocks: 10
; NumSGPRsForWavesPerEU: 56
; NumVGPRsForWavesPerEU: 88
; AccumOffset: 88
; Occupancy: 5
; WaveLimiterHint : 1
; COMPUTE_PGM_RSRC2:SCRATCH_EN: 0
; COMPUTE_PGM_RSRC2:USER_SGPR: 2
; COMPUTE_PGM_RSRC2:TRAP_HANDLER: 0
; COMPUTE_PGM_RSRC2:TGID_X_EN: 1
; COMPUTE_PGM_RSRC2:TGID_Y_EN: 1
; COMPUTE_PGM_RSRC2:TGID_Z_EN: 1
; COMPUTE_PGM_RSRC2:TIDIG_COMP_CNT: 0
; COMPUTE_PGM_RSRC3_GFX90A:ACCUM_OFFSET: 21
; COMPUTE_PGM_RSRC3_GFX90A:TG_SPLIT: 0
	.section	.text._Z39paged_attention_ll4mi_QKV_mfma16_kernelIDF16_hLN4vllm18Fp8KVCacheDataTypeE1EDF16_Li16ELi128ELi256ELb0ELi12EEvPKT_PKT0_S7_ifPKiS9_S9_iPKfiiiPfSC_PS2_PT2_iSB_SB_,"axG",@progbits,_Z39paged_attention_ll4mi_QKV_mfma16_kernelIDF16_hLN4vllm18Fp8KVCacheDataTypeE1EDF16_Li16ELi128ELi256ELb0ELi12EEvPKT_PKT0_S7_ifPKiS9_S9_iPKfiiiPfSC_PS2_PT2_iSB_SB_,comdat
	.protected	_Z39paged_attention_ll4mi_QKV_mfma16_kernelIDF16_hLN4vllm18Fp8KVCacheDataTypeE1EDF16_Li16ELi128ELi256ELb0ELi12EEvPKT_PKT0_S7_ifPKiS9_S9_iPKfiiiPfSC_PS2_PT2_iSB_SB_ ; -- Begin function _Z39paged_attention_ll4mi_QKV_mfma16_kernelIDF16_hLN4vllm18Fp8KVCacheDataTypeE1EDF16_Li16ELi128ELi256ELb0ELi12EEvPKT_PKT0_S7_ifPKiS9_S9_iPKfiiiPfSC_PS2_PT2_iSB_SB_
	.globl	_Z39paged_attention_ll4mi_QKV_mfma16_kernelIDF16_hLN4vllm18Fp8KVCacheDataTypeE1EDF16_Li16ELi128ELi256ELb0ELi12EEvPKT_PKT0_S7_ifPKiS9_S9_iPKfiiiPfSC_PS2_PT2_iSB_SB_
	.p2align	8
	.type	_Z39paged_attention_ll4mi_QKV_mfma16_kernelIDF16_hLN4vllm18Fp8KVCacheDataTypeE1EDF16_Li16ELi128ELi256ELb0ELi12EEvPKT_PKT0_S7_ifPKiS9_S9_iPKfiiiPfSC_PS2_PT2_iSB_SB_,@function
_Z39paged_attention_ll4mi_QKV_mfma16_kernelIDF16_hLN4vllm18Fp8KVCacheDataTypeE1EDF16_Li16ELi128ELi256ELb0ELi12EEvPKT_PKT0_S7_ifPKiS9_S9_iPKfiiiPfSC_PS2_PT2_iSB_SB_: ; @_Z39paged_attention_ll4mi_QKV_mfma16_kernelIDF16_hLN4vllm18Fp8KVCacheDataTypeE1EDF16_Li16ELi128ELi256ELb0ELi12EEvPKT_PKT0_S7_ifPKiS9_S9_iPKfiiiPfSC_PS2_PT2_iSB_SB_
; %bb.0:
	s_load_dwordx2 s[12:13], s[0:1], 0x30
	s_mov_b32 s24, s3
	s_mov_b64 s[6:7], 0
	s_waitcnt lgkmcnt(0)
	s_cmp_lg_u64 s[12:13], 0
	s_cselect_b64 s[14:15], -1, 0
	s_and_b64 vcc, exec, s[14:15]
	s_cbranch_vccz .LBB999_7
; %bb.1:
	s_add_i32 s8, s2, 1
	s_mov_b32 s9, 0
	s_lshl_b64 s[10:11], s[8:9], 2
	s_add_u32 s10, s12, s10
	s_mov_b32 s3, s9
	s_addc_u32 s11, s13, s11
	s_lshl_b64 s[8:9], s[2:3], 2
	s_add_u32 s8, s12, s8
	s_addc_u32 s9, s13, s9
	s_load_dword s5, s[10:11], 0x0
	s_load_dword s16, s[8:9], 0x0
	s_waitcnt lgkmcnt(0)
	s_sub_i32 s5, s5, s16
	s_cmp_eq_u32 s5, 1
	s_cselect_b64 s[8:9], -1, 0
	s_andn2_b64 vcc, exec, s[6:7]
	s_cbranch_vccnz .LBB999_3
.LBB999_2:
	s_mov_b32 s3, 0
	s_mov_b64 s[8:9], -1
.LBB999_3:
	s_andn2_b64 vcc, exec, s[8:9]
	s_cbranch_vccnz .LBB999_17
; %bb.4:
	s_load_dwordx2 s[6:7], s[0:1], 0x28
	s_lshl_b64 s[16:17], s[2:3], 2
	s_waitcnt lgkmcnt(0)
	s_add_u32 s6, s6, s16
	s_addc_u32 s7, s7, s17
	s_load_dword s33, s[6:7], 0x0
	s_lshl_b32 s18, s24, 8
	s_waitcnt lgkmcnt(0)
	s_cmp_ge_i32 s18, s33
	s_cbranch_scc1 .LBB999_17
; %bb.5:
	s_load_dwordx2 s[6:7], s[0:1], 0x20
	s_load_dword s8, s[0:1], 0x38
	s_add_i32 s5, s33, 15
	s_ashr_i32 s9, s5, 31
	v_and_b32_e32 v1, 0xcf, v0
	s_lshr_b32 s9, s9, 28
	v_add_u32_e32 v1, s18, v1
	s_add_i32 s5, s5, s9
	v_ashrrev_i32_e32 v2, 31, v1
	s_ashr_i32 s5, s5, 4
	v_lshrrev_b32_e32 v10, 28, v2
	s_add_i32 s5, s5, -1
	s_waitcnt lgkmcnt(0)
	s_mul_i32 s8, s2, s8
	s_mov_b32 s9, 0
	v_add_u32_e32 v2, v1, v10
	s_lshl_b64 s[8:9], s[8:9], 2
	v_ashrrev_i32_e32 v2, 4, v2
	v_mov_b32_e32 v11, s5
	v_cmp_gt_i32_e32 vcc, s33, v1
	s_add_u32 s6, s6, s8
	s_addc_u32 s7, s7, s9
	v_cndmask_b32_e32 v2, v11, v2, vcc
	v_ashrrev_i32_e32 v3, 31, v2
	v_lshl_add_u64 v[4:5], v[2:3], 2, s[6:7]
	v_or_b32_e32 v2, 16, v1
	v_add_u32_e32 v3, v2, v10
	v_ashrrev_i32_e32 v3, 4, v3
	v_cmp_gt_i32_e32 vcc, s33, v2
	s_load_dwordx4 s[8:11], s[0:1], 0x8
	s_nop 0
	v_cndmask_b32_e32 v2, v11, v3, vcc
	v_ashrrev_i32_e32 v3, 31, v2
	v_lshl_add_u64 v[6:7], v[2:3], 2, s[6:7]
	v_or_b32_e32 v2, 32, v1
	v_add_u32_e32 v3, v2, v10
	v_ashrrev_i32_e32 v3, 4, v3
	v_cmp_gt_i32_e32 vcc, s33, v2
	v_or_b32_e32 v1, 48, v1
	s_nop 0
	v_cndmask_b32_e32 v2, v11, v3, vcc
	v_ashrrev_i32_e32 v3, 31, v2
	v_lshl_add_u64 v[8:9], v[2:3], 2, s[6:7]
	v_add_u32_e32 v2, v1, v10
	v_ashrrev_i32_e32 v2, 4, v2
	v_cmp_gt_i32_e32 vcc, s33, v1
	s_nop 1
	v_cndmask_b32_e32 v2, v11, v2, vcc
	v_ashrrev_i32_e32 v3, 31, v2
	v_lshl_add_u64 v[10:11], v[2:3], 2, s[6:7]
	global_load_dword v3, v[4:5], off
	global_load_dword v2, v[6:7], off
	;; [unrolled: 1-line block ×4, first 2 shown]
	s_andn2_b64 vcc, exec, s[14:15]
	s_cbranch_vccnz .LBB999_8
; %bb.6:
	s_add_u32 s12, s12, s16
	s_addc_u32 s13, s13, s17
	s_load_dword s14, s[12:13], 0x0
	s_branch .LBB999_9
.LBB999_7:
	s_mov_b64 s[8:9], 0
	s_branch .LBB999_2
.LBB999_8:
	s_mov_b32 s14, s2
.LBB999_9:
	s_load_dwordx4 s[44:47], s[0:1], 0x48
	v_and_b32_e32 v60, 15, v0
	v_lshlrev_b32_e32 v4, 3, v60
	s_movk_i32 s12, 0xc0
	v_lshrrev_b32_e32 v61, 6, v0
	v_and_b32_e32 v65, 63, v0
	v_bfe_u32 v1, v0, 4, 2
	s_mul_i32 s48, s4, 12
	v_cmp_gt_u32_e32 vcc, s12, v0
	v_lshlrev_b32_e32 v58, 1, v4
	v_lshlrev_b32_e32 v64, 4, v0
	s_and_saveexec_b64 s[12:13], vcc
	s_cbranch_execz .LBB999_11
; %bb.10:
	s_load_dwordx2 s[16:17], s[0:1], 0x0
	s_waitcnt lgkmcnt(0)
	s_ashr_i32 s15, s44, 31
	s_mul_hi_u32 s19, s14, s44
	s_mul_i32 s15, s14, s15
	s_add_i32 s15, s19, s15
	s_mul_i32 s14, s14, s44
	v_lshl_or_b32 v8, v61, 2, v1
	s_lshl_b64 s[14:15], s[14:15], 1
	s_add_u32 s14, s16, s14
	v_add_lshl_u32 v4, v8, s48, 7
	s_addc_u32 s15, s17, s15
	v_ashrrev_i32_e32 v5, 31, v4
	v_lshl_add_u64 v[4:5], v[4:5], 1, s[14:15]
	v_mov_b32_e32 v59, 0
	v_lshl_add_u64 v[4:5], v[4:5], 0, v[58:59]
	global_load_dwordx4 v[4:7], v[4:5], off
	v_lshlrev_b32_e32 v10, 8, v0
	v_lshlrev_b32_e32 v9, 8, v60
	v_and_b32_e32 v10, 0x600, v10
	s_movk_i32 s14, 0x800
	v_and_or_b32 v9, v9, s14, v10
	v_lshlrev_b32_e32 v8, 5, v8
	v_and_b32_e32 v10, 16, v64
	v_or3_b32 v8, v9, v8, v10
	s_waitcnt vmcnt(0)
	ds_write_b128 v8, v[4:7]
.LBB999_11:
	s_or_b64 exec, exec, s[12:13]
	s_waitcnt lgkmcnt(0)
	s_mul_i32 s4, s4, s46
	s_add_u32 s8, s8, s4
	s_addc_u32 s9, s9, 0
	v_and_b32_e32 v62, 0xf0, v64
	v_mov_b32_e32 v63, 0
	v_and_b32_e32 v6, 48, v0
	v_lshl_add_u64 v[30:31], s[8:9], 0, v[62:63]
	v_lshlrev_b32_e32 v62, 4, v6
	s_waitcnt vmcnt(3)
	v_mad_i64_i32 v[4:5], s[8:9], v3, s45, v[30:31]
	v_lshl_add_u64 v[4:5], v[4:5], 0, v[62:63]
	s_load_dword s25, s[0:1], 0x98
	s_load_dwordx4 s[40:43], s[0:1], 0x80
	s_waitcnt lgkmcnt(0)
	s_barrier
	global_load_dwordx4 v[22:25], v[4:5], off
	global_load_dwordx4 v[10:13], v[4:5], off offset:1024
	s_waitcnt vmcnt(4)
	v_mad_i64_i32 v[2:3], s[8:9], v2, s45, v[30:31]
	v_lshl_add_u64 v[32:33], v[2:3], 0, v[62:63]
	global_load_dwordx4 v[2:5], v[32:33], off
	v_add_u32_e32 v7, -12, v60
	v_cmp_gt_u32_e32 vcc, 12, v60
	v_or_b32_e32 v6, s18, v6
	v_mov_b32_e32 v38, s5
	v_cndmask_b32_e32 v7, v7, v60, vcc
	v_lshlrev_b32_e32 v7, 5, v7
	v_ashrrev_i32_e32 v8, 4, v6
	v_lshl_add_u32 v7, v1, 9, v7
	v_cmp_gt_i32_e32 vcc, s33, v6
	v_or_b32_e32 v39, 64, v6
	v_or_b32_e32 v43, 0x80, v6
	v_or_b32_e32 v45, 0xc0, v6
	v_cndmask_b32_e32 v40, v38, v8, vcc
	ds_read_b128 v[26:29], v7
	ds_read_b128 v[18:21], v7 offset:16
	ds_read_b128 v[14:17], v7 offset:2048
	;; [unrolled: 1-line block ×3, first 2 shown]
	s_waitcnt vmcnt(4)
	v_mad_i64_i32 v[36:37], s[12:13], v34, s45, v[30:31]
	s_waitcnt vmcnt(3)
	v_mad_i64_i32 v[34:35], s[12:13], v35, s45, v[30:31]
	global_load_dwordx4 v[30:33], v[32:33], off offset:1024
	v_ashrrev_i32_e32 v42, 4, v39
	v_cmp_gt_i32_e32 vcc, s33, v39
	v_ashrrev_i32_e32 v44, 4, v43
	v_ashrrev_i32_e32 v46, 4, v45
	v_cndmask_b32_e32 v42, v38, v42, vcc
	v_cmp_gt_i32_e32 vcc, s33, v43
	v_ashrrev_i32_e32 v41, 31, v40
	v_lshl_add_u64 v[36:37], v[36:37], 0, v[62:63]
	v_cndmask_b32_e32 v44, v38, v44, vcc
	v_cmp_gt_i32_e32 vcc, s33, v45
	v_lshl_add_u64 v[34:35], v[34:35], 0, v[62:63]
	v_ashrrev_i32_e32 v43, 31, v42
	v_cndmask_b32_e32 v38, v38, v46, vcc
	v_ashrrev_i32_e32 v45, 31, v44
	v_ashrrev_i32_e32 v39, 31, v38
	v_lshl_add_u64 v[50:51], v[40:41], 2, s[6:7]
	v_lshl_add_u64 v[52:53], v[42:43], 2, s[6:7]
	;; [unrolled: 1-line block ×4, first 2 shown]
	global_load_dwordx4 v[46:49], v[36:37], off
	global_load_dwordx4 v[42:45], v[36:37], off offset:1024
	global_load_dwordx4 v[38:41], v[34:35], off
	s_nop 0
	global_load_dwordx4 v[34:37], v[34:35], off offset:1024
	s_nop 0
	global_load_dword v69, v[50:51], off
	global_load_dword v68, v[52:53], off
	;; [unrolled: 1-line block ×4, first 2 shown]
	s_add_u32 s4, s10, s4
	v_lshl_or_b32 v59, v61, 4, v60
	s_addc_u32 s5, s11, 0
	v_lshlrev_b32_e32 v62, 4, v59
	s_load_dword s8, s[0:1], 0x1c
	s_waitcnt vmcnt(11)
	v_cvt_pk_f32_fp8_e32 v[50:51], v22
	v_cvt_pk_f32_fp8_sdwa v[52:53], v22 src0_sel:WORD_1
	v_cvt_pk_f32_fp8_e32 v[54:55], v23
	v_cvt_pk_f32_fp8_sdwa v[56:57], v23 src0_sel:WORD_1
	;; [unrolled: 2-line block ×4, first 2 shown]
	s_waitcnt vmcnt(9)
	v_cvt_pk_f32_fp8_e32 v[22:23], v2
	v_cvt_pk_f32_fp8_sdwa v[24:25], v2 src0_sel:WORD_1
	v_cvt_pkrtz_f16_f32 v50, v50, v51
	v_cvt_pkrtz_f16_f32 v51, v52, v53
	v_cvt_pk_f32_fp8_e32 v[78:79], v10
	v_cvt_pk_f32_fp8_sdwa v[80:81], v10 src0_sel:WORD_1
	v_cvt_pk_f32_fp8_e32 v[52:53], v11
	v_cvt_pk_f32_fp8_sdwa v[82:83], v11 src0_sel:WORD_1
	v_cvt_pkrtz_f16_f32 v10, v22, v23
	v_cvt_pkrtz_f16_f32 v11, v24, v25
	;; [unrolled: 1-line block ×4, first 2 shown]
	s_waitcnt lgkmcnt(0)
	v_mfma_f32_16x16x16_f16 v[22:25], v[50:51], v[26:27], 0
	v_cvt_pk_f32_fp8_e32 v[50:51], v12
	v_cvt_pk_f32_fp8_sdwa v[86:87], v12 src0_sel:WORD_1
	v_cvt_pkrtz_f16_f32 v50, v50, v51
	v_mfma_f32_16x16x16_f16 v[54:57], v[10:11], v[26:27], 0
	v_cvt_pkrtz_f16_f32 v10, v70, v71
	v_cvt_pkrtz_f16_f32 v11, v72, v73
	;; [unrolled: 1-line block ×3, first 2 shown]
	v_mfma_f32_16x16x16_f16 v[22:25], v[84:85], v[28:29], v[22:25]
	v_cvt_pkrtz_f16_f32 v73, v76, v77
	v_cvt_pkrtz_f16_f32 v76, v78, v79
	;; [unrolled: 1-line block ×3, first 2 shown]
	v_mfma_f32_16x16x16_f16 v[22:25], v[10:11], v[18:19], v[22:25]
	v_cvt_pk_f32_fp8_e32 v[70:71], v13
	v_cvt_pk_f32_fp8_sdwa v[74:75], v13 src0_sel:WORD_1
	v_cvt_pkrtz_f16_f32 v51, v86, v87
	v_mfma_f32_16x16x16_f16 v[10:13], v[72:73], v[20:21], v[22:25]
	s_waitcnt vmcnt(7)
	v_cvt_pk_f32_fp8_e32 v[72:73], v49
	s_nop 0
	v_cvt_pkrtz_f16_f32 v24, v52, v53
	v_cvt_pkrtz_f16_f32 v25, v82, v83
	v_mfma_f32_16x16x16_f16 v[10:13], v[76:77], v[14:15], v[10:13]
	v_cvt_pk_f32_fp8_e32 v[22:23], v3
	v_cvt_pk_f32_fp8_sdwa v[2:3], v3 src0_sel:WORD_1
	v_cvt_pkrtz_f16_f32 v52, v70, v71
	v_mfma_f32_16x16x16_f16 v[10:13], v[24:25], v[16:17], v[10:13]
	v_cvt_pkrtz_f16_f32 v53, v74, v75
	v_cvt_pk_f32_fp8_e32 v[24:25], v4
	v_cvt_pk_f32_fp8_sdwa v[70:71], v4 src0_sel:WORD_1
	v_mfma_f32_16x16x16_f16 v[10:13], v[50:51], v[6:7], v[10:13]
	v_cvt_pkrtz_f16_f32 v22, v22, v23
	v_cvt_pkrtz_f16_f32 v23, v2, v3
	s_waitcnt vmcnt(6)
	v_cvt_pk_f32_fp8_sdwa v[76:77], v44 src0_sel:WORD_1
	v_mfma_f32_16x16x16_f16 v[50:53], v[52:53], v[8:9], v[10:13]
	s_nop 2
	v_cvt_pkrtz_f16_f32 v10, v24, v25
	v_cvt_pkrtz_f16_f32 v11, v70, v71
	v_cvt_pk_f32_fp8_e32 v[12:13], v5
	v_cvt_pk_f32_fp8_sdwa v[24:25], v5 src0_sel:WORD_1
	v_mfma_f32_16x16x16_f16 v[2:5], v[22:23], v[28:29], v[54:57]
	v_cvt_pk_f32_fp8_sdwa v[22:23], v30 src0_sel:WORD_1
	v_cvt_pkrtz_f16_f32 v12, v12, v13
	v_cvt_pkrtz_f16_f32 v13, v24, v25
	v_mfma_f32_16x16x16_f16 v[2:5], v[10:11], v[18:19], v[2:5]
	v_cvt_pk_f32_fp8_e32 v[10:11], v30
	v_cvt_pk_f32_fp8_e32 v[24:25], v32
	v_lshl_add_u64 v[70:71], s[4:5], 0, v[62:63]
	v_mfma_f32_16x16x16_f16 v[2:5], v[12:13], v[20:21], v[2:5]
	v_cvt_pk_f32_fp8_e32 v[12:13], v31
	v_cvt_pkrtz_f16_f32 v10, v10, v11
	v_cvt_pkrtz_f16_f32 v11, v22, v23
	v_cvt_pk_f32_fp8_sdwa v[22:23], v31 src0_sel:WORD_1
	v_cvt_pkrtz_f16_f32 v12, v12, v13
	v_cvt_pk_f32_fp8_sdwa v[30:31], v32 src0_sel:WORD_1
	v_mfma_f32_16x16x16_f16 v[2:5], v[10:11], v[14:15], v[2:5]
	v_cvt_pkrtz_f16_f32 v13, v22, v23
	v_cvt_pkrtz_f16_f32 v10, v24, v25
	;; [unrolled: 1-line block ×3, first 2 shown]
	v_cvt_pk_f32_fp8_e32 v[22:23], v33
	v_cvt_pk_f32_fp8_sdwa v[24:25], v33 src0_sel:WORD_1
	v_mfma_f32_16x16x16_f16 v[2:5], v[12:13], v[16:17], v[2:5]
	v_or_b32_e32 v62, 0x400, v62
	v_cvt_pkrtz_f16_f32 v12, v22, v23
	v_cvt_pkrtz_f16_f32 v13, v24, v25
	v_mfma_f32_16x16x16_f16 v[2:5], v[10:11], v[6:7], v[2:5]
	v_cvt_pk_f32_fp8_e32 v[10:11], v46
	v_cvt_pk_f32_fp8_sdwa v[22:23], v46 src0_sel:WORD_1
	v_cvt_pk_f32_fp8_sdwa v[24:25], v48 src0_sel:WORD_1
	v_mfma_f32_16x16x16_f16 v[54:57], v[12:13], v[8:9], v[2:5]
	s_waitcnt vmcnt(3)
	v_mad_i64_i32 v[12:13], s[6:7], v69, s45, v[70:71]
	s_nop 0
	v_cvt_pkrtz_f16_f32 v2, v10, v11
	v_cvt_pkrtz_f16_f32 v3, v22, v23
	v_cvt_pk_f32_fp8_e32 v[4:5], v47
	v_cvt_pk_f32_fp8_sdwa v[10:11], v47 src0_sel:WORD_1
	s_waitcnt vmcnt(2)
	v_mad_i64_i32 v[46:47], s[6:7], v68, s45, v[70:71]
	v_cvt_pkrtz_f16_f32 v22, v4, v5
	v_cvt_pkrtz_f16_f32 v23, v10, v11
	v_cvt_pk_f32_fp8_e32 v[10:11], v48
	v_mfma_f32_16x16x16_f16 v[2:5], v[2:3], v[26:27], 0
	v_cvt_pk_f32_fp8_sdwa v[48:49], v49 src0_sel:WORD_1
	v_cvt_pkrtz_f16_f32 v10, v10, v11
	v_cvt_pkrtz_f16_f32 v11, v24, v25
	v_mfma_f32_16x16x16_f16 v[2:5], v[22:23], v[28:29], v[2:5]
	global_load_dwordx4 v[30:33], v[12:13], off
	global_load_dwordx4 v[22:25], v[46:47], off
	v_cvt_pkrtz_f16_f32 v12, v72, v73
	v_cvt_pkrtz_f16_f32 v13, v48, v49
	v_mfma_f32_16x16x16_f16 v[2:5], v[10:11], v[18:19], v[2:5]
	v_cvt_pk_f32_fp8_e32 v[10:11], v42
	v_cvt_pk_f32_fp8_sdwa v[46:47], v42 src0_sel:WORD_1
	s_waitcnt vmcnt(3)
	v_mad_i64_i32 v[72:73], s[6:7], v67, s45, v[70:71]
	v_mfma_f32_16x16x16_f16 v[2:5], v[12:13], v[20:21], v[2:5]
	v_cvt_pkrtz_f16_f32 v10, v10, v11
	v_cvt_pkrtz_f16_f32 v11, v46, v47
	v_cvt_pk_f32_fp8_e32 v[12:13], v43
	v_cvt_pk_f32_fp8_sdwa v[42:43], v43 src0_sel:WORD_1
	v_mfma_f32_16x16x16_f16 v[46:49], v[10:11], v[14:15], v[2:5]
	v_cvt_pkrtz_f16_f32 v74, v12, v13
	v_cvt_pkrtz_f16_f32 v75, v42, v43
	v_cvt_pk_f32_fp8_e32 v[42:43], v44
	s_waitcnt vmcnt(2)
	v_mad_i64_i32 v[70:71], s[6:7], v66, s45, v[70:71]
	global_load_dwordx4 v[10:13], v[72:73], off
	global_load_dwordx4 v[2:5], v[70:71], off
	v_cvt_pkrtz_f16_f32 v70, v42, v43
	v_cvt_pkrtz_f16_f32 v71, v76, v77
	v_cvt_pk_f32_fp8_e32 v[72:73], v45
	v_cvt_pk_f32_fp8_sdwa v[76:77], v45 src0_sel:WORD_1
	v_mfma_f32_16x16x16_f16 v[44:47], v[74:75], v[16:17], v[46:49]
	v_lshl_add_u64 v[42:43], s[4:5], 0, v[62:63]
	v_cvt_pk_f32_fp8_e32 v[62:63], v38
	v_cvt_pk_f32_fp8_sdwa v[74:75], v38 src0_sel:WORD_1
	v_cvt_pkrtz_f16_f32 v48, v72, v73
	v_cvt_pkrtz_f16_f32 v49, v76, v77
	v_mfma_f32_16x16x16_f16 v[44:47], v[70:71], v[6:7], v[44:47]
	s_load_dword s4, s[40:41], 0x0
	s_mov_b32 s40, 0xff7fffff
	v_mfma_f32_16x16x16_f16 v[70:73], v[48:49], v[8:9], v[44:47]
	s_nop 3
	v_cvt_pk_f32_fp8_e32 v[44:45], v39
	v_cvt_pkrtz_f16_f32 v46, v62, v63
	v_cvt_pkrtz_f16_f32 v47, v74, v75
	v_cvt_pk_f32_fp8_sdwa v[38:39], v39 src0_sel:WORD_1
	v_cvt_pkrtz_f16_f32 v48, v44, v45
	v_cvt_pk_f32_fp8_e32 v[62:63], v40
	v_cvt_pk_f32_fp8_sdwa v[74:75], v40 src0_sel:WORD_1
	v_cvt_pkrtz_f16_f32 v49, v38, v39
	v_mfma_f32_16x16x16_f16 v[44:47], v[46:47], v[26:27], 0
	v_cvt_pkrtz_f16_f32 v38, v62, v63
	v_cvt_pkrtz_f16_f32 v39, v74, v75
	v_cvt_pk_f32_fp8_e32 v[62:63], v41
	v_cvt_pk_f32_fp8_sdwa v[74:75], v41 src0_sel:WORD_1
	v_mov_b32_e32 v26, s8
	s_waitcnt lgkmcnt(0)
	v_mul_f32_e32 v76, s4, v26
	v_mfma_f32_16x16x16_f16 v[26:29], v[48:49], v[28:29], v[44:47]
	v_cvt_pk_f32_fp8_sdwa v[48:49], v37 src0_sel:WORD_1
	v_pk_mul_f32 v[40:41], v[76:77], v[52:53] op_sel_hi:[0,1]
	v_pk_mul_f32 v[52:53], v[76:77], v[54:55] op_sel_hi:[0,1]
	v_cvt_pkrtz_f16_f32 v46, v62, v63
	v_cvt_pkrtz_f16_f32 v47, v74, v75
	v_mfma_f32_16x16x16_f16 v[26:29], v[38:39], v[18:19], v[26:29]
	v_cvt_pk_f32_fp8_e32 v[18:19], v34
	v_cvt_pk_f32_fp8_sdwa v[38:39], v34 src0_sel:WORD_1
	v_pk_mul_f32 v[44:45], v[76:77], v[50:51] op_sel_hi:[0,1]
	v_mfma_f32_16x16x16_f16 v[26:29], v[46:47], v[20:21], v[26:29]
	v_cvt_pkrtz_f16_f32 v20, v18, v19
	v_cvt_pkrtz_f16_f32 v21, v38, v39
	v_cvt_pk_f32_fp8_e32 v[38:39], v35
	v_cvt_pk_f32_fp8_sdwa v[34:35], v35 src0_sel:WORD_1
	v_mfma_f32_16x16x16_f16 v[26:29], v[20:21], v[14:15], v[26:29]
	v_cvt_pkrtz_f16_f32 v38, v38, v39
	v_cvt_pkrtz_f16_f32 v39, v34, v35
	v_cvt_pk_f32_fp8_e32 v[14:15], v36
	v_cvt_pk_f32_fp8_sdwa v[20:21], v36 src0_sel:WORD_1
	v_pk_mul_f32 v[50:51], v[76:77], v[70:71] op_sel_hi:[0,1]
	v_mad_i64_i32 v[18:19], s[4:5], v69, s45, v[42:43]
	v_cvt_pkrtz_f16_f32 v46, v14, v15
	v_cvt_pkrtz_f16_f32 v47, v20, v21
	v_cvt_pk_f32_fp8_e32 v[20:21], v37
	v_mfma_f32_16x16x16_f16 v[14:17], v[38:39], v[16:17], v[26:29]
	v_pk_mul_f32 v[36:37], v[76:77], v[56:57] op_sel_hi:[0,1]
	v_mad_i64_i32 v[34:35], s[4:5], v68, s45, v[42:43]
	v_cvt_pkrtz_f16_f32 v20, v20, v21
	v_cvt_pkrtz_f16_f32 v21, v48, v49
	v_mfma_f32_16x16x16_f16 v[14:17], v[46:47], v[6:7], v[14:17]
	v_pk_mul_f32 v[46:47], v[76:77], v[72:73] op_sel_hi:[0,1]
	v_mfma_f32_16x16x16_f16 v[6:9], v[20:21], v[8:9], v[14:17]
	global_load_dwordx4 v[26:29], v[18:19], off
	s_nop 0
	global_load_dwordx4 v[18:21], v[34:35], off
	s_nop 3
	v_pk_mul_f32 v[48:49], v[76:77], v[6:7] op_sel_hi:[0,1]
	v_and_b32_e32 v6, 0xc0, v0
	v_add_u32_e32 v6, s18, v6
	v_lshl_or_b32 v6, v1, 2, v6
	v_pk_mul_f32 v[38:39], v[76:77], v[8:9] op_sel_hi:[0,1]
	v_or_b32_e32 v9, 1, v6
	v_mov_b32_e32 v7, 0xff7fffff
	v_cmp_gt_i32_e64 s[26:27], s33, v6
	v_cmp_gt_i32_e64 s[28:29], s33, v9
	v_or_b32_e32 v14, 3, v6
	v_cndmask_b32_e64 v8, v7, v44, s[26:27]
	v_cndmask_b32_e64 v9, v7, v45, s[28:29]
	v_max3_f32 v8, v8, s40, v9
	v_or_b32_e32 v9, 2, v6
	v_cmp_gt_i32_e64 s[30:31], s33, v9
	v_cmp_gt_i32_e64 s[34:35], s33, v14
	s_nop 0
	v_cndmask_b32_e64 v9, v7, v40, s[30:31]
	v_cndmask_b32_e64 v14, v7, v41, s[34:35]
	v_max3_f32 v8, v8, v9, v14
	v_or_b32_e32 v9, 16, v6
	v_or_b32_e32 v14, 17, v6
	v_cmp_gt_i32_e64 s[18:19], s33, v9
	v_cmp_gt_i32_e64 s[20:21], s33, v14
	s_nop 0
	v_cndmask_b32_e64 v9, v7, v52, s[18:19]
	v_cndmask_b32_e64 v14, v7, v53, s[20:21]
	v_max3_f32 v8, v8, v9, v14
	v_or_b32_e32 v9, 18, v6
	;; [unrolled: 8-line block ×5, first 2 shown]
	v_or_b32_e32 v14, 49, v6
	v_cmp_gt_i32_e32 vcc, s33, v9
	v_cmp_gt_i32_e64 s[4:5], s33, v14
	s_nop 0
	v_cndmask_b32_e32 v9, v7, v48, vcc
	v_cndmask_b32_e64 v14, v7, v49, s[4:5]
	v_max3_f32 v8, v8, v9, v14
	v_or_b32_e32 v9, 50, v6
	v_or_b32_e32 v6, 51, v6
	v_cmp_gt_i32_e64 s[6:7], s33, v9
	v_cmp_gt_i32_e64 s[8:9], s33, v6
	s_nop 0
	v_cndmask_b32_e64 v9, v7, v38, s[6:7]
	v_cndmask_b32_e64 v6, v7, v39, s[8:9]
	v_max3_f32 v8, v8, v9, v6
	v_mbcnt_lo_u32_b32 v6, -1, 0
	v_mbcnt_hi_u32_b32 v9, -1, v6
	v_and_b32_e32 v6, 64, v9
	v_add_u32_e32 v14, 64, v6
	v_xor_b32_e32 v6, 32, v9
	v_cmp_lt_i32_e64 s[38:39], v6, v14
	s_nop 1
	v_cndmask_b32_e64 v6, v9, v6, s[38:39]
	v_lshlrev_b32_e32 v55, 2, v6
	ds_bpermute_b32 v15, v55, v8
	v_mad_i64_i32 v[6:7], s[38:39], v67, s45, v[42:43]
	s_waitcnt lgkmcnt(0)
	v_max_f32_e32 v15, v15, v15
	v_max_f32_e32 v34, v8, v15
	v_xor_b32_e32 v8, 16, v9
	v_cmp_lt_i32_e64 s[38:39], v8, v14
	s_nop 1
	v_cndmask_b32_e64 v8, v9, v8, s[38:39]
	v_lshlrev_b32_e32 v56, 2, v8
	v_mad_i64_i32 v[8:9], s[38:39], v66, s45, v[42:43]
	global_load_dwordx4 v[14:17], v[6:7], off
	s_nop 0
	global_load_dwordx4 v[6:9], v[8:9], off
	ds_bpermute_b32 v35, v56, v34
	s_waitcnt lgkmcnt(0)
	s_barrier
	v_max_f32_e32 v35, v35, v35
	v_max_f32_e32 v54, v34, v35
	v_sub_f32_e32 v42, v52, v54
	v_mul_f32_e32 v42, 0x3fb8aa3b, v42
	v_exp_f32_e32 v42, v42
	v_sub_f32_e32 v36, v36, v54
	v_sub_f32_e32 v34, v44, v54
	v_mul_f32_e32 v36, 0x3fb8aa3b, v36
	v_mul_f32_e32 v34, 0x3fb8aa3b, v34
	v_sub_f32_e32 v35, v45, v54
	v_sub_f32_e32 v43, v53, v54
	v_exp_f32_e32 v44, v36
	v_sub_f32_e32 v36, v37, v54
	v_sub_f32_e32 v48, v48, v54
	;; [unrolled: 1-line block ×3, first 2 shown]
	v_exp_f32_e32 v34, v34
	v_mul_f32_e32 v35, 0x3fb8aa3b, v35
	v_sub_f32_e32 v40, v40, v54
	v_mul_f32_e32 v43, 0x3fb8aa3b, v43
	v_mul_f32_e32 v36, 0x3fb8aa3b, v36
	v_mul_f32_e32 v48, 0x3fb8aa3b, v48
	v_mul_f32_e32 v38, 0x3fb8aa3b, v38
	v_exp_f32_e32 v35, v35
	v_mul_f32_e32 v40, 0x3fb8aa3b, v40
	v_sub_f32_e32 v41, v41, v54
	v_exp_f32_e32 v43, v43
	v_exp_f32_e32 v45, v36
	v_cndmask_b32_e64 v36, 0, v42, s[18:19]
	v_sub_f32_e32 v42, v50, v54
	v_exp_f32_e32 v48, v48
	v_exp_f32_e32 v50, v38
	;; [unrolled: 1-line block ×3, first 2 shown]
	v_mul_f32_e32 v41, 0x3fb8aa3b, v41
	v_exp_f32_e32 v41, v41
	v_sub_f32_e32 v38, v39, v54
	v_cndmask_b32_e64 v34, 0, v34, s[26:27]
	v_mul_f32_e32 v38, 0x3fb8aa3b, v38
	v_cndmask_b32_e64 v35, 0, v35, s[28:29]
	v_cndmask_b32_e64 v37, 0, v43, s[20:21]
	v_sub_f32_e32 v43, v51, v54
	v_exp_f32_e32 v51, v38
	v_cndmask_b32_e32 v38, 0, v48, vcc
	v_cndmask_b32_e64 v48, 0, v50, s[6:7]
	v_add_f32_e32 v50, 0, v34
	v_cndmask_b32_e64 v40, 0, v40, s[30:31]
	v_add_f32_e32 v50, v50, v35
	v_cndmask_b32_e64 v41, 0, v41, s[34:35]
	v_mul_f32_e32 v42, 0x3fb8aa3b, v42
	v_add_f32_e32 v50, v50, v40
	v_exp_f32_e32 v42, v42
	v_mul_f32_e32 v43, 0x3fb8aa3b, v43
	v_sub_f32_e32 v46, v46, v54
	v_add_f32_e32 v50, v50, v41
	v_exp_f32_e32 v43, v43
	v_mul_f32_e32 v46, 0x3fb8aa3b, v46
	v_sub_f32_e32 v47, v47, v54
	v_add_f32_e32 v50, v50, v36
	v_cndmask_b32_e64 v44, 0, v44, s[22:23]
	v_exp_f32_e32 v46, v46
	v_mul_f32_e32 v47, 0x3fb8aa3b, v47
	v_add_f32_e32 v50, v50, v37
	v_cndmask_b32_e64 v45, 0, v45, s[36:37]
	v_exp_f32_e32 v47, v47
	v_sub_f32_e32 v49, v49, v54
	v_add_f32_e32 v50, v50, v44
	v_cndmask_b32_e64 v42, 0, v42, s[10:11]
	v_mul_f32_e32 v49, 0x3fb8aa3b, v49
	v_add_f32_e32 v50, v50, v45
	v_cndmask_b32_e64 v43, 0, v43, s[12:13]
	v_exp_f32_e32 v49, v49
	v_add_f32_e32 v50, v50, v42
	v_cndmask_b32_e64 v46, 0, v46, s[14:15]
	v_add_f32_e32 v50, v50, v43
	v_cndmask_b32_e64 v47, 0, v47, s[16:17]
	v_add_f32_e32 v50, v50, v46
	v_add_f32_e32 v50, v50, v47
	v_cndmask_b32_e64 v39, 0, v49, s[4:5]
	v_add_f32_e32 v50, v50, v38
	;; [unrolled: 3-line block ×3, first 2 shown]
	v_add_f32_e32 v50, v50, v49
	ds_bpermute_b32 v51, v55, v50
	v_cmp_gt_u32_e32 vcc, 16, v65
	s_waitcnt lgkmcnt(0)
	v_add_f32_e32 v50, v50, v51
	ds_bpermute_b32 v51, v56, v50
	s_and_saveexec_b64 s[4:5], vcc
	s_cbranch_execz .LBB999_13
; %bb.12:
	s_waitcnt lgkmcnt(0)
	v_add_f32_e32 v50, v50, v51
	v_lshlrev_b32_e32 v51, 2, v59
	ds_write2st64_b32 v51, v54, v50 offset1:1
.LBB999_13:
	s_or_b64 exec, exec, s[4:5]
	s_waitcnt lgkmcnt(0)
	v_lshlrev_b32_e32 v51, 2, v60
	s_load_dword s6, s[0:1], 0x94
	s_waitcnt lgkmcnt(0)
	s_barrier
	ds_read2_b32 v[52:53], v51 offset1:16
	ds_read2_b32 v[54:55], v51 offset0:32 offset1:48
	ds_read2_b32 v[56:57], v51 offset0:64 offset1:80
	s_mul_i32 s7, s25, 12
	s_waitcnt lgkmcnt(2)
	v_max3_f32 v50, v52, s40, v53
	s_waitcnt lgkmcnt(1)
	v_max3_f32 v50, v50, v54, v55
	v_sub_f32_e32 v52, v52, v50
	v_mul_f32_e32 v52, 0x3fb8aa3b, v52
	v_exp_f32_e32 v59, v52
	v_sub_f32_e32 v52, v53, v50
	v_mul_f32_e32 v52, 0x3fb8aa3b, v52
	v_exp_f32_e32 v62, v52
	;; [unrolled: 3-line block ×3, first 2 shown]
	ds_read2_b32 v[52:53], v51 offset0:96 offset1:112
	v_sub_f32_e32 v51, v55, v50
	v_mul_f32_e32 v51, 0x3fb8aa3b, v51
	v_exp_f32_e32 v55, v51
	s_waitcnt lgkmcnt(1)
	v_fma_f32 v51, v59, v56, 0
	v_fmac_f32_e32 v51, v62, v57
	s_waitcnt lgkmcnt(0)
	v_fmac_f32_e32 v51, v54, v52
	v_fmac_f32_e32 v51, v55, v53
	v_add_f32_e32 v52, 0x358637bd, v51
	v_div_scale_f32 v53, s[4:5], v52, v52, 1.0
	v_rcp_f32_e32 v56, v53
	s_barrier
	v_fma_f32 v57, -v53, v56, 1.0
	v_fmac_f32_e32 v56, v57, v56
	v_div_scale_f32 v57, vcc, 1.0, v52, 1.0
	v_mul_f32_e32 v63, v57, v56
	v_fma_f32 v65, -v53, v63, v57
	v_fmac_f32_e32 v63, v65, v56
	v_fma_f32 v53, -v53, v63, v57
	v_div_fmas_f32 v53, v53, v56, v63
	v_cmp_eq_u32_e32 vcc, 1, v61
	v_div_fixup_f32 v52, v53, v52, 1.0
	s_nop 0
	v_cndmask_b32_e32 v53, v59, v62, vcc
	v_cmp_eq_u32_e32 vcc, 2, v61
	s_nop 1
	v_cndmask_b32_e32 v53, v53, v54, vcc
	v_cmp_eq_u32_e32 vcc, 3, v61
	s_nop 1
	v_cndmask_b32_e32 v53, v53, v55, vcc
	v_mul_f32_e32 v52, v53, v52
	v_pk_mul_f32 v[40:41], v[52:53], v[40:41] op_sel_hi:[0,1]
	v_pk_mul_f32 v[34:35], v[52:53], v[34:35] op_sel_hi:[0,1]
	v_cvt_f16_f32_e32 v53, v40
	v_cvt_f16_f32_e32 v34, v34
	;; [unrolled: 1-line block ×4, first 2 shown]
	v_pk_mul_f32 v[44:45], v[52:53], v[44:45] op_sel_hi:[0,1]
	v_pk_mul_f32 v[36:37], v[52:53], v[36:37] op_sel_hi:[0,1]
	v_cvt_f16_f32_e32 v36, v36
	v_cvt_f16_f32_e32 v37, v37
	;; [unrolled: 1-line block ×4, first 2 shown]
	v_pack_b32_f16 v40, v34, v35
	v_pack_b32_f16 v41, v53, v41
	v_lshlrev_b32_e32 v35, 3, v1
	v_lshlrev_b32_e32 v34, 5, v60
	;; [unrolled: 1-line block ×3, first 2 shown]
	v_or3_b32 v54, v53, v34, v35
	v_pack_b32_f16 v36, v36, v37
	v_pack_b32_f16 v37, v44, v45
	ds_write2st64_b64 v54, v[40:41], v[36:37] offset1:1
	v_pk_mul_f32 v[36:37], v[52:53], v[46:47] op_sel_hi:[0,1]
	v_pk_mul_f32 v[40:41], v[52:53], v[42:43] op_sel_hi:[0,1]
	v_cvt_f16_f32_e32 v35, v40
	v_cvt_f16_f32_e32 v40, v41
	;; [unrolled: 1-line block ×4, first 2 shown]
	v_pk_mul_f32 v[36:37], v[52:53], v[48:49] op_sel_hi:[0,1]
	v_pk_mul_f32 v[38:39], v[52:53], v[38:39] op_sel_hi:[0,1]
	v_cvt_f16_f32_e32 v38, v38
	v_cvt_f16_f32_e32 v39, v39
	;; [unrolled: 1-line block ×4, first 2 shown]
	v_pack_b32_f16 v36, v35, v40
	v_pack_b32_f16 v37, v41, v42
	;; [unrolled: 1-line block ×4, first 2 shown]
	v_cmp_gt_u32_e32 vcc, 12, v0
	ds_write2st64_b64 v54, v[36:37], v[38:39] offset0:2 offset1:3
	s_and_saveexec_b64 s[4:5], vcc
	s_cbranch_execz .LBB999_15
; %bb.14:
	s_mov_b32 s49, 0
	v_mov_b32_e32 v61, 0
	v_lshl_add_u64 v[36:37], s[48:49], 0, v[60:61]
	v_mov_b32_e32 v35, s7
	v_mad_u64_u32 v[36:37], s[12:13], s2, v35, v[36:37]
	s_mul_i32 s3, s3, s7
	v_mov_b32_e32 v38, s24
	v_mov_b32_e32 v39, v61
	s_load_dwordx4 s[8:11], s[0:1], 0x58
	v_add_u32_e32 v35, s3, v37
	v_mad_u64_u32 v[36:37], s[12:13], v36, s6, v[38:39]
	v_mov_b32_e32 v38, v37
	v_mad_u64_u32 v[38:39], s[12:13], v35, s6, v[38:39]
	v_mov_b32_e32 v37, v38
	v_lshlrev_b64 v[36:37], 2, v[36:37]
	s_waitcnt lgkmcnt(0)
	v_lshl_add_u64 v[38:39], s[10:11], 0, v[36:37]
	v_lshl_add_u64 v[36:37], s[8:9], 0, v[36:37]
	global_store_dword v[38:39], v50, off
	global_store_dword v[36:37], v51, off
.LBB999_15:
	s_or_b64 exec, exec, s[4:5]
	s_waitcnt vmcnt(7)
	v_cvt_pk_f32_fp8_e32 v[36:37], v30
	v_lshl_or_b32 v50, v1, 9, v34
	v_cvt_pk_f32_fp8_sdwa v[34:35], v30 src0_sel:WORD_1
	s_waitcnt lgkmcnt(0)
	s_barrier
	v_cvt_pk_f32_fp8_e32 v[38:39], v31
	v_cvt_pkrtz_f16_f32 v30, v36, v37
	v_cvt_pk_f32_fp8_sdwa v[40:41], v31 src0_sel:WORD_1
	v_cvt_pkrtz_f16_f32 v31, v34, v35
	ds_read_b128 v[34:37], v50
	v_cvt_pkrtz_f16_f32 v46, v38, v39
	v_cvt_pkrtz_f16_f32 v47, v40, v41
	ds_read_b128 v[38:41], v50 offset:16
	v_cvt_pk_f32_fp8_e32 v[48:49], v32
	v_cvt_pk_f32_fp8_sdwa v[52:53], v32 src0_sel:WORD_1
	s_waitcnt lgkmcnt(1)
	v_mfma_f32_16x16x16_f16 v[42:45], v[30:31], v[34:35], 0
	s_waitcnt vmcnt(6)
	v_cvt_pk_f32_fp8_e32 v[56:57], v24
	v_cvt_pkrtz_f16_f32 v30, v48, v49
	v_cvt_pkrtz_f16_f32 v31, v52, v53
	v_cvt_pk_f32_fp8_e32 v[48:49], v33
	v_mfma_f32_16x16x16_f16 v[42:45], v[46:47], v[36:37], v[42:45]
	v_cvt_pk_f32_fp8_sdwa v[46:47], v33 src0_sel:WORD_1
	v_cvt_pk_f32_fp8_sdwa v[62:63], v24 src0_sel:WORD_1
	v_cvt_pkrtz_f16_f32 v48, v48, v49
	s_waitcnt lgkmcnt(0)
	v_mfma_f32_16x16x16_f16 v[30:33], v[30:31], v[38:39], v[42:45]
	v_cvt_pkrtz_f16_f32 v49, v46, v47
	s_waitcnt vmcnt(4)
	v_cvt_pk_f32_fp8_sdwa v[70:71], v4 src0_sel:WORD_1
	s_waitcnt vmcnt(3)
	v_cvt_pk_f32_fp8_sdwa v[72:73], v28 src0_sel:WORD_1
	v_cvt_pk_f32_fp8_e32 v[42:43], v22
	v_mfma_f32_16x16x16_f16 v[46:49], v[48:49], v[40:41], v[30:33]
	s_load_dword s4, s[42:43], 0x0
	s_mov_b32 s3, 0
	s_nop 0
	v_cvt_pk_f32_fp8_sdwa v[30:31], v22 src0_sel:WORD_1
	v_cvt_pk_f32_fp8_e32 v[32:33], v23
	v_cvt_pkrtz_f16_f32 v22, v42, v43
	v_cvt_pk_f32_fp8_sdwa v[42:43], v23 src0_sel:WORD_1
	v_cvt_pkrtz_f16_f32 v23, v30, v31
	v_cvt_pkrtz_f16_f32 v52, v32, v33
	ds_read_b128 v[30:33], v50 offset:2048
	v_cvt_pkrtz_f16_f32 v53, v42, v43
	ds_read_b128 v[42:45], v50 offset:2064
	s_waitcnt lgkmcnt(0)
	v_mfma_f32_16x16x16_f16 v[46:49], v[22:23], v[30:31], v[46:49]
	v_cvt_pkrtz_f16_f32 v22, v56, v57
	v_cvt_pkrtz_f16_f32 v23, v62, v63
	v_cvt_pk_f32_fp8_e32 v[56:57], v25
	v_mfma_f32_16x16x16_f16 v[46:49], v[52:53], v[32:33], v[46:49]
	v_cvt_pk_f32_fp8_sdwa v[52:53], v25 src0_sel:WORD_1
	v_cvt_pk_f32_fp8_sdwa v[62:63], v12 src0_sel:WORD_1
	v_cvt_pkrtz_f16_f32 v56, v56, v57
	v_mfma_f32_16x16x16_f16 v[22:25], v[22:23], v[42:43], v[46:49]
	v_cvt_pkrtz_f16_f32 v57, v52, v53
	v_cmp_gt_u32_e32 vcc, 64, v0
	s_nop 0
	v_cvt_pk_f32_fp8_e32 v[46:47], v10
	v_mfma_f32_16x16x16_f16 v[66:69], v[56:57], v[44:45], v[22:25]
	v_cvt_pk_f32_fp8_e32 v[56:57], v12
	s_nop 1
	v_cvt_pk_f32_fp8_sdwa v[22:23], v10 src0_sel:WORD_1
	v_cvt_pk_f32_fp8_e32 v[24:25], v11
	v_cvt_pkrtz_f16_f32 v10, v46, v47
	v_cvt_pk_f32_fp8_sdwa v[46:47], v11 src0_sel:WORD_1
	v_cvt_pkrtz_f16_f32 v11, v22, v23
	v_cvt_pkrtz_f16_f32 v52, v24, v25
	ds_read_b128 v[22:25], v50 offset:4096
	v_cvt_pkrtz_f16_f32 v53, v46, v47
	ds_read_b128 v[46:49], v50 offset:4112
	s_waitcnt lgkmcnt(1)
	v_mfma_f32_16x16x16_f16 v[66:69], v[10:11], v[22:23], v[66:69]
	v_cvt_pkrtz_f16_f32 v10, v56, v57
	v_cvt_pkrtz_f16_f32 v11, v62, v63
	v_cvt_pk_f32_fp8_e32 v[56:57], v13
	v_mfma_f32_16x16x16_f16 v[66:69], v[52:53], v[24:25], v[66:69]
	v_cvt_pk_f32_fp8_sdwa v[52:53], v13 src0_sel:WORD_1
	v_cvt_pk_f32_fp8_e32 v[62:63], v4
	v_cvt_pkrtz_f16_f32 v56, v56, v57
	s_waitcnt lgkmcnt(0)
	v_mfma_f32_16x16x16_f16 v[10:13], v[10:11], v[46:47], v[66:69]
	v_cvt_pkrtz_f16_f32 v57, v52, v53
	v_cvt_pk_f32_fp8_e32 v[52:53], v2
	s_nop 0
	v_mfma_f32_16x16x16_f16 v[66:69], v[56:57], v[48:49], v[10:13]
	s_nop 2
	v_cvt_pk_f32_fp8_sdwa v[10:11], v2 src0_sel:WORD_1
	v_cvt_pk_f32_fp8_e32 v[12:13], v3
	v_cvt_pkrtz_f16_f32 v2, v52, v53
	v_cvt_pk_f32_fp8_sdwa v[52:53], v3 src0_sel:WORD_1
	v_cvt_pkrtz_f16_f32 v3, v10, v11
	v_cvt_pkrtz_f16_f32 v56, v12, v13
	ds_read_b128 v[10:13], v50 offset:6144
	v_cvt_pkrtz_f16_f32 v57, v52, v53
	s_waitcnt lgkmcnt(0)
	v_mfma_f32_16x16x16_f16 v[66:69], v[2:3], v[10:11], v[66:69]
	ds_read_b128 v[50:53], v50 offset:6160
	v_cvt_pkrtz_f16_f32 v2, v62, v63
	v_cvt_pkrtz_f16_f32 v3, v70, v71
	v_cvt_pk_f32_fp8_e32 v[62:63], v5
	v_mfma_f32_16x16x16_f16 v[66:69], v[56:57], v[12:13], v[66:69]
	v_cvt_pk_f32_fp8_sdwa v[56:57], v5 src0_sel:WORD_1
	v_cvt_pk_f32_fp8_e32 v[70:71], v28
	v_cvt_pkrtz_f16_f32 v62, v62, v63
	s_waitcnt lgkmcnt(0)
	v_mfma_f32_16x16x16_f16 v[2:5], v[2:3], v[50:51], v[66:69]
	v_cvt_pkrtz_f16_f32 v63, v56, v57
	v_cvt_pk_f32_fp8_e32 v[56:57], v26
	s_nop 0
	v_cvt_pk_f32_fp8_sdwa v[66:67], v26 src0_sel:WORD_1
	v_mfma_f32_16x16x16_f16 v[2:5], v[62:63], v[52:53], v[2:5]
	v_cvt_pk_f32_fp8_e32 v[62:63], v27
	v_cvt_pkrtz_f16_f32 v56, v56, v57
	v_cvt_pkrtz_f16_f32 v57, v66, v67
	v_cvt_pk_f32_fp8_sdwa v[26:27], v27 src0_sel:WORD_1
	v_cvt_pkrtz_f16_f32 v62, v62, v63
	v_mfma_f32_16x16x16_f16 v[66:69], v[56:57], v[34:35], 0
	v_cvt_pkrtz_f16_f32 v63, v26, v27
	v_cvt_pkrtz_f16_f32 v26, v70, v71
	;; [unrolled: 1-line block ×3, first 2 shown]
	v_cvt_pk_f32_fp8_e32 v[56:57], v29
	v_mfma_f32_16x16x16_f16 v[34:37], v[62:63], v[36:37], v[66:69]
	v_cvt_pk_f32_fp8_sdwa v[62:63], v29 src0_sel:WORD_1
	v_cvt_pkrtz_f16_f32 v56, v56, v57
	s_barrier
	v_mfma_f32_16x16x16_f16 v[26:29], v[26:27], v[38:39], v[34:37]
	v_cvt_pkrtz_f16_f32 v57, v62, v63
	s_waitcnt vmcnt(2)
	v_cvt_pk_f32_fp8_e32 v[38:39], v19
	v_cvt_pk_f32_fp8_e32 v[34:35], v18
	v_cvt_pk_f32_fp8_sdwa v[36:37], v18 src0_sel:WORD_1
	v_cvt_pk_f32_fp8_sdwa v[18:19], v19 src0_sel:WORD_1
	v_mfma_f32_16x16x16_f16 v[26:29], v[56:57], v[40:41], v[26:29]
	v_cvt_pkrtz_f16_f32 v34, v34, v35
	v_cvt_pkrtz_f16_f32 v35, v36, v37
	;; [unrolled: 1-line block ×3, first 2 shown]
	v_cvt_pk_f32_fp8_e32 v[38:39], v20
	v_cvt_pk_f32_fp8_sdwa v[40:41], v20 src0_sel:WORD_1
	v_cvt_pkrtz_f16_f32 v37, v18, v19
	v_mfma_f32_16x16x16_f16 v[26:29], v[34:35], v[30:31], v[26:29]
	v_cvt_pkrtz_f16_f32 v30, v38, v39
	v_cvt_pkrtz_f16_f32 v31, v40, v41
	v_cvt_pk_f32_fp8_e32 v[34:35], v21
	v_cvt_pk_f32_fp8_sdwa v[38:39], v21 src0_sel:WORD_1
	v_mfma_f32_16x16x16_f16 v[18:21], v[36:37], v[32:33], v[26:29]
	s_waitcnt vmcnt(1)
	v_cvt_pk_f32_fp8_sdwa v[32:33], v16 src0_sel:WORD_1
	s_nop 0
	v_cvt_pkrtz_f16_f32 v26, v34, v35
	v_cvt_pkrtz_f16_f32 v27, v38, v39
	v_mfma_f32_16x16x16_f16 v[18:21], v[30:31], v[42:43], v[18:21]
	v_cvt_pk_f32_fp8_e32 v[28:29], v14
	v_cvt_pk_f32_fp8_sdwa v[30:31], v14 src0_sel:WORD_1
	v_cvt_pkrtz_f16_f32 v28, v28, v29
	v_mfma_f32_16x16x16_f16 v[18:21], v[26:27], v[44:45], v[18:21]
	v_cvt_pk_f32_fp8_e32 v[26:27], v15
	v_cvt_pkrtz_f16_f32 v29, v30, v31
	v_cvt_pk_f32_fp8_sdwa v[14:15], v15 src0_sel:WORD_1
	v_cvt_pk_f32_fp8_e32 v[30:31], v16
	v_cvt_pkrtz_f16_f32 v26, v26, v27
	v_mfma_f32_16x16x16_f16 v[18:21], v[28:29], v[22:23], v[18:21]
	v_cvt_pkrtz_f16_f32 v27, v14, v15
	v_cvt_pkrtz_f16_f32 v22, v30, v31
	;; [unrolled: 1-line block ×3, first 2 shown]
	v_cvt_pk_f32_fp8_e32 v[28:29], v17
	v_cvt_pk_f32_fp8_sdwa v[30:31], v17 src0_sel:WORD_1
	v_mfma_f32_16x16x16_f16 v[14:17], v[26:27], v[24:25], v[18:21]
	s_waitcnt vmcnt(0)
	v_cvt_pk_f32_fp8_sdwa v[24:25], v6 src0_sel:WORD_1
	s_nop 0
	v_pk_mul_f32 v[18:19], v[4:5], s[4:5] op_sel_hi:[1,0]
	v_cvt_pkrtz_f16_f32 v4, v28, v29
	v_cvt_pkrtz_f16_f32 v5, v30, v31
	v_mfma_f32_16x16x16_f16 v[14:17], v[22:23], v[46:47], v[14:17]
	v_cvt_pk_f32_fp8_e32 v[22:23], v6
	v_pk_mul_f32 v[20:21], v[2:3], s[4:5] op_sel_hi:[1,0]
	v_mfma_f32_16x16x16_f16 v[2:5], v[4:5], v[48:49], v[14:17]
	s_nop 3
	v_cvt_pk_f32_fp8_e32 v[14:15], v7
	v_cvt_pkrtz_f16_f32 v16, v22, v23
	v_cvt_pkrtz_f16_f32 v17, v24, v25
	v_cvt_pk_f32_fp8_sdwa v[6:7], v7 src0_sel:WORD_1
	v_cvt_pkrtz_f16_f32 v14, v14, v15
	v_cvt_pk_f32_fp8_e32 v[22:23], v8
	v_cvt_pk_f32_fp8_sdwa v[24:25], v8 src0_sel:WORD_1
	v_cvt_pkrtz_f16_f32 v15, v6, v7
	v_mfma_f32_16x16x16_f16 v[2:5], v[16:17], v[10:11], v[2:5]
	v_cvt_pkrtz_f16_f32 v6, v22, v23
	v_cvt_pkrtz_f16_f32 v7, v24, v25
	v_cvt_pk_f32_fp8_e32 v[10:11], v9
	v_cvt_pk_f32_fp8_sdwa v[8:9], v9 src0_sel:WORD_1
	v_mfma_f32_16x16x16_f16 v[2:5], v[14:15], v[12:13], v[2:5]
	v_cvt_f16_f32_e32 v12, v20
	v_cvt_pkrtz_f16_f32 v10, v10, v11
	v_cvt_pkrtz_f16_f32 v11, v8, v9
	v_mfma_f32_16x16x16_f16 v[2:5], v[6:7], v[50:51], v[2:5]
	v_cvt_f16_f32_e32 v6, v21
	v_cvt_f16_f32_e32 v7, v18
	;; [unrolled: 1-line block ×3, first 2 shown]
	v_mfma_f32_16x16x16_f16 v[2:5], v[10:11], v[52:53], v[2:5]
	s_nop 6
	v_pk_mul_f32 v[4:5], v[4:5], s[4:5] op_sel_hi:[1,0]
	v_pk_mul_f32 v[2:3], v[2:3], s[4:5] op_sel_hi:[1,0]
	v_cvt_f16_f32_e32 v11, v4
	v_cvt_f16_f32_e32 v9, v2
	;; [unrolled: 1-line block ×4, first 2 shown]
	v_pack_b32_f16 v2, v12, v6
	v_pack_b32_f16 v3, v7, v8
	;; [unrolled: 1-line block ×4, first 2 shown]
	ds_write2st64_b64 v54, v[2:3], v[4:5] offset1:1
	s_waitcnt lgkmcnt(0)
	s_barrier
	s_and_saveexec_b64 s[4:5], vcc
	s_cbranch_execz .LBB999_17
; %bb.16:
	s_load_dwordx2 s[0:1], s[0:1], 0x68
	s_lshl_b32 s6, s6, 7
	s_mul_i32 s2, s7, s2
	s_mul_hi_u32 s5, s2, s6
	s_mul_i32 s4, s2, s6
	s_lshl_b64 s[4:5], s[4:5], 1
	v_lshlrev_b32_e32 v4, 6, v60
	s_waitcnt lgkmcnt(0)
	s_add_u32 s4, s0, s4
	v_lshl_or_b32 v0, v0, 10, v4
	s_addc_u32 s5, s1, s5
	s_lshl_b32 s2, s24, 7
	v_lshlrev_b32_e32 v2, 5, v1
	v_and_b32_e32 v3, 16, v64
	v_and_b32_e32 v0, 0x1a00, v0
	s_lshl_b64 s[0:1], s[2:3], 1
	v_or3_b32 v0, v0, v2, v3
	s_add_u32 s0, s4, s0
	ds_read_b128 v[2:5], v0
	ds_read_b128 v[6:9], v0 offset:128
	ds_read_b128 v[10:13], v0 offset:256
	s_addc_u32 s1, s5, s1
	v_or_b32_e32 v16, s48, v1
	v_mov_b32_e32 v59, 0
	v_lshl_add_u64 v[0:1], s[0:1], 0, v[58:59]
	v_mad_u64_u32 v[14:15], s[0:1], v16, s6, 0
	v_lshl_add_u64 v[14:15], v[14:15], 1, v[0:1]
	s_waitcnt lgkmcnt(2)
	global_store_dwordx4 v[14:15], v[2:5], off
	s_nop 1
	v_add_u32_e32 v2, 4, v16
	v_mad_u64_u32 v[2:3], s[0:1], v2, s6, 0
	v_lshl_add_u64 v[2:3], v[2:3], 1, v[0:1]
	s_waitcnt lgkmcnt(1)
	global_store_dwordx4 v[2:3], v[6:9], off
	v_add_u32_e32 v2, 8, v16
	v_mad_u64_u32 v[2:3], s[0:1], v2, s6, 0
	v_lshl_add_u64 v[0:1], v[2:3], 1, v[0:1]
	s_waitcnt lgkmcnt(0)
	global_store_dwordx4 v[0:1], v[10:13], off
.LBB999_17:
	s_endpgm
	.section	.rodata,"a",@progbits
	.p2align	6, 0x0
	.amdhsa_kernel _Z39paged_attention_ll4mi_QKV_mfma16_kernelIDF16_hLN4vllm18Fp8KVCacheDataTypeE1EDF16_Li16ELi128ELi256ELb0ELi12EEvPKT_PKT0_S7_ifPKiS9_S9_iPKfiiiPfSC_PS2_PT2_iSB_SB_
		.amdhsa_group_segment_fixed_size 8192
		.amdhsa_private_segment_fixed_size 0
		.amdhsa_kernarg_size 400
		.amdhsa_user_sgpr_count 2
		.amdhsa_user_sgpr_dispatch_ptr 0
		.amdhsa_user_sgpr_queue_ptr 0
		.amdhsa_user_sgpr_kernarg_segment_ptr 1
		.amdhsa_user_sgpr_dispatch_id 0
		.amdhsa_user_sgpr_kernarg_preload_length 0
		.amdhsa_user_sgpr_kernarg_preload_offset 0
		.amdhsa_user_sgpr_private_segment_size 0
		.amdhsa_uses_dynamic_stack 0
		.amdhsa_enable_private_segment 0
		.amdhsa_system_sgpr_workgroup_id_x 1
		.amdhsa_system_sgpr_workgroup_id_y 1
		.amdhsa_system_sgpr_workgroup_id_z 1
		.amdhsa_system_sgpr_workgroup_info 0
		.amdhsa_system_vgpr_workitem_id 0
		.amdhsa_next_free_vgpr 88
		.amdhsa_next_free_sgpr 50
		.amdhsa_accum_offset 88
		.amdhsa_reserve_vcc 1
		.amdhsa_float_round_mode_32 0
		.amdhsa_float_round_mode_16_64 0
		.amdhsa_float_denorm_mode_32 3
		.amdhsa_float_denorm_mode_16_64 3
		.amdhsa_dx10_clamp 1
		.amdhsa_ieee_mode 1
		.amdhsa_fp16_overflow 0
		.amdhsa_tg_split 0
		.amdhsa_exception_fp_ieee_invalid_op 0
		.amdhsa_exception_fp_denorm_src 0
		.amdhsa_exception_fp_ieee_div_zero 0
		.amdhsa_exception_fp_ieee_overflow 0
		.amdhsa_exception_fp_ieee_underflow 0
		.amdhsa_exception_fp_ieee_inexact 0
		.amdhsa_exception_int_div_zero 0
	.end_amdhsa_kernel
	.section	.text._Z39paged_attention_ll4mi_QKV_mfma16_kernelIDF16_hLN4vllm18Fp8KVCacheDataTypeE1EDF16_Li16ELi128ELi256ELb0ELi12EEvPKT_PKT0_S7_ifPKiS9_S9_iPKfiiiPfSC_PS2_PT2_iSB_SB_,"axG",@progbits,_Z39paged_attention_ll4mi_QKV_mfma16_kernelIDF16_hLN4vllm18Fp8KVCacheDataTypeE1EDF16_Li16ELi128ELi256ELb0ELi12EEvPKT_PKT0_S7_ifPKiS9_S9_iPKfiiiPfSC_PS2_PT2_iSB_SB_,comdat
.Lfunc_end999:
	.size	_Z39paged_attention_ll4mi_QKV_mfma16_kernelIDF16_hLN4vllm18Fp8KVCacheDataTypeE1EDF16_Li16ELi128ELi256ELb0ELi12EEvPKT_PKT0_S7_ifPKiS9_S9_iPKfiiiPfSC_PS2_PT2_iSB_SB_, .Lfunc_end999-_Z39paged_attention_ll4mi_QKV_mfma16_kernelIDF16_hLN4vllm18Fp8KVCacheDataTypeE1EDF16_Li16ELi128ELi256ELb0ELi12EEvPKT_PKT0_S7_ifPKiS9_S9_iPKfiiiPfSC_PS2_PT2_iSB_SB_
                                        ; -- End function
	.section	.AMDGPU.csdata,"",@progbits
; Kernel info:
; codeLenInByte = 6032
; NumSgprs: 56
; NumVgprs: 88
; NumAgprs: 0
; TotalNumVgprs: 88
; ScratchSize: 0
; MemoryBound: 0
; FloatMode: 240
; IeeeMode: 1
; LDSByteSize: 8192 bytes/workgroup (compile time only)
; SGPRBlocks: 6
; VGPRBlocks: 10
; NumSGPRsForWavesPerEU: 56
; NumVGPRsForWavesPerEU: 88
; AccumOffset: 88
; Occupancy: 5
; WaveLimiterHint : 1
; COMPUTE_PGM_RSRC2:SCRATCH_EN: 0
; COMPUTE_PGM_RSRC2:USER_SGPR: 2
; COMPUTE_PGM_RSRC2:TRAP_HANDLER: 0
; COMPUTE_PGM_RSRC2:TGID_X_EN: 1
; COMPUTE_PGM_RSRC2:TGID_Y_EN: 1
; COMPUTE_PGM_RSRC2:TGID_Z_EN: 1
; COMPUTE_PGM_RSRC2:TIDIG_COMP_CNT: 0
; COMPUTE_PGM_RSRC3_GFX90A:ACCUM_OFFSET: 21
; COMPUTE_PGM_RSRC3_GFX90A:TG_SPLIT: 0
	.section	.text._Z39paged_attention_ll4mi_QKV_mfma16_kernelIDF16_hLN4vllm18Fp8KVCacheDataTypeE1EDF16_Li16ELi128ELi256ELb0ELi13EEvPKT_PKT0_S7_ifPKiS9_S9_iPKfiiiPfSC_PS2_PT2_iSB_SB_,"axG",@progbits,_Z39paged_attention_ll4mi_QKV_mfma16_kernelIDF16_hLN4vllm18Fp8KVCacheDataTypeE1EDF16_Li16ELi128ELi256ELb0ELi13EEvPKT_PKT0_S7_ifPKiS9_S9_iPKfiiiPfSC_PS2_PT2_iSB_SB_,comdat
	.protected	_Z39paged_attention_ll4mi_QKV_mfma16_kernelIDF16_hLN4vllm18Fp8KVCacheDataTypeE1EDF16_Li16ELi128ELi256ELb0ELi13EEvPKT_PKT0_S7_ifPKiS9_S9_iPKfiiiPfSC_PS2_PT2_iSB_SB_ ; -- Begin function _Z39paged_attention_ll4mi_QKV_mfma16_kernelIDF16_hLN4vllm18Fp8KVCacheDataTypeE1EDF16_Li16ELi128ELi256ELb0ELi13EEvPKT_PKT0_S7_ifPKiS9_S9_iPKfiiiPfSC_PS2_PT2_iSB_SB_
	.globl	_Z39paged_attention_ll4mi_QKV_mfma16_kernelIDF16_hLN4vllm18Fp8KVCacheDataTypeE1EDF16_Li16ELi128ELi256ELb0ELi13EEvPKT_PKT0_S7_ifPKiS9_S9_iPKfiiiPfSC_PS2_PT2_iSB_SB_
	.p2align	8
	.type	_Z39paged_attention_ll4mi_QKV_mfma16_kernelIDF16_hLN4vllm18Fp8KVCacheDataTypeE1EDF16_Li16ELi128ELi256ELb0ELi13EEvPKT_PKT0_S7_ifPKiS9_S9_iPKfiiiPfSC_PS2_PT2_iSB_SB_,@function
_Z39paged_attention_ll4mi_QKV_mfma16_kernelIDF16_hLN4vllm18Fp8KVCacheDataTypeE1EDF16_Li16ELi128ELi256ELb0ELi13EEvPKT_PKT0_S7_ifPKiS9_S9_iPKfiiiPfSC_PS2_PT2_iSB_SB_: ; @_Z39paged_attention_ll4mi_QKV_mfma16_kernelIDF16_hLN4vllm18Fp8KVCacheDataTypeE1EDF16_Li16ELi128ELi256ELb0ELi13EEvPKT_PKT0_S7_ifPKiS9_S9_iPKfiiiPfSC_PS2_PT2_iSB_SB_
; %bb.0:
	s_load_dwordx2 s[12:13], s[0:1], 0x30
	s_mov_b32 s24, s3
	s_mov_b64 s[6:7], 0
	s_waitcnt lgkmcnt(0)
	s_cmp_lg_u64 s[12:13], 0
	s_cselect_b64 s[14:15], -1, 0
	s_and_b64 vcc, exec, s[14:15]
	s_cbranch_vccz .LBB1000_7
; %bb.1:
	s_add_i32 s8, s2, 1
	s_mov_b32 s9, 0
	s_lshl_b64 s[10:11], s[8:9], 2
	s_add_u32 s10, s12, s10
	s_mov_b32 s3, s9
	s_addc_u32 s11, s13, s11
	s_lshl_b64 s[8:9], s[2:3], 2
	s_add_u32 s8, s12, s8
	s_addc_u32 s9, s13, s9
	s_load_dword s5, s[10:11], 0x0
	s_load_dword s16, s[8:9], 0x0
	s_waitcnt lgkmcnt(0)
	s_sub_i32 s5, s5, s16
	s_cmp_eq_u32 s5, 1
	s_cselect_b64 s[8:9], -1, 0
	s_andn2_b64 vcc, exec, s[6:7]
	s_cbranch_vccnz .LBB1000_3
.LBB1000_2:
	s_mov_b32 s3, 0
	s_mov_b64 s[8:9], -1
.LBB1000_3:
	s_andn2_b64 vcc, exec, s[8:9]
	s_cbranch_vccnz .LBB1000_18
; %bb.4:
	s_load_dwordx2 s[6:7], s[0:1], 0x28
	s_lshl_b64 s[16:17], s[2:3], 2
	s_waitcnt lgkmcnt(0)
	s_add_u32 s6, s6, s16
	s_addc_u32 s7, s7, s17
	s_load_dword s33, s[6:7], 0x0
	s_lshl_b32 s18, s24, 8
	s_waitcnt lgkmcnt(0)
	s_cmp_ge_i32 s18, s33
	s_cbranch_scc1 .LBB1000_18
; %bb.5:
	s_load_dwordx2 s[6:7], s[0:1], 0x20
	s_load_dword s8, s[0:1], 0x38
	s_add_i32 s5, s33, 15
	s_ashr_i32 s9, s5, 31
	v_and_b32_e32 v1, 0xcf, v0
	s_lshr_b32 s9, s9, 28
	v_add_u32_e32 v1, s18, v1
	s_add_i32 s5, s5, s9
	v_ashrrev_i32_e32 v2, 31, v1
	s_ashr_i32 s5, s5, 4
	v_lshrrev_b32_e32 v10, 28, v2
	s_add_i32 s5, s5, -1
	s_waitcnt lgkmcnt(0)
	s_mul_i32 s8, s2, s8
	s_mov_b32 s9, 0
	v_add_u32_e32 v2, v1, v10
	s_lshl_b64 s[8:9], s[8:9], 2
	v_ashrrev_i32_e32 v2, 4, v2
	v_mov_b32_e32 v11, s5
	v_cmp_gt_i32_e32 vcc, s33, v1
	s_add_u32 s6, s6, s8
	s_addc_u32 s7, s7, s9
	v_cndmask_b32_e32 v2, v11, v2, vcc
	v_ashrrev_i32_e32 v3, 31, v2
	v_lshl_add_u64 v[4:5], v[2:3], 2, s[6:7]
	v_or_b32_e32 v2, 16, v1
	v_add_u32_e32 v3, v2, v10
	v_ashrrev_i32_e32 v3, 4, v3
	v_cmp_gt_i32_e32 vcc, s33, v2
	s_load_dwordx4 s[8:11], s[0:1], 0x8
	s_nop 0
	v_cndmask_b32_e32 v2, v11, v3, vcc
	v_ashrrev_i32_e32 v3, 31, v2
	v_lshl_add_u64 v[6:7], v[2:3], 2, s[6:7]
	v_or_b32_e32 v2, 32, v1
	v_add_u32_e32 v3, v2, v10
	v_ashrrev_i32_e32 v3, 4, v3
	v_cmp_gt_i32_e32 vcc, s33, v2
	v_or_b32_e32 v1, 48, v1
	s_nop 0
	v_cndmask_b32_e32 v2, v11, v3, vcc
	v_ashrrev_i32_e32 v3, 31, v2
	v_lshl_add_u64 v[8:9], v[2:3], 2, s[6:7]
	v_add_u32_e32 v2, v1, v10
	v_ashrrev_i32_e32 v2, 4, v2
	v_cmp_gt_i32_e32 vcc, s33, v1
	s_nop 1
	v_cndmask_b32_e32 v2, v11, v2, vcc
	v_ashrrev_i32_e32 v3, 31, v2
	v_lshl_add_u64 v[10:11], v[2:3], 2, s[6:7]
	global_load_dword v3, v[4:5], off
	global_load_dword v2, v[6:7], off
	;; [unrolled: 1-line block ×4, first 2 shown]
	s_andn2_b64 vcc, exec, s[14:15]
	s_cbranch_vccnz .LBB1000_8
; %bb.6:
	s_add_u32 s12, s12, s16
	s_addc_u32 s13, s13, s17
	s_load_dword s14, s[12:13], 0x0
	s_branch .LBB1000_9
.LBB1000_7:
	s_mov_b64 s[8:9], 0
	s_branch .LBB1000_2
.LBB1000_8:
	s_mov_b32 s14, s2
.LBB1000_9:
	s_load_dwordx4 s[44:47], s[0:1], 0x48
	v_lshrrev_b32_e32 v61, 6, v0
	v_bfe_u32 v64, v0, 4, 2
	v_and_b32_e32 v60, 15, v0
	v_lshl_or_b32 v4, v61, 2, v64
	v_lshlrev_b32_e32 v1, 3, v60
	v_and_b32_e32 v65, 63, v0
	s_mul_i32 s48, s4, 13
	v_cmp_gt_u32_e32 vcc, 13, v4
	v_lshlrev_b32_e32 v58, 1, v1
	v_lshlrev_b32_e32 v1, 4, v0
	s_and_saveexec_b64 s[12:13], vcc
	s_cbranch_execz .LBB1000_11
; %bb.10:
	s_load_dwordx2 s[16:17], s[0:1], 0x0
	s_waitcnt lgkmcnt(0)
	s_ashr_i32 s15, s44, 31
	s_mul_hi_u32 s19, s14, s44
	s_mul_i32 s15, s14, s15
	s_add_i32 s15, s19, s15
	s_mul_i32 s14, s14, s44
	s_lshl_b64 s[14:15], s[14:15], 1
	s_add_u32 s14, s16, s14
	v_add_lshl_u32 v6, v4, s48, 7
	s_addc_u32 s15, s17, s15
	v_ashrrev_i32_e32 v7, 31, v6
	v_lshl_add_u64 v[6:7], v[6:7], 1, s[14:15]
	v_mov_b32_e32 v59, 0
	v_lshl_add_u64 v[6:7], v[6:7], 0, v[58:59]
	global_load_dwordx4 v[6:9], v[6:7], off
	v_lshlrev_b32_e32 v10, 8, v0
	v_lshlrev_b32_e32 v5, 8, v60
	v_and_b32_e32 v10, 0x600, v10
	s_movk_i32 s14, 0x800
	v_and_or_b32 v5, v5, s14, v10
	v_lshlrev_b32_e32 v4, 5, v4
	v_and_b32_e32 v10, 16, v1
	v_or3_b32 v4, v5, v4, v10
	s_waitcnt vmcnt(0)
	ds_write_b128 v4, v[6:9]
.LBB1000_11:
	s_or_b64 exec, exec, s[12:13]
	s_waitcnt lgkmcnt(0)
	s_mul_i32 s4, s4, s46
	s_add_u32 s8, s8, s4
	s_addc_u32 s9, s9, 0
	v_and_b32_e32 v62, 0xf0, v1
	v_mov_b32_e32 v63, 0
	v_and_b32_e32 v6, 48, v0
	v_lshl_add_u64 v[30:31], s[8:9], 0, v[62:63]
	v_lshlrev_b32_e32 v62, 4, v6
	s_waitcnt vmcnt(3)
	v_mad_i64_i32 v[4:5], s[8:9], v3, s45, v[30:31]
	v_lshl_add_u64 v[4:5], v[4:5], 0, v[62:63]
	s_load_dword s25, s[0:1], 0x98
	s_load_dwordx4 s[40:43], s[0:1], 0x80
	s_waitcnt lgkmcnt(0)
	s_barrier
	global_load_dwordx4 v[22:25], v[4:5], off
	global_load_dwordx4 v[10:13], v[4:5], off offset:1024
	s_waitcnt vmcnt(4)
	v_mad_i64_i32 v[2:3], s[8:9], v2, s45, v[30:31]
	v_lshl_add_u64 v[32:33], v[2:3], 0, v[62:63]
	global_load_dwordx4 v[2:5], v[32:33], off
	v_add_u32_e32 v7, -13, v60
	v_cmp_gt_u32_e32 vcc, 13, v60
	v_or_b32_e32 v6, s18, v6
	v_mov_b32_e32 v38, s5
	v_cndmask_b32_e32 v7, v7, v60, vcc
	v_lshlrev_b32_e32 v7, 5, v7
	v_ashrrev_i32_e32 v8, 4, v6
	v_lshl_add_u32 v7, v64, 9, v7
	v_cmp_gt_i32_e32 vcc, s33, v6
	v_or_b32_e32 v39, 64, v6
	v_or_b32_e32 v43, 0x80, v6
	;; [unrolled: 1-line block ×3, first 2 shown]
	v_cndmask_b32_e32 v40, v38, v8, vcc
	ds_read_b128 v[26:29], v7
	ds_read_b128 v[18:21], v7 offset:16
	ds_read_b128 v[14:17], v7 offset:2048
	;; [unrolled: 1-line block ×3, first 2 shown]
	s_waitcnt vmcnt(4)
	v_mad_i64_i32 v[36:37], s[12:13], v34, s45, v[30:31]
	s_waitcnt vmcnt(3)
	v_mad_i64_i32 v[34:35], s[12:13], v35, s45, v[30:31]
	global_load_dwordx4 v[30:33], v[32:33], off offset:1024
	v_ashrrev_i32_e32 v42, 4, v39
	v_cmp_gt_i32_e32 vcc, s33, v39
	v_ashrrev_i32_e32 v44, 4, v43
	v_ashrrev_i32_e32 v46, 4, v45
	v_cndmask_b32_e32 v42, v38, v42, vcc
	v_cmp_gt_i32_e32 vcc, s33, v43
	v_ashrrev_i32_e32 v41, 31, v40
	v_lshl_add_u64 v[36:37], v[36:37], 0, v[62:63]
	v_cndmask_b32_e32 v44, v38, v44, vcc
	v_cmp_gt_i32_e32 vcc, s33, v45
	v_lshl_add_u64 v[34:35], v[34:35], 0, v[62:63]
	v_ashrrev_i32_e32 v43, 31, v42
	v_cndmask_b32_e32 v38, v38, v46, vcc
	v_ashrrev_i32_e32 v45, 31, v44
	v_ashrrev_i32_e32 v39, 31, v38
	v_lshl_add_u64 v[50:51], v[40:41], 2, s[6:7]
	v_lshl_add_u64 v[52:53], v[42:43], 2, s[6:7]
	;; [unrolled: 1-line block ×4, first 2 shown]
	global_load_dwordx4 v[46:49], v[36:37], off
	global_load_dwordx4 v[42:45], v[36:37], off offset:1024
	global_load_dwordx4 v[38:41], v[34:35], off
	s_nop 0
	global_load_dwordx4 v[34:37], v[34:35], off offset:1024
	s_nop 0
	global_load_dword v69, v[50:51], off
	global_load_dword v68, v[52:53], off
	;; [unrolled: 1-line block ×4, first 2 shown]
	s_add_u32 s4, s10, s4
	v_lshl_or_b32 v59, v61, 4, v60
	s_addc_u32 s5, s11, 0
	v_lshlrev_b32_e32 v62, 4, v59
	s_load_dword s8, s[0:1], 0x1c
	s_waitcnt vmcnt(11)
	v_cvt_pk_f32_fp8_e32 v[50:51], v22
	v_cvt_pk_f32_fp8_sdwa v[52:53], v22 src0_sel:WORD_1
	v_cvt_pk_f32_fp8_e32 v[54:55], v23
	v_cvt_pk_f32_fp8_sdwa v[56:57], v23 src0_sel:WORD_1
	;; [unrolled: 2-line block ×4, first 2 shown]
	s_waitcnt vmcnt(9)
	v_cvt_pk_f32_fp8_e32 v[22:23], v2
	v_cvt_pk_f32_fp8_sdwa v[24:25], v2 src0_sel:WORD_1
	v_cvt_pkrtz_f16_f32 v50, v50, v51
	v_cvt_pkrtz_f16_f32 v51, v52, v53
	v_cvt_pk_f32_fp8_e32 v[78:79], v10
	v_cvt_pk_f32_fp8_sdwa v[80:81], v10 src0_sel:WORD_1
	v_cvt_pk_f32_fp8_e32 v[52:53], v11
	v_cvt_pk_f32_fp8_sdwa v[82:83], v11 src0_sel:WORD_1
	v_cvt_pkrtz_f16_f32 v10, v22, v23
	v_cvt_pkrtz_f16_f32 v11, v24, v25
	;; [unrolled: 1-line block ×4, first 2 shown]
	s_waitcnt lgkmcnt(0)
	v_mfma_f32_16x16x16_f16 v[22:25], v[50:51], v[26:27], 0
	v_cvt_pk_f32_fp8_e32 v[50:51], v12
	v_cvt_pk_f32_fp8_sdwa v[86:87], v12 src0_sel:WORD_1
	v_cvt_pkrtz_f16_f32 v50, v50, v51
	v_mfma_f32_16x16x16_f16 v[54:57], v[10:11], v[26:27], 0
	v_cvt_pkrtz_f16_f32 v10, v70, v71
	v_cvt_pkrtz_f16_f32 v11, v72, v73
	;; [unrolled: 1-line block ×3, first 2 shown]
	v_mfma_f32_16x16x16_f16 v[22:25], v[84:85], v[28:29], v[22:25]
	v_cvt_pkrtz_f16_f32 v73, v76, v77
	v_cvt_pkrtz_f16_f32 v76, v78, v79
	;; [unrolled: 1-line block ×3, first 2 shown]
	v_mfma_f32_16x16x16_f16 v[22:25], v[10:11], v[18:19], v[22:25]
	v_cvt_pk_f32_fp8_e32 v[70:71], v13
	v_cvt_pk_f32_fp8_sdwa v[74:75], v13 src0_sel:WORD_1
	v_cvt_pkrtz_f16_f32 v51, v86, v87
	v_mfma_f32_16x16x16_f16 v[10:13], v[72:73], v[20:21], v[22:25]
	s_waitcnt vmcnt(7)
	v_cvt_pk_f32_fp8_e32 v[72:73], v49
	s_nop 0
	v_cvt_pkrtz_f16_f32 v24, v52, v53
	v_cvt_pkrtz_f16_f32 v25, v82, v83
	v_mfma_f32_16x16x16_f16 v[10:13], v[76:77], v[14:15], v[10:13]
	v_cvt_pk_f32_fp8_e32 v[22:23], v3
	v_cvt_pk_f32_fp8_sdwa v[2:3], v3 src0_sel:WORD_1
	v_cvt_pkrtz_f16_f32 v52, v70, v71
	v_mfma_f32_16x16x16_f16 v[10:13], v[24:25], v[16:17], v[10:13]
	v_cvt_pkrtz_f16_f32 v53, v74, v75
	v_cvt_pk_f32_fp8_e32 v[24:25], v4
	v_cvt_pk_f32_fp8_sdwa v[70:71], v4 src0_sel:WORD_1
	v_mfma_f32_16x16x16_f16 v[10:13], v[50:51], v[6:7], v[10:13]
	v_cvt_pkrtz_f16_f32 v22, v22, v23
	v_cvt_pkrtz_f16_f32 v23, v2, v3
	s_waitcnt vmcnt(6)
	v_cvt_pk_f32_fp8_sdwa v[76:77], v44 src0_sel:WORD_1
	v_mfma_f32_16x16x16_f16 v[50:53], v[52:53], v[8:9], v[10:13]
	s_nop 2
	v_cvt_pkrtz_f16_f32 v10, v24, v25
	v_cvt_pkrtz_f16_f32 v11, v70, v71
	v_cvt_pk_f32_fp8_e32 v[12:13], v5
	v_cvt_pk_f32_fp8_sdwa v[24:25], v5 src0_sel:WORD_1
	v_mfma_f32_16x16x16_f16 v[2:5], v[22:23], v[28:29], v[54:57]
	v_cvt_pk_f32_fp8_sdwa v[22:23], v30 src0_sel:WORD_1
	v_cvt_pkrtz_f16_f32 v12, v12, v13
	v_cvt_pkrtz_f16_f32 v13, v24, v25
	v_mfma_f32_16x16x16_f16 v[2:5], v[10:11], v[18:19], v[2:5]
	v_cvt_pk_f32_fp8_e32 v[10:11], v30
	v_cvt_pk_f32_fp8_e32 v[24:25], v32
	v_lshl_add_u64 v[70:71], s[4:5], 0, v[62:63]
	v_mfma_f32_16x16x16_f16 v[2:5], v[12:13], v[20:21], v[2:5]
	v_cvt_pk_f32_fp8_e32 v[12:13], v31
	v_cvt_pkrtz_f16_f32 v10, v10, v11
	v_cvt_pkrtz_f16_f32 v11, v22, v23
	v_cvt_pk_f32_fp8_sdwa v[22:23], v31 src0_sel:WORD_1
	v_cvt_pkrtz_f16_f32 v12, v12, v13
	v_cvt_pk_f32_fp8_sdwa v[30:31], v32 src0_sel:WORD_1
	v_mfma_f32_16x16x16_f16 v[2:5], v[10:11], v[14:15], v[2:5]
	v_cvt_pkrtz_f16_f32 v13, v22, v23
	v_cvt_pkrtz_f16_f32 v10, v24, v25
	;; [unrolled: 1-line block ×3, first 2 shown]
	v_cvt_pk_f32_fp8_e32 v[22:23], v33
	v_cvt_pk_f32_fp8_sdwa v[24:25], v33 src0_sel:WORD_1
	v_mfma_f32_16x16x16_f16 v[2:5], v[12:13], v[16:17], v[2:5]
	v_or_b32_e32 v62, 0x400, v62
	v_cvt_pkrtz_f16_f32 v12, v22, v23
	v_cvt_pkrtz_f16_f32 v13, v24, v25
	v_mfma_f32_16x16x16_f16 v[2:5], v[10:11], v[6:7], v[2:5]
	v_cvt_pk_f32_fp8_e32 v[10:11], v46
	v_cvt_pk_f32_fp8_sdwa v[22:23], v46 src0_sel:WORD_1
	v_cvt_pk_f32_fp8_sdwa v[24:25], v48 src0_sel:WORD_1
	v_mfma_f32_16x16x16_f16 v[54:57], v[12:13], v[8:9], v[2:5]
	s_waitcnt vmcnt(3)
	v_mad_i64_i32 v[12:13], s[6:7], v69, s45, v[70:71]
	s_nop 0
	v_cvt_pkrtz_f16_f32 v2, v10, v11
	v_cvt_pkrtz_f16_f32 v3, v22, v23
	v_cvt_pk_f32_fp8_e32 v[4:5], v47
	v_cvt_pk_f32_fp8_sdwa v[10:11], v47 src0_sel:WORD_1
	s_waitcnt vmcnt(2)
	v_mad_i64_i32 v[46:47], s[6:7], v68, s45, v[70:71]
	v_cvt_pkrtz_f16_f32 v22, v4, v5
	v_cvt_pkrtz_f16_f32 v23, v10, v11
	v_cvt_pk_f32_fp8_e32 v[10:11], v48
	v_mfma_f32_16x16x16_f16 v[2:5], v[2:3], v[26:27], 0
	v_cvt_pk_f32_fp8_sdwa v[48:49], v49 src0_sel:WORD_1
	v_cvt_pkrtz_f16_f32 v10, v10, v11
	v_cvt_pkrtz_f16_f32 v11, v24, v25
	v_mfma_f32_16x16x16_f16 v[2:5], v[22:23], v[28:29], v[2:5]
	global_load_dwordx4 v[30:33], v[12:13], off
	global_load_dwordx4 v[22:25], v[46:47], off
	v_cvt_pkrtz_f16_f32 v12, v72, v73
	v_cvt_pkrtz_f16_f32 v13, v48, v49
	v_mfma_f32_16x16x16_f16 v[2:5], v[10:11], v[18:19], v[2:5]
	v_cvt_pk_f32_fp8_e32 v[10:11], v42
	v_cvt_pk_f32_fp8_sdwa v[46:47], v42 src0_sel:WORD_1
	s_waitcnt vmcnt(3)
	v_mad_i64_i32 v[72:73], s[6:7], v67, s45, v[70:71]
	v_mfma_f32_16x16x16_f16 v[2:5], v[12:13], v[20:21], v[2:5]
	v_cvt_pkrtz_f16_f32 v10, v10, v11
	v_cvt_pkrtz_f16_f32 v11, v46, v47
	v_cvt_pk_f32_fp8_e32 v[12:13], v43
	v_cvt_pk_f32_fp8_sdwa v[42:43], v43 src0_sel:WORD_1
	v_mfma_f32_16x16x16_f16 v[46:49], v[10:11], v[14:15], v[2:5]
	v_cvt_pkrtz_f16_f32 v74, v12, v13
	v_cvt_pkrtz_f16_f32 v75, v42, v43
	v_cvt_pk_f32_fp8_e32 v[42:43], v44
	s_waitcnt vmcnt(2)
	v_mad_i64_i32 v[70:71], s[6:7], v66, s45, v[70:71]
	global_load_dwordx4 v[10:13], v[72:73], off
	global_load_dwordx4 v[2:5], v[70:71], off
	v_cvt_pkrtz_f16_f32 v70, v42, v43
	v_cvt_pkrtz_f16_f32 v71, v76, v77
	v_cvt_pk_f32_fp8_e32 v[72:73], v45
	v_cvt_pk_f32_fp8_sdwa v[76:77], v45 src0_sel:WORD_1
	v_mfma_f32_16x16x16_f16 v[44:47], v[74:75], v[16:17], v[46:49]
	v_lshl_add_u64 v[42:43], s[4:5], 0, v[62:63]
	v_cvt_pk_f32_fp8_e32 v[62:63], v38
	v_cvt_pk_f32_fp8_sdwa v[74:75], v38 src0_sel:WORD_1
	v_cvt_pkrtz_f16_f32 v48, v72, v73
	v_cvt_pkrtz_f16_f32 v49, v76, v77
	v_mfma_f32_16x16x16_f16 v[44:47], v[70:71], v[6:7], v[44:47]
	s_load_dword s4, s[40:41], 0x0
	s_mov_b32 s40, 0xff7fffff
	v_mfma_f32_16x16x16_f16 v[70:73], v[48:49], v[8:9], v[44:47]
	s_nop 3
	v_cvt_pk_f32_fp8_e32 v[44:45], v39
	v_cvt_pkrtz_f16_f32 v46, v62, v63
	v_cvt_pkrtz_f16_f32 v47, v74, v75
	v_cvt_pk_f32_fp8_sdwa v[38:39], v39 src0_sel:WORD_1
	v_cvt_pkrtz_f16_f32 v48, v44, v45
	v_cvt_pk_f32_fp8_e32 v[62:63], v40
	v_cvt_pk_f32_fp8_sdwa v[74:75], v40 src0_sel:WORD_1
	v_cvt_pkrtz_f16_f32 v49, v38, v39
	v_mfma_f32_16x16x16_f16 v[44:47], v[46:47], v[26:27], 0
	v_cvt_pkrtz_f16_f32 v38, v62, v63
	v_cvt_pkrtz_f16_f32 v39, v74, v75
	v_cvt_pk_f32_fp8_e32 v[62:63], v41
	v_cvt_pk_f32_fp8_sdwa v[74:75], v41 src0_sel:WORD_1
	v_mov_b32_e32 v26, s8
	s_waitcnt lgkmcnt(0)
	v_mul_f32_e32 v76, s4, v26
	v_mfma_f32_16x16x16_f16 v[26:29], v[48:49], v[28:29], v[44:47]
	v_cvt_pk_f32_fp8_sdwa v[48:49], v37 src0_sel:WORD_1
	v_pk_mul_f32 v[40:41], v[76:77], v[52:53] op_sel_hi:[0,1]
	v_pk_mul_f32 v[52:53], v[76:77], v[54:55] op_sel_hi:[0,1]
	v_cvt_pkrtz_f16_f32 v46, v62, v63
	v_cvt_pkrtz_f16_f32 v47, v74, v75
	v_mfma_f32_16x16x16_f16 v[26:29], v[38:39], v[18:19], v[26:29]
	v_cvt_pk_f32_fp8_e32 v[18:19], v34
	v_cvt_pk_f32_fp8_sdwa v[38:39], v34 src0_sel:WORD_1
	v_pk_mul_f32 v[44:45], v[76:77], v[50:51] op_sel_hi:[0,1]
	v_mfma_f32_16x16x16_f16 v[26:29], v[46:47], v[20:21], v[26:29]
	v_cvt_pkrtz_f16_f32 v20, v18, v19
	v_cvt_pkrtz_f16_f32 v21, v38, v39
	v_cvt_pk_f32_fp8_e32 v[38:39], v35
	v_cvt_pk_f32_fp8_sdwa v[34:35], v35 src0_sel:WORD_1
	v_mfma_f32_16x16x16_f16 v[26:29], v[20:21], v[14:15], v[26:29]
	v_cvt_pkrtz_f16_f32 v38, v38, v39
	v_cvt_pkrtz_f16_f32 v39, v34, v35
	v_cvt_pk_f32_fp8_e32 v[14:15], v36
	v_cvt_pk_f32_fp8_sdwa v[20:21], v36 src0_sel:WORD_1
	v_pk_mul_f32 v[50:51], v[76:77], v[70:71] op_sel_hi:[0,1]
	v_mad_i64_i32 v[18:19], s[4:5], v69, s45, v[42:43]
	v_cvt_pkrtz_f16_f32 v46, v14, v15
	v_cvt_pkrtz_f16_f32 v47, v20, v21
	v_cvt_pk_f32_fp8_e32 v[20:21], v37
	v_mfma_f32_16x16x16_f16 v[14:17], v[38:39], v[16:17], v[26:29]
	v_pk_mul_f32 v[36:37], v[76:77], v[56:57] op_sel_hi:[0,1]
	v_mad_i64_i32 v[34:35], s[4:5], v68, s45, v[42:43]
	v_cvt_pkrtz_f16_f32 v20, v20, v21
	v_cvt_pkrtz_f16_f32 v21, v48, v49
	v_mfma_f32_16x16x16_f16 v[14:17], v[46:47], v[6:7], v[14:17]
	v_pk_mul_f32 v[46:47], v[76:77], v[72:73] op_sel_hi:[0,1]
	v_mfma_f32_16x16x16_f16 v[6:9], v[20:21], v[8:9], v[14:17]
	global_load_dwordx4 v[26:29], v[18:19], off
	s_nop 0
	global_load_dwordx4 v[18:21], v[34:35], off
	s_nop 3
	v_pk_mul_f32 v[48:49], v[76:77], v[6:7] op_sel_hi:[0,1]
	v_and_b32_e32 v6, 0xc0, v0
	v_add_u32_e32 v6, s18, v6
	v_lshl_or_b32 v6, v64, 2, v6
	v_pk_mul_f32 v[38:39], v[76:77], v[8:9] op_sel_hi:[0,1]
	v_or_b32_e32 v9, 1, v6
	v_mov_b32_e32 v7, 0xff7fffff
	v_cmp_gt_i32_e64 s[26:27], s33, v6
	v_cmp_gt_i32_e64 s[28:29], s33, v9
	v_or_b32_e32 v14, 3, v6
	v_cndmask_b32_e64 v8, v7, v44, s[26:27]
	v_cndmask_b32_e64 v9, v7, v45, s[28:29]
	v_max3_f32 v8, v8, s40, v9
	v_or_b32_e32 v9, 2, v6
	v_cmp_gt_i32_e64 s[30:31], s33, v9
	v_cmp_gt_i32_e64 s[34:35], s33, v14
	s_nop 0
	v_cndmask_b32_e64 v9, v7, v40, s[30:31]
	v_cndmask_b32_e64 v14, v7, v41, s[34:35]
	v_max3_f32 v8, v8, v9, v14
	v_or_b32_e32 v9, 16, v6
	v_or_b32_e32 v14, 17, v6
	v_cmp_gt_i32_e64 s[18:19], s33, v9
	v_cmp_gt_i32_e64 s[20:21], s33, v14
	s_nop 0
	v_cndmask_b32_e64 v9, v7, v52, s[18:19]
	v_cndmask_b32_e64 v14, v7, v53, s[20:21]
	v_max3_f32 v8, v8, v9, v14
	v_or_b32_e32 v9, 18, v6
	v_or_b32_e32 v14, 19, v6
	v_cmp_gt_i32_e64 s[22:23], s33, v9
	v_cmp_gt_i32_e64 s[36:37], s33, v14
	s_nop 0
	v_cndmask_b32_e64 v9, v7, v36, s[22:23]
	v_cndmask_b32_e64 v14, v7, v37, s[36:37]
	v_max3_f32 v8, v8, v9, v14
	v_or_b32_e32 v9, 32, v6
	v_or_b32_e32 v14, 33, v6
	v_cmp_gt_i32_e64 s[10:11], s33, v9
	v_cmp_gt_i32_e64 s[12:13], s33, v14
	s_nop 0
	v_cndmask_b32_e64 v9, v7, v50, s[10:11]
	v_cndmask_b32_e64 v14, v7, v51, s[12:13]
	v_max3_f32 v8, v8, v9, v14
	v_or_b32_e32 v9, 34, v6
	v_or_b32_e32 v14, 35, v6
	v_cmp_gt_i32_e64 s[14:15], s33, v9
	v_cmp_gt_i32_e64 s[16:17], s33, v14
	s_nop 0
	v_cndmask_b32_e64 v9, v7, v46, s[14:15]
	v_cndmask_b32_e64 v14, v7, v47, s[16:17]
	v_max3_f32 v8, v8, v9, v14
	v_or_b32_e32 v9, 48, v6
	v_or_b32_e32 v14, 49, v6
	v_cmp_gt_i32_e32 vcc, s33, v9
	v_cmp_gt_i32_e64 s[4:5], s33, v14
	s_nop 0
	v_cndmask_b32_e32 v9, v7, v48, vcc
	v_cndmask_b32_e64 v14, v7, v49, s[4:5]
	v_max3_f32 v8, v8, v9, v14
	v_or_b32_e32 v9, 50, v6
	v_or_b32_e32 v6, 51, v6
	v_cmp_gt_i32_e64 s[6:7], s33, v9
	v_cmp_gt_i32_e64 s[8:9], s33, v6
	s_nop 0
	v_cndmask_b32_e64 v9, v7, v38, s[6:7]
	v_cndmask_b32_e64 v6, v7, v39, s[8:9]
	v_max3_f32 v8, v8, v9, v6
	v_mbcnt_lo_u32_b32 v6, -1, 0
	v_mbcnt_hi_u32_b32 v9, -1, v6
	v_and_b32_e32 v6, 64, v9
	v_add_u32_e32 v14, 64, v6
	v_xor_b32_e32 v6, 32, v9
	v_cmp_lt_i32_e64 s[38:39], v6, v14
	s_nop 1
	v_cndmask_b32_e64 v6, v9, v6, s[38:39]
	v_lshlrev_b32_e32 v55, 2, v6
	ds_bpermute_b32 v15, v55, v8
	v_mad_i64_i32 v[6:7], s[38:39], v67, s45, v[42:43]
	s_waitcnt lgkmcnt(0)
	v_max_f32_e32 v15, v15, v15
	v_max_f32_e32 v34, v8, v15
	v_xor_b32_e32 v8, 16, v9
	v_cmp_lt_i32_e64 s[38:39], v8, v14
	s_nop 1
	v_cndmask_b32_e64 v8, v9, v8, s[38:39]
	v_lshlrev_b32_e32 v56, 2, v8
	v_mad_i64_i32 v[8:9], s[38:39], v66, s45, v[42:43]
	global_load_dwordx4 v[14:17], v[6:7], off
	s_nop 0
	global_load_dwordx4 v[6:9], v[8:9], off
	ds_bpermute_b32 v35, v56, v34
	s_waitcnt lgkmcnt(0)
	s_barrier
	v_max_f32_e32 v35, v35, v35
	v_max_f32_e32 v54, v34, v35
	v_sub_f32_e32 v42, v52, v54
	v_mul_f32_e32 v42, 0x3fb8aa3b, v42
	v_exp_f32_e32 v42, v42
	v_sub_f32_e32 v36, v36, v54
	v_sub_f32_e32 v34, v44, v54
	v_mul_f32_e32 v36, 0x3fb8aa3b, v36
	v_mul_f32_e32 v34, 0x3fb8aa3b, v34
	v_sub_f32_e32 v35, v45, v54
	v_sub_f32_e32 v43, v53, v54
	v_exp_f32_e32 v44, v36
	v_sub_f32_e32 v36, v37, v54
	v_sub_f32_e32 v48, v48, v54
	;; [unrolled: 1-line block ×3, first 2 shown]
	v_exp_f32_e32 v34, v34
	v_mul_f32_e32 v35, 0x3fb8aa3b, v35
	v_sub_f32_e32 v40, v40, v54
	v_mul_f32_e32 v43, 0x3fb8aa3b, v43
	v_mul_f32_e32 v36, 0x3fb8aa3b, v36
	;; [unrolled: 1-line block ×4, first 2 shown]
	v_exp_f32_e32 v35, v35
	v_mul_f32_e32 v40, 0x3fb8aa3b, v40
	v_sub_f32_e32 v41, v41, v54
	v_exp_f32_e32 v43, v43
	v_exp_f32_e32 v45, v36
	v_cndmask_b32_e64 v36, 0, v42, s[18:19]
	v_sub_f32_e32 v42, v50, v54
	v_exp_f32_e32 v48, v48
	v_exp_f32_e32 v50, v38
	v_exp_f32_e32 v40, v40
	v_mul_f32_e32 v41, 0x3fb8aa3b, v41
	v_exp_f32_e32 v41, v41
	v_sub_f32_e32 v38, v39, v54
	v_cndmask_b32_e64 v34, 0, v34, s[26:27]
	v_mul_f32_e32 v38, 0x3fb8aa3b, v38
	v_cndmask_b32_e64 v35, 0, v35, s[28:29]
	v_cndmask_b32_e64 v37, 0, v43, s[20:21]
	v_sub_f32_e32 v43, v51, v54
	v_exp_f32_e32 v51, v38
	v_cndmask_b32_e32 v38, 0, v48, vcc
	v_cndmask_b32_e64 v48, 0, v50, s[6:7]
	v_add_f32_e32 v50, 0, v34
	v_cndmask_b32_e64 v40, 0, v40, s[30:31]
	v_add_f32_e32 v50, v50, v35
	v_cndmask_b32_e64 v41, 0, v41, s[34:35]
	v_mul_f32_e32 v42, 0x3fb8aa3b, v42
	v_add_f32_e32 v50, v50, v40
	v_exp_f32_e32 v42, v42
	v_mul_f32_e32 v43, 0x3fb8aa3b, v43
	v_sub_f32_e32 v46, v46, v54
	v_add_f32_e32 v50, v50, v41
	v_exp_f32_e32 v43, v43
	v_mul_f32_e32 v46, 0x3fb8aa3b, v46
	v_sub_f32_e32 v47, v47, v54
	v_add_f32_e32 v50, v50, v36
	v_cndmask_b32_e64 v44, 0, v44, s[22:23]
	v_exp_f32_e32 v46, v46
	v_mul_f32_e32 v47, 0x3fb8aa3b, v47
	v_add_f32_e32 v50, v50, v37
	v_cndmask_b32_e64 v45, 0, v45, s[36:37]
	v_exp_f32_e32 v47, v47
	v_sub_f32_e32 v49, v49, v54
	v_add_f32_e32 v50, v50, v44
	v_cndmask_b32_e64 v42, 0, v42, s[10:11]
	v_mul_f32_e32 v49, 0x3fb8aa3b, v49
	v_add_f32_e32 v50, v50, v45
	v_cndmask_b32_e64 v43, 0, v43, s[12:13]
	v_exp_f32_e32 v49, v49
	v_add_f32_e32 v50, v50, v42
	v_cndmask_b32_e64 v46, 0, v46, s[14:15]
	v_add_f32_e32 v50, v50, v43
	v_cndmask_b32_e64 v47, 0, v47, s[16:17]
	v_add_f32_e32 v50, v50, v46
	v_add_f32_e32 v50, v50, v47
	v_cndmask_b32_e64 v39, 0, v49, s[4:5]
	v_add_f32_e32 v50, v50, v38
	;; [unrolled: 3-line block ×3, first 2 shown]
	v_add_f32_e32 v50, v50, v49
	ds_bpermute_b32 v51, v55, v50
	v_cmp_gt_u32_e64 s[4:5], 16, v65
	s_waitcnt lgkmcnt(0)
	v_add_f32_e32 v50, v50, v51
	ds_bpermute_b32 v51, v56, v50
	s_and_saveexec_b64 s[6:7], s[4:5]
	s_cbranch_execz .LBB1000_13
; %bb.12:
	s_waitcnt lgkmcnt(0)
	v_add_f32_e32 v50, v50, v51
	v_lshlrev_b32_e32 v51, 2, v59
	ds_write2st64_b32 v51, v54, v50 offset1:1
.LBB1000_13:
	s_or_b64 exec, exec, s[6:7]
	s_waitcnt lgkmcnt(0)
	v_lshlrev_b32_e32 v51, 2, v60
	s_load_dword s8, s[0:1], 0x94
	s_waitcnt lgkmcnt(0)
	s_barrier
	ds_read2_b32 v[52:53], v51 offset1:16
	ds_read2_b32 v[54:55], v51 offset0:32 offset1:48
	ds_read2_b32 v[56:57], v51 offset0:64 offset1:80
	s_mul_i32 s9, s25, 13
	s_waitcnt lgkmcnt(2)
	v_max3_f32 v50, v52, s40, v53
	s_waitcnt lgkmcnt(1)
	v_max3_f32 v50, v50, v54, v55
	v_sub_f32_e32 v52, v52, v50
	v_mul_f32_e32 v52, 0x3fb8aa3b, v52
	v_exp_f32_e32 v59, v52
	v_sub_f32_e32 v52, v53, v50
	v_mul_f32_e32 v52, 0x3fb8aa3b, v52
	v_exp_f32_e32 v62, v52
	;; [unrolled: 3-line block ×3, first 2 shown]
	ds_read2_b32 v[52:53], v51 offset0:96 offset1:112
	v_sub_f32_e32 v51, v55, v50
	v_mul_f32_e32 v51, 0x3fb8aa3b, v51
	v_exp_f32_e32 v55, v51
	s_waitcnt lgkmcnt(1)
	v_fma_f32 v51, v59, v56, 0
	v_fmac_f32_e32 v51, v62, v57
	s_waitcnt lgkmcnt(0)
	v_fmac_f32_e32 v51, v54, v52
	v_fmac_f32_e32 v51, v55, v53
	v_add_f32_e32 v52, 0x358637bd, v51
	v_div_scale_f32 v53, s[6:7], v52, v52, 1.0
	v_rcp_f32_e32 v56, v53
	s_barrier
	v_fma_f32 v57, -v53, v56, 1.0
	v_fmac_f32_e32 v56, v57, v56
	v_div_scale_f32 v57, vcc, 1.0, v52, 1.0
	v_mul_f32_e32 v63, v57, v56
	v_fma_f32 v65, -v53, v63, v57
	v_fmac_f32_e32 v63, v65, v56
	v_fma_f32 v53, -v53, v63, v57
	v_div_fmas_f32 v53, v53, v56, v63
	v_cmp_eq_u32_e32 vcc, 1, v61
	v_div_fixup_f32 v52, v53, v52, 1.0
	s_nop 0
	v_cndmask_b32_e32 v53, v59, v62, vcc
	v_cmp_eq_u32_e32 vcc, 2, v61
	s_nop 1
	v_cndmask_b32_e32 v53, v53, v54, vcc
	v_cmp_eq_u32_e32 vcc, 3, v61
	s_nop 1
	v_cndmask_b32_e32 v53, v53, v55, vcc
	v_mul_f32_e32 v52, v53, v52
	v_pk_mul_f32 v[40:41], v[52:53], v[40:41] op_sel_hi:[0,1]
	v_pk_mul_f32 v[34:35], v[52:53], v[34:35] op_sel_hi:[0,1]
	v_cvt_f16_f32_e32 v53, v40
	v_cvt_f16_f32_e32 v34, v34
	;; [unrolled: 1-line block ×4, first 2 shown]
	v_pk_mul_f32 v[44:45], v[52:53], v[44:45] op_sel_hi:[0,1]
	v_pk_mul_f32 v[36:37], v[52:53], v[36:37] op_sel_hi:[0,1]
	v_cvt_f16_f32_e32 v36, v36
	v_cvt_f16_f32_e32 v37, v37
	;; [unrolled: 1-line block ×4, first 2 shown]
	v_pack_b32_f16 v40, v34, v35
	v_pack_b32_f16 v41, v53, v41
	v_lshlrev_b32_e32 v35, 3, v64
	v_lshlrev_b32_e32 v34, 5, v60
	;; [unrolled: 1-line block ×3, first 2 shown]
	v_or3_b32 v54, v53, v34, v35
	v_pack_b32_f16 v36, v36, v37
	v_pack_b32_f16 v37, v44, v45
	ds_write2st64_b64 v54, v[40:41], v[36:37] offset1:1
	v_pk_mul_f32 v[36:37], v[52:53], v[46:47] op_sel_hi:[0,1]
	v_pk_mul_f32 v[40:41], v[52:53], v[42:43] op_sel_hi:[0,1]
	v_cvt_f16_f32_e32 v35, v40
	v_cvt_f16_f32_e32 v40, v41
	;; [unrolled: 1-line block ×4, first 2 shown]
	v_pk_mul_f32 v[36:37], v[52:53], v[48:49] op_sel_hi:[0,1]
	v_pk_mul_f32 v[38:39], v[52:53], v[38:39] op_sel_hi:[0,1]
	v_cvt_f16_f32_e32 v38, v38
	v_cvt_f16_f32_e32 v39, v39
	;; [unrolled: 1-line block ×4, first 2 shown]
	v_pack_b32_f16 v36, v35, v40
	v_pack_b32_f16 v37, v41, v42
	v_pack_b32_f16 v38, v38, v39
	v_pack_b32_f16 v39, v43, v44
	v_cmp_gt_u32_e32 vcc, 13, v0
	ds_write2st64_b64 v54, v[36:37], v[38:39] offset0:2 offset1:3
	s_and_saveexec_b64 s[6:7], vcc
	s_cbranch_execz .LBB1000_15
; %bb.14:
	s_mov_b32 s49, 0
	v_mov_b32_e32 v61, 0
	v_lshl_add_u64 v[36:37], s[48:49], 0, v[60:61]
	v_mov_b32_e32 v35, s9
	v_mad_u64_u32 v[36:37], s[10:11], s2, v35, v[36:37]
	s_mul_i32 s3, s3, s9
	v_mov_b32_e32 v38, s24
	v_mov_b32_e32 v39, v61
	s_load_dwordx4 s[12:15], s[0:1], 0x58
	v_add_u32_e32 v35, s3, v37
	v_mad_u64_u32 v[36:37], s[10:11], v36, s8, v[38:39]
	v_mov_b32_e32 v38, v37
	v_mad_u64_u32 v[38:39], s[10:11], v35, s8, v[38:39]
	v_mov_b32_e32 v37, v38
	v_lshlrev_b64 v[36:37], 2, v[36:37]
	s_waitcnt lgkmcnt(0)
	v_lshl_add_u64 v[38:39], s[14:15], 0, v[36:37]
	v_lshl_add_u64 v[36:37], s[12:13], 0, v[36:37]
	global_store_dword v[38:39], v50, off
	global_store_dword v[36:37], v51, off
.LBB1000_15:
	s_or_b64 exec, exec, s[6:7]
	s_waitcnt vmcnt(7)
	v_cvt_pk_f32_fp8_e32 v[36:37], v30
	v_lshl_or_b32 v50, v64, 9, v34
	v_cvt_pk_f32_fp8_sdwa v[34:35], v30 src0_sel:WORD_1
	s_waitcnt lgkmcnt(0)
	s_barrier
	v_cvt_pk_f32_fp8_e32 v[38:39], v31
	v_cvt_pkrtz_f16_f32 v30, v36, v37
	v_cvt_pk_f32_fp8_sdwa v[40:41], v31 src0_sel:WORD_1
	v_cvt_pkrtz_f16_f32 v31, v34, v35
	ds_read_b128 v[34:37], v50
	v_cvt_pkrtz_f16_f32 v46, v38, v39
	v_cvt_pkrtz_f16_f32 v47, v40, v41
	ds_read_b128 v[38:41], v50 offset:16
	v_cvt_pk_f32_fp8_e32 v[48:49], v32
	v_cvt_pk_f32_fp8_sdwa v[52:53], v32 src0_sel:WORD_1
	s_waitcnt lgkmcnt(1)
	v_mfma_f32_16x16x16_f16 v[42:45], v[30:31], v[34:35], 0
	s_waitcnt vmcnt(6)
	v_cvt_pk_f32_fp8_e32 v[56:57], v24
	v_cvt_pkrtz_f16_f32 v30, v48, v49
	v_cvt_pkrtz_f16_f32 v31, v52, v53
	v_cvt_pk_f32_fp8_e32 v[48:49], v33
	v_mfma_f32_16x16x16_f16 v[42:45], v[46:47], v[36:37], v[42:45]
	v_cvt_pk_f32_fp8_sdwa v[46:47], v33 src0_sel:WORD_1
	v_cvt_pk_f32_fp8_sdwa v[62:63], v24 src0_sel:WORD_1
	v_cvt_pkrtz_f16_f32 v48, v48, v49
	s_waitcnt lgkmcnt(0)
	v_mfma_f32_16x16x16_f16 v[30:33], v[30:31], v[38:39], v[42:45]
	v_cvt_pkrtz_f16_f32 v49, v46, v47
	s_waitcnt vmcnt(4)
	v_cvt_pk_f32_fp8_sdwa v[70:71], v4 src0_sel:WORD_1
	s_waitcnt vmcnt(3)
	v_cvt_pk_f32_fp8_sdwa v[72:73], v28 src0_sel:WORD_1
	v_cvt_pk_f32_fp8_e32 v[42:43], v22
	v_mfma_f32_16x16x16_f16 v[46:49], v[48:49], v[40:41], v[30:33]
	s_load_dword s6, s[42:43], 0x0
	s_mov_b32 s3, 0
	s_nop 0
	v_cvt_pk_f32_fp8_sdwa v[30:31], v22 src0_sel:WORD_1
	v_cvt_pk_f32_fp8_e32 v[32:33], v23
	v_cvt_pkrtz_f16_f32 v22, v42, v43
	v_cvt_pk_f32_fp8_sdwa v[42:43], v23 src0_sel:WORD_1
	v_cvt_pkrtz_f16_f32 v23, v30, v31
	v_cvt_pkrtz_f16_f32 v52, v32, v33
	ds_read_b128 v[30:33], v50 offset:2048
	v_cvt_pkrtz_f16_f32 v53, v42, v43
	ds_read_b128 v[42:45], v50 offset:2064
	s_waitcnt lgkmcnt(0)
	v_mfma_f32_16x16x16_f16 v[46:49], v[22:23], v[30:31], v[46:49]
	v_cvt_pkrtz_f16_f32 v22, v56, v57
	v_cvt_pkrtz_f16_f32 v23, v62, v63
	v_cvt_pk_f32_fp8_e32 v[56:57], v25
	v_mfma_f32_16x16x16_f16 v[46:49], v[52:53], v[32:33], v[46:49]
	v_cvt_pk_f32_fp8_sdwa v[52:53], v25 src0_sel:WORD_1
	v_cvt_pk_f32_fp8_sdwa v[62:63], v12 src0_sel:WORD_1
	v_cvt_pkrtz_f16_f32 v56, v56, v57
	v_mfma_f32_16x16x16_f16 v[22:25], v[22:23], v[42:43], v[46:49]
	v_cvt_pkrtz_f16_f32 v57, v52, v53
	v_cmp_gt_u32_e32 vcc, 64, v0
	s_nop 0
	v_cvt_pk_f32_fp8_e32 v[46:47], v10
	v_mfma_f32_16x16x16_f16 v[66:69], v[56:57], v[44:45], v[22:25]
	v_cvt_pk_f32_fp8_e32 v[56:57], v12
	s_nop 1
	v_cvt_pk_f32_fp8_sdwa v[22:23], v10 src0_sel:WORD_1
	v_cvt_pk_f32_fp8_e32 v[24:25], v11
	v_cvt_pkrtz_f16_f32 v10, v46, v47
	v_cvt_pk_f32_fp8_sdwa v[46:47], v11 src0_sel:WORD_1
	v_cvt_pkrtz_f16_f32 v11, v22, v23
	v_cvt_pkrtz_f16_f32 v52, v24, v25
	ds_read_b128 v[22:25], v50 offset:4096
	v_cvt_pkrtz_f16_f32 v53, v46, v47
	ds_read_b128 v[46:49], v50 offset:4112
	s_waitcnt lgkmcnt(1)
	v_mfma_f32_16x16x16_f16 v[66:69], v[10:11], v[22:23], v[66:69]
	v_cvt_pkrtz_f16_f32 v10, v56, v57
	v_cvt_pkrtz_f16_f32 v11, v62, v63
	v_cvt_pk_f32_fp8_e32 v[56:57], v13
	v_mfma_f32_16x16x16_f16 v[66:69], v[52:53], v[24:25], v[66:69]
	v_cvt_pk_f32_fp8_sdwa v[52:53], v13 src0_sel:WORD_1
	v_cvt_pk_f32_fp8_e32 v[62:63], v4
	v_cvt_pkrtz_f16_f32 v56, v56, v57
	s_waitcnt lgkmcnt(0)
	v_mfma_f32_16x16x16_f16 v[10:13], v[10:11], v[46:47], v[66:69]
	v_cvt_pkrtz_f16_f32 v57, v52, v53
	v_cvt_pk_f32_fp8_e32 v[52:53], v2
	s_nop 0
	v_mfma_f32_16x16x16_f16 v[66:69], v[56:57], v[48:49], v[10:13]
	s_nop 2
	v_cvt_pk_f32_fp8_sdwa v[10:11], v2 src0_sel:WORD_1
	v_cvt_pk_f32_fp8_e32 v[12:13], v3
	v_cvt_pkrtz_f16_f32 v2, v52, v53
	v_cvt_pk_f32_fp8_sdwa v[52:53], v3 src0_sel:WORD_1
	v_cvt_pkrtz_f16_f32 v3, v10, v11
	v_cvt_pkrtz_f16_f32 v56, v12, v13
	ds_read_b128 v[10:13], v50 offset:6144
	v_cvt_pkrtz_f16_f32 v57, v52, v53
	s_waitcnt lgkmcnt(0)
	v_mfma_f32_16x16x16_f16 v[66:69], v[2:3], v[10:11], v[66:69]
	ds_read_b128 v[50:53], v50 offset:6160
	v_cvt_pkrtz_f16_f32 v2, v62, v63
	v_cvt_pkrtz_f16_f32 v3, v70, v71
	v_cvt_pk_f32_fp8_e32 v[62:63], v5
	v_mfma_f32_16x16x16_f16 v[66:69], v[56:57], v[12:13], v[66:69]
	v_cvt_pk_f32_fp8_sdwa v[56:57], v5 src0_sel:WORD_1
	v_cvt_pk_f32_fp8_e32 v[70:71], v28
	v_cvt_pkrtz_f16_f32 v62, v62, v63
	s_waitcnt lgkmcnt(0)
	v_mfma_f32_16x16x16_f16 v[2:5], v[2:3], v[50:51], v[66:69]
	v_cvt_pkrtz_f16_f32 v63, v56, v57
	v_cvt_pk_f32_fp8_e32 v[56:57], v26
	s_nop 0
	v_cvt_pk_f32_fp8_sdwa v[66:67], v26 src0_sel:WORD_1
	v_mfma_f32_16x16x16_f16 v[2:5], v[62:63], v[52:53], v[2:5]
	v_cvt_pk_f32_fp8_e32 v[62:63], v27
	v_cvt_pkrtz_f16_f32 v56, v56, v57
	v_cvt_pkrtz_f16_f32 v57, v66, v67
	v_cvt_pk_f32_fp8_sdwa v[26:27], v27 src0_sel:WORD_1
	v_cvt_pkrtz_f16_f32 v62, v62, v63
	v_mfma_f32_16x16x16_f16 v[66:69], v[56:57], v[34:35], 0
	v_cvt_pkrtz_f16_f32 v63, v26, v27
	v_cvt_pkrtz_f16_f32 v26, v70, v71
	v_cvt_pkrtz_f16_f32 v27, v72, v73
	v_cvt_pk_f32_fp8_e32 v[56:57], v29
	v_mfma_f32_16x16x16_f16 v[34:37], v[62:63], v[36:37], v[66:69]
	v_cvt_pk_f32_fp8_sdwa v[62:63], v29 src0_sel:WORD_1
	v_cvt_pkrtz_f16_f32 v56, v56, v57
	s_barrier
	v_mfma_f32_16x16x16_f16 v[26:29], v[26:27], v[38:39], v[34:37]
	v_cvt_pkrtz_f16_f32 v57, v62, v63
	s_waitcnt vmcnt(2)
	v_cvt_pk_f32_fp8_e32 v[38:39], v19
	v_cvt_pk_f32_fp8_e32 v[34:35], v18
	v_cvt_pk_f32_fp8_sdwa v[36:37], v18 src0_sel:WORD_1
	v_cvt_pk_f32_fp8_sdwa v[18:19], v19 src0_sel:WORD_1
	v_mfma_f32_16x16x16_f16 v[26:29], v[56:57], v[40:41], v[26:29]
	v_cvt_pkrtz_f16_f32 v34, v34, v35
	v_cvt_pkrtz_f16_f32 v35, v36, v37
	;; [unrolled: 1-line block ×3, first 2 shown]
	v_cvt_pk_f32_fp8_e32 v[38:39], v20
	v_cvt_pk_f32_fp8_sdwa v[40:41], v20 src0_sel:WORD_1
	v_cvt_pkrtz_f16_f32 v37, v18, v19
	v_mfma_f32_16x16x16_f16 v[26:29], v[34:35], v[30:31], v[26:29]
	v_cvt_pkrtz_f16_f32 v30, v38, v39
	v_cvt_pkrtz_f16_f32 v31, v40, v41
	v_cvt_pk_f32_fp8_e32 v[34:35], v21
	v_cvt_pk_f32_fp8_sdwa v[38:39], v21 src0_sel:WORD_1
	v_mfma_f32_16x16x16_f16 v[18:21], v[36:37], v[32:33], v[26:29]
	s_waitcnt vmcnt(1)
	v_cvt_pk_f32_fp8_sdwa v[32:33], v16 src0_sel:WORD_1
	s_nop 0
	v_cvt_pkrtz_f16_f32 v26, v34, v35
	v_cvt_pkrtz_f16_f32 v27, v38, v39
	v_mfma_f32_16x16x16_f16 v[18:21], v[30:31], v[42:43], v[18:21]
	v_cvt_pk_f32_fp8_e32 v[28:29], v14
	v_cvt_pk_f32_fp8_sdwa v[30:31], v14 src0_sel:WORD_1
	v_cvt_pkrtz_f16_f32 v28, v28, v29
	v_mfma_f32_16x16x16_f16 v[18:21], v[26:27], v[44:45], v[18:21]
	v_cvt_pk_f32_fp8_e32 v[26:27], v15
	v_cvt_pkrtz_f16_f32 v29, v30, v31
	v_cvt_pk_f32_fp8_sdwa v[14:15], v15 src0_sel:WORD_1
	v_cvt_pk_f32_fp8_e32 v[30:31], v16
	v_cvt_pkrtz_f16_f32 v26, v26, v27
	v_mfma_f32_16x16x16_f16 v[18:21], v[28:29], v[22:23], v[18:21]
	v_cvt_pkrtz_f16_f32 v27, v14, v15
	v_cvt_pkrtz_f16_f32 v22, v30, v31
	;; [unrolled: 1-line block ×3, first 2 shown]
	v_cvt_pk_f32_fp8_e32 v[28:29], v17
	v_cvt_pk_f32_fp8_sdwa v[30:31], v17 src0_sel:WORD_1
	v_mfma_f32_16x16x16_f16 v[14:17], v[26:27], v[24:25], v[18:21]
	s_waitcnt vmcnt(0)
	v_cvt_pk_f32_fp8_sdwa v[24:25], v6 src0_sel:WORD_1
	s_nop 0
	v_pk_mul_f32 v[18:19], v[4:5], s[6:7] op_sel_hi:[1,0]
	v_cvt_pkrtz_f16_f32 v4, v28, v29
	v_cvt_pkrtz_f16_f32 v5, v30, v31
	v_mfma_f32_16x16x16_f16 v[14:17], v[22:23], v[46:47], v[14:17]
	v_cvt_pk_f32_fp8_e32 v[22:23], v6
	v_pk_mul_f32 v[20:21], v[2:3], s[6:7] op_sel_hi:[1,0]
	v_mfma_f32_16x16x16_f16 v[2:5], v[4:5], v[48:49], v[14:17]
	s_nop 3
	v_cvt_pk_f32_fp8_e32 v[14:15], v7
	v_cvt_pkrtz_f16_f32 v16, v22, v23
	v_cvt_pkrtz_f16_f32 v17, v24, v25
	v_cvt_pk_f32_fp8_sdwa v[6:7], v7 src0_sel:WORD_1
	v_cvt_pkrtz_f16_f32 v14, v14, v15
	v_cvt_pk_f32_fp8_e32 v[22:23], v8
	v_cvt_pk_f32_fp8_sdwa v[24:25], v8 src0_sel:WORD_1
	v_cvt_pkrtz_f16_f32 v15, v6, v7
	v_mfma_f32_16x16x16_f16 v[2:5], v[16:17], v[10:11], v[2:5]
	v_cvt_pkrtz_f16_f32 v6, v22, v23
	v_cvt_pkrtz_f16_f32 v7, v24, v25
	v_cvt_pk_f32_fp8_e32 v[10:11], v9
	v_cvt_pk_f32_fp8_sdwa v[8:9], v9 src0_sel:WORD_1
	v_mfma_f32_16x16x16_f16 v[2:5], v[14:15], v[12:13], v[2:5]
	v_cvt_f16_f32_e32 v12, v20
	v_cvt_pkrtz_f16_f32 v10, v10, v11
	v_cvt_pkrtz_f16_f32 v11, v8, v9
	v_mfma_f32_16x16x16_f16 v[2:5], v[6:7], v[50:51], v[2:5]
	v_cvt_f16_f32_e32 v6, v21
	v_cvt_f16_f32_e32 v7, v18
	;; [unrolled: 1-line block ×3, first 2 shown]
	v_mfma_f32_16x16x16_f16 v[2:5], v[10:11], v[52:53], v[2:5]
	s_nop 6
	v_pk_mul_f32 v[4:5], v[4:5], s[6:7] op_sel_hi:[1,0]
	v_pk_mul_f32 v[2:3], v[2:3], s[6:7] op_sel_hi:[1,0]
	v_cvt_f16_f32_e32 v11, v4
	v_cvt_f16_f32_e32 v9, v2
	;; [unrolled: 1-line block ×4, first 2 shown]
	v_pack_b32_f16 v2, v12, v6
	v_pack_b32_f16 v3, v7, v8
	;; [unrolled: 1-line block ×4, first 2 shown]
	ds_write2st64_b64 v54, v[2:3], v[4:5] offset1:1
	s_waitcnt lgkmcnt(0)
	s_barrier
	s_and_saveexec_b64 s[6:7], vcc
	s_cbranch_execz .LBB1000_18
; %bb.16:
	s_load_dwordx2 s[6:7], s[0:1], 0x68
	s_lshl_b32 s0, s8, 7
	s_mul_i32 s1, s9, s2
	v_lshlrev_b32_e32 v3, 6, v60
	s_mul_hi_u32 s9, s1, s0
	s_mul_i32 s8, s1, s0
	v_lshl_or_b32 v0, v0, 10, v3
	s_lshl_b64 s[8:9], s[8:9], 1
	v_lshlrev_b32_e32 v2, 5, v64
	v_and_b32_e32 v1, 16, v1
	v_and_b32_e32 v0, 0x1a00, v0
	s_waitcnt lgkmcnt(0)
	s_add_u32 s1, s6, s8
	v_or3_b32 v2, v0, v2, v1
	s_addc_u32 s6, s7, s9
	s_lshl_b32 s2, s24, 7
	ds_read_b128 v[4:7], v2 offset:256
	s_lshl_b64 s[2:3], s[2:3], 1
	ds_read_b128 v[8:11], v2 offset:128
	ds_read_b128 v[12:15], v2
	s_add_u32 s2, s1, s2
	s_addc_u32 s3, s6, s3
	v_mov_b32_e32 v59, 0
	v_add_u32_e32 v3, s48, v64
	v_lshl_add_u64 v[0:1], s[2:3], 0, v[58:59]
	v_mad_u64_u32 v[16:17], s[2:3], v3, s0, 0
	v_lshl_add_u64 v[16:17], v[16:17], 1, v[0:1]
	s_waitcnt lgkmcnt(0)
	global_store_dwordx4 v[16:17], v[12:15], off
	s_nop 1
	v_add_u32_e32 v12, 4, v3
	v_mad_u64_u32 v[12:13], s[2:3], v12, s0, 0
	v_lshl_add_u64 v[12:13], v[12:13], 1, v[0:1]
	v_add_u32_e32 v3, 8, v3
	global_store_dwordx4 v[12:13], v[8:11], off
	s_nop 1
	v_mad_u64_u32 v[8:9], s[2:3], v3, s0, 0
	v_lshl_add_u64 v[8:9], v[8:9], 1, v[0:1]
	global_store_dwordx4 v[8:9], v[4:7], off
	s_and_b64 exec, exec, s[4:5]
	s_cbranch_execz .LBB1000_18
; %bb.17:
	ds_read_b128 v[2:5], v2 offset:384
	v_add3_u32 v6, s48, v64, 12
	v_mad_u64_u32 v[6:7], s[0:1], v6, s0, 0
	v_lshl_add_u64 v[0:1], v[6:7], 1, v[0:1]
	s_waitcnt lgkmcnt(0)
	global_store_dwordx4 v[0:1], v[2:5], off
.LBB1000_18:
	s_endpgm
	.section	.rodata,"a",@progbits
	.p2align	6, 0x0
	.amdhsa_kernel _Z39paged_attention_ll4mi_QKV_mfma16_kernelIDF16_hLN4vllm18Fp8KVCacheDataTypeE1EDF16_Li16ELi128ELi256ELb0ELi13EEvPKT_PKT0_S7_ifPKiS9_S9_iPKfiiiPfSC_PS2_PT2_iSB_SB_
		.amdhsa_group_segment_fixed_size 8192
		.amdhsa_private_segment_fixed_size 0
		.amdhsa_kernarg_size 400
		.amdhsa_user_sgpr_count 2
		.amdhsa_user_sgpr_dispatch_ptr 0
		.amdhsa_user_sgpr_queue_ptr 0
		.amdhsa_user_sgpr_kernarg_segment_ptr 1
		.amdhsa_user_sgpr_dispatch_id 0
		.amdhsa_user_sgpr_kernarg_preload_length 0
		.amdhsa_user_sgpr_kernarg_preload_offset 0
		.amdhsa_user_sgpr_private_segment_size 0
		.amdhsa_uses_dynamic_stack 0
		.amdhsa_enable_private_segment 0
		.amdhsa_system_sgpr_workgroup_id_x 1
		.amdhsa_system_sgpr_workgroup_id_y 1
		.amdhsa_system_sgpr_workgroup_id_z 1
		.amdhsa_system_sgpr_workgroup_info 0
		.amdhsa_system_vgpr_workitem_id 0
		.amdhsa_next_free_vgpr 88
		.amdhsa_next_free_sgpr 50
		.amdhsa_accum_offset 88
		.amdhsa_reserve_vcc 1
		.amdhsa_float_round_mode_32 0
		.amdhsa_float_round_mode_16_64 0
		.amdhsa_float_denorm_mode_32 3
		.amdhsa_float_denorm_mode_16_64 3
		.amdhsa_dx10_clamp 1
		.amdhsa_ieee_mode 1
		.amdhsa_fp16_overflow 0
		.amdhsa_tg_split 0
		.amdhsa_exception_fp_ieee_invalid_op 0
		.amdhsa_exception_fp_denorm_src 0
		.amdhsa_exception_fp_ieee_div_zero 0
		.amdhsa_exception_fp_ieee_overflow 0
		.amdhsa_exception_fp_ieee_underflow 0
		.amdhsa_exception_fp_ieee_inexact 0
		.amdhsa_exception_int_div_zero 0
	.end_amdhsa_kernel
	.section	.text._Z39paged_attention_ll4mi_QKV_mfma16_kernelIDF16_hLN4vllm18Fp8KVCacheDataTypeE1EDF16_Li16ELi128ELi256ELb0ELi13EEvPKT_PKT0_S7_ifPKiS9_S9_iPKfiiiPfSC_PS2_PT2_iSB_SB_,"axG",@progbits,_Z39paged_attention_ll4mi_QKV_mfma16_kernelIDF16_hLN4vllm18Fp8KVCacheDataTypeE1EDF16_Li16ELi128ELi256ELb0ELi13EEvPKT_PKT0_S7_ifPKiS9_S9_iPKfiiiPfSC_PS2_PT2_iSB_SB_,comdat
.Lfunc_end1000:
	.size	_Z39paged_attention_ll4mi_QKV_mfma16_kernelIDF16_hLN4vllm18Fp8KVCacheDataTypeE1EDF16_Li16ELi128ELi256ELb0ELi13EEvPKT_PKT0_S7_ifPKiS9_S9_iPKfiiiPfSC_PS2_PT2_iSB_SB_, .Lfunc_end1000-_Z39paged_attention_ll4mi_QKV_mfma16_kernelIDF16_hLN4vllm18Fp8KVCacheDataTypeE1EDF16_Li16ELi128ELi256ELb0ELi13EEvPKT_PKT0_S7_ifPKiS9_S9_iPKfiiiPfSC_PS2_PT2_iSB_SB_
                                        ; -- End function
	.section	.AMDGPU.csdata,"",@progbits
; Kernel info:
; codeLenInByte = 6080
; NumSgprs: 56
; NumVgprs: 88
; NumAgprs: 0
; TotalNumVgprs: 88
; ScratchSize: 0
; MemoryBound: 0
; FloatMode: 240
; IeeeMode: 1
; LDSByteSize: 8192 bytes/workgroup (compile time only)
; SGPRBlocks: 6
; VGPRBlocks: 10
; NumSGPRsForWavesPerEU: 56
; NumVGPRsForWavesPerEU: 88
; AccumOffset: 88
; Occupancy: 5
; WaveLimiterHint : 1
; COMPUTE_PGM_RSRC2:SCRATCH_EN: 0
; COMPUTE_PGM_RSRC2:USER_SGPR: 2
; COMPUTE_PGM_RSRC2:TRAP_HANDLER: 0
; COMPUTE_PGM_RSRC2:TGID_X_EN: 1
; COMPUTE_PGM_RSRC2:TGID_Y_EN: 1
; COMPUTE_PGM_RSRC2:TGID_Z_EN: 1
; COMPUTE_PGM_RSRC2:TIDIG_COMP_CNT: 0
; COMPUTE_PGM_RSRC3_GFX90A:ACCUM_OFFSET: 21
; COMPUTE_PGM_RSRC3_GFX90A:TG_SPLIT: 0
	.section	.text._Z39paged_attention_ll4mi_QKV_mfma16_kernelIDF16_hLN4vllm18Fp8KVCacheDataTypeE1EDF16_Li16ELi128ELi256ELb0ELi14EEvPKT_PKT0_S7_ifPKiS9_S9_iPKfiiiPfSC_PS2_PT2_iSB_SB_,"axG",@progbits,_Z39paged_attention_ll4mi_QKV_mfma16_kernelIDF16_hLN4vllm18Fp8KVCacheDataTypeE1EDF16_Li16ELi128ELi256ELb0ELi14EEvPKT_PKT0_S7_ifPKiS9_S9_iPKfiiiPfSC_PS2_PT2_iSB_SB_,comdat
	.protected	_Z39paged_attention_ll4mi_QKV_mfma16_kernelIDF16_hLN4vllm18Fp8KVCacheDataTypeE1EDF16_Li16ELi128ELi256ELb0ELi14EEvPKT_PKT0_S7_ifPKiS9_S9_iPKfiiiPfSC_PS2_PT2_iSB_SB_ ; -- Begin function _Z39paged_attention_ll4mi_QKV_mfma16_kernelIDF16_hLN4vllm18Fp8KVCacheDataTypeE1EDF16_Li16ELi128ELi256ELb0ELi14EEvPKT_PKT0_S7_ifPKiS9_S9_iPKfiiiPfSC_PS2_PT2_iSB_SB_
	.globl	_Z39paged_attention_ll4mi_QKV_mfma16_kernelIDF16_hLN4vllm18Fp8KVCacheDataTypeE1EDF16_Li16ELi128ELi256ELb0ELi14EEvPKT_PKT0_S7_ifPKiS9_S9_iPKfiiiPfSC_PS2_PT2_iSB_SB_
	.p2align	8
	.type	_Z39paged_attention_ll4mi_QKV_mfma16_kernelIDF16_hLN4vllm18Fp8KVCacheDataTypeE1EDF16_Li16ELi128ELi256ELb0ELi14EEvPKT_PKT0_S7_ifPKiS9_S9_iPKfiiiPfSC_PS2_PT2_iSB_SB_,@function
_Z39paged_attention_ll4mi_QKV_mfma16_kernelIDF16_hLN4vllm18Fp8KVCacheDataTypeE1EDF16_Li16ELi128ELi256ELb0ELi14EEvPKT_PKT0_S7_ifPKiS9_S9_iPKfiiiPfSC_PS2_PT2_iSB_SB_: ; @_Z39paged_attention_ll4mi_QKV_mfma16_kernelIDF16_hLN4vllm18Fp8KVCacheDataTypeE1EDF16_Li16ELi128ELi256ELb0ELi14EEvPKT_PKT0_S7_ifPKiS9_S9_iPKfiiiPfSC_PS2_PT2_iSB_SB_
; %bb.0:
	s_load_dwordx2 s[12:13], s[0:1], 0x30
	s_mov_b32 s24, s3
	s_mov_b64 s[6:7], 0
	s_waitcnt lgkmcnt(0)
	s_cmp_lg_u64 s[12:13], 0
	s_cselect_b64 s[14:15], -1, 0
	s_and_b64 vcc, exec, s[14:15]
	s_cbranch_vccz .LBB1001_7
; %bb.1:
	s_add_i32 s8, s2, 1
	s_mov_b32 s9, 0
	s_lshl_b64 s[10:11], s[8:9], 2
	s_add_u32 s10, s12, s10
	s_mov_b32 s3, s9
	s_addc_u32 s11, s13, s11
	s_lshl_b64 s[8:9], s[2:3], 2
	s_add_u32 s8, s12, s8
	s_addc_u32 s9, s13, s9
	s_load_dword s5, s[10:11], 0x0
	s_load_dword s16, s[8:9], 0x0
	s_waitcnt lgkmcnt(0)
	s_sub_i32 s5, s5, s16
	s_cmp_eq_u32 s5, 1
	s_cselect_b64 s[8:9], -1, 0
	s_andn2_b64 vcc, exec, s[6:7]
	s_cbranch_vccnz .LBB1001_3
.LBB1001_2:
	s_mov_b32 s3, 0
	s_mov_b64 s[8:9], -1
.LBB1001_3:
	s_andn2_b64 vcc, exec, s[8:9]
	s_cbranch_vccnz .LBB1001_18
; %bb.4:
	s_load_dwordx2 s[6:7], s[0:1], 0x28
	s_lshl_b64 s[16:17], s[2:3], 2
	s_waitcnt lgkmcnt(0)
	s_add_u32 s6, s6, s16
	s_addc_u32 s7, s7, s17
	s_load_dword s33, s[6:7], 0x0
	s_lshl_b32 s18, s24, 8
	s_waitcnt lgkmcnt(0)
	s_cmp_ge_i32 s18, s33
	s_cbranch_scc1 .LBB1001_18
; %bb.5:
	s_load_dwordx2 s[6:7], s[0:1], 0x20
	s_load_dword s8, s[0:1], 0x38
	s_add_i32 s5, s33, 15
	s_ashr_i32 s9, s5, 31
	v_and_b32_e32 v1, 0xcf, v0
	s_lshr_b32 s9, s9, 28
	v_add_u32_e32 v1, s18, v1
	s_add_i32 s5, s5, s9
	v_ashrrev_i32_e32 v2, 31, v1
	s_ashr_i32 s5, s5, 4
	v_lshrrev_b32_e32 v10, 28, v2
	s_add_i32 s5, s5, -1
	s_waitcnt lgkmcnt(0)
	s_mul_i32 s8, s2, s8
	s_mov_b32 s9, 0
	v_add_u32_e32 v2, v1, v10
	s_lshl_b64 s[8:9], s[8:9], 2
	v_ashrrev_i32_e32 v2, 4, v2
	v_mov_b32_e32 v11, s5
	v_cmp_gt_i32_e32 vcc, s33, v1
	s_add_u32 s6, s6, s8
	s_addc_u32 s7, s7, s9
	v_cndmask_b32_e32 v2, v11, v2, vcc
	v_ashrrev_i32_e32 v3, 31, v2
	v_lshl_add_u64 v[4:5], v[2:3], 2, s[6:7]
	v_or_b32_e32 v2, 16, v1
	v_add_u32_e32 v3, v2, v10
	v_ashrrev_i32_e32 v3, 4, v3
	v_cmp_gt_i32_e32 vcc, s33, v2
	s_load_dwordx4 s[8:11], s[0:1], 0x8
	s_nop 0
	v_cndmask_b32_e32 v2, v11, v3, vcc
	v_ashrrev_i32_e32 v3, 31, v2
	v_lshl_add_u64 v[6:7], v[2:3], 2, s[6:7]
	v_or_b32_e32 v2, 32, v1
	v_add_u32_e32 v3, v2, v10
	v_ashrrev_i32_e32 v3, 4, v3
	v_cmp_gt_i32_e32 vcc, s33, v2
	v_or_b32_e32 v1, 48, v1
	s_nop 0
	v_cndmask_b32_e32 v2, v11, v3, vcc
	v_ashrrev_i32_e32 v3, 31, v2
	v_lshl_add_u64 v[8:9], v[2:3], 2, s[6:7]
	v_add_u32_e32 v2, v1, v10
	v_ashrrev_i32_e32 v2, 4, v2
	v_cmp_gt_i32_e32 vcc, s33, v1
	s_nop 1
	v_cndmask_b32_e32 v2, v11, v2, vcc
	v_ashrrev_i32_e32 v3, 31, v2
	v_lshl_add_u64 v[10:11], v[2:3], 2, s[6:7]
	global_load_dword v3, v[4:5], off
	global_load_dword v2, v[6:7], off
	;; [unrolled: 1-line block ×4, first 2 shown]
	s_andn2_b64 vcc, exec, s[14:15]
	s_cbranch_vccnz .LBB1001_8
; %bb.6:
	s_add_u32 s12, s12, s16
	s_addc_u32 s13, s13, s17
	s_load_dword s14, s[12:13], 0x0
	s_branch .LBB1001_9
.LBB1001_7:
	s_mov_b64 s[8:9], 0
	s_branch .LBB1001_2
.LBB1001_8:
	s_mov_b32 s14, s2
.LBB1001_9:
	s_load_dwordx4 s[44:47], s[0:1], 0x48
	v_lshrrev_b32_e32 v61, 6, v0
	v_bfe_u32 v64, v0, 4, 2
	v_and_b32_e32 v60, 15, v0
	v_lshl_or_b32 v4, v61, 2, v64
	v_lshlrev_b32_e32 v1, 3, v60
	v_and_b32_e32 v65, 63, v0
	s_mul_i32 s48, s4, 14
	v_cmp_gt_u32_e32 vcc, 14, v4
	v_lshlrev_b32_e32 v58, 1, v1
	v_lshlrev_b32_e32 v1, 4, v0
	s_and_saveexec_b64 s[12:13], vcc
	s_cbranch_execz .LBB1001_11
; %bb.10:
	s_load_dwordx2 s[16:17], s[0:1], 0x0
	s_waitcnt lgkmcnt(0)
	s_ashr_i32 s15, s44, 31
	s_mul_hi_u32 s19, s14, s44
	s_mul_i32 s15, s14, s15
	s_add_i32 s15, s19, s15
	s_mul_i32 s14, s14, s44
	s_lshl_b64 s[14:15], s[14:15], 1
	s_add_u32 s14, s16, s14
	v_add_lshl_u32 v6, v4, s48, 7
	s_addc_u32 s15, s17, s15
	v_ashrrev_i32_e32 v7, 31, v6
	v_lshl_add_u64 v[6:7], v[6:7], 1, s[14:15]
	v_mov_b32_e32 v59, 0
	v_lshl_add_u64 v[6:7], v[6:7], 0, v[58:59]
	global_load_dwordx4 v[6:9], v[6:7], off
	v_lshlrev_b32_e32 v10, 8, v0
	v_lshlrev_b32_e32 v5, 8, v60
	v_and_b32_e32 v10, 0x600, v10
	s_movk_i32 s14, 0x800
	v_and_or_b32 v5, v5, s14, v10
	v_lshlrev_b32_e32 v4, 5, v4
	v_and_b32_e32 v10, 16, v1
	v_or3_b32 v4, v5, v4, v10
	s_waitcnt vmcnt(0)
	ds_write_b128 v4, v[6:9]
.LBB1001_11:
	s_or_b64 exec, exec, s[12:13]
	s_waitcnt lgkmcnt(0)
	s_mul_i32 s4, s4, s46
	s_add_u32 s8, s8, s4
	s_addc_u32 s9, s9, 0
	v_and_b32_e32 v62, 0xf0, v1
	v_mov_b32_e32 v63, 0
	v_and_b32_e32 v6, 48, v0
	v_lshl_add_u64 v[30:31], s[8:9], 0, v[62:63]
	v_lshlrev_b32_e32 v62, 4, v6
	s_waitcnt vmcnt(3)
	v_mad_i64_i32 v[4:5], s[8:9], v3, s45, v[30:31]
	v_lshl_add_u64 v[4:5], v[4:5], 0, v[62:63]
	s_load_dword s25, s[0:1], 0x98
	s_load_dwordx4 s[40:43], s[0:1], 0x80
	s_waitcnt lgkmcnt(0)
	s_barrier
	global_load_dwordx4 v[22:25], v[4:5], off
	global_load_dwordx4 v[10:13], v[4:5], off offset:1024
	s_waitcnt vmcnt(4)
	v_mad_i64_i32 v[2:3], s[8:9], v2, s45, v[30:31]
	v_lshl_add_u64 v[32:33], v[2:3], 0, v[62:63]
	global_load_dwordx4 v[2:5], v[32:33], off
	v_add_u32_e32 v7, -14, v60
	v_cmp_gt_u32_e32 vcc, 14, v60
	v_or_b32_e32 v6, s18, v6
	v_mov_b32_e32 v38, s5
	v_cndmask_b32_e32 v7, v7, v60, vcc
	v_lshlrev_b32_e32 v7, 5, v7
	v_ashrrev_i32_e32 v8, 4, v6
	v_lshl_add_u32 v7, v64, 9, v7
	v_cmp_gt_i32_e32 vcc, s33, v6
	v_or_b32_e32 v39, 64, v6
	v_or_b32_e32 v43, 0x80, v6
	;; [unrolled: 1-line block ×3, first 2 shown]
	v_cndmask_b32_e32 v40, v38, v8, vcc
	ds_read_b128 v[26:29], v7
	ds_read_b128 v[18:21], v7 offset:16
	ds_read_b128 v[14:17], v7 offset:2048
	;; [unrolled: 1-line block ×3, first 2 shown]
	s_waitcnt vmcnt(4)
	v_mad_i64_i32 v[36:37], s[12:13], v34, s45, v[30:31]
	s_waitcnt vmcnt(3)
	v_mad_i64_i32 v[34:35], s[12:13], v35, s45, v[30:31]
	global_load_dwordx4 v[30:33], v[32:33], off offset:1024
	v_ashrrev_i32_e32 v42, 4, v39
	v_cmp_gt_i32_e32 vcc, s33, v39
	v_ashrrev_i32_e32 v44, 4, v43
	v_ashrrev_i32_e32 v46, 4, v45
	v_cndmask_b32_e32 v42, v38, v42, vcc
	v_cmp_gt_i32_e32 vcc, s33, v43
	v_ashrrev_i32_e32 v41, 31, v40
	v_lshl_add_u64 v[36:37], v[36:37], 0, v[62:63]
	v_cndmask_b32_e32 v44, v38, v44, vcc
	v_cmp_gt_i32_e32 vcc, s33, v45
	v_lshl_add_u64 v[34:35], v[34:35], 0, v[62:63]
	v_ashrrev_i32_e32 v43, 31, v42
	v_cndmask_b32_e32 v38, v38, v46, vcc
	v_ashrrev_i32_e32 v45, 31, v44
	v_ashrrev_i32_e32 v39, 31, v38
	v_lshl_add_u64 v[50:51], v[40:41], 2, s[6:7]
	v_lshl_add_u64 v[52:53], v[42:43], 2, s[6:7]
	;; [unrolled: 1-line block ×4, first 2 shown]
	global_load_dwordx4 v[46:49], v[36:37], off
	global_load_dwordx4 v[42:45], v[36:37], off offset:1024
	global_load_dwordx4 v[38:41], v[34:35], off
	s_nop 0
	global_load_dwordx4 v[34:37], v[34:35], off offset:1024
	s_nop 0
	global_load_dword v69, v[50:51], off
	global_load_dword v68, v[52:53], off
	;; [unrolled: 1-line block ×4, first 2 shown]
	s_add_u32 s4, s10, s4
	v_lshl_or_b32 v59, v61, 4, v60
	s_addc_u32 s5, s11, 0
	v_lshlrev_b32_e32 v62, 4, v59
	s_load_dword s8, s[0:1], 0x1c
	s_waitcnt vmcnt(11)
	v_cvt_pk_f32_fp8_e32 v[50:51], v22
	v_cvt_pk_f32_fp8_sdwa v[52:53], v22 src0_sel:WORD_1
	v_cvt_pk_f32_fp8_e32 v[54:55], v23
	v_cvt_pk_f32_fp8_sdwa v[56:57], v23 src0_sel:WORD_1
	;; [unrolled: 2-line block ×4, first 2 shown]
	s_waitcnt vmcnt(9)
	v_cvt_pk_f32_fp8_e32 v[22:23], v2
	v_cvt_pk_f32_fp8_sdwa v[24:25], v2 src0_sel:WORD_1
	v_cvt_pkrtz_f16_f32 v50, v50, v51
	v_cvt_pkrtz_f16_f32 v51, v52, v53
	v_cvt_pk_f32_fp8_e32 v[78:79], v10
	v_cvt_pk_f32_fp8_sdwa v[80:81], v10 src0_sel:WORD_1
	v_cvt_pk_f32_fp8_e32 v[52:53], v11
	v_cvt_pk_f32_fp8_sdwa v[82:83], v11 src0_sel:WORD_1
	v_cvt_pkrtz_f16_f32 v10, v22, v23
	v_cvt_pkrtz_f16_f32 v11, v24, v25
	v_cvt_pkrtz_f16_f32 v84, v54, v55
	v_cvt_pkrtz_f16_f32 v85, v56, v57
	s_waitcnt lgkmcnt(0)
	v_mfma_f32_16x16x16_f16 v[22:25], v[50:51], v[26:27], 0
	v_cvt_pk_f32_fp8_e32 v[50:51], v12
	v_cvt_pk_f32_fp8_sdwa v[86:87], v12 src0_sel:WORD_1
	v_cvt_pkrtz_f16_f32 v50, v50, v51
	v_mfma_f32_16x16x16_f16 v[54:57], v[10:11], v[26:27], 0
	v_cvt_pkrtz_f16_f32 v10, v70, v71
	v_cvt_pkrtz_f16_f32 v11, v72, v73
	;; [unrolled: 1-line block ×3, first 2 shown]
	v_mfma_f32_16x16x16_f16 v[22:25], v[84:85], v[28:29], v[22:25]
	v_cvt_pkrtz_f16_f32 v73, v76, v77
	v_cvt_pkrtz_f16_f32 v76, v78, v79
	;; [unrolled: 1-line block ×3, first 2 shown]
	v_mfma_f32_16x16x16_f16 v[22:25], v[10:11], v[18:19], v[22:25]
	v_cvt_pk_f32_fp8_e32 v[70:71], v13
	v_cvt_pk_f32_fp8_sdwa v[74:75], v13 src0_sel:WORD_1
	v_cvt_pkrtz_f16_f32 v51, v86, v87
	v_mfma_f32_16x16x16_f16 v[10:13], v[72:73], v[20:21], v[22:25]
	s_waitcnt vmcnt(7)
	v_cvt_pk_f32_fp8_e32 v[72:73], v49
	s_nop 0
	v_cvt_pkrtz_f16_f32 v24, v52, v53
	v_cvt_pkrtz_f16_f32 v25, v82, v83
	v_mfma_f32_16x16x16_f16 v[10:13], v[76:77], v[14:15], v[10:13]
	v_cvt_pk_f32_fp8_e32 v[22:23], v3
	v_cvt_pk_f32_fp8_sdwa v[2:3], v3 src0_sel:WORD_1
	v_cvt_pkrtz_f16_f32 v52, v70, v71
	v_mfma_f32_16x16x16_f16 v[10:13], v[24:25], v[16:17], v[10:13]
	v_cvt_pkrtz_f16_f32 v53, v74, v75
	v_cvt_pk_f32_fp8_e32 v[24:25], v4
	v_cvt_pk_f32_fp8_sdwa v[70:71], v4 src0_sel:WORD_1
	v_mfma_f32_16x16x16_f16 v[10:13], v[50:51], v[6:7], v[10:13]
	v_cvt_pkrtz_f16_f32 v22, v22, v23
	v_cvt_pkrtz_f16_f32 v23, v2, v3
	s_waitcnt vmcnt(6)
	v_cvt_pk_f32_fp8_sdwa v[76:77], v44 src0_sel:WORD_1
	v_mfma_f32_16x16x16_f16 v[50:53], v[52:53], v[8:9], v[10:13]
	s_nop 2
	v_cvt_pkrtz_f16_f32 v10, v24, v25
	v_cvt_pkrtz_f16_f32 v11, v70, v71
	v_cvt_pk_f32_fp8_e32 v[12:13], v5
	v_cvt_pk_f32_fp8_sdwa v[24:25], v5 src0_sel:WORD_1
	v_mfma_f32_16x16x16_f16 v[2:5], v[22:23], v[28:29], v[54:57]
	v_cvt_pk_f32_fp8_sdwa v[22:23], v30 src0_sel:WORD_1
	v_cvt_pkrtz_f16_f32 v12, v12, v13
	v_cvt_pkrtz_f16_f32 v13, v24, v25
	v_mfma_f32_16x16x16_f16 v[2:5], v[10:11], v[18:19], v[2:5]
	v_cvt_pk_f32_fp8_e32 v[10:11], v30
	v_cvt_pk_f32_fp8_e32 v[24:25], v32
	v_lshl_add_u64 v[70:71], s[4:5], 0, v[62:63]
	v_mfma_f32_16x16x16_f16 v[2:5], v[12:13], v[20:21], v[2:5]
	v_cvt_pk_f32_fp8_e32 v[12:13], v31
	v_cvt_pkrtz_f16_f32 v10, v10, v11
	v_cvt_pkrtz_f16_f32 v11, v22, v23
	v_cvt_pk_f32_fp8_sdwa v[22:23], v31 src0_sel:WORD_1
	v_cvt_pkrtz_f16_f32 v12, v12, v13
	v_cvt_pk_f32_fp8_sdwa v[30:31], v32 src0_sel:WORD_1
	v_mfma_f32_16x16x16_f16 v[2:5], v[10:11], v[14:15], v[2:5]
	v_cvt_pkrtz_f16_f32 v13, v22, v23
	v_cvt_pkrtz_f16_f32 v10, v24, v25
	;; [unrolled: 1-line block ×3, first 2 shown]
	v_cvt_pk_f32_fp8_e32 v[22:23], v33
	v_cvt_pk_f32_fp8_sdwa v[24:25], v33 src0_sel:WORD_1
	v_mfma_f32_16x16x16_f16 v[2:5], v[12:13], v[16:17], v[2:5]
	v_or_b32_e32 v62, 0x400, v62
	v_cvt_pkrtz_f16_f32 v12, v22, v23
	v_cvt_pkrtz_f16_f32 v13, v24, v25
	v_mfma_f32_16x16x16_f16 v[2:5], v[10:11], v[6:7], v[2:5]
	v_cvt_pk_f32_fp8_e32 v[10:11], v46
	v_cvt_pk_f32_fp8_sdwa v[22:23], v46 src0_sel:WORD_1
	v_cvt_pk_f32_fp8_sdwa v[24:25], v48 src0_sel:WORD_1
	v_mfma_f32_16x16x16_f16 v[54:57], v[12:13], v[8:9], v[2:5]
	s_waitcnt vmcnt(3)
	v_mad_i64_i32 v[12:13], s[6:7], v69, s45, v[70:71]
	s_nop 0
	v_cvt_pkrtz_f16_f32 v2, v10, v11
	v_cvt_pkrtz_f16_f32 v3, v22, v23
	v_cvt_pk_f32_fp8_e32 v[4:5], v47
	v_cvt_pk_f32_fp8_sdwa v[10:11], v47 src0_sel:WORD_1
	s_waitcnt vmcnt(2)
	v_mad_i64_i32 v[46:47], s[6:7], v68, s45, v[70:71]
	v_cvt_pkrtz_f16_f32 v22, v4, v5
	v_cvt_pkrtz_f16_f32 v23, v10, v11
	v_cvt_pk_f32_fp8_e32 v[10:11], v48
	v_mfma_f32_16x16x16_f16 v[2:5], v[2:3], v[26:27], 0
	v_cvt_pk_f32_fp8_sdwa v[48:49], v49 src0_sel:WORD_1
	v_cvt_pkrtz_f16_f32 v10, v10, v11
	v_cvt_pkrtz_f16_f32 v11, v24, v25
	v_mfma_f32_16x16x16_f16 v[2:5], v[22:23], v[28:29], v[2:5]
	global_load_dwordx4 v[30:33], v[12:13], off
	global_load_dwordx4 v[22:25], v[46:47], off
	v_cvt_pkrtz_f16_f32 v12, v72, v73
	v_cvt_pkrtz_f16_f32 v13, v48, v49
	v_mfma_f32_16x16x16_f16 v[2:5], v[10:11], v[18:19], v[2:5]
	v_cvt_pk_f32_fp8_e32 v[10:11], v42
	v_cvt_pk_f32_fp8_sdwa v[46:47], v42 src0_sel:WORD_1
	s_waitcnt vmcnt(3)
	v_mad_i64_i32 v[72:73], s[6:7], v67, s45, v[70:71]
	v_mfma_f32_16x16x16_f16 v[2:5], v[12:13], v[20:21], v[2:5]
	v_cvt_pkrtz_f16_f32 v10, v10, v11
	v_cvt_pkrtz_f16_f32 v11, v46, v47
	v_cvt_pk_f32_fp8_e32 v[12:13], v43
	v_cvt_pk_f32_fp8_sdwa v[42:43], v43 src0_sel:WORD_1
	v_mfma_f32_16x16x16_f16 v[46:49], v[10:11], v[14:15], v[2:5]
	v_cvt_pkrtz_f16_f32 v74, v12, v13
	v_cvt_pkrtz_f16_f32 v75, v42, v43
	v_cvt_pk_f32_fp8_e32 v[42:43], v44
	s_waitcnt vmcnt(2)
	v_mad_i64_i32 v[70:71], s[6:7], v66, s45, v[70:71]
	global_load_dwordx4 v[10:13], v[72:73], off
	global_load_dwordx4 v[2:5], v[70:71], off
	v_cvt_pkrtz_f16_f32 v70, v42, v43
	v_cvt_pkrtz_f16_f32 v71, v76, v77
	v_cvt_pk_f32_fp8_e32 v[72:73], v45
	v_cvt_pk_f32_fp8_sdwa v[76:77], v45 src0_sel:WORD_1
	v_mfma_f32_16x16x16_f16 v[44:47], v[74:75], v[16:17], v[46:49]
	v_lshl_add_u64 v[42:43], s[4:5], 0, v[62:63]
	v_cvt_pk_f32_fp8_e32 v[62:63], v38
	v_cvt_pk_f32_fp8_sdwa v[74:75], v38 src0_sel:WORD_1
	v_cvt_pkrtz_f16_f32 v48, v72, v73
	v_cvt_pkrtz_f16_f32 v49, v76, v77
	v_mfma_f32_16x16x16_f16 v[44:47], v[70:71], v[6:7], v[44:47]
	s_load_dword s4, s[40:41], 0x0
	s_mov_b32 s40, 0xff7fffff
	v_mfma_f32_16x16x16_f16 v[70:73], v[48:49], v[8:9], v[44:47]
	s_nop 3
	v_cvt_pk_f32_fp8_e32 v[44:45], v39
	v_cvt_pkrtz_f16_f32 v46, v62, v63
	v_cvt_pkrtz_f16_f32 v47, v74, v75
	v_cvt_pk_f32_fp8_sdwa v[38:39], v39 src0_sel:WORD_1
	v_cvt_pkrtz_f16_f32 v48, v44, v45
	v_cvt_pk_f32_fp8_e32 v[62:63], v40
	v_cvt_pk_f32_fp8_sdwa v[74:75], v40 src0_sel:WORD_1
	v_cvt_pkrtz_f16_f32 v49, v38, v39
	v_mfma_f32_16x16x16_f16 v[44:47], v[46:47], v[26:27], 0
	v_cvt_pkrtz_f16_f32 v38, v62, v63
	v_cvt_pkrtz_f16_f32 v39, v74, v75
	v_cvt_pk_f32_fp8_e32 v[62:63], v41
	v_cvt_pk_f32_fp8_sdwa v[74:75], v41 src0_sel:WORD_1
	v_mov_b32_e32 v26, s8
	s_waitcnt lgkmcnt(0)
	v_mul_f32_e32 v76, s4, v26
	v_mfma_f32_16x16x16_f16 v[26:29], v[48:49], v[28:29], v[44:47]
	v_cvt_pk_f32_fp8_sdwa v[48:49], v37 src0_sel:WORD_1
	v_pk_mul_f32 v[40:41], v[76:77], v[52:53] op_sel_hi:[0,1]
	v_pk_mul_f32 v[52:53], v[76:77], v[54:55] op_sel_hi:[0,1]
	v_cvt_pkrtz_f16_f32 v46, v62, v63
	v_cvt_pkrtz_f16_f32 v47, v74, v75
	v_mfma_f32_16x16x16_f16 v[26:29], v[38:39], v[18:19], v[26:29]
	v_cvt_pk_f32_fp8_e32 v[18:19], v34
	v_cvt_pk_f32_fp8_sdwa v[38:39], v34 src0_sel:WORD_1
	v_pk_mul_f32 v[44:45], v[76:77], v[50:51] op_sel_hi:[0,1]
	v_mfma_f32_16x16x16_f16 v[26:29], v[46:47], v[20:21], v[26:29]
	v_cvt_pkrtz_f16_f32 v20, v18, v19
	v_cvt_pkrtz_f16_f32 v21, v38, v39
	v_cvt_pk_f32_fp8_e32 v[38:39], v35
	v_cvt_pk_f32_fp8_sdwa v[34:35], v35 src0_sel:WORD_1
	v_mfma_f32_16x16x16_f16 v[26:29], v[20:21], v[14:15], v[26:29]
	v_cvt_pkrtz_f16_f32 v38, v38, v39
	v_cvt_pkrtz_f16_f32 v39, v34, v35
	v_cvt_pk_f32_fp8_e32 v[14:15], v36
	v_cvt_pk_f32_fp8_sdwa v[20:21], v36 src0_sel:WORD_1
	v_pk_mul_f32 v[50:51], v[76:77], v[70:71] op_sel_hi:[0,1]
	v_mad_i64_i32 v[18:19], s[4:5], v69, s45, v[42:43]
	v_cvt_pkrtz_f16_f32 v46, v14, v15
	v_cvt_pkrtz_f16_f32 v47, v20, v21
	v_cvt_pk_f32_fp8_e32 v[20:21], v37
	v_mfma_f32_16x16x16_f16 v[14:17], v[38:39], v[16:17], v[26:29]
	v_pk_mul_f32 v[36:37], v[76:77], v[56:57] op_sel_hi:[0,1]
	v_mad_i64_i32 v[34:35], s[4:5], v68, s45, v[42:43]
	v_cvt_pkrtz_f16_f32 v20, v20, v21
	v_cvt_pkrtz_f16_f32 v21, v48, v49
	v_mfma_f32_16x16x16_f16 v[14:17], v[46:47], v[6:7], v[14:17]
	v_pk_mul_f32 v[46:47], v[76:77], v[72:73] op_sel_hi:[0,1]
	v_mfma_f32_16x16x16_f16 v[6:9], v[20:21], v[8:9], v[14:17]
	global_load_dwordx4 v[26:29], v[18:19], off
	s_nop 0
	global_load_dwordx4 v[18:21], v[34:35], off
	s_nop 3
	v_pk_mul_f32 v[48:49], v[76:77], v[6:7] op_sel_hi:[0,1]
	v_and_b32_e32 v6, 0xc0, v0
	v_add_u32_e32 v6, s18, v6
	v_lshl_or_b32 v6, v64, 2, v6
	v_pk_mul_f32 v[38:39], v[76:77], v[8:9] op_sel_hi:[0,1]
	v_or_b32_e32 v9, 1, v6
	v_mov_b32_e32 v7, 0xff7fffff
	v_cmp_gt_i32_e64 s[26:27], s33, v6
	v_cmp_gt_i32_e64 s[28:29], s33, v9
	v_or_b32_e32 v14, 3, v6
	v_cndmask_b32_e64 v8, v7, v44, s[26:27]
	v_cndmask_b32_e64 v9, v7, v45, s[28:29]
	v_max3_f32 v8, v8, s40, v9
	v_or_b32_e32 v9, 2, v6
	v_cmp_gt_i32_e64 s[30:31], s33, v9
	v_cmp_gt_i32_e64 s[34:35], s33, v14
	s_nop 0
	v_cndmask_b32_e64 v9, v7, v40, s[30:31]
	v_cndmask_b32_e64 v14, v7, v41, s[34:35]
	v_max3_f32 v8, v8, v9, v14
	v_or_b32_e32 v9, 16, v6
	v_or_b32_e32 v14, 17, v6
	v_cmp_gt_i32_e64 s[18:19], s33, v9
	v_cmp_gt_i32_e64 s[20:21], s33, v14
	s_nop 0
	v_cndmask_b32_e64 v9, v7, v52, s[18:19]
	v_cndmask_b32_e64 v14, v7, v53, s[20:21]
	v_max3_f32 v8, v8, v9, v14
	v_or_b32_e32 v9, 18, v6
	;; [unrolled: 8-line block ×5, first 2 shown]
	v_or_b32_e32 v14, 49, v6
	v_cmp_gt_i32_e32 vcc, s33, v9
	v_cmp_gt_i32_e64 s[4:5], s33, v14
	s_nop 0
	v_cndmask_b32_e32 v9, v7, v48, vcc
	v_cndmask_b32_e64 v14, v7, v49, s[4:5]
	v_max3_f32 v8, v8, v9, v14
	v_or_b32_e32 v9, 50, v6
	v_or_b32_e32 v6, 51, v6
	v_cmp_gt_i32_e64 s[6:7], s33, v9
	v_cmp_gt_i32_e64 s[8:9], s33, v6
	s_nop 0
	v_cndmask_b32_e64 v9, v7, v38, s[6:7]
	v_cndmask_b32_e64 v6, v7, v39, s[8:9]
	v_max3_f32 v8, v8, v9, v6
	v_mbcnt_lo_u32_b32 v6, -1, 0
	v_mbcnt_hi_u32_b32 v9, -1, v6
	v_and_b32_e32 v6, 64, v9
	v_add_u32_e32 v14, 64, v6
	v_xor_b32_e32 v6, 32, v9
	v_cmp_lt_i32_e64 s[38:39], v6, v14
	s_nop 1
	v_cndmask_b32_e64 v6, v9, v6, s[38:39]
	v_lshlrev_b32_e32 v55, 2, v6
	ds_bpermute_b32 v15, v55, v8
	v_mad_i64_i32 v[6:7], s[38:39], v67, s45, v[42:43]
	s_waitcnt lgkmcnt(0)
	v_max_f32_e32 v15, v15, v15
	v_max_f32_e32 v34, v8, v15
	v_xor_b32_e32 v8, 16, v9
	v_cmp_lt_i32_e64 s[38:39], v8, v14
	s_nop 1
	v_cndmask_b32_e64 v8, v9, v8, s[38:39]
	v_lshlrev_b32_e32 v56, 2, v8
	v_mad_i64_i32 v[8:9], s[38:39], v66, s45, v[42:43]
	global_load_dwordx4 v[14:17], v[6:7], off
	s_nop 0
	global_load_dwordx4 v[6:9], v[8:9], off
	ds_bpermute_b32 v35, v56, v34
	s_waitcnt lgkmcnt(0)
	s_barrier
	v_max_f32_e32 v35, v35, v35
	v_max_f32_e32 v54, v34, v35
	v_sub_f32_e32 v42, v52, v54
	v_mul_f32_e32 v42, 0x3fb8aa3b, v42
	v_exp_f32_e32 v42, v42
	v_sub_f32_e32 v36, v36, v54
	v_sub_f32_e32 v34, v44, v54
	v_mul_f32_e32 v36, 0x3fb8aa3b, v36
	v_mul_f32_e32 v34, 0x3fb8aa3b, v34
	v_sub_f32_e32 v35, v45, v54
	v_sub_f32_e32 v43, v53, v54
	v_exp_f32_e32 v44, v36
	v_sub_f32_e32 v36, v37, v54
	v_sub_f32_e32 v48, v48, v54
	;; [unrolled: 1-line block ×3, first 2 shown]
	v_exp_f32_e32 v34, v34
	v_mul_f32_e32 v35, 0x3fb8aa3b, v35
	v_sub_f32_e32 v40, v40, v54
	v_mul_f32_e32 v43, 0x3fb8aa3b, v43
	v_mul_f32_e32 v36, 0x3fb8aa3b, v36
	;; [unrolled: 1-line block ×4, first 2 shown]
	v_exp_f32_e32 v35, v35
	v_mul_f32_e32 v40, 0x3fb8aa3b, v40
	v_sub_f32_e32 v41, v41, v54
	v_exp_f32_e32 v43, v43
	v_exp_f32_e32 v45, v36
	v_cndmask_b32_e64 v36, 0, v42, s[18:19]
	v_sub_f32_e32 v42, v50, v54
	v_exp_f32_e32 v48, v48
	v_exp_f32_e32 v50, v38
	;; [unrolled: 1-line block ×3, first 2 shown]
	v_mul_f32_e32 v41, 0x3fb8aa3b, v41
	v_exp_f32_e32 v41, v41
	v_sub_f32_e32 v38, v39, v54
	v_cndmask_b32_e64 v34, 0, v34, s[26:27]
	v_mul_f32_e32 v38, 0x3fb8aa3b, v38
	v_cndmask_b32_e64 v35, 0, v35, s[28:29]
	v_cndmask_b32_e64 v37, 0, v43, s[20:21]
	v_sub_f32_e32 v43, v51, v54
	v_exp_f32_e32 v51, v38
	v_cndmask_b32_e32 v38, 0, v48, vcc
	v_cndmask_b32_e64 v48, 0, v50, s[6:7]
	v_add_f32_e32 v50, 0, v34
	v_cndmask_b32_e64 v40, 0, v40, s[30:31]
	v_add_f32_e32 v50, v50, v35
	v_cndmask_b32_e64 v41, 0, v41, s[34:35]
	v_mul_f32_e32 v42, 0x3fb8aa3b, v42
	v_add_f32_e32 v50, v50, v40
	v_exp_f32_e32 v42, v42
	v_mul_f32_e32 v43, 0x3fb8aa3b, v43
	v_sub_f32_e32 v46, v46, v54
	v_add_f32_e32 v50, v50, v41
	v_exp_f32_e32 v43, v43
	v_mul_f32_e32 v46, 0x3fb8aa3b, v46
	v_sub_f32_e32 v47, v47, v54
	v_add_f32_e32 v50, v50, v36
	v_cndmask_b32_e64 v44, 0, v44, s[22:23]
	v_exp_f32_e32 v46, v46
	v_mul_f32_e32 v47, 0x3fb8aa3b, v47
	v_add_f32_e32 v50, v50, v37
	v_cndmask_b32_e64 v45, 0, v45, s[36:37]
	v_exp_f32_e32 v47, v47
	v_sub_f32_e32 v49, v49, v54
	v_add_f32_e32 v50, v50, v44
	v_cndmask_b32_e64 v42, 0, v42, s[10:11]
	v_mul_f32_e32 v49, 0x3fb8aa3b, v49
	v_add_f32_e32 v50, v50, v45
	v_cndmask_b32_e64 v43, 0, v43, s[12:13]
	v_exp_f32_e32 v49, v49
	v_add_f32_e32 v50, v50, v42
	v_cndmask_b32_e64 v46, 0, v46, s[14:15]
	v_add_f32_e32 v50, v50, v43
	v_cndmask_b32_e64 v47, 0, v47, s[16:17]
	v_add_f32_e32 v50, v50, v46
	v_add_f32_e32 v50, v50, v47
	v_cndmask_b32_e64 v39, 0, v49, s[4:5]
	v_add_f32_e32 v50, v50, v38
	;; [unrolled: 3-line block ×3, first 2 shown]
	v_add_f32_e32 v50, v50, v49
	ds_bpermute_b32 v51, v55, v50
	v_cmp_gt_u32_e32 vcc, 16, v65
	s_waitcnt lgkmcnt(0)
	v_add_f32_e32 v50, v50, v51
	ds_bpermute_b32 v51, v56, v50
	s_and_saveexec_b64 s[4:5], vcc
	s_cbranch_execz .LBB1001_13
; %bb.12:
	s_waitcnt lgkmcnt(0)
	v_add_f32_e32 v50, v50, v51
	v_lshlrev_b32_e32 v51, 2, v59
	ds_write2st64_b32 v51, v54, v50 offset1:1
.LBB1001_13:
	s_or_b64 exec, exec, s[4:5]
	s_waitcnt lgkmcnt(0)
	v_lshlrev_b32_e32 v51, 2, v60
	s_load_dword s6, s[0:1], 0x94
	s_waitcnt lgkmcnt(0)
	s_barrier
	ds_read2_b32 v[52:53], v51 offset1:16
	ds_read2_b32 v[54:55], v51 offset0:32 offset1:48
	ds_read2_b32 v[56:57], v51 offset0:64 offset1:80
	s_mul_i32 s7, s25, 14
	s_waitcnt lgkmcnt(2)
	v_max3_f32 v50, v52, s40, v53
	s_waitcnt lgkmcnt(1)
	v_max3_f32 v50, v50, v54, v55
	v_sub_f32_e32 v52, v52, v50
	v_mul_f32_e32 v52, 0x3fb8aa3b, v52
	v_exp_f32_e32 v59, v52
	v_sub_f32_e32 v52, v53, v50
	v_mul_f32_e32 v52, 0x3fb8aa3b, v52
	v_exp_f32_e32 v62, v52
	v_sub_f32_e32 v52, v54, v50
	v_mul_f32_e32 v52, 0x3fb8aa3b, v52
	v_exp_f32_e32 v54, v52
	ds_read2_b32 v[52:53], v51 offset0:96 offset1:112
	v_sub_f32_e32 v51, v55, v50
	v_mul_f32_e32 v51, 0x3fb8aa3b, v51
	v_exp_f32_e32 v55, v51
	s_waitcnt lgkmcnt(1)
	v_fma_f32 v51, v59, v56, 0
	v_fmac_f32_e32 v51, v62, v57
	s_waitcnt lgkmcnt(0)
	v_fmac_f32_e32 v51, v54, v52
	v_fmac_f32_e32 v51, v55, v53
	v_add_f32_e32 v52, 0x358637bd, v51
	v_div_scale_f32 v53, s[4:5], v52, v52, 1.0
	v_rcp_f32_e32 v56, v53
	s_barrier
	v_fma_f32 v57, -v53, v56, 1.0
	v_fmac_f32_e32 v56, v57, v56
	v_div_scale_f32 v57, vcc, 1.0, v52, 1.0
	v_mul_f32_e32 v63, v57, v56
	v_fma_f32 v65, -v53, v63, v57
	v_fmac_f32_e32 v63, v65, v56
	v_fma_f32 v53, -v53, v63, v57
	v_div_fmas_f32 v53, v53, v56, v63
	v_cmp_eq_u32_e32 vcc, 1, v61
	v_div_fixup_f32 v52, v53, v52, 1.0
	s_nop 0
	v_cndmask_b32_e32 v53, v59, v62, vcc
	v_cmp_eq_u32_e32 vcc, 2, v61
	s_nop 1
	v_cndmask_b32_e32 v53, v53, v54, vcc
	v_cmp_eq_u32_e32 vcc, 3, v61
	s_nop 1
	v_cndmask_b32_e32 v53, v53, v55, vcc
	v_mul_f32_e32 v52, v53, v52
	v_pk_mul_f32 v[40:41], v[52:53], v[40:41] op_sel_hi:[0,1]
	v_pk_mul_f32 v[34:35], v[52:53], v[34:35] op_sel_hi:[0,1]
	v_cvt_f16_f32_e32 v53, v40
	v_cvt_f16_f32_e32 v34, v34
	v_cvt_f16_f32_e32 v35, v35
	v_cvt_f16_f32_e32 v41, v41
	v_pk_mul_f32 v[44:45], v[52:53], v[44:45] op_sel_hi:[0,1]
	v_pk_mul_f32 v[36:37], v[52:53], v[36:37] op_sel_hi:[0,1]
	v_cvt_f16_f32_e32 v36, v36
	v_cvt_f16_f32_e32 v37, v37
	;; [unrolled: 1-line block ×4, first 2 shown]
	v_pack_b32_f16 v40, v34, v35
	v_pack_b32_f16 v41, v53, v41
	v_lshlrev_b32_e32 v35, 3, v64
	v_lshlrev_b32_e32 v34, 5, v60
	;; [unrolled: 1-line block ×3, first 2 shown]
	v_or3_b32 v54, v53, v34, v35
	v_pack_b32_f16 v36, v36, v37
	v_pack_b32_f16 v37, v44, v45
	ds_write2st64_b64 v54, v[40:41], v[36:37] offset1:1
	v_pk_mul_f32 v[36:37], v[52:53], v[46:47] op_sel_hi:[0,1]
	v_pk_mul_f32 v[40:41], v[52:53], v[42:43] op_sel_hi:[0,1]
	v_cvt_f16_f32_e32 v35, v40
	v_cvt_f16_f32_e32 v40, v41
	;; [unrolled: 1-line block ×4, first 2 shown]
	v_pk_mul_f32 v[36:37], v[52:53], v[48:49] op_sel_hi:[0,1]
	v_pk_mul_f32 v[38:39], v[52:53], v[38:39] op_sel_hi:[0,1]
	v_cvt_f16_f32_e32 v38, v38
	v_cvt_f16_f32_e32 v39, v39
	;; [unrolled: 1-line block ×4, first 2 shown]
	v_pack_b32_f16 v36, v35, v40
	v_pack_b32_f16 v37, v41, v42
	;; [unrolled: 1-line block ×4, first 2 shown]
	v_cmp_gt_u32_e32 vcc, 14, v0
	ds_write2st64_b64 v54, v[36:37], v[38:39] offset0:2 offset1:3
	s_and_saveexec_b64 s[4:5], vcc
	s_cbranch_execz .LBB1001_15
; %bb.14:
	s_mov_b32 s49, 0
	v_mov_b32_e32 v61, 0
	v_lshl_add_u64 v[36:37], s[48:49], 0, v[60:61]
	v_mov_b32_e32 v35, s7
	v_mad_u64_u32 v[36:37], s[12:13], s2, v35, v[36:37]
	s_mul_i32 s3, s3, s7
	v_mov_b32_e32 v38, s24
	v_mov_b32_e32 v39, v61
	s_load_dwordx4 s[8:11], s[0:1], 0x58
	v_add_u32_e32 v35, s3, v37
	v_mad_u64_u32 v[36:37], s[12:13], v36, s6, v[38:39]
	v_mov_b32_e32 v38, v37
	v_mad_u64_u32 v[38:39], s[12:13], v35, s6, v[38:39]
	v_mov_b32_e32 v37, v38
	v_lshlrev_b64 v[36:37], 2, v[36:37]
	s_waitcnt lgkmcnt(0)
	v_lshl_add_u64 v[38:39], s[10:11], 0, v[36:37]
	v_lshl_add_u64 v[36:37], s[8:9], 0, v[36:37]
	global_store_dword v[38:39], v50, off
	global_store_dword v[36:37], v51, off
.LBB1001_15:
	s_or_b64 exec, exec, s[4:5]
	s_waitcnt vmcnt(7)
	v_cvt_pk_f32_fp8_e32 v[36:37], v30
	v_lshl_or_b32 v50, v64, 9, v34
	v_cvt_pk_f32_fp8_sdwa v[34:35], v30 src0_sel:WORD_1
	s_waitcnt lgkmcnt(0)
	s_barrier
	v_cvt_pk_f32_fp8_e32 v[38:39], v31
	v_cvt_pkrtz_f16_f32 v30, v36, v37
	v_cvt_pk_f32_fp8_sdwa v[40:41], v31 src0_sel:WORD_1
	v_cvt_pkrtz_f16_f32 v31, v34, v35
	ds_read_b128 v[34:37], v50
	v_cvt_pkrtz_f16_f32 v46, v38, v39
	v_cvt_pkrtz_f16_f32 v47, v40, v41
	ds_read_b128 v[38:41], v50 offset:16
	v_cvt_pk_f32_fp8_e32 v[48:49], v32
	v_cvt_pk_f32_fp8_sdwa v[52:53], v32 src0_sel:WORD_1
	s_waitcnt lgkmcnt(1)
	v_mfma_f32_16x16x16_f16 v[42:45], v[30:31], v[34:35], 0
	s_waitcnt vmcnt(6)
	v_cvt_pk_f32_fp8_e32 v[56:57], v24
	v_cvt_pkrtz_f16_f32 v30, v48, v49
	v_cvt_pkrtz_f16_f32 v31, v52, v53
	v_cvt_pk_f32_fp8_e32 v[48:49], v33
	v_mfma_f32_16x16x16_f16 v[42:45], v[46:47], v[36:37], v[42:45]
	v_cvt_pk_f32_fp8_sdwa v[46:47], v33 src0_sel:WORD_1
	v_cvt_pk_f32_fp8_sdwa v[62:63], v24 src0_sel:WORD_1
	v_cvt_pkrtz_f16_f32 v48, v48, v49
	s_waitcnt lgkmcnt(0)
	v_mfma_f32_16x16x16_f16 v[30:33], v[30:31], v[38:39], v[42:45]
	v_cvt_pkrtz_f16_f32 v49, v46, v47
	s_waitcnt vmcnt(4)
	v_cvt_pk_f32_fp8_sdwa v[70:71], v4 src0_sel:WORD_1
	s_waitcnt vmcnt(3)
	v_cvt_pk_f32_fp8_sdwa v[72:73], v28 src0_sel:WORD_1
	v_cvt_pk_f32_fp8_e32 v[42:43], v22
	v_mfma_f32_16x16x16_f16 v[46:49], v[48:49], v[40:41], v[30:33]
	s_load_dword s4, s[42:43], 0x0
	s_mov_b32 s3, 0
	s_nop 0
	v_cvt_pk_f32_fp8_sdwa v[30:31], v22 src0_sel:WORD_1
	v_cvt_pk_f32_fp8_e32 v[32:33], v23
	v_cvt_pkrtz_f16_f32 v22, v42, v43
	v_cvt_pk_f32_fp8_sdwa v[42:43], v23 src0_sel:WORD_1
	v_cvt_pkrtz_f16_f32 v23, v30, v31
	v_cvt_pkrtz_f16_f32 v52, v32, v33
	ds_read_b128 v[30:33], v50 offset:2048
	v_cvt_pkrtz_f16_f32 v53, v42, v43
	ds_read_b128 v[42:45], v50 offset:2064
	s_waitcnt lgkmcnt(0)
	v_mfma_f32_16x16x16_f16 v[46:49], v[22:23], v[30:31], v[46:49]
	v_cvt_pkrtz_f16_f32 v22, v56, v57
	v_cvt_pkrtz_f16_f32 v23, v62, v63
	v_cvt_pk_f32_fp8_e32 v[56:57], v25
	v_mfma_f32_16x16x16_f16 v[46:49], v[52:53], v[32:33], v[46:49]
	v_cvt_pk_f32_fp8_sdwa v[52:53], v25 src0_sel:WORD_1
	v_cvt_pk_f32_fp8_sdwa v[62:63], v12 src0_sel:WORD_1
	v_cvt_pkrtz_f16_f32 v56, v56, v57
	v_mfma_f32_16x16x16_f16 v[22:25], v[22:23], v[42:43], v[46:49]
	v_cvt_pkrtz_f16_f32 v57, v52, v53
	v_cmp_gt_u32_e32 vcc, 64, v0
	s_nop 0
	v_cvt_pk_f32_fp8_e32 v[46:47], v10
	v_mfma_f32_16x16x16_f16 v[66:69], v[56:57], v[44:45], v[22:25]
	v_cvt_pk_f32_fp8_e32 v[56:57], v12
	s_nop 1
	v_cvt_pk_f32_fp8_sdwa v[22:23], v10 src0_sel:WORD_1
	v_cvt_pk_f32_fp8_e32 v[24:25], v11
	v_cvt_pkrtz_f16_f32 v10, v46, v47
	v_cvt_pk_f32_fp8_sdwa v[46:47], v11 src0_sel:WORD_1
	v_cvt_pkrtz_f16_f32 v11, v22, v23
	v_cvt_pkrtz_f16_f32 v52, v24, v25
	ds_read_b128 v[22:25], v50 offset:4096
	v_cvt_pkrtz_f16_f32 v53, v46, v47
	ds_read_b128 v[46:49], v50 offset:4112
	s_waitcnt lgkmcnt(1)
	v_mfma_f32_16x16x16_f16 v[66:69], v[10:11], v[22:23], v[66:69]
	v_cvt_pkrtz_f16_f32 v10, v56, v57
	v_cvt_pkrtz_f16_f32 v11, v62, v63
	v_cvt_pk_f32_fp8_e32 v[56:57], v13
	v_mfma_f32_16x16x16_f16 v[66:69], v[52:53], v[24:25], v[66:69]
	v_cvt_pk_f32_fp8_sdwa v[52:53], v13 src0_sel:WORD_1
	v_cvt_pk_f32_fp8_e32 v[62:63], v4
	v_cvt_pkrtz_f16_f32 v56, v56, v57
	s_waitcnt lgkmcnt(0)
	v_mfma_f32_16x16x16_f16 v[10:13], v[10:11], v[46:47], v[66:69]
	v_cvt_pkrtz_f16_f32 v57, v52, v53
	v_cvt_pk_f32_fp8_e32 v[52:53], v2
	s_nop 0
	v_mfma_f32_16x16x16_f16 v[66:69], v[56:57], v[48:49], v[10:13]
	s_nop 2
	v_cvt_pk_f32_fp8_sdwa v[10:11], v2 src0_sel:WORD_1
	v_cvt_pk_f32_fp8_e32 v[12:13], v3
	v_cvt_pkrtz_f16_f32 v2, v52, v53
	v_cvt_pk_f32_fp8_sdwa v[52:53], v3 src0_sel:WORD_1
	v_cvt_pkrtz_f16_f32 v3, v10, v11
	v_cvt_pkrtz_f16_f32 v56, v12, v13
	ds_read_b128 v[10:13], v50 offset:6144
	v_cvt_pkrtz_f16_f32 v57, v52, v53
	s_waitcnt lgkmcnt(0)
	v_mfma_f32_16x16x16_f16 v[66:69], v[2:3], v[10:11], v[66:69]
	ds_read_b128 v[50:53], v50 offset:6160
	v_cvt_pkrtz_f16_f32 v2, v62, v63
	v_cvt_pkrtz_f16_f32 v3, v70, v71
	v_cvt_pk_f32_fp8_e32 v[62:63], v5
	v_mfma_f32_16x16x16_f16 v[66:69], v[56:57], v[12:13], v[66:69]
	v_cvt_pk_f32_fp8_sdwa v[56:57], v5 src0_sel:WORD_1
	v_cvt_pk_f32_fp8_e32 v[70:71], v28
	v_cvt_pkrtz_f16_f32 v62, v62, v63
	s_waitcnt lgkmcnt(0)
	v_mfma_f32_16x16x16_f16 v[2:5], v[2:3], v[50:51], v[66:69]
	v_cvt_pkrtz_f16_f32 v63, v56, v57
	v_cvt_pk_f32_fp8_e32 v[56:57], v26
	s_nop 0
	v_cvt_pk_f32_fp8_sdwa v[66:67], v26 src0_sel:WORD_1
	v_mfma_f32_16x16x16_f16 v[2:5], v[62:63], v[52:53], v[2:5]
	v_cvt_pk_f32_fp8_e32 v[62:63], v27
	v_cvt_pkrtz_f16_f32 v56, v56, v57
	v_cvt_pkrtz_f16_f32 v57, v66, v67
	v_cvt_pk_f32_fp8_sdwa v[26:27], v27 src0_sel:WORD_1
	v_cvt_pkrtz_f16_f32 v62, v62, v63
	v_mfma_f32_16x16x16_f16 v[66:69], v[56:57], v[34:35], 0
	v_cvt_pkrtz_f16_f32 v63, v26, v27
	v_cvt_pkrtz_f16_f32 v26, v70, v71
	;; [unrolled: 1-line block ×3, first 2 shown]
	v_cvt_pk_f32_fp8_e32 v[56:57], v29
	v_mfma_f32_16x16x16_f16 v[34:37], v[62:63], v[36:37], v[66:69]
	v_cvt_pk_f32_fp8_sdwa v[62:63], v29 src0_sel:WORD_1
	v_cvt_pkrtz_f16_f32 v56, v56, v57
	s_barrier
	v_mfma_f32_16x16x16_f16 v[26:29], v[26:27], v[38:39], v[34:37]
	v_cvt_pkrtz_f16_f32 v57, v62, v63
	s_waitcnt vmcnt(2)
	v_cvt_pk_f32_fp8_e32 v[38:39], v19
	v_cvt_pk_f32_fp8_e32 v[34:35], v18
	v_cvt_pk_f32_fp8_sdwa v[36:37], v18 src0_sel:WORD_1
	v_cvt_pk_f32_fp8_sdwa v[18:19], v19 src0_sel:WORD_1
	v_mfma_f32_16x16x16_f16 v[26:29], v[56:57], v[40:41], v[26:29]
	v_cvt_pkrtz_f16_f32 v34, v34, v35
	v_cvt_pkrtz_f16_f32 v35, v36, v37
	v_cvt_pkrtz_f16_f32 v36, v38, v39
	v_cvt_pk_f32_fp8_e32 v[38:39], v20
	v_cvt_pk_f32_fp8_sdwa v[40:41], v20 src0_sel:WORD_1
	v_cvt_pkrtz_f16_f32 v37, v18, v19
	v_mfma_f32_16x16x16_f16 v[26:29], v[34:35], v[30:31], v[26:29]
	v_cvt_pkrtz_f16_f32 v30, v38, v39
	v_cvt_pkrtz_f16_f32 v31, v40, v41
	v_cvt_pk_f32_fp8_e32 v[34:35], v21
	v_cvt_pk_f32_fp8_sdwa v[38:39], v21 src0_sel:WORD_1
	v_mfma_f32_16x16x16_f16 v[18:21], v[36:37], v[32:33], v[26:29]
	s_waitcnt vmcnt(1)
	v_cvt_pk_f32_fp8_sdwa v[32:33], v16 src0_sel:WORD_1
	s_nop 0
	v_cvt_pkrtz_f16_f32 v26, v34, v35
	v_cvt_pkrtz_f16_f32 v27, v38, v39
	v_mfma_f32_16x16x16_f16 v[18:21], v[30:31], v[42:43], v[18:21]
	v_cvt_pk_f32_fp8_e32 v[28:29], v14
	v_cvt_pk_f32_fp8_sdwa v[30:31], v14 src0_sel:WORD_1
	v_cvt_pkrtz_f16_f32 v28, v28, v29
	v_mfma_f32_16x16x16_f16 v[18:21], v[26:27], v[44:45], v[18:21]
	v_cvt_pk_f32_fp8_e32 v[26:27], v15
	v_cvt_pkrtz_f16_f32 v29, v30, v31
	v_cvt_pk_f32_fp8_sdwa v[14:15], v15 src0_sel:WORD_1
	v_cvt_pk_f32_fp8_e32 v[30:31], v16
	v_cvt_pkrtz_f16_f32 v26, v26, v27
	v_mfma_f32_16x16x16_f16 v[18:21], v[28:29], v[22:23], v[18:21]
	v_cvt_pkrtz_f16_f32 v27, v14, v15
	v_cvt_pkrtz_f16_f32 v22, v30, v31
	;; [unrolled: 1-line block ×3, first 2 shown]
	v_cvt_pk_f32_fp8_e32 v[28:29], v17
	v_cvt_pk_f32_fp8_sdwa v[30:31], v17 src0_sel:WORD_1
	v_mfma_f32_16x16x16_f16 v[14:17], v[26:27], v[24:25], v[18:21]
	s_waitcnt vmcnt(0)
	v_cvt_pk_f32_fp8_sdwa v[24:25], v6 src0_sel:WORD_1
	s_nop 0
	v_pk_mul_f32 v[18:19], v[4:5], s[4:5] op_sel_hi:[1,0]
	v_cvt_pkrtz_f16_f32 v4, v28, v29
	v_cvt_pkrtz_f16_f32 v5, v30, v31
	v_mfma_f32_16x16x16_f16 v[14:17], v[22:23], v[46:47], v[14:17]
	v_cvt_pk_f32_fp8_e32 v[22:23], v6
	v_pk_mul_f32 v[20:21], v[2:3], s[4:5] op_sel_hi:[1,0]
	v_mfma_f32_16x16x16_f16 v[2:5], v[4:5], v[48:49], v[14:17]
	s_nop 3
	v_cvt_pk_f32_fp8_e32 v[14:15], v7
	v_cvt_pkrtz_f16_f32 v16, v22, v23
	v_cvt_pkrtz_f16_f32 v17, v24, v25
	v_cvt_pk_f32_fp8_sdwa v[6:7], v7 src0_sel:WORD_1
	v_cvt_pkrtz_f16_f32 v14, v14, v15
	v_cvt_pk_f32_fp8_e32 v[22:23], v8
	v_cvt_pk_f32_fp8_sdwa v[24:25], v8 src0_sel:WORD_1
	v_cvt_pkrtz_f16_f32 v15, v6, v7
	v_mfma_f32_16x16x16_f16 v[2:5], v[16:17], v[10:11], v[2:5]
	v_cvt_pkrtz_f16_f32 v6, v22, v23
	v_cvt_pkrtz_f16_f32 v7, v24, v25
	v_cvt_pk_f32_fp8_e32 v[10:11], v9
	v_cvt_pk_f32_fp8_sdwa v[8:9], v9 src0_sel:WORD_1
	v_mfma_f32_16x16x16_f16 v[2:5], v[14:15], v[12:13], v[2:5]
	v_cvt_f16_f32_e32 v12, v20
	v_cvt_pkrtz_f16_f32 v10, v10, v11
	v_cvt_pkrtz_f16_f32 v11, v8, v9
	v_mfma_f32_16x16x16_f16 v[2:5], v[6:7], v[50:51], v[2:5]
	v_cvt_f16_f32_e32 v6, v21
	v_cvt_f16_f32_e32 v7, v18
	;; [unrolled: 1-line block ×3, first 2 shown]
	v_mfma_f32_16x16x16_f16 v[2:5], v[10:11], v[52:53], v[2:5]
	s_nop 6
	v_pk_mul_f32 v[4:5], v[4:5], s[4:5] op_sel_hi:[1,0]
	v_pk_mul_f32 v[2:3], v[2:3], s[4:5] op_sel_hi:[1,0]
	v_cvt_f16_f32_e32 v11, v4
	v_cvt_f16_f32_e32 v9, v2
	;; [unrolled: 1-line block ×4, first 2 shown]
	v_pack_b32_f16 v2, v12, v6
	v_pack_b32_f16 v3, v7, v8
	;; [unrolled: 1-line block ×4, first 2 shown]
	ds_write2st64_b64 v54, v[2:3], v[4:5] offset1:1
	s_waitcnt lgkmcnt(0)
	s_barrier
	s_and_saveexec_b64 s[4:5], vcc
	s_cbranch_execz .LBB1001_18
; %bb.16:
	s_load_dwordx2 s[4:5], s[0:1], 0x68
	s_lshl_b32 s0, s6, 7
	s_mul_i32 s1, s7, s2
	v_lshlrev_b32_e32 v3, 6, v60
	s_mul_hi_u32 s7, s1, s0
	s_mul_i32 s6, s1, s0
	v_lshl_or_b32 v0, v0, 10, v3
	s_lshl_b64 s[6:7], s[6:7], 1
	v_lshlrev_b32_e32 v2, 5, v64
	v_and_b32_e32 v1, 16, v1
	v_and_b32_e32 v0, 0x1a00, v0
	s_waitcnt lgkmcnt(0)
	s_add_u32 s1, s4, s6
	v_or3_b32 v2, v0, v2, v1
	s_addc_u32 s4, s5, s7
	s_lshl_b32 s2, s24, 7
	ds_read_b128 v[4:7], v2 offset:256
	s_lshl_b64 s[2:3], s[2:3], 1
	ds_read_b128 v[8:11], v2 offset:128
	ds_read_b128 v[12:15], v2
	s_add_u32 s2, s1, s2
	s_addc_u32 s3, s4, s3
	v_mov_b32_e32 v59, 0
	v_add_u32_e32 v18, s48, v64
	v_lshl_add_u64 v[0:1], s[2:3], 0, v[58:59]
	v_mad_u64_u32 v[16:17], s[2:3], v18, s0, 0
	v_lshl_add_u64 v[16:17], v[16:17], 1, v[0:1]
	s_waitcnt lgkmcnt(0)
	global_store_dwordx4 v[16:17], v[12:15], off
	v_or_b32_e32 v3, 12, v64
	v_cmp_gt_u32_e32 vcc, 14, v3
	v_add_u32_e32 v12, 4, v18
	v_mad_u64_u32 v[12:13], s[2:3], v12, s0, 0
	v_lshl_add_u64 v[12:13], v[12:13], 1, v[0:1]
	global_store_dwordx4 v[12:13], v[8:11], off
	s_nop 1
	v_add_u32_e32 v8, 8, v18
	v_mad_u64_u32 v[8:9], s[2:3], v8, s0, 0
	v_lshl_add_u64 v[8:9], v[8:9], 1, v[0:1]
	global_store_dwordx4 v[8:9], v[4:7], off
	s_and_b64 exec, exec, vcc
	s_cbranch_execz .LBB1001_18
; %bb.17:
	ds_read_b128 v[4:7], v2 offset:384
	v_add_u32_e32 v2, s48, v3
	v_mad_u64_u32 v[2:3], s[0:1], v2, s0, 0
	v_lshl_add_u64 v[0:1], v[2:3], 1, v[0:1]
	s_waitcnt lgkmcnt(0)
	global_store_dwordx4 v[0:1], v[4:7], off
.LBB1001_18:
	s_endpgm
	.section	.rodata,"a",@progbits
	.p2align	6, 0x0
	.amdhsa_kernel _Z39paged_attention_ll4mi_QKV_mfma16_kernelIDF16_hLN4vllm18Fp8KVCacheDataTypeE1EDF16_Li16ELi128ELi256ELb0ELi14EEvPKT_PKT0_S7_ifPKiS9_S9_iPKfiiiPfSC_PS2_PT2_iSB_SB_
		.amdhsa_group_segment_fixed_size 8192
		.amdhsa_private_segment_fixed_size 0
		.amdhsa_kernarg_size 400
		.amdhsa_user_sgpr_count 2
		.amdhsa_user_sgpr_dispatch_ptr 0
		.amdhsa_user_sgpr_queue_ptr 0
		.amdhsa_user_sgpr_kernarg_segment_ptr 1
		.amdhsa_user_sgpr_dispatch_id 0
		.amdhsa_user_sgpr_kernarg_preload_length 0
		.amdhsa_user_sgpr_kernarg_preload_offset 0
		.amdhsa_user_sgpr_private_segment_size 0
		.amdhsa_uses_dynamic_stack 0
		.amdhsa_enable_private_segment 0
		.amdhsa_system_sgpr_workgroup_id_x 1
		.amdhsa_system_sgpr_workgroup_id_y 1
		.amdhsa_system_sgpr_workgroup_id_z 1
		.amdhsa_system_sgpr_workgroup_info 0
		.amdhsa_system_vgpr_workitem_id 0
		.amdhsa_next_free_vgpr 88
		.amdhsa_next_free_sgpr 50
		.amdhsa_accum_offset 88
		.amdhsa_reserve_vcc 1
		.amdhsa_float_round_mode_32 0
		.amdhsa_float_round_mode_16_64 0
		.amdhsa_float_denorm_mode_32 3
		.amdhsa_float_denorm_mode_16_64 3
		.amdhsa_dx10_clamp 1
		.amdhsa_ieee_mode 1
		.amdhsa_fp16_overflow 0
		.amdhsa_tg_split 0
		.amdhsa_exception_fp_ieee_invalid_op 0
		.amdhsa_exception_fp_denorm_src 0
		.amdhsa_exception_fp_ieee_div_zero 0
		.amdhsa_exception_fp_ieee_overflow 0
		.amdhsa_exception_fp_ieee_underflow 0
		.amdhsa_exception_fp_ieee_inexact 0
		.amdhsa_exception_int_div_zero 0
	.end_amdhsa_kernel
	.section	.text._Z39paged_attention_ll4mi_QKV_mfma16_kernelIDF16_hLN4vllm18Fp8KVCacheDataTypeE1EDF16_Li16ELi128ELi256ELb0ELi14EEvPKT_PKT0_S7_ifPKiS9_S9_iPKfiiiPfSC_PS2_PT2_iSB_SB_,"axG",@progbits,_Z39paged_attention_ll4mi_QKV_mfma16_kernelIDF16_hLN4vllm18Fp8KVCacheDataTypeE1EDF16_Li16ELi128ELi256ELb0ELi14EEvPKT_PKT0_S7_ifPKiS9_S9_iPKfiiiPfSC_PS2_PT2_iSB_SB_,comdat
.Lfunc_end1001:
	.size	_Z39paged_attention_ll4mi_QKV_mfma16_kernelIDF16_hLN4vllm18Fp8KVCacheDataTypeE1EDF16_Li16ELi128ELi256ELb0ELi14EEvPKT_PKT0_S7_ifPKiS9_S9_iPKfiiiPfSC_PS2_PT2_iSB_SB_, .Lfunc_end1001-_Z39paged_attention_ll4mi_QKV_mfma16_kernelIDF16_hLN4vllm18Fp8KVCacheDataTypeE1EDF16_Li16ELi128ELi256ELb0ELi14EEvPKT_PKT0_S7_ifPKiS9_S9_iPKfiiiPfSC_PS2_PT2_iSB_SB_
                                        ; -- End function
	.section	.AMDGPU.csdata,"",@progbits
; Kernel info:
; codeLenInByte = 6076
; NumSgprs: 56
; NumVgprs: 88
; NumAgprs: 0
; TotalNumVgprs: 88
; ScratchSize: 0
; MemoryBound: 0
; FloatMode: 240
; IeeeMode: 1
; LDSByteSize: 8192 bytes/workgroup (compile time only)
; SGPRBlocks: 6
; VGPRBlocks: 10
; NumSGPRsForWavesPerEU: 56
; NumVGPRsForWavesPerEU: 88
; AccumOffset: 88
; Occupancy: 5
; WaveLimiterHint : 1
; COMPUTE_PGM_RSRC2:SCRATCH_EN: 0
; COMPUTE_PGM_RSRC2:USER_SGPR: 2
; COMPUTE_PGM_RSRC2:TRAP_HANDLER: 0
; COMPUTE_PGM_RSRC2:TGID_X_EN: 1
; COMPUTE_PGM_RSRC2:TGID_Y_EN: 1
; COMPUTE_PGM_RSRC2:TGID_Z_EN: 1
; COMPUTE_PGM_RSRC2:TIDIG_COMP_CNT: 0
; COMPUTE_PGM_RSRC3_GFX90A:ACCUM_OFFSET: 21
; COMPUTE_PGM_RSRC3_GFX90A:TG_SPLIT: 0
	.section	.text._Z39paged_attention_ll4mi_QKV_mfma16_kernelIDF16_hLN4vllm18Fp8KVCacheDataTypeE1EDF16_Li16ELi128ELi256ELb0ELi15EEvPKT_PKT0_S7_ifPKiS9_S9_iPKfiiiPfSC_PS2_PT2_iSB_SB_,"axG",@progbits,_Z39paged_attention_ll4mi_QKV_mfma16_kernelIDF16_hLN4vllm18Fp8KVCacheDataTypeE1EDF16_Li16ELi128ELi256ELb0ELi15EEvPKT_PKT0_S7_ifPKiS9_S9_iPKfiiiPfSC_PS2_PT2_iSB_SB_,comdat
	.protected	_Z39paged_attention_ll4mi_QKV_mfma16_kernelIDF16_hLN4vllm18Fp8KVCacheDataTypeE1EDF16_Li16ELi128ELi256ELb0ELi15EEvPKT_PKT0_S7_ifPKiS9_S9_iPKfiiiPfSC_PS2_PT2_iSB_SB_ ; -- Begin function _Z39paged_attention_ll4mi_QKV_mfma16_kernelIDF16_hLN4vllm18Fp8KVCacheDataTypeE1EDF16_Li16ELi128ELi256ELb0ELi15EEvPKT_PKT0_S7_ifPKiS9_S9_iPKfiiiPfSC_PS2_PT2_iSB_SB_
	.globl	_Z39paged_attention_ll4mi_QKV_mfma16_kernelIDF16_hLN4vllm18Fp8KVCacheDataTypeE1EDF16_Li16ELi128ELi256ELb0ELi15EEvPKT_PKT0_S7_ifPKiS9_S9_iPKfiiiPfSC_PS2_PT2_iSB_SB_
	.p2align	8
	.type	_Z39paged_attention_ll4mi_QKV_mfma16_kernelIDF16_hLN4vllm18Fp8KVCacheDataTypeE1EDF16_Li16ELi128ELi256ELb0ELi15EEvPKT_PKT0_S7_ifPKiS9_S9_iPKfiiiPfSC_PS2_PT2_iSB_SB_,@function
_Z39paged_attention_ll4mi_QKV_mfma16_kernelIDF16_hLN4vllm18Fp8KVCacheDataTypeE1EDF16_Li16ELi128ELi256ELb0ELi15EEvPKT_PKT0_S7_ifPKiS9_S9_iPKfiiiPfSC_PS2_PT2_iSB_SB_: ; @_Z39paged_attention_ll4mi_QKV_mfma16_kernelIDF16_hLN4vllm18Fp8KVCacheDataTypeE1EDF16_Li16ELi128ELi256ELb0ELi15EEvPKT_PKT0_S7_ifPKiS9_S9_iPKfiiiPfSC_PS2_PT2_iSB_SB_
; %bb.0:
	s_load_dwordx2 s[12:13], s[0:1], 0x30
	s_mov_b32 s24, s3
	s_mov_b64 s[6:7], 0
	s_waitcnt lgkmcnt(0)
	s_cmp_lg_u64 s[12:13], 0
	s_cselect_b64 s[14:15], -1, 0
	s_and_b64 vcc, exec, s[14:15]
	s_cbranch_vccz .LBB1002_7
; %bb.1:
	s_add_i32 s8, s2, 1
	s_mov_b32 s9, 0
	s_lshl_b64 s[10:11], s[8:9], 2
	s_add_u32 s10, s12, s10
	s_mov_b32 s3, s9
	s_addc_u32 s11, s13, s11
	s_lshl_b64 s[8:9], s[2:3], 2
	s_add_u32 s8, s12, s8
	s_addc_u32 s9, s13, s9
	s_load_dword s5, s[10:11], 0x0
	s_load_dword s16, s[8:9], 0x0
	s_waitcnt lgkmcnt(0)
	s_sub_i32 s5, s5, s16
	s_cmp_eq_u32 s5, 1
	s_cselect_b64 s[8:9], -1, 0
	s_andn2_b64 vcc, exec, s[6:7]
	s_cbranch_vccnz .LBB1002_3
.LBB1002_2:
	s_mov_b32 s3, 0
	s_mov_b64 s[8:9], -1
.LBB1002_3:
	s_andn2_b64 vcc, exec, s[8:9]
	s_cbranch_vccnz .LBB1002_18
; %bb.4:
	s_load_dwordx2 s[6:7], s[0:1], 0x28
	s_lshl_b64 s[16:17], s[2:3], 2
	s_waitcnt lgkmcnt(0)
	s_add_u32 s6, s6, s16
	s_addc_u32 s7, s7, s17
	s_load_dword s33, s[6:7], 0x0
	s_lshl_b32 s18, s24, 8
	s_waitcnt lgkmcnt(0)
	s_cmp_ge_i32 s18, s33
	s_cbranch_scc1 .LBB1002_18
; %bb.5:
	s_load_dwordx2 s[6:7], s[0:1], 0x20
	s_load_dword s8, s[0:1], 0x38
	s_add_i32 s5, s33, 15
	s_ashr_i32 s9, s5, 31
	v_and_b32_e32 v1, 0xcf, v0
	s_lshr_b32 s9, s9, 28
	v_add_u32_e32 v1, s18, v1
	s_add_i32 s5, s5, s9
	v_ashrrev_i32_e32 v2, 31, v1
	s_ashr_i32 s5, s5, 4
	v_lshrrev_b32_e32 v10, 28, v2
	s_add_i32 s5, s5, -1
	s_waitcnt lgkmcnt(0)
	s_mul_i32 s8, s2, s8
	s_mov_b32 s9, 0
	v_add_u32_e32 v2, v1, v10
	s_lshl_b64 s[8:9], s[8:9], 2
	v_ashrrev_i32_e32 v2, 4, v2
	v_mov_b32_e32 v11, s5
	v_cmp_gt_i32_e32 vcc, s33, v1
	s_add_u32 s6, s6, s8
	s_addc_u32 s7, s7, s9
	v_cndmask_b32_e32 v2, v11, v2, vcc
	v_ashrrev_i32_e32 v3, 31, v2
	v_lshl_add_u64 v[4:5], v[2:3], 2, s[6:7]
	v_or_b32_e32 v2, 16, v1
	v_add_u32_e32 v3, v2, v10
	v_ashrrev_i32_e32 v3, 4, v3
	v_cmp_gt_i32_e32 vcc, s33, v2
	s_load_dwordx4 s[8:11], s[0:1], 0x8
	s_nop 0
	v_cndmask_b32_e32 v2, v11, v3, vcc
	v_ashrrev_i32_e32 v3, 31, v2
	v_lshl_add_u64 v[6:7], v[2:3], 2, s[6:7]
	v_or_b32_e32 v2, 32, v1
	v_add_u32_e32 v3, v2, v10
	v_ashrrev_i32_e32 v3, 4, v3
	v_cmp_gt_i32_e32 vcc, s33, v2
	v_or_b32_e32 v1, 48, v1
	s_nop 0
	v_cndmask_b32_e32 v2, v11, v3, vcc
	v_ashrrev_i32_e32 v3, 31, v2
	v_lshl_add_u64 v[8:9], v[2:3], 2, s[6:7]
	v_add_u32_e32 v2, v1, v10
	v_ashrrev_i32_e32 v2, 4, v2
	v_cmp_gt_i32_e32 vcc, s33, v1
	s_nop 1
	v_cndmask_b32_e32 v2, v11, v2, vcc
	v_ashrrev_i32_e32 v3, 31, v2
	v_lshl_add_u64 v[10:11], v[2:3], 2, s[6:7]
	global_load_dword v3, v[4:5], off
	global_load_dword v2, v[6:7], off
	;; [unrolled: 1-line block ×4, first 2 shown]
	s_andn2_b64 vcc, exec, s[14:15]
	s_cbranch_vccnz .LBB1002_8
; %bb.6:
	s_add_u32 s12, s12, s16
	s_addc_u32 s13, s13, s17
	s_load_dword s14, s[12:13], 0x0
	s_branch .LBB1002_9
.LBB1002_7:
	s_mov_b64 s[8:9], 0
	s_branch .LBB1002_2
.LBB1002_8:
	s_mov_b32 s14, s2
.LBB1002_9:
	s_load_dwordx4 s[44:47], s[0:1], 0x48
	v_lshrrev_b32_e32 v61, 6, v0
	v_bfe_u32 v64, v0, 4, 2
	v_and_b32_e32 v60, 15, v0
	v_lshl_or_b32 v4, v61, 2, v64
	v_lshlrev_b32_e32 v1, 3, v60
	v_and_b32_e32 v65, 63, v0
	s_mul_i32 s48, s4, 15
	v_cmp_gt_u32_e32 vcc, 15, v4
	v_lshlrev_b32_e32 v58, 1, v1
	v_lshlrev_b32_e32 v1, 4, v0
	s_and_saveexec_b64 s[12:13], vcc
	s_cbranch_execz .LBB1002_11
; %bb.10:
	s_load_dwordx2 s[16:17], s[0:1], 0x0
	s_waitcnt lgkmcnt(0)
	s_ashr_i32 s15, s44, 31
	s_mul_hi_u32 s19, s14, s44
	s_mul_i32 s15, s14, s15
	s_add_i32 s15, s19, s15
	s_mul_i32 s14, s14, s44
	s_lshl_b64 s[14:15], s[14:15], 1
	s_add_u32 s14, s16, s14
	v_add_lshl_u32 v6, v4, s48, 7
	s_addc_u32 s15, s17, s15
	v_ashrrev_i32_e32 v7, 31, v6
	v_lshl_add_u64 v[6:7], v[6:7], 1, s[14:15]
	v_mov_b32_e32 v59, 0
	v_lshl_add_u64 v[6:7], v[6:7], 0, v[58:59]
	global_load_dwordx4 v[6:9], v[6:7], off
	v_lshlrev_b32_e32 v10, 8, v0
	v_lshlrev_b32_e32 v5, 8, v60
	v_and_b32_e32 v10, 0x600, v10
	s_movk_i32 s14, 0x800
	v_and_or_b32 v5, v5, s14, v10
	v_lshlrev_b32_e32 v4, 5, v4
	v_and_b32_e32 v10, 16, v1
	v_or3_b32 v4, v5, v4, v10
	s_waitcnt vmcnt(0)
	ds_write_b128 v4, v[6:9]
.LBB1002_11:
	s_or_b64 exec, exec, s[12:13]
	s_waitcnt lgkmcnt(0)
	s_mul_i32 s4, s4, s46
	s_add_u32 s8, s8, s4
	v_mov_b32_e32 v63, 0
	s_addc_u32 s9, s9, 0
	v_and_b32_e32 v62, 0xf0, v1
	v_and_b32_e32 v6, 48, v0
	v_lshl_add_u64 v[30:31], s[8:9], 0, v[62:63]
	v_lshlrev_b32_e32 v62, 4, v6
	s_waitcnt vmcnt(3)
	v_mad_i64_i32 v[4:5], s[8:9], v3, s45, v[30:31]
	v_lshl_add_u64 v[4:5], v[4:5], 0, v[62:63]
	s_load_dword s25, s[0:1], 0x98
	s_load_dwordx4 s[40:43], s[0:1], 0x80
	s_waitcnt lgkmcnt(0)
	s_barrier
	global_load_dwordx4 v[22:25], v[4:5], off
	global_load_dwordx4 v[10:13], v[4:5], off offset:1024
	s_waitcnt vmcnt(4)
	v_mad_i64_i32 v[2:3], s[8:9], v2, s45, v[30:31]
	v_lshl_add_u64 v[32:33], v[2:3], 0, v[62:63]
	global_load_dwordx4 v[2:5], v[32:33], off
	v_cmp_ne_u32_e32 vcc, 15, v60
	v_or_b32_e32 v6, s18, v6
	v_mov_b32_e32 v41, s5
	v_cndmask_b32_e32 v7, 0, v60, vcc
	v_lshlrev_b32_e32 v7, 5, v7
	v_ashrrev_i32_e32 v8, 4, v6
	v_lshl_or_b32 v7, v64, 9, v7
	v_cmp_gt_i32_e32 vcc, s33, v6
	v_or_b32_e32 v40, 64, v6
	v_or_b32_e32 v42, 0x80, v6
	;; [unrolled: 1-line block ×3, first 2 shown]
	v_cndmask_b32_e32 v36, v41, v8, vcc
	ds_read_b128 v[26:29], v7
	ds_read_b128 v[18:21], v7 offset:16
	ds_read_b128 v[14:17], v7 offset:2048
	;; [unrolled: 1-line block ×3, first 2 shown]
	s_waitcnt vmcnt(4)
	v_mad_i64_i32 v[38:39], s[12:13], v34, s45, v[30:31]
	s_waitcnt vmcnt(3)
	v_mad_i64_i32 v[34:35], s[12:13], v35, s45, v[30:31]
	global_load_dwordx4 v[30:33], v[32:33], off offset:1024
	v_ashrrev_i32_e32 v45, 4, v40
	v_cmp_gt_i32_e32 vcc, s33, v40
	v_ashrrev_i32_e32 v46, 4, v42
	v_ashrrev_i32_e32 v44, 4, v43
	v_cndmask_b32_e32 v40, v41, v45, vcc
	v_cmp_gt_i32_e32 vcc, s33, v42
	v_ashrrev_i32_e32 v37, 31, v36
	v_lshl_add_u64 v[50:51], v[36:37], 2, s[6:7]
	v_cndmask_b32_e32 v42, v41, v46, vcc
	v_cmp_gt_i32_e32 vcc, s33, v43
	v_lshl_add_u64 v[36:37], v[38:39], 0, v[62:63]
	v_lshl_add_u64 v[34:35], v[34:35], 0, v[62:63]
	v_cndmask_b32_e32 v44, v41, v44, vcc
	v_ashrrev_i32_e32 v41, 31, v40
	v_ashrrev_i32_e32 v43, 31, v42
	v_ashrrev_i32_e32 v45, 31, v44
	v_lshl_add_u64 v[52:53], v[40:41], 2, s[6:7]
	v_lshl_add_u64 v[54:55], v[42:43], 2, s[6:7]
	;; [unrolled: 1-line block ×3, first 2 shown]
	global_load_dwordx4 v[46:49], v[36:37], off
	global_load_dwordx4 v[42:45], v[36:37], off offset:1024
	global_load_dwordx4 v[38:41], v[34:35], off
	s_nop 0
	global_load_dwordx4 v[34:37], v[34:35], off offset:1024
	s_nop 0
	global_load_dword v69, v[50:51], off
	global_load_dword v68, v[52:53], off
	;; [unrolled: 1-line block ×4, first 2 shown]
	s_add_u32 s4, s10, s4
	v_lshl_or_b32 v59, v61, 4, v60
	s_addc_u32 s5, s11, 0
	v_lshlrev_b32_e32 v62, 4, v59
	s_load_dword s8, s[0:1], 0x1c
	s_waitcnt vmcnt(11)
	v_cvt_pk_f32_fp8_e32 v[50:51], v22
	v_cvt_pk_f32_fp8_sdwa v[52:53], v22 src0_sel:WORD_1
	v_cvt_pk_f32_fp8_e32 v[54:55], v23
	v_cvt_pk_f32_fp8_sdwa v[56:57], v23 src0_sel:WORD_1
	;; [unrolled: 2-line block ×4, first 2 shown]
	s_waitcnt vmcnt(9)
	v_cvt_pk_f32_fp8_e32 v[22:23], v2
	v_cvt_pk_f32_fp8_sdwa v[24:25], v2 src0_sel:WORD_1
	v_cvt_pkrtz_f16_f32 v50, v50, v51
	v_cvt_pkrtz_f16_f32 v51, v52, v53
	v_cvt_pk_f32_fp8_e32 v[78:79], v10
	v_cvt_pk_f32_fp8_sdwa v[80:81], v10 src0_sel:WORD_1
	v_cvt_pk_f32_fp8_e32 v[82:83], v11
	v_cvt_pk_f32_fp8_sdwa v[52:53], v11 src0_sel:WORD_1
	v_cvt_pkrtz_f16_f32 v10, v22, v23
	v_cvt_pkrtz_f16_f32 v11, v24, v25
	;; [unrolled: 1-line block ×4, first 2 shown]
	s_waitcnt lgkmcnt(0)
	v_mfma_f32_16x16x16_f16 v[22:25], v[50:51], v[26:27], 0
	v_cvt_pk_f32_fp8_e32 v[84:85], v12
	v_cvt_pk_f32_fp8_sdwa v[50:51], v12 src0_sel:WORD_1
	v_cvt_pk_f32_fp8_e32 v[88:89], v13
	v_mfma_f32_16x16x16_f16 v[54:57], v[10:11], v[26:27], 0
	v_cvt_pkrtz_f16_f32 v10, v70, v71
	v_cvt_pkrtz_f16_f32 v11, v72, v73
	;; [unrolled: 1-line block ×3, first 2 shown]
	v_mfma_f32_16x16x16_f16 v[22:25], v[86:87], v[28:29], v[22:25]
	v_cvt_pkrtz_f16_f32 v73, v76, v77
	v_cvt_pk_f32_fp8_sdwa v[70:71], v13 src0_sel:WORD_1
	s_waitcnt vmcnt(6)
	v_cvt_pk_f32_fp8_sdwa v[76:77], v44 src0_sel:WORD_1
	v_mfma_f32_16x16x16_f16 v[10:13], v[10:11], v[18:19], v[22:25]
	s_nop 2
	v_cvt_pkrtz_f16_f32 v24, v78, v79
	v_cvt_pkrtz_f16_f32 v25, v80, v81
	v_mfma_f32_16x16x16_f16 v[10:13], v[72:73], v[20:21], v[10:13]
	v_cvt_pkrtz_f16_f32 v72, v82, v83
	v_cvt_pkrtz_f16_f32 v73, v52, v53
	;; [unrolled: 1-line block ×3, first 2 shown]
	v_mfma_f32_16x16x16_f16 v[10:13], v[24:25], v[14:15], v[10:13]
	v_cvt_pkrtz_f16_f32 v53, v50, v51
	v_cvt_pk_f32_fp8_e32 v[22:23], v3
	v_cvt_pk_f32_fp8_sdwa v[2:3], v3 src0_sel:WORD_1
	v_mfma_f32_16x16x16_f16 v[10:13], v[72:73], v[16:17], v[10:13]
	v_cvt_pkrtz_f16_f32 v50, v88, v89
	v_cvt_pkrtz_f16_f32 v51, v70, v71
	v_cvt_pk_f32_fp8_e32 v[24:25], v4
	v_cvt_pk_f32_fp8_sdwa v[72:73], v4 src0_sel:WORD_1
	v_mfma_f32_16x16x16_f16 v[10:13], v[52:53], v[6:7], v[10:13]
	v_cvt_pkrtz_f16_f32 v22, v22, v23
	v_cvt_pkrtz_f16_f32 v23, v2, v3
	;; [unrolled: 1-line block ×3, first 2 shown]
	v_mfma_f32_16x16x16_f16 v[50:53], v[50:51], v[8:9], v[10:13]
	v_cvt_pkrtz_f16_f32 v25, v72, v73
	v_cvt_pk_f32_fp8_e32 v[72:73], v49
	v_lshl_add_u64 v[70:71], s[4:5], 0, v[62:63]
	v_cvt_pk_f32_fp8_e32 v[10:11], v5
	v_cvt_pk_f32_fp8_sdwa v[12:13], v5 src0_sel:WORD_1
	v_mfma_f32_16x16x16_f16 v[2:5], v[22:23], v[28:29], v[54:57]
	v_cvt_pk_f32_fp8_sdwa v[22:23], v30 src0_sel:WORD_1
	v_cvt_pkrtz_f16_f32 v10, v10, v11
	v_cvt_pkrtz_f16_f32 v11, v12, v13
	v_mfma_f32_16x16x16_f16 v[2:5], v[24:25], v[18:19], v[2:5]
	v_cvt_pk_f32_fp8_e32 v[12:13], v30
	v_cvt_pk_f32_fp8_e32 v[24:25], v32
	v_or_b32_e32 v62, 0x400, v62
	v_mfma_f32_16x16x16_f16 v[2:5], v[10:11], v[20:21], v[2:5]
	v_cvt_pk_f32_fp8_e32 v[10:11], v31
	v_cvt_pkrtz_f16_f32 v12, v12, v13
	v_cvt_pkrtz_f16_f32 v13, v22, v23
	v_cvt_pk_f32_fp8_sdwa v[22:23], v31 src0_sel:WORD_1
	v_cvt_pkrtz_f16_f32 v10, v10, v11
	v_cvt_pk_f32_fp8_sdwa v[30:31], v32 src0_sel:WORD_1
	v_mfma_f32_16x16x16_f16 v[2:5], v[12:13], v[14:15], v[2:5]
	v_cvt_pkrtz_f16_f32 v11, v22, v23
	v_cvt_pkrtz_f16_f32 v12, v24, v25
	;; [unrolled: 1-line block ×3, first 2 shown]
	v_cvt_pk_f32_fp8_e32 v[22:23], v33
	v_cvt_pk_f32_fp8_sdwa v[24:25], v33 src0_sel:WORD_1
	v_mfma_f32_16x16x16_f16 v[2:5], v[10:11], v[16:17], v[2:5]
	v_cvt_pkrtz_f16_f32 v10, v22, v23
	v_cvt_pkrtz_f16_f32 v11, v24, v25
	v_mfma_f32_16x16x16_f16 v[2:5], v[12:13], v[6:7], v[2:5]
	v_cvt_pk_f32_fp8_e32 v[12:13], v46
	v_cvt_pk_f32_fp8_sdwa v[22:23], v46 src0_sel:WORD_1
	v_cvt_pk_f32_fp8_sdwa v[24:25], v48 src0_sel:WORD_1
	v_mfma_f32_16x16x16_f16 v[54:57], v[10:11], v[8:9], v[2:5]
	v_cvt_pk_f32_fp8_sdwa v[10:11], v47 src0_sel:WORD_1
	s_nop 1
	v_cvt_pkrtz_f16_f32 v2, v12, v13
	v_cvt_pkrtz_f16_f32 v3, v22, v23
	v_cvt_pk_f32_fp8_e32 v[4:5], v47
	v_cvt_pkrtz_f16_f32 v23, v10, v11
	v_cvt_pk_f32_fp8_e32 v[10:11], v48
	v_cvt_pk_f32_fp8_sdwa v[48:49], v49 src0_sel:WORD_1
	v_cvt_pkrtz_f16_f32 v22, v4, v5
	v_mfma_f32_16x16x16_f16 v[2:5], v[2:3], v[26:27], 0
	v_cvt_pkrtz_f16_f32 v10, v10, v11
	v_cvt_pkrtz_f16_f32 v11, v24, v25
	s_waitcnt vmcnt(3)
	v_mad_i64_i32 v[12:13], s[6:7], v69, s45, v[70:71]
	v_mfma_f32_16x16x16_f16 v[2:5], v[22:23], v[28:29], v[2:5]
	s_waitcnt vmcnt(2)
	v_mad_i64_i32 v[46:47], s[6:7], v68, s45, v[70:71]
	global_load_dwordx4 v[30:33], v[12:13], off
	global_load_dwordx4 v[22:25], v[46:47], off
	v_cvt_pkrtz_f16_f32 v12, v72, v73
	v_cvt_pkrtz_f16_f32 v13, v48, v49
	v_mfma_f32_16x16x16_f16 v[2:5], v[10:11], v[18:19], v[2:5]
	v_cvt_pk_f32_fp8_e32 v[10:11], v42
	v_cvt_pk_f32_fp8_sdwa v[46:47], v42 src0_sel:WORD_1
	s_waitcnt vmcnt(3)
	v_mad_i64_i32 v[72:73], s[6:7], v67, s45, v[70:71]
	v_mfma_f32_16x16x16_f16 v[2:5], v[12:13], v[20:21], v[2:5]
	v_cvt_pkrtz_f16_f32 v10, v10, v11
	v_cvt_pkrtz_f16_f32 v11, v46, v47
	v_cvt_pk_f32_fp8_e32 v[12:13], v43
	v_cvt_pk_f32_fp8_sdwa v[42:43], v43 src0_sel:WORD_1
	v_mfma_f32_16x16x16_f16 v[46:49], v[10:11], v[14:15], v[2:5]
	v_cvt_pkrtz_f16_f32 v74, v12, v13
	v_cvt_pkrtz_f16_f32 v75, v42, v43
	v_cvt_pk_f32_fp8_e32 v[42:43], v44
	s_waitcnt vmcnt(2)
	v_mad_i64_i32 v[70:71], s[6:7], v66, s45, v[70:71]
	global_load_dwordx4 v[10:13], v[72:73], off
	global_load_dwordx4 v[2:5], v[70:71], off
	v_cvt_pkrtz_f16_f32 v70, v42, v43
	v_cvt_pkrtz_f16_f32 v71, v76, v77
	v_cvt_pk_f32_fp8_e32 v[72:73], v45
	v_cvt_pk_f32_fp8_sdwa v[76:77], v45 src0_sel:WORD_1
	v_mfma_f32_16x16x16_f16 v[44:47], v[74:75], v[16:17], v[46:49]
	v_lshl_add_u64 v[42:43], s[4:5], 0, v[62:63]
	v_cvt_pk_f32_fp8_e32 v[62:63], v38
	v_cvt_pk_f32_fp8_sdwa v[74:75], v38 src0_sel:WORD_1
	v_cvt_pkrtz_f16_f32 v48, v72, v73
	v_cvt_pkrtz_f16_f32 v49, v76, v77
	v_mfma_f32_16x16x16_f16 v[44:47], v[70:71], v[6:7], v[44:47]
	s_load_dword s4, s[40:41], 0x0
	s_mov_b32 s40, 0xff7fffff
	v_mfma_f32_16x16x16_f16 v[70:73], v[48:49], v[8:9], v[44:47]
	s_nop 3
	v_cvt_pk_f32_fp8_e32 v[44:45], v39
	v_cvt_pkrtz_f16_f32 v46, v62, v63
	v_cvt_pkrtz_f16_f32 v47, v74, v75
	v_cvt_pk_f32_fp8_sdwa v[38:39], v39 src0_sel:WORD_1
	v_cvt_pkrtz_f16_f32 v48, v44, v45
	v_cvt_pk_f32_fp8_e32 v[62:63], v40
	v_cvt_pk_f32_fp8_sdwa v[74:75], v40 src0_sel:WORD_1
	v_cvt_pkrtz_f16_f32 v49, v38, v39
	v_mfma_f32_16x16x16_f16 v[44:47], v[46:47], v[26:27], 0
	v_cvt_pkrtz_f16_f32 v38, v62, v63
	v_cvt_pkrtz_f16_f32 v39, v74, v75
	v_cvt_pk_f32_fp8_e32 v[62:63], v41
	v_cvt_pk_f32_fp8_sdwa v[74:75], v41 src0_sel:WORD_1
	v_mov_b32_e32 v26, s8
	s_waitcnt lgkmcnt(0)
	v_mul_f32_e32 v76, s4, v26
	v_mfma_f32_16x16x16_f16 v[26:29], v[48:49], v[28:29], v[44:47]
	v_cvt_pk_f32_fp8_sdwa v[48:49], v37 src0_sel:WORD_1
	v_pk_mul_f32 v[40:41], v[76:77], v[52:53] op_sel_hi:[0,1]
	v_pk_mul_f32 v[52:53], v[76:77], v[54:55] op_sel_hi:[0,1]
	v_cvt_pkrtz_f16_f32 v46, v62, v63
	v_cvt_pkrtz_f16_f32 v47, v74, v75
	v_mfma_f32_16x16x16_f16 v[26:29], v[38:39], v[18:19], v[26:29]
	v_cvt_pk_f32_fp8_e32 v[18:19], v34
	v_cvt_pk_f32_fp8_sdwa v[38:39], v34 src0_sel:WORD_1
	v_pk_mul_f32 v[44:45], v[76:77], v[50:51] op_sel_hi:[0,1]
	v_mfma_f32_16x16x16_f16 v[26:29], v[46:47], v[20:21], v[26:29]
	v_cvt_pkrtz_f16_f32 v20, v18, v19
	v_cvt_pkrtz_f16_f32 v21, v38, v39
	v_cvt_pk_f32_fp8_e32 v[38:39], v35
	v_cvt_pk_f32_fp8_sdwa v[34:35], v35 src0_sel:WORD_1
	v_mfma_f32_16x16x16_f16 v[26:29], v[20:21], v[14:15], v[26:29]
	v_cvt_pkrtz_f16_f32 v38, v38, v39
	v_cvt_pkrtz_f16_f32 v39, v34, v35
	v_cvt_pk_f32_fp8_e32 v[14:15], v36
	v_cvt_pk_f32_fp8_sdwa v[20:21], v36 src0_sel:WORD_1
	v_pk_mul_f32 v[50:51], v[76:77], v[70:71] op_sel_hi:[0,1]
	v_mad_i64_i32 v[18:19], s[4:5], v69, s45, v[42:43]
	v_cvt_pkrtz_f16_f32 v46, v14, v15
	v_cvt_pkrtz_f16_f32 v47, v20, v21
	v_cvt_pk_f32_fp8_e32 v[20:21], v37
	v_mfma_f32_16x16x16_f16 v[14:17], v[38:39], v[16:17], v[26:29]
	v_pk_mul_f32 v[36:37], v[76:77], v[56:57] op_sel_hi:[0,1]
	v_mad_i64_i32 v[34:35], s[4:5], v68, s45, v[42:43]
	v_cvt_pkrtz_f16_f32 v20, v20, v21
	v_cvt_pkrtz_f16_f32 v21, v48, v49
	v_mfma_f32_16x16x16_f16 v[14:17], v[46:47], v[6:7], v[14:17]
	v_pk_mul_f32 v[46:47], v[76:77], v[72:73] op_sel_hi:[0,1]
	v_mfma_f32_16x16x16_f16 v[6:9], v[20:21], v[8:9], v[14:17]
	global_load_dwordx4 v[26:29], v[18:19], off
	s_nop 0
	global_load_dwordx4 v[18:21], v[34:35], off
	s_nop 3
	v_pk_mul_f32 v[48:49], v[76:77], v[6:7] op_sel_hi:[0,1]
	v_and_b32_e32 v6, 0xc0, v0
	v_add_u32_e32 v6, s18, v6
	v_lshl_or_b32 v6, v64, 2, v6
	v_pk_mul_f32 v[38:39], v[76:77], v[8:9] op_sel_hi:[0,1]
	v_or_b32_e32 v9, 1, v6
	v_mov_b32_e32 v7, 0xff7fffff
	v_cmp_gt_i32_e64 s[26:27], s33, v6
	v_cmp_gt_i32_e64 s[28:29], s33, v9
	v_or_b32_e32 v14, 3, v6
	v_cndmask_b32_e64 v8, v7, v44, s[26:27]
	v_cndmask_b32_e64 v9, v7, v45, s[28:29]
	v_max3_f32 v8, v8, s40, v9
	v_or_b32_e32 v9, 2, v6
	v_cmp_gt_i32_e64 s[30:31], s33, v9
	v_cmp_gt_i32_e64 s[34:35], s33, v14
	s_nop 0
	v_cndmask_b32_e64 v9, v7, v40, s[30:31]
	v_cndmask_b32_e64 v14, v7, v41, s[34:35]
	v_max3_f32 v8, v8, v9, v14
	v_or_b32_e32 v9, 16, v6
	v_or_b32_e32 v14, 17, v6
	v_cmp_gt_i32_e64 s[18:19], s33, v9
	v_cmp_gt_i32_e64 s[20:21], s33, v14
	s_nop 0
	v_cndmask_b32_e64 v9, v7, v52, s[18:19]
	v_cndmask_b32_e64 v14, v7, v53, s[20:21]
	v_max3_f32 v8, v8, v9, v14
	v_or_b32_e32 v9, 18, v6
	;; [unrolled: 8-line block ×5, first 2 shown]
	v_or_b32_e32 v14, 49, v6
	v_cmp_gt_i32_e32 vcc, s33, v9
	v_cmp_gt_i32_e64 s[4:5], s33, v14
	s_nop 0
	v_cndmask_b32_e32 v9, v7, v48, vcc
	v_cndmask_b32_e64 v14, v7, v49, s[4:5]
	v_max3_f32 v8, v8, v9, v14
	v_or_b32_e32 v9, 50, v6
	v_or_b32_e32 v6, 51, v6
	v_cmp_gt_i32_e64 s[6:7], s33, v9
	v_cmp_gt_i32_e64 s[8:9], s33, v6
	s_nop 0
	v_cndmask_b32_e64 v9, v7, v38, s[6:7]
	v_cndmask_b32_e64 v6, v7, v39, s[8:9]
	v_max3_f32 v8, v8, v9, v6
	v_mbcnt_lo_u32_b32 v6, -1, 0
	v_mbcnt_hi_u32_b32 v9, -1, v6
	v_and_b32_e32 v6, 64, v9
	v_add_u32_e32 v14, 64, v6
	v_xor_b32_e32 v6, 32, v9
	v_cmp_lt_i32_e64 s[38:39], v6, v14
	s_nop 1
	v_cndmask_b32_e64 v6, v9, v6, s[38:39]
	v_lshlrev_b32_e32 v55, 2, v6
	ds_bpermute_b32 v15, v55, v8
	v_mad_i64_i32 v[6:7], s[38:39], v67, s45, v[42:43]
	s_waitcnt lgkmcnt(0)
	v_max_f32_e32 v15, v15, v15
	v_max_f32_e32 v34, v8, v15
	v_xor_b32_e32 v8, 16, v9
	v_cmp_lt_i32_e64 s[38:39], v8, v14
	s_nop 1
	v_cndmask_b32_e64 v8, v9, v8, s[38:39]
	v_lshlrev_b32_e32 v56, 2, v8
	v_mad_i64_i32 v[8:9], s[38:39], v66, s45, v[42:43]
	global_load_dwordx4 v[14:17], v[6:7], off
	s_nop 0
	global_load_dwordx4 v[6:9], v[8:9], off
	ds_bpermute_b32 v35, v56, v34
	s_waitcnt lgkmcnt(0)
	s_barrier
	v_max_f32_e32 v35, v35, v35
	v_max_f32_e32 v54, v34, v35
	v_sub_f32_e32 v42, v52, v54
	v_mul_f32_e32 v42, 0x3fb8aa3b, v42
	v_exp_f32_e32 v42, v42
	v_sub_f32_e32 v36, v36, v54
	v_sub_f32_e32 v34, v44, v54
	v_mul_f32_e32 v36, 0x3fb8aa3b, v36
	v_mul_f32_e32 v34, 0x3fb8aa3b, v34
	v_sub_f32_e32 v35, v45, v54
	v_sub_f32_e32 v43, v53, v54
	v_exp_f32_e32 v44, v36
	v_sub_f32_e32 v36, v37, v54
	v_sub_f32_e32 v48, v48, v54
	v_sub_f32_e32 v38, v38, v54
	v_exp_f32_e32 v34, v34
	v_mul_f32_e32 v35, 0x3fb8aa3b, v35
	v_sub_f32_e32 v40, v40, v54
	v_mul_f32_e32 v43, 0x3fb8aa3b, v43
	v_mul_f32_e32 v36, 0x3fb8aa3b, v36
	;; [unrolled: 1-line block ×4, first 2 shown]
	v_exp_f32_e32 v35, v35
	v_mul_f32_e32 v40, 0x3fb8aa3b, v40
	v_sub_f32_e32 v41, v41, v54
	v_exp_f32_e32 v43, v43
	v_exp_f32_e32 v45, v36
	v_cndmask_b32_e64 v36, 0, v42, s[18:19]
	v_sub_f32_e32 v42, v50, v54
	v_exp_f32_e32 v48, v48
	v_exp_f32_e32 v50, v38
	;; [unrolled: 1-line block ×3, first 2 shown]
	v_mul_f32_e32 v41, 0x3fb8aa3b, v41
	v_exp_f32_e32 v41, v41
	v_sub_f32_e32 v38, v39, v54
	v_cndmask_b32_e64 v34, 0, v34, s[26:27]
	v_mul_f32_e32 v38, 0x3fb8aa3b, v38
	v_cndmask_b32_e64 v35, 0, v35, s[28:29]
	v_cndmask_b32_e64 v37, 0, v43, s[20:21]
	v_sub_f32_e32 v43, v51, v54
	v_exp_f32_e32 v51, v38
	v_cndmask_b32_e32 v38, 0, v48, vcc
	v_cndmask_b32_e64 v48, 0, v50, s[6:7]
	v_add_f32_e32 v50, 0, v34
	v_cndmask_b32_e64 v40, 0, v40, s[30:31]
	v_add_f32_e32 v50, v50, v35
	v_cndmask_b32_e64 v41, 0, v41, s[34:35]
	v_mul_f32_e32 v42, 0x3fb8aa3b, v42
	v_add_f32_e32 v50, v50, v40
	v_exp_f32_e32 v42, v42
	v_mul_f32_e32 v43, 0x3fb8aa3b, v43
	v_sub_f32_e32 v46, v46, v54
	v_add_f32_e32 v50, v50, v41
	v_exp_f32_e32 v43, v43
	v_mul_f32_e32 v46, 0x3fb8aa3b, v46
	v_sub_f32_e32 v47, v47, v54
	v_add_f32_e32 v50, v50, v36
	v_cndmask_b32_e64 v44, 0, v44, s[22:23]
	v_exp_f32_e32 v46, v46
	v_mul_f32_e32 v47, 0x3fb8aa3b, v47
	v_add_f32_e32 v50, v50, v37
	v_cndmask_b32_e64 v45, 0, v45, s[36:37]
	v_exp_f32_e32 v47, v47
	v_sub_f32_e32 v49, v49, v54
	v_add_f32_e32 v50, v50, v44
	v_cndmask_b32_e64 v42, 0, v42, s[10:11]
	v_mul_f32_e32 v49, 0x3fb8aa3b, v49
	v_add_f32_e32 v50, v50, v45
	v_cndmask_b32_e64 v43, 0, v43, s[12:13]
	v_exp_f32_e32 v49, v49
	v_add_f32_e32 v50, v50, v42
	v_cndmask_b32_e64 v46, 0, v46, s[14:15]
	v_add_f32_e32 v50, v50, v43
	v_cndmask_b32_e64 v47, 0, v47, s[16:17]
	v_add_f32_e32 v50, v50, v46
	v_add_f32_e32 v50, v50, v47
	v_cndmask_b32_e64 v39, 0, v49, s[4:5]
	v_add_f32_e32 v50, v50, v38
	;; [unrolled: 3-line block ×3, first 2 shown]
	v_add_f32_e32 v50, v50, v49
	ds_bpermute_b32 v51, v55, v50
	v_cmp_gt_u32_e32 vcc, 16, v65
	s_waitcnt lgkmcnt(0)
	v_add_f32_e32 v50, v50, v51
	ds_bpermute_b32 v51, v56, v50
	s_and_saveexec_b64 s[4:5], vcc
	s_cbranch_execz .LBB1002_13
; %bb.12:
	s_waitcnt lgkmcnt(0)
	v_add_f32_e32 v50, v50, v51
	v_lshlrev_b32_e32 v51, 2, v59
	ds_write2st64_b32 v51, v54, v50 offset1:1
.LBB1002_13:
	s_or_b64 exec, exec, s[4:5]
	s_waitcnt lgkmcnt(0)
	v_lshlrev_b32_e32 v51, 2, v60
	s_load_dword s6, s[0:1], 0x94
	s_waitcnt lgkmcnt(0)
	s_barrier
	ds_read2_b32 v[52:53], v51 offset1:16
	ds_read2_b32 v[54:55], v51 offset0:32 offset1:48
	ds_read2_b32 v[56:57], v51 offset0:64 offset1:80
	s_mul_i32 s7, s25, 15
	s_waitcnt lgkmcnt(2)
	v_max3_f32 v50, v52, s40, v53
	s_waitcnt lgkmcnt(1)
	v_max3_f32 v50, v50, v54, v55
	v_sub_f32_e32 v52, v52, v50
	v_mul_f32_e32 v52, 0x3fb8aa3b, v52
	v_exp_f32_e32 v59, v52
	v_sub_f32_e32 v52, v53, v50
	v_mul_f32_e32 v52, 0x3fb8aa3b, v52
	v_exp_f32_e32 v62, v52
	;; [unrolled: 3-line block ×3, first 2 shown]
	ds_read2_b32 v[52:53], v51 offset0:96 offset1:112
	v_sub_f32_e32 v51, v55, v50
	v_mul_f32_e32 v51, 0x3fb8aa3b, v51
	v_exp_f32_e32 v55, v51
	s_waitcnt lgkmcnt(1)
	v_fma_f32 v51, v59, v56, 0
	v_fmac_f32_e32 v51, v62, v57
	s_waitcnt lgkmcnt(0)
	v_fmac_f32_e32 v51, v54, v52
	v_fmac_f32_e32 v51, v55, v53
	v_add_f32_e32 v52, 0x358637bd, v51
	v_div_scale_f32 v53, s[4:5], v52, v52, 1.0
	v_rcp_f32_e32 v56, v53
	s_barrier
	v_fma_f32 v57, -v53, v56, 1.0
	v_fmac_f32_e32 v56, v57, v56
	v_div_scale_f32 v57, vcc, 1.0, v52, 1.0
	v_mul_f32_e32 v63, v57, v56
	v_fma_f32 v65, -v53, v63, v57
	v_fmac_f32_e32 v63, v65, v56
	v_fma_f32 v53, -v53, v63, v57
	v_div_fmas_f32 v53, v53, v56, v63
	v_cmp_eq_u32_e32 vcc, 1, v61
	v_div_fixup_f32 v52, v53, v52, 1.0
	s_nop 0
	v_cndmask_b32_e32 v53, v59, v62, vcc
	v_cmp_eq_u32_e32 vcc, 2, v61
	s_nop 1
	v_cndmask_b32_e32 v53, v53, v54, vcc
	v_cmp_eq_u32_e32 vcc, 3, v61
	s_nop 1
	v_cndmask_b32_e32 v53, v53, v55, vcc
	v_mul_f32_e32 v52, v53, v52
	v_pk_mul_f32 v[40:41], v[52:53], v[40:41] op_sel_hi:[0,1]
	v_pk_mul_f32 v[34:35], v[52:53], v[34:35] op_sel_hi:[0,1]
	v_cvt_f16_f32_e32 v53, v40
	v_cvt_f16_f32_e32 v34, v34
	;; [unrolled: 1-line block ×4, first 2 shown]
	v_pk_mul_f32 v[44:45], v[52:53], v[44:45] op_sel_hi:[0,1]
	v_pk_mul_f32 v[36:37], v[52:53], v[36:37] op_sel_hi:[0,1]
	v_cvt_f16_f32_e32 v36, v36
	v_cvt_f16_f32_e32 v37, v37
	;; [unrolled: 1-line block ×4, first 2 shown]
	v_pack_b32_f16 v40, v34, v35
	v_pack_b32_f16 v41, v53, v41
	v_lshlrev_b32_e32 v35, 3, v64
	v_lshlrev_b32_e32 v34, 5, v60
	;; [unrolled: 1-line block ×3, first 2 shown]
	v_or3_b32 v54, v53, v34, v35
	v_pack_b32_f16 v36, v36, v37
	v_pack_b32_f16 v37, v44, v45
	ds_write2st64_b64 v54, v[40:41], v[36:37] offset1:1
	v_pk_mul_f32 v[36:37], v[52:53], v[46:47] op_sel_hi:[0,1]
	v_pk_mul_f32 v[40:41], v[52:53], v[42:43] op_sel_hi:[0,1]
	v_cvt_f16_f32_e32 v35, v40
	v_cvt_f16_f32_e32 v40, v41
	;; [unrolled: 1-line block ×4, first 2 shown]
	v_pk_mul_f32 v[36:37], v[52:53], v[48:49] op_sel_hi:[0,1]
	v_pk_mul_f32 v[38:39], v[52:53], v[38:39] op_sel_hi:[0,1]
	v_cvt_f16_f32_e32 v38, v38
	v_cvt_f16_f32_e32 v39, v39
	;; [unrolled: 1-line block ×4, first 2 shown]
	v_pack_b32_f16 v36, v35, v40
	v_pack_b32_f16 v37, v41, v42
	;; [unrolled: 1-line block ×4, first 2 shown]
	v_cmp_gt_u32_e32 vcc, 15, v0
	ds_write2st64_b64 v54, v[36:37], v[38:39] offset0:2 offset1:3
	s_and_saveexec_b64 s[4:5], vcc
	s_cbranch_execz .LBB1002_15
; %bb.14:
	s_mov_b32 s49, 0
	v_mov_b32_e32 v61, 0
	v_lshl_add_u64 v[36:37], s[48:49], 0, v[60:61]
	v_mov_b32_e32 v35, s7
	v_mad_u64_u32 v[36:37], s[12:13], s2, v35, v[36:37]
	s_mul_i32 s3, s3, s7
	v_mov_b32_e32 v38, s24
	v_mov_b32_e32 v39, v61
	s_load_dwordx4 s[8:11], s[0:1], 0x58
	v_add_u32_e32 v35, s3, v37
	v_mad_u64_u32 v[36:37], s[12:13], v36, s6, v[38:39]
	v_mov_b32_e32 v38, v37
	v_mad_u64_u32 v[38:39], s[12:13], v35, s6, v[38:39]
	v_mov_b32_e32 v37, v38
	v_lshlrev_b64 v[36:37], 2, v[36:37]
	s_waitcnt lgkmcnt(0)
	v_lshl_add_u64 v[38:39], s[10:11], 0, v[36:37]
	v_lshl_add_u64 v[36:37], s[8:9], 0, v[36:37]
	global_store_dword v[38:39], v50, off
	global_store_dword v[36:37], v51, off
.LBB1002_15:
	s_or_b64 exec, exec, s[4:5]
	s_waitcnt vmcnt(7)
	v_cvt_pk_f32_fp8_e32 v[36:37], v30
	v_lshl_or_b32 v50, v64, 9, v34
	v_cvt_pk_f32_fp8_sdwa v[34:35], v30 src0_sel:WORD_1
	s_waitcnt lgkmcnt(0)
	s_barrier
	v_cvt_pk_f32_fp8_e32 v[38:39], v31
	v_cvt_pkrtz_f16_f32 v30, v36, v37
	v_cvt_pk_f32_fp8_sdwa v[40:41], v31 src0_sel:WORD_1
	v_cvt_pkrtz_f16_f32 v31, v34, v35
	ds_read_b128 v[34:37], v50
	v_cvt_pkrtz_f16_f32 v46, v38, v39
	v_cvt_pkrtz_f16_f32 v47, v40, v41
	ds_read_b128 v[38:41], v50 offset:16
	v_cvt_pk_f32_fp8_e32 v[48:49], v32
	v_cvt_pk_f32_fp8_sdwa v[52:53], v32 src0_sel:WORD_1
	s_waitcnt lgkmcnt(1)
	v_mfma_f32_16x16x16_f16 v[42:45], v[30:31], v[34:35], 0
	s_waitcnt vmcnt(6)
	v_cvt_pk_f32_fp8_e32 v[56:57], v24
	v_cvt_pkrtz_f16_f32 v30, v48, v49
	v_cvt_pkrtz_f16_f32 v31, v52, v53
	v_cvt_pk_f32_fp8_e32 v[48:49], v33
	v_mfma_f32_16x16x16_f16 v[42:45], v[46:47], v[36:37], v[42:45]
	v_cvt_pk_f32_fp8_sdwa v[46:47], v33 src0_sel:WORD_1
	v_cvt_pk_f32_fp8_sdwa v[62:63], v24 src0_sel:WORD_1
	v_cvt_pkrtz_f16_f32 v48, v48, v49
	s_waitcnt lgkmcnt(0)
	v_mfma_f32_16x16x16_f16 v[30:33], v[30:31], v[38:39], v[42:45]
	v_cvt_pkrtz_f16_f32 v49, v46, v47
	s_waitcnt vmcnt(4)
	v_cvt_pk_f32_fp8_sdwa v[70:71], v4 src0_sel:WORD_1
	s_waitcnt vmcnt(3)
	v_cvt_pk_f32_fp8_sdwa v[72:73], v28 src0_sel:WORD_1
	v_cvt_pk_f32_fp8_e32 v[42:43], v22
	v_mfma_f32_16x16x16_f16 v[46:49], v[48:49], v[40:41], v[30:33]
	s_load_dword s4, s[42:43], 0x0
	s_mov_b32 s3, 0
	s_nop 0
	v_cvt_pk_f32_fp8_sdwa v[30:31], v22 src0_sel:WORD_1
	v_cvt_pk_f32_fp8_e32 v[32:33], v23
	v_cvt_pkrtz_f16_f32 v22, v42, v43
	v_cvt_pk_f32_fp8_sdwa v[42:43], v23 src0_sel:WORD_1
	v_cvt_pkrtz_f16_f32 v23, v30, v31
	v_cvt_pkrtz_f16_f32 v52, v32, v33
	ds_read_b128 v[30:33], v50 offset:2048
	v_cvt_pkrtz_f16_f32 v53, v42, v43
	ds_read_b128 v[42:45], v50 offset:2064
	s_waitcnt lgkmcnt(0)
	v_mfma_f32_16x16x16_f16 v[46:49], v[22:23], v[30:31], v[46:49]
	v_cvt_pkrtz_f16_f32 v22, v56, v57
	v_cvt_pkrtz_f16_f32 v23, v62, v63
	v_cvt_pk_f32_fp8_e32 v[56:57], v25
	v_mfma_f32_16x16x16_f16 v[46:49], v[52:53], v[32:33], v[46:49]
	v_cvt_pk_f32_fp8_sdwa v[52:53], v25 src0_sel:WORD_1
	v_cvt_pk_f32_fp8_sdwa v[62:63], v12 src0_sel:WORD_1
	v_cvt_pkrtz_f16_f32 v56, v56, v57
	v_mfma_f32_16x16x16_f16 v[22:25], v[22:23], v[42:43], v[46:49]
	v_cvt_pkrtz_f16_f32 v57, v52, v53
	v_cmp_gt_u32_e32 vcc, 64, v0
	s_nop 0
	v_cvt_pk_f32_fp8_e32 v[46:47], v10
	v_mfma_f32_16x16x16_f16 v[66:69], v[56:57], v[44:45], v[22:25]
	v_cvt_pk_f32_fp8_e32 v[56:57], v12
	s_nop 1
	v_cvt_pk_f32_fp8_sdwa v[22:23], v10 src0_sel:WORD_1
	v_cvt_pk_f32_fp8_e32 v[24:25], v11
	v_cvt_pkrtz_f16_f32 v10, v46, v47
	v_cvt_pk_f32_fp8_sdwa v[46:47], v11 src0_sel:WORD_1
	v_cvt_pkrtz_f16_f32 v11, v22, v23
	v_cvt_pkrtz_f16_f32 v52, v24, v25
	ds_read_b128 v[22:25], v50 offset:4096
	v_cvt_pkrtz_f16_f32 v53, v46, v47
	ds_read_b128 v[46:49], v50 offset:4112
	s_waitcnt lgkmcnt(1)
	v_mfma_f32_16x16x16_f16 v[66:69], v[10:11], v[22:23], v[66:69]
	v_cvt_pkrtz_f16_f32 v10, v56, v57
	v_cvt_pkrtz_f16_f32 v11, v62, v63
	v_cvt_pk_f32_fp8_e32 v[56:57], v13
	v_mfma_f32_16x16x16_f16 v[66:69], v[52:53], v[24:25], v[66:69]
	v_cvt_pk_f32_fp8_sdwa v[52:53], v13 src0_sel:WORD_1
	v_cvt_pk_f32_fp8_e32 v[62:63], v4
	v_cvt_pkrtz_f16_f32 v56, v56, v57
	s_waitcnt lgkmcnt(0)
	v_mfma_f32_16x16x16_f16 v[10:13], v[10:11], v[46:47], v[66:69]
	v_cvt_pkrtz_f16_f32 v57, v52, v53
	v_cvt_pk_f32_fp8_e32 v[52:53], v2
	s_nop 0
	v_mfma_f32_16x16x16_f16 v[66:69], v[56:57], v[48:49], v[10:13]
	s_nop 2
	v_cvt_pk_f32_fp8_sdwa v[10:11], v2 src0_sel:WORD_1
	v_cvt_pk_f32_fp8_e32 v[12:13], v3
	v_cvt_pkrtz_f16_f32 v2, v52, v53
	v_cvt_pk_f32_fp8_sdwa v[52:53], v3 src0_sel:WORD_1
	v_cvt_pkrtz_f16_f32 v3, v10, v11
	v_cvt_pkrtz_f16_f32 v56, v12, v13
	ds_read_b128 v[10:13], v50 offset:6144
	v_cvt_pkrtz_f16_f32 v57, v52, v53
	s_waitcnt lgkmcnt(0)
	v_mfma_f32_16x16x16_f16 v[66:69], v[2:3], v[10:11], v[66:69]
	ds_read_b128 v[50:53], v50 offset:6160
	v_cvt_pkrtz_f16_f32 v2, v62, v63
	v_cvt_pkrtz_f16_f32 v3, v70, v71
	v_cvt_pk_f32_fp8_e32 v[62:63], v5
	v_mfma_f32_16x16x16_f16 v[66:69], v[56:57], v[12:13], v[66:69]
	v_cvt_pk_f32_fp8_sdwa v[56:57], v5 src0_sel:WORD_1
	v_cvt_pk_f32_fp8_e32 v[70:71], v28
	v_cvt_pkrtz_f16_f32 v62, v62, v63
	s_waitcnt lgkmcnt(0)
	v_mfma_f32_16x16x16_f16 v[2:5], v[2:3], v[50:51], v[66:69]
	v_cvt_pkrtz_f16_f32 v63, v56, v57
	v_cvt_pk_f32_fp8_e32 v[56:57], v26
	s_nop 0
	v_cvt_pk_f32_fp8_sdwa v[66:67], v26 src0_sel:WORD_1
	v_mfma_f32_16x16x16_f16 v[2:5], v[62:63], v[52:53], v[2:5]
	v_cvt_pk_f32_fp8_e32 v[62:63], v27
	v_cvt_pkrtz_f16_f32 v56, v56, v57
	v_cvt_pkrtz_f16_f32 v57, v66, v67
	v_cvt_pk_f32_fp8_sdwa v[26:27], v27 src0_sel:WORD_1
	v_cvt_pkrtz_f16_f32 v62, v62, v63
	v_mfma_f32_16x16x16_f16 v[66:69], v[56:57], v[34:35], 0
	v_cvt_pkrtz_f16_f32 v63, v26, v27
	v_cvt_pkrtz_f16_f32 v26, v70, v71
	;; [unrolled: 1-line block ×3, first 2 shown]
	v_cvt_pk_f32_fp8_e32 v[56:57], v29
	v_mfma_f32_16x16x16_f16 v[34:37], v[62:63], v[36:37], v[66:69]
	v_cvt_pk_f32_fp8_sdwa v[62:63], v29 src0_sel:WORD_1
	v_cvt_pkrtz_f16_f32 v56, v56, v57
	s_barrier
	v_mfma_f32_16x16x16_f16 v[26:29], v[26:27], v[38:39], v[34:37]
	v_cvt_pkrtz_f16_f32 v57, v62, v63
	s_waitcnt vmcnt(2)
	v_cvt_pk_f32_fp8_e32 v[38:39], v19
	v_cvt_pk_f32_fp8_e32 v[34:35], v18
	v_cvt_pk_f32_fp8_sdwa v[36:37], v18 src0_sel:WORD_1
	v_cvt_pk_f32_fp8_sdwa v[18:19], v19 src0_sel:WORD_1
	v_mfma_f32_16x16x16_f16 v[26:29], v[56:57], v[40:41], v[26:29]
	v_cvt_pkrtz_f16_f32 v34, v34, v35
	v_cvt_pkrtz_f16_f32 v35, v36, v37
	;; [unrolled: 1-line block ×3, first 2 shown]
	v_cvt_pk_f32_fp8_e32 v[38:39], v20
	v_cvt_pk_f32_fp8_sdwa v[40:41], v20 src0_sel:WORD_1
	v_cvt_pkrtz_f16_f32 v37, v18, v19
	v_mfma_f32_16x16x16_f16 v[26:29], v[34:35], v[30:31], v[26:29]
	v_cvt_pkrtz_f16_f32 v30, v38, v39
	v_cvt_pkrtz_f16_f32 v31, v40, v41
	v_cvt_pk_f32_fp8_e32 v[34:35], v21
	v_cvt_pk_f32_fp8_sdwa v[38:39], v21 src0_sel:WORD_1
	v_mfma_f32_16x16x16_f16 v[18:21], v[36:37], v[32:33], v[26:29]
	s_waitcnt vmcnt(1)
	v_cvt_pk_f32_fp8_sdwa v[32:33], v16 src0_sel:WORD_1
	s_nop 0
	v_cvt_pkrtz_f16_f32 v26, v34, v35
	v_cvt_pkrtz_f16_f32 v27, v38, v39
	v_mfma_f32_16x16x16_f16 v[18:21], v[30:31], v[42:43], v[18:21]
	v_cvt_pk_f32_fp8_e32 v[28:29], v14
	v_cvt_pk_f32_fp8_sdwa v[30:31], v14 src0_sel:WORD_1
	v_cvt_pkrtz_f16_f32 v28, v28, v29
	v_mfma_f32_16x16x16_f16 v[18:21], v[26:27], v[44:45], v[18:21]
	v_cvt_pk_f32_fp8_e32 v[26:27], v15
	v_cvt_pkrtz_f16_f32 v29, v30, v31
	v_cvt_pk_f32_fp8_sdwa v[14:15], v15 src0_sel:WORD_1
	v_cvt_pk_f32_fp8_e32 v[30:31], v16
	v_cvt_pkrtz_f16_f32 v26, v26, v27
	v_mfma_f32_16x16x16_f16 v[18:21], v[28:29], v[22:23], v[18:21]
	v_cvt_pkrtz_f16_f32 v27, v14, v15
	v_cvt_pkrtz_f16_f32 v22, v30, v31
	;; [unrolled: 1-line block ×3, first 2 shown]
	v_cvt_pk_f32_fp8_e32 v[28:29], v17
	v_cvt_pk_f32_fp8_sdwa v[30:31], v17 src0_sel:WORD_1
	v_mfma_f32_16x16x16_f16 v[14:17], v[26:27], v[24:25], v[18:21]
	s_waitcnt vmcnt(0)
	v_cvt_pk_f32_fp8_sdwa v[24:25], v6 src0_sel:WORD_1
	s_nop 0
	v_pk_mul_f32 v[18:19], v[4:5], s[4:5] op_sel_hi:[1,0]
	v_cvt_pkrtz_f16_f32 v4, v28, v29
	v_cvt_pkrtz_f16_f32 v5, v30, v31
	v_mfma_f32_16x16x16_f16 v[14:17], v[22:23], v[46:47], v[14:17]
	v_cvt_pk_f32_fp8_e32 v[22:23], v6
	v_pk_mul_f32 v[20:21], v[2:3], s[4:5] op_sel_hi:[1,0]
	v_mfma_f32_16x16x16_f16 v[2:5], v[4:5], v[48:49], v[14:17]
	s_nop 3
	v_cvt_pk_f32_fp8_e32 v[14:15], v7
	v_cvt_pkrtz_f16_f32 v16, v22, v23
	v_cvt_pkrtz_f16_f32 v17, v24, v25
	v_cvt_pk_f32_fp8_sdwa v[6:7], v7 src0_sel:WORD_1
	v_cvt_pkrtz_f16_f32 v14, v14, v15
	v_cvt_pk_f32_fp8_e32 v[22:23], v8
	v_cvt_pk_f32_fp8_sdwa v[24:25], v8 src0_sel:WORD_1
	v_cvt_pkrtz_f16_f32 v15, v6, v7
	v_mfma_f32_16x16x16_f16 v[2:5], v[16:17], v[10:11], v[2:5]
	v_cvt_pkrtz_f16_f32 v6, v22, v23
	v_cvt_pkrtz_f16_f32 v7, v24, v25
	v_cvt_pk_f32_fp8_e32 v[10:11], v9
	v_cvt_pk_f32_fp8_sdwa v[8:9], v9 src0_sel:WORD_1
	v_mfma_f32_16x16x16_f16 v[2:5], v[14:15], v[12:13], v[2:5]
	v_cvt_f16_f32_e32 v12, v20
	v_cvt_pkrtz_f16_f32 v10, v10, v11
	v_cvt_pkrtz_f16_f32 v11, v8, v9
	v_mfma_f32_16x16x16_f16 v[2:5], v[6:7], v[50:51], v[2:5]
	v_cvt_f16_f32_e32 v6, v21
	v_cvt_f16_f32_e32 v7, v18
	v_cvt_f16_f32_e32 v8, v19
	v_mfma_f32_16x16x16_f16 v[2:5], v[10:11], v[52:53], v[2:5]
	s_nop 6
	v_pk_mul_f32 v[4:5], v[4:5], s[4:5] op_sel_hi:[1,0]
	v_pk_mul_f32 v[2:3], v[2:3], s[4:5] op_sel_hi:[1,0]
	v_cvt_f16_f32_e32 v11, v4
	v_cvt_f16_f32_e32 v9, v2
	;; [unrolled: 1-line block ×4, first 2 shown]
	v_pack_b32_f16 v2, v12, v6
	v_pack_b32_f16 v3, v7, v8
	;; [unrolled: 1-line block ×4, first 2 shown]
	ds_write2st64_b64 v54, v[2:3], v[4:5] offset1:1
	s_waitcnt lgkmcnt(0)
	s_barrier
	s_and_saveexec_b64 s[4:5], vcc
	s_cbranch_execz .LBB1002_18
; %bb.16:
	s_load_dwordx2 s[4:5], s[0:1], 0x68
	s_lshl_b32 s0, s6, 7
	s_mul_i32 s1, s7, s2
	v_lshlrev_b32_e32 v3, 6, v60
	s_mul_hi_u32 s7, s1, s0
	s_mul_i32 s6, s1, s0
	v_lshl_or_b32 v0, v0, 10, v3
	s_lshl_b64 s[6:7], s[6:7], 1
	v_lshlrev_b32_e32 v2, 5, v64
	v_and_b32_e32 v1, 16, v1
	v_and_b32_e32 v0, 0x1a00, v0
	s_waitcnt lgkmcnt(0)
	s_add_u32 s1, s4, s6
	v_or3_b32 v2, v0, v2, v1
	s_addc_u32 s4, s5, s7
	s_lshl_b32 s2, s24, 7
	ds_read_b128 v[4:7], v2 offset:256
	s_lshl_b64 s[2:3], s[2:3], 1
	ds_read_b128 v[8:11], v2 offset:128
	ds_read_b128 v[12:15], v2
	s_add_u32 s2, s1, s2
	s_addc_u32 s3, s4, s3
	v_mov_b32_e32 v59, 0
	v_add_u32_e32 v3, s48, v64
	v_lshl_add_u64 v[0:1], s[2:3], 0, v[58:59]
	v_mad_u64_u32 v[16:17], s[2:3], v3, s0, 0
	v_lshl_add_u64 v[16:17], v[16:17], 1, v[0:1]
	s_waitcnt lgkmcnt(0)
	global_store_dwordx4 v[16:17], v[12:15], off
	v_cmp_ne_u32_e32 vcc, 3, v64
	s_nop 0
	v_add_u32_e32 v12, 4, v3
	v_mad_u64_u32 v[12:13], s[2:3], v12, s0, 0
	v_lshl_add_u64 v[12:13], v[12:13], 1, v[0:1]
	v_add_u32_e32 v3, 8, v3
	global_store_dwordx4 v[12:13], v[8:11], off
	s_nop 1
	v_mad_u64_u32 v[8:9], s[2:3], v3, s0, 0
	v_lshl_add_u64 v[8:9], v[8:9], 1, v[0:1]
	global_store_dwordx4 v[8:9], v[4:7], off
	s_and_b64 exec, exec, vcc
	s_cbranch_execz .LBB1002_18
; %bb.17:
	ds_read_b128 v[2:5], v2 offset:384
	v_add3_u32 v6, s48, v64, 12
	v_mad_u64_u32 v[6:7], s[0:1], v6, s0, 0
	v_lshl_add_u64 v[0:1], v[6:7], 1, v[0:1]
	s_waitcnt lgkmcnt(0)
	global_store_dwordx4 v[0:1], v[2:5], off
.LBB1002_18:
	s_endpgm
	.section	.rodata,"a",@progbits
	.p2align	6, 0x0
	.amdhsa_kernel _Z39paged_attention_ll4mi_QKV_mfma16_kernelIDF16_hLN4vllm18Fp8KVCacheDataTypeE1EDF16_Li16ELi128ELi256ELb0ELi15EEvPKT_PKT0_S7_ifPKiS9_S9_iPKfiiiPfSC_PS2_PT2_iSB_SB_
		.amdhsa_group_segment_fixed_size 8192
		.amdhsa_private_segment_fixed_size 0
		.amdhsa_kernarg_size 400
		.amdhsa_user_sgpr_count 2
		.amdhsa_user_sgpr_dispatch_ptr 0
		.amdhsa_user_sgpr_queue_ptr 0
		.amdhsa_user_sgpr_kernarg_segment_ptr 1
		.amdhsa_user_sgpr_dispatch_id 0
		.amdhsa_user_sgpr_kernarg_preload_length 0
		.amdhsa_user_sgpr_kernarg_preload_offset 0
		.amdhsa_user_sgpr_private_segment_size 0
		.amdhsa_uses_dynamic_stack 0
		.amdhsa_enable_private_segment 0
		.amdhsa_system_sgpr_workgroup_id_x 1
		.amdhsa_system_sgpr_workgroup_id_y 1
		.amdhsa_system_sgpr_workgroup_id_z 1
		.amdhsa_system_sgpr_workgroup_info 0
		.amdhsa_system_vgpr_workitem_id 0
		.amdhsa_next_free_vgpr 90
		.amdhsa_next_free_sgpr 50
		.amdhsa_accum_offset 92
		.amdhsa_reserve_vcc 1
		.amdhsa_float_round_mode_32 0
		.amdhsa_float_round_mode_16_64 0
		.amdhsa_float_denorm_mode_32 3
		.amdhsa_float_denorm_mode_16_64 3
		.amdhsa_dx10_clamp 1
		.amdhsa_ieee_mode 1
		.amdhsa_fp16_overflow 0
		.amdhsa_tg_split 0
		.amdhsa_exception_fp_ieee_invalid_op 0
		.amdhsa_exception_fp_denorm_src 0
		.amdhsa_exception_fp_ieee_div_zero 0
		.amdhsa_exception_fp_ieee_overflow 0
		.amdhsa_exception_fp_ieee_underflow 0
		.amdhsa_exception_fp_ieee_inexact 0
		.amdhsa_exception_int_div_zero 0
	.end_amdhsa_kernel
	.section	.text._Z39paged_attention_ll4mi_QKV_mfma16_kernelIDF16_hLN4vllm18Fp8KVCacheDataTypeE1EDF16_Li16ELi128ELi256ELb0ELi15EEvPKT_PKT0_S7_ifPKiS9_S9_iPKfiiiPfSC_PS2_PT2_iSB_SB_,"axG",@progbits,_Z39paged_attention_ll4mi_QKV_mfma16_kernelIDF16_hLN4vllm18Fp8KVCacheDataTypeE1EDF16_Li16ELi128ELi256ELb0ELi15EEvPKT_PKT0_S7_ifPKiS9_S9_iPKfiiiPfSC_PS2_PT2_iSB_SB_,comdat
.Lfunc_end1002:
	.size	_Z39paged_attention_ll4mi_QKV_mfma16_kernelIDF16_hLN4vllm18Fp8KVCacheDataTypeE1EDF16_Li16ELi128ELi256ELb0ELi15EEvPKT_PKT0_S7_ifPKiS9_S9_iPKfiiiPfSC_PS2_PT2_iSB_SB_, .Lfunc_end1002-_Z39paged_attention_ll4mi_QKV_mfma16_kernelIDF16_hLN4vllm18Fp8KVCacheDataTypeE1EDF16_Li16ELi128ELi256ELb0ELi15EEvPKT_PKT0_S7_ifPKiS9_S9_iPKfiiiPfSC_PS2_PT2_iSB_SB_
                                        ; -- End function
	.section	.AMDGPU.csdata,"",@progbits
; Kernel info:
; codeLenInByte = 6068
; NumSgprs: 56
; NumVgprs: 90
; NumAgprs: 0
; TotalNumVgprs: 90
; ScratchSize: 0
; MemoryBound: 0
; FloatMode: 240
; IeeeMode: 1
; LDSByteSize: 8192 bytes/workgroup (compile time only)
; SGPRBlocks: 6
; VGPRBlocks: 11
; NumSGPRsForWavesPerEU: 56
; NumVGPRsForWavesPerEU: 90
; AccumOffset: 92
; Occupancy: 5
; WaveLimiterHint : 1
; COMPUTE_PGM_RSRC2:SCRATCH_EN: 0
; COMPUTE_PGM_RSRC2:USER_SGPR: 2
; COMPUTE_PGM_RSRC2:TRAP_HANDLER: 0
; COMPUTE_PGM_RSRC2:TGID_X_EN: 1
; COMPUTE_PGM_RSRC2:TGID_Y_EN: 1
; COMPUTE_PGM_RSRC2:TGID_Z_EN: 1
; COMPUTE_PGM_RSRC2:TIDIG_COMP_CNT: 0
; COMPUTE_PGM_RSRC3_GFX90A:ACCUM_OFFSET: 22
; COMPUTE_PGM_RSRC3_GFX90A:TG_SPLIT: 0
	.section	.text._Z39paged_attention_ll4mi_QKV_mfma16_kernelIDF16_hLN4vllm18Fp8KVCacheDataTypeE1EDF16_Li16ELi128ELi256ELb0ELi16EEvPKT_PKT0_S7_ifPKiS9_S9_iPKfiiiPfSC_PS2_PT2_iSB_SB_,"axG",@progbits,_Z39paged_attention_ll4mi_QKV_mfma16_kernelIDF16_hLN4vllm18Fp8KVCacheDataTypeE1EDF16_Li16ELi128ELi256ELb0ELi16EEvPKT_PKT0_S7_ifPKiS9_S9_iPKfiiiPfSC_PS2_PT2_iSB_SB_,comdat
	.protected	_Z39paged_attention_ll4mi_QKV_mfma16_kernelIDF16_hLN4vllm18Fp8KVCacheDataTypeE1EDF16_Li16ELi128ELi256ELb0ELi16EEvPKT_PKT0_S7_ifPKiS9_S9_iPKfiiiPfSC_PS2_PT2_iSB_SB_ ; -- Begin function _Z39paged_attention_ll4mi_QKV_mfma16_kernelIDF16_hLN4vllm18Fp8KVCacheDataTypeE1EDF16_Li16ELi128ELi256ELb0ELi16EEvPKT_PKT0_S7_ifPKiS9_S9_iPKfiiiPfSC_PS2_PT2_iSB_SB_
	.globl	_Z39paged_attention_ll4mi_QKV_mfma16_kernelIDF16_hLN4vllm18Fp8KVCacheDataTypeE1EDF16_Li16ELi128ELi256ELb0ELi16EEvPKT_PKT0_S7_ifPKiS9_S9_iPKfiiiPfSC_PS2_PT2_iSB_SB_
	.p2align	8
	.type	_Z39paged_attention_ll4mi_QKV_mfma16_kernelIDF16_hLN4vllm18Fp8KVCacheDataTypeE1EDF16_Li16ELi128ELi256ELb0ELi16EEvPKT_PKT0_S7_ifPKiS9_S9_iPKfiiiPfSC_PS2_PT2_iSB_SB_,@function
_Z39paged_attention_ll4mi_QKV_mfma16_kernelIDF16_hLN4vllm18Fp8KVCacheDataTypeE1EDF16_Li16ELi128ELi256ELb0ELi16EEvPKT_PKT0_S7_ifPKiS9_S9_iPKfiiiPfSC_PS2_PT2_iSB_SB_: ; @_Z39paged_attention_ll4mi_QKV_mfma16_kernelIDF16_hLN4vllm18Fp8KVCacheDataTypeE1EDF16_Li16ELi128ELi256ELb0ELi16EEvPKT_PKT0_S7_ifPKiS9_S9_iPKfiiiPfSC_PS2_PT2_iSB_SB_
; %bb.0:
	s_load_dwordx2 s[12:13], s[0:1], 0x30
	s_mov_b32 s33, s3
	s_mov_b64 s[6:7], 0
	s_waitcnt lgkmcnt(0)
	s_cmp_lg_u64 s[12:13], 0
	s_cselect_b64 s[14:15], -1, 0
	s_and_b64 vcc, exec, s[14:15]
	s_cbranch_vccz .LBB1003_7
; %bb.1:
	s_add_i32 s8, s2, 1
	s_mov_b32 s9, 0
	s_lshl_b64 s[10:11], s[8:9], 2
	s_add_u32 s10, s12, s10
	s_mov_b32 s3, s9
	s_addc_u32 s11, s13, s11
	s_lshl_b64 s[8:9], s[2:3], 2
	s_add_u32 s8, s12, s8
	s_addc_u32 s9, s13, s9
	s_load_dword s5, s[10:11], 0x0
	s_load_dword s16, s[8:9], 0x0
	s_waitcnt lgkmcnt(0)
	s_sub_i32 s5, s5, s16
	s_cmp_eq_u32 s5, 1
	s_cselect_b64 s[8:9], -1, 0
	s_andn2_b64 vcc, exec, s[6:7]
	s_cbranch_vccnz .LBB1003_3
.LBB1003_2:
	s_mov_b32 s3, 0
	s_mov_b64 s[8:9], -1
.LBB1003_3:
	s_andn2_b64 vcc, exec, s[8:9]
	s_cbranch_vccnz .LBB1003_17
; %bb.4:
	s_load_dwordx2 s[6:7], s[0:1], 0x28
	s_lshl_b64 s[16:17], s[2:3], 2
	s_waitcnt lgkmcnt(0)
	s_add_u32 s6, s6, s16
	s_addc_u32 s7, s7, s17
	s_load_dword s20, s[6:7], 0x0
	s_lshl_b32 s5, s33, 8
	s_waitcnt lgkmcnt(0)
	s_cmp_ge_i32 s5, s20
	s_cbranch_scc1 .LBB1003_17
; %bb.5:
	s_load_dwordx2 s[6:7], s[0:1], 0x20
	s_load_dword s8, s[0:1], 0x38
	s_add_i32 s9, s20, 15
	s_ashr_i32 s10, s9, 31
	v_and_b32_e32 v1, 0xcf, v0
	s_lshr_b32 s10, s10, 28
	v_add_u32_e32 v1, s5, v1
	s_add_i32 s9, s9, s10
	v_ashrrev_i32_e32 v2, 31, v1
	s_ashr_i32 s18, s9, 4
	v_lshrrev_b32_e32 v10, 28, v2
	s_add_i32 s18, s18, -1
	s_waitcnt lgkmcnt(0)
	s_mul_i32 s8, s2, s8
	s_mov_b32 s9, 0
	v_add_u32_e32 v2, v1, v10
	s_lshl_b64 s[8:9], s[8:9], 2
	v_ashrrev_i32_e32 v2, 4, v2
	v_mov_b32_e32 v11, s18
	v_cmp_gt_i32_e32 vcc, s20, v1
	s_add_u32 s6, s6, s8
	s_addc_u32 s7, s7, s9
	v_cndmask_b32_e32 v2, v11, v2, vcc
	v_ashrrev_i32_e32 v3, 31, v2
	v_lshl_add_u64 v[4:5], v[2:3], 2, s[6:7]
	v_or_b32_e32 v2, 16, v1
	v_add_u32_e32 v3, v2, v10
	v_ashrrev_i32_e32 v3, 4, v3
	v_cmp_gt_i32_e32 vcc, s20, v2
	s_load_dwordx4 s[8:11], s[0:1], 0x8
	s_nop 0
	v_cndmask_b32_e32 v2, v11, v3, vcc
	v_ashrrev_i32_e32 v3, 31, v2
	v_lshl_add_u64 v[6:7], v[2:3], 2, s[6:7]
	v_or_b32_e32 v2, 32, v1
	v_add_u32_e32 v3, v2, v10
	v_ashrrev_i32_e32 v3, 4, v3
	v_cmp_gt_i32_e32 vcc, s20, v2
	v_or_b32_e32 v1, 48, v1
	s_nop 0
	v_cndmask_b32_e32 v2, v11, v3, vcc
	v_ashrrev_i32_e32 v3, 31, v2
	v_lshl_add_u64 v[8:9], v[2:3], 2, s[6:7]
	v_add_u32_e32 v2, v1, v10
	v_ashrrev_i32_e32 v2, 4, v2
	v_cmp_gt_i32_e32 vcc, s20, v1
	s_nop 1
	v_cndmask_b32_e32 v2, v11, v2, vcc
	v_ashrrev_i32_e32 v3, 31, v2
	v_lshl_add_u64 v[10:11], v[2:3], 2, s[6:7]
	global_load_dword v3, v[4:5], off
	global_load_dword v2, v[6:7], off
	;; [unrolled: 1-line block ×4, first 2 shown]
	s_andn2_b64 vcc, exec, s[14:15]
	s_cbranch_vccnz .LBB1003_8
; %bb.6:
	s_add_u32 s12, s12, s16
	s_addc_u32 s13, s13, s17
	s_load_dword s14, s[12:13], 0x0
	s_branch .LBB1003_9
.LBB1003_7:
	s_mov_b64 s[8:9], 0
	s_branch .LBB1003_2
.LBB1003_8:
	s_mov_b32 s14, s2
.LBB1003_9:
	s_load_dwordx4 s[40:43], s[0:1], 0x48
	v_and_b32_e32 v60, 15, v0
	v_lshlrev_b32_e32 v4, 3, v60
	s_movk_i32 s12, 0x100
	v_lshrrev_b32_e32 v62, 6, v0
	v_and_b32_e32 v63, 63, v0
	v_bfe_u32 v1, v0, 4, 2
	s_lshl_b32 s44, s4, 4
	v_cmp_gt_u32_e32 vcc, s12, v0
	v_lshlrev_b32_e32 v54, 1, v4
	v_lshlrev_b32_e32 v61, 4, v0
	s_and_saveexec_b64 s[12:13], vcc
	s_cbranch_execz .LBB1003_11
; %bb.10:
	s_load_dwordx2 s[16:17], s[0:1], 0x0
	s_waitcnt lgkmcnt(0)
	s_ashr_i32 s15, s40, 31
	s_mul_hi_u32 s19, s14, s40
	s_mul_i32 s15, s14, s15
	s_add_i32 s15, s19, s15
	s_mul_i32 s14, s14, s40
	v_lshl_or_b32 v8, v62, 2, v1
	s_lshl_b64 s[14:15], s[14:15], 1
	s_add_u32 s14, s16, s14
	v_add_lshl_u32 v4, v8, s44, 7
	s_addc_u32 s15, s17, s15
	v_ashrrev_i32_e32 v5, 31, v4
	v_lshl_add_u64 v[4:5], v[4:5], 1, s[14:15]
	v_mov_b32_e32 v55, 0
	v_lshl_add_u64 v[4:5], v[4:5], 0, v[54:55]
	global_load_dwordx4 v[4:7], v[4:5], off
	v_lshlrev_b32_e32 v10, 8, v0
	v_lshlrev_b32_e32 v9, 8, v60
	v_and_b32_e32 v10, 0x600, v10
	s_movk_i32 s14, 0x800
	v_and_or_b32 v9, v9, s14, v10
	v_lshlrev_b32_e32 v8, 5, v8
	v_and_b32_e32 v10, 16, v61
	v_or3_b32 v8, v9, v8, v10
	s_waitcnt vmcnt(0)
	ds_write_b128 v8, v[4:7]
.LBB1003_11:
	s_or_b64 exec, exec, s[12:13]
	s_waitcnt lgkmcnt(0)
	s_mul_i32 s12, s4, s42
	s_add_u32 s8, s8, s12
	s_addc_u32 s9, s9, 0
	v_and_b32_e32 v50, 0xf0, v61
	v_mov_b32_e32 v51, 0
	v_and_b32_e32 v10, 48, v0
	v_lshl_add_u64 v[30:31], s[8:9], 0, v[50:51]
	v_lshlrev_b32_e32 v50, 4, v10
	s_waitcnt vmcnt(3)
	v_mad_i64_i32 v[4:5], s[8:9], v3, s41, v[30:31]
	v_lshl_add_u64 v[4:5], v[4:5], 0, v[50:51]
	s_load_dword s40, s[0:1], 0x98
	s_load_dwordx4 s[36:39], s[0:1], 0x80
	s_waitcnt lgkmcnt(0)
	s_barrier
	global_load_dwordx4 v[18:21], v[4:5], off
	global_load_dwordx4 v[6:9], v[4:5], off offset:1024
	s_waitcnt vmcnt(4)
	v_mad_i64_i32 v[2:3], s[8:9], v2, s41, v[30:31]
	v_lshl_add_u64 v[32:33], v[2:3], 0, v[50:51]
	global_load_dwordx4 v[2:5], v[32:33], off
	v_lshlrev_b32_e32 v64, 5, v60
	v_lshl_or_b32 v55, v1, 9, v64
	v_or_b32_e32 v37, s5, v10
	ds_read_b128 v[26:29], v55
	ds_read_b128 v[22:25], v55 offset:16
	ds_read_b128 v[14:17], v55 offset:2048
	;; [unrolled: 1-line block ×3, first 2 shown]
	global_load_dwordx4 v[46:49], v[32:33], off offset:1024
	v_mov_b32_e32 v36, s18
	v_ashrrev_i32_e32 v38, 4, v37
	v_or_b32_e32 v42, 64, v37
	v_cmp_gt_i32_e32 vcc, s20, v37
	v_or_b32_e32 v43, 0x80, v37
	v_or_b32_e32 v44, 0xc0, v37
	v_cndmask_b32_e32 v38, v36, v38, vcc
	v_ashrrev_i32_e32 v37, 4, v42
	v_cmp_gt_i32_e32 vcc, s20, v42
	v_ashrrev_i32_e32 v45, 4, v43
	s_waitcnt vmcnt(5)
	v_mad_i64_i32 v[40:41], s[8:9], v34, s41, v[30:31]
	v_cndmask_b32_e32 v34, v36, v37, vcc
	v_cmp_gt_i32_e32 vcc, s20, v43
	v_ashrrev_i32_e32 v52, 4, v44
	s_waitcnt vmcnt(4)
	v_mad_i64_i32 v[30:31], s[8:9], v35, s41, v[30:31]
	v_cndmask_b32_e32 v42, v36, v45, vcc
	v_cmp_gt_i32_e32 vcc, s20, v44
	v_ashrrev_i32_e32 v39, 31, v38
	v_ashrrev_i32_e32 v35, 31, v34
	v_cndmask_b32_e32 v32, v36, v52, vcc
	v_lshl_add_u64 v[36:37], v[40:41], 0, v[50:51]
	v_ashrrev_i32_e32 v43, 31, v42
	v_ashrrev_i32_e32 v33, 31, v32
	v_lshl_add_u64 v[30:31], v[30:31], 0, v[50:51]
	v_lshl_add_u64 v[52:53], v[38:39], 2, s[6:7]
	;; [unrolled: 1-line block ×5, first 2 shown]
	global_load_dwordx4 v[42:45], v[36:37], off
	global_load_dwordx4 v[38:41], v[36:37], off offset:1024
	s_nop 0
	global_load_dwordx4 v[34:37], v[30:31], off
	s_nop 0
	global_load_dwordx4 v[30:33], v[30:31], off offset:1024
	s_nop 0
	global_load_dword v68, v[52:53], off
	global_load_dword v69, v[56:57], off
	;; [unrolled: 1-line block ×4, first 2 shown]
	s_add_u32 s42, s10, s12
	v_lshl_or_b32 v65, v62, 4, v60
	s_addc_u32 s43, s11, 0
	v_lshlrev_b32_e32 v50, 4, v65
	s_load_dword s4, s[0:1], 0x1c
	s_mov_b32 s45, 0xff7fffff
	s_waitcnt vmcnt(11)
	v_cvt_pk_f32_fp8_e32 v[52:53], v18
	v_cvt_pk_f32_fp8_sdwa v[56:57], v18 src0_sel:WORD_1
	v_cvt_pk_f32_fp8_e32 v[58:59], v19
	v_cvt_pk_f32_fp8_sdwa v[70:71], v19 src0_sel:WORD_1
	;; [unrolled: 2-line block ×4, first 2 shown]
	s_waitcnt vmcnt(9)
	v_cvt_pk_f32_fp8_e32 v[18:19], v2
	v_cvt_pk_f32_fp8_sdwa v[20:21], v2 src0_sel:WORD_1
	v_cvt_pkrtz_f16_f32 v52, v52, v53
	v_cvt_pkrtz_f16_f32 v53, v56, v57
	v_cvt_pk_f32_fp8_e32 v[80:81], v6
	v_cvt_pk_f32_fp8_sdwa v[82:83], v6 src0_sel:WORD_1
	v_cvt_pk_f32_fp8_e32 v[84:85], v7
	v_cvt_pk_f32_fp8_sdwa v[86:87], v7 src0_sel:WORD_1
	v_cvt_pkrtz_f16_f32 v6, v18, v19
	v_cvt_pkrtz_f16_f32 v7, v20, v21
	;; [unrolled: 1-line block ×4, first 2 shown]
	s_waitcnt lgkmcnt(0)
	v_mfma_f32_16x16x16_f16 v[18:21], v[52:53], v[26:27], 0
	v_cvt_pk_f32_fp8_e32 v[88:89], v8
	v_cvt_pk_f32_fp8_sdwa v[52:53], v8 src0_sel:WORD_1
	v_cvt_pk_f32_fp8_e32 v[70:71], v9
	v_mfma_f32_16x16x16_f16 v[56:59], v[6:7], v[26:27], 0
	v_cvt_pkrtz_f16_f32 v6, v72, v73
	v_cvt_pkrtz_f16_f32 v7, v74, v75
	;; [unrolled: 1-line block ×3, first 2 shown]
	v_mfma_f32_16x16x16_f16 v[18:21], v[90:91], v[28:29], v[18:21]
	v_cvt_pkrtz_f16_f32 v75, v78, v79
	v_cvt_pk_f32_fp8_sdwa v[72:73], v9 src0_sel:WORD_1
	v_cvt_pkrtz_f16_f32 v77, v52, v53
	v_mfma_f32_16x16x16_f16 v[6:9], v[6:7], v[22:23], v[18:21]
	v_cvt_pk_f32_fp8_sdwa v[52:53], v4 src0_sel:WORD_1
	v_cvt_pkrtz_f16_f32 v70, v70, v71
	v_cvt_pkrtz_f16_f32 v71, v72, v73
	;; [unrolled: 1-line block ×4, first 2 shown]
	v_cvt_pk_f32_fp8_e32 v[18:19], v3
	v_mfma_f32_16x16x16_f16 v[6:9], v[74:75], v[24:25], v[6:9]
	v_cvt_pk_f32_fp8_sdwa v[2:3], v3 src0_sel:WORD_1
	v_cvt_pk_f32_fp8_e32 v[72:73], v5
	v_cvt_pkrtz_f16_f32 v18, v18, v19
	v_mfma_f32_16x16x16_f16 v[6:9], v[20:21], v[14:15], v[6:9]
	v_cvt_pk_f32_fp8_e32 v[20:21], v4
	v_cvt_pkrtz_f16_f32 v19, v2, v3
	v_cvt_pkrtz_f16_f32 v74, v84, v85
	;; [unrolled: 1-line block ×5, first 2 shown]
	v_cvt_pk_f32_fp8_sdwa v[52:53], v5 src0_sel:WORD_1
	v_mfma_f32_16x16x16_f16 v[2:5], v[18:19], v[28:29], v[56:59]
	v_cvt_pkrtz_f16_f32 v18, v72, v73
	v_cvt_pkrtz_f16_f32 v76, v88, v89
	;; [unrolled: 1-line block ×3, first 2 shown]
	v_mfma_f32_16x16x16_f16 v[2:5], v[20:21], v[22:23], v[2:5]
	s_waitcnt vmcnt(8)
	v_cvt_pk_f32_fp8_e32 v[20:21], v46
	v_cvt_pk_f32_fp8_sdwa v[52:53], v46 src0_sel:WORD_1
	v_cvt_pk_f32_fp8_sdwa v[56:57], v48 src0_sel:WORD_1
	v_mfma_f32_16x16x16_f16 v[2:5], v[18:19], v[24:25], v[2:5]
	v_cvt_pk_f32_fp8_e32 v[18:19], v47
	v_cvt_pkrtz_f16_f32 v20, v20, v21
	v_cvt_pkrtz_f16_f32 v21, v52, v53
	v_cvt_pk_f32_fp8_sdwa v[46:47], v47 src0_sel:WORD_1
	v_cvt_pkrtz_f16_f32 v18, v18, v19
	v_cvt_pk_f32_fp8_e32 v[52:53], v48
	v_mfma_f32_16x16x16_f16 v[2:5], v[20:21], v[14:15], v[2:5]
	v_cvt_pkrtz_f16_f32 v19, v46, v47
	v_cvt_pkrtz_f16_f32 v20, v52, v53
	;; [unrolled: 1-line block ×3, first 2 shown]
	v_cvt_pk_f32_fp8_e32 v[46:47], v49
	v_cvt_pk_f32_fp8_sdwa v[48:49], v49 src0_sel:WORD_1
	v_mfma_f32_16x16x16_f16 v[2:5], v[18:19], v[16:17], v[2:5]
	s_waitcnt vmcnt(7)
	v_cvt_pk_f32_fp8_sdwa v[52:53], v42 src0_sel:WORD_1
	v_cvt_pkrtz_f16_f32 v18, v46, v47
	v_cvt_pkrtz_f16_f32 v19, v48, v49
	v_mfma_f32_16x16x16_f16 v[2:5], v[20:21], v[10:11], v[2:5]
	v_cvt_pk_f32_fp8_e32 v[20:21], v42
	v_mfma_f32_16x16x16_f16 v[46:49], v[18:19], v[12:13], v[2:5]
	v_cvt_pk_f32_fp8_sdwa v[18:19], v43 src0_sel:WORD_1
	s_nop 3
	v_cvt_pkrtz_f16_f32 v2, v20, v21
	v_cvt_pkrtz_f16_f32 v3, v52, v53
	v_cvt_pk_f32_fp8_e32 v[4:5], v43
	v_mfma_f32_16x16x16_f16 v[6:9], v[74:75], v[16:17], v[6:9]
	v_cvt_pkrtz_f16_f32 v43, v18, v19
	v_cvt_pk_f32_fp8_e32 v[18:19], v44
	v_cvt_pkrtz_f16_f32 v42, v4, v5
	v_mfma_f32_16x16x16_f16 v[2:5], v[2:3], v[26:27], 0
	v_cvt_pk_f32_fp8_sdwa v[52:53], v44 src0_sel:WORD_1
	s_waitcnt vmcnt(6)
	v_cvt_pk_f32_fp8_sdwa v[74:75], v41 src0_sel:WORD_1
	v_mfma_f32_16x16x16_f16 v[6:9], v[76:77], v[10:11], v[6:9]
	v_mfma_f32_16x16x16_f16 v[56:59], v[42:43], v[28:29], v[2:5]
	v_cvt_pkrtz_f16_f32 v42, v18, v19
	v_cvt_pkrtz_f16_f32 v43, v52, v53
	v_cvt_pk_f32_fp8_e32 v[52:53], v45
	v_cvt_pk_f32_fp8_sdwa v[44:45], v45 src0_sel:WORD_1
	v_mfma_f32_16x16x16_f16 v[6:9], v[70:71], v[12:13], v[6:9]
	v_lshl_add_u64 v[70:71], s[42:43], 0, v[50:51]
	s_waitcnt vmcnt(3)
	v_mad_i64_i32 v[20:21], s[6:7], v68, s41, v[70:71]
	s_waitcnt vmcnt(2)
	v_mad_i64_i32 v[72:73], s[6:7], v69, s41, v[70:71]
	global_load_dwordx4 v[18:21], v[20:21], off
	s_nop 0
	global_load_dwordx4 v[2:5], v[72:73], off
	v_cvt_pkrtz_f16_f32 v72, v52, v53
	v_cvt_pkrtz_f16_f32 v73, v44, v45
	v_mfma_f32_16x16x16_f16 v[42:45], v[42:43], v[22:23], v[56:59]
	s_waitcnt vmcnt(3)
	v_mad_i64_i32 v[52:53], s[6:7], v66, s41, v[70:71]
	v_or_b32_e32 v50, 0x400, v50
	s_waitcnt vmcnt(2)
	v_mad_i64_i32 v[56:57], s[6:7], v67, s41, v[70:71]
	v_cvt_pk_f32_fp8_e32 v[58:59], v38
	v_cvt_pk_f32_fp8_sdwa v[70:71], v38 src0_sel:WORD_1
	v_mfma_f32_16x16x16_f16 v[42:45], v[72:73], v[24:25], v[42:45]
	v_cvt_pk_f32_fp8_e32 v[72:73], v39
	v_cvt_pk_f32_fp8_sdwa v[38:39], v39 src0_sel:WORD_1
	v_cvt_pkrtz_f16_f32 v58, v58, v59
	v_cvt_pkrtz_f16_f32 v59, v70, v71
	;; [unrolled: 1-line block ×4, first 2 shown]
	v_cvt_pk_f32_fp8_e32 v[38:39], v40
	v_cvt_pk_f32_fp8_sdwa v[72:73], v40 src0_sel:WORD_1
	v_mfma_f32_16x16x16_f16 v[42:45], v[58:59], v[14:15], v[42:45]
	s_load_dword s6, s[36:37], 0x0
	v_cvt_pkrtz_f16_f32 v58, v38, v39
	v_cvt_pkrtz_f16_f32 v59, v72, v73
	v_cvt_pk_f32_fp8_e32 v[72:73], v41
	v_mfma_f32_16x16x16_f16 v[38:41], v[70:71], v[16:17], v[42:45]
	s_nop 2
	v_mov_b32_e32 v44, s4
	v_cvt_pkrtz_f16_f32 v42, v72, v73
	v_cvt_pkrtz_f16_f32 v43, v74, v75
	v_mfma_f32_16x16x16_f16 v[38:41], v[58:59], v[10:11], v[38:41]
	s_waitcnt lgkmcnt(0)
	v_mul_f32_e32 v74, s6, v44
	v_cvt_pk_f32_fp8_e32 v[44:45], v34
	v_cvt_pk_f32_fp8_sdwa v[58:59], v34 src0_sel:WORD_1
	v_mfma_f32_16x16x16_f16 v[70:73], v[42:43], v[12:13], v[38:41]
	v_pk_mul_f32 v[6:7], v[74:75], v[6:7] op_sel_hi:[0,1]
	s_nop 1
	v_cvt_pk_f32_fp8_e32 v[38:39], v35
	v_cvt_pkrtz_f16_f32 v40, v44, v45
	v_cvt_pkrtz_f16_f32 v41, v58, v59
	v_cvt_pk_f32_fp8_sdwa v[34:35], v35 src0_sel:WORD_1
	v_cvt_pkrtz_f16_f32 v42, v38, v39
	v_cvt_pk_f32_fp8_e32 v[44:45], v36
	v_cvt_pk_f32_fp8_sdwa v[58:59], v36 src0_sel:WORD_1
	v_cvt_pkrtz_f16_f32 v43, v34, v35
	v_mfma_f32_16x16x16_f16 v[38:41], v[40:41], v[26:27], 0
	v_cvt_pkrtz_f16_f32 v34, v44, v45
	v_cvt_pkrtz_f16_f32 v35, v58, v59
	v_cvt_pk_f32_fp8_e32 v[44:45], v37
	v_cvt_pk_f32_fp8_sdwa v[36:37], v37 src0_sel:WORD_1
	v_mfma_f32_16x16x16_f16 v[26:29], v[42:43], v[28:29], v[38:41]
	v_pk_mul_f32 v[58:59], v[74:75], v[8:9] op_sel_hi:[0,1]
	v_cvt_pkrtz_f16_f32 v8, v44, v45
	v_cvt_pkrtz_f16_f32 v9, v36, v37
	v_mfma_f32_16x16x16_f16 v[26:29], v[34:35], v[22:23], v[26:29]
	v_cvt_pk_f32_fp8_e32 v[34:35], v30
	v_cvt_pk_f32_fp8_sdwa v[36:37], v30 src0_sel:WORD_1
	v_pk_mul_f32 v[44:45], v[74:75], v[46:47] op_sel_hi:[0,1]
	v_mfma_f32_16x16x16_f16 v[22:25], v[8:9], v[24:25], v[26:29]
	v_cvt_pk_f32_fp8_e32 v[8:9], v31
	v_pk_mul_f32 v[42:43], v[74:75], v[48:49] op_sel_hi:[0,1]
	v_pk_mul_f32 v[40:41], v[74:75], v[70:71] op_sel_hi:[0,1]
	v_cvt_pkrtz_f16_f32 v26, v34, v35
	v_cvt_pkrtz_f16_f32 v27, v36, v37
	v_cvt_pk_f32_fp8_sdwa v[28:29], v31 src0_sel:WORD_1
	v_cvt_pkrtz_f16_f32 v8, v8, v9
	v_cvt_pk_f32_fp8_e32 v[30:31], v32
	v_cvt_pk_f32_fp8_sdwa v[34:35], v32 src0_sel:WORD_1
	v_cvt_pkrtz_f16_f32 v9, v28, v29
	v_mfma_f32_16x16x16_f16 v[22:25], v[26:27], v[14:15], v[22:25]
	v_cvt_pkrtz_f16_f32 v26, v30, v31
	v_cvt_pkrtz_f16_f32 v27, v34, v35
	v_cvt_pk_f32_fp8_e32 v[28:29], v33
	v_cvt_pk_f32_fp8_sdwa v[30:31], v33 src0_sel:WORD_1
	v_mfma_f32_16x16x16_f16 v[14:17], v[8:9], v[16:17], v[22:25]
	v_pk_mul_f32 v[38:39], v[74:75], v[72:73] op_sel_hi:[0,1]
	s_nop 1
	v_cvt_pkrtz_f16_f32 v22, v28, v29
	v_cvt_pkrtz_f16_f32 v23, v30, v31
	v_mfma_f32_16x16x16_f16 v[8:11], v[26:27], v[10:11], v[14:17]
	global_load_dwordx4 v[30:33], v[52:53], off
	global_load_dwordx4 v[26:29], v[56:57], off
	v_mfma_f32_16x16x16_f16 v[8:11], v[22:23], v[12:13], v[8:11]
	s_nop 6
	v_pk_mul_f32 v[36:37], v[74:75], v[8:9] op_sel_hi:[0,1]
	v_and_b32_e32 v8, 0xc0, v0
	v_add_u32_e32 v8, s5, v8
	v_lshl_or_b32 v8, v1, 2, v8
	v_pk_mul_f32 v[34:35], v[74:75], v[10:11] op_sel_hi:[0,1]
	v_or_b32_e32 v11, 1, v8
	v_mov_b32_e32 v9, 0xff7fffff
	v_cmp_gt_i32_e64 s[14:15], s20, v8
	v_cmp_gt_i32_e64 s[22:23], s20, v11
	v_or_b32_e32 v12, 3, v8
	v_cndmask_b32_e64 v10, v9, v6, s[14:15]
	v_cndmask_b32_e64 v11, v9, v7, s[22:23]
	v_max3_f32 v10, v10, s45, v11
	v_or_b32_e32 v11, 2, v8
	v_cmp_gt_i32_e64 s[28:29], s20, v11
	v_cmp_gt_i32_e64 s[34:35], s20, v12
	s_nop 0
	v_cndmask_b32_e64 v11, v9, v58, s[28:29]
	v_cndmask_b32_e64 v12, v9, v59, s[34:35]
	v_max3_f32 v10, v10, v11, v12
	v_or_b32_e32 v11, 16, v8
	v_or_b32_e32 v12, 17, v8
	v_cmp_gt_i32_e64 s[8:9], s20, v11
	v_cmp_gt_i32_e64 s[16:17], s20, v12
	s_nop 0
	v_cndmask_b32_e64 v11, v9, v44, s[8:9]
	v_cndmask_b32_e64 v12, v9, v45, s[16:17]
	v_max3_f32 v10, v10, v11, v12
	v_or_b32_e32 v11, 18, v8
	;; [unrolled: 8-line block ×5, first 2 shown]
	v_or_b32_e32 v12, 49, v8
	v_cmp_gt_i32_e32 vcc, s20, v11
	v_cmp_gt_i32_e64 s[6:7], s20, v12
	s_nop 0
	v_cndmask_b32_e32 v11, v9, v36, vcc
	v_cndmask_b32_e64 v12, v9, v37, s[6:7]
	v_max3_f32 v10, v10, v11, v12
	v_or_b32_e32 v11, 50, v8
	v_or_b32_e32 v8, 51, v8
	v_cmp_gt_i32_e64 s[12:13], s20, v11
	v_cmp_gt_i32_e64 s[20:21], s20, v8
	s_nop 0
	v_cndmask_b32_e64 v11, v9, v34, s[12:13]
	v_cndmask_b32_e64 v8, v9, v35, s[20:21]
	v_mbcnt_lo_u32_b32 v9, -1, 0
	v_mbcnt_hi_u32_b32 v9, -1, v9
	v_max3_f32 v8, v10, v11, v8
	v_and_b32_e32 v10, 64, v9
	v_add_u32_e32 v12, 64, v10
	v_xor_b32_e32 v10, 32, v9
	v_cmp_lt_i32_e64 s[36:37], v10, v12
	s_nop 1
	v_cndmask_b32_e64 v10, v9, v10, s[36:37]
	v_lshlrev_b32_e32 v70, 2, v10
	ds_bpermute_b32 v13, v70, v8
	v_lshl_add_u64 v[10:11], s[42:43], 0, v[50:51]
	s_waitcnt lgkmcnt(0)
	v_max_f32_e32 v13, v13, v13
	v_max_f32_e32 v14, v8, v13
	v_xor_b32_e32 v8, 16, v9
	v_cmp_lt_i32_e64 s[36:37], v8, v12
	s_nop 1
	v_cndmask_b32_e64 v8, v9, v8, s[36:37]
	v_lshlrev_b32_e32 v52, 2, v8
	ds_bpermute_b32 v15, v52, v14
	v_mad_i64_i32 v[8:9], s[36:37], v68, s41, v[10:11]
	v_mad_i64_i32 v[12:13], s[36:37], v69, s41, v[10:11]
	s_waitcnt lgkmcnt(0)
	v_max_f32_e32 v15, v15, v15
	v_max_f32_e32 v50, v14, v15
	v_sub_f32_e32 v6, v6, v50
	v_mul_f32_e32 v6, 0x3fb8aa3b, v6
	v_exp_f32_e32 v46, v6
	v_sub_f32_e32 v6, v7, v50
	v_mul_f32_e32 v6, 0x3fb8aa3b, v6
	v_exp_f32_e32 v47, v6
	global_load_dwordx4 v[14:17], v[8:9], off
	s_nop 0
	global_load_dwordx4 v[6:9], v[12:13], off
	v_sub_f32_e32 v12, v58, v50
	v_mul_f32_e32 v12, 0x3fb8aa3b, v12
	v_exp_f32_e32 v48, v12
	v_sub_f32_e32 v12, v59, v50
	v_mul_f32_e32 v12, 0x3fb8aa3b, v12
	v_exp_f32_e32 v49, v12
	v_mad_i64_i32 v[12:13], s[36:37], v66, s41, v[10:11]
	v_mad_i64_i32 v[10:11], s[36:37], v67, s41, v[10:11]
	global_load_dwordx4 v[22:25], v[12:13], off
	s_nop 0
	global_load_dwordx4 v[10:13], v[10:11], off
	v_sub_f32_e32 v44, v44, v50
	v_sub_f32_e32 v42, v42, v50
	v_mul_f32_e32 v44, 0x3fb8aa3b, v44
	v_mul_f32_e32 v42, 0x3fb8aa3b, v42
	v_exp_f32_e32 v44, v44
	v_exp_f32_e32 v51, v42
	v_sub_f32_e32 v45, v45, v50
	v_sub_f32_e32 v42, v43, v50
	;; [unrolled: 1-line block ×4, first 2 shown]
	v_mul_f32_e32 v45, 0x3fb8aa3b, v45
	v_mul_f32_e32 v42, 0x3fb8aa3b, v42
	;; [unrolled: 1-line block ×4, first 2 shown]
	v_exp_f32_e32 v45, v45
	v_exp_f32_e32 v53, v42
	v_cndmask_b32_e64 v42, 0, v44, s[8:9]
	v_cndmask_b32_e64 v44, 0, v51, s[24:25]
	v_exp_f32_e32 v40, v40
	v_exp_f32_e32 v51, v38
	v_sub_f32_e32 v41, v41, v50
	v_sub_f32_e32 v38, v39, v50
	;; [unrolled: 1-line block ×4, first 2 shown]
	v_mul_f32_e32 v41, 0x3fb8aa3b, v41
	v_mul_f32_e32 v38, 0x3fb8aa3b, v38
	;; [unrolled: 1-line block ×4, first 2 shown]
	v_cndmask_b32_e64 v43, 0, v45, s[16:17]
	v_cndmask_b32_e64 v45, 0, v53, s[30:31]
	v_exp_f32_e32 v41, v41
	v_exp_f32_e32 v53, v38
	v_cndmask_b32_e64 v38, 0, v40, s[4:5]
	v_cndmask_b32_e64 v40, 0, v51, s[18:19]
	v_exp_f32_e32 v36, v36
	v_exp_f32_e32 v51, v34
	v_sub_f32_e32 v34, v35, v50
	v_cndmask_b32_e64 v46, 0, v46, s[14:15]
	v_mul_f32_e32 v34, 0x3fb8aa3b, v34
	v_cndmask_b32_e64 v47, 0, v47, s[22:23]
	v_cndmask_b32_e64 v39, 0, v41, s[10:11]
	;; [unrolled: 1-line block ×3, first 2 shown]
	v_exp_f32_e32 v53, v34
	v_cndmask_b32_e32 v34, 0, v36, vcc
	v_cndmask_b32_e64 v36, 0, v51, s[12:13]
	v_add_f32_e32 v51, 0, v46
	v_cndmask_b32_e64 v48, 0, v48, s[28:29]
	v_add_f32_e32 v51, v51, v47
	;; [unrolled: 2-line block ×3, first 2 shown]
	v_add_f32_e32 v51, v51, v49
	v_add_f32_e32 v51, v51, v42
	;; [unrolled: 1-line block ×3, first 2 shown]
	v_sub_f32_e32 v37, v37, v50
	v_add_f32_e32 v51, v51, v44
	v_mul_f32_e32 v37, 0x3fb8aa3b, v37
	v_add_f32_e32 v51, v51, v45
	v_exp_f32_e32 v37, v37
	v_add_f32_e32 v51, v51, v38
	v_add_f32_e32 v51, v51, v39
	;; [unrolled: 1-line block ×4, first 2 shown]
	v_cndmask_b32_e64 v35, 0, v37, s[6:7]
	v_add_f32_e32 v51, v51, v34
	v_add_f32_e32 v51, v51, v35
	v_cndmask_b32_e64 v37, 0, v53, s[20:21]
	v_add_f32_e32 v51, v51, v36
	v_add_f32_e32 v51, v51, v37
	ds_bpermute_b32 v53, v70, v51
	v_cmp_gt_u32_e32 vcc, 16, v63
	s_waitcnt lgkmcnt(0)
	s_barrier
	v_add_f32_e32 v51, v51, v53
	ds_bpermute_b32 v52, v52, v51
	s_and_saveexec_b64 s[4:5], vcc
	s_cbranch_execz .LBB1003_13
; %bb.12:
	s_waitcnt lgkmcnt(0)
	v_add_f32_e32 v51, v51, v52
	v_lshlrev_b32_e32 v52, 2, v65
	ds_write2st64_b32 v52, v50, v51 offset1:1
.LBB1003_13:
	s_or_b64 exec, exec, s[4:5]
	v_lshlrev_b32_e32 v51, 2, v60
	s_load_dword s6, s[0:1], 0x94
	s_waitcnt lgkmcnt(0)
	s_barrier
	ds_read2_b32 v[52:53], v51 offset1:16
	ds_read2_b32 v[56:57], v51 offset0:32 offset1:48
	ds_read2_b32 v[58:59], v51 offset0:64 offset1:80
	s_lshl_b32 s7, s40, 4
	s_waitcnt lgkmcnt(2)
	v_max3_f32 v50, v52, s45, v53
	s_waitcnt lgkmcnt(1)
	v_max3_f32 v50, v50, v56, v57
	v_sub_f32_e32 v52, v52, v50
	v_mul_f32_e32 v52, 0x3fb8aa3b, v52
	v_exp_f32_e32 v63, v52
	v_sub_f32_e32 v52, v53, v50
	v_mul_f32_e32 v52, 0x3fb8aa3b, v52
	v_exp_f32_e32 v65, v52
	v_sub_f32_e32 v52, v56, v50
	v_mul_f32_e32 v52, 0x3fb8aa3b, v52
	v_exp_f32_e32 v56, v52
	ds_read2_b32 v[52:53], v51 offset0:96 offset1:112
	v_sub_f32_e32 v51, v57, v50
	v_mul_f32_e32 v51, 0x3fb8aa3b, v51
	v_exp_f32_e32 v57, v51
	s_waitcnt lgkmcnt(1)
	v_fma_f32 v51, v63, v58, 0
	v_fmac_f32_e32 v51, v65, v59
	s_waitcnt lgkmcnt(0)
	v_fmac_f32_e32 v51, v56, v52
	v_fmac_f32_e32 v51, v57, v53
	v_add_f32_e32 v52, 0x358637bd, v51
	v_div_scale_f32 v53, s[4:5], v52, v52, 1.0
	v_rcp_f32_e32 v58, v53
	s_barrier
	v_fma_f32 v59, -v53, v58, 1.0
	v_fmac_f32_e32 v58, v59, v58
	v_div_scale_f32 v59, vcc, 1.0, v52, 1.0
	v_mul_f32_e32 v66, v59, v58
	v_fma_f32 v67, -v53, v66, v59
	v_fmac_f32_e32 v66, v67, v58
	v_fma_f32 v53, -v53, v66, v59
	v_div_fmas_f32 v53, v53, v58, v66
	v_cmp_eq_u32_e32 vcc, 1, v62
	v_div_fixup_f32 v52, v53, v52, 1.0
	s_nop 0
	v_cndmask_b32_e32 v53, v63, v65, vcc
	v_cmp_eq_u32_e32 vcc, 2, v62
	s_nop 1
	v_cndmask_b32_e32 v53, v53, v56, vcc
	v_cmp_eq_u32_e32 vcc, 3, v62
	s_nop 1
	v_cndmask_b32_e32 v53, v53, v57, vcc
	v_mul_f32_e32 v52, v53, v52
	v_pk_mul_f32 v[48:49], v[52:53], v[48:49] op_sel_hi:[0,1]
	v_pk_mul_f32 v[46:47], v[52:53], v[46:47] op_sel_hi:[0,1]
	v_cvt_f16_f32_e32 v46, v46
	v_cvt_f16_f32_e32 v47, v47
	v_cvt_f16_f32_e32 v48, v48
	v_cvt_f16_f32_e32 v49, v49
	v_pk_mul_f32 v[44:45], v[52:53], v[44:45] op_sel_hi:[0,1]
	v_pk_mul_f32 v[42:43], v[52:53], v[42:43] op_sel_hi:[0,1]
	v_cvt_f16_f32_e32 v42, v42
	v_cvt_f16_f32_e32 v43, v43
	;; [unrolled: 1-line block ×4, first 2 shown]
	v_pack_b32_f16 v46, v46, v47
	v_pack_b32_f16 v47, v48, v49
	v_lshlrev_b32_e32 v48, 3, v1
	v_lshlrev_b32_e32 v49, 11, v62
	v_or3_b32 v56, v49, v64, v48
	v_pack_b32_f16 v42, v42, v43
	v_pack_b32_f16 v43, v44, v45
	v_pk_mul_f32 v[40:41], v[52:53], v[40:41] op_sel_hi:[0,1]
	v_pk_mul_f32 v[38:39], v[52:53], v[38:39] op_sel_hi:[0,1]
	;; [unrolled: 1-line block ×4, first 2 shown]
	ds_write2st64_b64 v56, v[46:47], v[42:43] offset1:1
	v_cvt_f16_f32_e32 v38, v38
	v_cvt_f16_f32_e32 v39, v39
	;; [unrolled: 1-line block ×8, first 2 shown]
	v_pack_b32_f16 v34, v38, v39
	v_pack_b32_f16 v35, v40, v41
	;; [unrolled: 1-line block ×4, first 2 shown]
	v_cmp_gt_u32_e32 vcc, 16, v0
	ds_write2st64_b64 v56, v[34:35], v[36:37] offset0:2 offset1:3
	s_and_saveexec_b64 s[4:5], vcc
	s_cbranch_execz .LBB1003_15
; %bb.14:
	v_or_b32_e32 v34, s44, v0
	v_mov_b32_e32 v35, 0
	v_mov_b32_e32 v36, s7
	v_mad_u64_u32 v[36:37], s[12:13], s2, v36, v[34:35]
	v_mov_b32_e32 v34, s33
	s_load_dwordx4 s[8:11], s[0:1], 0x58
	s_mul_i32 s3, s3, s7
	v_mad_u64_u32 v[34:35], s[12:13], v36, s6, v[34:35]
	v_add_u32_e32 v37, s3, v37
	v_mov_b32_e32 v36, v35
	v_mad_u64_u32 v[36:37], s[12:13], v37, s6, v[36:37]
	v_mov_b32_e32 v35, v36
	v_lshlrev_b64 v[34:35], 2, v[34:35]
	s_waitcnt lgkmcnt(0)
	v_lshl_add_u64 v[36:37], s[10:11], 0, v[34:35]
	v_lshl_add_u64 v[34:35], s[8:9], 0, v[34:35]
	global_store_dword v[36:37], v50, off
	global_store_dword v[34:35], v51, off
.LBB1003_15:
	s_or_b64 exec, exec, s[4:5]
	s_waitcnt vmcnt(7)
	v_cvt_pk_f32_fp8_e32 v[34:35], v18
	v_cvt_pk_f32_fp8_sdwa v[36:37], v18 src0_sel:WORD_1
	s_waitcnt lgkmcnt(0)
	s_barrier
	v_cvt_pk_f32_fp8_e32 v[38:39], v19
	v_cvt_pkrtz_f16_f32 v18, v34, v35
	v_cvt_pk_f32_fp8_sdwa v[40:41], v19 src0_sel:WORD_1
	v_cvt_pkrtz_f16_f32 v19, v36, v37
	ds_read_b128 v[34:37], v55
	v_cvt_pkrtz_f16_f32 v46, v38, v39
	v_cvt_pkrtz_f16_f32 v47, v40, v41
	ds_read_b128 v[38:41], v55 offset:16
	v_cvt_pk_f32_fp8_e32 v[48:49], v20
	v_cvt_pk_f32_fp8_sdwa v[50:51], v20 src0_sel:WORD_1
	s_waitcnt lgkmcnt(1)
	v_mfma_f32_16x16x16_f16 v[42:45], v[18:19], v[34:35], 0
	s_waitcnt vmcnt(6)
	v_cvt_pk_f32_fp8_e32 v[52:53], v4
	v_cvt_pkrtz_f16_f32 v18, v48, v49
	v_cvt_pkrtz_f16_f32 v19, v50, v51
	v_cvt_pk_f32_fp8_e32 v[48:49], v21
	v_mfma_f32_16x16x16_f16 v[42:45], v[46:47], v[36:37], v[42:45]
	v_cvt_pk_f32_fp8_sdwa v[46:47], v21 src0_sel:WORD_1
	v_cvt_pk_f32_fp8_sdwa v[58:59], v4 src0_sel:WORD_1
	v_cvt_pkrtz_f16_f32 v48, v48, v49
	s_waitcnt lgkmcnt(0)
	v_mfma_f32_16x16x16_f16 v[18:21], v[18:19], v[38:39], v[42:45]
	v_cvt_pkrtz_f16_f32 v49, v46, v47
	s_waitcnt vmcnt(5)
	v_cvt_pk_f32_fp8_e32 v[62:63], v32
	v_cvt_pk_f32_fp8_sdwa v[64:65], v32 src0_sel:WORD_1
	v_cvt_pk_f32_fp8_e32 v[42:43], v2
	v_mfma_f32_16x16x16_f16 v[46:49], v[48:49], v[40:41], v[18:21]
	s_waitcnt vmcnt(4)
	v_cvt_pk_f32_fp8_e32 v[66:67], v28
	v_cvt_pk_f32_fp8_sdwa v[68:69], v28 src0_sel:WORD_1
	v_cvt_pk_f32_fp8_sdwa v[18:19], v2 src0_sel:WORD_1
	v_cvt_pk_f32_fp8_e32 v[20:21], v3
	v_cvt_pkrtz_f16_f32 v2, v42, v43
	v_cvt_pk_f32_fp8_sdwa v[42:43], v3 src0_sel:WORD_1
	v_cvt_pkrtz_f16_f32 v3, v18, v19
	v_cvt_pkrtz_f16_f32 v50, v20, v21
	ds_read_b128 v[18:21], v55 offset:2048
	v_cvt_pkrtz_f16_f32 v51, v42, v43
	ds_read_b128 v[42:45], v55 offset:2064
	s_waitcnt lgkmcnt(1)
	v_mfma_f32_16x16x16_f16 v[46:49], v[2:3], v[18:19], v[46:49]
	v_cvt_pkrtz_f16_f32 v2, v52, v53
	v_cvt_pkrtz_f16_f32 v3, v58, v59
	v_cvt_pk_f32_fp8_e32 v[52:53], v5
	v_mfma_f32_16x16x16_f16 v[46:49], v[50:51], v[20:21], v[46:49]
	v_cvt_pk_f32_fp8_sdwa v[50:51], v5 src0_sel:WORD_1
	s_waitcnt vmcnt(3)
	v_cvt_pk_f32_fp8_sdwa v[70:71], v16 src0_sel:WORD_1
	v_cvt_pkrtz_f16_f32 v52, v52, v53
	s_waitcnt lgkmcnt(0)
	v_mfma_f32_16x16x16_f16 v[2:5], v[2:3], v[42:43], v[46:49]
	v_cvt_pkrtz_f16_f32 v53, v50, v51
	s_load_dword s4, s[38:39], 0x0
	s_mov_b32 s3, 0
	v_cvt_pk_f32_fp8_e32 v[46:47], v30
	v_mfma_f32_16x16x16_f16 v[50:53], v[52:53], v[44:45], v[2:5]
	v_cmp_gt_u32_e32 vcc, 64, v0
	s_nop 1
	v_cvt_pk_f32_fp8_sdwa v[2:3], v30 src0_sel:WORD_1
	v_cvt_pk_f32_fp8_e32 v[4:5], v31
	v_cvt_pkrtz_f16_f32 v30, v46, v47
	v_cvt_pk_f32_fp8_sdwa v[46:47], v31 src0_sel:WORD_1
	v_cvt_pkrtz_f16_f32 v31, v2, v3
	v_cvt_pkrtz_f16_f32 v58, v4, v5
	ds_read_b128 v[2:5], v55 offset:4096
	v_cvt_pkrtz_f16_f32 v59, v46, v47
	ds_read_b128 v[46:49], v55 offset:4112
	s_waitcnt lgkmcnt(0)
	v_mfma_f32_16x16x16_f16 v[50:53], v[30:31], v[2:3], v[50:53]
	v_cvt_pkrtz_f16_f32 v30, v62, v63
	v_cvt_pkrtz_f16_f32 v31, v64, v65
	v_cvt_pk_f32_fp8_e32 v[62:63], v33
	v_mfma_f32_16x16x16_f16 v[50:53], v[58:59], v[4:5], v[50:53]
	v_cvt_pk_f32_fp8_sdwa v[58:59], v33 src0_sel:WORD_1
	v_cvt_pkrtz_f16_f32 v62, v62, v63
	v_mfma_f32_16x16x16_f16 v[30:33], v[30:31], v[46:47], v[50:53]
	v_cvt_pkrtz_f16_f32 v63, v58, v59
	s_nop 2
	v_cvt_pk_f32_fp8_e32 v[50:51], v26
	v_mfma_f32_16x16x16_f16 v[62:65], v[62:63], v[48:49], v[30:33]
	s_nop 2
	v_cvt_pk_f32_fp8_sdwa v[30:31], v26 src0_sel:WORD_1
	v_cvt_pk_f32_fp8_e32 v[32:33], v27
	v_cvt_pkrtz_f16_f32 v26, v50, v51
	v_cvt_pk_f32_fp8_sdwa v[50:51], v27 src0_sel:WORD_1
	v_cvt_pkrtz_f16_f32 v27, v30, v31
	v_cvt_pkrtz_f16_f32 v58, v32, v33
	ds_read_b128 v[30:33], v55 offset:6144
	v_cvt_pkrtz_f16_f32 v59, v50, v51
	ds_read_b128 v[50:53], v55 offset:6160
	s_waitcnt lgkmcnt(1)
	v_mfma_f32_16x16x16_f16 v[62:65], v[26:27], v[30:31], v[62:65]
	v_cvt_pkrtz_f16_f32 v26, v66, v67
	v_cvt_pkrtz_f16_f32 v27, v68, v69
	v_cvt_pk_f32_fp8_e32 v[66:67], v29
	v_mfma_f32_16x16x16_f16 v[62:65], v[58:59], v[32:33], v[62:65]
	v_cvt_pk_f32_fp8_sdwa v[58:59], v29 src0_sel:WORD_1
	v_cvt_pk_f32_fp8_e32 v[68:69], v16
	v_cvt_pkrtz_f16_f32 v66, v66, v67
	s_waitcnt lgkmcnt(0)
	v_mfma_f32_16x16x16_f16 v[26:29], v[26:27], v[50:51], v[62:65]
	v_cvt_pkrtz_f16_f32 v67, v58, v59
	v_cvt_pk_f32_fp8_e32 v[58:59], v14
	s_nop 0
	v_cvt_pk_f32_fp8_sdwa v[62:63], v14 src0_sel:WORD_1
	v_cvt_pk_f32_fp8_e32 v[64:65], v15
	v_cvt_pkrtz_f16_f32 v58, v58, v59
	v_cvt_pk_f32_fp8_sdwa v[14:15], v15 src0_sel:WORD_1
	v_cvt_pkrtz_f16_f32 v59, v62, v63
	v_mfma_f32_16x16x16_f16 v[26:29], v[66:67], v[52:53], v[26:29]
	v_cvt_pkrtz_f16_f32 v66, v64, v65
	v_cvt_pkrtz_f16_f32 v67, v14, v15
	;; [unrolled: 1-line block ×3, first 2 shown]
	v_mfma_f32_16x16x16_f16 v[62:65], v[58:59], v[34:35], 0
	v_cvt_pkrtz_f16_f32 v15, v70, v71
	v_cvt_pk_f32_fp8_e32 v[58:59], v17
	s_barrier
	v_mfma_f32_16x16x16_f16 v[34:37], v[66:67], v[36:37], v[62:65]
	v_cvt_pkrtz_f16_f32 v58, v58, v59
	s_nop 1
	v_cvt_pk_f32_fp8_sdwa v[62:63], v17 src0_sel:WORD_1
	v_mfma_f32_16x16x16_f16 v[14:17], v[14:15], v[38:39], v[34:37]
	s_waitcnt vmcnt(2)
	v_cvt_pk_f32_fp8_e32 v[38:39], v7
	v_cvt_pkrtz_f16_f32 v59, v62, v63
	v_cvt_pk_f32_fp8_e32 v[34:35], v6
	v_cvt_pk_f32_fp8_sdwa v[36:37], v6 src0_sel:WORD_1
	v_cvt_pk_f32_fp8_sdwa v[6:7], v7 src0_sel:WORD_1
	v_mfma_f32_16x16x16_f16 v[14:17], v[58:59], v[40:41], v[14:17]
	v_cvt_pkrtz_f16_f32 v34, v34, v35
	v_cvt_pkrtz_f16_f32 v35, v36, v37
	;; [unrolled: 1-line block ×3, first 2 shown]
	v_cvt_pk_f32_fp8_e32 v[38:39], v8
	v_cvt_pk_f32_fp8_sdwa v[40:41], v8 src0_sel:WORD_1
	v_cvt_pkrtz_f16_f32 v37, v6, v7
	v_mfma_f32_16x16x16_f16 v[14:17], v[34:35], v[18:19], v[14:17]
	v_cvt_pkrtz_f16_f32 v18, v38, v39
	v_cvt_pkrtz_f16_f32 v19, v40, v41
	v_cvt_pk_f32_fp8_e32 v[34:35], v9
	v_cvt_pk_f32_fp8_sdwa v[38:39], v9 src0_sel:WORD_1
	v_mfma_f32_16x16x16_f16 v[6:9], v[36:37], v[20:21], v[14:17]
	s_waitcnt vmcnt(1)
	v_cvt_pk_f32_fp8_e32 v[20:21], v24
	s_nop 0
	v_cvt_pkrtz_f16_f32 v14, v34, v35
	v_cvt_pkrtz_f16_f32 v15, v38, v39
	v_mfma_f32_16x16x16_f16 v[6:9], v[18:19], v[42:43], v[6:9]
	v_cvt_pk_f32_fp8_e32 v[16:17], v22
	v_cvt_pk_f32_fp8_sdwa v[18:19], v22 src0_sel:WORD_1
	v_cvt_pkrtz_f16_f32 v16, v16, v17
	v_mfma_f32_16x16x16_f16 v[6:9], v[14:15], v[44:45], v[6:9]
	v_cvt_pk_f32_fp8_e32 v[14:15], v23
	v_cvt_pkrtz_f16_f32 v17, v18, v19
	v_cvt_pk_f32_fp8_sdwa v[18:19], v23 src0_sel:WORD_1
	v_cvt_pk_f32_fp8_sdwa v[22:23], v24 src0_sel:WORD_1
	v_cvt_pkrtz_f16_f32 v14, v14, v15
	v_mfma_f32_16x16x16_f16 v[6:9], v[16:17], v[2:3], v[6:9]
	v_cvt_pkrtz_f16_f32 v15, v18, v19
	v_cvt_pkrtz_f16_f32 v16, v20, v21
	;; [unrolled: 1-line block ×3, first 2 shown]
	v_cvt_pk_f32_fp8_e32 v[18:19], v25
	v_cvt_pk_f32_fp8_sdwa v[20:21], v25 src0_sel:WORD_1
	v_mfma_f32_16x16x16_f16 v[2:5], v[14:15], v[4:5], v[6:9]
	v_pk_mul_f32 v[14:15], v[26:27], s[4:5] op_sel_hi:[1,0]
	s_nop 0
	v_cvt_f16_f32_e32 v14, v14
	v_cvt_pkrtz_f16_f32 v8, v18, v19
	v_cvt_pkrtz_f16_f32 v9, v20, v21
	v_mfma_f32_16x16x16_f16 v[2:5], v[16:17], v[46:47], v[2:5]
	s_waitcnt vmcnt(0)
	v_cvt_pk_f32_fp8_e32 v[16:17], v10
	v_cvt_pk_f32_fp8_sdwa v[18:19], v10 src0_sel:WORD_1
	v_cvt_pk_f32_fp8_sdwa v[20:21], v12 src0_sel:WORD_1
	v_mfma_f32_16x16x16_f16 v[2:5], v[8:9], v[48:49], v[2:5]
	v_cvt_pk_f32_fp8_e32 v[8:9], v11
	v_cvt_pkrtz_f16_f32 v16, v16, v17
	v_cvt_pkrtz_f16_f32 v17, v18, v19
	v_cvt_pk_f32_fp8_sdwa v[10:11], v11 src0_sel:WORD_1
	v_cvt_pkrtz_f16_f32 v8, v8, v9
	v_cvt_pk_f32_fp8_e32 v[18:19], v12
	v_mfma_f32_16x16x16_f16 v[2:5], v[16:17], v[30:31], v[2:5]
	v_cvt_pkrtz_f16_f32 v9, v10, v11
	v_cvt_pkrtz_f16_f32 v10, v18, v19
	;; [unrolled: 1-line block ×3, first 2 shown]
	v_cvt_pk_f32_fp8_e32 v[16:17], v13
	v_cvt_pk_f32_fp8_sdwa v[12:13], v13 src0_sel:WORD_1
	v_mfma_f32_16x16x16_f16 v[2:5], v[8:9], v[32:33], v[2:5]
	v_pk_mul_f32 v[6:7], v[28:29], s[4:5] op_sel_hi:[1,0]
	v_cvt_pkrtz_f16_f32 v8, v16, v17
	v_cvt_pkrtz_f16_f32 v9, v12, v13
	v_mfma_f32_16x16x16_f16 v[2:5], v[10:11], v[50:51], v[2:5]
	v_cvt_f16_f32_e32 v10, v15
	v_cvt_f16_f32_e32 v6, v6
	;; [unrolled: 1-line block ×3, first 2 shown]
	v_mfma_f32_16x16x16_f16 v[2:5], v[8:9], v[52:53], v[2:5]
	s_nop 6
	v_pk_mul_f32 v[4:5], v[4:5], s[4:5] op_sel_hi:[1,0]
	v_pk_mul_f32 v[2:3], v[2:3], s[4:5] op_sel_hi:[1,0]
	v_cvt_f16_f32_e32 v11, v4
	v_cvt_f16_f32_e32 v8, v2
	;; [unrolled: 1-line block ×4, first 2 shown]
	v_pack_b32_f16 v2, v14, v10
	v_pack_b32_f16 v3, v6, v7
	;; [unrolled: 1-line block ×4, first 2 shown]
	ds_write2st64_b64 v56, v[2:3], v[4:5] offset1:1
	s_waitcnt lgkmcnt(0)
	s_barrier
	s_and_saveexec_b64 s[4:5], vcc
	s_cbranch_execz .LBB1003_17
; %bb.16:
	s_load_dwordx2 s[0:1], s[0:1], 0x68
	s_lshl_b32 s6, s6, 7
	s_mul_i32 s2, s7, s2
	s_mul_hi_u32 s5, s2, s6
	s_mul_i32 s4, s2, s6
	s_lshl_b64 s[4:5], s[4:5], 1
	s_waitcnt lgkmcnt(0)
	s_add_u32 s4, s0, s4
	v_lshlrev_b32_e32 v4, 6, v60
	s_addc_u32 s5, s1, s5
	s_lshl_b32 s2, s33, 7
	v_lshl_or_b32 v0, v0, 10, v4
	s_lshl_b64 s[0:1], s[2:3], 1
	v_lshlrev_b32_e32 v2, 5, v1
	v_and_b32_e32 v3, 16, v61
	v_and_b32_e32 v0, 0x1a00, v0
	s_add_u32 s0, s4, s0
	v_or3_b32 v0, v0, v2, v3
	s_addc_u32 s1, s5, s1
	v_mov_b32_e32 v55, 0
	v_or_b32_e32 v20, s44, v1
	ds_read_b128 v[2:5], v0
	ds_read_b128 v[6:9], v0 offset:128
	ds_read_b128 v[10:13], v0 offset:256
	;; [unrolled: 1-line block ×3, first 2 shown]
	v_lshl_add_u64 v[18:19], s[0:1], 0, v[54:55]
	v_mad_u64_u32 v[0:1], s[0:1], v20, s6, 0
	v_lshl_add_u64 v[0:1], v[0:1], 1, v[18:19]
	s_waitcnt lgkmcnt(3)
	global_store_dwordx4 v[0:1], v[2:5], off
	v_or_b32_e32 v0, 4, v20
	v_mad_u64_u32 v[0:1], s[0:1], v0, s6, 0
	v_lshl_add_u64 v[0:1], v[0:1], 1, v[18:19]
	s_waitcnt lgkmcnt(2)
	global_store_dwordx4 v[0:1], v[6:9], off
	v_or_b32_e32 v0, 8, v20
	;; [unrolled: 5-line block ×3, first 2 shown]
	v_mad_u64_u32 v[0:1], s[0:1], v0, s6, 0
	v_lshl_add_u64 v[0:1], v[0:1], 1, v[18:19]
	s_waitcnt lgkmcnt(0)
	global_store_dwordx4 v[0:1], v[14:17], off
.LBB1003_17:
	s_endpgm
	.section	.rodata,"a",@progbits
	.p2align	6, 0x0
	.amdhsa_kernel _Z39paged_attention_ll4mi_QKV_mfma16_kernelIDF16_hLN4vllm18Fp8KVCacheDataTypeE1EDF16_Li16ELi128ELi256ELb0ELi16EEvPKT_PKT0_S7_ifPKiS9_S9_iPKfiiiPfSC_PS2_PT2_iSB_SB_
		.amdhsa_group_segment_fixed_size 8192
		.amdhsa_private_segment_fixed_size 0
		.amdhsa_kernarg_size 400
		.amdhsa_user_sgpr_count 2
		.amdhsa_user_sgpr_dispatch_ptr 0
		.amdhsa_user_sgpr_queue_ptr 0
		.amdhsa_user_sgpr_kernarg_segment_ptr 1
		.amdhsa_user_sgpr_dispatch_id 0
		.amdhsa_user_sgpr_kernarg_preload_length 0
		.amdhsa_user_sgpr_kernarg_preload_offset 0
		.amdhsa_user_sgpr_private_segment_size 0
		.amdhsa_uses_dynamic_stack 0
		.amdhsa_enable_private_segment 0
		.amdhsa_system_sgpr_workgroup_id_x 1
		.amdhsa_system_sgpr_workgroup_id_y 1
		.amdhsa_system_sgpr_workgroup_id_z 1
		.amdhsa_system_sgpr_workgroup_info 0
		.amdhsa_system_vgpr_workitem_id 0
		.amdhsa_next_free_vgpr 92
		.amdhsa_next_free_sgpr 46
		.amdhsa_accum_offset 92
		.amdhsa_reserve_vcc 1
		.amdhsa_float_round_mode_32 0
		.amdhsa_float_round_mode_16_64 0
		.amdhsa_float_denorm_mode_32 3
		.amdhsa_float_denorm_mode_16_64 3
		.amdhsa_dx10_clamp 1
		.amdhsa_ieee_mode 1
		.amdhsa_fp16_overflow 0
		.amdhsa_tg_split 0
		.amdhsa_exception_fp_ieee_invalid_op 0
		.amdhsa_exception_fp_denorm_src 0
		.amdhsa_exception_fp_ieee_div_zero 0
		.amdhsa_exception_fp_ieee_overflow 0
		.amdhsa_exception_fp_ieee_underflow 0
		.amdhsa_exception_fp_ieee_inexact 0
		.amdhsa_exception_int_div_zero 0
	.end_amdhsa_kernel
	.section	.text._Z39paged_attention_ll4mi_QKV_mfma16_kernelIDF16_hLN4vllm18Fp8KVCacheDataTypeE1EDF16_Li16ELi128ELi256ELb0ELi16EEvPKT_PKT0_S7_ifPKiS9_S9_iPKfiiiPfSC_PS2_PT2_iSB_SB_,"axG",@progbits,_Z39paged_attention_ll4mi_QKV_mfma16_kernelIDF16_hLN4vllm18Fp8KVCacheDataTypeE1EDF16_Li16ELi128ELi256ELb0ELi16EEvPKT_PKT0_S7_ifPKiS9_S9_iPKfiiiPfSC_PS2_PT2_iSB_SB_,comdat
.Lfunc_end1003:
	.size	_Z39paged_attention_ll4mi_QKV_mfma16_kernelIDF16_hLN4vllm18Fp8KVCacheDataTypeE1EDF16_Li16ELi128ELi256ELb0ELi16EEvPKT_PKT0_S7_ifPKiS9_S9_iPKfiiiPfSC_PS2_PT2_iSB_SB_, .Lfunc_end1003-_Z39paged_attention_ll4mi_QKV_mfma16_kernelIDF16_hLN4vllm18Fp8KVCacheDataTypeE1EDF16_Li16ELi128ELi256ELb0ELi16EEvPKT_PKT0_S7_ifPKiS9_S9_iPKfiiiPfSC_PS2_PT2_iSB_SB_
                                        ; -- End function
	.section	.AMDGPU.csdata,"",@progbits
; Kernel info:
; codeLenInByte = 6036
; NumSgprs: 52
; NumVgprs: 92
; NumAgprs: 0
; TotalNumVgprs: 92
; ScratchSize: 0
; MemoryBound: 0
; FloatMode: 240
; IeeeMode: 1
; LDSByteSize: 8192 bytes/workgroup (compile time only)
; SGPRBlocks: 6
; VGPRBlocks: 11
; NumSGPRsForWavesPerEU: 52
; NumVGPRsForWavesPerEU: 92
; AccumOffset: 92
; Occupancy: 5
; WaveLimiterHint : 1
; COMPUTE_PGM_RSRC2:SCRATCH_EN: 0
; COMPUTE_PGM_RSRC2:USER_SGPR: 2
; COMPUTE_PGM_RSRC2:TRAP_HANDLER: 0
; COMPUTE_PGM_RSRC2:TGID_X_EN: 1
; COMPUTE_PGM_RSRC2:TGID_Y_EN: 1
; COMPUTE_PGM_RSRC2:TGID_Z_EN: 1
; COMPUTE_PGM_RSRC2:TIDIG_COMP_CNT: 0
; COMPUTE_PGM_RSRC3_GFX90A:ACCUM_OFFSET: 22
; COMPUTE_PGM_RSRC3_GFX90A:TG_SPLIT: 0
	.section	.text._Z39paged_attention_ll4mi_QKV_mfma16_kernelIDF16_hLN4vllm18Fp8KVCacheDataTypeE1EDF16_Li16ELi128ELi256ELb0ELi1EEvPKT_PKT0_S7_ifPKiS9_S9_iPKfiiiPfSC_PS2_PT2_iSB_SB_,"axG",@progbits,_Z39paged_attention_ll4mi_QKV_mfma16_kernelIDF16_hLN4vllm18Fp8KVCacheDataTypeE1EDF16_Li16ELi128ELi256ELb0ELi1EEvPKT_PKT0_S7_ifPKiS9_S9_iPKfiiiPfSC_PS2_PT2_iSB_SB_,comdat
	.protected	_Z39paged_attention_ll4mi_QKV_mfma16_kernelIDF16_hLN4vllm18Fp8KVCacheDataTypeE1EDF16_Li16ELi128ELi256ELb0ELi1EEvPKT_PKT0_S7_ifPKiS9_S9_iPKfiiiPfSC_PS2_PT2_iSB_SB_ ; -- Begin function _Z39paged_attention_ll4mi_QKV_mfma16_kernelIDF16_hLN4vllm18Fp8KVCacheDataTypeE1EDF16_Li16ELi128ELi256ELb0ELi1EEvPKT_PKT0_S7_ifPKiS9_S9_iPKfiiiPfSC_PS2_PT2_iSB_SB_
	.globl	_Z39paged_attention_ll4mi_QKV_mfma16_kernelIDF16_hLN4vllm18Fp8KVCacheDataTypeE1EDF16_Li16ELi128ELi256ELb0ELi1EEvPKT_PKT0_S7_ifPKiS9_S9_iPKfiiiPfSC_PS2_PT2_iSB_SB_
	.p2align	8
	.type	_Z39paged_attention_ll4mi_QKV_mfma16_kernelIDF16_hLN4vllm18Fp8KVCacheDataTypeE1EDF16_Li16ELi128ELi256ELb0ELi1EEvPKT_PKT0_S7_ifPKiS9_S9_iPKfiiiPfSC_PS2_PT2_iSB_SB_,@function
_Z39paged_attention_ll4mi_QKV_mfma16_kernelIDF16_hLN4vllm18Fp8KVCacheDataTypeE1EDF16_Li16ELi128ELi256ELb0ELi1EEvPKT_PKT0_S7_ifPKiS9_S9_iPKfiiiPfSC_PS2_PT2_iSB_SB_: ; @_Z39paged_attention_ll4mi_QKV_mfma16_kernelIDF16_hLN4vllm18Fp8KVCacheDataTypeE1EDF16_Li16ELi128ELi256ELb0ELi1EEvPKT_PKT0_S7_ifPKiS9_S9_iPKfiiiPfSC_PS2_PT2_iSB_SB_
; %bb.0:
	s_load_dwordx2 s[12:13], s[0:1], 0x30
	s_mov_b32 s5, s3
	s_mov_b64 s[6:7], 0
	s_waitcnt lgkmcnt(0)
	s_cmp_lg_u64 s[12:13], 0
	s_cselect_b64 s[14:15], -1, 0
	s_and_b64 vcc, exec, s[14:15]
	s_cbranch_vccz .LBB1004_7
; %bb.1:
	s_add_i32 s8, s2, 1
	s_mov_b32 s9, 0
	s_lshl_b64 s[10:11], s[8:9], 2
	s_add_u32 s10, s12, s10
	s_mov_b32 s3, s9
	s_addc_u32 s11, s13, s11
	s_lshl_b64 s[8:9], s[2:3], 2
	s_add_u32 s8, s12, s8
	s_addc_u32 s9, s13, s9
	s_load_dword s16, s[10:11], 0x0
	s_load_dword s17, s[8:9], 0x0
	s_waitcnt lgkmcnt(0)
	s_sub_i32 s8, s16, s17
	s_cmp_eq_u32 s8, 1
	s_cselect_b64 s[8:9], -1, 0
	s_andn2_b64 vcc, exec, s[6:7]
	s_cbranch_vccnz .LBB1004_3
.LBB1004_2:
	s_mov_b32 s3, 0
	s_mov_b64 s[8:9], -1
.LBB1004_3:
	s_andn2_b64 vcc, exec, s[8:9]
	s_cbranch_vccnz .LBB1004_17
; %bb.4:
	s_load_dwordx2 s[6:7], s[0:1], 0x28
	s_lshl_b64 s[16:17], s[2:3], 2
	s_waitcnt lgkmcnt(0)
	s_add_u32 s6, s6, s16
	s_addc_u32 s7, s7, s17
	s_load_dword s18, s[6:7], 0x0
	s_lshl_b32 s19, s5, 8
	s_waitcnt lgkmcnt(0)
	s_cmp_ge_i32 s19, s18
	s_cbranch_scc1 .LBB1004_17
; %bb.5:
	s_load_dwordx2 s[6:7], s[0:1], 0x20
	s_load_dword s8, s[0:1], 0x38
	s_add_i32 s9, s18, 15
	s_ashr_i32 s10, s9, 31
	v_and_b32_e32 v1, 0xcf, v0
	s_lshr_b32 s10, s10, 28
	v_add_u32_e32 v1, s19, v1
	s_add_i32 s9, s9, s10
	v_ashrrev_i32_e32 v2, 31, v1
	s_ashr_i32 s20, s9, 4
	v_lshrrev_b32_e32 v10, 28, v2
	s_add_i32 s20, s20, -1
	s_waitcnt lgkmcnt(0)
	s_mul_i32 s8, s2, s8
	s_mov_b32 s9, 0
	v_add_u32_e32 v2, v1, v10
	s_lshl_b64 s[8:9], s[8:9], 2
	v_ashrrev_i32_e32 v2, 4, v2
	v_mov_b32_e32 v11, s20
	v_cmp_gt_i32_e32 vcc, s18, v1
	s_add_u32 s6, s6, s8
	s_addc_u32 s7, s7, s9
	v_cndmask_b32_e32 v2, v11, v2, vcc
	v_ashrrev_i32_e32 v3, 31, v2
	v_lshl_add_u64 v[4:5], v[2:3], 2, s[6:7]
	v_or_b32_e32 v2, 16, v1
	v_add_u32_e32 v3, v2, v10
	v_ashrrev_i32_e32 v3, 4, v3
	v_cmp_gt_i32_e32 vcc, s18, v2
	s_load_dwordx4 s[8:11], s[0:1], 0x8
	s_nop 0
	v_cndmask_b32_e32 v2, v11, v3, vcc
	v_ashrrev_i32_e32 v3, 31, v2
	v_lshl_add_u64 v[6:7], v[2:3], 2, s[6:7]
	v_or_b32_e32 v2, 32, v1
	v_add_u32_e32 v3, v2, v10
	v_ashrrev_i32_e32 v3, 4, v3
	v_cmp_gt_i32_e32 vcc, s18, v2
	v_or_b32_e32 v1, 48, v1
	s_nop 0
	v_cndmask_b32_e32 v2, v11, v3, vcc
	v_ashrrev_i32_e32 v3, 31, v2
	v_lshl_add_u64 v[8:9], v[2:3], 2, s[6:7]
	v_add_u32_e32 v2, v1, v10
	v_ashrrev_i32_e32 v2, 4, v2
	v_cmp_gt_i32_e32 vcc, s18, v1
	s_nop 1
	v_cndmask_b32_e32 v2, v11, v2, vcc
	v_ashrrev_i32_e32 v3, 31, v2
	v_lshl_add_u64 v[10:11], v[2:3], 2, s[6:7]
	global_load_dword v3, v[4:5], off
	global_load_dword v2, v[6:7], off
	;; [unrolled: 1-line block ×4, first 2 shown]
	s_andn2_b64 vcc, exec, s[14:15]
	s_cbranch_vccnz .LBB1004_8
; %bb.6:
	s_add_u32 s12, s12, s16
	s_addc_u32 s13, s13, s17
	s_load_dword s14, s[12:13], 0x0
	s_branch .LBB1004_9
.LBB1004_7:
	s_mov_b64 s[8:9], 0
	s_branch .LBB1004_2
.LBB1004_8:
	s_mov_b32 s14, s2
.LBB1004_9:
	s_load_dwordx4 s[44:47], s[0:1], 0x48
	v_lshrrev_b32_e32 v63, 6, v0
	v_bfe_u32 v60, v0, 4, 2
	v_and_b32_e32 v61, 15, v0
	v_lshl_or_b32 v1, v63, 2, v60
	v_lshlrev_b32_e32 v4, 3, v61
	v_and_b32_e32 v64, 63, v0
	v_cmp_eq_u32_e32 vcc, 0, v1
	v_lshlrev_b32_e32 v1, 1, v4
	v_lshlrev_b32_e32 v62, 4, v0
	s_and_saveexec_b64 s[12:13], vcc
	s_cbranch_execz .LBB1004_11
; %bb.10:
	s_load_dwordx2 s[16:17], s[0:1], 0x0
	s_waitcnt lgkmcnt(0)
	s_ashr_i32 s15, s44, 31
	s_mul_hi_u32 s21, s14, s44
	s_mul_i32 s15, s14, s15
	s_add_i32 s15, s21, s15
	s_mul_i32 s14, s14, s44
	s_lshl_b64 s[14:15], s[14:15], 1
	s_add_u32 s16, s16, s14
	s_addc_u32 s17, s17, s15
	s_lshl_b32 s14, s4, 7
	s_ashr_i32 s15, s14, 31
	s_lshl_b64 s[14:15], s[14:15], 1
	s_add_u32 s14, s16, s14
	s_addc_u32 s15, s17, s15
	global_load_dwordx4 v[4:7], v1, s[14:15]
	v_lshlrev_b32_e32 v8, 8, v0
	v_lshlrev_b32_e32 v9, 8, v61
	v_and_b32_e32 v8, 0x600, v8
	v_and_b32_e32 v9, 0x800, v9
	;; [unrolled: 1-line block ×3, first 2 shown]
	v_or3_b32 v8, v9, v8, v10
	s_waitcnt vmcnt(0)
	ds_write_b128 v8, v[4:7]
.LBB1004_11:
	s_or_b64 exec, exec, s[12:13]
	s_waitcnt lgkmcnt(0)
	s_mul_i32 s12, s4, s46
	s_add_u32 s8, s8, s12
	s_addc_u32 s9, s9, 0
	v_and_b32_e32 v50, 0xf0, v62
	v_mov_b32_e32 v51, 0
	v_and_b32_e32 v32, 48, v0
	v_lshl_add_u64 v[26:27], s[8:9], 0, v[50:51]
	v_lshlrev_b32_e32 v50, 4, v32
	s_waitcnt vmcnt(3)
	v_mad_i64_i32 v[4:5], s[8:9], v3, s45, v[26:27]
	v_lshl_add_u64 v[6:7], v[4:5], 0, v[50:51]
	s_barrier
	global_load_dwordx4 v[38:41], v[6:7], off
	s_waitcnt vmcnt(3)
	v_mad_i64_i32 v[2:3], s[8:9], v2, s45, v[26:27]
	v_lshl_add_u64 v[28:29], v[2:3], 0, v[50:51]
	global_load_dwordx4 v[2:5], v[28:29], off
	global_load_dwordx4 v[10:13], v[6:7], off offset:1024
	v_lshlrev_b32_e32 v6, 9, v60
	s_load_dword s8, s[0:1], 0x1c
	s_load_dwordx4 s[40:43], s[0:1], 0x80
	ds_read_b128 v[22:25], v6
	ds_read_b128 v[18:21], v6 offset:16
	ds_read_b128 v[14:17], v6 offset:2048
	;; [unrolled: 1-line block ×3, first 2 shown]
	global_load_dwordx4 v[46:49], v[28:29], off offset:1024
	v_or_b32_e32 v32, s19, v32
	v_mov_b32_e32 v36, s20
	v_ashrrev_i32_e32 v33, 4, v32
	v_or_b32_e32 v37, 64, v32
	v_cmp_gt_i32_e32 vcc, s18, v32
	v_or_b32_e32 v43, 0x80, v32
	v_or_b32_e32 v44, 0xc0, v32
	v_cndmask_b32_e32 v32, v36, v33, vcc
	v_ashrrev_i32_e32 v42, 4, v37
	v_cmp_gt_i32_e32 vcc, s18, v37
	v_ashrrev_i32_e32 v45, 4, v43
	s_add_u32 s46, s10, s12
	s_waitcnt vmcnt(5)
	v_mad_i64_i32 v[34:35], s[12:13], v30, s45, v[26:27]
	v_cndmask_b32_e32 v42, v36, v42, vcc
	v_cmp_gt_i32_e32 vcc, s18, v43
	v_ashrrev_i32_e32 v52, 4, v44
	s_waitcnt vmcnt(4)
	v_mad_i64_i32 v[26:27], s[12:13], v31, s45, v[26:27]
	v_cndmask_b32_e32 v56, v36, v45, vcc
	v_cmp_gt_i32_e32 vcc, s18, v44
	v_lshl_add_u64 v[28:29], v[34:35], 0, v[50:51]
	v_lshl_add_u64 v[30:31], v[26:27], 0, v[50:51]
	v_cndmask_b32_e32 v52, v36, v52, vcc
	global_load_dwordx4 v[34:37], v[28:29], off
	s_nop 0
	global_load_dwordx4 v[26:29], v[28:29], off offset:1024
	v_ashrrev_i32_e32 v33, 31, v32
	v_lshl_add_u64 v[54:55], v[32:33], 2, s[6:7]
	v_ashrrev_i32_e32 v43, 31, v42
	v_ashrrev_i32_e32 v57, 31, v56
	v_ashrrev_i32_e32 v53, 31, v52
	v_lshl_add_u64 v[58:59], v[42:43], 2, s[6:7]
	global_load_dwordx4 v[42:45], v[30:31], off
	s_nop 0
	global_load_dwordx4 v[30:33], v[30:31], off offset:1024
	v_lshl_add_u64 v[66:67], v[56:57], 2, s[6:7]
	v_lshl_add_u64 v[52:53], v[52:53], 2, s[6:7]
	global_load_dword v56, v[54:55], off
	global_load_dword v57, v[58:59], off
	s_nop 0
	global_load_dword v54, v[66:67], off
	global_load_dword v55, v[52:53], off
	v_lshl_or_b32 v65, v63, 4, v61
	s_addc_u32 s47, s11, 0
	v_lshlrev_b32_e32 v50, 4, v65
	s_mov_b32 s33, 0xff7fffff
	s_waitcnt vmcnt(11)
	v_cvt_pk_f32_fp8_e32 v[52:53], v38
	v_cvt_pk_f32_fp8_sdwa v[58:59], v38 src0_sel:WORD_1
	v_cvt_pk_f32_fp8_e32 v[66:67], v39
	v_cvt_pk_f32_fp8_sdwa v[68:69], v39 src0_sel:WORD_1
	;; [unrolled: 2-line block ×4, first 2 shown]
	s_waitcnt vmcnt(10)
	v_cvt_pk_f32_fp8_e32 v[38:39], v2
	v_cvt_pk_f32_fp8_sdwa v[40:41], v2 src0_sel:WORD_1
	v_cvt_pkrtz_f16_f32 v52, v52, v53
	v_cvt_pkrtz_f16_f32 v53, v58, v59
	v_cvt_pkrtz_f16_f32 v80, v38, v39
	v_cvt_pkrtz_f16_f32 v81, v40, v41
	v_cvt_pk_f32_fp8_e32 v[78:79], v3
	v_cvt_pk_f32_fp8_sdwa v[2:3], v3 src0_sel:WORD_1
	v_cvt_pkrtz_f16_f32 v82, v66, v67
	v_cvt_pkrtz_f16_f32 v83, v68, v69
	s_waitcnt lgkmcnt(0)
	v_mfma_f32_16x16x16_f16 v[38:41], v[52:53], v[22:23], 0
	s_waitcnt vmcnt(9)
	v_cvt_pk_f32_fp8_e32 v[58:59], v10
	v_cvt_pk_f32_fp8_sdwa v[52:53], v10 src0_sel:WORD_1
	v_cvt_pkrtz_f16_f32 v78, v78, v79
	v_mfma_f32_16x16x16_f16 v[66:69], v[80:81], v[22:23], 0
	v_cvt_pk_f32_fp8_e32 v[80:81], v11
	v_cvt_pkrtz_f16_f32 v79, v2, v3
	v_cvt_pk_f32_fp8_sdwa v[2:3], v11 src0_sel:WORD_1
	v_cvt_pkrtz_f16_f32 v10, v70, v71
	v_cvt_pkrtz_f16_f32 v11, v72, v73
	v_mfma_f32_16x16x16_f16 v[38:41], v[82:83], v[24:25], v[38:41]
	v_cvt_pkrtz_f16_f32 v72, v74, v75
	v_cvt_pkrtz_f16_f32 v73, v76, v77
	;; [unrolled: 1-line block ×3, first 2 shown]
	v_mfma_f32_16x16x16_f16 v[38:41], v[10:11], v[18:19], v[38:41]
	v_cvt_pkrtz_f16_f32 v59, v52, v53
	v_cvt_pk_f32_fp8_e32 v[70:71], v12
	v_cvt_pk_f32_fp8_sdwa v[10:11], v12 src0_sel:WORD_1
	v_mfma_f32_16x16x16_f16 v[38:41], v[72:73], v[20:21], v[38:41]
	v_cvt_pkrtz_f16_f32 v72, v80, v81
	v_cvt_pkrtz_f16_f32 v73, v2, v3
	v_cvt_pk_f32_fp8_sdwa v[2:3], v13 src0_sel:WORD_1
	v_mfma_f32_16x16x16_f16 v[38:41], v[58:59], v[14:15], v[38:41]
	v_cvt_pk_f32_fp8_e32 v[52:53], v13
	v_cvt_pkrtz_f16_f32 v58, v70, v71
	v_cvt_pkrtz_f16_f32 v59, v10, v11
	v_mfma_f32_16x16x16_f16 v[10:13], v[72:73], v[16:17], v[38:41]
	s_waitcnt vmcnt(7)
	v_cvt_pk_f32_fp8_sdwa v[72:73], v36 src0_sel:WORD_1
	s_waitcnt vmcnt(5)
	v_cvt_pk_f32_fp8_sdwa v[74:75], v44 src0_sel:WORD_1
	v_cvt_pk_f32_fp8_e32 v[38:39], v4
	v_cvt_pkrtz_f16_f32 v41, v2, v3
	v_cvt_pk_f32_fp8_sdwa v[2:3], v4 src0_sel:WORD_1
	v_cvt_pkrtz_f16_f32 v40, v52, v53
	v_mfma_f32_16x16x16_f16 v[10:13], v[58:59], v[6:7], v[10:13]
	v_cvt_pk_f32_fp8_e32 v[52:53], v5
	v_cvt_pkrtz_f16_f32 v58, v38, v39
	v_cvt_pkrtz_f16_f32 v59, v2, v3
	v_cvt_pk_f32_fp8_sdwa v[2:3], v5 src0_sel:WORD_1
	v_mfma_f32_16x16x16_f16 v[66:69], v[78:79], v[24:25], v[66:69]
	v_mfma_f32_16x16x16_f16 v[38:41], v[40:41], v[8:9], v[10:13]
	s_nop 2
	v_cvt_pkrtz_f16_f32 v10, v52, v53
	v_cvt_pk_f32_fp8_e32 v[12:13], v46
	v_cvt_pk_f32_fp8_sdwa v[52:53], v46 src0_sel:WORD_1
	v_cvt_pkrtz_f16_f32 v11, v2, v3
	v_mfma_f32_16x16x16_f16 v[2:5], v[58:59], v[18:19], v[66:69]
	v_cvt_pkrtz_f16_f32 v12, v12, v13
	v_cvt_pkrtz_f16_f32 v13, v52, v53
	v_cvt_pk_f32_fp8_e32 v[52:53], v47
	v_cvt_pk_f32_fp8_sdwa v[46:47], v47 src0_sel:WORD_1
	v_mfma_f32_16x16x16_f16 v[2:5], v[10:11], v[20:21], v[2:5]
	v_cvt_pk_f32_fp8_sdwa v[66:67], v34 src0_sel:WORD_1
	v_cvt_pkrtz_f16_f32 v10, v52, v53
	v_cvt_pkrtz_f16_f32 v11, v46, v47
	v_mfma_f32_16x16x16_f16 v[2:5], v[12:13], v[14:15], v[2:5]
	v_cvt_pk_f32_fp8_e32 v[12:13], v48
	v_cvt_pk_f32_fp8_sdwa v[46:47], v48 src0_sel:WORD_1
	v_cvt_pkrtz_f16_f32 v71, v66, v67
	v_mfma_f32_16x16x16_f16 v[2:5], v[10:11], v[16:17], v[2:5]
	v_cvt_pkrtz_f16_f32 v10, v12, v13
	v_cvt_pkrtz_f16_f32 v11, v46, v47
	v_cvt_pk_f32_fp8_e32 v[12:13], v49
	v_cvt_pk_f32_fp8_sdwa v[46:47], v49 src0_sel:WORD_1
	v_mfma_f32_16x16x16_f16 v[2:5], v[10:11], v[6:7], v[2:5]
	v_cvt_pk_f32_fp8_e32 v[10:11], v34
	v_cvt_pkrtz_f16_f32 v12, v12, v13
	v_cvt_pkrtz_f16_f32 v13, v46, v47
	v_cvt_pk_f32_fp8_e32 v[66:67], v35
	v_cvt_pkrtz_f16_f32 v70, v10, v11
	v_cvt_pk_f32_fp8_sdwa v[34:35], v35 src0_sel:WORD_1
	v_lshl_add_u64 v[52:53], s[46:47], 0, v[50:51]
	s_waitcnt vmcnt(3)
	v_mad_i64_i32 v[58:59], s[6:7], v56, s45, v[52:53]
	s_waitcnt vmcnt(2)
	v_mad_i64_i32 v[68:69], s[6:7], v57, s45, v[52:53]
	v_mfma_f32_16x16x16_f16 v[46:49], v[12:13], v[8:9], v[2:5]
	global_load_dwordx4 v[10:13], v[58:59], off
	s_nop 1
	global_load_dwordx4 v[2:5], v[68:69], off
	v_cvt_pkrtz_f16_f32 v58, v66, v67
	v_cvt_pkrtz_f16_f32 v59, v34, v35
	v_mfma_f32_16x16x16_f16 v[66:69], v[70:71], v[22:23], 0
	v_cvt_pk_f32_fp8_e32 v[70:71], v36
	s_waitcnt vmcnt(3)
	v_mad_i64_i32 v[34:35], s[6:7], v54, s45, v[52:53]
	v_mfma_f32_16x16x16_f16 v[66:69], v[58:59], v[24:25], v[66:69]
	v_cvt_pkrtz_f16_f32 v58, v70, v71
	v_cvt_pkrtz_f16_f32 v59, v72, v73
	v_cvt_pk_f32_fp8_e32 v[70:71], v37
	v_cvt_pk_f32_fp8_sdwa v[36:37], v37 src0_sel:WORD_1
	v_mfma_f32_16x16x16_f16 v[66:69], v[58:59], v[18:19], v[66:69]
	v_cvt_pkrtz_f16_f32 v70, v70, v71
	v_cvt_pkrtz_f16_f32 v71, v36, v37
	v_cvt_pk_f32_fp8_e32 v[36:37], v26
	v_cvt_pk_f32_fp8_sdwa v[58:59], v26 src0_sel:WORD_1
	v_mfma_f32_16x16x16_f16 v[66:69], v[70:71], v[20:21], v[66:69]
	v_cvt_pk_f32_fp8_e32 v[70:71], v27
	v_cvt_pkrtz_f16_f32 v36, v36, v37
	v_cvt_pkrtz_f16_f32 v37, v58, v59
	v_cvt_pk_f32_fp8_sdwa v[26:27], v27 src0_sel:WORD_1
	v_cvt_pkrtz_f16_f32 v58, v70, v71
	v_cvt_pk_f32_fp8_e32 v[70:71], v28
	v_cvt_pk_f32_fp8_sdwa v[72:73], v28 src0_sel:WORD_1
	v_cvt_pkrtz_f16_f32 v59, v26, v27
	v_mfma_f32_16x16x16_f16 v[66:69], v[36:37], v[14:15], v[66:69]
	s_waitcnt vmcnt(2)
	v_mad_i64_i32 v[52:53], s[6:7], v55, s45, v[52:53]
	s_load_dword s6, s[40:41], 0x0
	v_cvt_pkrtz_f16_f32 v36, v70, v71
	v_cvt_pkrtz_f16_f32 v37, v72, v73
	v_cvt_pk_f32_fp8_e32 v[70:71], v29
	v_cvt_pk_f32_fp8_sdwa v[72:73], v29 src0_sel:WORD_1
	v_mfma_f32_16x16x16_f16 v[26:29], v[58:59], v[16:17], v[66:69]
	v_or_b32_e32 v50, 0x400, v50
	v_cvt_pkrtz_f16_f32 v58, v70, v71
	v_cvt_pkrtz_f16_f32 v59, v72, v73
	v_mov_b32_e32 v66, s8
	v_mfma_f32_16x16x16_f16 v[26:29], v[36:37], v[6:7], v[26:29]
	s_waitcnt lgkmcnt(0)
	v_mul_f32_e32 v70, s6, v66
	v_cvt_pk_f32_fp8_e32 v[36:37], v42
	v_cvt_pk_f32_fp8_sdwa v[66:67], v42 src0_sel:WORD_1
	v_mfma_f32_16x16x16_f16 v[26:29], v[58:59], v[8:9], v[26:29]
	v_cvt_pk_f32_fp8_e32 v[58:59], v43
	v_cvt_pkrtz_f16_f32 v36, v36, v37
	v_cvt_pkrtz_f16_f32 v37, v66, v67
	v_cvt_pk_f32_fp8_sdwa v[42:43], v43 src0_sel:WORD_1
	v_cvt_pkrtz_f16_f32 v58, v58, v59
	v_cvt_pk_f32_fp8_e32 v[72:73], v44
	v_mfma_f32_16x16x16_f16 v[66:69], v[36:37], v[22:23], 0
	v_cvt_pkrtz_f16_f32 v59, v42, v43
	v_cvt_pkrtz_f16_f32 v36, v72, v73
	;; [unrolled: 1-line block ×3, first 2 shown]
	v_cvt_pk_f32_fp8_e32 v[72:73], v45
	v_cvt_pk_f32_fp8_sdwa v[74:75], v45 src0_sel:WORD_1
	v_mfma_f32_16x16x16_f16 v[42:45], v[58:59], v[24:25], v[66:69]
	v_pk_mul_f32 v[22:23], v[70:71], v[40:41] op_sel_hi:[0,1]
	v_cvt_pkrtz_f16_f32 v24, v72, v73
	v_cvt_pkrtz_f16_f32 v25, v74, v75
	v_mfma_f32_16x16x16_f16 v[40:43], v[36:37], v[18:19], v[42:45]
	v_cvt_pk_f32_fp8_sdwa v[58:59], v30 src0_sel:WORD_1
	v_pk_mul_f32 v[18:19], v[70:71], v[38:39] op_sel_hi:[0,1]
	v_pk_mul_f32 v[46:47], v[70:71], v[46:47] op_sel_hi:[0,1]
	v_cvt_pk_f32_fp8_e32 v[44:45], v30
	v_mfma_f32_16x16x16_f16 v[36:39], v[24:25], v[20:21], v[40:43]
	v_cvt_pk_f32_fp8_e32 v[20:21], v31
	v_cvt_pkrtz_f16_f32 v25, v58, v59
	v_cvt_pkrtz_f16_f32 v24, v44, v45
	v_cvt_pk_f32_fp8_sdwa v[30:31], v31 src0_sel:WORD_1
	v_cvt_pkrtz_f16_f32 v20, v20, v21
	v_cvt_pk_f32_fp8_e32 v[40:41], v32
	v_cvt_pk_f32_fp8_sdwa v[42:43], v32 src0_sel:WORD_1
	v_cvt_pkrtz_f16_f32 v21, v30, v31
	v_mfma_f32_16x16x16_f16 v[36:39], v[24:25], v[14:15], v[36:39]
	v_cvt_pkrtz_f16_f32 v24, v40, v41
	v_cvt_pkrtz_f16_f32 v25, v42, v43
	v_cvt_pk_f32_fp8_e32 v[30:31], v33
	v_cvt_pk_f32_fp8_sdwa v[32:33], v33 src0_sel:WORD_1
	v_mfma_f32_16x16x16_f16 v[14:17], v[20:21], v[16:17], v[36:39]
	v_pk_mul_f32 v[44:45], v[70:71], v[48:49] op_sel_hi:[0,1]
	v_cvt_pkrtz_f16_f32 v20, v30, v31
	v_cvt_pkrtz_f16_f32 v21, v32, v33
	v_mfma_f32_16x16x16_f16 v[14:17], v[24:25], v[6:7], v[14:17]
	v_pk_mul_f32 v[42:43], v[70:71], v[26:27] op_sel_hi:[0,1]
	v_pk_mul_f32 v[40:41], v[70:71], v[28:29] op_sel_hi:[0,1]
	global_load_dwordx4 v[30:33], v[34:35], off
	global_load_dwordx4 v[26:29], v[52:53], off
	v_mfma_f32_16x16x16_f16 v[6:9], v[20:21], v[8:9], v[14:17]
	s_nop 6
	v_pk_mul_f32 v[38:39], v[70:71], v[6:7] op_sel_hi:[0,1]
	v_and_b32_e32 v6, 0xc0, v0
	v_add_u32_e32 v6, s19, v6
	v_lshl_or_b32 v6, v60, 2, v6
	v_pk_mul_f32 v[36:37], v[70:71], v[8:9] op_sel_hi:[0,1]
	v_or_b32_e32 v9, 1, v6
	v_mov_b32_e32 v7, 0xff7fffff
	v_cmp_gt_i32_e64 s[36:37], s18, v6
	v_cmp_gt_i32_e64 s[20:21], s18, v9
	v_or_b32_e32 v14, 3, v6
	v_cndmask_b32_e64 v8, v7, v18, s[36:37]
	v_cndmask_b32_e64 v9, v7, v19, s[20:21]
	v_max3_f32 v8, v8, s33, v9
	v_or_b32_e32 v9, 2, v6
	v_cmp_gt_i32_e64 s[26:27], s18, v9
	v_cmp_gt_i32_e64 s[30:31], s18, v14
	s_nop 0
	v_cndmask_b32_e64 v9, v7, v22, s[26:27]
	v_cndmask_b32_e64 v14, v7, v23, s[30:31]
	v_max3_f32 v8, v8, v9, v14
	v_or_b32_e32 v9, 16, v6
	v_or_b32_e32 v14, 17, v6
	v_cmp_gt_i32_e64 s[8:9], s18, v9
	v_cmp_gt_i32_e64 s[14:15], s18, v14
	s_nop 0
	v_cndmask_b32_e64 v9, v7, v46, s[8:9]
	v_cndmask_b32_e64 v14, v7, v47, s[14:15]
	v_max3_f32 v8, v8, v9, v14
	v_or_b32_e32 v9, 18, v6
	;; [unrolled: 8-line block ×5, first 2 shown]
	v_or_b32_e32 v14, 49, v6
	v_cmp_gt_i32_e32 vcc, s18, v9
	v_cmp_gt_i32_e64 s[6:7], s18, v14
	s_nop 0
	v_cndmask_b32_e32 v9, v7, v38, vcc
	v_cndmask_b32_e64 v14, v7, v39, s[6:7]
	v_max3_f32 v8, v8, v9, v14
	v_or_b32_e32 v9, 50, v6
	v_or_b32_e32 v6, 51, v6
	v_cmp_gt_i32_e64 s[12:13], s18, v9
	v_cmp_gt_i32_e64 s[18:19], s18, v6
	v_lshl_add_u64 v[14:15], s[46:47], 0, v[50:51]
	v_cndmask_b32_e64 v9, v7, v36, s[12:13]
	v_cndmask_b32_e64 v6, v7, v37, s[18:19]
	v_mbcnt_lo_u32_b32 v7, -1, 0
	v_mbcnt_hi_u32_b32 v7, -1, v7
	v_max3_f32 v6, v8, v9, v6
	v_and_b32_e32 v8, 64, v7
	v_add_u32_e32 v8, 64, v8
	v_xor_b32_e32 v9, 32, v7
	v_cmp_lt_i32_e64 s[38:39], v9, v8
	s_nop 1
	v_cndmask_b32_e64 v9, v7, v9, s[38:39]
	v_lshlrev_b32_e32 v58, 2, v9
	ds_bpermute_b32 v9, v58, v6
	s_waitcnt lgkmcnt(0)
	v_max_f32_e32 v9, v9, v9
	v_max_f32_e32 v16, v6, v9
	v_xor_b32_e32 v6, 16, v7
	v_cmp_lt_i32_e64 s[38:39], v6, v8
	s_nop 1
	v_cndmask_b32_e64 v6, v7, v6, s[38:39]
	v_lshlrev_b32_e32 v53, 2, v6
	ds_bpermute_b32 v17, v53, v16
	v_mad_i64_i32 v[6:7], s[38:39], v56, s45, v[14:15]
	v_mad_i64_i32 v[8:9], s[38:39], v57, s45, v[14:15]
	s_waitcnt lgkmcnt(0)
	v_max_f32_e32 v17, v17, v17
	v_max_f32_e32 v50, v16, v17
	v_sub_f32_e32 v16, v18, v50
	v_mul_f32_e32 v16, 0x3fb8aa3b, v16
	v_exp_f32_e32 v16, v16
	v_sub_f32_e32 v17, v19, v50
	v_mul_f32_e32 v17, 0x3fb8aa3b, v17
	v_exp_f32_e32 v35, v17
	v_cndmask_b32_e64 v34, 0, v16, s[36:37]
	v_sub_f32_e32 v16, v22, v50
	v_mul_f32_e32 v16, 0x3fb8aa3b, v16
	v_exp_f32_e32 v48, v16
	v_sub_f32_e32 v16, v23, v50
	v_mul_f32_e32 v16, 0x3fb8aa3b, v16
	v_exp_f32_e32 v49, v16
	v_mad_i64_i32 v[16:17], s[36:37], v54, s45, v[14:15]
	v_mad_i64_i32 v[14:15], s[36:37], v55, s45, v[14:15]
	global_load_dwordx4 v[18:21], v[6:7], off
	s_nop 0
	global_load_dwordx4 v[6:9], v[8:9], off
	s_nop 0
	;; [unrolled: 2-line block ×3, first 2 shown]
	global_load_dwordx4 v[14:17], v[14:15], off
	v_sub_f32_e32 v46, v46, v50
	v_sub_f32_e32 v44, v44, v50
	v_mul_f32_e32 v46, 0x3fb8aa3b, v46
	v_mul_f32_e32 v44, 0x3fb8aa3b, v44
	v_exp_f32_e32 v46, v46
	v_exp_f32_e32 v52, v44
	v_sub_f32_e32 v47, v47, v50
	v_sub_f32_e32 v44, v45, v50
	;; [unrolled: 1-line block ×4, first 2 shown]
	v_mul_f32_e32 v47, 0x3fb8aa3b, v47
	v_mul_f32_e32 v44, 0x3fb8aa3b, v44
	;; [unrolled: 1-line block ×4, first 2 shown]
	v_exp_f32_e32 v47, v47
	v_exp_f32_e32 v54, v44
	v_cndmask_b32_e64 v44, 0, v46, s[8:9]
	v_cndmask_b32_e64 v46, 0, v52, s[22:23]
	v_exp_f32_e32 v42, v42
	v_exp_f32_e32 v52, v40
	v_sub_f32_e32 v43, v43, v50
	v_sub_f32_e32 v40, v41, v50
	;; [unrolled: 1-line block ×4, first 2 shown]
	v_mul_f32_e32 v43, 0x3fb8aa3b, v43
	v_mul_f32_e32 v40, 0x3fb8aa3b, v40
	;; [unrolled: 1-line block ×4, first 2 shown]
	v_cndmask_b32_e64 v45, 0, v47, s[14:15]
	v_cndmask_b32_e64 v47, 0, v54, s[28:29]
	v_exp_f32_e32 v43, v43
	v_exp_f32_e32 v54, v40
	v_cndmask_b32_e64 v40, 0, v42, s[34:35]
	v_cndmask_b32_e64 v42, 0, v52, s[16:17]
	v_exp_f32_e32 v38, v38
	v_exp_f32_e32 v52, v36
	v_sub_f32_e32 v36, v37, v50
	v_mul_f32_e32 v36, 0x3fb8aa3b, v36
	v_cndmask_b32_e64 v35, 0, v35, s[20:21]
	v_cndmask_b32_e64 v41, 0, v43, s[10:11]
	;; [unrolled: 1-line block ×3, first 2 shown]
	v_exp_f32_e32 v54, v36
	v_cndmask_b32_e32 v36, 0, v38, vcc
	v_cndmask_b32_e64 v38, 0, v52, s[12:13]
	v_add_f32_e32 v52, 0, v34
	v_cndmask_b32_e64 v48, 0, v48, s[26:27]
	v_add_f32_e32 v52, v52, v35
	;; [unrolled: 2-line block ×3, first 2 shown]
	v_add_f32_e32 v52, v52, v49
	v_add_f32_e32 v52, v52, v44
	;; [unrolled: 1-line block ×3, first 2 shown]
	v_sub_f32_e32 v39, v39, v50
	v_add_f32_e32 v52, v52, v46
	v_mul_f32_e32 v39, 0x3fb8aa3b, v39
	v_add_f32_e32 v52, v52, v47
	v_exp_f32_e32 v39, v39
	v_add_f32_e32 v52, v52, v40
	v_add_f32_e32 v52, v52, v41
	;; [unrolled: 1-line block ×4, first 2 shown]
	v_cndmask_b32_e64 v37, 0, v39, s[6:7]
	v_add_f32_e32 v52, v52, v36
	v_add_f32_e32 v52, v52, v37
	v_cndmask_b32_e64 v39, 0, v54, s[18:19]
	v_add_f32_e32 v52, v52, v38
	v_add_f32_e32 v52, v52, v39
	ds_bpermute_b32 v54, v58, v52
	v_cmp_lt_u32_e64 s[6:7], 15, v64
	v_cmp_gt_u32_e32 vcc, 16, v64
	s_waitcnt lgkmcnt(0)
	s_barrier
	v_add_f32_e32 v52, v52, v54
	ds_bpermute_b32 v53, v53, v52
	s_waitcnt lgkmcnt(0)
	s_and_saveexec_b64 s[8:9], vcc
	s_cbranch_execz .LBB1004_13
; %bb.12:
	v_add_f32_e32 v52, v52, v53
	v_lshlrev_b32_e32 v53, 2, v65
	ds_write2st64_b32 v53, v50, v52 offset1:1
.LBB1004_13:
	s_or_b64 exec, exec, s[8:9]
	v_lshlrev_b32_e32 v58, 2, v61
	s_load_dwordx2 s[8:9], s[0:1], 0x94
	s_waitcnt lgkmcnt(0)
	s_barrier
	ds_read2_b32 v[52:53], v58 offset1:16
	ds_read2_b32 v[54:55], v58 offset0:32 offset1:48
	ds_read2_b32 v[56:57], v58 offset0:64 offset1:80
	;; [unrolled: 1-line block ×3, first 2 shown]
	s_waitcnt lgkmcnt(0)
	v_max3_f32 v50, v52, s33, v53
	v_max3_f32 v50, v50, v54, v55
	v_sub_f32_e32 v52, v52, v50
	v_mul_f32_e32 v52, 0x3fb8aa3b, v52
	v_exp_f32_e32 v64, v52
	v_sub_f32_e32 v52, v53, v50
	v_mul_f32_e32 v52, 0x3fb8aa3b, v52
	v_exp_f32_e32 v53, v52
	;; [unrolled: 3-line block ×4, first 2 shown]
	v_fma_f32 v52, v64, v56, 0
	v_fmac_f32_e32 v52, v53, v57
	v_fmac_f32_e32 v52, v54, v58
	;; [unrolled: 1-line block ×3, first 2 shown]
	v_add_f32_e32 v56, 0x358637bd, v52
	v_div_scale_f32 v57, s[10:11], v56, v56, 1.0
	v_rcp_f32_e32 v58, v57
	s_barrier
	v_fma_f32 v59, -v57, v58, 1.0
	v_fmac_f32_e32 v58, v59, v58
	v_div_scale_f32 v59, vcc, 1.0, v56, 1.0
	v_mul_f32_e32 v65, v59, v58
	v_fma_f32 v66, -v57, v65, v59
	v_fmac_f32_e32 v65, v66, v58
	v_fma_f32 v57, -v57, v65, v59
	v_div_fmas_f32 v57, v57, v58, v65
	v_cmp_eq_u32_e32 vcc, 1, v63
	v_div_fixup_f32 v56, v57, v56, 1.0
	s_nop 0
	v_cndmask_b32_e32 v53, v64, v53, vcc
	v_cmp_eq_u32_e32 vcc, 2, v63
	s_nop 1
	v_cndmask_b32_e32 v53, v53, v54, vcc
	v_cmp_eq_u32_e32 vcc, 3, v63
	s_nop 1
	v_cndmask_b32_e32 v53, v53, v55, vcc
	v_mul_f32_e32 v56, v53, v56
	v_pk_mul_f32 v[48:49], v[56:57], v[48:49] op_sel_hi:[0,1]
	v_pk_mul_f32 v[34:35], v[56:57], v[34:35] op_sel_hi:[0,1]
	v_cvt_f16_f32_e32 v34, v34
	v_cvt_f16_f32_e32 v35, v35
	;; [unrolled: 1-line block ×4, first 2 shown]
	v_pk_mul_f32 v[46:47], v[56:57], v[46:47] op_sel_hi:[0,1]
	v_pk_mul_f32 v[44:45], v[56:57], v[44:45] op_sel_hi:[0,1]
	v_cvt_f16_f32_e32 v44, v44
	v_cvt_f16_f32_e32 v45, v45
	;; [unrolled: 1-line block ×4, first 2 shown]
	v_pack_b32_f16 v48, v34, v35
	v_pack_b32_f16 v49, v53, v49
	v_lshlrev_b32_e32 v35, 3, v60
	v_lshlrev_b32_e32 v34, 5, v61
	;; [unrolled: 1-line block ×3, first 2 shown]
	v_or3_b32 v54, v53, v34, v35
	v_pack_b32_f16 v44, v44, v45
	v_pack_b32_f16 v45, v46, v47
	v_pk_mul_f32 v[42:43], v[56:57], v[42:43] op_sel_hi:[0,1]
	v_pk_mul_f32 v[40:41], v[56:57], v[40:41] op_sel_hi:[0,1]
	;; [unrolled: 1-line block ×4, first 2 shown]
	ds_write2st64_b64 v54, v[48:49], v[44:45] offset1:1
	v_cvt_f16_f32_e32 v35, v40
	v_cvt_f16_f32_e32 v40, v41
	v_cvt_f16_f32_e32 v41, v42
	v_cvt_f16_f32_e32 v42, v43
	v_cvt_f16_f32_e32 v43, v36
	v_cvt_f16_f32_e32 v44, v37
	v_cvt_f16_f32_e32 v45, v38
	v_cvt_f16_f32_e32 v39, v39
	v_pack_b32_f16 v36, v35, v40
	v_pack_b32_f16 v37, v41, v42
	;; [unrolled: 1-line block ×4, first 2 shown]
	v_cmp_eq_u32_e32 vcc, 0, v0
	ds_write2st64_b64 v54, v[36:37], v[38:39] offset0:2 offset1:3
	s_and_saveexec_b64 s[10:11], vcc
	s_cbranch_execz .LBB1004_15
; %bb.14:
	s_mul_i32 s3, s3, s9
	s_mul_hi_u32 s16, s2, s9
	s_add_i32 s16, s16, s3
	s_mul_i32 s3, s2, s9
	s_add_u32 s3, s3, s4
	s_addc_u32 s16, s16, 0
	s_load_dwordx4 s[12:15], s[0:1], 0x58
	s_mul_i32 s16, s16, s8
	s_mul_hi_u32 s17, s3, s8
	s_add_i32 s17, s17, s16
	s_mul_i32 s3, s3, s8
	s_add_u32 s16, s3, s5
	s_addc_u32 s17, s17, 0
	s_lshl_b64 s[16:17], s[16:17], 2
	s_waitcnt lgkmcnt(0)
	s_add_u32 s14, s14, s16
	s_addc_u32 s15, s15, s17
	s_add_u32 s12, s12, s16
	s_addc_u32 s13, s13, s17
	global_store_dword v51, v50, s[14:15]
	global_store_dword v51, v52, s[12:13]
.LBB1004_15:
	s_or_b64 exec, exec, s[10:11]
	s_waitcnt vmcnt(7)
	v_cvt_pk_f32_fp8_e32 v[36:37], v10
	v_lshl_or_b32 v50, v60, 9, v34
	v_cvt_pk_f32_fp8_sdwa v[34:35], v10 src0_sel:WORD_1
	s_waitcnt lgkmcnt(0)
	s_barrier
	v_cvt_pk_f32_fp8_e32 v[38:39], v11
	v_cvt_pkrtz_f16_f32 v10, v36, v37
	v_cvt_pk_f32_fp8_sdwa v[40:41], v11 src0_sel:WORD_1
	v_cvt_pkrtz_f16_f32 v11, v34, v35
	ds_read_b128 v[34:37], v50
	v_cvt_pkrtz_f16_f32 v46, v38, v39
	v_cvt_pkrtz_f16_f32 v47, v40, v41
	ds_read_b128 v[38:41], v50 offset:16
	v_cvt_pk_f32_fp8_e32 v[48:49], v12
	v_cvt_pk_f32_fp8_sdwa v[52:53], v12 src0_sel:WORD_1
	s_waitcnt lgkmcnt(1)
	v_mfma_f32_16x16x16_f16 v[42:45], v[10:11], v[34:35], 0
	s_waitcnt vmcnt(6)
	v_cvt_pk_f32_fp8_e32 v[56:57], v4
	v_cvt_pkrtz_f16_f32 v10, v48, v49
	v_cvt_pkrtz_f16_f32 v11, v52, v53
	v_cvt_pk_f32_fp8_e32 v[48:49], v13
	v_mfma_f32_16x16x16_f16 v[42:45], v[46:47], v[36:37], v[42:45]
	v_cvt_pk_f32_fp8_sdwa v[46:47], v13 src0_sel:WORD_1
	v_cvt_pk_f32_fp8_sdwa v[58:59], v4 src0_sel:WORD_1
	v_cvt_pkrtz_f16_f32 v48, v48, v49
	s_waitcnt lgkmcnt(0)
	v_mfma_f32_16x16x16_f16 v[10:13], v[10:11], v[38:39], v[42:45]
	v_cvt_pkrtz_f16_f32 v49, v46, v47
	s_waitcnt vmcnt(5)
	v_cvt_pk_f32_fp8_e32 v[64:65], v32
	v_cvt_pk_f32_fp8_sdwa v[66:67], v32 src0_sel:WORD_1
	v_cvt_pk_f32_fp8_e32 v[42:43], v2
	v_mfma_f32_16x16x16_f16 v[46:49], v[48:49], v[40:41], v[10:13]
	s_waitcnt vmcnt(4)
	v_cvt_pk_f32_fp8_sdwa v[68:69], v28 src0_sel:WORD_1
	s_load_dword s10, s[42:43], 0x0
	v_cvt_pk_f32_fp8_sdwa v[10:11], v2 src0_sel:WORD_1
	v_cvt_pk_f32_fp8_e32 v[12:13], v3
	v_cvt_pkrtz_f16_f32 v2, v42, v43
	v_cvt_pk_f32_fp8_sdwa v[42:43], v3 src0_sel:WORD_1
	v_cvt_pkrtz_f16_f32 v3, v10, v11
	v_cvt_pkrtz_f16_f32 v52, v12, v13
	ds_read_b128 v[10:13], v50 offset:2048
	v_cvt_pkrtz_f16_f32 v53, v42, v43
	ds_read_b128 v[42:45], v50 offset:2064
	s_waitcnt lgkmcnt(0)
	v_mfma_f32_16x16x16_f16 v[46:49], v[2:3], v[10:11], v[46:49]
	v_cvt_pkrtz_f16_f32 v2, v56, v57
	v_cvt_pkrtz_f16_f32 v3, v58, v59
	v_cvt_pk_f32_fp8_e32 v[56:57], v5
	v_mfma_f32_16x16x16_f16 v[46:49], v[52:53], v[12:13], v[46:49]
	v_cvt_pk_f32_fp8_sdwa v[52:53], v5 src0_sel:WORD_1
	v_cmp_gt_u32_e32 vcc, 64, v0
	v_cvt_pkrtz_f16_f32 v56, v56, v57
	v_mfma_f32_16x16x16_f16 v[2:5], v[2:3], v[42:43], v[46:49]
	v_cvt_pkrtz_f16_f32 v57, v52, v53
	s_xor_b64 s[6:7], s[6:7], -1
	s_mov_b32 s3, 0
	v_cvt_pk_f32_fp8_e32 v[46:47], v30
	v_mfma_f32_16x16x16_f16 v[56:59], v[56:57], v[44:45], v[2:5]
	s_and_b64 s[6:7], vcc, s[6:7]
	s_nop 1
	v_cvt_pk_f32_fp8_sdwa v[2:3], v30 src0_sel:WORD_1
	v_cvt_pk_f32_fp8_e32 v[4:5], v31
	v_cvt_pkrtz_f16_f32 v30, v46, v47
	v_cvt_pk_f32_fp8_sdwa v[46:47], v31 src0_sel:WORD_1
	v_cvt_pkrtz_f16_f32 v31, v2, v3
	v_cvt_pkrtz_f16_f32 v52, v4, v5
	ds_read_b128 v[2:5], v50 offset:4096
	v_cvt_pkrtz_f16_f32 v53, v46, v47
	ds_read_b128 v[46:49], v50 offset:4112
	s_waitcnt lgkmcnt(1)
	v_mfma_f32_16x16x16_f16 v[56:59], v[30:31], v[2:3], v[56:59]
	v_cvt_pkrtz_f16_f32 v30, v64, v65
	v_cvt_pkrtz_f16_f32 v31, v66, v67
	v_cvt_pk_f32_fp8_e32 v[64:65], v33
	v_mfma_f32_16x16x16_f16 v[56:59], v[52:53], v[4:5], v[56:59]
	v_cvt_pk_f32_fp8_sdwa v[52:53], v33 src0_sel:WORD_1
	v_cvt_pk_f32_fp8_e32 v[66:67], v28
	v_cvt_pkrtz_f16_f32 v64, v64, v65
	s_waitcnt lgkmcnt(0)
	v_mfma_f32_16x16x16_f16 v[30:33], v[30:31], v[46:47], v[56:59]
	v_cvt_pkrtz_f16_f32 v65, v52, v53
	v_cvt_pk_f32_fp8_e32 v[52:53], v26
	s_nop 0
	v_mfma_f32_16x16x16_f16 v[56:59], v[64:65], v[48:49], v[30:33]
	s_nop 2
	v_cvt_pk_f32_fp8_sdwa v[30:31], v26 src0_sel:WORD_1
	v_cvt_pk_f32_fp8_e32 v[32:33], v27
	v_cvt_pkrtz_f16_f32 v26, v52, v53
	v_cvt_pk_f32_fp8_sdwa v[52:53], v27 src0_sel:WORD_1
	v_cvt_pkrtz_f16_f32 v27, v30, v31
	v_cvt_pkrtz_f16_f32 v64, v32, v33
	ds_read_b128 v[30:33], v50 offset:6144
	v_cvt_pkrtz_f16_f32 v65, v52, v53
	s_waitcnt lgkmcnt(0)
	v_mfma_f32_16x16x16_f16 v[56:59], v[26:27], v[30:31], v[56:59]
	ds_read_b128 v[50:53], v50 offset:6160
	v_cvt_pkrtz_f16_f32 v26, v66, v67
	v_cvt_pkrtz_f16_f32 v27, v68, v69
	v_mfma_f32_16x16x16_f16 v[56:59], v[64:65], v[32:33], v[56:59]
	v_cvt_pk_f32_fp8_e32 v[66:67], v29
	v_cvt_pk_f32_fp8_sdwa v[64:65], v29 src0_sel:WORD_1
	s_waitcnt vmcnt(3)
	v_cvt_pk_f32_fp8_sdwa v[68:69], v20 src0_sel:WORD_1
	s_waitcnt lgkmcnt(0)
	v_mfma_f32_16x16x16_f16 v[26:29], v[26:27], v[50:51], v[56:59]
	v_cvt_pkrtz_f16_f32 v66, v66, v67
	v_cvt_pkrtz_f16_f32 v67, v64, v65
	v_cvt_pk_f32_fp8_e32 v[64:65], v19
	v_cvt_pk_f32_fp8_e32 v[56:57], v18
	v_cvt_pk_f32_fp8_sdwa v[58:59], v18 src0_sel:WORD_1
	v_cvt_pk_f32_fp8_sdwa v[18:19], v19 src0_sel:WORD_1
	v_mfma_f32_16x16x16_f16 v[26:29], v[66:67], v[52:53], v[26:29]
	v_cvt_pkrtz_f16_f32 v56, v56, v57
	v_cvt_pkrtz_f16_f32 v57, v58, v59
	;; [unrolled: 1-line block ×3, first 2 shown]
	v_cvt_pk_f32_fp8_e32 v[66:67], v20
	v_cvt_pkrtz_f16_f32 v65, v18, v19
	v_mfma_f32_16x16x16_f16 v[56:59], v[56:57], v[34:35], 0
	v_cvt_pkrtz_f16_f32 v18, v66, v67
	v_cvt_pkrtz_f16_f32 v19, v68, v69
	v_cvt_pk_f32_fp8_e32 v[66:67], v21
	v_mfma_f32_16x16x16_f16 v[34:37], v[64:65], v[36:37], v[56:59]
	s_barrier
	s_nop 1
	v_cvt_pk_f32_fp8_sdwa v[56:57], v21 src0_sel:WORD_1
	v_cvt_pkrtz_f16_f32 v58, v66, v67
	v_mfma_f32_16x16x16_f16 v[18:21], v[18:19], v[38:39], v[34:37]
	s_waitcnt vmcnt(2)
	v_cvt_pk_f32_fp8_e32 v[38:39], v7
	v_cvt_pkrtz_f16_f32 v59, v56, v57
	v_cvt_pk_f32_fp8_e32 v[34:35], v6
	v_cvt_pk_f32_fp8_sdwa v[36:37], v6 src0_sel:WORD_1
	v_cvt_pk_f32_fp8_sdwa v[6:7], v7 src0_sel:WORD_1
	v_mfma_f32_16x16x16_f16 v[18:21], v[58:59], v[40:41], v[18:21]
	v_cvt_pkrtz_f16_f32 v34, v34, v35
	v_cvt_pkrtz_f16_f32 v35, v36, v37
	;; [unrolled: 1-line block ×3, first 2 shown]
	v_cvt_pk_f32_fp8_e32 v[38:39], v8
	v_cvt_pk_f32_fp8_sdwa v[40:41], v8 src0_sel:WORD_1
	v_cvt_pkrtz_f16_f32 v37, v6, v7
	v_mfma_f32_16x16x16_f16 v[18:21], v[34:35], v[10:11], v[18:21]
	v_cvt_pkrtz_f16_f32 v10, v38, v39
	v_cvt_pkrtz_f16_f32 v11, v40, v41
	v_cvt_pk_f32_fp8_e32 v[34:35], v9
	v_cvt_pk_f32_fp8_sdwa v[38:39], v9 src0_sel:WORD_1
	v_mfma_f32_16x16x16_f16 v[6:9], v[36:37], v[12:13], v[18:21]
	v_cvt_pkrtz_f16_f32 v12, v34, v35
	v_cvt_pkrtz_f16_f32 v13, v38, v39
	v_mfma_f32_16x16x16_f16 v[6:9], v[10:11], v[42:43], v[6:9]
	s_waitcnt vmcnt(1)
	v_cvt_pk_f32_fp8_e32 v[10:11], v22
	v_cvt_pk_f32_fp8_sdwa v[18:19], v22 src0_sel:WORD_1
	v_cvt_pk_f32_fp8_e32 v[20:21], v24
	v_mfma_f32_16x16x16_f16 v[6:9], v[12:13], v[44:45], v[6:9]
	v_cvt_pk_f32_fp8_e32 v[12:13], v23
	v_cvt_pkrtz_f16_f32 v10, v10, v11
	v_cvt_pkrtz_f16_f32 v11, v18, v19
	v_cvt_pk_f32_fp8_sdwa v[18:19], v23 src0_sel:WORD_1
	v_cvt_pkrtz_f16_f32 v12, v12, v13
	v_cvt_pk_f32_fp8_sdwa v[22:23], v24 src0_sel:WORD_1
	v_mfma_f32_16x16x16_f16 v[6:9], v[10:11], v[2:3], v[6:9]
	v_cvt_pkrtz_f16_f32 v13, v18, v19
	v_cvt_pkrtz_f16_f32 v10, v20, v21
	;; [unrolled: 1-line block ×3, first 2 shown]
	v_cvt_pk_f32_fp8_e32 v[18:19], v25
	v_cvt_pk_f32_fp8_sdwa v[20:21], v25 src0_sel:WORD_1
	v_mfma_f32_16x16x16_f16 v[2:5], v[12:13], v[4:5], v[6:9]
	s_waitcnt vmcnt(0)
	v_cvt_pk_f32_fp8_e32 v[12:13], v14
	v_cvt_pkrtz_f16_f32 v12, v12, v13
	v_cvt_pkrtz_f16_f32 v8, v18, v19
	;; [unrolled: 1-line block ×3, first 2 shown]
	v_mfma_f32_16x16x16_f16 v[2:5], v[10:11], v[46:47], v[2:5]
	v_cvt_pk_f32_fp8_sdwa v[18:19], v14 src0_sel:WORD_1
	v_cvt_pk_f32_fp8_sdwa v[20:21], v16 src0_sel:WORD_1
	v_pk_mul_f32 v[6:7], v[28:29], s[10:11] op_sel_hi:[1,0]
	v_mfma_f32_16x16x16_f16 v[2:5], v[8:9], v[48:49], v[2:5]
	v_cvt_pk_f32_fp8_e32 v[8:9], v15
	v_cvt_pkrtz_f16_f32 v13, v18, v19
	v_cvt_pk_f32_fp8_sdwa v[14:15], v15 src0_sel:WORD_1
	v_cvt_pk_f32_fp8_e32 v[18:19], v16
	v_cvt_pkrtz_f16_f32 v8, v8, v9
	v_mfma_f32_16x16x16_f16 v[2:5], v[12:13], v[30:31], v[2:5]
	v_cvt_pkrtz_f16_f32 v9, v14, v15
	v_cvt_pkrtz_f16_f32 v12, v18, v19
	;; [unrolled: 1-line block ×3, first 2 shown]
	v_cvt_pk_f32_fp8_e32 v[14:15], v17
	v_cvt_pk_f32_fp8_sdwa v[16:17], v17 src0_sel:WORD_1
	v_mfma_f32_16x16x16_f16 v[2:5], v[8:9], v[32:33], v[2:5]
	v_pk_mul_f32 v[10:11], v[26:27], s[10:11] op_sel_hi:[1,0]
	v_cvt_pkrtz_f16_f32 v8, v14, v15
	v_cvt_pkrtz_f16_f32 v9, v16, v17
	v_mfma_f32_16x16x16_f16 v[2:5], v[12:13], v[50:51], v[2:5]
	v_cvt_f16_f32_e32 v10, v10
	v_cvt_f16_f32_e32 v11, v11
	;; [unrolled: 1-line block ×3, first 2 shown]
	v_mfma_f32_16x16x16_f16 v[2:5], v[8:9], v[52:53], v[2:5]
	v_cvt_f16_f32_e32 v7, v7
	s_nop 5
	v_pk_mul_f32 v[4:5], v[4:5], s[10:11] op_sel_hi:[1,0]
	v_pk_mul_f32 v[2:3], v[2:3], s[10:11] op_sel_hi:[1,0]
	v_cvt_f16_f32_e32 v12, v4
	v_cvt_f16_f32_e32 v8, v2
	;; [unrolled: 1-line block ×4, first 2 shown]
	v_pack_b32_f16 v2, v10, v11
	v_pack_b32_f16 v3, v6, v7
	v_pack_b32_f16 v4, v8, v9
	v_pack_b32_f16 v5, v12, v5
	ds_write2st64_b64 v54, v[2:3], v[4:5] offset1:1
	s_waitcnt lgkmcnt(0)
	s_barrier
	s_and_saveexec_b64 s[10:11], s[6:7]
	s_cbranch_execz .LBB1004_17
; %bb.16:
	s_load_dwordx2 s[0:1], s[0:1], 0x68
	s_mul_i32 s2, s9, s2
	s_lshl_b32 s8, s8, 7
	s_mul_hi_u32 s7, s2, s8
	s_mul_i32 s6, s2, s8
	v_lshlrev_b32_e32 v4, 6, v61
	s_lshl_b64 s[6:7], s[6:7], 1
	v_lshl_or_b32 v0, v0, 10, v4
	s_waitcnt lgkmcnt(0)
	s_add_u32 s6, s0, s6
	v_lshlrev_b32_e32 v2, 5, v60
	v_and_b32_e32 v3, 16, v62
	v_and_b32_e32 v0, 0x1a00, v0
	s_addc_u32 s7, s1, s7
	s_lshl_b32 s2, s5, 7
	v_or3_b32 v0, v0, v2, v3
	s_lshl_b64 s[0:1], s[2:3], 1
	ds_read_b128 v[2:5], v0
	s_add_u32 s2, s6, s0
	s_addc_u32 s3, s7, s1
	s_mul_hi_u32 s1, s8, s4
	s_mul_i32 s0, s8, s4
	s_lshl_b64 s[0:1], s[0:1], 1
	s_add_u32 s0, s2, s0
	s_addc_u32 s1, s3, s1
	s_waitcnt lgkmcnt(0)
	global_store_dwordx4 v1, v[2:5], s[0:1]
.LBB1004_17:
	s_endpgm
	.section	.rodata,"a",@progbits
	.p2align	6, 0x0
	.amdhsa_kernel _Z39paged_attention_ll4mi_QKV_mfma16_kernelIDF16_hLN4vllm18Fp8KVCacheDataTypeE1EDF16_Li16ELi128ELi256ELb0ELi1EEvPKT_PKT0_S7_ifPKiS9_S9_iPKfiiiPfSC_PS2_PT2_iSB_SB_
		.amdhsa_group_segment_fixed_size 8192
		.amdhsa_private_segment_fixed_size 0
		.amdhsa_kernarg_size 400
		.amdhsa_user_sgpr_count 2
		.amdhsa_user_sgpr_dispatch_ptr 0
		.amdhsa_user_sgpr_queue_ptr 0
		.amdhsa_user_sgpr_kernarg_segment_ptr 1
		.amdhsa_user_sgpr_dispatch_id 0
		.amdhsa_user_sgpr_kernarg_preload_length 0
		.amdhsa_user_sgpr_kernarg_preload_offset 0
		.amdhsa_user_sgpr_private_segment_size 0
		.amdhsa_uses_dynamic_stack 0
		.amdhsa_enable_private_segment 0
		.amdhsa_system_sgpr_workgroup_id_x 1
		.amdhsa_system_sgpr_workgroup_id_y 1
		.amdhsa_system_sgpr_workgroup_id_z 1
		.amdhsa_system_sgpr_workgroup_info 0
		.amdhsa_system_vgpr_workitem_id 0
		.amdhsa_next_free_vgpr 84
		.amdhsa_next_free_sgpr 48
		.amdhsa_accum_offset 84
		.amdhsa_reserve_vcc 1
		.amdhsa_float_round_mode_32 0
		.amdhsa_float_round_mode_16_64 0
		.amdhsa_float_denorm_mode_32 3
		.amdhsa_float_denorm_mode_16_64 3
		.amdhsa_dx10_clamp 1
		.amdhsa_ieee_mode 1
		.amdhsa_fp16_overflow 0
		.amdhsa_tg_split 0
		.amdhsa_exception_fp_ieee_invalid_op 0
		.amdhsa_exception_fp_denorm_src 0
		.amdhsa_exception_fp_ieee_div_zero 0
		.amdhsa_exception_fp_ieee_overflow 0
		.amdhsa_exception_fp_ieee_underflow 0
		.amdhsa_exception_fp_ieee_inexact 0
		.amdhsa_exception_int_div_zero 0
	.end_amdhsa_kernel
	.section	.text._Z39paged_attention_ll4mi_QKV_mfma16_kernelIDF16_hLN4vllm18Fp8KVCacheDataTypeE1EDF16_Li16ELi128ELi256ELb0ELi1EEvPKT_PKT0_S7_ifPKiS9_S9_iPKfiiiPfSC_PS2_PT2_iSB_SB_,"axG",@progbits,_Z39paged_attention_ll4mi_QKV_mfma16_kernelIDF16_hLN4vllm18Fp8KVCacheDataTypeE1EDF16_Li16ELi128ELi256ELb0ELi1EEvPKT_PKT0_S7_ifPKiS9_S9_iPKfiiiPfSC_PS2_PT2_iSB_SB_,comdat
.Lfunc_end1004:
	.size	_Z39paged_attention_ll4mi_QKV_mfma16_kernelIDF16_hLN4vllm18Fp8KVCacheDataTypeE1EDF16_Li16ELi128ELi256ELb0ELi1EEvPKT_PKT0_S7_ifPKiS9_S9_iPKfiiiPfSC_PS2_PT2_iSB_SB_, .Lfunc_end1004-_Z39paged_attention_ll4mi_QKV_mfma16_kernelIDF16_hLN4vllm18Fp8KVCacheDataTypeE1EDF16_Li16ELi128ELi256ELb0ELi1EEvPKT_PKT0_S7_ifPKiS9_S9_iPKfiiiPfSC_PS2_PT2_iSB_SB_
                                        ; -- End function
	.section	.AMDGPU.csdata,"",@progbits
; Kernel info:
; codeLenInByte = 5832
; NumSgprs: 54
; NumVgprs: 84
; NumAgprs: 0
; TotalNumVgprs: 84
; ScratchSize: 0
; MemoryBound: 0
; FloatMode: 240
; IeeeMode: 1
; LDSByteSize: 8192 bytes/workgroup (compile time only)
; SGPRBlocks: 6
; VGPRBlocks: 10
; NumSGPRsForWavesPerEU: 54
; NumVGPRsForWavesPerEU: 84
; AccumOffset: 84
; Occupancy: 5
; WaveLimiterHint : 1
; COMPUTE_PGM_RSRC2:SCRATCH_EN: 0
; COMPUTE_PGM_RSRC2:USER_SGPR: 2
; COMPUTE_PGM_RSRC2:TRAP_HANDLER: 0
; COMPUTE_PGM_RSRC2:TGID_X_EN: 1
; COMPUTE_PGM_RSRC2:TGID_Y_EN: 1
; COMPUTE_PGM_RSRC2:TGID_Z_EN: 1
; COMPUTE_PGM_RSRC2:TIDIG_COMP_CNT: 0
; COMPUTE_PGM_RSRC3_GFX90A:ACCUM_OFFSET: 20
; COMPUTE_PGM_RSRC3_GFX90A:TG_SPLIT: 0
	.section	.text._Z39paged_attention_ll4mi_QKV_mfma16_kernelIDF16_hLN4vllm18Fp8KVCacheDataTypeE1EDF16_Li16ELi128ELi256ELb0ELi2EEvPKT_PKT0_S7_ifPKiS9_S9_iPKfiiiPfSC_PS2_PT2_iSB_SB_,"axG",@progbits,_Z39paged_attention_ll4mi_QKV_mfma16_kernelIDF16_hLN4vllm18Fp8KVCacheDataTypeE1EDF16_Li16ELi128ELi256ELb0ELi2EEvPKT_PKT0_S7_ifPKiS9_S9_iPKfiiiPfSC_PS2_PT2_iSB_SB_,comdat
	.protected	_Z39paged_attention_ll4mi_QKV_mfma16_kernelIDF16_hLN4vllm18Fp8KVCacheDataTypeE1EDF16_Li16ELi128ELi256ELb0ELi2EEvPKT_PKT0_S7_ifPKiS9_S9_iPKfiiiPfSC_PS2_PT2_iSB_SB_ ; -- Begin function _Z39paged_attention_ll4mi_QKV_mfma16_kernelIDF16_hLN4vllm18Fp8KVCacheDataTypeE1EDF16_Li16ELi128ELi256ELb0ELi2EEvPKT_PKT0_S7_ifPKiS9_S9_iPKfiiiPfSC_PS2_PT2_iSB_SB_
	.globl	_Z39paged_attention_ll4mi_QKV_mfma16_kernelIDF16_hLN4vllm18Fp8KVCacheDataTypeE1EDF16_Li16ELi128ELi256ELb0ELi2EEvPKT_PKT0_S7_ifPKiS9_S9_iPKfiiiPfSC_PS2_PT2_iSB_SB_
	.p2align	8
	.type	_Z39paged_attention_ll4mi_QKV_mfma16_kernelIDF16_hLN4vllm18Fp8KVCacheDataTypeE1EDF16_Li16ELi128ELi256ELb0ELi2EEvPKT_PKT0_S7_ifPKiS9_S9_iPKfiiiPfSC_PS2_PT2_iSB_SB_,@function
_Z39paged_attention_ll4mi_QKV_mfma16_kernelIDF16_hLN4vllm18Fp8KVCacheDataTypeE1EDF16_Li16ELi128ELi256ELb0ELi2EEvPKT_PKT0_S7_ifPKiS9_S9_iPKfiiiPfSC_PS2_PT2_iSB_SB_: ; @_Z39paged_attention_ll4mi_QKV_mfma16_kernelIDF16_hLN4vllm18Fp8KVCacheDataTypeE1EDF16_Li16ELi128ELi256ELb0ELi2EEvPKT_PKT0_S7_ifPKiS9_S9_iPKfiiiPfSC_PS2_PT2_iSB_SB_
; %bb.0:
	s_load_dwordx2 s[12:13], s[0:1], 0x30
	s_mov_b32 s22, s3
	s_mov_b64 s[6:7], 0
	s_waitcnt lgkmcnt(0)
	s_cmp_lg_u64 s[12:13], 0
	s_cselect_b64 s[14:15], -1, 0
	s_and_b64 vcc, exec, s[14:15]
	s_cbranch_vccz .LBB1005_7
; %bb.1:
	s_add_i32 s8, s2, 1
	s_mov_b32 s9, 0
	s_lshl_b64 s[10:11], s[8:9], 2
	s_add_u32 s10, s12, s10
	s_mov_b32 s3, s9
	s_addc_u32 s11, s13, s11
	s_lshl_b64 s[8:9], s[2:3], 2
	s_add_u32 s8, s12, s8
	s_addc_u32 s9, s13, s9
	s_load_dword s5, s[10:11], 0x0
	s_load_dword s16, s[8:9], 0x0
	s_waitcnt lgkmcnt(0)
	s_sub_i32 s5, s5, s16
	s_cmp_eq_u32 s5, 1
	s_cselect_b64 s[8:9], -1, 0
	s_andn2_b64 vcc, exec, s[6:7]
	s_cbranch_vccnz .LBB1005_3
.LBB1005_2:
	s_mov_b32 s3, 0
	s_mov_b64 s[8:9], -1
.LBB1005_3:
	s_andn2_b64 vcc, exec, s[8:9]
	s_cbranch_vccnz .LBB1005_17
; %bb.4:
	s_load_dwordx2 s[6:7], s[0:1], 0x28
	s_lshl_b64 s[16:17], s[2:3], 2
	s_waitcnt lgkmcnt(0)
	s_add_u32 s6, s6, s16
	s_addc_u32 s7, s7, s17
	s_load_dword s38, s[6:7], 0x0
	s_lshl_b32 s18, s22, 8
	s_waitcnt lgkmcnt(0)
	s_cmp_ge_i32 s18, s38
	s_cbranch_scc1 .LBB1005_17
; %bb.5:
	s_load_dwordx2 s[6:7], s[0:1], 0x20
	s_load_dword s8, s[0:1], 0x38
	s_add_i32 s5, s38, 15
	s_ashr_i32 s9, s5, 31
	v_and_b32_e32 v1, 0xcf, v0
	s_lshr_b32 s9, s9, 28
	v_add_u32_e32 v1, s18, v1
	s_add_i32 s5, s5, s9
	v_ashrrev_i32_e32 v2, 31, v1
	s_ashr_i32 s5, s5, 4
	v_lshrrev_b32_e32 v10, 28, v2
	s_add_i32 s5, s5, -1
	s_waitcnt lgkmcnt(0)
	s_mul_i32 s8, s2, s8
	s_mov_b32 s9, 0
	v_add_u32_e32 v2, v1, v10
	s_lshl_b64 s[8:9], s[8:9], 2
	v_ashrrev_i32_e32 v2, 4, v2
	v_mov_b32_e32 v11, s5
	v_cmp_gt_i32_e32 vcc, s38, v1
	s_add_u32 s6, s6, s8
	s_addc_u32 s7, s7, s9
	v_cndmask_b32_e32 v2, v11, v2, vcc
	v_ashrrev_i32_e32 v3, 31, v2
	v_lshl_add_u64 v[4:5], v[2:3], 2, s[6:7]
	v_or_b32_e32 v2, 16, v1
	v_add_u32_e32 v3, v2, v10
	v_ashrrev_i32_e32 v3, 4, v3
	v_cmp_gt_i32_e32 vcc, s38, v2
	s_load_dwordx4 s[8:11], s[0:1], 0x8
	s_nop 0
	v_cndmask_b32_e32 v2, v11, v3, vcc
	v_ashrrev_i32_e32 v3, 31, v2
	v_lshl_add_u64 v[6:7], v[2:3], 2, s[6:7]
	v_or_b32_e32 v2, 32, v1
	v_add_u32_e32 v3, v2, v10
	v_ashrrev_i32_e32 v3, 4, v3
	v_cmp_gt_i32_e32 vcc, s38, v2
	v_or_b32_e32 v1, 48, v1
	s_nop 0
	v_cndmask_b32_e32 v2, v11, v3, vcc
	v_ashrrev_i32_e32 v3, 31, v2
	v_lshl_add_u64 v[8:9], v[2:3], 2, s[6:7]
	v_add_u32_e32 v2, v1, v10
	v_ashrrev_i32_e32 v2, 4, v2
	v_cmp_gt_i32_e32 vcc, s38, v1
	s_nop 1
	v_cndmask_b32_e32 v2, v11, v2, vcc
	v_ashrrev_i32_e32 v3, 31, v2
	v_lshl_add_u64 v[10:11], v[2:3], 2, s[6:7]
	global_load_dword v3, v[4:5], off
	global_load_dword v2, v[6:7], off
	;; [unrolled: 1-line block ×4, first 2 shown]
	s_andn2_b64 vcc, exec, s[14:15]
	s_cbranch_vccnz .LBB1005_8
; %bb.6:
	s_add_u32 s12, s12, s16
	s_addc_u32 s13, s13, s17
	s_load_dword s14, s[12:13], 0x0
	s_branch .LBB1005_9
.LBB1005_7:
	s_mov_b64 s[8:9], 0
	s_branch .LBB1005_2
.LBB1005_8:
	s_mov_b32 s14, s2
.LBB1005_9:
	s_load_dwordx4 s[44:47], s[0:1], 0x48
	v_lshrrev_b32_e32 v65, 6, v0
	v_bfe_u32 v1, v0, 4, 2
	v_and_b32_e32 v62, 15, v0
	v_lshl_or_b32 v4, v65, 2, v1
	v_lshlrev_b32_e32 v5, 3, v62
	v_and_b32_e32 v64, 63, v0
	s_lshl_b32 s23, s4, 1
	v_cmp_gt_u32_e32 vcc, 2, v4
	v_lshlrev_b32_e32 v58, 1, v5
	v_lshlrev_b32_e32 v63, 4, v0
	s_and_saveexec_b64 s[12:13], vcc
	s_cbranch_execz .LBB1005_11
; %bb.10:
	s_load_dwordx2 s[16:17], s[0:1], 0x0
	s_waitcnt lgkmcnt(0)
	s_ashr_i32 s15, s44, 31
	s_mul_hi_u32 s19, s14, s44
	s_mul_i32 s15, s14, s15
	s_add_i32 s15, s19, s15
	s_mul_i32 s14, s14, s44
	s_lshl_b64 s[14:15], s[14:15], 1
	s_add_u32 s14, s16, s14
	v_add_lshl_u32 v6, v1, s23, 7
	s_addc_u32 s15, s17, s15
	v_ashrrev_i32_e32 v7, 31, v6
	v_lshl_add_u64 v[6:7], v[6:7], 1, s[14:15]
	v_mov_b32_e32 v59, 0
	v_lshl_add_u64 v[6:7], v[6:7], 0, v[58:59]
	global_load_dwordx4 v[6:9], v[6:7], off
	v_lshlrev_b32_e32 v10, 8, v0
	v_lshlrev_b32_e32 v5, 8, v62
	v_and_b32_e32 v10, 0x600, v10
	s_movk_i32 s14, 0x800
	v_and_or_b32 v5, v5, s14, v10
	v_lshlrev_b32_e32 v4, 5, v4
	v_and_b32_e32 v10, 16, v63
	v_or3_b32 v4, v5, v4, v10
	s_waitcnt vmcnt(0)
	ds_write_b128 v4, v[6:9]
.LBB1005_11:
	s_or_b64 exec, exec, s[12:13]
	s_waitcnt lgkmcnt(0)
	s_mul_i32 s4, s4, s46
	s_add_u32 s8, s8, s4
	s_addc_u32 s9, s9, 0
	v_and_b32_e32 v60, 0xf0, v63
	v_mov_b32_e32 v61, 0
	v_and_b32_e32 v6, 48, v0
	v_lshl_add_u64 v[30:31], s[8:9], 0, v[60:61]
	v_lshlrev_b32_e32 v60, 4, v6
	s_waitcnt vmcnt(3)
	v_mad_i64_i32 v[4:5], s[8:9], v3, s45, v[30:31]
	v_lshl_add_u64 v[4:5], v[4:5], 0, v[60:61]
	s_load_dword s33, s[0:1], 0x98
	s_load_dwordx4 s[40:43], s[0:1], 0x80
	s_waitcnt lgkmcnt(0)
	s_barrier
	global_load_dwordx4 v[22:25], v[4:5], off
	global_load_dwordx4 v[10:13], v[4:5], off offset:1024
	s_waitcnt vmcnt(4)
	v_mad_i64_i32 v[2:3], s[8:9], v2, s45, v[30:31]
	v_lshl_add_u64 v[32:33], v[2:3], 0, v[60:61]
	global_load_dwordx4 v[2:5], v[32:33], off
	v_and_b32_e32 v7, 1, v0
	v_lshlrev_b32_e32 v7, 5, v7
	v_or_b32_e32 v36, s18, v6
	v_mov_b32_e32 v41, s5
	v_lshl_or_b32 v6, v1, 9, v7
	v_ashrrev_i32_e32 v37, 4, v36
	v_cmp_gt_i32_e32 vcc, s38, v36
	v_or_b32_e32 v40, 64, v36
	v_or_b32_e32 v42, 0x80, v36
	;; [unrolled: 1-line block ×3, first 2 shown]
	ds_read_b128 v[26:29], v6
	ds_read_b128 v[18:21], v6 offset:16
	ds_read_b128 v[14:17], v6 offset:2048
	;; [unrolled: 1-line block ×3, first 2 shown]
	v_cndmask_b32_e32 v38, v41, v37, vcc
	s_waitcnt vmcnt(4)
	v_mad_i64_i32 v[36:37], s[12:13], v34, s45, v[30:31]
	s_waitcnt vmcnt(3)
	v_mad_i64_i32 v[34:35], s[12:13], v35, s45, v[30:31]
	global_load_dwordx4 v[30:33], v[32:33], off offset:1024
	v_ashrrev_i32_e32 v44, 4, v40
	v_cmp_gt_i32_e32 vcc, s38, v40
	v_ashrrev_i32_e32 v45, 4, v42
	v_ashrrev_i32_e32 v46, 4, v43
	v_cndmask_b32_e32 v40, v41, v44, vcc
	v_cmp_gt_i32_e32 vcc, s38, v42
	v_ashrrev_i32_e32 v39, 31, v38
	v_lshl_add_u64 v[36:37], v[36:37], 0, v[60:61]
	v_cndmask_b32_e32 v42, v41, v45, vcc
	v_cmp_gt_i32_e32 vcc, s38, v43
	v_lshl_add_u64 v[34:35], v[34:35], 0, v[60:61]
	v_ashrrev_i32_e32 v43, 31, v42
	v_cndmask_b32_e32 v44, v41, v46, vcc
	v_ashrrev_i32_e32 v41, 31, v40
	v_ashrrev_i32_e32 v45, 31, v44
	v_lshl_add_u64 v[50:51], v[38:39], 2, s[6:7]
	v_lshl_add_u64 v[52:53], v[40:41], 2, s[6:7]
	v_lshl_add_u64 v[54:55], v[42:43], 2, s[6:7]
	v_lshl_add_u64 v[56:57], v[44:45], 2, s[6:7]
	global_load_dwordx4 v[42:45], v[36:37], off
	global_load_dwordx4 v[46:49], v[36:37], off offset:1024
	global_load_dwordx4 v[38:41], v[34:35], off
	s_nop 0
	global_load_dwordx4 v[34:37], v[34:35], off offset:1024
	s_nop 0
	global_load_dword v69, v[50:51], off
	global_load_dword v68, v[52:53], off
	;; [unrolled: 1-line block ×4, first 2 shown]
	s_add_u32 s4, s10, s4
	v_lshl_or_b32 v59, v65, 4, v62
	s_addc_u32 s5, s11, 0
	v_lshlrev_b32_e32 v60, 4, v59
	s_load_dword s8, s[0:1], 0x1c
	s_waitcnt vmcnt(11)
	v_cvt_pk_f32_fp8_e32 v[50:51], v22
	v_cvt_pk_f32_fp8_sdwa v[52:53], v22 src0_sel:WORD_1
	v_cvt_pk_f32_fp8_e32 v[54:55], v23
	v_cvt_pk_f32_fp8_sdwa v[56:57], v23 src0_sel:WORD_1
	;; [unrolled: 2-line block ×4, first 2 shown]
	s_waitcnt vmcnt(9)
	v_cvt_pk_f32_fp8_e32 v[22:23], v2
	v_cvt_pk_f32_fp8_sdwa v[24:25], v2 src0_sel:WORD_1
	v_cvt_pkrtz_f16_f32 v50, v50, v51
	v_cvt_pkrtz_f16_f32 v51, v52, v53
	v_cvt_pk_f32_fp8_e32 v[78:79], v10
	v_cvt_pk_f32_fp8_sdwa v[80:81], v10 src0_sel:WORD_1
	v_cvt_pk_f32_fp8_e32 v[82:83], v11
	v_cvt_pk_f32_fp8_sdwa v[52:53], v11 src0_sel:WORD_1
	v_cvt_pkrtz_f16_f32 v10, v22, v23
	v_cvt_pkrtz_f16_f32 v11, v24, v25
	;; [unrolled: 1-line block ×4, first 2 shown]
	s_waitcnt lgkmcnt(0)
	v_mfma_f32_16x16x16_f16 v[22:25], v[50:51], v[26:27], 0
	v_cvt_pk_f32_fp8_e32 v[84:85], v12
	v_cvt_pk_f32_fp8_sdwa v[50:51], v12 src0_sel:WORD_1
	v_cvt_pk_f32_fp8_e32 v[88:89], v13
	v_mfma_f32_16x16x16_f16 v[54:57], v[10:11], v[26:27], 0
	v_cvt_pkrtz_f16_f32 v10, v70, v71
	v_cvt_pkrtz_f16_f32 v11, v72, v73
	v_cvt_pkrtz_f16_f32 v72, v74, v75
	v_mfma_f32_16x16x16_f16 v[22:25], v[86:87], v[28:29], v[22:25]
	v_cvt_pkrtz_f16_f32 v73, v76, v77
	v_cvt_pk_f32_fp8_sdwa v[70:71], v13 src0_sel:WORD_1
	s_waitcnt vmcnt(6)
	v_cvt_pk_f32_fp8_e32 v[74:75], v48
	v_mfma_f32_16x16x16_f16 v[10:13], v[10:11], v[18:19], v[22:25]
	v_cvt_pk_f32_fp8_sdwa v[76:77], v48 src0_sel:WORD_1
	s_nop 1
	v_cvt_pkrtz_f16_f32 v24, v78, v79
	v_cvt_pkrtz_f16_f32 v25, v80, v81
	v_mfma_f32_16x16x16_f16 v[10:13], v[72:73], v[20:21], v[10:13]
	v_cvt_pkrtz_f16_f32 v72, v82, v83
	v_cvt_pkrtz_f16_f32 v73, v52, v53
	;; [unrolled: 1-line block ×3, first 2 shown]
	v_mfma_f32_16x16x16_f16 v[10:13], v[24:25], v[14:15], v[10:13]
	v_cvt_pkrtz_f16_f32 v53, v50, v51
	v_cvt_pk_f32_fp8_e32 v[22:23], v3
	v_cvt_pk_f32_fp8_sdwa v[2:3], v3 src0_sel:WORD_1
	v_mfma_f32_16x16x16_f16 v[10:13], v[72:73], v[16:17], v[10:13]
	v_cvt_pkrtz_f16_f32 v50, v88, v89
	v_cvt_pkrtz_f16_f32 v51, v70, v71
	v_cvt_pk_f32_fp8_e32 v[24:25], v4
	v_cvt_pk_f32_fp8_sdwa v[72:73], v4 src0_sel:WORD_1
	v_mfma_f32_16x16x16_f16 v[10:13], v[52:53], v[6:7], v[10:13]
	v_cvt_pkrtz_f16_f32 v22, v22, v23
	v_cvt_pkrtz_f16_f32 v23, v2, v3
	v_cvt_pkrtz_f16_f32 v24, v24, v25
	v_mfma_f32_16x16x16_f16 v[50:53], v[50:51], v[8:9], v[10:13]
	v_cvt_pkrtz_f16_f32 v25, v72, v73
	v_cvt_pk_f32_fp8_e32 v[72:73], v45
	v_lshl_add_u64 v[70:71], s[4:5], 0, v[60:61]
	v_cvt_pk_f32_fp8_e32 v[10:11], v5
	v_cvt_pk_f32_fp8_sdwa v[12:13], v5 src0_sel:WORD_1
	v_mfma_f32_16x16x16_f16 v[2:5], v[22:23], v[28:29], v[54:57]
	v_cvt_pk_f32_fp8_sdwa v[22:23], v30 src0_sel:WORD_1
	v_cvt_pkrtz_f16_f32 v10, v10, v11
	v_cvt_pkrtz_f16_f32 v11, v12, v13
	v_mfma_f32_16x16x16_f16 v[2:5], v[24:25], v[18:19], v[2:5]
	v_cvt_pk_f32_fp8_e32 v[12:13], v30
	v_cvt_pk_f32_fp8_e32 v[24:25], v32
	v_or_b32_e32 v60, 0x400, v60
	v_mfma_f32_16x16x16_f16 v[2:5], v[10:11], v[20:21], v[2:5]
	v_cvt_pk_f32_fp8_e32 v[10:11], v31
	v_cvt_pkrtz_f16_f32 v12, v12, v13
	v_cvt_pkrtz_f16_f32 v13, v22, v23
	v_cvt_pk_f32_fp8_sdwa v[22:23], v31 src0_sel:WORD_1
	v_cvt_pkrtz_f16_f32 v10, v10, v11
	v_cvt_pk_f32_fp8_sdwa v[30:31], v32 src0_sel:WORD_1
	v_mfma_f32_16x16x16_f16 v[2:5], v[12:13], v[14:15], v[2:5]
	v_cvt_pkrtz_f16_f32 v11, v22, v23
	v_cvt_pkrtz_f16_f32 v12, v24, v25
	;; [unrolled: 1-line block ×3, first 2 shown]
	v_cvt_pk_f32_fp8_e32 v[22:23], v33
	v_cvt_pk_f32_fp8_sdwa v[24:25], v33 src0_sel:WORD_1
	v_mfma_f32_16x16x16_f16 v[2:5], v[10:11], v[16:17], v[2:5]
	v_cvt_pkrtz_f16_f32 v10, v22, v23
	v_cvt_pkrtz_f16_f32 v11, v24, v25
	v_mfma_f32_16x16x16_f16 v[2:5], v[12:13], v[6:7], v[2:5]
	v_cvt_pk_f32_fp8_e32 v[12:13], v42
	v_cvt_pk_f32_fp8_sdwa v[22:23], v42 src0_sel:WORD_1
	v_cvt_pk_f32_fp8_sdwa v[24:25], v44 src0_sel:WORD_1
	v_mfma_f32_16x16x16_f16 v[54:57], v[10:11], v[8:9], v[2:5]
	v_cvt_pk_f32_fp8_sdwa v[10:11], v43 src0_sel:WORD_1
	s_nop 1
	v_cvt_pkrtz_f16_f32 v2, v12, v13
	v_cvt_pkrtz_f16_f32 v3, v22, v23
	v_cvt_pk_f32_fp8_e32 v[4:5], v43
	v_cvt_pkrtz_f16_f32 v23, v10, v11
	v_cvt_pk_f32_fp8_e32 v[10:11], v44
	v_cvt_pk_f32_fp8_sdwa v[44:45], v45 src0_sel:WORD_1
	v_cvt_pkrtz_f16_f32 v22, v4, v5
	v_mfma_f32_16x16x16_f16 v[2:5], v[2:3], v[26:27], 0
	v_cvt_pkrtz_f16_f32 v10, v10, v11
	v_cvt_pkrtz_f16_f32 v11, v24, v25
	s_waitcnt vmcnt(3)
	v_mad_i64_i32 v[12:13], s[6:7], v69, s45, v[70:71]
	v_mfma_f32_16x16x16_f16 v[2:5], v[22:23], v[28:29], v[2:5]
	s_waitcnt vmcnt(2)
	v_mad_i64_i32 v[42:43], s[6:7], v68, s45, v[70:71]
	global_load_dwordx4 v[30:33], v[12:13], off
	global_load_dwordx4 v[22:25], v[42:43], off
	v_cvt_pkrtz_f16_f32 v12, v72, v73
	v_cvt_pkrtz_f16_f32 v13, v44, v45
	v_mfma_f32_16x16x16_f16 v[2:5], v[10:11], v[18:19], v[2:5]
	v_cvt_pk_f32_fp8_e32 v[10:11], v46
	v_cvt_pk_f32_fp8_sdwa v[42:43], v46 src0_sel:WORD_1
	s_waitcnt vmcnt(3)
	v_mad_i64_i32 v[72:73], s[6:7], v66, s45, v[70:71]
	v_mfma_f32_16x16x16_f16 v[2:5], v[12:13], v[20:21], v[2:5]
	v_cvt_pkrtz_f16_f32 v10, v10, v11
	v_cvt_pkrtz_f16_f32 v11, v42, v43
	v_cvt_pk_f32_fp8_e32 v[12:13], v47
	v_cvt_pk_f32_fp8_sdwa v[42:43], v47 src0_sel:WORD_1
	s_waitcnt vmcnt(2)
	v_mad_i64_i32 v[46:47], s[6:7], v67, s45, v[70:71]
	v_cvt_pkrtz_f16_f32 v70, v12, v13
	v_cvt_pkrtz_f16_f32 v71, v42, v43
	v_mfma_f32_16x16x16_f16 v[42:45], v[10:11], v[14:15], v[2:5]
	global_load_dwordx4 v[10:13], v[72:73], off
	s_nop 1
	global_load_dwordx4 v[2:5], v[46:47], off
	v_cvt_pkrtz_f16_f32 v72, v74, v75
	v_cvt_pkrtz_f16_f32 v73, v76, v77
	v_cvt_pk_f32_fp8_e32 v[74:75], v49
	v_cvt_pk_f32_fp8_sdwa v[48:49], v49 src0_sel:WORD_1
	v_mfma_f32_16x16x16_f16 v[44:47], v[70:71], v[16:17], v[42:45]
	s_nop 2
	v_lshl_add_u64 v[42:43], s[4:5], 0, v[60:61]
	v_cvt_pkrtz_f16_f32 v60, v74, v75
	v_cvt_pkrtz_f16_f32 v61, v48, v49
	v_mfma_f32_16x16x16_f16 v[44:47], v[72:73], v[6:7], v[44:47]
	v_cvt_pk_f32_fp8_e32 v[48:49], v38
	v_cvt_pk_f32_fp8_sdwa v[74:75], v38 src0_sel:WORD_1
	s_load_dword s4, s[40:41], 0x0
	v_mfma_f32_16x16x16_f16 v[70:73], v[60:61], v[8:9], v[44:47]
	v_cvt_pk_f32_fp8_e32 v[60:61], v40
	s_mov_b32 s40, 0xff7fffff
	s_nop 0
	v_cvt_pk_f32_fp8_e32 v[44:45], v39
	v_cvt_pkrtz_f16_f32 v46, v48, v49
	v_cvt_pkrtz_f16_f32 v47, v74, v75
	v_cvt_pk_f32_fp8_sdwa v[38:39], v39 src0_sel:WORD_1
	v_cvt_pkrtz_f16_f32 v48, v44, v45
	v_cvt_pk_f32_fp8_sdwa v[74:75], v40 src0_sel:WORD_1
	v_mfma_f32_16x16x16_f16 v[44:47], v[46:47], v[26:27], 0
	v_cvt_pkrtz_f16_f32 v49, v38, v39
	v_cvt_pkrtz_f16_f32 v38, v60, v61
	;; [unrolled: 1-line block ×3, first 2 shown]
	v_cvt_pk_f32_fp8_e32 v[60:61], v41
	v_cvt_pk_f32_fp8_sdwa v[40:41], v41 src0_sel:WORD_1
	v_mfma_f32_16x16x16_f16 v[26:29], v[48:49], v[28:29], v[44:47]
	s_nop 2
	v_cvt_pkrtz_f16_f32 v44, v60, v61
	v_cvt_pkrtz_f16_f32 v45, v40, v41
	v_mfma_f32_16x16x16_f16 v[26:29], v[38:39], v[18:19], v[26:29]
	v_mov_b32_e32 v46, s8
	s_waitcnt lgkmcnt(0)
	v_mul_f32_e32 v40, s4, v46
	v_pk_mul_f32 v[38:39], v[40:41], v[52:53] op_sel_hi:[0,1]
	v_mfma_f32_16x16x16_f16 v[18:21], v[44:45], v[20:21], v[26:29]
	v_cvt_pk_f32_fp8_e32 v[44:45], v35
	v_pk_mul_f32 v[46:47], v[40:41], v[50:51] op_sel_hi:[0,1]
	v_pk_mul_f32 v[48:49], v[40:41], v[56:57] op_sel_hi:[0,1]
	v_cvt_pk_f32_fp8_e32 v[26:27], v34
	v_cvt_pk_f32_fp8_sdwa v[28:29], v34 src0_sel:WORD_1
	v_cvt_pk_f32_fp8_sdwa v[34:35], v35 src0_sel:WORD_1
	v_pk_mul_f32 v[52:53], v[40:41], v[54:55] op_sel_hi:[0,1]
	v_cvt_pkrtz_f16_f32 v26, v26, v27
	v_cvt_pkrtz_f16_f32 v27, v28, v29
	;; [unrolled: 1-line block ×4, first 2 shown]
	v_cvt_pk_f32_fp8_e32 v[34:35], v36
	v_cvt_pk_f32_fp8_sdwa v[44:45], v36 src0_sel:WORD_1
	v_mfma_f32_16x16x16_f16 v[18:21], v[26:27], v[14:15], v[18:21]
	v_pk_mul_f32 v[50:51], v[40:41], v[70:71] op_sel_hi:[0,1]
	v_cvt_pkrtz_f16_f32 v26, v34, v35
	v_cvt_pkrtz_f16_f32 v27, v44, v45
	v_cvt_pk_f32_fp8_e32 v[34:35], v37
	v_cvt_pk_f32_fp8_sdwa v[36:37], v37 src0_sel:WORD_1
	v_mfma_f32_16x16x16_f16 v[14:17], v[28:29], v[16:17], v[18:21]
	v_pk_mul_f32 v[44:45], v[40:41], v[72:73] op_sel_hi:[0,1]
	v_mad_i64_i32 v[60:61], s[4:5], v69, s45, v[42:43]
	s_nop 0
	v_cvt_pkrtz_f16_f32 v18, v34, v35
	v_cvt_pkrtz_f16_f32 v19, v36, v37
	v_mfma_f32_16x16x16_f16 v[14:17], v[26:27], v[6:7], v[14:17]
	s_nop 0
	v_mfma_f32_16x16x16_f16 v[6:9], v[18:19], v[8:9], v[14:17]
	s_nop 6
	v_pk_mul_f32 v[34:35], v[40:41], v[8:9] op_sel_hi:[0,1]
	v_pk_mul_f32 v[40:41], v[40:41], v[6:7] op_sel_hi:[0,1]
	v_and_b32_e32 v6, 0xc0, v0
	v_add_u32_e32 v6, s18, v6
	v_lshl_or_b32 v6, v1, 2, v6
	v_or_b32_e32 v9, 1, v6
	v_mov_b32_e32 v7, 0xff7fffff
	v_cmp_gt_i32_e64 s[24:25], s38, v6
	v_cmp_gt_i32_e64 s[26:27], s38, v9
	v_or_b32_e32 v14, 3, v6
	v_cndmask_b32_e64 v8, v7, v46, s[24:25]
	v_cndmask_b32_e64 v9, v7, v47, s[26:27]
	v_max3_f32 v8, v8, s40, v9
	v_or_b32_e32 v9, 2, v6
	v_cmp_gt_i32_e64 s[28:29], s38, v9
	v_cmp_gt_i32_e64 s[30:31], s38, v14
	s_nop 0
	v_cndmask_b32_e64 v9, v7, v38, s[28:29]
	v_cndmask_b32_e64 v14, v7, v39, s[30:31]
	v_max3_f32 v8, v8, v9, v14
	v_or_b32_e32 v9, 16, v6
	v_or_b32_e32 v14, 17, v6
	v_cmp_gt_i32_e64 s[34:35], s38, v9
	v_cmp_gt_i32_e64 s[36:37], s38, v14
	s_nop 0
	v_cndmask_b32_e64 v9, v7, v52, s[34:35]
	v_cndmask_b32_e64 v14, v7, v53, s[36:37]
	v_max3_f32 v8, v8, v9, v14
	v_or_b32_e32 v9, 18, v6
	;; [unrolled: 8-line block ×6, first 2 shown]
	v_or_b32_e32 v6, 51, v6
	v_cmp_gt_i32_e32 vcc, s38, v9
	v_cmp_gt_i32_e64 s[4:5], s38, v6
	s_nop 0
	v_cndmask_b32_e32 v9, v7, v34, vcc
	v_cndmask_b32_e64 v6, v7, v35, s[4:5]
	v_max3_f32 v8, v8, v9, v6
	v_mbcnt_lo_u32_b32 v6, -1, 0
	v_mbcnt_hi_u32_b32 v9, -1, v6
	v_and_b32_e32 v6, 64, v9
	v_add_u32_e32 v14, 64, v6
	v_xor_b32_e32 v6, 32, v9
	v_cmp_lt_i32_e64 s[38:39], v6, v14
	s_nop 1
	v_cndmask_b32_e64 v6, v9, v6, s[38:39]
	v_lshlrev_b32_e32 v55, 2, v6
	ds_bpermute_b32 v15, v55, v8
	v_mad_i64_i32 v[6:7], s[38:39], v68, s45, v[42:43]
	global_load_dwordx4 v[26:29], v[60:61], off
	global_load_dwordx4 v[18:21], v[6:7], off
	s_waitcnt lgkmcnt(0)
	v_max_f32_e32 v6, v15, v15
	v_max_f32_e32 v15, v8, v6
	v_xor_b32_e32 v6, 16, v9
	v_cmp_lt_i32_e64 s[38:39], v6, v14
	s_nop 1
	v_cndmask_b32_e64 v6, v9, v6, s[38:39]
	v_lshlrev_b32_e32 v56, 2, v6
	ds_bpermute_b32 v14, v56, v15
	v_mad_i64_i32 v[6:7], s[38:39], v66, s45, v[42:43]
	v_mad_i64_i32 v[8:9], s[38:39], v67, s45, v[42:43]
	s_waitcnt lgkmcnt(0)
	v_max_f32_e32 v14, v14, v14
	v_max_f32_e32 v54, v15, v14
	v_sub_f32_e32 v14, v46, v54
	v_mul_f32_e32 v14, 0x3fb8aa3b, v14
	v_exp_f32_e32 v36, v14
	v_sub_f32_e32 v14, v47, v54
	v_mul_f32_e32 v14, 0x3fb8aa3b, v14
	v_exp_f32_e32 v37, v14
	global_load_dwordx4 v[14:17], v[6:7], off
	s_nop 0
	global_load_dwordx4 v[6:9], v[8:9], off
	v_sub_f32_e32 v38, v38, v54
	v_mul_f32_e32 v38, 0x3fb8aa3b, v38
	v_sub_f32_e32 v39, v39, v54
	v_exp_f32_e32 v38, v38
	v_mul_f32_e32 v39, 0x3fb8aa3b, v39
	v_exp_f32_e32 v39, v39
	v_cndmask_b32_e64 v36, 0, v36, s[24:25]
	v_add_f32_e32 v42, 0, v36
	v_cndmask_b32_e64 v37, 0, v37, s[26:27]
	v_add_f32_e32 v42, v42, v37
	;; [unrolled: 2-line block ×3, first 2 shown]
	v_cndmask_b32_e64 v47, 0, v39, s[30:31]
	v_sub_f32_e32 v39, v52, v54
	v_sub_f32_e32 v42, v53, v54
	v_mul_f32_e32 v39, 0x3fb8aa3b, v39
	v_mul_f32_e32 v42, 0x3fb8aa3b, v42
	v_exp_f32_e32 v39, v39
	v_exp_f32_e32 v42, v42
	v_add_f32_e32 v43, v38, v47
	v_sub_f32_e32 v44, v44, v54
	v_cndmask_b32_e64 v38, 0, v39, s[34:35]
	v_cndmask_b32_e64 v39, 0, v42, s[36:37]
	v_sub_f32_e32 v42, v48, v54
	v_mul_f32_e32 v42, 0x3fb8aa3b, v42
	v_exp_f32_e32 v42, v42
	v_sub_f32_e32 v48, v49, v54
	v_add_f32_e32 v43, v43, v38
	v_mul_f32_e32 v48, 0x3fb8aa3b, v48
	v_exp_f32_e32 v49, v48
	v_add_f32_e32 v43, v43, v39
	v_cndmask_b32_e64 v48, 0, v42, s[18:19]
	v_add_f32_e32 v42, v43, v48
	v_sub_f32_e32 v43, v50, v54
	v_mul_f32_e32 v43, 0x3fb8aa3b, v43
	v_sub_f32_e32 v50, v51, v54
	v_exp_f32_e32 v43, v43
	v_mul_f32_e32 v50, 0x3fb8aa3b, v50
	v_exp_f32_e32 v50, v50
	v_mul_f32_e32 v44, 0x3fb8aa3b, v44
	v_sub_f32_e32 v45, v45, v54
	v_exp_f32_e32 v44, v44
	v_mul_f32_e32 v45, 0x3fb8aa3b, v45
	v_sub_f32_e32 v40, v40, v54
	v_cndmask_b32_e64 v49, 0, v49, s[20:21]
	v_exp_f32_e32 v45, v45
	v_mul_f32_e32 v40, 0x3fb8aa3b, v40
	v_sub_f32_e32 v41, v41, v54
	v_add_f32_e32 v51, v42, v49
	v_cndmask_b32_e64 v42, 0, v43, s[14:15]
	v_exp_f32_e32 v40, v40
	v_mul_f32_e32 v41, 0x3fb8aa3b, v41
	v_sub_f32_e32 v34, v34, v54
	v_add_f32_e32 v51, v51, v42
	;; [unrolled: 5-line block ×3, first 2 shown]
	v_cndmask_b32_e64 v44, 0, v44, s[10:11]
	v_exp_f32_e32 v34, v34
	v_mul_f32_e32 v35, 0x3fb8aa3b, v35
	v_add_f32_e32 v50, v50, v44
	v_cndmask_b32_e64 v45, 0, v45, s[12:13]
	v_exp_f32_e32 v35, v35
	v_add_f32_e32 v50, v50, v45
	v_cndmask_b32_e64 v40, 0, v40, s[6:7]
	v_add_f32_e32 v50, v50, v40
	v_cndmask_b32_e64 v41, 0, v41, s[8:9]
	v_add_f32_e32 v50, v50, v41
	v_cndmask_b32_e32 v34, 0, v34, vcc
	v_add_f32_e32 v50, v50, v34
	v_cndmask_b32_e64 v35, 0, v35, s[4:5]
	v_add_f32_e32 v50, v50, v35
	ds_bpermute_b32 v51, v55, v50
	v_cmp_gt_u32_e32 vcc, 16, v64
	s_waitcnt lgkmcnt(0)
	s_barrier
	v_add_f32_e32 v50, v50, v51
	ds_bpermute_b32 v51, v56, v50
	s_and_saveexec_b64 s[4:5], vcc
	s_cbranch_execz .LBB1005_13
; %bb.12:
	s_waitcnt lgkmcnt(0)
	v_add_f32_e32 v50, v50, v51
	v_lshlrev_b32_e32 v51, 2, v59
	ds_write2st64_b32 v51, v54, v50 offset1:1
.LBB1005_13:
	s_or_b64 exec, exec, s[4:5]
	s_waitcnt lgkmcnt(0)
	v_lshlrev_b32_e32 v51, 2, v62
	s_load_dword s6, s[0:1], 0x94
	s_waitcnt lgkmcnt(0)
	s_barrier
	ds_read2_b32 v[52:53], v51 offset1:16
	ds_read2_b32 v[54:55], v51 offset0:32 offset1:48
	ds_read2_b32 v[56:57], v51 offset0:64 offset1:80
	s_lshl_b32 s7, s33, 1
	s_waitcnt lgkmcnt(2)
	v_max3_f32 v50, v52, s40, v53
	s_waitcnt lgkmcnt(1)
	v_max3_f32 v50, v50, v54, v55
	v_sub_f32_e32 v52, v52, v50
	v_mul_f32_e32 v52, 0x3fb8aa3b, v52
	v_exp_f32_e32 v59, v52
	v_sub_f32_e32 v52, v53, v50
	v_mul_f32_e32 v52, 0x3fb8aa3b, v52
	v_exp_f32_e32 v60, v52
	;; [unrolled: 3-line block ×3, first 2 shown]
	ds_read2_b32 v[52:53], v51 offset0:96 offset1:112
	v_sub_f32_e32 v51, v55, v50
	v_mul_f32_e32 v51, 0x3fb8aa3b, v51
	v_exp_f32_e32 v55, v51
	s_waitcnt lgkmcnt(1)
	v_fma_f32 v51, v59, v56, 0
	v_fmac_f32_e32 v51, v60, v57
	s_waitcnt lgkmcnt(0)
	v_fmac_f32_e32 v51, v54, v52
	v_fmac_f32_e32 v51, v55, v53
	v_add_f32_e32 v52, 0x358637bd, v51
	v_div_scale_f32 v53, s[4:5], v52, v52, 1.0
	v_rcp_f32_e32 v56, v53
	s_barrier
	v_fma_f32 v57, -v53, v56, 1.0
	v_fmac_f32_e32 v56, v57, v56
	v_div_scale_f32 v57, vcc, 1.0, v52, 1.0
	v_mul_f32_e32 v61, v57, v56
	v_fma_f32 v66, -v53, v61, v57
	v_fmac_f32_e32 v61, v66, v56
	v_fma_f32 v53, -v53, v61, v57
	v_div_fmas_f32 v53, v53, v56, v61
	v_cmp_eq_u32_e32 vcc, 1, v65
	v_div_fixup_f32 v52, v53, v52, 1.0
	s_nop 0
	v_cndmask_b32_e32 v53, v59, v60, vcc
	v_cmp_eq_u32_e32 vcc, 2, v65
	s_nop 1
	v_cndmask_b32_e32 v53, v53, v54, vcc
	v_cmp_eq_u32_e32 vcc, 3, v65
	s_nop 1
	v_cndmask_b32_e32 v53, v53, v55, vcc
	v_mul_f32_e32 v52, v53, v52
	v_pk_mul_f32 v[46:47], v[52:53], v[46:47] op_sel_hi:[0,1]
	v_pk_mul_f32 v[36:37], v[52:53], v[36:37] op_sel_hi:[0,1]
	v_cvt_f16_f32_e32 v53, v46
	v_cvt_f16_f32_e32 v36, v36
	;; [unrolled: 1-line block ×4, first 2 shown]
	v_pk_mul_f32 v[48:49], v[52:53], v[48:49] op_sel_hi:[0,1]
	v_pk_mul_f32 v[38:39], v[52:53], v[38:39] op_sel_hi:[0,1]
	v_cvt_f16_f32_e32 v38, v38
	v_cvt_f16_f32_e32 v39, v39
	;; [unrolled: 1-line block ×4, first 2 shown]
	v_pack_b32_f16 v46, v36, v37
	v_pack_b32_f16 v47, v53, v47
	v_lshlrev_b32_e32 v37, 3, v1
	v_lshlrev_b32_e32 v36, 5, v62
	;; [unrolled: 1-line block ×3, first 2 shown]
	v_or3_b32 v54, v53, v36, v37
	v_pack_b32_f16 v38, v38, v39
	v_pack_b32_f16 v39, v48, v49
	ds_write2st64_b64 v54, v[46:47], v[38:39] offset1:1
	v_pk_mul_f32 v[38:39], v[52:53], v[44:45] op_sel_hi:[0,1]
	v_pk_mul_f32 v[42:43], v[52:53], v[42:43] op_sel_hi:[0,1]
	v_cvt_f16_f32_e32 v37, v42
	v_cvt_f16_f32_e32 v42, v43
	;; [unrolled: 1-line block ×4, first 2 shown]
	v_pk_mul_f32 v[34:35], v[52:53], v[34:35] op_sel_hi:[0,1]
	v_pk_mul_f32 v[38:39], v[52:53], v[40:41] op_sel_hi:[0,1]
	v_cvt_f16_f32_e32 v38, v38
	v_cvt_f16_f32_e32 v39, v39
	;; [unrolled: 1-line block ×4, first 2 shown]
	v_pack_b32_f16 v34, v37, v42
	v_pack_b32_f16 v35, v43, v44
	;; [unrolled: 1-line block ×4, first 2 shown]
	v_cmp_gt_u32_e32 vcc, 2, v0
	ds_write2st64_b64 v54, v[34:35], v[38:39] offset0:2 offset1:3
	s_and_saveexec_b64 s[4:5], vcc
	s_cbranch_execz .LBB1005_15
; %bb.14:
	v_or_b32_e32 v34, s23, v0
	v_mov_b32_e32 v35, 0
	v_mov_b32_e32 v37, s7
	v_mad_u64_u32 v[38:39], s[12:13], s2, v37, v[34:35]
	v_mov_b32_e32 v34, s22
	s_load_dwordx4 s[8:11], s[0:1], 0x58
	s_mul_i32 s3, s3, s7
	v_mad_u64_u32 v[34:35], s[12:13], v38, s6, v[34:35]
	v_add_u32_e32 v37, s3, v39
	v_mov_b32_e32 v38, v35
	v_mad_u64_u32 v[38:39], s[12:13], v37, s6, v[38:39]
	v_mov_b32_e32 v35, v38
	v_lshlrev_b64 v[34:35], 2, v[34:35]
	s_waitcnt lgkmcnt(0)
	v_lshl_add_u64 v[38:39], s[10:11], 0, v[34:35]
	v_lshl_add_u64 v[34:35], s[8:9], 0, v[34:35]
	global_store_dword v[38:39], v50, off
	global_store_dword v[34:35], v51, off
.LBB1005_15:
	s_or_b64 exec, exec, s[4:5]
	s_waitcnt vmcnt(7)
	v_cvt_pk_f32_fp8_e32 v[34:35], v30
	v_lshl_or_b32 v50, v1, 9, v36
	v_cvt_pk_f32_fp8_sdwa v[36:37], v30 src0_sel:WORD_1
	s_waitcnt lgkmcnt(0)
	s_barrier
	v_cvt_pk_f32_fp8_e32 v[38:39], v31
	v_cvt_pkrtz_f16_f32 v30, v34, v35
	v_cvt_pk_f32_fp8_sdwa v[40:41], v31 src0_sel:WORD_1
	v_cvt_pkrtz_f16_f32 v31, v36, v37
	ds_read_b128 v[34:37], v50
	v_cvt_pkrtz_f16_f32 v46, v38, v39
	v_cvt_pkrtz_f16_f32 v47, v40, v41
	ds_read_b128 v[38:41], v50 offset:16
	v_cvt_pk_f32_fp8_e32 v[48:49], v32
	v_cvt_pk_f32_fp8_sdwa v[52:53], v32 src0_sel:WORD_1
	s_waitcnt lgkmcnt(1)
	v_mfma_f32_16x16x16_f16 v[42:45], v[30:31], v[34:35], 0
	s_waitcnt vmcnt(6)
	v_cvt_pk_f32_fp8_e32 v[56:57], v24
	v_cvt_pkrtz_f16_f32 v30, v48, v49
	v_cvt_pkrtz_f16_f32 v31, v52, v53
	v_cvt_pk_f32_fp8_e32 v[48:49], v33
	v_mfma_f32_16x16x16_f16 v[42:45], v[46:47], v[36:37], v[42:45]
	v_cvt_pk_f32_fp8_sdwa v[46:47], v33 src0_sel:WORD_1
	v_cvt_pk_f32_fp8_sdwa v[60:61], v24 src0_sel:WORD_1
	v_cvt_pkrtz_f16_f32 v48, v48, v49
	s_waitcnt lgkmcnt(0)
	v_mfma_f32_16x16x16_f16 v[30:33], v[30:31], v[38:39], v[42:45]
	v_cvt_pkrtz_f16_f32 v49, v46, v47
	s_waitcnt vmcnt(4)
	v_cvt_pk_f32_fp8_sdwa v[70:71], v4 src0_sel:WORD_1
	s_waitcnt vmcnt(3)
	v_cvt_pk_f32_fp8_sdwa v[72:73], v28 src0_sel:WORD_1
	v_cvt_pk_f32_fp8_e32 v[42:43], v22
	v_mfma_f32_16x16x16_f16 v[46:49], v[48:49], v[40:41], v[30:33]
	s_load_dword s4, s[42:43], 0x0
	v_cmp_gt_u32_e32 vcc, 64, v0
	s_nop 0
	v_cvt_pk_f32_fp8_sdwa v[30:31], v22 src0_sel:WORD_1
	v_cvt_pk_f32_fp8_e32 v[32:33], v23
	v_cvt_pkrtz_f16_f32 v22, v42, v43
	v_cvt_pk_f32_fp8_sdwa v[42:43], v23 src0_sel:WORD_1
	v_cvt_pkrtz_f16_f32 v23, v30, v31
	v_cvt_pkrtz_f16_f32 v52, v32, v33
	ds_read_b128 v[30:33], v50 offset:2048
	v_cvt_pkrtz_f16_f32 v53, v42, v43
	ds_read_b128 v[42:45], v50 offset:2064
	s_waitcnt lgkmcnt(0)
	v_mfma_f32_16x16x16_f16 v[46:49], v[22:23], v[30:31], v[46:49]
	v_cvt_pkrtz_f16_f32 v22, v56, v57
	v_cvt_pkrtz_f16_f32 v23, v60, v61
	v_cvt_pk_f32_fp8_e32 v[56:57], v25
	v_mfma_f32_16x16x16_f16 v[46:49], v[52:53], v[32:33], v[46:49]
	v_cvt_pk_f32_fp8_sdwa v[52:53], v25 src0_sel:WORD_1
	v_cvt_pk_f32_fp8_sdwa v[60:61], v12 src0_sel:WORD_1
	v_cvt_pkrtz_f16_f32 v56, v56, v57
	v_mfma_f32_16x16x16_f16 v[22:25], v[22:23], v[42:43], v[46:49]
	v_cvt_pkrtz_f16_f32 v57, v52, v53
	s_mov_b32 s3, 0
	s_nop 0
	v_cvt_pk_f32_fp8_e32 v[46:47], v10
	v_mfma_f32_16x16x16_f16 v[66:69], v[56:57], v[44:45], v[22:25]
	v_cvt_pk_f32_fp8_e32 v[56:57], v12
	s_nop 1
	v_cvt_pk_f32_fp8_sdwa v[22:23], v10 src0_sel:WORD_1
	v_cvt_pk_f32_fp8_e32 v[24:25], v11
	v_cvt_pkrtz_f16_f32 v10, v46, v47
	v_cvt_pk_f32_fp8_sdwa v[46:47], v11 src0_sel:WORD_1
	v_cvt_pkrtz_f16_f32 v11, v22, v23
	v_cvt_pkrtz_f16_f32 v52, v24, v25
	ds_read_b128 v[22:25], v50 offset:4096
	v_cvt_pkrtz_f16_f32 v53, v46, v47
	ds_read_b128 v[46:49], v50 offset:4112
	s_waitcnt lgkmcnt(1)
	v_mfma_f32_16x16x16_f16 v[66:69], v[10:11], v[22:23], v[66:69]
	v_cvt_pkrtz_f16_f32 v10, v56, v57
	v_cvt_pkrtz_f16_f32 v11, v60, v61
	v_cvt_pk_f32_fp8_e32 v[56:57], v13
	v_mfma_f32_16x16x16_f16 v[66:69], v[52:53], v[24:25], v[66:69]
	v_cvt_pk_f32_fp8_sdwa v[52:53], v13 src0_sel:WORD_1
	v_cvt_pk_f32_fp8_e32 v[60:61], v4
	v_cvt_pkrtz_f16_f32 v56, v56, v57
	s_waitcnt lgkmcnt(0)
	v_mfma_f32_16x16x16_f16 v[10:13], v[10:11], v[46:47], v[66:69]
	v_cvt_pkrtz_f16_f32 v57, v52, v53
	v_cvt_pk_f32_fp8_e32 v[52:53], v2
	s_nop 0
	v_mfma_f32_16x16x16_f16 v[66:69], v[56:57], v[48:49], v[10:13]
	s_nop 2
	v_cvt_pk_f32_fp8_sdwa v[10:11], v2 src0_sel:WORD_1
	v_cvt_pk_f32_fp8_e32 v[12:13], v3
	v_cvt_pkrtz_f16_f32 v2, v52, v53
	v_cvt_pk_f32_fp8_sdwa v[52:53], v3 src0_sel:WORD_1
	v_cvt_pkrtz_f16_f32 v3, v10, v11
	v_cvt_pkrtz_f16_f32 v56, v12, v13
	ds_read_b128 v[10:13], v50 offset:6144
	v_cvt_pkrtz_f16_f32 v57, v52, v53
	s_waitcnt lgkmcnt(0)
	v_mfma_f32_16x16x16_f16 v[66:69], v[2:3], v[10:11], v[66:69]
	ds_read_b128 v[50:53], v50 offset:6160
	v_cvt_pkrtz_f16_f32 v2, v60, v61
	v_cvt_pkrtz_f16_f32 v3, v70, v71
	v_cvt_pk_f32_fp8_e32 v[60:61], v5
	v_mfma_f32_16x16x16_f16 v[66:69], v[56:57], v[12:13], v[66:69]
	v_cvt_pk_f32_fp8_sdwa v[56:57], v5 src0_sel:WORD_1
	v_cvt_pk_f32_fp8_e32 v[70:71], v28
	v_cvt_pkrtz_f16_f32 v60, v60, v61
	s_waitcnt lgkmcnt(0)
	v_mfma_f32_16x16x16_f16 v[2:5], v[2:3], v[50:51], v[66:69]
	v_cvt_pkrtz_f16_f32 v61, v56, v57
	v_cvt_pk_f32_fp8_e32 v[56:57], v26
	s_nop 0
	v_cvt_pk_f32_fp8_sdwa v[66:67], v26 src0_sel:WORD_1
	v_mfma_f32_16x16x16_f16 v[2:5], v[60:61], v[52:53], v[2:5]
	v_cvt_pk_f32_fp8_e32 v[60:61], v27
	v_cvt_pkrtz_f16_f32 v56, v56, v57
	v_cvt_pkrtz_f16_f32 v57, v66, v67
	v_cvt_pk_f32_fp8_sdwa v[26:27], v27 src0_sel:WORD_1
	v_cvt_pkrtz_f16_f32 v60, v60, v61
	v_mfma_f32_16x16x16_f16 v[66:69], v[56:57], v[34:35], 0
	v_cvt_pkrtz_f16_f32 v61, v26, v27
	v_cvt_pkrtz_f16_f32 v26, v70, v71
	;; [unrolled: 1-line block ×3, first 2 shown]
	v_cvt_pk_f32_fp8_e32 v[56:57], v29
	v_mfma_f32_16x16x16_f16 v[34:37], v[60:61], v[36:37], v[66:69]
	v_cvt_pk_f32_fp8_sdwa v[60:61], v29 src0_sel:WORD_1
	v_cvt_pkrtz_f16_f32 v56, v56, v57
	s_barrier
	v_mfma_f32_16x16x16_f16 v[26:29], v[26:27], v[38:39], v[34:37]
	v_cvt_pkrtz_f16_f32 v57, v60, v61
	s_waitcnt vmcnt(2)
	v_cvt_pk_f32_fp8_e32 v[38:39], v19
	v_cvt_pk_f32_fp8_e32 v[34:35], v18
	v_cvt_pk_f32_fp8_sdwa v[36:37], v18 src0_sel:WORD_1
	v_cvt_pk_f32_fp8_sdwa v[18:19], v19 src0_sel:WORD_1
	v_mfma_f32_16x16x16_f16 v[26:29], v[56:57], v[40:41], v[26:29]
	v_cvt_pkrtz_f16_f32 v34, v34, v35
	v_cvt_pkrtz_f16_f32 v35, v36, v37
	v_cvt_pkrtz_f16_f32 v36, v38, v39
	v_cvt_pk_f32_fp8_e32 v[38:39], v20
	v_cvt_pk_f32_fp8_sdwa v[40:41], v20 src0_sel:WORD_1
	v_cvt_pkrtz_f16_f32 v37, v18, v19
	v_mfma_f32_16x16x16_f16 v[26:29], v[34:35], v[30:31], v[26:29]
	v_cvt_pkrtz_f16_f32 v30, v38, v39
	v_cvt_pkrtz_f16_f32 v31, v40, v41
	v_cvt_pk_f32_fp8_e32 v[34:35], v21
	v_cvt_pk_f32_fp8_sdwa v[38:39], v21 src0_sel:WORD_1
	v_mfma_f32_16x16x16_f16 v[18:21], v[36:37], v[32:33], v[26:29]
	s_waitcnt vmcnt(1)
	v_cvt_pk_f32_fp8_sdwa v[32:33], v16 src0_sel:WORD_1
	s_nop 0
	v_cvt_pkrtz_f16_f32 v26, v34, v35
	v_cvt_pkrtz_f16_f32 v27, v38, v39
	v_mfma_f32_16x16x16_f16 v[18:21], v[30:31], v[42:43], v[18:21]
	v_cvt_pk_f32_fp8_e32 v[28:29], v14
	v_cvt_pk_f32_fp8_sdwa v[30:31], v14 src0_sel:WORD_1
	v_cvt_pkrtz_f16_f32 v28, v28, v29
	v_mfma_f32_16x16x16_f16 v[18:21], v[26:27], v[44:45], v[18:21]
	v_cvt_pk_f32_fp8_e32 v[26:27], v15
	v_cvt_pkrtz_f16_f32 v29, v30, v31
	v_cvt_pk_f32_fp8_sdwa v[14:15], v15 src0_sel:WORD_1
	v_cvt_pk_f32_fp8_e32 v[30:31], v16
	v_cvt_pkrtz_f16_f32 v26, v26, v27
	v_mfma_f32_16x16x16_f16 v[18:21], v[28:29], v[22:23], v[18:21]
	v_cvt_pkrtz_f16_f32 v27, v14, v15
	v_cvt_pkrtz_f16_f32 v22, v30, v31
	;; [unrolled: 1-line block ×3, first 2 shown]
	v_cvt_pk_f32_fp8_e32 v[28:29], v17
	v_cvt_pk_f32_fp8_sdwa v[30:31], v17 src0_sel:WORD_1
	v_mfma_f32_16x16x16_f16 v[14:17], v[26:27], v[24:25], v[18:21]
	s_waitcnt vmcnt(0)
	v_cvt_pk_f32_fp8_sdwa v[24:25], v6 src0_sel:WORD_1
	s_nop 0
	v_pk_mul_f32 v[18:19], v[4:5], s[4:5] op_sel_hi:[1,0]
	v_cvt_pkrtz_f16_f32 v4, v28, v29
	v_cvt_pkrtz_f16_f32 v5, v30, v31
	v_mfma_f32_16x16x16_f16 v[14:17], v[22:23], v[46:47], v[14:17]
	v_cvt_pk_f32_fp8_e32 v[22:23], v6
	v_pk_mul_f32 v[20:21], v[2:3], s[4:5] op_sel_hi:[1,0]
	v_mfma_f32_16x16x16_f16 v[2:5], v[4:5], v[48:49], v[14:17]
	s_nop 3
	v_cvt_pk_f32_fp8_e32 v[14:15], v7
	v_cvt_pkrtz_f16_f32 v16, v22, v23
	v_cvt_pkrtz_f16_f32 v17, v24, v25
	v_cvt_pk_f32_fp8_sdwa v[6:7], v7 src0_sel:WORD_1
	v_cvt_pkrtz_f16_f32 v14, v14, v15
	v_cvt_pk_f32_fp8_e32 v[22:23], v8
	v_cvt_pk_f32_fp8_sdwa v[24:25], v8 src0_sel:WORD_1
	v_cvt_pkrtz_f16_f32 v15, v6, v7
	v_mfma_f32_16x16x16_f16 v[2:5], v[16:17], v[10:11], v[2:5]
	v_cvt_pkrtz_f16_f32 v6, v22, v23
	v_cvt_pkrtz_f16_f32 v7, v24, v25
	v_cvt_pk_f32_fp8_e32 v[10:11], v9
	v_cvt_pk_f32_fp8_sdwa v[8:9], v9 src0_sel:WORD_1
	v_mfma_f32_16x16x16_f16 v[2:5], v[14:15], v[12:13], v[2:5]
	v_cvt_f16_f32_e32 v12, v20
	v_cvt_pkrtz_f16_f32 v10, v10, v11
	v_cvt_pkrtz_f16_f32 v11, v8, v9
	v_mfma_f32_16x16x16_f16 v[2:5], v[6:7], v[50:51], v[2:5]
	v_cvt_f16_f32_e32 v6, v21
	v_cvt_f16_f32_e32 v7, v18
	;; [unrolled: 1-line block ×3, first 2 shown]
	v_mfma_f32_16x16x16_f16 v[2:5], v[10:11], v[52:53], v[2:5]
	s_nop 6
	v_pk_mul_f32 v[4:5], v[4:5], s[4:5] op_sel_hi:[1,0]
	v_pk_mul_f32 v[2:3], v[2:3], s[4:5] op_sel_hi:[1,0]
	v_cvt_f16_f32_e32 v11, v4
	v_cvt_f16_f32_e32 v9, v2
	v_cvt_f16_f32_e32 v10, v3
	v_cvt_f16_f32_e32 v5, v5
	v_cmp_gt_u32_e64 s[4:5], 32, v64
	v_pack_b32_f16 v2, v12, v6
	v_pack_b32_f16 v3, v7, v8
	;; [unrolled: 1-line block ×4, first 2 shown]
	s_and_b64 s[4:5], vcc, s[4:5]
	ds_write2st64_b64 v54, v[2:3], v[4:5] offset1:1
	s_waitcnt lgkmcnt(0)
	s_barrier
	s_and_saveexec_b64 s[8:9], s[4:5]
	s_cbranch_execz .LBB1005_17
; %bb.16:
	s_load_dwordx2 s[0:1], s[0:1], 0x68
	s_mul_i32 s2, s7, s2
	s_lshl_b32 s6, s6, 7
	v_lshlrev_b32_e32 v4, 6, v62
	s_mul_hi_u32 s5, s2, s6
	s_mul_i32 s4, s2, s6
	v_lshl_or_b32 v0, v0, 10, v4
	s_lshl_b64 s[4:5], s[4:5], 1
	v_lshlrev_b32_e32 v2, 5, v1
	v_and_b32_e32 v3, 16, v63
	v_and_b32_e32 v0, 0x1a00, v0
	s_waitcnt lgkmcnt(0)
	s_add_u32 s4, s0, s4
	v_or3_b32 v0, v0, v2, v3
	s_addc_u32 s5, s1, s5
	s_lshl_b32 s2, s22, 7
	ds_read_b128 v[2:5], v0
	s_lshl_b64 s[0:1], s[2:3], 1
	s_add_u32 s0, s4, s0
	v_or_b32_e32 v0, s23, v1
	s_addc_u32 s1, s5, s1
	v_mad_u64_u32 v[0:1], s[2:3], s6, v0, 0
	v_lshl_add_u64 v[0:1], v[0:1], 1, s[0:1]
	v_mov_b32_e32 v59, 0
	v_lshl_add_u64 v[0:1], v[0:1], 0, v[58:59]
	s_waitcnt lgkmcnt(0)
	global_store_dwordx4 v[0:1], v[2:5], off
.LBB1005_17:
	s_endpgm
	.section	.rodata,"a",@progbits
	.p2align	6, 0x0
	.amdhsa_kernel _Z39paged_attention_ll4mi_QKV_mfma16_kernelIDF16_hLN4vllm18Fp8KVCacheDataTypeE1EDF16_Li16ELi128ELi256ELb0ELi2EEvPKT_PKT0_S7_ifPKiS9_S9_iPKfiiiPfSC_PS2_PT2_iSB_SB_
		.amdhsa_group_segment_fixed_size 8192
		.amdhsa_private_segment_fixed_size 0
		.amdhsa_kernarg_size 400
		.amdhsa_user_sgpr_count 2
		.amdhsa_user_sgpr_dispatch_ptr 0
		.amdhsa_user_sgpr_queue_ptr 0
		.amdhsa_user_sgpr_kernarg_segment_ptr 1
		.amdhsa_user_sgpr_dispatch_id 0
		.amdhsa_user_sgpr_kernarg_preload_length 0
		.amdhsa_user_sgpr_kernarg_preload_offset 0
		.amdhsa_user_sgpr_private_segment_size 0
		.amdhsa_uses_dynamic_stack 0
		.amdhsa_enable_private_segment 0
		.amdhsa_system_sgpr_workgroup_id_x 1
		.amdhsa_system_sgpr_workgroup_id_y 1
		.amdhsa_system_sgpr_workgroup_id_z 1
		.amdhsa_system_sgpr_workgroup_info 0
		.amdhsa_system_vgpr_workitem_id 0
		.amdhsa_next_free_vgpr 90
		.amdhsa_next_free_sgpr 48
		.amdhsa_accum_offset 92
		.amdhsa_reserve_vcc 1
		.amdhsa_float_round_mode_32 0
		.amdhsa_float_round_mode_16_64 0
		.amdhsa_float_denorm_mode_32 3
		.amdhsa_float_denorm_mode_16_64 3
		.amdhsa_dx10_clamp 1
		.amdhsa_ieee_mode 1
		.amdhsa_fp16_overflow 0
		.amdhsa_tg_split 0
		.amdhsa_exception_fp_ieee_invalid_op 0
		.amdhsa_exception_fp_denorm_src 0
		.amdhsa_exception_fp_ieee_div_zero 0
		.amdhsa_exception_fp_ieee_overflow 0
		.amdhsa_exception_fp_ieee_underflow 0
		.amdhsa_exception_fp_ieee_inexact 0
		.amdhsa_exception_int_div_zero 0
	.end_amdhsa_kernel
	.section	.text._Z39paged_attention_ll4mi_QKV_mfma16_kernelIDF16_hLN4vllm18Fp8KVCacheDataTypeE1EDF16_Li16ELi128ELi256ELb0ELi2EEvPKT_PKT0_S7_ifPKiS9_S9_iPKfiiiPfSC_PS2_PT2_iSB_SB_,"axG",@progbits,_Z39paged_attention_ll4mi_QKV_mfma16_kernelIDF16_hLN4vllm18Fp8KVCacheDataTypeE1EDF16_Li16ELi128ELi256ELb0ELi2EEvPKT_PKT0_S7_ifPKiS9_S9_iPKfiiiPfSC_PS2_PT2_iSB_SB_,comdat
.Lfunc_end1005:
	.size	_Z39paged_attention_ll4mi_QKV_mfma16_kernelIDF16_hLN4vllm18Fp8KVCacheDataTypeE1EDF16_Li16ELi128ELi256ELb0ELi2EEvPKT_PKT0_S7_ifPKiS9_S9_iPKfiiiPfSC_PS2_PT2_iSB_SB_, .Lfunc_end1005-_Z39paged_attention_ll4mi_QKV_mfma16_kernelIDF16_hLN4vllm18Fp8KVCacheDataTypeE1EDF16_Li16ELi128ELi256ELb0ELi2EEvPKT_PKT0_S7_ifPKiS9_S9_iPKfiiiPfSC_PS2_PT2_iSB_SB_
                                        ; -- End function
	.section	.AMDGPU.csdata,"",@progbits
; Kernel info:
; codeLenInByte = 5944
; NumSgprs: 54
; NumVgprs: 90
; NumAgprs: 0
; TotalNumVgprs: 90
; ScratchSize: 0
; MemoryBound: 0
; FloatMode: 240
; IeeeMode: 1
; LDSByteSize: 8192 bytes/workgroup (compile time only)
; SGPRBlocks: 6
; VGPRBlocks: 11
; NumSGPRsForWavesPerEU: 54
; NumVGPRsForWavesPerEU: 90
; AccumOffset: 92
; Occupancy: 5
; WaveLimiterHint : 1
; COMPUTE_PGM_RSRC2:SCRATCH_EN: 0
; COMPUTE_PGM_RSRC2:USER_SGPR: 2
; COMPUTE_PGM_RSRC2:TRAP_HANDLER: 0
; COMPUTE_PGM_RSRC2:TGID_X_EN: 1
; COMPUTE_PGM_RSRC2:TGID_Y_EN: 1
; COMPUTE_PGM_RSRC2:TGID_Z_EN: 1
; COMPUTE_PGM_RSRC2:TIDIG_COMP_CNT: 0
; COMPUTE_PGM_RSRC3_GFX90A:ACCUM_OFFSET: 22
; COMPUTE_PGM_RSRC3_GFX90A:TG_SPLIT: 0
	.section	.text._Z39paged_attention_ll4mi_QKV_mfma16_kernelIDF16_hLN4vllm18Fp8KVCacheDataTypeE1EDF16_Li16ELi128ELi256ELb0ELi3EEvPKT_PKT0_S7_ifPKiS9_S9_iPKfiiiPfSC_PS2_PT2_iSB_SB_,"axG",@progbits,_Z39paged_attention_ll4mi_QKV_mfma16_kernelIDF16_hLN4vllm18Fp8KVCacheDataTypeE1EDF16_Li16ELi128ELi256ELb0ELi3EEvPKT_PKT0_S7_ifPKiS9_S9_iPKfiiiPfSC_PS2_PT2_iSB_SB_,comdat
	.protected	_Z39paged_attention_ll4mi_QKV_mfma16_kernelIDF16_hLN4vllm18Fp8KVCacheDataTypeE1EDF16_Li16ELi128ELi256ELb0ELi3EEvPKT_PKT0_S7_ifPKiS9_S9_iPKfiiiPfSC_PS2_PT2_iSB_SB_ ; -- Begin function _Z39paged_attention_ll4mi_QKV_mfma16_kernelIDF16_hLN4vllm18Fp8KVCacheDataTypeE1EDF16_Li16ELi128ELi256ELb0ELi3EEvPKT_PKT0_S7_ifPKiS9_S9_iPKfiiiPfSC_PS2_PT2_iSB_SB_
	.globl	_Z39paged_attention_ll4mi_QKV_mfma16_kernelIDF16_hLN4vllm18Fp8KVCacheDataTypeE1EDF16_Li16ELi128ELi256ELb0ELi3EEvPKT_PKT0_S7_ifPKiS9_S9_iPKfiiiPfSC_PS2_PT2_iSB_SB_
	.p2align	8
	.type	_Z39paged_attention_ll4mi_QKV_mfma16_kernelIDF16_hLN4vllm18Fp8KVCacheDataTypeE1EDF16_Li16ELi128ELi256ELb0ELi3EEvPKT_PKT0_S7_ifPKiS9_S9_iPKfiiiPfSC_PS2_PT2_iSB_SB_,@function
_Z39paged_attention_ll4mi_QKV_mfma16_kernelIDF16_hLN4vllm18Fp8KVCacheDataTypeE1EDF16_Li16ELi128ELi256ELb0ELi3EEvPKT_PKT0_S7_ifPKiS9_S9_iPKfiiiPfSC_PS2_PT2_iSB_SB_: ; @_Z39paged_attention_ll4mi_QKV_mfma16_kernelIDF16_hLN4vllm18Fp8KVCacheDataTypeE1EDF16_Li16ELi128ELi256ELb0ELi3EEvPKT_PKT0_S7_ifPKiS9_S9_iPKfiiiPfSC_PS2_PT2_iSB_SB_
; %bb.0:
	s_load_dwordx2 s[12:13], s[0:1], 0x30
	s_mov_b32 s24, s3
	s_mov_b64 s[6:7], 0
	s_waitcnt lgkmcnt(0)
	s_cmp_lg_u64 s[12:13], 0
	s_cselect_b64 s[14:15], -1, 0
	s_and_b64 vcc, exec, s[14:15]
	s_cbranch_vccz .LBB1006_7
; %bb.1:
	s_add_i32 s8, s2, 1
	s_mov_b32 s9, 0
	s_lshl_b64 s[10:11], s[8:9], 2
	s_add_u32 s10, s12, s10
	s_mov_b32 s3, s9
	s_addc_u32 s11, s13, s11
	s_lshl_b64 s[8:9], s[2:3], 2
	s_add_u32 s8, s12, s8
	s_addc_u32 s9, s13, s9
	s_load_dword s5, s[10:11], 0x0
	s_load_dword s16, s[8:9], 0x0
	s_waitcnt lgkmcnt(0)
	s_sub_i32 s5, s5, s16
	s_cmp_eq_u32 s5, 1
	s_cselect_b64 s[8:9], -1, 0
	s_andn2_b64 vcc, exec, s[6:7]
	s_cbranch_vccnz .LBB1006_3
.LBB1006_2:
	s_mov_b32 s3, 0
	s_mov_b64 s[8:9], -1
.LBB1006_3:
	s_andn2_b64 vcc, exec, s[8:9]
	s_cbranch_vccnz .LBB1006_17
; %bb.4:
	s_load_dwordx2 s[6:7], s[0:1], 0x28
	s_lshl_b64 s[16:17], s[2:3], 2
	s_waitcnt lgkmcnt(0)
	s_add_u32 s6, s6, s16
	s_addc_u32 s7, s7, s17
	s_load_dword s33, s[6:7], 0x0
	s_lshl_b32 s18, s24, 8
	s_waitcnt lgkmcnt(0)
	s_cmp_ge_i32 s18, s33
	s_cbranch_scc1 .LBB1006_17
; %bb.5:
	s_load_dwordx2 s[6:7], s[0:1], 0x20
	s_load_dword s8, s[0:1], 0x38
	s_add_i32 s5, s33, 15
	s_ashr_i32 s9, s5, 31
	v_and_b32_e32 v1, 0xcf, v0
	s_lshr_b32 s9, s9, 28
	v_add_u32_e32 v1, s18, v1
	s_add_i32 s5, s5, s9
	v_ashrrev_i32_e32 v2, 31, v1
	s_ashr_i32 s5, s5, 4
	v_lshrrev_b32_e32 v10, 28, v2
	s_add_i32 s5, s5, -1
	s_waitcnt lgkmcnt(0)
	s_mul_i32 s8, s2, s8
	s_mov_b32 s9, 0
	v_add_u32_e32 v2, v1, v10
	s_lshl_b64 s[8:9], s[8:9], 2
	v_ashrrev_i32_e32 v2, 4, v2
	v_mov_b32_e32 v11, s5
	v_cmp_gt_i32_e32 vcc, s33, v1
	s_add_u32 s6, s6, s8
	s_addc_u32 s7, s7, s9
	v_cndmask_b32_e32 v2, v11, v2, vcc
	v_ashrrev_i32_e32 v3, 31, v2
	v_lshl_add_u64 v[4:5], v[2:3], 2, s[6:7]
	v_or_b32_e32 v2, 16, v1
	v_add_u32_e32 v3, v2, v10
	v_ashrrev_i32_e32 v3, 4, v3
	v_cmp_gt_i32_e32 vcc, s33, v2
	s_load_dwordx4 s[8:11], s[0:1], 0x8
	s_nop 0
	v_cndmask_b32_e32 v2, v11, v3, vcc
	v_ashrrev_i32_e32 v3, 31, v2
	v_lshl_add_u64 v[6:7], v[2:3], 2, s[6:7]
	v_or_b32_e32 v2, 32, v1
	v_add_u32_e32 v3, v2, v10
	v_ashrrev_i32_e32 v3, 4, v3
	v_cmp_gt_i32_e32 vcc, s33, v2
	v_or_b32_e32 v1, 48, v1
	s_nop 0
	v_cndmask_b32_e32 v2, v11, v3, vcc
	v_ashrrev_i32_e32 v3, 31, v2
	v_lshl_add_u64 v[8:9], v[2:3], 2, s[6:7]
	v_add_u32_e32 v2, v1, v10
	v_ashrrev_i32_e32 v2, 4, v2
	v_cmp_gt_i32_e32 vcc, s33, v1
	s_nop 1
	v_cndmask_b32_e32 v2, v11, v2, vcc
	v_ashrrev_i32_e32 v3, 31, v2
	v_lshl_add_u64 v[10:11], v[2:3], 2, s[6:7]
	global_load_dword v3, v[4:5], off
	global_load_dword v2, v[6:7], off
	;; [unrolled: 1-line block ×4, first 2 shown]
	s_andn2_b64 vcc, exec, s[14:15]
	s_cbranch_vccnz .LBB1006_8
; %bb.6:
	s_add_u32 s12, s12, s16
	s_addc_u32 s13, s13, s17
	s_load_dword s14, s[12:13], 0x0
	s_branch .LBB1006_9
.LBB1006_7:
	s_mov_b64 s[8:9], 0
	s_branch .LBB1006_2
.LBB1006_8:
	s_mov_b32 s14, s2
.LBB1006_9:
	s_load_dwordx4 s[44:47], s[0:1], 0x48
	v_lshrrev_b32_e32 v61, 6, v0
	v_bfe_u32 v64, v0, 4, 2
	v_and_b32_e32 v60, 15, v0
	s_mul_i32 s48, s4, 3
	v_lshl_or_b32 v4, v61, 2, v64
	v_lshlrev_b32_e32 v5, 3, v60
	v_and_b32_e32 v66, 63, v0
	v_add_u32_e32 v1, s48, v64
	v_cmp_gt_u32_e32 vcc, 3, v4
	v_lshlrev_b32_e32 v58, 1, v5
	v_lshlrev_b32_e32 v65, 4, v0
	s_and_saveexec_b64 s[12:13], vcc
	s_cbranch_execz .LBB1006_11
; %bb.10:
	s_load_dwordx2 s[16:17], s[0:1], 0x0
	s_waitcnt lgkmcnt(0)
	s_ashr_i32 s15, s44, 31
	s_mul_hi_u32 s19, s14, s44
	s_mul_i32 s15, s14, s15
	s_add_i32 s15, s19, s15
	s_mul_i32 s14, s14, s44
	s_lshl_b64 s[14:15], s[14:15], 1
	s_add_u32 s14, s16, s14
	v_lshlrev_b32_e32 v6, 7, v1
	s_addc_u32 s15, s17, s15
	v_ashrrev_i32_e32 v7, 31, v6
	v_lshl_add_u64 v[6:7], v[6:7], 1, s[14:15]
	v_mov_b32_e32 v59, 0
	v_lshl_add_u64 v[6:7], v[6:7], 0, v[58:59]
	global_load_dwordx4 v[6:9], v[6:7], off
	v_lshlrev_b32_e32 v10, 8, v0
	v_lshlrev_b32_e32 v5, 8, v60
	v_and_b32_e32 v10, 0x600, v10
	s_movk_i32 s14, 0x800
	v_and_or_b32 v5, v5, s14, v10
	v_lshlrev_b32_e32 v4, 5, v4
	v_and_b32_e32 v10, 16, v65
	v_or3_b32 v4, v5, v4, v10
	s_waitcnt vmcnt(0)
	ds_write_b128 v4, v[6:9]
.LBB1006_11:
	s_or_b64 exec, exec, s[12:13]
	s_waitcnt lgkmcnt(0)
	s_mul_i32 s4, s4, s46
	s_add_u32 s8, s8, s4
	s_addc_u32 s9, s9, 0
	v_and_b32_e32 v62, 0xf0, v65
	v_mov_b32_e32 v63, 0
	v_and_b32_e32 v16, 48, v0
	v_lshl_add_u64 v[6:7], s[8:9], 0, v[62:63]
	v_lshlrev_b32_e32 v62, 4, v16
	s_waitcnt vmcnt(3)
	v_mad_i64_i32 v[4:5], s[8:9], v3, s45, v[6:7]
	v_lshl_add_u64 v[4:5], v[4:5], 0, v[62:63]
	s_load_dword s25, s[0:1], 0x98
	s_load_dwordx4 s[40:43], s[0:1], 0x80
	s_waitcnt lgkmcnt(0)
	s_barrier
	global_load_dwordx4 v[22:25], v[4:5], off
	global_load_dwordx4 v[10:13], v[4:5], off offset:1024
	s_waitcnt vmcnt(4)
	v_mad_i64_i32 v[2:3], s[12:13], v2, s45, v[6:7]
	v_lshl_add_u64 v[8:9], v[2:3], 0, v[62:63]
	global_load_dwordx4 v[2:5], v[8:9], off
	v_mul_lo_u16_e32 v17, 0x56, v60
	v_mov_b32_e32 v18, 3
	v_or_b32_e32 v16, s18, v16
	v_mov_b32_e32 v20, s5
	v_mul_lo_u16_sdwa v17, v17, v18 dst_sel:DWORD dst_unused:UNUSED_PAD src0_sel:BYTE_1 src1_sel:DWORD
	v_ashrrev_i32_e32 v18, 4, v16
	v_or_b32_e32 v21, 64, v16
	v_cmp_gt_i32_e32 vcc, s33, v16
	v_mov_b32_e32 v19, 5
	v_sub_u16_e32 v17, v60, v17
	v_or_b32_e32 v26, 0x80, v16
	v_or_b32_e32 v27, 0xc0, v16
	v_cndmask_b32_e32 v40, v20, v18, vcc
	v_ashrrev_i32_e32 v16, 4, v21
	v_cmp_gt_i32_e32 vcc, s33, v21
	v_lshlrev_b32_sdwa v17, v19, v17 dst_sel:DWORD dst_unused:UNUSED_PAD src0_sel:DWORD src1_sel:BYTE_0
	v_ashrrev_i32_e32 v18, 4, v26
	v_cndmask_b32_e32 v44, v20, v16, vcc
	v_cmp_gt_i32_e32 vcc, s33, v26
	v_ashrrev_i32_e32 v19, 4, v27
	v_lshl_add_u32 v36, v64, 9, v17
	v_cndmask_b32_e32 v46, v20, v18, vcc
	v_cmp_gt_i32_e32 vcc, s33, v27
	s_waitcnt vmcnt(4)
	v_mad_i64_i32 v[34:35], s[12:13], v14, s45, v[6:7]
	v_cndmask_b32_e32 v38, v20, v19, vcc
	ds_read_b128 v[26:29], v36
	ds_read_b128 v[18:21], v36 offset:16
	global_load_dwordx4 v[30:33], v[8:9], off offset:1024
	s_waitcnt vmcnt(4)
	v_mad_i64_i32 v[42:43], s[12:13], v15, s45, v[6:7]
	v_ashrrev_i32_e32 v41, 31, v40
	ds_read_b128 v[14:17], v36 offset:2048
	ds_read_b128 v[6:9], v36 offset:2064
	v_lshl_add_u64 v[36:37], v[34:35], 0, v[62:63]
	v_lshl_add_u64 v[34:35], v[42:43], 0, v[62:63]
	v_ashrrev_i32_e32 v45, 31, v44
	v_ashrrev_i32_e32 v47, 31, v46
	;; [unrolled: 1-line block ×3, first 2 shown]
	v_lshl_add_u64 v[50:51], v[40:41], 2, s[6:7]
	v_lshl_add_u64 v[52:53], v[44:45], 2, s[6:7]
	;; [unrolled: 1-line block ×4, first 2 shown]
	global_load_dwordx4 v[46:49], v[36:37], off
	global_load_dwordx4 v[42:45], v[36:37], off offset:1024
	global_load_dwordx4 v[38:41], v[34:35], off
	s_nop 0
	global_load_dwordx4 v[34:37], v[34:35], off offset:1024
	s_nop 0
	global_load_dword v70, v[50:51], off
	global_load_dword v69, v[52:53], off
	global_load_dword v68, v[54:55], off
	global_load_dword v67, v[56:57], off
	s_add_u32 s4, s10, s4
	v_lshl_or_b32 v59, v61, 4, v60
	s_addc_u32 s5, s11, 0
	v_lshlrev_b32_e32 v62, 4, v59
	s_load_dword s8, s[0:1], 0x1c
	s_waitcnt vmcnt(11)
	v_cvt_pk_f32_fp8_e32 v[50:51], v22
	v_cvt_pk_f32_fp8_sdwa v[52:53], v22 src0_sel:WORD_1
	v_cvt_pk_f32_fp8_e32 v[54:55], v23
	v_cvt_pk_f32_fp8_sdwa v[22:23], v23 src0_sel:WORD_1
	s_waitcnt vmcnt(10)
	v_cvt_pk_f32_fp8_e32 v[78:79], v10
	v_cvt_pk_f32_fp8_sdwa v[80:81], v10 src0_sel:WORD_1
	v_cvt_pk_f32_fp8_e32 v[82:83], v11
	v_cvt_pk_f32_fp8_sdwa v[84:85], v11 src0_sel:WORD_1
	v_cvt_pkrtz_f16_f32 v10, v50, v51
	v_cvt_pkrtz_f16_f32 v11, v52, v53
	v_cvt_pk_f32_fp8_e32 v[56:57], v24
	v_cvt_pk_f32_fp8_sdwa v[72:73], v24 src0_sel:WORD_1
	v_cvt_pkrtz_f16_f32 v54, v54, v55
	v_cvt_pkrtz_f16_f32 v55, v22, v23
	v_cvt_pk_f32_fp8_e32 v[74:75], v25
	v_cvt_pk_f32_fp8_sdwa v[76:77], v25 src0_sel:WORD_1
	s_waitcnt lgkmcnt(0)
	v_mfma_f32_16x16x16_f16 v[22:25], v[10:11], v[26:27], 0
	v_cvt_pkrtz_f16_f32 v10, v56, v57
	v_cvt_pkrtz_f16_f32 v11, v72, v73
	v_cvt_pkrtz_f16_f32 v56, v74, v75
	v_mfma_f32_16x16x16_f16 v[22:25], v[54:55], v[28:29], v[22:25]
	v_cvt_pkrtz_f16_f32 v57, v76, v77
	v_cvt_pk_f32_fp8_e32 v[50:51], v12
	v_cvt_pk_f32_fp8_sdwa v[52:53], v12 src0_sel:WORD_1
	v_cvt_pk_f32_fp8_e32 v[86:87], v13
	v_cvt_pk_f32_fp8_sdwa v[54:55], v13 src0_sel:WORD_1
	v_mfma_f32_16x16x16_f16 v[10:13], v[10:11], v[18:19], v[22:25]
	v_cvt_pkrtz_f16_f32 v72, v82, v83
	v_cvt_pkrtz_f16_f32 v73, v84, v85
	;; [unrolled: 1-line block ×5, first 2 shown]
	v_mfma_f32_16x16x16_f16 v[10:13], v[56:57], v[20:21], v[10:13]
	s_waitcnt vmcnt(9)
	v_cvt_pk_f32_fp8_e32 v[22:23], v2
	v_cvt_pk_f32_fp8_sdwa v[56:57], v2 src0_sel:WORD_1
	v_cvt_pkrtz_f16_f32 v51, v52, v53
	v_mfma_f32_16x16x16_f16 v[10:13], v[24:25], v[14:15], v[10:13]
	v_cvt_pk_f32_fp8_e32 v[24:25], v3
	v_cvt_pk_f32_fp8_sdwa v[2:3], v3 src0_sel:WORD_1
	v_cvt_pkrtz_f16_f32 v52, v86, v87
	v_mfma_f32_16x16x16_f16 v[10:13], v[72:73], v[16:17], v[10:13]
	v_cvt_pkrtz_f16_f32 v53, v54, v55
	v_cvt_pkrtz_f16_f32 v22, v22, v23
	;; [unrolled: 1-line block ×3, first 2 shown]
	v_mfma_f32_16x16x16_f16 v[10:13], v[50:51], v[6:7], v[10:13]
	v_cvt_pk_f32_fp8_e32 v[54:55], v4
	v_cvt_pk_f32_fp8_sdwa v[56:57], v4 src0_sel:WORD_1
	v_cvt_pkrtz_f16_f32 v24, v24, v25
	v_cvt_pkrtz_f16_f32 v25, v2, v3
	v_mfma_f32_16x16x16_f16 v[50:53], v[52:53], v[8:9], v[10:13]
	s_waitcnt vmcnt(7)
	v_cvt_pk_f32_fp8_e32 v[74:75], v49
	v_lshl_add_u64 v[72:73], s[4:5], 0, v[62:63]
	s_waitcnt vmcnt(6)
	v_cvt_pk_f32_fp8_sdwa v[78:79], v44 src0_sel:WORD_1
	v_mfma_f32_16x16x16_f16 v[10:13], v[22:23], v[26:27], 0
	v_cvt_pkrtz_f16_f32 v22, v54, v55
	v_cvt_pkrtz_f16_f32 v23, v56, v57
	v_cvt_pk_f32_fp8_e32 v[54:55], v5
	v_cvt_pk_f32_fp8_sdwa v[56:57], v5 src0_sel:WORD_1
	v_mfma_f32_16x16x16_f16 v[2:5], v[24:25], v[28:29], v[10:13]
	v_cvt_pk_f32_fp8_e32 v[24:25], v32
	v_or_b32_e32 v62, 0x400, v62
	s_nop 0
	v_cvt_pkrtz_f16_f32 v10, v54, v55
	v_cvt_pkrtz_f16_f32 v11, v56, v57
	v_mfma_f32_16x16x16_f16 v[2:5], v[22:23], v[18:19], v[2:5]
	v_cvt_pk_f32_fp8_e32 v[12:13], v30
	v_cvt_pk_f32_fp8_sdwa v[22:23], v30 src0_sel:WORD_1
	v_cvt_pkrtz_f16_f32 v12, v12, v13
	v_mfma_f32_16x16x16_f16 v[2:5], v[10:11], v[20:21], v[2:5]
	v_cvt_pk_f32_fp8_e32 v[10:11], v31
	v_cvt_pkrtz_f16_f32 v13, v22, v23
	v_cvt_pk_f32_fp8_sdwa v[22:23], v31 src0_sel:WORD_1
	v_cvt_pk_f32_fp8_sdwa v[30:31], v32 src0_sel:WORD_1
	v_cvt_pkrtz_f16_f32 v10, v10, v11
	v_mfma_f32_16x16x16_f16 v[2:5], v[12:13], v[14:15], v[2:5]
	v_cvt_pkrtz_f16_f32 v11, v22, v23
	v_cvt_pkrtz_f16_f32 v12, v24, v25
	;; [unrolled: 1-line block ×3, first 2 shown]
	v_cvt_pk_f32_fp8_e32 v[22:23], v33
	v_cvt_pk_f32_fp8_sdwa v[24:25], v33 src0_sel:WORD_1
	v_mfma_f32_16x16x16_f16 v[2:5], v[10:11], v[16:17], v[2:5]
	v_cvt_pkrtz_f16_f32 v10, v22, v23
	v_cvt_pkrtz_f16_f32 v11, v24, v25
	v_mfma_f32_16x16x16_f16 v[2:5], v[12:13], v[6:7], v[2:5]
	v_cvt_pk_f32_fp8_e32 v[12:13], v46
	v_cvt_pk_f32_fp8_sdwa v[22:23], v46 src0_sel:WORD_1
	v_cvt_pk_f32_fp8_sdwa v[24:25], v48 src0_sel:WORD_1
	v_mfma_f32_16x16x16_f16 v[54:57], v[10:11], v[8:9], v[2:5]
	v_cvt_pk_f32_fp8_sdwa v[10:11], v47 src0_sel:WORD_1
	s_nop 1
	v_cvt_pkrtz_f16_f32 v2, v12, v13
	v_cvt_pkrtz_f16_f32 v3, v22, v23
	v_cvt_pk_f32_fp8_e32 v[4:5], v47
	v_cvt_pkrtz_f16_f32 v23, v10, v11
	v_cvt_pk_f32_fp8_e32 v[10:11], v48
	v_cvt_pk_f32_fp8_sdwa v[48:49], v49 src0_sel:WORD_1
	v_cvt_pkrtz_f16_f32 v22, v4, v5
	v_mfma_f32_16x16x16_f16 v[2:5], v[2:3], v[26:27], 0
	v_cvt_pkrtz_f16_f32 v10, v10, v11
	v_cvt_pkrtz_f16_f32 v11, v24, v25
	s_waitcnt vmcnt(3)
	v_mad_i64_i32 v[12:13], s[6:7], v70, s45, v[72:73]
	v_mfma_f32_16x16x16_f16 v[2:5], v[22:23], v[28:29], v[2:5]
	s_waitcnt vmcnt(2)
	v_mad_i64_i32 v[46:47], s[6:7], v69, s45, v[72:73]
	global_load_dwordx4 v[30:33], v[12:13], off
	global_load_dwordx4 v[22:25], v[46:47], off
	v_cvt_pkrtz_f16_f32 v12, v74, v75
	v_cvt_pkrtz_f16_f32 v13, v48, v49
	v_mfma_f32_16x16x16_f16 v[2:5], v[10:11], v[18:19], v[2:5]
	v_cvt_pk_f32_fp8_e32 v[10:11], v42
	v_cvt_pk_f32_fp8_sdwa v[46:47], v42 src0_sel:WORD_1
	s_waitcnt vmcnt(3)
	v_mad_i64_i32 v[74:75], s[6:7], v68, s45, v[72:73]
	v_mfma_f32_16x16x16_f16 v[2:5], v[12:13], v[20:21], v[2:5]
	v_cvt_pkrtz_f16_f32 v10, v10, v11
	v_cvt_pkrtz_f16_f32 v11, v46, v47
	v_cvt_pk_f32_fp8_e32 v[12:13], v43
	v_cvt_pk_f32_fp8_sdwa v[42:43], v43 src0_sel:WORD_1
	v_mfma_f32_16x16x16_f16 v[46:49], v[10:11], v[14:15], v[2:5]
	v_cvt_pkrtz_f16_f32 v76, v12, v13
	v_cvt_pkrtz_f16_f32 v77, v42, v43
	v_cvt_pk_f32_fp8_e32 v[42:43], v44
	s_waitcnt vmcnt(2)
	v_mad_i64_i32 v[72:73], s[6:7], v67, s45, v[72:73]
	global_load_dwordx4 v[10:13], v[74:75], off
	global_load_dwordx4 v[2:5], v[72:73], off
	v_cvt_pkrtz_f16_f32 v72, v42, v43
	v_cvt_pkrtz_f16_f32 v73, v78, v79
	v_cvt_pk_f32_fp8_e32 v[74:75], v45
	v_cvt_pk_f32_fp8_sdwa v[78:79], v45 src0_sel:WORD_1
	v_mfma_f32_16x16x16_f16 v[44:47], v[76:77], v[16:17], v[46:49]
	v_lshl_add_u64 v[42:43], s[4:5], 0, v[62:63]
	v_cvt_pk_f32_fp8_e32 v[62:63], v38
	v_cvt_pk_f32_fp8_sdwa v[76:77], v38 src0_sel:WORD_1
	v_cvt_pkrtz_f16_f32 v48, v74, v75
	v_cvt_pkrtz_f16_f32 v49, v78, v79
	v_mfma_f32_16x16x16_f16 v[44:47], v[72:73], v[6:7], v[44:47]
	s_load_dword s4, s[40:41], 0x0
	s_mov_b32 s40, 0xff7fffff
	v_mfma_f32_16x16x16_f16 v[72:75], v[48:49], v[8:9], v[44:47]
	s_nop 3
	v_cvt_pk_f32_fp8_e32 v[44:45], v39
	v_cvt_pkrtz_f16_f32 v46, v62, v63
	v_cvt_pkrtz_f16_f32 v47, v76, v77
	v_cvt_pk_f32_fp8_sdwa v[38:39], v39 src0_sel:WORD_1
	v_cvt_pkrtz_f16_f32 v48, v44, v45
	v_cvt_pk_f32_fp8_e32 v[62:63], v40
	v_cvt_pk_f32_fp8_sdwa v[76:77], v40 src0_sel:WORD_1
	v_cvt_pkrtz_f16_f32 v49, v38, v39
	v_mfma_f32_16x16x16_f16 v[44:47], v[46:47], v[26:27], 0
	v_cvt_pkrtz_f16_f32 v38, v62, v63
	v_cvt_pkrtz_f16_f32 v39, v76, v77
	v_cvt_pk_f32_fp8_e32 v[62:63], v41
	v_cvt_pk_f32_fp8_sdwa v[76:77], v41 src0_sel:WORD_1
	v_mov_b32_e32 v26, s8
	s_waitcnt lgkmcnt(0)
	v_mul_f32_e32 v78, s4, v26
	v_mfma_f32_16x16x16_f16 v[26:29], v[48:49], v[28:29], v[44:47]
	v_cvt_pk_f32_fp8_sdwa v[48:49], v37 src0_sel:WORD_1
	v_pk_mul_f32 v[40:41], v[78:79], v[52:53] op_sel_hi:[0,1]
	v_pk_mul_f32 v[52:53], v[78:79], v[54:55] op_sel_hi:[0,1]
	v_cvt_pkrtz_f16_f32 v46, v62, v63
	v_cvt_pkrtz_f16_f32 v47, v76, v77
	v_mfma_f32_16x16x16_f16 v[26:29], v[38:39], v[18:19], v[26:29]
	v_cvt_pk_f32_fp8_e32 v[18:19], v34
	v_cvt_pk_f32_fp8_sdwa v[38:39], v34 src0_sel:WORD_1
	v_pk_mul_f32 v[44:45], v[78:79], v[50:51] op_sel_hi:[0,1]
	v_mfma_f32_16x16x16_f16 v[26:29], v[46:47], v[20:21], v[26:29]
	v_cvt_pkrtz_f16_f32 v20, v18, v19
	v_cvt_pkrtz_f16_f32 v21, v38, v39
	v_cvt_pk_f32_fp8_e32 v[38:39], v35
	v_cvt_pk_f32_fp8_sdwa v[34:35], v35 src0_sel:WORD_1
	v_mfma_f32_16x16x16_f16 v[26:29], v[20:21], v[14:15], v[26:29]
	v_cvt_pkrtz_f16_f32 v38, v38, v39
	v_cvt_pkrtz_f16_f32 v39, v34, v35
	v_cvt_pk_f32_fp8_e32 v[14:15], v36
	v_cvt_pk_f32_fp8_sdwa v[20:21], v36 src0_sel:WORD_1
	v_pk_mul_f32 v[50:51], v[78:79], v[72:73] op_sel_hi:[0,1]
	v_mad_i64_i32 v[18:19], s[4:5], v70, s45, v[42:43]
	v_cvt_pkrtz_f16_f32 v46, v14, v15
	v_cvt_pkrtz_f16_f32 v47, v20, v21
	v_cvt_pk_f32_fp8_e32 v[20:21], v37
	v_mfma_f32_16x16x16_f16 v[14:17], v[38:39], v[16:17], v[26:29]
	v_pk_mul_f32 v[36:37], v[78:79], v[56:57] op_sel_hi:[0,1]
	v_mad_i64_i32 v[34:35], s[4:5], v69, s45, v[42:43]
	v_cvt_pkrtz_f16_f32 v20, v20, v21
	v_cvt_pkrtz_f16_f32 v21, v48, v49
	v_mfma_f32_16x16x16_f16 v[14:17], v[46:47], v[6:7], v[14:17]
	v_pk_mul_f32 v[46:47], v[78:79], v[74:75] op_sel_hi:[0,1]
	v_mfma_f32_16x16x16_f16 v[6:9], v[20:21], v[8:9], v[14:17]
	global_load_dwordx4 v[26:29], v[18:19], off
	s_nop 0
	global_load_dwordx4 v[18:21], v[34:35], off
	s_nop 3
	v_pk_mul_f32 v[48:49], v[78:79], v[6:7] op_sel_hi:[0,1]
	v_and_b32_e32 v6, 0xc0, v0
	v_add_u32_e32 v6, s18, v6
	v_lshl_or_b32 v6, v64, 2, v6
	v_pk_mul_f32 v[38:39], v[78:79], v[8:9] op_sel_hi:[0,1]
	v_or_b32_e32 v9, 1, v6
	v_mov_b32_e32 v7, 0xff7fffff
	v_cmp_gt_i32_e64 s[26:27], s33, v6
	v_cmp_gt_i32_e64 s[28:29], s33, v9
	v_or_b32_e32 v14, 3, v6
	v_cndmask_b32_e64 v8, v7, v44, s[26:27]
	v_cndmask_b32_e64 v9, v7, v45, s[28:29]
	v_max3_f32 v8, v8, s40, v9
	v_or_b32_e32 v9, 2, v6
	v_cmp_gt_i32_e64 s[30:31], s33, v9
	v_cmp_gt_i32_e64 s[34:35], s33, v14
	s_nop 0
	v_cndmask_b32_e64 v9, v7, v40, s[30:31]
	v_cndmask_b32_e64 v14, v7, v41, s[34:35]
	v_max3_f32 v8, v8, v9, v14
	v_or_b32_e32 v9, 16, v6
	v_or_b32_e32 v14, 17, v6
	v_cmp_gt_i32_e64 s[18:19], s33, v9
	v_cmp_gt_i32_e64 s[20:21], s33, v14
	s_nop 0
	v_cndmask_b32_e64 v9, v7, v52, s[18:19]
	v_cndmask_b32_e64 v14, v7, v53, s[20:21]
	v_max3_f32 v8, v8, v9, v14
	v_or_b32_e32 v9, 18, v6
	;; [unrolled: 8-line block ×5, first 2 shown]
	v_or_b32_e32 v14, 49, v6
	v_cmp_gt_i32_e32 vcc, s33, v9
	v_cmp_gt_i32_e64 s[4:5], s33, v14
	s_nop 0
	v_cndmask_b32_e32 v9, v7, v48, vcc
	v_cndmask_b32_e64 v14, v7, v49, s[4:5]
	v_max3_f32 v8, v8, v9, v14
	v_or_b32_e32 v9, 50, v6
	v_or_b32_e32 v6, 51, v6
	v_cmp_gt_i32_e64 s[6:7], s33, v9
	v_cmp_gt_i32_e64 s[8:9], s33, v6
	s_nop 0
	v_cndmask_b32_e64 v9, v7, v38, s[6:7]
	v_cndmask_b32_e64 v6, v7, v39, s[8:9]
	v_max3_f32 v8, v8, v9, v6
	v_mbcnt_lo_u32_b32 v6, -1, 0
	v_mbcnt_hi_u32_b32 v9, -1, v6
	v_and_b32_e32 v6, 64, v9
	v_add_u32_e32 v14, 64, v6
	v_xor_b32_e32 v6, 32, v9
	v_cmp_lt_i32_e64 s[38:39], v6, v14
	s_nop 1
	v_cndmask_b32_e64 v6, v9, v6, s[38:39]
	v_lshlrev_b32_e32 v55, 2, v6
	ds_bpermute_b32 v15, v55, v8
	v_mad_i64_i32 v[6:7], s[38:39], v68, s45, v[42:43]
	s_waitcnt lgkmcnt(0)
	v_max_f32_e32 v15, v15, v15
	v_max_f32_e32 v34, v8, v15
	v_xor_b32_e32 v8, 16, v9
	v_cmp_lt_i32_e64 s[38:39], v8, v14
	s_nop 1
	v_cndmask_b32_e64 v8, v9, v8, s[38:39]
	v_lshlrev_b32_e32 v56, 2, v8
	v_mad_i64_i32 v[8:9], s[38:39], v67, s45, v[42:43]
	global_load_dwordx4 v[14:17], v[6:7], off
	s_nop 0
	global_load_dwordx4 v[6:9], v[8:9], off
	ds_bpermute_b32 v35, v56, v34
	s_waitcnt lgkmcnt(0)
	s_barrier
	v_max_f32_e32 v35, v35, v35
	v_max_f32_e32 v54, v34, v35
	v_sub_f32_e32 v42, v52, v54
	v_mul_f32_e32 v42, 0x3fb8aa3b, v42
	v_exp_f32_e32 v42, v42
	v_sub_f32_e32 v36, v36, v54
	v_sub_f32_e32 v34, v44, v54
	v_mul_f32_e32 v36, 0x3fb8aa3b, v36
	v_mul_f32_e32 v34, 0x3fb8aa3b, v34
	v_sub_f32_e32 v35, v45, v54
	v_sub_f32_e32 v43, v53, v54
	v_exp_f32_e32 v44, v36
	v_sub_f32_e32 v36, v37, v54
	v_sub_f32_e32 v48, v48, v54
	;; [unrolled: 1-line block ×3, first 2 shown]
	v_exp_f32_e32 v34, v34
	v_mul_f32_e32 v35, 0x3fb8aa3b, v35
	v_sub_f32_e32 v40, v40, v54
	v_mul_f32_e32 v43, 0x3fb8aa3b, v43
	v_mul_f32_e32 v36, 0x3fb8aa3b, v36
	;; [unrolled: 1-line block ×4, first 2 shown]
	v_exp_f32_e32 v35, v35
	v_mul_f32_e32 v40, 0x3fb8aa3b, v40
	v_sub_f32_e32 v41, v41, v54
	v_exp_f32_e32 v43, v43
	v_exp_f32_e32 v45, v36
	v_cndmask_b32_e64 v36, 0, v42, s[18:19]
	v_sub_f32_e32 v42, v50, v54
	v_exp_f32_e32 v48, v48
	v_exp_f32_e32 v50, v38
	;; [unrolled: 1-line block ×3, first 2 shown]
	v_mul_f32_e32 v41, 0x3fb8aa3b, v41
	v_exp_f32_e32 v41, v41
	v_sub_f32_e32 v38, v39, v54
	v_cndmask_b32_e64 v34, 0, v34, s[26:27]
	v_mul_f32_e32 v38, 0x3fb8aa3b, v38
	v_cndmask_b32_e64 v35, 0, v35, s[28:29]
	v_cndmask_b32_e64 v37, 0, v43, s[20:21]
	v_sub_f32_e32 v43, v51, v54
	v_exp_f32_e32 v51, v38
	v_cndmask_b32_e32 v38, 0, v48, vcc
	v_cndmask_b32_e64 v48, 0, v50, s[6:7]
	v_add_f32_e32 v50, 0, v34
	v_cndmask_b32_e64 v40, 0, v40, s[30:31]
	v_add_f32_e32 v50, v50, v35
	v_cndmask_b32_e64 v41, 0, v41, s[34:35]
	v_mul_f32_e32 v42, 0x3fb8aa3b, v42
	v_add_f32_e32 v50, v50, v40
	v_exp_f32_e32 v42, v42
	v_mul_f32_e32 v43, 0x3fb8aa3b, v43
	v_sub_f32_e32 v46, v46, v54
	v_add_f32_e32 v50, v50, v41
	v_exp_f32_e32 v43, v43
	v_mul_f32_e32 v46, 0x3fb8aa3b, v46
	v_sub_f32_e32 v47, v47, v54
	v_add_f32_e32 v50, v50, v36
	v_cndmask_b32_e64 v44, 0, v44, s[22:23]
	v_exp_f32_e32 v46, v46
	v_mul_f32_e32 v47, 0x3fb8aa3b, v47
	v_add_f32_e32 v50, v50, v37
	v_cndmask_b32_e64 v45, 0, v45, s[36:37]
	v_exp_f32_e32 v47, v47
	v_sub_f32_e32 v49, v49, v54
	v_add_f32_e32 v50, v50, v44
	v_cndmask_b32_e64 v42, 0, v42, s[10:11]
	v_mul_f32_e32 v49, 0x3fb8aa3b, v49
	v_add_f32_e32 v50, v50, v45
	v_cndmask_b32_e64 v43, 0, v43, s[12:13]
	v_exp_f32_e32 v49, v49
	v_add_f32_e32 v50, v50, v42
	v_cndmask_b32_e64 v46, 0, v46, s[14:15]
	v_add_f32_e32 v50, v50, v43
	v_cndmask_b32_e64 v47, 0, v47, s[16:17]
	v_add_f32_e32 v50, v50, v46
	v_add_f32_e32 v50, v50, v47
	v_cndmask_b32_e64 v39, 0, v49, s[4:5]
	v_add_f32_e32 v50, v50, v38
	;; [unrolled: 3-line block ×3, first 2 shown]
	v_add_f32_e32 v50, v50, v49
	ds_bpermute_b32 v51, v55, v50
	v_cmp_gt_u32_e32 vcc, 16, v66
	s_waitcnt lgkmcnt(0)
	v_add_f32_e32 v50, v50, v51
	ds_bpermute_b32 v51, v56, v50
	s_and_saveexec_b64 s[4:5], vcc
	s_cbranch_execz .LBB1006_13
; %bb.12:
	s_waitcnt lgkmcnt(0)
	v_add_f32_e32 v50, v50, v51
	v_lshlrev_b32_e32 v51, 2, v59
	ds_write2st64_b32 v51, v54, v50 offset1:1
.LBB1006_13:
	s_or_b64 exec, exec, s[4:5]
	s_waitcnt lgkmcnt(0)
	v_lshlrev_b32_e32 v51, 2, v60
	s_load_dword s6, s[0:1], 0x94
	s_waitcnt lgkmcnt(0)
	s_barrier
	ds_read2_b32 v[52:53], v51 offset1:16
	ds_read2_b32 v[54:55], v51 offset0:32 offset1:48
	ds_read2_b32 v[56:57], v51 offset0:64 offset1:80
	s_mul_i32 s7, s25, 3
	s_waitcnt lgkmcnt(2)
	v_max3_f32 v50, v52, s40, v53
	s_waitcnt lgkmcnt(1)
	v_max3_f32 v50, v50, v54, v55
	v_sub_f32_e32 v52, v52, v50
	v_mul_f32_e32 v52, 0x3fb8aa3b, v52
	v_exp_f32_e32 v59, v52
	v_sub_f32_e32 v52, v53, v50
	v_mul_f32_e32 v52, 0x3fb8aa3b, v52
	v_exp_f32_e32 v62, v52
	;; [unrolled: 3-line block ×3, first 2 shown]
	ds_read2_b32 v[52:53], v51 offset0:96 offset1:112
	v_sub_f32_e32 v51, v55, v50
	v_mul_f32_e32 v51, 0x3fb8aa3b, v51
	v_exp_f32_e32 v55, v51
	s_waitcnt lgkmcnt(1)
	v_fma_f32 v51, v59, v56, 0
	v_fmac_f32_e32 v51, v62, v57
	s_waitcnt lgkmcnt(0)
	v_fmac_f32_e32 v51, v54, v52
	v_fmac_f32_e32 v51, v55, v53
	v_add_f32_e32 v52, 0x358637bd, v51
	v_div_scale_f32 v53, s[4:5], v52, v52, 1.0
	v_rcp_f32_e32 v56, v53
	s_barrier
	v_fma_f32 v57, -v53, v56, 1.0
	v_fmac_f32_e32 v56, v57, v56
	v_div_scale_f32 v57, vcc, 1.0, v52, 1.0
	v_mul_f32_e32 v63, v57, v56
	v_fma_f32 v66, -v53, v63, v57
	v_fmac_f32_e32 v63, v66, v56
	v_fma_f32 v53, -v53, v63, v57
	v_div_fmas_f32 v53, v53, v56, v63
	v_cmp_eq_u32_e32 vcc, 1, v61
	v_div_fixup_f32 v52, v53, v52, 1.0
	s_nop 0
	v_cndmask_b32_e32 v53, v59, v62, vcc
	v_cmp_eq_u32_e32 vcc, 2, v61
	s_nop 1
	v_cndmask_b32_e32 v53, v53, v54, vcc
	v_cmp_eq_u32_e32 vcc, 3, v61
	s_nop 1
	v_cndmask_b32_e32 v53, v53, v55, vcc
	v_mul_f32_e32 v52, v53, v52
	v_pk_mul_f32 v[40:41], v[52:53], v[40:41] op_sel_hi:[0,1]
	v_pk_mul_f32 v[34:35], v[52:53], v[34:35] op_sel_hi:[0,1]
	v_cvt_f16_f32_e32 v53, v40
	v_cvt_f16_f32_e32 v34, v34
	;; [unrolled: 1-line block ×4, first 2 shown]
	v_pk_mul_f32 v[44:45], v[52:53], v[44:45] op_sel_hi:[0,1]
	v_pk_mul_f32 v[36:37], v[52:53], v[36:37] op_sel_hi:[0,1]
	v_cvt_f16_f32_e32 v36, v36
	v_cvt_f16_f32_e32 v37, v37
	;; [unrolled: 1-line block ×4, first 2 shown]
	v_pack_b32_f16 v40, v34, v35
	v_pack_b32_f16 v41, v53, v41
	v_lshlrev_b32_e32 v35, 3, v64
	v_lshlrev_b32_e32 v34, 5, v60
	;; [unrolled: 1-line block ×3, first 2 shown]
	v_or3_b32 v54, v53, v34, v35
	v_pack_b32_f16 v36, v36, v37
	v_pack_b32_f16 v37, v44, v45
	ds_write2st64_b64 v54, v[40:41], v[36:37] offset1:1
	v_pk_mul_f32 v[36:37], v[52:53], v[46:47] op_sel_hi:[0,1]
	v_pk_mul_f32 v[40:41], v[52:53], v[42:43] op_sel_hi:[0,1]
	v_cvt_f16_f32_e32 v35, v40
	v_cvt_f16_f32_e32 v40, v41
	;; [unrolled: 1-line block ×4, first 2 shown]
	v_pk_mul_f32 v[36:37], v[52:53], v[48:49] op_sel_hi:[0,1]
	v_pk_mul_f32 v[38:39], v[52:53], v[38:39] op_sel_hi:[0,1]
	v_cvt_f16_f32_e32 v38, v38
	v_cvt_f16_f32_e32 v39, v39
	;; [unrolled: 1-line block ×4, first 2 shown]
	v_pack_b32_f16 v36, v35, v40
	v_pack_b32_f16 v37, v41, v42
	;; [unrolled: 1-line block ×4, first 2 shown]
	v_cmp_gt_u32_e32 vcc, 3, v0
	ds_write2st64_b64 v54, v[36:37], v[38:39] offset0:2 offset1:3
	s_and_saveexec_b64 s[4:5], vcc
	s_cbranch_execz .LBB1006_15
; %bb.14:
	s_mov_b32 s49, 0
	v_mov_b32_e32 v61, 0
	v_lshl_add_u64 v[36:37], s[48:49], 0, v[60:61]
	v_mov_b32_e32 v35, s7
	v_mad_u64_u32 v[36:37], s[12:13], s2, v35, v[36:37]
	s_mul_i32 s3, s3, s7
	v_mov_b32_e32 v38, s24
	v_mov_b32_e32 v39, v61
	s_load_dwordx4 s[8:11], s[0:1], 0x58
	v_add_u32_e32 v35, s3, v37
	v_mad_u64_u32 v[36:37], s[12:13], v36, s6, v[38:39]
	v_mov_b32_e32 v38, v37
	v_mad_u64_u32 v[38:39], s[12:13], v35, s6, v[38:39]
	v_mov_b32_e32 v37, v38
	v_lshlrev_b64 v[36:37], 2, v[36:37]
	s_waitcnt lgkmcnt(0)
	v_lshl_add_u64 v[38:39], s[10:11], 0, v[36:37]
	v_lshl_add_u64 v[36:37], s[8:9], 0, v[36:37]
	global_store_dword v[38:39], v50, off
	global_store_dword v[36:37], v51, off
.LBB1006_15:
	s_or_b64 exec, exec, s[4:5]
	s_waitcnt vmcnt(7)
	v_cvt_pk_f32_fp8_e32 v[36:37], v30
	v_lshl_or_b32 v50, v64, 9, v34
	v_cvt_pk_f32_fp8_sdwa v[34:35], v30 src0_sel:WORD_1
	s_waitcnt lgkmcnt(0)
	s_barrier
	v_cvt_pk_f32_fp8_e32 v[38:39], v31
	v_cvt_pkrtz_f16_f32 v30, v36, v37
	v_cvt_pk_f32_fp8_sdwa v[40:41], v31 src0_sel:WORD_1
	v_cvt_pkrtz_f16_f32 v31, v34, v35
	ds_read_b128 v[34:37], v50
	v_cvt_pkrtz_f16_f32 v46, v38, v39
	v_cvt_pkrtz_f16_f32 v47, v40, v41
	ds_read_b128 v[38:41], v50 offset:16
	v_cvt_pk_f32_fp8_e32 v[48:49], v32
	v_cvt_pk_f32_fp8_sdwa v[52:53], v32 src0_sel:WORD_1
	s_waitcnt lgkmcnt(1)
	v_mfma_f32_16x16x16_f16 v[42:45], v[30:31], v[34:35], 0
	s_waitcnt vmcnt(6)
	v_cvt_pk_f32_fp8_e32 v[56:57], v24
	v_cvt_pkrtz_f16_f32 v30, v48, v49
	v_cvt_pkrtz_f16_f32 v31, v52, v53
	v_cvt_pk_f32_fp8_e32 v[48:49], v33
	v_mfma_f32_16x16x16_f16 v[42:45], v[46:47], v[36:37], v[42:45]
	v_cvt_pk_f32_fp8_sdwa v[46:47], v33 src0_sel:WORD_1
	v_cvt_pk_f32_fp8_sdwa v[62:63], v24 src0_sel:WORD_1
	v_cvt_pkrtz_f16_f32 v48, v48, v49
	s_waitcnt lgkmcnt(0)
	v_mfma_f32_16x16x16_f16 v[30:33], v[30:31], v[38:39], v[42:45]
	v_cvt_pkrtz_f16_f32 v49, v46, v47
	s_waitcnt vmcnt(4)
	v_cvt_pk_f32_fp8_sdwa v[70:71], v4 src0_sel:WORD_1
	s_waitcnt vmcnt(3)
	v_cvt_pk_f32_fp8_sdwa v[72:73], v28 src0_sel:WORD_1
	v_cvt_pk_f32_fp8_e32 v[42:43], v22
	v_mfma_f32_16x16x16_f16 v[46:49], v[48:49], v[40:41], v[30:33]
	s_load_dword s4, s[42:43], 0x0
	v_cmp_gt_u32_e32 vcc, 64, v0
	s_nop 0
	v_cvt_pk_f32_fp8_sdwa v[30:31], v22 src0_sel:WORD_1
	v_cvt_pk_f32_fp8_e32 v[32:33], v23
	v_cvt_pkrtz_f16_f32 v22, v42, v43
	v_cvt_pk_f32_fp8_sdwa v[42:43], v23 src0_sel:WORD_1
	v_cvt_pkrtz_f16_f32 v23, v30, v31
	v_cvt_pkrtz_f16_f32 v52, v32, v33
	ds_read_b128 v[30:33], v50 offset:2048
	v_cvt_pkrtz_f16_f32 v53, v42, v43
	ds_read_b128 v[42:45], v50 offset:2064
	s_waitcnt lgkmcnt(0)
	v_mfma_f32_16x16x16_f16 v[46:49], v[22:23], v[30:31], v[46:49]
	v_cvt_pkrtz_f16_f32 v22, v56, v57
	v_cvt_pkrtz_f16_f32 v23, v62, v63
	v_cvt_pk_f32_fp8_e32 v[56:57], v25
	v_mfma_f32_16x16x16_f16 v[46:49], v[52:53], v[32:33], v[46:49]
	v_cvt_pk_f32_fp8_sdwa v[52:53], v25 src0_sel:WORD_1
	v_cvt_pk_f32_fp8_sdwa v[62:63], v12 src0_sel:WORD_1
	v_cvt_pkrtz_f16_f32 v56, v56, v57
	v_mfma_f32_16x16x16_f16 v[22:25], v[22:23], v[42:43], v[46:49]
	v_cvt_pkrtz_f16_f32 v57, v52, v53
	s_mov_b32 s3, 0
	s_nop 0
	v_cvt_pk_f32_fp8_e32 v[46:47], v10
	v_mfma_f32_16x16x16_f16 v[66:69], v[56:57], v[44:45], v[22:25]
	v_cvt_pk_f32_fp8_e32 v[56:57], v12
	s_nop 1
	v_cvt_pk_f32_fp8_sdwa v[22:23], v10 src0_sel:WORD_1
	v_cvt_pk_f32_fp8_e32 v[24:25], v11
	v_cvt_pkrtz_f16_f32 v10, v46, v47
	v_cvt_pk_f32_fp8_sdwa v[46:47], v11 src0_sel:WORD_1
	v_cvt_pkrtz_f16_f32 v11, v22, v23
	v_cvt_pkrtz_f16_f32 v52, v24, v25
	ds_read_b128 v[22:25], v50 offset:4096
	v_cvt_pkrtz_f16_f32 v53, v46, v47
	ds_read_b128 v[46:49], v50 offset:4112
	s_waitcnt lgkmcnt(1)
	v_mfma_f32_16x16x16_f16 v[66:69], v[10:11], v[22:23], v[66:69]
	v_cvt_pkrtz_f16_f32 v10, v56, v57
	v_cvt_pkrtz_f16_f32 v11, v62, v63
	v_cvt_pk_f32_fp8_e32 v[56:57], v13
	v_mfma_f32_16x16x16_f16 v[66:69], v[52:53], v[24:25], v[66:69]
	v_cvt_pk_f32_fp8_sdwa v[52:53], v13 src0_sel:WORD_1
	v_cvt_pk_f32_fp8_e32 v[62:63], v4
	v_cvt_pkrtz_f16_f32 v56, v56, v57
	s_waitcnt lgkmcnt(0)
	v_mfma_f32_16x16x16_f16 v[10:13], v[10:11], v[46:47], v[66:69]
	v_cvt_pkrtz_f16_f32 v57, v52, v53
	v_cvt_pk_f32_fp8_e32 v[52:53], v2
	s_nop 0
	v_mfma_f32_16x16x16_f16 v[66:69], v[56:57], v[48:49], v[10:13]
	s_nop 2
	v_cvt_pk_f32_fp8_sdwa v[10:11], v2 src0_sel:WORD_1
	v_cvt_pk_f32_fp8_e32 v[12:13], v3
	v_cvt_pkrtz_f16_f32 v2, v52, v53
	v_cvt_pk_f32_fp8_sdwa v[52:53], v3 src0_sel:WORD_1
	v_cvt_pkrtz_f16_f32 v3, v10, v11
	v_cvt_pkrtz_f16_f32 v56, v12, v13
	ds_read_b128 v[10:13], v50 offset:6144
	v_cvt_pkrtz_f16_f32 v57, v52, v53
	s_waitcnt lgkmcnt(0)
	v_mfma_f32_16x16x16_f16 v[66:69], v[2:3], v[10:11], v[66:69]
	ds_read_b128 v[50:53], v50 offset:6160
	v_cvt_pkrtz_f16_f32 v2, v62, v63
	v_cvt_pkrtz_f16_f32 v3, v70, v71
	v_cvt_pk_f32_fp8_e32 v[62:63], v5
	v_mfma_f32_16x16x16_f16 v[66:69], v[56:57], v[12:13], v[66:69]
	v_cvt_pk_f32_fp8_sdwa v[56:57], v5 src0_sel:WORD_1
	v_cvt_pk_f32_fp8_e32 v[70:71], v28
	v_cvt_pkrtz_f16_f32 v62, v62, v63
	s_waitcnt lgkmcnt(0)
	v_mfma_f32_16x16x16_f16 v[2:5], v[2:3], v[50:51], v[66:69]
	v_cvt_pkrtz_f16_f32 v63, v56, v57
	v_cvt_pk_f32_fp8_e32 v[56:57], v26
	s_nop 0
	v_cvt_pk_f32_fp8_sdwa v[66:67], v26 src0_sel:WORD_1
	v_mfma_f32_16x16x16_f16 v[2:5], v[62:63], v[52:53], v[2:5]
	v_cvt_pk_f32_fp8_e32 v[62:63], v27
	v_cvt_pkrtz_f16_f32 v56, v56, v57
	v_cvt_pkrtz_f16_f32 v57, v66, v67
	v_cvt_pk_f32_fp8_sdwa v[26:27], v27 src0_sel:WORD_1
	v_cvt_pkrtz_f16_f32 v62, v62, v63
	v_mfma_f32_16x16x16_f16 v[66:69], v[56:57], v[34:35], 0
	v_cvt_pkrtz_f16_f32 v63, v26, v27
	v_cvt_pkrtz_f16_f32 v26, v70, v71
	;; [unrolled: 1-line block ×3, first 2 shown]
	v_cvt_pk_f32_fp8_e32 v[56:57], v29
	v_mfma_f32_16x16x16_f16 v[34:37], v[62:63], v[36:37], v[66:69]
	v_cvt_pk_f32_fp8_sdwa v[62:63], v29 src0_sel:WORD_1
	v_cvt_pkrtz_f16_f32 v56, v56, v57
	s_barrier
	v_mfma_f32_16x16x16_f16 v[26:29], v[26:27], v[38:39], v[34:37]
	v_cvt_pkrtz_f16_f32 v57, v62, v63
	s_waitcnt vmcnt(2)
	v_cvt_pk_f32_fp8_e32 v[38:39], v19
	v_cvt_pk_f32_fp8_e32 v[34:35], v18
	v_cvt_pk_f32_fp8_sdwa v[36:37], v18 src0_sel:WORD_1
	v_cvt_pk_f32_fp8_sdwa v[18:19], v19 src0_sel:WORD_1
	v_mfma_f32_16x16x16_f16 v[26:29], v[56:57], v[40:41], v[26:29]
	v_cvt_pkrtz_f16_f32 v34, v34, v35
	v_cvt_pkrtz_f16_f32 v35, v36, v37
	v_cvt_pkrtz_f16_f32 v36, v38, v39
	v_cvt_pk_f32_fp8_e32 v[38:39], v20
	v_cvt_pk_f32_fp8_sdwa v[40:41], v20 src0_sel:WORD_1
	v_cvt_pkrtz_f16_f32 v37, v18, v19
	v_mfma_f32_16x16x16_f16 v[26:29], v[34:35], v[30:31], v[26:29]
	v_cvt_pkrtz_f16_f32 v30, v38, v39
	v_cvt_pkrtz_f16_f32 v31, v40, v41
	v_cvt_pk_f32_fp8_e32 v[34:35], v21
	v_cvt_pk_f32_fp8_sdwa v[38:39], v21 src0_sel:WORD_1
	v_mfma_f32_16x16x16_f16 v[18:21], v[36:37], v[32:33], v[26:29]
	s_waitcnt vmcnt(1)
	v_cvt_pk_f32_fp8_sdwa v[32:33], v16 src0_sel:WORD_1
	s_nop 0
	v_cvt_pkrtz_f16_f32 v26, v34, v35
	v_cvt_pkrtz_f16_f32 v27, v38, v39
	v_mfma_f32_16x16x16_f16 v[18:21], v[30:31], v[42:43], v[18:21]
	v_cvt_pk_f32_fp8_e32 v[28:29], v14
	v_cvt_pk_f32_fp8_sdwa v[30:31], v14 src0_sel:WORD_1
	v_cvt_pkrtz_f16_f32 v28, v28, v29
	v_mfma_f32_16x16x16_f16 v[18:21], v[26:27], v[44:45], v[18:21]
	v_cvt_pk_f32_fp8_e32 v[26:27], v15
	v_cvt_pkrtz_f16_f32 v29, v30, v31
	v_cvt_pk_f32_fp8_sdwa v[14:15], v15 src0_sel:WORD_1
	v_cvt_pk_f32_fp8_e32 v[30:31], v16
	v_cvt_pkrtz_f16_f32 v26, v26, v27
	v_mfma_f32_16x16x16_f16 v[18:21], v[28:29], v[22:23], v[18:21]
	v_cvt_pkrtz_f16_f32 v27, v14, v15
	v_cvt_pkrtz_f16_f32 v22, v30, v31
	;; [unrolled: 1-line block ×3, first 2 shown]
	v_cvt_pk_f32_fp8_e32 v[28:29], v17
	v_cvt_pk_f32_fp8_sdwa v[30:31], v17 src0_sel:WORD_1
	v_mfma_f32_16x16x16_f16 v[14:17], v[26:27], v[24:25], v[18:21]
	s_waitcnt vmcnt(0)
	v_cvt_pk_f32_fp8_sdwa v[24:25], v6 src0_sel:WORD_1
	s_nop 0
	v_pk_mul_f32 v[18:19], v[4:5], s[4:5] op_sel_hi:[1,0]
	v_cvt_pkrtz_f16_f32 v4, v28, v29
	v_cvt_pkrtz_f16_f32 v5, v30, v31
	v_mfma_f32_16x16x16_f16 v[14:17], v[22:23], v[46:47], v[14:17]
	v_cvt_pk_f32_fp8_e32 v[22:23], v6
	v_pk_mul_f32 v[20:21], v[2:3], s[4:5] op_sel_hi:[1,0]
	v_mfma_f32_16x16x16_f16 v[2:5], v[4:5], v[48:49], v[14:17]
	s_nop 3
	v_cvt_pk_f32_fp8_e32 v[14:15], v7
	v_cvt_pkrtz_f16_f32 v16, v22, v23
	v_cvt_pkrtz_f16_f32 v17, v24, v25
	v_cvt_pk_f32_fp8_sdwa v[6:7], v7 src0_sel:WORD_1
	v_cvt_pkrtz_f16_f32 v14, v14, v15
	v_cvt_pk_f32_fp8_e32 v[22:23], v8
	v_cvt_pk_f32_fp8_sdwa v[24:25], v8 src0_sel:WORD_1
	v_cvt_pkrtz_f16_f32 v15, v6, v7
	v_mfma_f32_16x16x16_f16 v[2:5], v[16:17], v[10:11], v[2:5]
	v_cvt_pkrtz_f16_f32 v6, v22, v23
	v_cvt_pkrtz_f16_f32 v7, v24, v25
	v_cvt_pk_f32_fp8_e32 v[10:11], v9
	v_cvt_pk_f32_fp8_sdwa v[8:9], v9 src0_sel:WORD_1
	v_mfma_f32_16x16x16_f16 v[2:5], v[14:15], v[12:13], v[2:5]
	v_cvt_f16_f32_e32 v12, v20
	v_cvt_pkrtz_f16_f32 v10, v10, v11
	v_cvt_pkrtz_f16_f32 v11, v8, v9
	v_mfma_f32_16x16x16_f16 v[2:5], v[6:7], v[50:51], v[2:5]
	v_cvt_f16_f32_e32 v6, v21
	v_cvt_f16_f32_e32 v7, v18
	;; [unrolled: 1-line block ×3, first 2 shown]
	v_mfma_f32_16x16x16_f16 v[2:5], v[10:11], v[52:53], v[2:5]
	s_nop 6
	v_pk_mul_f32 v[4:5], v[4:5], s[4:5] op_sel_hi:[1,0]
	v_pk_mul_f32 v[2:3], v[2:3], s[4:5] op_sel_hi:[1,0]
	v_cvt_f16_f32_e32 v11, v4
	v_cvt_f16_f32_e32 v9, v2
	;; [unrolled: 1-line block ×4, first 2 shown]
	v_cmp_ne_u32_e64 s[4:5], 3, v64
	v_pack_b32_f16 v2, v12, v6
	v_pack_b32_f16 v3, v7, v8
	;; [unrolled: 1-line block ×4, first 2 shown]
	s_and_b64 s[4:5], vcc, s[4:5]
	ds_write2st64_b64 v54, v[2:3], v[4:5] offset1:1
	s_waitcnt lgkmcnt(0)
	s_barrier
	s_and_saveexec_b64 s[8:9], s[4:5]
	s_cbranch_execz .LBB1006_17
; %bb.16:
	s_load_dwordx2 s[0:1], s[0:1], 0x68
	s_mul_i32 s2, s7, s2
	s_lshl_b32 s6, s6, 7
	v_lshlrev_b32_e32 v4, 6, v60
	s_mul_hi_u32 s5, s2, s6
	s_mul_i32 s4, s2, s6
	v_lshl_or_b32 v0, v0, 10, v4
	s_lshl_b64 s[4:5], s[4:5], 1
	v_lshlrev_b32_e32 v2, 5, v64
	v_and_b32_e32 v3, 16, v65
	v_and_b32_e32 v0, 0x1a00, v0
	s_waitcnt lgkmcnt(0)
	s_add_u32 s4, s0, s4
	v_or3_b32 v0, v0, v2, v3
	s_addc_u32 s5, s1, s5
	s_lshl_b32 s2, s24, 7
	ds_read_b128 v[2:5], v0
	s_lshl_b64 s[0:1], s[2:3], 1
	s_add_u32 s0, s4, s0
	s_addc_u32 s1, s5, s1
	v_mad_u64_u32 v[0:1], s[2:3], s6, v1, 0
	v_lshl_add_u64 v[0:1], v[0:1], 1, s[0:1]
	v_mov_b32_e32 v59, 0
	v_lshl_add_u64 v[0:1], v[0:1], 0, v[58:59]
	s_waitcnt lgkmcnt(0)
	global_store_dwordx4 v[0:1], v[2:5], off
.LBB1006_17:
	s_endpgm
	.section	.rodata,"a",@progbits
	.p2align	6, 0x0
	.amdhsa_kernel _Z39paged_attention_ll4mi_QKV_mfma16_kernelIDF16_hLN4vllm18Fp8KVCacheDataTypeE1EDF16_Li16ELi128ELi256ELb0ELi3EEvPKT_PKT0_S7_ifPKiS9_S9_iPKfiiiPfSC_PS2_PT2_iSB_SB_
		.amdhsa_group_segment_fixed_size 8192
		.amdhsa_private_segment_fixed_size 0
		.amdhsa_kernarg_size 400
		.amdhsa_user_sgpr_count 2
		.amdhsa_user_sgpr_dispatch_ptr 0
		.amdhsa_user_sgpr_queue_ptr 0
		.amdhsa_user_sgpr_kernarg_segment_ptr 1
		.amdhsa_user_sgpr_dispatch_id 0
		.amdhsa_user_sgpr_kernarg_preload_length 0
		.amdhsa_user_sgpr_kernarg_preload_offset 0
		.amdhsa_user_sgpr_private_segment_size 0
		.amdhsa_uses_dynamic_stack 0
		.amdhsa_enable_private_segment 0
		.amdhsa_system_sgpr_workgroup_id_x 1
		.amdhsa_system_sgpr_workgroup_id_y 1
		.amdhsa_system_sgpr_workgroup_id_z 1
		.amdhsa_system_sgpr_workgroup_info 0
		.amdhsa_system_vgpr_workitem_id 0
		.amdhsa_next_free_vgpr 88
		.amdhsa_next_free_sgpr 50
		.amdhsa_accum_offset 88
		.amdhsa_reserve_vcc 1
		.amdhsa_float_round_mode_32 0
		.amdhsa_float_round_mode_16_64 0
		.amdhsa_float_denorm_mode_32 3
		.amdhsa_float_denorm_mode_16_64 3
		.amdhsa_dx10_clamp 1
		.amdhsa_ieee_mode 1
		.amdhsa_fp16_overflow 0
		.amdhsa_tg_split 0
		.amdhsa_exception_fp_ieee_invalid_op 0
		.amdhsa_exception_fp_denorm_src 0
		.amdhsa_exception_fp_ieee_div_zero 0
		.amdhsa_exception_fp_ieee_overflow 0
		.amdhsa_exception_fp_ieee_underflow 0
		.amdhsa_exception_fp_ieee_inexact 0
		.amdhsa_exception_int_div_zero 0
	.end_amdhsa_kernel
	.section	.text._Z39paged_attention_ll4mi_QKV_mfma16_kernelIDF16_hLN4vllm18Fp8KVCacheDataTypeE1EDF16_Li16ELi128ELi256ELb0ELi3EEvPKT_PKT0_S7_ifPKiS9_S9_iPKfiiiPfSC_PS2_PT2_iSB_SB_,"axG",@progbits,_Z39paged_attention_ll4mi_QKV_mfma16_kernelIDF16_hLN4vllm18Fp8KVCacheDataTypeE1EDF16_Li16ELi128ELi256ELb0ELi3EEvPKT_PKT0_S7_ifPKiS9_S9_iPKfiiiPfSC_PS2_PT2_iSB_SB_,comdat
.Lfunc_end1006:
	.size	_Z39paged_attention_ll4mi_QKV_mfma16_kernelIDF16_hLN4vllm18Fp8KVCacheDataTypeE1EDF16_Li16ELi128ELi256ELb0ELi3EEvPKT_PKT0_S7_ifPKiS9_S9_iPKfiiiPfSC_PS2_PT2_iSB_SB_, .Lfunc_end1006-_Z39paged_attention_ll4mi_QKV_mfma16_kernelIDF16_hLN4vllm18Fp8KVCacheDataTypeE1EDF16_Li16ELi128ELi256ELb0ELi3EEvPKT_PKT0_S7_ifPKiS9_S9_iPKfiiiPfSC_PS2_PT2_iSB_SB_
                                        ; -- End function
	.section	.AMDGPU.csdata,"",@progbits
; Kernel info:
; codeLenInByte = 5972
; NumSgprs: 56
; NumVgprs: 88
; NumAgprs: 0
; TotalNumVgprs: 88
; ScratchSize: 0
; MemoryBound: 0
; FloatMode: 240
; IeeeMode: 1
; LDSByteSize: 8192 bytes/workgroup (compile time only)
; SGPRBlocks: 6
; VGPRBlocks: 10
; NumSGPRsForWavesPerEU: 56
; NumVGPRsForWavesPerEU: 88
; AccumOffset: 88
; Occupancy: 5
; WaveLimiterHint : 1
; COMPUTE_PGM_RSRC2:SCRATCH_EN: 0
; COMPUTE_PGM_RSRC2:USER_SGPR: 2
; COMPUTE_PGM_RSRC2:TRAP_HANDLER: 0
; COMPUTE_PGM_RSRC2:TGID_X_EN: 1
; COMPUTE_PGM_RSRC2:TGID_Y_EN: 1
; COMPUTE_PGM_RSRC2:TGID_Z_EN: 1
; COMPUTE_PGM_RSRC2:TIDIG_COMP_CNT: 0
; COMPUTE_PGM_RSRC3_GFX90A:ACCUM_OFFSET: 21
; COMPUTE_PGM_RSRC3_GFX90A:TG_SPLIT: 0
	.section	.text._Z39paged_attention_ll4mi_QKV_mfma16_kernelIDF16_hLN4vllm18Fp8KVCacheDataTypeE1EDF16_Li16ELi128ELi256ELb0ELi4EEvPKT_PKT0_S7_ifPKiS9_S9_iPKfiiiPfSC_PS2_PT2_iSB_SB_,"axG",@progbits,_Z39paged_attention_ll4mi_QKV_mfma16_kernelIDF16_hLN4vllm18Fp8KVCacheDataTypeE1EDF16_Li16ELi128ELi256ELb0ELi4EEvPKT_PKT0_S7_ifPKiS9_S9_iPKfiiiPfSC_PS2_PT2_iSB_SB_,comdat
	.protected	_Z39paged_attention_ll4mi_QKV_mfma16_kernelIDF16_hLN4vllm18Fp8KVCacheDataTypeE1EDF16_Li16ELi128ELi256ELb0ELi4EEvPKT_PKT0_S7_ifPKiS9_S9_iPKfiiiPfSC_PS2_PT2_iSB_SB_ ; -- Begin function _Z39paged_attention_ll4mi_QKV_mfma16_kernelIDF16_hLN4vllm18Fp8KVCacheDataTypeE1EDF16_Li16ELi128ELi256ELb0ELi4EEvPKT_PKT0_S7_ifPKiS9_S9_iPKfiiiPfSC_PS2_PT2_iSB_SB_
	.globl	_Z39paged_attention_ll4mi_QKV_mfma16_kernelIDF16_hLN4vllm18Fp8KVCacheDataTypeE1EDF16_Li16ELi128ELi256ELb0ELi4EEvPKT_PKT0_S7_ifPKiS9_S9_iPKfiiiPfSC_PS2_PT2_iSB_SB_
	.p2align	8
	.type	_Z39paged_attention_ll4mi_QKV_mfma16_kernelIDF16_hLN4vllm18Fp8KVCacheDataTypeE1EDF16_Li16ELi128ELi256ELb0ELi4EEvPKT_PKT0_S7_ifPKiS9_S9_iPKfiiiPfSC_PS2_PT2_iSB_SB_,@function
_Z39paged_attention_ll4mi_QKV_mfma16_kernelIDF16_hLN4vllm18Fp8KVCacheDataTypeE1EDF16_Li16ELi128ELi256ELb0ELi4EEvPKT_PKT0_S7_ifPKiS9_S9_iPKfiiiPfSC_PS2_PT2_iSB_SB_: ; @_Z39paged_attention_ll4mi_QKV_mfma16_kernelIDF16_hLN4vllm18Fp8KVCacheDataTypeE1EDF16_Li16ELi128ELi256ELb0ELi4EEvPKT_PKT0_S7_ifPKiS9_S9_iPKfiiiPfSC_PS2_PT2_iSB_SB_
; %bb.0:
	s_load_dwordx2 s[12:13], s[0:1], 0x30
	s_mov_b32 s24, s3
	s_mov_b64 s[6:7], 0
	s_waitcnt lgkmcnt(0)
	s_cmp_lg_u64 s[12:13], 0
	s_cselect_b64 s[14:15], -1, 0
	s_and_b64 vcc, exec, s[14:15]
	s_cbranch_vccz .LBB1007_7
; %bb.1:
	s_add_i32 s8, s2, 1
	s_mov_b32 s9, 0
	s_lshl_b64 s[10:11], s[8:9], 2
	s_add_u32 s10, s12, s10
	s_mov_b32 s3, s9
	s_addc_u32 s11, s13, s11
	s_lshl_b64 s[8:9], s[2:3], 2
	s_add_u32 s8, s12, s8
	s_addc_u32 s9, s13, s9
	s_load_dword s5, s[10:11], 0x0
	s_load_dword s16, s[8:9], 0x0
	s_waitcnt lgkmcnt(0)
	s_sub_i32 s5, s5, s16
	s_cmp_eq_u32 s5, 1
	s_cselect_b64 s[8:9], -1, 0
	s_andn2_b64 vcc, exec, s[6:7]
	s_cbranch_vccnz .LBB1007_3
.LBB1007_2:
	s_mov_b32 s3, 0
	s_mov_b64 s[8:9], -1
.LBB1007_3:
	s_andn2_b64 vcc, exec, s[8:9]
	s_cbranch_vccnz .LBB1007_17
; %bb.4:
	s_load_dwordx2 s[6:7], s[0:1], 0x28
	s_lshl_b64 s[16:17], s[2:3], 2
	s_waitcnt lgkmcnt(0)
	s_add_u32 s6, s6, s16
	s_addc_u32 s7, s7, s17
	s_load_dword s48, s[6:7], 0x0
	s_lshl_b32 s18, s24, 8
	s_waitcnt lgkmcnt(0)
	s_cmp_ge_i32 s18, s48
	s_cbranch_scc1 .LBB1007_17
; %bb.5:
	s_load_dwordx2 s[6:7], s[0:1], 0x20
	s_load_dword s8, s[0:1], 0x38
	s_add_i32 s5, s48, 15
	s_ashr_i32 s9, s5, 31
	v_and_b32_e32 v1, 0xcf, v0
	s_lshr_b32 s9, s9, 28
	v_add_u32_e32 v1, s18, v1
	s_add_i32 s5, s5, s9
	v_ashrrev_i32_e32 v2, 31, v1
	s_ashr_i32 s5, s5, 4
	v_lshrrev_b32_e32 v10, 28, v2
	s_add_i32 s5, s5, -1
	s_waitcnt lgkmcnt(0)
	s_mul_i32 s8, s2, s8
	s_mov_b32 s9, 0
	v_add_u32_e32 v2, v1, v10
	s_lshl_b64 s[8:9], s[8:9], 2
	v_ashrrev_i32_e32 v2, 4, v2
	v_mov_b32_e32 v11, s5
	v_cmp_gt_i32_e32 vcc, s48, v1
	s_add_u32 s6, s6, s8
	s_addc_u32 s7, s7, s9
	v_cndmask_b32_e32 v2, v11, v2, vcc
	v_ashrrev_i32_e32 v3, 31, v2
	v_lshl_add_u64 v[4:5], v[2:3], 2, s[6:7]
	v_or_b32_e32 v2, 16, v1
	v_add_u32_e32 v3, v2, v10
	v_ashrrev_i32_e32 v3, 4, v3
	v_cmp_gt_i32_e32 vcc, s48, v2
	s_load_dwordx4 s[8:11], s[0:1], 0x8
	s_nop 0
	v_cndmask_b32_e32 v2, v11, v3, vcc
	v_ashrrev_i32_e32 v3, 31, v2
	v_lshl_add_u64 v[6:7], v[2:3], 2, s[6:7]
	v_or_b32_e32 v2, 32, v1
	v_add_u32_e32 v3, v2, v10
	v_ashrrev_i32_e32 v3, 4, v3
	v_cmp_gt_i32_e32 vcc, s48, v2
	v_or_b32_e32 v1, 48, v1
	s_nop 0
	v_cndmask_b32_e32 v2, v11, v3, vcc
	v_ashrrev_i32_e32 v3, 31, v2
	v_lshl_add_u64 v[8:9], v[2:3], 2, s[6:7]
	v_add_u32_e32 v2, v1, v10
	v_ashrrev_i32_e32 v2, 4, v2
	v_cmp_gt_i32_e32 vcc, s48, v1
	s_nop 1
	v_cndmask_b32_e32 v2, v11, v2, vcc
	v_ashrrev_i32_e32 v3, 31, v2
	v_lshl_add_u64 v[10:11], v[2:3], 2, s[6:7]
	global_load_dword v3, v[4:5], off
	global_load_dword v2, v[6:7], off
	;; [unrolled: 1-line block ×4, first 2 shown]
	s_andn2_b64 vcc, exec, s[14:15]
	s_cbranch_vccnz .LBB1007_8
; %bb.6:
	s_add_u32 s12, s12, s16
	s_addc_u32 s13, s13, s17
	s_load_dword s14, s[12:13], 0x0
	s_branch .LBB1007_9
.LBB1007_7:
	s_mov_b64 s[8:9], 0
	s_branch .LBB1007_2
.LBB1007_8:
	s_mov_b32 s14, s2
.LBB1007_9:
	s_load_dwordx4 s[44:47], s[0:1], 0x48
	v_and_b32_e32 v62, 15, v0
	v_bfe_u32 v65, v0, 4, 2
	s_lshl_b32 s25, s4, 2
	v_lshlrev_b32_e32 v4, 3, v62
	v_lshrrev_b32_e32 v66, 6, v0
	v_and_b32_e32 v67, 63, v0
	v_or_b32_e32 v1, s25, v65
	v_cmp_gt_u32_e64 s[26:27], 64, v0
	v_lshlrev_b32_e32 v58, 1, v4
	v_lshlrev_b32_e32 v63, 5, v65
	;; [unrolled: 1-line block ×3, first 2 shown]
	s_and_saveexec_b64 s[12:13], s[26:27]
	s_cbranch_execz .LBB1007_11
; %bb.10:
	s_load_dwordx2 s[16:17], s[0:1], 0x0
	s_waitcnt lgkmcnt(0)
	s_ashr_i32 s15, s44, 31
	s_mul_hi_u32 s19, s14, s44
	s_mul_i32 s15, s14, s15
	s_add_i32 s15, s19, s15
	s_mul_i32 s14, s14, s44
	s_lshl_b64 s[14:15], s[14:15], 1
	s_add_u32 s14, s16, s14
	v_lshlrev_b32_e32 v4, 7, v1
	s_addc_u32 s15, s17, s15
	v_ashrrev_i32_e32 v5, 31, v4
	v_lshl_add_u64 v[4:5], v[4:5], 1, s[14:15]
	v_mov_b32_e32 v59, 0
	v_lshl_add_u64 v[4:5], v[4:5], 0, v[58:59]
	global_load_dwordx4 v[4:7], v[4:5], off
	v_lshlrev_b32_e32 v9, 8, v0
	v_lshlrev_b32_e32 v8, 8, v62
	v_and_b32_e32 v9, 0x600, v9
	s_movk_i32 s14, 0x800
	v_and_or_b32 v8, v8, s14, v9
	v_lshl_or_b32 v9, v66, 7, v63
	v_and_b32_e32 v10, 16, v64
	v_or3_b32 v8, v8, v9, v10
	s_waitcnt vmcnt(0)
	ds_write_b128 v8, v[4:7]
.LBB1007_11:
	s_or_b64 exec, exec, s[12:13]
	s_waitcnt lgkmcnt(0)
	s_mul_i32 s4, s4, s46
	s_add_u32 s8, s8, s4
	s_addc_u32 s9, s9, 0
	v_and_b32_e32 v60, 0xf0, v64
	v_mov_b32_e32 v61, 0
	v_and_b32_e32 v6, 48, v0
	v_lshl_add_u64 v[30:31], s[8:9], 0, v[60:61]
	v_lshlrev_b32_e32 v60, 4, v6
	s_waitcnt vmcnt(3)
	v_mad_i64_i32 v[4:5], s[8:9], v3, s45, v[30:31]
	v_lshl_add_u64 v[4:5], v[4:5], 0, v[60:61]
	s_load_dword s33, s[0:1], 0x98
	s_load_dwordx4 s[40:43], s[0:1], 0x80
	s_waitcnt lgkmcnt(0)
	s_barrier
	global_load_dwordx4 v[22:25], v[4:5], off
	global_load_dwordx4 v[10:13], v[4:5], off offset:1024
	s_waitcnt vmcnt(4)
	v_mad_i64_i32 v[2:3], s[8:9], v2, s45, v[30:31]
	v_lshl_add_u64 v[32:33], v[2:3], 0, v[60:61]
	global_load_dwordx4 v[2:5], v[32:33], off
	v_and_b32_e32 v7, 3, v0
	v_lshlrev_b32_e32 v7, 5, v7
	v_or_b32_e32 v36, s18, v6
	v_mov_b32_e32 v41, s5
	v_lshl_or_b32 v6, v65, 9, v7
	v_ashrrev_i32_e32 v37, 4, v36
	v_cmp_gt_i32_e32 vcc, s48, v36
	v_or_b32_e32 v40, 64, v36
	v_or_b32_e32 v42, 0x80, v36
	;; [unrolled: 1-line block ×3, first 2 shown]
	ds_read_b128 v[26:29], v6
	ds_read_b128 v[18:21], v6 offset:16
	ds_read_b128 v[14:17], v6 offset:2048
	;; [unrolled: 1-line block ×3, first 2 shown]
	v_cndmask_b32_e32 v38, v41, v37, vcc
	s_waitcnt vmcnt(4)
	v_mad_i64_i32 v[36:37], s[12:13], v34, s45, v[30:31]
	s_waitcnt vmcnt(3)
	v_mad_i64_i32 v[34:35], s[12:13], v35, s45, v[30:31]
	global_load_dwordx4 v[30:33], v[32:33], off offset:1024
	v_ashrrev_i32_e32 v44, 4, v40
	v_cmp_gt_i32_e32 vcc, s48, v40
	v_ashrrev_i32_e32 v45, 4, v42
	v_ashrrev_i32_e32 v46, 4, v43
	v_cndmask_b32_e32 v40, v41, v44, vcc
	v_cmp_gt_i32_e32 vcc, s48, v42
	v_ashrrev_i32_e32 v39, 31, v38
	v_lshl_add_u64 v[36:37], v[36:37], 0, v[60:61]
	v_cndmask_b32_e32 v42, v41, v45, vcc
	v_cmp_gt_i32_e32 vcc, s48, v43
	v_lshl_add_u64 v[34:35], v[34:35], 0, v[60:61]
	v_ashrrev_i32_e32 v43, 31, v42
	v_cndmask_b32_e32 v44, v41, v46, vcc
	v_ashrrev_i32_e32 v41, 31, v40
	v_ashrrev_i32_e32 v45, 31, v44
	v_lshl_add_u64 v[50:51], v[38:39], 2, s[6:7]
	v_lshl_add_u64 v[52:53], v[40:41], 2, s[6:7]
	v_lshl_add_u64 v[54:55], v[42:43], 2, s[6:7]
	v_lshl_add_u64 v[56:57], v[44:45], 2, s[6:7]
	global_load_dwordx4 v[42:45], v[36:37], off
	global_load_dwordx4 v[46:49], v[36:37], off offset:1024
	global_load_dwordx4 v[38:41], v[34:35], off
	s_nop 0
	global_load_dwordx4 v[34:37], v[34:35], off offset:1024
	s_nop 0
	global_load_dword v71, v[50:51], off
	global_load_dword v70, v[52:53], off
	;; [unrolled: 1-line block ×4, first 2 shown]
	s_add_u32 s4, s10, s4
	v_lshl_or_b32 v59, v66, 4, v62
	s_addc_u32 s5, s11, 0
	v_lshlrev_b32_e32 v60, 4, v59
	s_load_dword s8, s[0:1], 0x1c
	s_mov_b32 s44, 0xff7fffff
	s_waitcnt vmcnt(11)
	v_cvt_pk_f32_fp8_e32 v[50:51], v22
	v_cvt_pk_f32_fp8_sdwa v[52:53], v22 src0_sel:WORD_1
	v_cvt_pk_f32_fp8_e32 v[54:55], v23
	v_cvt_pk_f32_fp8_sdwa v[56:57], v23 src0_sel:WORD_1
	;; [unrolled: 2-line block ×4, first 2 shown]
	s_waitcnt vmcnt(9)
	v_cvt_pk_f32_fp8_e32 v[22:23], v2
	v_cvt_pk_f32_fp8_sdwa v[24:25], v2 src0_sel:WORD_1
	v_cvt_pkrtz_f16_f32 v50, v50, v51
	v_cvt_pkrtz_f16_f32 v51, v52, v53
	v_cvt_pk_f32_fp8_e32 v[80:81], v10
	v_cvt_pk_f32_fp8_sdwa v[82:83], v10 src0_sel:WORD_1
	v_cvt_pk_f32_fp8_e32 v[84:85], v11
	v_cvt_pk_f32_fp8_sdwa v[52:53], v11 src0_sel:WORD_1
	v_cvt_pkrtz_f16_f32 v10, v22, v23
	v_cvt_pkrtz_f16_f32 v11, v24, v25
	;; [unrolled: 1-line block ×4, first 2 shown]
	s_waitcnt lgkmcnt(0)
	v_mfma_f32_16x16x16_f16 v[22:25], v[50:51], v[26:27], 0
	v_cvt_pk_f32_fp8_e32 v[86:87], v12
	v_cvt_pk_f32_fp8_sdwa v[50:51], v12 src0_sel:WORD_1
	v_cvt_pk_f32_fp8_e32 v[90:91], v13
	v_mfma_f32_16x16x16_f16 v[54:57], v[10:11], v[26:27], 0
	v_cvt_pkrtz_f16_f32 v10, v72, v73
	v_cvt_pkrtz_f16_f32 v11, v74, v75
	;; [unrolled: 1-line block ×3, first 2 shown]
	v_mfma_f32_16x16x16_f16 v[22:25], v[88:89], v[28:29], v[22:25]
	v_cvt_pkrtz_f16_f32 v75, v78, v79
	v_cvt_pk_f32_fp8_sdwa v[72:73], v13 src0_sel:WORD_1
	s_waitcnt vmcnt(6)
	v_cvt_pk_f32_fp8_e32 v[76:77], v48
	v_mfma_f32_16x16x16_f16 v[10:13], v[10:11], v[18:19], v[22:25]
	v_cvt_pk_f32_fp8_sdwa v[78:79], v48 src0_sel:WORD_1
	s_nop 1
	v_cvt_pkrtz_f16_f32 v24, v80, v81
	v_cvt_pkrtz_f16_f32 v25, v82, v83
	v_mfma_f32_16x16x16_f16 v[10:13], v[74:75], v[20:21], v[10:13]
	v_cvt_pkrtz_f16_f32 v74, v84, v85
	v_cvt_pkrtz_f16_f32 v75, v52, v53
	;; [unrolled: 1-line block ×3, first 2 shown]
	v_mfma_f32_16x16x16_f16 v[10:13], v[24:25], v[14:15], v[10:13]
	v_cvt_pkrtz_f16_f32 v53, v50, v51
	v_cvt_pk_f32_fp8_e32 v[22:23], v3
	v_cvt_pk_f32_fp8_sdwa v[2:3], v3 src0_sel:WORD_1
	v_mfma_f32_16x16x16_f16 v[10:13], v[74:75], v[16:17], v[10:13]
	v_cvt_pkrtz_f16_f32 v50, v90, v91
	v_cvt_pkrtz_f16_f32 v51, v72, v73
	v_cvt_pk_f32_fp8_e32 v[24:25], v4
	v_cvt_pk_f32_fp8_sdwa v[74:75], v4 src0_sel:WORD_1
	v_mfma_f32_16x16x16_f16 v[10:13], v[52:53], v[6:7], v[10:13]
	v_cvt_pkrtz_f16_f32 v22, v22, v23
	v_cvt_pkrtz_f16_f32 v23, v2, v3
	;; [unrolled: 1-line block ×3, first 2 shown]
	v_mfma_f32_16x16x16_f16 v[50:53], v[50:51], v[8:9], v[10:13]
	v_cvt_pkrtz_f16_f32 v25, v74, v75
	v_cvt_pk_f32_fp8_e32 v[74:75], v45
	v_lshl_add_u64 v[72:73], s[4:5], 0, v[60:61]
	v_cvt_pk_f32_fp8_e32 v[10:11], v5
	v_cvt_pk_f32_fp8_sdwa v[12:13], v5 src0_sel:WORD_1
	v_mfma_f32_16x16x16_f16 v[2:5], v[22:23], v[28:29], v[54:57]
	v_cvt_pk_f32_fp8_sdwa v[22:23], v30 src0_sel:WORD_1
	v_cvt_pkrtz_f16_f32 v10, v10, v11
	v_cvt_pkrtz_f16_f32 v11, v12, v13
	v_mfma_f32_16x16x16_f16 v[2:5], v[24:25], v[18:19], v[2:5]
	v_cvt_pk_f32_fp8_e32 v[12:13], v30
	v_cvt_pk_f32_fp8_e32 v[24:25], v32
	v_or_b32_e32 v60, 0x400, v60
	v_mfma_f32_16x16x16_f16 v[2:5], v[10:11], v[20:21], v[2:5]
	v_cvt_pk_f32_fp8_e32 v[10:11], v31
	v_cvt_pkrtz_f16_f32 v12, v12, v13
	v_cvt_pkrtz_f16_f32 v13, v22, v23
	v_cvt_pk_f32_fp8_sdwa v[22:23], v31 src0_sel:WORD_1
	v_cvt_pkrtz_f16_f32 v10, v10, v11
	v_cvt_pk_f32_fp8_sdwa v[30:31], v32 src0_sel:WORD_1
	v_mfma_f32_16x16x16_f16 v[2:5], v[12:13], v[14:15], v[2:5]
	v_cvt_pkrtz_f16_f32 v11, v22, v23
	v_cvt_pkrtz_f16_f32 v12, v24, v25
	;; [unrolled: 1-line block ×3, first 2 shown]
	v_cvt_pk_f32_fp8_e32 v[22:23], v33
	v_cvt_pk_f32_fp8_sdwa v[24:25], v33 src0_sel:WORD_1
	v_mfma_f32_16x16x16_f16 v[2:5], v[10:11], v[16:17], v[2:5]
	v_cvt_pkrtz_f16_f32 v10, v22, v23
	v_cvt_pkrtz_f16_f32 v11, v24, v25
	v_mfma_f32_16x16x16_f16 v[2:5], v[12:13], v[6:7], v[2:5]
	v_cvt_pk_f32_fp8_e32 v[12:13], v42
	v_cvt_pk_f32_fp8_sdwa v[22:23], v42 src0_sel:WORD_1
	v_cvt_pk_f32_fp8_sdwa v[24:25], v44 src0_sel:WORD_1
	v_mfma_f32_16x16x16_f16 v[54:57], v[10:11], v[8:9], v[2:5]
	v_cvt_pk_f32_fp8_sdwa v[10:11], v43 src0_sel:WORD_1
	s_nop 1
	v_cvt_pkrtz_f16_f32 v2, v12, v13
	v_cvt_pkrtz_f16_f32 v3, v22, v23
	v_cvt_pk_f32_fp8_e32 v[4:5], v43
	v_cvt_pkrtz_f16_f32 v23, v10, v11
	v_cvt_pk_f32_fp8_e32 v[10:11], v44
	v_cvt_pk_f32_fp8_sdwa v[44:45], v45 src0_sel:WORD_1
	v_cvt_pkrtz_f16_f32 v22, v4, v5
	v_mfma_f32_16x16x16_f16 v[2:5], v[2:3], v[26:27], 0
	v_cvt_pkrtz_f16_f32 v10, v10, v11
	v_cvt_pkrtz_f16_f32 v11, v24, v25
	s_waitcnt vmcnt(3)
	v_mad_i64_i32 v[12:13], s[6:7], v71, s45, v[72:73]
	v_mfma_f32_16x16x16_f16 v[2:5], v[22:23], v[28:29], v[2:5]
	s_waitcnt vmcnt(2)
	v_mad_i64_i32 v[42:43], s[6:7], v70, s45, v[72:73]
	global_load_dwordx4 v[30:33], v[12:13], off
	global_load_dwordx4 v[22:25], v[42:43], off
	v_cvt_pkrtz_f16_f32 v12, v74, v75
	v_cvt_pkrtz_f16_f32 v13, v44, v45
	v_mfma_f32_16x16x16_f16 v[2:5], v[10:11], v[18:19], v[2:5]
	v_cvt_pk_f32_fp8_e32 v[10:11], v46
	v_cvt_pk_f32_fp8_sdwa v[42:43], v46 src0_sel:WORD_1
	s_waitcnt vmcnt(3)
	v_mad_i64_i32 v[74:75], s[6:7], v68, s45, v[72:73]
	v_mfma_f32_16x16x16_f16 v[2:5], v[12:13], v[20:21], v[2:5]
	v_cvt_pkrtz_f16_f32 v10, v10, v11
	v_cvt_pkrtz_f16_f32 v11, v42, v43
	v_cvt_pk_f32_fp8_e32 v[12:13], v47
	v_cvt_pk_f32_fp8_sdwa v[42:43], v47 src0_sel:WORD_1
	s_waitcnt vmcnt(2)
	v_mad_i64_i32 v[46:47], s[6:7], v69, s45, v[72:73]
	v_cvt_pkrtz_f16_f32 v72, v12, v13
	v_cvt_pkrtz_f16_f32 v73, v42, v43
	v_mfma_f32_16x16x16_f16 v[42:45], v[10:11], v[14:15], v[2:5]
	global_load_dwordx4 v[10:13], v[74:75], off
	s_nop 1
	global_load_dwordx4 v[2:5], v[46:47], off
	v_cvt_pkrtz_f16_f32 v74, v76, v77
	v_cvt_pkrtz_f16_f32 v75, v78, v79
	v_cvt_pk_f32_fp8_e32 v[76:77], v49
	v_cvt_pk_f32_fp8_sdwa v[48:49], v49 src0_sel:WORD_1
	v_mfma_f32_16x16x16_f16 v[44:47], v[72:73], v[16:17], v[42:45]
	s_nop 2
	v_lshl_add_u64 v[42:43], s[4:5], 0, v[60:61]
	v_cvt_pkrtz_f16_f32 v60, v76, v77
	v_cvt_pkrtz_f16_f32 v61, v48, v49
	v_mfma_f32_16x16x16_f16 v[44:47], v[74:75], v[6:7], v[44:47]
	v_cvt_pk_f32_fp8_e32 v[48:49], v38
	v_cvt_pk_f32_fp8_sdwa v[76:77], v38 src0_sel:WORD_1
	s_load_dword s4, s[40:41], 0x0
	v_mfma_f32_16x16x16_f16 v[72:75], v[60:61], v[8:9], v[44:47]
	v_cvt_pk_f32_fp8_e32 v[60:61], v40
	s_nop 1
	v_cvt_pk_f32_fp8_e32 v[44:45], v39
	v_cvt_pkrtz_f16_f32 v46, v48, v49
	v_cvt_pkrtz_f16_f32 v47, v76, v77
	v_cvt_pk_f32_fp8_sdwa v[38:39], v39 src0_sel:WORD_1
	v_cvt_pkrtz_f16_f32 v48, v44, v45
	v_cvt_pk_f32_fp8_sdwa v[76:77], v40 src0_sel:WORD_1
	v_mfma_f32_16x16x16_f16 v[44:47], v[46:47], v[26:27], 0
	v_cvt_pkrtz_f16_f32 v49, v38, v39
	v_cvt_pkrtz_f16_f32 v38, v60, v61
	;; [unrolled: 1-line block ×3, first 2 shown]
	v_cvt_pk_f32_fp8_e32 v[60:61], v41
	v_cvt_pk_f32_fp8_sdwa v[40:41], v41 src0_sel:WORD_1
	v_mfma_f32_16x16x16_f16 v[26:29], v[48:49], v[28:29], v[44:47]
	s_nop 2
	v_cvt_pkrtz_f16_f32 v44, v60, v61
	v_cvt_pkrtz_f16_f32 v45, v40, v41
	v_mfma_f32_16x16x16_f16 v[26:29], v[38:39], v[18:19], v[26:29]
	v_mov_b32_e32 v46, s8
	s_waitcnt lgkmcnt(0)
	v_mul_f32_e32 v40, s4, v46
	v_pk_mul_f32 v[38:39], v[40:41], v[52:53] op_sel_hi:[0,1]
	v_mfma_f32_16x16x16_f16 v[18:21], v[44:45], v[20:21], v[26:29]
	v_cvt_pk_f32_fp8_e32 v[44:45], v35
	v_pk_mul_f32 v[46:47], v[40:41], v[50:51] op_sel_hi:[0,1]
	v_pk_mul_f32 v[48:49], v[40:41], v[56:57] op_sel_hi:[0,1]
	v_cvt_pk_f32_fp8_e32 v[26:27], v34
	v_cvt_pk_f32_fp8_sdwa v[28:29], v34 src0_sel:WORD_1
	v_cvt_pk_f32_fp8_sdwa v[34:35], v35 src0_sel:WORD_1
	v_pk_mul_f32 v[52:53], v[40:41], v[54:55] op_sel_hi:[0,1]
	v_cvt_pkrtz_f16_f32 v26, v26, v27
	v_cvt_pkrtz_f16_f32 v27, v28, v29
	;; [unrolled: 1-line block ×4, first 2 shown]
	v_cvt_pk_f32_fp8_e32 v[34:35], v36
	v_cvt_pk_f32_fp8_sdwa v[44:45], v36 src0_sel:WORD_1
	v_mfma_f32_16x16x16_f16 v[18:21], v[26:27], v[14:15], v[18:21]
	v_pk_mul_f32 v[50:51], v[40:41], v[72:73] op_sel_hi:[0,1]
	v_cvt_pkrtz_f16_f32 v26, v34, v35
	v_cvt_pkrtz_f16_f32 v27, v44, v45
	v_cvt_pk_f32_fp8_e32 v[34:35], v37
	v_cvt_pk_f32_fp8_sdwa v[36:37], v37 src0_sel:WORD_1
	v_mfma_f32_16x16x16_f16 v[14:17], v[28:29], v[16:17], v[18:21]
	v_pk_mul_f32 v[44:45], v[40:41], v[74:75] op_sel_hi:[0,1]
	v_mad_i64_i32 v[60:61], s[4:5], v71, s45, v[42:43]
	s_nop 0
	v_cvt_pkrtz_f16_f32 v18, v34, v35
	v_cvt_pkrtz_f16_f32 v19, v36, v37
	v_mfma_f32_16x16x16_f16 v[14:17], v[26:27], v[6:7], v[14:17]
	s_nop 0
	v_mfma_f32_16x16x16_f16 v[6:9], v[18:19], v[8:9], v[14:17]
	s_nop 6
	v_pk_mul_f32 v[34:35], v[40:41], v[8:9] op_sel_hi:[0,1]
	v_pk_mul_f32 v[40:41], v[40:41], v[6:7] op_sel_hi:[0,1]
	v_and_b32_e32 v6, 0xc0, v0
	v_add_u32_e32 v6, s18, v6
	v_lshl_or_b32 v6, v65, 2, v6
	v_or_b32_e32 v9, 1, v6
	v_mov_b32_e32 v7, 0xff7fffff
	v_cmp_gt_i32_e64 s[4:5], s48, v6
	v_cmp_gt_i32_e64 s[28:29], s48, v9
	v_or_b32_e32 v14, 3, v6
	v_cndmask_b32_e64 v8, v7, v46, s[4:5]
	v_cndmask_b32_e64 v9, v7, v47, s[28:29]
	v_max3_f32 v8, v8, s44, v9
	v_or_b32_e32 v9, 2, v6
	v_cmp_gt_i32_e64 s[30:31], s48, v9
	v_cmp_gt_i32_e64 s[34:35], s48, v14
	s_nop 0
	v_cndmask_b32_e64 v9, v7, v38, s[30:31]
	v_cndmask_b32_e64 v14, v7, v39, s[34:35]
	v_max3_f32 v8, v8, v9, v14
	v_or_b32_e32 v9, 16, v6
	v_or_b32_e32 v14, 17, v6
	v_cmp_gt_i32_e64 s[36:37], s48, v9
	v_cmp_gt_i32_e64 s[38:39], s48, v14
	s_nop 0
	v_cndmask_b32_e64 v9, v7, v52, s[36:37]
	v_cndmask_b32_e64 v14, v7, v53, s[38:39]
	v_max3_f32 v8, v8, v9, v14
	v_or_b32_e32 v9, 18, v6
	v_or_b32_e32 v14, 19, v6
	v_cmp_gt_i32_e64 s[20:21], s48, v9
	v_cmp_gt_i32_e64 s[22:23], s48, v14
	s_nop 0
	v_cndmask_b32_e64 v9, v7, v48, s[20:21]
	v_cndmask_b32_e64 v14, v7, v49, s[22:23]
	v_max3_f32 v8, v8, v9, v14
	v_or_b32_e32 v9, 32, v6
	v_or_b32_e32 v14, 33, v6
	v_cmp_gt_i32_e64 s[16:17], s48, v9
	v_cmp_gt_i32_e64 s[18:19], s48, v14
	s_nop 0
	v_cndmask_b32_e64 v9, v7, v50, s[16:17]
	v_cndmask_b32_e64 v14, v7, v51, s[18:19]
	v_max3_f32 v8, v8, v9, v14
	v_or_b32_e32 v9, 34, v6
	v_or_b32_e32 v14, 35, v6
	v_cmp_gt_i32_e64 s[12:13], s48, v9
	v_cmp_gt_i32_e64 s[14:15], s48, v14
	s_nop 0
	v_cndmask_b32_e64 v9, v7, v44, s[12:13]
	v_cndmask_b32_e64 v14, v7, v45, s[14:15]
	v_max3_f32 v8, v8, v9, v14
	v_or_b32_e32 v9, 48, v6
	v_or_b32_e32 v14, 49, v6
	v_cmp_gt_i32_e64 s[8:9], s48, v9
	v_cmp_gt_i32_e64 s[10:11], s48, v14
	s_nop 0
	v_cndmask_b32_e64 v9, v7, v40, s[8:9]
	v_cndmask_b32_e64 v14, v7, v41, s[10:11]
	v_max3_f32 v8, v8, v9, v14
	v_or_b32_e32 v9, 50, v6
	v_or_b32_e32 v6, 51, v6
	v_cmp_gt_i32_e32 vcc, s48, v9
	v_cmp_gt_i32_e64 s[6:7], s48, v6
	s_nop 0
	v_cndmask_b32_e32 v9, v7, v34, vcc
	v_cndmask_b32_e64 v6, v7, v35, s[6:7]
	v_max3_f32 v8, v8, v9, v6
	v_mbcnt_lo_u32_b32 v6, -1, 0
	v_mbcnt_hi_u32_b32 v9, -1, v6
	v_and_b32_e32 v6, 64, v9
	v_add_u32_e32 v14, 64, v6
	v_xor_b32_e32 v6, 32, v9
	v_cmp_lt_i32_e64 s[40:41], v6, v14
	s_nop 1
	v_cndmask_b32_e64 v6, v9, v6, s[40:41]
	v_lshlrev_b32_e32 v55, 2, v6
	ds_bpermute_b32 v15, v55, v8
	v_mad_i64_i32 v[6:7], s[40:41], v70, s45, v[42:43]
	global_load_dwordx4 v[26:29], v[60:61], off
	global_load_dwordx4 v[18:21], v[6:7], off
	s_waitcnt lgkmcnt(0)
	v_max_f32_e32 v6, v15, v15
	v_max_f32_e32 v15, v8, v6
	v_xor_b32_e32 v6, 16, v9
	v_cmp_lt_i32_e64 s[40:41], v6, v14
	s_nop 1
	v_cndmask_b32_e64 v6, v9, v6, s[40:41]
	v_lshlrev_b32_e32 v56, 2, v6
	ds_bpermute_b32 v14, v56, v15
	v_mad_i64_i32 v[6:7], s[40:41], v68, s45, v[42:43]
	v_mad_i64_i32 v[8:9], s[40:41], v69, s45, v[42:43]
	s_waitcnt lgkmcnt(0)
	v_max_f32_e32 v14, v14, v14
	v_max_f32_e32 v54, v15, v14
	v_sub_f32_e32 v14, v46, v54
	v_mul_f32_e32 v14, 0x3fb8aa3b, v14
	v_exp_f32_e32 v36, v14
	v_sub_f32_e32 v14, v47, v54
	v_mul_f32_e32 v14, 0x3fb8aa3b, v14
	v_exp_f32_e32 v37, v14
	global_load_dwordx4 v[14:17], v[6:7], off
	s_nop 0
	global_load_dwordx4 v[6:9], v[8:9], off
	v_sub_f32_e32 v38, v38, v54
	v_mul_f32_e32 v38, 0x3fb8aa3b, v38
	v_sub_f32_e32 v39, v39, v54
	v_exp_f32_e32 v38, v38
	v_mul_f32_e32 v39, 0x3fb8aa3b, v39
	v_exp_f32_e32 v39, v39
	v_cndmask_b32_e64 v36, 0, v36, s[4:5]
	v_add_f32_e32 v42, 0, v36
	v_cndmask_b32_e64 v37, 0, v37, s[28:29]
	v_add_f32_e32 v42, v42, v37
	;; [unrolled: 2-line block ×3, first 2 shown]
	v_cndmask_b32_e64 v47, 0, v39, s[34:35]
	v_sub_f32_e32 v39, v52, v54
	v_sub_f32_e32 v42, v53, v54
	v_mul_f32_e32 v39, 0x3fb8aa3b, v39
	v_mul_f32_e32 v42, 0x3fb8aa3b, v42
	v_exp_f32_e32 v39, v39
	v_exp_f32_e32 v42, v42
	v_add_f32_e32 v43, v38, v47
	v_sub_f32_e32 v44, v44, v54
	v_cndmask_b32_e64 v38, 0, v39, s[36:37]
	v_cndmask_b32_e64 v39, 0, v42, s[38:39]
	v_sub_f32_e32 v42, v48, v54
	v_mul_f32_e32 v42, 0x3fb8aa3b, v42
	v_exp_f32_e32 v42, v42
	v_sub_f32_e32 v48, v49, v54
	v_add_f32_e32 v43, v43, v38
	v_mul_f32_e32 v48, 0x3fb8aa3b, v48
	v_exp_f32_e32 v49, v48
	v_add_f32_e32 v43, v43, v39
	v_cndmask_b32_e64 v48, 0, v42, s[20:21]
	v_add_f32_e32 v42, v43, v48
	v_sub_f32_e32 v43, v50, v54
	v_mul_f32_e32 v43, 0x3fb8aa3b, v43
	v_sub_f32_e32 v50, v51, v54
	v_exp_f32_e32 v43, v43
	v_mul_f32_e32 v50, 0x3fb8aa3b, v50
	v_exp_f32_e32 v50, v50
	v_mul_f32_e32 v44, 0x3fb8aa3b, v44
	v_sub_f32_e32 v45, v45, v54
	v_exp_f32_e32 v44, v44
	v_mul_f32_e32 v45, 0x3fb8aa3b, v45
	v_sub_f32_e32 v40, v40, v54
	v_cndmask_b32_e64 v49, 0, v49, s[22:23]
	v_exp_f32_e32 v45, v45
	v_mul_f32_e32 v40, 0x3fb8aa3b, v40
	v_sub_f32_e32 v41, v41, v54
	v_add_f32_e32 v51, v42, v49
	v_cndmask_b32_e64 v42, 0, v43, s[16:17]
	v_exp_f32_e32 v40, v40
	v_mul_f32_e32 v41, 0x3fb8aa3b, v41
	v_sub_f32_e32 v34, v34, v54
	v_add_f32_e32 v51, v51, v42
	;; [unrolled: 5-line block ×3, first 2 shown]
	v_cndmask_b32_e64 v44, 0, v44, s[12:13]
	v_exp_f32_e32 v34, v34
	v_mul_f32_e32 v35, 0x3fb8aa3b, v35
	v_add_f32_e32 v50, v50, v44
	v_cndmask_b32_e64 v45, 0, v45, s[14:15]
	v_exp_f32_e32 v35, v35
	v_add_f32_e32 v50, v50, v45
	v_cndmask_b32_e64 v40, 0, v40, s[8:9]
	v_add_f32_e32 v50, v50, v40
	v_cndmask_b32_e64 v41, 0, v41, s[10:11]
	v_add_f32_e32 v50, v50, v41
	v_cndmask_b32_e32 v34, 0, v34, vcc
	v_add_f32_e32 v50, v50, v34
	v_cndmask_b32_e64 v35, 0, v35, s[6:7]
	v_add_f32_e32 v50, v50, v35
	ds_bpermute_b32 v51, v55, v50
	v_cmp_gt_u32_e32 vcc, 16, v67
	s_waitcnt lgkmcnt(0)
	s_barrier
	v_add_f32_e32 v50, v50, v51
	ds_bpermute_b32 v51, v56, v50
	s_and_saveexec_b64 s[4:5], vcc
	s_cbranch_execz .LBB1007_13
; %bb.12:
	s_waitcnt lgkmcnt(0)
	v_add_f32_e32 v50, v50, v51
	v_lshlrev_b32_e32 v51, 2, v59
	ds_write2st64_b32 v51, v54, v50 offset1:1
.LBB1007_13:
	s_or_b64 exec, exec, s[4:5]
	s_waitcnt lgkmcnt(0)
	v_lshlrev_b32_e32 v51, 2, v62
	s_load_dword s6, s[0:1], 0x94
	s_waitcnt lgkmcnt(0)
	s_barrier
	ds_read2_b32 v[52:53], v51 offset1:16
	ds_read2_b32 v[54:55], v51 offset0:32 offset1:48
	ds_read2_b32 v[56:57], v51 offset0:64 offset1:80
	s_lshl_b32 s7, s33, 2
	s_waitcnt lgkmcnt(2)
	v_max3_f32 v50, v52, s44, v53
	s_waitcnt lgkmcnt(1)
	v_max3_f32 v50, v50, v54, v55
	v_sub_f32_e32 v52, v52, v50
	v_mul_f32_e32 v52, 0x3fb8aa3b, v52
	v_exp_f32_e32 v59, v52
	v_sub_f32_e32 v52, v53, v50
	v_mul_f32_e32 v52, 0x3fb8aa3b, v52
	v_exp_f32_e32 v60, v52
	;; [unrolled: 3-line block ×3, first 2 shown]
	ds_read2_b32 v[52:53], v51 offset0:96 offset1:112
	v_sub_f32_e32 v51, v55, v50
	v_mul_f32_e32 v51, 0x3fb8aa3b, v51
	v_exp_f32_e32 v55, v51
	s_waitcnt lgkmcnt(1)
	v_fma_f32 v51, v59, v56, 0
	v_fmac_f32_e32 v51, v60, v57
	s_waitcnt lgkmcnt(0)
	v_fmac_f32_e32 v51, v54, v52
	v_fmac_f32_e32 v51, v55, v53
	v_add_f32_e32 v52, 0x358637bd, v51
	v_div_scale_f32 v53, s[4:5], v52, v52, 1.0
	v_rcp_f32_e32 v56, v53
	s_barrier
	v_fma_f32 v57, -v53, v56, 1.0
	v_fmac_f32_e32 v56, v57, v56
	v_div_scale_f32 v57, vcc, 1.0, v52, 1.0
	v_mul_f32_e32 v61, v57, v56
	v_fma_f32 v67, -v53, v61, v57
	v_fmac_f32_e32 v61, v67, v56
	v_fma_f32 v53, -v53, v61, v57
	v_div_fmas_f32 v53, v53, v56, v61
	v_cmp_eq_u32_e32 vcc, 1, v66
	v_div_fixup_f32 v52, v53, v52, 1.0
	s_nop 0
	v_cndmask_b32_e32 v53, v59, v60, vcc
	v_cmp_eq_u32_e32 vcc, 2, v66
	s_nop 1
	v_cndmask_b32_e32 v53, v53, v54, vcc
	v_cmp_eq_u32_e32 vcc, 3, v66
	s_nop 1
	v_cndmask_b32_e32 v53, v53, v55, vcc
	v_mul_f32_e32 v52, v53, v52
	v_pk_mul_f32 v[46:47], v[52:53], v[46:47] op_sel_hi:[0,1]
	v_pk_mul_f32 v[36:37], v[52:53], v[36:37] op_sel_hi:[0,1]
	v_cvt_f16_f32_e32 v53, v46
	v_cvt_f16_f32_e32 v36, v36
	;; [unrolled: 1-line block ×4, first 2 shown]
	v_pk_mul_f32 v[48:49], v[52:53], v[48:49] op_sel_hi:[0,1]
	v_pk_mul_f32 v[38:39], v[52:53], v[38:39] op_sel_hi:[0,1]
	v_cvt_f16_f32_e32 v38, v38
	v_cvt_f16_f32_e32 v39, v39
	;; [unrolled: 1-line block ×4, first 2 shown]
	v_pack_b32_f16 v46, v36, v37
	v_pack_b32_f16 v47, v53, v47
	v_lshlrev_b32_e32 v37, 3, v65
	v_lshlrev_b32_e32 v36, 5, v62
	;; [unrolled: 1-line block ×3, first 2 shown]
	v_or3_b32 v54, v53, v36, v37
	v_pack_b32_f16 v38, v38, v39
	v_pack_b32_f16 v39, v48, v49
	ds_write2st64_b64 v54, v[46:47], v[38:39] offset1:1
	v_pk_mul_f32 v[38:39], v[52:53], v[44:45] op_sel_hi:[0,1]
	v_pk_mul_f32 v[42:43], v[52:53], v[42:43] op_sel_hi:[0,1]
	v_cvt_f16_f32_e32 v37, v42
	v_cvt_f16_f32_e32 v42, v43
	;; [unrolled: 1-line block ×4, first 2 shown]
	v_pk_mul_f32 v[34:35], v[52:53], v[34:35] op_sel_hi:[0,1]
	v_pk_mul_f32 v[38:39], v[52:53], v[40:41] op_sel_hi:[0,1]
	v_cvt_f16_f32_e32 v38, v38
	v_cvt_f16_f32_e32 v39, v39
	v_cvt_f16_f32_e32 v40, v34
	v_cvt_f16_f32_e32 v41, v35
	v_pack_b32_f16 v34, v37, v42
	v_pack_b32_f16 v35, v43, v44
	;; [unrolled: 1-line block ×4, first 2 shown]
	v_cmp_gt_u32_e32 vcc, 4, v0
	ds_write2st64_b64 v54, v[34:35], v[38:39] offset0:2 offset1:3
	s_and_saveexec_b64 s[4:5], vcc
	s_cbranch_execz .LBB1007_15
; %bb.14:
	v_or_b32_e32 v34, s25, v0
	v_mov_b32_e32 v35, 0
	v_mov_b32_e32 v37, s7
	v_mad_u64_u32 v[38:39], s[12:13], s2, v37, v[34:35]
	v_mov_b32_e32 v34, s24
	s_load_dwordx4 s[8:11], s[0:1], 0x58
	s_mul_i32 s3, s3, s7
	v_mad_u64_u32 v[34:35], s[12:13], v38, s6, v[34:35]
	v_add_u32_e32 v37, s3, v39
	v_mov_b32_e32 v38, v35
	v_mad_u64_u32 v[38:39], s[12:13], v37, s6, v[38:39]
	v_mov_b32_e32 v35, v38
	v_lshlrev_b64 v[34:35], 2, v[34:35]
	s_waitcnt lgkmcnt(0)
	v_lshl_add_u64 v[38:39], s[10:11], 0, v[34:35]
	v_lshl_add_u64 v[34:35], s[8:9], 0, v[34:35]
	global_store_dword v[38:39], v50, off
	global_store_dword v[34:35], v51, off
.LBB1007_15:
	s_or_b64 exec, exec, s[4:5]
	s_waitcnt vmcnt(7)
	v_cvt_pk_f32_fp8_e32 v[34:35], v30
	v_lshl_or_b32 v50, v65, 9, v36
	v_cvt_pk_f32_fp8_sdwa v[36:37], v30 src0_sel:WORD_1
	s_waitcnt lgkmcnt(0)
	s_barrier
	v_cvt_pk_f32_fp8_e32 v[38:39], v31
	v_cvt_pkrtz_f16_f32 v30, v34, v35
	v_cvt_pk_f32_fp8_sdwa v[40:41], v31 src0_sel:WORD_1
	v_cvt_pkrtz_f16_f32 v31, v36, v37
	ds_read_b128 v[34:37], v50
	v_cvt_pkrtz_f16_f32 v46, v38, v39
	v_cvt_pkrtz_f16_f32 v47, v40, v41
	ds_read_b128 v[38:41], v50 offset:16
	v_cvt_pk_f32_fp8_e32 v[48:49], v32
	v_cvt_pk_f32_fp8_sdwa v[52:53], v32 src0_sel:WORD_1
	s_waitcnt lgkmcnt(1)
	v_mfma_f32_16x16x16_f16 v[42:45], v[30:31], v[34:35], 0
	s_waitcnt vmcnt(6)
	v_cvt_pk_f32_fp8_e32 v[56:57], v24
	v_cvt_pkrtz_f16_f32 v30, v48, v49
	v_cvt_pkrtz_f16_f32 v31, v52, v53
	v_cvt_pk_f32_fp8_e32 v[48:49], v33
	v_mfma_f32_16x16x16_f16 v[42:45], v[46:47], v[36:37], v[42:45]
	v_cvt_pk_f32_fp8_sdwa v[46:47], v33 src0_sel:WORD_1
	v_cvt_pk_f32_fp8_sdwa v[60:61], v24 src0_sel:WORD_1
	v_cvt_pkrtz_f16_f32 v48, v48, v49
	s_waitcnt lgkmcnt(0)
	v_mfma_f32_16x16x16_f16 v[30:33], v[30:31], v[38:39], v[42:45]
	v_cvt_pkrtz_f16_f32 v49, v46, v47
	s_waitcnt vmcnt(4)
	v_cvt_pk_f32_fp8_sdwa v[70:71], v4 src0_sel:WORD_1
	s_waitcnt vmcnt(3)
	v_cvt_pk_f32_fp8_sdwa v[72:73], v28 src0_sel:WORD_1
	v_cvt_pk_f32_fp8_e32 v[42:43], v22
	v_mfma_f32_16x16x16_f16 v[46:49], v[48:49], v[40:41], v[30:33]
	s_load_dword s4, s[42:43], 0x0
	s_mov_b32 s3, 0
	s_nop 0
	v_cvt_pk_f32_fp8_sdwa v[30:31], v22 src0_sel:WORD_1
	v_cvt_pk_f32_fp8_e32 v[32:33], v23
	v_cvt_pkrtz_f16_f32 v22, v42, v43
	v_cvt_pk_f32_fp8_sdwa v[42:43], v23 src0_sel:WORD_1
	v_cvt_pkrtz_f16_f32 v23, v30, v31
	v_cvt_pkrtz_f16_f32 v52, v32, v33
	ds_read_b128 v[30:33], v50 offset:2048
	v_cvt_pkrtz_f16_f32 v53, v42, v43
	ds_read_b128 v[42:45], v50 offset:2064
	s_waitcnt lgkmcnt(0)
	v_mfma_f32_16x16x16_f16 v[46:49], v[22:23], v[30:31], v[46:49]
	v_cvt_pkrtz_f16_f32 v22, v56, v57
	v_cvt_pkrtz_f16_f32 v23, v60, v61
	v_cvt_pk_f32_fp8_e32 v[56:57], v25
	v_mfma_f32_16x16x16_f16 v[46:49], v[52:53], v[32:33], v[46:49]
	v_cvt_pk_f32_fp8_sdwa v[52:53], v25 src0_sel:WORD_1
	v_cvt_pk_f32_fp8_sdwa v[60:61], v12 src0_sel:WORD_1
	v_cvt_pkrtz_f16_f32 v56, v56, v57
	v_mfma_f32_16x16x16_f16 v[22:25], v[22:23], v[42:43], v[46:49]
	v_cvt_pkrtz_f16_f32 v57, v52, v53
	s_nop 1
	v_cvt_pk_f32_fp8_e32 v[46:47], v10
	v_mfma_f32_16x16x16_f16 v[66:69], v[56:57], v[44:45], v[22:25]
	v_cvt_pk_f32_fp8_e32 v[56:57], v12
	s_nop 1
	v_cvt_pk_f32_fp8_sdwa v[22:23], v10 src0_sel:WORD_1
	v_cvt_pk_f32_fp8_e32 v[24:25], v11
	v_cvt_pkrtz_f16_f32 v10, v46, v47
	v_cvt_pk_f32_fp8_sdwa v[46:47], v11 src0_sel:WORD_1
	v_cvt_pkrtz_f16_f32 v11, v22, v23
	v_cvt_pkrtz_f16_f32 v52, v24, v25
	ds_read_b128 v[22:25], v50 offset:4096
	v_cvt_pkrtz_f16_f32 v53, v46, v47
	ds_read_b128 v[46:49], v50 offset:4112
	s_waitcnt lgkmcnt(1)
	v_mfma_f32_16x16x16_f16 v[66:69], v[10:11], v[22:23], v[66:69]
	v_cvt_pkrtz_f16_f32 v10, v56, v57
	v_cvt_pkrtz_f16_f32 v11, v60, v61
	v_cvt_pk_f32_fp8_e32 v[56:57], v13
	v_mfma_f32_16x16x16_f16 v[66:69], v[52:53], v[24:25], v[66:69]
	v_cvt_pk_f32_fp8_sdwa v[52:53], v13 src0_sel:WORD_1
	v_cvt_pk_f32_fp8_e32 v[60:61], v4
	v_cvt_pkrtz_f16_f32 v56, v56, v57
	s_waitcnt lgkmcnt(0)
	v_mfma_f32_16x16x16_f16 v[10:13], v[10:11], v[46:47], v[66:69]
	v_cvt_pkrtz_f16_f32 v57, v52, v53
	v_cvt_pk_f32_fp8_e32 v[52:53], v2
	s_nop 0
	v_mfma_f32_16x16x16_f16 v[66:69], v[56:57], v[48:49], v[10:13]
	s_nop 2
	v_cvt_pk_f32_fp8_sdwa v[10:11], v2 src0_sel:WORD_1
	v_cvt_pk_f32_fp8_e32 v[12:13], v3
	v_cvt_pkrtz_f16_f32 v2, v52, v53
	v_cvt_pk_f32_fp8_sdwa v[52:53], v3 src0_sel:WORD_1
	v_cvt_pkrtz_f16_f32 v3, v10, v11
	v_cvt_pkrtz_f16_f32 v56, v12, v13
	ds_read_b128 v[10:13], v50 offset:6144
	v_cvt_pkrtz_f16_f32 v57, v52, v53
	s_waitcnt lgkmcnt(0)
	v_mfma_f32_16x16x16_f16 v[66:69], v[2:3], v[10:11], v[66:69]
	ds_read_b128 v[50:53], v50 offset:6160
	v_cvt_pkrtz_f16_f32 v2, v60, v61
	v_cvt_pkrtz_f16_f32 v3, v70, v71
	v_cvt_pk_f32_fp8_e32 v[60:61], v5
	v_mfma_f32_16x16x16_f16 v[66:69], v[56:57], v[12:13], v[66:69]
	v_cvt_pk_f32_fp8_sdwa v[56:57], v5 src0_sel:WORD_1
	v_cvt_pk_f32_fp8_e32 v[70:71], v28
	v_cvt_pkrtz_f16_f32 v60, v60, v61
	s_waitcnt lgkmcnt(0)
	v_mfma_f32_16x16x16_f16 v[2:5], v[2:3], v[50:51], v[66:69]
	v_cvt_pkrtz_f16_f32 v61, v56, v57
	v_cvt_pk_f32_fp8_e32 v[56:57], v26
	s_nop 0
	v_cvt_pk_f32_fp8_sdwa v[66:67], v26 src0_sel:WORD_1
	v_mfma_f32_16x16x16_f16 v[2:5], v[60:61], v[52:53], v[2:5]
	v_cvt_pk_f32_fp8_e32 v[60:61], v27
	v_cvt_pkrtz_f16_f32 v56, v56, v57
	v_cvt_pkrtz_f16_f32 v57, v66, v67
	v_cvt_pk_f32_fp8_sdwa v[26:27], v27 src0_sel:WORD_1
	v_cvt_pkrtz_f16_f32 v60, v60, v61
	v_mfma_f32_16x16x16_f16 v[66:69], v[56:57], v[34:35], 0
	v_cvt_pkrtz_f16_f32 v61, v26, v27
	v_cvt_pkrtz_f16_f32 v26, v70, v71
	;; [unrolled: 1-line block ×3, first 2 shown]
	v_cvt_pk_f32_fp8_e32 v[56:57], v29
	v_mfma_f32_16x16x16_f16 v[34:37], v[60:61], v[36:37], v[66:69]
	v_cvt_pk_f32_fp8_sdwa v[60:61], v29 src0_sel:WORD_1
	v_cvt_pkrtz_f16_f32 v56, v56, v57
	s_barrier
	v_mfma_f32_16x16x16_f16 v[26:29], v[26:27], v[38:39], v[34:37]
	v_cvt_pkrtz_f16_f32 v57, v60, v61
	s_waitcnt vmcnt(2)
	v_cvt_pk_f32_fp8_e32 v[38:39], v19
	v_cvt_pk_f32_fp8_e32 v[34:35], v18
	v_cvt_pk_f32_fp8_sdwa v[36:37], v18 src0_sel:WORD_1
	v_cvt_pk_f32_fp8_sdwa v[18:19], v19 src0_sel:WORD_1
	v_mfma_f32_16x16x16_f16 v[26:29], v[56:57], v[40:41], v[26:29]
	v_cvt_pkrtz_f16_f32 v34, v34, v35
	v_cvt_pkrtz_f16_f32 v35, v36, v37
	v_cvt_pkrtz_f16_f32 v36, v38, v39
	v_cvt_pk_f32_fp8_e32 v[38:39], v20
	v_cvt_pk_f32_fp8_sdwa v[40:41], v20 src0_sel:WORD_1
	v_cvt_pkrtz_f16_f32 v37, v18, v19
	v_mfma_f32_16x16x16_f16 v[26:29], v[34:35], v[30:31], v[26:29]
	v_cvt_pkrtz_f16_f32 v30, v38, v39
	v_cvt_pkrtz_f16_f32 v31, v40, v41
	v_cvt_pk_f32_fp8_e32 v[34:35], v21
	v_cvt_pk_f32_fp8_sdwa v[38:39], v21 src0_sel:WORD_1
	v_mfma_f32_16x16x16_f16 v[18:21], v[36:37], v[32:33], v[26:29]
	s_waitcnt vmcnt(1)
	v_cvt_pk_f32_fp8_sdwa v[32:33], v16 src0_sel:WORD_1
	s_nop 0
	v_cvt_pkrtz_f16_f32 v26, v34, v35
	v_cvt_pkrtz_f16_f32 v27, v38, v39
	v_mfma_f32_16x16x16_f16 v[18:21], v[30:31], v[42:43], v[18:21]
	v_cvt_pk_f32_fp8_e32 v[28:29], v14
	v_cvt_pk_f32_fp8_sdwa v[30:31], v14 src0_sel:WORD_1
	v_cvt_pkrtz_f16_f32 v28, v28, v29
	v_mfma_f32_16x16x16_f16 v[18:21], v[26:27], v[44:45], v[18:21]
	v_cvt_pk_f32_fp8_e32 v[26:27], v15
	v_cvt_pkrtz_f16_f32 v29, v30, v31
	v_cvt_pk_f32_fp8_sdwa v[14:15], v15 src0_sel:WORD_1
	v_cvt_pk_f32_fp8_e32 v[30:31], v16
	v_cvt_pkrtz_f16_f32 v26, v26, v27
	v_mfma_f32_16x16x16_f16 v[18:21], v[28:29], v[22:23], v[18:21]
	v_cvt_pkrtz_f16_f32 v27, v14, v15
	v_cvt_pkrtz_f16_f32 v22, v30, v31
	;; [unrolled: 1-line block ×3, first 2 shown]
	v_cvt_pk_f32_fp8_e32 v[28:29], v17
	v_cvt_pk_f32_fp8_sdwa v[30:31], v17 src0_sel:WORD_1
	v_mfma_f32_16x16x16_f16 v[14:17], v[26:27], v[24:25], v[18:21]
	s_waitcnt vmcnt(0)
	v_cvt_pk_f32_fp8_sdwa v[24:25], v6 src0_sel:WORD_1
	s_nop 0
	v_pk_mul_f32 v[18:19], v[4:5], s[4:5] op_sel_hi:[1,0]
	v_cvt_pkrtz_f16_f32 v4, v28, v29
	v_cvt_pkrtz_f16_f32 v5, v30, v31
	v_mfma_f32_16x16x16_f16 v[14:17], v[22:23], v[46:47], v[14:17]
	v_cvt_pk_f32_fp8_e32 v[22:23], v6
	v_pk_mul_f32 v[20:21], v[2:3], s[4:5] op_sel_hi:[1,0]
	v_mfma_f32_16x16x16_f16 v[2:5], v[4:5], v[48:49], v[14:17]
	s_nop 3
	v_cvt_pk_f32_fp8_e32 v[14:15], v7
	v_cvt_pkrtz_f16_f32 v16, v22, v23
	v_cvt_pkrtz_f16_f32 v17, v24, v25
	v_cvt_pk_f32_fp8_sdwa v[6:7], v7 src0_sel:WORD_1
	v_cvt_pkrtz_f16_f32 v14, v14, v15
	v_cvt_pk_f32_fp8_e32 v[22:23], v8
	v_cvt_pk_f32_fp8_sdwa v[24:25], v8 src0_sel:WORD_1
	v_cvt_pkrtz_f16_f32 v15, v6, v7
	v_mfma_f32_16x16x16_f16 v[2:5], v[16:17], v[10:11], v[2:5]
	v_cvt_pkrtz_f16_f32 v6, v22, v23
	v_cvt_pkrtz_f16_f32 v7, v24, v25
	v_cvt_pk_f32_fp8_e32 v[10:11], v9
	v_cvt_pk_f32_fp8_sdwa v[8:9], v9 src0_sel:WORD_1
	v_mfma_f32_16x16x16_f16 v[2:5], v[14:15], v[12:13], v[2:5]
	v_cvt_f16_f32_e32 v12, v20
	v_cvt_pkrtz_f16_f32 v10, v10, v11
	v_cvt_pkrtz_f16_f32 v11, v8, v9
	v_mfma_f32_16x16x16_f16 v[2:5], v[6:7], v[50:51], v[2:5]
	v_cvt_f16_f32_e32 v6, v21
	v_cvt_f16_f32_e32 v7, v18
	;; [unrolled: 1-line block ×3, first 2 shown]
	v_mfma_f32_16x16x16_f16 v[2:5], v[10:11], v[52:53], v[2:5]
	s_nop 6
	v_pk_mul_f32 v[4:5], v[4:5], s[4:5] op_sel_hi:[1,0]
	v_pk_mul_f32 v[2:3], v[2:3], s[4:5] op_sel_hi:[1,0]
	v_cvt_f16_f32_e32 v11, v4
	v_cvt_f16_f32_e32 v9, v2
	;; [unrolled: 1-line block ×4, first 2 shown]
	v_pack_b32_f16 v2, v12, v6
	v_pack_b32_f16 v3, v7, v8
	;; [unrolled: 1-line block ×4, first 2 shown]
	ds_write2st64_b64 v54, v[2:3], v[4:5] offset1:1
	s_waitcnt lgkmcnt(0)
	s_barrier
	s_and_saveexec_b64 s[4:5], s[26:27]
	s_cbranch_execz .LBB1007_17
; %bb.16:
	s_load_dwordx2 s[0:1], s[0:1], 0x68
	s_lshl_b32 s6, s6, 7
	s_mul_i32 s2, s7, s2
	v_lshlrev_b32_e32 v3, 6, v62
	s_mul_hi_u32 s5, s2, s6
	s_mul_i32 s4, s2, s6
	v_lshl_or_b32 v0, v0, 10, v3
	s_lshl_b64 s[4:5], s[4:5], 1
	v_and_b32_e32 v2, 16, v64
	v_and_b32_e32 v0, 0x1a00, v0
	s_waitcnt lgkmcnt(0)
	s_add_u32 s4, s0, s4
	v_or3_b32 v0, v0, v63, v2
	s_addc_u32 s5, s1, s5
	s_lshl_b32 s2, s24, 7
	ds_read_b128 v[2:5], v0
	s_lshl_b64 s[0:1], s[2:3], 1
	s_add_u32 s0, s4, s0
	s_addc_u32 s1, s5, s1
	v_mad_u64_u32 v[0:1], s[2:3], s6, v1, 0
	v_lshl_add_u64 v[0:1], v[0:1], 1, s[0:1]
	v_mov_b32_e32 v59, 0
	v_lshl_add_u64 v[0:1], v[0:1], 0, v[58:59]
	s_waitcnt lgkmcnt(0)
	global_store_dwordx4 v[0:1], v[2:5], off
.LBB1007_17:
	s_endpgm
	.section	.rodata,"a",@progbits
	.p2align	6, 0x0
	.amdhsa_kernel _Z39paged_attention_ll4mi_QKV_mfma16_kernelIDF16_hLN4vllm18Fp8KVCacheDataTypeE1EDF16_Li16ELi128ELi256ELb0ELi4EEvPKT_PKT0_S7_ifPKiS9_S9_iPKfiiiPfSC_PS2_PT2_iSB_SB_
		.amdhsa_group_segment_fixed_size 8192
		.amdhsa_private_segment_fixed_size 0
		.amdhsa_kernarg_size 400
		.amdhsa_user_sgpr_count 2
		.amdhsa_user_sgpr_dispatch_ptr 0
		.amdhsa_user_sgpr_queue_ptr 0
		.amdhsa_user_sgpr_kernarg_segment_ptr 1
		.amdhsa_user_sgpr_dispatch_id 0
		.amdhsa_user_sgpr_kernarg_preload_length 0
		.amdhsa_user_sgpr_kernarg_preload_offset 0
		.amdhsa_user_sgpr_private_segment_size 0
		.amdhsa_uses_dynamic_stack 0
		.amdhsa_enable_private_segment 0
		.amdhsa_system_sgpr_workgroup_id_x 1
		.amdhsa_system_sgpr_workgroup_id_y 1
		.amdhsa_system_sgpr_workgroup_id_z 1
		.amdhsa_system_sgpr_workgroup_info 0
		.amdhsa_system_vgpr_workitem_id 0
		.amdhsa_next_free_vgpr 92
		.amdhsa_next_free_sgpr 49
		.amdhsa_accum_offset 92
		.amdhsa_reserve_vcc 1
		.amdhsa_float_round_mode_32 0
		.amdhsa_float_round_mode_16_64 0
		.amdhsa_float_denorm_mode_32 3
		.amdhsa_float_denorm_mode_16_64 3
		.amdhsa_dx10_clamp 1
		.amdhsa_ieee_mode 1
		.amdhsa_fp16_overflow 0
		.amdhsa_tg_split 0
		.amdhsa_exception_fp_ieee_invalid_op 0
		.amdhsa_exception_fp_denorm_src 0
		.amdhsa_exception_fp_ieee_div_zero 0
		.amdhsa_exception_fp_ieee_overflow 0
		.amdhsa_exception_fp_ieee_underflow 0
		.amdhsa_exception_fp_ieee_inexact 0
		.amdhsa_exception_int_div_zero 0
	.end_amdhsa_kernel
	.section	.text._Z39paged_attention_ll4mi_QKV_mfma16_kernelIDF16_hLN4vllm18Fp8KVCacheDataTypeE1EDF16_Li16ELi128ELi256ELb0ELi4EEvPKT_PKT0_S7_ifPKiS9_S9_iPKfiiiPfSC_PS2_PT2_iSB_SB_,"axG",@progbits,_Z39paged_attention_ll4mi_QKV_mfma16_kernelIDF16_hLN4vllm18Fp8KVCacheDataTypeE1EDF16_Li16ELi128ELi256ELb0ELi4EEvPKT_PKT0_S7_ifPKiS9_S9_iPKfiiiPfSC_PS2_PT2_iSB_SB_,comdat
.Lfunc_end1007:
	.size	_Z39paged_attention_ll4mi_QKV_mfma16_kernelIDF16_hLN4vllm18Fp8KVCacheDataTypeE1EDF16_Li16ELi128ELi256ELb0ELi4EEvPKT_PKT0_S7_ifPKiS9_S9_iPKfiiiPfSC_PS2_PT2_iSB_SB_, .Lfunc_end1007-_Z39paged_attention_ll4mi_QKV_mfma16_kernelIDF16_hLN4vllm18Fp8KVCacheDataTypeE1EDF16_Li16ELi128ELi256ELb0ELi4EEvPKT_PKT0_S7_ifPKiS9_S9_iPKfiiiPfSC_PS2_PT2_iSB_SB_
                                        ; -- End function
	.section	.AMDGPU.csdata,"",@progbits
; Kernel info:
; codeLenInByte = 5924
; NumSgprs: 55
; NumVgprs: 92
; NumAgprs: 0
; TotalNumVgprs: 92
; ScratchSize: 0
; MemoryBound: 0
; FloatMode: 240
; IeeeMode: 1
; LDSByteSize: 8192 bytes/workgroup (compile time only)
; SGPRBlocks: 6
; VGPRBlocks: 11
; NumSGPRsForWavesPerEU: 55
; NumVGPRsForWavesPerEU: 92
; AccumOffset: 92
; Occupancy: 5
; WaveLimiterHint : 1
; COMPUTE_PGM_RSRC2:SCRATCH_EN: 0
; COMPUTE_PGM_RSRC2:USER_SGPR: 2
; COMPUTE_PGM_RSRC2:TRAP_HANDLER: 0
; COMPUTE_PGM_RSRC2:TGID_X_EN: 1
; COMPUTE_PGM_RSRC2:TGID_Y_EN: 1
; COMPUTE_PGM_RSRC2:TGID_Z_EN: 1
; COMPUTE_PGM_RSRC2:TIDIG_COMP_CNT: 0
; COMPUTE_PGM_RSRC3_GFX90A:ACCUM_OFFSET: 22
; COMPUTE_PGM_RSRC3_GFX90A:TG_SPLIT: 0
	.section	.text._Z38paged_attention_ll4mi_QKV_mfma4_kernelIDF16_hLN4vllm18Fp8KVCacheDataTypeE1EhLi32ELi128ELi256ELb1ELi1EEvPKT_PKT0_S7_ifPKiS9_S9_iPKfiiiPfSC_PS2_PT2_iSB_SB_,"axG",@progbits,_Z38paged_attention_ll4mi_QKV_mfma4_kernelIDF16_hLN4vllm18Fp8KVCacheDataTypeE1EhLi32ELi128ELi256ELb1ELi1EEvPKT_PKT0_S7_ifPKiS9_S9_iPKfiiiPfSC_PS2_PT2_iSB_SB_,comdat
	.protected	_Z38paged_attention_ll4mi_QKV_mfma4_kernelIDF16_hLN4vllm18Fp8KVCacheDataTypeE1EhLi32ELi128ELi256ELb1ELi1EEvPKT_PKT0_S7_ifPKiS9_S9_iPKfiiiPfSC_PS2_PT2_iSB_SB_ ; -- Begin function _Z38paged_attention_ll4mi_QKV_mfma4_kernelIDF16_hLN4vllm18Fp8KVCacheDataTypeE1EhLi32ELi128ELi256ELb1ELi1EEvPKT_PKT0_S7_ifPKiS9_S9_iPKfiiiPfSC_PS2_PT2_iSB_SB_
	.globl	_Z38paged_attention_ll4mi_QKV_mfma4_kernelIDF16_hLN4vllm18Fp8KVCacheDataTypeE1EhLi32ELi128ELi256ELb1ELi1EEvPKT_PKT0_S7_ifPKiS9_S9_iPKfiiiPfSC_PS2_PT2_iSB_SB_
	.p2align	8
	.type	_Z38paged_attention_ll4mi_QKV_mfma4_kernelIDF16_hLN4vllm18Fp8KVCacheDataTypeE1EhLi32ELi128ELi256ELb1ELi1EEvPKT_PKT0_S7_ifPKiS9_S9_iPKfiiiPfSC_PS2_PT2_iSB_SB_,@function
_Z38paged_attention_ll4mi_QKV_mfma4_kernelIDF16_hLN4vllm18Fp8KVCacheDataTypeE1EhLi32ELi128ELi256ELb1ELi1EEvPKT_PKT0_S7_ifPKiS9_S9_iPKfiiiPfSC_PS2_PT2_iSB_SB_: ; @_Z38paged_attention_ll4mi_QKV_mfma4_kernelIDF16_hLN4vllm18Fp8KVCacheDataTypeE1EhLi32ELi128ELi256ELb1ELi1EEvPKT_PKT0_S7_ifPKiS9_S9_iPKfiiiPfSC_PS2_PT2_iSB_SB_
; %bb.0:
	s_load_dwordx2 s[8:9], s[0:1], 0x30
	s_mov_b32 s20, s3
	s_mov_b64 s[6:7], 0
	s_waitcnt lgkmcnt(0)
	s_cmp_lg_u64 s[8:9], 0
	s_cselect_b64 s[10:11], -1, 0
	s_and_b64 vcc, exec, s[10:11]
	s_cbranch_vccz .LBB1008_10
; %bb.1:
	s_add_i32 s12, s2, 1
	s_mov_b32 s13, 0
	s_lshl_b64 s[14:15], s[12:13], 2
	s_add_u32 s14, s8, s14
	s_mov_b32 s3, s13
	s_addc_u32 s15, s9, s15
	s_lshl_b64 s[12:13], s[2:3], 2
	s_add_u32 s12, s8, s12
	s_addc_u32 s13, s9, s13
	s_load_dword s5, s[14:15], 0x0
	s_load_dword s16, s[12:13], 0x0
	s_waitcnt lgkmcnt(0)
	s_sub_i32 s5, s5, s16
	s_cmp_eq_u32 s5, 1
	s_cselect_b64 s[12:13], -1, 0
	s_andn2_b64 vcc, exec, s[6:7]
	s_cbranch_vccnz .LBB1008_3
.LBB1008_2:
	s_mov_b32 s3, 0
	s_mov_b64 s[12:13], -1
.LBB1008_3:
	s_andn2_b64 vcc, exec, s[12:13]
	s_cbranch_vccnz .LBB1008_27
; %bb.4:
	s_load_dword s5, s[0:1], 0x9c
	s_load_dwordx2 s[6:7], s[0:1], 0x28
	s_add_u32 s24, s0, 0x90
	s_addc_u32 s25, s1, 0
	s_lshl_b64 s[28:29], s[2:3], 2
	s_waitcnt lgkmcnt(0)
	s_and_b32 s5, s5, 0xffff
	s_add_u32 s6, s6, s28
	s_addc_u32 s7, s7, s29
	s_load_dword s3, s[6:7], 0x0
	s_mul_i32 s5, s20, s5
	s_waitcnt lgkmcnt(0)
	s_cmp_ge_i32 s5, s3
	s_cbranch_scc1 .LBB1008_27
; %bb.5:
	v_and_b32_e32 v1, 0xc0, v0
	v_add_u32_e32 v4, s5, v1
	v_lshrrev_b32_e32 v46, 6, v0
	v_cmp_le_i32_e64 s[6:7], s3, v4
                                        ; implicit-def: $sgpr30
                                        ; implicit-def: $sgpr21
	s_and_saveexec_b64 s[12:13], s[6:7]
	s_xor_b64 s[12:13], exec, s[12:13]
	s_cbranch_execz .LBB1008_7
; %bb.6:
	v_mul_u32_u24_e32 v1, 20, v46
	v_or_b32_e32 v1, 0x1400, v1
	v_mov_b32_e32 v2, 0x1450
	v_mov_b32_e32 v3, 0xff7fffff
	v_mad_u32_u24 v2, v46, 20, v2
	ds_write2_b32 v1, v3, v3 offset1:1
	v_mov_b32_e32 v1, 0
	ds_write2_b32 v2, v1, v1 offset1:1
	v_mov_b32_e32 v2, 0x1408
	v_mov_b32_e32 v4, 0x1458
	s_mov_b32 s21, 0xff7fffff
	s_mov_b32 s30, 0
	v_mad_u32_u24 v2, v46, 20, v2
	v_mad_u32_u24 v4, v46, 20, v4
	ds_write2_b32 v2, v3, v3 offset1:1
	ds_write2_b32 v4, v1, v1 offset1:1
                                        ; implicit-def: $vgpr4
.LBB1008_7:
	s_or_saveexec_b64 s[26:27], s[12:13]
	s_load_dwordx2 s[22:23], s[0:1], 0x68
	s_load_dwordx4 s[16:19], s[0:1], 0x58
	s_load_dword s33, s[24:25], 0x4
	s_load_dwordx4 s[12:15], s[0:1], 0x80
	v_and_b32_e32 v1, 63, v0
	v_and_b32_e32 v47, 3, v0
	v_mov_b32_e32 v37, s30
	v_mov_b32_e32 v39, s21
	;; [unrolled: 1-line block ×5, first 2 shown]
                                        ; implicit-def: $vgpr26_vgpr27
                                        ; implicit-def: $vgpr10_vgpr11
                                        ; implicit-def: $vgpr30_vgpr31
                                        ; implicit-def: $vgpr18_vgpr19
                                        ; implicit-def: $vgpr6_vgpr7
                                        ; implicit-def: $vgpr2_vgpr3
                                        ; implicit-def: $vgpr22_vgpr23
                                        ; implicit-def: $vgpr14_vgpr15
	s_xor_b64 exec, exec, s[26:27]
	s_cbranch_execz .LBB1008_19
; %bb.8:
	s_load_dwordx2 s[30:31], s[0:1], 0x20
	s_load_dword s21, s[0:1], 0x38
	s_add_i32 s34, s3, 31
	s_ashr_i32 s35, s34, 31
	s_lshr_b32 s35, s35, 27
	v_add_u32_e32 v48, s5, v0
	s_add_i32 s34, s34, s35
	v_ashrrev_i32_e32 v2, 31, v48
	s_ashr_i32 s34, s34, 5
	v_lshrrev_b32_e32 v2, 27, v2
	s_add_i32 s36, s34, -1
	s_waitcnt lgkmcnt(0)
	s_mul_i32 s34, s2, s21
	s_mov_b32 s35, 0
	v_add_u32_e32 v2, v48, v2
	s_lshl_b64 s[34:35], s[34:35], 2
	v_ashrrev_i32_e32 v2, 5, v2
	v_mov_b32_e32 v3, s36
	v_cmp_gt_i32_e32 vcc, s3, v48
	s_add_u32 s30, s30, s34
	s_addc_u32 s31, s31, s35
	v_cndmask_b32_e32 v2, v3, v2, vcc
	v_ashrrev_i32_e32 v3, 31, v2
	v_lshl_add_u64 v[6:7], v[2:3], 2, s[30:31]
	v_ashrrev_i32_e32 v2, 31, v4
	v_lshrrev_b32_e32 v2, 27, v2
	v_add_u32_e32 v2, v4, v2
	v_ashrrev_i32_e32 v8, 5, v2
	v_min_i32_e32 v2, s36, v8
	v_ashrrev_i32_e32 v3, 31, v2
	v_lshl_add_u64 v[4:5], v[2:3], 2, s[30:31]
	v_add_u32_e32 v2, 1, v8
	v_min_i32_e32 v2, s36, v2
	v_ashrrev_i32_e32 v3, 31, v2
	v_lshl_add_u64 v[8:9], v[2:3], 2, s[30:31]
	global_load_dword v2, v[6:7], off
	global_load_dword v27, v[4:5], off
	;; [unrolled: 1-line block ×3, first 2 shown]
	s_load_dwordx2 s[34:35], s[0:1], 0x8
	s_andn2_b64 vcc, exec, s[10:11]
	s_cbranch_vccnz .LBB1008_11
; %bb.9:
	s_add_u32 s8, s8, s28
	s_addc_u32 s9, s9, s29
	s_load_dword s5, s[8:9], 0x0
	s_branch .LBB1008_12
.LBB1008_10:
	s_mov_b64 s[12:13], 0
	s_branch .LBB1008_2
.LBB1008_11:
	s_mov_b32 s5, s2
.LBB1008_12:
	s_load_dwordx2 s[28:29], s[0:1], 0x10
	s_load_dwordx4 s[8:11], s[0:1], 0x48
	v_cmp_eq_u32_e32 vcc, 0, v47
	s_mov_b32 s31, 0
	v_mov_b32_e32 v43, 0
	v_mov_b32_e32 v14, 0
	;; [unrolled: 1-line block ×5, first 2 shown]
	s_and_saveexec_b64 s[36:37], vcc
	s_cbranch_execz .LBB1008_14
; %bb.13:
	s_load_dwordx2 s[38:39], s[0:1], 0x0
	s_waitcnt lgkmcnt(0)
	s_ashr_i32 s11, s8, 31
	s_mul_hi_u32 s21, s5, s8
	s_mul_i32 s11, s5, s11
	s_add_i32 s41, s21, s11
	s_mul_i32 s40, s5, s8
	s_lshl_b64 s[40:41], s[40:41], 1
	s_add_u32 s5, s38, s40
	s_addc_u32 s8, s39, s41
	s_lshl_b32 s30, s4, 7
	s_lshl_b64 s[38:39], s[30:31], 1
	s_add_u32 s38, s5, s38
	s_addc_u32 s39, s8, s39
	v_lshlrev_b32_e32 v3, 2, v1
	global_load_dwordx4 v[14:17], v3, s[38:39]
.LBB1008_14:
	s_or_b64 exec, exec, s[36:37]
	s_waitcnt lgkmcnt(0)
	s_mul_i32 s8, s4, s10
	s_add_u32 s10, s8, s34
	s_addc_u32 s11, 0, s35
	v_mov_b64_e32 v[4:5], s[10:11]
	s_waitcnt vmcnt(2)
	v_mad_i64_i32 v[2:3], s[10:11], v2, s9, v[4:5]
	v_lshlrev_b32_e32 v4, 4, v0
	v_and_b32_e32 v42, 0x1f0, v4
	v_lshl_add_u64 v[28:29], v[2:3], 0, v[42:43]
	global_load_dwordx4 v[10:13], v[28:29], off
	global_load_dwordx4 v[6:9], v[28:29], off offset:512
	global_load_dwordx4 v[2:5], v[28:29], off offset:1024
	;; [unrolled: 1-line block ×7, first 2 shown]
	v_mov_b32_e32 v42, 0
	s_and_saveexec_b64 s[10:11], vcc
	s_cbranch_execz .LBB1008_16
; %bb.15:
	s_load_dwordx2 s[34:35], s[0:1], 0x40
	s_mov_b32 s5, s31
	s_lshl_b64 s[30:31], s[4:5], 2
	v_mov_b32_e32 v43, 1.0
	s_waitcnt lgkmcnt(0)
	s_add_u32 s30, s34, s30
	s_addc_u32 s31, s35, s31
	s_load_dword s5, s[30:31], 0x0
	s_waitcnt lgkmcnt(0)
	v_mov_b32_e32 v42, s5
.LBB1008_16:
	s_or_b64 exec, exec, s[10:11]
	s_waitcnt vmcnt(9)
	v_mul_hi_i32 v28, v27, s9
	v_ashrrev_i32_e32 v28, 31, v28
	s_add_u32 s10, s28, s8
	v_lshrrev_b32_e32 v28, 29, v28
	v_mov_b32_e32 v29, 0
	s_addc_u32 s11, s29, 0
	v_mad_i64_i32 v[44:45], s[28:29], v27, s9, v[28:29]
	v_and_b32_e32 v44, -8, v44
	s_waitcnt vmcnt(8)
	v_mul_hi_i32 v27, v26, s9
	v_lshl_add_u64 v[44:45], s[10:11], 0, v[44:45]
	v_lshlrev_b32_e32 v28, 5, v1
	v_ashrrev_i32_e32 v27, 31, v27
	v_lshl_add_u64 v[50:51], v[44:45], 0, v[28:29]
	v_lshrrev_b32_e32 v44, 29, v27
	v_mov_b32_e32 v45, v29
	v_mad_i64_i32 v[26:27], s[8:9], v26, s9, v[44:45]
	v_and_b32_e32 v26, -8, v26
	s_waitcnt vmcnt(7)
	v_cvt_pk_f32_fp8_e32 v[52:53], v10
	v_cvt_pk_f32_fp8_sdwa v[54:55], v10 src0_sel:WORD_1
	v_lshl_add_u64 v[26:27], s[10:11], 0, v[26:27]
	v_lshl_add_u64 v[44:45], v[26:27], 0, v[28:29]
	v_cvt_pk_f32_fp8_e32 v[26:27], v11
	v_cvt_pk_f32_fp8_sdwa v[10:11], v11 src0_sel:WORD_1
	v_cvt_pkrtz_f16_f32 v28, v52, v53
	v_cvt_pkrtz_f16_f32 v29, v54, v55
	;; [unrolled: 1-line block ×4, first 2 shown]
	v_mfma_f32_4x4x4_16b_f16 a[0:3], v[14:15], v[28:29], 0 cbsz:4
	v_cvt_pk_f32_fp8_e32 v[10:11], v12
	v_cvt_pk_f32_fp8_e32 v[28:29], v13
	v_mfma_f32_4x4x4_16b_f16 a[0:3], v[16:17], v[26:27], a[0:3] cbsz:4
	v_cvt_pk_f32_fp8_sdwa v[26:27], v12 src0_sel:WORD_1
	v_cvt_pk_f32_fp8_sdwa v[12:13], v13 src0_sel:WORD_1
	v_cvt_pkrtz_f16_f32 v10, v10, v11
	s_waitcnt vmcnt(4)
	v_cvt_pk_f32_fp8_e32 v[52:53], v41
	v_cvt_pkrtz_f16_f32 v11, v26, v27
	v_cvt_pkrtz_f16_f32 v26, v28, v29
	;; [unrolled: 1-line block ×3, first 2 shown]
	v_mfma_f32_4x4x4_16b_f16 a[0:3], v[14:15], v[10:11], a[0:3] cbsz:4 abid:1
	v_cvt_pk_f32_fp8_e32 v[10:11], v6
	v_cvt_pk_f32_fp8_sdwa v[12:13], v6 src0_sel:WORD_1
	v_mfma_f32_4x4x4_16b_f16 a[0:3], v[16:17], v[26:27], a[0:3] cbsz:4 abid:1
	v_cvt_pk_f32_fp8_e32 v[26:27], v7
	v_cvt_pk_f32_fp8_sdwa v[6:7], v7 src0_sel:WORD_1
	v_cvt_pkrtz_f16_f32 v28, v10, v11
	v_cvt_pkrtz_f16_f32 v29, v12, v13
	;; [unrolled: 1-line block ×4, first 2 shown]
	v_mfma_f32_4x4x4_16b_f16 a[0:3], v[14:15], v[28:29], a[0:3] cbsz:4 abid:2
	v_cvt_pk_f32_fp8_e32 v[6:7], v8
	v_cvt_pk_f32_fp8_sdwa v[28:29], v8 src0_sel:WORD_1
	v_mfma_f32_4x4x4_16b_f16 a[0:3], v[16:17], v[26:27], a[0:3] cbsz:4 abid:2
	v_cvt_pk_f32_fp8_e32 v[26:27], v9
	v_cvt_pkrtz_f16_f32 v6, v6, v7
	v_cvt_pkrtz_f16_f32 v7, v28, v29
	v_cvt_pk_f32_fp8_sdwa v[8:9], v9 src0_sel:WORD_1
	v_cvt_pk_f32_fp8_sdwa v[28:29], v2 src0_sel:WORD_1
	v_mfma_f32_4x4x4_16b_f16 a[0:3], v[14:15], v[6:7], a[0:3] cbsz:4 abid:3
	v_cvt_pk_f32_fp8_e32 v[6:7], v2
	v_cvt_pkrtz_f16_f32 v26, v26, v27
	v_cvt_pkrtz_f16_f32 v27, v8, v9
	v_cvt_pk_f32_fp8_sdwa v[8:9], v3 src0_sel:WORD_1
	v_cvt_pkrtz_f16_f32 v2, v6, v7
	v_cvt_pk_f32_fp8_e32 v[6:7], v3
	v_mfma_f32_4x4x4_16b_f16 a[0:3], v[16:17], v[26:27], a[0:3] cbsz:4 abid:3
	v_cvt_pkrtz_f16_f32 v3, v28, v29
	global_load_dwordx4 v[10:13], v[50:51], off offset:16
	global_load_dwordx4 v[26:29], v[50:51], off
	v_mfma_f32_4x4x4_16b_f16 a[0:3], v[14:15], v[2:3], a[0:3] cbsz:4 abid:4
	v_cvt_pkrtz_f16_f32 v6, v6, v7
	v_cvt_pkrtz_f16_f32 v7, v8, v9
	v_cvt_pk_f32_fp8_e32 v[2:3], v4
	v_cvt_pk_f32_fp8_e32 v[8:9], v5
	v_mfma_f32_4x4x4_16b_f16 a[0:3], v[16:17], v[6:7], a[0:3] cbsz:4 abid:4
	v_cvt_pk_f32_fp8_sdwa v[6:7], v4 src0_sel:WORD_1
	v_cvt_pk_f32_fp8_sdwa v[4:5], v5 src0_sel:WORD_1
	v_cvt_pkrtz_f16_f32 v2, v2, v3
	s_load_dword s0, s[0:1], 0x1c
	v_cvt_pkrtz_f16_f32 v3, v6, v7
	v_cvt_pkrtz_f16_f32 v7, v4, v5
	v_cvt_pk_f32_fp8_sdwa v[4:5], v38 src0_sel:WORD_1
	v_mfma_f32_4x4x4_16b_f16 a[0:3], v[14:15], v[2:3], a[0:3] cbsz:4 abid:5
	v_cvt_pk_f32_fp8_e32 v[2:3], v38
	v_cvt_pkrtz_f16_f32 v6, v8, v9
	v_cvt_pk_f32_fp8_sdwa v[8:9], v39 src0_sel:WORD_1
	s_load_dword s1, s[12:13], 0x0
	v_mfma_f32_4x4x4_16b_f16 a[0:3], v[16:17], v[6:7], a[0:3] cbsz:4 abid:5
	v_cvt_pk_f32_fp8_e32 v[6:7], v39
	v_cvt_pkrtz_f16_f32 v38, v2, v3
	v_cvt_pkrtz_f16_f32 v39, v4, v5
	global_load_dwordx4 v[2:5], v[50:51], off offset:2064
	v_cvt_pkrtz_f16_f32 v6, v6, v7
	v_mfma_f32_4x4x4_16b_f16 a[0:3], v[14:15], v[38:39], a[0:3] cbsz:4 abid:6
	v_cvt_pk_f32_fp8_sdwa v[38:39], v40 src0_sel:WORD_1
	v_cvt_pkrtz_f16_f32 v7, v8, v9
	v_cvt_pk_f32_fp8_e32 v[8:9], v40
	v_cvt_pkrtz_f16_f32 v40, v52, v53
	v_cvt_pkrtz_f16_f32 v55, v38, v39
	v_cvt_pk_f32_fp8_sdwa v[38:39], v41 src0_sel:WORD_1
	v_mfma_f32_4x4x4_16b_f16 a[0:3], v[16:17], v[6:7], a[0:3] cbsz:4 abid:6
	v_cvt_pkrtz_f16_f32 v54, v8, v9
	global_load_dwordx4 v[6:9], v[50:51], off offset:2048
	s_waitcnt vmcnt(7)
	v_cvt_pk_f32_fp8_e32 v[50:51], v18
	v_cvt_pk_f32_fp8_sdwa v[52:53], v18 src0_sel:WORD_1
	v_mfma_f32_4x4x4_16b_f16 a[0:3], v[14:15], v[54:55], a[0:3] cbsz:4 abid:7
	v_cvt_pkrtz_f16_f32 v41, v38, v39
	v_cvt_pk_f32_fp8_e32 v[38:39], v19
	v_cvt_pk_f32_fp8_sdwa v[18:19], v19 src0_sel:WORD_1
	v_mfma_f32_4x4x4_16b_f16 a[0:3], v[16:17], v[40:41], a[0:3] cbsz:4 abid:7
	v_cvt_pkrtz_f16_f32 v40, v50, v51
	v_cvt_pkrtz_f16_f32 v41, v52, v53
	;; [unrolled: 1-line block ×4, first 2 shown]
	v_mfma_f32_4x4x4_16b_f16 a[0:3], v[14:15], v[40:41], a[0:3] cbsz:4 abid:8
	v_cvt_pk_f32_fp8_e32 v[40:41], v20
	v_cvt_pk_f32_fp8_e32 v[50:51], v21
	v_mfma_f32_4x4x4_16b_f16 a[0:3], v[16:17], v[38:39], a[0:3] cbsz:4 abid:8
	v_cvt_pk_f32_fp8_sdwa v[38:39], v20 src0_sel:WORD_1
	v_cvt_pk_f32_fp8_sdwa v[52:53], v21 src0_sel:WORD_1
	v_cvt_pkrtz_f16_f32 v40, v40, v41
	global_load_dwordx4 v[18:21], v[44:45], off offset:16
	v_cvt_pkrtz_f16_f32 v41, v38, v39
	v_cvt_pkrtz_f16_f32 v38, v50, v51
	;; [unrolled: 1-line block ×3, first 2 shown]
	v_mfma_f32_4x4x4_16b_f16 a[0:3], v[14:15], v[40:41], a[0:3] cbsz:4 abid:9
	s_waitcnt vmcnt(7)
	v_cvt_pk_f32_fp8_sdwa v[40:41], v30 src0_sel:WORD_1
	v_cvt_pk_f32_fp8_e32 v[50:51], v31
	v_mfma_f32_4x4x4_16b_f16 a[0:3], v[16:17], v[38:39], a[0:3] cbsz:4 abid:9
	v_cvt_pk_f32_fp8_e32 v[38:39], v30
	v_cvt_pk_f32_fp8_sdwa v[30:31], v31 src0_sel:WORD_1
	v_cvt_pk_f32_fp8_sdwa v[52:53], v33 src0_sel:WORD_1
	v_cmp_eq_u32_e32 vcc, 1, v47
	v_cvt_pkrtz_f16_f32 v38, v38, v39
	v_cvt_pkrtz_f16_f32 v39, v40, v41
	v_cvt_pkrtz_f16_f32 v40, v50, v51
	v_cvt_pkrtz_f16_f32 v41, v30, v31
	v_mfma_f32_4x4x4_16b_f16 a[0:3], v[14:15], v[38:39], a[0:3] cbsz:4 abid:10
	v_cvt_pk_f32_fp8_e32 v[38:39], v32
	v_cvt_pk_f32_fp8_e32 v[50:51], v33
	v_mfma_f32_4x4x4_16b_f16 a[0:3], v[16:17], v[40:41], a[0:3] cbsz:4 abid:10
	v_cvt_pk_f32_fp8_sdwa v[40:41], v32 src0_sel:WORD_1
	global_load_dwordx4 v[30:33], v[44:45], off
	v_cvt_pkrtz_f16_f32 v38, v38, v39
	v_cvt_pkrtz_f16_f32 v39, v40, v41
	;; [unrolled: 1-line block ×3, first 2 shown]
	s_nop 0
	v_mfma_f32_4x4x4_16b_f16 a[0:3], v[14:15], v[38:39], a[0:3] cbsz:4 abid:11
	v_cvt_pkrtz_f16_f32 v41, v52, v53
	s_waitcnt vmcnt(7)
	v_cvt_pk_f32_fp8_e32 v[38:39], v34
	v_cvt_pk_f32_fp8_e32 v[50:51], v35
	v_mfma_f32_4x4x4_16b_f16 a[0:3], v[16:17], v[40:41], a[0:3] cbsz:4 abid:11
	v_cvt_pk_f32_fp8_sdwa v[40:41], v34 src0_sel:WORD_1
	v_cvt_pk_f32_fp8_sdwa v[34:35], v35 src0_sel:WORD_1
	v_cvt_pkrtz_f16_f32 v38, v38, v39
	v_cvt_pkrtz_f16_f32 v39, v40, v41
	;; [unrolled: 1-line block ×3, first 2 shown]
	s_nop 0
	v_mfma_f32_4x4x4_16b_f16 a[0:3], v[14:15], v[38:39], a[0:3] cbsz:4 abid:12
	v_cvt_pk_f32_fp8_e32 v[34:35], v36
	v_cvt_pk_f32_fp8_sdwa v[38:39], v36 src0_sel:WORD_1
	v_cvt_pkrtz_f16_f32 v40, v50, v51
	v_cvt_pkrtz_f16_f32 v34, v34, v35
	s_nop 0
	v_mfma_f32_4x4x4_16b_f16 a[0:3], v[16:17], v[40:41], a[0:3] cbsz:4 abid:12
	v_cvt_pk_f32_fp8_e32 v[40:41], v37
	v_cvt_pk_f32_fp8_sdwa v[36:37], v37 src0_sel:WORD_1
	v_cvt_pkrtz_f16_f32 v35, v38, v39
	v_cvt_pkrtz_f16_f32 v38, v40, v41
	s_nop 0
	v_mfma_f32_4x4x4_16b_f16 a[0:3], v[14:15], v[34:35], a[0:3] cbsz:4 abid:13
	v_cvt_pkrtz_f16_f32 v39, v36, v37
	s_waitcnt vmcnt(6)
	v_cvt_pk_f32_fp8_e32 v[34:35], v22
	v_cvt_pk_f32_fp8_sdwa v[36:37], v22 src0_sel:WORD_1
	v_mfma_f32_4x4x4_16b_f16 a[0:3], v[16:17], v[38:39], a[0:3] cbsz:4 abid:13
	v_cvt_pk_f32_fp8_e32 v[38:39], v23
	v_cvt_pk_f32_fp8_sdwa v[22:23], v23 src0_sel:WORD_1
	v_cvt_pkrtz_f16_f32 v34, v34, v35
	v_cvt_pkrtz_f16_f32 v35, v36, v37
	;; [unrolled: 1-line block ×4, first 2 shown]
	v_mfma_f32_4x4x4_16b_f16 a[0:3], v[14:15], v[34:35], a[0:3] cbsz:4 abid:14
	v_cvt_pk_f32_fp8_e32 v[22:23], v24
	v_cvt_pk_f32_fp8_sdwa v[34:35], v24 src0_sel:WORD_1
	v_mfma_f32_4x4x4_16b_f16 a[0:3], v[16:17], v[36:37], a[0:3] cbsz:4 abid:14
	v_cvt_pk_f32_fp8_e32 v[36:37], v25
	v_cvt_pk_f32_fp8_sdwa v[24:25], v25 src0_sel:WORD_1
	v_cvt_pkrtz_f16_f32 v22, v22, v23
	v_cvt_pkrtz_f16_f32 v23, v34, v35
	v_cvt_pkrtz_f16_f32 v34, v36, v37
	v_cvt_pkrtz_f16_f32 v35, v24, v25
	v_mfma_f32_4x4x4_16b_f16 a[0:3], v[14:15], v[22:23], a[0:3] cbsz:4 abid:15
	s_waitcnt lgkmcnt(0)
	v_mov_b32_e32 v14, s0
	v_mov_b32_e32 v41, 0xff7fffff
	v_mfma_f32_4x4x4_16b_f16 a[0:3], v[16:17], v[34:35], a[0:3] cbsz:4 abid:15
	v_mul_f32_e32 v34, s1, v14
	s_nop 3
	v_accvgpr_read_b32 v15, a1
	v_accvgpr_read_b32 v14, a0
	v_pk_mul_f32 v[36:37], v[14:15], v[34:35] op_sel_hi:[1,0]
	global_load_dwordx4 v[14:17], v[44:45], off offset:2064
	global_load_dwordx4 v[22:25], v[44:45], off offset:2048
	v_accvgpr_read_b32 v39, a3
	v_accvgpr_read_b32 v38, a2
	v_pk_mul_f32 v[34:35], v[38:39], v[34:35] op_sel_hi:[1,0]
	v_mfma_f32_4x4x1_16b_f32 a[0:3], v36, v43, 0
	v_cndmask_b32_e64 v36, 0, 1.0, vcc
	v_cmp_eq_u32_e32 vcc, 2, v47
	s_nop 0
	v_mfma_f32_4x4x1_16b_f32 a[0:3], v37, v36, a[0:3]
	v_cndmask_b32_e64 v36, 0, 1.0, vcc
	v_cmp_eq_u32_e32 vcc, 3, v47
	s_nop 0
	v_mfma_f32_4x4x1_16b_f32 a[0:3], v34, v36, a[0:3]
	v_cndmask_b32_e64 v34, 0, 1.0, vcc
	s_nop 1
	v_mfma_f32_4x4x1_16b_f32 a[0:3], v35, v34, a[0:3]
	v_and_b32_e32 v34, -4, v48
	v_subrev_u32_e32 v35, s3, v34
	v_add_u32_e32 v36, 1, v35
	v_cvt_f32_i32_e32 v36, v36
	v_add_u32_e32 v37, 2, v35
	v_cvt_f32_i32_e32 v37, v37
	v_accvgpr_read_b32 v38, a0
	v_fma_f32 v36, v42, v36, v38
	v_accvgpr_read_b32 v38, a1
	v_fma_f32 v37, v42, v37, v38
	v_add_u32_e32 v38, 3, v35
	v_cvt_f32_i32_e32 v38, v38
	v_add_u32_e32 v35, 4, v35
	v_cvt_f32_i32_e32 v35, v35
	v_accvgpr_read_b32 v39, a2
	v_fma_f32 v38, v42, v38, v39
	v_max_f32_e32 v39, 0xff7fffff, v36
	v_cmp_gt_i32_e32 vcc, s3, v34
	v_accvgpr_read_b32 v40, a3
	v_fmac_f32_e32 v40, v42, v35
	v_cndmask_b32_e32 v39, v41, v39, vcc
	v_or_b32_e32 v41, 1, v34
	v_max_f32_e32 v42, v39, v37
	v_cmp_gt_i32_e64 s[0:1], s3, v41
	v_or_b32_e32 v34, 2, v34
	v_cmp_gt_i32_e64 s[8:9], s3, v34
	v_cndmask_b32_e64 v39, v39, v42, s[0:1]
	v_max_f32_e32 v41, v39, v38
	v_cndmask_b32_e64 v34, v39, v41, s[8:9]
	v_or_b32_e32 v39, 3, v48
	v_max_f32_e32 v41, v34, v40
	v_cmp_gt_i32_e64 s[10:11], s3, v39
	v_lshlrev_b32_e32 v35, 2, v0
	v_and_or_b32 v35, v35, 48, v47
	v_cndmask_b32_e64 v34, v34, v41, s[10:11]
	;;#ASMSTART
	v_nop
 v_nop
 v_max_f32_dpp v34, v34, v34 row_ror:4
	;;#ASMEND
	v_lshlrev_b32_e32 v41, 2, v35
	;;#ASMSTART
	v_nop
 v_nop
 v_max_f32_dpp v34, v34, v34 row_ror:8
	;;#ASMEND
	ds_bpermute_b32 v34, v41, v34
	s_waitcnt lgkmcnt(0)
	;;#ASMSTART
	v_nop
 v_nop
 v_max_f32_dpp v34, v34, v34 row_ror:4
	;;#ASMEND
	s_nop 0
	;;#ASMSTART
	v_nop
 v_nop
 v_max_f32_dpp v39, v34, v34 row_ror:8
	;;#ASMEND
	s_nop 0
	v_sub_f32_e32 v34, v36, v39
	v_mul_f32_e32 v34, 0x3fb8aa3b, v34
	v_sub_f32_e32 v35, v37, v39
	v_exp_f32_e32 v34, v34
	v_mul_f32_e32 v35, 0x3fb8aa3b, v35
	v_sub_f32_e32 v37, v38, v39
	v_exp_f32_e32 v35, v35
	;; [unrolled: 3-line block ×3, first 2 shown]
	v_mul_f32_e32 v38, 0x3fb8aa3b, v38
	v_exp_f32_e32 v38, v38
	v_cndmask_b32_e32 v34, 0, v34, vcc
	v_add_f32_e32 v36, 0, v34
	v_cndmask_b32_e64 v35, 0, v35, s[0:1]
	v_add_f32_e32 v40, v36, v35
	v_cndmask_b32_e64 v36, 0, v37, s[8:9]
	;; [unrolled: 2-line block ×3, first 2 shown]
	v_add_f32_e32 v38, v40, v37
	;;#ASMSTART
	v_nop
 v_nop
 v_add_f32_dpp v38, v38, v38 row_ror:4
	;;#ASMEND
	v_cmp_gt_u32_e32 vcc, 4, v1
	;;#ASMSTART
	v_nop
 v_nop
 v_add_f32_dpp v38, v38, v38 row_ror:8
	;;#ASMEND
	ds_bpermute_b32 v38, v41, v38
	s_waitcnt lgkmcnt(0)
	;;#ASMSTART
	v_nop
 v_nop
 v_add_f32_dpp v38, v38, v38 row_ror:4
	;;#ASMEND
	s_nop 0
	;;#ASMSTART
	v_nop
 v_nop
 v_add_f32_dpp v38, v38, v38 row_ror:8
	;;#ASMEND
	s_and_saveexec_b64 s[0:1], vcc
	s_cbranch_execz .LBB1008_18
; %bb.17:
	v_mul_u32_u24_e32 v40, 20, v46
	v_lshl_add_u32 v40, v47, 2, v40
	v_add_u32_e32 v40, 0x1400, v40
	ds_write2_b32 v40, v39, v38 offset1:20
.LBB1008_18:
	s_or_b64 exec, exec, s[0:1]
.LBB1008_19:
	s_or_b64 exec, exec, s[26:27]
	s_waitcnt lgkmcnt(0)
	s_barrier
	s_load_dword s0, s[24:25], 0x8
	v_lshlrev_b32_e32 v38, 2, v47
	v_add_u32_e32 v41, 0x1400, v38
	ds_read2_b32 v[42:43], v41 offset1:5
	ds_read2_b32 v[44:45], v41 offset0:10 offset1:15
	s_mul_i32 s1, s33, s2
	s_waitcnt lgkmcnt(0)
	s_mul_i32 s0, s1, s0
	s_mov_b32 s1, 0xff7fffff
	v_max3_f32 v38, v42, s1, v43
	v_max3_f32 v40, v38, v44, v45
	v_sub_f32_e32 v38, v42, v40
	v_sub_f32_e32 v42, v43, v40
	v_mul_f32_e32 v42, 0x3fb8aa3b, v42
	ds_read2_b32 v[48:49], v41 offset0:20 offset1:25
	v_mul_f32_e32 v38, 0x3fb8aa3b, v38
	v_exp_f32_e32 v51, v42
	ds_read2_b32 v[42:43], v41 offset0:30 offset1:35
	v_sub_f32_e32 v41, v44, v40
	v_exp_f32_e32 v50, v38
	v_mul_f32_e32 v41, 0x3fb8aa3b, v41
	v_exp_f32_e32 v44, v41
	v_sub_f32_e32 v41, v45, v40
	v_mul_f32_e32 v41, 0x3fb8aa3b, v41
	v_exp_f32_e32 v45, v41
	s_waitcnt lgkmcnt(1)
	v_fma_f32 v41, v50, v48, 0
	v_fmac_f32_e32 v41, v51, v49
	s_waitcnt lgkmcnt(0)
	v_fmac_f32_e32 v41, v44, v42
	v_mov_b32_e32 v38, 0
	v_fmac_f32_e32 v41, v45, v43
	s_mov_b32 s1, 0
	v_cmp_eq_u32_e32 vcc, 0, v47
	s_and_saveexec_b64 s[2:3], vcc
	s_cbranch_execz .LBB1008_21
; %bb.20:
	s_lshl_b64 s[8:9], s[0:1], 2
	s_add_u32 s5, s16, s8
	s_mov_b32 s21, s1
	s_addc_u32 s12, s17, s9
	s_lshl_b64 s[10:11], s[20:21], 2
	s_add_u32 s5, s5, s10
	s_addc_u32 s12, s12, s11
	s_add_u32 s8, s18, s8
	s_addc_u32 s9, s19, s9
	;; [unrolled: 2-line block ×3, first 2 shown]
	s_mul_i32 s8, s33, s4
	s_mov_b32 s9, s1
	s_lshl_b64 s[8:9], s[8:9], 2
	s_add_u32 s10, s5, s8
	s_addc_u32 s11, s12, s9
	s_add_u32 s8, s13, s8
	s_addc_u32 s9, s16, s9
	global_store_dword v38, v40, s[8:9]
	global_store_dword v38, v41, s[10:11]
.LBB1008_21:
	s_or_b64 exec, exec, s[2:3]
	v_lshlrev_b32_e32 v38, 3, v46
	s_and_saveexec_b64 s[2:3], s[6:7]
	s_xor_b64 s[2:3], exec, s[2:3]
	s_cbranch_execz .LBB1008_23
; %bb.22:
	s_mov_b32 s6, 0
	s_mov_b32 s7, s6
	s_waitcnt vmcnt(5)
	v_mad_u32_u24 v4, v1, 40, v38
	v_mov_b64_e32 v[2:3], s[6:7]
	ds_write2st64_b64 v4, v[2:3], v[2:3] offset1:5
                                        ; implicit-def: $vgpr37
                                        ; implicit-def: $vgpr35
                                        ; implicit-def: $vgpr39
                                        ; implicit-def: $vgpr26_vgpr27
                                        ; implicit-def: $vgpr10_vgpr11
                                        ; implicit-def: $vgpr30_vgpr31
                                        ; implicit-def: $vgpr18_vgpr19
                                        ; implicit-def: $vgpr6_vgpr7
                                        ; implicit-def: $vgpr2_vgpr3
                                        ; implicit-def: $vgpr22_vgpr23
                                        ; implicit-def: $vgpr14_vgpr15
                                        ; implicit-def: $vgpr40
                                        ; implicit-def: $vgpr41
                                        ; implicit-def: $vgpr38
.LBB1008_23:
	s_andn2_saveexec_b64 s[2:3], s[2:3]
	s_cbranch_execz .LBB1008_25
; %bb.24:
	v_add_f32_e32 v41, 0x358637bd, v41
	v_div_scale_f32 v42, s[6:7], v41, v41, 1.0
	v_rcp_f32_e32 v43, v42
	v_sub_f32_e32 v39, v39, v40
	v_mul_f32_e32 v39, 0x3fb8aa3b, v39
	v_exp_f32_e32 v39, v39
	v_fma_f32 v40, -v42, v43, 1.0
	v_fmac_f32_e32 v43, v40, v43
	v_div_scale_f32 v40, vcc, 1.0, v41, 1.0
	v_mul_f32_e32 v44, v40, v43
	v_fma_f32 v45, -v42, v44, v40
	v_fmac_f32_e32 v44, v45, v43
	v_fma_f32 v40, -v42, v44, v40
	v_div_fmas_f32 v40, v40, v43, v44
	v_div_fixup_f32 v40, v40, v41, 1.0
	v_mul_f32_e32 v40, v39, v40
	v_pk_mul_f32 v[36:37], v[36:37], v[40:41] op_sel_hi:[1,0]
	v_pk_mul_f32 v[34:35], v[34:35], v[40:41] op_sel_hi:[1,0]
	v_cvt_f16_f32_e32 v36, v36
	v_cvt_f16_f32_e32 v34, v34
	;; [unrolled: 1-line block ×4, first 2 shown]
	s_waitcnt vmcnt(6)
	v_cvt_pk_f32_fp8_sdwa v[40:41], v26 src0_sel:WORD_1
	v_cvt_pk_f32_fp8_e32 v[42:43], v27
	v_pack_b32_f16 v34, v34, v35
	v_pack_b32_f16 v35, v36, v37
	v_cvt_pk_f32_fp8_e32 v[36:37], v26
	v_cvt_pk_f32_fp8_sdwa v[26:27], v27 src0_sel:WORD_1
	s_load_dword s6, s[14:15], 0x0
	v_cvt_pkrtz_f16_f32 v36, v36, v37
	v_cvt_pkrtz_f16_f32 v37, v40, v41
	;; [unrolled: 1-line block ×4, first 2 shown]
	v_mfma_f32_4x4x4_16b_f16 a[0:3], v[34:35], v[36:37], 0 cbsz:4
	v_cvt_pk_f32_fp8_e32 v[26:27], v28
	v_cvt_pk_f32_fp8_sdwa v[36:37], v28 src0_sel:WORD_1
	v_mfma_f32_4x4x4_16b_f16 a[0:3], v[34:35], v[40:41], a[0:3] cbsz:4 abid:1
	v_cvt_pk_f32_fp8_e32 v[40:41], v29
	v_cvt_pk_f32_fp8_sdwa v[28:29], v29 src0_sel:WORD_1
	v_cvt_pkrtz_f16_f32 v26, v26, v27
	v_cvt_pkrtz_f16_f32 v27, v36, v37
	v_cvt_pkrtz_f16_f32 v36, v40, v41
	v_cvt_pkrtz_f16_f32 v37, v28, v29
	v_mfma_f32_4x4x4_16b_f16 a[0:3], v[34:35], v[26:27], a[0:3] cbsz:4 abid:2
	v_cvt_pk_f32_fp8_e32 v[26:27], v10
	v_cvt_pk_f32_fp8_sdwa v[28:29], v10 src0_sel:WORD_1
	v_mfma_f32_4x4x4_16b_f16 a[0:3], v[34:35], v[36:37], a[0:3] cbsz:4 abid:3
	v_cvt_pk_f32_fp8_e32 v[36:37], v11
	v_cvt_pk_f32_fp8_sdwa v[10:11], v11 src0_sel:WORD_1
	v_cvt_pkrtz_f16_f32 v26, v26, v27
	v_cvt_pkrtz_f16_f32 v27, v28, v29
	v_cvt_pkrtz_f16_f32 v28, v36, v37
	v_cvt_pkrtz_f16_f32 v29, v10, v11
	v_mfma_f32_4x4x4_16b_f16 a[0:3], v[34:35], v[26:27], a[0:3] cbsz:4 abid:4
	;; [unrolled: 10-line block ×3, first 2 shown]
	s_waitcnt vmcnt(2)
	v_cvt_pk_f32_fp8_e32 v[10:11], v30
	v_cvt_pk_f32_fp8_sdwa v[12:13], v30 src0_sel:WORD_1
	v_mfma_f32_4x4x4_16b_f16 a[0:3], v[34:35], v[26:27], a[0:3] cbsz:4 abid:7
	v_cvt_pk_f32_fp8_e32 v[26:27], v31
	v_cvt_pk_f32_fp8_sdwa v[28:29], v31 src0_sel:WORD_1
	v_cvt_pkrtz_f16_f32 v10, v10, v11
	v_cvt_pkrtz_f16_f32 v11, v12, v13
	;; [unrolled: 1-line block ×4, first 2 shown]
	v_mfma_f32_4x4x4_16b_f16 a[0:3], v[34:35], v[10:11], a[0:3] cbsz:4 abid:8
	v_cvt_pk_f32_fp8_e32 v[10:11], v32
	v_cvt_pk_f32_fp8_e32 v[26:27], v33
	v_mfma_f32_4x4x4_16b_f16 a[0:3], v[34:35], v[12:13], a[0:3] cbsz:4 abid:9
	v_cvt_pk_f32_fp8_sdwa v[12:13], v32 src0_sel:WORD_1
	v_cvt_pk_f32_fp8_sdwa v[28:29], v33 src0_sel:WORD_1
	v_cvt_pkrtz_f16_f32 v10, v10, v11
	v_cvt_pkrtz_f16_f32 v11, v12, v13
	v_cvt_pkrtz_f16_f32 v12, v26, v27
	s_nop 0
	v_mfma_f32_4x4x4_16b_f16 a[0:3], v[34:35], v[10:11], a[0:3] cbsz:4 abid:10
	v_cvt_pkrtz_f16_f32 v13, v28, v29
	v_cvt_pk_f32_fp8_e32 v[10:11], v18
	v_cvt_pk_f32_fp8_e32 v[26:27], v19
	v_mfma_f32_4x4x4_16b_f16 a[0:3], v[34:35], v[12:13], a[0:3] cbsz:4 abid:11
	v_cvt_pk_f32_fp8_sdwa v[12:13], v18 src0_sel:WORD_1
	v_cvt_pk_f32_fp8_sdwa v[18:19], v19 src0_sel:WORD_1
	v_cvt_pkrtz_f16_f32 v10, v10, v11
	v_cvt_pkrtz_f16_f32 v11, v12, v13
	v_cvt_pkrtz_f16_f32 v12, v26, v27
	s_nop 0
	v_mfma_f32_4x4x4_16b_f16 a[0:3], v[34:35], v[10:11], a[0:3] cbsz:4 abid:12
	v_cvt_pkrtz_f16_f32 v13, v18, v19
	;; [unrolled: 11-line block ×3, first 2 shown]
	v_cvt_pk_f32_fp8_sdwa v[18:19], v6 src0_sel:WORD_1
	v_cvt_pk_f32_fp8_e32 v[20:21], v7
	v_mfma_f32_4x4x4_16b_f16 a[0:3], v[34:35], v[12:13], a[0:3] cbsz:4 abid:15
	s_nop 4
	v_accvgpr_read_b32 v11, a1
	v_accvgpr_read_b32 v10, a0
	s_waitcnt lgkmcnt(0)
	v_pk_mul_f32 v[10:11], v[10:11], s[6:7] op_sel_hi:[1,0]
	s_nop 0
	v_cvt_f16_f32_e32 v12, v10
	v_cvt_f16_f32_e32 v13, v11
	v_accvgpr_read_b32 v11, a3
	v_accvgpr_read_b32 v10, a2
	v_pk_mul_f32 v[10:11], v[10:11], s[6:7] op_sel_hi:[1,0]
	v_pack_b32_f16 v12, v12, v13
	v_cvt_f16_f32_e32 v13, v10
	v_cvt_f16_f32_e32 v26, v11
	v_cvt_pk_f32_fp8_e32 v[10:11], v6
	v_cvt_pk_f32_fp8_sdwa v[6:7], v7 src0_sel:WORD_1
	v_pack_b32_f16 v13, v13, v26
	v_cvt_pkrtz_f16_f32 v10, v10, v11
	v_cvt_pkrtz_f16_f32 v11, v18, v19
	;; [unrolled: 1-line block ×4, first 2 shown]
	v_mfma_f32_4x4x4_16b_f16 a[0:3], v[34:35], v[10:11], 0 cbsz:4
	v_cvt_pk_f32_fp8_e32 v[6:7], v8
	v_cvt_pk_f32_fp8_sdwa v[10:11], v8 src0_sel:WORD_1
	v_mfma_f32_4x4x4_16b_f16 a[0:3], v[34:35], v[18:19], a[0:3] cbsz:4 abid:1
	v_cvt_pk_f32_fp8_e32 v[18:19], v9
	v_cvt_pk_f32_fp8_sdwa v[8:9], v9 src0_sel:WORD_1
	v_cvt_pkrtz_f16_f32 v6, v6, v7
	v_cvt_pkrtz_f16_f32 v7, v10, v11
	v_cvt_pkrtz_f16_f32 v10, v18, v19
	v_cvt_pkrtz_f16_f32 v11, v8, v9
	v_mfma_f32_4x4x4_16b_f16 a[0:3], v[34:35], v[6:7], a[0:3] cbsz:4 abid:2
	v_cvt_pk_f32_fp8_e32 v[6:7], v2
	v_cvt_pk_f32_fp8_sdwa v[8:9], v2 src0_sel:WORD_1
	v_mfma_f32_4x4x4_16b_f16 a[0:3], v[34:35], v[10:11], a[0:3] cbsz:4 abid:3
	v_cvt_pk_f32_fp8_e32 v[10:11], v3
	v_cvt_pk_f32_fp8_sdwa v[2:3], v3 src0_sel:WORD_1
	v_cvt_pkrtz_f16_f32 v6, v6, v7
	v_cvt_pkrtz_f16_f32 v7, v8, v9
	v_cvt_pkrtz_f16_f32 v8, v10, v11
	v_cvt_pkrtz_f16_f32 v9, v2, v3
	v_mfma_f32_4x4x4_16b_f16 a[0:3], v[34:35], v[6:7], a[0:3] cbsz:4 abid:4
	;; [unrolled: 10-line block ×3, first 2 shown]
	s_waitcnt vmcnt(0)
	v_cvt_pk_f32_fp8_e32 v[2:3], v22
	v_cvt_pk_f32_fp8_sdwa v[4:5], v22 src0_sel:WORD_1
	v_mfma_f32_4x4x4_16b_f16 a[0:3], v[34:35], v[6:7], a[0:3] cbsz:4 abid:7
	v_cvt_pk_f32_fp8_e32 v[6:7], v23
	v_cvt_pk_f32_fp8_sdwa v[8:9], v23 src0_sel:WORD_1
	v_cvt_pkrtz_f16_f32 v2, v2, v3
	v_cvt_pkrtz_f16_f32 v3, v4, v5
	;; [unrolled: 1-line block ×4, first 2 shown]
	v_mfma_f32_4x4x4_16b_f16 a[0:3], v[34:35], v[2:3], a[0:3] cbsz:4 abid:8
	v_cvt_pk_f32_fp8_e32 v[2:3], v24
	v_cvt_pk_f32_fp8_e32 v[6:7], v25
	v_mfma_f32_4x4x4_16b_f16 a[0:3], v[34:35], v[4:5], a[0:3] cbsz:4 abid:9
	v_cvt_pk_f32_fp8_sdwa v[4:5], v24 src0_sel:WORD_1
	v_cvt_pk_f32_fp8_sdwa v[8:9], v25 src0_sel:WORD_1
	v_cvt_pkrtz_f16_f32 v2, v2, v3
	v_cvt_pkrtz_f16_f32 v3, v4, v5
	v_cvt_pkrtz_f16_f32 v4, v6, v7
	s_nop 0
	v_mfma_f32_4x4x4_16b_f16 a[0:3], v[34:35], v[2:3], a[0:3] cbsz:4 abid:10
	v_cvt_pkrtz_f16_f32 v5, v8, v9
	v_cvt_pk_f32_fp8_e32 v[2:3], v14
	v_cvt_pk_f32_fp8_e32 v[6:7], v15
	v_mfma_f32_4x4x4_16b_f16 a[0:3], v[34:35], v[4:5], a[0:3] cbsz:4 abid:11
	v_cvt_pk_f32_fp8_sdwa v[4:5], v14 src0_sel:WORD_1
	v_cvt_pk_f32_fp8_sdwa v[8:9], v15 src0_sel:WORD_1
	v_cvt_pkrtz_f16_f32 v2, v2, v3
	v_cvt_pkrtz_f16_f32 v3, v4, v5
	v_cvt_pkrtz_f16_f32 v4, v6, v7
	s_nop 0
	v_mfma_f32_4x4x4_16b_f16 a[0:3], v[34:35], v[2:3], a[0:3] cbsz:4 abid:12
	v_cvt_pkrtz_f16_f32 v5, v8, v9
	;; [unrolled: 11-line block ×3, first 2 shown]
	v_mad_u32_u24 v7, v1, 40, v38
	s_nop 0
	v_mfma_f32_4x4x4_16b_f16 a[0:3], v[34:35], v[4:5], a[0:3] cbsz:4 abid:15
	s_nop 4
	v_accvgpr_read_b32 v5, a1
	v_accvgpr_read_b32 v3, a3
	;; [unrolled: 1-line block ×4, first 2 shown]
	v_pk_mul_f32 v[2:3], v[2:3], s[6:7] op_sel_hi:[1,0]
	v_pk_mul_f32 v[4:5], v[4:5], s[6:7] op_sel_hi:[1,0]
	v_cvt_f16_f32_e32 v6, v2
	v_cvt_f16_f32_e32 v4, v4
	;; [unrolled: 1-line block ×4, first 2 shown]
	v_pack_b32_f16 v2, v4, v5
	v_pack_b32_f16 v3, v6, v3
	ds_write2st64_b64 v7, v[12:13], v[2:3] offset1:5
.LBB1008_25:
	s_or_b64 exec, exec, s[2:3]
	v_cmp_gt_u32_e32 vcc, 64, v0
	s_waitcnt lgkmcnt(0)
	s_barrier
	s_and_saveexec_b64 s[2:3], vcc
	s_cbranch_execz .LBB1008_27
; %bb.26:
	s_waitcnt vmcnt(5)
	v_mov_b32_e32 v2, 0xa00
	v_mad_u32_u24 v2, v1, 40, v2
	s_waitcnt vmcnt(4)
	v_mov_b32_e32 v6, 0xa10
	ds_read2_b64 v[2:5], v2 offset1:1
	s_waitcnt lgkmcnt(0)
	v_mad_u32_u24 v3, v1, 40, v6
	ds_read2_b64 v[6:9], v3 offset1:1
	v_mul_u32_u24_e32 v1, 40, v1
	s_lshl_b32 s0, s0, 7
	v_pk_add_f16 v2, v2, 0
	s_lshl_b64 s[2:3], s[0:1], 1
	v_pk_add_f16 v2, v2, v4
	s_add_u32 s2, s22, s2
	s_waitcnt lgkmcnt(0)
	v_pk_add_f16 v2, v2, v6
	s_addc_u32 s3, s23, s3
	v_pk_add_f16 v10, v2, v8
	ds_read2_b64 v[2:5], v1 offset1:1
	ds_read2_b64 v[6:9], v1 offset0:2 offset1:3
	s_lshl_b32 s0, s20, 7
	s_lshl_b64 s[0:1], s[0:1], 1
	s_add_u32 s0, s2, s0
	s_waitcnt lgkmcnt(1)
	v_pk_add_f16 v2, v2, 0
	s_mul_i32 s2, s4, s33
	v_pk_add_f16 v2, v2, v4
	s_addc_u32 s1, s3, s1
	v_lshl_or_b32 v0, s2, 7, v0
	v_mov_b32_e32 v1, 0
	s_waitcnt lgkmcnt(0)
	v_pk_add_f16 v2, v2, v6
	v_lshl_add_u64 v[0:1], v[0:1], 1, s[0:1]
	v_pk_add_f16 v2, v2, v8
	global_store_short v[0:1], v2, off
	global_store_short v[0:1], v10, off offset:128
.LBB1008_27:
	s_endpgm
	.section	.rodata,"a",@progbits
	.p2align	6, 0x0
	.amdhsa_kernel _Z38paged_attention_ll4mi_QKV_mfma4_kernelIDF16_hLN4vllm18Fp8KVCacheDataTypeE1EhLi32ELi128ELi256ELb1ELi1EEvPKT_PKT0_S7_ifPKiS9_S9_iPKfiiiPfSC_PS2_PT2_iSB_SB_
		.amdhsa_group_segment_fixed_size 5280
		.amdhsa_private_segment_fixed_size 0
		.amdhsa_kernarg_size 400
		.amdhsa_user_sgpr_count 2
		.amdhsa_user_sgpr_dispatch_ptr 0
		.amdhsa_user_sgpr_queue_ptr 0
		.amdhsa_user_sgpr_kernarg_segment_ptr 1
		.amdhsa_user_sgpr_dispatch_id 0
		.amdhsa_user_sgpr_kernarg_preload_length 0
		.amdhsa_user_sgpr_kernarg_preload_offset 0
		.amdhsa_user_sgpr_private_segment_size 0
		.amdhsa_uses_dynamic_stack 0
		.amdhsa_enable_private_segment 0
		.amdhsa_system_sgpr_workgroup_id_x 1
		.amdhsa_system_sgpr_workgroup_id_y 1
		.amdhsa_system_sgpr_workgroup_id_z 1
		.amdhsa_system_sgpr_workgroup_info 0
		.amdhsa_system_vgpr_workitem_id 0
		.amdhsa_next_free_vgpr 60
		.amdhsa_next_free_sgpr 42
		.amdhsa_accum_offset 56
		.amdhsa_reserve_vcc 1
		.amdhsa_float_round_mode_32 0
		.amdhsa_float_round_mode_16_64 0
		.amdhsa_float_denorm_mode_32 3
		.amdhsa_float_denorm_mode_16_64 3
		.amdhsa_dx10_clamp 1
		.amdhsa_ieee_mode 1
		.amdhsa_fp16_overflow 0
		.amdhsa_tg_split 0
		.amdhsa_exception_fp_ieee_invalid_op 0
		.amdhsa_exception_fp_denorm_src 0
		.amdhsa_exception_fp_ieee_div_zero 0
		.amdhsa_exception_fp_ieee_overflow 0
		.amdhsa_exception_fp_ieee_underflow 0
		.amdhsa_exception_fp_ieee_inexact 0
		.amdhsa_exception_int_div_zero 0
	.end_amdhsa_kernel
	.section	.text._Z38paged_attention_ll4mi_QKV_mfma4_kernelIDF16_hLN4vllm18Fp8KVCacheDataTypeE1EhLi32ELi128ELi256ELb1ELi1EEvPKT_PKT0_S7_ifPKiS9_S9_iPKfiiiPfSC_PS2_PT2_iSB_SB_,"axG",@progbits,_Z38paged_attention_ll4mi_QKV_mfma4_kernelIDF16_hLN4vllm18Fp8KVCacheDataTypeE1EhLi32ELi128ELi256ELb1ELi1EEvPKT_PKT0_S7_ifPKiS9_S9_iPKfiiiPfSC_PS2_PT2_iSB_SB_,comdat
.Lfunc_end1008:
	.size	_Z38paged_attention_ll4mi_QKV_mfma4_kernelIDF16_hLN4vllm18Fp8KVCacheDataTypeE1EhLi32ELi128ELi256ELb1ELi1EEvPKT_PKT0_S7_ifPKiS9_S9_iPKfiiiPfSC_PS2_PT2_iSB_SB_, .Lfunc_end1008-_Z38paged_attention_ll4mi_QKV_mfma4_kernelIDF16_hLN4vllm18Fp8KVCacheDataTypeE1EhLi32ELi128ELi256ELb1ELi1EEvPKT_PKT0_S7_ifPKiS9_S9_iPKfiiiPfSC_PS2_PT2_iSB_SB_
                                        ; -- End function
	.section	.AMDGPU.csdata,"",@progbits
; Kernel info:
; codeLenInByte = 5248
; NumSgprs: 48
; NumVgprs: 56
; NumAgprs: 4
; TotalNumVgprs: 60
; ScratchSize: 0
; MemoryBound: 0
; FloatMode: 240
; IeeeMode: 1
; LDSByteSize: 5280 bytes/workgroup (compile time only)
; SGPRBlocks: 5
; VGPRBlocks: 7
; NumSGPRsForWavesPerEU: 48
; NumVGPRsForWavesPerEU: 60
; AccumOffset: 56
; Occupancy: 8
; WaveLimiterHint : 1
; COMPUTE_PGM_RSRC2:SCRATCH_EN: 0
; COMPUTE_PGM_RSRC2:USER_SGPR: 2
; COMPUTE_PGM_RSRC2:TRAP_HANDLER: 0
; COMPUTE_PGM_RSRC2:TGID_X_EN: 1
; COMPUTE_PGM_RSRC2:TGID_Y_EN: 1
; COMPUTE_PGM_RSRC2:TGID_Z_EN: 1
; COMPUTE_PGM_RSRC2:TIDIG_COMP_CNT: 0
; COMPUTE_PGM_RSRC3_GFX90A:ACCUM_OFFSET: 13
; COMPUTE_PGM_RSRC3_GFX90A:TG_SPLIT: 0
	.section	.text._Z38paged_attention_ll4mi_QKV_mfma4_kernelIDF16_hLN4vllm18Fp8KVCacheDataTypeE1EhLi32ELi128ELi256ELb1ELi2EEvPKT_PKT0_S7_ifPKiS9_S9_iPKfiiiPfSC_PS2_PT2_iSB_SB_,"axG",@progbits,_Z38paged_attention_ll4mi_QKV_mfma4_kernelIDF16_hLN4vllm18Fp8KVCacheDataTypeE1EhLi32ELi128ELi256ELb1ELi2EEvPKT_PKT0_S7_ifPKiS9_S9_iPKfiiiPfSC_PS2_PT2_iSB_SB_,comdat
	.protected	_Z38paged_attention_ll4mi_QKV_mfma4_kernelIDF16_hLN4vllm18Fp8KVCacheDataTypeE1EhLi32ELi128ELi256ELb1ELi2EEvPKT_PKT0_S7_ifPKiS9_S9_iPKfiiiPfSC_PS2_PT2_iSB_SB_ ; -- Begin function _Z38paged_attention_ll4mi_QKV_mfma4_kernelIDF16_hLN4vllm18Fp8KVCacheDataTypeE1EhLi32ELi128ELi256ELb1ELi2EEvPKT_PKT0_S7_ifPKiS9_S9_iPKfiiiPfSC_PS2_PT2_iSB_SB_
	.globl	_Z38paged_attention_ll4mi_QKV_mfma4_kernelIDF16_hLN4vllm18Fp8KVCacheDataTypeE1EhLi32ELi128ELi256ELb1ELi2EEvPKT_PKT0_S7_ifPKiS9_S9_iPKfiiiPfSC_PS2_PT2_iSB_SB_
	.p2align	8
	.type	_Z38paged_attention_ll4mi_QKV_mfma4_kernelIDF16_hLN4vllm18Fp8KVCacheDataTypeE1EhLi32ELi128ELi256ELb1ELi2EEvPKT_PKT0_S7_ifPKiS9_S9_iPKfiiiPfSC_PS2_PT2_iSB_SB_,@function
_Z38paged_attention_ll4mi_QKV_mfma4_kernelIDF16_hLN4vllm18Fp8KVCacheDataTypeE1EhLi32ELi128ELi256ELb1ELi2EEvPKT_PKT0_S7_ifPKiS9_S9_iPKfiiiPfSC_PS2_PT2_iSB_SB_: ; @_Z38paged_attention_ll4mi_QKV_mfma4_kernelIDF16_hLN4vllm18Fp8KVCacheDataTypeE1EhLi32ELi128ELi256ELb1ELi2EEvPKT_PKT0_S7_ifPKiS9_S9_iPKfiiiPfSC_PS2_PT2_iSB_SB_
; %bb.0:
	s_load_dwordx2 s[16:17], s[0:1], 0x30
	s_mov_b32 s20, s3
	s_mov_b64 s[6:7], 0
	s_waitcnt lgkmcnt(0)
	s_cmp_lg_u64 s[16:17], 0
	s_cselect_b64 s[18:19], -1, 0
	s_and_b64 vcc, exec, s[18:19]
	s_cbranch_vccz .LBB1009_10
; %bb.1:
	s_add_i32 s8, s2, 1
	s_mov_b32 s9, 0
	s_lshl_b64 s[10:11], s[8:9], 2
	s_add_u32 s10, s16, s10
	s_mov_b32 s3, s9
	s_addc_u32 s11, s17, s11
	s_lshl_b64 s[8:9], s[2:3], 2
	s_add_u32 s8, s16, s8
	s_addc_u32 s9, s17, s9
	s_load_dword s5, s[10:11], 0x0
	s_load_dword s12, s[8:9], 0x0
	s_waitcnt lgkmcnt(0)
	s_sub_i32 s5, s5, s12
	s_cmp_eq_u32 s5, 1
	s_cselect_b64 s[8:9], -1, 0
	s_andn2_b64 vcc, exec, s[6:7]
	s_cbranch_vccnz .LBB1009_3
.LBB1009_2:
	s_mov_b32 s3, 0
	s_mov_b64 s[8:9], -1
.LBB1009_3:
	s_andn2_b64 vcc, exec, s[8:9]
	s_cbranch_vccnz .LBB1009_27
; %bb.4:
	s_load_dword s5, s[0:1], 0x9c
	s_load_dwordx2 s[6:7], s[0:1], 0x28
	s_add_u32 s24, s0, 0x90
	s_addc_u32 s25, s1, 0
	s_lshl_b64 s[28:29], s[2:3], 2
	s_waitcnt lgkmcnt(0)
	s_and_b32 s5, s5, 0xffff
	s_add_u32 s6, s6, s28
	s_addc_u32 s7, s7, s29
	s_load_dword s3, s[6:7], 0x0
	s_mul_i32 s5, s20, s5
	s_waitcnt lgkmcnt(0)
	s_cmp_ge_i32 s5, s3
	s_cbranch_scc1 .LBB1009_27
; %bb.5:
	v_and_b32_e32 v1, 0xc0, v0
	v_add_u32_e32 v4, s5, v1
	v_lshrrev_b32_e32 v42, 6, v0
	v_cmp_le_i32_e64 s[6:7], s3, v4
                                        ; implicit-def: $sgpr30
                                        ; implicit-def: $sgpr21
	s_and_saveexec_b64 s[8:9], s[6:7]
	s_xor_b64 s[8:9], exec, s[8:9]
	s_cbranch_execz .LBB1009_7
; %bb.6:
	v_mul_u32_u24_e32 v1, 20, v42
	v_or_b32_e32 v1, 0x1400, v1
	v_mov_b32_e32 v2, 0x1450
	v_mov_b32_e32 v3, 0xff7fffff
	v_mad_u32_u24 v2, v42, 20, v2
	ds_write2_b32 v1, v3, v3 offset1:1
	v_mov_b32_e32 v1, 0
	ds_write2_b32 v2, v1, v1 offset1:1
	v_mov_b32_e32 v2, 0x1408
	v_mov_b32_e32 v4, 0x1458
	s_mov_b32 s21, 0xff7fffff
	s_mov_b32 s30, 0
	v_mad_u32_u24 v2, v42, 20, v2
	v_mad_u32_u24 v4, v42, 20, v4
	ds_write2_b32 v2, v3, v3 offset1:1
	ds_write2_b32 v4, v1, v1 offset1:1
                                        ; implicit-def: $vgpr4
.LBB1009_7:
	s_or_saveexec_b64 s[26:27], s[8:9]
	s_load_dwordx2 s[22:23], s[0:1], 0x68
	s_load_dwordx4 s[12:15], s[0:1], 0x58
	s_load_dword s33, s[24:25], 0x4
	s_load_dwordx4 s[8:11], s[0:1], 0x80
	v_and_b32_e32 v1, 63, v0
	v_and_b32_e32 v43, 3, v0
	s_lshl_b32 s38, s4, 1
	v_mov_b32_e32 v37, s30
	v_mov_b32_e32 v39, s21
	;; [unrolled: 1-line block ×5, first 2 shown]
                                        ; implicit-def: $vgpr26_vgpr27
                                        ; implicit-def: $vgpr14_vgpr15
                                        ; implicit-def: $vgpr30_vgpr31
                                        ; implicit-def: $vgpr22_vgpr23
                                        ; implicit-def: $vgpr6_vgpr7
                                        ; implicit-def: $vgpr2_vgpr3
                                        ; implicit-def: $vgpr18_vgpr19
                                        ; implicit-def: $vgpr10_vgpr11
	s_xor_b64 exec, exec, s[26:27]
	s_cbranch_execz .LBB1009_19
; %bb.8:
	s_load_dwordx2 s[30:31], s[0:1], 0x20
	s_load_dword s21, s[0:1], 0x38
	s_add_i32 s34, s3, 31
	s_ashr_i32 s35, s34, 31
	s_lshr_b32 s35, s35, 27
	v_add_u32_e32 v44, s5, v0
	s_add_i32 s34, s34, s35
	v_ashrrev_i32_e32 v2, 31, v44
	s_ashr_i32 s34, s34, 5
	v_lshrrev_b32_e32 v2, 27, v2
	s_add_i32 s36, s34, -1
	s_waitcnt lgkmcnt(0)
	s_mul_i32 s34, s2, s21
	s_mov_b32 s35, 0
	v_add_u32_e32 v2, v44, v2
	s_lshl_b64 s[34:35], s[34:35], 2
	v_ashrrev_i32_e32 v2, 5, v2
	v_mov_b32_e32 v3, s36
	v_cmp_gt_i32_e32 vcc, s3, v44
	s_add_u32 s30, s30, s34
	s_addc_u32 s31, s31, s35
	v_cndmask_b32_e32 v2, v3, v2, vcc
	v_ashrrev_i32_e32 v3, 31, v2
	v_lshl_add_u64 v[6:7], v[2:3], 2, s[30:31]
	v_ashrrev_i32_e32 v2, 31, v4
	v_lshrrev_b32_e32 v2, 27, v2
	v_add_u32_e32 v2, v4, v2
	v_ashrrev_i32_e32 v8, 5, v2
	v_min_i32_e32 v2, s36, v8
	v_ashrrev_i32_e32 v3, 31, v2
	v_lshl_add_u64 v[4:5], v[2:3], 2, s[30:31]
	v_add_u32_e32 v2, 1, v8
	v_min_i32_e32 v2, s36, v2
	v_ashrrev_i32_e32 v3, 31, v2
	v_lshl_add_u64 v[8:9], v[2:3], 2, s[30:31]
	global_load_dword v2, v[6:7], off
	global_load_dword v29, v[4:5], off
	;; [unrolled: 1-line block ×3, first 2 shown]
	s_load_dwordx2 s[30:31], s[0:1], 0x8
	s_andn2_b64 vcc, exec, s[18:19]
	s_cbranch_vccnz .LBB1009_11
; %bb.9:
	s_add_u32 s16, s16, s28
	s_addc_u32 s17, s17, s29
	s_load_dword s5, s[16:17], 0x0
	s_branch .LBB1009_12
.LBB1009_10:
	s_mov_b64 s[8:9], 0
	s_branch .LBB1009_2
.LBB1009_11:
	s_mov_b32 s5, s2
.LBB1009_12:
	s_load_dwordx2 s[28:29], s[0:1], 0x10
	s_load_dwordx4 s[16:19], s[0:1], 0x48
	v_cmp_gt_u32_e32 vcc, 2, v43
	s_mov_b32 s37, 0
	v_mov_b32_e32 v27, 0
	v_mov_b32_e32 v34, 0
	;; [unrolled: 1-line block ×5, first 2 shown]
	s_and_saveexec_b64 s[34:35], vcc
	s_cbranch_execz .LBB1009_14
; %bb.13:
	s_load_dwordx2 s[40:41], s[0:1], 0x0
	s_waitcnt lgkmcnt(0)
	s_ashr_i32 s19, s16, 31
	s_mul_hi_u32 s21, s5, s16
	s_mul_i32 s19, s5, s19
	s_add_i32 s43, s21, s19
	s_mul_i32 s42, s5, s16
	s_lshl_b64 s[42:43], s[42:43], 1
	s_add_u32 s5, s40, s42
	s_addc_u32 s16, s41, s43
	s_lshl_b32 s36, s4, 8
	s_lshl_b64 s[36:37], s[36:37], 1
	v_lshlrev_b32_e32 v3, 2, v1
	s_add_u32 s36, s5, s36
	v_and_b32_e32 v3, 0xf0, v3
	s_addc_u32 s37, s16, s37
	v_lshl_or_b32 v3, v43, 8, v3
	global_load_dwordx4 v[34:37], v3, s[36:37]
.LBB1009_14:
	s_or_b64 exec, exec, s[34:35]
	s_waitcnt lgkmcnt(0)
	s_mul_i32 s16, s4, s18
	s_add_u32 s4, s16, s30
	s_addc_u32 s5, 0, s31
	v_mov_b64_e32 v[4:5], s[4:5]
	s_waitcnt vmcnt(2)
	v_mad_i64_i32 v[2:3], s[4:5], v2, s17, v[4:5]
	v_lshlrev_b32_e32 v4, 4, v0
	v_and_b32_e32 v26, 0x1f0, v4
	v_lshl_add_u64 v[46:47], v[2:3], 0, v[26:27]
	global_load_dwordx4 v[14:17], v[46:47], off
	global_load_dwordx4 v[6:9], v[46:47], off offset:512
	global_load_dwordx4 v[2:5], v[46:47], off offset:1024
	;; [unrolled: 1-line block ×7, first 2 shown]
	v_mov_b32_e32 v45, 0
	s_and_saveexec_b64 s[4:5], vcc
	s_cbranch_execz .LBB1009_16
; %bb.15:
	s_load_dwordx2 s[18:19], s[0:1], 0x40
	v_or_b32_e32 v46, s38, v43
	v_mov_b32_e32 v47, 0
	s_waitcnt lgkmcnt(0)
	v_lshl_add_u64 v[46:47], v[46:47], 2, s[18:19]
	global_load_dword v45, v[46:47], off
.LBB1009_16:
	s_or_b64 exec, exec, s[4:5]
	s_waitcnt vmcnt(9)
	v_mul_hi_i32 v26, v29, s17
	v_ashrrev_i32_e32 v26, 31, v26
	v_lshrrev_b32_e32 v46, 29, v26
	v_mov_b32_e32 v47, 0
	v_mad_i64_i32 v[48:49], s[18:19], v29, s17, v[46:47]
	s_waitcnt vmcnt(8)
	v_mul_hi_i32 v29, v28, s17
	v_ashrrev_i32_e32 v29, 31, v29
	v_lshrrev_b32_e32 v46, 29, v29
	s_add_u32 s4, s28, s16
	v_mad_i64_i32 v[28:29], s[16:17], v28, s17, v[46:47]
	s_addc_u32 s5, s29, 0
	v_and_b32_e32 v48, -8, v48
	v_and_b32_e32 v28, -8, v28
	s_waitcnt vmcnt(7)
	v_cvt_pk_f32_fp8_e32 v[46:47], v14
	v_cvt_pk_f32_fp8_sdwa v[50:51], v14 src0_sel:WORD_1
	v_lshl_add_u64 v[48:49], s[4:5], 0, v[48:49]
	v_lshlrev_b32_e32 v26, 5, v1
	v_lshl_add_u64 v[28:29], s[4:5], 0, v[28:29]
	v_lshl_add_u64 v[48:49], v[48:49], 0, v[26:27]
	;; [unrolled: 1-line block ×3, first 2 shown]
	v_cvt_pk_f32_fp8_e32 v[26:27], v15
	v_cvt_pk_f32_fp8_sdwa v[28:29], v15 src0_sel:WORD_1
	v_cvt_pkrtz_f16_f32 v14, v46, v47
	v_cvt_pkrtz_f16_f32 v15, v50, v51
	;; [unrolled: 1-line block ×4, first 2 shown]
	v_mfma_f32_4x4x4_16b_f16 a[0:3], v[34:35], v[14:15], 0 cbsz:4
	v_cvt_pk_f32_fp8_sdwa v[28:29], v16 src0_sel:WORD_1
	v_cvt_pk_f32_fp8_e32 v[46:47], v17
	v_mfma_f32_4x4x4_16b_f16 a[0:3], v[36:37], v[26:27], a[0:3] cbsz:4
	v_cvt_pk_f32_fp8_e32 v[26:27], v16
	v_cvt_pk_f32_fp8_sdwa v[50:51], v17 src0_sel:WORD_1
	global_load_dwordx4 v[14:17], v[48:49], off offset:16
	s_waitcnt vmcnt(2)
	v_cvt_pk_f32_fp8_sdwa v[54:55], v21 src0_sel:WORD_1
	v_cvt_pkrtz_f16_f32 v26, v26, v27
	v_cvt_pkrtz_f16_f32 v27, v28, v29
	;; [unrolled: 1-line block ×4, first 2 shown]
	v_mfma_f32_4x4x4_16b_f16 a[0:3], v[34:35], v[26:27], a[0:3] cbsz:4 abid:1
	v_cvt_pk_f32_fp8_e32 v[26:27], v6
	v_cvt_pk_f32_fp8_e32 v[46:47], v7
	v_mfma_f32_4x4x4_16b_f16 a[0:3], v[36:37], v[28:29], a[0:3] cbsz:4 abid:1
	v_cvt_pk_f32_fp8_sdwa v[28:29], v6 src0_sel:WORD_1
	v_cvt_pkrtz_f16_f32 v6, v26, v27
	v_cvt_pk_f32_fp8_sdwa v[26:27], v7 src0_sel:WORD_1
	v_cvt_pk_f32_fp8_e32 v[50:51], v9
	v_cvt_pkrtz_f16_f32 v7, v28, v29
	v_cvt_pkrtz_f16_f32 v28, v46, v47
	v_cvt_pk_f32_fp8_sdwa v[46:47], v8 src0_sel:WORD_1
	v_mfma_f32_4x4x4_16b_f16 a[0:3], v[34:35], v[6:7], a[0:3] cbsz:4 abid:2
	v_cvt_pk_f32_fp8_e32 v[6:7], v8
	v_cvt_pkrtz_f16_f32 v29, v26, v27
	v_cvt_pk_f32_fp8_sdwa v[8:9], v9 src0_sel:WORD_1
	s_load_dword s0, s[0:1], 0x1c
	v_mfma_f32_4x4x4_16b_f16 a[0:3], v[36:37], v[28:29], a[0:3] cbsz:4 abid:2
	global_load_dwordx4 v[26:29], v[48:49], off
	v_cvt_pkrtz_f16_f32 v6, v6, v7
	v_cvt_pkrtz_f16_f32 v7, v46, v47
	;; [unrolled: 1-line block ×3, first 2 shown]
	v_cvt_pk_f32_fp8_sdwa v[8:9], v2 src0_sel:WORD_1
	v_mfma_f32_4x4x4_16b_f16 a[0:3], v[34:35], v[6:7], a[0:3] cbsz:4 abid:3
	v_cvt_pk_f32_fp8_e32 v[6:7], v2
	v_cvt_pkrtz_f16_f32 v46, v50, v51
	v_cvt_pk_f32_fp8_sdwa v[50:51], v5 src0_sel:WORD_1
	s_load_dword s1, s[8:9], 0x0
	v_mfma_f32_4x4x4_16b_f16 a[0:3], v[36:37], v[46:47], a[0:3] cbsz:4 abid:3
	v_cvt_pk_f32_fp8_e32 v[46:47], v3
	v_cvt_pkrtz_f16_f32 v2, v6, v7
	v_cvt_pk_f32_fp8_sdwa v[6:7], v3 src0_sel:WORD_1
	v_cvt_pkrtz_f16_f32 v3, v8, v9
	v_cvt_pkrtz_f16_f32 v8, v46, v47
	v_cvt_pk_f32_fp8_e32 v[46:47], v5
	v_mfma_f32_4x4x4_16b_f16 a[0:3], v[34:35], v[2:3], a[0:3] cbsz:4 abid:4
	v_cvt_pkrtz_f16_f32 v9, v6, v7
	v_cvt_pk_f32_fp8_e32 v[6:7], v4
	v_cmp_eq_u32_e32 vcc, 0, v43
	v_mfma_f32_4x4x4_16b_f16 a[0:3], v[36:37], v[8:9], a[0:3] cbsz:4 abid:4
	v_cvt_pk_f32_fp8_sdwa v[8:9], v4 src0_sel:WORD_1
	v_cvt_pkrtz_f16_f32 v6, v6, v7
	global_load_dwordx4 v[2:5], v[48:49], off offset:2064
	v_cvt_pkrtz_f16_f32 v7, v8, v9
	v_cvt_pkrtz_f16_f32 v8, v46, v47
	s_nop 0
	v_mfma_f32_4x4x4_16b_f16 a[0:3], v[34:35], v[6:7], a[0:3] cbsz:4 abid:5
	v_cvt_pkrtz_f16_f32 v9, v50, v51
	v_cvt_pk_f32_fp8_e32 v[6:7], v22
	v_cvt_pk_f32_fp8_e32 v[46:47], v23
	v_mfma_f32_4x4x4_16b_f16 a[0:3], v[36:37], v[8:9], a[0:3] cbsz:4 abid:5
	v_cvt_pk_f32_fp8_sdwa v[8:9], v22 src0_sel:WORD_1
	v_cvt_pk_f32_fp8_sdwa v[50:51], v23 src0_sel:WORD_1
	v_cvt_pkrtz_f16_f32 v22, v6, v7
	v_cvt_pkrtz_f16_f32 v46, v46, v47
	;; [unrolled: 1-line block ×3, first 2 shown]
	global_load_dwordx4 v[6:9], v[48:49], off offset:2048
	v_cvt_pkrtz_f16_f32 v47, v50, v51
	v_mfma_f32_4x4x4_16b_f16 a[0:3], v[34:35], v[22:23], a[0:3] cbsz:4 abid:6
	v_cvt_pk_f32_fp8_e32 v[22:23], v24
	v_cvt_pk_f32_fp8_e32 v[48:49], v25
	v_mfma_f32_4x4x4_16b_f16 a[0:3], v[36:37], v[46:47], a[0:3] cbsz:4 abid:6
	v_cvt_pk_f32_fp8_sdwa v[46:47], v24 src0_sel:WORD_1
	v_cvt_pk_f32_fp8_sdwa v[24:25], v25 src0_sel:WORD_1
	v_cvt_pkrtz_f16_f32 v22, v22, v23
	v_cvt_pk_f32_fp8_e32 v[50:51], v11
	v_cvt_pkrtz_f16_f32 v23, v46, v47
	v_cvt_pkrtz_f16_f32 v46, v48, v49
	;; [unrolled: 1-line block ×3, first 2 shown]
	v_mfma_f32_4x4x4_16b_f16 a[0:3], v[34:35], v[22:23], a[0:3] cbsz:4 abid:7
	v_cvt_pk_f32_fp8_e32 v[22:23], v30
	v_cvt_pk_f32_fp8_sdwa v[24:25], v30 src0_sel:WORD_1
	v_mfma_f32_4x4x4_16b_f16 a[0:3], v[36:37], v[46:47], a[0:3] cbsz:4 abid:7
	v_cvt_pk_f32_fp8_e32 v[46:47], v31
	v_cvt_pk_f32_fp8_sdwa v[30:31], v31 src0_sel:WORD_1
	v_cvt_pkrtz_f16_f32 v48, v22, v23
	v_cvt_pkrtz_f16_f32 v49, v24, v25
	;; [unrolled: 1-line block ×4, first 2 shown]
	v_mfma_f32_4x4x4_16b_f16 a[0:3], v[34:35], v[48:49], a[0:3] cbsz:4 abid:8
	v_cvt_pk_f32_fp8_e32 v[30:31], v32
	v_cvt_pk_f32_fp8_sdwa v[48:49], v32 src0_sel:WORD_1
	v_mfma_f32_4x4x4_16b_f16 a[0:3], v[36:37], v[46:47], a[0:3] cbsz:4 abid:8
	v_cvt_pk_f32_fp8_e32 v[46:47], v33
	v_cvt_pk_f32_fp8_sdwa v[32:33], v33 src0_sel:WORD_1
	v_cvt_pkrtz_f16_f32 v30, v30, v31
	v_cvt_pkrtz_f16_f32 v31, v48, v49
	v_cvt_pk_f32_fp8_sdwa v[48:49], v10 src0_sel:WORD_1
	v_cvt_pkrtz_f16_f32 v46, v46, v47
	v_mfma_f32_4x4x4_16b_f16 a[0:3], v[34:35], v[30:31], a[0:3] cbsz:4 abid:9
	v_cvt_pk_f32_fp8_e32 v[30:31], v10
	v_cvt_pkrtz_f16_f32 v47, v32, v33
	v_cvt_pk_f32_fp8_sdwa v[10:11], v11 src0_sel:WORD_1
	global_load_dwordx4 v[22:25], v[52:53], off offset:16
	v_mfma_f32_4x4x4_16b_f16 a[0:3], v[36:37], v[46:47], a[0:3] cbsz:4 abid:9
	v_cvt_pkrtz_f16_f32 v46, v30, v31
	global_load_dwordx4 v[30:33], v[52:53], off
	v_cvt_pkrtz_f16_f32 v47, v48, v49
	v_cvt_pkrtz_f16_f32 v48, v50, v51
	;; [unrolled: 1-line block ×3, first 2 shown]
	v_mfma_f32_4x4x4_16b_f16 a[0:3], v[34:35], v[46:47], a[0:3] cbsz:4 abid:10
	v_cvt_pk_f32_fp8_e32 v[10:11], v12
	v_cvt_pk_f32_fp8_sdwa v[46:47], v12 src0_sel:WORD_1
	v_mfma_f32_4x4x4_16b_f16 a[0:3], v[36:37], v[48:49], a[0:3] cbsz:4 abid:10
	v_cvt_pk_f32_fp8_e32 v[48:49], v13
	v_cvt_pk_f32_fp8_sdwa v[12:13], v13 src0_sel:WORD_1
	v_cvt_pkrtz_f16_f32 v10, v10, v11
	v_cvt_pkrtz_f16_f32 v11, v46, v47
	v_cvt_pkrtz_f16_f32 v46, v48, v49
	v_cvt_pkrtz_f16_f32 v47, v12, v13
	v_mfma_f32_4x4x4_16b_f16 a[0:3], v[34:35], v[10:11], a[0:3] cbsz:4 abid:11
	v_cvt_pk_f32_fp8_e32 v[10:11], v18
	v_cvt_pk_f32_fp8_sdwa v[12:13], v18 src0_sel:WORD_1
	v_mfma_f32_4x4x4_16b_f16 a[0:3], v[36:37], v[46:47], a[0:3] cbsz:4 abid:11
	v_cvt_pk_f32_fp8_e32 v[46:47], v19
	v_cvt_pk_f32_fp8_sdwa v[48:49], v19 src0_sel:WORD_1
	v_cvt_pkrtz_f16_f32 v18, v10, v11
	v_cvt_pkrtz_f16_f32 v19, v12, v13
	;; [unrolled: 1-line block ×4, first 2 shown]
	v_mfma_f32_4x4x4_16b_f16 a[0:3], v[34:35], v[18:19], a[0:3] cbsz:4 abid:12
	global_load_dwordx4 v[10:13], v[52:53], off offset:2064
	v_cvt_pk_f32_fp8_sdwa v[48:49], v20 src0_sel:WORD_1
	v_mfma_f32_4x4x4_16b_f16 a[0:3], v[36:37], v[46:47], a[0:3] cbsz:4 abid:12
	v_cvt_pk_f32_fp8_e32 v[46:47], v20
	v_cvt_pk_f32_fp8_e32 v[50:51], v21
	global_load_dwordx4 v[18:21], v[52:53], off offset:2048
	v_cvt_pkrtz_f16_f32 v46, v46, v47
	v_cvt_pkrtz_f16_f32 v47, v48, v49
	v_cvt_pkrtz_f16_f32 v48, v50, v51
	v_cvt_pkrtz_f16_f32 v49, v54, v55
	v_mfma_f32_4x4x4_16b_f16 a[0:3], v[34:35], v[46:47], a[0:3] cbsz:4 abid:13
	s_waitcnt vmcnt(8)
	v_cvt_pk_f32_fp8_e32 v[46:47], v38
	v_cvt_pk_f32_fp8_e32 v[50:51], v39
	v_mfma_f32_4x4x4_16b_f16 a[0:3], v[36:37], v[48:49], a[0:3] cbsz:4 abid:13
	v_cvt_pk_f32_fp8_sdwa v[48:49], v38 src0_sel:WORD_1
	v_cvt_pkrtz_f16_f32 v38, v46, v47
	v_cvt_pk_f32_fp8_sdwa v[46:47], v39 src0_sel:WORD_1
	v_cvt_pkrtz_f16_f32 v39, v48, v49
	v_cvt_pkrtz_f16_f32 v48, v50, v51
	s_nop 0
	v_mfma_f32_4x4x4_16b_f16 a[0:3], v[34:35], v[38:39], a[0:3] cbsz:4 abid:14
	v_cvt_pkrtz_f16_f32 v49, v46, v47
	v_cvt_pk_f32_fp8_e32 v[38:39], v40
	v_cvt_pk_f32_fp8_sdwa v[46:47], v40 src0_sel:WORD_1
	v_mfma_f32_4x4x4_16b_f16 a[0:3], v[36:37], v[48:49], a[0:3] cbsz:4 abid:14
	v_cvt_pk_f32_fp8_e32 v[48:49], v41
	v_cvt_pk_f32_fp8_sdwa v[40:41], v41 src0_sel:WORD_1
	v_cvt_pkrtz_f16_f32 v38, v38, v39
	v_cvt_pkrtz_f16_f32 v39, v46, v47
	;; [unrolled: 1-line block ×4, first 2 shown]
	v_mfma_f32_4x4x4_16b_f16 a[0:3], v[34:35], v[38:39], a[0:3] cbsz:4 abid:15
	s_waitcnt lgkmcnt(0)
	v_mov_b32_e32 v34, s0
	v_mov_b32_e32 v41, 0xff7fffff
	v_mfma_f32_4x4x4_16b_f16 a[0:3], v[36:37], v[46:47], a[0:3] cbsz:4 abid:15
	v_mul_f32_e32 v36, s1, v34
	s_nop 3
	v_accvgpr_read_b32 v39, a1
	v_accvgpr_read_b32 v38, a0
	v_pk_mul_f32 v[38:39], v[38:39], v[36:37] op_sel_hi:[1,0]
	v_accvgpr_read_b32 v35, a3
	v_accvgpr_read_b32 v34, a2
	v_pk_mul_f32 v[34:35], v[34:35], v[36:37] op_sel_hi:[1,0]
	v_cndmask_b32_e64 v36, 0, 1.0, vcc
	v_cmp_eq_u32_e32 vcc, 1, v43
	s_nop 0
	v_mfma_f32_4x4x1_16b_f32 a[0:3], v38, v36, 0
	v_cndmask_b32_e64 v36, 0, 1.0, vcc
	v_cmp_eq_u32_e32 vcc, 2, v43
	s_nop 0
	v_mfma_f32_4x4x1_16b_f32 a[0:3], v39, v36, a[0:3]
	;; [unrolled: 4-line block ×3, first 2 shown]
	v_cndmask_b32_e64 v34, 0, 1.0, vcc
	s_nop 1
	v_mfma_f32_4x4x1_16b_f32 a[0:3], v35, v34, a[0:3]
	v_and_b32_e32 v34, -4, v44
	v_subrev_u32_e32 v35, s3, v34
	v_add_u32_e32 v36, 1, v35
	v_cvt_f32_i32_e32 v36, v36
	v_add_u32_e32 v37, 2, v35
	v_cvt_f32_i32_e32 v37, v37
	v_accvgpr_read_b32 v38, a0
	v_fma_f32 v36, v45, v36, v38
	v_accvgpr_read_b32 v38, a1
	v_fma_f32 v37, v45, v37, v38
	v_add_u32_e32 v38, 3, v35
	v_cvt_f32_i32_e32 v38, v38
	v_add_u32_e32 v35, 4, v35
	v_cvt_f32_i32_e32 v35, v35
	v_accvgpr_read_b32 v39, a2
	v_fma_f32 v38, v45, v38, v39
	v_max_f32_e32 v39, 0xff7fffff, v36
	v_cmp_gt_i32_e32 vcc, s3, v34
	v_accvgpr_read_b32 v40, a3
	v_fmac_f32_e32 v40, v45, v35
	v_cndmask_b32_e32 v39, v41, v39, vcc
	v_or_b32_e32 v41, 1, v34
	v_max_f32_e32 v45, v39, v37
	v_cmp_gt_i32_e64 s[0:1], s3, v41
	v_or_b32_e32 v34, 2, v34
	v_cmp_gt_i32_e64 s[4:5], s3, v34
	v_cndmask_b32_e64 v39, v39, v45, s[0:1]
	v_max_f32_e32 v41, v39, v38
	v_cndmask_b32_e64 v34, v39, v41, s[4:5]
	v_or_b32_e32 v39, 3, v44
	v_max_f32_e32 v41, v34, v40
	v_cmp_gt_i32_e64 s[8:9], s3, v39
	v_lshlrev_b32_e32 v35, 2, v0
	v_and_or_b32 v35, v35, 48, v43
	v_cndmask_b32_e64 v34, v34, v41, s[8:9]
	;;#ASMSTART
	v_nop
 v_nop
 v_max_f32_dpp v34, v34, v34 row_ror:4
	;;#ASMEND
	v_lshlrev_b32_e32 v41, 2, v35
	;;#ASMSTART
	v_nop
 v_nop
 v_max_f32_dpp v34, v34, v34 row_ror:8
	;;#ASMEND
	ds_bpermute_b32 v34, v41, v34
	s_waitcnt lgkmcnt(0)
	;;#ASMSTART
	v_nop
 v_nop
 v_max_f32_dpp v34, v34, v34 row_ror:4
	;;#ASMEND
	s_nop 0
	;;#ASMSTART
	v_nop
 v_nop
 v_max_f32_dpp v39, v34, v34 row_ror:8
	;;#ASMEND
	s_nop 0
	v_sub_f32_e32 v34, v36, v39
	v_mul_f32_e32 v34, 0x3fb8aa3b, v34
	v_sub_f32_e32 v35, v37, v39
	v_exp_f32_e32 v34, v34
	v_mul_f32_e32 v35, 0x3fb8aa3b, v35
	v_sub_f32_e32 v37, v38, v39
	v_exp_f32_e32 v35, v35
	;; [unrolled: 3-line block ×3, first 2 shown]
	v_mul_f32_e32 v38, 0x3fb8aa3b, v38
	v_exp_f32_e32 v38, v38
	v_cndmask_b32_e32 v34, 0, v34, vcc
	v_add_f32_e32 v36, 0, v34
	v_cndmask_b32_e64 v35, 0, v35, s[0:1]
	v_add_f32_e32 v40, v36, v35
	v_cndmask_b32_e64 v36, 0, v37, s[4:5]
	;; [unrolled: 2-line block ×3, first 2 shown]
	v_add_f32_e32 v38, v40, v37
	;;#ASMSTART
	v_nop
 v_nop
 v_add_f32_dpp v38, v38, v38 row_ror:4
	;;#ASMEND
	v_cmp_gt_u32_e32 vcc, 4, v1
	;;#ASMSTART
	v_nop
 v_nop
 v_add_f32_dpp v38, v38, v38 row_ror:8
	;;#ASMEND
	ds_bpermute_b32 v38, v41, v38
	s_waitcnt lgkmcnt(0)
	;;#ASMSTART
	v_nop
 v_nop
 v_add_f32_dpp v38, v38, v38 row_ror:4
	;;#ASMEND
	s_nop 0
	;;#ASMSTART
	v_nop
 v_nop
 v_add_f32_dpp v38, v38, v38 row_ror:8
	;;#ASMEND
	s_and_saveexec_b64 s[0:1], vcc
	s_cbranch_execz .LBB1009_18
; %bb.17:
	v_mul_u32_u24_e32 v40, 20, v42
	v_lshl_add_u32 v40, v43, 2, v40
	v_add_u32_e32 v40, 0x1400, v40
	ds_write2_b32 v40, v39, v38 offset1:20
.LBB1009_18:
	s_or_b64 exec, exec, s[0:1]
.LBB1009_19:
	s_or_b64 exec, exec, s[26:27]
	s_waitcnt lgkmcnt(0)
	s_barrier
	s_load_dword s0, s[24:25], 0x8
	v_lshlrev_b32_e32 v38, 2, v43
	v_add_u32_e32 v38, 0x1400, v38
	ds_read2_b32 v[44:45], v38 offset1:5
	ds_read2_b32 v[46:47], v38 offset0:10 offset1:15
	s_mul_i32 s1, s2, s33
	s_waitcnt lgkmcnt(0)
	s_mul_i32 s1, s1, s0
	s_lshl_b32 s0, s1, 1
	s_mov_b32 s1, 0xff7fffff
	v_max3_f32 v40, v44, s1, v45
	v_max3_f32 v40, v40, v46, v47
	v_sub_f32_e32 v41, v44, v40
	v_sub_f32_e32 v44, v45, v40
	ds_read2_b32 v[48:49], v38 offset0:20 offset1:25
	v_mul_f32_e32 v41, 0x3fb8aa3b, v41
	v_mul_f32_e32 v44, 0x3fb8aa3b, v44
	v_exp_f32_e32 v41, v41
	v_exp_f32_e32 v50, v44
	ds_read2_b32 v[44:45], v38 offset0:30 offset1:35
	v_sub_f32_e32 v38, v46, v40
	v_mul_f32_e32 v38, 0x3fb8aa3b, v38
	v_sub_f32_e32 v46, v47, v40
	v_exp_f32_e32 v38, v38
	v_mul_f32_e32 v46, 0x3fb8aa3b, v46
	v_exp_f32_e32 v46, v46
	s_waitcnt lgkmcnt(1)
	v_fma_f32 v41, v41, v48, 0
	v_fmac_f32_e32 v41, v50, v49
	s_waitcnt lgkmcnt(0)
	v_fmac_f32_e32 v41, v38, v44
	v_fmac_f32_e32 v41, v46, v45
	v_cmp_gt_u32_e32 vcc, 2, v43
	s_and_saveexec_b64 s[2:3], vcc
	s_cbranch_execz .LBB1009_21
; %bb.20:
	s_mov_b32 s1, 0
	s_lshl_b64 s[4:5], s[0:1], 2
	s_add_u32 s12, s12, s4
	s_mov_b32 s21, s1
	s_addc_u32 s13, s13, s5
	s_lshl_b64 s[8:9], s[20:21], 2
	s_add_u32 s12, s12, s8
	s_addc_u32 s13, s13, s9
	s_add_u32 s1, s14, s4
	s_addc_u32 s5, s15, s5
	v_or_b32_e32 v38, s38, v43
	s_add_u32 s4, s1, s8
	v_mul_lo_u32 v44, s33, v38
	v_mov_b32_e32 v45, 0
	s_addc_u32 s5, s5, s9
	v_lshlrev_b64 v[44:45], 2, v[44:45]
	v_lshl_add_u64 v[46:47], s[12:13], 0, v[44:45]
	v_lshl_add_u64 v[44:45], s[4:5], 0, v[44:45]
	global_store_dword v[44:45], v40, off
	global_store_dword v[46:47], v41, off
.LBB1009_21:
	s_or_b64 exec, exec, s[2:3]
	v_lshlrev_b32_e32 v38, 3, v42
	s_and_saveexec_b64 s[2:3], s[6:7]
	s_xor_b64 s[2:3], exec, s[2:3]
	s_cbranch_execz .LBB1009_23
; %bb.22:
	s_mov_b32 s4, 0
	s_mov_b32 s5, s4
	s_waitcnt vmcnt(5)
	v_mad_u32_u24 v4, v1, 40, v38
	v_mov_b64_e32 v[2:3], s[4:5]
	ds_write2st64_b64 v4, v[2:3], v[2:3] offset1:5
                                        ; implicit-def: $vgpr37
                                        ; implicit-def: $vgpr35
                                        ; implicit-def: $vgpr39
                                        ; implicit-def: $vgpr26_vgpr27
                                        ; implicit-def: $vgpr14_vgpr15
                                        ; implicit-def: $vgpr30_vgpr31
                                        ; implicit-def: $vgpr22_vgpr23
                                        ; implicit-def: $vgpr6_vgpr7
                                        ; implicit-def: $vgpr2_vgpr3
                                        ; implicit-def: $vgpr18_vgpr19
                                        ; implicit-def: $vgpr10_vgpr11
                                        ; implicit-def: $vgpr40
                                        ; implicit-def: $vgpr41
                                        ; implicit-def: $vgpr38
.LBB1009_23:
	s_andn2_saveexec_b64 s[2:3], s[2:3]
	s_cbranch_execz .LBB1009_25
; %bb.24:
	v_add_f32_e32 v41, 0x358637bd, v41
	v_div_scale_f32 v42, s[4:5], v41, v41, 1.0
	v_rcp_f32_e32 v43, v42
	v_sub_f32_e32 v39, v39, v40
	v_mul_f32_e32 v39, 0x3fb8aa3b, v39
	v_exp_f32_e32 v39, v39
	v_fma_f32 v40, -v42, v43, 1.0
	v_fmac_f32_e32 v43, v40, v43
	v_div_scale_f32 v40, vcc, 1.0, v41, 1.0
	v_mul_f32_e32 v44, v40, v43
	v_fma_f32 v45, -v42, v44, v40
	v_fmac_f32_e32 v44, v45, v43
	v_fma_f32 v40, -v42, v44, v40
	v_div_fmas_f32 v40, v40, v43, v44
	v_div_fixup_f32 v40, v40, v41, 1.0
	v_mul_f32_e32 v40, v39, v40
	v_pk_mul_f32 v[36:37], v[36:37], v[40:41] op_sel_hi:[1,0]
	v_pk_mul_f32 v[34:35], v[34:35], v[40:41] op_sel_hi:[1,0]
	v_cvt_f16_f32_e32 v36, v36
	v_cvt_f16_f32_e32 v34, v34
	;; [unrolled: 1-line block ×4, first 2 shown]
	s_waitcnt vmcnt(6)
	v_cvt_pk_f32_fp8_sdwa v[40:41], v26 src0_sel:WORD_1
	v_cvt_pk_f32_fp8_e32 v[42:43], v27
	v_pack_b32_f16 v34, v34, v35
	v_pack_b32_f16 v35, v36, v37
	v_cvt_pk_f32_fp8_e32 v[36:37], v26
	v_cvt_pk_f32_fp8_sdwa v[26:27], v27 src0_sel:WORD_1
	s_load_dword s4, s[10:11], 0x0
	v_cvt_pkrtz_f16_f32 v36, v36, v37
	v_cvt_pkrtz_f16_f32 v37, v40, v41
	;; [unrolled: 1-line block ×4, first 2 shown]
	v_mfma_f32_4x4x4_16b_f16 a[0:3], v[34:35], v[36:37], 0 cbsz:4
	v_cvt_pk_f32_fp8_e32 v[26:27], v28
	v_cvt_pk_f32_fp8_sdwa v[36:37], v28 src0_sel:WORD_1
	v_mfma_f32_4x4x4_16b_f16 a[0:3], v[34:35], v[40:41], a[0:3] cbsz:4 abid:1
	v_cvt_pk_f32_fp8_e32 v[40:41], v29
	v_cvt_pk_f32_fp8_sdwa v[28:29], v29 src0_sel:WORD_1
	v_cvt_pkrtz_f16_f32 v26, v26, v27
	v_cvt_pkrtz_f16_f32 v27, v36, v37
	v_cvt_pkrtz_f16_f32 v36, v40, v41
	v_cvt_pkrtz_f16_f32 v37, v28, v29
	v_mfma_f32_4x4x4_16b_f16 a[0:3], v[34:35], v[26:27], a[0:3] cbsz:4 abid:2
	v_cvt_pk_f32_fp8_e32 v[26:27], v14
	v_cvt_pk_f32_fp8_sdwa v[28:29], v14 src0_sel:WORD_1
	v_mfma_f32_4x4x4_16b_f16 a[0:3], v[34:35], v[36:37], a[0:3] cbsz:4 abid:3
	v_cvt_pk_f32_fp8_e32 v[36:37], v15
	v_cvt_pk_f32_fp8_sdwa v[14:15], v15 src0_sel:WORD_1
	v_cvt_pkrtz_f16_f32 v26, v26, v27
	v_cvt_pkrtz_f16_f32 v27, v28, v29
	v_cvt_pkrtz_f16_f32 v28, v36, v37
	v_cvt_pkrtz_f16_f32 v29, v14, v15
	v_mfma_f32_4x4x4_16b_f16 a[0:3], v[34:35], v[26:27], a[0:3] cbsz:4 abid:4
	;; [unrolled: 10-line block ×3, first 2 shown]
	s_waitcnt vmcnt(2)
	v_cvt_pk_f32_fp8_e32 v[14:15], v30
	v_cvt_pk_f32_fp8_sdwa v[16:17], v30 src0_sel:WORD_1
	v_mfma_f32_4x4x4_16b_f16 a[0:3], v[34:35], v[26:27], a[0:3] cbsz:4 abid:7
	v_cvt_pk_f32_fp8_e32 v[26:27], v31
	v_cvt_pk_f32_fp8_sdwa v[28:29], v31 src0_sel:WORD_1
	v_cvt_pkrtz_f16_f32 v14, v14, v15
	v_cvt_pkrtz_f16_f32 v15, v16, v17
	;; [unrolled: 1-line block ×4, first 2 shown]
	v_mfma_f32_4x4x4_16b_f16 a[0:3], v[34:35], v[14:15], a[0:3] cbsz:4 abid:8
	v_cvt_pk_f32_fp8_e32 v[14:15], v32
	v_cvt_pk_f32_fp8_e32 v[26:27], v33
	v_mfma_f32_4x4x4_16b_f16 a[0:3], v[34:35], v[16:17], a[0:3] cbsz:4 abid:9
	v_cvt_pk_f32_fp8_sdwa v[16:17], v32 src0_sel:WORD_1
	v_cvt_pk_f32_fp8_sdwa v[28:29], v33 src0_sel:WORD_1
	v_cvt_pkrtz_f16_f32 v14, v14, v15
	v_cvt_pkrtz_f16_f32 v15, v16, v17
	v_cvt_pkrtz_f16_f32 v16, v26, v27
	s_nop 0
	v_mfma_f32_4x4x4_16b_f16 a[0:3], v[34:35], v[14:15], a[0:3] cbsz:4 abid:10
	v_cvt_pkrtz_f16_f32 v17, v28, v29
	v_cvt_pk_f32_fp8_e32 v[14:15], v22
	v_cvt_pk_f32_fp8_e32 v[26:27], v23
	v_mfma_f32_4x4x4_16b_f16 a[0:3], v[34:35], v[16:17], a[0:3] cbsz:4 abid:11
	v_cvt_pk_f32_fp8_sdwa v[16:17], v22 src0_sel:WORD_1
	v_cvt_pk_f32_fp8_sdwa v[22:23], v23 src0_sel:WORD_1
	v_cvt_pkrtz_f16_f32 v14, v14, v15
	v_cvt_pkrtz_f16_f32 v15, v16, v17
	v_cvt_pkrtz_f16_f32 v16, v26, v27
	s_nop 0
	v_mfma_f32_4x4x4_16b_f16 a[0:3], v[34:35], v[14:15], a[0:3] cbsz:4 abid:12
	v_cvt_pkrtz_f16_f32 v17, v22, v23
	;; [unrolled: 11-line block ×3, first 2 shown]
	v_cvt_pk_f32_fp8_sdwa v[22:23], v6 src0_sel:WORD_1
	v_cvt_pk_f32_fp8_e32 v[24:25], v7
	v_mfma_f32_4x4x4_16b_f16 a[0:3], v[34:35], v[16:17], a[0:3] cbsz:4 abid:15
	s_nop 4
	v_accvgpr_read_b32 v15, a1
	v_accvgpr_read_b32 v14, a0
	s_waitcnt lgkmcnt(0)
	v_pk_mul_f32 v[14:15], v[14:15], s[4:5] op_sel_hi:[1,0]
	s_nop 0
	v_cvt_f16_f32_e32 v16, v14
	v_cvt_f16_f32_e32 v17, v15
	v_accvgpr_read_b32 v15, a3
	v_accvgpr_read_b32 v14, a2
	v_pk_mul_f32 v[14:15], v[14:15], s[4:5] op_sel_hi:[1,0]
	v_pack_b32_f16 v16, v16, v17
	v_cvt_f16_f32_e32 v17, v14
	v_cvt_f16_f32_e32 v26, v15
	v_cvt_pk_f32_fp8_e32 v[14:15], v6
	v_cvt_pk_f32_fp8_sdwa v[6:7], v7 src0_sel:WORD_1
	v_pack_b32_f16 v17, v17, v26
	v_cvt_pkrtz_f16_f32 v14, v14, v15
	v_cvt_pkrtz_f16_f32 v15, v22, v23
	;; [unrolled: 1-line block ×4, first 2 shown]
	v_mfma_f32_4x4x4_16b_f16 a[0:3], v[34:35], v[14:15], 0 cbsz:4
	v_cvt_pk_f32_fp8_e32 v[6:7], v8
	v_cvt_pk_f32_fp8_sdwa v[14:15], v8 src0_sel:WORD_1
	v_mfma_f32_4x4x4_16b_f16 a[0:3], v[34:35], v[22:23], a[0:3] cbsz:4 abid:1
	v_cvt_pk_f32_fp8_e32 v[22:23], v9
	v_cvt_pk_f32_fp8_sdwa v[8:9], v9 src0_sel:WORD_1
	v_cvt_pkrtz_f16_f32 v6, v6, v7
	v_cvt_pkrtz_f16_f32 v7, v14, v15
	v_cvt_pkrtz_f16_f32 v14, v22, v23
	v_cvt_pkrtz_f16_f32 v15, v8, v9
	v_mfma_f32_4x4x4_16b_f16 a[0:3], v[34:35], v[6:7], a[0:3] cbsz:4 abid:2
	v_cvt_pk_f32_fp8_e32 v[6:7], v2
	v_cvt_pk_f32_fp8_sdwa v[8:9], v2 src0_sel:WORD_1
	v_mfma_f32_4x4x4_16b_f16 a[0:3], v[34:35], v[14:15], a[0:3] cbsz:4 abid:3
	v_cvt_pk_f32_fp8_e32 v[14:15], v3
	v_cvt_pk_f32_fp8_sdwa v[2:3], v3 src0_sel:WORD_1
	v_cvt_pkrtz_f16_f32 v6, v6, v7
	v_cvt_pkrtz_f16_f32 v7, v8, v9
	v_cvt_pkrtz_f16_f32 v8, v14, v15
	v_cvt_pkrtz_f16_f32 v9, v2, v3
	v_mfma_f32_4x4x4_16b_f16 a[0:3], v[34:35], v[6:7], a[0:3] cbsz:4 abid:4
	;; [unrolled: 10-line block ×3, first 2 shown]
	s_waitcnt vmcnt(0)
	v_cvt_pk_f32_fp8_e32 v[2:3], v18
	v_cvt_pk_f32_fp8_sdwa v[4:5], v18 src0_sel:WORD_1
	v_mfma_f32_4x4x4_16b_f16 a[0:3], v[34:35], v[6:7], a[0:3] cbsz:4 abid:7
	v_cvt_pk_f32_fp8_e32 v[6:7], v19
	v_cvt_pk_f32_fp8_sdwa v[8:9], v19 src0_sel:WORD_1
	v_cvt_pkrtz_f16_f32 v2, v2, v3
	v_cvt_pkrtz_f16_f32 v3, v4, v5
	;; [unrolled: 1-line block ×4, first 2 shown]
	v_mfma_f32_4x4x4_16b_f16 a[0:3], v[34:35], v[2:3], a[0:3] cbsz:4 abid:8
	v_cvt_pk_f32_fp8_e32 v[2:3], v20
	v_cvt_pk_f32_fp8_e32 v[6:7], v21
	v_mfma_f32_4x4x4_16b_f16 a[0:3], v[34:35], v[4:5], a[0:3] cbsz:4 abid:9
	v_cvt_pk_f32_fp8_sdwa v[4:5], v20 src0_sel:WORD_1
	v_cvt_pk_f32_fp8_sdwa v[8:9], v21 src0_sel:WORD_1
	v_cvt_pkrtz_f16_f32 v2, v2, v3
	v_cvt_pkrtz_f16_f32 v3, v4, v5
	v_cvt_pkrtz_f16_f32 v4, v6, v7
	s_nop 0
	v_mfma_f32_4x4x4_16b_f16 a[0:3], v[34:35], v[2:3], a[0:3] cbsz:4 abid:10
	v_cvt_pkrtz_f16_f32 v5, v8, v9
	v_cvt_pk_f32_fp8_e32 v[2:3], v10
	v_cvt_pk_f32_fp8_e32 v[6:7], v11
	v_mfma_f32_4x4x4_16b_f16 a[0:3], v[34:35], v[4:5], a[0:3] cbsz:4 abid:11
	v_cvt_pk_f32_fp8_sdwa v[4:5], v10 src0_sel:WORD_1
	v_cvt_pk_f32_fp8_sdwa v[8:9], v11 src0_sel:WORD_1
	v_cvt_pkrtz_f16_f32 v2, v2, v3
	v_cvt_pkrtz_f16_f32 v3, v4, v5
	v_cvt_pkrtz_f16_f32 v4, v6, v7
	s_nop 0
	v_mfma_f32_4x4x4_16b_f16 a[0:3], v[34:35], v[2:3], a[0:3] cbsz:4 abid:12
	v_cvt_pkrtz_f16_f32 v5, v8, v9
	v_cvt_pk_f32_fp8_e32 v[2:3], v12
	v_cvt_pk_f32_fp8_e32 v[6:7], v13
	v_mfma_f32_4x4x4_16b_f16 a[0:3], v[34:35], v[4:5], a[0:3] cbsz:4 abid:13
	v_cvt_pk_f32_fp8_sdwa v[4:5], v12 src0_sel:WORD_1
	v_cvt_pk_f32_fp8_sdwa v[8:9], v13 src0_sel:WORD_1
	v_cvt_pkrtz_f16_f32 v2, v2, v3
	v_cvt_pkrtz_f16_f32 v3, v4, v5
	v_cvt_pkrtz_f16_f32 v4, v6, v7
	s_nop 0
	v_mfma_f32_4x4x4_16b_f16 a[0:3], v[34:35], v[2:3], a[0:3] cbsz:4 abid:14
	v_cvt_pkrtz_f16_f32 v5, v8, v9
	v_mad_u32_u24 v7, v1, 40, v38
	s_nop 0
	v_mfma_f32_4x4x4_16b_f16 a[0:3], v[34:35], v[4:5], a[0:3] cbsz:4 abid:15
	s_nop 4
	v_accvgpr_read_b32 v5, a1
	v_accvgpr_read_b32 v3, a3
	;; [unrolled: 1-line block ×4, first 2 shown]
	v_pk_mul_f32 v[2:3], v[2:3], s[4:5] op_sel_hi:[1,0]
	v_pk_mul_f32 v[4:5], v[4:5], s[4:5] op_sel_hi:[1,0]
	v_cvt_f16_f32_e32 v6, v2
	v_cvt_f16_f32_e32 v4, v4
	;; [unrolled: 1-line block ×4, first 2 shown]
	v_pack_b32_f16 v2, v4, v5
	v_pack_b32_f16 v3, v6, v3
	ds_write2st64_b64 v7, v[16:17], v[2:3] offset1:5
.LBB1009_25:
	s_or_b64 exec, exec, s[2:3]
	v_cmp_gt_u32_e32 vcc, 64, v0
	s_waitcnt lgkmcnt(0)
	s_barrier
	s_and_saveexec_b64 s[2:3], vcc
	s_cbranch_execz .LBB1009_27
; %bb.26:
	s_waitcnt vmcnt(4)
	v_mul_u32_u24_e32 v6, 40, v1
	ds_read2_b64 v[2:5], v6 offset1:1
	s_mov_b32 s1, 0
	s_waitcnt lgkmcnt(0)
	v_mov_b32_e32 v3, 0xa00
	s_lshl_b32 s0, s0, 7
	ds_read2_b64 v[6:9], v6 offset0:2 offset1:3
	v_mad_u32_u24 v3, v1, 40, v3
	v_pk_add_f16 v2, v2, 0
	s_lshl_b64 s[2:3], s[0:1], 1
	s_waitcnt lgkmcnt(0)
	v_pk_add_f16 v7, v2, v4
	v_mov_b32_e32 v9, 0xa10
	ds_read2_b64 v[2:5], v3 offset1:1
	s_add_u32 s2, s22, s2
	v_mad_u32_u24 v1, v1, 40, v9
	s_waitcnt vmcnt(1)
	ds_read2_b64 v[10:13], v1 offset1:1
	s_addc_u32 s3, s23, s3
	s_lshl_b32 s0, s20, 7
	s_lshl_b64 s[0:1], s[0:1], 1
	s_add_u32 s0, s2, s0
	v_pk_add_f16 v1, v7, v6
	s_addc_u32 s1, s3, s1
	s_lshl_b32 s2, s33, 7
	v_pk_add_f16 v6, v1, v8
	s_waitcnt lgkmcnt(1)
	v_pk_add_f16 v1, v2, 0
	s_mul_i32 s3, s2, s38
	v_pk_add_f16 v1, v1, v4
	v_or_b32_e32 v2, s3, v0
	v_mov_b32_e32 v3, 0
	s_add_i32 s3, s3, s2
	s_waitcnt lgkmcnt(0)
	v_pk_add_f16 v1, v1, v10
	v_lshl_add_u64 v[4:5], v[2:3], 1, s[0:1]
	v_or_b32_e32 v2, s3, v0
	v_pk_add_f16 v7, v1, v12
	v_lshl_add_u64 v[0:1], v[2:3], 1, s[0:1]
	global_store_short v[4:5], v6, off
	global_store_short_d16_hi v[0:1], v6, off
	global_store_short v[4:5], v7, off offset:128
	global_store_short_d16_hi v[0:1], v7, off offset:128
.LBB1009_27:
	s_endpgm
	.section	.rodata,"a",@progbits
	.p2align	6, 0x0
	.amdhsa_kernel _Z38paged_attention_ll4mi_QKV_mfma4_kernelIDF16_hLN4vllm18Fp8KVCacheDataTypeE1EhLi32ELi128ELi256ELb1ELi2EEvPKT_PKT0_S7_ifPKiS9_S9_iPKfiiiPfSC_PS2_PT2_iSB_SB_
		.amdhsa_group_segment_fixed_size 5280
		.amdhsa_private_segment_fixed_size 0
		.amdhsa_kernarg_size 400
		.amdhsa_user_sgpr_count 2
		.amdhsa_user_sgpr_dispatch_ptr 0
		.amdhsa_user_sgpr_queue_ptr 0
		.amdhsa_user_sgpr_kernarg_segment_ptr 1
		.amdhsa_user_sgpr_dispatch_id 0
		.amdhsa_user_sgpr_kernarg_preload_length 0
		.amdhsa_user_sgpr_kernarg_preload_offset 0
		.amdhsa_user_sgpr_private_segment_size 0
		.amdhsa_uses_dynamic_stack 0
		.amdhsa_enable_private_segment 0
		.amdhsa_system_sgpr_workgroup_id_x 1
		.amdhsa_system_sgpr_workgroup_id_y 1
		.amdhsa_system_sgpr_workgroup_id_z 1
		.amdhsa_system_sgpr_workgroup_info 0
		.amdhsa_system_vgpr_workitem_id 0
		.amdhsa_next_free_vgpr 60
		.amdhsa_next_free_sgpr 44
		.amdhsa_accum_offset 56
		.amdhsa_reserve_vcc 1
		.amdhsa_float_round_mode_32 0
		.amdhsa_float_round_mode_16_64 0
		.amdhsa_float_denorm_mode_32 3
		.amdhsa_float_denorm_mode_16_64 3
		.amdhsa_dx10_clamp 1
		.amdhsa_ieee_mode 1
		.amdhsa_fp16_overflow 0
		.amdhsa_tg_split 0
		.amdhsa_exception_fp_ieee_invalid_op 0
		.amdhsa_exception_fp_denorm_src 0
		.amdhsa_exception_fp_ieee_div_zero 0
		.amdhsa_exception_fp_ieee_overflow 0
		.amdhsa_exception_fp_ieee_underflow 0
		.amdhsa_exception_fp_ieee_inexact 0
		.amdhsa_exception_int_div_zero 0
	.end_amdhsa_kernel
	.section	.text._Z38paged_attention_ll4mi_QKV_mfma4_kernelIDF16_hLN4vllm18Fp8KVCacheDataTypeE1EhLi32ELi128ELi256ELb1ELi2EEvPKT_PKT0_S7_ifPKiS9_S9_iPKfiiiPfSC_PS2_PT2_iSB_SB_,"axG",@progbits,_Z38paged_attention_ll4mi_QKV_mfma4_kernelIDF16_hLN4vllm18Fp8KVCacheDataTypeE1EhLi32ELi128ELi256ELb1ELi2EEvPKT_PKT0_S7_ifPKiS9_S9_iPKfiiiPfSC_PS2_PT2_iSB_SB_,comdat
.Lfunc_end1009:
	.size	_Z38paged_attention_ll4mi_QKV_mfma4_kernelIDF16_hLN4vllm18Fp8KVCacheDataTypeE1EhLi32ELi128ELi256ELb1ELi2EEvPKT_PKT0_S7_ifPKiS9_S9_iPKfiiiPfSC_PS2_PT2_iSB_SB_, .Lfunc_end1009-_Z38paged_attention_ll4mi_QKV_mfma4_kernelIDF16_hLN4vllm18Fp8KVCacheDataTypeE1EhLi32ELi128ELi256ELb1ELi2EEvPKT_PKT0_S7_ifPKiS9_S9_iPKfiiiPfSC_PS2_PT2_iSB_SB_
                                        ; -- End function
	.section	.AMDGPU.csdata,"",@progbits
; Kernel info:
; codeLenInByte = 5296
; NumSgprs: 50
; NumVgprs: 56
; NumAgprs: 4
; TotalNumVgprs: 60
; ScratchSize: 0
; MemoryBound: 0
; FloatMode: 240
; IeeeMode: 1
; LDSByteSize: 5280 bytes/workgroup (compile time only)
; SGPRBlocks: 6
; VGPRBlocks: 7
; NumSGPRsForWavesPerEU: 50
; NumVGPRsForWavesPerEU: 60
; AccumOffset: 56
; Occupancy: 8
; WaveLimiterHint : 1
; COMPUTE_PGM_RSRC2:SCRATCH_EN: 0
; COMPUTE_PGM_RSRC2:USER_SGPR: 2
; COMPUTE_PGM_RSRC2:TRAP_HANDLER: 0
; COMPUTE_PGM_RSRC2:TGID_X_EN: 1
; COMPUTE_PGM_RSRC2:TGID_Y_EN: 1
; COMPUTE_PGM_RSRC2:TGID_Z_EN: 1
; COMPUTE_PGM_RSRC2:TIDIG_COMP_CNT: 0
; COMPUTE_PGM_RSRC3_GFX90A:ACCUM_OFFSET: 13
; COMPUTE_PGM_RSRC3_GFX90A:TG_SPLIT: 0
	.section	.text._Z38paged_attention_ll4mi_QKV_mfma4_kernelIDF16_hLN4vllm18Fp8KVCacheDataTypeE1EhLi32ELi128ELi256ELb1ELi3EEvPKT_PKT0_S7_ifPKiS9_S9_iPKfiiiPfSC_PS2_PT2_iSB_SB_,"axG",@progbits,_Z38paged_attention_ll4mi_QKV_mfma4_kernelIDF16_hLN4vllm18Fp8KVCacheDataTypeE1EhLi32ELi128ELi256ELb1ELi3EEvPKT_PKT0_S7_ifPKiS9_S9_iPKfiiiPfSC_PS2_PT2_iSB_SB_,comdat
	.protected	_Z38paged_attention_ll4mi_QKV_mfma4_kernelIDF16_hLN4vllm18Fp8KVCacheDataTypeE1EhLi32ELi128ELi256ELb1ELi3EEvPKT_PKT0_S7_ifPKiS9_S9_iPKfiiiPfSC_PS2_PT2_iSB_SB_ ; -- Begin function _Z38paged_attention_ll4mi_QKV_mfma4_kernelIDF16_hLN4vllm18Fp8KVCacheDataTypeE1EhLi32ELi128ELi256ELb1ELi3EEvPKT_PKT0_S7_ifPKiS9_S9_iPKfiiiPfSC_PS2_PT2_iSB_SB_
	.globl	_Z38paged_attention_ll4mi_QKV_mfma4_kernelIDF16_hLN4vllm18Fp8KVCacheDataTypeE1EhLi32ELi128ELi256ELb1ELi3EEvPKT_PKT0_S7_ifPKiS9_S9_iPKfiiiPfSC_PS2_PT2_iSB_SB_
	.p2align	8
	.type	_Z38paged_attention_ll4mi_QKV_mfma4_kernelIDF16_hLN4vllm18Fp8KVCacheDataTypeE1EhLi32ELi128ELi256ELb1ELi3EEvPKT_PKT0_S7_ifPKiS9_S9_iPKfiiiPfSC_PS2_PT2_iSB_SB_,@function
_Z38paged_attention_ll4mi_QKV_mfma4_kernelIDF16_hLN4vllm18Fp8KVCacheDataTypeE1EhLi32ELi128ELi256ELb1ELi3EEvPKT_PKT0_S7_ifPKiS9_S9_iPKfiiiPfSC_PS2_PT2_iSB_SB_: ; @_Z38paged_attention_ll4mi_QKV_mfma4_kernelIDF16_hLN4vllm18Fp8KVCacheDataTypeE1EhLi32ELi128ELi256ELb1ELi3EEvPKT_PKT0_S7_ifPKiS9_S9_iPKfiiiPfSC_PS2_PT2_iSB_SB_
; %bb.0:
	s_load_dwordx2 s[16:17], s[0:1], 0x30
	s_mov_b32 s20, s3
	s_mov_b64 s[6:7], 0
	s_waitcnt lgkmcnt(0)
	s_cmp_lg_u64 s[16:17], 0
	s_cselect_b64 s[18:19], -1, 0
	s_and_b64 vcc, exec, s[18:19]
	s_cbranch_vccz .LBB1010_10
; %bb.1:
	s_add_i32 s8, s2, 1
	s_mov_b32 s9, 0
	s_lshl_b64 s[10:11], s[8:9], 2
	s_add_u32 s10, s16, s10
	s_mov_b32 s3, s9
	s_addc_u32 s11, s17, s11
	s_lshl_b64 s[8:9], s[2:3], 2
	s_add_u32 s8, s16, s8
	s_addc_u32 s9, s17, s9
	s_load_dword s5, s[10:11], 0x0
	s_load_dword s12, s[8:9], 0x0
	s_waitcnt lgkmcnt(0)
	s_sub_i32 s5, s5, s12
	s_cmp_eq_u32 s5, 1
	s_cselect_b64 s[8:9], -1, 0
	s_andn2_b64 vcc, exec, s[6:7]
	s_cbranch_vccnz .LBB1010_3
.LBB1010_2:
	s_mov_b32 s3, 0
	s_mov_b64 s[8:9], -1
.LBB1010_3:
	s_andn2_b64 vcc, exec, s[8:9]
	s_cbranch_vccnz .LBB1010_27
; %bb.4:
	s_load_dword s5, s[0:1], 0x9c
	s_load_dwordx2 s[6:7], s[0:1], 0x28
	s_add_u32 s24, s0, 0x90
	s_addc_u32 s25, s1, 0
	s_lshl_b64 s[28:29], s[2:3], 2
	s_waitcnt lgkmcnt(0)
	s_and_b32 s5, s5, 0xffff
	s_add_u32 s6, s6, s28
	s_addc_u32 s7, s7, s29
	s_load_dword s3, s[6:7], 0x0
	s_mul_i32 s5, s20, s5
	s_waitcnt lgkmcnt(0)
	s_cmp_ge_i32 s5, s3
	s_cbranch_scc1 .LBB1010_27
; %bb.5:
	v_and_b32_e32 v1, 0xc0, v0
	v_add_u32_e32 v4, s5, v1
	v_lshrrev_b32_e32 v46, 6, v0
	v_cmp_le_i32_e64 s[6:7], s3, v4
                                        ; implicit-def: $sgpr30
                                        ; implicit-def: $sgpr21
	s_and_saveexec_b64 s[8:9], s[6:7]
	s_xor_b64 s[8:9], exec, s[8:9]
	s_cbranch_execz .LBB1010_7
; %bb.6:
	v_mul_u32_u24_e32 v1, 20, v46
	v_or_b32_e32 v1, 0x1400, v1
	v_mov_b32_e32 v2, 0x1450
	v_mov_b32_e32 v3, 0xff7fffff
	v_mad_u32_u24 v2, v46, 20, v2
	ds_write2_b32 v1, v3, v3 offset1:1
	v_mov_b32_e32 v1, 0
	ds_write2_b32 v2, v1, v1 offset1:1
	v_mov_b32_e32 v2, 0x1408
	v_mov_b32_e32 v4, 0x1458
	s_mov_b32 s21, 0xff7fffff
	s_mov_b32 s30, 0
	v_mad_u32_u24 v2, v46, 20, v2
	v_mad_u32_u24 v4, v46, 20, v4
	ds_write2_b32 v2, v3, v3 offset1:1
	ds_write2_b32 v4, v1, v1 offset1:1
                                        ; implicit-def: $vgpr4
.LBB1010_7:
	s_or_saveexec_b64 s[26:27], s[8:9]
	s_load_dwordx2 s[22:23], s[0:1], 0x68
	s_load_dwordx4 s[12:15], s[0:1], 0x58
	s_load_dword s33, s[24:25], 0x4
	s_load_dwordx4 s[8:11], s[0:1], 0x80
	v_and_b32_e32 v1, 63, v0
	v_and_b32_e32 v47, 3, v0
	s_mul_i32 s38, s4, 3
	v_mov_b32_e32 v37, s30
	v_mov_b32_e32 v39, s21
	v_mov_b32_e32 v36, s30
	v_mov_b32_e32 v35, s30
	v_mov_b32_e32 v34, s30
                                        ; implicit-def: $vgpr26_vgpr27
                                        ; implicit-def: $vgpr10_vgpr11
                                        ; implicit-def: $vgpr30_vgpr31
                                        ; implicit-def: $vgpr18_vgpr19
                                        ; implicit-def: $vgpr6_vgpr7
                                        ; implicit-def: $vgpr2_vgpr3
                                        ; implicit-def: $vgpr22_vgpr23
                                        ; implicit-def: $vgpr14_vgpr15
	s_xor_b64 exec, exec, s[26:27]
	s_cbranch_execz .LBB1010_19
; %bb.8:
	s_load_dwordx2 s[30:31], s[0:1], 0x20
	s_load_dword s21, s[0:1], 0x38
	s_add_i32 s34, s3, 31
	s_ashr_i32 s35, s34, 31
	s_lshr_b32 s35, s35, 27
	v_add_u32_e32 v48, s5, v0
	s_add_i32 s34, s34, s35
	v_ashrrev_i32_e32 v2, 31, v48
	s_ashr_i32 s34, s34, 5
	v_lshrrev_b32_e32 v2, 27, v2
	s_add_i32 s36, s34, -1
	s_waitcnt lgkmcnt(0)
	s_mul_i32 s34, s2, s21
	s_mov_b32 s35, 0
	v_add_u32_e32 v2, v48, v2
	s_lshl_b64 s[34:35], s[34:35], 2
	v_ashrrev_i32_e32 v2, 5, v2
	v_mov_b32_e32 v3, s36
	v_cmp_gt_i32_e32 vcc, s3, v48
	s_add_u32 s30, s30, s34
	s_addc_u32 s31, s31, s35
	v_cndmask_b32_e32 v2, v3, v2, vcc
	v_ashrrev_i32_e32 v3, 31, v2
	v_lshl_add_u64 v[6:7], v[2:3], 2, s[30:31]
	v_ashrrev_i32_e32 v2, 31, v4
	v_lshrrev_b32_e32 v2, 27, v2
	v_add_u32_e32 v2, v4, v2
	v_ashrrev_i32_e32 v8, 5, v2
	v_min_i32_e32 v2, s36, v8
	v_ashrrev_i32_e32 v3, 31, v2
	v_lshl_add_u64 v[4:5], v[2:3], 2, s[30:31]
	v_add_u32_e32 v2, 1, v8
	v_min_i32_e32 v2, s36, v2
	v_ashrrev_i32_e32 v3, 31, v2
	v_lshl_add_u64 v[8:9], v[2:3], 2, s[30:31]
	global_load_dword v2, v[6:7], off
	global_load_dword v29, v[4:5], off
	global_load_dword v28, v[8:9], off
	s_load_dwordx2 s[30:31], s[0:1], 0x8
	s_andn2_b64 vcc, exec, s[18:19]
	s_cbranch_vccnz .LBB1010_11
; %bb.9:
	s_add_u32 s16, s16, s28
	s_addc_u32 s17, s17, s29
	s_load_dword s5, s[16:17], 0x0
	s_branch .LBB1010_12
.LBB1010_10:
	s_mov_b64 s[8:9], 0
	s_branch .LBB1010_2
.LBB1010_11:
	s_mov_b32 s5, s2
.LBB1010_12:
	s_load_dwordx2 s[28:29], s[0:1], 0x10
	s_load_dwordx4 s[16:19], s[0:1], 0x48
	v_cmp_ne_u32_e32 vcc, 3, v47
	s_mov_b32 s37, 0
	v_mov_b32_e32 v27, 0
	v_mov_b32_e32 v14, 0
	;; [unrolled: 1-line block ×5, first 2 shown]
	s_and_saveexec_b64 s[34:35], vcc
	s_cbranch_execz .LBB1010_14
; %bb.13:
	s_load_dwordx2 s[40:41], s[0:1], 0x0
	s_waitcnt lgkmcnt(0)
	s_ashr_i32 s19, s16, 31
	s_mul_hi_u32 s21, s5, s16
	s_mul_i32 s19, s5, s19
	s_add_i32 s43, s21, s19
	s_mul_i32 s42, s5, s16
	s_lshl_b64 s[42:43], s[42:43], 1
	s_add_u32 s5, s40, s42
	s_mul_i32 s36, s4, 0x180
	s_addc_u32 s16, s41, s43
	s_lshl_b64 s[36:37], s[36:37], 1
	v_lshlrev_b32_e32 v3, 2, v1
	s_add_u32 s36, s5, s36
	v_and_b32_e32 v3, 0xf0, v3
	s_addc_u32 s37, s16, s37
	v_lshl_or_b32 v3, v47, 8, v3
	global_load_dwordx4 v[14:17], v3, s[36:37]
.LBB1010_14:
	s_or_b64 exec, exec, s[34:35]
	s_waitcnt lgkmcnt(0)
	s_mul_i32 s16, s4, s18
	s_add_u32 s4, s16, s30
	s_addc_u32 s5, 0, s31
	v_mov_b64_e32 v[4:5], s[4:5]
	s_waitcnt vmcnt(2)
	v_mad_i64_i32 v[2:3], s[4:5], v2, s17, v[4:5]
	v_lshlrev_b32_e32 v4, 4, v0
	v_and_b32_e32 v26, 0x1f0, v4
	v_lshl_add_u64 v[42:43], v[2:3], 0, v[26:27]
	global_load_dwordx4 v[10:13], v[42:43], off
	global_load_dwordx4 v[6:9], v[42:43], off offset:512
	global_load_dwordx4 v[2:5], v[42:43], off offset:1024
	;; [unrolled: 1-line block ×7, first 2 shown]
	v_mov_b32_e32 v43, 1.0
	v_mov_b32_e32 v42, 0
	s_and_saveexec_b64 s[4:5], vcc
	s_cbranch_execz .LBB1010_16
; %bb.15:
	s_load_dwordx2 s[18:19], s[0:1], 0x40
	v_add_u32_e32 v42, s38, v47
	v_mov_b32_e32 v43, 0
	s_waitcnt lgkmcnt(0)
	v_lshl_add_u64 v[44:45], v[42:43], 2, s[18:19]
	global_load_dword v42, v[44:45], off
.LBB1010_16:
	s_or_b64 exec, exec, s[4:5]
	s_waitcnt vmcnt(9)
	v_mul_hi_i32 v26, v29, s17
	v_ashrrev_i32_e32 v26, 31, v26
	v_lshrrev_b32_e32 v44, 29, v26
	v_mov_b32_e32 v45, 0
	v_mad_i64_i32 v[50:51], s[18:19], v29, s17, v[44:45]
	s_waitcnt vmcnt(8)
	v_mul_hi_i32 v29, v28, s17
	v_ashrrev_i32_e32 v29, 31, v29
	v_lshrrev_b32_e32 v44, 29, v29
	s_add_u32 s4, s28, s16
	v_mad_i64_i32 v[28:29], s[16:17], v28, s17, v[44:45]
	s_addc_u32 s5, s29, 0
	v_and_b32_e32 v50, -8, v50
	v_and_b32_e32 v28, -8, v28
	s_waitcnt vmcnt(7)
	v_cvt_pk_f32_fp8_e32 v[52:53], v10
	v_cvt_pk_f32_fp8_sdwa v[54:55], v10 src0_sel:WORD_1
	v_lshl_add_u64 v[50:51], s[4:5], 0, v[50:51]
	v_lshlrev_b32_e32 v26, 5, v1
	v_lshl_add_u64 v[28:29], s[4:5], 0, v[28:29]
	v_lshl_add_u64 v[50:51], v[50:51], 0, v[26:27]
	;; [unrolled: 1-line block ×3, first 2 shown]
	v_cvt_pk_f32_fp8_e32 v[26:27], v11
	v_cvt_pk_f32_fp8_sdwa v[10:11], v11 src0_sel:WORD_1
	v_cvt_pkrtz_f16_f32 v28, v52, v53
	v_cvt_pkrtz_f16_f32 v29, v54, v55
	;; [unrolled: 1-line block ×4, first 2 shown]
	v_mfma_f32_4x4x4_16b_f16 a[0:3], v[14:15], v[28:29], 0 cbsz:4
	v_cvt_pk_f32_fp8_e32 v[10:11], v12
	v_cvt_pk_f32_fp8_e32 v[28:29], v13
	v_mfma_f32_4x4x4_16b_f16 a[0:3], v[16:17], v[26:27], a[0:3] cbsz:4
	v_cvt_pk_f32_fp8_sdwa v[26:27], v12 src0_sel:WORD_1
	v_cvt_pk_f32_fp8_sdwa v[12:13], v13 src0_sel:WORD_1
	v_cvt_pkrtz_f16_f32 v10, v10, v11
	s_waitcnt vmcnt(4)
	v_cvt_pk_f32_fp8_e32 v[52:53], v41
	v_cvt_pkrtz_f16_f32 v11, v26, v27
	v_cvt_pkrtz_f16_f32 v26, v28, v29
	;; [unrolled: 1-line block ×3, first 2 shown]
	v_mfma_f32_4x4x4_16b_f16 a[0:3], v[14:15], v[10:11], a[0:3] cbsz:4 abid:1
	v_cvt_pk_f32_fp8_e32 v[10:11], v6
	v_cvt_pk_f32_fp8_sdwa v[12:13], v6 src0_sel:WORD_1
	v_mfma_f32_4x4x4_16b_f16 a[0:3], v[16:17], v[26:27], a[0:3] cbsz:4 abid:1
	v_cvt_pk_f32_fp8_e32 v[26:27], v7
	v_cvt_pk_f32_fp8_sdwa v[6:7], v7 src0_sel:WORD_1
	v_cvt_pkrtz_f16_f32 v28, v10, v11
	v_cvt_pkrtz_f16_f32 v29, v12, v13
	;; [unrolled: 1-line block ×4, first 2 shown]
	v_mfma_f32_4x4x4_16b_f16 a[0:3], v[14:15], v[28:29], a[0:3] cbsz:4 abid:2
	v_cvt_pk_f32_fp8_e32 v[6:7], v8
	v_cvt_pk_f32_fp8_sdwa v[28:29], v8 src0_sel:WORD_1
	v_mfma_f32_4x4x4_16b_f16 a[0:3], v[16:17], v[26:27], a[0:3] cbsz:4 abid:2
	v_cvt_pk_f32_fp8_e32 v[26:27], v9
	v_cvt_pkrtz_f16_f32 v6, v6, v7
	v_cvt_pkrtz_f16_f32 v7, v28, v29
	v_cvt_pk_f32_fp8_sdwa v[8:9], v9 src0_sel:WORD_1
	v_cvt_pk_f32_fp8_sdwa v[28:29], v2 src0_sel:WORD_1
	v_mfma_f32_4x4x4_16b_f16 a[0:3], v[14:15], v[6:7], a[0:3] cbsz:4 abid:3
	v_cvt_pk_f32_fp8_e32 v[6:7], v2
	v_cvt_pkrtz_f16_f32 v26, v26, v27
	v_cvt_pkrtz_f16_f32 v27, v8, v9
	v_cvt_pk_f32_fp8_sdwa v[8:9], v3 src0_sel:WORD_1
	v_cvt_pkrtz_f16_f32 v2, v6, v7
	v_cvt_pk_f32_fp8_e32 v[6:7], v3
	v_mfma_f32_4x4x4_16b_f16 a[0:3], v[16:17], v[26:27], a[0:3] cbsz:4 abid:3
	v_cvt_pkrtz_f16_f32 v3, v28, v29
	global_load_dwordx4 v[10:13], v[50:51], off offset:16
	global_load_dwordx4 v[26:29], v[50:51], off
	v_mfma_f32_4x4x4_16b_f16 a[0:3], v[14:15], v[2:3], a[0:3] cbsz:4 abid:4
	v_cvt_pkrtz_f16_f32 v6, v6, v7
	v_cvt_pkrtz_f16_f32 v7, v8, v9
	v_cvt_pk_f32_fp8_e32 v[2:3], v4
	v_cvt_pk_f32_fp8_e32 v[8:9], v5
	v_mfma_f32_4x4x4_16b_f16 a[0:3], v[16:17], v[6:7], a[0:3] cbsz:4 abid:4
	v_cvt_pk_f32_fp8_sdwa v[6:7], v4 src0_sel:WORD_1
	v_cvt_pk_f32_fp8_sdwa v[4:5], v5 src0_sel:WORD_1
	v_cvt_pkrtz_f16_f32 v2, v2, v3
	s_load_dword s0, s[0:1], 0x1c
	v_cvt_pkrtz_f16_f32 v3, v6, v7
	v_cvt_pkrtz_f16_f32 v7, v4, v5
	v_cvt_pk_f32_fp8_sdwa v[4:5], v38 src0_sel:WORD_1
	v_mfma_f32_4x4x4_16b_f16 a[0:3], v[14:15], v[2:3], a[0:3] cbsz:4 abid:5
	v_cvt_pk_f32_fp8_e32 v[2:3], v38
	v_cvt_pkrtz_f16_f32 v6, v8, v9
	v_cvt_pk_f32_fp8_sdwa v[8:9], v39 src0_sel:WORD_1
	s_load_dword s1, s[8:9], 0x0
	v_mfma_f32_4x4x4_16b_f16 a[0:3], v[16:17], v[6:7], a[0:3] cbsz:4 abid:5
	v_cvt_pk_f32_fp8_e32 v[6:7], v39
	v_cvt_pkrtz_f16_f32 v38, v2, v3
	v_cvt_pkrtz_f16_f32 v39, v4, v5
	global_load_dwordx4 v[2:5], v[50:51], off offset:2064
	v_cvt_pkrtz_f16_f32 v6, v6, v7
	v_mfma_f32_4x4x4_16b_f16 a[0:3], v[14:15], v[38:39], a[0:3] cbsz:4 abid:6
	v_cvt_pk_f32_fp8_sdwa v[38:39], v40 src0_sel:WORD_1
	v_cvt_pkrtz_f16_f32 v7, v8, v9
	v_cvt_pk_f32_fp8_e32 v[8:9], v40
	v_cvt_pkrtz_f16_f32 v40, v52, v53
	v_cvt_pkrtz_f16_f32 v55, v38, v39
	v_cvt_pk_f32_fp8_sdwa v[38:39], v41 src0_sel:WORD_1
	v_mfma_f32_4x4x4_16b_f16 a[0:3], v[16:17], v[6:7], a[0:3] cbsz:4 abid:6
	v_cvt_pkrtz_f16_f32 v54, v8, v9
	global_load_dwordx4 v[6:9], v[50:51], off offset:2048
	s_waitcnt vmcnt(7)
	v_cvt_pk_f32_fp8_e32 v[50:51], v18
	v_mfma_f32_4x4x4_16b_f16 a[0:3], v[14:15], v[54:55], a[0:3] cbsz:4 abid:7
	v_cvt_pk_f32_fp8_sdwa v[52:53], v18 src0_sel:WORD_1
	v_cvt_pkrtz_f16_f32 v41, v38, v39
	v_cvt_pk_f32_fp8_e32 v[38:39], v19
	v_cvt_pkrtz_f16_f32 v18, v50, v51
	v_mfma_f32_4x4x4_16b_f16 a[0:3], v[16:17], v[40:41], a[0:3] cbsz:4 abid:7
	v_cvt_pk_f32_fp8_sdwa v[40:41], v19 src0_sel:WORD_1
	v_cvt_pkrtz_f16_f32 v19, v52, v53
	v_cvt_pkrtz_f16_f32 v38, v38, v39
	v_cvt_pk_f32_fp8_e32 v[50:51], v21
	v_mfma_f32_4x4x4_16b_f16 a[0:3], v[14:15], v[18:19], a[0:3] cbsz:4 abid:8
	v_cvt_pkrtz_f16_f32 v39, v40, v41
	v_cvt_pk_f32_fp8_sdwa v[40:41], v20 src0_sel:WORD_1
	v_cvt_pk_f32_fp8_sdwa v[52:53], v21 src0_sel:WORD_1
	v_mfma_f32_4x4x4_16b_f16 a[0:3], v[16:17], v[38:39], a[0:3] cbsz:4 abid:8
	v_cvt_pk_f32_fp8_e32 v[38:39], v20
	v_cmp_eq_u32_e32 vcc, 0, v47
	global_load_dwordx4 v[18:21], v[44:45], off offset:16
	v_cvt_pkrtz_f16_f32 v38, v38, v39
	v_cvt_pkrtz_f16_f32 v39, v40, v41
	;; [unrolled: 1-line block ×4, first 2 shown]
	v_mfma_f32_4x4x4_16b_f16 a[0:3], v[14:15], v[38:39], a[0:3] cbsz:4 abid:9
	s_waitcnt vmcnt(7)
	v_cvt_pk_f32_fp8_e32 v[38:39], v30
	v_cvt_pk_f32_fp8_e32 v[50:51], v31
	v_mfma_f32_4x4x4_16b_f16 a[0:3], v[16:17], v[40:41], a[0:3] cbsz:4 abid:9
	v_cvt_pk_f32_fp8_sdwa v[40:41], v30 src0_sel:WORD_1
	v_cvt_pkrtz_f16_f32 v30, v38, v39
	v_cvt_pk_f32_fp8_sdwa v[38:39], v31 src0_sel:WORD_1
	v_cvt_pk_f32_fp8_sdwa v[52:53], v33 src0_sel:WORD_1
	v_cvt_pkrtz_f16_f32 v31, v40, v41
	v_cvt_pkrtz_f16_f32 v40, v50, v51
	;; [unrolled: 1-line block ×3, first 2 shown]
	v_mfma_f32_4x4x4_16b_f16 a[0:3], v[14:15], v[30:31], a[0:3] cbsz:4 abid:10
	v_cvt_pk_f32_fp8_e32 v[38:39], v32
	v_cvt_pk_f32_fp8_e32 v[50:51], v33
	v_mfma_f32_4x4x4_16b_f16 a[0:3], v[16:17], v[40:41], a[0:3] cbsz:4 abid:10
	v_cvt_pk_f32_fp8_sdwa v[40:41], v32 src0_sel:WORD_1
	global_load_dwordx4 v[30:33], v[44:45], off
	v_cvt_pkrtz_f16_f32 v38, v38, v39
	v_cvt_pkrtz_f16_f32 v39, v40, v41
	;; [unrolled: 1-line block ×3, first 2 shown]
	s_nop 0
	v_mfma_f32_4x4x4_16b_f16 a[0:3], v[14:15], v[38:39], a[0:3] cbsz:4 abid:11
	s_waitcnt vmcnt(7)
	v_cvt_pk_f32_fp8_e32 v[38:39], v34
	v_cvt_pkrtz_f16_f32 v41, v52, v53
	v_cvt_pk_f32_fp8_e32 v[50:51], v35
	s_nop 0
	v_mfma_f32_4x4x4_16b_f16 a[0:3], v[16:17], v[40:41], a[0:3] cbsz:4 abid:11
	v_cvt_pk_f32_fp8_sdwa v[40:41], v34 src0_sel:WORD_1
	v_cvt_pkrtz_f16_f32 v34, v38, v39
	v_cvt_pk_f32_fp8_sdwa v[38:39], v35 src0_sel:WORD_1
	v_cvt_pkrtz_f16_f32 v35, v40, v41
	v_cvt_pkrtz_f16_f32 v40, v50, v51
	s_nop 0
	v_mfma_f32_4x4x4_16b_f16 a[0:3], v[14:15], v[34:35], a[0:3] cbsz:4 abid:12
	v_cvt_pkrtz_f16_f32 v41, v38, v39
	v_cvt_pk_f32_fp8_e32 v[34:35], v36
	v_cvt_pk_f32_fp8_sdwa v[38:39], v36 src0_sel:WORD_1
	v_mfma_f32_4x4x4_16b_f16 a[0:3], v[16:17], v[40:41], a[0:3] cbsz:4 abid:12
	v_cvt_pk_f32_fp8_e32 v[40:41], v37
	v_cvt_pk_f32_fp8_sdwa v[36:37], v37 src0_sel:WORD_1
	v_cvt_pkrtz_f16_f32 v34, v34, v35
	v_cvt_pkrtz_f16_f32 v35, v38, v39
	;; [unrolled: 1-line block ×4, first 2 shown]
	v_mfma_f32_4x4x4_16b_f16 a[0:3], v[14:15], v[34:35], a[0:3] cbsz:4 abid:13
	s_waitcnt vmcnt(6)
	v_cvt_pk_f32_fp8_e32 v[34:35], v22
	v_cvt_pk_f32_fp8_sdwa v[36:37], v22 src0_sel:WORD_1
	v_mfma_f32_4x4x4_16b_f16 a[0:3], v[16:17], v[38:39], a[0:3] cbsz:4 abid:13
	v_cvt_pk_f32_fp8_e32 v[38:39], v23
	v_cvt_pkrtz_f16_f32 v22, v34, v35
	v_cvt_pk_f32_fp8_sdwa v[34:35], v23 src0_sel:WORD_1
	v_cvt_pkrtz_f16_f32 v23, v36, v37
	v_cvt_pkrtz_f16_f32 v36, v38, v39
	v_mov_b32_e32 v41, 0xff7fffff
	v_mfma_f32_4x4x4_16b_f16 a[0:3], v[14:15], v[22:23], a[0:3] cbsz:4 abid:14
	v_cvt_pkrtz_f16_f32 v37, v34, v35
	v_cvt_pk_f32_fp8_e32 v[22:23], v24
	v_cvt_pk_f32_fp8_sdwa v[34:35], v24 src0_sel:WORD_1
	v_mfma_f32_4x4x4_16b_f16 a[0:3], v[16:17], v[36:37], a[0:3] cbsz:4 abid:14
	v_cvt_pk_f32_fp8_e32 v[36:37], v25
	v_cvt_pk_f32_fp8_sdwa v[24:25], v25 src0_sel:WORD_1
	v_cvt_pkrtz_f16_f32 v22, v22, v23
	v_cvt_pkrtz_f16_f32 v23, v34, v35
	;; [unrolled: 1-line block ×4, first 2 shown]
	v_mfma_f32_4x4x4_16b_f16 a[0:3], v[14:15], v[22:23], a[0:3] cbsz:4 abid:15
	s_waitcnt lgkmcnt(0)
	v_mov_b32_e32 v14, s0
	v_mfma_f32_4x4x4_16b_f16 a[0:3], v[16:17], v[34:35], a[0:3] cbsz:4 abid:15
	v_mul_f32_e32 v16, s1, v14
	s_nop 3
	v_accvgpr_read_b32 v23, a1
	v_accvgpr_read_b32 v22, a0
	v_pk_mul_f32 v[22:23], v[22:23], v[16:17] op_sel_hi:[1,0]
	v_accvgpr_read_b32 v15, a3
	v_accvgpr_read_b32 v14, a2
	v_pk_mul_f32 v[34:35], v[14:15], v[16:17] op_sel_hi:[1,0]
	v_cndmask_b32_e64 v14, 0, 1.0, vcc
	v_cmp_eq_u32_e32 vcc, 1, v47
	s_nop 0
	v_mfma_f32_4x4x1_16b_f32 a[0:3], v22, v14, 0
	v_cndmask_b32_e64 v14, 0, 1.0, vcc
	v_cmp_eq_u32_e32 vcc, 2, v47
	s_nop 0
	v_mfma_f32_4x4x1_16b_f32 a[0:3], v23, v14, a[0:3]
	v_cndmask_b32_e64 v14, 0, 1.0, vcc
	s_nop 1
	v_mfma_f32_4x4x1_16b_f32 a[0:3], v34, v14, a[0:3]
	global_load_dwordx4 v[14:17], v[44:45], off offset:2064
	global_load_dwordx4 v[22:25], v[44:45], off offset:2048
	v_and_b32_e32 v34, -4, v48
	v_mfma_f32_4x4x1_16b_f32 a[0:3], v35, v43, a[0:3]
	v_subrev_u32_e32 v35, s3, v34
	v_add_u32_e32 v36, 1, v35
	v_cvt_f32_i32_e32 v36, v36
	v_add_u32_e32 v37, 2, v35
	v_cvt_f32_i32_e32 v37, v37
	v_accvgpr_read_b32 v38, a0
	v_fma_f32 v36, v42, v36, v38
	v_accvgpr_read_b32 v38, a1
	v_fma_f32 v37, v42, v37, v38
	v_add_u32_e32 v38, 3, v35
	v_cvt_f32_i32_e32 v38, v38
	v_add_u32_e32 v35, 4, v35
	v_cvt_f32_i32_e32 v35, v35
	v_accvgpr_read_b32 v39, a2
	v_fma_f32 v38, v42, v38, v39
	v_max_f32_e32 v39, 0xff7fffff, v36
	v_cmp_gt_i32_e32 vcc, s3, v34
	v_accvgpr_read_b32 v40, a3
	v_fmac_f32_e32 v40, v42, v35
	v_cndmask_b32_e32 v39, v41, v39, vcc
	v_or_b32_e32 v41, 1, v34
	v_max_f32_e32 v42, v39, v37
	v_cmp_gt_i32_e64 s[0:1], s3, v41
	v_or_b32_e32 v34, 2, v34
	v_cmp_gt_i32_e64 s[4:5], s3, v34
	v_cndmask_b32_e64 v39, v39, v42, s[0:1]
	v_max_f32_e32 v41, v39, v38
	v_cndmask_b32_e64 v34, v39, v41, s[4:5]
	v_or_b32_e32 v39, 3, v48
	v_max_f32_e32 v41, v34, v40
	v_cmp_gt_i32_e64 s[8:9], s3, v39
	v_lshlrev_b32_e32 v35, 2, v0
	v_and_or_b32 v35, v35, 48, v47
	v_cndmask_b32_e64 v34, v34, v41, s[8:9]
	;;#ASMSTART
	v_nop
 v_nop
 v_max_f32_dpp v34, v34, v34 row_ror:4
	;;#ASMEND
	v_lshlrev_b32_e32 v41, 2, v35
	;;#ASMSTART
	v_nop
 v_nop
 v_max_f32_dpp v34, v34, v34 row_ror:8
	;;#ASMEND
	ds_bpermute_b32 v34, v41, v34
	s_waitcnt lgkmcnt(0)
	;;#ASMSTART
	v_nop
 v_nop
 v_max_f32_dpp v34, v34, v34 row_ror:4
	;;#ASMEND
	s_nop 0
	;;#ASMSTART
	v_nop
 v_nop
 v_max_f32_dpp v39, v34, v34 row_ror:8
	;;#ASMEND
	s_nop 0
	v_sub_f32_e32 v34, v36, v39
	v_mul_f32_e32 v34, 0x3fb8aa3b, v34
	v_sub_f32_e32 v35, v37, v39
	v_exp_f32_e32 v34, v34
	v_mul_f32_e32 v35, 0x3fb8aa3b, v35
	v_sub_f32_e32 v37, v38, v39
	v_exp_f32_e32 v35, v35
	;; [unrolled: 3-line block ×3, first 2 shown]
	v_mul_f32_e32 v38, 0x3fb8aa3b, v38
	v_exp_f32_e32 v38, v38
	v_cndmask_b32_e32 v34, 0, v34, vcc
	v_add_f32_e32 v36, 0, v34
	v_cndmask_b32_e64 v35, 0, v35, s[0:1]
	v_add_f32_e32 v40, v36, v35
	v_cndmask_b32_e64 v36, 0, v37, s[4:5]
	;; [unrolled: 2-line block ×3, first 2 shown]
	v_add_f32_e32 v38, v40, v37
	;;#ASMSTART
	v_nop
 v_nop
 v_add_f32_dpp v38, v38, v38 row_ror:4
	;;#ASMEND
	v_cmp_gt_u32_e32 vcc, 4, v1
	;;#ASMSTART
	v_nop
 v_nop
 v_add_f32_dpp v38, v38, v38 row_ror:8
	;;#ASMEND
	ds_bpermute_b32 v38, v41, v38
	s_waitcnt lgkmcnt(0)
	;;#ASMSTART
	v_nop
 v_nop
 v_add_f32_dpp v38, v38, v38 row_ror:4
	;;#ASMEND
	s_nop 0
	;;#ASMSTART
	v_nop
 v_nop
 v_add_f32_dpp v38, v38, v38 row_ror:8
	;;#ASMEND
	s_and_saveexec_b64 s[0:1], vcc
	s_cbranch_execz .LBB1010_18
; %bb.17:
	v_mul_u32_u24_e32 v40, 20, v46
	v_lshl_add_u32 v40, v47, 2, v40
	v_add_u32_e32 v40, 0x1400, v40
	ds_write2_b32 v40, v39, v38 offset1:20
.LBB1010_18:
	s_or_b64 exec, exec, s[0:1]
.LBB1010_19:
	s_or_b64 exec, exec, s[26:27]
	s_waitcnt lgkmcnt(0)
	s_barrier
	s_load_dword s0, s[24:25], 0x8
	v_lshlrev_b32_e32 v38, 2, v47
	v_add_u32_e32 v38, 0x1400, v38
	ds_read2_b32 v[42:43], v38 offset1:5
	ds_read2_b32 v[44:45], v38 offset0:10 offset1:15
	s_mul_i32 s1, s2, s33
	s_waitcnt lgkmcnt(0)
	s_mul_i32 s0, s1, s0
	s_mov_b32 s1, 0xff7fffff
	v_max3_f32 v40, v42, s1, v43
	v_max3_f32 v40, v40, v44, v45
	v_sub_f32_e32 v41, v42, v40
	v_sub_f32_e32 v42, v43, v40
	ds_read2_b32 v[48:49], v38 offset0:20 offset1:25
	v_mul_f32_e32 v41, 0x3fb8aa3b, v41
	v_mul_f32_e32 v42, 0x3fb8aa3b, v42
	v_exp_f32_e32 v41, v41
	v_exp_f32_e32 v50, v42
	ds_read2_b32 v[42:43], v38 offset0:30 offset1:35
	v_sub_f32_e32 v38, v44, v40
	v_mul_f32_e32 v38, 0x3fb8aa3b, v38
	v_sub_f32_e32 v44, v45, v40
	v_exp_f32_e32 v38, v38
	v_mul_f32_e32 v44, 0x3fb8aa3b, v44
	v_exp_f32_e32 v44, v44
	s_waitcnt lgkmcnt(1)
	v_fma_f32 v41, v41, v48, 0
	v_fmac_f32_e32 v41, v50, v49
	s_waitcnt lgkmcnt(0)
	v_fmac_f32_e32 v41, v38, v42
	s_mul_i32 s0, s0, 3
	v_fmac_f32_e32 v41, v44, v43
	v_cmp_ne_u32_e32 vcc, 3, v47
	s_and_saveexec_b64 s[2:3], vcc
	s_cbranch_execz .LBB1010_21
; %bb.20:
	s_mov_b32 s1, 0
	s_lshl_b64 s[4:5], s[0:1], 2
	s_add_u32 s12, s12, s4
	s_mov_b32 s21, s1
	s_addc_u32 s13, s13, s5
	s_lshl_b64 s[8:9], s[20:21], 2
	s_add_u32 s12, s12, s8
	s_addc_u32 s13, s13, s9
	s_add_u32 s1, s14, s4
	s_addc_u32 s5, s15, s5
	v_add_u32_e32 v38, s38, v47
	s_add_u32 s4, s1, s8
	v_mul_lo_u32 v42, s33, v38
	v_mov_b32_e32 v43, 0
	s_addc_u32 s5, s5, s9
	v_lshlrev_b64 v[42:43], 2, v[42:43]
	v_lshl_add_u64 v[44:45], s[12:13], 0, v[42:43]
	v_lshl_add_u64 v[42:43], s[4:5], 0, v[42:43]
	global_store_dword v[42:43], v40, off
	global_store_dword v[44:45], v41, off
.LBB1010_21:
	s_or_b64 exec, exec, s[2:3]
	v_lshlrev_b32_e32 v38, 3, v46
	s_and_saveexec_b64 s[2:3], s[6:7]
	s_xor_b64 s[2:3], exec, s[2:3]
	s_cbranch_execz .LBB1010_23
; %bb.22:
	s_mov_b32 s4, 0
	s_mov_b32 s5, s4
	s_waitcnt vmcnt(5)
	v_mad_u32_u24 v4, v1, 40, v38
	v_mov_b64_e32 v[2:3], s[4:5]
	ds_write2st64_b64 v4, v[2:3], v[2:3] offset1:5
                                        ; implicit-def: $vgpr37
                                        ; implicit-def: $vgpr35
                                        ; implicit-def: $vgpr39
                                        ; implicit-def: $vgpr26_vgpr27
                                        ; implicit-def: $vgpr10_vgpr11
                                        ; implicit-def: $vgpr30_vgpr31
                                        ; implicit-def: $vgpr18_vgpr19
                                        ; implicit-def: $vgpr6_vgpr7
                                        ; implicit-def: $vgpr2_vgpr3
                                        ; implicit-def: $vgpr22_vgpr23
                                        ; implicit-def: $vgpr14_vgpr15
                                        ; implicit-def: $vgpr40
                                        ; implicit-def: $vgpr41
                                        ; implicit-def: $vgpr38
.LBB1010_23:
	s_andn2_saveexec_b64 s[2:3], s[2:3]
	s_cbranch_execz .LBB1010_25
; %bb.24:
	v_add_f32_e32 v41, 0x358637bd, v41
	v_div_scale_f32 v42, s[4:5], v41, v41, 1.0
	v_rcp_f32_e32 v43, v42
	v_sub_f32_e32 v39, v39, v40
	v_mul_f32_e32 v39, 0x3fb8aa3b, v39
	v_exp_f32_e32 v39, v39
	v_fma_f32 v40, -v42, v43, 1.0
	v_fmac_f32_e32 v43, v40, v43
	v_div_scale_f32 v40, vcc, 1.0, v41, 1.0
	v_mul_f32_e32 v44, v40, v43
	v_fma_f32 v45, -v42, v44, v40
	v_fmac_f32_e32 v44, v45, v43
	v_fma_f32 v40, -v42, v44, v40
	v_div_fmas_f32 v40, v40, v43, v44
	v_div_fixup_f32 v40, v40, v41, 1.0
	v_mul_f32_e32 v40, v39, v40
	v_pk_mul_f32 v[36:37], v[36:37], v[40:41] op_sel_hi:[1,0]
	v_pk_mul_f32 v[34:35], v[34:35], v[40:41] op_sel_hi:[1,0]
	v_cvt_f16_f32_e32 v36, v36
	v_cvt_f16_f32_e32 v34, v34
	;; [unrolled: 1-line block ×4, first 2 shown]
	s_waitcnt vmcnt(6)
	v_cvt_pk_f32_fp8_sdwa v[40:41], v26 src0_sel:WORD_1
	v_cvt_pk_f32_fp8_e32 v[42:43], v27
	v_pack_b32_f16 v34, v34, v35
	v_pack_b32_f16 v35, v36, v37
	v_cvt_pk_f32_fp8_e32 v[36:37], v26
	v_cvt_pk_f32_fp8_sdwa v[26:27], v27 src0_sel:WORD_1
	s_load_dword s4, s[10:11], 0x0
	v_cvt_pkrtz_f16_f32 v36, v36, v37
	v_cvt_pkrtz_f16_f32 v37, v40, v41
	;; [unrolled: 1-line block ×4, first 2 shown]
	v_mfma_f32_4x4x4_16b_f16 a[0:3], v[34:35], v[36:37], 0 cbsz:4
	v_cvt_pk_f32_fp8_e32 v[26:27], v28
	v_cvt_pk_f32_fp8_sdwa v[36:37], v28 src0_sel:WORD_1
	v_mfma_f32_4x4x4_16b_f16 a[0:3], v[34:35], v[40:41], a[0:3] cbsz:4 abid:1
	v_cvt_pk_f32_fp8_e32 v[40:41], v29
	v_cvt_pk_f32_fp8_sdwa v[28:29], v29 src0_sel:WORD_1
	v_cvt_pkrtz_f16_f32 v26, v26, v27
	v_cvt_pkrtz_f16_f32 v27, v36, v37
	v_cvt_pkrtz_f16_f32 v36, v40, v41
	v_cvt_pkrtz_f16_f32 v37, v28, v29
	v_mfma_f32_4x4x4_16b_f16 a[0:3], v[34:35], v[26:27], a[0:3] cbsz:4 abid:2
	v_cvt_pk_f32_fp8_e32 v[26:27], v10
	v_cvt_pk_f32_fp8_sdwa v[28:29], v10 src0_sel:WORD_1
	v_mfma_f32_4x4x4_16b_f16 a[0:3], v[34:35], v[36:37], a[0:3] cbsz:4 abid:3
	v_cvt_pk_f32_fp8_e32 v[36:37], v11
	v_cvt_pk_f32_fp8_sdwa v[10:11], v11 src0_sel:WORD_1
	v_cvt_pkrtz_f16_f32 v26, v26, v27
	v_cvt_pkrtz_f16_f32 v27, v28, v29
	v_cvt_pkrtz_f16_f32 v28, v36, v37
	v_cvt_pkrtz_f16_f32 v29, v10, v11
	v_mfma_f32_4x4x4_16b_f16 a[0:3], v[34:35], v[26:27], a[0:3] cbsz:4 abid:4
	;; [unrolled: 10-line block ×3, first 2 shown]
	s_waitcnt vmcnt(2)
	v_cvt_pk_f32_fp8_e32 v[10:11], v30
	v_cvt_pk_f32_fp8_sdwa v[12:13], v30 src0_sel:WORD_1
	v_mfma_f32_4x4x4_16b_f16 a[0:3], v[34:35], v[26:27], a[0:3] cbsz:4 abid:7
	v_cvt_pk_f32_fp8_e32 v[26:27], v31
	v_cvt_pk_f32_fp8_sdwa v[28:29], v31 src0_sel:WORD_1
	v_cvt_pkrtz_f16_f32 v10, v10, v11
	v_cvt_pkrtz_f16_f32 v11, v12, v13
	v_cvt_pkrtz_f16_f32 v12, v26, v27
	v_cvt_pkrtz_f16_f32 v13, v28, v29
	v_mfma_f32_4x4x4_16b_f16 a[0:3], v[34:35], v[10:11], a[0:3] cbsz:4 abid:8
	v_cvt_pk_f32_fp8_e32 v[10:11], v32
	v_cvt_pk_f32_fp8_e32 v[26:27], v33
	v_mfma_f32_4x4x4_16b_f16 a[0:3], v[34:35], v[12:13], a[0:3] cbsz:4 abid:9
	v_cvt_pk_f32_fp8_sdwa v[12:13], v32 src0_sel:WORD_1
	v_cvt_pk_f32_fp8_sdwa v[28:29], v33 src0_sel:WORD_1
	v_cvt_pkrtz_f16_f32 v10, v10, v11
	v_cvt_pkrtz_f16_f32 v11, v12, v13
	v_cvt_pkrtz_f16_f32 v12, v26, v27
	s_nop 0
	v_mfma_f32_4x4x4_16b_f16 a[0:3], v[34:35], v[10:11], a[0:3] cbsz:4 abid:10
	v_cvt_pkrtz_f16_f32 v13, v28, v29
	v_cvt_pk_f32_fp8_e32 v[10:11], v18
	v_cvt_pk_f32_fp8_e32 v[26:27], v19
	v_mfma_f32_4x4x4_16b_f16 a[0:3], v[34:35], v[12:13], a[0:3] cbsz:4 abid:11
	v_cvt_pk_f32_fp8_sdwa v[12:13], v18 src0_sel:WORD_1
	v_cvt_pk_f32_fp8_sdwa v[18:19], v19 src0_sel:WORD_1
	v_cvt_pkrtz_f16_f32 v10, v10, v11
	v_cvt_pkrtz_f16_f32 v11, v12, v13
	v_cvt_pkrtz_f16_f32 v12, v26, v27
	s_nop 0
	v_mfma_f32_4x4x4_16b_f16 a[0:3], v[34:35], v[10:11], a[0:3] cbsz:4 abid:12
	v_cvt_pkrtz_f16_f32 v13, v18, v19
	;; [unrolled: 11-line block ×3, first 2 shown]
	v_cvt_pk_f32_fp8_sdwa v[18:19], v6 src0_sel:WORD_1
	v_cvt_pk_f32_fp8_e32 v[20:21], v7
	v_mfma_f32_4x4x4_16b_f16 a[0:3], v[34:35], v[12:13], a[0:3] cbsz:4 abid:15
	s_nop 4
	v_accvgpr_read_b32 v11, a1
	v_accvgpr_read_b32 v10, a0
	s_waitcnt lgkmcnt(0)
	v_pk_mul_f32 v[10:11], v[10:11], s[4:5] op_sel_hi:[1,0]
	s_nop 0
	v_cvt_f16_f32_e32 v12, v10
	v_cvt_f16_f32_e32 v13, v11
	v_accvgpr_read_b32 v11, a3
	v_accvgpr_read_b32 v10, a2
	v_pk_mul_f32 v[10:11], v[10:11], s[4:5] op_sel_hi:[1,0]
	v_pack_b32_f16 v12, v12, v13
	v_cvt_f16_f32_e32 v13, v10
	v_cvt_f16_f32_e32 v26, v11
	v_cvt_pk_f32_fp8_e32 v[10:11], v6
	v_cvt_pk_f32_fp8_sdwa v[6:7], v7 src0_sel:WORD_1
	v_pack_b32_f16 v13, v13, v26
	v_cvt_pkrtz_f16_f32 v10, v10, v11
	v_cvt_pkrtz_f16_f32 v11, v18, v19
	v_cvt_pkrtz_f16_f32 v18, v20, v21
	v_cvt_pkrtz_f16_f32 v19, v6, v7
	v_mfma_f32_4x4x4_16b_f16 a[0:3], v[34:35], v[10:11], 0 cbsz:4
	v_cvt_pk_f32_fp8_e32 v[6:7], v8
	v_cvt_pk_f32_fp8_sdwa v[10:11], v8 src0_sel:WORD_1
	v_mfma_f32_4x4x4_16b_f16 a[0:3], v[34:35], v[18:19], a[0:3] cbsz:4 abid:1
	v_cvt_pk_f32_fp8_e32 v[18:19], v9
	v_cvt_pk_f32_fp8_sdwa v[8:9], v9 src0_sel:WORD_1
	v_cvt_pkrtz_f16_f32 v6, v6, v7
	v_cvt_pkrtz_f16_f32 v7, v10, v11
	v_cvt_pkrtz_f16_f32 v10, v18, v19
	v_cvt_pkrtz_f16_f32 v11, v8, v9
	v_mfma_f32_4x4x4_16b_f16 a[0:3], v[34:35], v[6:7], a[0:3] cbsz:4 abid:2
	v_cvt_pk_f32_fp8_e32 v[6:7], v2
	v_cvt_pk_f32_fp8_sdwa v[8:9], v2 src0_sel:WORD_1
	v_mfma_f32_4x4x4_16b_f16 a[0:3], v[34:35], v[10:11], a[0:3] cbsz:4 abid:3
	v_cvt_pk_f32_fp8_e32 v[10:11], v3
	v_cvt_pk_f32_fp8_sdwa v[2:3], v3 src0_sel:WORD_1
	v_cvt_pkrtz_f16_f32 v6, v6, v7
	v_cvt_pkrtz_f16_f32 v7, v8, v9
	v_cvt_pkrtz_f16_f32 v8, v10, v11
	v_cvt_pkrtz_f16_f32 v9, v2, v3
	v_mfma_f32_4x4x4_16b_f16 a[0:3], v[34:35], v[6:7], a[0:3] cbsz:4 abid:4
	;; [unrolled: 10-line block ×3, first 2 shown]
	s_waitcnt vmcnt(0)
	v_cvt_pk_f32_fp8_e32 v[2:3], v22
	v_cvt_pk_f32_fp8_sdwa v[4:5], v22 src0_sel:WORD_1
	v_mfma_f32_4x4x4_16b_f16 a[0:3], v[34:35], v[6:7], a[0:3] cbsz:4 abid:7
	v_cvt_pk_f32_fp8_e32 v[6:7], v23
	v_cvt_pk_f32_fp8_sdwa v[8:9], v23 src0_sel:WORD_1
	v_cvt_pkrtz_f16_f32 v2, v2, v3
	v_cvt_pkrtz_f16_f32 v3, v4, v5
	;; [unrolled: 1-line block ×4, first 2 shown]
	v_mfma_f32_4x4x4_16b_f16 a[0:3], v[34:35], v[2:3], a[0:3] cbsz:4 abid:8
	v_cvt_pk_f32_fp8_e32 v[2:3], v24
	v_cvt_pk_f32_fp8_e32 v[6:7], v25
	v_mfma_f32_4x4x4_16b_f16 a[0:3], v[34:35], v[4:5], a[0:3] cbsz:4 abid:9
	v_cvt_pk_f32_fp8_sdwa v[4:5], v24 src0_sel:WORD_1
	v_cvt_pk_f32_fp8_sdwa v[8:9], v25 src0_sel:WORD_1
	v_cvt_pkrtz_f16_f32 v2, v2, v3
	v_cvt_pkrtz_f16_f32 v3, v4, v5
	v_cvt_pkrtz_f16_f32 v4, v6, v7
	s_nop 0
	v_mfma_f32_4x4x4_16b_f16 a[0:3], v[34:35], v[2:3], a[0:3] cbsz:4 abid:10
	v_cvt_pkrtz_f16_f32 v5, v8, v9
	v_cvt_pk_f32_fp8_e32 v[2:3], v14
	v_cvt_pk_f32_fp8_e32 v[6:7], v15
	v_mfma_f32_4x4x4_16b_f16 a[0:3], v[34:35], v[4:5], a[0:3] cbsz:4 abid:11
	v_cvt_pk_f32_fp8_sdwa v[4:5], v14 src0_sel:WORD_1
	v_cvt_pk_f32_fp8_sdwa v[8:9], v15 src0_sel:WORD_1
	v_cvt_pkrtz_f16_f32 v2, v2, v3
	v_cvt_pkrtz_f16_f32 v3, v4, v5
	v_cvt_pkrtz_f16_f32 v4, v6, v7
	s_nop 0
	v_mfma_f32_4x4x4_16b_f16 a[0:3], v[34:35], v[2:3], a[0:3] cbsz:4 abid:12
	v_cvt_pkrtz_f16_f32 v5, v8, v9
	v_cvt_pk_f32_fp8_e32 v[2:3], v16
	v_cvt_pk_f32_fp8_e32 v[6:7], v17
	v_mfma_f32_4x4x4_16b_f16 a[0:3], v[34:35], v[4:5], a[0:3] cbsz:4 abid:13
	v_cvt_pk_f32_fp8_sdwa v[4:5], v16 src0_sel:WORD_1
	v_cvt_pk_f32_fp8_sdwa v[8:9], v17 src0_sel:WORD_1
	v_cvt_pkrtz_f16_f32 v2, v2, v3
	v_cvt_pkrtz_f16_f32 v3, v4, v5
	v_cvt_pkrtz_f16_f32 v4, v6, v7
	s_nop 0
	v_mfma_f32_4x4x4_16b_f16 a[0:3], v[34:35], v[2:3], a[0:3] cbsz:4 abid:14
	v_cvt_pkrtz_f16_f32 v5, v8, v9
	v_mad_u32_u24 v7, v1, 40, v38
	s_nop 0
	v_mfma_f32_4x4x4_16b_f16 a[0:3], v[34:35], v[4:5], a[0:3] cbsz:4 abid:15
	s_nop 4
	v_accvgpr_read_b32 v5, a1
	v_accvgpr_read_b32 v3, a3
	v_accvgpr_read_b32 v2, a2
	v_accvgpr_read_b32 v4, a0
	v_pk_mul_f32 v[2:3], v[2:3], s[4:5] op_sel_hi:[1,0]
	v_pk_mul_f32 v[4:5], v[4:5], s[4:5] op_sel_hi:[1,0]
	v_cvt_f16_f32_e32 v6, v2
	v_cvt_f16_f32_e32 v4, v4
	;; [unrolled: 1-line block ×4, first 2 shown]
	v_pack_b32_f16 v2, v4, v5
	v_pack_b32_f16 v3, v6, v3
	ds_write2st64_b64 v7, v[12:13], v[2:3] offset1:5
.LBB1010_25:
	s_or_b64 exec, exec, s[2:3]
	v_cmp_gt_u32_e32 vcc, 64, v0
	s_waitcnt lgkmcnt(0)
	s_barrier
	s_and_saveexec_b64 s[2:3], vcc
	s_cbranch_execz .LBB1010_27
; %bb.26:
	s_waitcnt vmcnt(4)
	v_mul_u32_u24_e32 v6, 40, v1
	ds_read2_b64 v[2:5], v6 offset1:1
	ds_read2_b64 v[6:9], v6 offset0:2 offset1:3
	s_mov_b32 s1, 0
	s_lshl_b32 s0, s0, 7
	s_lshl_b64 s[2:3], s[0:1], 1
	s_waitcnt lgkmcnt(1)
	v_pk_add_f16 v2, v2, 0
	v_pk_add_f16 v3, v3, 0
	v_pk_add_f16 v2, v2, v4
	v_pk_add_f16 v3, v3, v5
	s_waitcnt lgkmcnt(0)
	v_pk_add_f16 v2, v2, v6
	v_pk_add_f16 v6, v3, v7
	;; [unrolled: 1-line block ×3, first 2 shown]
	v_mov_b32_e32 v2, 0xa00
	v_mad_u32_u24 v2, v1, 40, v2
	ds_read2_b64 v[2:5], v2 offset1:1
	v_pk_add_f16 v11, v6, v9
	v_mov_b32_e32 v6, 0xa10
	v_mad_u32_u24 v1, v1, 40, v6
	ds_read2_b64 v[6:9], v1 offset1:1
	s_add_u32 s2, s22, s2
	s_addc_u32 s3, s23, s3
	s_lshl_b32 s0, s20, 7
	s_lshl_b64 s[0:1], s[0:1], 1
	s_waitcnt lgkmcnt(1)
	v_pk_add_f16 v1, v2, 0
	v_pk_add_f16 v2, v3, 0
	s_add_u32 s0, s2, s0
	v_pk_add_f16 v2, v2, v5
	s_addc_u32 s1, s3, s1
	s_lshl_b32 s2, s33, 7
	s_waitcnt lgkmcnt(0)
	v_pk_add_f16 v2, v2, v7
	s_mul_i32 s3, s2, s38
	v_pk_add_f16 v9, v2, v9
	v_or_b32_e32 v2, s3, v0
	v_mov_b32_e32 v3, 0
	s_add_i32 s3, s3, s2
	v_pk_add_f16 v1, v1, v4
	v_lshl_add_u64 v[4:5], v[2:3], 1, s[0:1]
	v_or_b32_e32 v2, s3, v0
	s_add_i32 s3, s3, s2
	v_pk_add_f16 v1, v1, v6
	v_lshl_add_u64 v[6:7], v[2:3], 1, s[0:1]
	v_or_b32_e32 v2, s3, v0
	v_pk_add_f16 v8, v1, v8
	v_lshl_add_u64 v[0:1], v[2:3], 1, s[0:1]
	global_store_short v[4:5], v10, off
	global_store_short_d16_hi v[6:7], v10, off
	global_store_short v[0:1], v11, off
	global_store_short v[4:5], v8, off offset:128
	global_store_short_d16_hi v[6:7], v8, off offset:128
	global_store_short v[0:1], v9, off offset:128
.LBB1010_27:
	s_endpgm
	.section	.rodata,"a",@progbits
	.p2align	6, 0x0
	.amdhsa_kernel _Z38paged_attention_ll4mi_QKV_mfma4_kernelIDF16_hLN4vllm18Fp8KVCacheDataTypeE1EhLi32ELi128ELi256ELb1ELi3EEvPKT_PKT0_S7_ifPKiS9_S9_iPKfiiiPfSC_PS2_PT2_iSB_SB_
		.amdhsa_group_segment_fixed_size 5280
		.amdhsa_private_segment_fixed_size 0
		.amdhsa_kernarg_size 400
		.amdhsa_user_sgpr_count 2
		.amdhsa_user_sgpr_dispatch_ptr 0
		.amdhsa_user_sgpr_queue_ptr 0
		.amdhsa_user_sgpr_kernarg_segment_ptr 1
		.amdhsa_user_sgpr_dispatch_id 0
		.amdhsa_user_sgpr_kernarg_preload_length 0
		.amdhsa_user_sgpr_kernarg_preload_offset 0
		.amdhsa_user_sgpr_private_segment_size 0
		.amdhsa_uses_dynamic_stack 0
		.amdhsa_enable_private_segment 0
		.amdhsa_system_sgpr_workgroup_id_x 1
		.amdhsa_system_sgpr_workgroup_id_y 1
		.amdhsa_system_sgpr_workgroup_id_z 1
		.amdhsa_system_sgpr_workgroup_info 0
		.amdhsa_system_vgpr_workitem_id 0
		.amdhsa_next_free_vgpr 60
		.amdhsa_next_free_sgpr 44
		.amdhsa_accum_offset 56
		.amdhsa_reserve_vcc 1
		.amdhsa_float_round_mode_32 0
		.amdhsa_float_round_mode_16_64 0
		.amdhsa_float_denorm_mode_32 3
		.amdhsa_float_denorm_mode_16_64 3
		.amdhsa_dx10_clamp 1
		.amdhsa_ieee_mode 1
		.amdhsa_fp16_overflow 0
		.amdhsa_tg_split 0
		.amdhsa_exception_fp_ieee_invalid_op 0
		.amdhsa_exception_fp_denorm_src 0
		.amdhsa_exception_fp_ieee_div_zero 0
		.amdhsa_exception_fp_ieee_overflow 0
		.amdhsa_exception_fp_ieee_underflow 0
		.amdhsa_exception_fp_ieee_inexact 0
		.amdhsa_exception_int_div_zero 0
	.end_amdhsa_kernel
	.section	.text._Z38paged_attention_ll4mi_QKV_mfma4_kernelIDF16_hLN4vllm18Fp8KVCacheDataTypeE1EhLi32ELi128ELi256ELb1ELi3EEvPKT_PKT0_S7_ifPKiS9_S9_iPKfiiiPfSC_PS2_PT2_iSB_SB_,"axG",@progbits,_Z38paged_attention_ll4mi_QKV_mfma4_kernelIDF16_hLN4vllm18Fp8KVCacheDataTypeE1EhLi32ELi128ELi256ELb1ELi3EEvPKT_PKT0_S7_ifPKiS9_S9_iPKfiiiPfSC_PS2_PT2_iSB_SB_,comdat
.Lfunc_end1010:
	.size	_Z38paged_attention_ll4mi_QKV_mfma4_kernelIDF16_hLN4vllm18Fp8KVCacheDataTypeE1EhLi32ELi128ELi256ELb1ELi3EEvPKT_PKT0_S7_ifPKiS9_S9_iPKfiiiPfSC_PS2_PT2_iSB_SB_, .Lfunc_end1010-_Z38paged_attention_ll4mi_QKV_mfma4_kernelIDF16_hLN4vllm18Fp8KVCacheDataTypeE1EhLi32ELi128ELi256ELb1ELi3EEvPKT_PKT0_S7_ifPKiS9_S9_iPKfiiiPfSC_PS2_PT2_iSB_SB_
                                        ; -- End function
	.section	.AMDGPU.csdata,"",@progbits
; Kernel info:
; codeLenInByte = 5396
; NumSgprs: 50
; NumVgprs: 56
; NumAgprs: 4
; TotalNumVgprs: 60
; ScratchSize: 0
; MemoryBound: 0
; FloatMode: 240
; IeeeMode: 1
; LDSByteSize: 5280 bytes/workgroup (compile time only)
; SGPRBlocks: 6
; VGPRBlocks: 7
; NumSGPRsForWavesPerEU: 50
; NumVGPRsForWavesPerEU: 60
; AccumOffset: 56
; Occupancy: 8
; WaveLimiterHint : 1
; COMPUTE_PGM_RSRC2:SCRATCH_EN: 0
; COMPUTE_PGM_RSRC2:USER_SGPR: 2
; COMPUTE_PGM_RSRC2:TRAP_HANDLER: 0
; COMPUTE_PGM_RSRC2:TGID_X_EN: 1
; COMPUTE_PGM_RSRC2:TGID_Y_EN: 1
; COMPUTE_PGM_RSRC2:TGID_Z_EN: 1
; COMPUTE_PGM_RSRC2:TIDIG_COMP_CNT: 0
; COMPUTE_PGM_RSRC3_GFX90A:ACCUM_OFFSET: 13
; COMPUTE_PGM_RSRC3_GFX90A:TG_SPLIT: 0
	.section	.text._Z38paged_attention_ll4mi_QKV_mfma4_kernelIDF16_hLN4vllm18Fp8KVCacheDataTypeE1EhLi32ELi128ELi256ELb1ELi4EEvPKT_PKT0_S7_ifPKiS9_S9_iPKfiiiPfSC_PS2_PT2_iSB_SB_,"axG",@progbits,_Z38paged_attention_ll4mi_QKV_mfma4_kernelIDF16_hLN4vllm18Fp8KVCacheDataTypeE1EhLi32ELi128ELi256ELb1ELi4EEvPKT_PKT0_S7_ifPKiS9_S9_iPKfiiiPfSC_PS2_PT2_iSB_SB_,comdat
	.protected	_Z38paged_attention_ll4mi_QKV_mfma4_kernelIDF16_hLN4vllm18Fp8KVCacheDataTypeE1EhLi32ELi128ELi256ELb1ELi4EEvPKT_PKT0_S7_ifPKiS9_S9_iPKfiiiPfSC_PS2_PT2_iSB_SB_ ; -- Begin function _Z38paged_attention_ll4mi_QKV_mfma4_kernelIDF16_hLN4vllm18Fp8KVCacheDataTypeE1EhLi32ELi128ELi256ELb1ELi4EEvPKT_PKT0_S7_ifPKiS9_S9_iPKfiiiPfSC_PS2_PT2_iSB_SB_
	.globl	_Z38paged_attention_ll4mi_QKV_mfma4_kernelIDF16_hLN4vllm18Fp8KVCacheDataTypeE1EhLi32ELi128ELi256ELb1ELi4EEvPKT_PKT0_S7_ifPKiS9_S9_iPKfiiiPfSC_PS2_PT2_iSB_SB_
	.p2align	8
	.type	_Z38paged_attention_ll4mi_QKV_mfma4_kernelIDF16_hLN4vllm18Fp8KVCacheDataTypeE1EhLi32ELi128ELi256ELb1ELi4EEvPKT_PKT0_S7_ifPKiS9_S9_iPKfiiiPfSC_PS2_PT2_iSB_SB_,@function
_Z38paged_attention_ll4mi_QKV_mfma4_kernelIDF16_hLN4vllm18Fp8KVCacheDataTypeE1EhLi32ELi128ELi256ELb1ELi4EEvPKT_PKT0_S7_ifPKiS9_S9_iPKfiiiPfSC_PS2_PT2_iSB_SB_: ; @_Z38paged_attention_ll4mi_QKV_mfma4_kernelIDF16_hLN4vllm18Fp8KVCacheDataTypeE1EhLi32ELi128ELi256ELb1ELi4EEvPKT_PKT0_S7_ifPKiS9_S9_iPKfiiiPfSC_PS2_PT2_iSB_SB_
; %bb.0:
	s_load_dwordx2 s[16:17], s[0:1], 0x30
	s_mov_b32 s24, s3
	s_mov_b64 s[6:7], 0
	s_waitcnt lgkmcnt(0)
	s_cmp_lg_u64 s[16:17], 0
	s_cselect_b64 s[18:19], -1, 0
	s_and_b64 vcc, exec, s[18:19]
	s_cbranch_vccz .LBB1011_20
; %bb.1:
	s_add_i32 s8, s2, 1
	s_mov_b32 s9, 0
	s_lshl_b64 s[10:11], s[8:9], 2
	s_add_u32 s10, s16, s10
	s_mov_b32 s3, s9
	s_addc_u32 s11, s17, s11
	s_lshl_b64 s[8:9], s[2:3], 2
	s_add_u32 s8, s16, s8
	s_addc_u32 s9, s17, s9
	s_load_dword s5, s[10:11], 0x0
	s_load_dword s12, s[8:9], 0x0
	s_mov_b64 s[34:35], s[2:3]
	s_waitcnt lgkmcnt(0)
	s_sub_i32 s5, s5, s12
	s_cmp_eq_u32 s5, 1
	s_cselect_b64 s[8:9], -1, 0
	s_andn2_b64 vcc, exec, s[6:7]
	s_cbranch_vccnz .LBB1011_3
.LBB1011_2:
	s_mov_b32 s3, 0
	s_mov_b64 s[8:9], -1
	s_mov_b64 s[34:35], s[2:3]
.LBB1011_3:
	s_andn2_b64 vcc, exec, s[8:9]
	s_cbranch_vccnz .LBB1011_19
; %bb.4:
	s_load_dword s3, s[0:1], 0x9c
	s_load_dwordx2 s[6:7], s[0:1], 0x28
	s_add_u32 s28, s0, 0x90
	s_addc_u32 s29, s1, 0
	s_lshl_b64 s[42:43], s[34:35], 2
	s_waitcnt lgkmcnt(0)
	s_and_b32 s5, s3, 0xffff
	s_add_u32 s6, s6, s42
	s_addc_u32 s7, s7, s43
	s_load_dword s3, s[6:7], 0x0
	s_mul_i32 s5, s24, s5
	s_waitcnt lgkmcnt(0)
	s_cmp_ge_i32 s5, s3
	s_cbranch_scc1 .LBB1011_19
; %bb.5:
	v_and_b32_e32 v1, 0xc0, v0
	v_and_b32_e32 v41, 3, v0
	s_lshl_b32 s33, s4, 2
	v_add_u32_e32 v4, s5, v1
	v_lshrrev_b32_e32 v40, 6, v0
	v_cmp_le_i32_e64 s[6:7], s3, v4
	v_or_b32_e32 v34, s33, v41
                                        ; implicit-def: $sgpr21
                                        ; implicit-def: $sgpr20
	s_and_saveexec_b64 s[8:9], s[6:7]
	s_xor_b64 s[8:9], exec, s[8:9]
	s_cbranch_execz .LBB1011_7
; %bb.6:
	v_mul_u32_u24_e32 v1, 20, v40
	v_or_b32_e32 v1, 0x1400, v1
	v_mov_b32_e32 v2, 0x1450
	v_mov_b32_e32 v3, 0xff7fffff
	v_mad_u32_u24 v2, v40, 20, v2
	ds_write2_b32 v1, v3, v3 offset1:1
	v_mov_b32_e32 v1, 0
	ds_write2_b32 v2, v1, v1 offset1:1
	v_mov_b32_e32 v2, 0x1408
	v_mov_b32_e32 v4, 0x1458
	s_mov_b32 s20, 0xff7fffff
	s_mov_b32 s21, 0
	v_mad_u32_u24 v2, v40, 20, v2
	v_mad_u32_u24 v4, v40, 20, v4
	v_or_b32_e32 v34, s33, v41
	ds_write2_b32 v2, v3, v3 offset1:1
	ds_write2_b32 v4, v1, v1 offset1:1
                                        ; implicit-def: $vgpr4
.LBB1011_7:
	s_or_saveexec_b64 s[30:31], s[8:9]
	s_load_dwordx2 s[26:27], s[0:1], 0x68
	s_load_dwordx4 s[12:15], s[0:1], 0x58
	s_load_dword s44, s[28:29], 0x4
	s_load_dwordx4 s[8:11], s[0:1], 0x80
	v_and_b32_e32 v1, 63, v0
	v_mov_b32_e32 v39, s21
	v_mov_b32_e32 v35, s20
	;; [unrolled: 1-line block ×5, first 2 shown]
                                        ; implicit-def: $vgpr30_vgpr31
                                        ; implicit-def: $vgpr22_vgpr23
                                        ; implicit-def: $vgpr26_vgpr27
                                        ; implicit-def: $vgpr18_vgpr19
                                        ; implicit-def: $vgpr10_vgpr11
                                        ; implicit-def: $vgpr2_vgpr3
                                        ; implicit-def: $vgpr14_vgpr15
                                        ; implicit-def: $vgpr6_vgpr7
	s_xor_b64 exec, exec, s[30:31]
	s_cbranch_execz .LBB1011_13
; %bb.8:
	s_load_dwordx2 s[20:21], s[0:1], 0x20
	s_load_dword s22, s[0:1], 0x38
	s_add_i32 s23, s3, 31
	s_ashr_i32 s25, s23, 31
	s_lshr_b32 s25, s25, 27
	v_add_u32_e32 v36, s5, v0
	s_add_i32 s23, s23, s25
	v_ashrrev_i32_e32 v2, 31, v36
	s_ashr_i32 s23, s23, 5
	v_lshrrev_b32_e32 v2, 27, v2
	s_add_i32 s25, s23, -1
	s_waitcnt lgkmcnt(0)
	s_mul_i32 s36, s2, s22
	s_mov_b32 s37, 0
	v_add_u32_e32 v2, v36, v2
	s_lshl_b64 s[22:23], s[36:37], 2
	v_ashrrev_i32_e32 v2, 5, v2
	v_mov_b32_e32 v3, s25
	v_cmp_gt_i32_e32 vcc, s3, v36
	s_add_u32 s20, s20, s22
	s_addc_u32 s21, s21, s23
	v_cndmask_b32_e32 v2, v3, v2, vcc
	v_ashrrev_i32_e32 v3, 31, v2
	v_lshl_add_u64 v[6:7], v[2:3], 2, s[20:21]
	v_ashrrev_i32_e32 v2, 31, v4
	v_lshrrev_b32_e32 v2, 27, v2
	v_add_u32_e32 v2, v4, v2
	v_ashrrev_i32_e32 v4, 5, v2
	v_min_i32_e32 v2, s25, v4
	v_ashrrev_i32_e32 v3, 31, v2
	v_lshl_add_u64 v[8:9], v[2:3], 2, s[20:21]
	v_add_u32_e32 v2, 1, v4
	v_min_i32_e32 v2, s25, v2
	v_ashrrev_i32_e32 v3, 31, v2
	v_lshl_add_u64 v[10:11], v[2:3], 2, s[20:21]
	global_load_dword v4, v[6:7], off
	global_load_dword v2, v[8:9], off
	;; [unrolled: 1-line block ×3, first 2 shown]
	s_load_dwordx2 s[40:41], s[0:1], 0x40
	s_load_dwordx4 s[20:23], s[0:1], 0x0
	s_load_dwordx2 s[38:39], s[0:1], 0x10
	s_andn2_b64 vcc, exec, s[18:19]
	s_cbranch_vccnz .LBB1011_10
; %bb.9:
	s_add_u32 s16, s16, s42
	s_addc_u32 s17, s17, s43
	s_load_dword s36, s[16:17], 0x0
	s_waitcnt lgkmcnt(0)
	s_mov_b64 s[34:35], s[36:37]
.LBB1011_10:
	s_load_dwordx4 s[16:19], s[0:1], 0x48
	s_load_dword s5, s[0:1], 0x1c
	v_mov_b32_e32 v17, 0
	v_mov_b32_e32 v35, v17
	s_waitcnt lgkmcnt(0)
	v_lshl_add_u64 v[22:23], v[34:35], 2, s[40:41]
	s_ashr_i32 s1, s16, 31
	s_mul_hi_u32 s19, s34, s16
	s_mul_i32 s1, s34, s1
	s_mul_i32 s25, s35, s16
	s_add_i32 s1, s19, s1
	s_mul_i32 s0, s34, s16
	s_add_i32 s1, s1, s25
	s_lshl_b64 s[0:1], s[0:1], 1
	s_add_u32 s16, s20, s0
	s_addc_u32 s19, s21, s1
	s_lshl_b32 s36, s4, 9
	s_lshl_b64 s[0:1], s[36:37], 1
	s_add_u32 s0, s16, s0
	s_addc_u32 s1, s19, s1
	s_mul_i32 s4, s4, s18
	s_add_u32 s18, s4, s22
	s_addc_u32 s19, 0, s23
	v_mov_b64_e32 v[6:7], s[18:19]
	s_waitcnt vmcnt(2)
	v_mad_i64_i32 v[4:5], s[18:19], v4, s17, v[6:7]
	v_lshlrev_b32_e32 v6, 4, v0
	v_and_b32_e32 v16, 0x1f0, v6
	v_lshl_add_u64 v[18:19], v[4:5], 0, v[16:17]
	global_load_dwordx4 v[4:7], v[18:19], off
	global_load_dwordx4 v[8:11], v[18:19], off offset:512
	global_load_dwordx4 v[12:15], v[18:19], off offset:1024
	v_lshlrev_b32_e32 v16, 2, v1
	v_and_b32_e32 v16, 0xf0, v16
	v_lshl_or_b32 v16, v41, 8, v16
	global_load_dwordx4 v[42:45], v16, s[0:1]
	global_load_dwordx4 v[46:49], v[18:19], off offset:1536
	global_load_dword v35, v[22:23], off
	global_load_dwordx4 v[50:53], v[18:19], off offset:2048
	global_load_dwordx4 v[54:57], v[18:19], off offset:2560
	;; [unrolled: 1-line block ×4, first 2 shown]
	s_waitcnt vmcnt(10)
	v_mul_hi_i32 v20, v3, s17
	v_mul_hi_i32 v16, v2, s17
	v_ashrrev_i32_e32 v20, 31, v20
	v_mov_b32_e32 v21, v17
	v_ashrrev_i32_e32 v16, 31, v16
	v_lshrrev_b32_e32 v20, 29, v20
	v_mad_i64_i32 v[20:21], s[0:1], v3, s17, v[20:21]
	v_lshrrev_b32_e32 v16, 29, v16
	s_add_u32 s0, s38, s4
	v_mad_i64_i32 v[2:3], s[16:17], v2, s17, v[16:17]
	v_and_b32_e32 v20, -8, v20
	s_addc_u32 s1, s39, 0
	v_and_b32_e32 v2, -8, v2
	v_lshl_add_u64 v[20:21], s[0:1], 0, v[20:21]
	v_lshlrev_b32_e32 v16, 5, v1
	v_lshl_add_u64 v[2:3], s[0:1], 0, v[2:3]
	v_lshl_add_u64 v[38:39], v[20:21], 0, v[16:17]
	;; [unrolled: 1-line block ×3, first 2 shown]
	v_mov_b32_e32 v37, s5
	v_cmp_eq_u32_e32 vcc, 0, v41
	s_waitcnt vmcnt(9)
	v_cvt_pk_f32_fp8_e32 v[2:3], v4
	v_cvt_pk_f32_fp8_sdwa v[20:21], v4 src0_sel:WORD_1
	v_cvt_pk_f32_fp8_e32 v[22:23], v5
	v_cvt_pk_f32_fp8_sdwa v[4:5], v5 src0_sel:WORD_1
	;; [unrolled: 2-line block ×3, first 2 shown]
	v_cvt_pkrtz_f16_f32 v2, v2, v3
	v_cvt_pkrtz_f16_f32 v3, v20, v21
	v_cvt_pk_f32_fp8_e32 v[28:29], v7
	v_cvt_pk_f32_fp8_sdwa v[6:7], v7 src0_sel:WORD_1
	s_waitcnt vmcnt(6)
	v_mfma_f32_4x4x4_16b_f16 a[0:3], v[42:43], v[2:3], 0 cbsz:4
	v_cvt_pkrtz_f16_f32 v20, v22, v23
	v_cvt_pkrtz_f16_f32 v21, v4, v5
	v_cvt_pk_f32_fp8_e32 v[30:31], v8
	v_cvt_pk_f32_fp8_sdwa v[32:33], v8 src0_sel:WORD_1
	v_mfma_f32_4x4x4_16b_f16 a[0:3], v[44:45], v[20:21], a[0:3] cbsz:4
	v_cvt_pkrtz_f16_f32 v18, v24, v25
	v_cvt_pkrtz_f16_f32 v19, v26, v27
	v_cvt_pk_f32_fp8_e32 v[66:67], v9
	v_cvt_pk_f32_fp8_sdwa v[8:9], v9 src0_sel:WORD_1
	v_mfma_f32_4x4x4_16b_f16 a[0:3], v[42:43], v[18:19], a[0:3] cbsz:4 abid:1
	v_cvt_pkrtz_f16_f32 v26, v28, v29
	v_cvt_pkrtz_f16_f32 v27, v6, v7
	v_cvt_pk_f32_fp8_e32 v[68:69], v10
	v_cvt_pk_f32_fp8_sdwa v[70:71], v10 src0_sel:WORD_1
	v_mfma_f32_4x4x4_16b_f16 a[0:3], v[44:45], v[26:27], a[0:3] cbsz:4 abid:1
	;; [unrolled: 5-line block ×7, first 2 shown]
	v_cvt_pkrtz_f16_f32 v6, v78, v79
	v_cvt_pkrtz_f16_f32 v7, v80, v81
	global_load_dwordx4 v[22:25], v[16:17], off offset:16
	global_load_dwordx4 v[30:33], v[16:17], off
	v_mfma_f32_4x4x4_16b_f16 a[0:3], v[44:45], v[6:7], a[0:3] cbsz:4 abid:4
	global_load_dwordx4 v[2:5], v[16:17], off offset:2064
	global_load_dwordx4 v[10:13], v[16:17], off offset:2048
	s_waitcnt vmcnt(9)
	v_cvt_pk_f32_fp8_e32 v[16:17], v46
	v_cvt_pk_f32_fp8_sdwa v[18:19], v46 src0_sel:WORD_1
	v_cvt_pkrtz_f16_f32 v8, v82, v83
	v_cvt_pkrtz_f16_f32 v9, v84, v85
	;; [unrolled: 1-line block ×4, first 2 shown]
	v_mfma_f32_4x4x4_16b_f16 a[0:3], v[42:43], v[8:9], a[0:3] cbsz:4 abid:5
	v_cvt_pk_f32_fp8_e32 v[8:9], v47
	v_cvt_pk_f32_fp8_sdwa v[14:15], v47 src0_sel:WORD_1
	v_mfma_f32_4x4x4_16b_f16 a[0:3], v[44:45], v[20:21], a[0:3] cbsz:4 abid:5
	v_cvt_pkrtz_f16_f32 v6, v16, v17
	v_cvt_pkrtz_f16_f32 v7, v18, v19
	;; [unrolled: 1-line block ×4, first 2 shown]
	v_mfma_f32_4x4x4_16b_f16 a[0:3], v[42:43], v[6:7], a[0:3] cbsz:4 abid:6
	v_cvt_pk_f32_fp8_e32 v[6:7], v48
	v_cvt_pk_f32_fp8_e32 v[14:15], v49
	v_mfma_f32_4x4x4_16b_f16 a[0:3], v[44:45], v[8:9], a[0:3] cbsz:4 abid:6
	v_cvt_pk_f32_fp8_sdwa v[8:9], v48 src0_sel:WORD_1
	v_cvt_pk_f32_fp8_sdwa v[16:17], v49 src0_sel:WORD_1
	v_cvt_pkrtz_f16_f32 v6, v6, v7
	s_waitcnt vmcnt(7)
	v_cvt_pk_f32_fp8_e32 v[46:47], v52
	v_cvt_pkrtz_f16_f32 v7, v8, v9
	v_cvt_pkrtz_f16_f32 v8, v14, v15
	;; [unrolled: 1-line block ×3, first 2 shown]
	v_mfma_f32_4x4x4_16b_f16 a[0:3], v[42:43], v[6:7], a[0:3] cbsz:4 abid:7
	v_cvt_pk_f32_fp8_e32 v[6:7], v50
	v_cvt_pk_f32_fp8_e32 v[14:15], v51
	v_mfma_f32_4x4x4_16b_f16 a[0:3], v[44:45], v[8:9], a[0:3] cbsz:4 abid:7
	v_cvt_pk_f32_fp8_sdwa v[8:9], v50 src0_sel:WORD_1
	v_cvt_pk_f32_fp8_sdwa v[16:17], v51 src0_sel:WORD_1
	v_cvt_pkrtz_f16_f32 v6, v6, v7
	v_cvt_pk_f32_fp8_sdwa v[48:49], v52 src0_sel:WORD_1
	v_cvt_pkrtz_f16_f32 v7, v8, v9
	v_cvt_pkrtz_f16_f32 v8, v14, v15
	;; [unrolled: 1-line block ×3, first 2 shown]
	v_mfma_f32_4x4x4_16b_f16 a[0:3], v[42:43], v[6:7], a[0:3] cbsz:4 abid:8
	v_cvt_pk_f32_fp8_e32 v[50:51], v53
	v_cvt_pk_f32_fp8_sdwa v[52:53], v53 src0_sel:WORD_1
	v_mfma_f32_4x4x4_16b_f16 a[0:3], v[44:45], v[8:9], a[0:3] cbsz:4 abid:8
	global_load_dwordx4 v[18:21], v[38:39], off offset:16
	global_load_dwordx4 v[26:29], v[38:39], off
	global_load_dwordx4 v[6:9], v[38:39], off offset:2064
	global_load_dwordx4 v[14:17], v[38:39], off offset:2048
	v_cvt_pkrtz_f16_f32 v38, v46, v47
	v_cvt_pkrtz_f16_f32 v39, v48, v49
	;; [unrolled: 1-line block ×4, first 2 shown]
	v_mfma_f32_4x4x4_16b_f16 a[0:3], v[42:43], v[38:39], a[0:3] cbsz:4 abid:9
	s_waitcnt vmcnt(10)
	v_cvt_pk_f32_fp8_e32 v[38:39], v54
	v_cvt_pk_f32_fp8_e32 v[48:49], v55
	v_mfma_f32_4x4x4_16b_f16 a[0:3], v[44:45], v[46:47], a[0:3] cbsz:4 abid:9
	v_cvt_pk_f32_fp8_sdwa v[46:47], v54 src0_sel:WORD_1
	v_cvt_pk_f32_fp8_sdwa v[50:51], v55 src0_sel:WORD_1
	v_cvt_pkrtz_f16_f32 v38, v38, v39
	s_load_dword s0, s[8:9], 0x0
	v_cvt_pkrtz_f16_f32 v39, v46, v47
	v_cvt_pkrtz_f16_f32 v46, v48, v49
	;; [unrolled: 1-line block ×3, first 2 shown]
	v_mfma_f32_4x4x4_16b_f16 a[0:3], v[42:43], v[38:39], a[0:3] cbsz:4 abid:10
	v_cvt_pk_f32_fp8_e32 v[38:39], v56
	v_cvt_pk_f32_fp8_e32 v[48:49], v57
	v_mfma_f32_4x4x4_16b_f16 a[0:3], v[44:45], v[46:47], a[0:3] cbsz:4 abid:10
	v_cvt_pk_f32_fp8_sdwa v[46:47], v56 src0_sel:WORD_1
	v_cvt_pk_f32_fp8_sdwa v[50:51], v57 src0_sel:WORD_1
	v_cvt_pkrtz_f16_f32 v38, v38, v39
	v_cvt_pkrtz_f16_f32 v39, v46, v47
	;; [unrolled: 1-line block ×3, first 2 shown]
	s_nop 0
	v_mfma_f32_4x4x4_16b_f16 a[0:3], v[42:43], v[38:39], a[0:3] cbsz:4 abid:11
	v_cvt_pkrtz_f16_f32 v47, v50, v51
	s_waitcnt vmcnt(9)
	v_cvt_pk_f32_fp8_e32 v[38:39], v58
	v_cvt_pk_f32_fp8_e32 v[48:49], v59
	v_mfma_f32_4x4x4_16b_f16 a[0:3], v[44:45], v[46:47], a[0:3] cbsz:4 abid:11
	v_cvt_pk_f32_fp8_sdwa v[46:47], v58 src0_sel:WORD_1
	v_cvt_pk_f32_fp8_sdwa v[50:51], v59 src0_sel:WORD_1
	v_cvt_pkrtz_f16_f32 v38, v38, v39
	v_cvt_pkrtz_f16_f32 v39, v46, v47
	v_cvt_pkrtz_f16_f32 v46, v48, v49
	s_nop 0
	v_mfma_f32_4x4x4_16b_f16 a[0:3], v[42:43], v[38:39], a[0:3] cbsz:4 abid:12
	v_cvt_pkrtz_f16_f32 v47, v50, v51
	v_cvt_pk_f32_fp8_e32 v[38:39], v60
	v_cvt_pk_f32_fp8_e32 v[48:49], v61
	v_mfma_f32_4x4x4_16b_f16 a[0:3], v[44:45], v[46:47], a[0:3] cbsz:4 abid:12
	v_cvt_pk_f32_fp8_sdwa v[46:47], v60 src0_sel:WORD_1
	v_cvt_pk_f32_fp8_sdwa v[50:51], v61 src0_sel:WORD_1
	v_cvt_pkrtz_f16_f32 v38, v38, v39
	v_cvt_pkrtz_f16_f32 v39, v46, v47
	;; [unrolled: 1-line block ×3, first 2 shown]
	s_nop 0
	v_mfma_f32_4x4x4_16b_f16 a[0:3], v[42:43], v[38:39], a[0:3] cbsz:4 abid:13
	v_cvt_pkrtz_f16_f32 v47, v50, v51
	s_waitcnt vmcnt(8)
	v_cvt_pk_f32_fp8_e32 v[38:39], v62
	v_cvt_pk_f32_fp8_e32 v[48:49], v63
	v_mfma_f32_4x4x4_16b_f16 a[0:3], v[44:45], v[46:47], a[0:3] cbsz:4 abid:13
	v_cvt_pk_f32_fp8_sdwa v[46:47], v62 src0_sel:WORD_1
	v_cvt_pk_f32_fp8_sdwa v[50:51], v63 src0_sel:WORD_1
	v_cvt_pkrtz_f16_f32 v38, v38, v39
	v_cvt_pkrtz_f16_f32 v39, v46, v47
	;; [unrolled: 1-line block ×3, first 2 shown]
	s_nop 0
	v_mfma_f32_4x4x4_16b_f16 a[0:3], v[42:43], v[38:39], a[0:3] cbsz:4 abid:14
	v_cvt_pkrtz_f16_f32 v47, v50, v51
	v_cvt_pk_f32_fp8_e32 v[38:39], v64
	v_cvt_pk_f32_fp8_e32 v[48:49], v65
	v_mfma_f32_4x4x4_16b_f16 a[0:3], v[44:45], v[46:47], a[0:3] cbsz:4 abid:14
	v_cvt_pk_f32_fp8_sdwa v[46:47], v64 src0_sel:WORD_1
	v_cvt_pk_f32_fp8_sdwa v[50:51], v65 src0_sel:WORD_1
	v_cvt_pkrtz_f16_f32 v38, v38, v39
	v_cvt_pkrtz_f16_f32 v39, v46, v47
	;; [unrolled: 1-line block ×3, first 2 shown]
	s_nop 0
	v_mfma_f32_4x4x4_16b_f16 a[0:3], v[42:43], v[38:39], a[0:3] cbsz:4 abid:15
	v_cvt_pkrtz_f16_f32 v47, v50, v51
	s_waitcnt lgkmcnt(0)
	v_mul_f32_e32 v42, s0, v37
	v_cndmask_b32_e64 v37, 0, 1.0, vcc
	v_mfma_f32_4x4x4_16b_f16 a[0:3], v[44:45], v[46:47], a[0:3] cbsz:4 abid:15
	v_cmp_eq_u32_e32 vcc, 1, v41
	s_nop 3
	v_accvgpr_read_b32 v45, a1
	v_accvgpr_read_b32 v44, a0
	v_pk_mul_f32 v[44:45], v[44:45], v[42:43] op_sel_hi:[1,0]
	v_accvgpr_read_b32 v39, a3
	v_accvgpr_read_b32 v38, a2
	v_pk_mul_f32 v[38:39], v[38:39], v[42:43] op_sel_hi:[1,0]
	v_mfma_f32_4x4x1_16b_f32 a[0:3], v44, v37, 0
	v_cndmask_b32_e64 v37, 0, 1.0, vcc
	v_cmp_eq_u32_e32 vcc, 2, v41
	s_nop 0
	v_mfma_f32_4x4x1_16b_f32 a[0:3], v45, v37, a[0:3]
	v_cndmask_b32_e64 v37, 0, 1.0, vcc
	v_cmp_eq_u32_e32 vcc, 3, v41
	v_mov_b32_e32 v45, 0xff7fffff
	v_mfma_f32_4x4x1_16b_f32 a[0:3], v38, v37, a[0:3]
	v_cndmask_b32_e64 v37, 0, 1.0, vcc
	s_nop 1
	v_mfma_f32_4x4x1_16b_f32 a[0:3], v39, v37, a[0:3]
	v_and_b32_e32 v37, -4, v36
	v_subrev_u32_e32 v38, s3, v37
	v_add_u32_e32 v39, 1, v38
	v_cvt_f32_i32_e32 v39, v39
	v_add_u32_e32 v42, 2, v38
	v_cvt_f32_i32_e32 v42, v42
	v_accvgpr_read_b32 v43, a0
	v_fma_f32 v39, v35, v39, v43
	v_accvgpr_read_b32 v43, a1
	v_fma_f32 v42, v35, v42, v43
	v_add_u32_e32 v43, 3, v38
	v_cvt_f32_i32_e32 v43, v43
	v_add_u32_e32 v38, 4, v38
	v_cvt_f32_i32_e32 v38, v38
	v_accvgpr_read_b32 v44, a2
	v_fma_f32 v43, v35, v43, v44
	v_accvgpr_read_b32 v44, a3
	v_fmac_f32_e32 v44, v35, v38
	v_max_f32_e32 v38, 0xff7fffff, v39
	v_cmp_gt_i32_e32 vcc, s3, v37
	v_lshlrev_b32_e32 v35, 2, v0
	v_or_b32_e32 v36, 3, v36
	v_cndmask_b32_e32 v38, v45, v38, vcc
	v_or_b32_e32 v45, 1, v37
	v_max_f32_e32 v46, v38, v42
	v_cmp_gt_i32_e64 s[0:1], s3, v45
	v_or_b32_e32 v37, 2, v37
	v_cmp_gt_i32_e64 s[4:5], s3, v37
	v_cndmask_b32_e64 v38, v38, v46, s[0:1]
	v_max_f32_e32 v45, v38, v43
	v_cndmask_b32_e64 v37, v38, v45, s[4:5]
	v_and_or_b32 v35, v35, 48, v41
	v_max_f32_e32 v38, v37, v44
	v_cmp_gt_i32_e64 s[8:9], s3, v36
	v_lshlrev_b32_e32 v45, 2, v35
	s_nop 0
	v_cndmask_b32_e64 v36, v37, v38, s[8:9]
	;;#ASMSTART
	v_nop
 v_nop
 v_max_f32_dpp v35, v36, v36 row_ror:4
	;;#ASMEND
	s_nop 0
	;;#ASMSTART
	v_nop
 v_nop
 v_max_f32_dpp v35, v35, v35 row_ror:8
	;;#ASMEND
	ds_bpermute_b32 v35, v45, v35
	s_waitcnt lgkmcnt(0)
	;;#ASMSTART
	v_nop
 v_nop
 v_max_f32_dpp v35, v35, v35 row_ror:4
	;;#ASMEND
	s_nop 0
	;;#ASMSTART
	v_nop
 v_nop
 v_max_f32_dpp v35, v35, v35 row_ror:8
	;;#ASMEND
	s_nop 0
	v_sub_f32_e32 v36, v39, v35
	v_mul_f32_e32 v36, 0x3fb8aa3b, v36
	v_sub_f32_e32 v37, v42, v35
	v_exp_f32_e32 v36, v36
	v_mul_f32_e32 v37, 0x3fb8aa3b, v37
	v_sub_f32_e32 v39, v43, v35
	v_exp_f32_e32 v37, v37
	;; [unrolled: 3-line block ×3, first 2 shown]
	v_mul_f32_e32 v42, 0x3fb8aa3b, v42
	v_exp_f32_e32 v42, v42
	v_cndmask_b32_e32 v36, 0, v36, vcc
	v_add_f32_e32 v38, 0, v36
	v_cndmask_b32_e64 v37, 0, v37, s[0:1]
	v_add_f32_e32 v43, v38, v37
	v_cndmask_b32_e64 v38, 0, v39, s[4:5]
	;; [unrolled: 2-line block ×3, first 2 shown]
	v_add_f32_e32 v42, v43, v39
	;;#ASMSTART
	v_nop
 v_nop
 v_add_f32_dpp v42, v42, v42 row_ror:4
	;;#ASMEND
	v_cmp_gt_u32_e32 vcc, 4, v1
	;;#ASMSTART
	v_nop
 v_nop
 v_add_f32_dpp v42, v42, v42 row_ror:8
	;;#ASMEND
	ds_bpermute_b32 v42, v45, v42
	s_waitcnt lgkmcnt(0)
	;;#ASMSTART
	v_nop
 v_nop
 v_add_f32_dpp v42, v42, v42 row_ror:4
	;;#ASMEND
	s_nop 0
	;;#ASMSTART
	v_nop
 v_nop
 v_add_f32_dpp v42, v42, v42 row_ror:8
	;;#ASMEND
	s_and_saveexec_b64 s[0:1], vcc
	s_cbranch_execz .LBB1011_12
; %bb.11:
	v_mul_u32_u24_e32 v43, 20, v40
	v_lshl_add_u32 v43, v41, 2, v43
	v_add_u32_e32 v43, 0x1400, v43
	ds_write2_b32 v43, v35, v42 offset1:20
.LBB1011_12:
	s_or_b64 exec, exec, s[0:1]
.LBB1011_13:
	s_or_b64 exec, exec, s[30:31]
	v_lshlrev_b32_e32 v41, 2, v41
	v_add_u32_e32 v48, 0x1400, v41
	s_waitcnt lgkmcnt(0)
	s_barrier
	s_load_dword s0, s[28:29], 0x8
	ds_read2_b32 v[42:43], v48 offset1:5
	ds_read2_b32 v[44:45], v48 offset0:10 offset1:15
	s_mov_b32 s4, 0xff7fffff
	s_mul_i32 s1, s2, s44
	ds_read2_b32 v[46:47], v48 offset0:20 offset1:25
	s_waitcnt lgkmcnt(0)
	v_max3_f32 v41, v42, s4, v43
	v_max3_f32 v41, v41, v44, v45
	s_mul_i32 s1, s1, s0
	v_sub_f32_e32 v42, v42, v41
	s_lshl_b32 s0, s1, 2
	s_mov_b32 s1, 0
	v_mul_f32_e32 v42, 0x3fb8aa3b, v42
	v_sub_f32_e32 v43, v43, v41
	s_lshl_b64 s[2:3], s[0:1], 2
	v_exp_f32_e32 v42, v42
	v_mul_f32_e32 v43, 0x3fb8aa3b, v43
	v_sub_f32_e32 v44, v44, v41
	s_add_u32 s8, s12, s2
	v_exp_f32_e32 v43, v43
	ds_read2_b32 v[48:49], v48 offset0:30 offset1:35
	v_mul_f32_e32 v44, 0x3fb8aa3b, v44
	v_sub_f32_e32 v45, v45, v41
	s_addc_u32 s9, s13, s3
	v_exp_f32_e32 v44, v44
	v_mul_f32_e32 v45, 0x3fb8aa3b, v45
	s_mov_b32 s25, s1
	s_add_u32 s4, s14, s2
	v_exp_f32_e32 v45, v45
	s_addc_u32 s5, s15, s3
	s_lshl_b64 s[2:3], s[24:25], 2
	v_fma_f32 v42, v42, v46, 0
	s_add_u32 s4, s4, s2
	v_fmac_f32_e32 v42, v43, v47
	s_addc_u32 s5, s5, s3
	s_waitcnt lgkmcnt(0)
	v_fmac_f32_e32 v42, v44, v48
	v_fmac_f32_e32 v42, v45, v49
	s_add_u32 s2, s8, s2
	v_mul_lo_u32 v44, s44, v34
	v_mov_b32_e32 v45, 0
	s_addc_u32 s3, s9, s3
	v_lshlrev_b64 v[44:45], 2, v[44:45]
	v_lshl_add_u64 v[46:47], s[4:5], 0, v[44:45]
	v_lshl_add_u64 v[44:45], s[2:3], 0, v[44:45]
	v_lshlrev_b32_e32 v40, 3, v40
	global_store_dword v[46:47], v41, off
	global_store_dword v[44:45], v42, off
	s_and_saveexec_b64 s[2:3], s[6:7]
	s_xor_b64 s[2:3], exec, s[2:3]
	s_cbranch_execz .LBB1011_15
; %bb.14:
	s_mov_b32 s4, s1
	s_mov_b32 s5, s1
	s_waitcnt vmcnt(7)
	v_mad_u32_u24 v4, v1, 40, v40
	v_mov_b64_e32 v[2:3], s[4:5]
	ds_write2st64_b64 v4, v[2:3], v[2:3] offset1:5
                                        ; implicit-def: $vgpr39
                                        ; implicit-def: $vgpr37
                                        ; implicit-def: $vgpr35
                                        ; implicit-def: $vgpr30_vgpr31
                                        ; implicit-def: $vgpr22_vgpr23
                                        ; implicit-def: $vgpr26_vgpr27
                                        ; implicit-def: $vgpr18_vgpr19
                                        ; implicit-def: $vgpr10_vgpr11
                                        ; implicit-def: $vgpr2_vgpr3
                                        ; implicit-def: $vgpr14_vgpr15
                                        ; implicit-def: $vgpr6_vgpr7
                                        ; implicit-def: $vgpr41
                                        ; implicit-def: $vgpr42
                                        ; implicit-def: $vgpr40
.LBB1011_15:
	s_andn2_saveexec_b64 s[2:3], s[2:3]
	s_cbranch_execz .LBB1011_17
; %bb.16:
	v_add_f32_e32 v34, 0x358637bd, v42
	v_div_scale_f32 v42, s[4:5], v34, v34, 1.0
	v_rcp_f32_e32 v43, v42
	v_sub_f32_e32 v35, v35, v41
	v_mul_f32_e32 v35, 0x3fb8aa3b, v35
	v_exp_f32_e32 v35, v35
	v_fma_f32 v41, -v42, v43, 1.0
	v_fmac_f32_e32 v43, v41, v43
	v_div_scale_f32 v41, vcc, 1.0, v34, 1.0
	v_mul_f32_e32 v44, v41, v43
	v_fma_f32 v45, -v42, v44, v41
	v_fmac_f32_e32 v44, v45, v43
	v_fma_f32 v41, -v42, v44, v41
	v_div_fmas_f32 v41, v41, v43, v44
	v_div_fixup_f32 v34, v41, v34, 1.0
	v_mul_f32_e32 v34, v35, v34
	v_pk_mul_f32 v[38:39], v[38:39], v[34:35] op_sel_hi:[1,0]
	v_pk_mul_f32 v[34:35], v[36:37], v[34:35] op_sel_hi:[1,0]
	v_cvt_f16_f32_e32 v36, v38
	v_cvt_f16_f32_e32 v34, v34
	;; [unrolled: 1-line block ×4, first 2 shown]
	s_waitcnt vmcnt(8)
	v_cvt_pk_f32_fp8_sdwa v[38:39], v30 src0_sel:WORD_1
	v_cvt_pk_f32_fp8_e32 v[42:43], v31
	v_pack_b32_f16 v34, v34, v35
	v_pack_b32_f16 v35, v36, v37
	v_cvt_pk_f32_fp8_e32 v[36:37], v30
	v_cvt_pk_f32_fp8_sdwa v[30:31], v31 src0_sel:WORD_1
	s_load_dword s4, s[10:11], 0x0
	v_cvt_pkrtz_f16_f32 v36, v36, v37
	v_cvt_pkrtz_f16_f32 v37, v38, v39
	;; [unrolled: 1-line block ×4, first 2 shown]
	v_mfma_f32_4x4x4_16b_f16 a[0:3], v[34:35], v[36:37], 0 cbsz:4
	v_cvt_pk_f32_fp8_e32 v[30:31], v32
	v_cvt_pk_f32_fp8_sdwa v[36:37], v32 src0_sel:WORD_1
	v_mfma_f32_4x4x4_16b_f16 a[0:3], v[34:35], v[38:39], a[0:3] cbsz:4 abid:1
	v_cvt_pk_f32_fp8_e32 v[38:39], v33
	v_cvt_pk_f32_fp8_sdwa v[32:33], v33 src0_sel:WORD_1
	v_cvt_pkrtz_f16_f32 v30, v30, v31
	v_cvt_pkrtz_f16_f32 v31, v36, v37
	v_cvt_pkrtz_f16_f32 v36, v38, v39
	v_cvt_pkrtz_f16_f32 v37, v32, v33
	v_mfma_f32_4x4x4_16b_f16 a[0:3], v[34:35], v[30:31], a[0:3] cbsz:4 abid:2
	v_cvt_pk_f32_fp8_e32 v[30:31], v22
	v_cvt_pk_f32_fp8_sdwa v[32:33], v22 src0_sel:WORD_1
	v_mfma_f32_4x4x4_16b_f16 a[0:3], v[34:35], v[36:37], a[0:3] cbsz:4 abid:3
	v_cvt_pk_f32_fp8_e32 v[36:37], v23
	v_cvt_pk_f32_fp8_sdwa v[22:23], v23 src0_sel:WORD_1
	v_cvt_pkrtz_f16_f32 v30, v30, v31
	v_cvt_pkrtz_f16_f32 v31, v32, v33
	v_cvt_pkrtz_f16_f32 v32, v36, v37
	v_cvt_pkrtz_f16_f32 v33, v22, v23
	v_mfma_f32_4x4x4_16b_f16 a[0:3], v[34:35], v[30:31], a[0:3] cbsz:4 abid:4
	;; [unrolled: 10-line block ×3, first 2 shown]
	s_waitcnt vmcnt(4)
	v_cvt_pk_f32_fp8_e32 v[22:23], v26
	v_cvt_pk_f32_fp8_sdwa v[24:25], v26 src0_sel:WORD_1
	v_mfma_f32_4x4x4_16b_f16 a[0:3], v[34:35], v[30:31], a[0:3] cbsz:4 abid:7
	v_cvt_pk_f32_fp8_e32 v[30:31], v27
	v_cvt_pk_f32_fp8_sdwa v[26:27], v27 src0_sel:WORD_1
	v_cvt_pkrtz_f16_f32 v22, v22, v23
	v_cvt_pkrtz_f16_f32 v23, v24, v25
	;; [unrolled: 1-line block ×4, first 2 shown]
	v_mfma_f32_4x4x4_16b_f16 a[0:3], v[34:35], v[22:23], a[0:3] cbsz:4 abid:8
	v_cvt_pk_f32_fp8_e32 v[22:23], v28
	v_cvt_pk_f32_fp8_e32 v[26:27], v29
	v_mfma_f32_4x4x4_16b_f16 a[0:3], v[34:35], v[24:25], a[0:3] cbsz:4 abid:9
	v_cvt_pk_f32_fp8_sdwa v[24:25], v28 src0_sel:WORD_1
	v_cvt_pk_f32_fp8_sdwa v[28:29], v29 src0_sel:WORD_1
	v_cvt_pkrtz_f16_f32 v22, v22, v23
	v_cvt_pkrtz_f16_f32 v23, v24, v25
	;; [unrolled: 1-line block ×3, first 2 shown]
	s_nop 0
	v_mfma_f32_4x4x4_16b_f16 a[0:3], v[34:35], v[22:23], a[0:3] cbsz:4 abid:10
	v_cvt_pkrtz_f16_f32 v25, v28, v29
	v_cvt_pk_f32_fp8_e32 v[22:23], v18
	v_cvt_pk_f32_fp8_e32 v[26:27], v19
	v_mfma_f32_4x4x4_16b_f16 a[0:3], v[34:35], v[24:25], a[0:3] cbsz:4 abid:11
	v_cvt_pk_f32_fp8_sdwa v[24:25], v18 src0_sel:WORD_1
	v_cvt_pk_f32_fp8_sdwa v[18:19], v19 src0_sel:WORD_1
	v_cvt_pkrtz_f16_f32 v22, v22, v23
	v_cvt_pkrtz_f16_f32 v23, v24, v25
	;; [unrolled: 1-line block ×3, first 2 shown]
	s_nop 0
	v_mfma_f32_4x4x4_16b_f16 a[0:3], v[34:35], v[22:23], a[0:3] cbsz:4 abid:12
	v_cvt_pk_f32_fp8_e32 v[18:19], v20
	v_cvt_pk_f32_fp8_sdwa v[22:23], v20 src0_sel:WORD_1
	v_cvt_pkrtz_f16_f32 v24, v26, v27
	v_cvt_pkrtz_f16_f32 v18, v18, v19
	s_nop 0
	v_mfma_f32_4x4x4_16b_f16 a[0:3], v[34:35], v[24:25], a[0:3] cbsz:4 abid:13
	v_cvt_pk_f32_fp8_e32 v[24:25], v21
	v_cvt_pk_f32_fp8_sdwa v[20:21], v21 src0_sel:WORD_1
	v_cvt_pkrtz_f16_f32 v19, v22, v23
	v_cvt_pkrtz_f16_f32 v22, v24, v25
	s_nop 0
	v_mfma_f32_4x4x4_16b_f16 a[0:3], v[34:35], v[18:19], a[0:3] cbsz:4 abid:14
	v_cvt_pkrtz_f16_f32 v23, v20, v21
	v_cvt_pk_f32_fp8_e32 v[24:25], v11
	s_nop 0
	v_mfma_f32_4x4x4_16b_f16 a[0:3], v[34:35], v[22:23], a[0:3] cbsz:4 abid:15
	v_cvt_pk_f32_fp8_sdwa v[22:23], v10 src0_sel:WORD_1
	s_nop 3
	v_accvgpr_read_b32 v19, a1
	v_accvgpr_read_b32 v18, a0
	s_waitcnt lgkmcnt(0)
	v_pk_mul_f32 v[18:19], v[18:19], s[4:5] op_sel_hi:[1,0]
	s_nop 0
	v_cvt_f16_f32_e32 v20, v18
	v_cvt_f16_f32_e32 v21, v19
	v_accvgpr_read_b32 v19, a3
	v_accvgpr_read_b32 v18, a2
	v_pk_mul_f32 v[18:19], v[18:19], s[4:5] op_sel_hi:[1,0]
	v_pack_b32_f16 v20, v20, v21
	v_cvt_f16_f32_e32 v21, v18
	v_cvt_f16_f32_e32 v26, v19
	v_cvt_pk_f32_fp8_e32 v[18:19], v10
	v_cvt_pk_f32_fp8_sdwa v[10:11], v11 src0_sel:WORD_1
	v_pack_b32_f16 v21, v21, v26
	v_cvt_pkrtz_f16_f32 v18, v18, v19
	v_cvt_pkrtz_f16_f32 v19, v22, v23
	;; [unrolled: 1-line block ×4, first 2 shown]
	v_mfma_f32_4x4x4_16b_f16 a[0:3], v[34:35], v[18:19], 0 cbsz:4
	v_cvt_pk_f32_fp8_e32 v[10:11], v12
	v_cvt_pk_f32_fp8_sdwa v[18:19], v12 src0_sel:WORD_1
	v_mfma_f32_4x4x4_16b_f16 a[0:3], v[34:35], v[22:23], a[0:3] cbsz:4 abid:1
	v_cvt_pk_f32_fp8_e32 v[22:23], v13
	v_cvt_pk_f32_fp8_sdwa v[12:13], v13 src0_sel:WORD_1
	v_cvt_pkrtz_f16_f32 v10, v10, v11
	v_cvt_pkrtz_f16_f32 v11, v18, v19
	v_cvt_pkrtz_f16_f32 v18, v22, v23
	v_cvt_pkrtz_f16_f32 v19, v12, v13
	v_mfma_f32_4x4x4_16b_f16 a[0:3], v[34:35], v[10:11], a[0:3] cbsz:4 abid:2
	v_cvt_pk_f32_fp8_e32 v[10:11], v2
	v_cvt_pk_f32_fp8_sdwa v[12:13], v2 src0_sel:WORD_1
	v_mfma_f32_4x4x4_16b_f16 a[0:3], v[34:35], v[18:19], a[0:3] cbsz:4 abid:3
	v_cvt_pk_f32_fp8_e32 v[18:19], v3
	v_cvt_pk_f32_fp8_sdwa v[2:3], v3 src0_sel:WORD_1
	v_cvt_pkrtz_f16_f32 v10, v10, v11
	v_cvt_pkrtz_f16_f32 v11, v12, v13
	v_cvt_pkrtz_f16_f32 v12, v18, v19
	v_cvt_pkrtz_f16_f32 v13, v2, v3
	v_mfma_f32_4x4x4_16b_f16 a[0:3], v[34:35], v[10:11], a[0:3] cbsz:4 abid:4
	;; [unrolled: 10-line block ×3, first 2 shown]
	s_waitcnt vmcnt(2)
	v_cvt_pk_f32_fp8_e32 v[2:3], v14
	v_cvt_pk_f32_fp8_sdwa v[4:5], v14 src0_sel:WORD_1
	v_mfma_f32_4x4x4_16b_f16 a[0:3], v[34:35], v[10:11], a[0:3] cbsz:4 abid:7
	v_cvt_pk_f32_fp8_e32 v[10:11], v15
	v_cvt_pk_f32_fp8_sdwa v[12:13], v15 src0_sel:WORD_1
	v_cvt_pkrtz_f16_f32 v2, v2, v3
	v_cvt_pkrtz_f16_f32 v3, v4, v5
	;; [unrolled: 1-line block ×4, first 2 shown]
	v_mfma_f32_4x4x4_16b_f16 a[0:3], v[34:35], v[2:3], a[0:3] cbsz:4 abid:8
	v_cvt_pk_f32_fp8_e32 v[2:3], v16
	v_cvt_pk_f32_fp8_e32 v[10:11], v17
	v_mfma_f32_4x4x4_16b_f16 a[0:3], v[34:35], v[4:5], a[0:3] cbsz:4 abid:9
	v_cvt_pk_f32_fp8_sdwa v[4:5], v16 src0_sel:WORD_1
	v_cvt_pk_f32_fp8_sdwa v[12:13], v17 src0_sel:WORD_1
	v_cvt_pkrtz_f16_f32 v2, v2, v3
	v_cvt_pkrtz_f16_f32 v3, v4, v5
	v_cvt_pkrtz_f16_f32 v4, v10, v11
	s_nop 0
	v_mfma_f32_4x4x4_16b_f16 a[0:3], v[34:35], v[2:3], a[0:3] cbsz:4 abid:10
	v_cvt_pkrtz_f16_f32 v5, v12, v13
	v_cvt_pk_f32_fp8_e32 v[2:3], v6
	v_cvt_pk_f32_fp8_e32 v[10:11], v7
	v_mfma_f32_4x4x4_16b_f16 a[0:3], v[34:35], v[4:5], a[0:3] cbsz:4 abid:11
	v_cvt_pk_f32_fp8_sdwa v[4:5], v6 src0_sel:WORD_1
	v_cvt_pk_f32_fp8_sdwa v[6:7], v7 src0_sel:WORD_1
	v_cvt_pkrtz_f16_f32 v2, v2, v3
	v_cvt_pkrtz_f16_f32 v3, v4, v5
	v_cvt_pkrtz_f16_f32 v4, v10, v11
	s_nop 0
	v_mfma_f32_4x4x4_16b_f16 a[0:3], v[34:35], v[2:3], a[0:3] cbsz:4 abid:12
	v_cvt_pkrtz_f16_f32 v5, v6, v7
	;; [unrolled: 11-line block ×3, first 2 shown]
	v_mad_u32_u24 v7, v1, 40, v40
	s_nop 0
	v_mfma_f32_4x4x4_16b_f16 a[0:3], v[34:35], v[4:5], a[0:3] cbsz:4 abid:15
	s_nop 4
	v_accvgpr_read_b32 v5, a1
	v_accvgpr_read_b32 v3, a3
	;; [unrolled: 1-line block ×4, first 2 shown]
	v_pk_mul_f32 v[2:3], v[2:3], s[4:5] op_sel_hi:[1,0]
	v_pk_mul_f32 v[4:5], v[4:5], s[4:5] op_sel_hi:[1,0]
	v_cvt_f16_f32_e32 v6, v2
	v_cvt_f16_f32_e32 v4, v4
	;; [unrolled: 1-line block ×4, first 2 shown]
	v_pack_b32_f16 v2, v4, v5
	v_pack_b32_f16 v3, v6, v3
	ds_write2st64_b64 v7, v[20:21], v[2:3] offset1:5
.LBB1011_17:
	s_or_b64 exec, exec, s[2:3]
	v_cmp_gt_u32_e32 vcc, 64, v0
	s_waitcnt lgkmcnt(0)
	s_barrier
	s_and_saveexec_b64 s[2:3], vcc
	s_cbranch_execz .LBB1011_19
; %bb.18:
	s_waitcnt vmcnt(3)
	v_mul_u32_u24_e32 v6, 40, v1
	ds_read2_b64 v[2:5], v6 offset1:1
	ds_read2_b64 v[6:9], v6 offset0:2 offset1:3
	s_lshl_b32 s0, s0, 7
	s_lshl_b64 s[2:3], s[0:1], 1
	s_add_u32 s2, s26, s2
	s_waitcnt lgkmcnt(1)
	v_pk_add_f16 v2, v2, 0
	v_pk_add_f16 v3, v3, 0
	;; [unrolled: 1-line block ×4, first 2 shown]
	s_waitcnt lgkmcnt(0)
	v_pk_add_f16 v2, v2, v6
	v_pk_add_f16 v6, v3, v7
	;; [unrolled: 1-line block ×3, first 2 shown]
	v_mov_b32_e32 v2, 0xa00
	v_mad_u32_u24 v2, v1, 40, v2
	ds_read2_b64 v[2:5], v2 offset1:1
	v_pk_add_f16 v11, v6, v9
	v_mov_b32_e32 v6, 0xa10
	v_mad_u32_u24 v1, v1, 40, v6
	ds_read2_b64 v[6:9], v1 offset1:1
	s_addc_u32 s3, s27, s3
	s_lshl_b32 s0, s24, 7
	s_lshl_b64 s[0:1], s[0:1], 1
	s_waitcnt lgkmcnt(1)
	v_pk_add_f16 v1, v2, 0
	v_pk_add_f16 v2, v3, 0
	s_add_u32 s0, s2, s0
	v_pk_add_f16 v2, v2, v5
	s_addc_u32 s1, s3, s1
	s_lshl_b32 s2, s44, 7
	s_waitcnt lgkmcnt(0)
	v_pk_add_f16 v2, v2, v7
	s_mul_i32 s3, s2, s33
	v_pk_add_f16 v13, v2, v9
	v_or_b32_e32 v2, s3, v0
	v_mov_b32_e32 v3, 0
	s_add_i32 s3, s3, s2
	v_pk_add_f16 v1, v1, v4
	v_lshl_add_u64 v[4:5], v[2:3], 1, s[0:1]
	v_or_b32_e32 v2, s3, v0
	s_add_i32 s3, s3, s2
	v_pk_add_f16 v1, v1, v6
	v_lshl_add_u64 v[6:7], v[2:3], 1, s[0:1]
	v_or_b32_e32 v2, s3, v0
	;; [unrolled: 4-line block ×3, first 2 shown]
	v_lshl_add_u64 v[0:1], v[2:3], 1, s[0:1]
	global_store_short v[4:5], v10, off
	global_store_short_d16_hi v[6:7], v10, off
	global_store_short v[8:9], v11, off
	global_store_short_d16_hi v[0:1], v11, off
	global_store_short v[4:5], v12, off offset:128
	global_store_short_d16_hi v[6:7], v12, off offset:128
	global_store_short v[8:9], v13, off offset:128
	global_store_short_d16_hi v[0:1], v13, off offset:128
.LBB1011_19:
	s_endpgm
.LBB1011_20:
	s_mov_b64 s[8:9], 0
                                        ; implicit-def: $sgpr34_sgpr35
	s_branch .LBB1011_2
	.section	.rodata,"a",@progbits
	.p2align	6, 0x0
	.amdhsa_kernel _Z38paged_attention_ll4mi_QKV_mfma4_kernelIDF16_hLN4vllm18Fp8KVCacheDataTypeE1EhLi32ELi128ELi256ELb1ELi4EEvPKT_PKT0_S7_ifPKiS9_S9_iPKfiiiPfSC_PS2_PT2_iSB_SB_
		.amdhsa_group_segment_fixed_size 5280
		.amdhsa_private_segment_fixed_size 0
		.amdhsa_kernarg_size 400
		.amdhsa_user_sgpr_count 2
		.amdhsa_user_sgpr_dispatch_ptr 0
		.amdhsa_user_sgpr_queue_ptr 0
		.amdhsa_user_sgpr_kernarg_segment_ptr 1
		.amdhsa_user_sgpr_dispatch_id 0
		.amdhsa_user_sgpr_kernarg_preload_length 0
		.amdhsa_user_sgpr_kernarg_preload_offset 0
		.amdhsa_user_sgpr_private_segment_size 0
		.amdhsa_uses_dynamic_stack 0
		.amdhsa_enable_private_segment 0
		.amdhsa_system_sgpr_workgroup_id_x 1
		.amdhsa_system_sgpr_workgroup_id_y 1
		.amdhsa_system_sgpr_workgroup_id_z 1
		.amdhsa_system_sgpr_workgroup_info 0
		.amdhsa_system_vgpr_workitem_id 0
		.amdhsa_next_free_vgpr 92
		.amdhsa_next_free_sgpr 45
		.amdhsa_accum_offset 88
		.amdhsa_reserve_vcc 1
		.amdhsa_float_round_mode_32 0
		.amdhsa_float_round_mode_16_64 0
		.amdhsa_float_denorm_mode_32 3
		.amdhsa_float_denorm_mode_16_64 3
		.amdhsa_dx10_clamp 1
		.amdhsa_ieee_mode 1
		.amdhsa_fp16_overflow 0
		.amdhsa_tg_split 0
		.amdhsa_exception_fp_ieee_invalid_op 0
		.amdhsa_exception_fp_denorm_src 0
		.amdhsa_exception_fp_ieee_div_zero 0
		.amdhsa_exception_fp_ieee_overflow 0
		.amdhsa_exception_fp_ieee_underflow 0
		.amdhsa_exception_fp_ieee_inexact 0
		.amdhsa_exception_int_div_zero 0
	.end_amdhsa_kernel
	.section	.text._Z38paged_attention_ll4mi_QKV_mfma4_kernelIDF16_hLN4vllm18Fp8KVCacheDataTypeE1EhLi32ELi128ELi256ELb1ELi4EEvPKT_PKT0_S7_ifPKiS9_S9_iPKfiiiPfSC_PS2_PT2_iSB_SB_,"axG",@progbits,_Z38paged_attention_ll4mi_QKV_mfma4_kernelIDF16_hLN4vllm18Fp8KVCacheDataTypeE1EhLi32ELi128ELi256ELb1ELi4EEvPKT_PKT0_S7_ifPKiS9_S9_iPKfiiiPfSC_PS2_PT2_iSB_SB_,comdat
.Lfunc_end1011:
	.size	_Z38paged_attention_ll4mi_QKV_mfma4_kernelIDF16_hLN4vllm18Fp8KVCacheDataTypeE1EhLi32ELi128ELi256ELb1ELi4EEvPKT_PKT0_S7_ifPKiS9_S9_iPKfiiiPfSC_PS2_PT2_iSB_SB_, .Lfunc_end1011-_Z38paged_attention_ll4mi_QKV_mfma4_kernelIDF16_hLN4vllm18Fp8KVCacheDataTypeE1EhLi32ELi128ELi256ELb1ELi4EEvPKT_PKT0_S7_ifPKiS9_S9_iPKfiiiPfSC_PS2_PT2_iSB_SB_
                                        ; -- End function
	.section	.AMDGPU.csdata,"",@progbits
; Kernel info:
; codeLenInByte = 5376
; NumSgprs: 51
; NumVgprs: 88
; NumAgprs: 4
; TotalNumVgprs: 92
; ScratchSize: 0
; MemoryBound: 0
; FloatMode: 240
; IeeeMode: 1
; LDSByteSize: 5280 bytes/workgroup (compile time only)
; SGPRBlocks: 6
; VGPRBlocks: 11
; NumSGPRsForWavesPerEU: 51
; NumVGPRsForWavesPerEU: 92
; AccumOffset: 88
; Occupancy: 5
; WaveLimiterHint : 1
; COMPUTE_PGM_RSRC2:SCRATCH_EN: 0
; COMPUTE_PGM_RSRC2:USER_SGPR: 2
; COMPUTE_PGM_RSRC2:TRAP_HANDLER: 0
; COMPUTE_PGM_RSRC2:TGID_X_EN: 1
; COMPUTE_PGM_RSRC2:TGID_Y_EN: 1
; COMPUTE_PGM_RSRC2:TGID_Z_EN: 1
; COMPUTE_PGM_RSRC2:TIDIG_COMP_CNT: 0
; COMPUTE_PGM_RSRC3_GFX90A:ACCUM_OFFSET: 21
; COMPUTE_PGM_RSRC3_GFX90A:TG_SPLIT: 0
	.section	.text._Z39paged_attention_ll4mi_QKV_mfma16_kernelIDF16_hLN4vllm18Fp8KVCacheDataTypeE1EhLi32ELi128ELi256ELb1ELi5EEvPKT_PKT0_S7_ifPKiS9_S9_iPKfiiiPfSC_PS2_PT2_iSB_SB_,"axG",@progbits,_Z39paged_attention_ll4mi_QKV_mfma16_kernelIDF16_hLN4vllm18Fp8KVCacheDataTypeE1EhLi32ELi128ELi256ELb1ELi5EEvPKT_PKT0_S7_ifPKiS9_S9_iPKfiiiPfSC_PS2_PT2_iSB_SB_,comdat
	.protected	_Z39paged_attention_ll4mi_QKV_mfma16_kernelIDF16_hLN4vllm18Fp8KVCacheDataTypeE1EhLi32ELi128ELi256ELb1ELi5EEvPKT_PKT0_S7_ifPKiS9_S9_iPKfiiiPfSC_PS2_PT2_iSB_SB_ ; -- Begin function _Z39paged_attention_ll4mi_QKV_mfma16_kernelIDF16_hLN4vllm18Fp8KVCacheDataTypeE1EhLi32ELi128ELi256ELb1ELi5EEvPKT_PKT0_S7_ifPKiS9_S9_iPKfiiiPfSC_PS2_PT2_iSB_SB_
	.globl	_Z39paged_attention_ll4mi_QKV_mfma16_kernelIDF16_hLN4vllm18Fp8KVCacheDataTypeE1EhLi32ELi128ELi256ELb1ELi5EEvPKT_PKT0_S7_ifPKiS9_S9_iPKfiiiPfSC_PS2_PT2_iSB_SB_
	.p2align	8
	.type	_Z39paged_attention_ll4mi_QKV_mfma16_kernelIDF16_hLN4vllm18Fp8KVCacheDataTypeE1EhLi32ELi128ELi256ELb1ELi5EEvPKT_PKT0_S7_ifPKiS9_S9_iPKfiiiPfSC_PS2_PT2_iSB_SB_,@function
_Z39paged_attention_ll4mi_QKV_mfma16_kernelIDF16_hLN4vllm18Fp8KVCacheDataTypeE1EhLi32ELi128ELi256ELb1ELi5EEvPKT_PKT0_S7_ifPKiS9_S9_iPKfiiiPfSC_PS2_PT2_iSB_SB_: ; @_Z39paged_attention_ll4mi_QKV_mfma16_kernelIDF16_hLN4vllm18Fp8KVCacheDataTypeE1EhLi32ELi128ELi256ELb1ELi5EEvPKT_PKT0_S7_ifPKiS9_S9_iPKfiiiPfSC_PS2_PT2_iSB_SB_
; %bb.0:
	s_load_dwordx2 s[10:11], s[0:1], 0x30
	s_mov_b32 s6, s3
	s_mov_b64 s[8:9], 0
	s_waitcnt lgkmcnt(0)
	s_cmp_lg_u64 s[10:11], 0
	s_cselect_b64 s[12:13], -1, 0
	s_and_b64 vcc, exec, s[12:13]
	s_cbranch_vccz .LBB1012_7
; %bb.1:
	s_add_i32 s14, s2, 1
	s_mov_b32 s15, 0
	s_lshl_b64 s[16:17], s[14:15], 2
	s_add_u32 s16, s10, s16
	s_mov_b32 s3, s15
	s_addc_u32 s17, s11, s17
	s_lshl_b64 s[14:15], s[2:3], 2
	s_add_u32 s14, s10, s14
	s_addc_u32 s15, s11, s15
	s_load_dword s5, s[16:17], 0x0
	s_load_dword s7, s[14:15], 0x0
	s_waitcnt lgkmcnt(0)
	s_sub_i32 s5, s5, s7
	s_cmp_eq_u32 s5, 1
	s_cselect_b64 s[14:15], -1, 0
	s_andn2_b64 vcc, exec, s[8:9]
	s_cbranch_vccnz .LBB1012_3
.LBB1012_2:
	s_mov_b32 s3, 0
	s_mov_b64 s[14:15], -1
.LBB1012_3:
	s_andn2_b64 vcc, exec, s[14:15]
	s_cbranch_vccnz .LBB1012_20
; %bb.4:
	s_load_dwordx2 s[8:9], s[0:1], 0x28
	s_lshl_b64 s[14:15], s[2:3], 2
	s_waitcnt lgkmcnt(0)
	s_add_u32 s8, s8, s14
	s_addc_u32 s9, s9, s15
	s_load_dword s7, s[8:9], 0x0
	s_lshl_b32 s18, s6, 8
	s_waitcnt lgkmcnt(0)
	s_cmp_ge_i32 s18, s7
	s_cbranch_scc1 .LBB1012_20
; %bb.5:
	s_load_dwordx2 s[8:9], s[0:1], 0x20
	s_load_dword s5, s[0:1], 0x38
	s_add_i32 s16, s7, 31
	s_ashr_i32 s17, s16, 31
	v_and_b32_e32 v1, 0xcf, v0
	s_lshr_b32 s17, s17, 27
	v_add_u32_e32 v1, s18, v1
	s_add_i32 s16, s16, s17
	v_ashrrev_i32_e32 v2, 31, v1
	s_ashr_i32 s19, s16, 5
	v_lshrrev_b32_e32 v4, 27, v2
	s_add_i32 s19, s19, -1
	s_waitcnt lgkmcnt(0)
	s_mul_i32 s16, s2, s5
	s_mov_b32 s17, 0
	v_add_u32_e32 v2, v1, v4
	s_lshl_b64 s[16:17], s[16:17], 2
	v_ashrrev_i32_e32 v2, 5, v2
	v_mov_b32_e32 v5, s19
	v_cmp_gt_i32_e32 vcc, s7, v1
	s_add_u32 s8, s8, s16
	s_addc_u32 s9, s9, s17
	v_cndmask_b32_e32 v2, v5, v2, vcc
	v_ashrrev_i32_e32 v3, 31, v2
	v_lshl_add_u64 v[6:7], v[2:3], 2, s[8:9]
	v_or_b32_e32 v2, 16, v1
	v_add_u32_e32 v3, v2, v4
	v_ashrrev_i32_e32 v3, 5, v3
	v_cmp_gt_i32_e32 vcc, s7, v2
	s_load_dwordx2 s[16:17], s[0:1], 0x8
	s_nop 0
	v_cndmask_b32_e32 v2, v5, v3, vcc
	v_ashrrev_i32_e32 v3, 31, v2
	v_lshl_add_u64 v[8:9], v[2:3], 2, s[8:9]
	v_or_b32_e32 v2, 32, v1
	v_add_u32_e32 v3, v2, v4
	v_ashrrev_i32_e32 v3, 5, v3
	v_cmp_gt_i32_e32 vcc, s7, v2
	v_or_b32_e32 v1, 48, v1
	s_nop 0
	v_cndmask_b32_e32 v2, v5, v3, vcc
	v_ashrrev_i32_e32 v3, 31, v2
	v_lshl_add_u64 v[12:13], v[2:3], 2, s[8:9]
	v_add_u32_e32 v2, v1, v4
	v_ashrrev_i32_e32 v2, 5, v2
	v_cmp_gt_i32_e32 vcc, s7, v1
	s_nop 1
	v_cndmask_b32_e32 v2, v5, v2, vcc
	v_ashrrev_i32_e32 v3, 31, v2
	v_lshl_add_u64 v[14:15], v[2:3], 2, s[8:9]
	global_load_dword v4, v[6:7], off
	global_load_dword v3, v[8:9], off
	global_load_dword v2, v[12:13], off
	global_load_dword v10, v[14:15], off
	s_andn2_b64 vcc, exec, s[12:13]
	s_cbranch_vccnz .LBB1012_8
; %bb.6:
	s_add_u32 s10, s10, s14
	s_addc_u32 s11, s11, s15
	s_load_dword s5, s[10:11], 0x0
	s_branch .LBB1012_9
.LBB1012_7:
	s_mov_b64 s[14:15], 0
	s_branch .LBB1012_2
.LBB1012_8:
	s_mov_b32 s5, s2
.LBB1012_9:
	s_load_dwordx2 s[10:11], s[0:1], 0x10
	s_load_dwordx4 s[44:47], s[0:1], 0x48
	v_lshrrev_b32_e32 v57, 6, v0
	v_bfe_u32 v62, v0, 4, 2
	v_and_b32_e32 v56, 15, v0
	v_lshl_or_b32 v5, v57, 2, v62
	v_lshlrev_b32_e32 v1, 3, v56
	s_mul_i32 s48, s4, 5
	v_cmp_gt_u32_e32 vcc, 5, v5
	v_lshlrev_b32_e32 v54, 1, v1
	v_lshlrev_b32_e32 v1, 4, v0
	s_and_saveexec_b64 s[12:13], vcc
	s_cbranch_execz .LBB1012_11
; %bb.10:
	s_load_dwordx2 s[14:15], s[0:1], 0x0
	s_waitcnt lgkmcnt(0)
	s_ashr_i32 s20, s44, 31
	s_mul_hi_u32 s21, s5, s44
	s_mul_i32 s20, s5, s20
	s_add_i32 s21, s21, s20
	s_mul_i32 s20, s5, s44
	s_lshl_b64 s[20:21], s[20:21], 1
	s_add_u32 s14, s14, s20
	v_add_lshl_u32 v6, v5, s48, 7
	s_addc_u32 s15, s15, s21
	v_ashrrev_i32_e32 v7, 31, v6
	v_lshl_add_u64 v[6:7], v[6:7], 1, s[14:15]
	v_mov_b32_e32 v55, 0
	v_lshl_add_u64 v[6:7], v[6:7], 0, v[54:55]
	global_load_dwordx4 v[6:9], v[6:7], off
	v_lshlrev_b32_e32 v12, 8, v0
	v_lshlrev_b32_e32 v11, 8, v56
	v_and_b32_e32 v12, 0x600, v12
	s_movk_i32 s5, 0x800
	v_and_or_b32 v11, v11, s5, v12
	v_lshlrev_b32_e32 v5, 5, v5
	v_and_b32_e32 v12, 16, v1
	v_or3_b32 v5, v11, v5, v12
	s_waitcnt vmcnt(0)
	ds_write_b128 v5, v[6:9]
.LBB1012_11:
	s_or_b64 exec, exec, s[12:13]
	s_waitcnt lgkmcnt(0)
	s_mul_i32 s12, s4, s46
	s_add_u32 s4, s16, s12
	s_addc_u32 s5, s17, 0
	v_mov_b32_e32 v59, 0
	v_mov_b64_e32 v[12:13], s[4:5]
	v_and_b32_e32 v34, 48, v0
	s_waitcnt vmcnt(3)
	v_mad_i64_i32 v[4:5], s[4:5], v4, s45, v[12:13]
	v_lshlrev_b32_e32 v14, 4, v56
	v_mov_b32_e32 v15, v59
	v_lshlrev_b32_e32 v58, 5, v34
	v_lshl_add_u64 v[4:5], v[4:5], 0, v[14:15]
	v_lshl_add_u64 v[4:5], v[4:5], 0, v[58:59]
	s_barrier
	global_load_dwordx4 v[50:53], v[4:5], off
	global_load_dwordx4 v[46:49], v[4:5], off offset:2048
	s_waitcnt vmcnt(4)
	v_mad_i64_i32 v[4:5], s[4:5], v3, s45, v[12:13]
	v_or_b32_e32 v16, 0x100, v14
	v_mov_b32_e32 v17, v59
	s_waitcnt vmcnt(3)
	v_mad_i64_i32 v[2:3], s[4:5], v2, s45, v[12:13]
	v_lshl_add_u64 v[4:5], v[4:5], 0, v[16:17]
	v_lshl_add_u64 v[2:3], v[2:3], 0, v[14:15]
	s_waitcnt vmcnt(2)
	v_mad_i64_i32 v[10:11], s[4:5], v10, s45, v[12:13]
	v_lshl_add_u64 v[4:5], v[4:5], 0, v[58:59]
	v_lshl_add_u64 v[14:15], v[2:3], 0, v[58:59]
	;; [unrolled: 1-line block ×3, first 2 shown]
	global_load_dwordx4 v[36:39], v[4:5], off
	global_load_dwordx4 v[6:9], v[4:5], off offset:2048
	s_nop 0
	global_load_dwordx4 v[2:5], v[14:15], off
	global_load_dwordx4 v[42:45], v[14:15], off offset:2048
	v_lshl_add_u64 v[14:15], v[10:11], 0, v[58:59]
	global_load_dwordx4 v[26:29], v[14:15], off
	global_load_dwordx4 v[10:13], v[14:15], off offset:2048
	v_mul_lo_u16_e32 v14, 52, v56
	v_mov_b32_e32 v15, 5
	v_mul_lo_u16_sdwa v14, v14, v15 dst_sel:DWORD dst_unused:UNUSED_PAD src0_sel:BYTE_1 src1_sel:DWORD
	v_sub_u16_e32 v14, v56, v14
	v_lshlrev_b32_sdwa v14, v15, v14 dst_sel:DWORD dst_unused:UNUSED_PAD src0_sel:DWORD src1_sel:BYTE_0
	v_lshl_add_u32 v14, v62, 9, v14
	ds_read_b128 v[30:33], v14
	ds_read_b128 v[22:25], v14 offset:16
	ds_read_b128 v[18:21], v14 offset:2048
	ds_read_b128 v[14:17], v14 offset:2064
	v_and_b32_e32 v55, 63, v0
	v_cmp_gt_u32_e32 vcc, 5, v56
	v_mov_b32_e32 v63, 0
	s_and_saveexec_b64 s[4:5], vcc
	s_cbranch_execz .LBB1012_13
; %bb.12:
	s_load_dwordx2 s[14:15], s[0:1], 0x40
	v_add_u32_e32 v40, s48, v56
	v_ashrrev_i32_e32 v41, 31, v40
	s_waitcnt lgkmcnt(0)
	v_lshl_add_u64 v[40:41], v[40:41], 2, s[14:15]
	global_load_dword v63, v[40:41], off
.LBB1012_13:
	s_or_b64 exec, exec, s[4:5]
	s_ashr_i32 s4, s18, 31
	v_or_b32_e32 v58, s18, v34
	s_lshr_b32 s4, s4, 27
	v_add_u32_e32 v34, s4, v58
	v_cmp_gt_i32_e32 vcc, s7, v58
	v_or_b32_e32 v40, 64, v58
	v_or_b32_e32 v60, 0x80, v58
	;; [unrolled: 1-line block ×3, first 2 shown]
	v_add_u32_e32 v64, s4, v58
	v_ashrrev_i32_e32 v69, 5, v64
	s_waitcnt vmcnt(7)
	v_cvt_pk_f32_fp8_e32 v[64:65], v50
	v_cvt_pk_f32_fp8_sdwa v[66:67], v50 src0_sel:WORD_1
	v_cvt_pk_f32_fp8_e32 v[70:71], v51
	v_cvt_pk_f32_fp8_sdwa v[50:51], v51 src0_sel:WORD_1
	v_cvt_pkrtz_f16_f32 v64, v64, v65
	v_cvt_pkrtz_f16_f32 v65, v66, v67
	;; [unrolled: 1-line block ×3, first 2 shown]
	v_cvt_pk_f32_fp8_e32 v[72:73], v52
	v_cvt_pk_f32_fp8_sdwa v[74:75], v52 src0_sel:WORD_1
	v_cvt_pkrtz_f16_f32 v71, v50, v51
	s_waitcnt lgkmcnt(3)
	v_mfma_f32_16x16x16_f16 v[64:67], v[64:65], v[30:31], 0
	v_cvt_pkrtz_f16_f32 v72, v72, v73
	v_cvt_pkrtz_f16_f32 v73, v74, v75
	v_cvt_pk_f32_fp8_e32 v[74:75], v53
	v_cvt_pk_f32_fp8_sdwa v[76:77], v53 src0_sel:WORD_1
	v_mfma_f32_16x16x16_f16 v[50:53], v[70:71], v[32:33], v[64:67]
	v_ashrrev_i32_e32 v34, 5, v34
	v_mov_b32_e32 v68, s19
	v_add_u32_e32 v41, s4, v40
	v_cndmask_b32_e32 v34, v68, v34, vcc
	v_ashrrev_i32_e32 v41, 5, v41
	v_cmp_gt_i32_e32 vcc, s7, v40
	v_add_u32_e32 v61, s4, v60
	v_cvt_pkrtz_f16_f32 v64, v74, v75
	v_cvt_pkrtz_f16_f32 v65, v76, v77
	v_cndmask_b32_e32 v40, v68, v41, vcc
	v_ashrrev_i32_e32 v61, 5, v61
	v_cmp_gt_i32_e32 vcc, s7, v60
	s_waitcnt lgkmcnt(2)
	v_mfma_f32_16x16x16_f16 v[50:53], v[72:73], v[22:23], v[50:53]
	s_waitcnt vmcnt(6)
	v_cvt_pk_f32_fp8_e32 v[66:67], v46
	v_cndmask_b32_e32 v60, v68, v61, vcc
	v_cmp_gt_i32_e32 vcc, s7, v58
	v_ashrrev_i32_e32 v35, 31, v34
	v_lshl_add_u64 v[34:35], v[34:35], 2, s[8:9]
	v_cndmask_b32_e32 v68, v68, v69, vcc
	v_ashrrev_i32_e32 v41, 31, v40
	v_ashrrev_i32_e32 v61, 31, v60
	;; [unrolled: 1-line block ×3, first 2 shown]
	v_lshl_add_u64 v[40:41], v[40:41], 2, s[8:9]
	v_lshl_add_u64 v[60:61], v[60:61], 2, s[8:9]
	;; [unrolled: 1-line block ×3, first 2 shown]
	v_mfma_f32_16x16x16_f16 v[50:53], v[64:65], v[24:25], v[50:53]
	v_cvt_pkrtz_f16_f32 v74, v66, v67
	global_load_dword v68, v[34:35], off
	global_load_dword v66, v[40:41], off
	;; [unrolled: 1-line block ×4, first 2 shown]
	v_cvt_pk_f32_fp8_sdwa v[70:71], v46 src0_sel:WORD_1
	v_cvt_pk_f32_fp8_e32 v[40:41], v48
	s_waitcnt vmcnt(9)
	v_cvt_pk_f32_fp8_e32 v[60:61], v36
	s_add_u32 s4, s10, s12
	v_cvt_pkrtz_f16_f32 v75, v70, v71
	v_cvt_pk_f32_fp8_e32 v[70:71], v47
	v_cvt_pk_f32_fp8_sdwa v[46:47], v47 src0_sel:WORD_1
	s_waitcnt lgkmcnt(1)
	v_mfma_f32_16x16x16_f16 v[50:53], v[74:75], v[18:19], v[50:53]
	v_cvt_pkrtz_f16_f32 v34, v70, v71
	v_cvt_pkrtz_f16_f32 v35, v46, v47
	v_cvt_pk_f32_fp8_sdwa v[46:47], v48 src0_sel:WORD_1
	v_cvt_pkrtz_f16_f32 v40, v40, v41
	v_mfma_f32_16x16x16_f16 v[50:53], v[34:35], v[20:21], v[50:53]
	v_cvt_pkrtz_f16_f32 v41, v46, v47
	v_cvt_pk_f32_fp8_e32 v[34:35], v49
	v_cvt_pk_f32_fp8_sdwa v[46:47], v49 src0_sel:WORD_1
	v_cvt_pk_f32_fp8_sdwa v[70:71], v36 src0_sel:WORD_1
	s_addc_u32 s5, s11, 0
	v_cvt_pkrtz_f16_f32 v34, v34, v35
	v_cvt_pkrtz_f16_f32 v35, v46, v47
	s_waitcnt lgkmcnt(0)
	v_mfma_f32_16x16x16_f16 v[46:49], v[40:41], v[14:15], v[50:53]
	v_cvt_pkrtz_f16_f32 v40, v60, v61
	v_cvt_pkrtz_f16_f32 v41, v70, v71
	s_waitcnt vmcnt(8)
	v_cvt_pk_f32_fp8_sdwa v[60:61], v6 src0_sel:WORD_1
	v_cvt_pk_f32_fp8_e32 v[50:51], v37
	v_cvt_pk_f32_fp8_sdwa v[52:53], v37 src0_sel:WORD_1
	v_mfma_f32_16x16x16_f16 v[34:37], v[34:35], v[16:17], v[46:49]
	v_and_b32_e32 v58, 16, v0
	v_cvt_pkrtz_f16_f32 v50, v50, v51
	v_cvt_pkrtz_f16_f32 v51, v52, v53
	v_mfma_f32_16x16x16_f16 v[46:49], v[40:41], v[30:31], 0
	v_cvt_pk_f32_fp8_e32 v[40:41], v38
	v_cvt_pk_f32_fp8_sdwa v[52:53], v38 src0_sel:WORD_1
	v_lshl_or_b32 v64, v57, 4, v56
	v_mfma_f32_16x16x16_f16 v[46:49], v[50:51], v[32:33], v[46:49]
	v_cvt_pk_f32_fp8_e32 v[50:51], v39
	v_cvt_pkrtz_f16_f32 v40, v40, v41
	v_cvt_pkrtz_f16_f32 v41, v52, v53
	v_cvt_pk_f32_fp8_sdwa v[38:39], v39 src0_sel:WORD_1
	v_cvt_pkrtz_f16_f32 v50, v50, v51
	v_cvt_pk_f32_fp8_e32 v[52:53], v6
	s_waitcnt vmcnt(6)
	v_cvt_pk_f32_fp8_e32 v[74:75], v43
	v_cvt_pkrtz_f16_f32 v51, v38, v39
	v_mfma_f32_16x16x16_f16 v[38:41], v[40:41], v[22:23], v[46:49]
	s_nop 2
	v_cvt_pkrtz_f16_f32 v48, v52, v53
	v_cvt_pkrtz_f16_f32 v49, v60, v61
	v_cvt_pk_f32_fp8_e32 v[52:53], v7
	v_cvt_pk_f32_fp8_sdwa v[6:7], v7 src0_sel:WORD_1
	v_mfma_f32_16x16x16_f16 v[38:41], v[50:51], v[24:25], v[38:41]
	v_lshl_add_u64 v[46:47], s[4:5], 0, v[58:59]
	v_cvt_pkrtz_f16_f32 v50, v52, v53
	v_cvt_pkrtz_f16_f32 v51, v6, v7
	v_mfma_f32_16x16x16_f16 v[38:41], v[48:49], v[18:19], v[38:41]
	v_cvt_pk_f32_fp8_e32 v[6:7], v8
	v_cvt_pk_f32_fp8_sdwa v[48:49], v8 src0_sel:WORD_1
	v_cvt_pk_f32_fp8_sdwa v[52:53], v2 src0_sel:WORD_1
	v_mfma_f32_16x16x16_f16 v[38:41], v[50:51], v[20:21], v[38:41]
	v_cvt_pk_f32_fp8_e32 v[50:51], v9
	v_cvt_pkrtz_f16_f32 v6, v6, v7
	v_cvt_pkrtz_f16_f32 v7, v48, v49
	v_cvt_pk_f32_fp8_sdwa v[8:9], v9 src0_sel:WORD_1
	v_cvt_pkrtz_f16_f32 v48, v50, v51
	v_cvt_pk_f32_fp8_e32 v[50:51], v2
	v_lshlrev_b32_e32 v58, 5, v64
	v_cvt_pkrtz_f16_f32 v49, v8, v9
	v_mfma_f32_16x16x16_f16 v[6:9], v[6:7], v[14:15], v[38:41]
	v_cvt_pkrtz_f16_f32 v50, v50, v51
	v_cvt_pkrtz_f16_f32 v51, v52, v53
	v_cvt_pk_f32_fp8_e32 v[52:53], v3
	v_cvt_pk_f32_fp8_sdwa v[2:3], v3 src0_sel:WORD_1
	v_mfma_f32_16x16x16_f16 v[38:41], v[48:49], v[16:17], v[6:9]
	v_lshl_add_u64 v[48:49], v[46:47], 0, v[58:59]
	v_cvt_pkrtz_f16_f32 v52, v52, v53
	v_cvt_pkrtz_f16_f32 v53, v2, v3
	v_mfma_f32_16x16x16_f16 v[6:9], v[50:51], v[30:31], 0
	v_cvt_pk_f32_fp8_e32 v[2:3], v4
	v_cvt_pk_f32_fp8_sdwa v[50:51], v4 src0_sel:WORD_1
	s_waitcnt vmcnt(3)
	v_mad_i64_i32 v[60:61], s[4:5], v68, s45, v[48:49]
	v_cvt_pkrtz_f16_f32 v2, v2, v3
	v_cvt_pkrtz_f16_f32 v3, v50, v51
	v_mfma_f32_16x16x16_f16 v[6:9], v[52:53], v[32:33], v[6:9]
	v_cvt_pk_f32_fp8_e32 v[50:51], v5
	v_cvt_pk_f32_fp8_sdwa v[4:5], v5 src0_sel:WORD_1
	s_waitcnt vmcnt(2)
	v_mad_i64_i32 v[70:71], s[4:5], v66, s45, v[48:49]
	v_cvt_pkrtz_f16_f32 v50, v50, v51
	v_cvt_pkrtz_f16_f32 v51, v4, v5
	v_mfma_f32_16x16x16_f16 v[2:5], v[2:3], v[22:23], v[6:9]
	v_or_b32_e32 v58, 0x800, v58
	s_nop 1
	v_cvt_pk_f32_fp8_e32 v[6:7], v42
	v_cvt_pk_f32_fp8_sdwa v[8:9], v42 src0_sel:WORD_1
	v_cvt_pk_f32_fp8_sdwa v[42:43], v43 src0_sel:WORD_1
	v_mfma_f32_16x16x16_f16 v[50:53], v[50:51], v[24:25], v[2:5]
	v_cvt_pkrtz_f16_f32 v72, v6, v7
	v_cvt_pkrtz_f16_f32 v73, v8, v9
	global_load_dwordx4 v[6:9], v[60:61], off
	global_load_dwordx4 v[2:5], v[70:71], off
	v_cvt_pkrtz_f16_f32 v60, v74, v75
	v_cvt_pkrtz_f16_f32 v61, v42, v43
	v_mfma_f32_16x16x16_f16 v[70:73], v[72:73], v[18:19], v[50:53]
	v_cvt_pk_f32_fp8_e32 v[42:43], v44
	v_cvt_pkrtz_f16_f32 v42, v42, v43
	s_nop 0
	v_cvt_pk_f32_fp8_sdwa v[52:53], v44 src0_sel:WORD_1
	v_mfma_f32_16x16x16_f16 v[70:73], v[60:61], v[20:21], v[70:73]
	v_cvt_pk_f32_fp8_e32 v[60:61], v45
	s_waitcnt vmcnt(3)
	v_mad_i64_i32 v[50:51], s[4:5], v67, s45, v[48:49]
	s_load_dword s4, s[0:1], 0x1c
	s_load_dwordx4 s[40:43], s[0:1], 0x80
	v_cvt_pkrtz_f16_f32 v43, v52, v53
	v_cvt_pkrtz_f16_f32 v74, v60, v61
	v_cvt_pk_f32_fp8_e32 v[52:53], v26
	v_cvt_pk_f32_fp8_sdwa v[60:61], v26 src0_sel:WORD_1
	s_load_dword s33, s[0:1], 0x98
	s_waitcnt lgkmcnt(0)
	s_load_dword s5, s[40:41], 0x0
	v_cvt_pk_f32_fp8_sdwa v[44:45], v45 src0_sel:WORD_1
	v_cvt_pkrtz_f16_f32 v52, v52, v53
	v_cvt_pkrtz_f16_f32 v53, v60, v61
	v_cvt_pk_f32_fp8_e32 v[60:61], v27
	v_cvt_pk_f32_fp8_sdwa v[26:27], v27 src0_sel:WORD_1
	v_cvt_pkrtz_f16_f32 v75, v44, v45
	v_mfma_f32_16x16x16_f16 v[42:45], v[42:43], v[14:15], v[70:73]
	v_cvt_pkrtz_f16_f32 v60, v60, v61
	v_cvt_pkrtz_f16_f32 v61, v26, v27
	v_mov_b32_e32 v26, s4
	v_mfma_f32_16x16x16_f16 v[70:73], v[52:53], v[30:31], 0
	s_waitcnt lgkmcnt(0)
	v_mul_f32_e32 v52, s5, v26
	v_cvt_pk_f32_fp8_e32 v[26:27], v28
	v_cvt_pk_f32_fp8_sdwa v[30:31], v28 src0_sel:WORD_1
	v_mfma_f32_16x16x16_f16 v[70:73], v[60:61], v[32:33], v[70:73]
	v_cvt_pk_f32_fp8_e32 v[32:33], v29
	v_cvt_pk_f32_fp8_sdwa v[28:29], v29 src0_sel:WORD_1
	v_cvt_pkrtz_f16_f32 v26, v26, v27
	v_cvt_pkrtz_f16_f32 v27, v30, v31
	v_mfma_f32_16x16x16_f16 v[42:45], v[74:75], v[16:17], v[42:45]
	v_cvt_pkrtz_f16_f32 v32, v32, v33
	v_cvt_pkrtz_f16_f32 v33, v28, v29
	v_cvt_pk_f32_fp8_e32 v[60:61], v10
	v_cvt_pk_f32_fp8_sdwa v[74:75], v10 src0_sel:WORD_1
	v_mfma_f32_16x16x16_f16 v[26:29], v[26:27], v[22:23], v[70:73]
	v_pk_mul_f32 v[30:31], v[52:53], v[36:37] op_sel_hi:[0,1]
	v_cvt_pkrtz_f16_f32 v36, v60, v61
	v_cvt_pkrtz_f16_f32 v37, v74, v75
	v_cvt_pk_f32_fp8_e32 v[60:61], v11
	v_cvt_pk_f32_fp8_sdwa v[70:71], v11 src0_sel:WORD_1
	v_mfma_f32_16x16x16_f16 v[22:25], v[32:33], v[24:25], v[26:29]
	v_pk_mul_f32 v[10:11], v[52:53], v[34:35] op_sel_hi:[0,1]
	v_cvt_pkrtz_f16_f32 v60, v60, v61
	v_cvt_pkrtz_f16_f32 v61, v70, v71
	v_mfma_f32_16x16x16_f16 v[32:35], v[36:37], v[18:19], v[22:25]
	v_cvt_pk_f32_fp8_e32 v[18:19], v12
	v_cvt_pk_f32_fp8_sdwa v[36:37], v12 src0_sel:WORD_1
	s_waitcnt vmcnt(2)
	v_mad_i64_i32 v[48:49], s[8:9], v65, s45, v[48:49]
	global_load_dwordx4 v[26:29], v[50:51], off
	global_load_dwordx4 v[22:25], v[48:49], off
	v_cvt_pkrtz_f16_f32 v48, v18, v19
	v_cvt_pkrtz_f16_f32 v49, v36, v37
	v_cvt_pk_f32_fp8_e32 v[36:37], v13
	v_cvt_pk_f32_fp8_sdwa v[12:13], v13 src0_sel:WORD_1
	v_mfma_f32_16x16x16_f16 v[18:21], v[60:61], v[20:21], v[32:35]
	v_pk_mul_f32 v[40:41], v[52:53], v[40:41] op_sel_hi:[0,1]
	v_pk_mul_f32 v[42:43], v[52:53], v[42:43] op_sel_hi:[0,1]
	s_mov_b32 s40, 0xff7fffff
	v_cvt_pkrtz_f16_f32 v32, v36, v37
	v_cvt_pkrtz_f16_f32 v33, v12, v13
	v_mfma_f32_16x16x16_f16 v[12:15], v[48:49], v[14:15], v[18:21]
	v_pk_mul_f32 v[48:49], v[52:53], v[38:39] op_sel_hi:[0,1]
	v_pk_mul_f32 v[38:39], v[52:53], v[44:45] op_sel_hi:[0,1]
	v_mfma_f32_16x16x16_f16 v[12:15], v[32:33], v[16:17], v[12:15]
	s_nop 6
	v_pk_mul_f32 v[36:37], v[52:53], v[12:13] op_sel_hi:[0,1]
	v_and_b32_e32 v12, 0xc0, v0
	v_add_u32_e32 v12, s18, v12
	v_lshl_or_b32 v12, v62, 2, v12
	v_or_b32_e32 v13, 1, v12
	v_pk_mul_f32 v[34:35], v[52:53], v[14:15] op_sel_hi:[0,1]
	v_subrev_u32_e32 v14, s7, v13
	v_add_u32_e32 v16, 1, v14
	v_add_u32_e32 v17, 2, v14
	v_cvt_f32_i32_e32 v15, v14
	v_cvt_f32_i32_e32 v16, v16
	;; [unrolled: 1-line block ×3, first 2 shown]
	v_add_u32_e32 v18, 3, v14
	v_fma_f32 v10, v63, v15, v10
	v_fmac_f32_e32 v11, v63, v16
	v_fma_f32 v51, v63, v17, v30
	v_add_u32_e32 v15, 16, v14
	v_add_u32_e32 v16, 17, v14
	v_add_u32_e32 v17, 18, v14
	v_cvt_f32_i32_e32 v18, v18
	v_cvt_f32_i32_e32 v15, v15
	;; [unrolled: 1-line block ×4, first 2 shown]
	v_fmac_f32_e32 v31, v63, v18
	v_add_u32_e32 v18, 19, v14
	v_fma_f32 v48, v63, v15, v48
	v_fmac_f32_e32 v49, v63, v16
	v_fma_f32 v40, v63, v17, v40
	v_add_u32_e32 v15, 32, v14
	v_add_u32_e32 v16, 33, v14
	;; [unrolled: 1-line block ×3, first 2 shown]
	v_cvt_f32_i32_e32 v18, v18
	v_cvt_f32_i32_e32 v15, v15
	;; [unrolled: 1-line block ×4, first 2 shown]
	v_fmac_f32_e32 v41, v63, v18
	v_add_u32_e32 v18, 35, v14
	v_fma_f32 v42, v63, v15, v42
	v_fmac_f32_e32 v43, v63, v16
	v_fma_f32 v38, v63, v17, v38
	v_add_u32_e32 v15, 48, v14
	v_add_u32_e32 v16, 49, v14
	;; [unrolled: 1-line block ×4, first 2 shown]
	v_cvt_f32_i32_e32 v14, v14
	v_cvt_f32_i32_e32 v15, v15
	;; [unrolled: 1-line block ×3, first 2 shown]
	v_cmp_gt_i32_e64 s[8:9], s7, v12
	v_fmac_f32_e32 v35, v63, v14
	v_mov_b32_e32 v14, 0xff7fffff
	v_cmp_gt_i32_e64 s[10:11], s7, v13
	v_fma_f32 v36, v63, v15, v36
	v_cndmask_b32_e64 v15, v14, v10, s[8:9]
	v_cndmask_b32_e64 v13, v14, v11, s[10:11]
	v_fmac_f32_e32 v37, v63, v16
	v_max3_f32 v13, v15, s40, v13
	v_or_b32_e32 v15, 2, v12
	v_or_b32_e32 v16, 3, v12
	v_cmp_gt_i32_e64 s[12:13], s7, v15
	v_cmp_gt_i32_e64 s[14:15], s7, v16
	v_cvt_f32_i32_e32 v18, v18
	v_cndmask_b32_e64 v15, v14, v51, s[12:13]
	v_cndmask_b32_e64 v16, v14, v31, s[14:15]
	v_max3_f32 v13, v13, v15, v16
	v_or_b32_e32 v15, 16, v12
	v_or_b32_e32 v16, 17, v12
	v_cmp_gt_i32_e64 s[16:17], s7, v15
	v_cmp_gt_i32_e64 s[18:19], s7, v16
	v_fmac_f32_e32 v39, v63, v18
	v_cndmask_b32_e64 v15, v14, v48, s[16:17]
	v_cndmask_b32_e64 v16, v14, v49, s[18:19]
	v_max3_f32 v13, v13, v15, v16
	v_or_b32_e32 v15, 18, v12
	v_or_b32_e32 v16, 19, v12
	v_cmp_gt_i32_e64 s[20:21], s7, v15
	v_cmp_gt_i32_e64 s[22:23], s7, v16
	v_cvt_f32_i32_e32 v17, v17
	v_cndmask_b32_e64 v15, v14, v40, s[20:21]
	v_cndmask_b32_e64 v16, v14, v41, s[22:23]
	v_max3_f32 v13, v13, v15, v16
	v_or_b32_e32 v15, 32, v12
	v_or_b32_e32 v16, 33, v12
	v_cmp_gt_i32_e64 s[24:25], s7, v15
	v_cmp_gt_i32_e64 s[26:27], s7, v16
	v_fma_f32 v34, v63, v17, v34
	v_cndmask_b32_e64 v15, v14, v42, s[24:25]
	v_cndmask_b32_e64 v16, v14, v43, s[26:27]
	v_max3_f32 v13, v13, v15, v16
	v_or_b32_e32 v15, 34, v12
	v_or_b32_e32 v16, 35, v12
	v_cmp_gt_i32_e64 s[28:29], s7, v15
	v_cmp_gt_i32_e64 s[30:31], s7, v16
	s_nop 0
	v_cndmask_b32_e64 v15, v14, v38, s[28:29]
	v_cndmask_b32_e64 v16, v14, v39, s[30:31]
	v_max3_f32 v13, v13, v15, v16
	v_or_b32_e32 v15, 48, v12
	v_or_b32_e32 v16, 49, v12
	v_cmp_gt_i32_e64 s[34:35], s7, v15
	v_cmp_gt_i32_e64 s[36:37], s7, v16
	s_nop 0
	v_cndmask_b32_e64 v15, v14, v36, s[34:35]
	v_cndmask_b32_e64 v16, v14, v37, s[36:37]
	v_max3_f32 v13, v13, v15, v16
	v_or_b32_e32 v15, 50, v12
	v_or_b32_e32 v12, 51, v12
	v_cmp_gt_i32_e32 vcc, s7, v15
	v_cmp_gt_i32_e64 s[4:5], s7, v12
	s_nop 0
	v_cndmask_b32_e32 v15, v14, v34, vcc
	v_cndmask_b32_e64 v12, v14, v35, s[4:5]
	v_max3_f32 v16, v13, v15, v12
	v_mbcnt_lo_u32_b32 v12, -1, 0
	v_mbcnt_hi_u32_b32 v17, -1, v12
	v_and_b32_e32 v12, 64, v17
	v_add_u32_e32 v18, 64, v12
	v_xor_b32_e32 v12, 32, v17
	v_cmp_lt_i32_e64 s[38:39], v12, v18
	s_nop 1
	v_cndmask_b32_e64 v12, v17, v12, s[38:39]
	v_lshlrev_b32_e32 v52, 2, v12
	ds_bpermute_b32 v19, v52, v16
	v_lshl_add_u64 v[12:13], v[46:47], 0, v[58:59]
	v_mad_i64_i32 v[14:15], s[38:39], v68, s45, v[12:13]
	s_waitcnt lgkmcnt(0)
	v_max_f32_e32 v19, v19, v19
	v_max_f32_e32 v19, v16, v19
	v_xor_b32_e32 v16, 16, v17
	v_cmp_lt_i32_e64 s[38:39], v16, v18
	s_nop 1
	v_cndmask_b32_e64 v16, v17, v16, s[38:39]
	v_lshlrev_b32_e32 v53, 2, v16
	ds_bpermute_b32 v18, v53, v19
	v_mad_i64_i32 v[16:17], s[38:39], v66, s45, v[12:13]
	v_mad_i64_i32 v[44:45], s[38:39], v67, s45, v[12:13]
	s_waitcnt lgkmcnt(0)
	v_max_f32_e32 v18, v18, v18
	v_max_f32_e32 v50, v19, v18
	v_sub_f32_e32 v10, v10, v50
	v_mul_f32_e32 v10, 0x3fb8aa3b, v10
	v_exp_f32_e32 v18, v10
	v_sub_f32_e32 v10, v11, v50
	v_mul_f32_e32 v10, 0x3fb8aa3b, v10
	v_exp_f32_e32 v19, v10
	v_mad_i64_i32 v[10:11], s[38:39], v65, s45, v[12:13]
	v_sub_f32_e32 v12, v51, v50
	v_mul_f32_e32 v12, 0x3fb8aa3b, v12
	v_cndmask_b32_e64 v46, 0, v18, s[8:9]
	v_cndmask_b32_e64 v47, 0, v19, s[10:11]
	v_sub_f32_e32 v58, v31, v50
	global_load_dwordx4 v[30:33], v[14:15], off
	global_load_dwordx4 v[18:21], v[16:17], off
	v_exp_f32_e32 v51, v12
	global_load_dwordx4 v[14:17], v[44:45], off
	s_nop 0
	global_load_dwordx4 v[10:13], v[10:11], off
	v_sub_f32_e32 v45, v48, v50
	v_sub_f32_e32 v48, v49, v50
	;; [unrolled: 1-line block ×4, first 2 shown]
	v_mul_f32_e32 v44, 0x3fb8aa3b, v58
	v_mul_f32_e32 v45, 0x3fb8aa3b, v45
	;; [unrolled: 1-line block ×5, first 2 shown]
	v_exp_f32_e32 v44, v44
	v_exp_f32_e32 v45, v45
	;; [unrolled: 1-line block ×3, first 2 shown]
	v_cndmask_b32_e64 v48, 0, v51, s[12:13]
	v_exp_f32_e32 v40, v40
	v_exp_f32_e32 v51, v42
	v_sub_f32_e32 v42, v43, v50
	v_mul_f32_e32 v42, 0x3fb8aa3b, v42
	v_cndmask_b32_e64 v49, 0, v44, s[14:15]
	v_cndmask_b32_e64 v44, 0, v45, s[16:17]
	v_cndmask_b32_e64 v45, 0, v58, s[18:19]
	v_sub_f32_e32 v41, v41, v50
	v_exp_f32_e32 v58, v42
	v_cndmask_b32_e64 v42, 0, v40, s[20:21]
	v_cndmask_b32_e64 v40, 0, v51, s[24:25]
	v_add_f32_e32 v51, 0, v46
	v_mul_f32_e32 v41, 0x3fb8aa3b, v41
	v_add_f32_e32 v51, v51, v47
	v_exp_f32_e32 v41, v41
	v_add_f32_e32 v51, v51, v48
	v_sub_f32_e32 v38, v38, v50
	v_add_f32_e32 v51, v51, v49
	v_sub_f32_e32 v39, v39, v50
	v_mul_f32_e32 v38, 0x3fb8aa3b, v38
	v_add_f32_e32 v51, v51, v44
	v_exp_f32_e32 v38, v38
	v_mul_f32_e32 v39, 0x3fb8aa3b, v39
	v_sub_f32_e32 v36, v36, v50
	v_add_f32_e32 v51, v51, v45
	v_cndmask_b32_e64 v43, 0, v41, s[22:23]
	v_exp_f32_e32 v39, v39
	v_mul_f32_e32 v36, 0x3fb8aa3b, v36
	v_sub_f32_e32 v37, v37, v50
	v_add_f32_e32 v51, v51, v42
	v_exp_f32_e32 v36, v36
	v_mul_f32_e32 v37, 0x3fb8aa3b, v37
	v_add_f32_e32 v51, v51, v43
	v_sub_f32_e32 v34, v34, v50
	v_cndmask_b32_e64 v41, 0, v58, s[26:27]
	v_exp_f32_e32 v37, v37
	v_add_f32_e32 v51, v51, v40
	v_mul_f32_e32 v34, 0x3fb8aa3b, v34
	v_sub_f32_e32 v35, v35, v50
	v_cndmask_b32_e64 v38, 0, v38, s[28:29]
	v_add_f32_e32 v51, v51, v41
	v_exp_f32_e32 v34, v34
	v_mul_f32_e32 v35, 0x3fb8aa3b, v35
	v_cndmask_b32_e64 v39, 0, v39, s[30:31]
	v_add_f32_e32 v51, v51, v38
	v_exp_f32_e32 v35, v35
	v_cndmask_b32_e64 v36, 0, v36, s[34:35]
	v_add_f32_e32 v51, v51, v39
	v_cndmask_b32_e64 v37, 0, v37, s[36:37]
	v_add_f32_e32 v51, v51, v36
	v_add_f32_e32 v51, v51, v37
	v_cndmask_b32_e32 v34, 0, v34, vcc
	v_add_f32_e32 v51, v51, v34
	v_cndmask_b32_e64 v35, 0, v35, s[4:5]
	v_add_f32_e32 v51, v51, v35
	ds_bpermute_b32 v52, v52, v51
	v_cmp_gt_u32_e64 s[4:5], 16, v55
	s_waitcnt lgkmcnt(0)
	s_barrier
	v_add_f32_e32 v51, v51, v52
	ds_bpermute_b32 v52, v53, v51
	s_and_saveexec_b64 s[8:9], s[4:5]
	s_cbranch_execz .LBB1012_15
; %bb.14:
	s_waitcnt lgkmcnt(0)
	v_add_f32_e32 v51, v51, v52
	v_lshlrev_b32_e32 v52, 2, v64
	ds_write2st64_b32 v52, v50, v51 offset1:1
.LBB1012_15:
	s_or_b64 exec, exec, s[8:9]
	v_lshlrev_b32_e32 v51, 2, v56
	s_load_dword s7, s[0:1], 0x94
	s_waitcnt lgkmcnt(0)
	s_barrier
	ds_read2_b32 v[52:53], v51 offset1:16
	ds_read2_b32 v[58:59], v51 offset0:32 offset1:48
	ds_read2_b32 v[60:61], v51 offset0:64 offset1:80
	s_mul_i32 s10, s33, 5
	s_waitcnt lgkmcnt(2)
	v_max3_f32 v50, v52, s40, v53
	s_waitcnt lgkmcnt(1)
	v_max3_f32 v50, v50, v58, v59
	v_sub_f32_e32 v52, v52, v50
	v_mul_f32_e32 v52, 0x3fb8aa3b, v52
	v_exp_f32_e32 v55, v52
	v_sub_f32_e32 v52, v53, v50
	v_mul_f32_e32 v52, 0x3fb8aa3b, v52
	v_exp_f32_e32 v63, v52
	;; [unrolled: 3-line block ×3, first 2 shown]
	ds_read2_b32 v[52:53], v51 offset0:96 offset1:112
	v_sub_f32_e32 v51, v59, v50
	v_mul_f32_e32 v51, 0x3fb8aa3b, v51
	v_exp_f32_e32 v59, v51
	s_waitcnt lgkmcnt(1)
	v_fma_f32 v51, v55, v60, 0
	v_fmac_f32_e32 v51, v63, v61
	s_waitcnt lgkmcnt(0)
	v_fmac_f32_e32 v51, v58, v52
	v_fmac_f32_e32 v51, v59, v53
	v_add_f32_e32 v52, 0x358637bd, v51
	v_div_scale_f32 v53, s[8:9], v52, v52, 1.0
	v_rcp_f32_e32 v60, v53
	s_barrier
	v_fma_f32 v61, -v53, v60, 1.0
	v_fmac_f32_e32 v60, v61, v60
	v_div_scale_f32 v61, vcc, 1.0, v52, 1.0
	v_mul_f32_e32 v64, v61, v60
	v_fma_f32 v65, -v53, v64, v61
	v_fmac_f32_e32 v64, v65, v60
	v_fma_f32 v53, -v53, v64, v61
	v_div_fmas_f32 v53, v53, v60, v64
	v_cmp_eq_u32_e32 vcc, 1, v57
	v_div_fixup_f32 v52, v53, v52, 1.0
	s_nop 0
	v_cndmask_b32_e32 v53, v55, v63, vcc
	v_cmp_eq_u32_e32 vcc, 2, v57
	s_nop 1
	v_cndmask_b32_e32 v53, v53, v58, vcc
	v_cmp_eq_u32_e32 vcc, 3, v57
	s_nop 1
	v_cndmask_b32_e32 v53, v53, v59, vcc
	v_mul_f32_e32 v52, v53, v52
	v_pk_mul_f32 v[48:49], v[52:53], v[48:49] op_sel_hi:[0,1]
	v_pk_mul_f32 v[46:47], v[52:53], v[46:47] op_sel_hi:[0,1]
	v_cvt_f16_f32_e32 v53, v48
	v_cvt_f16_f32_e32 v49, v49
	;; [unrolled: 1-line block ×4, first 2 shown]
	v_pk_mul_f32 v[42:43], v[52:53], v[42:43] op_sel_hi:[0,1]
	v_pk_mul_f32 v[44:45], v[52:53], v[44:45] op_sel_hi:[0,1]
	v_pack_b32_f16 v49, v53, v49
	v_cvt_f16_f32_e32 v44, v44
	v_cvt_f16_f32_e32 v45, v45
	;; [unrolled: 1-line block ×4, first 2 shown]
	v_pack_b32_f16 v48, v46, v47
	v_lshlrev_b32_e32 v47, 3, v62
	v_lshlrev_b32_e32 v46, 5, v56
	;; [unrolled: 1-line block ×3, first 2 shown]
	v_or3_b32 v55, v42, v46, v47
	v_pack_b32_f16 v42, v44, v45
	v_pack_b32_f16 v43, v53, v43
	v_pk_mul_f32 v[38:39], v[52:53], v[38:39] op_sel_hi:[0,1]
	v_pk_mul_f32 v[40:41], v[52:53], v[40:41] op_sel_hi:[0,1]
	;; [unrolled: 1-line block ×4, first 2 shown]
	ds_write2st64_b64 v55, v[48:49], v[42:43] offset1:1
	v_cvt_f16_f32_e32 v40, v40
	v_cvt_f16_f32_e32 v41, v41
	;; [unrolled: 1-line block ×8, first 2 shown]
	v_pack_b32_f16 v34, v40, v41
	v_pack_b32_f16 v35, v38, v39
	v_pack_b32_f16 v36, v36, v37
	v_pack_b32_f16 v37, v42, v43
	v_cmp_gt_u32_e32 vcc, 5, v0
	ds_write2st64_b64 v55, v[34:35], v[36:37] offset0:2 offset1:3
	s_and_saveexec_b64 s[8:9], vcc
	s_cbranch_execz .LBB1012_17
; %bb.16:
	s_mov_b32 s49, 0
	v_mov_b32_e32 v57, 0
	v_lshl_add_u64 v[34:35], s[48:49], 0, v[56:57]
	v_mov_b32_e32 v36, s10
	v_mad_u64_u32 v[34:35], s[16:17], s2, v36, v[34:35]
	s_mul_i32 s3, s3, s10
	v_mov_b32_e32 v36, s6
	v_mov_b32_e32 v37, v57
	s_load_dwordx4 s[12:15], s[0:1], 0x58
	v_add_u32_e32 v38, s3, v35
	v_mad_u64_u32 v[34:35], s[16:17], v34, s7, v[36:37]
	v_mov_b32_e32 v36, v35
	v_mad_u64_u32 v[36:37], s[16:17], v38, s7, v[36:37]
	v_mov_b32_e32 v35, v36
	v_lshlrev_b64 v[34:35], 2, v[34:35]
	s_waitcnt lgkmcnt(0)
	v_lshl_add_u64 v[36:37], s[14:15], 0, v[34:35]
	v_lshl_add_u64 v[34:35], s[12:13], 0, v[34:35]
	global_store_dword v[36:37], v50, off
	global_store_dword v[34:35], v51, off
.LBB1012_17:
	s_or_b64 exec, exec, s[8:9]
	s_waitcnt vmcnt(7)
	v_cvt_pk_f32_fp8_e32 v[34:35], v6
	v_cvt_pk_f32_fp8_sdwa v[36:37], v6 src0_sel:WORD_1
	v_lshl_or_b32 v50, v62, 9, v46
	s_waitcnt lgkmcnt(0)
	s_barrier
	v_cvt_pk_f32_fp8_e32 v[38:39], v7
	v_cvt_pkrtz_f16_f32 v6, v34, v35
	v_cvt_pk_f32_fp8_sdwa v[40:41], v7 src0_sel:WORD_1
	v_cvt_pkrtz_f16_f32 v7, v36, v37
	ds_read_b128 v[34:37], v50
	v_cvt_pkrtz_f16_f32 v46, v38, v39
	v_cvt_pkrtz_f16_f32 v47, v40, v41
	ds_read_b128 v[38:41], v50 offset:16
	v_cvt_pk_f32_fp8_e32 v[48:49], v8
	v_cvt_pk_f32_fp8_sdwa v[52:53], v8 src0_sel:WORD_1
	s_waitcnt lgkmcnt(1)
	v_mfma_f32_16x16x16_f16 v[42:45], v[6:7], v[34:35], 0
	s_waitcnt vmcnt(6)
	v_cvt_pk_f32_fp8_e32 v[58:59], v4
	v_cvt_pkrtz_f16_f32 v6, v48, v49
	v_cvt_pkrtz_f16_f32 v7, v52, v53
	v_cvt_pk_f32_fp8_e32 v[48:49], v9
	v_mfma_f32_16x16x16_f16 v[42:45], v[46:47], v[36:37], v[42:45]
	v_cvt_pk_f32_fp8_sdwa v[46:47], v9 src0_sel:WORD_1
	v_cvt_pk_f32_fp8_sdwa v[60:61], v4 src0_sel:WORD_1
	v_cvt_pkrtz_f16_f32 v48, v48, v49
	s_waitcnt lgkmcnt(0)
	v_mfma_f32_16x16x16_f16 v[6:9], v[6:7], v[38:39], v[42:45]
	v_cvt_pkrtz_f16_f32 v49, v46, v47
	s_waitcnt vmcnt(5)
	v_cvt_pk_f32_fp8_e32 v[64:65], v28
	v_cvt_pk_f32_fp8_sdwa v[66:67], v28 src0_sel:WORD_1
	v_cvt_pk_f32_fp8_e32 v[42:43], v2
	v_mfma_f32_16x16x16_f16 v[46:49], v[48:49], v[40:41], v[6:9]
	s_waitcnt vmcnt(4)
	v_cvt_pk_f32_fp8_sdwa v[68:69], v24 src0_sel:WORD_1
	s_load_dword s8, s[42:43], 0x0
	v_cvt_pk_f32_fp8_sdwa v[6:7], v2 src0_sel:WORD_1
	v_cvt_pk_f32_fp8_e32 v[8:9], v3
	v_cvt_pkrtz_f16_f32 v2, v42, v43
	v_cvt_pk_f32_fp8_sdwa v[42:43], v3 src0_sel:WORD_1
	v_cvt_pkrtz_f16_f32 v3, v6, v7
	v_cvt_pkrtz_f16_f32 v52, v8, v9
	ds_read_b128 v[6:9], v50 offset:2048
	v_cvt_pkrtz_f16_f32 v53, v42, v43
	ds_read_b128 v[42:45], v50 offset:2064
	s_waitcnt lgkmcnt(0)
	v_mfma_f32_16x16x16_f16 v[46:49], v[2:3], v[6:7], v[46:49]
	v_cvt_pkrtz_f16_f32 v2, v58, v59
	v_cvt_pkrtz_f16_f32 v3, v60, v61
	v_cvt_pk_f32_fp8_e32 v[58:59], v5
	v_mfma_f32_16x16x16_f16 v[46:49], v[52:53], v[8:9], v[46:49]
	v_cvt_pk_f32_fp8_sdwa v[52:53], v5 src0_sel:WORD_1
	s_mov_b32 s3, 0
	v_cvt_pkrtz_f16_f32 v58, v58, v59
	v_mfma_f32_16x16x16_f16 v[2:5], v[2:3], v[42:43], v[46:49]
	v_cvt_pkrtz_f16_f32 v59, v52, v53
	v_cmp_gt_u32_e32 vcc, 64, v0
	s_nop 0
	v_cvt_pk_f32_fp8_e32 v[46:47], v26
	v_mfma_f32_16x16x16_f16 v[58:61], v[58:59], v[44:45], v[2:5]
	s_nop 2
	v_cvt_pk_f32_fp8_sdwa v[2:3], v26 src0_sel:WORD_1
	v_cvt_pk_f32_fp8_e32 v[4:5], v27
	v_cvt_pkrtz_f16_f32 v26, v46, v47
	v_cvt_pk_f32_fp8_sdwa v[46:47], v27 src0_sel:WORD_1
	v_cvt_pkrtz_f16_f32 v27, v2, v3
	v_cvt_pkrtz_f16_f32 v52, v4, v5
	ds_read_b128 v[2:5], v50 offset:4096
	v_cvt_pkrtz_f16_f32 v53, v46, v47
	ds_read_b128 v[46:49], v50 offset:4112
	s_waitcnt lgkmcnt(1)
	v_mfma_f32_16x16x16_f16 v[58:61], v[26:27], v[2:3], v[58:61]
	v_cvt_pkrtz_f16_f32 v26, v64, v65
	v_cvt_pkrtz_f16_f32 v27, v66, v67
	v_cvt_pk_f32_fp8_e32 v[64:65], v29
	v_mfma_f32_16x16x16_f16 v[58:61], v[52:53], v[4:5], v[58:61]
	v_cvt_pk_f32_fp8_sdwa v[52:53], v29 src0_sel:WORD_1
	v_cvt_pk_f32_fp8_e32 v[66:67], v24
	v_cvt_pkrtz_f16_f32 v64, v64, v65
	s_waitcnt lgkmcnt(0)
	v_mfma_f32_16x16x16_f16 v[26:29], v[26:27], v[46:47], v[58:61]
	v_cvt_pkrtz_f16_f32 v65, v52, v53
	v_cvt_pk_f32_fp8_e32 v[52:53], v22
	s_nop 0
	v_mfma_f32_16x16x16_f16 v[58:61], v[64:65], v[48:49], v[26:29]
	s_nop 2
	v_cvt_pk_f32_fp8_sdwa v[26:27], v22 src0_sel:WORD_1
	v_cvt_pk_f32_fp8_e32 v[28:29], v23
	v_cvt_pkrtz_f16_f32 v22, v52, v53
	v_cvt_pk_f32_fp8_sdwa v[52:53], v23 src0_sel:WORD_1
	v_cvt_pkrtz_f16_f32 v23, v26, v27
	v_cvt_pkrtz_f16_f32 v64, v28, v29
	ds_read_b128 v[26:29], v50 offset:6144
	v_cvt_pkrtz_f16_f32 v65, v52, v53
	s_waitcnt lgkmcnt(0)
	v_mfma_f32_16x16x16_f16 v[58:61], v[22:23], v[26:27], v[58:61]
	ds_read_b128 v[50:53], v50 offset:6160
	v_cvt_pkrtz_f16_f32 v22, v66, v67
	v_cvt_pkrtz_f16_f32 v23, v68, v69
	v_mfma_f32_16x16x16_f16 v[58:61], v[64:65], v[28:29], v[58:61]
	v_cvt_pk_f32_fp8_e32 v[66:67], v25
	v_cvt_pk_f32_fp8_sdwa v[64:65], v25 src0_sel:WORD_1
	s_waitcnt vmcnt(3)
	v_cvt_pk_f32_fp8_sdwa v[68:69], v32 src0_sel:WORD_1
	s_waitcnt lgkmcnt(0)
	v_mfma_f32_16x16x16_f16 v[22:25], v[22:23], v[50:51], v[58:61]
	v_cvt_pkrtz_f16_f32 v66, v66, v67
	v_cvt_pkrtz_f16_f32 v67, v64, v65
	v_cvt_pk_f32_fp8_e32 v[64:65], v31
	v_cvt_pk_f32_fp8_e32 v[58:59], v30
	v_cvt_pk_f32_fp8_sdwa v[60:61], v30 src0_sel:WORD_1
	v_cvt_pk_f32_fp8_sdwa v[30:31], v31 src0_sel:WORD_1
	v_mfma_f32_16x16x16_f16 v[22:25], v[66:67], v[52:53], v[22:25]
	v_cvt_pkrtz_f16_f32 v58, v58, v59
	v_cvt_pkrtz_f16_f32 v59, v60, v61
	;; [unrolled: 1-line block ×3, first 2 shown]
	v_cvt_pk_f32_fp8_e32 v[66:67], v32
	v_cvt_pkrtz_f16_f32 v65, v30, v31
	v_mfma_f32_16x16x16_f16 v[58:61], v[58:59], v[34:35], 0
	v_cvt_pkrtz_f16_f32 v30, v66, v67
	v_cvt_pkrtz_f16_f32 v31, v68, v69
	v_cvt_pk_f32_fp8_e32 v[66:67], v33
	v_mfma_f32_16x16x16_f16 v[34:37], v[64:65], v[36:37], v[58:61]
	s_barrier
	s_nop 1
	v_cvt_pk_f32_fp8_sdwa v[58:59], v33 src0_sel:WORD_1
	v_cvt_pkrtz_f16_f32 v60, v66, v67
	v_mfma_f32_16x16x16_f16 v[30:33], v[30:31], v[38:39], v[34:37]
	s_waitcnt vmcnt(2)
	v_cvt_pk_f32_fp8_e32 v[38:39], v19
	v_cvt_pkrtz_f16_f32 v61, v58, v59
	v_cvt_pk_f32_fp8_e32 v[34:35], v18
	v_cvt_pk_f32_fp8_sdwa v[36:37], v18 src0_sel:WORD_1
	v_cvt_pk_f32_fp8_sdwa v[18:19], v19 src0_sel:WORD_1
	v_mfma_f32_16x16x16_f16 v[30:33], v[60:61], v[40:41], v[30:33]
	v_cvt_pkrtz_f16_f32 v34, v34, v35
	v_cvt_pkrtz_f16_f32 v35, v36, v37
	;; [unrolled: 1-line block ×3, first 2 shown]
	v_cvt_pk_f32_fp8_e32 v[38:39], v20
	v_cvt_pk_f32_fp8_sdwa v[40:41], v20 src0_sel:WORD_1
	v_cvt_pkrtz_f16_f32 v37, v18, v19
	v_mfma_f32_16x16x16_f16 v[30:33], v[34:35], v[6:7], v[30:33]
	v_cvt_pkrtz_f16_f32 v18, v38, v39
	v_cvt_pkrtz_f16_f32 v19, v40, v41
	v_cvt_pk_f32_fp8_e32 v[34:35], v21
	v_cvt_pk_f32_fp8_sdwa v[20:21], v21 src0_sel:WORD_1
	v_mfma_f32_16x16x16_f16 v[6:9], v[36:37], v[8:9], v[30:33]
	s_nop 2
	v_cvt_pkrtz_f16_f32 v30, v34, v35
	v_cvt_pkrtz_f16_f32 v31, v20, v21
	v_mfma_f32_16x16x16_f16 v[6:9], v[18:19], v[42:43], v[6:9]
	s_waitcnt vmcnt(1)
	v_cvt_pk_f32_fp8_e32 v[18:19], v14
	v_cvt_pk_f32_fp8_sdwa v[20:21], v14 src0_sel:WORD_1
	v_cvt_pk_f32_fp8_sdwa v[32:33], v16 src0_sel:WORD_1
	v_mfma_f32_16x16x16_f16 v[6:9], v[30:31], v[44:45], v[6:9]
	v_cvt_pk_f32_fp8_e32 v[30:31], v15
	v_cvt_pkrtz_f16_f32 v18, v18, v19
	v_cvt_pkrtz_f16_f32 v19, v20, v21
	v_cvt_pk_f32_fp8_sdwa v[14:15], v15 src0_sel:WORD_1
	v_cvt_pkrtz_f16_f32 v20, v30, v31
	v_cvt_pk_f32_fp8_e32 v[30:31], v16
	v_mfma_f32_16x16x16_f16 v[6:9], v[18:19], v[2:3], v[6:9]
	v_cvt_pkrtz_f16_f32 v21, v14, v15
	v_cvt_pkrtz_f16_f32 v14, v30, v31
	;; [unrolled: 1-line block ×3, first 2 shown]
	v_cvt_pk_f32_fp8_e32 v[18:19], v17
	v_cvt_pk_f32_fp8_sdwa v[16:17], v17 src0_sel:WORD_1
	v_mfma_f32_16x16x16_f16 v[2:5], v[20:21], v[4:5], v[6:9]
	s_waitcnt vmcnt(0)
	v_cvt_pk_f32_fp8_sdwa v[20:21], v12 src0_sel:WORD_1
	s_nop 0
	v_cvt_pkrtz_f16_f32 v8, v18, v19
	v_cvt_pkrtz_f16_f32 v9, v16, v17
	v_mfma_f32_16x16x16_f16 v[2:5], v[14:15], v[46:47], v[2:5]
	v_cvt_pk_f32_fp8_e32 v[16:17], v10
	v_cvt_pk_f32_fp8_sdwa v[18:19], v10 src0_sel:WORD_1
	v_pk_mul_f32 v[6:7], v[24:25], s[8:9] op_sel_hi:[1,0]
	v_mfma_f32_16x16x16_f16 v[2:5], v[8:9], v[48:49], v[2:5]
	v_cvt_pk_f32_fp8_e32 v[8:9], v11
	v_cvt_pkrtz_f16_f32 v16, v16, v17
	v_cvt_pkrtz_f16_f32 v17, v18, v19
	v_cvt_pk_f32_fp8_sdwa v[10:11], v11 src0_sel:WORD_1
	v_cvt_pkrtz_f16_f32 v8, v8, v9
	v_cvt_pk_f32_fp8_e32 v[18:19], v12
	v_mfma_f32_16x16x16_f16 v[2:5], v[16:17], v[26:27], v[2:5]
	v_cvt_pkrtz_f16_f32 v9, v10, v11
	v_cvt_pkrtz_f16_f32 v10, v18, v19
	;; [unrolled: 1-line block ×3, first 2 shown]
	v_cvt_pk_f32_fp8_e32 v[16:17], v13
	v_cvt_pk_f32_fp8_sdwa v[12:13], v13 src0_sel:WORD_1
	v_mfma_f32_16x16x16_f16 v[2:5], v[8:9], v[28:29], v[2:5]
	v_pk_mul_f32 v[14:15], v[22:23], s[8:9] op_sel_hi:[1,0]
	v_cvt_pkrtz_f16_f32 v8, v16, v17
	v_cvt_pkrtz_f16_f32 v9, v12, v13
	v_mfma_f32_16x16x16_f16 v[2:5], v[10:11], v[50:51], v[2:5]
	v_cvt_f16_f32_e32 v14, v14
	v_cvt_f16_f32_e32 v10, v15
	v_cvt_f16_f32_e32 v6, v6
	v_mfma_f32_16x16x16_f16 v[2:5], v[8:9], v[52:53], v[2:5]
	v_cvt_f16_f32_e32 v7, v7
	s_nop 5
	v_pk_mul_f32 v[4:5], v[4:5], s[8:9] op_sel_hi:[1,0]
	v_pk_mul_f32 v[2:3], v[2:3], s[8:9] op_sel_hi:[1,0]
	v_cvt_f16_f32_e32 v11, v4
	v_cvt_f16_f32_e32 v8, v2
	;; [unrolled: 1-line block ×4, first 2 shown]
	v_pack_b32_f16 v2, v14, v10
	v_pack_b32_f16 v3, v6, v7
	;; [unrolled: 1-line block ×4, first 2 shown]
	ds_write2st64_b64 v55, v[2:3], v[4:5] offset1:1
	s_waitcnt lgkmcnt(0)
	s_barrier
	s_and_saveexec_b64 s[8:9], vcc
	s_cbranch_execz .LBB1012_20
; %bb.18:
	s_load_dwordx2 s[8:9], s[0:1], 0x68
	s_lshl_b32 s0, s7, 7
	s_mul_i32 s1, s10, s2
	v_lshlrev_b32_e32 v3, 6, v56
	s_mul_hi_u32 s11, s1, s0
	s_mul_i32 s10, s1, s0
	v_lshl_or_b32 v0, v0, 10, v3
	s_lshl_b64 s[10:11], s[10:11], 1
	v_lshlrev_b32_e32 v2, 5, v62
	v_and_b32_e32 v1, 16, v1
	v_and_b32_e32 v0, 0x1a00, v0
	s_waitcnt lgkmcnt(0)
	s_add_u32 s1, s8, s10
	v_or3_b32 v2, v0, v2, v1
	s_addc_u32 s7, s9, s11
	s_lshl_b32 s2, s6, 7
	s_lshl_b64 s[2:3], s[2:3], 1
	ds_read_b128 v[4:7], v2
	s_add_u32 s2, s1, s2
	s_addc_u32 s3, s7, s3
	v_mov_b32_e32 v55, 0
	v_add_u32_e32 v3, s48, v62
	v_lshl_add_u64 v[0:1], s[2:3], 0, v[54:55]
	v_mad_u64_u32 v[8:9], s[2:3], v3, s0, 0
	v_lshl_add_u64 v[8:9], v[8:9], 1, v[0:1]
	s_waitcnt lgkmcnt(0)
	global_store_dwordx4 v[8:9], v[4:7], off
	s_and_b64 exec, exec, s[4:5]
	s_cbranch_execz .LBB1012_20
; %bb.19:
	ds_read_b128 v[2:5], v2 offset:128
	v_add3_u32 v6, s48, v62, 4
	v_mad_u64_u32 v[6:7], s[0:1], v6, s0, 0
	v_lshl_add_u64 v[0:1], v[6:7], 1, v[0:1]
	s_waitcnt lgkmcnt(0)
	global_store_dwordx4 v[0:1], v[2:5], off
.LBB1012_20:
	s_endpgm
	.section	.rodata,"a",@progbits
	.p2align	6, 0x0
	.amdhsa_kernel _Z39paged_attention_ll4mi_QKV_mfma16_kernelIDF16_hLN4vllm18Fp8KVCacheDataTypeE1EhLi32ELi128ELi256ELb1ELi5EEvPKT_PKT0_S7_ifPKiS9_S9_iPKfiiiPfSC_PS2_PT2_iSB_SB_
		.amdhsa_group_segment_fixed_size 8192
		.amdhsa_private_segment_fixed_size 0
		.amdhsa_kernarg_size 400
		.amdhsa_user_sgpr_count 2
		.amdhsa_user_sgpr_dispatch_ptr 0
		.amdhsa_user_sgpr_queue_ptr 0
		.amdhsa_user_sgpr_kernarg_segment_ptr 1
		.amdhsa_user_sgpr_dispatch_id 0
		.amdhsa_user_sgpr_kernarg_preload_length 0
		.amdhsa_user_sgpr_kernarg_preload_offset 0
		.amdhsa_user_sgpr_private_segment_size 0
		.amdhsa_uses_dynamic_stack 0
		.amdhsa_enable_private_segment 0
		.amdhsa_system_sgpr_workgroup_id_x 1
		.amdhsa_system_sgpr_workgroup_id_y 1
		.amdhsa_system_sgpr_workgroup_id_z 1
		.amdhsa_system_sgpr_workgroup_info 0
		.amdhsa_system_vgpr_workitem_id 0
		.amdhsa_next_free_vgpr 78
		.amdhsa_next_free_sgpr 50
		.amdhsa_accum_offset 80
		.amdhsa_reserve_vcc 1
		.amdhsa_float_round_mode_32 0
		.amdhsa_float_round_mode_16_64 0
		.amdhsa_float_denorm_mode_32 3
		.amdhsa_float_denorm_mode_16_64 3
		.amdhsa_dx10_clamp 1
		.amdhsa_ieee_mode 1
		.amdhsa_fp16_overflow 0
		.amdhsa_tg_split 0
		.amdhsa_exception_fp_ieee_invalid_op 0
		.amdhsa_exception_fp_denorm_src 0
		.amdhsa_exception_fp_ieee_div_zero 0
		.amdhsa_exception_fp_ieee_overflow 0
		.amdhsa_exception_fp_ieee_underflow 0
		.amdhsa_exception_fp_ieee_inexact 0
		.amdhsa_exception_int_div_zero 0
	.end_amdhsa_kernel
	.section	.text._Z39paged_attention_ll4mi_QKV_mfma16_kernelIDF16_hLN4vllm18Fp8KVCacheDataTypeE1EhLi32ELi128ELi256ELb1ELi5EEvPKT_PKT0_S7_ifPKiS9_S9_iPKfiiiPfSC_PS2_PT2_iSB_SB_,"axG",@progbits,_Z39paged_attention_ll4mi_QKV_mfma16_kernelIDF16_hLN4vllm18Fp8KVCacheDataTypeE1EhLi32ELi128ELi256ELb1ELi5EEvPKT_PKT0_S7_ifPKiS9_S9_iPKfiiiPfSC_PS2_PT2_iSB_SB_,comdat
.Lfunc_end1012:
	.size	_Z39paged_attention_ll4mi_QKV_mfma16_kernelIDF16_hLN4vllm18Fp8KVCacheDataTypeE1EhLi32ELi128ELi256ELb1ELi5EEvPKT_PKT0_S7_ifPKiS9_S9_iPKfiiiPfSC_PS2_PT2_iSB_SB_, .Lfunc_end1012-_Z39paged_attention_ll4mi_QKV_mfma16_kernelIDF16_hLN4vllm18Fp8KVCacheDataTypeE1EhLi32ELi128ELi256ELb1ELi5EEvPKT_PKT0_S7_ifPKiS9_S9_iPKfiiiPfSC_PS2_PT2_iSB_SB_
                                        ; -- End function
	.section	.AMDGPU.csdata,"",@progbits
; Kernel info:
; codeLenInByte = 6356
; NumSgprs: 56
; NumVgprs: 78
; NumAgprs: 0
; TotalNumVgprs: 78
; ScratchSize: 0
; MemoryBound: 0
; FloatMode: 240
; IeeeMode: 1
; LDSByteSize: 8192 bytes/workgroup (compile time only)
; SGPRBlocks: 6
; VGPRBlocks: 9
; NumSGPRsForWavesPerEU: 56
; NumVGPRsForWavesPerEU: 78
; AccumOffset: 80
; Occupancy: 6
; WaveLimiterHint : 1
; COMPUTE_PGM_RSRC2:SCRATCH_EN: 0
; COMPUTE_PGM_RSRC2:USER_SGPR: 2
; COMPUTE_PGM_RSRC2:TRAP_HANDLER: 0
; COMPUTE_PGM_RSRC2:TGID_X_EN: 1
; COMPUTE_PGM_RSRC2:TGID_Y_EN: 1
; COMPUTE_PGM_RSRC2:TGID_Z_EN: 1
; COMPUTE_PGM_RSRC2:TIDIG_COMP_CNT: 0
; COMPUTE_PGM_RSRC3_GFX90A:ACCUM_OFFSET: 19
; COMPUTE_PGM_RSRC3_GFX90A:TG_SPLIT: 0
	.section	.text._Z39paged_attention_ll4mi_QKV_mfma16_kernelIDF16_hLN4vllm18Fp8KVCacheDataTypeE1EhLi32ELi128ELi256ELb1ELi6EEvPKT_PKT0_S7_ifPKiS9_S9_iPKfiiiPfSC_PS2_PT2_iSB_SB_,"axG",@progbits,_Z39paged_attention_ll4mi_QKV_mfma16_kernelIDF16_hLN4vllm18Fp8KVCacheDataTypeE1EhLi32ELi128ELi256ELb1ELi6EEvPKT_PKT0_S7_ifPKiS9_S9_iPKfiiiPfSC_PS2_PT2_iSB_SB_,comdat
	.protected	_Z39paged_attention_ll4mi_QKV_mfma16_kernelIDF16_hLN4vllm18Fp8KVCacheDataTypeE1EhLi32ELi128ELi256ELb1ELi6EEvPKT_PKT0_S7_ifPKiS9_S9_iPKfiiiPfSC_PS2_PT2_iSB_SB_ ; -- Begin function _Z39paged_attention_ll4mi_QKV_mfma16_kernelIDF16_hLN4vllm18Fp8KVCacheDataTypeE1EhLi32ELi128ELi256ELb1ELi6EEvPKT_PKT0_S7_ifPKiS9_S9_iPKfiiiPfSC_PS2_PT2_iSB_SB_
	.globl	_Z39paged_attention_ll4mi_QKV_mfma16_kernelIDF16_hLN4vllm18Fp8KVCacheDataTypeE1EhLi32ELi128ELi256ELb1ELi6EEvPKT_PKT0_S7_ifPKiS9_S9_iPKfiiiPfSC_PS2_PT2_iSB_SB_
	.p2align	8
	.type	_Z39paged_attention_ll4mi_QKV_mfma16_kernelIDF16_hLN4vllm18Fp8KVCacheDataTypeE1EhLi32ELi128ELi256ELb1ELi6EEvPKT_PKT0_S7_ifPKiS9_S9_iPKfiiiPfSC_PS2_PT2_iSB_SB_,@function
_Z39paged_attention_ll4mi_QKV_mfma16_kernelIDF16_hLN4vllm18Fp8KVCacheDataTypeE1EhLi32ELi128ELi256ELb1ELi6EEvPKT_PKT0_S7_ifPKiS9_S9_iPKfiiiPfSC_PS2_PT2_iSB_SB_: ; @_Z39paged_attention_ll4mi_QKV_mfma16_kernelIDF16_hLN4vllm18Fp8KVCacheDataTypeE1EhLi32ELi128ELi256ELb1ELi6EEvPKT_PKT0_S7_ifPKiS9_S9_iPKfiiiPfSC_PS2_PT2_iSB_SB_
; %bb.0:
	s_load_dwordx2 s[10:11], s[0:1], 0x30
	s_mov_b32 s6, s3
	s_mov_b64 s[8:9], 0
	s_waitcnt lgkmcnt(0)
	s_cmp_lg_u64 s[10:11], 0
	s_cselect_b64 s[12:13], -1, 0
	s_and_b64 vcc, exec, s[12:13]
	s_cbranch_vccz .LBB1013_7
; %bb.1:
	s_add_i32 s14, s2, 1
	s_mov_b32 s15, 0
	s_lshl_b64 s[16:17], s[14:15], 2
	s_add_u32 s16, s10, s16
	s_mov_b32 s3, s15
	s_addc_u32 s17, s11, s17
	s_lshl_b64 s[14:15], s[2:3], 2
	s_add_u32 s14, s10, s14
	s_addc_u32 s15, s11, s15
	s_load_dword s5, s[16:17], 0x0
	s_load_dword s7, s[14:15], 0x0
	s_waitcnt lgkmcnt(0)
	s_sub_i32 s5, s5, s7
	s_cmp_eq_u32 s5, 1
	s_cselect_b64 s[14:15], -1, 0
	s_andn2_b64 vcc, exec, s[8:9]
	s_cbranch_vccnz .LBB1013_3
.LBB1013_2:
	s_mov_b32 s3, 0
	s_mov_b64 s[14:15], -1
.LBB1013_3:
	s_andn2_b64 vcc, exec, s[14:15]
	s_cbranch_vccnz .LBB1013_20
; %bb.4:
	s_load_dwordx2 s[8:9], s[0:1], 0x28
	s_lshl_b64 s[16:17], s[2:3], 2
	s_waitcnt lgkmcnt(0)
	s_add_u32 s8, s8, s16
	s_addc_u32 s9, s9, s17
	s_load_dword s7, s[8:9], 0x0
	s_lshl_b32 s18, s6, 8
	s_waitcnt lgkmcnt(0)
	s_cmp_ge_i32 s18, s7
	s_cbranch_scc1 .LBB1013_20
; %bb.5:
	s_load_dwordx2 s[8:9], s[0:1], 0x20
	s_load_dword s5, s[0:1], 0x38
	s_add_i32 s14, s7, 31
	s_ashr_i32 s15, s14, 31
	v_and_b32_e32 v1, 0xcf, v0
	s_lshr_b32 s15, s15, 27
	v_add_u32_e32 v1, s18, v1
	s_add_i32 s14, s14, s15
	v_ashrrev_i32_e32 v2, 31, v1
	s_ashr_i32 s19, s14, 5
	v_lshrrev_b32_e32 v4, 27, v2
	s_add_i32 s19, s19, -1
	s_waitcnt lgkmcnt(0)
	s_mul_i32 s14, s2, s5
	s_mov_b32 s15, 0
	v_add_u32_e32 v2, v1, v4
	s_lshl_b64 s[14:15], s[14:15], 2
	v_ashrrev_i32_e32 v2, 5, v2
	v_mov_b32_e32 v5, s19
	v_cmp_gt_i32_e32 vcc, s7, v1
	s_add_u32 s8, s8, s14
	s_addc_u32 s9, s9, s15
	v_cndmask_b32_e32 v2, v5, v2, vcc
	v_ashrrev_i32_e32 v3, 31, v2
	v_lshl_add_u64 v[6:7], v[2:3], 2, s[8:9]
	v_or_b32_e32 v2, 16, v1
	v_add_u32_e32 v3, v2, v4
	v_ashrrev_i32_e32 v3, 5, v3
	v_cmp_gt_i32_e32 vcc, s7, v2
	s_load_dwordx2 s[14:15], s[0:1], 0x8
	s_nop 0
	v_cndmask_b32_e32 v2, v5, v3, vcc
	v_ashrrev_i32_e32 v3, 31, v2
	v_lshl_add_u64 v[8:9], v[2:3], 2, s[8:9]
	v_or_b32_e32 v2, 32, v1
	v_add_u32_e32 v3, v2, v4
	v_ashrrev_i32_e32 v3, 5, v3
	v_cmp_gt_i32_e32 vcc, s7, v2
	v_or_b32_e32 v1, 48, v1
	s_nop 0
	v_cndmask_b32_e32 v2, v5, v3, vcc
	v_ashrrev_i32_e32 v3, 31, v2
	v_lshl_add_u64 v[12:13], v[2:3], 2, s[8:9]
	v_add_u32_e32 v2, v1, v4
	v_ashrrev_i32_e32 v2, 5, v2
	v_cmp_gt_i32_e32 vcc, s7, v1
	s_nop 1
	v_cndmask_b32_e32 v2, v5, v2, vcc
	v_ashrrev_i32_e32 v3, 31, v2
	v_lshl_add_u64 v[14:15], v[2:3], 2, s[8:9]
	global_load_dword v4, v[6:7], off
	global_load_dword v3, v[8:9], off
	;; [unrolled: 1-line block ×4, first 2 shown]
	s_andn2_b64 vcc, exec, s[12:13]
	s_cbranch_vccnz .LBB1013_8
; %bb.6:
	s_add_u32 s10, s10, s16
	s_addc_u32 s11, s11, s17
	s_load_dword s5, s[10:11], 0x0
	s_branch .LBB1013_9
.LBB1013_7:
	s_mov_b64 s[14:15], 0
	s_branch .LBB1013_2
.LBB1013_8:
	s_mov_b32 s5, s2
.LBB1013_9:
	s_load_dwordx2 s[10:11], s[0:1], 0x10
	s_load_dwordx4 s[44:47], s[0:1], 0x48
	v_lshrrev_b32_e32 v57, 6, v0
	v_bfe_u32 v62, v0, 4, 2
	v_and_b32_e32 v56, 15, v0
	v_lshl_or_b32 v5, v57, 2, v62
	v_lshlrev_b32_e32 v1, 3, v56
	s_mul_i32 s48, s4, 6
	v_cmp_gt_u32_e32 vcc, 6, v5
	v_lshlrev_b32_e32 v54, 1, v1
	v_lshlrev_b32_e32 v1, 4, v0
	s_and_saveexec_b64 s[12:13], vcc
	s_cbranch_execz .LBB1013_11
; %bb.10:
	s_load_dwordx2 s[16:17], s[0:1], 0x0
	s_waitcnt lgkmcnt(0)
	s_ashr_i32 s20, s44, 31
	s_mul_hi_u32 s21, s5, s44
	s_mul_i32 s20, s5, s20
	s_add_i32 s21, s21, s20
	s_mul_i32 s20, s5, s44
	s_lshl_b64 s[20:21], s[20:21], 1
	s_add_u32 s16, s16, s20
	v_add_lshl_u32 v6, v5, s48, 7
	s_addc_u32 s17, s17, s21
	v_ashrrev_i32_e32 v7, 31, v6
	v_lshl_add_u64 v[6:7], v[6:7], 1, s[16:17]
	v_mov_b32_e32 v55, 0
	v_lshl_add_u64 v[6:7], v[6:7], 0, v[54:55]
	global_load_dwordx4 v[6:9], v[6:7], off
	v_lshlrev_b32_e32 v12, 8, v0
	v_lshlrev_b32_e32 v11, 8, v56
	v_and_b32_e32 v12, 0x600, v12
	s_movk_i32 s5, 0x800
	v_and_or_b32 v11, v11, s5, v12
	v_lshlrev_b32_e32 v5, 5, v5
	v_and_b32_e32 v12, 16, v1
	v_or3_b32 v5, v11, v5, v12
	s_waitcnt vmcnt(0)
	ds_write_b128 v5, v[6:9]
.LBB1013_11:
	s_or_b64 exec, exec, s[12:13]
	s_waitcnt lgkmcnt(0)
	s_mul_i32 s12, s4, s46
	s_add_u32 s4, s14, s12
	s_addc_u32 s5, s15, 0
	v_mov_b32_e32 v59, 0
	v_mov_b64_e32 v[12:13], s[4:5]
	v_and_b32_e32 v34, 48, v0
	s_waitcnt vmcnt(3)
	v_mad_i64_i32 v[4:5], s[4:5], v4, s45, v[12:13]
	v_lshlrev_b32_e32 v14, 4, v56
	v_mov_b32_e32 v15, v59
	v_lshlrev_b32_e32 v58, 5, v34
	v_lshl_add_u64 v[4:5], v[4:5], 0, v[14:15]
	v_lshl_add_u64 v[4:5], v[4:5], 0, v[58:59]
	s_barrier
	global_load_dwordx4 v[50:53], v[4:5], off
	global_load_dwordx4 v[46:49], v[4:5], off offset:2048
	s_waitcnt vmcnt(4)
	v_mad_i64_i32 v[4:5], s[4:5], v3, s45, v[12:13]
	v_or_b32_e32 v16, 0x100, v14
	v_mov_b32_e32 v17, v59
	s_waitcnt vmcnt(3)
	v_mad_i64_i32 v[2:3], s[4:5], v2, s45, v[12:13]
	v_lshl_add_u64 v[4:5], v[4:5], 0, v[16:17]
	v_lshl_add_u64 v[2:3], v[2:3], 0, v[14:15]
	s_waitcnt vmcnt(2)
	v_mad_i64_i32 v[10:11], s[4:5], v10, s45, v[12:13]
	v_lshl_add_u64 v[4:5], v[4:5], 0, v[58:59]
	v_lshl_add_u64 v[14:15], v[2:3], 0, v[58:59]
	;; [unrolled: 1-line block ×3, first 2 shown]
	global_load_dwordx4 v[36:39], v[4:5], off
	global_load_dwordx4 v[6:9], v[4:5], off offset:2048
	s_nop 0
	global_load_dwordx4 v[2:5], v[14:15], off
	global_load_dwordx4 v[42:45], v[14:15], off offset:2048
	v_lshl_add_u64 v[14:15], v[10:11], 0, v[58:59]
	global_load_dwordx4 v[26:29], v[14:15], off
	global_load_dwordx4 v[10:13], v[14:15], off offset:2048
	v_mul_lo_u16_e32 v14, 43, v56
	v_mov_b32_e32 v15, 6
	v_mul_lo_u16_sdwa v14, v14, v15 dst_sel:DWORD dst_unused:UNUSED_PAD src0_sel:BYTE_1 src1_sel:DWORD
	v_sub_u16_e32 v14, v56, v14
	v_mov_b32_e32 v15, 5
	v_lshlrev_b32_sdwa v14, v15, v14 dst_sel:DWORD dst_unused:UNUSED_PAD src0_sel:DWORD src1_sel:BYTE_0
	v_lshl_add_u32 v14, v62, 9, v14
	ds_read_b128 v[30:33], v14
	ds_read_b128 v[22:25], v14 offset:16
	ds_read_b128 v[18:21], v14 offset:2048
	;; [unrolled: 1-line block ×3, first 2 shown]
	v_and_b32_e32 v55, 63, v0
	v_cmp_gt_u32_e32 vcc, 6, v56
	v_mov_b32_e32 v63, 0
	s_and_saveexec_b64 s[4:5], vcc
	s_cbranch_execz .LBB1013_13
; %bb.12:
	s_load_dwordx2 s[14:15], s[0:1], 0x40
	v_add_u32_e32 v40, s48, v56
	v_ashrrev_i32_e32 v41, 31, v40
	s_waitcnt lgkmcnt(0)
	v_lshl_add_u64 v[40:41], v[40:41], 2, s[14:15]
	global_load_dword v63, v[40:41], off
.LBB1013_13:
	s_or_b64 exec, exec, s[4:5]
	s_ashr_i32 s4, s18, 31
	v_or_b32_e32 v58, s18, v34
	s_lshr_b32 s4, s4, 27
	v_add_u32_e32 v34, s4, v58
	v_cmp_gt_i32_e32 vcc, s7, v58
	v_or_b32_e32 v40, 64, v58
	v_or_b32_e32 v60, 0x80, v58
	;; [unrolled: 1-line block ×3, first 2 shown]
	v_add_u32_e32 v64, s4, v58
	v_ashrrev_i32_e32 v69, 5, v64
	s_waitcnt vmcnt(7)
	v_cvt_pk_f32_fp8_e32 v[64:65], v50
	v_cvt_pk_f32_fp8_sdwa v[66:67], v50 src0_sel:WORD_1
	v_cvt_pk_f32_fp8_e32 v[70:71], v51
	v_cvt_pk_f32_fp8_sdwa v[50:51], v51 src0_sel:WORD_1
	v_cvt_pkrtz_f16_f32 v64, v64, v65
	v_cvt_pkrtz_f16_f32 v65, v66, v67
	;; [unrolled: 1-line block ×3, first 2 shown]
	v_cvt_pk_f32_fp8_e32 v[72:73], v52
	v_cvt_pk_f32_fp8_sdwa v[74:75], v52 src0_sel:WORD_1
	v_cvt_pkrtz_f16_f32 v71, v50, v51
	s_waitcnt lgkmcnt(3)
	v_mfma_f32_16x16x16_f16 v[64:67], v[64:65], v[30:31], 0
	v_cvt_pkrtz_f16_f32 v72, v72, v73
	v_cvt_pkrtz_f16_f32 v73, v74, v75
	v_cvt_pk_f32_fp8_e32 v[74:75], v53
	v_cvt_pk_f32_fp8_sdwa v[76:77], v53 src0_sel:WORD_1
	v_mfma_f32_16x16x16_f16 v[50:53], v[70:71], v[32:33], v[64:67]
	v_ashrrev_i32_e32 v34, 5, v34
	v_mov_b32_e32 v68, s19
	v_add_u32_e32 v41, s4, v40
	v_cndmask_b32_e32 v34, v68, v34, vcc
	v_ashrrev_i32_e32 v41, 5, v41
	v_cmp_gt_i32_e32 vcc, s7, v40
	v_add_u32_e32 v61, s4, v60
	v_cvt_pkrtz_f16_f32 v64, v74, v75
	v_cvt_pkrtz_f16_f32 v65, v76, v77
	v_cndmask_b32_e32 v40, v68, v41, vcc
	v_ashrrev_i32_e32 v61, 5, v61
	v_cmp_gt_i32_e32 vcc, s7, v60
	s_waitcnt lgkmcnt(2)
	v_mfma_f32_16x16x16_f16 v[50:53], v[72:73], v[22:23], v[50:53]
	s_waitcnt vmcnt(6)
	v_cvt_pk_f32_fp8_e32 v[66:67], v46
	v_cndmask_b32_e32 v60, v68, v61, vcc
	v_cmp_gt_i32_e32 vcc, s7, v58
	v_ashrrev_i32_e32 v35, 31, v34
	v_lshl_add_u64 v[34:35], v[34:35], 2, s[8:9]
	v_cndmask_b32_e32 v68, v68, v69, vcc
	v_ashrrev_i32_e32 v41, 31, v40
	v_ashrrev_i32_e32 v61, 31, v60
	;; [unrolled: 1-line block ×3, first 2 shown]
	v_lshl_add_u64 v[40:41], v[40:41], 2, s[8:9]
	v_lshl_add_u64 v[60:61], v[60:61], 2, s[8:9]
	v_lshl_add_u64 v[72:73], v[68:69], 2, s[8:9]
	v_mfma_f32_16x16x16_f16 v[50:53], v[64:65], v[24:25], v[50:53]
	v_cvt_pkrtz_f16_f32 v74, v66, v67
	global_load_dword v68, v[34:35], off
	global_load_dword v66, v[40:41], off
	;; [unrolled: 1-line block ×4, first 2 shown]
	v_cvt_pk_f32_fp8_sdwa v[70:71], v46 src0_sel:WORD_1
	v_cvt_pk_f32_fp8_e32 v[40:41], v48
	s_waitcnt vmcnt(9)
	v_cvt_pk_f32_fp8_e32 v[60:61], v36
	s_add_u32 s4, s10, s12
	v_cvt_pkrtz_f16_f32 v75, v70, v71
	v_cvt_pk_f32_fp8_e32 v[70:71], v47
	v_cvt_pk_f32_fp8_sdwa v[46:47], v47 src0_sel:WORD_1
	s_waitcnt lgkmcnt(1)
	v_mfma_f32_16x16x16_f16 v[50:53], v[74:75], v[18:19], v[50:53]
	v_cvt_pkrtz_f16_f32 v34, v70, v71
	v_cvt_pkrtz_f16_f32 v35, v46, v47
	v_cvt_pk_f32_fp8_sdwa v[46:47], v48 src0_sel:WORD_1
	v_cvt_pkrtz_f16_f32 v40, v40, v41
	v_mfma_f32_16x16x16_f16 v[50:53], v[34:35], v[20:21], v[50:53]
	v_cvt_pkrtz_f16_f32 v41, v46, v47
	v_cvt_pk_f32_fp8_e32 v[34:35], v49
	v_cvt_pk_f32_fp8_sdwa v[46:47], v49 src0_sel:WORD_1
	v_cvt_pk_f32_fp8_sdwa v[70:71], v36 src0_sel:WORD_1
	s_addc_u32 s5, s11, 0
	v_cvt_pkrtz_f16_f32 v34, v34, v35
	v_cvt_pkrtz_f16_f32 v35, v46, v47
	s_waitcnt lgkmcnt(0)
	v_mfma_f32_16x16x16_f16 v[46:49], v[40:41], v[14:15], v[50:53]
	v_cvt_pkrtz_f16_f32 v40, v60, v61
	v_cvt_pkrtz_f16_f32 v41, v70, v71
	s_waitcnt vmcnt(8)
	v_cvt_pk_f32_fp8_sdwa v[60:61], v6 src0_sel:WORD_1
	v_cvt_pk_f32_fp8_e32 v[50:51], v37
	v_cvt_pk_f32_fp8_sdwa v[52:53], v37 src0_sel:WORD_1
	v_mfma_f32_16x16x16_f16 v[34:37], v[34:35], v[16:17], v[46:49]
	v_and_b32_e32 v58, 16, v0
	v_cvt_pkrtz_f16_f32 v50, v50, v51
	v_cvt_pkrtz_f16_f32 v51, v52, v53
	v_mfma_f32_16x16x16_f16 v[46:49], v[40:41], v[30:31], 0
	v_cvt_pk_f32_fp8_e32 v[40:41], v38
	v_cvt_pk_f32_fp8_sdwa v[52:53], v38 src0_sel:WORD_1
	v_lshl_or_b32 v64, v57, 4, v56
	v_mfma_f32_16x16x16_f16 v[46:49], v[50:51], v[32:33], v[46:49]
	v_cvt_pk_f32_fp8_e32 v[50:51], v39
	v_cvt_pkrtz_f16_f32 v40, v40, v41
	v_cvt_pkrtz_f16_f32 v41, v52, v53
	v_cvt_pk_f32_fp8_sdwa v[38:39], v39 src0_sel:WORD_1
	v_cvt_pkrtz_f16_f32 v50, v50, v51
	v_cvt_pk_f32_fp8_e32 v[52:53], v6
	s_waitcnt vmcnt(6)
	v_cvt_pk_f32_fp8_e32 v[74:75], v43
	v_cvt_pkrtz_f16_f32 v51, v38, v39
	v_mfma_f32_16x16x16_f16 v[38:41], v[40:41], v[22:23], v[46:49]
	s_nop 2
	v_cvt_pkrtz_f16_f32 v48, v52, v53
	v_cvt_pkrtz_f16_f32 v49, v60, v61
	v_cvt_pk_f32_fp8_e32 v[52:53], v7
	v_cvt_pk_f32_fp8_sdwa v[6:7], v7 src0_sel:WORD_1
	v_mfma_f32_16x16x16_f16 v[38:41], v[50:51], v[24:25], v[38:41]
	v_lshl_add_u64 v[46:47], s[4:5], 0, v[58:59]
	v_cvt_pkrtz_f16_f32 v50, v52, v53
	v_cvt_pkrtz_f16_f32 v51, v6, v7
	v_mfma_f32_16x16x16_f16 v[38:41], v[48:49], v[18:19], v[38:41]
	v_cvt_pk_f32_fp8_e32 v[6:7], v8
	v_cvt_pk_f32_fp8_sdwa v[48:49], v8 src0_sel:WORD_1
	v_cvt_pk_f32_fp8_sdwa v[52:53], v2 src0_sel:WORD_1
	v_mfma_f32_16x16x16_f16 v[38:41], v[50:51], v[20:21], v[38:41]
	v_cvt_pk_f32_fp8_e32 v[50:51], v9
	v_cvt_pkrtz_f16_f32 v6, v6, v7
	v_cvt_pkrtz_f16_f32 v7, v48, v49
	v_cvt_pk_f32_fp8_sdwa v[8:9], v9 src0_sel:WORD_1
	v_cvt_pkrtz_f16_f32 v48, v50, v51
	v_cvt_pk_f32_fp8_e32 v[50:51], v2
	v_lshlrev_b32_e32 v58, 5, v64
	v_cvt_pkrtz_f16_f32 v49, v8, v9
	v_mfma_f32_16x16x16_f16 v[6:9], v[6:7], v[14:15], v[38:41]
	v_cvt_pkrtz_f16_f32 v50, v50, v51
	v_cvt_pkrtz_f16_f32 v51, v52, v53
	v_cvt_pk_f32_fp8_e32 v[52:53], v3
	v_cvt_pk_f32_fp8_sdwa v[2:3], v3 src0_sel:WORD_1
	v_mfma_f32_16x16x16_f16 v[38:41], v[48:49], v[16:17], v[6:9]
	v_lshl_add_u64 v[48:49], v[46:47], 0, v[58:59]
	v_cvt_pkrtz_f16_f32 v52, v52, v53
	v_cvt_pkrtz_f16_f32 v53, v2, v3
	v_mfma_f32_16x16x16_f16 v[6:9], v[50:51], v[30:31], 0
	v_cvt_pk_f32_fp8_e32 v[2:3], v4
	v_cvt_pk_f32_fp8_sdwa v[50:51], v4 src0_sel:WORD_1
	s_waitcnt vmcnt(3)
	v_mad_i64_i32 v[60:61], s[4:5], v68, s45, v[48:49]
	v_cvt_pkrtz_f16_f32 v2, v2, v3
	v_cvt_pkrtz_f16_f32 v3, v50, v51
	v_mfma_f32_16x16x16_f16 v[6:9], v[52:53], v[32:33], v[6:9]
	v_cvt_pk_f32_fp8_e32 v[50:51], v5
	v_cvt_pk_f32_fp8_sdwa v[4:5], v5 src0_sel:WORD_1
	s_waitcnt vmcnt(2)
	v_mad_i64_i32 v[70:71], s[4:5], v66, s45, v[48:49]
	v_cvt_pkrtz_f16_f32 v50, v50, v51
	v_cvt_pkrtz_f16_f32 v51, v4, v5
	v_mfma_f32_16x16x16_f16 v[2:5], v[2:3], v[22:23], v[6:9]
	v_or_b32_e32 v58, 0x800, v58
	s_nop 1
	v_cvt_pk_f32_fp8_e32 v[6:7], v42
	v_cvt_pk_f32_fp8_sdwa v[8:9], v42 src0_sel:WORD_1
	v_cvt_pk_f32_fp8_sdwa v[42:43], v43 src0_sel:WORD_1
	v_mfma_f32_16x16x16_f16 v[50:53], v[50:51], v[24:25], v[2:5]
	v_cvt_pkrtz_f16_f32 v72, v6, v7
	v_cvt_pkrtz_f16_f32 v73, v8, v9
	global_load_dwordx4 v[6:9], v[60:61], off
	global_load_dwordx4 v[2:5], v[70:71], off
	v_cvt_pkrtz_f16_f32 v60, v74, v75
	v_cvt_pkrtz_f16_f32 v61, v42, v43
	v_mfma_f32_16x16x16_f16 v[70:73], v[72:73], v[18:19], v[50:53]
	v_cvt_pk_f32_fp8_e32 v[42:43], v44
	v_cvt_pkrtz_f16_f32 v42, v42, v43
	s_nop 0
	v_cvt_pk_f32_fp8_sdwa v[52:53], v44 src0_sel:WORD_1
	v_mfma_f32_16x16x16_f16 v[70:73], v[60:61], v[20:21], v[70:73]
	v_cvt_pk_f32_fp8_e32 v[60:61], v45
	s_waitcnt vmcnt(3)
	v_mad_i64_i32 v[50:51], s[4:5], v67, s45, v[48:49]
	s_load_dword s4, s[0:1], 0x1c
	s_load_dwordx4 s[40:43], s[0:1], 0x80
	v_cvt_pkrtz_f16_f32 v43, v52, v53
	v_cvt_pkrtz_f16_f32 v74, v60, v61
	v_cvt_pk_f32_fp8_e32 v[52:53], v26
	v_cvt_pk_f32_fp8_sdwa v[60:61], v26 src0_sel:WORD_1
	s_load_dword s33, s[0:1], 0x98
	s_waitcnt lgkmcnt(0)
	s_load_dword s5, s[40:41], 0x0
	v_cvt_pk_f32_fp8_sdwa v[44:45], v45 src0_sel:WORD_1
	v_cvt_pkrtz_f16_f32 v52, v52, v53
	v_cvt_pkrtz_f16_f32 v53, v60, v61
	v_cvt_pk_f32_fp8_e32 v[60:61], v27
	v_cvt_pk_f32_fp8_sdwa v[26:27], v27 src0_sel:WORD_1
	v_cvt_pkrtz_f16_f32 v75, v44, v45
	v_mfma_f32_16x16x16_f16 v[42:45], v[42:43], v[14:15], v[70:73]
	v_cvt_pkrtz_f16_f32 v60, v60, v61
	v_cvt_pkrtz_f16_f32 v61, v26, v27
	v_mov_b32_e32 v26, s4
	v_mfma_f32_16x16x16_f16 v[70:73], v[52:53], v[30:31], 0
	s_waitcnt lgkmcnt(0)
	v_mul_f32_e32 v52, s5, v26
	v_cvt_pk_f32_fp8_e32 v[26:27], v28
	v_cvt_pk_f32_fp8_sdwa v[30:31], v28 src0_sel:WORD_1
	v_mfma_f32_16x16x16_f16 v[70:73], v[60:61], v[32:33], v[70:73]
	v_cvt_pk_f32_fp8_e32 v[32:33], v29
	v_cvt_pk_f32_fp8_sdwa v[28:29], v29 src0_sel:WORD_1
	v_cvt_pkrtz_f16_f32 v26, v26, v27
	v_cvt_pkrtz_f16_f32 v27, v30, v31
	v_mfma_f32_16x16x16_f16 v[42:45], v[74:75], v[16:17], v[42:45]
	v_cvt_pkrtz_f16_f32 v32, v32, v33
	v_cvt_pkrtz_f16_f32 v33, v28, v29
	v_cvt_pk_f32_fp8_e32 v[60:61], v10
	v_cvt_pk_f32_fp8_sdwa v[74:75], v10 src0_sel:WORD_1
	v_mfma_f32_16x16x16_f16 v[26:29], v[26:27], v[22:23], v[70:73]
	v_pk_mul_f32 v[30:31], v[52:53], v[36:37] op_sel_hi:[0,1]
	v_cvt_pkrtz_f16_f32 v36, v60, v61
	v_cvt_pkrtz_f16_f32 v37, v74, v75
	v_cvt_pk_f32_fp8_e32 v[60:61], v11
	v_cvt_pk_f32_fp8_sdwa v[70:71], v11 src0_sel:WORD_1
	v_mfma_f32_16x16x16_f16 v[22:25], v[32:33], v[24:25], v[26:29]
	v_pk_mul_f32 v[10:11], v[52:53], v[34:35] op_sel_hi:[0,1]
	v_cvt_pkrtz_f16_f32 v60, v60, v61
	v_cvt_pkrtz_f16_f32 v61, v70, v71
	v_mfma_f32_16x16x16_f16 v[32:35], v[36:37], v[18:19], v[22:25]
	v_cvt_pk_f32_fp8_e32 v[18:19], v12
	v_cvt_pk_f32_fp8_sdwa v[36:37], v12 src0_sel:WORD_1
	s_waitcnt vmcnt(2)
	v_mad_i64_i32 v[48:49], s[8:9], v65, s45, v[48:49]
	global_load_dwordx4 v[26:29], v[50:51], off
	global_load_dwordx4 v[22:25], v[48:49], off
	v_cvt_pkrtz_f16_f32 v48, v18, v19
	v_cvt_pkrtz_f16_f32 v49, v36, v37
	v_cvt_pk_f32_fp8_e32 v[36:37], v13
	v_cvt_pk_f32_fp8_sdwa v[12:13], v13 src0_sel:WORD_1
	v_mfma_f32_16x16x16_f16 v[18:21], v[60:61], v[20:21], v[32:35]
	v_pk_mul_f32 v[40:41], v[52:53], v[40:41] op_sel_hi:[0,1]
	v_pk_mul_f32 v[42:43], v[52:53], v[42:43] op_sel_hi:[0,1]
	s_mov_b32 s40, 0xff7fffff
	v_cvt_pkrtz_f16_f32 v32, v36, v37
	v_cvt_pkrtz_f16_f32 v33, v12, v13
	v_mfma_f32_16x16x16_f16 v[12:15], v[48:49], v[14:15], v[18:21]
	v_pk_mul_f32 v[48:49], v[52:53], v[38:39] op_sel_hi:[0,1]
	v_pk_mul_f32 v[38:39], v[52:53], v[44:45] op_sel_hi:[0,1]
	v_mfma_f32_16x16x16_f16 v[12:15], v[32:33], v[16:17], v[12:15]
	s_nop 6
	v_pk_mul_f32 v[36:37], v[52:53], v[12:13] op_sel_hi:[0,1]
	v_and_b32_e32 v12, 0xc0, v0
	v_add_u32_e32 v12, s18, v12
	v_lshl_or_b32 v12, v62, 2, v12
	v_or_b32_e32 v13, 1, v12
	v_pk_mul_f32 v[34:35], v[52:53], v[14:15] op_sel_hi:[0,1]
	v_subrev_u32_e32 v14, s7, v13
	v_add_u32_e32 v16, 1, v14
	v_add_u32_e32 v17, 2, v14
	v_cvt_f32_i32_e32 v15, v14
	v_cvt_f32_i32_e32 v16, v16
	;; [unrolled: 1-line block ×3, first 2 shown]
	v_add_u32_e32 v18, 3, v14
	v_fma_f32 v10, v63, v15, v10
	v_fmac_f32_e32 v11, v63, v16
	v_fma_f32 v51, v63, v17, v30
	v_add_u32_e32 v15, 16, v14
	v_add_u32_e32 v16, 17, v14
	;; [unrolled: 1-line block ×3, first 2 shown]
	v_cvt_f32_i32_e32 v18, v18
	v_cvt_f32_i32_e32 v15, v15
	;; [unrolled: 1-line block ×4, first 2 shown]
	v_fmac_f32_e32 v31, v63, v18
	v_add_u32_e32 v18, 19, v14
	v_fma_f32 v48, v63, v15, v48
	v_fmac_f32_e32 v49, v63, v16
	v_fma_f32 v40, v63, v17, v40
	v_add_u32_e32 v15, 32, v14
	v_add_u32_e32 v16, 33, v14
	;; [unrolled: 1-line block ×3, first 2 shown]
	v_cvt_f32_i32_e32 v18, v18
	v_cvt_f32_i32_e32 v15, v15
	;; [unrolled: 1-line block ×4, first 2 shown]
	v_fmac_f32_e32 v41, v63, v18
	v_add_u32_e32 v18, 35, v14
	v_fma_f32 v42, v63, v15, v42
	v_fmac_f32_e32 v43, v63, v16
	v_fma_f32 v38, v63, v17, v38
	v_add_u32_e32 v15, 48, v14
	v_add_u32_e32 v16, 49, v14
	;; [unrolled: 1-line block ×4, first 2 shown]
	v_cvt_f32_i32_e32 v14, v14
	v_cvt_f32_i32_e32 v15, v15
	;; [unrolled: 1-line block ×3, first 2 shown]
	v_cmp_gt_i32_e64 s[8:9], s7, v12
	v_fmac_f32_e32 v35, v63, v14
	v_mov_b32_e32 v14, 0xff7fffff
	v_cmp_gt_i32_e64 s[10:11], s7, v13
	v_fma_f32 v36, v63, v15, v36
	v_cndmask_b32_e64 v15, v14, v10, s[8:9]
	v_cndmask_b32_e64 v13, v14, v11, s[10:11]
	v_fmac_f32_e32 v37, v63, v16
	v_max3_f32 v13, v15, s40, v13
	v_or_b32_e32 v15, 2, v12
	v_or_b32_e32 v16, 3, v12
	v_cmp_gt_i32_e64 s[12:13], s7, v15
	v_cmp_gt_i32_e64 s[14:15], s7, v16
	v_cvt_f32_i32_e32 v18, v18
	v_cndmask_b32_e64 v15, v14, v51, s[12:13]
	v_cndmask_b32_e64 v16, v14, v31, s[14:15]
	v_max3_f32 v13, v13, v15, v16
	v_or_b32_e32 v15, 16, v12
	v_or_b32_e32 v16, 17, v12
	v_cmp_gt_i32_e64 s[16:17], s7, v15
	v_cmp_gt_i32_e64 s[18:19], s7, v16
	v_fmac_f32_e32 v39, v63, v18
	v_cndmask_b32_e64 v15, v14, v48, s[16:17]
	v_cndmask_b32_e64 v16, v14, v49, s[18:19]
	v_max3_f32 v13, v13, v15, v16
	v_or_b32_e32 v15, 18, v12
	v_or_b32_e32 v16, 19, v12
	v_cmp_gt_i32_e64 s[20:21], s7, v15
	v_cmp_gt_i32_e64 s[22:23], s7, v16
	v_cvt_f32_i32_e32 v17, v17
	v_cndmask_b32_e64 v15, v14, v40, s[20:21]
	v_cndmask_b32_e64 v16, v14, v41, s[22:23]
	v_max3_f32 v13, v13, v15, v16
	v_or_b32_e32 v15, 32, v12
	v_or_b32_e32 v16, 33, v12
	v_cmp_gt_i32_e64 s[24:25], s7, v15
	v_cmp_gt_i32_e64 s[26:27], s7, v16
	v_fma_f32 v34, v63, v17, v34
	v_cndmask_b32_e64 v15, v14, v42, s[24:25]
	v_cndmask_b32_e64 v16, v14, v43, s[26:27]
	v_max3_f32 v13, v13, v15, v16
	v_or_b32_e32 v15, 34, v12
	v_or_b32_e32 v16, 35, v12
	v_cmp_gt_i32_e64 s[28:29], s7, v15
	v_cmp_gt_i32_e64 s[30:31], s7, v16
	s_nop 0
	v_cndmask_b32_e64 v15, v14, v38, s[28:29]
	v_cndmask_b32_e64 v16, v14, v39, s[30:31]
	v_max3_f32 v13, v13, v15, v16
	v_or_b32_e32 v15, 48, v12
	v_or_b32_e32 v16, 49, v12
	v_cmp_gt_i32_e64 s[34:35], s7, v15
	v_cmp_gt_i32_e64 s[36:37], s7, v16
	s_nop 0
	v_cndmask_b32_e64 v15, v14, v36, s[34:35]
	v_cndmask_b32_e64 v16, v14, v37, s[36:37]
	v_max3_f32 v13, v13, v15, v16
	v_or_b32_e32 v15, 50, v12
	v_or_b32_e32 v12, 51, v12
	v_cmp_gt_i32_e32 vcc, s7, v15
	v_cmp_gt_i32_e64 s[4:5], s7, v12
	s_nop 0
	v_cndmask_b32_e32 v15, v14, v34, vcc
	v_cndmask_b32_e64 v12, v14, v35, s[4:5]
	v_max3_f32 v16, v13, v15, v12
	v_mbcnt_lo_u32_b32 v12, -1, 0
	v_mbcnt_hi_u32_b32 v17, -1, v12
	v_and_b32_e32 v12, 64, v17
	v_add_u32_e32 v18, 64, v12
	v_xor_b32_e32 v12, 32, v17
	v_cmp_lt_i32_e64 s[38:39], v12, v18
	s_nop 1
	v_cndmask_b32_e64 v12, v17, v12, s[38:39]
	v_lshlrev_b32_e32 v52, 2, v12
	ds_bpermute_b32 v19, v52, v16
	v_lshl_add_u64 v[12:13], v[46:47], 0, v[58:59]
	v_mad_i64_i32 v[14:15], s[38:39], v68, s45, v[12:13]
	s_waitcnt lgkmcnt(0)
	v_max_f32_e32 v19, v19, v19
	v_max_f32_e32 v19, v16, v19
	v_xor_b32_e32 v16, 16, v17
	v_cmp_lt_i32_e64 s[38:39], v16, v18
	s_nop 1
	v_cndmask_b32_e64 v16, v17, v16, s[38:39]
	v_lshlrev_b32_e32 v53, 2, v16
	ds_bpermute_b32 v18, v53, v19
	v_mad_i64_i32 v[16:17], s[38:39], v66, s45, v[12:13]
	v_mad_i64_i32 v[44:45], s[38:39], v67, s45, v[12:13]
	s_waitcnt lgkmcnt(0)
	v_max_f32_e32 v18, v18, v18
	v_max_f32_e32 v50, v19, v18
	v_sub_f32_e32 v10, v10, v50
	v_mul_f32_e32 v10, 0x3fb8aa3b, v10
	v_exp_f32_e32 v18, v10
	v_sub_f32_e32 v10, v11, v50
	v_mul_f32_e32 v10, 0x3fb8aa3b, v10
	v_exp_f32_e32 v19, v10
	v_mad_i64_i32 v[10:11], s[38:39], v65, s45, v[12:13]
	v_sub_f32_e32 v12, v51, v50
	v_mul_f32_e32 v12, 0x3fb8aa3b, v12
	v_cndmask_b32_e64 v46, 0, v18, s[8:9]
	v_cndmask_b32_e64 v47, 0, v19, s[10:11]
	v_sub_f32_e32 v58, v31, v50
	global_load_dwordx4 v[30:33], v[14:15], off
	global_load_dwordx4 v[18:21], v[16:17], off
	v_exp_f32_e32 v51, v12
	global_load_dwordx4 v[14:17], v[44:45], off
	s_nop 0
	global_load_dwordx4 v[10:13], v[10:11], off
	v_sub_f32_e32 v45, v48, v50
	v_sub_f32_e32 v48, v49, v50
	;; [unrolled: 1-line block ×4, first 2 shown]
	v_mul_f32_e32 v44, 0x3fb8aa3b, v58
	v_mul_f32_e32 v45, 0x3fb8aa3b, v45
	;; [unrolled: 1-line block ×5, first 2 shown]
	v_exp_f32_e32 v44, v44
	v_exp_f32_e32 v45, v45
	;; [unrolled: 1-line block ×3, first 2 shown]
	v_cndmask_b32_e64 v48, 0, v51, s[12:13]
	v_exp_f32_e32 v40, v40
	v_exp_f32_e32 v51, v42
	v_sub_f32_e32 v42, v43, v50
	v_mul_f32_e32 v42, 0x3fb8aa3b, v42
	v_cndmask_b32_e64 v49, 0, v44, s[14:15]
	v_cndmask_b32_e64 v44, 0, v45, s[16:17]
	;; [unrolled: 1-line block ×3, first 2 shown]
	v_sub_f32_e32 v41, v41, v50
	v_exp_f32_e32 v58, v42
	v_cndmask_b32_e64 v42, 0, v40, s[20:21]
	v_cndmask_b32_e64 v40, 0, v51, s[24:25]
	v_add_f32_e32 v51, 0, v46
	v_mul_f32_e32 v41, 0x3fb8aa3b, v41
	v_add_f32_e32 v51, v51, v47
	v_exp_f32_e32 v41, v41
	v_add_f32_e32 v51, v51, v48
	v_sub_f32_e32 v38, v38, v50
	v_add_f32_e32 v51, v51, v49
	v_sub_f32_e32 v39, v39, v50
	v_mul_f32_e32 v38, 0x3fb8aa3b, v38
	v_add_f32_e32 v51, v51, v44
	v_exp_f32_e32 v38, v38
	v_mul_f32_e32 v39, 0x3fb8aa3b, v39
	v_sub_f32_e32 v36, v36, v50
	v_add_f32_e32 v51, v51, v45
	v_cndmask_b32_e64 v43, 0, v41, s[22:23]
	v_exp_f32_e32 v39, v39
	v_mul_f32_e32 v36, 0x3fb8aa3b, v36
	v_sub_f32_e32 v37, v37, v50
	v_add_f32_e32 v51, v51, v42
	v_exp_f32_e32 v36, v36
	v_mul_f32_e32 v37, 0x3fb8aa3b, v37
	v_add_f32_e32 v51, v51, v43
	v_sub_f32_e32 v34, v34, v50
	v_cndmask_b32_e64 v41, 0, v58, s[26:27]
	v_exp_f32_e32 v37, v37
	v_add_f32_e32 v51, v51, v40
	v_mul_f32_e32 v34, 0x3fb8aa3b, v34
	v_sub_f32_e32 v35, v35, v50
	v_cndmask_b32_e64 v38, 0, v38, s[28:29]
	v_add_f32_e32 v51, v51, v41
	v_exp_f32_e32 v34, v34
	v_mul_f32_e32 v35, 0x3fb8aa3b, v35
	v_cndmask_b32_e64 v39, 0, v39, s[30:31]
	v_add_f32_e32 v51, v51, v38
	v_exp_f32_e32 v35, v35
	v_cndmask_b32_e64 v36, 0, v36, s[34:35]
	v_add_f32_e32 v51, v51, v39
	v_cndmask_b32_e64 v37, 0, v37, s[36:37]
	v_add_f32_e32 v51, v51, v36
	v_add_f32_e32 v51, v51, v37
	v_cndmask_b32_e32 v34, 0, v34, vcc
	v_add_f32_e32 v51, v51, v34
	v_cndmask_b32_e64 v35, 0, v35, s[4:5]
	v_add_f32_e32 v51, v51, v35
	ds_bpermute_b32 v52, v52, v51
	v_cmp_gt_u32_e32 vcc, 16, v55
	s_waitcnt lgkmcnt(0)
	s_barrier
	v_add_f32_e32 v51, v51, v52
	ds_bpermute_b32 v52, v53, v51
	s_and_saveexec_b64 s[4:5], vcc
	s_cbranch_execz .LBB1013_15
; %bb.14:
	s_waitcnt lgkmcnt(0)
	v_add_f32_e32 v51, v51, v52
	v_lshlrev_b32_e32 v52, 2, v64
	ds_write2st64_b32 v52, v50, v51 offset1:1
.LBB1013_15:
	s_or_b64 exec, exec, s[4:5]
	v_lshlrev_b32_e32 v51, 2, v56
	s_load_dword s7, s[0:1], 0x94
	s_waitcnt lgkmcnt(0)
	s_barrier
	ds_read2_b32 v[52:53], v51 offset1:16
	ds_read2_b32 v[58:59], v51 offset0:32 offset1:48
	ds_read2_b32 v[60:61], v51 offset0:64 offset1:80
	s_mul_i32 s8, s33, 6
	s_waitcnt lgkmcnt(2)
	v_max3_f32 v50, v52, s40, v53
	s_waitcnt lgkmcnt(1)
	v_max3_f32 v50, v50, v58, v59
	v_sub_f32_e32 v52, v52, v50
	v_mul_f32_e32 v52, 0x3fb8aa3b, v52
	v_exp_f32_e32 v55, v52
	v_sub_f32_e32 v52, v53, v50
	v_mul_f32_e32 v52, 0x3fb8aa3b, v52
	v_exp_f32_e32 v63, v52
	;; [unrolled: 3-line block ×3, first 2 shown]
	ds_read2_b32 v[52:53], v51 offset0:96 offset1:112
	v_sub_f32_e32 v51, v59, v50
	v_mul_f32_e32 v51, 0x3fb8aa3b, v51
	v_exp_f32_e32 v59, v51
	s_waitcnt lgkmcnt(1)
	v_fma_f32 v51, v55, v60, 0
	v_fmac_f32_e32 v51, v63, v61
	s_waitcnt lgkmcnt(0)
	v_fmac_f32_e32 v51, v58, v52
	v_fmac_f32_e32 v51, v59, v53
	v_add_f32_e32 v52, 0x358637bd, v51
	v_div_scale_f32 v53, s[4:5], v52, v52, 1.0
	v_rcp_f32_e32 v60, v53
	s_barrier
	v_fma_f32 v61, -v53, v60, 1.0
	v_fmac_f32_e32 v60, v61, v60
	v_div_scale_f32 v61, vcc, 1.0, v52, 1.0
	v_mul_f32_e32 v64, v61, v60
	v_fma_f32 v65, -v53, v64, v61
	v_fmac_f32_e32 v64, v65, v60
	v_fma_f32 v53, -v53, v64, v61
	v_div_fmas_f32 v53, v53, v60, v64
	v_cmp_eq_u32_e32 vcc, 1, v57
	v_div_fixup_f32 v52, v53, v52, 1.0
	s_nop 0
	v_cndmask_b32_e32 v53, v55, v63, vcc
	v_cmp_eq_u32_e32 vcc, 2, v57
	s_nop 1
	v_cndmask_b32_e32 v53, v53, v58, vcc
	v_cmp_eq_u32_e32 vcc, 3, v57
	s_nop 1
	v_cndmask_b32_e32 v53, v53, v59, vcc
	v_mul_f32_e32 v52, v53, v52
	v_pk_mul_f32 v[48:49], v[52:53], v[48:49] op_sel_hi:[0,1]
	v_pk_mul_f32 v[46:47], v[52:53], v[46:47] op_sel_hi:[0,1]
	v_cvt_f16_f32_e32 v53, v48
	v_cvt_f16_f32_e32 v49, v49
	;; [unrolled: 1-line block ×4, first 2 shown]
	v_pk_mul_f32 v[42:43], v[52:53], v[42:43] op_sel_hi:[0,1]
	v_pk_mul_f32 v[44:45], v[52:53], v[44:45] op_sel_hi:[0,1]
	v_pack_b32_f16 v49, v53, v49
	v_cvt_f16_f32_e32 v44, v44
	v_cvt_f16_f32_e32 v45, v45
	;; [unrolled: 1-line block ×4, first 2 shown]
	v_pack_b32_f16 v48, v46, v47
	v_lshlrev_b32_e32 v47, 3, v62
	v_lshlrev_b32_e32 v46, 5, v56
	;; [unrolled: 1-line block ×3, first 2 shown]
	v_or3_b32 v55, v42, v46, v47
	v_pack_b32_f16 v42, v44, v45
	v_pack_b32_f16 v43, v53, v43
	v_pk_mul_f32 v[38:39], v[52:53], v[38:39] op_sel_hi:[0,1]
	v_pk_mul_f32 v[40:41], v[52:53], v[40:41] op_sel_hi:[0,1]
	;; [unrolled: 1-line block ×4, first 2 shown]
	ds_write2st64_b64 v55, v[48:49], v[42:43] offset1:1
	v_cvt_f16_f32_e32 v40, v40
	v_cvt_f16_f32_e32 v41, v41
	;; [unrolled: 1-line block ×8, first 2 shown]
	v_pack_b32_f16 v34, v40, v41
	v_pack_b32_f16 v35, v38, v39
	;; [unrolled: 1-line block ×4, first 2 shown]
	v_cmp_gt_u32_e32 vcc, 6, v0
	ds_write2st64_b64 v55, v[34:35], v[36:37] offset0:2 offset1:3
	s_and_saveexec_b64 s[4:5], vcc
	s_cbranch_execz .LBB1013_17
; %bb.16:
	s_mov_b32 s49, 0
	v_mov_b32_e32 v57, 0
	v_lshl_add_u64 v[34:35], s[48:49], 0, v[56:57]
	v_mov_b32_e32 v36, s8
	v_mad_u64_u32 v[34:35], s[10:11], s2, v36, v[34:35]
	s_mul_i32 s3, s3, s8
	v_mov_b32_e32 v36, s6
	v_mov_b32_e32 v37, v57
	s_load_dwordx4 s[12:15], s[0:1], 0x58
	v_add_u32_e32 v38, s3, v35
	v_mad_u64_u32 v[34:35], s[10:11], v34, s7, v[36:37]
	v_mov_b32_e32 v36, v35
	v_mad_u64_u32 v[36:37], s[10:11], v38, s7, v[36:37]
	v_mov_b32_e32 v35, v36
	v_lshlrev_b64 v[34:35], 2, v[34:35]
	s_waitcnt lgkmcnt(0)
	v_lshl_add_u64 v[36:37], s[14:15], 0, v[34:35]
	v_lshl_add_u64 v[34:35], s[12:13], 0, v[34:35]
	global_store_dword v[36:37], v50, off
	global_store_dword v[34:35], v51, off
.LBB1013_17:
	s_or_b64 exec, exec, s[4:5]
	s_waitcnt vmcnt(7)
	v_cvt_pk_f32_fp8_e32 v[34:35], v6
	v_cvt_pk_f32_fp8_sdwa v[36:37], v6 src0_sel:WORD_1
	v_lshl_or_b32 v50, v62, 9, v46
	s_waitcnt lgkmcnt(0)
	s_barrier
	v_cvt_pk_f32_fp8_e32 v[38:39], v7
	v_cvt_pkrtz_f16_f32 v6, v34, v35
	v_cvt_pk_f32_fp8_sdwa v[40:41], v7 src0_sel:WORD_1
	v_cvt_pkrtz_f16_f32 v7, v36, v37
	ds_read_b128 v[34:37], v50
	v_cvt_pkrtz_f16_f32 v46, v38, v39
	v_cvt_pkrtz_f16_f32 v47, v40, v41
	ds_read_b128 v[38:41], v50 offset:16
	v_cvt_pk_f32_fp8_e32 v[48:49], v8
	v_cvt_pk_f32_fp8_sdwa v[52:53], v8 src0_sel:WORD_1
	s_waitcnt lgkmcnt(1)
	v_mfma_f32_16x16x16_f16 v[42:45], v[6:7], v[34:35], 0
	s_waitcnt vmcnt(6)
	v_cvt_pk_f32_fp8_e32 v[58:59], v4
	v_cvt_pkrtz_f16_f32 v6, v48, v49
	v_cvt_pkrtz_f16_f32 v7, v52, v53
	v_cvt_pk_f32_fp8_e32 v[48:49], v9
	v_mfma_f32_16x16x16_f16 v[42:45], v[46:47], v[36:37], v[42:45]
	v_cvt_pk_f32_fp8_sdwa v[46:47], v9 src0_sel:WORD_1
	v_cvt_pk_f32_fp8_sdwa v[60:61], v4 src0_sel:WORD_1
	v_cvt_pkrtz_f16_f32 v48, v48, v49
	s_waitcnt lgkmcnt(0)
	v_mfma_f32_16x16x16_f16 v[6:9], v[6:7], v[38:39], v[42:45]
	v_cvt_pkrtz_f16_f32 v49, v46, v47
	s_waitcnt vmcnt(5)
	v_cvt_pk_f32_fp8_e32 v[64:65], v28
	v_cvt_pk_f32_fp8_sdwa v[66:67], v28 src0_sel:WORD_1
	v_cvt_pk_f32_fp8_e32 v[42:43], v2
	v_mfma_f32_16x16x16_f16 v[46:49], v[48:49], v[40:41], v[6:9]
	s_waitcnt vmcnt(4)
	v_cvt_pk_f32_fp8_sdwa v[68:69], v24 src0_sel:WORD_1
	s_load_dword s4, s[42:43], 0x0
	v_cvt_pk_f32_fp8_sdwa v[6:7], v2 src0_sel:WORD_1
	v_cvt_pk_f32_fp8_e32 v[8:9], v3
	v_cvt_pkrtz_f16_f32 v2, v42, v43
	v_cvt_pk_f32_fp8_sdwa v[42:43], v3 src0_sel:WORD_1
	v_cvt_pkrtz_f16_f32 v3, v6, v7
	v_cvt_pkrtz_f16_f32 v52, v8, v9
	ds_read_b128 v[6:9], v50 offset:2048
	v_cvt_pkrtz_f16_f32 v53, v42, v43
	ds_read_b128 v[42:45], v50 offset:2064
	s_waitcnt lgkmcnt(0)
	v_mfma_f32_16x16x16_f16 v[46:49], v[2:3], v[6:7], v[46:49]
	v_cvt_pkrtz_f16_f32 v2, v58, v59
	v_cvt_pkrtz_f16_f32 v3, v60, v61
	v_cvt_pk_f32_fp8_e32 v[58:59], v5
	v_mfma_f32_16x16x16_f16 v[46:49], v[52:53], v[8:9], v[46:49]
	v_cvt_pk_f32_fp8_sdwa v[52:53], v5 src0_sel:WORD_1
	s_mov_b32 s3, 0
	v_cvt_pkrtz_f16_f32 v58, v58, v59
	v_mfma_f32_16x16x16_f16 v[2:5], v[2:3], v[42:43], v[46:49]
	v_cvt_pkrtz_f16_f32 v59, v52, v53
	v_cmp_gt_u32_e32 vcc, 64, v0
	s_nop 0
	v_cvt_pk_f32_fp8_e32 v[46:47], v26
	v_mfma_f32_16x16x16_f16 v[58:61], v[58:59], v[44:45], v[2:5]
	s_nop 2
	v_cvt_pk_f32_fp8_sdwa v[2:3], v26 src0_sel:WORD_1
	v_cvt_pk_f32_fp8_e32 v[4:5], v27
	v_cvt_pkrtz_f16_f32 v26, v46, v47
	v_cvt_pk_f32_fp8_sdwa v[46:47], v27 src0_sel:WORD_1
	v_cvt_pkrtz_f16_f32 v27, v2, v3
	v_cvt_pkrtz_f16_f32 v52, v4, v5
	ds_read_b128 v[2:5], v50 offset:4096
	v_cvt_pkrtz_f16_f32 v53, v46, v47
	ds_read_b128 v[46:49], v50 offset:4112
	s_waitcnt lgkmcnt(1)
	v_mfma_f32_16x16x16_f16 v[58:61], v[26:27], v[2:3], v[58:61]
	v_cvt_pkrtz_f16_f32 v26, v64, v65
	v_cvt_pkrtz_f16_f32 v27, v66, v67
	v_cvt_pk_f32_fp8_e32 v[64:65], v29
	v_mfma_f32_16x16x16_f16 v[58:61], v[52:53], v[4:5], v[58:61]
	v_cvt_pk_f32_fp8_sdwa v[52:53], v29 src0_sel:WORD_1
	v_cvt_pk_f32_fp8_e32 v[66:67], v24
	v_cvt_pkrtz_f16_f32 v64, v64, v65
	s_waitcnt lgkmcnt(0)
	v_mfma_f32_16x16x16_f16 v[26:29], v[26:27], v[46:47], v[58:61]
	v_cvt_pkrtz_f16_f32 v65, v52, v53
	v_cvt_pk_f32_fp8_e32 v[52:53], v22
	s_nop 0
	v_mfma_f32_16x16x16_f16 v[58:61], v[64:65], v[48:49], v[26:29]
	s_nop 2
	v_cvt_pk_f32_fp8_sdwa v[26:27], v22 src0_sel:WORD_1
	v_cvt_pk_f32_fp8_e32 v[28:29], v23
	v_cvt_pkrtz_f16_f32 v22, v52, v53
	v_cvt_pk_f32_fp8_sdwa v[52:53], v23 src0_sel:WORD_1
	v_cvt_pkrtz_f16_f32 v23, v26, v27
	v_cvt_pkrtz_f16_f32 v64, v28, v29
	ds_read_b128 v[26:29], v50 offset:6144
	v_cvt_pkrtz_f16_f32 v65, v52, v53
	s_waitcnt lgkmcnt(0)
	v_mfma_f32_16x16x16_f16 v[58:61], v[22:23], v[26:27], v[58:61]
	ds_read_b128 v[50:53], v50 offset:6160
	v_cvt_pkrtz_f16_f32 v22, v66, v67
	v_cvt_pkrtz_f16_f32 v23, v68, v69
	v_mfma_f32_16x16x16_f16 v[58:61], v[64:65], v[28:29], v[58:61]
	v_cvt_pk_f32_fp8_e32 v[66:67], v25
	v_cvt_pk_f32_fp8_sdwa v[64:65], v25 src0_sel:WORD_1
	s_waitcnt vmcnt(3)
	v_cvt_pk_f32_fp8_sdwa v[68:69], v32 src0_sel:WORD_1
	s_waitcnt lgkmcnt(0)
	v_mfma_f32_16x16x16_f16 v[22:25], v[22:23], v[50:51], v[58:61]
	v_cvt_pkrtz_f16_f32 v66, v66, v67
	v_cvt_pkrtz_f16_f32 v67, v64, v65
	v_cvt_pk_f32_fp8_e32 v[64:65], v31
	v_cvt_pk_f32_fp8_e32 v[58:59], v30
	v_cvt_pk_f32_fp8_sdwa v[60:61], v30 src0_sel:WORD_1
	v_cvt_pk_f32_fp8_sdwa v[30:31], v31 src0_sel:WORD_1
	v_mfma_f32_16x16x16_f16 v[22:25], v[66:67], v[52:53], v[22:25]
	v_cvt_pkrtz_f16_f32 v58, v58, v59
	v_cvt_pkrtz_f16_f32 v59, v60, v61
	v_cvt_pkrtz_f16_f32 v64, v64, v65
	v_cvt_pk_f32_fp8_e32 v[66:67], v32
	v_cvt_pkrtz_f16_f32 v65, v30, v31
	v_mfma_f32_16x16x16_f16 v[58:61], v[58:59], v[34:35], 0
	v_cvt_pkrtz_f16_f32 v30, v66, v67
	v_cvt_pkrtz_f16_f32 v31, v68, v69
	v_cvt_pk_f32_fp8_e32 v[66:67], v33
	v_mfma_f32_16x16x16_f16 v[34:37], v[64:65], v[36:37], v[58:61]
	s_barrier
	s_nop 1
	v_cvt_pk_f32_fp8_sdwa v[58:59], v33 src0_sel:WORD_1
	v_cvt_pkrtz_f16_f32 v60, v66, v67
	v_mfma_f32_16x16x16_f16 v[30:33], v[30:31], v[38:39], v[34:37]
	s_waitcnt vmcnt(2)
	v_cvt_pk_f32_fp8_e32 v[38:39], v19
	v_cvt_pkrtz_f16_f32 v61, v58, v59
	v_cvt_pk_f32_fp8_e32 v[34:35], v18
	v_cvt_pk_f32_fp8_sdwa v[36:37], v18 src0_sel:WORD_1
	v_cvt_pk_f32_fp8_sdwa v[18:19], v19 src0_sel:WORD_1
	v_mfma_f32_16x16x16_f16 v[30:33], v[60:61], v[40:41], v[30:33]
	v_cvt_pkrtz_f16_f32 v34, v34, v35
	v_cvt_pkrtz_f16_f32 v35, v36, v37
	;; [unrolled: 1-line block ×3, first 2 shown]
	v_cvt_pk_f32_fp8_e32 v[38:39], v20
	v_cvt_pk_f32_fp8_sdwa v[40:41], v20 src0_sel:WORD_1
	v_cvt_pkrtz_f16_f32 v37, v18, v19
	v_mfma_f32_16x16x16_f16 v[30:33], v[34:35], v[6:7], v[30:33]
	v_cvt_pkrtz_f16_f32 v18, v38, v39
	v_cvt_pkrtz_f16_f32 v19, v40, v41
	v_cvt_pk_f32_fp8_e32 v[34:35], v21
	v_cvt_pk_f32_fp8_sdwa v[20:21], v21 src0_sel:WORD_1
	v_mfma_f32_16x16x16_f16 v[6:9], v[36:37], v[8:9], v[30:33]
	s_nop 2
	v_cvt_pkrtz_f16_f32 v30, v34, v35
	v_cvt_pkrtz_f16_f32 v31, v20, v21
	v_mfma_f32_16x16x16_f16 v[6:9], v[18:19], v[42:43], v[6:9]
	s_waitcnt vmcnt(1)
	v_cvt_pk_f32_fp8_e32 v[18:19], v14
	v_cvt_pk_f32_fp8_sdwa v[20:21], v14 src0_sel:WORD_1
	v_cvt_pk_f32_fp8_sdwa v[32:33], v16 src0_sel:WORD_1
	v_mfma_f32_16x16x16_f16 v[6:9], v[30:31], v[44:45], v[6:9]
	v_cvt_pk_f32_fp8_e32 v[30:31], v15
	v_cvt_pkrtz_f16_f32 v18, v18, v19
	v_cvt_pkrtz_f16_f32 v19, v20, v21
	v_cvt_pk_f32_fp8_sdwa v[14:15], v15 src0_sel:WORD_1
	v_cvt_pkrtz_f16_f32 v20, v30, v31
	v_cvt_pk_f32_fp8_e32 v[30:31], v16
	v_mfma_f32_16x16x16_f16 v[6:9], v[18:19], v[2:3], v[6:9]
	v_cvt_pkrtz_f16_f32 v21, v14, v15
	v_cvt_pkrtz_f16_f32 v14, v30, v31
	;; [unrolled: 1-line block ×3, first 2 shown]
	v_cvt_pk_f32_fp8_e32 v[18:19], v17
	v_cvt_pk_f32_fp8_sdwa v[16:17], v17 src0_sel:WORD_1
	v_mfma_f32_16x16x16_f16 v[2:5], v[20:21], v[4:5], v[6:9]
	s_waitcnt vmcnt(0)
	v_cvt_pk_f32_fp8_sdwa v[20:21], v12 src0_sel:WORD_1
	s_nop 0
	v_cvt_pkrtz_f16_f32 v8, v18, v19
	v_cvt_pkrtz_f16_f32 v9, v16, v17
	v_mfma_f32_16x16x16_f16 v[2:5], v[14:15], v[46:47], v[2:5]
	v_cvt_pk_f32_fp8_e32 v[16:17], v10
	v_cvt_pk_f32_fp8_sdwa v[18:19], v10 src0_sel:WORD_1
	v_pk_mul_f32 v[6:7], v[24:25], s[4:5] op_sel_hi:[1,0]
	v_mfma_f32_16x16x16_f16 v[2:5], v[8:9], v[48:49], v[2:5]
	v_cvt_pk_f32_fp8_e32 v[8:9], v11
	v_cvt_pkrtz_f16_f32 v16, v16, v17
	v_cvt_pkrtz_f16_f32 v17, v18, v19
	v_cvt_pk_f32_fp8_sdwa v[10:11], v11 src0_sel:WORD_1
	v_cvt_pkrtz_f16_f32 v8, v8, v9
	v_cvt_pk_f32_fp8_e32 v[18:19], v12
	v_mfma_f32_16x16x16_f16 v[2:5], v[16:17], v[26:27], v[2:5]
	v_cvt_pkrtz_f16_f32 v9, v10, v11
	v_cvt_pkrtz_f16_f32 v10, v18, v19
	;; [unrolled: 1-line block ×3, first 2 shown]
	v_cvt_pk_f32_fp8_e32 v[16:17], v13
	v_cvt_pk_f32_fp8_sdwa v[12:13], v13 src0_sel:WORD_1
	v_mfma_f32_16x16x16_f16 v[2:5], v[8:9], v[28:29], v[2:5]
	v_pk_mul_f32 v[14:15], v[22:23], s[4:5] op_sel_hi:[1,0]
	v_cvt_pkrtz_f16_f32 v8, v16, v17
	v_cvt_pkrtz_f16_f32 v9, v12, v13
	v_mfma_f32_16x16x16_f16 v[2:5], v[10:11], v[50:51], v[2:5]
	v_cvt_f16_f32_e32 v14, v14
	v_cvt_f16_f32_e32 v10, v15
	;; [unrolled: 1-line block ×3, first 2 shown]
	v_mfma_f32_16x16x16_f16 v[2:5], v[8:9], v[52:53], v[2:5]
	v_cvt_f16_f32_e32 v7, v7
	s_nop 5
	v_pk_mul_f32 v[4:5], v[4:5], s[4:5] op_sel_hi:[1,0]
	v_pk_mul_f32 v[2:3], v[2:3], s[4:5] op_sel_hi:[1,0]
	v_cvt_f16_f32_e32 v11, v4
	v_cvt_f16_f32_e32 v8, v2
	;; [unrolled: 1-line block ×4, first 2 shown]
	v_pack_b32_f16 v2, v14, v10
	v_pack_b32_f16 v3, v6, v7
	;; [unrolled: 1-line block ×4, first 2 shown]
	ds_write2st64_b64 v55, v[2:3], v[4:5] offset1:1
	s_waitcnt lgkmcnt(0)
	s_barrier
	s_and_saveexec_b64 s[4:5], vcc
	s_cbranch_execz .LBB1013_20
; %bb.18:
	s_load_dwordx2 s[4:5], s[0:1], 0x68
	s_lshl_b32 s0, s7, 7
	s_mul_i32 s1, s8, s2
	v_lshlrev_b32_e32 v4, 6, v56
	s_mul_hi_u32 s9, s1, s0
	s_mul_i32 s8, s1, s0
	v_lshl_or_b32 v0, v0, 10, v4
	s_lshl_b64 s[8:9], s[8:9], 1
	v_lshlrev_b32_e32 v3, 5, v62
	v_and_b32_e32 v1, 16, v1
	v_and_b32_e32 v0, 0x1a00, v0
	s_waitcnt lgkmcnt(0)
	s_add_u32 s1, s4, s8
	v_or3_b32 v3, v0, v3, v1
	s_addc_u32 s4, s5, s9
	s_lshl_b32 s2, s6, 7
	s_lshl_b64 s[2:3], s[2:3], 1
	ds_read_b128 v[4:7], v3
	s_add_u32 s2, s1, s2
	s_addc_u32 s3, s4, s3
	v_mov_b32_e32 v55, 0
	v_add_u32_e32 v8, s48, v62
	v_or_b32_e32 v2, 4, v62
	v_lshl_add_u64 v[0:1], s[2:3], 0, v[54:55]
	v_mad_u64_u32 v[8:9], s[2:3], v8, s0, 0
	v_lshl_add_u64 v[8:9], v[8:9], 1, v[0:1]
	v_cmp_gt_u32_e32 vcc, 6, v2
	s_waitcnt lgkmcnt(0)
	global_store_dwordx4 v[8:9], v[4:7], off
	s_and_b64 exec, exec, vcc
	s_cbranch_execz .LBB1013_20
; %bb.19:
	ds_read_b128 v[4:7], v3 offset:128
	v_add_u32_e32 v2, s48, v2
	v_mad_u64_u32 v[2:3], s[0:1], v2, s0, 0
	v_lshl_add_u64 v[0:1], v[2:3], 1, v[0:1]
	s_waitcnt lgkmcnt(0)
	global_store_dwordx4 v[0:1], v[4:7], off
.LBB1013_20:
	s_endpgm
	.section	.rodata,"a",@progbits
	.p2align	6, 0x0
	.amdhsa_kernel _Z39paged_attention_ll4mi_QKV_mfma16_kernelIDF16_hLN4vllm18Fp8KVCacheDataTypeE1EhLi32ELi128ELi256ELb1ELi6EEvPKT_PKT0_S7_ifPKiS9_S9_iPKfiiiPfSC_PS2_PT2_iSB_SB_
		.amdhsa_group_segment_fixed_size 8192
		.amdhsa_private_segment_fixed_size 0
		.amdhsa_kernarg_size 400
		.amdhsa_user_sgpr_count 2
		.amdhsa_user_sgpr_dispatch_ptr 0
		.amdhsa_user_sgpr_queue_ptr 0
		.amdhsa_user_sgpr_kernarg_segment_ptr 1
		.amdhsa_user_sgpr_dispatch_id 0
		.amdhsa_user_sgpr_kernarg_preload_length 0
		.amdhsa_user_sgpr_kernarg_preload_offset 0
		.amdhsa_user_sgpr_private_segment_size 0
		.amdhsa_uses_dynamic_stack 0
		.amdhsa_enable_private_segment 0
		.amdhsa_system_sgpr_workgroup_id_x 1
		.amdhsa_system_sgpr_workgroup_id_y 1
		.amdhsa_system_sgpr_workgroup_id_z 1
		.amdhsa_system_sgpr_workgroup_info 0
		.amdhsa_system_vgpr_workitem_id 0
		.amdhsa_next_free_vgpr 78
		.amdhsa_next_free_sgpr 50
		.amdhsa_accum_offset 80
		.amdhsa_reserve_vcc 1
		.amdhsa_float_round_mode_32 0
		.amdhsa_float_round_mode_16_64 0
		.amdhsa_float_denorm_mode_32 3
		.amdhsa_float_denorm_mode_16_64 3
		.amdhsa_dx10_clamp 1
		.amdhsa_ieee_mode 1
		.amdhsa_fp16_overflow 0
		.amdhsa_tg_split 0
		.amdhsa_exception_fp_ieee_invalid_op 0
		.amdhsa_exception_fp_denorm_src 0
		.amdhsa_exception_fp_ieee_div_zero 0
		.amdhsa_exception_fp_ieee_overflow 0
		.amdhsa_exception_fp_ieee_underflow 0
		.amdhsa_exception_fp_ieee_inexact 0
		.amdhsa_exception_int_div_zero 0
	.end_amdhsa_kernel
	.section	.text._Z39paged_attention_ll4mi_QKV_mfma16_kernelIDF16_hLN4vllm18Fp8KVCacheDataTypeE1EhLi32ELi128ELi256ELb1ELi6EEvPKT_PKT0_S7_ifPKiS9_S9_iPKfiiiPfSC_PS2_PT2_iSB_SB_,"axG",@progbits,_Z39paged_attention_ll4mi_QKV_mfma16_kernelIDF16_hLN4vllm18Fp8KVCacheDataTypeE1EhLi32ELi128ELi256ELb1ELi6EEvPKT_PKT0_S7_ifPKiS9_S9_iPKfiiiPfSC_PS2_PT2_iSB_SB_,comdat
.Lfunc_end1013:
	.size	_Z39paged_attention_ll4mi_QKV_mfma16_kernelIDF16_hLN4vllm18Fp8KVCacheDataTypeE1EhLi32ELi128ELi256ELb1ELi6EEvPKT_PKT0_S7_ifPKiS9_S9_iPKfiiiPfSC_PS2_PT2_iSB_SB_, .Lfunc_end1013-_Z39paged_attention_ll4mi_QKV_mfma16_kernelIDF16_hLN4vllm18Fp8KVCacheDataTypeE1EhLi32ELi128ELi256ELb1ELi6EEvPKT_PKT0_S7_ifPKiS9_S9_iPKfiiiPfSC_PS2_PT2_iSB_SB_
                                        ; -- End function
	.section	.AMDGPU.csdata,"",@progbits
; Kernel info:
; codeLenInByte = 6360
; NumSgprs: 56
; NumVgprs: 78
; NumAgprs: 0
; TotalNumVgprs: 78
; ScratchSize: 0
; MemoryBound: 0
; FloatMode: 240
; IeeeMode: 1
; LDSByteSize: 8192 bytes/workgroup (compile time only)
; SGPRBlocks: 6
; VGPRBlocks: 9
; NumSGPRsForWavesPerEU: 56
; NumVGPRsForWavesPerEU: 78
; AccumOffset: 80
; Occupancy: 6
; WaveLimiterHint : 1
; COMPUTE_PGM_RSRC2:SCRATCH_EN: 0
; COMPUTE_PGM_RSRC2:USER_SGPR: 2
; COMPUTE_PGM_RSRC2:TRAP_HANDLER: 0
; COMPUTE_PGM_RSRC2:TGID_X_EN: 1
; COMPUTE_PGM_RSRC2:TGID_Y_EN: 1
; COMPUTE_PGM_RSRC2:TGID_Z_EN: 1
; COMPUTE_PGM_RSRC2:TIDIG_COMP_CNT: 0
; COMPUTE_PGM_RSRC3_GFX90A:ACCUM_OFFSET: 19
; COMPUTE_PGM_RSRC3_GFX90A:TG_SPLIT: 0
	.section	.text._Z39paged_attention_ll4mi_QKV_mfma16_kernelIDF16_hLN4vllm18Fp8KVCacheDataTypeE1EhLi32ELi128ELi256ELb1ELi7EEvPKT_PKT0_S7_ifPKiS9_S9_iPKfiiiPfSC_PS2_PT2_iSB_SB_,"axG",@progbits,_Z39paged_attention_ll4mi_QKV_mfma16_kernelIDF16_hLN4vllm18Fp8KVCacheDataTypeE1EhLi32ELi128ELi256ELb1ELi7EEvPKT_PKT0_S7_ifPKiS9_S9_iPKfiiiPfSC_PS2_PT2_iSB_SB_,comdat
	.protected	_Z39paged_attention_ll4mi_QKV_mfma16_kernelIDF16_hLN4vllm18Fp8KVCacheDataTypeE1EhLi32ELi128ELi256ELb1ELi7EEvPKT_PKT0_S7_ifPKiS9_S9_iPKfiiiPfSC_PS2_PT2_iSB_SB_ ; -- Begin function _Z39paged_attention_ll4mi_QKV_mfma16_kernelIDF16_hLN4vllm18Fp8KVCacheDataTypeE1EhLi32ELi128ELi256ELb1ELi7EEvPKT_PKT0_S7_ifPKiS9_S9_iPKfiiiPfSC_PS2_PT2_iSB_SB_
	.globl	_Z39paged_attention_ll4mi_QKV_mfma16_kernelIDF16_hLN4vllm18Fp8KVCacheDataTypeE1EhLi32ELi128ELi256ELb1ELi7EEvPKT_PKT0_S7_ifPKiS9_S9_iPKfiiiPfSC_PS2_PT2_iSB_SB_
	.p2align	8
	.type	_Z39paged_attention_ll4mi_QKV_mfma16_kernelIDF16_hLN4vllm18Fp8KVCacheDataTypeE1EhLi32ELi128ELi256ELb1ELi7EEvPKT_PKT0_S7_ifPKiS9_S9_iPKfiiiPfSC_PS2_PT2_iSB_SB_,@function
_Z39paged_attention_ll4mi_QKV_mfma16_kernelIDF16_hLN4vllm18Fp8KVCacheDataTypeE1EhLi32ELi128ELi256ELb1ELi7EEvPKT_PKT0_S7_ifPKiS9_S9_iPKfiiiPfSC_PS2_PT2_iSB_SB_: ; @_Z39paged_attention_ll4mi_QKV_mfma16_kernelIDF16_hLN4vllm18Fp8KVCacheDataTypeE1EhLi32ELi128ELi256ELb1ELi7EEvPKT_PKT0_S7_ifPKiS9_S9_iPKfiiiPfSC_PS2_PT2_iSB_SB_
; %bb.0:
	s_load_dwordx2 s[10:11], s[0:1], 0x30
	s_mov_b32 s6, s3
	s_mov_b64 s[8:9], 0
	s_waitcnt lgkmcnt(0)
	s_cmp_lg_u64 s[10:11], 0
	s_cselect_b64 s[12:13], -1, 0
	s_and_b64 vcc, exec, s[12:13]
	s_cbranch_vccz .LBB1014_7
; %bb.1:
	s_add_i32 s14, s2, 1
	s_mov_b32 s15, 0
	s_lshl_b64 s[16:17], s[14:15], 2
	s_add_u32 s16, s10, s16
	s_mov_b32 s3, s15
	s_addc_u32 s17, s11, s17
	s_lshl_b64 s[14:15], s[2:3], 2
	s_add_u32 s14, s10, s14
	s_addc_u32 s15, s11, s15
	s_load_dword s5, s[16:17], 0x0
	s_load_dword s7, s[14:15], 0x0
	s_waitcnt lgkmcnt(0)
	s_sub_i32 s5, s5, s7
	s_cmp_eq_u32 s5, 1
	s_cselect_b64 s[14:15], -1, 0
	s_andn2_b64 vcc, exec, s[8:9]
	s_cbranch_vccnz .LBB1014_3
.LBB1014_2:
	s_mov_b32 s3, 0
	s_mov_b64 s[14:15], -1
.LBB1014_3:
	s_andn2_b64 vcc, exec, s[14:15]
	s_cbranch_vccnz .LBB1014_20
; %bb.4:
	s_load_dwordx2 s[8:9], s[0:1], 0x28
	s_lshl_b64 s[16:17], s[2:3], 2
	s_waitcnt lgkmcnt(0)
	s_add_u32 s8, s8, s16
	s_addc_u32 s9, s9, s17
	s_load_dword s7, s[8:9], 0x0
	s_lshl_b32 s18, s6, 8
	s_waitcnt lgkmcnt(0)
	s_cmp_ge_i32 s18, s7
	s_cbranch_scc1 .LBB1014_20
; %bb.5:
	s_load_dwordx2 s[8:9], s[0:1], 0x20
	s_load_dword s5, s[0:1], 0x38
	s_add_i32 s14, s7, 31
	s_ashr_i32 s15, s14, 31
	v_and_b32_e32 v1, 0xcf, v0
	s_lshr_b32 s15, s15, 27
	v_add_u32_e32 v1, s18, v1
	s_add_i32 s14, s14, s15
	v_ashrrev_i32_e32 v2, 31, v1
	s_ashr_i32 s19, s14, 5
	v_lshrrev_b32_e32 v4, 27, v2
	s_add_i32 s19, s19, -1
	s_waitcnt lgkmcnt(0)
	s_mul_i32 s14, s2, s5
	s_mov_b32 s15, 0
	v_add_u32_e32 v2, v1, v4
	s_lshl_b64 s[14:15], s[14:15], 2
	v_ashrrev_i32_e32 v2, 5, v2
	v_mov_b32_e32 v5, s19
	v_cmp_gt_i32_e32 vcc, s7, v1
	s_add_u32 s8, s8, s14
	s_addc_u32 s9, s9, s15
	v_cndmask_b32_e32 v2, v5, v2, vcc
	v_ashrrev_i32_e32 v3, 31, v2
	v_lshl_add_u64 v[6:7], v[2:3], 2, s[8:9]
	v_or_b32_e32 v2, 16, v1
	v_add_u32_e32 v3, v2, v4
	v_ashrrev_i32_e32 v3, 5, v3
	v_cmp_gt_i32_e32 vcc, s7, v2
	s_load_dwordx2 s[14:15], s[0:1], 0x8
	s_nop 0
	v_cndmask_b32_e32 v2, v5, v3, vcc
	v_ashrrev_i32_e32 v3, 31, v2
	v_lshl_add_u64 v[8:9], v[2:3], 2, s[8:9]
	v_or_b32_e32 v2, 32, v1
	v_add_u32_e32 v3, v2, v4
	v_ashrrev_i32_e32 v3, 5, v3
	v_cmp_gt_i32_e32 vcc, s7, v2
	v_or_b32_e32 v1, 48, v1
	s_nop 0
	v_cndmask_b32_e32 v2, v5, v3, vcc
	v_ashrrev_i32_e32 v3, 31, v2
	v_lshl_add_u64 v[12:13], v[2:3], 2, s[8:9]
	v_add_u32_e32 v2, v1, v4
	v_ashrrev_i32_e32 v2, 5, v2
	v_cmp_gt_i32_e32 vcc, s7, v1
	s_nop 1
	v_cndmask_b32_e32 v2, v5, v2, vcc
	v_ashrrev_i32_e32 v3, 31, v2
	v_lshl_add_u64 v[14:15], v[2:3], 2, s[8:9]
	global_load_dword v4, v[6:7], off
	global_load_dword v3, v[8:9], off
	global_load_dword v2, v[12:13], off
	global_load_dword v10, v[14:15], off
	s_andn2_b64 vcc, exec, s[12:13]
	s_cbranch_vccnz .LBB1014_8
; %bb.6:
	s_add_u32 s10, s10, s16
	s_addc_u32 s11, s11, s17
	s_load_dword s5, s[10:11], 0x0
	s_branch .LBB1014_9
.LBB1014_7:
	s_mov_b64 s[14:15], 0
	s_branch .LBB1014_2
.LBB1014_8:
	s_mov_b32 s5, s2
.LBB1014_9:
	s_load_dwordx2 s[10:11], s[0:1], 0x10
	s_load_dwordx4 s[44:47], s[0:1], 0x48
	v_lshrrev_b32_e32 v57, 6, v0
	v_bfe_u32 v62, v0, 4, 2
	v_and_b32_e32 v56, 15, v0
	v_lshl_or_b32 v5, v57, 2, v62
	v_lshlrev_b32_e32 v1, 3, v56
	s_mul_i32 s48, s4, 7
	v_cmp_gt_u32_e32 vcc, 7, v5
	v_lshlrev_b32_e32 v54, 1, v1
	v_lshlrev_b32_e32 v1, 4, v0
	s_and_saveexec_b64 s[12:13], vcc
	s_cbranch_execz .LBB1014_11
; %bb.10:
	s_load_dwordx2 s[16:17], s[0:1], 0x0
	s_waitcnt lgkmcnt(0)
	s_ashr_i32 s20, s44, 31
	s_mul_hi_u32 s21, s5, s44
	s_mul_i32 s20, s5, s20
	s_add_i32 s21, s21, s20
	s_mul_i32 s20, s5, s44
	s_lshl_b64 s[20:21], s[20:21], 1
	s_add_u32 s16, s16, s20
	v_add_lshl_u32 v6, v5, s48, 7
	s_addc_u32 s17, s17, s21
	v_ashrrev_i32_e32 v7, 31, v6
	v_lshl_add_u64 v[6:7], v[6:7], 1, s[16:17]
	v_mov_b32_e32 v55, 0
	v_lshl_add_u64 v[6:7], v[6:7], 0, v[54:55]
	global_load_dwordx4 v[6:9], v[6:7], off
	v_lshlrev_b32_e32 v12, 8, v0
	v_lshlrev_b32_e32 v11, 8, v56
	v_and_b32_e32 v12, 0x600, v12
	s_movk_i32 s5, 0x800
	v_and_or_b32 v11, v11, s5, v12
	v_lshlrev_b32_e32 v5, 5, v5
	v_and_b32_e32 v12, 16, v1
	v_or3_b32 v5, v11, v5, v12
	s_waitcnt vmcnt(0)
	ds_write_b128 v5, v[6:9]
.LBB1014_11:
	s_or_b64 exec, exec, s[12:13]
	s_waitcnt lgkmcnt(0)
	s_mul_i32 s12, s4, s46
	s_add_u32 s4, s14, s12
	s_addc_u32 s5, s15, 0
	v_mov_b32_e32 v59, 0
	v_mov_b64_e32 v[12:13], s[4:5]
	v_and_b32_e32 v34, 48, v0
	s_waitcnt vmcnt(3)
	v_mad_i64_i32 v[4:5], s[4:5], v4, s45, v[12:13]
	v_lshlrev_b32_e32 v14, 4, v56
	v_mov_b32_e32 v15, v59
	v_lshlrev_b32_e32 v58, 5, v34
	v_lshl_add_u64 v[4:5], v[4:5], 0, v[14:15]
	v_lshl_add_u64 v[4:5], v[4:5], 0, v[58:59]
	s_barrier
	global_load_dwordx4 v[50:53], v[4:5], off
	global_load_dwordx4 v[46:49], v[4:5], off offset:2048
	s_waitcnt vmcnt(4)
	v_mad_i64_i32 v[4:5], s[4:5], v3, s45, v[12:13]
	v_or_b32_e32 v16, 0x100, v14
	v_mov_b32_e32 v17, v59
	s_waitcnt vmcnt(3)
	v_mad_i64_i32 v[2:3], s[4:5], v2, s45, v[12:13]
	v_lshl_add_u64 v[4:5], v[4:5], 0, v[16:17]
	v_lshl_add_u64 v[2:3], v[2:3], 0, v[14:15]
	s_waitcnt vmcnt(2)
	v_mad_i64_i32 v[10:11], s[4:5], v10, s45, v[12:13]
	v_lshl_add_u64 v[4:5], v[4:5], 0, v[58:59]
	v_lshl_add_u64 v[14:15], v[2:3], 0, v[58:59]
	;; [unrolled: 1-line block ×3, first 2 shown]
	global_load_dwordx4 v[36:39], v[4:5], off
	global_load_dwordx4 v[6:9], v[4:5], off offset:2048
	s_nop 0
	global_load_dwordx4 v[2:5], v[14:15], off
	global_load_dwordx4 v[42:45], v[14:15], off offset:2048
	v_lshl_add_u64 v[14:15], v[10:11], 0, v[58:59]
	global_load_dwordx4 v[26:29], v[14:15], off
	global_load_dwordx4 v[10:13], v[14:15], off offset:2048
	v_mul_lo_u16_e32 v14, 37, v56
	v_mov_b32_e32 v15, 7
	v_mul_lo_u16_sdwa v14, v14, v15 dst_sel:DWORD dst_unused:UNUSED_PAD src0_sel:BYTE_1 src1_sel:DWORD
	v_sub_u16_e32 v14, v56, v14
	v_mov_b32_e32 v15, 5
	v_lshlrev_b32_sdwa v14, v15, v14 dst_sel:DWORD dst_unused:UNUSED_PAD src0_sel:DWORD src1_sel:BYTE_0
	v_lshl_add_u32 v14, v62, 9, v14
	ds_read_b128 v[30:33], v14
	ds_read_b128 v[22:25], v14 offset:16
	ds_read_b128 v[18:21], v14 offset:2048
	;; [unrolled: 1-line block ×3, first 2 shown]
	v_and_b32_e32 v55, 63, v0
	v_cmp_gt_u32_e32 vcc, 7, v56
	v_mov_b32_e32 v63, 0
	s_and_saveexec_b64 s[4:5], vcc
	s_cbranch_execz .LBB1014_13
; %bb.12:
	s_load_dwordx2 s[14:15], s[0:1], 0x40
	v_add_u32_e32 v40, s48, v56
	v_ashrrev_i32_e32 v41, 31, v40
	s_waitcnt lgkmcnt(0)
	v_lshl_add_u64 v[40:41], v[40:41], 2, s[14:15]
	global_load_dword v63, v[40:41], off
.LBB1014_13:
	s_or_b64 exec, exec, s[4:5]
	s_ashr_i32 s4, s18, 31
	v_or_b32_e32 v58, s18, v34
	s_lshr_b32 s4, s4, 27
	v_add_u32_e32 v34, s4, v58
	v_cmp_gt_i32_e32 vcc, s7, v58
	v_or_b32_e32 v40, 64, v58
	v_or_b32_e32 v60, 0x80, v58
	;; [unrolled: 1-line block ×3, first 2 shown]
	v_add_u32_e32 v64, s4, v58
	v_ashrrev_i32_e32 v69, 5, v64
	s_waitcnt vmcnt(7)
	v_cvt_pk_f32_fp8_e32 v[64:65], v50
	v_cvt_pk_f32_fp8_sdwa v[66:67], v50 src0_sel:WORD_1
	v_cvt_pk_f32_fp8_e32 v[70:71], v51
	v_cvt_pk_f32_fp8_sdwa v[50:51], v51 src0_sel:WORD_1
	v_cvt_pkrtz_f16_f32 v64, v64, v65
	v_cvt_pkrtz_f16_f32 v65, v66, v67
	;; [unrolled: 1-line block ×3, first 2 shown]
	v_cvt_pk_f32_fp8_e32 v[72:73], v52
	v_cvt_pk_f32_fp8_sdwa v[74:75], v52 src0_sel:WORD_1
	v_cvt_pkrtz_f16_f32 v71, v50, v51
	s_waitcnt lgkmcnt(3)
	v_mfma_f32_16x16x16_f16 v[64:67], v[64:65], v[30:31], 0
	v_cvt_pkrtz_f16_f32 v72, v72, v73
	v_cvt_pkrtz_f16_f32 v73, v74, v75
	v_cvt_pk_f32_fp8_e32 v[74:75], v53
	v_cvt_pk_f32_fp8_sdwa v[76:77], v53 src0_sel:WORD_1
	v_mfma_f32_16x16x16_f16 v[50:53], v[70:71], v[32:33], v[64:67]
	v_ashrrev_i32_e32 v34, 5, v34
	v_mov_b32_e32 v68, s19
	v_add_u32_e32 v41, s4, v40
	v_cndmask_b32_e32 v34, v68, v34, vcc
	v_ashrrev_i32_e32 v41, 5, v41
	v_cmp_gt_i32_e32 vcc, s7, v40
	v_add_u32_e32 v61, s4, v60
	v_cvt_pkrtz_f16_f32 v64, v74, v75
	v_cvt_pkrtz_f16_f32 v65, v76, v77
	v_cndmask_b32_e32 v40, v68, v41, vcc
	v_ashrrev_i32_e32 v61, 5, v61
	v_cmp_gt_i32_e32 vcc, s7, v60
	s_waitcnt lgkmcnt(2)
	v_mfma_f32_16x16x16_f16 v[50:53], v[72:73], v[22:23], v[50:53]
	s_waitcnt vmcnt(6)
	v_cvt_pk_f32_fp8_e32 v[66:67], v46
	v_cndmask_b32_e32 v60, v68, v61, vcc
	v_cmp_gt_i32_e32 vcc, s7, v58
	v_ashrrev_i32_e32 v35, 31, v34
	v_lshl_add_u64 v[34:35], v[34:35], 2, s[8:9]
	v_cndmask_b32_e32 v68, v68, v69, vcc
	v_ashrrev_i32_e32 v41, 31, v40
	v_ashrrev_i32_e32 v61, 31, v60
	;; [unrolled: 1-line block ×3, first 2 shown]
	v_lshl_add_u64 v[40:41], v[40:41], 2, s[8:9]
	v_lshl_add_u64 v[60:61], v[60:61], 2, s[8:9]
	;; [unrolled: 1-line block ×3, first 2 shown]
	v_mfma_f32_16x16x16_f16 v[50:53], v[64:65], v[24:25], v[50:53]
	v_cvt_pkrtz_f16_f32 v74, v66, v67
	global_load_dword v68, v[34:35], off
	global_load_dword v66, v[40:41], off
	;; [unrolled: 1-line block ×4, first 2 shown]
	v_cvt_pk_f32_fp8_sdwa v[70:71], v46 src0_sel:WORD_1
	v_cvt_pk_f32_fp8_e32 v[40:41], v48
	s_waitcnt vmcnt(9)
	v_cvt_pk_f32_fp8_e32 v[60:61], v36
	s_add_u32 s4, s10, s12
	v_cvt_pkrtz_f16_f32 v75, v70, v71
	v_cvt_pk_f32_fp8_e32 v[70:71], v47
	v_cvt_pk_f32_fp8_sdwa v[46:47], v47 src0_sel:WORD_1
	s_waitcnt lgkmcnt(1)
	v_mfma_f32_16x16x16_f16 v[50:53], v[74:75], v[18:19], v[50:53]
	v_cvt_pkrtz_f16_f32 v34, v70, v71
	v_cvt_pkrtz_f16_f32 v35, v46, v47
	v_cvt_pk_f32_fp8_sdwa v[46:47], v48 src0_sel:WORD_1
	v_cvt_pkrtz_f16_f32 v40, v40, v41
	v_mfma_f32_16x16x16_f16 v[50:53], v[34:35], v[20:21], v[50:53]
	v_cvt_pkrtz_f16_f32 v41, v46, v47
	v_cvt_pk_f32_fp8_e32 v[34:35], v49
	v_cvt_pk_f32_fp8_sdwa v[46:47], v49 src0_sel:WORD_1
	v_cvt_pk_f32_fp8_sdwa v[70:71], v36 src0_sel:WORD_1
	s_addc_u32 s5, s11, 0
	v_cvt_pkrtz_f16_f32 v34, v34, v35
	v_cvt_pkrtz_f16_f32 v35, v46, v47
	s_waitcnt lgkmcnt(0)
	v_mfma_f32_16x16x16_f16 v[46:49], v[40:41], v[14:15], v[50:53]
	v_cvt_pkrtz_f16_f32 v40, v60, v61
	v_cvt_pkrtz_f16_f32 v41, v70, v71
	s_waitcnt vmcnt(8)
	v_cvt_pk_f32_fp8_sdwa v[60:61], v6 src0_sel:WORD_1
	v_cvt_pk_f32_fp8_e32 v[50:51], v37
	v_cvt_pk_f32_fp8_sdwa v[52:53], v37 src0_sel:WORD_1
	v_mfma_f32_16x16x16_f16 v[34:37], v[34:35], v[16:17], v[46:49]
	v_and_b32_e32 v58, 16, v0
	v_cvt_pkrtz_f16_f32 v50, v50, v51
	v_cvt_pkrtz_f16_f32 v51, v52, v53
	v_mfma_f32_16x16x16_f16 v[46:49], v[40:41], v[30:31], 0
	v_cvt_pk_f32_fp8_e32 v[40:41], v38
	v_cvt_pk_f32_fp8_sdwa v[52:53], v38 src0_sel:WORD_1
	v_lshl_or_b32 v64, v57, 4, v56
	v_mfma_f32_16x16x16_f16 v[46:49], v[50:51], v[32:33], v[46:49]
	v_cvt_pk_f32_fp8_e32 v[50:51], v39
	v_cvt_pkrtz_f16_f32 v40, v40, v41
	v_cvt_pkrtz_f16_f32 v41, v52, v53
	v_cvt_pk_f32_fp8_sdwa v[38:39], v39 src0_sel:WORD_1
	v_cvt_pkrtz_f16_f32 v50, v50, v51
	v_cvt_pk_f32_fp8_e32 v[52:53], v6
	s_waitcnt vmcnt(6)
	v_cvt_pk_f32_fp8_e32 v[74:75], v43
	v_cvt_pkrtz_f16_f32 v51, v38, v39
	v_mfma_f32_16x16x16_f16 v[38:41], v[40:41], v[22:23], v[46:49]
	s_nop 2
	v_cvt_pkrtz_f16_f32 v48, v52, v53
	v_cvt_pkrtz_f16_f32 v49, v60, v61
	v_cvt_pk_f32_fp8_e32 v[52:53], v7
	v_cvt_pk_f32_fp8_sdwa v[6:7], v7 src0_sel:WORD_1
	v_mfma_f32_16x16x16_f16 v[38:41], v[50:51], v[24:25], v[38:41]
	v_lshl_add_u64 v[46:47], s[4:5], 0, v[58:59]
	v_cvt_pkrtz_f16_f32 v50, v52, v53
	v_cvt_pkrtz_f16_f32 v51, v6, v7
	v_mfma_f32_16x16x16_f16 v[38:41], v[48:49], v[18:19], v[38:41]
	v_cvt_pk_f32_fp8_e32 v[6:7], v8
	v_cvt_pk_f32_fp8_sdwa v[48:49], v8 src0_sel:WORD_1
	v_cvt_pk_f32_fp8_sdwa v[52:53], v2 src0_sel:WORD_1
	v_mfma_f32_16x16x16_f16 v[38:41], v[50:51], v[20:21], v[38:41]
	v_cvt_pk_f32_fp8_e32 v[50:51], v9
	v_cvt_pkrtz_f16_f32 v6, v6, v7
	v_cvt_pkrtz_f16_f32 v7, v48, v49
	v_cvt_pk_f32_fp8_sdwa v[8:9], v9 src0_sel:WORD_1
	v_cvt_pkrtz_f16_f32 v48, v50, v51
	v_cvt_pk_f32_fp8_e32 v[50:51], v2
	v_lshlrev_b32_e32 v58, 5, v64
	v_cvt_pkrtz_f16_f32 v49, v8, v9
	v_mfma_f32_16x16x16_f16 v[6:9], v[6:7], v[14:15], v[38:41]
	v_cvt_pkrtz_f16_f32 v50, v50, v51
	v_cvt_pkrtz_f16_f32 v51, v52, v53
	v_cvt_pk_f32_fp8_e32 v[52:53], v3
	v_cvt_pk_f32_fp8_sdwa v[2:3], v3 src0_sel:WORD_1
	v_mfma_f32_16x16x16_f16 v[38:41], v[48:49], v[16:17], v[6:9]
	v_lshl_add_u64 v[48:49], v[46:47], 0, v[58:59]
	v_cvt_pkrtz_f16_f32 v52, v52, v53
	v_cvt_pkrtz_f16_f32 v53, v2, v3
	v_mfma_f32_16x16x16_f16 v[6:9], v[50:51], v[30:31], 0
	v_cvt_pk_f32_fp8_e32 v[2:3], v4
	v_cvt_pk_f32_fp8_sdwa v[50:51], v4 src0_sel:WORD_1
	s_waitcnt vmcnt(3)
	v_mad_i64_i32 v[60:61], s[4:5], v68, s45, v[48:49]
	v_cvt_pkrtz_f16_f32 v2, v2, v3
	v_cvt_pkrtz_f16_f32 v3, v50, v51
	v_mfma_f32_16x16x16_f16 v[6:9], v[52:53], v[32:33], v[6:9]
	v_cvt_pk_f32_fp8_e32 v[50:51], v5
	v_cvt_pk_f32_fp8_sdwa v[4:5], v5 src0_sel:WORD_1
	s_waitcnt vmcnt(2)
	v_mad_i64_i32 v[70:71], s[4:5], v66, s45, v[48:49]
	v_cvt_pkrtz_f16_f32 v50, v50, v51
	v_cvt_pkrtz_f16_f32 v51, v4, v5
	v_mfma_f32_16x16x16_f16 v[2:5], v[2:3], v[22:23], v[6:9]
	v_or_b32_e32 v58, 0x800, v58
	s_nop 1
	v_cvt_pk_f32_fp8_e32 v[6:7], v42
	v_cvt_pk_f32_fp8_sdwa v[8:9], v42 src0_sel:WORD_1
	v_cvt_pk_f32_fp8_sdwa v[42:43], v43 src0_sel:WORD_1
	v_mfma_f32_16x16x16_f16 v[50:53], v[50:51], v[24:25], v[2:5]
	v_cvt_pkrtz_f16_f32 v72, v6, v7
	v_cvt_pkrtz_f16_f32 v73, v8, v9
	global_load_dwordx4 v[6:9], v[60:61], off
	global_load_dwordx4 v[2:5], v[70:71], off
	v_cvt_pkrtz_f16_f32 v60, v74, v75
	v_cvt_pkrtz_f16_f32 v61, v42, v43
	v_mfma_f32_16x16x16_f16 v[70:73], v[72:73], v[18:19], v[50:53]
	v_cvt_pk_f32_fp8_e32 v[42:43], v44
	v_cvt_pkrtz_f16_f32 v42, v42, v43
	s_nop 0
	v_cvt_pk_f32_fp8_sdwa v[52:53], v44 src0_sel:WORD_1
	v_mfma_f32_16x16x16_f16 v[70:73], v[60:61], v[20:21], v[70:73]
	v_cvt_pk_f32_fp8_e32 v[60:61], v45
	s_waitcnt vmcnt(3)
	v_mad_i64_i32 v[50:51], s[4:5], v67, s45, v[48:49]
	s_load_dword s4, s[0:1], 0x1c
	s_load_dwordx4 s[40:43], s[0:1], 0x80
	v_cvt_pkrtz_f16_f32 v43, v52, v53
	v_cvt_pkrtz_f16_f32 v74, v60, v61
	v_cvt_pk_f32_fp8_e32 v[52:53], v26
	v_cvt_pk_f32_fp8_sdwa v[60:61], v26 src0_sel:WORD_1
	s_load_dword s33, s[0:1], 0x98
	s_waitcnt lgkmcnt(0)
	s_load_dword s5, s[40:41], 0x0
	v_cvt_pk_f32_fp8_sdwa v[44:45], v45 src0_sel:WORD_1
	v_cvt_pkrtz_f16_f32 v52, v52, v53
	v_cvt_pkrtz_f16_f32 v53, v60, v61
	v_cvt_pk_f32_fp8_e32 v[60:61], v27
	v_cvt_pk_f32_fp8_sdwa v[26:27], v27 src0_sel:WORD_1
	v_cvt_pkrtz_f16_f32 v75, v44, v45
	v_mfma_f32_16x16x16_f16 v[42:45], v[42:43], v[14:15], v[70:73]
	v_cvt_pkrtz_f16_f32 v60, v60, v61
	v_cvt_pkrtz_f16_f32 v61, v26, v27
	v_mov_b32_e32 v26, s4
	v_mfma_f32_16x16x16_f16 v[70:73], v[52:53], v[30:31], 0
	s_waitcnt lgkmcnt(0)
	v_mul_f32_e32 v52, s5, v26
	v_cvt_pk_f32_fp8_e32 v[26:27], v28
	v_cvt_pk_f32_fp8_sdwa v[30:31], v28 src0_sel:WORD_1
	v_mfma_f32_16x16x16_f16 v[70:73], v[60:61], v[32:33], v[70:73]
	v_cvt_pk_f32_fp8_e32 v[32:33], v29
	v_cvt_pk_f32_fp8_sdwa v[28:29], v29 src0_sel:WORD_1
	v_cvt_pkrtz_f16_f32 v26, v26, v27
	v_cvt_pkrtz_f16_f32 v27, v30, v31
	v_mfma_f32_16x16x16_f16 v[42:45], v[74:75], v[16:17], v[42:45]
	v_cvt_pkrtz_f16_f32 v32, v32, v33
	v_cvt_pkrtz_f16_f32 v33, v28, v29
	v_cvt_pk_f32_fp8_e32 v[60:61], v10
	v_cvt_pk_f32_fp8_sdwa v[74:75], v10 src0_sel:WORD_1
	v_mfma_f32_16x16x16_f16 v[26:29], v[26:27], v[22:23], v[70:73]
	v_pk_mul_f32 v[30:31], v[52:53], v[36:37] op_sel_hi:[0,1]
	v_cvt_pkrtz_f16_f32 v36, v60, v61
	v_cvt_pkrtz_f16_f32 v37, v74, v75
	v_cvt_pk_f32_fp8_e32 v[60:61], v11
	v_cvt_pk_f32_fp8_sdwa v[70:71], v11 src0_sel:WORD_1
	v_mfma_f32_16x16x16_f16 v[22:25], v[32:33], v[24:25], v[26:29]
	v_pk_mul_f32 v[10:11], v[52:53], v[34:35] op_sel_hi:[0,1]
	v_cvt_pkrtz_f16_f32 v60, v60, v61
	v_cvt_pkrtz_f16_f32 v61, v70, v71
	v_mfma_f32_16x16x16_f16 v[32:35], v[36:37], v[18:19], v[22:25]
	v_cvt_pk_f32_fp8_e32 v[18:19], v12
	v_cvt_pk_f32_fp8_sdwa v[36:37], v12 src0_sel:WORD_1
	s_waitcnt vmcnt(2)
	v_mad_i64_i32 v[48:49], s[8:9], v65, s45, v[48:49]
	global_load_dwordx4 v[26:29], v[50:51], off
	global_load_dwordx4 v[22:25], v[48:49], off
	v_cvt_pkrtz_f16_f32 v48, v18, v19
	v_cvt_pkrtz_f16_f32 v49, v36, v37
	v_cvt_pk_f32_fp8_e32 v[36:37], v13
	v_cvt_pk_f32_fp8_sdwa v[12:13], v13 src0_sel:WORD_1
	v_mfma_f32_16x16x16_f16 v[18:21], v[60:61], v[20:21], v[32:35]
	v_pk_mul_f32 v[40:41], v[52:53], v[40:41] op_sel_hi:[0,1]
	v_pk_mul_f32 v[42:43], v[52:53], v[42:43] op_sel_hi:[0,1]
	s_mov_b32 s40, 0xff7fffff
	v_cvt_pkrtz_f16_f32 v32, v36, v37
	v_cvt_pkrtz_f16_f32 v33, v12, v13
	v_mfma_f32_16x16x16_f16 v[12:15], v[48:49], v[14:15], v[18:21]
	v_pk_mul_f32 v[48:49], v[52:53], v[38:39] op_sel_hi:[0,1]
	v_pk_mul_f32 v[38:39], v[52:53], v[44:45] op_sel_hi:[0,1]
	v_mfma_f32_16x16x16_f16 v[12:15], v[32:33], v[16:17], v[12:15]
	s_nop 6
	v_pk_mul_f32 v[36:37], v[52:53], v[12:13] op_sel_hi:[0,1]
	v_and_b32_e32 v12, 0xc0, v0
	v_add_u32_e32 v12, s18, v12
	v_lshl_or_b32 v12, v62, 2, v12
	v_or_b32_e32 v13, 1, v12
	v_pk_mul_f32 v[34:35], v[52:53], v[14:15] op_sel_hi:[0,1]
	v_subrev_u32_e32 v14, s7, v13
	v_add_u32_e32 v16, 1, v14
	v_add_u32_e32 v17, 2, v14
	v_cvt_f32_i32_e32 v15, v14
	v_cvt_f32_i32_e32 v16, v16
	;; [unrolled: 1-line block ×3, first 2 shown]
	v_add_u32_e32 v18, 3, v14
	v_fma_f32 v10, v63, v15, v10
	v_fmac_f32_e32 v11, v63, v16
	v_fma_f32 v51, v63, v17, v30
	v_add_u32_e32 v15, 16, v14
	v_add_u32_e32 v16, 17, v14
	v_add_u32_e32 v17, 18, v14
	v_cvt_f32_i32_e32 v18, v18
	v_cvt_f32_i32_e32 v15, v15
	;; [unrolled: 1-line block ×4, first 2 shown]
	v_fmac_f32_e32 v31, v63, v18
	v_add_u32_e32 v18, 19, v14
	v_fma_f32 v48, v63, v15, v48
	v_fmac_f32_e32 v49, v63, v16
	v_fma_f32 v40, v63, v17, v40
	v_add_u32_e32 v15, 32, v14
	v_add_u32_e32 v16, 33, v14
	v_add_u32_e32 v17, 34, v14
	v_cvt_f32_i32_e32 v18, v18
	v_cvt_f32_i32_e32 v15, v15
	;; [unrolled: 1-line block ×4, first 2 shown]
	v_fmac_f32_e32 v41, v63, v18
	v_add_u32_e32 v18, 35, v14
	v_fma_f32 v42, v63, v15, v42
	v_fmac_f32_e32 v43, v63, v16
	v_fma_f32 v38, v63, v17, v38
	v_add_u32_e32 v15, 48, v14
	v_add_u32_e32 v16, 49, v14
	;; [unrolled: 1-line block ×4, first 2 shown]
	v_cvt_f32_i32_e32 v14, v14
	v_cvt_f32_i32_e32 v15, v15
	;; [unrolled: 1-line block ×3, first 2 shown]
	v_cmp_gt_i32_e64 s[8:9], s7, v12
	v_fmac_f32_e32 v35, v63, v14
	v_mov_b32_e32 v14, 0xff7fffff
	v_cmp_gt_i32_e64 s[10:11], s7, v13
	v_fma_f32 v36, v63, v15, v36
	v_cndmask_b32_e64 v15, v14, v10, s[8:9]
	v_cndmask_b32_e64 v13, v14, v11, s[10:11]
	v_fmac_f32_e32 v37, v63, v16
	v_max3_f32 v13, v15, s40, v13
	v_or_b32_e32 v15, 2, v12
	v_or_b32_e32 v16, 3, v12
	v_cmp_gt_i32_e64 s[12:13], s7, v15
	v_cmp_gt_i32_e64 s[14:15], s7, v16
	v_cvt_f32_i32_e32 v18, v18
	v_cndmask_b32_e64 v15, v14, v51, s[12:13]
	v_cndmask_b32_e64 v16, v14, v31, s[14:15]
	v_max3_f32 v13, v13, v15, v16
	v_or_b32_e32 v15, 16, v12
	v_or_b32_e32 v16, 17, v12
	v_cmp_gt_i32_e64 s[16:17], s7, v15
	v_cmp_gt_i32_e64 s[18:19], s7, v16
	v_fmac_f32_e32 v39, v63, v18
	v_cndmask_b32_e64 v15, v14, v48, s[16:17]
	v_cndmask_b32_e64 v16, v14, v49, s[18:19]
	v_max3_f32 v13, v13, v15, v16
	v_or_b32_e32 v15, 18, v12
	v_or_b32_e32 v16, 19, v12
	v_cmp_gt_i32_e64 s[20:21], s7, v15
	v_cmp_gt_i32_e64 s[22:23], s7, v16
	v_cvt_f32_i32_e32 v17, v17
	v_cndmask_b32_e64 v15, v14, v40, s[20:21]
	v_cndmask_b32_e64 v16, v14, v41, s[22:23]
	v_max3_f32 v13, v13, v15, v16
	v_or_b32_e32 v15, 32, v12
	v_or_b32_e32 v16, 33, v12
	v_cmp_gt_i32_e64 s[24:25], s7, v15
	v_cmp_gt_i32_e64 s[26:27], s7, v16
	v_fma_f32 v34, v63, v17, v34
	v_cndmask_b32_e64 v15, v14, v42, s[24:25]
	v_cndmask_b32_e64 v16, v14, v43, s[26:27]
	v_max3_f32 v13, v13, v15, v16
	v_or_b32_e32 v15, 34, v12
	v_or_b32_e32 v16, 35, v12
	v_cmp_gt_i32_e64 s[28:29], s7, v15
	v_cmp_gt_i32_e64 s[30:31], s7, v16
	s_nop 0
	v_cndmask_b32_e64 v15, v14, v38, s[28:29]
	v_cndmask_b32_e64 v16, v14, v39, s[30:31]
	v_max3_f32 v13, v13, v15, v16
	v_or_b32_e32 v15, 48, v12
	v_or_b32_e32 v16, 49, v12
	v_cmp_gt_i32_e64 s[34:35], s7, v15
	v_cmp_gt_i32_e64 s[36:37], s7, v16
	s_nop 0
	v_cndmask_b32_e64 v15, v14, v36, s[34:35]
	v_cndmask_b32_e64 v16, v14, v37, s[36:37]
	v_max3_f32 v13, v13, v15, v16
	v_or_b32_e32 v15, 50, v12
	v_or_b32_e32 v12, 51, v12
	v_cmp_gt_i32_e32 vcc, s7, v15
	v_cmp_gt_i32_e64 s[4:5], s7, v12
	s_nop 0
	v_cndmask_b32_e32 v15, v14, v34, vcc
	v_cndmask_b32_e64 v12, v14, v35, s[4:5]
	v_max3_f32 v16, v13, v15, v12
	v_mbcnt_lo_u32_b32 v12, -1, 0
	v_mbcnt_hi_u32_b32 v17, -1, v12
	v_and_b32_e32 v12, 64, v17
	v_add_u32_e32 v18, 64, v12
	v_xor_b32_e32 v12, 32, v17
	v_cmp_lt_i32_e64 s[38:39], v12, v18
	s_nop 1
	v_cndmask_b32_e64 v12, v17, v12, s[38:39]
	v_lshlrev_b32_e32 v52, 2, v12
	ds_bpermute_b32 v19, v52, v16
	v_lshl_add_u64 v[12:13], v[46:47], 0, v[58:59]
	v_mad_i64_i32 v[14:15], s[38:39], v68, s45, v[12:13]
	s_waitcnt lgkmcnt(0)
	v_max_f32_e32 v19, v19, v19
	v_max_f32_e32 v19, v16, v19
	v_xor_b32_e32 v16, 16, v17
	v_cmp_lt_i32_e64 s[38:39], v16, v18
	s_nop 1
	v_cndmask_b32_e64 v16, v17, v16, s[38:39]
	v_lshlrev_b32_e32 v53, 2, v16
	ds_bpermute_b32 v18, v53, v19
	v_mad_i64_i32 v[16:17], s[38:39], v66, s45, v[12:13]
	v_mad_i64_i32 v[44:45], s[38:39], v67, s45, v[12:13]
	s_waitcnt lgkmcnt(0)
	v_max_f32_e32 v18, v18, v18
	v_max_f32_e32 v50, v19, v18
	v_sub_f32_e32 v10, v10, v50
	v_mul_f32_e32 v10, 0x3fb8aa3b, v10
	v_exp_f32_e32 v18, v10
	v_sub_f32_e32 v10, v11, v50
	v_mul_f32_e32 v10, 0x3fb8aa3b, v10
	v_exp_f32_e32 v19, v10
	v_mad_i64_i32 v[10:11], s[38:39], v65, s45, v[12:13]
	v_sub_f32_e32 v12, v51, v50
	v_mul_f32_e32 v12, 0x3fb8aa3b, v12
	v_cndmask_b32_e64 v46, 0, v18, s[8:9]
	v_cndmask_b32_e64 v47, 0, v19, s[10:11]
	v_sub_f32_e32 v58, v31, v50
	global_load_dwordx4 v[30:33], v[14:15], off
	global_load_dwordx4 v[18:21], v[16:17], off
	v_exp_f32_e32 v51, v12
	global_load_dwordx4 v[14:17], v[44:45], off
	s_nop 0
	global_load_dwordx4 v[10:13], v[10:11], off
	v_sub_f32_e32 v45, v48, v50
	v_sub_f32_e32 v48, v49, v50
	;; [unrolled: 1-line block ×4, first 2 shown]
	v_mul_f32_e32 v44, 0x3fb8aa3b, v58
	v_mul_f32_e32 v45, 0x3fb8aa3b, v45
	;; [unrolled: 1-line block ×5, first 2 shown]
	v_exp_f32_e32 v44, v44
	v_exp_f32_e32 v45, v45
	;; [unrolled: 1-line block ×3, first 2 shown]
	v_cndmask_b32_e64 v48, 0, v51, s[12:13]
	v_exp_f32_e32 v40, v40
	v_exp_f32_e32 v51, v42
	v_sub_f32_e32 v42, v43, v50
	v_mul_f32_e32 v42, 0x3fb8aa3b, v42
	v_cndmask_b32_e64 v49, 0, v44, s[14:15]
	v_cndmask_b32_e64 v44, 0, v45, s[16:17]
	;; [unrolled: 1-line block ×3, first 2 shown]
	v_sub_f32_e32 v41, v41, v50
	v_exp_f32_e32 v58, v42
	v_cndmask_b32_e64 v42, 0, v40, s[20:21]
	v_cndmask_b32_e64 v40, 0, v51, s[24:25]
	v_add_f32_e32 v51, 0, v46
	v_mul_f32_e32 v41, 0x3fb8aa3b, v41
	v_add_f32_e32 v51, v51, v47
	v_exp_f32_e32 v41, v41
	v_add_f32_e32 v51, v51, v48
	v_sub_f32_e32 v38, v38, v50
	v_add_f32_e32 v51, v51, v49
	v_sub_f32_e32 v39, v39, v50
	v_mul_f32_e32 v38, 0x3fb8aa3b, v38
	v_add_f32_e32 v51, v51, v44
	v_exp_f32_e32 v38, v38
	v_mul_f32_e32 v39, 0x3fb8aa3b, v39
	v_sub_f32_e32 v36, v36, v50
	v_add_f32_e32 v51, v51, v45
	v_cndmask_b32_e64 v43, 0, v41, s[22:23]
	v_exp_f32_e32 v39, v39
	v_mul_f32_e32 v36, 0x3fb8aa3b, v36
	v_sub_f32_e32 v37, v37, v50
	v_add_f32_e32 v51, v51, v42
	v_exp_f32_e32 v36, v36
	v_mul_f32_e32 v37, 0x3fb8aa3b, v37
	v_add_f32_e32 v51, v51, v43
	v_sub_f32_e32 v34, v34, v50
	v_cndmask_b32_e64 v41, 0, v58, s[26:27]
	v_exp_f32_e32 v37, v37
	v_add_f32_e32 v51, v51, v40
	v_mul_f32_e32 v34, 0x3fb8aa3b, v34
	v_sub_f32_e32 v35, v35, v50
	v_cndmask_b32_e64 v38, 0, v38, s[28:29]
	v_add_f32_e32 v51, v51, v41
	v_exp_f32_e32 v34, v34
	v_mul_f32_e32 v35, 0x3fb8aa3b, v35
	v_cndmask_b32_e64 v39, 0, v39, s[30:31]
	v_add_f32_e32 v51, v51, v38
	v_exp_f32_e32 v35, v35
	v_cndmask_b32_e64 v36, 0, v36, s[34:35]
	v_add_f32_e32 v51, v51, v39
	v_cndmask_b32_e64 v37, 0, v37, s[36:37]
	v_add_f32_e32 v51, v51, v36
	v_add_f32_e32 v51, v51, v37
	v_cndmask_b32_e32 v34, 0, v34, vcc
	v_add_f32_e32 v51, v51, v34
	v_cndmask_b32_e64 v35, 0, v35, s[4:5]
	v_add_f32_e32 v51, v51, v35
	ds_bpermute_b32 v52, v52, v51
	v_cmp_gt_u32_e32 vcc, 16, v55
	s_waitcnt lgkmcnt(0)
	s_barrier
	v_add_f32_e32 v51, v51, v52
	ds_bpermute_b32 v52, v53, v51
	s_and_saveexec_b64 s[4:5], vcc
	s_cbranch_execz .LBB1014_15
; %bb.14:
	s_waitcnt lgkmcnt(0)
	v_add_f32_e32 v51, v51, v52
	v_lshlrev_b32_e32 v52, 2, v64
	ds_write2st64_b32 v52, v50, v51 offset1:1
.LBB1014_15:
	s_or_b64 exec, exec, s[4:5]
	v_lshlrev_b32_e32 v51, 2, v56
	s_load_dword s7, s[0:1], 0x94
	s_waitcnt lgkmcnt(0)
	s_barrier
	ds_read2_b32 v[52:53], v51 offset1:16
	ds_read2_b32 v[58:59], v51 offset0:32 offset1:48
	ds_read2_b32 v[60:61], v51 offset0:64 offset1:80
	s_mul_i32 s8, s33, 7
	s_waitcnt lgkmcnt(2)
	v_max3_f32 v50, v52, s40, v53
	s_waitcnt lgkmcnt(1)
	v_max3_f32 v50, v50, v58, v59
	v_sub_f32_e32 v52, v52, v50
	v_mul_f32_e32 v52, 0x3fb8aa3b, v52
	v_exp_f32_e32 v55, v52
	v_sub_f32_e32 v52, v53, v50
	v_mul_f32_e32 v52, 0x3fb8aa3b, v52
	v_exp_f32_e32 v63, v52
	;; [unrolled: 3-line block ×3, first 2 shown]
	ds_read2_b32 v[52:53], v51 offset0:96 offset1:112
	v_sub_f32_e32 v51, v59, v50
	v_mul_f32_e32 v51, 0x3fb8aa3b, v51
	v_exp_f32_e32 v59, v51
	s_waitcnt lgkmcnt(1)
	v_fma_f32 v51, v55, v60, 0
	v_fmac_f32_e32 v51, v63, v61
	s_waitcnt lgkmcnt(0)
	v_fmac_f32_e32 v51, v58, v52
	v_fmac_f32_e32 v51, v59, v53
	v_add_f32_e32 v52, 0x358637bd, v51
	v_div_scale_f32 v53, s[4:5], v52, v52, 1.0
	v_rcp_f32_e32 v60, v53
	s_barrier
	v_fma_f32 v61, -v53, v60, 1.0
	v_fmac_f32_e32 v60, v61, v60
	v_div_scale_f32 v61, vcc, 1.0, v52, 1.0
	v_mul_f32_e32 v64, v61, v60
	v_fma_f32 v65, -v53, v64, v61
	v_fmac_f32_e32 v64, v65, v60
	v_fma_f32 v53, -v53, v64, v61
	v_div_fmas_f32 v53, v53, v60, v64
	v_cmp_eq_u32_e32 vcc, 1, v57
	v_div_fixup_f32 v52, v53, v52, 1.0
	s_nop 0
	v_cndmask_b32_e32 v53, v55, v63, vcc
	v_cmp_eq_u32_e32 vcc, 2, v57
	s_nop 1
	v_cndmask_b32_e32 v53, v53, v58, vcc
	v_cmp_eq_u32_e32 vcc, 3, v57
	s_nop 1
	v_cndmask_b32_e32 v53, v53, v59, vcc
	v_mul_f32_e32 v52, v53, v52
	v_pk_mul_f32 v[48:49], v[52:53], v[48:49] op_sel_hi:[0,1]
	v_pk_mul_f32 v[46:47], v[52:53], v[46:47] op_sel_hi:[0,1]
	v_cvt_f16_f32_e32 v53, v48
	v_cvt_f16_f32_e32 v49, v49
	;; [unrolled: 1-line block ×4, first 2 shown]
	v_pk_mul_f32 v[42:43], v[52:53], v[42:43] op_sel_hi:[0,1]
	v_pk_mul_f32 v[44:45], v[52:53], v[44:45] op_sel_hi:[0,1]
	v_pack_b32_f16 v49, v53, v49
	v_cvt_f16_f32_e32 v44, v44
	v_cvt_f16_f32_e32 v45, v45
	;; [unrolled: 1-line block ×4, first 2 shown]
	v_pack_b32_f16 v48, v46, v47
	v_lshlrev_b32_e32 v47, 3, v62
	v_lshlrev_b32_e32 v46, 5, v56
	;; [unrolled: 1-line block ×3, first 2 shown]
	v_or3_b32 v55, v42, v46, v47
	v_pack_b32_f16 v42, v44, v45
	v_pack_b32_f16 v43, v53, v43
	v_pk_mul_f32 v[38:39], v[52:53], v[38:39] op_sel_hi:[0,1]
	v_pk_mul_f32 v[40:41], v[52:53], v[40:41] op_sel_hi:[0,1]
	v_pk_mul_f32 v[34:35], v[52:53], v[34:35] op_sel_hi:[0,1]
	v_pk_mul_f32 v[36:37], v[52:53], v[36:37] op_sel_hi:[0,1]
	ds_write2st64_b64 v55, v[48:49], v[42:43] offset1:1
	v_cvt_f16_f32_e32 v40, v40
	v_cvt_f16_f32_e32 v41, v41
	;; [unrolled: 1-line block ×8, first 2 shown]
	v_pack_b32_f16 v34, v40, v41
	v_pack_b32_f16 v35, v38, v39
	;; [unrolled: 1-line block ×4, first 2 shown]
	v_cmp_gt_u32_e32 vcc, 7, v0
	ds_write2st64_b64 v55, v[34:35], v[36:37] offset0:2 offset1:3
	s_and_saveexec_b64 s[4:5], vcc
	s_cbranch_execz .LBB1014_17
; %bb.16:
	s_mov_b32 s49, 0
	v_mov_b32_e32 v57, 0
	v_lshl_add_u64 v[34:35], s[48:49], 0, v[56:57]
	v_mov_b32_e32 v36, s8
	v_mad_u64_u32 v[34:35], s[10:11], s2, v36, v[34:35]
	s_mul_i32 s3, s3, s8
	v_mov_b32_e32 v36, s6
	v_mov_b32_e32 v37, v57
	s_load_dwordx4 s[12:15], s[0:1], 0x58
	v_add_u32_e32 v38, s3, v35
	v_mad_u64_u32 v[34:35], s[10:11], v34, s7, v[36:37]
	v_mov_b32_e32 v36, v35
	v_mad_u64_u32 v[36:37], s[10:11], v38, s7, v[36:37]
	v_mov_b32_e32 v35, v36
	v_lshlrev_b64 v[34:35], 2, v[34:35]
	s_waitcnt lgkmcnt(0)
	v_lshl_add_u64 v[36:37], s[14:15], 0, v[34:35]
	v_lshl_add_u64 v[34:35], s[12:13], 0, v[34:35]
	global_store_dword v[36:37], v50, off
	global_store_dword v[34:35], v51, off
.LBB1014_17:
	s_or_b64 exec, exec, s[4:5]
	s_waitcnt vmcnt(7)
	v_cvt_pk_f32_fp8_e32 v[34:35], v6
	v_cvt_pk_f32_fp8_sdwa v[36:37], v6 src0_sel:WORD_1
	v_lshl_or_b32 v50, v62, 9, v46
	s_waitcnt lgkmcnt(0)
	s_barrier
	v_cvt_pk_f32_fp8_e32 v[38:39], v7
	v_cvt_pkrtz_f16_f32 v6, v34, v35
	v_cvt_pk_f32_fp8_sdwa v[40:41], v7 src0_sel:WORD_1
	v_cvt_pkrtz_f16_f32 v7, v36, v37
	ds_read_b128 v[34:37], v50
	v_cvt_pkrtz_f16_f32 v46, v38, v39
	v_cvt_pkrtz_f16_f32 v47, v40, v41
	ds_read_b128 v[38:41], v50 offset:16
	v_cvt_pk_f32_fp8_e32 v[48:49], v8
	v_cvt_pk_f32_fp8_sdwa v[52:53], v8 src0_sel:WORD_1
	s_waitcnt lgkmcnt(1)
	v_mfma_f32_16x16x16_f16 v[42:45], v[6:7], v[34:35], 0
	s_waitcnt vmcnt(6)
	v_cvt_pk_f32_fp8_e32 v[58:59], v4
	v_cvt_pkrtz_f16_f32 v6, v48, v49
	v_cvt_pkrtz_f16_f32 v7, v52, v53
	v_cvt_pk_f32_fp8_e32 v[48:49], v9
	v_mfma_f32_16x16x16_f16 v[42:45], v[46:47], v[36:37], v[42:45]
	v_cvt_pk_f32_fp8_sdwa v[46:47], v9 src0_sel:WORD_1
	v_cvt_pk_f32_fp8_sdwa v[60:61], v4 src0_sel:WORD_1
	v_cvt_pkrtz_f16_f32 v48, v48, v49
	s_waitcnt lgkmcnt(0)
	v_mfma_f32_16x16x16_f16 v[6:9], v[6:7], v[38:39], v[42:45]
	v_cvt_pkrtz_f16_f32 v49, v46, v47
	s_waitcnt vmcnt(5)
	v_cvt_pk_f32_fp8_e32 v[64:65], v28
	v_cvt_pk_f32_fp8_sdwa v[66:67], v28 src0_sel:WORD_1
	v_cvt_pk_f32_fp8_e32 v[42:43], v2
	v_mfma_f32_16x16x16_f16 v[46:49], v[48:49], v[40:41], v[6:9]
	s_waitcnt vmcnt(4)
	v_cvt_pk_f32_fp8_sdwa v[68:69], v24 src0_sel:WORD_1
	s_load_dword s4, s[42:43], 0x0
	v_cvt_pk_f32_fp8_sdwa v[6:7], v2 src0_sel:WORD_1
	v_cvt_pk_f32_fp8_e32 v[8:9], v3
	v_cvt_pkrtz_f16_f32 v2, v42, v43
	v_cvt_pk_f32_fp8_sdwa v[42:43], v3 src0_sel:WORD_1
	v_cvt_pkrtz_f16_f32 v3, v6, v7
	v_cvt_pkrtz_f16_f32 v52, v8, v9
	ds_read_b128 v[6:9], v50 offset:2048
	v_cvt_pkrtz_f16_f32 v53, v42, v43
	ds_read_b128 v[42:45], v50 offset:2064
	s_waitcnt lgkmcnt(0)
	v_mfma_f32_16x16x16_f16 v[46:49], v[2:3], v[6:7], v[46:49]
	v_cvt_pkrtz_f16_f32 v2, v58, v59
	v_cvt_pkrtz_f16_f32 v3, v60, v61
	v_cvt_pk_f32_fp8_e32 v[58:59], v5
	v_mfma_f32_16x16x16_f16 v[46:49], v[52:53], v[8:9], v[46:49]
	v_cvt_pk_f32_fp8_sdwa v[52:53], v5 src0_sel:WORD_1
	s_mov_b32 s3, 0
	v_cvt_pkrtz_f16_f32 v58, v58, v59
	v_mfma_f32_16x16x16_f16 v[2:5], v[2:3], v[42:43], v[46:49]
	v_cvt_pkrtz_f16_f32 v59, v52, v53
	v_cmp_gt_u32_e32 vcc, 64, v0
	s_nop 0
	v_cvt_pk_f32_fp8_e32 v[46:47], v26
	v_mfma_f32_16x16x16_f16 v[58:61], v[58:59], v[44:45], v[2:5]
	s_nop 2
	v_cvt_pk_f32_fp8_sdwa v[2:3], v26 src0_sel:WORD_1
	v_cvt_pk_f32_fp8_e32 v[4:5], v27
	v_cvt_pkrtz_f16_f32 v26, v46, v47
	v_cvt_pk_f32_fp8_sdwa v[46:47], v27 src0_sel:WORD_1
	v_cvt_pkrtz_f16_f32 v27, v2, v3
	v_cvt_pkrtz_f16_f32 v52, v4, v5
	ds_read_b128 v[2:5], v50 offset:4096
	v_cvt_pkrtz_f16_f32 v53, v46, v47
	ds_read_b128 v[46:49], v50 offset:4112
	s_waitcnt lgkmcnt(1)
	v_mfma_f32_16x16x16_f16 v[58:61], v[26:27], v[2:3], v[58:61]
	v_cvt_pkrtz_f16_f32 v26, v64, v65
	v_cvt_pkrtz_f16_f32 v27, v66, v67
	v_cvt_pk_f32_fp8_e32 v[64:65], v29
	v_mfma_f32_16x16x16_f16 v[58:61], v[52:53], v[4:5], v[58:61]
	v_cvt_pk_f32_fp8_sdwa v[52:53], v29 src0_sel:WORD_1
	v_cvt_pk_f32_fp8_e32 v[66:67], v24
	v_cvt_pkrtz_f16_f32 v64, v64, v65
	s_waitcnt lgkmcnt(0)
	v_mfma_f32_16x16x16_f16 v[26:29], v[26:27], v[46:47], v[58:61]
	v_cvt_pkrtz_f16_f32 v65, v52, v53
	v_cvt_pk_f32_fp8_e32 v[52:53], v22
	s_nop 0
	v_mfma_f32_16x16x16_f16 v[58:61], v[64:65], v[48:49], v[26:29]
	s_nop 2
	v_cvt_pk_f32_fp8_sdwa v[26:27], v22 src0_sel:WORD_1
	v_cvt_pk_f32_fp8_e32 v[28:29], v23
	v_cvt_pkrtz_f16_f32 v22, v52, v53
	v_cvt_pk_f32_fp8_sdwa v[52:53], v23 src0_sel:WORD_1
	v_cvt_pkrtz_f16_f32 v23, v26, v27
	v_cvt_pkrtz_f16_f32 v64, v28, v29
	ds_read_b128 v[26:29], v50 offset:6144
	v_cvt_pkrtz_f16_f32 v65, v52, v53
	s_waitcnt lgkmcnt(0)
	v_mfma_f32_16x16x16_f16 v[58:61], v[22:23], v[26:27], v[58:61]
	ds_read_b128 v[50:53], v50 offset:6160
	v_cvt_pkrtz_f16_f32 v22, v66, v67
	v_cvt_pkrtz_f16_f32 v23, v68, v69
	v_mfma_f32_16x16x16_f16 v[58:61], v[64:65], v[28:29], v[58:61]
	v_cvt_pk_f32_fp8_e32 v[66:67], v25
	v_cvt_pk_f32_fp8_sdwa v[64:65], v25 src0_sel:WORD_1
	s_waitcnt vmcnt(3)
	v_cvt_pk_f32_fp8_sdwa v[68:69], v32 src0_sel:WORD_1
	s_waitcnt lgkmcnt(0)
	v_mfma_f32_16x16x16_f16 v[22:25], v[22:23], v[50:51], v[58:61]
	v_cvt_pkrtz_f16_f32 v66, v66, v67
	v_cvt_pkrtz_f16_f32 v67, v64, v65
	v_cvt_pk_f32_fp8_e32 v[64:65], v31
	v_cvt_pk_f32_fp8_e32 v[58:59], v30
	v_cvt_pk_f32_fp8_sdwa v[60:61], v30 src0_sel:WORD_1
	v_cvt_pk_f32_fp8_sdwa v[30:31], v31 src0_sel:WORD_1
	v_mfma_f32_16x16x16_f16 v[22:25], v[66:67], v[52:53], v[22:25]
	v_cvt_pkrtz_f16_f32 v58, v58, v59
	v_cvt_pkrtz_f16_f32 v59, v60, v61
	;; [unrolled: 1-line block ×3, first 2 shown]
	v_cvt_pk_f32_fp8_e32 v[66:67], v32
	v_cvt_pkrtz_f16_f32 v65, v30, v31
	v_mfma_f32_16x16x16_f16 v[58:61], v[58:59], v[34:35], 0
	v_cvt_pkrtz_f16_f32 v30, v66, v67
	v_cvt_pkrtz_f16_f32 v31, v68, v69
	v_cvt_pk_f32_fp8_e32 v[66:67], v33
	v_mfma_f32_16x16x16_f16 v[34:37], v[64:65], v[36:37], v[58:61]
	s_barrier
	s_nop 1
	v_cvt_pk_f32_fp8_sdwa v[58:59], v33 src0_sel:WORD_1
	v_cvt_pkrtz_f16_f32 v60, v66, v67
	v_mfma_f32_16x16x16_f16 v[30:33], v[30:31], v[38:39], v[34:37]
	s_waitcnt vmcnt(2)
	v_cvt_pk_f32_fp8_e32 v[38:39], v19
	v_cvt_pkrtz_f16_f32 v61, v58, v59
	v_cvt_pk_f32_fp8_e32 v[34:35], v18
	v_cvt_pk_f32_fp8_sdwa v[36:37], v18 src0_sel:WORD_1
	v_cvt_pk_f32_fp8_sdwa v[18:19], v19 src0_sel:WORD_1
	v_mfma_f32_16x16x16_f16 v[30:33], v[60:61], v[40:41], v[30:33]
	v_cvt_pkrtz_f16_f32 v34, v34, v35
	v_cvt_pkrtz_f16_f32 v35, v36, v37
	;; [unrolled: 1-line block ×3, first 2 shown]
	v_cvt_pk_f32_fp8_e32 v[38:39], v20
	v_cvt_pk_f32_fp8_sdwa v[40:41], v20 src0_sel:WORD_1
	v_cvt_pkrtz_f16_f32 v37, v18, v19
	v_mfma_f32_16x16x16_f16 v[30:33], v[34:35], v[6:7], v[30:33]
	v_cvt_pkrtz_f16_f32 v18, v38, v39
	v_cvt_pkrtz_f16_f32 v19, v40, v41
	v_cvt_pk_f32_fp8_e32 v[34:35], v21
	v_cvt_pk_f32_fp8_sdwa v[20:21], v21 src0_sel:WORD_1
	v_mfma_f32_16x16x16_f16 v[6:9], v[36:37], v[8:9], v[30:33]
	s_nop 2
	v_cvt_pkrtz_f16_f32 v30, v34, v35
	v_cvt_pkrtz_f16_f32 v31, v20, v21
	v_mfma_f32_16x16x16_f16 v[6:9], v[18:19], v[42:43], v[6:9]
	s_waitcnt vmcnt(1)
	v_cvt_pk_f32_fp8_e32 v[18:19], v14
	v_cvt_pk_f32_fp8_sdwa v[20:21], v14 src0_sel:WORD_1
	v_cvt_pk_f32_fp8_sdwa v[32:33], v16 src0_sel:WORD_1
	v_mfma_f32_16x16x16_f16 v[6:9], v[30:31], v[44:45], v[6:9]
	v_cvt_pk_f32_fp8_e32 v[30:31], v15
	v_cvt_pkrtz_f16_f32 v18, v18, v19
	v_cvt_pkrtz_f16_f32 v19, v20, v21
	v_cvt_pk_f32_fp8_sdwa v[14:15], v15 src0_sel:WORD_1
	v_cvt_pkrtz_f16_f32 v20, v30, v31
	v_cvt_pk_f32_fp8_e32 v[30:31], v16
	v_mfma_f32_16x16x16_f16 v[6:9], v[18:19], v[2:3], v[6:9]
	v_cvt_pkrtz_f16_f32 v21, v14, v15
	v_cvt_pkrtz_f16_f32 v14, v30, v31
	;; [unrolled: 1-line block ×3, first 2 shown]
	v_cvt_pk_f32_fp8_e32 v[18:19], v17
	v_cvt_pk_f32_fp8_sdwa v[16:17], v17 src0_sel:WORD_1
	v_mfma_f32_16x16x16_f16 v[2:5], v[20:21], v[4:5], v[6:9]
	s_waitcnt vmcnt(0)
	v_cvt_pk_f32_fp8_sdwa v[20:21], v12 src0_sel:WORD_1
	s_nop 0
	v_cvt_pkrtz_f16_f32 v8, v18, v19
	v_cvt_pkrtz_f16_f32 v9, v16, v17
	v_mfma_f32_16x16x16_f16 v[2:5], v[14:15], v[46:47], v[2:5]
	v_cvt_pk_f32_fp8_e32 v[16:17], v10
	v_cvt_pk_f32_fp8_sdwa v[18:19], v10 src0_sel:WORD_1
	v_pk_mul_f32 v[6:7], v[24:25], s[4:5] op_sel_hi:[1,0]
	v_mfma_f32_16x16x16_f16 v[2:5], v[8:9], v[48:49], v[2:5]
	v_cvt_pk_f32_fp8_e32 v[8:9], v11
	v_cvt_pkrtz_f16_f32 v16, v16, v17
	v_cvt_pkrtz_f16_f32 v17, v18, v19
	v_cvt_pk_f32_fp8_sdwa v[10:11], v11 src0_sel:WORD_1
	v_cvt_pkrtz_f16_f32 v8, v8, v9
	v_cvt_pk_f32_fp8_e32 v[18:19], v12
	v_mfma_f32_16x16x16_f16 v[2:5], v[16:17], v[26:27], v[2:5]
	v_cvt_pkrtz_f16_f32 v9, v10, v11
	v_cvt_pkrtz_f16_f32 v10, v18, v19
	;; [unrolled: 1-line block ×3, first 2 shown]
	v_cvt_pk_f32_fp8_e32 v[16:17], v13
	v_cvt_pk_f32_fp8_sdwa v[12:13], v13 src0_sel:WORD_1
	v_mfma_f32_16x16x16_f16 v[2:5], v[8:9], v[28:29], v[2:5]
	v_pk_mul_f32 v[14:15], v[22:23], s[4:5] op_sel_hi:[1,0]
	v_cvt_pkrtz_f16_f32 v8, v16, v17
	v_cvt_pkrtz_f16_f32 v9, v12, v13
	v_mfma_f32_16x16x16_f16 v[2:5], v[10:11], v[50:51], v[2:5]
	v_cvt_f16_f32_e32 v14, v14
	v_cvt_f16_f32_e32 v10, v15
	;; [unrolled: 1-line block ×3, first 2 shown]
	v_mfma_f32_16x16x16_f16 v[2:5], v[8:9], v[52:53], v[2:5]
	v_cvt_f16_f32_e32 v7, v7
	s_nop 5
	v_pk_mul_f32 v[4:5], v[4:5], s[4:5] op_sel_hi:[1,0]
	v_pk_mul_f32 v[2:3], v[2:3], s[4:5] op_sel_hi:[1,0]
	v_cvt_f16_f32_e32 v11, v4
	v_cvt_f16_f32_e32 v8, v2
	;; [unrolled: 1-line block ×4, first 2 shown]
	v_pack_b32_f16 v2, v14, v10
	v_pack_b32_f16 v3, v6, v7
	;; [unrolled: 1-line block ×4, first 2 shown]
	ds_write2st64_b64 v55, v[2:3], v[4:5] offset1:1
	s_waitcnt lgkmcnt(0)
	s_barrier
	s_and_saveexec_b64 s[4:5], vcc
	s_cbranch_execz .LBB1014_20
; %bb.18:
	s_load_dwordx2 s[4:5], s[0:1], 0x68
	s_lshl_b32 s0, s7, 7
	s_mul_i32 s1, s8, s2
	v_lshlrev_b32_e32 v3, 6, v56
	s_mul_hi_u32 s9, s1, s0
	s_mul_i32 s8, s1, s0
	v_lshl_or_b32 v0, v0, 10, v3
	s_lshl_b64 s[8:9], s[8:9], 1
	v_lshlrev_b32_e32 v2, 5, v62
	v_and_b32_e32 v1, 16, v1
	v_and_b32_e32 v0, 0x1a00, v0
	s_waitcnt lgkmcnt(0)
	s_add_u32 s1, s4, s8
	v_or3_b32 v2, v0, v2, v1
	s_addc_u32 s4, s5, s9
	s_lshl_b32 s2, s6, 7
	s_lshl_b64 s[2:3], s[2:3], 1
	ds_read_b128 v[4:7], v2
	s_add_u32 s2, s1, s2
	s_addc_u32 s3, s4, s3
	v_mov_b32_e32 v55, 0
	v_add_u32_e32 v3, s48, v62
	v_lshl_add_u64 v[0:1], s[2:3], 0, v[54:55]
	v_mad_u64_u32 v[8:9], s[2:3], v3, s0, 0
	v_lshl_add_u64 v[8:9], v[8:9], 1, v[0:1]
	v_cmp_ne_u32_e32 vcc, 3, v62
	s_waitcnt lgkmcnt(0)
	global_store_dwordx4 v[8:9], v[4:7], off
	s_and_b64 exec, exec, vcc
	s_cbranch_execz .LBB1014_20
; %bb.19:
	ds_read_b128 v[2:5], v2 offset:128
	v_add3_u32 v6, s48, v62, 4
	v_mad_u64_u32 v[6:7], s[0:1], v6, s0, 0
	v_lshl_add_u64 v[0:1], v[6:7], 1, v[0:1]
	s_waitcnt lgkmcnt(0)
	global_store_dwordx4 v[0:1], v[2:5], off
.LBB1014_20:
	s_endpgm
	.section	.rodata,"a",@progbits
	.p2align	6, 0x0
	.amdhsa_kernel _Z39paged_attention_ll4mi_QKV_mfma16_kernelIDF16_hLN4vllm18Fp8KVCacheDataTypeE1EhLi32ELi128ELi256ELb1ELi7EEvPKT_PKT0_S7_ifPKiS9_S9_iPKfiiiPfSC_PS2_PT2_iSB_SB_
		.amdhsa_group_segment_fixed_size 8192
		.amdhsa_private_segment_fixed_size 0
		.amdhsa_kernarg_size 400
		.amdhsa_user_sgpr_count 2
		.amdhsa_user_sgpr_dispatch_ptr 0
		.amdhsa_user_sgpr_queue_ptr 0
		.amdhsa_user_sgpr_kernarg_segment_ptr 1
		.amdhsa_user_sgpr_dispatch_id 0
		.amdhsa_user_sgpr_kernarg_preload_length 0
		.amdhsa_user_sgpr_kernarg_preload_offset 0
		.amdhsa_user_sgpr_private_segment_size 0
		.amdhsa_uses_dynamic_stack 0
		.amdhsa_enable_private_segment 0
		.amdhsa_system_sgpr_workgroup_id_x 1
		.amdhsa_system_sgpr_workgroup_id_y 1
		.amdhsa_system_sgpr_workgroup_id_z 1
		.amdhsa_system_sgpr_workgroup_info 0
		.amdhsa_system_vgpr_workitem_id 0
		.amdhsa_next_free_vgpr 78
		.amdhsa_next_free_sgpr 50
		.amdhsa_accum_offset 80
		.amdhsa_reserve_vcc 1
		.amdhsa_float_round_mode_32 0
		.amdhsa_float_round_mode_16_64 0
		.amdhsa_float_denorm_mode_32 3
		.amdhsa_float_denorm_mode_16_64 3
		.amdhsa_dx10_clamp 1
		.amdhsa_ieee_mode 1
		.amdhsa_fp16_overflow 0
		.amdhsa_tg_split 0
		.amdhsa_exception_fp_ieee_invalid_op 0
		.amdhsa_exception_fp_denorm_src 0
		.amdhsa_exception_fp_ieee_div_zero 0
		.amdhsa_exception_fp_ieee_overflow 0
		.amdhsa_exception_fp_ieee_underflow 0
		.amdhsa_exception_fp_ieee_inexact 0
		.amdhsa_exception_int_div_zero 0
	.end_amdhsa_kernel
	.section	.text._Z39paged_attention_ll4mi_QKV_mfma16_kernelIDF16_hLN4vllm18Fp8KVCacheDataTypeE1EhLi32ELi128ELi256ELb1ELi7EEvPKT_PKT0_S7_ifPKiS9_S9_iPKfiiiPfSC_PS2_PT2_iSB_SB_,"axG",@progbits,_Z39paged_attention_ll4mi_QKV_mfma16_kernelIDF16_hLN4vllm18Fp8KVCacheDataTypeE1EhLi32ELi128ELi256ELb1ELi7EEvPKT_PKT0_S7_ifPKiS9_S9_iPKfiiiPfSC_PS2_PT2_iSB_SB_,comdat
.Lfunc_end1014:
	.size	_Z39paged_attention_ll4mi_QKV_mfma16_kernelIDF16_hLN4vllm18Fp8KVCacheDataTypeE1EhLi32ELi128ELi256ELb1ELi7EEvPKT_PKT0_S7_ifPKiS9_S9_iPKfiiiPfSC_PS2_PT2_iSB_SB_, .Lfunc_end1014-_Z39paged_attention_ll4mi_QKV_mfma16_kernelIDF16_hLN4vllm18Fp8KVCacheDataTypeE1EhLi32ELi128ELi256ELb1ELi7EEvPKT_PKT0_S7_ifPKiS9_S9_iPKfiiiPfSC_PS2_PT2_iSB_SB_
                                        ; -- End function
	.section	.AMDGPU.csdata,"",@progbits
; Kernel info:
; codeLenInByte = 6360
; NumSgprs: 56
; NumVgprs: 78
; NumAgprs: 0
; TotalNumVgprs: 78
; ScratchSize: 0
; MemoryBound: 0
; FloatMode: 240
; IeeeMode: 1
; LDSByteSize: 8192 bytes/workgroup (compile time only)
; SGPRBlocks: 6
; VGPRBlocks: 9
; NumSGPRsForWavesPerEU: 56
; NumVGPRsForWavesPerEU: 78
; AccumOffset: 80
; Occupancy: 6
; WaveLimiterHint : 1
; COMPUTE_PGM_RSRC2:SCRATCH_EN: 0
; COMPUTE_PGM_RSRC2:USER_SGPR: 2
; COMPUTE_PGM_RSRC2:TRAP_HANDLER: 0
; COMPUTE_PGM_RSRC2:TGID_X_EN: 1
; COMPUTE_PGM_RSRC2:TGID_Y_EN: 1
; COMPUTE_PGM_RSRC2:TGID_Z_EN: 1
; COMPUTE_PGM_RSRC2:TIDIG_COMP_CNT: 0
; COMPUTE_PGM_RSRC3_GFX90A:ACCUM_OFFSET: 19
; COMPUTE_PGM_RSRC3_GFX90A:TG_SPLIT: 0
	.section	.text._Z39paged_attention_ll4mi_QKV_mfma16_kernelIDF16_hLN4vllm18Fp8KVCacheDataTypeE1EhLi32ELi128ELi256ELb1ELi8EEvPKT_PKT0_S7_ifPKiS9_S9_iPKfiiiPfSC_PS2_PT2_iSB_SB_,"axG",@progbits,_Z39paged_attention_ll4mi_QKV_mfma16_kernelIDF16_hLN4vllm18Fp8KVCacheDataTypeE1EhLi32ELi128ELi256ELb1ELi8EEvPKT_PKT0_S7_ifPKiS9_S9_iPKfiiiPfSC_PS2_PT2_iSB_SB_,comdat
	.protected	_Z39paged_attention_ll4mi_QKV_mfma16_kernelIDF16_hLN4vllm18Fp8KVCacheDataTypeE1EhLi32ELi128ELi256ELb1ELi8EEvPKT_PKT0_S7_ifPKiS9_S9_iPKfiiiPfSC_PS2_PT2_iSB_SB_ ; -- Begin function _Z39paged_attention_ll4mi_QKV_mfma16_kernelIDF16_hLN4vllm18Fp8KVCacheDataTypeE1EhLi32ELi128ELi256ELb1ELi8EEvPKT_PKT0_S7_ifPKiS9_S9_iPKfiiiPfSC_PS2_PT2_iSB_SB_
	.globl	_Z39paged_attention_ll4mi_QKV_mfma16_kernelIDF16_hLN4vllm18Fp8KVCacheDataTypeE1EhLi32ELi128ELi256ELb1ELi8EEvPKT_PKT0_S7_ifPKiS9_S9_iPKfiiiPfSC_PS2_PT2_iSB_SB_
	.p2align	8
	.type	_Z39paged_attention_ll4mi_QKV_mfma16_kernelIDF16_hLN4vllm18Fp8KVCacheDataTypeE1EhLi32ELi128ELi256ELb1ELi8EEvPKT_PKT0_S7_ifPKiS9_S9_iPKfiiiPfSC_PS2_PT2_iSB_SB_,@function
_Z39paged_attention_ll4mi_QKV_mfma16_kernelIDF16_hLN4vllm18Fp8KVCacheDataTypeE1EhLi32ELi128ELi256ELb1ELi8EEvPKT_PKT0_S7_ifPKiS9_S9_iPKfiiiPfSC_PS2_PT2_iSB_SB_: ; @_Z39paged_attention_ll4mi_QKV_mfma16_kernelIDF16_hLN4vllm18Fp8KVCacheDataTypeE1EhLi32ELi128ELi256ELb1ELi8EEvPKT_PKT0_S7_ifPKiS9_S9_iPKfiiiPfSC_PS2_PT2_iSB_SB_
; %bb.0:
	s_load_dwordx2 s[8:9], s[0:1], 0x30
	s_mov_b32 s10, s3
	s_mov_b64 s[6:7], 0
	s_waitcnt lgkmcnt(0)
	s_cmp_lg_u64 s[8:9], 0
	s_cselect_b64 s[12:13], -1, 0
	s_and_b64 vcc, exec, s[12:13]
	s_cbranch_vccz .LBB1015_7
; %bb.1:
	s_add_i32 s14, s2, 1
	s_mov_b32 s15, 0
	s_lshl_b64 s[16:17], s[14:15], 2
	s_add_u32 s16, s8, s16
	s_mov_b32 s3, s15
	s_addc_u32 s17, s9, s17
	s_lshl_b64 s[14:15], s[2:3], 2
	s_add_u32 s14, s8, s14
	s_addc_u32 s15, s9, s15
	s_load_dword s5, s[16:17], 0x0
	s_load_dword s11, s[14:15], 0x0
	s_waitcnt lgkmcnt(0)
	s_sub_i32 s5, s5, s11
	s_cmp_eq_u32 s5, 1
	s_cselect_b64 s[14:15], -1, 0
	s_andn2_b64 vcc, exec, s[6:7]
	s_cbranch_vccnz .LBB1015_3
.LBB1015_2:
	s_mov_b32 s3, 0
	s_mov_b64 s[14:15], -1
.LBB1015_3:
	s_andn2_b64 vcc, exec, s[14:15]
	s_cbranch_vccnz .LBB1015_19
; %bb.4:
	s_load_dwordx2 s[6:7], s[0:1], 0x28
	s_lshl_b64 s[14:15], s[2:3], 2
	s_waitcnt lgkmcnt(0)
	s_add_u32 s6, s6, s14
	s_addc_u32 s7, s7, s15
	s_load_dword s33, s[6:7], 0x0
	s_lshl_b32 s18, s10, 8
	s_waitcnt lgkmcnt(0)
	s_cmp_ge_i32 s18, s33
	s_cbranch_scc1 .LBB1015_19
; %bb.5:
	s_load_dwordx2 s[6:7], s[0:1], 0x20
	s_load_dword s5, s[0:1], 0x38
	s_add_i32 s11, s33, 31
	s_ashr_i32 s16, s11, 31
	v_and_b32_e32 v1, 0xcf, v0
	s_lshr_b32 s16, s16, 27
	v_add_u32_e32 v1, s18, v1
	s_add_i32 s11, s11, s16
	v_ashrrev_i32_e32 v2, 31, v1
	s_ashr_i32 s19, s11, 5
	v_lshrrev_b32_e32 v4, 27, v2
	s_add_i32 s19, s19, -1
	s_waitcnt lgkmcnt(0)
	s_mul_i32 s16, s2, s5
	s_mov_b32 s17, 0
	v_add_u32_e32 v2, v1, v4
	s_lshl_b64 s[16:17], s[16:17], 2
	v_ashrrev_i32_e32 v2, 5, v2
	v_mov_b32_e32 v5, s19
	v_cmp_gt_i32_e32 vcc, s33, v1
	s_add_u32 s6, s6, s16
	s_addc_u32 s7, s7, s17
	v_cndmask_b32_e32 v2, v5, v2, vcc
	v_ashrrev_i32_e32 v3, 31, v2
	v_lshl_add_u64 v[6:7], v[2:3], 2, s[6:7]
	v_or_b32_e32 v2, 16, v1
	v_add_u32_e32 v3, v2, v4
	v_ashrrev_i32_e32 v3, 5, v3
	v_cmp_gt_i32_e32 vcc, s33, v2
	s_load_dwordx2 s[16:17], s[0:1], 0x8
	s_nop 0
	v_cndmask_b32_e32 v2, v5, v3, vcc
	v_ashrrev_i32_e32 v3, 31, v2
	v_lshl_add_u64 v[8:9], v[2:3], 2, s[6:7]
	v_or_b32_e32 v2, 32, v1
	v_add_u32_e32 v3, v2, v4
	v_ashrrev_i32_e32 v3, 5, v3
	v_cmp_gt_i32_e32 vcc, s33, v2
	v_or_b32_e32 v1, 48, v1
	s_nop 0
	v_cndmask_b32_e32 v2, v5, v3, vcc
	v_ashrrev_i32_e32 v3, 31, v2
	v_lshl_add_u64 v[12:13], v[2:3], 2, s[6:7]
	v_add_u32_e32 v2, v1, v4
	v_ashrrev_i32_e32 v2, 5, v2
	v_cmp_gt_i32_e32 vcc, s33, v1
	s_nop 1
	v_cndmask_b32_e32 v2, v5, v2, vcc
	v_ashrrev_i32_e32 v3, 31, v2
	v_lshl_add_u64 v[14:15], v[2:3], 2, s[6:7]
	global_load_dword v4, v[6:7], off
	global_load_dword v3, v[8:9], off
	;; [unrolled: 1-line block ×4, first 2 shown]
	s_andn2_b64 vcc, exec, s[12:13]
	s_cbranch_vccnz .LBB1015_8
; %bb.6:
	s_add_u32 s8, s8, s14
	s_addc_u32 s9, s9, s15
	s_load_dword s5, s[8:9], 0x0
	s_branch .LBB1015_9
.LBB1015_7:
	s_mov_b64 s[14:15], 0
	s_branch .LBB1015_2
.LBB1015_8:
	s_mov_b32 s5, s2
.LBB1015_9:
	s_load_dwordx2 s[8:9], s[0:1], 0x10
	s_load_dwordx4 s[44:47], s[0:1], 0x48
	v_and_b32_e32 v56, 15, v0
	v_lshlrev_b32_e32 v5, 3, v56
	s_movk_i32 s12, 0x80
	v_lshrrev_b32_e32 v58, 6, v0
	v_bfe_u32 v1, v0, 4, 2
	s_lshl_b32 s11, s4, 3
	v_cmp_gt_u32_e32 vcc, s12, v0
	v_lshlrev_b32_e32 v54, 1, v5
	v_lshlrev_b32_e32 v57, 4, v0
	s_and_saveexec_b64 s[12:13], vcc
	s_cbranch_execz .LBB1015_11
; %bb.10:
	s_load_dwordx2 s[14:15], s[0:1], 0x0
	s_waitcnt lgkmcnt(0)
	s_ashr_i32 s20, s44, 31
	s_mul_hi_u32 s21, s5, s44
	s_mul_i32 s20, s5, s20
	s_add_i32 s21, s21, s20
	s_mul_i32 s20, s5, s44
	v_lshl_or_b32 v5, v58, 2, v1
	s_lshl_b64 s[20:21], s[20:21], 1
	s_add_u32 s14, s14, s20
	v_add_lshl_u32 v6, v5, s11, 7
	s_addc_u32 s15, s15, s21
	v_ashrrev_i32_e32 v7, 31, v6
	v_lshl_add_u64 v[6:7], v[6:7], 1, s[14:15]
	v_mov_b32_e32 v55, 0
	v_lshl_add_u64 v[6:7], v[6:7], 0, v[54:55]
	global_load_dwordx4 v[6:9], v[6:7], off
	v_lshlrev_b32_e32 v12, 8, v0
	v_lshlrev_b32_e32 v11, 8, v56
	v_and_b32_e32 v12, 0x600, v12
	s_movk_i32 s5, 0x800
	v_and_or_b32 v11, v11, s5, v12
	v_lshlrev_b32_e32 v5, 5, v5
	v_and_b32_e32 v12, 16, v57
	v_or3_b32 v5, v11, v5, v12
	s_waitcnt vmcnt(0)
	ds_write_b128 v5, v[6:9]
.LBB1015_11:
	s_or_b64 exec, exec, s[12:13]
	s_waitcnt lgkmcnt(0)
	s_mul_i32 s12, s4, s46
	s_add_u32 s4, s16, s12
	s_addc_u32 s5, s17, 0
	v_mov_b32_e32 v51, 0
	v_mov_b64_e32 v[12:13], s[4:5]
	v_and_b32_e32 v52, 48, v0
	s_waitcnt vmcnt(3)
	v_mad_i64_i32 v[4:5], s[4:5], v4, s45, v[12:13]
	v_lshlrev_b32_e32 v14, 4, v56
	v_mov_b32_e32 v15, v51
	v_lshlrev_b32_e32 v50, 5, v52
	v_lshl_add_u64 v[4:5], v[4:5], 0, v[14:15]
	v_lshl_add_u64 v[4:5], v[4:5], 0, v[50:51]
	s_barrier
	global_load_dwordx4 v[46:49], v[4:5], off
	global_load_dwordx4 v[34:37], v[4:5], off offset:2048
	s_waitcnt vmcnt(4)
	v_mad_i64_i32 v[4:5], s[4:5], v3, s45, v[12:13]
	v_or_b32_e32 v16, 0x100, v14
	v_mov_b32_e32 v17, v51
	s_waitcnt vmcnt(3)
	v_mad_i64_i32 v[2:3], s[4:5], v2, s45, v[12:13]
	s_waitcnt vmcnt(2)
	v_mad_i64_i32 v[10:11], s[4:5], v10, s45, v[12:13]
	v_lshl_add_u64 v[4:5], v[4:5], 0, v[16:17]
	v_lshl_add_u64 v[2:3], v[2:3], 0, v[14:15]
	;; [unrolled: 1-line block ×6, first 2 shown]
	global_load_dwordx4 v[38:41], v[4:5], off
	global_load_dwordx4 v[6:9], v[4:5], off offset:2048
	s_nop 0
	global_load_dwordx4 v[2:5], v[14:15], off
	global_load_dwordx4 v[42:45], v[14:15], off offset:2048
	global_load_dwordx4 v[26:29], v[10:11], off
	s_nop 0
	global_load_dwordx4 v[14:17], v[10:11], off offset:2048
	v_and_b32_e32 v10, 7, v0
	v_lshlrev_b32_e32 v10, 5, v10
	v_lshl_or_b32 v10, v1, 9, v10
	ds_read_b128 v[30:33], v10
	ds_read_b128 v[22:25], v10 offset:16
	ds_read_b128 v[18:21], v10 offset:2048
	;; [unrolled: 1-line block ×3, first 2 shown]
	v_and_b32_e32 v55, 63, v0
	v_cmp_gt_u32_e32 vcc, 8, v56
	v_mov_b32_e32 v59, 0
	s_and_saveexec_b64 s[4:5], vcc
	s_cbranch_execz .LBB1015_13
; %bb.12:
	s_load_dwordx2 s[14:15], s[0:1], 0x40
	v_or_b32_e32 v60, s11, v56
	v_ashrrev_i32_e32 v61, 31, v60
	s_waitcnt lgkmcnt(0)
	v_lshl_add_u64 v[60:61], v[60:61], 2, s[14:15]
	global_load_dword v59, v[60:61], off
.LBB1015_13:
	s_or_b64 exec, exec, s[4:5]
	s_ashr_i32 s4, s18, 31
	v_or_b32_e32 v50, s18, v52
	s_lshr_b32 s4, s4, 27
	v_add_u32_e32 v52, s4, v50
	v_or_b32_e32 v60, 64, v50
	v_ashrrev_i32_e32 v52, 5, v52
	v_mov_b32_e32 v66, s19
	v_cmp_gt_i32_e32 vcc, s33, v50
	v_add_u32_e32 v61, s4, v60
	v_ashrrev_i32_e32 v61, 5, v61
	v_cndmask_b32_e32 v52, v66, v52, vcc
	v_cmp_gt_i32_e32 vcc, s33, v60
	s_waitcnt vmcnt(7)
	v_cvt_pk_f32_fp8_sdwa v[62:63], v46 src0_sel:WORD_1
	v_ashrrev_i32_e32 v53, 31, v52
	v_cndmask_b32_e32 v60, v66, v61, vcc
	v_ashrrev_i32_e32 v61, 31, v60
	v_lshl_add_u64 v[64:65], v[60:61], 2, s[6:7]
	v_or_b32_e32 v60, 0x80, v50
	v_add_u32_e32 v61, s4, v60
	v_ashrrev_i32_e32 v61, 5, v61
	v_cmp_gt_i32_e32 vcc, s33, v60
	v_or_b32_e32 v50, 0xc0, v50
	v_cvt_pk_f32_fp8_sdwa v[72:73], v48 src0_sel:WORD_1
	v_cndmask_b32_e32 v60, v66, v61, vcc
	v_ashrrev_i32_e32 v61, 31, v60
	v_lshl_add_u64 v[70:71], v[60:61], 2, s[6:7]
	v_cvt_pk_f32_fp8_e32 v[60:61], v46
	v_add_u32_e32 v46, s4, v50
	v_ashrrev_i32_e32 v67, 5, v46
	v_cmp_gt_i32_e32 vcc, s33, v50
	v_cvt_pkrtz_f16_f32 v60, v60, v61
	v_cvt_pkrtz_f16_f32 v61, v62, v63
	v_cvt_pk_f32_fp8_e32 v[62:63], v47
	v_cvt_pk_f32_fp8_sdwa v[46:47], v47 src0_sel:WORD_1
	v_cndmask_b32_e32 v66, v66, v67, vcc
	v_lshl_add_u64 v[52:53], v[52:53], 2, s[6:7]
	v_cvt_pkrtz_f16_f32 v68, v62, v63
	v_cvt_pkrtz_f16_f32 v69, v46, v47
	s_waitcnt lgkmcnt(3)
	v_mfma_f32_16x16x16_f16 v[60:63], v[60:61], v[30:31], 0
	v_cvt_pk_f32_fp8_e32 v[46:47], v48
	v_ashrrev_i32_e32 v67, 31, v66
	v_lshl_add_u64 v[74:75], v[66:67], 2, s[6:7]
	v_mfma_f32_16x16x16_f16 v[66:69], v[68:69], v[32:33], v[60:63]
	s_nop 2
	global_load_dword v63, v[52:53], off
	s_nop 0
	global_load_dword v64, v[64:65], off
	;; [unrolled: 2-line block ×3, first 2 shown]
	global_load_dword v62, v[74:75], off
	v_cvt_pkrtz_f16_f32 v46, v46, v47
	v_cvt_pkrtz_f16_f32 v47, v72, v73
	v_cvt_pk_f32_fp8_e32 v[72:73], v49
	v_cvt_pk_f32_fp8_sdwa v[48:49], v49 src0_sel:WORD_1
	s_waitcnt vmcnt(10)
	v_cvt_pk_f32_fp8_sdwa v[70:71], v36 src0_sel:WORD_1
	s_waitcnt vmcnt(7)
	v_cvt_pk_f32_fp8_sdwa v[76:77], v5 src0_sel:WORD_1
	v_cvt_pkrtz_f16_f32 v52, v72, v73
	v_cvt_pkrtz_f16_f32 v53, v48, v49
	s_waitcnt lgkmcnt(2)
	v_mfma_f32_16x16x16_f16 v[46:49], v[46:47], v[22:23], v[66:69]
	v_cvt_pk_f32_fp8_sdwa v[72:73], v4 src0_sel:WORD_1
	s_add_u32 s4, s8, s12
	s_addc_u32 s5, s9, 0
	v_cvt_pk_f32_fp8_e32 v[66:67], v34
	v_cvt_pk_f32_fp8_sdwa v[68:69], v34 src0_sel:WORD_1
	v_mfma_f32_16x16x16_f16 v[46:49], v[52:53], v[24:25], v[46:49]
	v_cvt_pk_f32_fp8_e32 v[52:53], v35
	v_cvt_pkrtz_f16_f32 v66, v66, v67
	v_cvt_pkrtz_f16_f32 v67, v68, v69
	v_cvt_pk_f32_fp8_sdwa v[34:35], v35 src0_sel:WORD_1
	v_cvt_pkrtz_f16_f32 v52, v52, v53
	v_cvt_pk_f32_fp8_e32 v[68:69], v36
	s_waitcnt lgkmcnt(1)
	v_mfma_f32_16x16x16_f16 v[46:49], v[66:67], v[18:19], v[46:49]
	v_cvt_pkrtz_f16_f32 v53, v34, v35
	v_cvt_pkrtz_f16_f32 v66, v68, v69
	;; [unrolled: 1-line block ×3, first 2 shown]
	v_cvt_pk_f32_fp8_e32 v[68:69], v37
	v_cvt_pk_f32_fp8_sdwa v[70:71], v37 src0_sel:WORD_1
	v_mfma_f32_16x16x16_f16 v[34:37], v[52:53], v[20:21], v[46:49]
	v_cvt_pk_f32_fp8_sdwa v[52:53], v38 src0_sel:WORD_1
	v_and_b32_e32 v50, 16, v0
	v_lshl_or_b32 v60, v58, 4, v56
	v_cvt_pkrtz_f16_f32 v46, v68, v69
	v_cvt_pkrtz_f16_f32 v47, v70, v71
	s_waitcnt lgkmcnt(0)
	v_mfma_f32_16x16x16_f16 v[34:37], v[66:67], v[10:11], v[34:37]
	v_cvt_pk_f32_fp8_e32 v[48:49], v38
	v_cvt_pk_f32_fp8_e32 v[66:67], v40
	v_cvt_pk_f32_fp8_sdwa v[68:69], v40 src0_sel:WORD_1
	v_mfma_f32_16x16x16_f16 v[34:37], v[46:47], v[12:13], v[34:37]
	v_cvt_pk_f32_fp8_e32 v[46:47], v39
	v_cvt_pkrtz_f16_f32 v48, v48, v49
	v_cvt_pkrtz_f16_f32 v49, v52, v53
	v_cvt_pk_f32_fp8_sdwa v[38:39], v39 src0_sel:WORD_1
	v_cvt_pkrtz_f16_f32 v52, v46, v47
	v_mfma_f32_16x16x16_f16 v[46:49], v[48:49], v[30:31], 0
	v_cvt_pkrtz_f16_f32 v53, v38, v39
	v_cvt_pkrtz_f16_f32 v66, v66, v67
	;; [unrolled: 1-line block ×3, first 2 shown]
	v_cvt_pk_f32_fp8_e32 v[68:69], v41
	v_cvt_pk_f32_fp8_sdwa v[70:71], v41 src0_sel:WORD_1
	v_mfma_f32_16x16x16_f16 v[38:41], v[52:53], v[32:33], v[46:49]
	v_cvt_pk_f32_fp8_e32 v[52:53], v6
	v_cvt_pkrtz_f16_f32 v52, v52, v53
	s_nop 0
	v_cvt_pkrtz_f16_f32 v48, v68, v69
	v_cvt_pkrtz_f16_f32 v49, v70, v71
	v_mfma_f32_16x16x16_f16 v[38:41], v[66:67], v[22:23], v[38:41]
	v_cvt_pk_f32_fp8_sdwa v[66:67], v6 src0_sel:WORD_1
	v_cvt_pk_f32_fp8_sdwa v[68:69], v8 src0_sel:WORD_1
	v_lshl_add_u64 v[46:47], s[4:5], 0, v[50:51]
	v_mfma_f32_16x16x16_f16 v[38:41], v[48:49], v[24:25], v[38:41]
	v_cvt_pk_f32_fp8_e32 v[48:49], v7
	v_cvt_pkrtz_f16_f32 v53, v66, v67
	v_cvt_pk_f32_fp8_sdwa v[6:7], v7 src0_sel:WORD_1
	v_cvt_pk_f32_fp8_e32 v[66:67], v8
	v_cvt_pkrtz_f16_f32 v48, v48, v49
	v_mfma_f32_16x16x16_f16 v[38:41], v[52:53], v[18:19], v[38:41]
	v_cvt_pkrtz_f16_f32 v49, v6, v7
	v_cvt_pkrtz_f16_f32 v52, v66, v67
	v_cvt_pkrtz_f16_f32 v53, v68, v69
	v_cvt_pk_f32_fp8_e32 v[66:67], v9
	v_cvt_pk_f32_fp8_sdwa v[68:69], v9 src0_sel:WORD_1
	v_mfma_f32_16x16x16_f16 v[6:9], v[48:49], v[20:21], v[38:41]
	v_cvt_pk_f32_fp8_e32 v[48:49], v2
	v_lshlrev_b32_e32 v50, 5, v60
	v_lshl_add_u64 v[70:71], v[46:47], 0, v[50:51]
	v_cvt_pkrtz_f16_f32 v38, v66, v67
	v_cvt_pkrtz_f16_f32 v39, v68, v69
	v_mfma_f32_16x16x16_f16 v[6:9], v[52:53], v[10:11], v[6:9]
	v_cvt_pk_f32_fp8_sdwa v[52:53], v2 src0_sel:WORD_1
	s_waitcnt vmcnt(2)
	v_mad_i64_i32 v[74:75], s[4:5], v64, s45, v[70:71]
	v_mfma_f32_16x16x16_f16 v[38:41], v[38:39], v[12:13], v[6:9]
	v_or_b32_e32 v50, 0x800, v50
	v_lshl_add_u64 v[46:47], v[46:47], 0, v[50:51]
	s_nop 0
	v_cvt_pkrtz_f16_f32 v6, v48, v49
	v_cvt_pkrtz_f16_f32 v7, v52, v53
	v_cvt_pk_f32_fp8_e32 v[8:9], v3
	v_cvt_pk_f32_fp8_sdwa v[2:3], v3 src0_sel:WORD_1
	v_mad_i64_i32 v[48:49], s[4:5], v63, s45, v[70:71]
	v_cvt_pkrtz_f16_f32 v52, v8, v9
	v_cvt_pkrtz_f16_f32 v53, v2, v3
	v_mfma_f32_16x16x16_f16 v[6:9], v[6:7], v[30:31], 0
	v_cvt_pk_f32_fp8_e32 v[2:3], v4
	v_mfma_f32_16x16x16_f16 v[66:69], v[52:53], v[32:33], v[6:9]
	v_cvt_pkrtz_f16_f32 v52, v2, v3
	v_cvt_pkrtz_f16_f32 v53, v72, v73
	v_cvt_pk_f32_fp8_e32 v[72:73], v5
	s_nop 1
	global_load_dwordx4 v[6:9], v[48:49], off
	global_load_dwordx4 v[2:5], v[74:75], off
	v_mfma_f32_16x16x16_f16 v[66:69], v[52:53], v[22:23], v[66:69]
	v_cvt_pkrtz_f16_f32 v72, v72, v73
	v_cvt_pkrtz_f16_f32 v73, v76, v77
	s_waitcnt vmcnt(3)
	v_mad_i64_i32 v[48:49], s[4:5], v61, s45, v[70:71]
	s_waitcnt vmcnt(2)
	v_mad_i64_i32 v[52:53], s[4:5], v62, s45, v[70:71]
	v_mfma_f32_16x16x16_f16 v[66:69], v[72:73], v[24:25], v[66:69]
	v_cvt_pk_f32_fp8_e32 v[70:71], v42
	v_cvt_pk_f32_fp8_sdwa v[72:73], v42 src0_sel:WORD_1
	v_cvt_pk_f32_fp8_e32 v[74:75], v43
	v_cvt_pk_f32_fp8_sdwa v[42:43], v43 src0_sel:WORD_1
	v_cvt_pkrtz_f16_f32 v70, v70, v71
	v_cvt_pkrtz_f16_f32 v71, v72, v73
	;; [unrolled: 1-line block ×4, first 2 shown]
	v_cvt_pk_f32_fp8_e32 v[42:43], v44
	v_cvt_pk_f32_fp8_sdwa v[74:75], v44 src0_sel:WORD_1
	v_mfma_f32_16x16x16_f16 v[66:69], v[70:71], v[18:19], v[66:69]
	v_cvt_pk_f32_fp8_sdwa v[76:77], v45 src0_sel:WORD_1
	v_cvt_pkrtz_f16_f32 v70, v42, v43
	v_cvt_pkrtz_f16_f32 v71, v74, v75
	v_cvt_pk_f32_fp8_e32 v[74:75], v45
	v_mfma_f32_16x16x16_f16 v[42:45], v[72:73], v[20:21], v[66:69]
	v_cvt_pkrtz_f16_f32 v51, v76, v77
	v_cvt_pk_f32_fp8_sdwa v[72:73], v26 src0_sel:WORD_1
	v_cvt_pkrtz_f16_f32 v50, v74, v75
	v_mfma_f32_16x16x16_f16 v[42:45], v[70:71], v[10:11], v[42:45]
	v_cvt_pk_f32_fp8_e32 v[70:71], v26
	s_load_dword s4, s[0:1], 0x1c
	s_load_dwordx4 s[40:43], s[0:1], 0x80
	s_load_dword s44, s[0:1], 0x98
	s_waitcnt lgkmcnt(0)
	s_load_dword s5, s[40:41], 0x0
	v_mfma_f32_16x16x16_f16 v[66:69], v[50:51], v[12:13], v[42:45]
	s_mov_b32 s40, 0xff7fffff
	s_nop 1
	v_cvt_pk_f32_fp8_e32 v[42:43], v27
	v_cvt_pkrtz_f16_f32 v44, v70, v71
	v_cvt_pkrtz_f16_f32 v45, v72, v73
	v_cvt_pk_f32_fp8_sdwa v[26:27], v27 src0_sel:WORD_1
	v_cvt_pkrtz_f16_f32 v50, v42, v43
	v_cvt_pk_f32_fp8_e32 v[70:71], v28
	v_cvt_pk_f32_fp8_sdwa v[72:73], v28 src0_sel:WORD_1
	v_cvt_pkrtz_f16_f32 v51, v26, v27
	v_mfma_f32_16x16x16_f16 v[42:45], v[44:45], v[30:31], 0
	v_cvt_pkrtz_f16_f32 v30, v70, v71
	v_cvt_pkrtz_f16_f32 v31, v72, v73
	v_cvt_pk_f32_fp8_e32 v[70:71], v29
	v_cvt_pk_f32_fp8_sdwa v[72:73], v29 src0_sel:WORD_1
	v_mfma_f32_16x16x16_f16 v[26:29], v[50:51], v[32:33], v[42:45]
	v_cvt_pkrtz_f16_f32 v32, v70, v71
	v_cvt_pkrtz_f16_f32 v33, v72, v73
	v_mfma_f32_16x16x16_f16 v[26:29], v[30:31], v[22:23], v[26:29]
	v_mov_b32_e32 v42, s4
	s_waitcnt lgkmcnt(0)
	v_mul_f32_e32 v50, s5, v42
	v_pk_mul_f32 v[30:31], v[50:51], v[34:35] op_sel_hi:[0,1]
	v_mfma_f32_16x16x16_f16 v[32:35], v[32:33], v[24:25], v[26:29]
	v_cvt_pk_f32_fp8_e32 v[22:23], v14
	v_cvt_pk_f32_fp8_sdwa v[24:25], v14 src0_sel:WORD_1
	v_pk_mul_f32 v[42:43], v[50:51], v[36:37] op_sel_hi:[0,1]
	v_cvt_pk_f32_fp8_e32 v[26:27], v15
	v_cvt_pk_f32_fp8_sdwa v[14:15], v15 src0_sel:WORD_1
	v_cvt_pkrtz_f16_f32 v36, v22, v23
	v_cvt_pkrtz_f16_f32 v37, v24, v25
	;; [unrolled: 1-line block ×4, first 2 shown]
	v_cvt_pk_f32_fp8_e32 v[14:15], v16
	v_cvt_pk_f32_fp8_sdwa v[70:71], v16 src0_sel:WORD_1
	v_mfma_f32_16x16x16_f16 v[32:35], v[36:37], v[18:19], v[32:35]
	global_load_dwordx4 v[26:29], v[48:49], off
	global_load_dwordx4 v[22:25], v[52:53], off
	v_cvt_pkrtz_f16_f32 v18, v14, v15
	v_cvt_pkrtz_f16_f32 v19, v70, v71
	v_cvt_pk_f32_fp8_e32 v[36:37], v17
	v_cvt_pk_f32_fp8_sdwa v[48:49], v17 src0_sel:WORD_1
	v_mfma_f32_16x16x16_f16 v[14:17], v[44:45], v[20:21], v[32:35]
	v_pk_mul_f32 v[44:45], v[50:51], v[40:41] op_sel_hi:[0,1]
	v_cvt_pkrtz_f16_f32 v20, v36, v37
	v_cvt_pkrtz_f16_f32 v21, v48, v49
	v_mfma_f32_16x16x16_f16 v[14:17], v[18:19], v[10:11], v[14:17]
	v_pk_mul_f32 v[48:49], v[50:51], v[38:39] op_sel_hi:[0,1]
	v_pk_mul_f32 v[38:39], v[50:51], v[68:69] op_sel_hi:[0,1]
	;; [unrolled: 1-line block ×3, first 2 shown]
	v_mfma_f32_16x16x16_f16 v[10:13], v[20:21], v[12:13], v[14:17]
	s_nop 6
	v_pk_mul_f32 v[36:37], v[50:51], v[10:11] op_sel_hi:[0,1]
	v_and_b32_e32 v10, 0xc0, v0
	v_add_u32_e32 v10, s18, v10
	v_lshl_or_b32 v10, v1, 2, v10
	v_or_b32_e32 v11, 1, v10
	v_pk_mul_f32 v[34:35], v[50:51], v[12:13] op_sel_hi:[0,1]
	v_subrev_u32_e32 v12, s33, v11
	v_add_u32_e32 v14, 1, v12
	v_add_u32_e32 v15, 2, v12
	v_cvt_f32_i32_e32 v13, v12
	v_cvt_f32_i32_e32 v14, v14
	;; [unrolled: 1-line block ×3, first 2 shown]
	v_add_u32_e32 v16, 3, v12
	v_fma_f32 v17, v59, v13, v30
	v_fmac_f32_e32 v31, v59, v14
	v_fma_f32 v42, v59, v15, v42
	v_add_u32_e32 v13, 16, v12
	v_add_u32_e32 v14, 17, v12
	;; [unrolled: 1-line block ×3, first 2 shown]
	v_cvt_f32_i32_e32 v16, v16
	v_cvt_f32_i32_e32 v13, v13
	v_cvt_f32_i32_e32 v14, v14
	v_cvt_f32_i32_e32 v15, v15
	v_fmac_f32_e32 v43, v59, v16
	v_add_u32_e32 v16, 19, v12
	v_fma_f32 v52, v59, v13, v48
	v_fmac_f32_e32 v49, v59, v14
	v_fma_f32 v44, v59, v15, v44
	v_add_u32_e32 v13, 32, v12
	v_add_u32_e32 v14, 33, v12
	;; [unrolled: 1-line block ×3, first 2 shown]
	v_cvt_f32_i32_e32 v16, v16
	v_cvt_f32_i32_e32 v13, v13
	;; [unrolled: 1-line block ×4, first 2 shown]
	v_fmac_f32_e32 v45, v59, v16
	v_add_u32_e32 v16, 35, v12
	v_fma_f32 v40, v59, v13, v40
	v_fmac_f32_e32 v41, v59, v14
	v_fma_f32 v38, v59, v15, v38
	v_add_u32_e32 v13, 48, v12
	v_add_u32_e32 v14, 49, v12
	;; [unrolled: 1-line block ×4, first 2 shown]
	v_cvt_f32_i32_e32 v12, v12
	v_cvt_f32_i32_e32 v13, v13
	;; [unrolled: 1-line block ×3, first 2 shown]
	v_cmp_gt_i32_e64 s[12:13], s33, v10
	v_fmac_f32_e32 v35, v59, v12
	v_mov_b32_e32 v12, 0xff7fffff
	v_cmp_gt_i32_e64 s[14:15], s33, v11
	v_fma_f32 v36, v59, v13, v36
	v_cndmask_b32_e64 v13, v12, v17, s[12:13]
	v_cndmask_b32_e64 v11, v12, v31, s[14:15]
	v_fmac_f32_e32 v37, v59, v14
	v_max3_f32 v11, v13, s40, v11
	v_or_b32_e32 v13, 2, v10
	v_or_b32_e32 v14, 3, v10
	v_cmp_gt_i32_e64 s[16:17], s33, v13
	v_cmp_gt_i32_e64 s[18:19], s33, v14
	v_cvt_f32_i32_e32 v16, v16
	v_cndmask_b32_e64 v13, v12, v42, s[16:17]
	v_cndmask_b32_e64 v14, v12, v43, s[18:19]
	v_max3_f32 v11, v11, v13, v14
	v_or_b32_e32 v13, 16, v10
	v_or_b32_e32 v14, 17, v10
	v_cmp_gt_i32_e64 s[20:21], s33, v13
	v_cmp_gt_i32_e64 s[22:23], s33, v14
	v_fmac_f32_e32 v39, v59, v16
	v_cndmask_b32_e64 v13, v12, v52, s[20:21]
	v_cndmask_b32_e64 v14, v12, v49, s[22:23]
	v_max3_f32 v11, v11, v13, v14
	v_or_b32_e32 v13, 18, v10
	v_or_b32_e32 v14, 19, v10
	v_cmp_gt_i32_e64 s[24:25], s33, v13
	v_cmp_gt_i32_e64 s[26:27], s33, v14
	v_cvt_f32_i32_e32 v15, v15
	v_cndmask_b32_e64 v13, v12, v44, s[24:25]
	v_cndmask_b32_e64 v14, v12, v45, s[26:27]
	v_max3_f32 v11, v11, v13, v14
	v_or_b32_e32 v13, 32, v10
	v_or_b32_e32 v14, 33, v10
	v_cmp_gt_i32_e64 s[28:29], s33, v13
	v_cmp_gt_i32_e64 s[30:31], s33, v14
	v_fma_f32 v34, v59, v15, v34
	v_cndmask_b32_e64 v13, v12, v40, s[28:29]
	v_cndmask_b32_e64 v14, v12, v41, s[30:31]
	v_max3_f32 v11, v11, v13, v14
	v_or_b32_e32 v13, 34, v10
	v_or_b32_e32 v14, 35, v10
	v_cmp_gt_i32_e64 s[34:35], s33, v13
	v_cmp_gt_i32_e64 s[36:37], s33, v14
	s_nop 0
	v_cndmask_b32_e64 v13, v12, v38, s[34:35]
	v_cndmask_b32_e64 v14, v12, v39, s[36:37]
	v_max3_f32 v11, v11, v13, v14
	v_or_b32_e32 v13, 48, v10
	v_or_b32_e32 v14, 49, v10
	v_cmp_gt_i32_e64 s[6:7], s33, v13
	v_cmp_gt_i32_e64 s[8:9], s33, v14
	s_nop 0
	v_cndmask_b32_e64 v13, v12, v36, s[6:7]
	v_cndmask_b32_e64 v14, v12, v37, s[8:9]
	v_max3_f32 v11, v11, v13, v14
	v_or_b32_e32 v13, 50, v10
	v_or_b32_e32 v10, 51, v10
	v_cmp_gt_i32_e32 vcc, s33, v13
	v_cmp_gt_i32_e64 s[4:5], s33, v10
	s_nop 0
	v_cndmask_b32_e32 v13, v12, v34, vcc
	v_cndmask_b32_e64 v10, v12, v35, s[4:5]
	v_max3_f32 v14, v11, v13, v10
	v_mbcnt_lo_u32_b32 v10, -1, 0
	v_mbcnt_hi_u32_b32 v15, -1, v10
	v_and_b32_e32 v10, 64, v15
	v_add_u32_e32 v16, 64, v10
	v_xor_b32_e32 v10, 32, v15
	v_cmp_lt_i32_e64 s[38:39], v10, v16
	s_nop 1
	v_cndmask_b32_e64 v10, v15, v10, s[38:39]
	v_lshlrev_b32_e32 v53, 2, v10
	ds_bpermute_b32 v18, v53, v14
	v_mad_i64_i32 v[10:11], s[38:39], v63, s45, v[46:47]
	v_mad_i64_i32 v[12:13], s[38:39], v64, s45, v[46:47]
	s_waitcnt lgkmcnt(0)
	v_max_f32_e32 v18, v18, v18
	v_max_f32_e32 v18, v14, v18
	v_xor_b32_e32 v14, 16, v15
	v_cmp_lt_i32_e64 s[38:39], v14, v16
	s_nop 1
	v_cndmask_b32_e64 v14, v15, v14, s[38:39]
	v_lshlrev_b32_e32 v59, 2, v14
	ds_bpermute_b32 v16, v59, v18
	v_mad_i64_i32 v[14:15], s[38:39], v61, s45, v[46:47]
	v_mad_i64_i32 v[46:47], s[38:39], v62, s45, v[46:47]
	s_waitcnt lgkmcnt(0)
	v_max_f32_e32 v16, v16, v16
	v_max_f32_e32 v48, v18, v16
	v_sub_f32_e32 v16, v31, v48
	global_load_dwordx4 v[30:33], v[10:11], off
	global_load_dwordx4 v[18:21], v[12:13], off
	v_sub_f32_e32 v10, v17, v48
	v_mul_f32_e32 v10, 0x3fb8aa3b, v10
	v_exp_f32_e32 v50, v10
	v_mul_f32_e32 v10, 0x3fb8aa3b, v16
	v_exp_f32_e32 v51, v10
	v_sub_f32_e32 v10, v42, v48
	v_mul_f32_e32 v10, 0x3fb8aa3b, v10
	v_exp_f32_e32 v42, v10
	v_sub_f32_e32 v10, v43, v48
	v_mul_f32_e32 v10, 0x3fb8aa3b, v10
	v_exp_f32_e32 v43, v10
	global_load_dwordx4 v[14:17], v[14:15], off
	s_nop 0
	global_load_dwordx4 v[10:13], v[46:47], off
	v_sub_f32_e32 v40, v40, v48
	v_sub_f32_e32 v38, v38, v48
	v_mul_f32_e32 v40, 0x3fb8aa3b, v40
	v_mul_f32_e32 v38, 0x3fb8aa3b, v38
	v_cndmask_b32_e64 v47, 0, v51, s[14:15]
	v_cndmask_b32_e64 v51, 0, v43, s[18:19]
	v_sub_f32_e32 v43, v49, v48
	v_exp_f32_e32 v40, v40
	v_exp_f32_e32 v49, v38
	v_cndmask_b32_e64 v46, 0, v50, s[12:13]
	v_cndmask_b32_e64 v50, 0, v42, s[16:17]
	v_sub_f32_e32 v42, v52, v48
	v_mul_f32_e32 v42, 0x3fb8aa3b, v42
	v_sub_f32_e32 v38, v39, v48
	v_exp_f32_e32 v42, v42
	v_mul_f32_e32 v43, 0x3fb8aa3b, v43
	v_sub_f32_e32 v44, v44, v48
	v_mul_f32_e32 v38, 0x3fb8aa3b, v38
	v_exp_f32_e32 v43, v43
	v_mul_f32_e32 v44, 0x3fb8aa3b, v44
	v_sub_f32_e32 v45, v45, v48
	v_exp_f32_e32 v52, v38
	v_cndmask_b32_e64 v38, 0, v40, s[28:29]
	v_cndmask_b32_e64 v40, 0, v49, s[34:35]
	v_add_f32_e32 v49, 0, v46
	v_exp_f32_e32 v44, v44
	v_mul_f32_e32 v45, 0x3fb8aa3b, v45
	v_add_f32_e32 v49, v49, v47
	v_exp_f32_e32 v45, v45
	v_sub_f32_e32 v41, v41, v48
	v_add_f32_e32 v49, v49, v50
	v_cndmask_b32_e64 v42, 0, v42, s[20:21]
	v_mul_f32_e32 v41, 0x3fb8aa3b, v41
	v_add_f32_e32 v49, v49, v51
	v_cndmask_b32_e64 v43, 0, v43, s[22:23]
	v_exp_f32_e32 v41, v41
	v_add_f32_e32 v49, v49, v42
	v_cndmask_b32_e64 v44, 0, v44, s[24:25]
	v_add_f32_e32 v49, v49, v43
	v_sub_f32_e32 v36, v36, v48
	v_cndmask_b32_e64 v45, 0, v45, s[26:27]
	v_add_f32_e32 v49, v49, v44
	v_mul_f32_e32 v36, 0x3fb8aa3b, v36
	v_sub_f32_e32 v37, v37, v48
	v_add_f32_e32 v49, v49, v45
	v_exp_f32_e32 v36, v36
	v_mul_f32_e32 v37, 0x3fb8aa3b, v37
	v_sub_f32_e32 v34, v34, v48
	v_cndmask_b32_e64 v39, 0, v41, s[30:31]
	v_add_f32_e32 v49, v49, v38
	v_exp_f32_e32 v37, v37
	v_mul_f32_e32 v34, 0x3fb8aa3b, v34
	v_sub_f32_e32 v35, v35, v48
	v_add_f32_e32 v49, v49, v39
	v_exp_f32_e32 v34, v34
	v_mul_f32_e32 v35, 0x3fb8aa3b, v35
	v_cndmask_b32_e64 v41, 0, v52, s[36:37]
	v_add_f32_e32 v49, v49, v40
	v_exp_f32_e32 v35, v35
	v_add_f32_e32 v49, v49, v41
	v_cndmask_b32_e64 v36, 0, v36, s[6:7]
	v_add_f32_e32 v49, v49, v36
	v_cndmask_b32_e64 v37, 0, v37, s[8:9]
	v_add_f32_e32 v49, v49, v37
	v_cndmask_b32_e32 v34, 0, v34, vcc
	v_add_f32_e32 v49, v49, v34
	v_cndmask_b32_e64 v35, 0, v35, s[4:5]
	v_add_f32_e32 v49, v49, v35
	ds_bpermute_b32 v52, v53, v49
	v_cmp_gt_u32_e32 vcc, 16, v55
	s_waitcnt lgkmcnt(0)
	s_barrier
	v_add_f32_e32 v49, v49, v52
	ds_bpermute_b32 v52, v59, v49
	s_and_saveexec_b64 s[4:5], vcc
	s_cbranch_execz .LBB1015_15
; %bb.14:
	s_waitcnt lgkmcnt(0)
	v_add_f32_e32 v49, v49, v52
	v_lshlrev_b32_e32 v52, 2, v60
	ds_write2st64_b32 v52, v48, v49 offset1:1
.LBB1015_15:
	s_or_b64 exec, exec, s[4:5]
	v_lshlrev_b32_e32 v49, 2, v56
	s_load_dword s6, s[0:1], 0x94
	s_waitcnt lgkmcnt(0)
	s_barrier
	ds_read2_b32 v[52:53], v49 offset1:16
	ds_read2_b32 v[60:61], v49 offset0:32 offset1:48
	ds_read2_b32 v[62:63], v49 offset0:64 offset1:80
	s_lshl_b32 s7, s44, 3
	s_waitcnt lgkmcnt(2)
	v_max3_f32 v48, v52, s40, v53
	s_waitcnt lgkmcnt(1)
	v_max3_f32 v48, v48, v60, v61
	v_sub_f32_e32 v52, v52, v48
	v_mul_f32_e32 v52, 0x3fb8aa3b, v52
	v_exp_f32_e32 v55, v52
	v_sub_f32_e32 v52, v53, v48
	v_mul_f32_e32 v52, 0x3fb8aa3b, v52
	v_exp_f32_e32 v59, v52
	;; [unrolled: 3-line block ×3, first 2 shown]
	ds_read2_b32 v[52:53], v49 offset0:96 offset1:112
	v_sub_f32_e32 v49, v61, v48
	v_mul_f32_e32 v49, 0x3fb8aa3b, v49
	v_exp_f32_e32 v61, v49
	s_waitcnt lgkmcnt(1)
	v_fma_f32 v49, v55, v62, 0
	v_fmac_f32_e32 v49, v59, v63
	s_waitcnt lgkmcnt(0)
	v_fmac_f32_e32 v49, v60, v52
	v_fmac_f32_e32 v49, v61, v53
	v_add_f32_e32 v52, 0x358637bd, v49
	v_div_scale_f32 v53, s[4:5], v52, v52, 1.0
	v_rcp_f32_e32 v62, v53
	s_barrier
	v_fma_f32 v63, -v53, v62, 1.0
	v_fmac_f32_e32 v62, v63, v62
	v_div_scale_f32 v63, vcc, 1.0, v52, 1.0
	v_mul_f32_e32 v64, v63, v62
	v_fma_f32 v65, -v53, v64, v63
	v_fmac_f32_e32 v64, v65, v62
	v_fma_f32 v53, -v53, v64, v63
	v_div_fmas_f32 v53, v53, v62, v64
	v_cmp_eq_u32_e32 vcc, 1, v58
	v_div_fixup_f32 v52, v53, v52, 1.0
	s_nop 0
	v_cndmask_b32_e32 v53, v55, v59, vcc
	v_cmp_eq_u32_e32 vcc, 2, v58
	s_nop 1
	v_cndmask_b32_e32 v53, v53, v60, vcc
	v_cmp_eq_u32_e32 vcc, 3, v58
	s_nop 1
	v_cndmask_b32_e32 v53, v53, v61, vcc
	v_mul_f32_e32 v52, v53, v52
	v_pk_mul_f32 v[50:51], v[52:53], v[50:51] op_sel_hi:[0,1]
	v_pk_mul_f32 v[46:47], v[52:53], v[46:47] op_sel_hi:[0,1]
	v_cvt_f16_f32_e32 v53, v50
	v_cvt_f16_f32_e32 v46, v46
	;; [unrolled: 1-line block ×4, first 2 shown]
	v_pk_mul_f32 v[44:45], v[52:53], v[44:45] op_sel_hi:[0,1]
	v_pk_mul_f32 v[42:43], v[52:53], v[42:43] op_sel_hi:[0,1]
	v_cvt_f16_f32_e32 v42, v42
	v_cvt_f16_f32_e32 v43, v43
	;; [unrolled: 1-line block ×4, first 2 shown]
	v_pack_b32_f16 v50, v46, v47
	v_pack_b32_f16 v51, v53, v51
	v_lshlrev_b32_e32 v47, 3, v1
	v_lshlrev_b32_e32 v46, 5, v56
	;; [unrolled: 1-line block ×3, first 2 shown]
	v_or3_b32 v55, v53, v46, v47
	v_pack_b32_f16 v42, v42, v43
	v_pack_b32_f16 v43, v44, v45
	v_pk_mul_f32 v[40:41], v[52:53], v[40:41] op_sel_hi:[0,1]
	v_pk_mul_f32 v[38:39], v[52:53], v[38:39] op_sel_hi:[0,1]
	;; [unrolled: 1-line block ×4, first 2 shown]
	ds_write2st64_b64 v55, v[50:51], v[42:43] offset1:1
	v_cvt_f16_f32_e32 v38, v38
	v_cvt_f16_f32_e32 v39, v39
	;; [unrolled: 1-line block ×8, first 2 shown]
	v_pack_b32_f16 v34, v38, v39
	v_pack_b32_f16 v35, v40, v41
	;; [unrolled: 1-line block ×4, first 2 shown]
	v_cmp_gt_u32_e32 vcc, 8, v0
	ds_write2st64_b64 v55, v[34:35], v[36:37] offset0:2 offset1:3
	s_and_saveexec_b64 s[4:5], vcc
	s_cbranch_execz .LBB1015_17
; %bb.16:
	v_or_b32_e32 v34, s11, v0
	v_mov_b32_e32 v35, 0
	v_mov_b32_e32 v36, s7
	v_mad_u64_u32 v[36:37], s[8:9], s2, v36, v[34:35]
	v_mov_b32_e32 v34, s10
	s_load_dwordx4 s[12:15], s[0:1], 0x58
	s_mul_i32 s3, s3, s7
	v_mad_u64_u32 v[34:35], s[8:9], v36, s6, v[34:35]
	v_add_u32_e32 v37, s3, v37
	v_mov_b32_e32 v36, v35
	v_mad_u64_u32 v[36:37], s[8:9], v37, s6, v[36:37]
	v_mov_b32_e32 v35, v36
	v_lshlrev_b64 v[34:35], 2, v[34:35]
	s_waitcnt lgkmcnt(0)
	v_lshl_add_u64 v[36:37], s[14:15], 0, v[34:35]
	v_lshl_add_u64 v[34:35], s[12:13], 0, v[34:35]
	global_store_dword v[36:37], v48, off
	global_store_dword v[34:35], v49, off
.LBB1015_17:
	s_or_b64 exec, exec, s[4:5]
	s_waitcnt vmcnt(7)
	v_cvt_pk_f32_fp8_e32 v[34:35], v6
	v_cvt_pk_f32_fp8_sdwa v[36:37], v6 src0_sel:WORD_1
	v_lshl_or_b32 v50, v1, 9, v46
	s_waitcnt lgkmcnt(0)
	s_barrier
	v_cvt_pk_f32_fp8_e32 v[38:39], v7
	v_cvt_pkrtz_f16_f32 v6, v34, v35
	v_cvt_pk_f32_fp8_sdwa v[40:41], v7 src0_sel:WORD_1
	v_cvt_pkrtz_f16_f32 v7, v36, v37
	ds_read_b128 v[34:37], v50
	v_cvt_pkrtz_f16_f32 v46, v38, v39
	v_cvt_pkrtz_f16_f32 v47, v40, v41
	ds_read_b128 v[38:41], v50 offset:16
	v_cvt_pk_f32_fp8_e32 v[48:49], v8
	v_cvt_pk_f32_fp8_sdwa v[52:53], v8 src0_sel:WORD_1
	s_waitcnt lgkmcnt(1)
	v_mfma_f32_16x16x16_f16 v[42:45], v[6:7], v[34:35], 0
	s_waitcnt vmcnt(6)
	v_cvt_pk_f32_fp8_e32 v[58:59], v4
	v_cvt_pkrtz_f16_f32 v6, v48, v49
	v_cvt_pkrtz_f16_f32 v7, v52, v53
	v_cvt_pk_f32_fp8_e32 v[48:49], v9
	v_mfma_f32_16x16x16_f16 v[42:45], v[46:47], v[36:37], v[42:45]
	v_cvt_pk_f32_fp8_sdwa v[46:47], v9 src0_sel:WORD_1
	v_cvt_pk_f32_fp8_sdwa v[60:61], v4 src0_sel:WORD_1
	v_cvt_pkrtz_f16_f32 v48, v48, v49
	s_waitcnt lgkmcnt(0)
	v_mfma_f32_16x16x16_f16 v[6:9], v[6:7], v[38:39], v[42:45]
	v_cvt_pkrtz_f16_f32 v49, v46, v47
	s_waitcnt vmcnt(5)
	v_cvt_pk_f32_fp8_e32 v[62:63], v28
	v_cvt_pk_f32_fp8_sdwa v[64:65], v28 src0_sel:WORD_1
	v_cvt_pk_f32_fp8_e32 v[42:43], v2
	v_mfma_f32_16x16x16_f16 v[46:49], v[48:49], v[40:41], v[6:9]
	s_waitcnt vmcnt(4)
	v_cvt_pk_f32_fp8_sdwa v[66:67], v24 src0_sel:WORD_1
	s_load_dword s4, s[42:43], 0x0
	v_cvt_pk_f32_fp8_sdwa v[6:7], v2 src0_sel:WORD_1
	v_cvt_pk_f32_fp8_e32 v[8:9], v3
	v_cvt_pkrtz_f16_f32 v2, v42, v43
	v_cvt_pk_f32_fp8_sdwa v[42:43], v3 src0_sel:WORD_1
	v_cvt_pkrtz_f16_f32 v3, v6, v7
	v_cvt_pkrtz_f16_f32 v52, v8, v9
	ds_read_b128 v[6:9], v50 offset:2048
	v_cvt_pkrtz_f16_f32 v53, v42, v43
	ds_read_b128 v[42:45], v50 offset:2064
	s_waitcnt lgkmcnt(0)
	v_mfma_f32_16x16x16_f16 v[46:49], v[2:3], v[6:7], v[46:49]
	v_cvt_pkrtz_f16_f32 v2, v58, v59
	v_cvt_pkrtz_f16_f32 v3, v60, v61
	v_cvt_pk_f32_fp8_e32 v[58:59], v5
	v_mfma_f32_16x16x16_f16 v[46:49], v[52:53], v[8:9], v[46:49]
	v_cvt_pk_f32_fp8_sdwa v[52:53], v5 src0_sel:WORD_1
	s_mov_b32 s3, 0
	v_cvt_pkrtz_f16_f32 v58, v58, v59
	v_mfma_f32_16x16x16_f16 v[2:5], v[2:3], v[42:43], v[46:49]
	v_cvt_pkrtz_f16_f32 v59, v52, v53
	v_cmp_gt_u32_e32 vcc, 64, v0
	s_nop 0
	v_cvt_pk_f32_fp8_e32 v[46:47], v26
	v_mfma_f32_16x16x16_f16 v[58:61], v[58:59], v[44:45], v[2:5]
	s_nop 2
	v_cvt_pk_f32_fp8_sdwa v[2:3], v26 src0_sel:WORD_1
	v_cvt_pk_f32_fp8_e32 v[4:5], v27
	v_cvt_pkrtz_f16_f32 v26, v46, v47
	v_cvt_pk_f32_fp8_sdwa v[46:47], v27 src0_sel:WORD_1
	v_cvt_pkrtz_f16_f32 v27, v2, v3
	v_cvt_pkrtz_f16_f32 v52, v4, v5
	ds_read_b128 v[2:5], v50 offset:4096
	v_cvt_pkrtz_f16_f32 v53, v46, v47
	ds_read_b128 v[46:49], v50 offset:4112
	s_waitcnt lgkmcnt(1)
	v_mfma_f32_16x16x16_f16 v[58:61], v[26:27], v[2:3], v[58:61]
	v_cvt_pkrtz_f16_f32 v26, v62, v63
	v_cvt_pkrtz_f16_f32 v27, v64, v65
	v_cvt_pk_f32_fp8_e32 v[62:63], v29
	v_mfma_f32_16x16x16_f16 v[58:61], v[52:53], v[4:5], v[58:61]
	v_cvt_pk_f32_fp8_sdwa v[52:53], v29 src0_sel:WORD_1
	v_cvt_pk_f32_fp8_e32 v[64:65], v24
	v_cvt_pkrtz_f16_f32 v62, v62, v63
	s_waitcnt lgkmcnt(0)
	v_mfma_f32_16x16x16_f16 v[26:29], v[26:27], v[46:47], v[58:61]
	v_cvt_pkrtz_f16_f32 v63, v52, v53
	v_cvt_pk_f32_fp8_e32 v[52:53], v22
	s_nop 0
	v_mfma_f32_16x16x16_f16 v[58:61], v[62:63], v[48:49], v[26:29]
	s_nop 2
	v_cvt_pk_f32_fp8_sdwa v[26:27], v22 src0_sel:WORD_1
	v_cvt_pk_f32_fp8_e32 v[28:29], v23
	v_cvt_pkrtz_f16_f32 v22, v52, v53
	v_cvt_pk_f32_fp8_sdwa v[52:53], v23 src0_sel:WORD_1
	v_cvt_pkrtz_f16_f32 v23, v26, v27
	v_cvt_pkrtz_f16_f32 v62, v28, v29
	ds_read_b128 v[26:29], v50 offset:6144
	v_cvt_pkrtz_f16_f32 v63, v52, v53
	s_waitcnt lgkmcnt(0)
	v_mfma_f32_16x16x16_f16 v[58:61], v[22:23], v[26:27], v[58:61]
	ds_read_b128 v[50:53], v50 offset:6160
	v_cvt_pkrtz_f16_f32 v22, v64, v65
	v_cvt_pkrtz_f16_f32 v23, v66, v67
	v_mfma_f32_16x16x16_f16 v[58:61], v[62:63], v[28:29], v[58:61]
	v_cvt_pk_f32_fp8_e32 v[64:65], v25
	v_cvt_pk_f32_fp8_sdwa v[62:63], v25 src0_sel:WORD_1
	s_waitcnt vmcnt(3)
	v_cvt_pk_f32_fp8_sdwa v[66:67], v32 src0_sel:WORD_1
	s_waitcnt lgkmcnt(0)
	v_mfma_f32_16x16x16_f16 v[22:25], v[22:23], v[50:51], v[58:61]
	v_cvt_pkrtz_f16_f32 v64, v64, v65
	v_cvt_pkrtz_f16_f32 v65, v62, v63
	v_cvt_pk_f32_fp8_e32 v[62:63], v31
	v_cvt_pk_f32_fp8_e32 v[58:59], v30
	v_cvt_pk_f32_fp8_sdwa v[60:61], v30 src0_sel:WORD_1
	v_cvt_pk_f32_fp8_sdwa v[30:31], v31 src0_sel:WORD_1
	v_mfma_f32_16x16x16_f16 v[22:25], v[64:65], v[52:53], v[22:25]
	v_cvt_pkrtz_f16_f32 v58, v58, v59
	v_cvt_pkrtz_f16_f32 v59, v60, v61
	;; [unrolled: 1-line block ×3, first 2 shown]
	v_cvt_pk_f32_fp8_e32 v[64:65], v32
	v_cvt_pkrtz_f16_f32 v63, v30, v31
	v_mfma_f32_16x16x16_f16 v[58:61], v[58:59], v[34:35], 0
	v_cvt_pkrtz_f16_f32 v30, v64, v65
	v_cvt_pkrtz_f16_f32 v31, v66, v67
	v_cvt_pk_f32_fp8_e32 v[64:65], v33
	v_mfma_f32_16x16x16_f16 v[34:37], v[62:63], v[36:37], v[58:61]
	s_barrier
	s_nop 1
	v_cvt_pk_f32_fp8_sdwa v[58:59], v33 src0_sel:WORD_1
	v_cvt_pkrtz_f16_f32 v60, v64, v65
	v_mfma_f32_16x16x16_f16 v[30:33], v[30:31], v[38:39], v[34:37]
	s_waitcnt vmcnt(2)
	v_cvt_pk_f32_fp8_e32 v[38:39], v19
	v_cvt_pkrtz_f16_f32 v61, v58, v59
	v_cvt_pk_f32_fp8_e32 v[34:35], v18
	v_cvt_pk_f32_fp8_sdwa v[36:37], v18 src0_sel:WORD_1
	v_cvt_pk_f32_fp8_sdwa v[18:19], v19 src0_sel:WORD_1
	v_mfma_f32_16x16x16_f16 v[30:33], v[60:61], v[40:41], v[30:33]
	v_cvt_pkrtz_f16_f32 v34, v34, v35
	v_cvt_pkrtz_f16_f32 v35, v36, v37
	;; [unrolled: 1-line block ×3, first 2 shown]
	v_cvt_pk_f32_fp8_e32 v[38:39], v20
	v_cvt_pk_f32_fp8_sdwa v[40:41], v20 src0_sel:WORD_1
	v_cvt_pkrtz_f16_f32 v37, v18, v19
	v_mfma_f32_16x16x16_f16 v[30:33], v[34:35], v[6:7], v[30:33]
	v_cvt_pkrtz_f16_f32 v18, v38, v39
	v_cvt_pkrtz_f16_f32 v19, v40, v41
	v_cvt_pk_f32_fp8_e32 v[34:35], v21
	v_cvt_pk_f32_fp8_sdwa v[20:21], v21 src0_sel:WORD_1
	v_mfma_f32_16x16x16_f16 v[6:9], v[36:37], v[8:9], v[30:33]
	s_nop 2
	v_cvt_pkrtz_f16_f32 v30, v34, v35
	v_cvt_pkrtz_f16_f32 v31, v20, v21
	v_mfma_f32_16x16x16_f16 v[6:9], v[18:19], v[42:43], v[6:9]
	s_waitcnt vmcnt(1)
	v_cvt_pk_f32_fp8_e32 v[18:19], v14
	v_cvt_pk_f32_fp8_sdwa v[20:21], v14 src0_sel:WORD_1
	v_cvt_pk_f32_fp8_sdwa v[32:33], v16 src0_sel:WORD_1
	v_mfma_f32_16x16x16_f16 v[6:9], v[30:31], v[44:45], v[6:9]
	v_cvt_pk_f32_fp8_e32 v[30:31], v15
	v_cvt_pkrtz_f16_f32 v18, v18, v19
	v_cvt_pkrtz_f16_f32 v19, v20, v21
	v_cvt_pk_f32_fp8_sdwa v[14:15], v15 src0_sel:WORD_1
	v_cvt_pkrtz_f16_f32 v20, v30, v31
	v_cvt_pk_f32_fp8_e32 v[30:31], v16
	v_mfma_f32_16x16x16_f16 v[6:9], v[18:19], v[2:3], v[6:9]
	v_cvt_pkrtz_f16_f32 v21, v14, v15
	v_cvt_pkrtz_f16_f32 v14, v30, v31
	;; [unrolled: 1-line block ×3, first 2 shown]
	v_cvt_pk_f32_fp8_e32 v[18:19], v17
	v_cvt_pk_f32_fp8_sdwa v[16:17], v17 src0_sel:WORD_1
	v_mfma_f32_16x16x16_f16 v[2:5], v[20:21], v[4:5], v[6:9]
	s_waitcnt vmcnt(0)
	v_cvt_pk_f32_fp8_sdwa v[20:21], v12 src0_sel:WORD_1
	s_nop 0
	v_cvt_pkrtz_f16_f32 v8, v18, v19
	v_cvt_pkrtz_f16_f32 v9, v16, v17
	v_mfma_f32_16x16x16_f16 v[2:5], v[14:15], v[46:47], v[2:5]
	v_cvt_pk_f32_fp8_e32 v[16:17], v10
	v_cvt_pk_f32_fp8_sdwa v[18:19], v10 src0_sel:WORD_1
	v_pk_mul_f32 v[6:7], v[24:25], s[4:5] op_sel_hi:[1,0]
	v_mfma_f32_16x16x16_f16 v[2:5], v[8:9], v[48:49], v[2:5]
	v_cvt_pk_f32_fp8_e32 v[8:9], v11
	v_cvt_pkrtz_f16_f32 v16, v16, v17
	v_cvt_pkrtz_f16_f32 v17, v18, v19
	v_cvt_pk_f32_fp8_sdwa v[10:11], v11 src0_sel:WORD_1
	v_cvt_pkrtz_f16_f32 v8, v8, v9
	v_cvt_pk_f32_fp8_e32 v[18:19], v12
	v_mfma_f32_16x16x16_f16 v[2:5], v[16:17], v[26:27], v[2:5]
	v_cvt_pkrtz_f16_f32 v9, v10, v11
	v_cvt_pkrtz_f16_f32 v10, v18, v19
	;; [unrolled: 1-line block ×3, first 2 shown]
	v_cvt_pk_f32_fp8_e32 v[16:17], v13
	v_cvt_pk_f32_fp8_sdwa v[12:13], v13 src0_sel:WORD_1
	v_mfma_f32_16x16x16_f16 v[2:5], v[8:9], v[28:29], v[2:5]
	v_pk_mul_f32 v[14:15], v[22:23], s[4:5] op_sel_hi:[1,0]
	v_cvt_pkrtz_f16_f32 v8, v16, v17
	v_cvt_pkrtz_f16_f32 v9, v12, v13
	v_mfma_f32_16x16x16_f16 v[2:5], v[10:11], v[50:51], v[2:5]
	v_cvt_f16_f32_e32 v14, v14
	v_cvt_f16_f32_e32 v10, v15
	;; [unrolled: 1-line block ×3, first 2 shown]
	v_mfma_f32_16x16x16_f16 v[2:5], v[8:9], v[52:53], v[2:5]
	v_cvt_f16_f32_e32 v7, v7
	s_nop 5
	v_pk_mul_f32 v[4:5], v[4:5], s[4:5] op_sel_hi:[1,0]
	v_pk_mul_f32 v[2:3], v[2:3], s[4:5] op_sel_hi:[1,0]
	v_cvt_f16_f32_e32 v11, v4
	v_cvt_f16_f32_e32 v8, v2
	;; [unrolled: 1-line block ×4, first 2 shown]
	v_pack_b32_f16 v2, v14, v10
	v_pack_b32_f16 v3, v6, v7
	;; [unrolled: 1-line block ×4, first 2 shown]
	ds_write2st64_b64 v55, v[2:3], v[4:5] offset1:1
	s_waitcnt lgkmcnt(0)
	s_barrier
	s_and_saveexec_b64 s[4:5], vcc
	s_cbranch_execz .LBB1015_19
; %bb.18:
	s_load_dwordx2 s[0:1], s[0:1], 0x68
	s_lshl_b32 s6, s6, 7
	s_mul_i32 s2, s7, s2
	s_mul_hi_u32 s5, s2, s6
	s_mul_i32 s4, s2, s6
	v_lshlrev_b32_e32 v4, 6, v56
	s_lshl_b64 s[4:5], s[4:5], 1
	v_lshl_or_b32 v0, v0, 10, v4
	s_waitcnt lgkmcnt(0)
	s_add_u32 s4, s0, s4
	v_lshlrev_b32_e32 v2, 5, v1
	v_and_b32_e32 v3, 16, v57
	v_and_b32_e32 v0, 0x1a00, v0
	s_addc_u32 s5, s1, s5
	s_lshl_b32 s2, s10, 7
	v_or3_b32 v0, v0, v2, v3
	s_lshl_b64 s[0:1], s[2:3], 1
	ds_read_b128 v[2:5], v0
	ds_read_b128 v[6:9], v0 offset:128
	s_add_u32 s0, s4, s0
	s_addc_u32 s1, s5, s1
	v_mov_b32_e32 v55, 0
	v_or_b32_e32 v12, s11, v1
	v_lshl_add_u64 v[10:11], s[0:1], 0, v[54:55]
	v_mad_u64_u32 v[0:1], s[0:1], v12, s6, 0
	v_lshl_add_u64 v[0:1], v[0:1], 1, v[10:11]
	s_waitcnt lgkmcnt(1)
	global_store_dwordx4 v[0:1], v[2:5], off
	v_or_b32_e32 v0, 4, v12
	v_mad_u64_u32 v[0:1], s[0:1], v0, s6, 0
	v_lshl_add_u64 v[0:1], v[0:1], 1, v[10:11]
	s_waitcnt lgkmcnt(0)
	global_store_dwordx4 v[0:1], v[6:9], off
.LBB1015_19:
	s_endpgm
	.section	.rodata,"a",@progbits
	.p2align	6, 0x0
	.amdhsa_kernel _Z39paged_attention_ll4mi_QKV_mfma16_kernelIDF16_hLN4vllm18Fp8KVCacheDataTypeE1EhLi32ELi128ELi256ELb1ELi8EEvPKT_PKT0_S7_ifPKiS9_S9_iPKfiiiPfSC_PS2_PT2_iSB_SB_
		.amdhsa_group_segment_fixed_size 8192
		.amdhsa_private_segment_fixed_size 0
		.amdhsa_kernarg_size 400
		.amdhsa_user_sgpr_count 2
		.amdhsa_user_sgpr_dispatch_ptr 0
		.amdhsa_user_sgpr_queue_ptr 0
		.amdhsa_user_sgpr_kernarg_segment_ptr 1
		.amdhsa_user_sgpr_dispatch_id 0
		.amdhsa_user_sgpr_kernarg_preload_length 0
		.amdhsa_user_sgpr_kernarg_preload_offset 0
		.amdhsa_user_sgpr_private_segment_size 0
		.amdhsa_uses_dynamic_stack 0
		.amdhsa_enable_private_segment 0
		.amdhsa_system_sgpr_workgroup_id_x 1
		.amdhsa_system_sgpr_workgroup_id_y 1
		.amdhsa_system_sgpr_workgroup_id_z 1
		.amdhsa_system_sgpr_workgroup_info 0
		.amdhsa_system_vgpr_workitem_id 0
		.amdhsa_next_free_vgpr 78
		.amdhsa_next_free_sgpr 48
		.amdhsa_accum_offset 80
		.amdhsa_reserve_vcc 1
		.amdhsa_float_round_mode_32 0
		.amdhsa_float_round_mode_16_64 0
		.amdhsa_float_denorm_mode_32 3
		.amdhsa_float_denorm_mode_16_64 3
		.amdhsa_dx10_clamp 1
		.amdhsa_ieee_mode 1
		.amdhsa_fp16_overflow 0
		.amdhsa_tg_split 0
		.amdhsa_exception_fp_ieee_invalid_op 0
		.amdhsa_exception_fp_denorm_src 0
		.amdhsa_exception_fp_ieee_div_zero 0
		.amdhsa_exception_fp_ieee_overflow 0
		.amdhsa_exception_fp_ieee_underflow 0
		.amdhsa_exception_fp_ieee_inexact 0
		.amdhsa_exception_int_div_zero 0
	.end_amdhsa_kernel
	.section	.text._Z39paged_attention_ll4mi_QKV_mfma16_kernelIDF16_hLN4vllm18Fp8KVCacheDataTypeE1EhLi32ELi128ELi256ELb1ELi8EEvPKT_PKT0_S7_ifPKiS9_S9_iPKfiiiPfSC_PS2_PT2_iSB_SB_,"axG",@progbits,_Z39paged_attention_ll4mi_QKV_mfma16_kernelIDF16_hLN4vllm18Fp8KVCacheDataTypeE1EhLi32ELi128ELi256ELb1ELi8EEvPKT_PKT0_S7_ifPKiS9_S9_iPKfiiiPfSC_PS2_PT2_iSB_SB_,comdat
.Lfunc_end1015:
	.size	_Z39paged_attention_ll4mi_QKV_mfma16_kernelIDF16_hLN4vllm18Fp8KVCacheDataTypeE1EhLi32ELi128ELi256ELb1ELi8EEvPKT_PKT0_S7_ifPKiS9_S9_iPKfiiiPfSC_PS2_PT2_iSB_SB_, .Lfunc_end1015-_Z39paged_attention_ll4mi_QKV_mfma16_kernelIDF16_hLN4vllm18Fp8KVCacheDataTypeE1EhLi32ELi128ELi256ELb1ELi8EEvPKT_PKT0_S7_ifPKiS9_S9_iPKfiiiPfSC_PS2_PT2_iSB_SB_
                                        ; -- End function
	.section	.AMDGPU.csdata,"",@progbits
; Kernel info:
; codeLenInByte = 6320
; NumSgprs: 54
; NumVgprs: 78
; NumAgprs: 0
; TotalNumVgprs: 78
; ScratchSize: 0
; MemoryBound: 0
; FloatMode: 240
; IeeeMode: 1
; LDSByteSize: 8192 bytes/workgroup (compile time only)
; SGPRBlocks: 6
; VGPRBlocks: 9
; NumSGPRsForWavesPerEU: 54
; NumVGPRsForWavesPerEU: 78
; AccumOffset: 80
; Occupancy: 6
; WaveLimiterHint : 1
; COMPUTE_PGM_RSRC2:SCRATCH_EN: 0
; COMPUTE_PGM_RSRC2:USER_SGPR: 2
; COMPUTE_PGM_RSRC2:TRAP_HANDLER: 0
; COMPUTE_PGM_RSRC2:TGID_X_EN: 1
; COMPUTE_PGM_RSRC2:TGID_Y_EN: 1
; COMPUTE_PGM_RSRC2:TGID_Z_EN: 1
; COMPUTE_PGM_RSRC2:TIDIG_COMP_CNT: 0
; COMPUTE_PGM_RSRC3_GFX90A:ACCUM_OFFSET: 19
; COMPUTE_PGM_RSRC3_GFX90A:TG_SPLIT: 0
	.section	.text._Z39paged_attention_ll4mi_QKV_mfma16_kernelIDF16_hLN4vllm18Fp8KVCacheDataTypeE1EhLi32ELi128ELi256ELb1ELi9EEvPKT_PKT0_S7_ifPKiS9_S9_iPKfiiiPfSC_PS2_PT2_iSB_SB_,"axG",@progbits,_Z39paged_attention_ll4mi_QKV_mfma16_kernelIDF16_hLN4vllm18Fp8KVCacheDataTypeE1EhLi32ELi128ELi256ELb1ELi9EEvPKT_PKT0_S7_ifPKiS9_S9_iPKfiiiPfSC_PS2_PT2_iSB_SB_,comdat
	.protected	_Z39paged_attention_ll4mi_QKV_mfma16_kernelIDF16_hLN4vllm18Fp8KVCacheDataTypeE1EhLi32ELi128ELi256ELb1ELi9EEvPKT_PKT0_S7_ifPKiS9_S9_iPKfiiiPfSC_PS2_PT2_iSB_SB_ ; -- Begin function _Z39paged_attention_ll4mi_QKV_mfma16_kernelIDF16_hLN4vllm18Fp8KVCacheDataTypeE1EhLi32ELi128ELi256ELb1ELi9EEvPKT_PKT0_S7_ifPKiS9_S9_iPKfiiiPfSC_PS2_PT2_iSB_SB_
	.globl	_Z39paged_attention_ll4mi_QKV_mfma16_kernelIDF16_hLN4vllm18Fp8KVCacheDataTypeE1EhLi32ELi128ELi256ELb1ELi9EEvPKT_PKT0_S7_ifPKiS9_S9_iPKfiiiPfSC_PS2_PT2_iSB_SB_
	.p2align	8
	.type	_Z39paged_attention_ll4mi_QKV_mfma16_kernelIDF16_hLN4vllm18Fp8KVCacheDataTypeE1EhLi32ELi128ELi256ELb1ELi9EEvPKT_PKT0_S7_ifPKiS9_S9_iPKfiiiPfSC_PS2_PT2_iSB_SB_,@function
_Z39paged_attention_ll4mi_QKV_mfma16_kernelIDF16_hLN4vllm18Fp8KVCacheDataTypeE1EhLi32ELi128ELi256ELb1ELi9EEvPKT_PKT0_S7_ifPKiS9_S9_iPKfiiiPfSC_PS2_PT2_iSB_SB_: ; @_Z39paged_attention_ll4mi_QKV_mfma16_kernelIDF16_hLN4vllm18Fp8KVCacheDataTypeE1EhLi32ELi128ELi256ELb1ELi9EEvPKT_PKT0_S7_ifPKiS9_S9_iPKfiiiPfSC_PS2_PT2_iSB_SB_
; %bb.0:
	s_load_dwordx2 s[10:11], s[0:1], 0x30
	s_mov_b32 s6, s3
	s_mov_b64 s[8:9], 0
	s_waitcnt lgkmcnt(0)
	s_cmp_lg_u64 s[10:11], 0
	s_cselect_b64 s[12:13], -1, 0
	s_and_b64 vcc, exec, s[12:13]
	s_cbranch_vccz .LBB1016_7
; %bb.1:
	s_add_i32 s14, s2, 1
	s_mov_b32 s15, 0
	s_lshl_b64 s[16:17], s[14:15], 2
	s_add_u32 s16, s10, s16
	s_mov_b32 s3, s15
	s_addc_u32 s17, s11, s17
	s_lshl_b64 s[14:15], s[2:3], 2
	s_add_u32 s14, s10, s14
	s_addc_u32 s15, s11, s15
	s_load_dword s5, s[16:17], 0x0
	s_load_dword s7, s[14:15], 0x0
	s_waitcnt lgkmcnt(0)
	s_sub_i32 s5, s5, s7
	s_cmp_eq_u32 s5, 1
	s_cselect_b64 s[14:15], -1, 0
	s_andn2_b64 vcc, exec, s[8:9]
	s_cbranch_vccnz .LBB1016_3
.LBB1016_2:
	s_mov_b32 s3, 0
	s_mov_b64 s[14:15], -1
.LBB1016_3:
	s_andn2_b64 vcc, exec, s[14:15]
	s_cbranch_vccnz .LBB1016_20
; %bb.4:
	s_load_dwordx2 s[8:9], s[0:1], 0x28
	s_lshl_b64 s[14:15], s[2:3], 2
	s_waitcnt lgkmcnt(0)
	s_add_u32 s8, s8, s14
	s_addc_u32 s9, s9, s15
	s_load_dword s7, s[8:9], 0x0
	s_lshl_b32 s18, s6, 8
	s_waitcnt lgkmcnt(0)
	s_cmp_ge_i32 s18, s7
	s_cbranch_scc1 .LBB1016_20
; %bb.5:
	s_load_dwordx2 s[8:9], s[0:1], 0x20
	s_load_dword s5, s[0:1], 0x38
	s_add_i32 s16, s7, 31
	s_ashr_i32 s17, s16, 31
	v_and_b32_e32 v1, 0xcf, v0
	s_lshr_b32 s17, s17, 27
	v_add_u32_e32 v1, s18, v1
	s_add_i32 s16, s16, s17
	v_ashrrev_i32_e32 v2, 31, v1
	s_ashr_i32 s19, s16, 5
	v_lshrrev_b32_e32 v4, 27, v2
	s_add_i32 s19, s19, -1
	s_waitcnt lgkmcnt(0)
	s_mul_i32 s16, s2, s5
	s_mov_b32 s17, 0
	v_add_u32_e32 v2, v1, v4
	s_lshl_b64 s[16:17], s[16:17], 2
	v_ashrrev_i32_e32 v2, 5, v2
	v_mov_b32_e32 v5, s19
	v_cmp_gt_i32_e32 vcc, s7, v1
	s_add_u32 s8, s8, s16
	s_addc_u32 s9, s9, s17
	v_cndmask_b32_e32 v2, v5, v2, vcc
	v_ashrrev_i32_e32 v3, 31, v2
	v_lshl_add_u64 v[6:7], v[2:3], 2, s[8:9]
	v_or_b32_e32 v2, 16, v1
	v_add_u32_e32 v3, v2, v4
	v_ashrrev_i32_e32 v3, 5, v3
	v_cmp_gt_i32_e32 vcc, s7, v2
	s_load_dwordx2 s[16:17], s[0:1], 0x8
	s_nop 0
	v_cndmask_b32_e32 v2, v5, v3, vcc
	v_ashrrev_i32_e32 v3, 31, v2
	v_lshl_add_u64 v[8:9], v[2:3], 2, s[8:9]
	v_or_b32_e32 v2, 32, v1
	v_add_u32_e32 v3, v2, v4
	v_ashrrev_i32_e32 v3, 5, v3
	v_cmp_gt_i32_e32 vcc, s7, v2
	v_or_b32_e32 v1, 48, v1
	s_nop 0
	v_cndmask_b32_e32 v2, v5, v3, vcc
	v_ashrrev_i32_e32 v3, 31, v2
	v_lshl_add_u64 v[12:13], v[2:3], 2, s[8:9]
	v_add_u32_e32 v2, v1, v4
	v_ashrrev_i32_e32 v2, 5, v2
	v_cmp_gt_i32_e32 vcc, s7, v1
	s_nop 1
	v_cndmask_b32_e32 v2, v5, v2, vcc
	v_ashrrev_i32_e32 v3, 31, v2
	v_lshl_add_u64 v[14:15], v[2:3], 2, s[8:9]
	global_load_dword v4, v[6:7], off
	global_load_dword v3, v[8:9], off
	;; [unrolled: 1-line block ×4, first 2 shown]
	s_andn2_b64 vcc, exec, s[12:13]
	s_cbranch_vccnz .LBB1016_8
; %bb.6:
	s_add_u32 s10, s10, s14
	s_addc_u32 s11, s11, s15
	s_load_dword s5, s[10:11], 0x0
	s_branch .LBB1016_9
.LBB1016_7:
	s_mov_b64 s[14:15], 0
	s_branch .LBB1016_2
.LBB1016_8:
	s_mov_b32 s5, s2
.LBB1016_9:
	s_load_dwordx2 s[10:11], s[0:1], 0x10
	s_load_dwordx4 s[44:47], s[0:1], 0x48
	v_lshrrev_b32_e32 v57, 6, v0
	v_bfe_u32 v62, v0, 4, 2
	v_and_b32_e32 v56, 15, v0
	v_lshl_or_b32 v5, v57, 2, v62
	v_lshlrev_b32_e32 v1, 3, v56
	s_mul_i32 s48, s4, 9
	v_cmp_gt_u32_e32 vcc, 9, v5
	v_lshlrev_b32_e32 v54, 1, v1
	v_lshlrev_b32_e32 v1, 4, v0
	s_and_saveexec_b64 s[12:13], vcc
	s_cbranch_execz .LBB1016_11
; %bb.10:
	s_load_dwordx2 s[14:15], s[0:1], 0x0
	s_waitcnt lgkmcnt(0)
	s_ashr_i32 s20, s44, 31
	s_mul_hi_u32 s21, s5, s44
	s_mul_i32 s20, s5, s20
	s_add_i32 s21, s21, s20
	s_mul_i32 s20, s5, s44
	s_lshl_b64 s[20:21], s[20:21], 1
	s_add_u32 s14, s14, s20
	v_add_lshl_u32 v6, v5, s48, 7
	s_addc_u32 s15, s15, s21
	v_ashrrev_i32_e32 v7, 31, v6
	v_lshl_add_u64 v[6:7], v[6:7], 1, s[14:15]
	v_mov_b32_e32 v55, 0
	v_lshl_add_u64 v[6:7], v[6:7], 0, v[54:55]
	global_load_dwordx4 v[6:9], v[6:7], off
	v_lshlrev_b32_e32 v12, 8, v0
	v_lshlrev_b32_e32 v11, 8, v56
	v_and_b32_e32 v12, 0x600, v12
	s_movk_i32 s5, 0x800
	v_and_or_b32 v11, v11, s5, v12
	v_lshlrev_b32_e32 v5, 5, v5
	v_and_b32_e32 v12, 16, v1
	v_or3_b32 v5, v11, v5, v12
	s_waitcnt vmcnt(0)
	ds_write_b128 v5, v[6:9]
.LBB1016_11:
	s_or_b64 exec, exec, s[12:13]
	s_waitcnt lgkmcnt(0)
	s_mul_i32 s12, s4, s46
	s_add_u32 s4, s16, s12
	s_addc_u32 s5, s17, 0
	v_mov_b32_e32 v59, 0
	v_mov_b64_e32 v[12:13], s[4:5]
	v_and_b32_e32 v34, 48, v0
	s_waitcnt vmcnt(3)
	v_mad_i64_i32 v[4:5], s[4:5], v4, s45, v[12:13]
	v_lshlrev_b32_e32 v14, 4, v56
	v_mov_b32_e32 v15, v59
	v_lshlrev_b32_e32 v58, 5, v34
	v_lshl_add_u64 v[4:5], v[4:5], 0, v[14:15]
	v_lshl_add_u64 v[4:5], v[4:5], 0, v[58:59]
	s_barrier
	global_load_dwordx4 v[50:53], v[4:5], off
	global_load_dwordx4 v[46:49], v[4:5], off offset:2048
	s_waitcnt vmcnt(4)
	v_mad_i64_i32 v[4:5], s[4:5], v3, s45, v[12:13]
	v_or_b32_e32 v16, 0x100, v14
	v_mov_b32_e32 v17, v59
	s_waitcnt vmcnt(3)
	v_mad_i64_i32 v[2:3], s[4:5], v2, s45, v[12:13]
	v_lshl_add_u64 v[4:5], v[4:5], 0, v[16:17]
	v_lshl_add_u64 v[2:3], v[2:3], 0, v[14:15]
	s_waitcnt vmcnt(2)
	v_mad_i64_i32 v[10:11], s[4:5], v10, s45, v[12:13]
	v_lshl_add_u64 v[4:5], v[4:5], 0, v[58:59]
	v_lshl_add_u64 v[14:15], v[2:3], 0, v[58:59]
	;; [unrolled: 1-line block ×3, first 2 shown]
	global_load_dwordx4 v[36:39], v[4:5], off
	global_load_dwordx4 v[6:9], v[4:5], off offset:2048
	s_nop 0
	global_load_dwordx4 v[2:5], v[14:15], off
	global_load_dwordx4 v[42:45], v[14:15], off offset:2048
	v_lshl_add_u64 v[14:15], v[10:11], 0, v[58:59]
	global_load_dwordx4 v[26:29], v[14:15], off
	global_load_dwordx4 v[10:13], v[14:15], off offset:2048
	v_add_u32_e32 v14, -9, v56
	v_cmp_gt_u32_e32 vcc, 9, v56
	v_and_b32_e32 v55, 63, v0
	v_mov_b32_e32 v63, 0
	v_cndmask_b32_e32 v14, v14, v56, vcc
	v_lshlrev_b32_e32 v14, 5, v14
	v_lshl_add_u32 v14, v62, 9, v14
	ds_read_b128 v[30:33], v14
	ds_read_b128 v[22:25], v14 offset:16
	ds_read_b128 v[18:21], v14 offset:2048
	ds_read_b128 v[14:17], v14 offset:2064
	s_and_saveexec_b64 s[4:5], vcc
	s_cbranch_execz .LBB1016_13
; %bb.12:
	s_load_dwordx2 s[14:15], s[0:1], 0x40
	v_add_u32_e32 v40, s48, v56
	v_ashrrev_i32_e32 v41, 31, v40
	s_waitcnt lgkmcnt(0)
	v_lshl_add_u64 v[40:41], v[40:41], 2, s[14:15]
	global_load_dword v63, v[40:41], off
.LBB1016_13:
	s_or_b64 exec, exec, s[4:5]
	s_ashr_i32 s4, s18, 31
	v_or_b32_e32 v58, s18, v34
	s_lshr_b32 s4, s4, 27
	v_add_u32_e32 v34, s4, v58
	v_cmp_gt_i32_e32 vcc, s7, v58
	v_or_b32_e32 v40, 64, v58
	v_or_b32_e32 v60, 0x80, v58
	;; [unrolled: 1-line block ×3, first 2 shown]
	v_add_u32_e32 v64, s4, v58
	v_ashrrev_i32_e32 v69, 5, v64
	s_waitcnt vmcnt(7)
	v_cvt_pk_f32_fp8_e32 v[64:65], v50
	v_cvt_pk_f32_fp8_sdwa v[66:67], v50 src0_sel:WORD_1
	v_cvt_pk_f32_fp8_e32 v[70:71], v51
	v_cvt_pk_f32_fp8_sdwa v[50:51], v51 src0_sel:WORD_1
	v_cvt_pkrtz_f16_f32 v64, v64, v65
	v_cvt_pkrtz_f16_f32 v65, v66, v67
	;; [unrolled: 1-line block ×3, first 2 shown]
	v_cvt_pk_f32_fp8_e32 v[72:73], v52
	v_cvt_pk_f32_fp8_sdwa v[74:75], v52 src0_sel:WORD_1
	v_cvt_pkrtz_f16_f32 v71, v50, v51
	s_waitcnt lgkmcnt(3)
	v_mfma_f32_16x16x16_f16 v[64:67], v[64:65], v[30:31], 0
	v_cvt_pkrtz_f16_f32 v72, v72, v73
	v_cvt_pkrtz_f16_f32 v73, v74, v75
	v_cvt_pk_f32_fp8_e32 v[74:75], v53
	v_cvt_pk_f32_fp8_sdwa v[76:77], v53 src0_sel:WORD_1
	v_mfma_f32_16x16x16_f16 v[50:53], v[70:71], v[32:33], v[64:67]
	v_ashrrev_i32_e32 v34, 5, v34
	v_mov_b32_e32 v68, s19
	v_add_u32_e32 v41, s4, v40
	v_cndmask_b32_e32 v34, v68, v34, vcc
	v_ashrrev_i32_e32 v41, 5, v41
	v_cmp_gt_i32_e32 vcc, s7, v40
	v_add_u32_e32 v61, s4, v60
	v_cvt_pkrtz_f16_f32 v64, v74, v75
	v_cvt_pkrtz_f16_f32 v65, v76, v77
	v_cndmask_b32_e32 v40, v68, v41, vcc
	v_ashrrev_i32_e32 v61, 5, v61
	v_cmp_gt_i32_e32 vcc, s7, v60
	s_waitcnt lgkmcnt(2)
	v_mfma_f32_16x16x16_f16 v[50:53], v[72:73], v[22:23], v[50:53]
	s_waitcnt vmcnt(6)
	v_cvt_pk_f32_fp8_e32 v[66:67], v46
	v_cndmask_b32_e32 v60, v68, v61, vcc
	v_cmp_gt_i32_e32 vcc, s7, v58
	v_ashrrev_i32_e32 v35, 31, v34
	v_lshl_add_u64 v[34:35], v[34:35], 2, s[8:9]
	v_cndmask_b32_e32 v68, v68, v69, vcc
	v_ashrrev_i32_e32 v41, 31, v40
	v_ashrrev_i32_e32 v61, 31, v60
	;; [unrolled: 1-line block ×3, first 2 shown]
	v_lshl_add_u64 v[40:41], v[40:41], 2, s[8:9]
	v_lshl_add_u64 v[60:61], v[60:61], 2, s[8:9]
	;; [unrolled: 1-line block ×3, first 2 shown]
	v_mfma_f32_16x16x16_f16 v[50:53], v[64:65], v[24:25], v[50:53]
	v_cvt_pkrtz_f16_f32 v74, v66, v67
	global_load_dword v68, v[34:35], off
	global_load_dword v66, v[40:41], off
	;; [unrolled: 1-line block ×4, first 2 shown]
	v_cvt_pk_f32_fp8_sdwa v[70:71], v46 src0_sel:WORD_1
	v_cvt_pk_f32_fp8_e32 v[40:41], v48
	s_waitcnt vmcnt(9)
	v_cvt_pk_f32_fp8_e32 v[60:61], v36
	s_add_u32 s4, s10, s12
	v_cvt_pkrtz_f16_f32 v75, v70, v71
	v_cvt_pk_f32_fp8_e32 v[70:71], v47
	v_cvt_pk_f32_fp8_sdwa v[46:47], v47 src0_sel:WORD_1
	s_waitcnt lgkmcnt(1)
	v_mfma_f32_16x16x16_f16 v[50:53], v[74:75], v[18:19], v[50:53]
	v_cvt_pkrtz_f16_f32 v34, v70, v71
	v_cvt_pkrtz_f16_f32 v35, v46, v47
	v_cvt_pk_f32_fp8_sdwa v[46:47], v48 src0_sel:WORD_1
	v_cvt_pkrtz_f16_f32 v40, v40, v41
	v_mfma_f32_16x16x16_f16 v[50:53], v[34:35], v[20:21], v[50:53]
	v_cvt_pkrtz_f16_f32 v41, v46, v47
	v_cvt_pk_f32_fp8_e32 v[34:35], v49
	v_cvt_pk_f32_fp8_sdwa v[46:47], v49 src0_sel:WORD_1
	v_cvt_pk_f32_fp8_sdwa v[70:71], v36 src0_sel:WORD_1
	s_addc_u32 s5, s11, 0
	v_cvt_pkrtz_f16_f32 v34, v34, v35
	v_cvt_pkrtz_f16_f32 v35, v46, v47
	s_waitcnt lgkmcnt(0)
	v_mfma_f32_16x16x16_f16 v[46:49], v[40:41], v[14:15], v[50:53]
	v_cvt_pkrtz_f16_f32 v40, v60, v61
	v_cvt_pkrtz_f16_f32 v41, v70, v71
	s_waitcnt vmcnt(8)
	v_cvt_pk_f32_fp8_sdwa v[60:61], v6 src0_sel:WORD_1
	v_cvt_pk_f32_fp8_e32 v[50:51], v37
	v_cvt_pk_f32_fp8_sdwa v[52:53], v37 src0_sel:WORD_1
	v_mfma_f32_16x16x16_f16 v[34:37], v[34:35], v[16:17], v[46:49]
	v_and_b32_e32 v58, 16, v0
	v_cvt_pkrtz_f16_f32 v50, v50, v51
	v_cvt_pkrtz_f16_f32 v51, v52, v53
	v_mfma_f32_16x16x16_f16 v[46:49], v[40:41], v[30:31], 0
	v_cvt_pk_f32_fp8_e32 v[40:41], v38
	v_cvt_pk_f32_fp8_sdwa v[52:53], v38 src0_sel:WORD_1
	v_lshl_or_b32 v64, v57, 4, v56
	v_mfma_f32_16x16x16_f16 v[46:49], v[50:51], v[32:33], v[46:49]
	v_cvt_pk_f32_fp8_e32 v[50:51], v39
	v_cvt_pkrtz_f16_f32 v40, v40, v41
	v_cvt_pkrtz_f16_f32 v41, v52, v53
	v_cvt_pk_f32_fp8_sdwa v[38:39], v39 src0_sel:WORD_1
	v_cvt_pkrtz_f16_f32 v50, v50, v51
	v_cvt_pk_f32_fp8_e32 v[52:53], v6
	s_waitcnt vmcnt(6)
	v_cvt_pk_f32_fp8_e32 v[74:75], v43
	v_cvt_pkrtz_f16_f32 v51, v38, v39
	v_mfma_f32_16x16x16_f16 v[38:41], v[40:41], v[22:23], v[46:49]
	s_nop 2
	v_cvt_pkrtz_f16_f32 v48, v52, v53
	v_cvt_pkrtz_f16_f32 v49, v60, v61
	v_cvt_pk_f32_fp8_e32 v[52:53], v7
	v_cvt_pk_f32_fp8_sdwa v[6:7], v7 src0_sel:WORD_1
	v_mfma_f32_16x16x16_f16 v[38:41], v[50:51], v[24:25], v[38:41]
	v_lshl_add_u64 v[46:47], s[4:5], 0, v[58:59]
	v_cvt_pkrtz_f16_f32 v50, v52, v53
	v_cvt_pkrtz_f16_f32 v51, v6, v7
	v_mfma_f32_16x16x16_f16 v[38:41], v[48:49], v[18:19], v[38:41]
	v_cvt_pk_f32_fp8_e32 v[6:7], v8
	v_cvt_pk_f32_fp8_sdwa v[48:49], v8 src0_sel:WORD_1
	v_cvt_pk_f32_fp8_sdwa v[52:53], v2 src0_sel:WORD_1
	v_mfma_f32_16x16x16_f16 v[38:41], v[50:51], v[20:21], v[38:41]
	v_cvt_pk_f32_fp8_e32 v[50:51], v9
	v_cvt_pkrtz_f16_f32 v6, v6, v7
	v_cvt_pkrtz_f16_f32 v7, v48, v49
	v_cvt_pk_f32_fp8_sdwa v[8:9], v9 src0_sel:WORD_1
	v_cvt_pkrtz_f16_f32 v48, v50, v51
	v_cvt_pk_f32_fp8_e32 v[50:51], v2
	v_lshlrev_b32_e32 v58, 5, v64
	v_cvt_pkrtz_f16_f32 v49, v8, v9
	v_mfma_f32_16x16x16_f16 v[6:9], v[6:7], v[14:15], v[38:41]
	v_cvt_pkrtz_f16_f32 v50, v50, v51
	v_cvt_pkrtz_f16_f32 v51, v52, v53
	v_cvt_pk_f32_fp8_e32 v[52:53], v3
	v_cvt_pk_f32_fp8_sdwa v[2:3], v3 src0_sel:WORD_1
	v_mfma_f32_16x16x16_f16 v[38:41], v[48:49], v[16:17], v[6:9]
	v_lshl_add_u64 v[48:49], v[46:47], 0, v[58:59]
	v_cvt_pkrtz_f16_f32 v52, v52, v53
	v_cvt_pkrtz_f16_f32 v53, v2, v3
	v_mfma_f32_16x16x16_f16 v[6:9], v[50:51], v[30:31], 0
	v_cvt_pk_f32_fp8_e32 v[2:3], v4
	v_cvt_pk_f32_fp8_sdwa v[50:51], v4 src0_sel:WORD_1
	s_waitcnt vmcnt(3)
	v_mad_i64_i32 v[60:61], s[4:5], v68, s45, v[48:49]
	v_cvt_pkrtz_f16_f32 v2, v2, v3
	v_cvt_pkrtz_f16_f32 v3, v50, v51
	v_mfma_f32_16x16x16_f16 v[6:9], v[52:53], v[32:33], v[6:9]
	v_cvt_pk_f32_fp8_e32 v[50:51], v5
	v_cvt_pk_f32_fp8_sdwa v[4:5], v5 src0_sel:WORD_1
	s_waitcnt vmcnt(2)
	v_mad_i64_i32 v[70:71], s[4:5], v66, s45, v[48:49]
	v_cvt_pkrtz_f16_f32 v50, v50, v51
	v_cvt_pkrtz_f16_f32 v51, v4, v5
	v_mfma_f32_16x16x16_f16 v[2:5], v[2:3], v[22:23], v[6:9]
	v_or_b32_e32 v58, 0x800, v58
	s_nop 1
	v_cvt_pk_f32_fp8_e32 v[6:7], v42
	v_cvt_pk_f32_fp8_sdwa v[8:9], v42 src0_sel:WORD_1
	v_cvt_pk_f32_fp8_sdwa v[42:43], v43 src0_sel:WORD_1
	v_mfma_f32_16x16x16_f16 v[50:53], v[50:51], v[24:25], v[2:5]
	v_cvt_pkrtz_f16_f32 v72, v6, v7
	v_cvt_pkrtz_f16_f32 v73, v8, v9
	global_load_dwordx4 v[6:9], v[60:61], off
	global_load_dwordx4 v[2:5], v[70:71], off
	v_cvt_pkrtz_f16_f32 v60, v74, v75
	v_cvt_pkrtz_f16_f32 v61, v42, v43
	v_mfma_f32_16x16x16_f16 v[70:73], v[72:73], v[18:19], v[50:53]
	v_cvt_pk_f32_fp8_e32 v[42:43], v44
	v_cvt_pkrtz_f16_f32 v42, v42, v43
	s_nop 0
	v_cvt_pk_f32_fp8_sdwa v[52:53], v44 src0_sel:WORD_1
	v_mfma_f32_16x16x16_f16 v[70:73], v[60:61], v[20:21], v[70:73]
	v_cvt_pk_f32_fp8_e32 v[60:61], v45
	s_waitcnt vmcnt(3)
	v_mad_i64_i32 v[50:51], s[4:5], v67, s45, v[48:49]
	s_load_dword s4, s[0:1], 0x1c
	s_load_dwordx4 s[40:43], s[0:1], 0x80
	v_cvt_pkrtz_f16_f32 v43, v52, v53
	v_cvt_pkrtz_f16_f32 v74, v60, v61
	v_cvt_pk_f32_fp8_e32 v[52:53], v26
	v_cvt_pk_f32_fp8_sdwa v[60:61], v26 src0_sel:WORD_1
	s_load_dword s33, s[0:1], 0x98
	s_waitcnt lgkmcnt(0)
	s_load_dword s5, s[40:41], 0x0
	v_cvt_pk_f32_fp8_sdwa v[44:45], v45 src0_sel:WORD_1
	v_cvt_pkrtz_f16_f32 v52, v52, v53
	v_cvt_pkrtz_f16_f32 v53, v60, v61
	v_cvt_pk_f32_fp8_e32 v[60:61], v27
	v_cvt_pk_f32_fp8_sdwa v[26:27], v27 src0_sel:WORD_1
	v_cvt_pkrtz_f16_f32 v75, v44, v45
	v_mfma_f32_16x16x16_f16 v[42:45], v[42:43], v[14:15], v[70:73]
	v_cvt_pkrtz_f16_f32 v60, v60, v61
	v_cvt_pkrtz_f16_f32 v61, v26, v27
	v_mov_b32_e32 v26, s4
	v_mfma_f32_16x16x16_f16 v[70:73], v[52:53], v[30:31], 0
	s_waitcnt lgkmcnt(0)
	v_mul_f32_e32 v52, s5, v26
	v_cvt_pk_f32_fp8_e32 v[26:27], v28
	v_cvt_pk_f32_fp8_sdwa v[30:31], v28 src0_sel:WORD_1
	v_mfma_f32_16x16x16_f16 v[70:73], v[60:61], v[32:33], v[70:73]
	v_cvt_pk_f32_fp8_e32 v[32:33], v29
	v_cvt_pk_f32_fp8_sdwa v[28:29], v29 src0_sel:WORD_1
	v_cvt_pkrtz_f16_f32 v26, v26, v27
	v_cvt_pkrtz_f16_f32 v27, v30, v31
	v_mfma_f32_16x16x16_f16 v[42:45], v[74:75], v[16:17], v[42:45]
	v_cvt_pkrtz_f16_f32 v32, v32, v33
	v_cvt_pkrtz_f16_f32 v33, v28, v29
	v_cvt_pk_f32_fp8_e32 v[60:61], v10
	v_cvt_pk_f32_fp8_sdwa v[74:75], v10 src0_sel:WORD_1
	v_mfma_f32_16x16x16_f16 v[26:29], v[26:27], v[22:23], v[70:73]
	v_pk_mul_f32 v[30:31], v[52:53], v[36:37] op_sel_hi:[0,1]
	v_cvt_pkrtz_f16_f32 v36, v60, v61
	v_cvt_pkrtz_f16_f32 v37, v74, v75
	v_cvt_pk_f32_fp8_e32 v[60:61], v11
	v_cvt_pk_f32_fp8_sdwa v[70:71], v11 src0_sel:WORD_1
	v_mfma_f32_16x16x16_f16 v[22:25], v[32:33], v[24:25], v[26:29]
	v_pk_mul_f32 v[10:11], v[52:53], v[34:35] op_sel_hi:[0,1]
	v_cvt_pkrtz_f16_f32 v60, v60, v61
	v_cvt_pkrtz_f16_f32 v61, v70, v71
	v_mfma_f32_16x16x16_f16 v[32:35], v[36:37], v[18:19], v[22:25]
	v_cvt_pk_f32_fp8_e32 v[18:19], v12
	v_cvt_pk_f32_fp8_sdwa v[36:37], v12 src0_sel:WORD_1
	s_waitcnt vmcnt(2)
	v_mad_i64_i32 v[48:49], s[8:9], v65, s45, v[48:49]
	global_load_dwordx4 v[26:29], v[50:51], off
	global_load_dwordx4 v[22:25], v[48:49], off
	v_cvt_pkrtz_f16_f32 v48, v18, v19
	v_cvt_pkrtz_f16_f32 v49, v36, v37
	v_cvt_pk_f32_fp8_e32 v[36:37], v13
	v_cvt_pk_f32_fp8_sdwa v[12:13], v13 src0_sel:WORD_1
	v_mfma_f32_16x16x16_f16 v[18:21], v[60:61], v[20:21], v[32:35]
	v_pk_mul_f32 v[40:41], v[52:53], v[40:41] op_sel_hi:[0,1]
	v_pk_mul_f32 v[42:43], v[52:53], v[42:43] op_sel_hi:[0,1]
	s_mov_b32 s40, 0xff7fffff
	v_cvt_pkrtz_f16_f32 v32, v36, v37
	v_cvt_pkrtz_f16_f32 v33, v12, v13
	v_mfma_f32_16x16x16_f16 v[12:15], v[48:49], v[14:15], v[18:21]
	v_pk_mul_f32 v[48:49], v[52:53], v[38:39] op_sel_hi:[0,1]
	v_pk_mul_f32 v[38:39], v[52:53], v[44:45] op_sel_hi:[0,1]
	v_mfma_f32_16x16x16_f16 v[12:15], v[32:33], v[16:17], v[12:15]
	s_nop 6
	v_pk_mul_f32 v[36:37], v[52:53], v[12:13] op_sel_hi:[0,1]
	v_and_b32_e32 v12, 0xc0, v0
	v_add_u32_e32 v12, s18, v12
	v_lshl_or_b32 v12, v62, 2, v12
	v_or_b32_e32 v13, 1, v12
	v_pk_mul_f32 v[34:35], v[52:53], v[14:15] op_sel_hi:[0,1]
	v_subrev_u32_e32 v14, s7, v13
	v_add_u32_e32 v16, 1, v14
	v_add_u32_e32 v17, 2, v14
	v_cvt_f32_i32_e32 v15, v14
	v_cvt_f32_i32_e32 v16, v16
	;; [unrolled: 1-line block ×3, first 2 shown]
	v_add_u32_e32 v18, 3, v14
	v_fma_f32 v10, v63, v15, v10
	v_fmac_f32_e32 v11, v63, v16
	v_fma_f32 v51, v63, v17, v30
	v_add_u32_e32 v15, 16, v14
	v_add_u32_e32 v16, 17, v14
	;; [unrolled: 1-line block ×3, first 2 shown]
	v_cvt_f32_i32_e32 v18, v18
	v_cvt_f32_i32_e32 v15, v15
	;; [unrolled: 1-line block ×4, first 2 shown]
	v_fmac_f32_e32 v31, v63, v18
	v_add_u32_e32 v18, 19, v14
	v_fma_f32 v48, v63, v15, v48
	v_fmac_f32_e32 v49, v63, v16
	v_fma_f32 v40, v63, v17, v40
	v_add_u32_e32 v15, 32, v14
	v_add_u32_e32 v16, 33, v14
	;; [unrolled: 1-line block ×3, first 2 shown]
	v_cvt_f32_i32_e32 v18, v18
	v_cvt_f32_i32_e32 v15, v15
	;; [unrolled: 1-line block ×4, first 2 shown]
	v_fmac_f32_e32 v41, v63, v18
	v_add_u32_e32 v18, 35, v14
	v_fma_f32 v42, v63, v15, v42
	v_fmac_f32_e32 v43, v63, v16
	v_fma_f32 v38, v63, v17, v38
	v_add_u32_e32 v15, 48, v14
	v_add_u32_e32 v16, 49, v14
	;; [unrolled: 1-line block ×4, first 2 shown]
	v_cvt_f32_i32_e32 v14, v14
	v_cvt_f32_i32_e32 v15, v15
	;; [unrolled: 1-line block ×3, first 2 shown]
	v_cmp_gt_i32_e64 s[8:9], s7, v12
	v_fmac_f32_e32 v35, v63, v14
	v_mov_b32_e32 v14, 0xff7fffff
	v_cmp_gt_i32_e64 s[10:11], s7, v13
	v_fma_f32 v36, v63, v15, v36
	v_cndmask_b32_e64 v15, v14, v10, s[8:9]
	v_cndmask_b32_e64 v13, v14, v11, s[10:11]
	v_fmac_f32_e32 v37, v63, v16
	v_max3_f32 v13, v15, s40, v13
	v_or_b32_e32 v15, 2, v12
	v_or_b32_e32 v16, 3, v12
	v_cmp_gt_i32_e64 s[12:13], s7, v15
	v_cmp_gt_i32_e64 s[14:15], s7, v16
	v_cvt_f32_i32_e32 v18, v18
	v_cndmask_b32_e64 v15, v14, v51, s[12:13]
	v_cndmask_b32_e64 v16, v14, v31, s[14:15]
	v_max3_f32 v13, v13, v15, v16
	v_or_b32_e32 v15, 16, v12
	v_or_b32_e32 v16, 17, v12
	v_cmp_gt_i32_e64 s[16:17], s7, v15
	v_cmp_gt_i32_e64 s[18:19], s7, v16
	v_fmac_f32_e32 v39, v63, v18
	v_cndmask_b32_e64 v15, v14, v48, s[16:17]
	v_cndmask_b32_e64 v16, v14, v49, s[18:19]
	v_max3_f32 v13, v13, v15, v16
	v_or_b32_e32 v15, 18, v12
	v_or_b32_e32 v16, 19, v12
	v_cmp_gt_i32_e64 s[20:21], s7, v15
	v_cmp_gt_i32_e64 s[22:23], s7, v16
	v_cvt_f32_i32_e32 v17, v17
	v_cndmask_b32_e64 v15, v14, v40, s[20:21]
	v_cndmask_b32_e64 v16, v14, v41, s[22:23]
	v_max3_f32 v13, v13, v15, v16
	v_or_b32_e32 v15, 32, v12
	v_or_b32_e32 v16, 33, v12
	v_cmp_gt_i32_e64 s[24:25], s7, v15
	v_cmp_gt_i32_e64 s[26:27], s7, v16
	v_fma_f32 v34, v63, v17, v34
	v_cndmask_b32_e64 v15, v14, v42, s[24:25]
	v_cndmask_b32_e64 v16, v14, v43, s[26:27]
	v_max3_f32 v13, v13, v15, v16
	v_or_b32_e32 v15, 34, v12
	v_or_b32_e32 v16, 35, v12
	v_cmp_gt_i32_e64 s[28:29], s7, v15
	v_cmp_gt_i32_e64 s[30:31], s7, v16
	s_nop 0
	v_cndmask_b32_e64 v15, v14, v38, s[28:29]
	v_cndmask_b32_e64 v16, v14, v39, s[30:31]
	v_max3_f32 v13, v13, v15, v16
	v_or_b32_e32 v15, 48, v12
	v_or_b32_e32 v16, 49, v12
	v_cmp_gt_i32_e64 s[34:35], s7, v15
	v_cmp_gt_i32_e64 s[36:37], s7, v16
	s_nop 0
	v_cndmask_b32_e64 v15, v14, v36, s[34:35]
	v_cndmask_b32_e64 v16, v14, v37, s[36:37]
	v_max3_f32 v13, v13, v15, v16
	v_or_b32_e32 v15, 50, v12
	v_or_b32_e32 v12, 51, v12
	v_cmp_gt_i32_e32 vcc, s7, v15
	v_cmp_gt_i32_e64 s[4:5], s7, v12
	s_nop 0
	v_cndmask_b32_e32 v15, v14, v34, vcc
	v_cndmask_b32_e64 v12, v14, v35, s[4:5]
	v_max3_f32 v16, v13, v15, v12
	v_mbcnt_lo_u32_b32 v12, -1, 0
	v_mbcnt_hi_u32_b32 v17, -1, v12
	v_and_b32_e32 v12, 64, v17
	v_add_u32_e32 v18, 64, v12
	v_xor_b32_e32 v12, 32, v17
	v_cmp_lt_i32_e64 s[38:39], v12, v18
	s_nop 1
	v_cndmask_b32_e64 v12, v17, v12, s[38:39]
	v_lshlrev_b32_e32 v52, 2, v12
	ds_bpermute_b32 v19, v52, v16
	v_lshl_add_u64 v[12:13], v[46:47], 0, v[58:59]
	v_mad_i64_i32 v[14:15], s[38:39], v68, s45, v[12:13]
	s_waitcnt lgkmcnt(0)
	v_max_f32_e32 v19, v19, v19
	v_max_f32_e32 v19, v16, v19
	v_xor_b32_e32 v16, 16, v17
	v_cmp_lt_i32_e64 s[38:39], v16, v18
	s_nop 1
	v_cndmask_b32_e64 v16, v17, v16, s[38:39]
	v_lshlrev_b32_e32 v53, 2, v16
	ds_bpermute_b32 v18, v53, v19
	v_mad_i64_i32 v[16:17], s[38:39], v66, s45, v[12:13]
	v_mad_i64_i32 v[44:45], s[38:39], v67, s45, v[12:13]
	s_waitcnt lgkmcnt(0)
	v_max_f32_e32 v18, v18, v18
	v_max_f32_e32 v50, v19, v18
	v_sub_f32_e32 v10, v10, v50
	v_mul_f32_e32 v10, 0x3fb8aa3b, v10
	v_exp_f32_e32 v18, v10
	v_sub_f32_e32 v10, v11, v50
	v_mul_f32_e32 v10, 0x3fb8aa3b, v10
	v_exp_f32_e32 v19, v10
	v_mad_i64_i32 v[10:11], s[38:39], v65, s45, v[12:13]
	v_sub_f32_e32 v12, v51, v50
	v_mul_f32_e32 v12, 0x3fb8aa3b, v12
	v_cndmask_b32_e64 v46, 0, v18, s[8:9]
	v_cndmask_b32_e64 v47, 0, v19, s[10:11]
	v_sub_f32_e32 v58, v31, v50
	global_load_dwordx4 v[30:33], v[14:15], off
	global_load_dwordx4 v[18:21], v[16:17], off
	v_exp_f32_e32 v51, v12
	global_load_dwordx4 v[14:17], v[44:45], off
	s_nop 0
	global_load_dwordx4 v[10:13], v[10:11], off
	v_sub_f32_e32 v45, v48, v50
	v_sub_f32_e32 v48, v49, v50
	;; [unrolled: 1-line block ×4, first 2 shown]
	v_mul_f32_e32 v44, 0x3fb8aa3b, v58
	v_mul_f32_e32 v45, 0x3fb8aa3b, v45
	;; [unrolled: 1-line block ×5, first 2 shown]
	v_exp_f32_e32 v44, v44
	v_exp_f32_e32 v45, v45
	;; [unrolled: 1-line block ×3, first 2 shown]
	v_cndmask_b32_e64 v48, 0, v51, s[12:13]
	v_exp_f32_e32 v40, v40
	v_exp_f32_e32 v51, v42
	v_sub_f32_e32 v42, v43, v50
	v_mul_f32_e32 v42, 0x3fb8aa3b, v42
	v_cndmask_b32_e64 v49, 0, v44, s[14:15]
	v_cndmask_b32_e64 v44, 0, v45, s[16:17]
	;; [unrolled: 1-line block ×3, first 2 shown]
	v_sub_f32_e32 v41, v41, v50
	v_exp_f32_e32 v58, v42
	v_cndmask_b32_e64 v42, 0, v40, s[20:21]
	v_cndmask_b32_e64 v40, 0, v51, s[24:25]
	v_add_f32_e32 v51, 0, v46
	v_mul_f32_e32 v41, 0x3fb8aa3b, v41
	v_add_f32_e32 v51, v51, v47
	v_exp_f32_e32 v41, v41
	v_add_f32_e32 v51, v51, v48
	v_sub_f32_e32 v38, v38, v50
	v_add_f32_e32 v51, v51, v49
	v_sub_f32_e32 v39, v39, v50
	v_mul_f32_e32 v38, 0x3fb8aa3b, v38
	v_add_f32_e32 v51, v51, v44
	v_exp_f32_e32 v38, v38
	v_mul_f32_e32 v39, 0x3fb8aa3b, v39
	v_sub_f32_e32 v36, v36, v50
	v_add_f32_e32 v51, v51, v45
	v_cndmask_b32_e64 v43, 0, v41, s[22:23]
	v_exp_f32_e32 v39, v39
	v_mul_f32_e32 v36, 0x3fb8aa3b, v36
	v_sub_f32_e32 v37, v37, v50
	v_add_f32_e32 v51, v51, v42
	v_exp_f32_e32 v36, v36
	v_mul_f32_e32 v37, 0x3fb8aa3b, v37
	v_add_f32_e32 v51, v51, v43
	v_sub_f32_e32 v34, v34, v50
	v_cndmask_b32_e64 v41, 0, v58, s[26:27]
	v_exp_f32_e32 v37, v37
	v_add_f32_e32 v51, v51, v40
	v_mul_f32_e32 v34, 0x3fb8aa3b, v34
	v_sub_f32_e32 v35, v35, v50
	v_cndmask_b32_e64 v38, 0, v38, s[28:29]
	v_add_f32_e32 v51, v51, v41
	v_exp_f32_e32 v34, v34
	v_mul_f32_e32 v35, 0x3fb8aa3b, v35
	v_cndmask_b32_e64 v39, 0, v39, s[30:31]
	v_add_f32_e32 v51, v51, v38
	v_exp_f32_e32 v35, v35
	v_cndmask_b32_e64 v36, 0, v36, s[34:35]
	v_add_f32_e32 v51, v51, v39
	v_cndmask_b32_e64 v37, 0, v37, s[36:37]
	v_add_f32_e32 v51, v51, v36
	v_add_f32_e32 v51, v51, v37
	v_cndmask_b32_e32 v34, 0, v34, vcc
	v_add_f32_e32 v51, v51, v34
	v_cndmask_b32_e64 v35, 0, v35, s[4:5]
	v_add_f32_e32 v51, v51, v35
	ds_bpermute_b32 v52, v52, v51
	v_cmp_gt_u32_e64 s[4:5], 16, v55
	s_waitcnt lgkmcnt(0)
	s_barrier
	v_add_f32_e32 v51, v51, v52
	ds_bpermute_b32 v52, v53, v51
	s_and_saveexec_b64 s[8:9], s[4:5]
	s_cbranch_execz .LBB1016_15
; %bb.14:
	s_waitcnt lgkmcnt(0)
	v_add_f32_e32 v51, v51, v52
	v_lshlrev_b32_e32 v52, 2, v64
	ds_write2st64_b32 v52, v50, v51 offset1:1
.LBB1016_15:
	s_or_b64 exec, exec, s[8:9]
	v_lshlrev_b32_e32 v51, 2, v56
	s_load_dword s7, s[0:1], 0x94
	s_waitcnt lgkmcnt(0)
	s_barrier
	ds_read2_b32 v[52:53], v51 offset1:16
	ds_read2_b32 v[58:59], v51 offset0:32 offset1:48
	ds_read2_b32 v[60:61], v51 offset0:64 offset1:80
	s_mul_i32 s10, s33, 9
	s_waitcnt lgkmcnt(2)
	v_max3_f32 v50, v52, s40, v53
	s_waitcnt lgkmcnt(1)
	v_max3_f32 v50, v50, v58, v59
	v_sub_f32_e32 v52, v52, v50
	v_mul_f32_e32 v52, 0x3fb8aa3b, v52
	v_exp_f32_e32 v55, v52
	v_sub_f32_e32 v52, v53, v50
	v_mul_f32_e32 v52, 0x3fb8aa3b, v52
	v_exp_f32_e32 v63, v52
	;; [unrolled: 3-line block ×3, first 2 shown]
	ds_read2_b32 v[52:53], v51 offset0:96 offset1:112
	v_sub_f32_e32 v51, v59, v50
	v_mul_f32_e32 v51, 0x3fb8aa3b, v51
	v_exp_f32_e32 v59, v51
	s_waitcnt lgkmcnt(1)
	v_fma_f32 v51, v55, v60, 0
	v_fmac_f32_e32 v51, v63, v61
	s_waitcnt lgkmcnt(0)
	v_fmac_f32_e32 v51, v58, v52
	v_fmac_f32_e32 v51, v59, v53
	v_add_f32_e32 v52, 0x358637bd, v51
	v_div_scale_f32 v53, s[8:9], v52, v52, 1.0
	v_rcp_f32_e32 v60, v53
	s_barrier
	v_fma_f32 v61, -v53, v60, 1.0
	v_fmac_f32_e32 v60, v61, v60
	v_div_scale_f32 v61, vcc, 1.0, v52, 1.0
	v_mul_f32_e32 v64, v61, v60
	v_fma_f32 v65, -v53, v64, v61
	v_fmac_f32_e32 v64, v65, v60
	v_fma_f32 v53, -v53, v64, v61
	v_div_fmas_f32 v53, v53, v60, v64
	v_cmp_eq_u32_e32 vcc, 1, v57
	v_div_fixup_f32 v52, v53, v52, 1.0
	s_nop 0
	v_cndmask_b32_e32 v53, v55, v63, vcc
	v_cmp_eq_u32_e32 vcc, 2, v57
	s_nop 1
	v_cndmask_b32_e32 v53, v53, v58, vcc
	v_cmp_eq_u32_e32 vcc, 3, v57
	s_nop 1
	v_cndmask_b32_e32 v53, v53, v59, vcc
	v_mul_f32_e32 v52, v53, v52
	v_pk_mul_f32 v[48:49], v[52:53], v[48:49] op_sel_hi:[0,1]
	v_pk_mul_f32 v[46:47], v[52:53], v[46:47] op_sel_hi:[0,1]
	v_cvt_f16_f32_e32 v53, v48
	v_cvt_f16_f32_e32 v49, v49
	;; [unrolled: 1-line block ×4, first 2 shown]
	v_pk_mul_f32 v[42:43], v[52:53], v[42:43] op_sel_hi:[0,1]
	v_pk_mul_f32 v[44:45], v[52:53], v[44:45] op_sel_hi:[0,1]
	v_pack_b32_f16 v49, v53, v49
	v_cvt_f16_f32_e32 v44, v44
	v_cvt_f16_f32_e32 v45, v45
	;; [unrolled: 1-line block ×4, first 2 shown]
	v_pack_b32_f16 v48, v46, v47
	v_lshlrev_b32_e32 v47, 3, v62
	v_lshlrev_b32_e32 v46, 5, v56
	;; [unrolled: 1-line block ×3, first 2 shown]
	v_or3_b32 v55, v42, v46, v47
	v_pack_b32_f16 v42, v44, v45
	v_pack_b32_f16 v43, v53, v43
	v_pk_mul_f32 v[38:39], v[52:53], v[38:39] op_sel_hi:[0,1]
	v_pk_mul_f32 v[40:41], v[52:53], v[40:41] op_sel_hi:[0,1]
	;; [unrolled: 1-line block ×4, first 2 shown]
	ds_write2st64_b64 v55, v[48:49], v[42:43] offset1:1
	v_cvt_f16_f32_e32 v40, v40
	v_cvt_f16_f32_e32 v41, v41
	;; [unrolled: 1-line block ×8, first 2 shown]
	v_pack_b32_f16 v34, v40, v41
	v_pack_b32_f16 v35, v38, v39
	;; [unrolled: 1-line block ×4, first 2 shown]
	v_cmp_gt_u32_e32 vcc, 9, v0
	ds_write2st64_b64 v55, v[34:35], v[36:37] offset0:2 offset1:3
	s_and_saveexec_b64 s[8:9], vcc
	s_cbranch_execz .LBB1016_17
; %bb.16:
	s_mov_b32 s49, 0
	v_mov_b32_e32 v57, 0
	v_lshl_add_u64 v[34:35], s[48:49], 0, v[56:57]
	v_mov_b32_e32 v36, s10
	v_mad_u64_u32 v[34:35], s[16:17], s2, v36, v[34:35]
	s_mul_i32 s3, s3, s10
	v_mov_b32_e32 v36, s6
	v_mov_b32_e32 v37, v57
	s_load_dwordx4 s[12:15], s[0:1], 0x58
	v_add_u32_e32 v38, s3, v35
	v_mad_u64_u32 v[34:35], s[16:17], v34, s7, v[36:37]
	v_mov_b32_e32 v36, v35
	v_mad_u64_u32 v[36:37], s[16:17], v38, s7, v[36:37]
	v_mov_b32_e32 v35, v36
	v_lshlrev_b64 v[34:35], 2, v[34:35]
	s_waitcnt lgkmcnt(0)
	v_lshl_add_u64 v[36:37], s[14:15], 0, v[34:35]
	v_lshl_add_u64 v[34:35], s[12:13], 0, v[34:35]
	global_store_dword v[36:37], v50, off
	global_store_dword v[34:35], v51, off
.LBB1016_17:
	s_or_b64 exec, exec, s[8:9]
	s_waitcnt vmcnt(7)
	v_cvt_pk_f32_fp8_e32 v[34:35], v6
	v_cvt_pk_f32_fp8_sdwa v[36:37], v6 src0_sel:WORD_1
	v_lshl_or_b32 v50, v62, 9, v46
	s_waitcnt lgkmcnt(0)
	s_barrier
	v_cvt_pk_f32_fp8_e32 v[38:39], v7
	v_cvt_pkrtz_f16_f32 v6, v34, v35
	v_cvt_pk_f32_fp8_sdwa v[40:41], v7 src0_sel:WORD_1
	v_cvt_pkrtz_f16_f32 v7, v36, v37
	ds_read_b128 v[34:37], v50
	v_cvt_pkrtz_f16_f32 v46, v38, v39
	v_cvt_pkrtz_f16_f32 v47, v40, v41
	ds_read_b128 v[38:41], v50 offset:16
	v_cvt_pk_f32_fp8_e32 v[48:49], v8
	v_cvt_pk_f32_fp8_sdwa v[52:53], v8 src0_sel:WORD_1
	s_waitcnt lgkmcnt(1)
	v_mfma_f32_16x16x16_f16 v[42:45], v[6:7], v[34:35], 0
	s_waitcnt vmcnt(6)
	v_cvt_pk_f32_fp8_e32 v[58:59], v4
	v_cvt_pkrtz_f16_f32 v6, v48, v49
	v_cvt_pkrtz_f16_f32 v7, v52, v53
	v_cvt_pk_f32_fp8_e32 v[48:49], v9
	v_mfma_f32_16x16x16_f16 v[42:45], v[46:47], v[36:37], v[42:45]
	v_cvt_pk_f32_fp8_sdwa v[46:47], v9 src0_sel:WORD_1
	v_cvt_pk_f32_fp8_sdwa v[60:61], v4 src0_sel:WORD_1
	v_cvt_pkrtz_f16_f32 v48, v48, v49
	s_waitcnt lgkmcnt(0)
	v_mfma_f32_16x16x16_f16 v[6:9], v[6:7], v[38:39], v[42:45]
	v_cvt_pkrtz_f16_f32 v49, v46, v47
	s_waitcnt vmcnt(5)
	v_cvt_pk_f32_fp8_e32 v[64:65], v28
	v_cvt_pk_f32_fp8_sdwa v[66:67], v28 src0_sel:WORD_1
	v_cvt_pk_f32_fp8_e32 v[42:43], v2
	v_mfma_f32_16x16x16_f16 v[46:49], v[48:49], v[40:41], v[6:9]
	s_waitcnt vmcnt(4)
	v_cvt_pk_f32_fp8_sdwa v[68:69], v24 src0_sel:WORD_1
	s_load_dword s8, s[42:43], 0x0
	v_cvt_pk_f32_fp8_sdwa v[6:7], v2 src0_sel:WORD_1
	v_cvt_pk_f32_fp8_e32 v[8:9], v3
	v_cvt_pkrtz_f16_f32 v2, v42, v43
	v_cvt_pk_f32_fp8_sdwa v[42:43], v3 src0_sel:WORD_1
	v_cvt_pkrtz_f16_f32 v3, v6, v7
	v_cvt_pkrtz_f16_f32 v52, v8, v9
	ds_read_b128 v[6:9], v50 offset:2048
	v_cvt_pkrtz_f16_f32 v53, v42, v43
	ds_read_b128 v[42:45], v50 offset:2064
	s_waitcnt lgkmcnt(0)
	v_mfma_f32_16x16x16_f16 v[46:49], v[2:3], v[6:7], v[46:49]
	v_cvt_pkrtz_f16_f32 v2, v58, v59
	v_cvt_pkrtz_f16_f32 v3, v60, v61
	v_cvt_pk_f32_fp8_e32 v[58:59], v5
	v_mfma_f32_16x16x16_f16 v[46:49], v[52:53], v[8:9], v[46:49]
	v_cvt_pk_f32_fp8_sdwa v[52:53], v5 src0_sel:WORD_1
	s_mov_b32 s3, 0
	v_cvt_pkrtz_f16_f32 v58, v58, v59
	v_mfma_f32_16x16x16_f16 v[2:5], v[2:3], v[42:43], v[46:49]
	v_cvt_pkrtz_f16_f32 v59, v52, v53
	v_cmp_gt_u32_e32 vcc, 64, v0
	s_nop 0
	v_cvt_pk_f32_fp8_e32 v[46:47], v26
	v_mfma_f32_16x16x16_f16 v[58:61], v[58:59], v[44:45], v[2:5]
	s_nop 2
	v_cvt_pk_f32_fp8_sdwa v[2:3], v26 src0_sel:WORD_1
	v_cvt_pk_f32_fp8_e32 v[4:5], v27
	v_cvt_pkrtz_f16_f32 v26, v46, v47
	v_cvt_pk_f32_fp8_sdwa v[46:47], v27 src0_sel:WORD_1
	v_cvt_pkrtz_f16_f32 v27, v2, v3
	v_cvt_pkrtz_f16_f32 v52, v4, v5
	ds_read_b128 v[2:5], v50 offset:4096
	v_cvt_pkrtz_f16_f32 v53, v46, v47
	ds_read_b128 v[46:49], v50 offset:4112
	s_waitcnt lgkmcnt(1)
	v_mfma_f32_16x16x16_f16 v[58:61], v[26:27], v[2:3], v[58:61]
	v_cvt_pkrtz_f16_f32 v26, v64, v65
	v_cvt_pkrtz_f16_f32 v27, v66, v67
	v_cvt_pk_f32_fp8_e32 v[64:65], v29
	v_mfma_f32_16x16x16_f16 v[58:61], v[52:53], v[4:5], v[58:61]
	v_cvt_pk_f32_fp8_sdwa v[52:53], v29 src0_sel:WORD_1
	v_cvt_pk_f32_fp8_e32 v[66:67], v24
	v_cvt_pkrtz_f16_f32 v64, v64, v65
	s_waitcnt lgkmcnt(0)
	v_mfma_f32_16x16x16_f16 v[26:29], v[26:27], v[46:47], v[58:61]
	v_cvt_pkrtz_f16_f32 v65, v52, v53
	v_cvt_pk_f32_fp8_e32 v[52:53], v22
	s_nop 0
	v_mfma_f32_16x16x16_f16 v[58:61], v[64:65], v[48:49], v[26:29]
	s_nop 2
	v_cvt_pk_f32_fp8_sdwa v[26:27], v22 src0_sel:WORD_1
	v_cvt_pk_f32_fp8_e32 v[28:29], v23
	v_cvt_pkrtz_f16_f32 v22, v52, v53
	v_cvt_pk_f32_fp8_sdwa v[52:53], v23 src0_sel:WORD_1
	v_cvt_pkrtz_f16_f32 v23, v26, v27
	v_cvt_pkrtz_f16_f32 v64, v28, v29
	ds_read_b128 v[26:29], v50 offset:6144
	v_cvt_pkrtz_f16_f32 v65, v52, v53
	s_waitcnt lgkmcnt(0)
	v_mfma_f32_16x16x16_f16 v[58:61], v[22:23], v[26:27], v[58:61]
	ds_read_b128 v[50:53], v50 offset:6160
	v_cvt_pkrtz_f16_f32 v22, v66, v67
	v_cvt_pkrtz_f16_f32 v23, v68, v69
	v_mfma_f32_16x16x16_f16 v[58:61], v[64:65], v[28:29], v[58:61]
	v_cvt_pk_f32_fp8_e32 v[66:67], v25
	v_cvt_pk_f32_fp8_sdwa v[64:65], v25 src0_sel:WORD_1
	s_waitcnt vmcnt(3)
	v_cvt_pk_f32_fp8_sdwa v[68:69], v32 src0_sel:WORD_1
	s_waitcnt lgkmcnt(0)
	v_mfma_f32_16x16x16_f16 v[22:25], v[22:23], v[50:51], v[58:61]
	v_cvt_pkrtz_f16_f32 v66, v66, v67
	v_cvt_pkrtz_f16_f32 v67, v64, v65
	v_cvt_pk_f32_fp8_e32 v[64:65], v31
	v_cvt_pk_f32_fp8_e32 v[58:59], v30
	v_cvt_pk_f32_fp8_sdwa v[60:61], v30 src0_sel:WORD_1
	v_cvt_pk_f32_fp8_sdwa v[30:31], v31 src0_sel:WORD_1
	v_mfma_f32_16x16x16_f16 v[22:25], v[66:67], v[52:53], v[22:25]
	v_cvt_pkrtz_f16_f32 v58, v58, v59
	v_cvt_pkrtz_f16_f32 v59, v60, v61
	;; [unrolled: 1-line block ×3, first 2 shown]
	v_cvt_pk_f32_fp8_e32 v[66:67], v32
	v_cvt_pkrtz_f16_f32 v65, v30, v31
	v_mfma_f32_16x16x16_f16 v[58:61], v[58:59], v[34:35], 0
	v_cvt_pkrtz_f16_f32 v30, v66, v67
	v_cvt_pkrtz_f16_f32 v31, v68, v69
	v_cvt_pk_f32_fp8_e32 v[66:67], v33
	v_mfma_f32_16x16x16_f16 v[34:37], v[64:65], v[36:37], v[58:61]
	s_barrier
	s_nop 1
	v_cvt_pk_f32_fp8_sdwa v[58:59], v33 src0_sel:WORD_1
	v_cvt_pkrtz_f16_f32 v60, v66, v67
	v_mfma_f32_16x16x16_f16 v[30:33], v[30:31], v[38:39], v[34:37]
	s_waitcnt vmcnt(2)
	v_cvt_pk_f32_fp8_e32 v[38:39], v19
	v_cvt_pkrtz_f16_f32 v61, v58, v59
	v_cvt_pk_f32_fp8_e32 v[34:35], v18
	v_cvt_pk_f32_fp8_sdwa v[36:37], v18 src0_sel:WORD_1
	v_cvt_pk_f32_fp8_sdwa v[18:19], v19 src0_sel:WORD_1
	v_mfma_f32_16x16x16_f16 v[30:33], v[60:61], v[40:41], v[30:33]
	v_cvt_pkrtz_f16_f32 v34, v34, v35
	v_cvt_pkrtz_f16_f32 v35, v36, v37
	;; [unrolled: 1-line block ×3, first 2 shown]
	v_cvt_pk_f32_fp8_e32 v[38:39], v20
	v_cvt_pk_f32_fp8_sdwa v[40:41], v20 src0_sel:WORD_1
	v_cvt_pkrtz_f16_f32 v37, v18, v19
	v_mfma_f32_16x16x16_f16 v[30:33], v[34:35], v[6:7], v[30:33]
	v_cvt_pkrtz_f16_f32 v18, v38, v39
	v_cvt_pkrtz_f16_f32 v19, v40, v41
	v_cvt_pk_f32_fp8_e32 v[34:35], v21
	v_cvt_pk_f32_fp8_sdwa v[20:21], v21 src0_sel:WORD_1
	v_mfma_f32_16x16x16_f16 v[6:9], v[36:37], v[8:9], v[30:33]
	s_nop 2
	v_cvt_pkrtz_f16_f32 v30, v34, v35
	v_cvt_pkrtz_f16_f32 v31, v20, v21
	v_mfma_f32_16x16x16_f16 v[6:9], v[18:19], v[42:43], v[6:9]
	s_waitcnt vmcnt(1)
	v_cvt_pk_f32_fp8_e32 v[18:19], v14
	v_cvt_pk_f32_fp8_sdwa v[20:21], v14 src0_sel:WORD_1
	v_cvt_pk_f32_fp8_sdwa v[32:33], v16 src0_sel:WORD_1
	v_mfma_f32_16x16x16_f16 v[6:9], v[30:31], v[44:45], v[6:9]
	v_cvt_pk_f32_fp8_e32 v[30:31], v15
	v_cvt_pkrtz_f16_f32 v18, v18, v19
	v_cvt_pkrtz_f16_f32 v19, v20, v21
	v_cvt_pk_f32_fp8_sdwa v[14:15], v15 src0_sel:WORD_1
	v_cvt_pkrtz_f16_f32 v20, v30, v31
	v_cvt_pk_f32_fp8_e32 v[30:31], v16
	v_mfma_f32_16x16x16_f16 v[6:9], v[18:19], v[2:3], v[6:9]
	v_cvt_pkrtz_f16_f32 v21, v14, v15
	v_cvt_pkrtz_f16_f32 v14, v30, v31
	;; [unrolled: 1-line block ×3, first 2 shown]
	v_cvt_pk_f32_fp8_e32 v[18:19], v17
	v_cvt_pk_f32_fp8_sdwa v[16:17], v17 src0_sel:WORD_1
	v_mfma_f32_16x16x16_f16 v[2:5], v[20:21], v[4:5], v[6:9]
	s_waitcnt vmcnt(0)
	v_cvt_pk_f32_fp8_sdwa v[20:21], v12 src0_sel:WORD_1
	s_nop 0
	v_cvt_pkrtz_f16_f32 v8, v18, v19
	v_cvt_pkrtz_f16_f32 v9, v16, v17
	v_mfma_f32_16x16x16_f16 v[2:5], v[14:15], v[46:47], v[2:5]
	v_cvt_pk_f32_fp8_e32 v[16:17], v10
	v_cvt_pk_f32_fp8_sdwa v[18:19], v10 src0_sel:WORD_1
	v_pk_mul_f32 v[6:7], v[24:25], s[8:9] op_sel_hi:[1,0]
	v_mfma_f32_16x16x16_f16 v[2:5], v[8:9], v[48:49], v[2:5]
	v_cvt_pk_f32_fp8_e32 v[8:9], v11
	v_cvt_pkrtz_f16_f32 v16, v16, v17
	v_cvt_pkrtz_f16_f32 v17, v18, v19
	v_cvt_pk_f32_fp8_sdwa v[10:11], v11 src0_sel:WORD_1
	v_cvt_pkrtz_f16_f32 v8, v8, v9
	v_cvt_pk_f32_fp8_e32 v[18:19], v12
	v_mfma_f32_16x16x16_f16 v[2:5], v[16:17], v[26:27], v[2:5]
	v_cvt_pkrtz_f16_f32 v9, v10, v11
	v_cvt_pkrtz_f16_f32 v10, v18, v19
	;; [unrolled: 1-line block ×3, first 2 shown]
	v_cvt_pk_f32_fp8_e32 v[16:17], v13
	v_cvt_pk_f32_fp8_sdwa v[12:13], v13 src0_sel:WORD_1
	v_mfma_f32_16x16x16_f16 v[2:5], v[8:9], v[28:29], v[2:5]
	v_pk_mul_f32 v[14:15], v[22:23], s[8:9] op_sel_hi:[1,0]
	v_cvt_pkrtz_f16_f32 v8, v16, v17
	v_cvt_pkrtz_f16_f32 v9, v12, v13
	v_mfma_f32_16x16x16_f16 v[2:5], v[10:11], v[50:51], v[2:5]
	v_cvt_f16_f32_e32 v14, v14
	v_cvt_f16_f32_e32 v10, v15
	;; [unrolled: 1-line block ×3, first 2 shown]
	v_mfma_f32_16x16x16_f16 v[2:5], v[8:9], v[52:53], v[2:5]
	v_cvt_f16_f32_e32 v7, v7
	s_nop 5
	v_pk_mul_f32 v[4:5], v[4:5], s[8:9] op_sel_hi:[1,0]
	v_pk_mul_f32 v[2:3], v[2:3], s[8:9] op_sel_hi:[1,0]
	v_cvt_f16_f32_e32 v11, v4
	v_cvt_f16_f32_e32 v8, v2
	;; [unrolled: 1-line block ×4, first 2 shown]
	v_pack_b32_f16 v2, v14, v10
	v_pack_b32_f16 v3, v6, v7
	;; [unrolled: 1-line block ×4, first 2 shown]
	ds_write2st64_b64 v55, v[2:3], v[4:5] offset1:1
	s_waitcnt lgkmcnt(0)
	s_barrier
	s_and_saveexec_b64 s[8:9], vcc
	s_cbranch_execz .LBB1016_20
; %bb.18:
	s_load_dwordx2 s[8:9], s[0:1], 0x68
	s_lshl_b32 s0, s7, 7
	s_mul_i32 s1, s10, s2
	v_lshlrev_b32_e32 v3, 6, v56
	s_mul_hi_u32 s11, s1, s0
	s_mul_i32 s10, s1, s0
	v_lshl_or_b32 v0, v0, 10, v3
	s_lshl_b64 s[10:11], s[10:11], 1
	v_lshlrev_b32_e32 v2, 5, v62
	v_and_b32_e32 v1, 16, v1
	v_and_b32_e32 v0, 0x1a00, v0
	s_waitcnt lgkmcnt(0)
	s_add_u32 s1, s8, s10
	v_or3_b32 v2, v0, v2, v1
	s_addc_u32 s7, s9, s11
	s_lshl_b32 s2, s6, 7
	s_lshl_b64 s[2:3], s[2:3], 1
	ds_read_b128 v[4:7], v2 offset:128
	ds_read_b128 v[8:11], v2
	s_add_u32 s2, s1, s2
	s_addc_u32 s3, s7, s3
	v_mov_b32_e32 v55, 0
	v_add_u32_e32 v3, s48, v62
	v_lshl_add_u64 v[0:1], s[2:3], 0, v[54:55]
	v_mad_u64_u32 v[12:13], s[2:3], v3, s0, 0
	v_lshl_add_u64 v[12:13], v[12:13], 1, v[0:1]
	v_add_u32_e32 v3, 4, v3
	s_waitcnt lgkmcnt(0)
	global_store_dwordx4 v[12:13], v[8:11], off
	s_nop 1
	v_mad_u64_u32 v[8:9], s[2:3], v3, s0, 0
	v_lshl_add_u64 v[8:9], v[8:9], 1, v[0:1]
	global_store_dwordx4 v[8:9], v[4:7], off
	s_and_b64 exec, exec, s[4:5]
	s_cbranch_execz .LBB1016_20
; %bb.19:
	ds_read_b128 v[2:5], v2 offset:256
	v_add3_u32 v6, s48, v62, 8
	v_mad_u64_u32 v[6:7], s[0:1], v6, s0, 0
	v_lshl_add_u64 v[0:1], v[6:7], 1, v[0:1]
	s_waitcnt lgkmcnt(0)
	global_store_dwordx4 v[0:1], v[2:5], off
.LBB1016_20:
	s_endpgm
	.section	.rodata,"a",@progbits
	.p2align	6, 0x0
	.amdhsa_kernel _Z39paged_attention_ll4mi_QKV_mfma16_kernelIDF16_hLN4vllm18Fp8KVCacheDataTypeE1EhLi32ELi128ELi256ELb1ELi9EEvPKT_PKT0_S7_ifPKiS9_S9_iPKfiiiPfSC_PS2_PT2_iSB_SB_
		.amdhsa_group_segment_fixed_size 8192
		.amdhsa_private_segment_fixed_size 0
		.amdhsa_kernarg_size 400
		.amdhsa_user_sgpr_count 2
		.amdhsa_user_sgpr_dispatch_ptr 0
		.amdhsa_user_sgpr_queue_ptr 0
		.amdhsa_user_sgpr_kernarg_segment_ptr 1
		.amdhsa_user_sgpr_dispatch_id 0
		.amdhsa_user_sgpr_kernarg_preload_length 0
		.amdhsa_user_sgpr_kernarg_preload_offset 0
		.amdhsa_user_sgpr_private_segment_size 0
		.amdhsa_uses_dynamic_stack 0
		.amdhsa_enable_private_segment 0
		.amdhsa_system_sgpr_workgroup_id_x 1
		.amdhsa_system_sgpr_workgroup_id_y 1
		.amdhsa_system_sgpr_workgroup_id_z 1
		.amdhsa_system_sgpr_workgroup_info 0
		.amdhsa_system_vgpr_workitem_id 0
		.amdhsa_next_free_vgpr 78
		.amdhsa_next_free_sgpr 50
		.amdhsa_accum_offset 80
		.amdhsa_reserve_vcc 1
		.amdhsa_float_round_mode_32 0
		.amdhsa_float_round_mode_16_64 0
		.amdhsa_float_denorm_mode_32 3
		.amdhsa_float_denorm_mode_16_64 3
		.amdhsa_dx10_clamp 1
		.amdhsa_ieee_mode 1
		.amdhsa_fp16_overflow 0
		.amdhsa_tg_split 0
		.amdhsa_exception_fp_ieee_invalid_op 0
		.amdhsa_exception_fp_denorm_src 0
		.amdhsa_exception_fp_ieee_div_zero 0
		.amdhsa_exception_fp_ieee_overflow 0
		.amdhsa_exception_fp_ieee_underflow 0
		.amdhsa_exception_fp_ieee_inexact 0
		.amdhsa_exception_int_div_zero 0
	.end_amdhsa_kernel
	.section	.text._Z39paged_attention_ll4mi_QKV_mfma16_kernelIDF16_hLN4vllm18Fp8KVCacheDataTypeE1EhLi32ELi128ELi256ELb1ELi9EEvPKT_PKT0_S7_ifPKiS9_S9_iPKfiiiPfSC_PS2_PT2_iSB_SB_,"axG",@progbits,_Z39paged_attention_ll4mi_QKV_mfma16_kernelIDF16_hLN4vllm18Fp8KVCacheDataTypeE1EhLi32ELi128ELi256ELb1ELi9EEvPKT_PKT0_S7_ifPKiS9_S9_iPKfiiiPfSC_PS2_PT2_iSB_SB_,comdat
.Lfunc_end1016:
	.size	_Z39paged_attention_ll4mi_QKV_mfma16_kernelIDF16_hLN4vllm18Fp8KVCacheDataTypeE1EhLi32ELi128ELi256ELb1ELi9EEvPKT_PKT0_S7_ifPKiS9_S9_iPKfiiiPfSC_PS2_PT2_iSB_SB_, .Lfunc_end1016-_Z39paged_attention_ll4mi_QKV_mfma16_kernelIDF16_hLN4vllm18Fp8KVCacheDataTypeE1EhLi32ELi128ELi256ELb1ELi9EEvPKT_PKT0_S7_ifPKiS9_S9_iPKfiiiPfSC_PS2_PT2_iSB_SB_
                                        ; -- End function
	.section	.AMDGPU.csdata,"",@progbits
; Kernel info:
; codeLenInByte = 6380
; NumSgprs: 56
; NumVgprs: 78
; NumAgprs: 0
; TotalNumVgprs: 78
; ScratchSize: 0
; MemoryBound: 0
; FloatMode: 240
; IeeeMode: 1
; LDSByteSize: 8192 bytes/workgroup (compile time only)
; SGPRBlocks: 6
; VGPRBlocks: 9
; NumSGPRsForWavesPerEU: 56
; NumVGPRsForWavesPerEU: 78
; AccumOffset: 80
; Occupancy: 6
; WaveLimiterHint : 1
; COMPUTE_PGM_RSRC2:SCRATCH_EN: 0
; COMPUTE_PGM_RSRC2:USER_SGPR: 2
; COMPUTE_PGM_RSRC2:TRAP_HANDLER: 0
; COMPUTE_PGM_RSRC2:TGID_X_EN: 1
; COMPUTE_PGM_RSRC2:TGID_Y_EN: 1
; COMPUTE_PGM_RSRC2:TGID_Z_EN: 1
; COMPUTE_PGM_RSRC2:TIDIG_COMP_CNT: 0
; COMPUTE_PGM_RSRC3_GFX90A:ACCUM_OFFSET: 19
; COMPUTE_PGM_RSRC3_GFX90A:TG_SPLIT: 0
	.section	.text._Z39paged_attention_ll4mi_QKV_mfma16_kernelIDF16_hLN4vllm18Fp8KVCacheDataTypeE1EhLi32ELi128ELi256ELb1ELi10EEvPKT_PKT0_S7_ifPKiS9_S9_iPKfiiiPfSC_PS2_PT2_iSB_SB_,"axG",@progbits,_Z39paged_attention_ll4mi_QKV_mfma16_kernelIDF16_hLN4vllm18Fp8KVCacheDataTypeE1EhLi32ELi128ELi256ELb1ELi10EEvPKT_PKT0_S7_ifPKiS9_S9_iPKfiiiPfSC_PS2_PT2_iSB_SB_,comdat
	.protected	_Z39paged_attention_ll4mi_QKV_mfma16_kernelIDF16_hLN4vllm18Fp8KVCacheDataTypeE1EhLi32ELi128ELi256ELb1ELi10EEvPKT_PKT0_S7_ifPKiS9_S9_iPKfiiiPfSC_PS2_PT2_iSB_SB_ ; -- Begin function _Z39paged_attention_ll4mi_QKV_mfma16_kernelIDF16_hLN4vllm18Fp8KVCacheDataTypeE1EhLi32ELi128ELi256ELb1ELi10EEvPKT_PKT0_S7_ifPKiS9_S9_iPKfiiiPfSC_PS2_PT2_iSB_SB_
	.globl	_Z39paged_attention_ll4mi_QKV_mfma16_kernelIDF16_hLN4vllm18Fp8KVCacheDataTypeE1EhLi32ELi128ELi256ELb1ELi10EEvPKT_PKT0_S7_ifPKiS9_S9_iPKfiiiPfSC_PS2_PT2_iSB_SB_
	.p2align	8
	.type	_Z39paged_attention_ll4mi_QKV_mfma16_kernelIDF16_hLN4vllm18Fp8KVCacheDataTypeE1EhLi32ELi128ELi256ELb1ELi10EEvPKT_PKT0_S7_ifPKiS9_S9_iPKfiiiPfSC_PS2_PT2_iSB_SB_,@function
_Z39paged_attention_ll4mi_QKV_mfma16_kernelIDF16_hLN4vllm18Fp8KVCacheDataTypeE1EhLi32ELi128ELi256ELb1ELi10EEvPKT_PKT0_S7_ifPKiS9_S9_iPKfiiiPfSC_PS2_PT2_iSB_SB_: ; @_Z39paged_attention_ll4mi_QKV_mfma16_kernelIDF16_hLN4vllm18Fp8KVCacheDataTypeE1EhLi32ELi128ELi256ELb1ELi10EEvPKT_PKT0_S7_ifPKiS9_S9_iPKfiiiPfSC_PS2_PT2_iSB_SB_
; %bb.0:
	s_load_dwordx2 s[10:11], s[0:1], 0x30
	s_mov_b32 s6, s3
	s_mov_b64 s[8:9], 0
	s_waitcnt lgkmcnt(0)
	s_cmp_lg_u64 s[10:11], 0
	s_cselect_b64 s[12:13], -1, 0
	s_and_b64 vcc, exec, s[12:13]
	s_cbranch_vccz .LBB1017_7
; %bb.1:
	s_add_i32 s14, s2, 1
	s_mov_b32 s15, 0
	s_lshl_b64 s[16:17], s[14:15], 2
	s_add_u32 s16, s10, s16
	s_mov_b32 s3, s15
	s_addc_u32 s17, s11, s17
	s_lshl_b64 s[14:15], s[2:3], 2
	s_add_u32 s14, s10, s14
	s_addc_u32 s15, s11, s15
	s_load_dword s5, s[16:17], 0x0
	s_load_dword s7, s[14:15], 0x0
	s_waitcnt lgkmcnt(0)
	s_sub_i32 s5, s5, s7
	s_cmp_eq_u32 s5, 1
	s_cselect_b64 s[14:15], -1, 0
	s_andn2_b64 vcc, exec, s[8:9]
	s_cbranch_vccnz .LBB1017_3
.LBB1017_2:
	s_mov_b32 s3, 0
	s_mov_b64 s[14:15], -1
.LBB1017_3:
	s_andn2_b64 vcc, exec, s[14:15]
	s_cbranch_vccnz .LBB1017_20
; %bb.4:
	s_load_dwordx2 s[8:9], s[0:1], 0x28
	s_lshl_b64 s[14:15], s[2:3], 2
	s_waitcnt lgkmcnt(0)
	s_add_u32 s8, s8, s14
	s_addc_u32 s9, s9, s15
	s_load_dword s7, s[8:9], 0x0
	s_lshl_b32 s18, s6, 8
	s_waitcnt lgkmcnt(0)
	s_cmp_ge_i32 s18, s7
	s_cbranch_scc1 .LBB1017_20
; %bb.5:
	s_load_dwordx2 s[8:9], s[0:1], 0x20
	s_load_dword s5, s[0:1], 0x38
	s_add_i32 s16, s7, 31
	s_ashr_i32 s17, s16, 31
	v_and_b32_e32 v1, 0xcf, v0
	s_lshr_b32 s17, s17, 27
	v_add_u32_e32 v1, s18, v1
	s_add_i32 s16, s16, s17
	v_ashrrev_i32_e32 v2, 31, v1
	s_ashr_i32 s19, s16, 5
	v_lshrrev_b32_e32 v4, 27, v2
	s_add_i32 s19, s19, -1
	s_waitcnt lgkmcnt(0)
	s_mul_i32 s16, s2, s5
	s_mov_b32 s17, 0
	v_add_u32_e32 v2, v1, v4
	s_lshl_b64 s[16:17], s[16:17], 2
	v_ashrrev_i32_e32 v2, 5, v2
	v_mov_b32_e32 v5, s19
	v_cmp_gt_i32_e32 vcc, s7, v1
	s_add_u32 s8, s8, s16
	s_addc_u32 s9, s9, s17
	v_cndmask_b32_e32 v2, v5, v2, vcc
	v_ashrrev_i32_e32 v3, 31, v2
	v_lshl_add_u64 v[6:7], v[2:3], 2, s[8:9]
	v_or_b32_e32 v2, 16, v1
	v_add_u32_e32 v3, v2, v4
	v_ashrrev_i32_e32 v3, 5, v3
	v_cmp_gt_i32_e32 vcc, s7, v2
	s_load_dwordx2 s[16:17], s[0:1], 0x8
	s_nop 0
	v_cndmask_b32_e32 v2, v5, v3, vcc
	v_ashrrev_i32_e32 v3, 31, v2
	v_lshl_add_u64 v[8:9], v[2:3], 2, s[8:9]
	v_or_b32_e32 v2, 32, v1
	v_add_u32_e32 v3, v2, v4
	v_ashrrev_i32_e32 v3, 5, v3
	v_cmp_gt_i32_e32 vcc, s7, v2
	v_or_b32_e32 v1, 48, v1
	s_nop 0
	v_cndmask_b32_e32 v2, v5, v3, vcc
	v_ashrrev_i32_e32 v3, 31, v2
	v_lshl_add_u64 v[12:13], v[2:3], 2, s[8:9]
	v_add_u32_e32 v2, v1, v4
	v_ashrrev_i32_e32 v2, 5, v2
	v_cmp_gt_i32_e32 vcc, s7, v1
	s_nop 1
	v_cndmask_b32_e32 v2, v5, v2, vcc
	v_ashrrev_i32_e32 v3, 31, v2
	v_lshl_add_u64 v[14:15], v[2:3], 2, s[8:9]
	global_load_dword v4, v[6:7], off
	global_load_dword v3, v[8:9], off
	;; [unrolled: 1-line block ×4, first 2 shown]
	s_andn2_b64 vcc, exec, s[12:13]
	s_cbranch_vccnz .LBB1017_8
; %bb.6:
	s_add_u32 s10, s10, s14
	s_addc_u32 s11, s11, s15
	s_load_dword s5, s[10:11], 0x0
	s_branch .LBB1017_9
.LBB1017_7:
	s_mov_b64 s[14:15], 0
	s_branch .LBB1017_2
.LBB1017_8:
	s_mov_b32 s5, s2
.LBB1017_9:
	s_load_dwordx2 s[10:11], s[0:1], 0x10
	s_load_dwordx4 s[44:47], s[0:1], 0x48
	v_lshrrev_b32_e32 v57, 6, v0
	v_bfe_u32 v62, v0, 4, 2
	v_and_b32_e32 v56, 15, v0
	v_lshl_or_b32 v5, v57, 2, v62
	v_lshlrev_b32_e32 v1, 3, v56
	s_mul_i32 s48, s4, 10
	v_cmp_gt_u32_e32 vcc, 10, v5
	v_lshlrev_b32_e32 v54, 1, v1
	v_lshlrev_b32_e32 v1, 4, v0
	s_and_saveexec_b64 s[12:13], vcc
	s_cbranch_execz .LBB1017_11
; %bb.10:
	s_load_dwordx2 s[14:15], s[0:1], 0x0
	s_waitcnt lgkmcnt(0)
	s_ashr_i32 s20, s44, 31
	s_mul_hi_u32 s21, s5, s44
	s_mul_i32 s20, s5, s20
	s_add_i32 s21, s21, s20
	s_mul_i32 s20, s5, s44
	s_lshl_b64 s[20:21], s[20:21], 1
	s_add_u32 s14, s14, s20
	v_add_lshl_u32 v6, v5, s48, 7
	s_addc_u32 s15, s15, s21
	v_ashrrev_i32_e32 v7, 31, v6
	v_lshl_add_u64 v[6:7], v[6:7], 1, s[14:15]
	v_mov_b32_e32 v55, 0
	v_lshl_add_u64 v[6:7], v[6:7], 0, v[54:55]
	global_load_dwordx4 v[6:9], v[6:7], off
	v_lshlrev_b32_e32 v12, 8, v0
	v_lshlrev_b32_e32 v11, 8, v56
	v_and_b32_e32 v12, 0x600, v12
	s_movk_i32 s5, 0x800
	v_and_or_b32 v11, v11, s5, v12
	v_lshlrev_b32_e32 v5, 5, v5
	v_and_b32_e32 v12, 16, v1
	v_or3_b32 v5, v11, v5, v12
	s_waitcnt vmcnt(0)
	ds_write_b128 v5, v[6:9]
.LBB1017_11:
	s_or_b64 exec, exec, s[12:13]
	s_waitcnt lgkmcnt(0)
	s_mul_i32 s12, s4, s46
	s_add_u32 s4, s16, s12
	s_addc_u32 s5, s17, 0
	v_mov_b32_e32 v59, 0
	v_mov_b64_e32 v[12:13], s[4:5]
	v_and_b32_e32 v34, 48, v0
	s_waitcnt vmcnt(3)
	v_mad_i64_i32 v[4:5], s[4:5], v4, s45, v[12:13]
	v_lshlrev_b32_e32 v14, 4, v56
	v_mov_b32_e32 v15, v59
	v_lshlrev_b32_e32 v58, 5, v34
	v_lshl_add_u64 v[4:5], v[4:5], 0, v[14:15]
	v_lshl_add_u64 v[4:5], v[4:5], 0, v[58:59]
	s_barrier
	global_load_dwordx4 v[50:53], v[4:5], off
	global_load_dwordx4 v[46:49], v[4:5], off offset:2048
	s_waitcnt vmcnt(4)
	v_mad_i64_i32 v[4:5], s[4:5], v3, s45, v[12:13]
	v_or_b32_e32 v16, 0x100, v14
	v_mov_b32_e32 v17, v59
	s_waitcnt vmcnt(3)
	v_mad_i64_i32 v[2:3], s[4:5], v2, s45, v[12:13]
	v_lshl_add_u64 v[4:5], v[4:5], 0, v[16:17]
	v_lshl_add_u64 v[2:3], v[2:3], 0, v[14:15]
	s_waitcnt vmcnt(2)
	v_mad_i64_i32 v[10:11], s[4:5], v10, s45, v[12:13]
	v_lshl_add_u64 v[4:5], v[4:5], 0, v[58:59]
	v_lshl_add_u64 v[14:15], v[2:3], 0, v[58:59]
	;; [unrolled: 1-line block ×3, first 2 shown]
	global_load_dwordx4 v[36:39], v[4:5], off
	global_load_dwordx4 v[6:9], v[4:5], off offset:2048
	s_nop 0
	global_load_dwordx4 v[2:5], v[14:15], off
	global_load_dwordx4 v[42:45], v[14:15], off offset:2048
	v_lshl_add_u64 v[14:15], v[10:11], 0, v[58:59]
	global_load_dwordx4 v[26:29], v[14:15], off
	global_load_dwordx4 v[10:13], v[14:15], off offset:2048
	v_add_u32_e32 v14, -10, v56
	v_cmp_gt_u32_e32 vcc, 10, v56
	v_and_b32_e32 v55, 63, v0
	v_mov_b32_e32 v63, 0
	v_cndmask_b32_e32 v14, v14, v56, vcc
	v_lshlrev_b32_e32 v14, 5, v14
	v_lshl_add_u32 v14, v62, 9, v14
	ds_read_b128 v[30:33], v14
	ds_read_b128 v[22:25], v14 offset:16
	ds_read_b128 v[18:21], v14 offset:2048
	;; [unrolled: 1-line block ×3, first 2 shown]
	s_and_saveexec_b64 s[4:5], vcc
	s_cbranch_execz .LBB1017_13
; %bb.12:
	s_load_dwordx2 s[14:15], s[0:1], 0x40
	v_add_u32_e32 v40, s48, v56
	v_ashrrev_i32_e32 v41, 31, v40
	s_waitcnt lgkmcnt(0)
	v_lshl_add_u64 v[40:41], v[40:41], 2, s[14:15]
	global_load_dword v63, v[40:41], off
.LBB1017_13:
	s_or_b64 exec, exec, s[4:5]
	s_ashr_i32 s4, s18, 31
	v_or_b32_e32 v58, s18, v34
	s_lshr_b32 s4, s4, 27
	v_add_u32_e32 v34, s4, v58
	v_cmp_gt_i32_e32 vcc, s7, v58
	v_or_b32_e32 v40, 64, v58
	v_or_b32_e32 v60, 0x80, v58
	;; [unrolled: 1-line block ×3, first 2 shown]
	v_add_u32_e32 v64, s4, v58
	v_ashrrev_i32_e32 v69, 5, v64
	s_waitcnt vmcnt(7)
	v_cvt_pk_f32_fp8_e32 v[64:65], v50
	v_cvt_pk_f32_fp8_sdwa v[66:67], v50 src0_sel:WORD_1
	v_cvt_pk_f32_fp8_e32 v[70:71], v51
	v_cvt_pk_f32_fp8_sdwa v[50:51], v51 src0_sel:WORD_1
	v_cvt_pkrtz_f16_f32 v64, v64, v65
	v_cvt_pkrtz_f16_f32 v65, v66, v67
	;; [unrolled: 1-line block ×3, first 2 shown]
	v_cvt_pk_f32_fp8_e32 v[72:73], v52
	v_cvt_pk_f32_fp8_sdwa v[74:75], v52 src0_sel:WORD_1
	v_cvt_pkrtz_f16_f32 v71, v50, v51
	s_waitcnt lgkmcnt(3)
	v_mfma_f32_16x16x16_f16 v[64:67], v[64:65], v[30:31], 0
	v_cvt_pkrtz_f16_f32 v72, v72, v73
	v_cvt_pkrtz_f16_f32 v73, v74, v75
	v_cvt_pk_f32_fp8_e32 v[74:75], v53
	v_cvt_pk_f32_fp8_sdwa v[76:77], v53 src0_sel:WORD_1
	v_mfma_f32_16x16x16_f16 v[50:53], v[70:71], v[32:33], v[64:67]
	v_ashrrev_i32_e32 v34, 5, v34
	v_mov_b32_e32 v68, s19
	v_add_u32_e32 v41, s4, v40
	v_cndmask_b32_e32 v34, v68, v34, vcc
	v_ashrrev_i32_e32 v41, 5, v41
	v_cmp_gt_i32_e32 vcc, s7, v40
	v_add_u32_e32 v61, s4, v60
	v_cvt_pkrtz_f16_f32 v64, v74, v75
	v_cvt_pkrtz_f16_f32 v65, v76, v77
	v_cndmask_b32_e32 v40, v68, v41, vcc
	v_ashrrev_i32_e32 v61, 5, v61
	v_cmp_gt_i32_e32 vcc, s7, v60
	s_waitcnt lgkmcnt(2)
	v_mfma_f32_16x16x16_f16 v[50:53], v[72:73], v[22:23], v[50:53]
	s_waitcnt vmcnt(6)
	v_cvt_pk_f32_fp8_e32 v[66:67], v46
	v_cndmask_b32_e32 v60, v68, v61, vcc
	v_cmp_gt_i32_e32 vcc, s7, v58
	v_ashrrev_i32_e32 v35, 31, v34
	v_lshl_add_u64 v[34:35], v[34:35], 2, s[8:9]
	v_cndmask_b32_e32 v68, v68, v69, vcc
	v_ashrrev_i32_e32 v41, 31, v40
	v_ashrrev_i32_e32 v61, 31, v60
	v_ashrrev_i32_e32 v69, 31, v68
	v_lshl_add_u64 v[40:41], v[40:41], 2, s[8:9]
	v_lshl_add_u64 v[60:61], v[60:61], 2, s[8:9]
	;; [unrolled: 1-line block ×3, first 2 shown]
	v_mfma_f32_16x16x16_f16 v[50:53], v[64:65], v[24:25], v[50:53]
	v_cvt_pkrtz_f16_f32 v74, v66, v67
	global_load_dword v68, v[34:35], off
	global_load_dword v66, v[40:41], off
	;; [unrolled: 1-line block ×4, first 2 shown]
	v_cvt_pk_f32_fp8_sdwa v[70:71], v46 src0_sel:WORD_1
	v_cvt_pk_f32_fp8_e32 v[40:41], v48
	s_waitcnt vmcnt(9)
	v_cvt_pk_f32_fp8_e32 v[60:61], v36
	s_add_u32 s4, s10, s12
	v_cvt_pkrtz_f16_f32 v75, v70, v71
	v_cvt_pk_f32_fp8_e32 v[70:71], v47
	v_cvt_pk_f32_fp8_sdwa v[46:47], v47 src0_sel:WORD_1
	s_waitcnt lgkmcnt(1)
	v_mfma_f32_16x16x16_f16 v[50:53], v[74:75], v[18:19], v[50:53]
	v_cvt_pkrtz_f16_f32 v34, v70, v71
	v_cvt_pkrtz_f16_f32 v35, v46, v47
	v_cvt_pk_f32_fp8_sdwa v[46:47], v48 src0_sel:WORD_1
	v_cvt_pkrtz_f16_f32 v40, v40, v41
	v_mfma_f32_16x16x16_f16 v[50:53], v[34:35], v[20:21], v[50:53]
	v_cvt_pkrtz_f16_f32 v41, v46, v47
	v_cvt_pk_f32_fp8_e32 v[34:35], v49
	v_cvt_pk_f32_fp8_sdwa v[46:47], v49 src0_sel:WORD_1
	v_cvt_pk_f32_fp8_sdwa v[70:71], v36 src0_sel:WORD_1
	s_addc_u32 s5, s11, 0
	v_cvt_pkrtz_f16_f32 v34, v34, v35
	v_cvt_pkrtz_f16_f32 v35, v46, v47
	s_waitcnt lgkmcnt(0)
	v_mfma_f32_16x16x16_f16 v[46:49], v[40:41], v[14:15], v[50:53]
	v_cvt_pkrtz_f16_f32 v40, v60, v61
	v_cvt_pkrtz_f16_f32 v41, v70, v71
	s_waitcnt vmcnt(8)
	v_cvt_pk_f32_fp8_sdwa v[60:61], v6 src0_sel:WORD_1
	v_cvt_pk_f32_fp8_e32 v[50:51], v37
	v_cvt_pk_f32_fp8_sdwa v[52:53], v37 src0_sel:WORD_1
	v_mfma_f32_16x16x16_f16 v[34:37], v[34:35], v[16:17], v[46:49]
	v_and_b32_e32 v58, 16, v0
	v_cvt_pkrtz_f16_f32 v50, v50, v51
	v_cvt_pkrtz_f16_f32 v51, v52, v53
	v_mfma_f32_16x16x16_f16 v[46:49], v[40:41], v[30:31], 0
	v_cvt_pk_f32_fp8_e32 v[40:41], v38
	v_cvt_pk_f32_fp8_sdwa v[52:53], v38 src0_sel:WORD_1
	v_lshl_or_b32 v64, v57, 4, v56
	v_mfma_f32_16x16x16_f16 v[46:49], v[50:51], v[32:33], v[46:49]
	v_cvt_pk_f32_fp8_e32 v[50:51], v39
	v_cvt_pkrtz_f16_f32 v40, v40, v41
	v_cvt_pkrtz_f16_f32 v41, v52, v53
	v_cvt_pk_f32_fp8_sdwa v[38:39], v39 src0_sel:WORD_1
	v_cvt_pkrtz_f16_f32 v50, v50, v51
	v_cvt_pk_f32_fp8_e32 v[52:53], v6
	s_waitcnt vmcnt(6)
	v_cvt_pk_f32_fp8_e32 v[74:75], v43
	v_cvt_pkrtz_f16_f32 v51, v38, v39
	v_mfma_f32_16x16x16_f16 v[38:41], v[40:41], v[22:23], v[46:49]
	s_nop 2
	v_cvt_pkrtz_f16_f32 v48, v52, v53
	v_cvt_pkrtz_f16_f32 v49, v60, v61
	v_cvt_pk_f32_fp8_e32 v[52:53], v7
	v_cvt_pk_f32_fp8_sdwa v[6:7], v7 src0_sel:WORD_1
	v_mfma_f32_16x16x16_f16 v[38:41], v[50:51], v[24:25], v[38:41]
	v_lshl_add_u64 v[46:47], s[4:5], 0, v[58:59]
	v_cvt_pkrtz_f16_f32 v50, v52, v53
	v_cvt_pkrtz_f16_f32 v51, v6, v7
	v_mfma_f32_16x16x16_f16 v[38:41], v[48:49], v[18:19], v[38:41]
	v_cvt_pk_f32_fp8_e32 v[6:7], v8
	v_cvt_pk_f32_fp8_sdwa v[48:49], v8 src0_sel:WORD_1
	v_cvt_pk_f32_fp8_sdwa v[52:53], v2 src0_sel:WORD_1
	v_mfma_f32_16x16x16_f16 v[38:41], v[50:51], v[20:21], v[38:41]
	v_cvt_pk_f32_fp8_e32 v[50:51], v9
	v_cvt_pkrtz_f16_f32 v6, v6, v7
	v_cvt_pkrtz_f16_f32 v7, v48, v49
	v_cvt_pk_f32_fp8_sdwa v[8:9], v9 src0_sel:WORD_1
	v_cvt_pkrtz_f16_f32 v48, v50, v51
	v_cvt_pk_f32_fp8_e32 v[50:51], v2
	v_lshlrev_b32_e32 v58, 5, v64
	v_cvt_pkrtz_f16_f32 v49, v8, v9
	v_mfma_f32_16x16x16_f16 v[6:9], v[6:7], v[14:15], v[38:41]
	v_cvt_pkrtz_f16_f32 v50, v50, v51
	v_cvt_pkrtz_f16_f32 v51, v52, v53
	v_cvt_pk_f32_fp8_e32 v[52:53], v3
	v_cvt_pk_f32_fp8_sdwa v[2:3], v3 src0_sel:WORD_1
	v_mfma_f32_16x16x16_f16 v[38:41], v[48:49], v[16:17], v[6:9]
	v_lshl_add_u64 v[48:49], v[46:47], 0, v[58:59]
	v_cvt_pkrtz_f16_f32 v52, v52, v53
	v_cvt_pkrtz_f16_f32 v53, v2, v3
	v_mfma_f32_16x16x16_f16 v[6:9], v[50:51], v[30:31], 0
	v_cvt_pk_f32_fp8_e32 v[2:3], v4
	v_cvt_pk_f32_fp8_sdwa v[50:51], v4 src0_sel:WORD_1
	s_waitcnt vmcnt(3)
	v_mad_i64_i32 v[60:61], s[4:5], v68, s45, v[48:49]
	v_cvt_pkrtz_f16_f32 v2, v2, v3
	v_cvt_pkrtz_f16_f32 v3, v50, v51
	v_mfma_f32_16x16x16_f16 v[6:9], v[52:53], v[32:33], v[6:9]
	v_cvt_pk_f32_fp8_e32 v[50:51], v5
	v_cvt_pk_f32_fp8_sdwa v[4:5], v5 src0_sel:WORD_1
	s_waitcnt vmcnt(2)
	v_mad_i64_i32 v[70:71], s[4:5], v66, s45, v[48:49]
	v_cvt_pkrtz_f16_f32 v50, v50, v51
	v_cvt_pkrtz_f16_f32 v51, v4, v5
	v_mfma_f32_16x16x16_f16 v[2:5], v[2:3], v[22:23], v[6:9]
	v_or_b32_e32 v58, 0x800, v58
	s_nop 1
	v_cvt_pk_f32_fp8_e32 v[6:7], v42
	v_cvt_pk_f32_fp8_sdwa v[8:9], v42 src0_sel:WORD_1
	v_cvt_pk_f32_fp8_sdwa v[42:43], v43 src0_sel:WORD_1
	v_mfma_f32_16x16x16_f16 v[50:53], v[50:51], v[24:25], v[2:5]
	v_cvt_pkrtz_f16_f32 v72, v6, v7
	v_cvt_pkrtz_f16_f32 v73, v8, v9
	global_load_dwordx4 v[6:9], v[60:61], off
	global_load_dwordx4 v[2:5], v[70:71], off
	v_cvt_pkrtz_f16_f32 v60, v74, v75
	v_cvt_pkrtz_f16_f32 v61, v42, v43
	v_mfma_f32_16x16x16_f16 v[70:73], v[72:73], v[18:19], v[50:53]
	v_cvt_pk_f32_fp8_e32 v[42:43], v44
	v_cvt_pkrtz_f16_f32 v42, v42, v43
	s_nop 0
	v_cvt_pk_f32_fp8_sdwa v[52:53], v44 src0_sel:WORD_1
	v_mfma_f32_16x16x16_f16 v[70:73], v[60:61], v[20:21], v[70:73]
	v_cvt_pk_f32_fp8_e32 v[60:61], v45
	s_waitcnt vmcnt(3)
	v_mad_i64_i32 v[50:51], s[4:5], v67, s45, v[48:49]
	s_load_dword s4, s[0:1], 0x1c
	s_load_dwordx4 s[40:43], s[0:1], 0x80
	v_cvt_pkrtz_f16_f32 v43, v52, v53
	v_cvt_pkrtz_f16_f32 v74, v60, v61
	v_cvt_pk_f32_fp8_e32 v[52:53], v26
	v_cvt_pk_f32_fp8_sdwa v[60:61], v26 src0_sel:WORD_1
	s_load_dword s33, s[0:1], 0x98
	s_waitcnt lgkmcnt(0)
	s_load_dword s5, s[40:41], 0x0
	v_cvt_pk_f32_fp8_sdwa v[44:45], v45 src0_sel:WORD_1
	v_cvt_pkrtz_f16_f32 v52, v52, v53
	v_cvt_pkrtz_f16_f32 v53, v60, v61
	v_cvt_pk_f32_fp8_e32 v[60:61], v27
	v_cvt_pk_f32_fp8_sdwa v[26:27], v27 src0_sel:WORD_1
	v_cvt_pkrtz_f16_f32 v75, v44, v45
	v_mfma_f32_16x16x16_f16 v[42:45], v[42:43], v[14:15], v[70:73]
	v_cvt_pkrtz_f16_f32 v60, v60, v61
	v_cvt_pkrtz_f16_f32 v61, v26, v27
	v_mov_b32_e32 v26, s4
	v_mfma_f32_16x16x16_f16 v[70:73], v[52:53], v[30:31], 0
	s_waitcnt lgkmcnt(0)
	v_mul_f32_e32 v52, s5, v26
	v_cvt_pk_f32_fp8_e32 v[26:27], v28
	v_cvt_pk_f32_fp8_sdwa v[30:31], v28 src0_sel:WORD_1
	v_mfma_f32_16x16x16_f16 v[70:73], v[60:61], v[32:33], v[70:73]
	v_cvt_pk_f32_fp8_e32 v[32:33], v29
	v_cvt_pk_f32_fp8_sdwa v[28:29], v29 src0_sel:WORD_1
	v_cvt_pkrtz_f16_f32 v26, v26, v27
	v_cvt_pkrtz_f16_f32 v27, v30, v31
	v_mfma_f32_16x16x16_f16 v[42:45], v[74:75], v[16:17], v[42:45]
	v_cvt_pkrtz_f16_f32 v32, v32, v33
	v_cvt_pkrtz_f16_f32 v33, v28, v29
	v_cvt_pk_f32_fp8_e32 v[60:61], v10
	v_cvt_pk_f32_fp8_sdwa v[74:75], v10 src0_sel:WORD_1
	v_mfma_f32_16x16x16_f16 v[26:29], v[26:27], v[22:23], v[70:73]
	v_pk_mul_f32 v[30:31], v[52:53], v[36:37] op_sel_hi:[0,1]
	v_cvt_pkrtz_f16_f32 v36, v60, v61
	v_cvt_pkrtz_f16_f32 v37, v74, v75
	v_cvt_pk_f32_fp8_e32 v[60:61], v11
	v_cvt_pk_f32_fp8_sdwa v[70:71], v11 src0_sel:WORD_1
	v_mfma_f32_16x16x16_f16 v[22:25], v[32:33], v[24:25], v[26:29]
	v_pk_mul_f32 v[10:11], v[52:53], v[34:35] op_sel_hi:[0,1]
	v_cvt_pkrtz_f16_f32 v60, v60, v61
	v_cvt_pkrtz_f16_f32 v61, v70, v71
	v_mfma_f32_16x16x16_f16 v[32:35], v[36:37], v[18:19], v[22:25]
	v_cvt_pk_f32_fp8_e32 v[18:19], v12
	v_cvt_pk_f32_fp8_sdwa v[36:37], v12 src0_sel:WORD_1
	s_waitcnt vmcnt(2)
	v_mad_i64_i32 v[48:49], s[8:9], v65, s45, v[48:49]
	global_load_dwordx4 v[26:29], v[50:51], off
	global_load_dwordx4 v[22:25], v[48:49], off
	v_cvt_pkrtz_f16_f32 v48, v18, v19
	v_cvt_pkrtz_f16_f32 v49, v36, v37
	v_cvt_pk_f32_fp8_e32 v[36:37], v13
	v_cvt_pk_f32_fp8_sdwa v[12:13], v13 src0_sel:WORD_1
	v_mfma_f32_16x16x16_f16 v[18:21], v[60:61], v[20:21], v[32:35]
	v_pk_mul_f32 v[40:41], v[52:53], v[40:41] op_sel_hi:[0,1]
	v_pk_mul_f32 v[42:43], v[52:53], v[42:43] op_sel_hi:[0,1]
	s_mov_b32 s40, 0xff7fffff
	v_cvt_pkrtz_f16_f32 v32, v36, v37
	v_cvt_pkrtz_f16_f32 v33, v12, v13
	v_mfma_f32_16x16x16_f16 v[12:15], v[48:49], v[14:15], v[18:21]
	v_pk_mul_f32 v[48:49], v[52:53], v[38:39] op_sel_hi:[0,1]
	v_pk_mul_f32 v[38:39], v[52:53], v[44:45] op_sel_hi:[0,1]
	v_mfma_f32_16x16x16_f16 v[12:15], v[32:33], v[16:17], v[12:15]
	s_nop 6
	v_pk_mul_f32 v[36:37], v[52:53], v[12:13] op_sel_hi:[0,1]
	v_and_b32_e32 v12, 0xc0, v0
	v_add_u32_e32 v12, s18, v12
	v_lshl_or_b32 v12, v62, 2, v12
	v_or_b32_e32 v13, 1, v12
	v_pk_mul_f32 v[34:35], v[52:53], v[14:15] op_sel_hi:[0,1]
	v_subrev_u32_e32 v14, s7, v13
	v_add_u32_e32 v16, 1, v14
	v_add_u32_e32 v17, 2, v14
	v_cvt_f32_i32_e32 v15, v14
	v_cvt_f32_i32_e32 v16, v16
	;; [unrolled: 1-line block ×3, first 2 shown]
	v_add_u32_e32 v18, 3, v14
	v_fma_f32 v10, v63, v15, v10
	v_fmac_f32_e32 v11, v63, v16
	v_fma_f32 v51, v63, v17, v30
	v_add_u32_e32 v15, 16, v14
	v_add_u32_e32 v16, 17, v14
	;; [unrolled: 1-line block ×3, first 2 shown]
	v_cvt_f32_i32_e32 v18, v18
	v_cvt_f32_i32_e32 v15, v15
	;; [unrolled: 1-line block ×4, first 2 shown]
	v_fmac_f32_e32 v31, v63, v18
	v_add_u32_e32 v18, 19, v14
	v_fma_f32 v48, v63, v15, v48
	v_fmac_f32_e32 v49, v63, v16
	v_fma_f32 v40, v63, v17, v40
	v_add_u32_e32 v15, 32, v14
	v_add_u32_e32 v16, 33, v14
	;; [unrolled: 1-line block ×3, first 2 shown]
	v_cvt_f32_i32_e32 v18, v18
	v_cvt_f32_i32_e32 v15, v15
	;; [unrolled: 1-line block ×4, first 2 shown]
	v_fmac_f32_e32 v41, v63, v18
	v_add_u32_e32 v18, 35, v14
	v_fma_f32 v42, v63, v15, v42
	v_fmac_f32_e32 v43, v63, v16
	v_fma_f32 v38, v63, v17, v38
	v_add_u32_e32 v15, 48, v14
	v_add_u32_e32 v16, 49, v14
	;; [unrolled: 1-line block ×4, first 2 shown]
	v_cvt_f32_i32_e32 v14, v14
	v_cvt_f32_i32_e32 v15, v15
	;; [unrolled: 1-line block ×3, first 2 shown]
	v_cmp_gt_i32_e64 s[8:9], s7, v12
	v_fmac_f32_e32 v35, v63, v14
	v_mov_b32_e32 v14, 0xff7fffff
	v_cmp_gt_i32_e64 s[10:11], s7, v13
	v_fma_f32 v36, v63, v15, v36
	v_cndmask_b32_e64 v15, v14, v10, s[8:9]
	v_cndmask_b32_e64 v13, v14, v11, s[10:11]
	v_fmac_f32_e32 v37, v63, v16
	v_max3_f32 v13, v15, s40, v13
	v_or_b32_e32 v15, 2, v12
	v_or_b32_e32 v16, 3, v12
	v_cmp_gt_i32_e64 s[12:13], s7, v15
	v_cmp_gt_i32_e64 s[14:15], s7, v16
	v_cvt_f32_i32_e32 v18, v18
	v_cndmask_b32_e64 v15, v14, v51, s[12:13]
	v_cndmask_b32_e64 v16, v14, v31, s[14:15]
	v_max3_f32 v13, v13, v15, v16
	v_or_b32_e32 v15, 16, v12
	v_or_b32_e32 v16, 17, v12
	v_cmp_gt_i32_e64 s[16:17], s7, v15
	v_cmp_gt_i32_e64 s[18:19], s7, v16
	v_fmac_f32_e32 v39, v63, v18
	v_cndmask_b32_e64 v15, v14, v48, s[16:17]
	v_cndmask_b32_e64 v16, v14, v49, s[18:19]
	v_max3_f32 v13, v13, v15, v16
	v_or_b32_e32 v15, 18, v12
	v_or_b32_e32 v16, 19, v12
	v_cmp_gt_i32_e64 s[20:21], s7, v15
	v_cmp_gt_i32_e64 s[22:23], s7, v16
	v_cvt_f32_i32_e32 v17, v17
	v_cndmask_b32_e64 v15, v14, v40, s[20:21]
	v_cndmask_b32_e64 v16, v14, v41, s[22:23]
	v_max3_f32 v13, v13, v15, v16
	v_or_b32_e32 v15, 32, v12
	v_or_b32_e32 v16, 33, v12
	v_cmp_gt_i32_e64 s[24:25], s7, v15
	v_cmp_gt_i32_e64 s[26:27], s7, v16
	v_fma_f32 v34, v63, v17, v34
	v_cndmask_b32_e64 v15, v14, v42, s[24:25]
	v_cndmask_b32_e64 v16, v14, v43, s[26:27]
	v_max3_f32 v13, v13, v15, v16
	v_or_b32_e32 v15, 34, v12
	v_or_b32_e32 v16, 35, v12
	v_cmp_gt_i32_e64 s[28:29], s7, v15
	v_cmp_gt_i32_e64 s[30:31], s7, v16
	s_nop 0
	v_cndmask_b32_e64 v15, v14, v38, s[28:29]
	v_cndmask_b32_e64 v16, v14, v39, s[30:31]
	v_max3_f32 v13, v13, v15, v16
	v_or_b32_e32 v15, 48, v12
	v_or_b32_e32 v16, 49, v12
	v_cmp_gt_i32_e64 s[34:35], s7, v15
	v_cmp_gt_i32_e64 s[36:37], s7, v16
	s_nop 0
	v_cndmask_b32_e64 v15, v14, v36, s[34:35]
	v_cndmask_b32_e64 v16, v14, v37, s[36:37]
	v_max3_f32 v13, v13, v15, v16
	v_or_b32_e32 v15, 50, v12
	v_or_b32_e32 v12, 51, v12
	v_cmp_gt_i32_e32 vcc, s7, v15
	v_cmp_gt_i32_e64 s[4:5], s7, v12
	s_nop 0
	v_cndmask_b32_e32 v15, v14, v34, vcc
	v_cndmask_b32_e64 v12, v14, v35, s[4:5]
	v_max3_f32 v16, v13, v15, v12
	v_mbcnt_lo_u32_b32 v12, -1, 0
	v_mbcnt_hi_u32_b32 v17, -1, v12
	v_and_b32_e32 v12, 64, v17
	v_add_u32_e32 v18, 64, v12
	v_xor_b32_e32 v12, 32, v17
	v_cmp_lt_i32_e64 s[38:39], v12, v18
	s_nop 1
	v_cndmask_b32_e64 v12, v17, v12, s[38:39]
	v_lshlrev_b32_e32 v52, 2, v12
	ds_bpermute_b32 v19, v52, v16
	v_lshl_add_u64 v[12:13], v[46:47], 0, v[58:59]
	v_mad_i64_i32 v[14:15], s[38:39], v68, s45, v[12:13]
	s_waitcnt lgkmcnt(0)
	v_max_f32_e32 v19, v19, v19
	v_max_f32_e32 v19, v16, v19
	v_xor_b32_e32 v16, 16, v17
	v_cmp_lt_i32_e64 s[38:39], v16, v18
	s_nop 1
	v_cndmask_b32_e64 v16, v17, v16, s[38:39]
	v_lshlrev_b32_e32 v53, 2, v16
	ds_bpermute_b32 v18, v53, v19
	v_mad_i64_i32 v[16:17], s[38:39], v66, s45, v[12:13]
	v_mad_i64_i32 v[44:45], s[38:39], v67, s45, v[12:13]
	s_waitcnt lgkmcnt(0)
	v_max_f32_e32 v18, v18, v18
	v_max_f32_e32 v50, v19, v18
	v_sub_f32_e32 v10, v10, v50
	v_mul_f32_e32 v10, 0x3fb8aa3b, v10
	v_exp_f32_e32 v18, v10
	v_sub_f32_e32 v10, v11, v50
	v_mul_f32_e32 v10, 0x3fb8aa3b, v10
	v_exp_f32_e32 v19, v10
	v_mad_i64_i32 v[10:11], s[38:39], v65, s45, v[12:13]
	v_sub_f32_e32 v12, v51, v50
	v_mul_f32_e32 v12, 0x3fb8aa3b, v12
	v_cndmask_b32_e64 v46, 0, v18, s[8:9]
	v_cndmask_b32_e64 v47, 0, v19, s[10:11]
	v_sub_f32_e32 v58, v31, v50
	global_load_dwordx4 v[30:33], v[14:15], off
	global_load_dwordx4 v[18:21], v[16:17], off
	v_exp_f32_e32 v51, v12
	global_load_dwordx4 v[14:17], v[44:45], off
	s_nop 0
	global_load_dwordx4 v[10:13], v[10:11], off
	v_sub_f32_e32 v45, v48, v50
	v_sub_f32_e32 v48, v49, v50
	;; [unrolled: 1-line block ×4, first 2 shown]
	v_mul_f32_e32 v44, 0x3fb8aa3b, v58
	v_mul_f32_e32 v45, 0x3fb8aa3b, v45
	;; [unrolled: 1-line block ×5, first 2 shown]
	v_exp_f32_e32 v44, v44
	v_exp_f32_e32 v45, v45
	;; [unrolled: 1-line block ×3, first 2 shown]
	v_cndmask_b32_e64 v48, 0, v51, s[12:13]
	v_exp_f32_e32 v40, v40
	v_exp_f32_e32 v51, v42
	v_sub_f32_e32 v42, v43, v50
	v_mul_f32_e32 v42, 0x3fb8aa3b, v42
	v_cndmask_b32_e64 v49, 0, v44, s[14:15]
	v_cndmask_b32_e64 v44, 0, v45, s[16:17]
	;; [unrolled: 1-line block ×3, first 2 shown]
	v_sub_f32_e32 v41, v41, v50
	v_exp_f32_e32 v58, v42
	v_cndmask_b32_e64 v42, 0, v40, s[20:21]
	v_cndmask_b32_e64 v40, 0, v51, s[24:25]
	v_add_f32_e32 v51, 0, v46
	v_mul_f32_e32 v41, 0x3fb8aa3b, v41
	v_add_f32_e32 v51, v51, v47
	v_exp_f32_e32 v41, v41
	v_add_f32_e32 v51, v51, v48
	v_sub_f32_e32 v38, v38, v50
	v_add_f32_e32 v51, v51, v49
	v_sub_f32_e32 v39, v39, v50
	v_mul_f32_e32 v38, 0x3fb8aa3b, v38
	v_add_f32_e32 v51, v51, v44
	v_exp_f32_e32 v38, v38
	v_mul_f32_e32 v39, 0x3fb8aa3b, v39
	v_sub_f32_e32 v36, v36, v50
	v_add_f32_e32 v51, v51, v45
	v_cndmask_b32_e64 v43, 0, v41, s[22:23]
	v_exp_f32_e32 v39, v39
	v_mul_f32_e32 v36, 0x3fb8aa3b, v36
	v_sub_f32_e32 v37, v37, v50
	v_add_f32_e32 v51, v51, v42
	v_exp_f32_e32 v36, v36
	v_mul_f32_e32 v37, 0x3fb8aa3b, v37
	v_add_f32_e32 v51, v51, v43
	v_sub_f32_e32 v34, v34, v50
	v_cndmask_b32_e64 v41, 0, v58, s[26:27]
	v_exp_f32_e32 v37, v37
	v_add_f32_e32 v51, v51, v40
	v_mul_f32_e32 v34, 0x3fb8aa3b, v34
	v_sub_f32_e32 v35, v35, v50
	v_cndmask_b32_e64 v38, 0, v38, s[28:29]
	v_add_f32_e32 v51, v51, v41
	v_exp_f32_e32 v34, v34
	v_mul_f32_e32 v35, 0x3fb8aa3b, v35
	v_cndmask_b32_e64 v39, 0, v39, s[30:31]
	v_add_f32_e32 v51, v51, v38
	v_exp_f32_e32 v35, v35
	v_cndmask_b32_e64 v36, 0, v36, s[34:35]
	v_add_f32_e32 v51, v51, v39
	v_cndmask_b32_e64 v37, 0, v37, s[36:37]
	v_add_f32_e32 v51, v51, v36
	v_add_f32_e32 v51, v51, v37
	v_cndmask_b32_e32 v34, 0, v34, vcc
	v_add_f32_e32 v51, v51, v34
	v_cndmask_b32_e64 v35, 0, v35, s[4:5]
	v_add_f32_e32 v51, v51, v35
	ds_bpermute_b32 v52, v52, v51
	v_cmp_gt_u32_e32 vcc, 16, v55
	s_waitcnt lgkmcnt(0)
	s_barrier
	v_add_f32_e32 v51, v51, v52
	ds_bpermute_b32 v52, v53, v51
	s_and_saveexec_b64 s[4:5], vcc
	s_cbranch_execz .LBB1017_15
; %bb.14:
	s_waitcnt lgkmcnt(0)
	v_add_f32_e32 v51, v51, v52
	v_lshlrev_b32_e32 v52, 2, v64
	ds_write2st64_b32 v52, v50, v51 offset1:1
.LBB1017_15:
	s_or_b64 exec, exec, s[4:5]
	v_lshlrev_b32_e32 v51, 2, v56
	s_load_dword s7, s[0:1], 0x94
	s_waitcnt lgkmcnt(0)
	s_barrier
	ds_read2_b32 v[52:53], v51 offset1:16
	ds_read2_b32 v[58:59], v51 offset0:32 offset1:48
	ds_read2_b32 v[60:61], v51 offset0:64 offset1:80
	s_mul_i32 s8, s33, 10
	s_waitcnt lgkmcnt(2)
	v_max3_f32 v50, v52, s40, v53
	s_waitcnt lgkmcnt(1)
	v_max3_f32 v50, v50, v58, v59
	v_sub_f32_e32 v52, v52, v50
	v_mul_f32_e32 v52, 0x3fb8aa3b, v52
	v_exp_f32_e32 v55, v52
	v_sub_f32_e32 v52, v53, v50
	v_mul_f32_e32 v52, 0x3fb8aa3b, v52
	v_exp_f32_e32 v63, v52
	;; [unrolled: 3-line block ×3, first 2 shown]
	ds_read2_b32 v[52:53], v51 offset0:96 offset1:112
	v_sub_f32_e32 v51, v59, v50
	v_mul_f32_e32 v51, 0x3fb8aa3b, v51
	v_exp_f32_e32 v59, v51
	s_waitcnt lgkmcnt(1)
	v_fma_f32 v51, v55, v60, 0
	v_fmac_f32_e32 v51, v63, v61
	s_waitcnt lgkmcnt(0)
	v_fmac_f32_e32 v51, v58, v52
	v_fmac_f32_e32 v51, v59, v53
	v_add_f32_e32 v52, 0x358637bd, v51
	v_div_scale_f32 v53, s[4:5], v52, v52, 1.0
	v_rcp_f32_e32 v60, v53
	s_barrier
	v_fma_f32 v61, -v53, v60, 1.0
	v_fmac_f32_e32 v60, v61, v60
	v_div_scale_f32 v61, vcc, 1.0, v52, 1.0
	v_mul_f32_e32 v64, v61, v60
	v_fma_f32 v65, -v53, v64, v61
	v_fmac_f32_e32 v64, v65, v60
	v_fma_f32 v53, -v53, v64, v61
	v_div_fmas_f32 v53, v53, v60, v64
	v_cmp_eq_u32_e32 vcc, 1, v57
	v_div_fixup_f32 v52, v53, v52, 1.0
	s_nop 0
	v_cndmask_b32_e32 v53, v55, v63, vcc
	v_cmp_eq_u32_e32 vcc, 2, v57
	s_nop 1
	v_cndmask_b32_e32 v53, v53, v58, vcc
	v_cmp_eq_u32_e32 vcc, 3, v57
	s_nop 1
	v_cndmask_b32_e32 v53, v53, v59, vcc
	v_mul_f32_e32 v52, v53, v52
	v_pk_mul_f32 v[48:49], v[52:53], v[48:49] op_sel_hi:[0,1]
	v_pk_mul_f32 v[46:47], v[52:53], v[46:47] op_sel_hi:[0,1]
	v_cvt_f16_f32_e32 v53, v48
	v_cvt_f16_f32_e32 v49, v49
	;; [unrolled: 1-line block ×4, first 2 shown]
	v_pk_mul_f32 v[42:43], v[52:53], v[42:43] op_sel_hi:[0,1]
	v_pk_mul_f32 v[44:45], v[52:53], v[44:45] op_sel_hi:[0,1]
	v_pack_b32_f16 v49, v53, v49
	v_cvt_f16_f32_e32 v44, v44
	v_cvt_f16_f32_e32 v45, v45
	v_cvt_f16_f32_e32 v53, v42
	v_cvt_f16_f32_e32 v43, v43
	v_pack_b32_f16 v48, v46, v47
	v_lshlrev_b32_e32 v47, 3, v62
	v_lshlrev_b32_e32 v46, 5, v56
	v_lshlrev_b32_e32 v42, 11, v57
	v_or3_b32 v55, v42, v46, v47
	v_pack_b32_f16 v42, v44, v45
	v_pack_b32_f16 v43, v53, v43
	v_pk_mul_f32 v[38:39], v[52:53], v[38:39] op_sel_hi:[0,1]
	v_pk_mul_f32 v[40:41], v[52:53], v[40:41] op_sel_hi:[0,1]
	;; [unrolled: 1-line block ×4, first 2 shown]
	ds_write2st64_b64 v55, v[48:49], v[42:43] offset1:1
	v_cvt_f16_f32_e32 v40, v40
	v_cvt_f16_f32_e32 v41, v41
	;; [unrolled: 1-line block ×8, first 2 shown]
	v_pack_b32_f16 v34, v40, v41
	v_pack_b32_f16 v35, v38, v39
	;; [unrolled: 1-line block ×4, first 2 shown]
	v_cmp_gt_u32_e32 vcc, 10, v0
	ds_write2st64_b64 v55, v[34:35], v[36:37] offset0:2 offset1:3
	s_and_saveexec_b64 s[4:5], vcc
	s_cbranch_execz .LBB1017_17
; %bb.16:
	s_mov_b32 s49, 0
	v_mov_b32_e32 v57, 0
	v_lshl_add_u64 v[34:35], s[48:49], 0, v[56:57]
	v_mov_b32_e32 v36, s8
	v_mad_u64_u32 v[34:35], s[10:11], s2, v36, v[34:35]
	s_mul_i32 s3, s3, s8
	v_mov_b32_e32 v36, s6
	v_mov_b32_e32 v37, v57
	s_load_dwordx4 s[12:15], s[0:1], 0x58
	v_add_u32_e32 v38, s3, v35
	v_mad_u64_u32 v[34:35], s[10:11], v34, s7, v[36:37]
	v_mov_b32_e32 v36, v35
	v_mad_u64_u32 v[36:37], s[10:11], v38, s7, v[36:37]
	v_mov_b32_e32 v35, v36
	v_lshlrev_b64 v[34:35], 2, v[34:35]
	s_waitcnt lgkmcnt(0)
	v_lshl_add_u64 v[36:37], s[14:15], 0, v[34:35]
	v_lshl_add_u64 v[34:35], s[12:13], 0, v[34:35]
	global_store_dword v[36:37], v50, off
	global_store_dword v[34:35], v51, off
.LBB1017_17:
	s_or_b64 exec, exec, s[4:5]
	s_waitcnt vmcnt(7)
	v_cvt_pk_f32_fp8_e32 v[34:35], v6
	v_cvt_pk_f32_fp8_sdwa v[36:37], v6 src0_sel:WORD_1
	v_lshl_or_b32 v50, v62, 9, v46
	s_waitcnt lgkmcnt(0)
	s_barrier
	v_cvt_pk_f32_fp8_e32 v[38:39], v7
	v_cvt_pkrtz_f16_f32 v6, v34, v35
	v_cvt_pk_f32_fp8_sdwa v[40:41], v7 src0_sel:WORD_1
	v_cvt_pkrtz_f16_f32 v7, v36, v37
	ds_read_b128 v[34:37], v50
	v_cvt_pkrtz_f16_f32 v46, v38, v39
	v_cvt_pkrtz_f16_f32 v47, v40, v41
	ds_read_b128 v[38:41], v50 offset:16
	v_cvt_pk_f32_fp8_e32 v[48:49], v8
	v_cvt_pk_f32_fp8_sdwa v[52:53], v8 src0_sel:WORD_1
	s_waitcnt lgkmcnt(1)
	v_mfma_f32_16x16x16_f16 v[42:45], v[6:7], v[34:35], 0
	s_waitcnt vmcnt(6)
	v_cvt_pk_f32_fp8_e32 v[58:59], v4
	v_cvt_pkrtz_f16_f32 v6, v48, v49
	v_cvt_pkrtz_f16_f32 v7, v52, v53
	v_cvt_pk_f32_fp8_e32 v[48:49], v9
	v_mfma_f32_16x16x16_f16 v[42:45], v[46:47], v[36:37], v[42:45]
	v_cvt_pk_f32_fp8_sdwa v[46:47], v9 src0_sel:WORD_1
	v_cvt_pk_f32_fp8_sdwa v[60:61], v4 src0_sel:WORD_1
	v_cvt_pkrtz_f16_f32 v48, v48, v49
	s_waitcnt lgkmcnt(0)
	v_mfma_f32_16x16x16_f16 v[6:9], v[6:7], v[38:39], v[42:45]
	v_cvt_pkrtz_f16_f32 v49, v46, v47
	s_waitcnt vmcnt(5)
	v_cvt_pk_f32_fp8_e32 v[64:65], v28
	v_cvt_pk_f32_fp8_sdwa v[66:67], v28 src0_sel:WORD_1
	v_cvt_pk_f32_fp8_e32 v[42:43], v2
	v_mfma_f32_16x16x16_f16 v[46:49], v[48:49], v[40:41], v[6:9]
	s_waitcnt vmcnt(4)
	v_cvt_pk_f32_fp8_sdwa v[68:69], v24 src0_sel:WORD_1
	s_load_dword s4, s[42:43], 0x0
	v_cvt_pk_f32_fp8_sdwa v[6:7], v2 src0_sel:WORD_1
	v_cvt_pk_f32_fp8_e32 v[8:9], v3
	v_cvt_pkrtz_f16_f32 v2, v42, v43
	v_cvt_pk_f32_fp8_sdwa v[42:43], v3 src0_sel:WORD_1
	v_cvt_pkrtz_f16_f32 v3, v6, v7
	v_cvt_pkrtz_f16_f32 v52, v8, v9
	ds_read_b128 v[6:9], v50 offset:2048
	v_cvt_pkrtz_f16_f32 v53, v42, v43
	ds_read_b128 v[42:45], v50 offset:2064
	s_waitcnt lgkmcnt(0)
	v_mfma_f32_16x16x16_f16 v[46:49], v[2:3], v[6:7], v[46:49]
	v_cvt_pkrtz_f16_f32 v2, v58, v59
	v_cvt_pkrtz_f16_f32 v3, v60, v61
	v_cvt_pk_f32_fp8_e32 v[58:59], v5
	v_mfma_f32_16x16x16_f16 v[46:49], v[52:53], v[8:9], v[46:49]
	v_cvt_pk_f32_fp8_sdwa v[52:53], v5 src0_sel:WORD_1
	s_mov_b32 s3, 0
	v_cvt_pkrtz_f16_f32 v58, v58, v59
	v_mfma_f32_16x16x16_f16 v[2:5], v[2:3], v[42:43], v[46:49]
	v_cvt_pkrtz_f16_f32 v59, v52, v53
	v_cmp_gt_u32_e32 vcc, 64, v0
	s_nop 0
	v_cvt_pk_f32_fp8_e32 v[46:47], v26
	v_mfma_f32_16x16x16_f16 v[58:61], v[58:59], v[44:45], v[2:5]
	s_nop 2
	v_cvt_pk_f32_fp8_sdwa v[2:3], v26 src0_sel:WORD_1
	v_cvt_pk_f32_fp8_e32 v[4:5], v27
	v_cvt_pkrtz_f16_f32 v26, v46, v47
	v_cvt_pk_f32_fp8_sdwa v[46:47], v27 src0_sel:WORD_1
	v_cvt_pkrtz_f16_f32 v27, v2, v3
	v_cvt_pkrtz_f16_f32 v52, v4, v5
	ds_read_b128 v[2:5], v50 offset:4096
	v_cvt_pkrtz_f16_f32 v53, v46, v47
	ds_read_b128 v[46:49], v50 offset:4112
	s_waitcnt lgkmcnt(1)
	v_mfma_f32_16x16x16_f16 v[58:61], v[26:27], v[2:3], v[58:61]
	v_cvt_pkrtz_f16_f32 v26, v64, v65
	v_cvt_pkrtz_f16_f32 v27, v66, v67
	v_cvt_pk_f32_fp8_e32 v[64:65], v29
	v_mfma_f32_16x16x16_f16 v[58:61], v[52:53], v[4:5], v[58:61]
	v_cvt_pk_f32_fp8_sdwa v[52:53], v29 src0_sel:WORD_1
	v_cvt_pk_f32_fp8_e32 v[66:67], v24
	v_cvt_pkrtz_f16_f32 v64, v64, v65
	s_waitcnt lgkmcnt(0)
	v_mfma_f32_16x16x16_f16 v[26:29], v[26:27], v[46:47], v[58:61]
	v_cvt_pkrtz_f16_f32 v65, v52, v53
	v_cvt_pk_f32_fp8_e32 v[52:53], v22
	s_nop 0
	v_mfma_f32_16x16x16_f16 v[58:61], v[64:65], v[48:49], v[26:29]
	s_nop 2
	v_cvt_pk_f32_fp8_sdwa v[26:27], v22 src0_sel:WORD_1
	v_cvt_pk_f32_fp8_e32 v[28:29], v23
	v_cvt_pkrtz_f16_f32 v22, v52, v53
	v_cvt_pk_f32_fp8_sdwa v[52:53], v23 src0_sel:WORD_1
	v_cvt_pkrtz_f16_f32 v23, v26, v27
	v_cvt_pkrtz_f16_f32 v64, v28, v29
	ds_read_b128 v[26:29], v50 offset:6144
	v_cvt_pkrtz_f16_f32 v65, v52, v53
	s_waitcnt lgkmcnt(0)
	v_mfma_f32_16x16x16_f16 v[58:61], v[22:23], v[26:27], v[58:61]
	ds_read_b128 v[50:53], v50 offset:6160
	v_cvt_pkrtz_f16_f32 v22, v66, v67
	v_cvt_pkrtz_f16_f32 v23, v68, v69
	v_mfma_f32_16x16x16_f16 v[58:61], v[64:65], v[28:29], v[58:61]
	v_cvt_pk_f32_fp8_e32 v[66:67], v25
	v_cvt_pk_f32_fp8_sdwa v[64:65], v25 src0_sel:WORD_1
	s_waitcnt vmcnt(3)
	v_cvt_pk_f32_fp8_sdwa v[68:69], v32 src0_sel:WORD_1
	s_waitcnt lgkmcnt(0)
	v_mfma_f32_16x16x16_f16 v[22:25], v[22:23], v[50:51], v[58:61]
	v_cvt_pkrtz_f16_f32 v66, v66, v67
	v_cvt_pkrtz_f16_f32 v67, v64, v65
	v_cvt_pk_f32_fp8_e32 v[64:65], v31
	v_cvt_pk_f32_fp8_e32 v[58:59], v30
	v_cvt_pk_f32_fp8_sdwa v[60:61], v30 src0_sel:WORD_1
	v_cvt_pk_f32_fp8_sdwa v[30:31], v31 src0_sel:WORD_1
	v_mfma_f32_16x16x16_f16 v[22:25], v[66:67], v[52:53], v[22:25]
	v_cvt_pkrtz_f16_f32 v58, v58, v59
	v_cvt_pkrtz_f16_f32 v59, v60, v61
	;; [unrolled: 1-line block ×3, first 2 shown]
	v_cvt_pk_f32_fp8_e32 v[66:67], v32
	v_cvt_pkrtz_f16_f32 v65, v30, v31
	v_mfma_f32_16x16x16_f16 v[58:61], v[58:59], v[34:35], 0
	v_cvt_pkrtz_f16_f32 v30, v66, v67
	v_cvt_pkrtz_f16_f32 v31, v68, v69
	v_cvt_pk_f32_fp8_e32 v[66:67], v33
	v_mfma_f32_16x16x16_f16 v[34:37], v[64:65], v[36:37], v[58:61]
	s_barrier
	s_nop 1
	v_cvt_pk_f32_fp8_sdwa v[58:59], v33 src0_sel:WORD_1
	v_cvt_pkrtz_f16_f32 v60, v66, v67
	v_mfma_f32_16x16x16_f16 v[30:33], v[30:31], v[38:39], v[34:37]
	s_waitcnt vmcnt(2)
	v_cvt_pk_f32_fp8_e32 v[38:39], v19
	v_cvt_pkrtz_f16_f32 v61, v58, v59
	v_cvt_pk_f32_fp8_e32 v[34:35], v18
	v_cvt_pk_f32_fp8_sdwa v[36:37], v18 src0_sel:WORD_1
	v_cvt_pk_f32_fp8_sdwa v[18:19], v19 src0_sel:WORD_1
	v_mfma_f32_16x16x16_f16 v[30:33], v[60:61], v[40:41], v[30:33]
	v_cvt_pkrtz_f16_f32 v34, v34, v35
	v_cvt_pkrtz_f16_f32 v35, v36, v37
	;; [unrolled: 1-line block ×3, first 2 shown]
	v_cvt_pk_f32_fp8_e32 v[38:39], v20
	v_cvt_pk_f32_fp8_sdwa v[40:41], v20 src0_sel:WORD_1
	v_cvt_pkrtz_f16_f32 v37, v18, v19
	v_mfma_f32_16x16x16_f16 v[30:33], v[34:35], v[6:7], v[30:33]
	v_cvt_pkrtz_f16_f32 v18, v38, v39
	v_cvt_pkrtz_f16_f32 v19, v40, v41
	v_cvt_pk_f32_fp8_e32 v[34:35], v21
	v_cvt_pk_f32_fp8_sdwa v[20:21], v21 src0_sel:WORD_1
	v_mfma_f32_16x16x16_f16 v[6:9], v[36:37], v[8:9], v[30:33]
	s_nop 2
	v_cvt_pkrtz_f16_f32 v30, v34, v35
	v_cvt_pkrtz_f16_f32 v31, v20, v21
	v_mfma_f32_16x16x16_f16 v[6:9], v[18:19], v[42:43], v[6:9]
	s_waitcnt vmcnt(1)
	v_cvt_pk_f32_fp8_e32 v[18:19], v14
	v_cvt_pk_f32_fp8_sdwa v[20:21], v14 src0_sel:WORD_1
	v_cvt_pk_f32_fp8_sdwa v[32:33], v16 src0_sel:WORD_1
	v_mfma_f32_16x16x16_f16 v[6:9], v[30:31], v[44:45], v[6:9]
	v_cvt_pk_f32_fp8_e32 v[30:31], v15
	v_cvt_pkrtz_f16_f32 v18, v18, v19
	v_cvt_pkrtz_f16_f32 v19, v20, v21
	v_cvt_pk_f32_fp8_sdwa v[14:15], v15 src0_sel:WORD_1
	v_cvt_pkrtz_f16_f32 v20, v30, v31
	v_cvt_pk_f32_fp8_e32 v[30:31], v16
	v_mfma_f32_16x16x16_f16 v[6:9], v[18:19], v[2:3], v[6:9]
	v_cvt_pkrtz_f16_f32 v21, v14, v15
	v_cvt_pkrtz_f16_f32 v14, v30, v31
	;; [unrolled: 1-line block ×3, first 2 shown]
	v_cvt_pk_f32_fp8_e32 v[18:19], v17
	v_cvt_pk_f32_fp8_sdwa v[16:17], v17 src0_sel:WORD_1
	v_mfma_f32_16x16x16_f16 v[2:5], v[20:21], v[4:5], v[6:9]
	s_waitcnt vmcnt(0)
	v_cvt_pk_f32_fp8_sdwa v[20:21], v12 src0_sel:WORD_1
	s_nop 0
	v_cvt_pkrtz_f16_f32 v8, v18, v19
	v_cvt_pkrtz_f16_f32 v9, v16, v17
	v_mfma_f32_16x16x16_f16 v[2:5], v[14:15], v[46:47], v[2:5]
	v_cvt_pk_f32_fp8_e32 v[16:17], v10
	v_cvt_pk_f32_fp8_sdwa v[18:19], v10 src0_sel:WORD_1
	v_pk_mul_f32 v[6:7], v[24:25], s[4:5] op_sel_hi:[1,0]
	v_mfma_f32_16x16x16_f16 v[2:5], v[8:9], v[48:49], v[2:5]
	v_cvt_pk_f32_fp8_e32 v[8:9], v11
	v_cvt_pkrtz_f16_f32 v16, v16, v17
	v_cvt_pkrtz_f16_f32 v17, v18, v19
	v_cvt_pk_f32_fp8_sdwa v[10:11], v11 src0_sel:WORD_1
	v_cvt_pkrtz_f16_f32 v8, v8, v9
	v_cvt_pk_f32_fp8_e32 v[18:19], v12
	v_mfma_f32_16x16x16_f16 v[2:5], v[16:17], v[26:27], v[2:5]
	v_cvt_pkrtz_f16_f32 v9, v10, v11
	v_cvt_pkrtz_f16_f32 v10, v18, v19
	;; [unrolled: 1-line block ×3, first 2 shown]
	v_cvt_pk_f32_fp8_e32 v[16:17], v13
	v_cvt_pk_f32_fp8_sdwa v[12:13], v13 src0_sel:WORD_1
	v_mfma_f32_16x16x16_f16 v[2:5], v[8:9], v[28:29], v[2:5]
	v_pk_mul_f32 v[14:15], v[22:23], s[4:5] op_sel_hi:[1,0]
	v_cvt_pkrtz_f16_f32 v8, v16, v17
	v_cvt_pkrtz_f16_f32 v9, v12, v13
	v_mfma_f32_16x16x16_f16 v[2:5], v[10:11], v[50:51], v[2:5]
	v_cvt_f16_f32_e32 v14, v14
	v_cvt_f16_f32_e32 v10, v15
	;; [unrolled: 1-line block ×3, first 2 shown]
	v_mfma_f32_16x16x16_f16 v[2:5], v[8:9], v[52:53], v[2:5]
	v_cvt_f16_f32_e32 v7, v7
	s_nop 5
	v_pk_mul_f32 v[4:5], v[4:5], s[4:5] op_sel_hi:[1,0]
	v_pk_mul_f32 v[2:3], v[2:3], s[4:5] op_sel_hi:[1,0]
	v_cvt_f16_f32_e32 v11, v4
	v_cvt_f16_f32_e32 v8, v2
	;; [unrolled: 1-line block ×4, first 2 shown]
	v_pack_b32_f16 v2, v14, v10
	v_pack_b32_f16 v3, v6, v7
	;; [unrolled: 1-line block ×4, first 2 shown]
	ds_write2st64_b64 v55, v[2:3], v[4:5] offset1:1
	s_waitcnt lgkmcnt(0)
	s_barrier
	s_and_saveexec_b64 s[4:5], vcc
	s_cbranch_execz .LBB1017_20
; %bb.18:
	s_load_dwordx2 s[4:5], s[0:1], 0x68
	s_lshl_b32 s0, s7, 7
	s_mul_i32 s1, s8, s2
	v_lshlrev_b32_e32 v3, 6, v56
	s_mul_hi_u32 s9, s1, s0
	s_mul_i32 s8, s1, s0
	v_lshl_or_b32 v0, v0, 10, v3
	s_lshl_b64 s[8:9], s[8:9], 1
	v_lshlrev_b32_e32 v2, 5, v62
	v_and_b32_e32 v1, 16, v1
	v_and_b32_e32 v0, 0x1a00, v0
	s_waitcnt lgkmcnt(0)
	s_add_u32 s1, s4, s8
	v_or3_b32 v2, v0, v2, v1
	s_addc_u32 s4, s5, s9
	s_lshl_b32 s2, s6, 7
	s_lshl_b64 s[2:3], s[2:3], 1
	ds_read_b128 v[4:7], v2 offset:128
	ds_read_b128 v[8:11], v2
	s_add_u32 s2, s1, s2
	s_addc_u32 s3, s4, s3
	v_mov_b32_e32 v55, 0
	v_add_u32_e32 v14, s48, v62
	v_lshl_add_u64 v[0:1], s[2:3], 0, v[54:55]
	v_mad_u64_u32 v[12:13], s[2:3], v14, s0, 0
	v_lshl_add_u64 v[12:13], v[12:13], 1, v[0:1]
	s_waitcnt lgkmcnt(0)
	global_store_dwordx4 v[12:13], v[8:11], off
	v_or_b32_e32 v3, 8, v62
	v_cmp_gt_u32_e32 vcc, 10, v3
	v_add_u32_e32 v8, 4, v14
	v_mad_u64_u32 v[8:9], s[2:3], v8, s0, 0
	v_lshl_add_u64 v[8:9], v[8:9], 1, v[0:1]
	global_store_dwordx4 v[8:9], v[4:7], off
	s_and_b64 exec, exec, vcc
	s_cbranch_execz .LBB1017_20
; %bb.19:
	ds_read_b128 v[4:7], v2 offset:256
	v_add_u32_e32 v2, s48, v3
	v_mad_u64_u32 v[2:3], s[0:1], v2, s0, 0
	v_lshl_add_u64 v[0:1], v[2:3], 1, v[0:1]
	s_waitcnt lgkmcnt(0)
	global_store_dwordx4 v[0:1], v[4:7], off
.LBB1017_20:
	s_endpgm
	.section	.rodata,"a",@progbits
	.p2align	6, 0x0
	.amdhsa_kernel _Z39paged_attention_ll4mi_QKV_mfma16_kernelIDF16_hLN4vllm18Fp8KVCacheDataTypeE1EhLi32ELi128ELi256ELb1ELi10EEvPKT_PKT0_S7_ifPKiS9_S9_iPKfiiiPfSC_PS2_PT2_iSB_SB_
		.amdhsa_group_segment_fixed_size 8192
		.amdhsa_private_segment_fixed_size 0
		.amdhsa_kernarg_size 400
		.amdhsa_user_sgpr_count 2
		.amdhsa_user_sgpr_dispatch_ptr 0
		.amdhsa_user_sgpr_queue_ptr 0
		.amdhsa_user_sgpr_kernarg_segment_ptr 1
		.amdhsa_user_sgpr_dispatch_id 0
		.amdhsa_user_sgpr_kernarg_preload_length 0
		.amdhsa_user_sgpr_kernarg_preload_offset 0
		.amdhsa_user_sgpr_private_segment_size 0
		.amdhsa_uses_dynamic_stack 0
		.amdhsa_enable_private_segment 0
		.amdhsa_system_sgpr_workgroup_id_x 1
		.amdhsa_system_sgpr_workgroup_id_y 1
		.amdhsa_system_sgpr_workgroup_id_z 1
		.amdhsa_system_sgpr_workgroup_info 0
		.amdhsa_system_vgpr_workitem_id 0
		.amdhsa_next_free_vgpr 78
		.amdhsa_next_free_sgpr 50
		.amdhsa_accum_offset 80
		.amdhsa_reserve_vcc 1
		.amdhsa_float_round_mode_32 0
		.amdhsa_float_round_mode_16_64 0
		.amdhsa_float_denorm_mode_32 3
		.amdhsa_float_denorm_mode_16_64 3
		.amdhsa_dx10_clamp 1
		.amdhsa_ieee_mode 1
		.amdhsa_fp16_overflow 0
		.amdhsa_tg_split 0
		.amdhsa_exception_fp_ieee_invalid_op 0
		.amdhsa_exception_fp_denorm_src 0
		.amdhsa_exception_fp_ieee_div_zero 0
		.amdhsa_exception_fp_ieee_overflow 0
		.amdhsa_exception_fp_ieee_underflow 0
		.amdhsa_exception_fp_ieee_inexact 0
		.amdhsa_exception_int_div_zero 0
	.end_amdhsa_kernel
	.section	.text._Z39paged_attention_ll4mi_QKV_mfma16_kernelIDF16_hLN4vllm18Fp8KVCacheDataTypeE1EhLi32ELi128ELi256ELb1ELi10EEvPKT_PKT0_S7_ifPKiS9_S9_iPKfiiiPfSC_PS2_PT2_iSB_SB_,"axG",@progbits,_Z39paged_attention_ll4mi_QKV_mfma16_kernelIDF16_hLN4vllm18Fp8KVCacheDataTypeE1EhLi32ELi128ELi256ELb1ELi10EEvPKT_PKT0_S7_ifPKiS9_S9_iPKfiiiPfSC_PS2_PT2_iSB_SB_,comdat
.Lfunc_end1017:
	.size	_Z39paged_attention_ll4mi_QKV_mfma16_kernelIDF16_hLN4vllm18Fp8KVCacheDataTypeE1EhLi32ELi128ELi256ELb1ELi10EEvPKT_PKT0_S7_ifPKiS9_S9_iPKfiiiPfSC_PS2_PT2_iSB_SB_, .Lfunc_end1017-_Z39paged_attention_ll4mi_QKV_mfma16_kernelIDF16_hLN4vllm18Fp8KVCacheDataTypeE1EhLi32ELi128ELi256ELb1ELi10EEvPKT_PKT0_S7_ifPKiS9_S9_iPKfiiiPfSC_PS2_PT2_iSB_SB_
                                        ; -- End function
	.section	.AMDGPU.csdata,"",@progbits
; Kernel info:
; codeLenInByte = 6376
; NumSgprs: 56
; NumVgprs: 78
; NumAgprs: 0
; TotalNumVgprs: 78
; ScratchSize: 0
; MemoryBound: 0
; FloatMode: 240
; IeeeMode: 1
; LDSByteSize: 8192 bytes/workgroup (compile time only)
; SGPRBlocks: 6
; VGPRBlocks: 9
; NumSGPRsForWavesPerEU: 56
; NumVGPRsForWavesPerEU: 78
; AccumOffset: 80
; Occupancy: 6
; WaveLimiterHint : 1
; COMPUTE_PGM_RSRC2:SCRATCH_EN: 0
; COMPUTE_PGM_RSRC2:USER_SGPR: 2
; COMPUTE_PGM_RSRC2:TRAP_HANDLER: 0
; COMPUTE_PGM_RSRC2:TGID_X_EN: 1
; COMPUTE_PGM_RSRC2:TGID_Y_EN: 1
; COMPUTE_PGM_RSRC2:TGID_Z_EN: 1
; COMPUTE_PGM_RSRC2:TIDIG_COMP_CNT: 0
; COMPUTE_PGM_RSRC3_GFX90A:ACCUM_OFFSET: 19
; COMPUTE_PGM_RSRC3_GFX90A:TG_SPLIT: 0
	.section	.text._Z39paged_attention_ll4mi_QKV_mfma16_kernelIDF16_hLN4vllm18Fp8KVCacheDataTypeE1EhLi32ELi128ELi256ELb1ELi11EEvPKT_PKT0_S7_ifPKiS9_S9_iPKfiiiPfSC_PS2_PT2_iSB_SB_,"axG",@progbits,_Z39paged_attention_ll4mi_QKV_mfma16_kernelIDF16_hLN4vllm18Fp8KVCacheDataTypeE1EhLi32ELi128ELi256ELb1ELi11EEvPKT_PKT0_S7_ifPKiS9_S9_iPKfiiiPfSC_PS2_PT2_iSB_SB_,comdat
	.protected	_Z39paged_attention_ll4mi_QKV_mfma16_kernelIDF16_hLN4vllm18Fp8KVCacheDataTypeE1EhLi32ELi128ELi256ELb1ELi11EEvPKT_PKT0_S7_ifPKiS9_S9_iPKfiiiPfSC_PS2_PT2_iSB_SB_ ; -- Begin function _Z39paged_attention_ll4mi_QKV_mfma16_kernelIDF16_hLN4vllm18Fp8KVCacheDataTypeE1EhLi32ELi128ELi256ELb1ELi11EEvPKT_PKT0_S7_ifPKiS9_S9_iPKfiiiPfSC_PS2_PT2_iSB_SB_
	.globl	_Z39paged_attention_ll4mi_QKV_mfma16_kernelIDF16_hLN4vllm18Fp8KVCacheDataTypeE1EhLi32ELi128ELi256ELb1ELi11EEvPKT_PKT0_S7_ifPKiS9_S9_iPKfiiiPfSC_PS2_PT2_iSB_SB_
	.p2align	8
	.type	_Z39paged_attention_ll4mi_QKV_mfma16_kernelIDF16_hLN4vllm18Fp8KVCacheDataTypeE1EhLi32ELi128ELi256ELb1ELi11EEvPKT_PKT0_S7_ifPKiS9_S9_iPKfiiiPfSC_PS2_PT2_iSB_SB_,@function
_Z39paged_attention_ll4mi_QKV_mfma16_kernelIDF16_hLN4vllm18Fp8KVCacheDataTypeE1EhLi32ELi128ELi256ELb1ELi11EEvPKT_PKT0_S7_ifPKiS9_S9_iPKfiiiPfSC_PS2_PT2_iSB_SB_: ; @_Z39paged_attention_ll4mi_QKV_mfma16_kernelIDF16_hLN4vllm18Fp8KVCacheDataTypeE1EhLi32ELi128ELi256ELb1ELi11EEvPKT_PKT0_S7_ifPKiS9_S9_iPKfiiiPfSC_PS2_PT2_iSB_SB_
; %bb.0:
	s_load_dwordx2 s[10:11], s[0:1], 0x30
	s_mov_b32 s6, s3
	s_mov_b64 s[8:9], 0
	s_waitcnt lgkmcnt(0)
	s_cmp_lg_u64 s[10:11], 0
	s_cselect_b64 s[12:13], -1, 0
	s_and_b64 vcc, exec, s[12:13]
	s_cbranch_vccz .LBB1018_7
; %bb.1:
	s_add_i32 s14, s2, 1
	s_mov_b32 s15, 0
	s_lshl_b64 s[16:17], s[14:15], 2
	s_add_u32 s16, s10, s16
	s_mov_b32 s3, s15
	s_addc_u32 s17, s11, s17
	s_lshl_b64 s[14:15], s[2:3], 2
	s_add_u32 s14, s10, s14
	s_addc_u32 s15, s11, s15
	s_load_dword s5, s[16:17], 0x0
	s_load_dword s7, s[14:15], 0x0
	s_waitcnt lgkmcnt(0)
	s_sub_i32 s5, s5, s7
	s_cmp_eq_u32 s5, 1
	s_cselect_b64 s[14:15], -1, 0
	s_andn2_b64 vcc, exec, s[8:9]
	s_cbranch_vccnz .LBB1018_3
.LBB1018_2:
	s_mov_b32 s3, 0
	s_mov_b64 s[14:15], -1
.LBB1018_3:
	s_andn2_b64 vcc, exec, s[14:15]
	s_cbranch_vccnz .LBB1018_20
; %bb.4:
	s_load_dwordx2 s[8:9], s[0:1], 0x28
	s_lshl_b64 s[14:15], s[2:3], 2
	s_waitcnt lgkmcnt(0)
	s_add_u32 s8, s8, s14
	s_addc_u32 s9, s9, s15
	s_load_dword s7, s[8:9], 0x0
	s_lshl_b32 s18, s6, 8
	s_waitcnt lgkmcnt(0)
	s_cmp_ge_i32 s18, s7
	s_cbranch_scc1 .LBB1018_20
; %bb.5:
	s_load_dwordx2 s[8:9], s[0:1], 0x20
	s_load_dword s5, s[0:1], 0x38
	s_add_i32 s16, s7, 31
	s_ashr_i32 s17, s16, 31
	v_and_b32_e32 v1, 0xcf, v0
	s_lshr_b32 s17, s17, 27
	v_add_u32_e32 v1, s18, v1
	s_add_i32 s16, s16, s17
	v_ashrrev_i32_e32 v2, 31, v1
	s_ashr_i32 s19, s16, 5
	v_lshrrev_b32_e32 v4, 27, v2
	s_add_i32 s19, s19, -1
	s_waitcnt lgkmcnt(0)
	s_mul_i32 s16, s2, s5
	s_mov_b32 s17, 0
	v_add_u32_e32 v2, v1, v4
	s_lshl_b64 s[16:17], s[16:17], 2
	v_ashrrev_i32_e32 v2, 5, v2
	v_mov_b32_e32 v5, s19
	v_cmp_gt_i32_e32 vcc, s7, v1
	s_add_u32 s8, s8, s16
	s_addc_u32 s9, s9, s17
	v_cndmask_b32_e32 v2, v5, v2, vcc
	v_ashrrev_i32_e32 v3, 31, v2
	v_lshl_add_u64 v[6:7], v[2:3], 2, s[8:9]
	v_or_b32_e32 v2, 16, v1
	v_add_u32_e32 v3, v2, v4
	v_ashrrev_i32_e32 v3, 5, v3
	v_cmp_gt_i32_e32 vcc, s7, v2
	s_load_dwordx2 s[16:17], s[0:1], 0x8
	s_nop 0
	v_cndmask_b32_e32 v2, v5, v3, vcc
	v_ashrrev_i32_e32 v3, 31, v2
	v_lshl_add_u64 v[8:9], v[2:3], 2, s[8:9]
	v_or_b32_e32 v2, 32, v1
	v_add_u32_e32 v3, v2, v4
	v_ashrrev_i32_e32 v3, 5, v3
	v_cmp_gt_i32_e32 vcc, s7, v2
	v_or_b32_e32 v1, 48, v1
	s_nop 0
	v_cndmask_b32_e32 v2, v5, v3, vcc
	v_ashrrev_i32_e32 v3, 31, v2
	v_lshl_add_u64 v[12:13], v[2:3], 2, s[8:9]
	v_add_u32_e32 v2, v1, v4
	v_ashrrev_i32_e32 v2, 5, v2
	v_cmp_gt_i32_e32 vcc, s7, v1
	s_nop 1
	v_cndmask_b32_e32 v2, v5, v2, vcc
	v_ashrrev_i32_e32 v3, 31, v2
	v_lshl_add_u64 v[14:15], v[2:3], 2, s[8:9]
	global_load_dword v4, v[6:7], off
	global_load_dword v3, v[8:9], off
	;; [unrolled: 1-line block ×4, first 2 shown]
	s_andn2_b64 vcc, exec, s[12:13]
	s_cbranch_vccnz .LBB1018_8
; %bb.6:
	s_add_u32 s10, s10, s14
	s_addc_u32 s11, s11, s15
	s_load_dword s5, s[10:11], 0x0
	s_branch .LBB1018_9
.LBB1018_7:
	s_mov_b64 s[14:15], 0
	s_branch .LBB1018_2
.LBB1018_8:
	s_mov_b32 s5, s2
.LBB1018_9:
	s_load_dwordx2 s[10:11], s[0:1], 0x10
	s_load_dwordx4 s[44:47], s[0:1], 0x48
	v_lshrrev_b32_e32 v57, 6, v0
	v_bfe_u32 v62, v0, 4, 2
	v_and_b32_e32 v56, 15, v0
	v_lshl_or_b32 v5, v57, 2, v62
	v_lshlrev_b32_e32 v1, 3, v56
	s_mul_i32 s48, s4, 11
	v_cmp_gt_u32_e32 vcc, 11, v5
	v_lshlrev_b32_e32 v54, 1, v1
	v_lshlrev_b32_e32 v1, 4, v0
	s_and_saveexec_b64 s[12:13], vcc
	s_cbranch_execz .LBB1018_11
; %bb.10:
	s_load_dwordx2 s[14:15], s[0:1], 0x0
	s_waitcnt lgkmcnt(0)
	s_ashr_i32 s20, s44, 31
	s_mul_hi_u32 s21, s5, s44
	s_mul_i32 s20, s5, s20
	s_add_i32 s21, s21, s20
	s_mul_i32 s20, s5, s44
	s_lshl_b64 s[20:21], s[20:21], 1
	s_add_u32 s14, s14, s20
	v_add_lshl_u32 v6, v5, s48, 7
	s_addc_u32 s15, s15, s21
	v_ashrrev_i32_e32 v7, 31, v6
	v_lshl_add_u64 v[6:7], v[6:7], 1, s[14:15]
	v_mov_b32_e32 v55, 0
	v_lshl_add_u64 v[6:7], v[6:7], 0, v[54:55]
	global_load_dwordx4 v[6:9], v[6:7], off
	v_lshlrev_b32_e32 v12, 8, v0
	v_lshlrev_b32_e32 v11, 8, v56
	v_and_b32_e32 v12, 0x600, v12
	s_movk_i32 s5, 0x800
	v_and_or_b32 v11, v11, s5, v12
	v_lshlrev_b32_e32 v5, 5, v5
	v_and_b32_e32 v12, 16, v1
	v_or3_b32 v5, v11, v5, v12
	s_waitcnt vmcnt(0)
	ds_write_b128 v5, v[6:9]
.LBB1018_11:
	s_or_b64 exec, exec, s[12:13]
	s_waitcnt lgkmcnt(0)
	s_mul_i32 s12, s4, s46
	s_add_u32 s4, s16, s12
	s_addc_u32 s5, s17, 0
	v_mov_b32_e32 v59, 0
	v_mov_b64_e32 v[12:13], s[4:5]
	v_and_b32_e32 v34, 48, v0
	s_waitcnt vmcnt(3)
	v_mad_i64_i32 v[4:5], s[4:5], v4, s45, v[12:13]
	v_lshlrev_b32_e32 v14, 4, v56
	v_mov_b32_e32 v15, v59
	v_lshlrev_b32_e32 v58, 5, v34
	v_lshl_add_u64 v[4:5], v[4:5], 0, v[14:15]
	v_lshl_add_u64 v[4:5], v[4:5], 0, v[58:59]
	s_barrier
	global_load_dwordx4 v[50:53], v[4:5], off
	global_load_dwordx4 v[46:49], v[4:5], off offset:2048
	s_waitcnt vmcnt(4)
	v_mad_i64_i32 v[4:5], s[4:5], v3, s45, v[12:13]
	v_or_b32_e32 v16, 0x100, v14
	v_mov_b32_e32 v17, v59
	s_waitcnt vmcnt(3)
	v_mad_i64_i32 v[2:3], s[4:5], v2, s45, v[12:13]
	v_lshl_add_u64 v[4:5], v[4:5], 0, v[16:17]
	v_lshl_add_u64 v[2:3], v[2:3], 0, v[14:15]
	s_waitcnt vmcnt(2)
	v_mad_i64_i32 v[10:11], s[4:5], v10, s45, v[12:13]
	v_lshl_add_u64 v[4:5], v[4:5], 0, v[58:59]
	v_lshl_add_u64 v[14:15], v[2:3], 0, v[58:59]
	;; [unrolled: 1-line block ×3, first 2 shown]
	global_load_dwordx4 v[36:39], v[4:5], off
	global_load_dwordx4 v[6:9], v[4:5], off offset:2048
	s_nop 0
	global_load_dwordx4 v[2:5], v[14:15], off
	global_load_dwordx4 v[42:45], v[14:15], off offset:2048
	v_lshl_add_u64 v[14:15], v[10:11], 0, v[58:59]
	global_load_dwordx4 v[26:29], v[14:15], off
	global_load_dwordx4 v[10:13], v[14:15], off offset:2048
	v_add_u32_e32 v14, -11, v56
	v_cmp_gt_u32_e32 vcc, 11, v56
	v_and_b32_e32 v55, 63, v0
	v_mov_b32_e32 v63, 0
	v_cndmask_b32_e32 v14, v14, v56, vcc
	v_lshlrev_b32_e32 v14, 5, v14
	v_lshl_add_u32 v14, v62, 9, v14
	ds_read_b128 v[30:33], v14
	ds_read_b128 v[22:25], v14 offset:16
	ds_read_b128 v[18:21], v14 offset:2048
	;; [unrolled: 1-line block ×3, first 2 shown]
	s_and_saveexec_b64 s[4:5], vcc
	s_cbranch_execz .LBB1018_13
; %bb.12:
	s_load_dwordx2 s[14:15], s[0:1], 0x40
	v_add_u32_e32 v40, s48, v56
	v_ashrrev_i32_e32 v41, 31, v40
	s_waitcnt lgkmcnt(0)
	v_lshl_add_u64 v[40:41], v[40:41], 2, s[14:15]
	global_load_dword v63, v[40:41], off
.LBB1018_13:
	s_or_b64 exec, exec, s[4:5]
	s_ashr_i32 s4, s18, 31
	v_or_b32_e32 v58, s18, v34
	s_lshr_b32 s4, s4, 27
	v_add_u32_e32 v34, s4, v58
	v_cmp_gt_i32_e32 vcc, s7, v58
	v_or_b32_e32 v40, 64, v58
	v_or_b32_e32 v60, 0x80, v58
	;; [unrolled: 1-line block ×3, first 2 shown]
	v_add_u32_e32 v64, s4, v58
	v_ashrrev_i32_e32 v69, 5, v64
	s_waitcnt vmcnt(7)
	v_cvt_pk_f32_fp8_e32 v[64:65], v50
	v_cvt_pk_f32_fp8_sdwa v[66:67], v50 src0_sel:WORD_1
	v_cvt_pk_f32_fp8_e32 v[70:71], v51
	v_cvt_pk_f32_fp8_sdwa v[50:51], v51 src0_sel:WORD_1
	v_cvt_pkrtz_f16_f32 v64, v64, v65
	v_cvt_pkrtz_f16_f32 v65, v66, v67
	;; [unrolled: 1-line block ×3, first 2 shown]
	v_cvt_pk_f32_fp8_e32 v[72:73], v52
	v_cvt_pk_f32_fp8_sdwa v[74:75], v52 src0_sel:WORD_1
	v_cvt_pkrtz_f16_f32 v71, v50, v51
	s_waitcnt lgkmcnt(3)
	v_mfma_f32_16x16x16_f16 v[64:67], v[64:65], v[30:31], 0
	v_cvt_pkrtz_f16_f32 v72, v72, v73
	v_cvt_pkrtz_f16_f32 v73, v74, v75
	v_cvt_pk_f32_fp8_e32 v[74:75], v53
	v_cvt_pk_f32_fp8_sdwa v[76:77], v53 src0_sel:WORD_1
	v_mfma_f32_16x16x16_f16 v[50:53], v[70:71], v[32:33], v[64:67]
	v_ashrrev_i32_e32 v34, 5, v34
	v_mov_b32_e32 v68, s19
	v_add_u32_e32 v41, s4, v40
	v_cndmask_b32_e32 v34, v68, v34, vcc
	v_ashrrev_i32_e32 v41, 5, v41
	v_cmp_gt_i32_e32 vcc, s7, v40
	v_add_u32_e32 v61, s4, v60
	v_cvt_pkrtz_f16_f32 v64, v74, v75
	v_cvt_pkrtz_f16_f32 v65, v76, v77
	v_cndmask_b32_e32 v40, v68, v41, vcc
	v_ashrrev_i32_e32 v61, 5, v61
	v_cmp_gt_i32_e32 vcc, s7, v60
	s_waitcnt lgkmcnt(2)
	v_mfma_f32_16x16x16_f16 v[50:53], v[72:73], v[22:23], v[50:53]
	s_waitcnt vmcnt(6)
	v_cvt_pk_f32_fp8_e32 v[66:67], v46
	v_cndmask_b32_e32 v60, v68, v61, vcc
	v_cmp_gt_i32_e32 vcc, s7, v58
	v_ashrrev_i32_e32 v35, 31, v34
	v_lshl_add_u64 v[34:35], v[34:35], 2, s[8:9]
	v_cndmask_b32_e32 v68, v68, v69, vcc
	v_ashrrev_i32_e32 v41, 31, v40
	v_ashrrev_i32_e32 v61, 31, v60
	;; [unrolled: 1-line block ×3, first 2 shown]
	v_lshl_add_u64 v[40:41], v[40:41], 2, s[8:9]
	v_lshl_add_u64 v[60:61], v[60:61], 2, s[8:9]
	;; [unrolled: 1-line block ×3, first 2 shown]
	v_mfma_f32_16x16x16_f16 v[50:53], v[64:65], v[24:25], v[50:53]
	v_cvt_pkrtz_f16_f32 v74, v66, v67
	global_load_dword v68, v[34:35], off
	global_load_dword v66, v[40:41], off
	global_load_dword v67, v[60:61], off
	global_load_dword v65, v[72:73], off
	v_cvt_pk_f32_fp8_sdwa v[70:71], v46 src0_sel:WORD_1
	v_cvt_pk_f32_fp8_e32 v[40:41], v48
	s_waitcnt vmcnt(9)
	v_cvt_pk_f32_fp8_e32 v[60:61], v36
	s_add_u32 s4, s10, s12
	v_cvt_pkrtz_f16_f32 v75, v70, v71
	v_cvt_pk_f32_fp8_e32 v[70:71], v47
	v_cvt_pk_f32_fp8_sdwa v[46:47], v47 src0_sel:WORD_1
	s_waitcnt lgkmcnt(1)
	v_mfma_f32_16x16x16_f16 v[50:53], v[74:75], v[18:19], v[50:53]
	v_cvt_pkrtz_f16_f32 v34, v70, v71
	v_cvt_pkrtz_f16_f32 v35, v46, v47
	v_cvt_pk_f32_fp8_sdwa v[46:47], v48 src0_sel:WORD_1
	v_cvt_pkrtz_f16_f32 v40, v40, v41
	v_mfma_f32_16x16x16_f16 v[50:53], v[34:35], v[20:21], v[50:53]
	v_cvt_pkrtz_f16_f32 v41, v46, v47
	v_cvt_pk_f32_fp8_e32 v[34:35], v49
	v_cvt_pk_f32_fp8_sdwa v[46:47], v49 src0_sel:WORD_1
	v_cvt_pk_f32_fp8_sdwa v[70:71], v36 src0_sel:WORD_1
	s_addc_u32 s5, s11, 0
	v_cvt_pkrtz_f16_f32 v34, v34, v35
	v_cvt_pkrtz_f16_f32 v35, v46, v47
	s_waitcnt lgkmcnt(0)
	v_mfma_f32_16x16x16_f16 v[46:49], v[40:41], v[14:15], v[50:53]
	v_cvt_pkrtz_f16_f32 v40, v60, v61
	v_cvt_pkrtz_f16_f32 v41, v70, v71
	s_waitcnt vmcnt(8)
	v_cvt_pk_f32_fp8_sdwa v[60:61], v6 src0_sel:WORD_1
	v_cvt_pk_f32_fp8_e32 v[50:51], v37
	v_cvt_pk_f32_fp8_sdwa v[52:53], v37 src0_sel:WORD_1
	v_mfma_f32_16x16x16_f16 v[34:37], v[34:35], v[16:17], v[46:49]
	v_and_b32_e32 v58, 16, v0
	v_cvt_pkrtz_f16_f32 v50, v50, v51
	v_cvt_pkrtz_f16_f32 v51, v52, v53
	v_mfma_f32_16x16x16_f16 v[46:49], v[40:41], v[30:31], 0
	v_cvt_pk_f32_fp8_e32 v[40:41], v38
	v_cvt_pk_f32_fp8_sdwa v[52:53], v38 src0_sel:WORD_1
	v_lshl_or_b32 v64, v57, 4, v56
	v_mfma_f32_16x16x16_f16 v[46:49], v[50:51], v[32:33], v[46:49]
	v_cvt_pk_f32_fp8_e32 v[50:51], v39
	v_cvt_pkrtz_f16_f32 v40, v40, v41
	v_cvt_pkrtz_f16_f32 v41, v52, v53
	v_cvt_pk_f32_fp8_sdwa v[38:39], v39 src0_sel:WORD_1
	v_cvt_pkrtz_f16_f32 v50, v50, v51
	v_cvt_pk_f32_fp8_e32 v[52:53], v6
	s_waitcnt vmcnt(6)
	v_cvt_pk_f32_fp8_e32 v[74:75], v43
	v_cvt_pkrtz_f16_f32 v51, v38, v39
	v_mfma_f32_16x16x16_f16 v[38:41], v[40:41], v[22:23], v[46:49]
	s_nop 2
	v_cvt_pkrtz_f16_f32 v48, v52, v53
	v_cvt_pkrtz_f16_f32 v49, v60, v61
	v_cvt_pk_f32_fp8_e32 v[52:53], v7
	v_cvt_pk_f32_fp8_sdwa v[6:7], v7 src0_sel:WORD_1
	v_mfma_f32_16x16x16_f16 v[38:41], v[50:51], v[24:25], v[38:41]
	v_lshl_add_u64 v[46:47], s[4:5], 0, v[58:59]
	v_cvt_pkrtz_f16_f32 v50, v52, v53
	v_cvt_pkrtz_f16_f32 v51, v6, v7
	v_mfma_f32_16x16x16_f16 v[38:41], v[48:49], v[18:19], v[38:41]
	v_cvt_pk_f32_fp8_e32 v[6:7], v8
	v_cvt_pk_f32_fp8_sdwa v[48:49], v8 src0_sel:WORD_1
	v_cvt_pk_f32_fp8_sdwa v[52:53], v2 src0_sel:WORD_1
	v_mfma_f32_16x16x16_f16 v[38:41], v[50:51], v[20:21], v[38:41]
	v_cvt_pk_f32_fp8_e32 v[50:51], v9
	v_cvt_pkrtz_f16_f32 v6, v6, v7
	v_cvt_pkrtz_f16_f32 v7, v48, v49
	v_cvt_pk_f32_fp8_sdwa v[8:9], v9 src0_sel:WORD_1
	v_cvt_pkrtz_f16_f32 v48, v50, v51
	v_cvt_pk_f32_fp8_e32 v[50:51], v2
	v_lshlrev_b32_e32 v58, 5, v64
	v_cvt_pkrtz_f16_f32 v49, v8, v9
	v_mfma_f32_16x16x16_f16 v[6:9], v[6:7], v[14:15], v[38:41]
	v_cvt_pkrtz_f16_f32 v50, v50, v51
	v_cvt_pkrtz_f16_f32 v51, v52, v53
	v_cvt_pk_f32_fp8_e32 v[52:53], v3
	v_cvt_pk_f32_fp8_sdwa v[2:3], v3 src0_sel:WORD_1
	v_mfma_f32_16x16x16_f16 v[38:41], v[48:49], v[16:17], v[6:9]
	v_lshl_add_u64 v[48:49], v[46:47], 0, v[58:59]
	v_cvt_pkrtz_f16_f32 v52, v52, v53
	v_cvt_pkrtz_f16_f32 v53, v2, v3
	v_mfma_f32_16x16x16_f16 v[6:9], v[50:51], v[30:31], 0
	v_cvt_pk_f32_fp8_e32 v[2:3], v4
	v_cvt_pk_f32_fp8_sdwa v[50:51], v4 src0_sel:WORD_1
	s_waitcnt vmcnt(3)
	v_mad_i64_i32 v[60:61], s[4:5], v68, s45, v[48:49]
	v_cvt_pkrtz_f16_f32 v2, v2, v3
	v_cvt_pkrtz_f16_f32 v3, v50, v51
	v_mfma_f32_16x16x16_f16 v[6:9], v[52:53], v[32:33], v[6:9]
	v_cvt_pk_f32_fp8_e32 v[50:51], v5
	v_cvt_pk_f32_fp8_sdwa v[4:5], v5 src0_sel:WORD_1
	s_waitcnt vmcnt(2)
	v_mad_i64_i32 v[70:71], s[4:5], v66, s45, v[48:49]
	v_cvt_pkrtz_f16_f32 v50, v50, v51
	v_cvt_pkrtz_f16_f32 v51, v4, v5
	v_mfma_f32_16x16x16_f16 v[2:5], v[2:3], v[22:23], v[6:9]
	v_or_b32_e32 v58, 0x800, v58
	s_nop 1
	v_cvt_pk_f32_fp8_e32 v[6:7], v42
	v_cvt_pk_f32_fp8_sdwa v[8:9], v42 src0_sel:WORD_1
	v_cvt_pk_f32_fp8_sdwa v[42:43], v43 src0_sel:WORD_1
	v_mfma_f32_16x16x16_f16 v[50:53], v[50:51], v[24:25], v[2:5]
	v_cvt_pkrtz_f16_f32 v72, v6, v7
	v_cvt_pkrtz_f16_f32 v73, v8, v9
	global_load_dwordx4 v[6:9], v[60:61], off
	global_load_dwordx4 v[2:5], v[70:71], off
	v_cvt_pkrtz_f16_f32 v60, v74, v75
	v_cvt_pkrtz_f16_f32 v61, v42, v43
	v_mfma_f32_16x16x16_f16 v[70:73], v[72:73], v[18:19], v[50:53]
	v_cvt_pk_f32_fp8_e32 v[42:43], v44
	v_cvt_pkrtz_f16_f32 v42, v42, v43
	s_nop 0
	v_cvt_pk_f32_fp8_sdwa v[52:53], v44 src0_sel:WORD_1
	v_mfma_f32_16x16x16_f16 v[70:73], v[60:61], v[20:21], v[70:73]
	v_cvt_pk_f32_fp8_e32 v[60:61], v45
	s_waitcnt vmcnt(3)
	v_mad_i64_i32 v[50:51], s[4:5], v67, s45, v[48:49]
	s_load_dword s4, s[0:1], 0x1c
	s_load_dwordx4 s[40:43], s[0:1], 0x80
	v_cvt_pkrtz_f16_f32 v43, v52, v53
	v_cvt_pkrtz_f16_f32 v74, v60, v61
	v_cvt_pk_f32_fp8_e32 v[52:53], v26
	v_cvt_pk_f32_fp8_sdwa v[60:61], v26 src0_sel:WORD_1
	s_load_dword s33, s[0:1], 0x98
	s_waitcnt lgkmcnt(0)
	s_load_dword s5, s[40:41], 0x0
	v_cvt_pk_f32_fp8_sdwa v[44:45], v45 src0_sel:WORD_1
	v_cvt_pkrtz_f16_f32 v52, v52, v53
	v_cvt_pkrtz_f16_f32 v53, v60, v61
	v_cvt_pk_f32_fp8_e32 v[60:61], v27
	v_cvt_pk_f32_fp8_sdwa v[26:27], v27 src0_sel:WORD_1
	v_cvt_pkrtz_f16_f32 v75, v44, v45
	v_mfma_f32_16x16x16_f16 v[42:45], v[42:43], v[14:15], v[70:73]
	v_cvt_pkrtz_f16_f32 v60, v60, v61
	v_cvt_pkrtz_f16_f32 v61, v26, v27
	v_mov_b32_e32 v26, s4
	v_mfma_f32_16x16x16_f16 v[70:73], v[52:53], v[30:31], 0
	s_waitcnt lgkmcnt(0)
	v_mul_f32_e32 v52, s5, v26
	v_cvt_pk_f32_fp8_e32 v[26:27], v28
	v_cvt_pk_f32_fp8_sdwa v[30:31], v28 src0_sel:WORD_1
	v_mfma_f32_16x16x16_f16 v[70:73], v[60:61], v[32:33], v[70:73]
	v_cvt_pk_f32_fp8_e32 v[32:33], v29
	v_cvt_pk_f32_fp8_sdwa v[28:29], v29 src0_sel:WORD_1
	v_cvt_pkrtz_f16_f32 v26, v26, v27
	v_cvt_pkrtz_f16_f32 v27, v30, v31
	v_mfma_f32_16x16x16_f16 v[42:45], v[74:75], v[16:17], v[42:45]
	v_cvt_pkrtz_f16_f32 v32, v32, v33
	v_cvt_pkrtz_f16_f32 v33, v28, v29
	v_cvt_pk_f32_fp8_e32 v[60:61], v10
	v_cvt_pk_f32_fp8_sdwa v[74:75], v10 src0_sel:WORD_1
	v_mfma_f32_16x16x16_f16 v[26:29], v[26:27], v[22:23], v[70:73]
	v_pk_mul_f32 v[30:31], v[52:53], v[36:37] op_sel_hi:[0,1]
	v_cvt_pkrtz_f16_f32 v36, v60, v61
	v_cvt_pkrtz_f16_f32 v37, v74, v75
	v_cvt_pk_f32_fp8_e32 v[60:61], v11
	v_cvt_pk_f32_fp8_sdwa v[70:71], v11 src0_sel:WORD_1
	v_mfma_f32_16x16x16_f16 v[22:25], v[32:33], v[24:25], v[26:29]
	v_pk_mul_f32 v[10:11], v[52:53], v[34:35] op_sel_hi:[0,1]
	v_cvt_pkrtz_f16_f32 v60, v60, v61
	v_cvt_pkrtz_f16_f32 v61, v70, v71
	v_mfma_f32_16x16x16_f16 v[32:35], v[36:37], v[18:19], v[22:25]
	v_cvt_pk_f32_fp8_e32 v[18:19], v12
	v_cvt_pk_f32_fp8_sdwa v[36:37], v12 src0_sel:WORD_1
	s_waitcnt vmcnt(2)
	v_mad_i64_i32 v[48:49], s[8:9], v65, s45, v[48:49]
	global_load_dwordx4 v[26:29], v[50:51], off
	global_load_dwordx4 v[22:25], v[48:49], off
	v_cvt_pkrtz_f16_f32 v48, v18, v19
	v_cvt_pkrtz_f16_f32 v49, v36, v37
	v_cvt_pk_f32_fp8_e32 v[36:37], v13
	v_cvt_pk_f32_fp8_sdwa v[12:13], v13 src0_sel:WORD_1
	v_mfma_f32_16x16x16_f16 v[18:21], v[60:61], v[20:21], v[32:35]
	v_pk_mul_f32 v[40:41], v[52:53], v[40:41] op_sel_hi:[0,1]
	v_pk_mul_f32 v[42:43], v[52:53], v[42:43] op_sel_hi:[0,1]
	s_mov_b32 s40, 0xff7fffff
	v_cvt_pkrtz_f16_f32 v32, v36, v37
	v_cvt_pkrtz_f16_f32 v33, v12, v13
	v_mfma_f32_16x16x16_f16 v[12:15], v[48:49], v[14:15], v[18:21]
	v_pk_mul_f32 v[48:49], v[52:53], v[38:39] op_sel_hi:[0,1]
	v_pk_mul_f32 v[38:39], v[52:53], v[44:45] op_sel_hi:[0,1]
	v_mfma_f32_16x16x16_f16 v[12:15], v[32:33], v[16:17], v[12:15]
	s_nop 6
	v_pk_mul_f32 v[36:37], v[52:53], v[12:13] op_sel_hi:[0,1]
	v_and_b32_e32 v12, 0xc0, v0
	v_add_u32_e32 v12, s18, v12
	v_lshl_or_b32 v12, v62, 2, v12
	v_or_b32_e32 v13, 1, v12
	v_pk_mul_f32 v[34:35], v[52:53], v[14:15] op_sel_hi:[0,1]
	v_subrev_u32_e32 v14, s7, v13
	v_add_u32_e32 v16, 1, v14
	v_add_u32_e32 v17, 2, v14
	v_cvt_f32_i32_e32 v15, v14
	v_cvt_f32_i32_e32 v16, v16
	;; [unrolled: 1-line block ×3, first 2 shown]
	v_add_u32_e32 v18, 3, v14
	v_fma_f32 v10, v63, v15, v10
	v_fmac_f32_e32 v11, v63, v16
	v_fma_f32 v51, v63, v17, v30
	v_add_u32_e32 v15, 16, v14
	v_add_u32_e32 v16, 17, v14
	;; [unrolled: 1-line block ×3, first 2 shown]
	v_cvt_f32_i32_e32 v18, v18
	v_cvt_f32_i32_e32 v15, v15
	;; [unrolled: 1-line block ×4, first 2 shown]
	v_fmac_f32_e32 v31, v63, v18
	v_add_u32_e32 v18, 19, v14
	v_fma_f32 v48, v63, v15, v48
	v_fmac_f32_e32 v49, v63, v16
	v_fma_f32 v40, v63, v17, v40
	v_add_u32_e32 v15, 32, v14
	v_add_u32_e32 v16, 33, v14
	;; [unrolled: 1-line block ×3, first 2 shown]
	v_cvt_f32_i32_e32 v18, v18
	v_cvt_f32_i32_e32 v15, v15
	;; [unrolled: 1-line block ×4, first 2 shown]
	v_fmac_f32_e32 v41, v63, v18
	v_add_u32_e32 v18, 35, v14
	v_fma_f32 v42, v63, v15, v42
	v_fmac_f32_e32 v43, v63, v16
	v_fma_f32 v38, v63, v17, v38
	v_add_u32_e32 v15, 48, v14
	v_add_u32_e32 v16, 49, v14
	;; [unrolled: 1-line block ×4, first 2 shown]
	v_cvt_f32_i32_e32 v14, v14
	v_cvt_f32_i32_e32 v15, v15
	;; [unrolled: 1-line block ×3, first 2 shown]
	v_cmp_gt_i32_e64 s[8:9], s7, v12
	v_fmac_f32_e32 v35, v63, v14
	v_mov_b32_e32 v14, 0xff7fffff
	v_cmp_gt_i32_e64 s[10:11], s7, v13
	v_fma_f32 v36, v63, v15, v36
	v_cndmask_b32_e64 v15, v14, v10, s[8:9]
	v_cndmask_b32_e64 v13, v14, v11, s[10:11]
	v_fmac_f32_e32 v37, v63, v16
	v_max3_f32 v13, v15, s40, v13
	v_or_b32_e32 v15, 2, v12
	v_or_b32_e32 v16, 3, v12
	v_cmp_gt_i32_e64 s[12:13], s7, v15
	v_cmp_gt_i32_e64 s[14:15], s7, v16
	v_cvt_f32_i32_e32 v18, v18
	v_cndmask_b32_e64 v15, v14, v51, s[12:13]
	v_cndmask_b32_e64 v16, v14, v31, s[14:15]
	v_max3_f32 v13, v13, v15, v16
	v_or_b32_e32 v15, 16, v12
	v_or_b32_e32 v16, 17, v12
	v_cmp_gt_i32_e64 s[16:17], s7, v15
	v_cmp_gt_i32_e64 s[18:19], s7, v16
	v_fmac_f32_e32 v39, v63, v18
	v_cndmask_b32_e64 v15, v14, v48, s[16:17]
	v_cndmask_b32_e64 v16, v14, v49, s[18:19]
	v_max3_f32 v13, v13, v15, v16
	v_or_b32_e32 v15, 18, v12
	v_or_b32_e32 v16, 19, v12
	v_cmp_gt_i32_e64 s[20:21], s7, v15
	v_cmp_gt_i32_e64 s[22:23], s7, v16
	v_cvt_f32_i32_e32 v17, v17
	v_cndmask_b32_e64 v15, v14, v40, s[20:21]
	v_cndmask_b32_e64 v16, v14, v41, s[22:23]
	v_max3_f32 v13, v13, v15, v16
	v_or_b32_e32 v15, 32, v12
	v_or_b32_e32 v16, 33, v12
	v_cmp_gt_i32_e64 s[24:25], s7, v15
	v_cmp_gt_i32_e64 s[26:27], s7, v16
	v_fma_f32 v34, v63, v17, v34
	v_cndmask_b32_e64 v15, v14, v42, s[24:25]
	v_cndmask_b32_e64 v16, v14, v43, s[26:27]
	v_max3_f32 v13, v13, v15, v16
	v_or_b32_e32 v15, 34, v12
	v_or_b32_e32 v16, 35, v12
	v_cmp_gt_i32_e64 s[28:29], s7, v15
	v_cmp_gt_i32_e64 s[30:31], s7, v16
	s_nop 0
	v_cndmask_b32_e64 v15, v14, v38, s[28:29]
	v_cndmask_b32_e64 v16, v14, v39, s[30:31]
	v_max3_f32 v13, v13, v15, v16
	v_or_b32_e32 v15, 48, v12
	v_or_b32_e32 v16, 49, v12
	v_cmp_gt_i32_e64 s[34:35], s7, v15
	v_cmp_gt_i32_e64 s[36:37], s7, v16
	s_nop 0
	v_cndmask_b32_e64 v15, v14, v36, s[34:35]
	v_cndmask_b32_e64 v16, v14, v37, s[36:37]
	v_max3_f32 v13, v13, v15, v16
	v_or_b32_e32 v15, 50, v12
	v_or_b32_e32 v12, 51, v12
	v_cmp_gt_i32_e32 vcc, s7, v15
	v_cmp_gt_i32_e64 s[4:5], s7, v12
	s_nop 0
	v_cndmask_b32_e32 v15, v14, v34, vcc
	v_cndmask_b32_e64 v12, v14, v35, s[4:5]
	v_max3_f32 v16, v13, v15, v12
	v_mbcnt_lo_u32_b32 v12, -1, 0
	v_mbcnt_hi_u32_b32 v17, -1, v12
	v_and_b32_e32 v12, 64, v17
	v_add_u32_e32 v18, 64, v12
	v_xor_b32_e32 v12, 32, v17
	v_cmp_lt_i32_e64 s[38:39], v12, v18
	s_nop 1
	v_cndmask_b32_e64 v12, v17, v12, s[38:39]
	v_lshlrev_b32_e32 v52, 2, v12
	ds_bpermute_b32 v19, v52, v16
	v_lshl_add_u64 v[12:13], v[46:47], 0, v[58:59]
	v_mad_i64_i32 v[14:15], s[38:39], v68, s45, v[12:13]
	s_waitcnt lgkmcnt(0)
	v_max_f32_e32 v19, v19, v19
	v_max_f32_e32 v19, v16, v19
	v_xor_b32_e32 v16, 16, v17
	v_cmp_lt_i32_e64 s[38:39], v16, v18
	s_nop 1
	v_cndmask_b32_e64 v16, v17, v16, s[38:39]
	v_lshlrev_b32_e32 v53, 2, v16
	ds_bpermute_b32 v18, v53, v19
	v_mad_i64_i32 v[16:17], s[38:39], v66, s45, v[12:13]
	v_mad_i64_i32 v[44:45], s[38:39], v67, s45, v[12:13]
	s_waitcnt lgkmcnt(0)
	v_max_f32_e32 v18, v18, v18
	v_max_f32_e32 v50, v19, v18
	v_sub_f32_e32 v10, v10, v50
	v_mul_f32_e32 v10, 0x3fb8aa3b, v10
	v_exp_f32_e32 v18, v10
	v_sub_f32_e32 v10, v11, v50
	v_mul_f32_e32 v10, 0x3fb8aa3b, v10
	v_exp_f32_e32 v19, v10
	v_mad_i64_i32 v[10:11], s[38:39], v65, s45, v[12:13]
	v_sub_f32_e32 v12, v51, v50
	v_mul_f32_e32 v12, 0x3fb8aa3b, v12
	v_cndmask_b32_e64 v46, 0, v18, s[8:9]
	v_cndmask_b32_e64 v47, 0, v19, s[10:11]
	v_sub_f32_e32 v58, v31, v50
	global_load_dwordx4 v[30:33], v[14:15], off
	global_load_dwordx4 v[18:21], v[16:17], off
	v_exp_f32_e32 v51, v12
	global_load_dwordx4 v[14:17], v[44:45], off
	s_nop 0
	global_load_dwordx4 v[10:13], v[10:11], off
	v_sub_f32_e32 v45, v48, v50
	v_sub_f32_e32 v48, v49, v50
	v_sub_f32_e32 v40, v40, v50
	v_sub_f32_e32 v42, v42, v50
	v_mul_f32_e32 v44, 0x3fb8aa3b, v58
	v_mul_f32_e32 v45, 0x3fb8aa3b, v45
	;; [unrolled: 1-line block ×5, first 2 shown]
	v_exp_f32_e32 v44, v44
	v_exp_f32_e32 v45, v45
	;; [unrolled: 1-line block ×3, first 2 shown]
	v_cndmask_b32_e64 v48, 0, v51, s[12:13]
	v_exp_f32_e32 v40, v40
	v_exp_f32_e32 v51, v42
	v_sub_f32_e32 v42, v43, v50
	v_mul_f32_e32 v42, 0x3fb8aa3b, v42
	v_cndmask_b32_e64 v49, 0, v44, s[14:15]
	v_cndmask_b32_e64 v44, 0, v45, s[16:17]
	;; [unrolled: 1-line block ×3, first 2 shown]
	v_sub_f32_e32 v41, v41, v50
	v_exp_f32_e32 v58, v42
	v_cndmask_b32_e64 v42, 0, v40, s[20:21]
	v_cndmask_b32_e64 v40, 0, v51, s[24:25]
	v_add_f32_e32 v51, 0, v46
	v_mul_f32_e32 v41, 0x3fb8aa3b, v41
	v_add_f32_e32 v51, v51, v47
	v_exp_f32_e32 v41, v41
	v_add_f32_e32 v51, v51, v48
	v_sub_f32_e32 v38, v38, v50
	v_add_f32_e32 v51, v51, v49
	v_sub_f32_e32 v39, v39, v50
	v_mul_f32_e32 v38, 0x3fb8aa3b, v38
	v_add_f32_e32 v51, v51, v44
	v_exp_f32_e32 v38, v38
	v_mul_f32_e32 v39, 0x3fb8aa3b, v39
	v_sub_f32_e32 v36, v36, v50
	v_add_f32_e32 v51, v51, v45
	v_cndmask_b32_e64 v43, 0, v41, s[22:23]
	v_exp_f32_e32 v39, v39
	v_mul_f32_e32 v36, 0x3fb8aa3b, v36
	v_sub_f32_e32 v37, v37, v50
	v_add_f32_e32 v51, v51, v42
	v_exp_f32_e32 v36, v36
	v_mul_f32_e32 v37, 0x3fb8aa3b, v37
	v_add_f32_e32 v51, v51, v43
	v_sub_f32_e32 v34, v34, v50
	v_cndmask_b32_e64 v41, 0, v58, s[26:27]
	v_exp_f32_e32 v37, v37
	v_add_f32_e32 v51, v51, v40
	v_mul_f32_e32 v34, 0x3fb8aa3b, v34
	v_sub_f32_e32 v35, v35, v50
	v_cndmask_b32_e64 v38, 0, v38, s[28:29]
	v_add_f32_e32 v51, v51, v41
	v_exp_f32_e32 v34, v34
	v_mul_f32_e32 v35, 0x3fb8aa3b, v35
	v_cndmask_b32_e64 v39, 0, v39, s[30:31]
	v_add_f32_e32 v51, v51, v38
	v_exp_f32_e32 v35, v35
	v_cndmask_b32_e64 v36, 0, v36, s[34:35]
	v_add_f32_e32 v51, v51, v39
	v_cndmask_b32_e64 v37, 0, v37, s[36:37]
	v_add_f32_e32 v51, v51, v36
	v_add_f32_e32 v51, v51, v37
	v_cndmask_b32_e32 v34, 0, v34, vcc
	v_add_f32_e32 v51, v51, v34
	v_cndmask_b32_e64 v35, 0, v35, s[4:5]
	v_add_f32_e32 v51, v51, v35
	ds_bpermute_b32 v52, v52, v51
	v_cmp_gt_u32_e32 vcc, 16, v55
	s_waitcnt lgkmcnt(0)
	s_barrier
	v_add_f32_e32 v51, v51, v52
	ds_bpermute_b32 v52, v53, v51
	s_and_saveexec_b64 s[4:5], vcc
	s_cbranch_execz .LBB1018_15
; %bb.14:
	s_waitcnt lgkmcnt(0)
	v_add_f32_e32 v51, v51, v52
	v_lshlrev_b32_e32 v52, 2, v64
	ds_write2st64_b32 v52, v50, v51 offset1:1
.LBB1018_15:
	s_or_b64 exec, exec, s[4:5]
	v_lshlrev_b32_e32 v51, 2, v56
	s_load_dword s7, s[0:1], 0x94
	s_waitcnt lgkmcnt(0)
	s_barrier
	ds_read2_b32 v[52:53], v51 offset1:16
	ds_read2_b32 v[58:59], v51 offset0:32 offset1:48
	ds_read2_b32 v[60:61], v51 offset0:64 offset1:80
	s_mul_i32 s8, s33, 11
	s_waitcnt lgkmcnt(2)
	v_max3_f32 v50, v52, s40, v53
	s_waitcnt lgkmcnt(1)
	v_max3_f32 v50, v50, v58, v59
	v_sub_f32_e32 v52, v52, v50
	v_mul_f32_e32 v52, 0x3fb8aa3b, v52
	v_exp_f32_e32 v55, v52
	v_sub_f32_e32 v52, v53, v50
	v_mul_f32_e32 v52, 0x3fb8aa3b, v52
	v_exp_f32_e32 v63, v52
	;; [unrolled: 3-line block ×3, first 2 shown]
	ds_read2_b32 v[52:53], v51 offset0:96 offset1:112
	v_sub_f32_e32 v51, v59, v50
	v_mul_f32_e32 v51, 0x3fb8aa3b, v51
	v_exp_f32_e32 v59, v51
	s_waitcnt lgkmcnt(1)
	v_fma_f32 v51, v55, v60, 0
	v_fmac_f32_e32 v51, v63, v61
	s_waitcnt lgkmcnt(0)
	v_fmac_f32_e32 v51, v58, v52
	v_fmac_f32_e32 v51, v59, v53
	v_add_f32_e32 v52, 0x358637bd, v51
	v_div_scale_f32 v53, s[4:5], v52, v52, 1.0
	v_rcp_f32_e32 v60, v53
	s_barrier
	v_fma_f32 v61, -v53, v60, 1.0
	v_fmac_f32_e32 v60, v61, v60
	v_div_scale_f32 v61, vcc, 1.0, v52, 1.0
	v_mul_f32_e32 v64, v61, v60
	v_fma_f32 v65, -v53, v64, v61
	v_fmac_f32_e32 v64, v65, v60
	v_fma_f32 v53, -v53, v64, v61
	v_div_fmas_f32 v53, v53, v60, v64
	v_cmp_eq_u32_e32 vcc, 1, v57
	v_div_fixup_f32 v52, v53, v52, 1.0
	s_nop 0
	v_cndmask_b32_e32 v53, v55, v63, vcc
	v_cmp_eq_u32_e32 vcc, 2, v57
	s_nop 1
	v_cndmask_b32_e32 v53, v53, v58, vcc
	v_cmp_eq_u32_e32 vcc, 3, v57
	s_nop 1
	v_cndmask_b32_e32 v53, v53, v59, vcc
	v_mul_f32_e32 v52, v53, v52
	v_pk_mul_f32 v[48:49], v[52:53], v[48:49] op_sel_hi:[0,1]
	v_pk_mul_f32 v[46:47], v[52:53], v[46:47] op_sel_hi:[0,1]
	v_cvt_f16_f32_e32 v53, v48
	v_cvt_f16_f32_e32 v49, v49
	;; [unrolled: 1-line block ×4, first 2 shown]
	v_pk_mul_f32 v[42:43], v[52:53], v[42:43] op_sel_hi:[0,1]
	v_pk_mul_f32 v[44:45], v[52:53], v[44:45] op_sel_hi:[0,1]
	v_pack_b32_f16 v49, v53, v49
	v_cvt_f16_f32_e32 v44, v44
	v_cvt_f16_f32_e32 v45, v45
	;; [unrolled: 1-line block ×4, first 2 shown]
	v_pack_b32_f16 v48, v46, v47
	v_lshlrev_b32_e32 v47, 3, v62
	v_lshlrev_b32_e32 v46, 5, v56
	;; [unrolled: 1-line block ×3, first 2 shown]
	v_or3_b32 v55, v42, v46, v47
	v_pack_b32_f16 v42, v44, v45
	v_pack_b32_f16 v43, v53, v43
	v_pk_mul_f32 v[38:39], v[52:53], v[38:39] op_sel_hi:[0,1]
	v_pk_mul_f32 v[40:41], v[52:53], v[40:41] op_sel_hi:[0,1]
	;; [unrolled: 1-line block ×4, first 2 shown]
	ds_write2st64_b64 v55, v[48:49], v[42:43] offset1:1
	v_cvt_f16_f32_e32 v40, v40
	v_cvt_f16_f32_e32 v41, v41
	v_cvt_f16_f32_e32 v38, v38
	v_cvt_f16_f32_e32 v39, v39
	v_cvt_f16_f32_e32 v36, v36
	v_cvt_f16_f32_e32 v37, v37
	v_cvt_f16_f32_e32 v42, v34
	v_cvt_f16_f32_e32 v43, v35
	v_pack_b32_f16 v34, v40, v41
	v_pack_b32_f16 v35, v38, v39
	v_pack_b32_f16 v36, v36, v37
	v_pack_b32_f16 v37, v42, v43
	v_cmp_gt_u32_e32 vcc, 11, v0
	ds_write2st64_b64 v55, v[34:35], v[36:37] offset0:2 offset1:3
	s_and_saveexec_b64 s[4:5], vcc
	s_cbranch_execz .LBB1018_17
; %bb.16:
	s_mov_b32 s49, 0
	v_mov_b32_e32 v57, 0
	v_lshl_add_u64 v[34:35], s[48:49], 0, v[56:57]
	v_mov_b32_e32 v36, s8
	v_mad_u64_u32 v[34:35], s[10:11], s2, v36, v[34:35]
	s_mul_i32 s3, s3, s8
	v_mov_b32_e32 v36, s6
	v_mov_b32_e32 v37, v57
	s_load_dwordx4 s[12:15], s[0:1], 0x58
	v_add_u32_e32 v38, s3, v35
	v_mad_u64_u32 v[34:35], s[10:11], v34, s7, v[36:37]
	v_mov_b32_e32 v36, v35
	v_mad_u64_u32 v[36:37], s[10:11], v38, s7, v[36:37]
	v_mov_b32_e32 v35, v36
	v_lshlrev_b64 v[34:35], 2, v[34:35]
	s_waitcnt lgkmcnt(0)
	v_lshl_add_u64 v[36:37], s[14:15], 0, v[34:35]
	v_lshl_add_u64 v[34:35], s[12:13], 0, v[34:35]
	global_store_dword v[36:37], v50, off
	global_store_dword v[34:35], v51, off
.LBB1018_17:
	s_or_b64 exec, exec, s[4:5]
	s_waitcnt vmcnt(7)
	v_cvt_pk_f32_fp8_e32 v[34:35], v6
	v_cvt_pk_f32_fp8_sdwa v[36:37], v6 src0_sel:WORD_1
	v_lshl_or_b32 v50, v62, 9, v46
	s_waitcnt lgkmcnt(0)
	s_barrier
	v_cvt_pk_f32_fp8_e32 v[38:39], v7
	v_cvt_pkrtz_f16_f32 v6, v34, v35
	v_cvt_pk_f32_fp8_sdwa v[40:41], v7 src0_sel:WORD_1
	v_cvt_pkrtz_f16_f32 v7, v36, v37
	ds_read_b128 v[34:37], v50
	v_cvt_pkrtz_f16_f32 v46, v38, v39
	v_cvt_pkrtz_f16_f32 v47, v40, v41
	ds_read_b128 v[38:41], v50 offset:16
	v_cvt_pk_f32_fp8_e32 v[48:49], v8
	v_cvt_pk_f32_fp8_sdwa v[52:53], v8 src0_sel:WORD_1
	s_waitcnt lgkmcnt(1)
	v_mfma_f32_16x16x16_f16 v[42:45], v[6:7], v[34:35], 0
	s_waitcnt vmcnt(6)
	v_cvt_pk_f32_fp8_e32 v[58:59], v4
	v_cvt_pkrtz_f16_f32 v6, v48, v49
	v_cvt_pkrtz_f16_f32 v7, v52, v53
	v_cvt_pk_f32_fp8_e32 v[48:49], v9
	v_mfma_f32_16x16x16_f16 v[42:45], v[46:47], v[36:37], v[42:45]
	v_cvt_pk_f32_fp8_sdwa v[46:47], v9 src0_sel:WORD_1
	v_cvt_pk_f32_fp8_sdwa v[60:61], v4 src0_sel:WORD_1
	v_cvt_pkrtz_f16_f32 v48, v48, v49
	s_waitcnt lgkmcnt(0)
	v_mfma_f32_16x16x16_f16 v[6:9], v[6:7], v[38:39], v[42:45]
	v_cvt_pkrtz_f16_f32 v49, v46, v47
	s_waitcnt vmcnt(5)
	v_cvt_pk_f32_fp8_e32 v[64:65], v28
	v_cvt_pk_f32_fp8_sdwa v[66:67], v28 src0_sel:WORD_1
	v_cvt_pk_f32_fp8_e32 v[42:43], v2
	v_mfma_f32_16x16x16_f16 v[46:49], v[48:49], v[40:41], v[6:9]
	s_waitcnt vmcnt(4)
	v_cvt_pk_f32_fp8_sdwa v[68:69], v24 src0_sel:WORD_1
	s_load_dword s4, s[42:43], 0x0
	v_cvt_pk_f32_fp8_sdwa v[6:7], v2 src0_sel:WORD_1
	v_cvt_pk_f32_fp8_e32 v[8:9], v3
	v_cvt_pkrtz_f16_f32 v2, v42, v43
	v_cvt_pk_f32_fp8_sdwa v[42:43], v3 src0_sel:WORD_1
	v_cvt_pkrtz_f16_f32 v3, v6, v7
	v_cvt_pkrtz_f16_f32 v52, v8, v9
	ds_read_b128 v[6:9], v50 offset:2048
	v_cvt_pkrtz_f16_f32 v53, v42, v43
	ds_read_b128 v[42:45], v50 offset:2064
	s_waitcnt lgkmcnt(0)
	v_mfma_f32_16x16x16_f16 v[46:49], v[2:3], v[6:7], v[46:49]
	v_cvt_pkrtz_f16_f32 v2, v58, v59
	v_cvt_pkrtz_f16_f32 v3, v60, v61
	v_cvt_pk_f32_fp8_e32 v[58:59], v5
	v_mfma_f32_16x16x16_f16 v[46:49], v[52:53], v[8:9], v[46:49]
	v_cvt_pk_f32_fp8_sdwa v[52:53], v5 src0_sel:WORD_1
	s_mov_b32 s3, 0
	v_cvt_pkrtz_f16_f32 v58, v58, v59
	v_mfma_f32_16x16x16_f16 v[2:5], v[2:3], v[42:43], v[46:49]
	v_cvt_pkrtz_f16_f32 v59, v52, v53
	v_cmp_gt_u32_e32 vcc, 64, v0
	s_nop 0
	v_cvt_pk_f32_fp8_e32 v[46:47], v26
	v_mfma_f32_16x16x16_f16 v[58:61], v[58:59], v[44:45], v[2:5]
	s_nop 2
	v_cvt_pk_f32_fp8_sdwa v[2:3], v26 src0_sel:WORD_1
	v_cvt_pk_f32_fp8_e32 v[4:5], v27
	v_cvt_pkrtz_f16_f32 v26, v46, v47
	v_cvt_pk_f32_fp8_sdwa v[46:47], v27 src0_sel:WORD_1
	v_cvt_pkrtz_f16_f32 v27, v2, v3
	v_cvt_pkrtz_f16_f32 v52, v4, v5
	ds_read_b128 v[2:5], v50 offset:4096
	v_cvt_pkrtz_f16_f32 v53, v46, v47
	ds_read_b128 v[46:49], v50 offset:4112
	s_waitcnt lgkmcnt(1)
	v_mfma_f32_16x16x16_f16 v[58:61], v[26:27], v[2:3], v[58:61]
	v_cvt_pkrtz_f16_f32 v26, v64, v65
	v_cvt_pkrtz_f16_f32 v27, v66, v67
	v_cvt_pk_f32_fp8_e32 v[64:65], v29
	v_mfma_f32_16x16x16_f16 v[58:61], v[52:53], v[4:5], v[58:61]
	v_cvt_pk_f32_fp8_sdwa v[52:53], v29 src0_sel:WORD_1
	v_cvt_pk_f32_fp8_e32 v[66:67], v24
	v_cvt_pkrtz_f16_f32 v64, v64, v65
	s_waitcnt lgkmcnt(0)
	v_mfma_f32_16x16x16_f16 v[26:29], v[26:27], v[46:47], v[58:61]
	v_cvt_pkrtz_f16_f32 v65, v52, v53
	v_cvt_pk_f32_fp8_e32 v[52:53], v22
	s_nop 0
	v_mfma_f32_16x16x16_f16 v[58:61], v[64:65], v[48:49], v[26:29]
	s_nop 2
	v_cvt_pk_f32_fp8_sdwa v[26:27], v22 src0_sel:WORD_1
	v_cvt_pk_f32_fp8_e32 v[28:29], v23
	v_cvt_pkrtz_f16_f32 v22, v52, v53
	v_cvt_pk_f32_fp8_sdwa v[52:53], v23 src0_sel:WORD_1
	v_cvt_pkrtz_f16_f32 v23, v26, v27
	v_cvt_pkrtz_f16_f32 v64, v28, v29
	ds_read_b128 v[26:29], v50 offset:6144
	v_cvt_pkrtz_f16_f32 v65, v52, v53
	s_waitcnt lgkmcnt(0)
	v_mfma_f32_16x16x16_f16 v[58:61], v[22:23], v[26:27], v[58:61]
	ds_read_b128 v[50:53], v50 offset:6160
	v_cvt_pkrtz_f16_f32 v22, v66, v67
	v_cvt_pkrtz_f16_f32 v23, v68, v69
	v_mfma_f32_16x16x16_f16 v[58:61], v[64:65], v[28:29], v[58:61]
	v_cvt_pk_f32_fp8_e32 v[66:67], v25
	v_cvt_pk_f32_fp8_sdwa v[64:65], v25 src0_sel:WORD_1
	s_waitcnt vmcnt(3)
	v_cvt_pk_f32_fp8_sdwa v[68:69], v32 src0_sel:WORD_1
	s_waitcnt lgkmcnt(0)
	v_mfma_f32_16x16x16_f16 v[22:25], v[22:23], v[50:51], v[58:61]
	v_cvt_pkrtz_f16_f32 v66, v66, v67
	v_cvt_pkrtz_f16_f32 v67, v64, v65
	v_cvt_pk_f32_fp8_e32 v[64:65], v31
	v_cvt_pk_f32_fp8_e32 v[58:59], v30
	v_cvt_pk_f32_fp8_sdwa v[60:61], v30 src0_sel:WORD_1
	v_cvt_pk_f32_fp8_sdwa v[30:31], v31 src0_sel:WORD_1
	v_mfma_f32_16x16x16_f16 v[22:25], v[66:67], v[52:53], v[22:25]
	v_cvt_pkrtz_f16_f32 v58, v58, v59
	v_cvt_pkrtz_f16_f32 v59, v60, v61
	;; [unrolled: 1-line block ×3, first 2 shown]
	v_cvt_pk_f32_fp8_e32 v[66:67], v32
	v_cvt_pkrtz_f16_f32 v65, v30, v31
	v_mfma_f32_16x16x16_f16 v[58:61], v[58:59], v[34:35], 0
	v_cvt_pkrtz_f16_f32 v30, v66, v67
	v_cvt_pkrtz_f16_f32 v31, v68, v69
	v_cvt_pk_f32_fp8_e32 v[66:67], v33
	v_mfma_f32_16x16x16_f16 v[34:37], v[64:65], v[36:37], v[58:61]
	s_barrier
	s_nop 1
	v_cvt_pk_f32_fp8_sdwa v[58:59], v33 src0_sel:WORD_1
	v_cvt_pkrtz_f16_f32 v60, v66, v67
	v_mfma_f32_16x16x16_f16 v[30:33], v[30:31], v[38:39], v[34:37]
	s_waitcnt vmcnt(2)
	v_cvt_pk_f32_fp8_e32 v[38:39], v19
	v_cvt_pkrtz_f16_f32 v61, v58, v59
	v_cvt_pk_f32_fp8_e32 v[34:35], v18
	v_cvt_pk_f32_fp8_sdwa v[36:37], v18 src0_sel:WORD_1
	v_cvt_pk_f32_fp8_sdwa v[18:19], v19 src0_sel:WORD_1
	v_mfma_f32_16x16x16_f16 v[30:33], v[60:61], v[40:41], v[30:33]
	v_cvt_pkrtz_f16_f32 v34, v34, v35
	v_cvt_pkrtz_f16_f32 v35, v36, v37
	;; [unrolled: 1-line block ×3, first 2 shown]
	v_cvt_pk_f32_fp8_e32 v[38:39], v20
	v_cvt_pk_f32_fp8_sdwa v[40:41], v20 src0_sel:WORD_1
	v_cvt_pkrtz_f16_f32 v37, v18, v19
	v_mfma_f32_16x16x16_f16 v[30:33], v[34:35], v[6:7], v[30:33]
	v_cvt_pkrtz_f16_f32 v18, v38, v39
	v_cvt_pkrtz_f16_f32 v19, v40, v41
	v_cvt_pk_f32_fp8_e32 v[34:35], v21
	v_cvt_pk_f32_fp8_sdwa v[20:21], v21 src0_sel:WORD_1
	v_mfma_f32_16x16x16_f16 v[6:9], v[36:37], v[8:9], v[30:33]
	s_nop 2
	v_cvt_pkrtz_f16_f32 v30, v34, v35
	v_cvt_pkrtz_f16_f32 v31, v20, v21
	v_mfma_f32_16x16x16_f16 v[6:9], v[18:19], v[42:43], v[6:9]
	s_waitcnt vmcnt(1)
	v_cvt_pk_f32_fp8_e32 v[18:19], v14
	v_cvt_pk_f32_fp8_sdwa v[20:21], v14 src0_sel:WORD_1
	v_cvt_pk_f32_fp8_sdwa v[32:33], v16 src0_sel:WORD_1
	v_mfma_f32_16x16x16_f16 v[6:9], v[30:31], v[44:45], v[6:9]
	v_cvt_pk_f32_fp8_e32 v[30:31], v15
	v_cvt_pkrtz_f16_f32 v18, v18, v19
	v_cvt_pkrtz_f16_f32 v19, v20, v21
	v_cvt_pk_f32_fp8_sdwa v[14:15], v15 src0_sel:WORD_1
	v_cvt_pkrtz_f16_f32 v20, v30, v31
	v_cvt_pk_f32_fp8_e32 v[30:31], v16
	v_mfma_f32_16x16x16_f16 v[6:9], v[18:19], v[2:3], v[6:9]
	v_cvt_pkrtz_f16_f32 v21, v14, v15
	v_cvt_pkrtz_f16_f32 v14, v30, v31
	;; [unrolled: 1-line block ×3, first 2 shown]
	v_cvt_pk_f32_fp8_e32 v[18:19], v17
	v_cvt_pk_f32_fp8_sdwa v[16:17], v17 src0_sel:WORD_1
	v_mfma_f32_16x16x16_f16 v[2:5], v[20:21], v[4:5], v[6:9]
	s_waitcnt vmcnt(0)
	v_cvt_pk_f32_fp8_sdwa v[20:21], v12 src0_sel:WORD_1
	s_nop 0
	v_cvt_pkrtz_f16_f32 v8, v18, v19
	v_cvt_pkrtz_f16_f32 v9, v16, v17
	v_mfma_f32_16x16x16_f16 v[2:5], v[14:15], v[46:47], v[2:5]
	v_cvt_pk_f32_fp8_e32 v[16:17], v10
	v_cvt_pk_f32_fp8_sdwa v[18:19], v10 src0_sel:WORD_1
	v_pk_mul_f32 v[6:7], v[24:25], s[4:5] op_sel_hi:[1,0]
	v_mfma_f32_16x16x16_f16 v[2:5], v[8:9], v[48:49], v[2:5]
	v_cvt_pk_f32_fp8_e32 v[8:9], v11
	v_cvt_pkrtz_f16_f32 v16, v16, v17
	v_cvt_pkrtz_f16_f32 v17, v18, v19
	v_cvt_pk_f32_fp8_sdwa v[10:11], v11 src0_sel:WORD_1
	v_cvt_pkrtz_f16_f32 v8, v8, v9
	v_cvt_pk_f32_fp8_e32 v[18:19], v12
	v_mfma_f32_16x16x16_f16 v[2:5], v[16:17], v[26:27], v[2:5]
	v_cvt_pkrtz_f16_f32 v9, v10, v11
	v_cvt_pkrtz_f16_f32 v10, v18, v19
	;; [unrolled: 1-line block ×3, first 2 shown]
	v_cvt_pk_f32_fp8_e32 v[16:17], v13
	v_cvt_pk_f32_fp8_sdwa v[12:13], v13 src0_sel:WORD_1
	v_mfma_f32_16x16x16_f16 v[2:5], v[8:9], v[28:29], v[2:5]
	v_pk_mul_f32 v[14:15], v[22:23], s[4:5] op_sel_hi:[1,0]
	v_cvt_pkrtz_f16_f32 v8, v16, v17
	v_cvt_pkrtz_f16_f32 v9, v12, v13
	v_mfma_f32_16x16x16_f16 v[2:5], v[10:11], v[50:51], v[2:5]
	v_cvt_f16_f32_e32 v14, v14
	v_cvt_f16_f32_e32 v10, v15
	;; [unrolled: 1-line block ×3, first 2 shown]
	v_mfma_f32_16x16x16_f16 v[2:5], v[8:9], v[52:53], v[2:5]
	v_cvt_f16_f32_e32 v7, v7
	s_nop 5
	v_pk_mul_f32 v[4:5], v[4:5], s[4:5] op_sel_hi:[1,0]
	v_pk_mul_f32 v[2:3], v[2:3], s[4:5] op_sel_hi:[1,0]
	v_cvt_f16_f32_e32 v11, v4
	v_cvt_f16_f32_e32 v8, v2
	v_cvt_f16_f32_e32 v9, v3
	v_cvt_f16_f32_e32 v5, v5
	v_pack_b32_f16 v2, v14, v10
	v_pack_b32_f16 v3, v6, v7
	;; [unrolled: 1-line block ×4, first 2 shown]
	ds_write2st64_b64 v55, v[2:3], v[4:5] offset1:1
	s_waitcnt lgkmcnt(0)
	s_barrier
	s_and_saveexec_b64 s[4:5], vcc
	s_cbranch_execz .LBB1018_20
; %bb.18:
	s_load_dwordx2 s[4:5], s[0:1], 0x68
	s_lshl_b32 s0, s7, 7
	s_mul_i32 s1, s8, s2
	v_lshlrev_b32_e32 v3, 6, v56
	s_mul_hi_u32 s9, s1, s0
	s_mul_i32 s8, s1, s0
	v_lshl_or_b32 v0, v0, 10, v3
	s_lshl_b64 s[8:9], s[8:9], 1
	v_lshlrev_b32_e32 v2, 5, v62
	v_and_b32_e32 v1, 16, v1
	v_and_b32_e32 v0, 0x1a00, v0
	s_waitcnt lgkmcnt(0)
	s_add_u32 s1, s4, s8
	v_or3_b32 v2, v0, v2, v1
	s_addc_u32 s4, s5, s9
	s_lshl_b32 s2, s6, 7
	s_lshl_b64 s[2:3], s[2:3], 1
	ds_read_b128 v[4:7], v2 offset:128
	ds_read_b128 v[8:11], v2
	s_add_u32 s2, s1, s2
	s_addc_u32 s3, s4, s3
	v_mov_b32_e32 v55, 0
	v_add_u32_e32 v3, s48, v62
	v_lshl_add_u64 v[0:1], s[2:3], 0, v[54:55]
	v_mad_u64_u32 v[12:13], s[2:3], v3, s0, 0
	v_lshl_add_u64 v[12:13], v[12:13], 1, v[0:1]
	v_add_u32_e32 v3, 4, v3
	s_waitcnt lgkmcnt(0)
	global_store_dwordx4 v[12:13], v[8:11], off
	v_cmp_ne_u32_e32 vcc, 3, v62
	s_nop 0
	v_mad_u64_u32 v[8:9], s[2:3], v3, s0, 0
	v_lshl_add_u64 v[8:9], v[8:9], 1, v[0:1]
	global_store_dwordx4 v[8:9], v[4:7], off
	s_and_b64 exec, exec, vcc
	s_cbranch_execz .LBB1018_20
; %bb.19:
	ds_read_b128 v[2:5], v2 offset:256
	v_add3_u32 v6, s48, v62, 8
	v_mad_u64_u32 v[6:7], s[0:1], v6, s0, 0
	v_lshl_add_u64 v[0:1], v[6:7], 1, v[0:1]
	s_waitcnt lgkmcnt(0)
	global_store_dwordx4 v[0:1], v[2:5], off
.LBB1018_20:
	s_endpgm
	.section	.rodata,"a",@progbits
	.p2align	6, 0x0
	.amdhsa_kernel _Z39paged_attention_ll4mi_QKV_mfma16_kernelIDF16_hLN4vllm18Fp8KVCacheDataTypeE1EhLi32ELi128ELi256ELb1ELi11EEvPKT_PKT0_S7_ifPKiS9_S9_iPKfiiiPfSC_PS2_PT2_iSB_SB_
		.amdhsa_group_segment_fixed_size 8192
		.amdhsa_private_segment_fixed_size 0
		.amdhsa_kernarg_size 400
		.amdhsa_user_sgpr_count 2
		.amdhsa_user_sgpr_dispatch_ptr 0
		.amdhsa_user_sgpr_queue_ptr 0
		.amdhsa_user_sgpr_kernarg_segment_ptr 1
		.amdhsa_user_sgpr_dispatch_id 0
		.amdhsa_user_sgpr_kernarg_preload_length 0
		.amdhsa_user_sgpr_kernarg_preload_offset 0
		.amdhsa_user_sgpr_private_segment_size 0
		.amdhsa_uses_dynamic_stack 0
		.amdhsa_enable_private_segment 0
		.amdhsa_system_sgpr_workgroup_id_x 1
		.amdhsa_system_sgpr_workgroup_id_y 1
		.amdhsa_system_sgpr_workgroup_id_z 1
		.amdhsa_system_sgpr_workgroup_info 0
		.amdhsa_system_vgpr_workitem_id 0
		.amdhsa_next_free_vgpr 78
		.amdhsa_next_free_sgpr 50
		.amdhsa_accum_offset 80
		.amdhsa_reserve_vcc 1
		.amdhsa_float_round_mode_32 0
		.amdhsa_float_round_mode_16_64 0
		.amdhsa_float_denorm_mode_32 3
		.amdhsa_float_denorm_mode_16_64 3
		.amdhsa_dx10_clamp 1
		.amdhsa_ieee_mode 1
		.amdhsa_fp16_overflow 0
		.amdhsa_tg_split 0
		.amdhsa_exception_fp_ieee_invalid_op 0
		.amdhsa_exception_fp_denorm_src 0
		.amdhsa_exception_fp_ieee_div_zero 0
		.amdhsa_exception_fp_ieee_overflow 0
		.amdhsa_exception_fp_ieee_underflow 0
		.amdhsa_exception_fp_ieee_inexact 0
		.amdhsa_exception_int_div_zero 0
	.end_amdhsa_kernel
	.section	.text._Z39paged_attention_ll4mi_QKV_mfma16_kernelIDF16_hLN4vllm18Fp8KVCacheDataTypeE1EhLi32ELi128ELi256ELb1ELi11EEvPKT_PKT0_S7_ifPKiS9_S9_iPKfiiiPfSC_PS2_PT2_iSB_SB_,"axG",@progbits,_Z39paged_attention_ll4mi_QKV_mfma16_kernelIDF16_hLN4vllm18Fp8KVCacheDataTypeE1EhLi32ELi128ELi256ELb1ELi11EEvPKT_PKT0_S7_ifPKiS9_S9_iPKfiiiPfSC_PS2_PT2_iSB_SB_,comdat
.Lfunc_end1018:
	.size	_Z39paged_attention_ll4mi_QKV_mfma16_kernelIDF16_hLN4vllm18Fp8KVCacheDataTypeE1EhLi32ELi128ELi256ELb1ELi11EEvPKT_PKT0_S7_ifPKiS9_S9_iPKfiiiPfSC_PS2_PT2_iSB_SB_, .Lfunc_end1018-_Z39paged_attention_ll4mi_QKV_mfma16_kernelIDF16_hLN4vllm18Fp8KVCacheDataTypeE1EhLi32ELi128ELi256ELb1ELi11EEvPKT_PKT0_S7_ifPKiS9_S9_iPKfiiiPfSC_PS2_PT2_iSB_SB_
                                        ; -- End function
	.section	.AMDGPU.csdata,"",@progbits
; Kernel info:
; codeLenInByte = 6380
; NumSgprs: 56
; NumVgprs: 78
; NumAgprs: 0
; TotalNumVgprs: 78
; ScratchSize: 0
; MemoryBound: 0
; FloatMode: 240
; IeeeMode: 1
; LDSByteSize: 8192 bytes/workgroup (compile time only)
; SGPRBlocks: 6
; VGPRBlocks: 9
; NumSGPRsForWavesPerEU: 56
; NumVGPRsForWavesPerEU: 78
; AccumOffset: 80
; Occupancy: 6
; WaveLimiterHint : 1
; COMPUTE_PGM_RSRC2:SCRATCH_EN: 0
; COMPUTE_PGM_RSRC2:USER_SGPR: 2
; COMPUTE_PGM_RSRC2:TRAP_HANDLER: 0
; COMPUTE_PGM_RSRC2:TGID_X_EN: 1
; COMPUTE_PGM_RSRC2:TGID_Y_EN: 1
; COMPUTE_PGM_RSRC2:TGID_Z_EN: 1
; COMPUTE_PGM_RSRC2:TIDIG_COMP_CNT: 0
; COMPUTE_PGM_RSRC3_GFX90A:ACCUM_OFFSET: 19
; COMPUTE_PGM_RSRC3_GFX90A:TG_SPLIT: 0
	.section	.text._Z39paged_attention_ll4mi_QKV_mfma16_kernelIDF16_hLN4vllm18Fp8KVCacheDataTypeE1EhLi32ELi128ELi256ELb1ELi12EEvPKT_PKT0_S7_ifPKiS9_S9_iPKfiiiPfSC_PS2_PT2_iSB_SB_,"axG",@progbits,_Z39paged_attention_ll4mi_QKV_mfma16_kernelIDF16_hLN4vllm18Fp8KVCacheDataTypeE1EhLi32ELi128ELi256ELb1ELi12EEvPKT_PKT0_S7_ifPKiS9_S9_iPKfiiiPfSC_PS2_PT2_iSB_SB_,comdat
	.protected	_Z39paged_attention_ll4mi_QKV_mfma16_kernelIDF16_hLN4vllm18Fp8KVCacheDataTypeE1EhLi32ELi128ELi256ELb1ELi12EEvPKT_PKT0_S7_ifPKiS9_S9_iPKfiiiPfSC_PS2_PT2_iSB_SB_ ; -- Begin function _Z39paged_attention_ll4mi_QKV_mfma16_kernelIDF16_hLN4vllm18Fp8KVCacheDataTypeE1EhLi32ELi128ELi256ELb1ELi12EEvPKT_PKT0_S7_ifPKiS9_S9_iPKfiiiPfSC_PS2_PT2_iSB_SB_
	.globl	_Z39paged_attention_ll4mi_QKV_mfma16_kernelIDF16_hLN4vllm18Fp8KVCacheDataTypeE1EhLi32ELi128ELi256ELb1ELi12EEvPKT_PKT0_S7_ifPKiS9_S9_iPKfiiiPfSC_PS2_PT2_iSB_SB_
	.p2align	8
	.type	_Z39paged_attention_ll4mi_QKV_mfma16_kernelIDF16_hLN4vllm18Fp8KVCacheDataTypeE1EhLi32ELi128ELi256ELb1ELi12EEvPKT_PKT0_S7_ifPKiS9_S9_iPKfiiiPfSC_PS2_PT2_iSB_SB_,@function
_Z39paged_attention_ll4mi_QKV_mfma16_kernelIDF16_hLN4vllm18Fp8KVCacheDataTypeE1EhLi32ELi128ELi256ELb1ELi12EEvPKT_PKT0_S7_ifPKiS9_S9_iPKfiiiPfSC_PS2_PT2_iSB_SB_: ; @_Z39paged_attention_ll4mi_QKV_mfma16_kernelIDF16_hLN4vllm18Fp8KVCacheDataTypeE1EhLi32ELi128ELi256ELb1ELi12EEvPKT_PKT0_S7_ifPKiS9_S9_iPKfiiiPfSC_PS2_PT2_iSB_SB_
; %bb.0:
	s_load_dwordx2 s[10:11], s[0:1], 0x30
	s_mov_b32 s6, s3
	s_mov_b64 s[8:9], 0
	s_waitcnt lgkmcnt(0)
	s_cmp_lg_u64 s[10:11], 0
	s_cselect_b64 s[12:13], -1, 0
	s_and_b64 vcc, exec, s[12:13]
	s_cbranch_vccz .LBB1019_7
; %bb.1:
	s_add_i32 s14, s2, 1
	s_mov_b32 s15, 0
	s_lshl_b64 s[16:17], s[14:15], 2
	s_add_u32 s16, s10, s16
	s_mov_b32 s3, s15
	s_addc_u32 s17, s11, s17
	s_lshl_b64 s[14:15], s[2:3], 2
	s_add_u32 s14, s10, s14
	s_addc_u32 s15, s11, s15
	s_load_dword s5, s[16:17], 0x0
	s_load_dword s7, s[14:15], 0x0
	s_waitcnt lgkmcnt(0)
	s_sub_i32 s5, s5, s7
	s_cmp_eq_u32 s5, 1
	s_cselect_b64 s[14:15], -1, 0
	s_andn2_b64 vcc, exec, s[8:9]
	s_cbranch_vccnz .LBB1019_3
.LBB1019_2:
	s_mov_b32 s3, 0
	s_mov_b64 s[14:15], -1
.LBB1019_3:
	s_andn2_b64 vcc, exec, s[14:15]
	s_cbranch_vccnz .LBB1019_19
; %bb.4:
	s_load_dwordx2 s[8:9], s[0:1], 0x28
	s_lshl_b64 s[14:15], s[2:3], 2
	s_waitcnt lgkmcnt(0)
	s_add_u32 s8, s8, s14
	s_addc_u32 s9, s9, s15
	s_load_dword s7, s[8:9], 0x0
	s_lshl_b32 s18, s6, 8
	s_waitcnt lgkmcnt(0)
	s_cmp_ge_i32 s18, s7
	s_cbranch_scc1 .LBB1019_19
; %bb.5:
	s_load_dwordx2 s[8:9], s[0:1], 0x20
	s_load_dword s5, s[0:1], 0x38
	s_add_i32 s16, s7, 31
	s_ashr_i32 s17, s16, 31
	v_and_b32_e32 v1, 0xcf, v0
	s_lshr_b32 s17, s17, 27
	v_add_u32_e32 v1, s18, v1
	s_add_i32 s16, s16, s17
	v_ashrrev_i32_e32 v2, 31, v1
	s_ashr_i32 s19, s16, 5
	v_lshrrev_b32_e32 v4, 27, v2
	s_add_i32 s19, s19, -1
	s_waitcnt lgkmcnt(0)
	s_mul_i32 s16, s2, s5
	s_mov_b32 s17, 0
	v_add_u32_e32 v2, v1, v4
	s_lshl_b64 s[16:17], s[16:17], 2
	v_ashrrev_i32_e32 v2, 5, v2
	v_mov_b32_e32 v5, s19
	v_cmp_gt_i32_e32 vcc, s7, v1
	s_add_u32 s8, s8, s16
	s_addc_u32 s9, s9, s17
	v_cndmask_b32_e32 v2, v5, v2, vcc
	v_ashrrev_i32_e32 v3, 31, v2
	v_lshl_add_u64 v[6:7], v[2:3], 2, s[8:9]
	v_or_b32_e32 v2, 16, v1
	v_add_u32_e32 v3, v2, v4
	v_ashrrev_i32_e32 v3, 5, v3
	v_cmp_gt_i32_e32 vcc, s7, v2
	s_load_dwordx2 s[16:17], s[0:1], 0x8
	s_nop 0
	v_cndmask_b32_e32 v2, v5, v3, vcc
	v_ashrrev_i32_e32 v3, 31, v2
	v_lshl_add_u64 v[8:9], v[2:3], 2, s[8:9]
	v_or_b32_e32 v2, 32, v1
	v_add_u32_e32 v3, v2, v4
	v_ashrrev_i32_e32 v3, 5, v3
	v_cmp_gt_i32_e32 vcc, s7, v2
	v_or_b32_e32 v1, 48, v1
	s_nop 0
	v_cndmask_b32_e32 v2, v5, v3, vcc
	v_ashrrev_i32_e32 v3, 31, v2
	v_lshl_add_u64 v[12:13], v[2:3], 2, s[8:9]
	v_add_u32_e32 v2, v1, v4
	v_ashrrev_i32_e32 v2, 5, v2
	v_cmp_gt_i32_e32 vcc, s7, v1
	s_nop 1
	v_cndmask_b32_e32 v2, v5, v2, vcc
	v_ashrrev_i32_e32 v3, 31, v2
	v_lshl_add_u64 v[14:15], v[2:3], 2, s[8:9]
	global_load_dword v4, v[6:7], off
	global_load_dword v3, v[8:9], off
	;; [unrolled: 1-line block ×4, first 2 shown]
	s_andn2_b64 vcc, exec, s[12:13]
	s_cbranch_vccnz .LBB1019_8
; %bb.6:
	s_add_u32 s10, s10, s14
	s_addc_u32 s11, s11, s15
	s_load_dword s5, s[10:11], 0x0
	s_branch .LBB1019_9
.LBB1019_7:
	s_mov_b64 s[14:15], 0
	s_branch .LBB1019_2
.LBB1019_8:
	s_mov_b32 s5, s2
.LBB1019_9:
	s_load_dwordx2 s[10:11], s[0:1], 0x10
	s_load_dwordx4 s[44:47], s[0:1], 0x48
	v_and_b32_e32 v56, 15, v0
	v_lshlrev_b32_e32 v5, 3, v56
	s_movk_i32 s12, 0xc0
	v_lshrrev_b32_e32 v57, 6, v0
	v_bfe_u32 v1, v0, 4, 2
	s_mul_i32 s48, s4, 12
	v_cmp_gt_u32_e32 vcc, s12, v0
	v_lshlrev_b32_e32 v54, 1, v5
	v_lshlrev_b32_e32 v62, 4, v0
	s_and_saveexec_b64 s[12:13], vcc
	s_cbranch_execz .LBB1019_11
; %bb.10:
	s_load_dwordx2 s[14:15], s[0:1], 0x0
	s_waitcnt lgkmcnt(0)
	s_ashr_i32 s20, s44, 31
	s_mul_hi_u32 s21, s5, s44
	s_mul_i32 s20, s5, s20
	s_add_i32 s21, s21, s20
	s_mul_i32 s20, s5, s44
	v_lshl_or_b32 v5, v57, 2, v1
	s_lshl_b64 s[20:21], s[20:21], 1
	s_add_u32 s14, s14, s20
	v_add_lshl_u32 v6, v5, s48, 7
	s_addc_u32 s15, s15, s21
	v_ashrrev_i32_e32 v7, 31, v6
	v_lshl_add_u64 v[6:7], v[6:7], 1, s[14:15]
	v_mov_b32_e32 v55, 0
	v_lshl_add_u64 v[6:7], v[6:7], 0, v[54:55]
	global_load_dwordx4 v[6:9], v[6:7], off
	v_lshlrev_b32_e32 v12, 8, v0
	v_lshlrev_b32_e32 v11, 8, v56
	v_and_b32_e32 v12, 0x600, v12
	s_movk_i32 s5, 0x800
	v_and_or_b32 v11, v11, s5, v12
	v_lshlrev_b32_e32 v5, 5, v5
	v_and_b32_e32 v12, 16, v62
	v_or3_b32 v5, v11, v5, v12
	s_waitcnt vmcnt(0)
	ds_write_b128 v5, v[6:9]
.LBB1019_11:
	s_or_b64 exec, exec, s[12:13]
	s_waitcnt lgkmcnt(0)
	s_mul_i32 s12, s4, s46
	s_add_u32 s4, s16, s12
	s_addc_u32 s5, s17, 0
	v_mov_b32_e32 v59, 0
	v_mov_b64_e32 v[12:13], s[4:5]
	v_and_b32_e32 v34, 48, v0
	s_waitcnt vmcnt(3)
	v_mad_i64_i32 v[4:5], s[4:5], v4, s45, v[12:13]
	v_lshlrev_b32_e32 v14, 4, v56
	v_mov_b32_e32 v15, v59
	v_lshlrev_b32_e32 v58, 5, v34
	v_lshl_add_u64 v[4:5], v[4:5], 0, v[14:15]
	v_lshl_add_u64 v[4:5], v[4:5], 0, v[58:59]
	s_barrier
	global_load_dwordx4 v[50:53], v[4:5], off
	global_load_dwordx4 v[46:49], v[4:5], off offset:2048
	s_waitcnt vmcnt(4)
	v_mad_i64_i32 v[4:5], s[4:5], v3, s45, v[12:13]
	v_or_b32_e32 v16, 0x100, v14
	v_mov_b32_e32 v17, v59
	s_waitcnt vmcnt(3)
	v_mad_i64_i32 v[2:3], s[4:5], v2, s45, v[12:13]
	v_lshl_add_u64 v[4:5], v[4:5], 0, v[16:17]
	v_lshl_add_u64 v[2:3], v[2:3], 0, v[14:15]
	s_waitcnt vmcnt(2)
	v_mad_i64_i32 v[10:11], s[4:5], v10, s45, v[12:13]
	v_lshl_add_u64 v[4:5], v[4:5], 0, v[58:59]
	v_lshl_add_u64 v[14:15], v[2:3], 0, v[58:59]
	;; [unrolled: 1-line block ×3, first 2 shown]
	global_load_dwordx4 v[36:39], v[4:5], off
	global_load_dwordx4 v[6:9], v[4:5], off offset:2048
	s_nop 0
	global_load_dwordx4 v[2:5], v[14:15], off
	global_load_dwordx4 v[42:45], v[14:15], off offset:2048
	v_lshl_add_u64 v[14:15], v[10:11], 0, v[58:59]
	global_load_dwordx4 v[26:29], v[14:15], off
	global_load_dwordx4 v[10:13], v[14:15], off offset:2048
	v_add_u32_e32 v14, -12, v56
	v_cmp_gt_u32_e32 vcc, 12, v56
	v_and_b32_e32 v55, 63, v0
	v_mov_b32_e32 v63, 0
	v_cndmask_b32_e32 v14, v14, v56, vcc
	v_lshlrev_b32_e32 v14, 5, v14
	v_lshl_add_u32 v14, v1, 9, v14
	ds_read_b128 v[30:33], v14
	ds_read_b128 v[22:25], v14 offset:16
	ds_read_b128 v[18:21], v14 offset:2048
	;; [unrolled: 1-line block ×3, first 2 shown]
	s_and_saveexec_b64 s[4:5], vcc
	s_cbranch_execz .LBB1019_13
; %bb.12:
	s_load_dwordx2 s[14:15], s[0:1], 0x40
	v_add_u32_e32 v40, s48, v56
	v_ashrrev_i32_e32 v41, 31, v40
	s_waitcnt lgkmcnt(0)
	v_lshl_add_u64 v[40:41], v[40:41], 2, s[14:15]
	global_load_dword v63, v[40:41], off
.LBB1019_13:
	s_or_b64 exec, exec, s[4:5]
	s_ashr_i32 s4, s18, 31
	v_or_b32_e32 v58, s18, v34
	s_lshr_b32 s4, s4, 27
	v_add_u32_e32 v34, s4, v58
	v_cmp_gt_i32_e32 vcc, s7, v58
	v_or_b32_e32 v40, 64, v58
	v_or_b32_e32 v60, 0x80, v58
	;; [unrolled: 1-line block ×3, first 2 shown]
	v_add_u32_e32 v64, s4, v58
	v_ashrrev_i32_e32 v69, 5, v64
	s_waitcnt vmcnt(7)
	v_cvt_pk_f32_fp8_e32 v[64:65], v50
	v_cvt_pk_f32_fp8_sdwa v[66:67], v50 src0_sel:WORD_1
	v_cvt_pk_f32_fp8_e32 v[70:71], v51
	v_cvt_pk_f32_fp8_sdwa v[50:51], v51 src0_sel:WORD_1
	v_cvt_pkrtz_f16_f32 v64, v64, v65
	v_cvt_pkrtz_f16_f32 v65, v66, v67
	;; [unrolled: 1-line block ×3, first 2 shown]
	v_cvt_pk_f32_fp8_e32 v[72:73], v52
	v_cvt_pk_f32_fp8_sdwa v[74:75], v52 src0_sel:WORD_1
	v_cvt_pkrtz_f16_f32 v71, v50, v51
	s_waitcnt lgkmcnt(3)
	v_mfma_f32_16x16x16_f16 v[64:67], v[64:65], v[30:31], 0
	v_cvt_pkrtz_f16_f32 v72, v72, v73
	v_cvt_pkrtz_f16_f32 v73, v74, v75
	v_cvt_pk_f32_fp8_e32 v[74:75], v53
	v_cvt_pk_f32_fp8_sdwa v[76:77], v53 src0_sel:WORD_1
	v_mfma_f32_16x16x16_f16 v[50:53], v[70:71], v[32:33], v[64:67]
	v_ashrrev_i32_e32 v34, 5, v34
	v_mov_b32_e32 v68, s19
	v_add_u32_e32 v41, s4, v40
	v_cndmask_b32_e32 v34, v68, v34, vcc
	v_ashrrev_i32_e32 v41, 5, v41
	v_cmp_gt_i32_e32 vcc, s7, v40
	v_add_u32_e32 v61, s4, v60
	v_cvt_pkrtz_f16_f32 v64, v74, v75
	v_cvt_pkrtz_f16_f32 v65, v76, v77
	v_cndmask_b32_e32 v40, v68, v41, vcc
	v_ashrrev_i32_e32 v61, 5, v61
	v_cmp_gt_i32_e32 vcc, s7, v60
	s_waitcnt lgkmcnt(2)
	v_mfma_f32_16x16x16_f16 v[50:53], v[72:73], v[22:23], v[50:53]
	s_waitcnt vmcnt(6)
	v_cvt_pk_f32_fp8_e32 v[66:67], v46
	v_cndmask_b32_e32 v60, v68, v61, vcc
	v_cmp_gt_i32_e32 vcc, s7, v58
	v_ashrrev_i32_e32 v35, 31, v34
	v_lshl_add_u64 v[34:35], v[34:35], 2, s[8:9]
	v_cndmask_b32_e32 v68, v68, v69, vcc
	v_ashrrev_i32_e32 v41, 31, v40
	v_ashrrev_i32_e32 v61, 31, v60
	;; [unrolled: 1-line block ×3, first 2 shown]
	v_lshl_add_u64 v[40:41], v[40:41], 2, s[8:9]
	v_lshl_add_u64 v[60:61], v[60:61], 2, s[8:9]
	;; [unrolled: 1-line block ×3, first 2 shown]
	v_mfma_f32_16x16x16_f16 v[50:53], v[64:65], v[24:25], v[50:53]
	v_cvt_pkrtz_f16_f32 v74, v66, v67
	global_load_dword v68, v[34:35], off
	global_load_dword v66, v[40:41], off
	;; [unrolled: 1-line block ×4, first 2 shown]
	v_cvt_pk_f32_fp8_sdwa v[70:71], v46 src0_sel:WORD_1
	v_cvt_pk_f32_fp8_e32 v[40:41], v48
	s_waitcnt vmcnt(9)
	v_cvt_pk_f32_fp8_e32 v[60:61], v36
	s_add_u32 s4, s10, s12
	v_cvt_pkrtz_f16_f32 v75, v70, v71
	v_cvt_pk_f32_fp8_e32 v[70:71], v47
	v_cvt_pk_f32_fp8_sdwa v[46:47], v47 src0_sel:WORD_1
	s_waitcnt lgkmcnt(1)
	v_mfma_f32_16x16x16_f16 v[50:53], v[74:75], v[18:19], v[50:53]
	v_cvt_pkrtz_f16_f32 v34, v70, v71
	v_cvt_pkrtz_f16_f32 v35, v46, v47
	v_cvt_pk_f32_fp8_sdwa v[46:47], v48 src0_sel:WORD_1
	v_cvt_pkrtz_f16_f32 v40, v40, v41
	v_mfma_f32_16x16x16_f16 v[50:53], v[34:35], v[20:21], v[50:53]
	v_cvt_pkrtz_f16_f32 v41, v46, v47
	v_cvt_pk_f32_fp8_e32 v[34:35], v49
	v_cvt_pk_f32_fp8_sdwa v[46:47], v49 src0_sel:WORD_1
	v_cvt_pk_f32_fp8_sdwa v[70:71], v36 src0_sel:WORD_1
	s_addc_u32 s5, s11, 0
	v_cvt_pkrtz_f16_f32 v34, v34, v35
	v_cvt_pkrtz_f16_f32 v35, v46, v47
	s_waitcnt lgkmcnt(0)
	v_mfma_f32_16x16x16_f16 v[46:49], v[40:41], v[14:15], v[50:53]
	v_cvt_pkrtz_f16_f32 v40, v60, v61
	v_cvt_pkrtz_f16_f32 v41, v70, v71
	s_waitcnt vmcnt(8)
	v_cvt_pk_f32_fp8_sdwa v[60:61], v6 src0_sel:WORD_1
	v_cvt_pk_f32_fp8_e32 v[50:51], v37
	v_cvt_pk_f32_fp8_sdwa v[52:53], v37 src0_sel:WORD_1
	v_mfma_f32_16x16x16_f16 v[34:37], v[34:35], v[16:17], v[46:49]
	v_and_b32_e32 v58, 16, v0
	v_cvt_pkrtz_f16_f32 v50, v50, v51
	v_cvt_pkrtz_f16_f32 v51, v52, v53
	v_mfma_f32_16x16x16_f16 v[46:49], v[40:41], v[30:31], 0
	v_cvt_pk_f32_fp8_e32 v[40:41], v38
	v_cvt_pk_f32_fp8_sdwa v[52:53], v38 src0_sel:WORD_1
	v_lshl_or_b32 v64, v57, 4, v56
	v_mfma_f32_16x16x16_f16 v[46:49], v[50:51], v[32:33], v[46:49]
	v_cvt_pk_f32_fp8_e32 v[50:51], v39
	v_cvt_pkrtz_f16_f32 v40, v40, v41
	v_cvt_pkrtz_f16_f32 v41, v52, v53
	v_cvt_pk_f32_fp8_sdwa v[38:39], v39 src0_sel:WORD_1
	v_cvt_pkrtz_f16_f32 v50, v50, v51
	v_cvt_pk_f32_fp8_e32 v[52:53], v6
	s_waitcnt vmcnt(6)
	v_cvt_pk_f32_fp8_e32 v[74:75], v43
	v_cvt_pkrtz_f16_f32 v51, v38, v39
	v_mfma_f32_16x16x16_f16 v[38:41], v[40:41], v[22:23], v[46:49]
	s_nop 2
	v_cvt_pkrtz_f16_f32 v48, v52, v53
	v_cvt_pkrtz_f16_f32 v49, v60, v61
	v_cvt_pk_f32_fp8_e32 v[52:53], v7
	v_cvt_pk_f32_fp8_sdwa v[6:7], v7 src0_sel:WORD_1
	v_mfma_f32_16x16x16_f16 v[38:41], v[50:51], v[24:25], v[38:41]
	v_lshl_add_u64 v[46:47], s[4:5], 0, v[58:59]
	v_cvt_pkrtz_f16_f32 v50, v52, v53
	v_cvt_pkrtz_f16_f32 v51, v6, v7
	v_mfma_f32_16x16x16_f16 v[38:41], v[48:49], v[18:19], v[38:41]
	v_cvt_pk_f32_fp8_e32 v[6:7], v8
	v_cvt_pk_f32_fp8_sdwa v[48:49], v8 src0_sel:WORD_1
	v_cvt_pk_f32_fp8_sdwa v[52:53], v2 src0_sel:WORD_1
	v_mfma_f32_16x16x16_f16 v[38:41], v[50:51], v[20:21], v[38:41]
	v_cvt_pk_f32_fp8_e32 v[50:51], v9
	v_cvt_pkrtz_f16_f32 v6, v6, v7
	v_cvt_pkrtz_f16_f32 v7, v48, v49
	v_cvt_pk_f32_fp8_sdwa v[8:9], v9 src0_sel:WORD_1
	v_cvt_pkrtz_f16_f32 v48, v50, v51
	v_cvt_pk_f32_fp8_e32 v[50:51], v2
	v_lshlrev_b32_e32 v58, 5, v64
	v_cvt_pkrtz_f16_f32 v49, v8, v9
	v_mfma_f32_16x16x16_f16 v[6:9], v[6:7], v[14:15], v[38:41]
	v_cvt_pkrtz_f16_f32 v50, v50, v51
	v_cvt_pkrtz_f16_f32 v51, v52, v53
	v_cvt_pk_f32_fp8_e32 v[52:53], v3
	v_cvt_pk_f32_fp8_sdwa v[2:3], v3 src0_sel:WORD_1
	v_mfma_f32_16x16x16_f16 v[38:41], v[48:49], v[16:17], v[6:9]
	v_lshl_add_u64 v[48:49], v[46:47], 0, v[58:59]
	v_cvt_pkrtz_f16_f32 v52, v52, v53
	v_cvt_pkrtz_f16_f32 v53, v2, v3
	v_mfma_f32_16x16x16_f16 v[6:9], v[50:51], v[30:31], 0
	v_cvt_pk_f32_fp8_e32 v[2:3], v4
	v_cvt_pk_f32_fp8_sdwa v[50:51], v4 src0_sel:WORD_1
	s_waitcnt vmcnt(3)
	v_mad_i64_i32 v[60:61], s[4:5], v68, s45, v[48:49]
	v_cvt_pkrtz_f16_f32 v2, v2, v3
	v_cvt_pkrtz_f16_f32 v3, v50, v51
	v_mfma_f32_16x16x16_f16 v[6:9], v[52:53], v[32:33], v[6:9]
	v_cvt_pk_f32_fp8_e32 v[50:51], v5
	v_cvt_pk_f32_fp8_sdwa v[4:5], v5 src0_sel:WORD_1
	s_waitcnt vmcnt(2)
	v_mad_i64_i32 v[70:71], s[4:5], v66, s45, v[48:49]
	v_cvt_pkrtz_f16_f32 v50, v50, v51
	v_cvt_pkrtz_f16_f32 v51, v4, v5
	v_mfma_f32_16x16x16_f16 v[2:5], v[2:3], v[22:23], v[6:9]
	v_or_b32_e32 v58, 0x800, v58
	s_nop 1
	v_cvt_pk_f32_fp8_e32 v[6:7], v42
	v_cvt_pk_f32_fp8_sdwa v[8:9], v42 src0_sel:WORD_1
	v_cvt_pk_f32_fp8_sdwa v[42:43], v43 src0_sel:WORD_1
	v_mfma_f32_16x16x16_f16 v[50:53], v[50:51], v[24:25], v[2:5]
	v_cvt_pkrtz_f16_f32 v72, v6, v7
	v_cvt_pkrtz_f16_f32 v73, v8, v9
	global_load_dwordx4 v[6:9], v[60:61], off
	global_load_dwordx4 v[2:5], v[70:71], off
	v_cvt_pkrtz_f16_f32 v60, v74, v75
	v_cvt_pkrtz_f16_f32 v61, v42, v43
	v_mfma_f32_16x16x16_f16 v[70:73], v[72:73], v[18:19], v[50:53]
	v_cvt_pk_f32_fp8_e32 v[42:43], v44
	v_cvt_pkrtz_f16_f32 v42, v42, v43
	s_nop 0
	v_cvt_pk_f32_fp8_sdwa v[52:53], v44 src0_sel:WORD_1
	v_mfma_f32_16x16x16_f16 v[70:73], v[60:61], v[20:21], v[70:73]
	v_cvt_pk_f32_fp8_e32 v[60:61], v45
	s_waitcnt vmcnt(3)
	v_mad_i64_i32 v[50:51], s[4:5], v67, s45, v[48:49]
	s_load_dword s4, s[0:1], 0x1c
	s_load_dwordx4 s[40:43], s[0:1], 0x80
	v_cvt_pkrtz_f16_f32 v43, v52, v53
	v_cvt_pkrtz_f16_f32 v74, v60, v61
	v_cvt_pk_f32_fp8_e32 v[52:53], v26
	v_cvt_pk_f32_fp8_sdwa v[60:61], v26 src0_sel:WORD_1
	s_load_dword s33, s[0:1], 0x98
	s_waitcnt lgkmcnt(0)
	s_load_dword s5, s[40:41], 0x0
	v_cvt_pk_f32_fp8_sdwa v[44:45], v45 src0_sel:WORD_1
	v_cvt_pkrtz_f16_f32 v52, v52, v53
	v_cvt_pkrtz_f16_f32 v53, v60, v61
	v_cvt_pk_f32_fp8_e32 v[60:61], v27
	v_cvt_pk_f32_fp8_sdwa v[26:27], v27 src0_sel:WORD_1
	v_cvt_pkrtz_f16_f32 v75, v44, v45
	v_mfma_f32_16x16x16_f16 v[42:45], v[42:43], v[14:15], v[70:73]
	v_cvt_pkrtz_f16_f32 v60, v60, v61
	v_cvt_pkrtz_f16_f32 v61, v26, v27
	v_mov_b32_e32 v26, s4
	v_mfma_f32_16x16x16_f16 v[70:73], v[52:53], v[30:31], 0
	s_waitcnt lgkmcnt(0)
	v_mul_f32_e32 v52, s5, v26
	v_cvt_pk_f32_fp8_e32 v[26:27], v28
	v_cvt_pk_f32_fp8_sdwa v[30:31], v28 src0_sel:WORD_1
	v_mfma_f32_16x16x16_f16 v[70:73], v[60:61], v[32:33], v[70:73]
	v_cvt_pk_f32_fp8_e32 v[32:33], v29
	v_cvt_pk_f32_fp8_sdwa v[28:29], v29 src0_sel:WORD_1
	v_cvt_pkrtz_f16_f32 v26, v26, v27
	v_cvt_pkrtz_f16_f32 v27, v30, v31
	v_mfma_f32_16x16x16_f16 v[42:45], v[74:75], v[16:17], v[42:45]
	v_cvt_pkrtz_f16_f32 v32, v32, v33
	v_cvt_pkrtz_f16_f32 v33, v28, v29
	v_cvt_pk_f32_fp8_e32 v[60:61], v10
	v_cvt_pk_f32_fp8_sdwa v[74:75], v10 src0_sel:WORD_1
	v_mfma_f32_16x16x16_f16 v[26:29], v[26:27], v[22:23], v[70:73]
	v_pk_mul_f32 v[30:31], v[52:53], v[36:37] op_sel_hi:[0,1]
	v_cvt_pkrtz_f16_f32 v36, v60, v61
	v_cvt_pkrtz_f16_f32 v37, v74, v75
	v_cvt_pk_f32_fp8_e32 v[60:61], v11
	v_cvt_pk_f32_fp8_sdwa v[70:71], v11 src0_sel:WORD_1
	v_mfma_f32_16x16x16_f16 v[22:25], v[32:33], v[24:25], v[26:29]
	v_pk_mul_f32 v[10:11], v[52:53], v[34:35] op_sel_hi:[0,1]
	v_cvt_pkrtz_f16_f32 v60, v60, v61
	v_cvt_pkrtz_f16_f32 v61, v70, v71
	v_mfma_f32_16x16x16_f16 v[32:35], v[36:37], v[18:19], v[22:25]
	v_cvt_pk_f32_fp8_e32 v[18:19], v12
	v_cvt_pk_f32_fp8_sdwa v[36:37], v12 src0_sel:WORD_1
	s_waitcnt vmcnt(2)
	v_mad_i64_i32 v[48:49], s[8:9], v65, s45, v[48:49]
	global_load_dwordx4 v[26:29], v[50:51], off
	global_load_dwordx4 v[22:25], v[48:49], off
	v_cvt_pkrtz_f16_f32 v48, v18, v19
	v_cvt_pkrtz_f16_f32 v49, v36, v37
	v_cvt_pk_f32_fp8_e32 v[36:37], v13
	v_cvt_pk_f32_fp8_sdwa v[12:13], v13 src0_sel:WORD_1
	v_mfma_f32_16x16x16_f16 v[18:21], v[60:61], v[20:21], v[32:35]
	v_pk_mul_f32 v[40:41], v[52:53], v[40:41] op_sel_hi:[0,1]
	v_pk_mul_f32 v[42:43], v[52:53], v[42:43] op_sel_hi:[0,1]
	s_mov_b32 s40, 0xff7fffff
	v_cvt_pkrtz_f16_f32 v32, v36, v37
	v_cvt_pkrtz_f16_f32 v33, v12, v13
	v_mfma_f32_16x16x16_f16 v[12:15], v[48:49], v[14:15], v[18:21]
	v_pk_mul_f32 v[48:49], v[52:53], v[38:39] op_sel_hi:[0,1]
	v_pk_mul_f32 v[38:39], v[52:53], v[44:45] op_sel_hi:[0,1]
	v_mfma_f32_16x16x16_f16 v[12:15], v[32:33], v[16:17], v[12:15]
	s_nop 6
	v_pk_mul_f32 v[36:37], v[52:53], v[12:13] op_sel_hi:[0,1]
	v_and_b32_e32 v12, 0xc0, v0
	v_add_u32_e32 v12, s18, v12
	v_lshl_or_b32 v12, v1, 2, v12
	v_or_b32_e32 v13, 1, v12
	v_pk_mul_f32 v[34:35], v[52:53], v[14:15] op_sel_hi:[0,1]
	v_subrev_u32_e32 v14, s7, v13
	v_add_u32_e32 v16, 1, v14
	v_add_u32_e32 v17, 2, v14
	v_cvt_f32_i32_e32 v15, v14
	v_cvt_f32_i32_e32 v16, v16
	;; [unrolled: 1-line block ×3, first 2 shown]
	v_add_u32_e32 v18, 3, v14
	v_fma_f32 v10, v63, v15, v10
	v_fmac_f32_e32 v11, v63, v16
	v_fma_f32 v51, v63, v17, v30
	v_add_u32_e32 v15, 16, v14
	v_add_u32_e32 v16, 17, v14
	;; [unrolled: 1-line block ×3, first 2 shown]
	v_cvt_f32_i32_e32 v18, v18
	v_cvt_f32_i32_e32 v15, v15
	;; [unrolled: 1-line block ×4, first 2 shown]
	v_fmac_f32_e32 v31, v63, v18
	v_add_u32_e32 v18, 19, v14
	v_fma_f32 v48, v63, v15, v48
	v_fmac_f32_e32 v49, v63, v16
	v_fma_f32 v40, v63, v17, v40
	v_add_u32_e32 v15, 32, v14
	v_add_u32_e32 v16, 33, v14
	;; [unrolled: 1-line block ×3, first 2 shown]
	v_cvt_f32_i32_e32 v18, v18
	v_cvt_f32_i32_e32 v15, v15
	;; [unrolled: 1-line block ×4, first 2 shown]
	v_fmac_f32_e32 v41, v63, v18
	v_add_u32_e32 v18, 35, v14
	v_fma_f32 v42, v63, v15, v42
	v_fmac_f32_e32 v43, v63, v16
	v_fma_f32 v38, v63, v17, v38
	v_add_u32_e32 v15, 48, v14
	v_add_u32_e32 v16, 49, v14
	;; [unrolled: 1-line block ×4, first 2 shown]
	v_cvt_f32_i32_e32 v14, v14
	v_cvt_f32_i32_e32 v15, v15
	;; [unrolled: 1-line block ×3, first 2 shown]
	v_cmp_gt_i32_e64 s[8:9], s7, v12
	v_fmac_f32_e32 v35, v63, v14
	v_mov_b32_e32 v14, 0xff7fffff
	v_cmp_gt_i32_e64 s[10:11], s7, v13
	v_fma_f32 v36, v63, v15, v36
	v_cndmask_b32_e64 v15, v14, v10, s[8:9]
	v_cndmask_b32_e64 v13, v14, v11, s[10:11]
	v_fmac_f32_e32 v37, v63, v16
	v_max3_f32 v13, v15, s40, v13
	v_or_b32_e32 v15, 2, v12
	v_or_b32_e32 v16, 3, v12
	v_cmp_gt_i32_e64 s[12:13], s7, v15
	v_cmp_gt_i32_e64 s[14:15], s7, v16
	v_cvt_f32_i32_e32 v18, v18
	v_cndmask_b32_e64 v15, v14, v51, s[12:13]
	v_cndmask_b32_e64 v16, v14, v31, s[14:15]
	v_max3_f32 v13, v13, v15, v16
	v_or_b32_e32 v15, 16, v12
	v_or_b32_e32 v16, 17, v12
	v_cmp_gt_i32_e64 s[16:17], s7, v15
	v_cmp_gt_i32_e64 s[18:19], s7, v16
	v_fmac_f32_e32 v39, v63, v18
	v_cndmask_b32_e64 v15, v14, v48, s[16:17]
	v_cndmask_b32_e64 v16, v14, v49, s[18:19]
	v_max3_f32 v13, v13, v15, v16
	v_or_b32_e32 v15, 18, v12
	v_or_b32_e32 v16, 19, v12
	v_cmp_gt_i32_e64 s[20:21], s7, v15
	v_cmp_gt_i32_e64 s[22:23], s7, v16
	v_cvt_f32_i32_e32 v17, v17
	v_cndmask_b32_e64 v15, v14, v40, s[20:21]
	v_cndmask_b32_e64 v16, v14, v41, s[22:23]
	v_max3_f32 v13, v13, v15, v16
	v_or_b32_e32 v15, 32, v12
	v_or_b32_e32 v16, 33, v12
	v_cmp_gt_i32_e64 s[24:25], s7, v15
	v_cmp_gt_i32_e64 s[26:27], s7, v16
	v_fma_f32 v34, v63, v17, v34
	v_cndmask_b32_e64 v15, v14, v42, s[24:25]
	v_cndmask_b32_e64 v16, v14, v43, s[26:27]
	v_max3_f32 v13, v13, v15, v16
	v_or_b32_e32 v15, 34, v12
	v_or_b32_e32 v16, 35, v12
	v_cmp_gt_i32_e64 s[28:29], s7, v15
	v_cmp_gt_i32_e64 s[30:31], s7, v16
	s_nop 0
	v_cndmask_b32_e64 v15, v14, v38, s[28:29]
	v_cndmask_b32_e64 v16, v14, v39, s[30:31]
	v_max3_f32 v13, v13, v15, v16
	v_or_b32_e32 v15, 48, v12
	v_or_b32_e32 v16, 49, v12
	v_cmp_gt_i32_e64 s[34:35], s7, v15
	v_cmp_gt_i32_e64 s[36:37], s7, v16
	s_nop 0
	v_cndmask_b32_e64 v15, v14, v36, s[34:35]
	v_cndmask_b32_e64 v16, v14, v37, s[36:37]
	v_max3_f32 v13, v13, v15, v16
	v_or_b32_e32 v15, 50, v12
	v_or_b32_e32 v12, 51, v12
	v_cmp_gt_i32_e32 vcc, s7, v15
	v_cmp_gt_i32_e64 s[4:5], s7, v12
	s_nop 0
	v_cndmask_b32_e32 v15, v14, v34, vcc
	v_cndmask_b32_e64 v12, v14, v35, s[4:5]
	v_max3_f32 v16, v13, v15, v12
	v_mbcnt_lo_u32_b32 v12, -1, 0
	v_mbcnt_hi_u32_b32 v17, -1, v12
	v_and_b32_e32 v12, 64, v17
	v_add_u32_e32 v18, 64, v12
	v_xor_b32_e32 v12, 32, v17
	v_cmp_lt_i32_e64 s[38:39], v12, v18
	s_nop 1
	v_cndmask_b32_e64 v12, v17, v12, s[38:39]
	v_lshlrev_b32_e32 v52, 2, v12
	ds_bpermute_b32 v19, v52, v16
	v_lshl_add_u64 v[12:13], v[46:47], 0, v[58:59]
	v_mad_i64_i32 v[14:15], s[38:39], v68, s45, v[12:13]
	s_waitcnt lgkmcnt(0)
	v_max_f32_e32 v19, v19, v19
	v_max_f32_e32 v19, v16, v19
	v_xor_b32_e32 v16, 16, v17
	v_cmp_lt_i32_e64 s[38:39], v16, v18
	s_nop 1
	v_cndmask_b32_e64 v16, v17, v16, s[38:39]
	v_lshlrev_b32_e32 v53, 2, v16
	ds_bpermute_b32 v18, v53, v19
	v_mad_i64_i32 v[16:17], s[38:39], v66, s45, v[12:13]
	v_mad_i64_i32 v[44:45], s[38:39], v67, s45, v[12:13]
	s_waitcnt lgkmcnt(0)
	v_max_f32_e32 v18, v18, v18
	v_max_f32_e32 v50, v19, v18
	v_sub_f32_e32 v10, v10, v50
	v_mul_f32_e32 v10, 0x3fb8aa3b, v10
	v_exp_f32_e32 v18, v10
	v_sub_f32_e32 v10, v11, v50
	v_mul_f32_e32 v10, 0x3fb8aa3b, v10
	v_exp_f32_e32 v19, v10
	v_mad_i64_i32 v[10:11], s[38:39], v65, s45, v[12:13]
	v_sub_f32_e32 v12, v51, v50
	v_mul_f32_e32 v12, 0x3fb8aa3b, v12
	v_cndmask_b32_e64 v46, 0, v18, s[8:9]
	v_cndmask_b32_e64 v47, 0, v19, s[10:11]
	v_sub_f32_e32 v58, v31, v50
	global_load_dwordx4 v[30:33], v[14:15], off
	global_load_dwordx4 v[18:21], v[16:17], off
	v_exp_f32_e32 v51, v12
	global_load_dwordx4 v[14:17], v[44:45], off
	s_nop 0
	global_load_dwordx4 v[10:13], v[10:11], off
	v_sub_f32_e32 v45, v48, v50
	v_sub_f32_e32 v48, v49, v50
	;; [unrolled: 1-line block ×4, first 2 shown]
	v_mul_f32_e32 v44, 0x3fb8aa3b, v58
	v_mul_f32_e32 v45, 0x3fb8aa3b, v45
	;; [unrolled: 1-line block ×5, first 2 shown]
	v_exp_f32_e32 v44, v44
	v_exp_f32_e32 v45, v45
	;; [unrolled: 1-line block ×3, first 2 shown]
	v_cndmask_b32_e64 v48, 0, v51, s[12:13]
	v_exp_f32_e32 v40, v40
	v_exp_f32_e32 v51, v42
	v_sub_f32_e32 v42, v43, v50
	v_mul_f32_e32 v42, 0x3fb8aa3b, v42
	v_cndmask_b32_e64 v49, 0, v44, s[14:15]
	v_cndmask_b32_e64 v44, 0, v45, s[16:17]
	;; [unrolled: 1-line block ×3, first 2 shown]
	v_sub_f32_e32 v41, v41, v50
	v_exp_f32_e32 v58, v42
	v_cndmask_b32_e64 v42, 0, v40, s[20:21]
	v_cndmask_b32_e64 v40, 0, v51, s[24:25]
	v_add_f32_e32 v51, 0, v46
	v_mul_f32_e32 v41, 0x3fb8aa3b, v41
	v_add_f32_e32 v51, v51, v47
	v_exp_f32_e32 v41, v41
	v_add_f32_e32 v51, v51, v48
	v_sub_f32_e32 v38, v38, v50
	v_add_f32_e32 v51, v51, v49
	v_sub_f32_e32 v39, v39, v50
	v_mul_f32_e32 v38, 0x3fb8aa3b, v38
	v_add_f32_e32 v51, v51, v44
	v_exp_f32_e32 v38, v38
	v_mul_f32_e32 v39, 0x3fb8aa3b, v39
	v_sub_f32_e32 v36, v36, v50
	v_add_f32_e32 v51, v51, v45
	v_cndmask_b32_e64 v43, 0, v41, s[22:23]
	v_exp_f32_e32 v39, v39
	v_mul_f32_e32 v36, 0x3fb8aa3b, v36
	v_sub_f32_e32 v37, v37, v50
	v_add_f32_e32 v51, v51, v42
	v_exp_f32_e32 v36, v36
	v_mul_f32_e32 v37, 0x3fb8aa3b, v37
	v_add_f32_e32 v51, v51, v43
	v_sub_f32_e32 v34, v34, v50
	v_cndmask_b32_e64 v41, 0, v58, s[26:27]
	v_exp_f32_e32 v37, v37
	v_add_f32_e32 v51, v51, v40
	v_mul_f32_e32 v34, 0x3fb8aa3b, v34
	v_sub_f32_e32 v35, v35, v50
	v_cndmask_b32_e64 v38, 0, v38, s[28:29]
	v_add_f32_e32 v51, v51, v41
	v_exp_f32_e32 v34, v34
	v_mul_f32_e32 v35, 0x3fb8aa3b, v35
	v_cndmask_b32_e64 v39, 0, v39, s[30:31]
	v_add_f32_e32 v51, v51, v38
	v_exp_f32_e32 v35, v35
	v_cndmask_b32_e64 v36, 0, v36, s[34:35]
	v_add_f32_e32 v51, v51, v39
	v_cndmask_b32_e64 v37, 0, v37, s[36:37]
	v_add_f32_e32 v51, v51, v36
	v_add_f32_e32 v51, v51, v37
	v_cndmask_b32_e32 v34, 0, v34, vcc
	v_add_f32_e32 v51, v51, v34
	v_cndmask_b32_e64 v35, 0, v35, s[4:5]
	v_add_f32_e32 v51, v51, v35
	ds_bpermute_b32 v52, v52, v51
	v_cmp_gt_u32_e32 vcc, 16, v55
	s_waitcnt lgkmcnt(0)
	s_barrier
	v_add_f32_e32 v51, v51, v52
	ds_bpermute_b32 v52, v53, v51
	s_and_saveexec_b64 s[4:5], vcc
	s_cbranch_execz .LBB1019_15
; %bb.14:
	s_waitcnt lgkmcnt(0)
	v_add_f32_e32 v51, v51, v52
	v_lshlrev_b32_e32 v52, 2, v64
	ds_write2st64_b32 v52, v50, v51 offset1:1
.LBB1019_15:
	s_or_b64 exec, exec, s[4:5]
	v_lshlrev_b32_e32 v51, 2, v56
	s_load_dword s7, s[0:1], 0x94
	s_waitcnt lgkmcnt(0)
	s_barrier
	ds_read2_b32 v[52:53], v51 offset1:16
	ds_read2_b32 v[58:59], v51 offset0:32 offset1:48
	ds_read2_b32 v[60:61], v51 offset0:64 offset1:80
	s_mul_i32 s8, s33, 12
	s_waitcnt lgkmcnt(2)
	v_max3_f32 v50, v52, s40, v53
	s_waitcnt lgkmcnt(1)
	v_max3_f32 v50, v50, v58, v59
	v_sub_f32_e32 v52, v52, v50
	v_mul_f32_e32 v52, 0x3fb8aa3b, v52
	v_exp_f32_e32 v55, v52
	v_sub_f32_e32 v52, v53, v50
	v_mul_f32_e32 v52, 0x3fb8aa3b, v52
	v_exp_f32_e32 v63, v52
	;; [unrolled: 3-line block ×3, first 2 shown]
	ds_read2_b32 v[52:53], v51 offset0:96 offset1:112
	v_sub_f32_e32 v51, v59, v50
	v_mul_f32_e32 v51, 0x3fb8aa3b, v51
	v_exp_f32_e32 v59, v51
	s_waitcnt lgkmcnt(1)
	v_fma_f32 v51, v55, v60, 0
	v_fmac_f32_e32 v51, v63, v61
	s_waitcnt lgkmcnt(0)
	v_fmac_f32_e32 v51, v58, v52
	v_fmac_f32_e32 v51, v59, v53
	v_add_f32_e32 v52, 0x358637bd, v51
	v_div_scale_f32 v53, s[4:5], v52, v52, 1.0
	v_rcp_f32_e32 v60, v53
	s_barrier
	v_fma_f32 v61, -v53, v60, 1.0
	v_fmac_f32_e32 v60, v61, v60
	v_div_scale_f32 v61, vcc, 1.0, v52, 1.0
	v_mul_f32_e32 v64, v61, v60
	v_fma_f32 v65, -v53, v64, v61
	v_fmac_f32_e32 v64, v65, v60
	v_fma_f32 v53, -v53, v64, v61
	v_div_fmas_f32 v53, v53, v60, v64
	v_cmp_eq_u32_e32 vcc, 1, v57
	v_div_fixup_f32 v52, v53, v52, 1.0
	s_nop 0
	v_cndmask_b32_e32 v53, v55, v63, vcc
	v_cmp_eq_u32_e32 vcc, 2, v57
	s_nop 1
	v_cndmask_b32_e32 v53, v53, v58, vcc
	v_cmp_eq_u32_e32 vcc, 3, v57
	s_nop 1
	v_cndmask_b32_e32 v53, v53, v59, vcc
	v_mul_f32_e32 v52, v53, v52
	v_pk_mul_f32 v[48:49], v[52:53], v[48:49] op_sel_hi:[0,1]
	v_pk_mul_f32 v[46:47], v[52:53], v[46:47] op_sel_hi:[0,1]
	v_cvt_f16_f32_e32 v53, v48
	v_cvt_f16_f32_e32 v49, v49
	;; [unrolled: 1-line block ×4, first 2 shown]
	v_pk_mul_f32 v[42:43], v[52:53], v[42:43] op_sel_hi:[0,1]
	v_pk_mul_f32 v[44:45], v[52:53], v[44:45] op_sel_hi:[0,1]
	v_pack_b32_f16 v49, v53, v49
	v_cvt_f16_f32_e32 v44, v44
	v_cvt_f16_f32_e32 v45, v45
	;; [unrolled: 1-line block ×4, first 2 shown]
	v_pack_b32_f16 v48, v46, v47
	v_lshlrev_b32_e32 v47, 3, v1
	v_lshlrev_b32_e32 v46, 5, v56
	;; [unrolled: 1-line block ×3, first 2 shown]
	v_or3_b32 v55, v42, v46, v47
	v_pack_b32_f16 v42, v44, v45
	v_pack_b32_f16 v43, v53, v43
	v_pk_mul_f32 v[38:39], v[52:53], v[38:39] op_sel_hi:[0,1]
	v_pk_mul_f32 v[40:41], v[52:53], v[40:41] op_sel_hi:[0,1]
	;; [unrolled: 1-line block ×4, first 2 shown]
	ds_write2st64_b64 v55, v[48:49], v[42:43] offset1:1
	v_cvt_f16_f32_e32 v40, v40
	v_cvt_f16_f32_e32 v41, v41
	;; [unrolled: 1-line block ×8, first 2 shown]
	v_pack_b32_f16 v34, v40, v41
	v_pack_b32_f16 v35, v38, v39
	;; [unrolled: 1-line block ×4, first 2 shown]
	v_cmp_gt_u32_e32 vcc, 12, v0
	ds_write2st64_b64 v55, v[34:35], v[36:37] offset0:2 offset1:3
	s_and_saveexec_b64 s[4:5], vcc
	s_cbranch_execz .LBB1019_17
; %bb.16:
	s_mov_b32 s49, 0
	v_mov_b32_e32 v57, 0
	v_lshl_add_u64 v[34:35], s[48:49], 0, v[56:57]
	v_mov_b32_e32 v36, s8
	v_mad_u64_u32 v[34:35], s[10:11], s2, v36, v[34:35]
	s_mul_i32 s3, s3, s8
	v_mov_b32_e32 v36, s6
	v_mov_b32_e32 v37, v57
	s_load_dwordx4 s[12:15], s[0:1], 0x58
	v_add_u32_e32 v38, s3, v35
	v_mad_u64_u32 v[34:35], s[10:11], v34, s7, v[36:37]
	v_mov_b32_e32 v36, v35
	v_mad_u64_u32 v[36:37], s[10:11], v38, s7, v[36:37]
	v_mov_b32_e32 v35, v36
	v_lshlrev_b64 v[34:35], 2, v[34:35]
	s_waitcnt lgkmcnt(0)
	v_lshl_add_u64 v[36:37], s[14:15], 0, v[34:35]
	v_lshl_add_u64 v[34:35], s[12:13], 0, v[34:35]
	global_store_dword v[36:37], v50, off
	global_store_dword v[34:35], v51, off
.LBB1019_17:
	s_or_b64 exec, exec, s[4:5]
	s_waitcnt vmcnt(7)
	v_cvt_pk_f32_fp8_e32 v[34:35], v6
	v_cvt_pk_f32_fp8_sdwa v[36:37], v6 src0_sel:WORD_1
	v_lshl_or_b32 v50, v1, 9, v46
	s_waitcnt lgkmcnt(0)
	s_barrier
	v_cvt_pk_f32_fp8_e32 v[38:39], v7
	v_cvt_pkrtz_f16_f32 v6, v34, v35
	v_cvt_pk_f32_fp8_sdwa v[40:41], v7 src0_sel:WORD_1
	v_cvt_pkrtz_f16_f32 v7, v36, v37
	ds_read_b128 v[34:37], v50
	v_cvt_pkrtz_f16_f32 v46, v38, v39
	v_cvt_pkrtz_f16_f32 v47, v40, v41
	ds_read_b128 v[38:41], v50 offset:16
	v_cvt_pk_f32_fp8_e32 v[48:49], v8
	v_cvt_pk_f32_fp8_sdwa v[52:53], v8 src0_sel:WORD_1
	s_waitcnt lgkmcnt(1)
	v_mfma_f32_16x16x16_f16 v[42:45], v[6:7], v[34:35], 0
	s_waitcnt vmcnt(6)
	v_cvt_pk_f32_fp8_e32 v[58:59], v4
	v_cvt_pkrtz_f16_f32 v6, v48, v49
	v_cvt_pkrtz_f16_f32 v7, v52, v53
	v_cvt_pk_f32_fp8_e32 v[48:49], v9
	v_mfma_f32_16x16x16_f16 v[42:45], v[46:47], v[36:37], v[42:45]
	v_cvt_pk_f32_fp8_sdwa v[46:47], v9 src0_sel:WORD_1
	v_cvt_pk_f32_fp8_sdwa v[60:61], v4 src0_sel:WORD_1
	v_cvt_pkrtz_f16_f32 v48, v48, v49
	s_waitcnt lgkmcnt(0)
	v_mfma_f32_16x16x16_f16 v[6:9], v[6:7], v[38:39], v[42:45]
	v_cvt_pkrtz_f16_f32 v49, v46, v47
	s_waitcnt vmcnt(5)
	v_cvt_pk_f32_fp8_e32 v[64:65], v28
	v_cvt_pk_f32_fp8_sdwa v[66:67], v28 src0_sel:WORD_1
	v_cvt_pk_f32_fp8_e32 v[42:43], v2
	v_mfma_f32_16x16x16_f16 v[46:49], v[48:49], v[40:41], v[6:9]
	s_waitcnt vmcnt(4)
	v_cvt_pk_f32_fp8_sdwa v[68:69], v24 src0_sel:WORD_1
	s_load_dword s4, s[42:43], 0x0
	v_cvt_pk_f32_fp8_sdwa v[6:7], v2 src0_sel:WORD_1
	v_cvt_pk_f32_fp8_e32 v[8:9], v3
	v_cvt_pkrtz_f16_f32 v2, v42, v43
	v_cvt_pk_f32_fp8_sdwa v[42:43], v3 src0_sel:WORD_1
	v_cvt_pkrtz_f16_f32 v3, v6, v7
	v_cvt_pkrtz_f16_f32 v52, v8, v9
	ds_read_b128 v[6:9], v50 offset:2048
	v_cvt_pkrtz_f16_f32 v53, v42, v43
	ds_read_b128 v[42:45], v50 offset:2064
	s_waitcnt lgkmcnt(0)
	v_mfma_f32_16x16x16_f16 v[46:49], v[2:3], v[6:7], v[46:49]
	v_cvt_pkrtz_f16_f32 v2, v58, v59
	v_cvt_pkrtz_f16_f32 v3, v60, v61
	v_cvt_pk_f32_fp8_e32 v[58:59], v5
	v_mfma_f32_16x16x16_f16 v[46:49], v[52:53], v[8:9], v[46:49]
	v_cvt_pk_f32_fp8_sdwa v[52:53], v5 src0_sel:WORD_1
	s_mov_b32 s3, 0
	v_cvt_pkrtz_f16_f32 v58, v58, v59
	v_mfma_f32_16x16x16_f16 v[2:5], v[2:3], v[42:43], v[46:49]
	v_cvt_pkrtz_f16_f32 v59, v52, v53
	v_cmp_gt_u32_e32 vcc, 64, v0
	s_nop 0
	v_cvt_pk_f32_fp8_e32 v[46:47], v26
	v_mfma_f32_16x16x16_f16 v[58:61], v[58:59], v[44:45], v[2:5]
	s_nop 2
	v_cvt_pk_f32_fp8_sdwa v[2:3], v26 src0_sel:WORD_1
	v_cvt_pk_f32_fp8_e32 v[4:5], v27
	v_cvt_pkrtz_f16_f32 v26, v46, v47
	v_cvt_pk_f32_fp8_sdwa v[46:47], v27 src0_sel:WORD_1
	v_cvt_pkrtz_f16_f32 v27, v2, v3
	v_cvt_pkrtz_f16_f32 v52, v4, v5
	ds_read_b128 v[2:5], v50 offset:4096
	v_cvt_pkrtz_f16_f32 v53, v46, v47
	ds_read_b128 v[46:49], v50 offset:4112
	s_waitcnt lgkmcnt(1)
	v_mfma_f32_16x16x16_f16 v[58:61], v[26:27], v[2:3], v[58:61]
	v_cvt_pkrtz_f16_f32 v26, v64, v65
	v_cvt_pkrtz_f16_f32 v27, v66, v67
	v_cvt_pk_f32_fp8_e32 v[64:65], v29
	v_mfma_f32_16x16x16_f16 v[58:61], v[52:53], v[4:5], v[58:61]
	v_cvt_pk_f32_fp8_sdwa v[52:53], v29 src0_sel:WORD_1
	v_cvt_pk_f32_fp8_e32 v[66:67], v24
	v_cvt_pkrtz_f16_f32 v64, v64, v65
	s_waitcnt lgkmcnt(0)
	v_mfma_f32_16x16x16_f16 v[26:29], v[26:27], v[46:47], v[58:61]
	v_cvt_pkrtz_f16_f32 v65, v52, v53
	v_cvt_pk_f32_fp8_e32 v[52:53], v22
	s_nop 0
	v_mfma_f32_16x16x16_f16 v[58:61], v[64:65], v[48:49], v[26:29]
	s_nop 2
	v_cvt_pk_f32_fp8_sdwa v[26:27], v22 src0_sel:WORD_1
	v_cvt_pk_f32_fp8_e32 v[28:29], v23
	v_cvt_pkrtz_f16_f32 v22, v52, v53
	v_cvt_pk_f32_fp8_sdwa v[52:53], v23 src0_sel:WORD_1
	v_cvt_pkrtz_f16_f32 v23, v26, v27
	v_cvt_pkrtz_f16_f32 v64, v28, v29
	ds_read_b128 v[26:29], v50 offset:6144
	v_cvt_pkrtz_f16_f32 v65, v52, v53
	s_waitcnt lgkmcnt(0)
	v_mfma_f32_16x16x16_f16 v[58:61], v[22:23], v[26:27], v[58:61]
	ds_read_b128 v[50:53], v50 offset:6160
	v_cvt_pkrtz_f16_f32 v22, v66, v67
	v_cvt_pkrtz_f16_f32 v23, v68, v69
	v_mfma_f32_16x16x16_f16 v[58:61], v[64:65], v[28:29], v[58:61]
	v_cvt_pk_f32_fp8_e32 v[66:67], v25
	v_cvt_pk_f32_fp8_sdwa v[64:65], v25 src0_sel:WORD_1
	s_waitcnt vmcnt(3)
	v_cvt_pk_f32_fp8_sdwa v[68:69], v32 src0_sel:WORD_1
	s_waitcnt lgkmcnt(0)
	v_mfma_f32_16x16x16_f16 v[22:25], v[22:23], v[50:51], v[58:61]
	v_cvt_pkrtz_f16_f32 v66, v66, v67
	v_cvt_pkrtz_f16_f32 v67, v64, v65
	v_cvt_pk_f32_fp8_e32 v[64:65], v31
	v_cvt_pk_f32_fp8_e32 v[58:59], v30
	v_cvt_pk_f32_fp8_sdwa v[60:61], v30 src0_sel:WORD_1
	v_cvt_pk_f32_fp8_sdwa v[30:31], v31 src0_sel:WORD_1
	v_mfma_f32_16x16x16_f16 v[22:25], v[66:67], v[52:53], v[22:25]
	v_cvt_pkrtz_f16_f32 v58, v58, v59
	v_cvt_pkrtz_f16_f32 v59, v60, v61
	;; [unrolled: 1-line block ×3, first 2 shown]
	v_cvt_pk_f32_fp8_e32 v[66:67], v32
	v_cvt_pkrtz_f16_f32 v65, v30, v31
	v_mfma_f32_16x16x16_f16 v[58:61], v[58:59], v[34:35], 0
	v_cvt_pkrtz_f16_f32 v30, v66, v67
	v_cvt_pkrtz_f16_f32 v31, v68, v69
	v_cvt_pk_f32_fp8_e32 v[66:67], v33
	v_mfma_f32_16x16x16_f16 v[34:37], v[64:65], v[36:37], v[58:61]
	s_barrier
	s_nop 1
	v_cvt_pk_f32_fp8_sdwa v[58:59], v33 src0_sel:WORD_1
	v_cvt_pkrtz_f16_f32 v60, v66, v67
	v_mfma_f32_16x16x16_f16 v[30:33], v[30:31], v[38:39], v[34:37]
	s_waitcnt vmcnt(2)
	v_cvt_pk_f32_fp8_e32 v[38:39], v19
	v_cvt_pkrtz_f16_f32 v61, v58, v59
	v_cvt_pk_f32_fp8_e32 v[34:35], v18
	v_cvt_pk_f32_fp8_sdwa v[36:37], v18 src0_sel:WORD_1
	v_cvt_pk_f32_fp8_sdwa v[18:19], v19 src0_sel:WORD_1
	v_mfma_f32_16x16x16_f16 v[30:33], v[60:61], v[40:41], v[30:33]
	v_cvt_pkrtz_f16_f32 v34, v34, v35
	v_cvt_pkrtz_f16_f32 v35, v36, v37
	;; [unrolled: 1-line block ×3, first 2 shown]
	v_cvt_pk_f32_fp8_e32 v[38:39], v20
	v_cvt_pk_f32_fp8_sdwa v[40:41], v20 src0_sel:WORD_1
	v_cvt_pkrtz_f16_f32 v37, v18, v19
	v_mfma_f32_16x16x16_f16 v[30:33], v[34:35], v[6:7], v[30:33]
	v_cvt_pkrtz_f16_f32 v18, v38, v39
	v_cvt_pkrtz_f16_f32 v19, v40, v41
	v_cvt_pk_f32_fp8_e32 v[34:35], v21
	v_cvt_pk_f32_fp8_sdwa v[20:21], v21 src0_sel:WORD_1
	v_mfma_f32_16x16x16_f16 v[6:9], v[36:37], v[8:9], v[30:33]
	s_nop 2
	v_cvt_pkrtz_f16_f32 v30, v34, v35
	v_cvt_pkrtz_f16_f32 v31, v20, v21
	v_mfma_f32_16x16x16_f16 v[6:9], v[18:19], v[42:43], v[6:9]
	s_waitcnt vmcnt(1)
	v_cvt_pk_f32_fp8_e32 v[18:19], v14
	v_cvt_pk_f32_fp8_sdwa v[20:21], v14 src0_sel:WORD_1
	v_cvt_pk_f32_fp8_sdwa v[32:33], v16 src0_sel:WORD_1
	v_mfma_f32_16x16x16_f16 v[6:9], v[30:31], v[44:45], v[6:9]
	v_cvt_pk_f32_fp8_e32 v[30:31], v15
	v_cvt_pkrtz_f16_f32 v18, v18, v19
	v_cvt_pkrtz_f16_f32 v19, v20, v21
	v_cvt_pk_f32_fp8_sdwa v[14:15], v15 src0_sel:WORD_1
	v_cvt_pkrtz_f16_f32 v20, v30, v31
	v_cvt_pk_f32_fp8_e32 v[30:31], v16
	v_mfma_f32_16x16x16_f16 v[6:9], v[18:19], v[2:3], v[6:9]
	v_cvt_pkrtz_f16_f32 v21, v14, v15
	v_cvt_pkrtz_f16_f32 v14, v30, v31
	;; [unrolled: 1-line block ×3, first 2 shown]
	v_cvt_pk_f32_fp8_e32 v[18:19], v17
	v_cvt_pk_f32_fp8_sdwa v[16:17], v17 src0_sel:WORD_1
	v_mfma_f32_16x16x16_f16 v[2:5], v[20:21], v[4:5], v[6:9]
	s_waitcnt vmcnt(0)
	v_cvt_pk_f32_fp8_sdwa v[20:21], v12 src0_sel:WORD_1
	s_nop 0
	v_cvt_pkrtz_f16_f32 v8, v18, v19
	v_cvt_pkrtz_f16_f32 v9, v16, v17
	v_mfma_f32_16x16x16_f16 v[2:5], v[14:15], v[46:47], v[2:5]
	v_cvt_pk_f32_fp8_e32 v[16:17], v10
	v_cvt_pk_f32_fp8_sdwa v[18:19], v10 src0_sel:WORD_1
	v_pk_mul_f32 v[6:7], v[24:25], s[4:5] op_sel_hi:[1,0]
	v_mfma_f32_16x16x16_f16 v[2:5], v[8:9], v[48:49], v[2:5]
	v_cvt_pk_f32_fp8_e32 v[8:9], v11
	v_cvt_pkrtz_f16_f32 v16, v16, v17
	v_cvt_pkrtz_f16_f32 v17, v18, v19
	v_cvt_pk_f32_fp8_sdwa v[10:11], v11 src0_sel:WORD_1
	v_cvt_pkrtz_f16_f32 v8, v8, v9
	v_cvt_pk_f32_fp8_e32 v[18:19], v12
	v_mfma_f32_16x16x16_f16 v[2:5], v[16:17], v[26:27], v[2:5]
	v_cvt_pkrtz_f16_f32 v9, v10, v11
	v_cvt_pkrtz_f16_f32 v10, v18, v19
	;; [unrolled: 1-line block ×3, first 2 shown]
	v_cvt_pk_f32_fp8_e32 v[16:17], v13
	v_cvt_pk_f32_fp8_sdwa v[12:13], v13 src0_sel:WORD_1
	v_mfma_f32_16x16x16_f16 v[2:5], v[8:9], v[28:29], v[2:5]
	v_pk_mul_f32 v[14:15], v[22:23], s[4:5] op_sel_hi:[1,0]
	v_cvt_pkrtz_f16_f32 v8, v16, v17
	v_cvt_pkrtz_f16_f32 v9, v12, v13
	v_mfma_f32_16x16x16_f16 v[2:5], v[10:11], v[50:51], v[2:5]
	v_cvt_f16_f32_e32 v14, v14
	v_cvt_f16_f32_e32 v10, v15
	;; [unrolled: 1-line block ×3, first 2 shown]
	v_mfma_f32_16x16x16_f16 v[2:5], v[8:9], v[52:53], v[2:5]
	v_cvt_f16_f32_e32 v7, v7
	s_nop 5
	v_pk_mul_f32 v[4:5], v[4:5], s[4:5] op_sel_hi:[1,0]
	v_pk_mul_f32 v[2:3], v[2:3], s[4:5] op_sel_hi:[1,0]
	v_cvt_f16_f32_e32 v11, v4
	v_cvt_f16_f32_e32 v8, v2
	;; [unrolled: 1-line block ×4, first 2 shown]
	v_pack_b32_f16 v2, v14, v10
	v_pack_b32_f16 v3, v6, v7
	;; [unrolled: 1-line block ×4, first 2 shown]
	ds_write2st64_b64 v55, v[2:3], v[4:5] offset1:1
	s_waitcnt lgkmcnt(0)
	s_barrier
	s_and_saveexec_b64 s[4:5], vcc
	s_cbranch_execz .LBB1019_19
; %bb.18:
	s_load_dwordx2 s[0:1], s[0:1], 0x68
	s_lshl_b32 s7, s7, 7
	s_mul_i32 s2, s8, s2
	s_mul_hi_u32 s5, s2, s7
	s_mul_i32 s4, s2, s7
	s_lshl_b64 s[4:5], s[4:5], 1
	v_lshlrev_b32_e32 v4, 6, v56
	s_waitcnt lgkmcnt(0)
	s_add_u32 s4, s0, s4
	v_lshl_or_b32 v0, v0, 10, v4
	s_addc_u32 s5, s1, s5
	s_lshl_b32 s2, s6, 7
	v_lshlrev_b32_e32 v2, 5, v1
	v_and_b32_e32 v3, 16, v62
	v_and_b32_e32 v0, 0x1a00, v0
	s_lshl_b64 s[0:1], s[2:3], 1
	v_or3_b32 v0, v0, v2, v3
	s_add_u32 s0, s4, s0
	ds_read_b128 v[2:5], v0
	ds_read_b128 v[6:9], v0 offset:128
	ds_read_b128 v[10:13], v0 offset:256
	s_addc_u32 s1, s5, s1
	v_or_b32_e32 v16, s48, v1
	v_mov_b32_e32 v55, 0
	v_lshl_add_u64 v[0:1], s[0:1], 0, v[54:55]
	v_mad_u64_u32 v[14:15], s[0:1], v16, s7, 0
	v_lshl_add_u64 v[14:15], v[14:15], 1, v[0:1]
	s_waitcnt lgkmcnt(2)
	global_store_dwordx4 v[14:15], v[2:5], off
	s_nop 1
	v_add_u32_e32 v2, 4, v16
	v_mad_u64_u32 v[2:3], s[0:1], v2, s7, 0
	v_lshl_add_u64 v[2:3], v[2:3], 1, v[0:1]
	s_waitcnt lgkmcnt(1)
	global_store_dwordx4 v[2:3], v[6:9], off
	v_add_u32_e32 v2, 8, v16
	v_mad_u64_u32 v[2:3], s[0:1], v2, s7, 0
	v_lshl_add_u64 v[0:1], v[2:3], 1, v[0:1]
	s_waitcnt lgkmcnt(0)
	global_store_dwordx4 v[0:1], v[10:13], off
.LBB1019_19:
	s_endpgm
	.section	.rodata,"a",@progbits
	.p2align	6, 0x0
	.amdhsa_kernel _Z39paged_attention_ll4mi_QKV_mfma16_kernelIDF16_hLN4vllm18Fp8KVCacheDataTypeE1EhLi32ELi128ELi256ELb1ELi12EEvPKT_PKT0_S7_ifPKiS9_S9_iPKfiiiPfSC_PS2_PT2_iSB_SB_
		.amdhsa_group_segment_fixed_size 8192
		.amdhsa_private_segment_fixed_size 0
		.amdhsa_kernarg_size 400
		.amdhsa_user_sgpr_count 2
		.amdhsa_user_sgpr_dispatch_ptr 0
		.amdhsa_user_sgpr_queue_ptr 0
		.amdhsa_user_sgpr_kernarg_segment_ptr 1
		.amdhsa_user_sgpr_dispatch_id 0
		.amdhsa_user_sgpr_kernarg_preload_length 0
		.amdhsa_user_sgpr_kernarg_preload_offset 0
		.amdhsa_user_sgpr_private_segment_size 0
		.amdhsa_uses_dynamic_stack 0
		.amdhsa_enable_private_segment 0
		.amdhsa_system_sgpr_workgroup_id_x 1
		.amdhsa_system_sgpr_workgroup_id_y 1
		.amdhsa_system_sgpr_workgroup_id_z 1
		.amdhsa_system_sgpr_workgroup_info 0
		.amdhsa_system_vgpr_workitem_id 0
		.amdhsa_next_free_vgpr 78
		.amdhsa_next_free_sgpr 50
		.amdhsa_accum_offset 80
		.amdhsa_reserve_vcc 1
		.amdhsa_float_round_mode_32 0
		.amdhsa_float_round_mode_16_64 0
		.amdhsa_float_denorm_mode_32 3
		.amdhsa_float_denorm_mode_16_64 3
		.amdhsa_dx10_clamp 1
		.amdhsa_ieee_mode 1
		.amdhsa_fp16_overflow 0
		.amdhsa_tg_split 0
		.amdhsa_exception_fp_ieee_invalid_op 0
		.amdhsa_exception_fp_denorm_src 0
		.amdhsa_exception_fp_ieee_div_zero 0
		.amdhsa_exception_fp_ieee_overflow 0
		.amdhsa_exception_fp_ieee_underflow 0
		.amdhsa_exception_fp_ieee_inexact 0
		.amdhsa_exception_int_div_zero 0
	.end_amdhsa_kernel
	.section	.text._Z39paged_attention_ll4mi_QKV_mfma16_kernelIDF16_hLN4vllm18Fp8KVCacheDataTypeE1EhLi32ELi128ELi256ELb1ELi12EEvPKT_PKT0_S7_ifPKiS9_S9_iPKfiiiPfSC_PS2_PT2_iSB_SB_,"axG",@progbits,_Z39paged_attention_ll4mi_QKV_mfma16_kernelIDF16_hLN4vllm18Fp8KVCacheDataTypeE1EhLi32ELi128ELi256ELb1ELi12EEvPKT_PKT0_S7_ifPKiS9_S9_iPKfiiiPfSC_PS2_PT2_iSB_SB_,comdat
.Lfunc_end1019:
	.size	_Z39paged_attention_ll4mi_QKV_mfma16_kernelIDF16_hLN4vllm18Fp8KVCacheDataTypeE1EhLi32ELi128ELi256ELb1ELi12EEvPKT_PKT0_S7_ifPKiS9_S9_iPKfiiiPfSC_PS2_PT2_iSB_SB_, .Lfunc_end1019-_Z39paged_attention_ll4mi_QKV_mfma16_kernelIDF16_hLN4vllm18Fp8KVCacheDataTypeE1EhLi32ELi128ELi256ELb1ELi12EEvPKT_PKT0_S7_ifPKiS9_S9_iPKfiiiPfSC_PS2_PT2_iSB_SB_
                                        ; -- End function
	.section	.AMDGPU.csdata,"",@progbits
; Kernel info:
; codeLenInByte = 6372
; NumSgprs: 56
; NumVgprs: 78
; NumAgprs: 0
; TotalNumVgprs: 78
; ScratchSize: 0
; MemoryBound: 0
; FloatMode: 240
; IeeeMode: 1
; LDSByteSize: 8192 bytes/workgroup (compile time only)
; SGPRBlocks: 6
; VGPRBlocks: 9
; NumSGPRsForWavesPerEU: 56
; NumVGPRsForWavesPerEU: 78
; AccumOffset: 80
; Occupancy: 6
; WaveLimiterHint : 1
; COMPUTE_PGM_RSRC2:SCRATCH_EN: 0
; COMPUTE_PGM_RSRC2:USER_SGPR: 2
; COMPUTE_PGM_RSRC2:TRAP_HANDLER: 0
; COMPUTE_PGM_RSRC2:TGID_X_EN: 1
; COMPUTE_PGM_RSRC2:TGID_Y_EN: 1
; COMPUTE_PGM_RSRC2:TGID_Z_EN: 1
; COMPUTE_PGM_RSRC2:TIDIG_COMP_CNT: 0
; COMPUTE_PGM_RSRC3_GFX90A:ACCUM_OFFSET: 19
; COMPUTE_PGM_RSRC3_GFX90A:TG_SPLIT: 0
	.section	.text._Z39paged_attention_ll4mi_QKV_mfma16_kernelIDF16_hLN4vllm18Fp8KVCacheDataTypeE1EhLi32ELi128ELi256ELb1ELi13EEvPKT_PKT0_S7_ifPKiS9_S9_iPKfiiiPfSC_PS2_PT2_iSB_SB_,"axG",@progbits,_Z39paged_attention_ll4mi_QKV_mfma16_kernelIDF16_hLN4vllm18Fp8KVCacheDataTypeE1EhLi32ELi128ELi256ELb1ELi13EEvPKT_PKT0_S7_ifPKiS9_S9_iPKfiiiPfSC_PS2_PT2_iSB_SB_,comdat
	.protected	_Z39paged_attention_ll4mi_QKV_mfma16_kernelIDF16_hLN4vllm18Fp8KVCacheDataTypeE1EhLi32ELi128ELi256ELb1ELi13EEvPKT_PKT0_S7_ifPKiS9_S9_iPKfiiiPfSC_PS2_PT2_iSB_SB_ ; -- Begin function _Z39paged_attention_ll4mi_QKV_mfma16_kernelIDF16_hLN4vllm18Fp8KVCacheDataTypeE1EhLi32ELi128ELi256ELb1ELi13EEvPKT_PKT0_S7_ifPKiS9_S9_iPKfiiiPfSC_PS2_PT2_iSB_SB_
	.globl	_Z39paged_attention_ll4mi_QKV_mfma16_kernelIDF16_hLN4vllm18Fp8KVCacheDataTypeE1EhLi32ELi128ELi256ELb1ELi13EEvPKT_PKT0_S7_ifPKiS9_S9_iPKfiiiPfSC_PS2_PT2_iSB_SB_
	.p2align	8
	.type	_Z39paged_attention_ll4mi_QKV_mfma16_kernelIDF16_hLN4vllm18Fp8KVCacheDataTypeE1EhLi32ELi128ELi256ELb1ELi13EEvPKT_PKT0_S7_ifPKiS9_S9_iPKfiiiPfSC_PS2_PT2_iSB_SB_,@function
_Z39paged_attention_ll4mi_QKV_mfma16_kernelIDF16_hLN4vllm18Fp8KVCacheDataTypeE1EhLi32ELi128ELi256ELb1ELi13EEvPKT_PKT0_S7_ifPKiS9_S9_iPKfiiiPfSC_PS2_PT2_iSB_SB_: ; @_Z39paged_attention_ll4mi_QKV_mfma16_kernelIDF16_hLN4vllm18Fp8KVCacheDataTypeE1EhLi32ELi128ELi256ELb1ELi13EEvPKT_PKT0_S7_ifPKiS9_S9_iPKfiiiPfSC_PS2_PT2_iSB_SB_
; %bb.0:
	s_load_dwordx2 s[10:11], s[0:1], 0x30
	s_mov_b32 s6, s3
	s_mov_b64 s[8:9], 0
	s_waitcnt lgkmcnt(0)
	s_cmp_lg_u64 s[10:11], 0
	s_cselect_b64 s[12:13], -1, 0
	s_and_b64 vcc, exec, s[12:13]
	s_cbranch_vccz .LBB1020_7
; %bb.1:
	s_add_i32 s14, s2, 1
	s_mov_b32 s15, 0
	s_lshl_b64 s[16:17], s[14:15], 2
	s_add_u32 s16, s10, s16
	s_mov_b32 s3, s15
	s_addc_u32 s17, s11, s17
	s_lshl_b64 s[14:15], s[2:3], 2
	s_add_u32 s14, s10, s14
	s_addc_u32 s15, s11, s15
	s_load_dword s5, s[16:17], 0x0
	s_load_dword s7, s[14:15], 0x0
	s_waitcnt lgkmcnt(0)
	s_sub_i32 s5, s5, s7
	s_cmp_eq_u32 s5, 1
	s_cselect_b64 s[14:15], -1, 0
	s_andn2_b64 vcc, exec, s[8:9]
	s_cbranch_vccnz .LBB1020_3
.LBB1020_2:
	s_mov_b32 s3, 0
	s_mov_b64 s[14:15], -1
.LBB1020_3:
	s_andn2_b64 vcc, exec, s[14:15]
	s_cbranch_vccnz .LBB1020_20
; %bb.4:
	s_load_dwordx2 s[8:9], s[0:1], 0x28
	s_lshl_b64 s[14:15], s[2:3], 2
	s_waitcnt lgkmcnt(0)
	s_add_u32 s8, s8, s14
	s_addc_u32 s9, s9, s15
	s_load_dword s7, s[8:9], 0x0
	s_lshl_b32 s18, s6, 8
	s_waitcnt lgkmcnt(0)
	s_cmp_ge_i32 s18, s7
	s_cbranch_scc1 .LBB1020_20
; %bb.5:
	s_load_dwordx2 s[8:9], s[0:1], 0x20
	s_load_dword s5, s[0:1], 0x38
	s_add_i32 s16, s7, 31
	s_ashr_i32 s17, s16, 31
	v_and_b32_e32 v1, 0xcf, v0
	s_lshr_b32 s17, s17, 27
	v_add_u32_e32 v1, s18, v1
	s_add_i32 s16, s16, s17
	v_ashrrev_i32_e32 v2, 31, v1
	s_ashr_i32 s19, s16, 5
	v_lshrrev_b32_e32 v4, 27, v2
	s_add_i32 s19, s19, -1
	s_waitcnt lgkmcnt(0)
	s_mul_i32 s16, s2, s5
	s_mov_b32 s17, 0
	v_add_u32_e32 v2, v1, v4
	s_lshl_b64 s[16:17], s[16:17], 2
	v_ashrrev_i32_e32 v2, 5, v2
	v_mov_b32_e32 v5, s19
	v_cmp_gt_i32_e32 vcc, s7, v1
	s_add_u32 s8, s8, s16
	s_addc_u32 s9, s9, s17
	v_cndmask_b32_e32 v2, v5, v2, vcc
	v_ashrrev_i32_e32 v3, 31, v2
	v_lshl_add_u64 v[6:7], v[2:3], 2, s[8:9]
	v_or_b32_e32 v2, 16, v1
	v_add_u32_e32 v3, v2, v4
	v_ashrrev_i32_e32 v3, 5, v3
	v_cmp_gt_i32_e32 vcc, s7, v2
	s_load_dwordx2 s[16:17], s[0:1], 0x8
	s_nop 0
	v_cndmask_b32_e32 v2, v5, v3, vcc
	v_ashrrev_i32_e32 v3, 31, v2
	v_lshl_add_u64 v[8:9], v[2:3], 2, s[8:9]
	v_or_b32_e32 v2, 32, v1
	v_add_u32_e32 v3, v2, v4
	v_ashrrev_i32_e32 v3, 5, v3
	v_cmp_gt_i32_e32 vcc, s7, v2
	v_or_b32_e32 v1, 48, v1
	s_nop 0
	v_cndmask_b32_e32 v2, v5, v3, vcc
	v_ashrrev_i32_e32 v3, 31, v2
	v_lshl_add_u64 v[12:13], v[2:3], 2, s[8:9]
	v_add_u32_e32 v2, v1, v4
	v_ashrrev_i32_e32 v2, 5, v2
	v_cmp_gt_i32_e32 vcc, s7, v1
	s_nop 1
	v_cndmask_b32_e32 v2, v5, v2, vcc
	v_ashrrev_i32_e32 v3, 31, v2
	v_lshl_add_u64 v[14:15], v[2:3], 2, s[8:9]
	global_load_dword v4, v[6:7], off
	global_load_dword v3, v[8:9], off
	;; [unrolled: 1-line block ×4, first 2 shown]
	s_andn2_b64 vcc, exec, s[12:13]
	s_cbranch_vccnz .LBB1020_8
; %bb.6:
	s_add_u32 s10, s10, s14
	s_addc_u32 s11, s11, s15
	s_load_dword s5, s[10:11], 0x0
	s_branch .LBB1020_9
.LBB1020_7:
	s_mov_b64 s[14:15], 0
	s_branch .LBB1020_2
.LBB1020_8:
	s_mov_b32 s5, s2
.LBB1020_9:
	s_load_dwordx2 s[10:11], s[0:1], 0x10
	s_load_dwordx4 s[44:47], s[0:1], 0x48
	v_lshrrev_b32_e32 v57, 6, v0
	v_bfe_u32 v62, v0, 4, 2
	v_and_b32_e32 v56, 15, v0
	v_lshl_or_b32 v5, v57, 2, v62
	v_lshlrev_b32_e32 v1, 3, v56
	s_mul_i32 s48, s4, 13
	v_cmp_gt_u32_e32 vcc, 13, v5
	v_lshlrev_b32_e32 v54, 1, v1
	v_lshlrev_b32_e32 v1, 4, v0
	s_and_saveexec_b64 s[12:13], vcc
	s_cbranch_execz .LBB1020_11
; %bb.10:
	s_load_dwordx2 s[14:15], s[0:1], 0x0
	s_waitcnt lgkmcnt(0)
	s_ashr_i32 s20, s44, 31
	s_mul_hi_u32 s21, s5, s44
	s_mul_i32 s20, s5, s20
	s_add_i32 s21, s21, s20
	s_mul_i32 s20, s5, s44
	s_lshl_b64 s[20:21], s[20:21], 1
	s_add_u32 s14, s14, s20
	v_add_lshl_u32 v6, v5, s48, 7
	s_addc_u32 s15, s15, s21
	v_ashrrev_i32_e32 v7, 31, v6
	v_lshl_add_u64 v[6:7], v[6:7], 1, s[14:15]
	v_mov_b32_e32 v55, 0
	v_lshl_add_u64 v[6:7], v[6:7], 0, v[54:55]
	global_load_dwordx4 v[6:9], v[6:7], off
	v_lshlrev_b32_e32 v12, 8, v0
	v_lshlrev_b32_e32 v11, 8, v56
	v_and_b32_e32 v12, 0x600, v12
	s_movk_i32 s5, 0x800
	v_and_or_b32 v11, v11, s5, v12
	v_lshlrev_b32_e32 v5, 5, v5
	v_and_b32_e32 v12, 16, v1
	v_or3_b32 v5, v11, v5, v12
	s_waitcnt vmcnt(0)
	ds_write_b128 v5, v[6:9]
.LBB1020_11:
	s_or_b64 exec, exec, s[12:13]
	s_waitcnt lgkmcnt(0)
	s_mul_i32 s12, s4, s46
	s_add_u32 s4, s16, s12
	s_addc_u32 s5, s17, 0
	v_mov_b32_e32 v59, 0
	v_mov_b64_e32 v[12:13], s[4:5]
	v_and_b32_e32 v34, 48, v0
	s_waitcnt vmcnt(3)
	v_mad_i64_i32 v[4:5], s[4:5], v4, s45, v[12:13]
	v_lshlrev_b32_e32 v14, 4, v56
	v_mov_b32_e32 v15, v59
	v_lshlrev_b32_e32 v58, 5, v34
	v_lshl_add_u64 v[4:5], v[4:5], 0, v[14:15]
	v_lshl_add_u64 v[4:5], v[4:5], 0, v[58:59]
	s_barrier
	global_load_dwordx4 v[50:53], v[4:5], off
	global_load_dwordx4 v[46:49], v[4:5], off offset:2048
	s_waitcnt vmcnt(4)
	v_mad_i64_i32 v[4:5], s[4:5], v3, s45, v[12:13]
	v_or_b32_e32 v16, 0x100, v14
	v_mov_b32_e32 v17, v59
	s_waitcnt vmcnt(3)
	v_mad_i64_i32 v[2:3], s[4:5], v2, s45, v[12:13]
	v_lshl_add_u64 v[4:5], v[4:5], 0, v[16:17]
	v_lshl_add_u64 v[2:3], v[2:3], 0, v[14:15]
	s_waitcnt vmcnt(2)
	v_mad_i64_i32 v[10:11], s[4:5], v10, s45, v[12:13]
	v_lshl_add_u64 v[4:5], v[4:5], 0, v[58:59]
	v_lshl_add_u64 v[14:15], v[2:3], 0, v[58:59]
	;; [unrolled: 1-line block ×3, first 2 shown]
	global_load_dwordx4 v[36:39], v[4:5], off
	global_load_dwordx4 v[6:9], v[4:5], off offset:2048
	s_nop 0
	global_load_dwordx4 v[2:5], v[14:15], off
	global_load_dwordx4 v[42:45], v[14:15], off offset:2048
	v_lshl_add_u64 v[14:15], v[10:11], 0, v[58:59]
	global_load_dwordx4 v[26:29], v[14:15], off
	global_load_dwordx4 v[10:13], v[14:15], off offset:2048
	v_add_u32_e32 v14, -13, v56
	v_cmp_gt_u32_e32 vcc, 13, v56
	v_and_b32_e32 v55, 63, v0
	v_mov_b32_e32 v63, 0
	v_cndmask_b32_e32 v14, v14, v56, vcc
	v_lshlrev_b32_e32 v14, 5, v14
	v_lshl_add_u32 v14, v62, 9, v14
	ds_read_b128 v[30:33], v14
	ds_read_b128 v[22:25], v14 offset:16
	ds_read_b128 v[18:21], v14 offset:2048
	;; [unrolled: 1-line block ×3, first 2 shown]
	s_and_saveexec_b64 s[4:5], vcc
	s_cbranch_execz .LBB1020_13
; %bb.12:
	s_load_dwordx2 s[14:15], s[0:1], 0x40
	v_add_u32_e32 v40, s48, v56
	v_ashrrev_i32_e32 v41, 31, v40
	s_waitcnt lgkmcnt(0)
	v_lshl_add_u64 v[40:41], v[40:41], 2, s[14:15]
	global_load_dword v63, v[40:41], off
.LBB1020_13:
	s_or_b64 exec, exec, s[4:5]
	s_ashr_i32 s4, s18, 31
	v_or_b32_e32 v58, s18, v34
	s_lshr_b32 s4, s4, 27
	v_add_u32_e32 v34, s4, v58
	v_cmp_gt_i32_e32 vcc, s7, v58
	v_or_b32_e32 v40, 64, v58
	v_or_b32_e32 v60, 0x80, v58
	;; [unrolled: 1-line block ×3, first 2 shown]
	v_add_u32_e32 v64, s4, v58
	v_ashrrev_i32_e32 v69, 5, v64
	s_waitcnt vmcnt(7)
	v_cvt_pk_f32_fp8_e32 v[64:65], v50
	v_cvt_pk_f32_fp8_sdwa v[66:67], v50 src0_sel:WORD_1
	v_cvt_pk_f32_fp8_e32 v[70:71], v51
	v_cvt_pk_f32_fp8_sdwa v[50:51], v51 src0_sel:WORD_1
	v_cvt_pkrtz_f16_f32 v64, v64, v65
	v_cvt_pkrtz_f16_f32 v65, v66, v67
	;; [unrolled: 1-line block ×3, first 2 shown]
	v_cvt_pk_f32_fp8_e32 v[72:73], v52
	v_cvt_pk_f32_fp8_sdwa v[74:75], v52 src0_sel:WORD_1
	v_cvt_pkrtz_f16_f32 v71, v50, v51
	s_waitcnt lgkmcnt(3)
	v_mfma_f32_16x16x16_f16 v[64:67], v[64:65], v[30:31], 0
	v_cvt_pkrtz_f16_f32 v72, v72, v73
	v_cvt_pkrtz_f16_f32 v73, v74, v75
	v_cvt_pk_f32_fp8_e32 v[74:75], v53
	v_cvt_pk_f32_fp8_sdwa v[76:77], v53 src0_sel:WORD_1
	v_mfma_f32_16x16x16_f16 v[50:53], v[70:71], v[32:33], v[64:67]
	v_ashrrev_i32_e32 v34, 5, v34
	v_mov_b32_e32 v68, s19
	v_add_u32_e32 v41, s4, v40
	v_cndmask_b32_e32 v34, v68, v34, vcc
	v_ashrrev_i32_e32 v41, 5, v41
	v_cmp_gt_i32_e32 vcc, s7, v40
	v_add_u32_e32 v61, s4, v60
	v_cvt_pkrtz_f16_f32 v64, v74, v75
	v_cvt_pkrtz_f16_f32 v65, v76, v77
	v_cndmask_b32_e32 v40, v68, v41, vcc
	v_ashrrev_i32_e32 v61, 5, v61
	v_cmp_gt_i32_e32 vcc, s7, v60
	s_waitcnt lgkmcnt(2)
	v_mfma_f32_16x16x16_f16 v[50:53], v[72:73], v[22:23], v[50:53]
	s_waitcnt vmcnt(6)
	v_cvt_pk_f32_fp8_e32 v[66:67], v46
	v_cndmask_b32_e32 v60, v68, v61, vcc
	v_cmp_gt_i32_e32 vcc, s7, v58
	v_ashrrev_i32_e32 v35, 31, v34
	v_lshl_add_u64 v[34:35], v[34:35], 2, s[8:9]
	v_cndmask_b32_e32 v68, v68, v69, vcc
	v_ashrrev_i32_e32 v41, 31, v40
	v_ashrrev_i32_e32 v61, 31, v60
	;; [unrolled: 1-line block ×3, first 2 shown]
	v_lshl_add_u64 v[40:41], v[40:41], 2, s[8:9]
	v_lshl_add_u64 v[60:61], v[60:61], 2, s[8:9]
	v_lshl_add_u64 v[72:73], v[68:69], 2, s[8:9]
	v_mfma_f32_16x16x16_f16 v[50:53], v[64:65], v[24:25], v[50:53]
	v_cvt_pkrtz_f16_f32 v74, v66, v67
	global_load_dword v68, v[34:35], off
	global_load_dword v66, v[40:41], off
	;; [unrolled: 1-line block ×4, first 2 shown]
	v_cvt_pk_f32_fp8_sdwa v[70:71], v46 src0_sel:WORD_1
	v_cvt_pk_f32_fp8_e32 v[40:41], v48
	s_waitcnt vmcnt(9)
	v_cvt_pk_f32_fp8_e32 v[60:61], v36
	s_add_u32 s4, s10, s12
	v_cvt_pkrtz_f16_f32 v75, v70, v71
	v_cvt_pk_f32_fp8_e32 v[70:71], v47
	v_cvt_pk_f32_fp8_sdwa v[46:47], v47 src0_sel:WORD_1
	s_waitcnt lgkmcnt(1)
	v_mfma_f32_16x16x16_f16 v[50:53], v[74:75], v[18:19], v[50:53]
	v_cvt_pkrtz_f16_f32 v34, v70, v71
	v_cvt_pkrtz_f16_f32 v35, v46, v47
	v_cvt_pk_f32_fp8_sdwa v[46:47], v48 src0_sel:WORD_1
	v_cvt_pkrtz_f16_f32 v40, v40, v41
	v_mfma_f32_16x16x16_f16 v[50:53], v[34:35], v[20:21], v[50:53]
	v_cvt_pkrtz_f16_f32 v41, v46, v47
	v_cvt_pk_f32_fp8_e32 v[34:35], v49
	v_cvt_pk_f32_fp8_sdwa v[46:47], v49 src0_sel:WORD_1
	v_cvt_pk_f32_fp8_sdwa v[70:71], v36 src0_sel:WORD_1
	s_addc_u32 s5, s11, 0
	v_cvt_pkrtz_f16_f32 v34, v34, v35
	v_cvt_pkrtz_f16_f32 v35, v46, v47
	s_waitcnt lgkmcnt(0)
	v_mfma_f32_16x16x16_f16 v[46:49], v[40:41], v[14:15], v[50:53]
	v_cvt_pkrtz_f16_f32 v40, v60, v61
	v_cvt_pkrtz_f16_f32 v41, v70, v71
	s_waitcnt vmcnt(8)
	v_cvt_pk_f32_fp8_sdwa v[60:61], v6 src0_sel:WORD_1
	v_cvt_pk_f32_fp8_e32 v[50:51], v37
	v_cvt_pk_f32_fp8_sdwa v[52:53], v37 src0_sel:WORD_1
	v_mfma_f32_16x16x16_f16 v[34:37], v[34:35], v[16:17], v[46:49]
	v_and_b32_e32 v58, 16, v0
	v_cvt_pkrtz_f16_f32 v50, v50, v51
	v_cvt_pkrtz_f16_f32 v51, v52, v53
	v_mfma_f32_16x16x16_f16 v[46:49], v[40:41], v[30:31], 0
	v_cvt_pk_f32_fp8_e32 v[40:41], v38
	v_cvt_pk_f32_fp8_sdwa v[52:53], v38 src0_sel:WORD_1
	v_lshl_or_b32 v64, v57, 4, v56
	v_mfma_f32_16x16x16_f16 v[46:49], v[50:51], v[32:33], v[46:49]
	v_cvt_pk_f32_fp8_e32 v[50:51], v39
	v_cvt_pkrtz_f16_f32 v40, v40, v41
	v_cvt_pkrtz_f16_f32 v41, v52, v53
	v_cvt_pk_f32_fp8_sdwa v[38:39], v39 src0_sel:WORD_1
	v_cvt_pkrtz_f16_f32 v50, v50, v51
	v_cvt_pk_f32_fp8_e32 v[52:53], v6
	s_waitcnt vmcnt(6)
	v_cvt_pk_f32_fp8_e32 v[74:75], v43
	v_cvt_pkrtz_f16_f32 v51, v38, v39
	v_mfma_f32_16x16x16_f16 v[38:41], v[40:41], v[22:23], v[46:49]
	s_nop 2
	v_cvt_pkrtz_f16_f32 v48, v52, v53
	v_cvt_pkrtz_f16_f32 v49, v60, v61
	v_cvt_pk_f32_fp8_e32 v[52:53], v7
	v_cvt_pk_f32_fp8_sdwa v[6:7], v7 src0_sel:WORD_1
	v_mfma_f32_16x16x16_f16 v[38:41], v[50:51], v[24:25], v[38:41]
	v_lshl_add_u64 v[46:47], s[4:5], 0, v[58:59]
	v_cvt_pkrtz_f16_f32 v50, v52, v53
	v_cvt_pkrtz_f16_f32 v51, v6, v7
	v_mfma_f32_16x16x16_f16 v[38:41], v[48:49], v[18:19], v[38:41]
	v_cvt_pk_f32_fp8_e32 v[6:7], v8
	v_cvt_pk_f32_fp8_sdwa v[48:49], v8 src0_sel:WORD_1
	v_cvt_pk_f32_fp8_sdwa v[52:53], v2 src0_sel:WORD_1
	v_mfma_f32_16x16x16_f16 v[38:41], v[50:51], v[20:21], v[38:41]
	v_cvt_pk_f32_fp8_e32 v[50:51], v9
	v_cvt_pkrtz_f16_f32 v6, v6, v7
	v_cvt_pkrtz_f16_f32 v7, v48, v49
	v_cvt_pk_f32_fp8_sdwa v[8:9], v9 src0_sel:WORD_1
	v_cvt_pkrtz_f16_f32 v48, v50, v51
	v_cvt_pk_f32_fp8_e32 v[50:51], v2
	v_lshlrev_b32_e32 v58, 5, v64
	v_cvt_pkrtz_f16_f32 v49, v8, v9
	v_mfma_f32_16x16x16_f16 v[6:9], v[6:7], v[14:15], v[38:41]
	v_cvt_pkrtz_f16_f32 v50, v50, v51
	v_cvt_pkrtz_f16_f32 v51, v52, v53
	v_cvt_pk_f32_fp8_e32 v[52:53], v3
	v_cvt_pk_f32_fp8_sdwa v[2:3], v3 src0_sel:WORD_1
	v_mfma_f32_16x16x16_f16 v[38:41], v[48:49], v[16:17], v[6:9]
	v_lshl_add_u64 v[48:49], v[46:47], 0, v[58:59]
	v_cvt_pkrtz_f16_f32 v52, v52, v53
	v_cvt_pkrtz_f16_f32 v53, v2, v3
	v_mfma_f32_16x16x16_f16 v[6:9], v[50:51], v[30:31], 0
	v_cvt_pk_f32_fp8_e32 v[2:3], v4
	v_cvt_pk_f32_fp8_sdwa v[50:51], v4 src0_sel:WORD_1
	s_waitcnt vmcnt(3)
	v_mad_i64_i32 v[60:61], s[4:5], v68, s45, v[48:49]
	v_cvt_pkrtz_f16_f32 v2, v2, v3
	v_cvt_pkrtz_f16_f32 v3, v50, v51
	v_mfma_f32_16x16x16_f16 v[6:9], v[52:53], v[32:33], v[6:9]
	v_cvt_pk_f32_fp8_e32 v[50:51], v5
	v_cvt_pk_f32_fp8_sdwa v[4:5], v5 src0_sel:WORD_1
	s_waitcnt vmcnt(2)
	v_mad_i64_i32 v[70:71], s[4:5], v66, s45, v[48:49]
	v_cvt_pkrtz_f16_f32 v50, v50, v51
	v_cvt_pkrtz_f16_f32 v51, v4, v5
	v_mfma_f32_16x16x16_f16 v[2:5], v[2:3], v[22:23], v[6:9]
	v_or_b32_e32 v58, 0x800, v58
	s_nop 1
	v_cvt_pk_f32_fp8_e32 v[6:7], v42
	v_cvt_pk_f32_fp8_sdwa v[8:9], v42 src0_sel:WORD_1
	v_cvt_pk_f32_fp8_sdwa v[42:43], v43 src0_sel:WORD_1
	v_mfma_f32_16x16x16_f16 v[50:53], v[50:51], v[24:25], v[2:5]
	v_cvt_pkrtz_f16_f32 v72, v6, v7
	v_cvt_pkrtz_f16_f32 v73, v8, v9
	global_load_dwordx4 v[6:9], v[60:61], off
	global_load_dwordx4 v[2:5], v[70:71], off
	v_cvt_pkrtz_f16_f32 v60, v74, v75
	v_cvt_pkrtz_f16_f32 v61, v42, v43
	v_mfma_f32_16x16x16_f16 v[70:73], v[72:73], v[18:19], v[50:53]
	v_cvt_pk_f32_fp8_e32 v[42:43], v44
	v_cvt_pkrtz_f16_f32 v42, v42, v43
	s_nop 0
	v_cvt_pk_f32_fp8_sdwa v[52:53], v44 src0_sel:WORD_1
	v_mfma_f32_16x16x16_f16 v[70:73], v[60:61], v[20:21], v[70:73]
	v_cvt_pk_f32_fp8_e32 v[60:61], v45
	s_waitcnt vmcnt(3)
	v_mad_i64_i32 v[50:51], s[4:5], v67, s45, v[48:49]
	s_load_dword s4, s[0:1], 0x1c
	s_load_dwordx4 s[40:43], s[0:1], 0x80
	v_cvt_pkrtz_f16_f32 v43, v52, v53
	v_cvt_pkrtz_f16_f32 v74, v60, v61
	v_cvt_pk_f32_fp8_e32 v[52:53], v26
	v_cvt_pk_f32_fp8_sdwa v[60:61], v26 src0_sel:WORD_1
	s_load_dword s33, s[0:1], 0x98
	s_waitcnt lgkmcnt(0)
	s_load_dword s5, s[40:41], 0x0
	v_cvt_pk_f32_fp8_sdwa v[44:45], v45 src0_sel:WORD_1
	v_cvt_pkrtz_f16_f32 v52, v52, v53
	v_cvt_pkrtz_f16_f32 v53, v60, v61
	v_cvt_pk_f32_fp8_e32 v[60:61], v27
	v_cvt_pk_f32_fp8_sdwa v[26:27], v27 src0_sel:WORD_1
	v_cvt_pkrtz_f16_f32 v75, v44, v45
	v_mfma_f32_16x16x16_f16 v[42:45], v[42:43], v[14:15], v[70:73]
	v_cvt_pkrtz_f16_f32 v60, v60, v61
	v_cvt_pkrtz_f16_f32 v61, v26, v27
	v_mov_b32_e32 v26, s4
	v_mfma_f32_16x16x16_f16 v[70:73], v[52:53], v[30:31], 0
	s_waitcnt lgkmcnt(0)
	v_mul_f32_e32 v52, s5, v26
	v_cvt_pk_f32_fp8_e32 v[26:27], v28
	v_cvt_pk_f32_fp8_sdwa v[30:31], v28 src0_sel:WORD_1
	v_mfma_f32_16x16x16_f16 v[70:73], v[60:61], v[32:33], v[70:73]
	v_cvt_pk_f32_fp8_e32 v[32:33], v29
	v_cvt_pk_f32_fp8_sdwa v[28:29], v29 src0_sel:WORD_1
	v_cvt_pkrtz_f16_f32 v26, v26, v27
	v_cvt_pkrtz_f16_f32 v27, v30, v31
	v_mfma_f32_16x16x16_f16 v[42:45], v[74:75], v[16:17], v[42:45]
	v_cvt_pkrtz_f16_f32 v32, v32, v33
	v_cvt_pkrtz_f16_f32 v33, v28, v29
	v_cvt_pk_f32_fp8_e32 v[60:61], v10
	v_cvt_pk_f32_fp8_sdwa v[74:75], v10 src0_sel:WORD_1
	v_mfma_f32_16x16x16_f16 v[26:29], v[26:27], v[22:23], v[70:73]
	v_pk_mul_f32 v[30:31], v[52:53], v[36:37] op_sel_hi:[0,1]
	v_cvt_pkrtz_f16_f32 v36, v60, v61
	v_cvt_pkrtz_f16_f32 v37, v74, v75
	v_cvt_pk_f32_fp8_e32 v[60:61], v11
	v_cvt_pk_f32_fp8_sdwa v[70:71], v11 src0_sel:WORD_1
	v_mfma_f32_16x16x16_f16 v[22:25], v[32:33], v[24:25], v[26:29]
	v_pk_mul_f32 v[10:11], v[52:53], v[34:35] op_sel_hi:[0,1]
	v_cvt_pkrtz_f16_f32 v60, v60, v61
	v_cvt_pkrtz_f16_f32 v61, v70, v71
	v_mfma_f32_16x16x16_f16 v[32:35], v[36:37], v[18:19], v[22:25]
	v_cvt_pk_f32_fp8_e32 v[18:19], v12
	v_cvt_pk_f32_fp8_sdwa v[36:37], v12 src0_sel:WORD_1
	s_waitcnt vmcnt(2)
	v_mad_i64_i32 v[48:49], s[8:9], v65, s45, v[48:49]
	global_load_dwordx4 v[26:29], v[50:51], off
	global_load_dwordx4 v[22:25], v[48:49], off
	v_cvt_pkrtz_f16_f32 v48, v18, v19
	v_cvt_pkrtz_f16_f32 v49, v36, v37
	v_cvt_pk_f32_fp8_e32 v[36:37], v13
	v_cvt_pk_f32_fp8_sdwa v[12:13], v13 src0_sel:WORD_1
	v_mfma_f32_16x16x16_f16 v[18:21], v[60:61], v[20:21], v[32:35]
	v_pk_mul_f32 v[40:41], v[52:53], v[40:41] op_sel_hi:[0,1]
	v_pk_mul_f32 v[42:43], v[52:53], v[42:43] op_sel_hi:[0,1]
	s_mov_b32 s40, 0xff7fffff
	v_cvt_pkrtz_f16_f32 v32, v36, v37
	v_cvt_pkrtz_f16_f32 v33, v12, v13
	v_mfma_f32_16x16x16_f16 v[12:15], v[48:49], v[14:15], v[18:21]
	v_pk_mul_f32 v[48:49], v[52:53], v[38:39] op_sel_hi:[0,1]
	v_pk_mul_f32 v[38:39], v[52:53], v[44:45] op_sel_hi:[0,1]
	v_mfma_f32_16x16x16_f16 v[12:15], v[32:33], v[16:17], v[12:15]
	s_nop 6
	v_pk_mul_f32 v[36:37], v[52:53], v[12:13] op_sel_hi:[0,1]
	v_and_b32_e32 v12, 0xc0, v0
	v_add_u32_e32 v12, s18, v12
	v_lshl_or_b32 v12, v62, 2, v12
	v_or_b32_e32 v13, 1, v12
	v_pk_mul_f32 v[34:35], v[52:53], v[14:15] op_sel_hi:[0,1]
	v_subrev_u32_e32 v14, s7, v13
	v_add_u32_e32 v16, 1, v14
	v_add_u32_e32 v17, 2, v14
	v_cvt_f32_i32_e32 v15, v14
	v_cvt_f32_i32_e32 v16, v16
	;; [unrolled: 1-line block ×3, first 2 shown]
	v_add_u32_e32 v18, 3, v14
	v_fma_f32 v10, v63, v15, v10
	v_fmac_f32_e32 v11, v63, v16
	v_fma_f32 v51, v63, v17, v30
	v_add_u32_e32 v15, 16, v14
	v_add_u32_e32 v16, 17, v14
	;; [unrolled: 1-line block ×3, first 2 shown]
	v_cvt_f32_i32_e32 v18, v18
	v_cvt_f32_i32_e32 v15, v15
	;; [unrolled: 1-line block ×4, first 2 shown]
	v_fmac_f32_e32 v31, v63, v18
	v_add_u32_e32 v18, 19, v14
	v_fma_f32 v48, v63, v15, v48
	v_fmac_f32_e32 v49, v63, v16
	v_fma_f32 v40, v63, v17, v40
	v_add_u32_e32 v15, 32, v14
	v_add_u32_e32 v16, 33, v14
	;; [unrolled: 1-line block ×3, first 2 shown]
	v_cvt_f32_i32_e32 v18, v18
	v_cvt_f32_i32_e32 v15, v15
	;; [unrolled: 1-line block ×4, first 2 shown]
	v_fmac_f32_e32 v41, v63, v18
	v_add_u32_e32 v18, 35, v14
	v_fma_f32 v42, v63, v15, v42
	v_fmac_f32_e32 v43, v63, v16
	v_fma_f32 v38, v63, v17, v38
	v_add_u32_e32 v15, 48, v14
	v_add_u32_e32 v16, 49, v14
	v_add_u32_e32 v17, 50, v14
	v_add_u32_e32 v14, 51, v14
	v_cvt_f32_i32_e32 v14, v14
	v_cvt_f32_i32_e32 v15, v15
	;; [unrolled: 1-line block ×3, first 2 shown]
	v_cmp_gt_i32_e64 s[8:9], s7, v12
	v_fmac_f32_e32 v35, v63, v14
	v_mov_b32_e32 v14, 0xff7fffff
	v_cmp_gt_i32_e64 s[10:11], s7, v13
	v_fma_f32 v36, v63, v15, v36
	v_cndmask_b32_e64 v15, v14, v10, s[8:9]
	v_cndmask_b32_e64 v13, v14, v11, s[10:11]
	v_fmac_f32_e32 v37, v63, v16
	v_max3_f32 v13, v15, s40, v13
	v_or_b32_e32 v15, 2, v12
	v_or_b32_e32 v16, 3, v12
	v_cmp_gt_i32_e64 s[12:13], s7, v15
	v_cmp_gt_i32_e64 s[14:15], s7, v16
	v_cvt_f32_i32_e32 v18, v18
	v_cndmask_b32_e64 v15, v14, v51, s[12:13]
	v_cndmask_b32_e64 v16, v14, v31, s[14:15]
	v_max3_f32 v13, v13, v15, v16
	v_or_b32_e32 v15, 16, v12
	v_or_b32_e32 v16, 17, v12
	v_cmp_gt_i32_e64 s[16:17], s7, v15
	v_cmp_gt_i32_e64 s[18:19], s7, v16
	v_fmac_f32_e32 v39, v63, v18
	v_cndmask_b32_e64 v15, v14, v48, s[16:17]
	v_cndmask_b32_e64 v16, v14, v49, s[18:19]
	v_max3_f32 v13, v13, v15, v16
	v_or_b32_e32 v15, 18, v12
	v_or_b32_e32 v16, 19, v12
	v_cmp_gt_i32_e64 s[20:21], s7, v15
	v_cmp_gt_i32_e64 s[22:23], s7, v16
	v_cvt_f32_i32_e32 v17, v17
	v_cndmask_b32_e64 v15, v14, v40, s[20:21]
	v_cndmask_b32_e64 v16, v14, v41, s[22:23]
	v_max3_f32 v13, v13, v15, v16
	v_or_b32_e32 v15, 32, v12
	v_or_b32_e32 v16, 33, v12
	v_cmp_gt_i32_e64 s[24:25], s7, v15
	v_cmp_gt_i32_e64 s[26:27], s7, v16
	v_fma_f32 v34, v63, v17, v34
	v_cndmask_b32_e64 v15, v14, v42, s[24:25]
	v_cndmask_b32_e64 v16, v14, v43, s[26:27]
	v_max3_f32 v13, v13, v15, v16
	v_or_b32_e32 v15, 34, v12
	v_or_b32_e32 v16, 35, v12
	v_cmp_gt_i32_e64 s[28:29], s7, v15
	v_cmp_gt_i32_e64 s[30:31], s7, v16
	s_nop 0
	v_cndmask_b32_e64 v15, v14, v38, s[28:29]
	v_cndmask_b32_e64 v16, v14, v39, s[30:31]
	v_max3_f32 v13, v13, v15, v16
	v_or_b32_e32 v15, 48, v12
	v_or_b32_e32 v16, 49, v12
	v_cmp_gt_i32_e64 s[34:35], s7, v15
	v_cmp_gt_i32_e64 s[36:37], s7, v16
	s_nop 0
	v_cndmask_b32_e64 v15, v14, v36, s[34:35]
	v_cndmask_b32_e64 v16, v14, v37, s[36:37]
	v_max3_f32 v13, v13, v15, v16
	v_or_b32_e32 v15, 50, v12
	v_or_b32_e32 v12, 51, v12
	v_cmp_gt_i32_e32 vcc, s7, v15
	v_cmp_gt_i32_e64 s[4:5], s7, v12
	s_nop 0
	v_cndmask_b32_e32 v15, v14, v34, vcc
	v_cndmask_b32_e64 v12, v14, v35, s[4:5]
	v_max3_f32 v16, v13, v15, v12
	v_mbcnt_lo_u32_b32 v12, -1, 0
	v_mbcnt_hi_u32_b32 v17, -1, v12
	v_and_b32_e32 v12, 64, v17
	v_add_u32_e32 v18, 64, v12
	v_xor_b32_e32 v12, 32, v17
	v_cmp_lt_i32_e64 s[38:39], v12, v18
	s_nop 1
	v_cndmask_b32_e64 v12, v17, v12, s[38:39]
	v_lshlrev_b32_e32 v52, 2, v12
	ds_bpermute_b32 v19, v52, v16
	v_lshl_add_u64 v[12:13], v[46:47], 0, v[58:59]
	v_mad_i64_i32 v[14:15], s[38:39], v68, s45, v[12:13]
	s_waitcnt lgkmcnt(0)
	v_max_f32_e32 v19, v19, v19
	v_max_f32_e32 v19, v16, v19
	v_xor_b32_e32 v16, 16, v17
	v_cmp_lt_i32_e64 s[38:39], v16, v18
	s_nop 1
	v_cndmask_b32_e64 v16, v17, v16, s[38:39]
	v_lshlrev_b32_e32 v53, 2, v16
	ds_bpermute_b32 v18, v53, v19
	v_mad_i64_i32 v[16:17], s[38:39], v66, s45, v[12:13]
	v_mad_i64_i32 v[44:45], s[38:39], v67, s45, v[12:13]
	s_waitcnt lgkmcnt(0)
	v_max_f32_e32 v18, v18, v18
	v_max_f32_e32 v50, v19, v18
	v_sub_f32_e32 v10, v10, v50
	v_mul_f32_e32 v10, 0x3fb8aa3b, v10
	v_exp_f32_e32 v18, v10
	v_sub_f32_e32 v10, v11, v50
	v_mul_f32_e32 v10, 0x3fb8aa3b, v10
	v_exp_f32_e32 v19, v10
	v_mad_i64_i32 v[10:11], s[38:39], v65, s45, v[12:13]
	v_sub_f32_e32 v12, v51, v50
	v_mul_f32_e32 v12, 0x3fb8aa3b, v12
	v_cndmask_b32_e64 v46, 0, v18, s[8:9]
	v_cndmask_b32_e64 v47, 0, v19, s[10:11]
	v_sub_f32_e32 v58, v31, v50
	global_load_dwordx4 v[30:33], v[14:15], off
	global_load_dwordx4 v[18:21], v[16:17], off
	v_exp_f32_e32 v51, v12
	global_load_dwordx4 v[14:17], v[44:45], off
	s_nop 0
	global_load_dwordx4 v[10:13], v[10:11], off
	v_sub_f32_e32 v45, v48, v50
	v_sub_f32_e32 v48, v49, v50
	;; [unrolled: 1-line block ×4, first 2 shown]
	v_mul_f32_e32 v44, 0x3fb8aa3b, v58
	v_mul_f32_e32 v45, 0x3fb8aa3b, v45
	;; [unrolled: 1-line block ×5, first 2 shown]
	v_exp_f32_e32 v44, v44
	v_exp_f32_e32 v45, v45
	;; [unrolled: 1-line block ×3, first 2 shown]
	v_cndmask_b32_e64 v48, 0, v51, s[12:13]
	v_exp_f32_e32 v40, v40
	v_exp_f32_e32 v51, v42
	v_sub_f32_e32 v42, v43, v50
	v_mul_f32_e32 v42, 0x3fb8aa3b, v42
	v_cndmask_b32_e64 v49, 0, v44, s[14:15]
	v_cndmask_b32_e64 v44, 0, v45, s[16:17]
	;; [unrolled: 1-line block ×3, first 2 shown]
	v_sub_f32_e32 v41, v41, v50
	v_exp_f32_e32 v58, v42
	v_cndmask_b32_e64 v42, 0, v40, s[20:21]
	v_cndmask_b32_e64 v40, 0, v51, s[24:25]
	v_add_f32_e32 v51, 0, v46
	v_mul_f32_e32 v41, 0x3fb8aa3b, v41
	v_add_f32_e32 v51, v51, v47
	v_exp_f32_e32 v41, v41
	v_add_f32_e32 v51, v51, v48
	v_sub_f32_e32 v38, v38, v50
	v_add_f32_e32 v51, v51, v49
	v_sub_f32_e32 v39, v39, v50
	v_mul_f32_e32 v38, 0x3fb8aa3b, v38
	v_add_f32_e32 v51, v51, v44
	v_exp_f32_e32 v38, v38
	v_mul_f32_e32 v39, 0x3fb8aa3b, v39
	v_sub_f32_e32 v36, v36, v50
	v_add_f32_e32 v51, v51, v45
	v_cndmask_b32_e64 v43, 0, v41, s[22:23]
	v_exp_f32_e32 v39, v39
	v_mul_f32_e32 v36, 0x3fb8aa3b, v36
	v_sub_f32_e32 v37, v37, v50
	v_add_f32_e32 v51, v51, v42
	v_exp_f32_e32 v36, v36
	v_mul_f32_e32 v37, 0x3fb8aa3b, v37
	v_add_f32_e32 v51, v51, v43
	v_sub_f32_e32 v34, v34, v50
	v_cndmask_b32_e64 v41, 0, v58, s[26:27]
	v_exp_f32_e32 v37, v37
	v_add_f32_e32 v51, v51, v40
	v_mul_f32_e32 v34, 0x3fb8aa3b, v34
	v_sub_f32_e32 v35, v35, v50
	v_cndmask_b32_e64 v38, 0, v38, s[28:29]
	v_add_f32_e32 v51, v51, v41
	v_exp_f32_e32 v34, v34
	v_mul_f32_e32 v35, 0x3fb8aa3b, v35
	v_cndmask_b32_e64 v39, 0, v39, s[30:31]
	v_add_f32_e32 v51, v51, v38
	v_exp_f32_e32 v35, v35
	v_cndmask_b32_e64 v36, 0, v36, s[34:35]
	v_add_f32_e32 v51, v51, v39
	v_cndmask_b32_e64 v37, 0, v37, s[36:37]
	v_add_f32_e32 v51, v51, v36
	v_add_f32_e32 v51, v51, v37
	v_cndmask_b32_e32 v34, 0, v34, vcc
	v_add_f32_e32 v51, v51, v34
	v_cndmask_b32_e64 v35, 0, v35, s[4:5]
	v_add_f32_e32 v51, v51, v35
	ds_bpermute_b32 v52, v52, v51
	v_cmp_gt_u32_e64 s[4:5], 16, v55
	s_waitcnt lgkmcnt(0)
	s_barrier
	v_add_f32_e32 v51, v51, v52
	ds_bpermute_b32 v52, v53, v51
	s_and_saveexec_b64 s[8:9], s[4:5]
	s_cbranch_execz .LBB1020_15
; %bb.14:
	s_waitcnt lgkmcnt(0)
	v_add_f32_e32 v51, v51, v52
	v_lshlrev_b32_e32 v52, 2, v64
	ds_write2st64_b32 v52, v50, v51 offset1:1
.LBB1020_15:
	s_or_b64 exec, exec, s[8:9]
	v_lshlrev_b32_e32 v51, 2, v56
	s_load_dword s7, s[0:1], 0x94
	s_waitcnt lgkmcnt(0)
	s_barrier
	ds_read2_b32 v[52:53], v51 offset1:16
	ds_read2_b32 v[58:59], v51 offset0:32 offset1:48
	ds_read2_b32 v[60:61], v51 offset0:64 offset1:80
	s_mul_i32 s10, s33, 13
	s_waitcnt lgkmcnt(2)
	v_max3_f32 v50, v52, s40, v53
	s_waitcnt lgkmcnt(1)
	v_max3_f32 v50, v50, v58, v59
	v_sub_f32_e32 v52, v52, v50
	v_mul_f32_e32 v52, 0x3fb8aa3b, v52
	v_exp_f32_e32 v55, v52
	v_sub_f32_e32 v52, v53, v50
	v_mul_f32_e32 v52, 0x3fb8aa3b, v52
	v_exp_f32_e32 v63, v52
	;; [unrolled: 3-line block ×3, first 2 shown]
	ds_read2_b32 v[52:53], v51 offset0:96 offset1:112
	v_sub_f32_e32 v51, v59, v50
	v_mul_f32_e32 v51, 0x3fb8aa3b, v51
	v_exp_f32_e32 v59, v51
	s_waitcnt lgkmcnt(1)
	v_fma_f32 v51, v55, v60, 0
	v_fmac_f32_e32 v51, v63, v61
	s_waitcnt lgkmcnt(0)
	v_fmac_f32_e32 v51, v58, v52
	v_fmac_f32_e32 v51, v59, v53
	v_add_f32_e32 v52, 0x358637bd, v51
	v_div_scale_f32 v53, s[8:9], v52, v52, 1.0
	v_rcp_f32_e32 v60, v53
	s_barrier
	v_fma_f32 v61, -v53, v60, 1.0
	v_fmac_f32_e32 v60, v61, v60
	v_div_scale_f32 v61, vcc, 1.0, v52, 1.0
	v_mul_f32_e32 v64, v61, v60
	v_fma_f32 v65, -v53, v64, v61
	v_fmac_f32_e32 v64, v65, v60
	v_fma_f32 v53, -v53, v64, v61
	v_div_fmas_f32 v53, v53, v60, v64
	v_cmp_eq_u32_e32 vcc, 1, v57
	v_div_fixup_f32 v52, v53, v52, 1.0
	s_nop 0
	v_cndmask_b32_e32 v53, v55, v63, vcc
	v_cmp_eq_u32_e32 vcc, 2, v57
	s_nop 1
	v_cndmask_b32_e32 v53, v53, v58, vcc
	v_cmp_eq_u32_e32 vcc, 3, v57
	s_nop 1
	v_cndmask_b32_e32 v53, v53, v59, vcc
	v_mul_f32_e32 v52, v53, v52
	v_pk_mul_f32 v[48:49], v[52:53], v[48:49] op_sel_hi:[0,1]
	v_pk_mul_f32 v[46:47], v[52:53], v[46:47] op_sel_hi:[0,1]
	v_cvt_f16_f32_e32 v53, v48
	v_cvt_f16_f32_e32 v49, v49
	;; [unrolled: 1-line block ×4, first 2 shown]
	v_pk_mul_f32 v[42:43], v[52:53], v[42:43] op_sel_hi:[0,1]
	v_pk_mul_f32 v[44:45], v[52:53], v[44:45] op_sel_hi:[0,1]
	v_pack_b32_f16 v49, v53, v49
	v_cvt_f16_f32_e32 v44, v44
	v_cvt_f16_f32_e32 v45, v45
	;; [unrolled: 1-line block ×4, first 2 shown]
	v_pack_b32_f16 v48, v46, v47
	v_lshlrev_b32_e32 v47, 3, v62
	v_lshlrev_b32_e32 v46, 5, v56
	;; [unrolled: 1-line block ×3, first 2 shown]
	v_or3_b32 v55, v42, v46, v47
	v_pack_b32_f16 v42, v44, v45
	v_pack_b32_f16 v43, v53, v43
	v_pk_mul_f32 v[38:39], v[52:53], v[38:39] op_sel_hi:[0,1]
	v_pk_mul_f32 v[40:41], v[52:53], v[40:41] op_sel_hi:[0,1]
	v_pk_mul_f32 v[34:35], v[52:53], v[34:35] op_sel_hi:[0,1]
	v_pk_mul_f32 v[36:37], v[52:53], v[36:37] op_sel_hi:[0,1]
	ds_write2st64_b64 v55, v[48:49], v[42:43] offset1:1
	v_cvt_f16_f32_e32 v40, v40
	v_cvt_f16_f32_e32 v41, v41
	;; [unrolled: 1-line block ×8, first 2 shown]
	v_pack_b32_f16 v34, v40, v41
	v_pack_b32_f16 v35, v38, v39
	;; [unrolled: 1-line block ×4, first 2 shown]
	v_cmp_gt_u32_e32 vcc, 13, v0
	ds_write2st64_b64 v55, v[34:35], v[36:37] offset0:2 offset1:3
	s_and_saveexec_b64 s[8:9], vcc
	s_cbranch_execz .LBB1020_17
; %bb.16:
	s_mov_b32 s49, 0
	v_mov_b32_e32 v57, 0
	v_lshl_add_u64 v[34:35], s[48:49], 0, v[56:57]
	v_mov_b32_e32 v36, s10
	v_mad_u64_u32 v[34:35], s[16:17], s2, v36, v[34:35]
	s_mul_i32 s3, s3, s10
	v_mov_b32_e32 v36, s6
	v_mov_b32_e32 v37, v57
	s_load_dwordx4 s[12:15], s[0:1], 0x58
	v_add_u32_e32 v38, s3, v35
	v_mad_u64_u32 v[34:35], s[16:17], v34, s7, v[36:37]
	v_mov_b32_e32 v36, v35
	v_mad_u64_u32 v[36:37], s[16:17], v38, s7, v[36:37]
	v_mov_b32_e32 v35, v36
	v_lshlrev_b64 v[34:35], 2, v[34:35]
	s_waitcnt lgkmcnt(0)
	v_lshl_add_u64 v[36:37], s[14:15], 0, v[34:35]
	v_lshl_add_u64 v[34:35], s[12:13], 0, v[34:35]
	global_store_dword v[36:37], v50, off
	global_store_dword v[34:35], v51, off
.LBB1020_17:
	s_or_b64 exec, exec, s[8:9]
	s_waitcnt vmcnt(7)
	v_cvt_pk_f32_fp8_e32 v[34:35], v6
	v_cvt_pk_f32_fp8_sdwa v[36:37], v6 src0_sel:WORD_1
	v_lshl_or_b32 v50, v62, 9, v46
	s_waitcnt lgkmcnt(0)
	s_barrier
	v_cvt_pk_f32_fp8_e32 v[38:39], v7
	v_cvt_pkrtz_f16_f32 v6, v34, v35
	v_cvt_pk_f32_fp8_sdwa v[40:41], v7 src0_sel:WORD_1
	v_cvt_pkrtz_f16_f32 v7, v36, v37
	ds_read_b128 v[34:37], v50
	v_cvt_pkrtz_f16_f32 v46, v38, v39
	v_cvt_pkrtz_f16_f32 v47, v40, v41
	ds_read_b128 v[38:41], v50 offset:16
	v_cvt_pk_f32_fp8_e32 v[48:49], v8
	v_cvt_pk_f32_fp8_sdwa v[52:53], v8 src0_sel:WORD_1
	s_waitcnt lgkmcnt(1)
	v_mfma_f32_16x16x16_f16 v[42:45], v[6:7], v[34:35], 0
	s_waitcnt vmcnt(6)
	v_cvt_pk_f32_fp8_e32 v[58:59], v4
	v_cvt_pkrtz_f16_f32 v6, v48, v49
	v_cvt_pkrtz_f16_f32 v7, v52, v53
	v_cvt_pk_f32_fp8_e32 v[48:49], v9
	v_mfma_f32_16x16x16_f16 v[42:45], v[46:47], v[36:37], v[42:45]
	v_cvt_pk_f32_fp8_sdwa v[46:47], v9 src0_sel:WORD_1
	v_cvt_pk_f32_fp8_sdwa v[60:61], v4 src0_sel:WORD_1
	v_cvt_pkrtz_f16_f32 v48, v48, v49
	s_waitcnt lgkmcnt(0)
	v_mfma_f32_16x16x16_f16 v[6:9], v[6:7], v[38:39], v[42:45]
	v_cvt_pkrtz_f16_f32 v49, v46, v47
	s_waitcnt vmcnt(5)
	v_cvt_pk_f32_fp8_e32 v[64:65], v28
	v_cvt_pk_f32_fp8_sdwa v[66:67], v28 src0_sel:WORD_1
	v_cvt_pk_f32_fp8_e32 v[42:43], v2
	v_mfma_f32_16x16x16_f16 v[46:49], v[48:49], v[40:41], v[6:9]
	s_waitcnt vmcnt(4)
	v_cvt_pk_f32_fp8_sdwa v[68:69], v24 src0_sel:WORD_1
	s_load_dword s8, s[42:43], 0x0
	v_cvt_pk_f32_fp8_sdwa v[6:7], v2 src0_sel:WORD_1
	v_cvt_pk_f32_fp8_e32 v[8:9], v3
	v_cvt_pkrtz_f16_f32 v2, v42, v43
	v_cvt_pk_f32_fp8_sdwa v[42:43], v3 src0_sel:WORD_1
	v_cvt_pkrtz_f16_f32 v3, v6, v7
	v_cvt_pkrtz_f16_f32 v52, v8, v9
	ds_read_b128 v[6:9], v50 offset:2048
	v_cvt_pkrtz_f16_f32 v53, v42, v43
	ds_read_b128 v[42:45], v50 offset:2064
	s_waitcnt lgkmcnt(0)
	v_mfma_f32_16x16x16_f16 v[46:49], v[2:3], v[6:7], v[46:49]
	v_cvt_pkrtz_f16_f32 v2, v58, v59
	v_cvt_pkrtz_f16_f32 v3, v60, v61
	v_cvt_pk_f32_fp8_e32 v[58:59], v5
	v_mfma_f32_16x16x16_f16 v[46:49], v[52:53], v[8:9], v[46:49]
	v_cvt_pk_f32_fp8_sdwa v[52:53], v5 src0_sel:WORD_1
	s_mov_b32 s3, 0
	v_cvt_pkrtz_f16_f32 v58, v58, v59
	v_mfma_f32_16x16x16_f16 v[2:5], v[2:3], v[42:43], v[46:49]
	v_cvt_pkrtz_f16_f32 v59, v52, v53
	v_cmp_gt_u32_e32 vcc, 64, v0
	s_nop 0
	v_cvt_pk_f32_fp8_e32 v[46:47], v26
	v_mfma_f32_16x16x16_f16 v[58:61], v[58:59], v[44:45], v[2:5]
	s_nop 2
	v_cvt_pk_f32_fp8_sdwa v[2:3], v26 src0_sel:WORD_1
	v_cvt_pk_f32_fp8_e32 v[4:5], v27
	v_cvt_pkrtz_f16_f32 v26, v46, v47
	v_cvt_pk_f32_fp8_sdwa v[46:47], v27 src0_sel:WORD_1
	v_cvt_pkrtz_f16_f32 v27, v2, v3
	v_cvt_pkrtz_f16_f32 v52, v4, v5
	ds_read_b128 v[2:5], v50 offset:4096
	v_cvt_pkrtz_f16_f32 v53, v46, v47
	ds_read_b128 v[46:49], v50 offset:4112
	s_waitcnt lgkmcnt(1)
	v_mfma_f32_16x16x16_f16 v[58:61], v[26:27], v[2:3], v[58:61]
	v_cvt_pkrtz_f16_f32 v26, v64, v65
	v_cvt_pkrtz_f16_f32 v27, v66, v67
	v_cvt_pk_f32_fp8_e32 v[64:65], v29
	v_mfma_f32_16x16x16_f16 v[58:61], v[52:53], v[4:5], v[58:61]
	v_cvt_pk_f32_fp8_sdwa v[52:53], v29 src0_sel:WORD_1
	v_cvt_pk_f32_fp8_e32 v[66:67], v24
	v_cvt_pkrtz_f16_f32 v64, v64, v65
	s_waitcnt lgkmcnt(0)
	v_mfma_f32_16x16x16_f16 v[26:29], v[26:27], v[46:47], v[58:61]
	v_cvt_pkrtz_f16_f32 v65, v52, v53
	v_cvt_pk_f32_fp8_e32 v[52:53], v22
	s_nop 0
	v_mfma_f32_16x16x16_f16 v[58:61], v[64:65], v[48:49], v[26:29]
	s_nop 2
	v_cvt_pk_f32_fp8_sdwa v[26:27], v22 src0_sel:WORD_1
	v_cvt_pk_f32_fp8_e32 v[28:29], v23
	v_cvt_pkrtz_f16_f32 v22, v52, v53
	v_cvt_pk_f32_fp8_sdwa v[52:53], v23 src0_sel:WORD_1
	v_cvt_pkrtz_f16_f32 v23, v26, v27
	v_cvt_pkrtz_f16_f32 v64, v28, v29
	ds_read_b128 v[26:29], v50 offset:6144
	v_cvt_pkrtz_f16_f32 v65, v52, v53
	s_waitcnt lgkmcnt(0)
	v_mfma_f32_16x16x16_f16 v[58:61], v[22:23], v[26:27], v[58:61]
	ds_read_b128 v[50:53], v50 offset:6160
	v_cvt_pkrtz_f16_f32 v22, v66, v67
	v_cvt_pkrtz_f16_f32 v23, v68, v69
	v_mfma_f32_16x16x16_f16 v[58:61], v[64:65], v[28:29], v[58:61]
	v_cvt_pk_f32_fp8_e32 v[66:67], v25
	v_cvt_pk_f32_fp8_sdwa v[64:65], v25 src0_sel:WORD_1
	s_waitcnt vmcnt(3)
	v_cvt_pk_f32_fp8_sdwa v[68:69], v32 src0_sel:WORD_1
	s_waitcnt lgkmcnt(0)
	v_mfma_f32_16x16x16_f16 v[22:25], v[22:23], v[50:51], v[58:61]
	v_cvt_pkrtz_f16_f32 v66, v66, v67
	v_cvt_pkrtz_f16_f32 v67, v64, v65
	v_cvt_pk_f32_fp8_e32 v[64:65], v31
	v_cvt_pk_f32_fp8_e32 v[58:59], v30
	v_cvt_pk_f32_fp8_sdwa v[60:61], v30 src0_sel:WORD_1
	v_cvt_pk_f32_fp8_sdwa v[30:31], v31 src0_sel:WORD_1
	v_mfma_f32_16x16x16_f16 v[22:25], v[66:67], v[52:53], v[22:25]
	v_cvt_pkrtz_f16_f32 v58, v58, v59
	v_cvt_pkrtz_f16_f32 v59, v60, v61
	v_cvt_pkrtz_f16_f32 v64, v64, v65
	v_cvt_pk_f32_fp8_e32 v[66:67], v32
	v_cvt_pkrtz_f16_f32 v65, v30, v31
	v_mfma_f32_16x16x16_f16 v[58:61], v[58:59], v[34:35], 0
	v_cvt_pkrtz_f16_f32 v30, v66, v67
	v_cvt_pkrtz_f16_f32 v31, v68, v69
	v_cvt_pk_f32_fp8_e32 v[66:67], v33
	v_mfma_f32_16x16x16_f16 v[34:37], v[64:65], v[36:37], v[58:61]
	s_barrier
	s_nop 1
	v_cvt_pk_f32_fp8_sdwa v[58:59], v33 src0_sel:WORD_1
	v_cvt_pkrtz_f16_f32 v60, v66, v67
	v_mfma_f32_16x16x16_f16 v[30:33], v[30:31], v[38:39], v[34:37]
	s_waitcnt vmcnt(2)
	v_cvt_pk_f32_fp8_e32 v[38:39], v19
	v_cvt_pkrtz_f16_f32 v61, v58, v59
	v_cvt_pk_f32_fp8_e32 v[34:35], v18
	v_cvt_pk_f32_fp8_sdwa v[36:37], v18 src0_sel:WORD_1
	v_cvt_pk_f32_fp8_sdwa v[18:19], v19 src0_sel:WORD_1
	v_mfma_f32_16x16x16_f16 v[30:33], v[60:61], v[40:41], v[30:33]
	v_cvt_pkrtz_f16_f32 v34, v34, v35
	v_cvt_pkrtz_f16_f32 v35, v36, v37
	;; [unrolled: 1-line block ×3, first 2 shown]
	v_cvt_pk_f32_fp8_e32 v[38:39], v20
	v_cvt_pk_f32_fp8_sdwa v[40:41], v20 src0_sel:WORD_1
	v_cvt_pkrtz_f16_f32 v37, v18, v19
	v_mfma_f32_16x16x16_f16 v[30:33], v[34:35], v[6:7], v[30:33]
	v_cvt_pkrtz_f16_f32 v18, v38, v39
	v_cvt_pkrtz_f16_f32 v19, v40, v41
	v_cvt_pk_f32_fp8_e32 v[34:35], v21
	v_cvt_pk_f32_fp8_sdwa v[20:21], v21 src0_sel:WORD_1
	v_mfma_f32_16x16x16_f16 v[6:9], v[36:37], v[8:9], v[30:33]
	s_nop 2
	v_cvt_pkrtz_f16_f32 v30, v34, v35
	v_cvt_pkrtz_f16_f32 v31, v20, v21
	v_mfma_f32_16x16x16_f16 v[6:9], v[18:19], v[42:43], v[6:9]
	s_waitcnt vmcnt(1)
	v_cvt_pk_f32_fp8_e32 v[18:19], v14
	v_cvt_pk_f32_fp8_sdwa v[20:21], v14 src0_sel:WORD_1
	v_cvt_pk_f32_fp8_sdwa v[32:33], v16 src0_sel:WORD_1
	v_mfma_f32_16x16x16_f16 v[6:9], v[30:31], v[44:45], v[6:9]
	v_cvt_pk_f32_fp8_e32 v[30:31], v15
	v_cvt_pkrtz_f16_f32 v18, v18, v19
	v_cvt_pkrtz_f16_f32 v19, v20, v21
	v_cvt_pk_f32_fp8_sdwa v[14:15], v15 src0_sel:WORD_1
	v_cvt_pkrtz_f16_f32 v20, v30, v31
	v_cvt_pk_f32_fp8_e32 v[30:31], v16
	v_mfma_f32_16x16x16_f16 v[6:9], v[18:19], v[2:3], v[6:9]
	v_cvt_pkrtz_f16_f32 v21, v14, v15
	v_cvt_pkrtz_f16_f32 v14, v30, v31
	;; [unrolled: 1-line block ×3, first 2 shown]
	v_cvt_pk_f32_fp8_e32 v[18:19], v17
	v_cvt_pk_f32_fp8_sdwa v[16:17], v17 src0_sel:WORD_1
	v_mfma_f32_16x16x16_f16 v[2:5], v[20:21], v[4:5], v[6:9]
	s_waitcnt vmcnt(0)
	v_cvt_pk_f32_fp8_sdwa v[20:21], v12 src0_sel:WORD_1
	s_nop 0
	v_cvt_pkrtz_f16_f32 v8, v18, v19
	v_cvt_pkrtz_f16_f32 v9, v16, v17
	v_mfma_f32_16x16x16_f16 v[2:5], v[14:15], v[46:47], v[2:5]
	v_cvt_pk_f32_fp8_e32 v[16:17], v10
	v_cvt_pk_f32_fp8_sdwa v[18:19], v10 src0_sel:WORD_1
	v_pk_mul_f32 v[6:7], v[24:25], s[8:9] op_sel_hi:[1,0]
	v_mfma_f32_16x16x16_f16 v[2:5], v[8:9], v[48:49], v[2:5]
	v_cvt_pk_f32_fp8_e32 v[8:9], v11
	v_cvt_pkrtz_f16_f32 v16, v16, v17
	v_cvt_pkrtz_f16_f32 v17, v18, v19
	v_cvt_pk_f32_fp8_sdwa v[10:11], v11 src0_sel:WORD_1
	v_cvt_pkrtz_f16_f32 v8, v8, v9
	v_cvt_pk_f32_fp8_e32 v[18:19], v12
	v_mfma_f32_16x16x16_f16 v[2:5], v[16:17], v[26:27], v[2:5]
	v_cvt_pkrtz_f16_f32 v9, v10, v11
	v_cvt_pkrtz_f16_f32 v10, v18, v19
	v_cvt_pkrtz_f16_f32 v11, v20, v21
	v_cvt_pk_f32_fp8_e32 v[16:17], v13
	v_cvt_pk_f32_fp8_sdwa v[12:13], v13 src0_sel:WORD_1
	v_mfma_f32_16x16x16_f16 v[2:5], v[8:9], v[28:29], v[2:5]
	v_pk_mul_f32 v[14:15], v[22:23], s[8:9] op_sel_hi:[1,0]
	v_cvt_pkrtz_f16_f32 v8, v16, v17
	v_cvt_pkrtz_f16_f32 v9, v12, v13
	v_mfma_f32_16x16x16_f16 v[2:5], v[10:11], v[50:51], v[2:5]
	v_cvt_f16_f32_e32 v14, v14
	v_cvt_f16_f32_e32 v10, v15
	;; [unrolled: 1-line block ×3, first 2 shown]
	v_mfma_f32_16x16x16_f16 v[2:5], v[8:9], v[52:53], v[2:5]
	v_cvt_f16_f32_e32 v7, v7
	s_nop 5
	v_pk_mul_f32 v[4:5], v[4:5], s[8:9] op_sel_hi:[1,0]
	v_pk_mul_f32 v[2:3], v[2:3], s[8:9] op_sel_hi:[1,0]
	v_cvt_f16_f32_e32 v11, v4
	v_cvt_f16_f32_e32 v8, v2
	v_cvt_f16_f32_e32 v9, v3
	v_cvt_f16_f32_e32 v5, v5
	v_pack_b32_f16 v2, v14, v10
	v_pack_b32_f16 v3, v6, v7
	;; [unrolled: 1-line block ×4, first 2 shown]
	ds_write2st64_b64 v55, v[2:3], v[4:5] offset1:1
	s_waitcnt lgkmcnt(0)
	s_barrier
	s_and_saveexec_b64 s[8:9], vcc
	s_cbranch_execz .LBB1020_20
; %bb.18:
	s_load_dwordx2 s[8:9], s[0:1], 0x68
	s_lshl_b32 s0, s7, 7
	s_mul_i32 s1, s10, s2
	v_lshlrev_b32_e32 v3, 6, v56
	s_mul_hi_u32 s11, s1, s0
	s_mul_i32 s10, s1, s0
	v_lshl_or_b32 v0, v0, 10, v3
	s_lshl_b64 s[10:11], s[10:11], 1
	v_lshlrev_b32_e32 v2, 5, v62
	v_and_b32_e32 v1, 16, v1
	v_and_b32_e32 v0, 0x1a00, v0
	s_waitcnt lgkmcnt(0)
	s_add_u32 s1, s8, s10
	v_or3_b32 v2, v0, v2, v1
	s_addc_u32 s7, s9, s11
	s_lshl_b32 s2, s6, 7
	ds_read_b128 v[4:7], v2 offset:256
	s_lshl_b64 s[2:3], s[2:3], 1
	ds_read_b128 v[8:11], v2 offset:128
	ds_read_b128 v[12:15], v2
	s_add_u32 s2, s1, s2
	s_addc_u32 s3, s7, s3
	v_mov_b32_e32 v55, 0
	v_add_u32_e32 v3, s48, v62
	v_lshl_add_u64 v[0:1], s[2:3], 0, v[54:55]
	v_mad_u64_u32 v[16:17], s[2:3], v3, s0, 0
	v_lshl_add_u64 v[16:17], v[16:17], 1, v[0:1]
	s_waitcnt lgkmcnt(0)
	global_store_dwordx4 v[16:17], v[12:15], off
	s_nop 1
	v_add_u32_e32 v12, 4, v3
	v_mad_u64_u32 v[12:13], s[2:3], v12, s0, 0
	v_lshl_add_u64 v[12:13], v[12:13], 1, v[0:1]
	v_add_u32_e32 v3, 8, v3
	global_store_dwordx4 v[12:13], v[8:11], off
	s_nop 1
	v_mad_u64_u32 v[8:9], s[2:3], v3, s0, 0
	v_lshl_add_u64 v[8:9], v[8:9], 1, v[0:1]
	global_store_dwordx4 v[8:9], v[4:7], off
	s_and_b64 exec, exec, s[4:5]
	s_cbranch_execz .LBB1020_20
; %bb.19:
	ds_read_b128 v[2:5], v2 offset:384
	v_add3_u32 v6, s48, v62, 12
	v_mad_u64_u32 v[6:7], s[0:1], v6, s0, 0
	v_lshl_add_u64 v[0:1], v[6:7], 1, v[0:1]
	s_waitcnt lgkmcnt(0)
	global_store_dwordx4 v[0:1], v[2:5], off
.LBB1020_20:
	s_endpgm
	.section	.rodata,"a",@progbits
	.p2align	6, 0x0
	.amdhsa_kernel _Z39paged_attention_ll4mi_QKV_mfma16_kernelIDF16_hLN4vllm18Fp8KVCacheDataTypeE1EhLi32ELi128ELi256ELb1ELi13EEvPKT_PKT0_S7_ifPKiS9_S9_iPKfiiiPfSC_PS2_PT2_iSB_SB_
		.amdhsa_group_segment_fixed_size 8192
		.amdhsa_private_segment_fixed_size 0
		.amdhsa_kernarg_size 400
		.amdhsa_user_sgpr_count 2
		.amdhsa_user_sgpr_dispatch_ptr 0
		.amdhsa_user_sgpr_queue_ptr 0
		.amdhsa_user_sgpr_kernarg_segment_ptr 1
		.amdhsa_user_sgpr_dispatch_id 0
		.amdhsa_user_sgpr_kernarg_preload_length 0
		.amdhsa_user_sgpr_kernarg_preload_offset 0
		.amdhsa_user_sgpr_private_segment_size 0
		.amdhsa_uses_dynamic_stack 0
		.amdhsa_enable_private_segment 0
		.amdhsa_system_sgpr_workgroup_id_x 1
		.amdhsa_system_sgpr_workgroup_id_y 1
		.amdhsa_system_sgpr_workgroup_id_z 1
		.amdhsa_system_sgpr_workgroup_info 0
		.amdhsa_system_vgpr_workitem_id 0
		.amdhsa_next_free_vgpr 78
		.amdhsa_next_free_sgpr 50
		.amdhsa_accum_offset 80
		.amdhsa_reserve_vcc 1
		.amdhsa_float_round_mode_32 0
		.amdhsa_float_round_mode_16_64 0
		.amdhsa_float_denorm_mode_32 3
		.amdhsa_float_denorm_mode_16_64 3
		.amdhsa_dx10_clamp 1
		.amdhsa_ieee_mode 1
		.amdhsa_fp16_overflow 0
		.amdhsa_tg_split 0
		.amdhsa_exception_fp_ieee_invalid_op 0
		.amdhsa_exception_fp_denorm_src 0
		.amdhsa_exception_fp_ieee_div_zero 0
		.amdhsa_exception_fp_ieee_overflow 0
		.amdhsa_exception_fp_ieee_underflow 0
		.amdhsa_exception_fp_ieee_inexact 0
		.amdhsa_exception_int_div_zero 0
	.end_amdhsa_kernel
	.section	.text._Z39paged_attention_ll4mi_QKV_mfma16_kernelIDF16_hLN4vllm18Fp8KVCacheDataTypeE1EhLi32ELi128ELi256ELb1ELi13EEvPKT_PKT0_S7_ifPKiS9_S9_iPKfiiiPfSC_PS2_PT2_iSB_SB_,"axG",@progbits,_Z39paged_attention_ll4mi_QKV_mfma16_kernelIDF16_hLN4vllm18Fp8KVCacheDataTypeE1EhLi32ELi128ELi256ELb1ELi13EEvPKT_PKT0_S7_ifPKiS9_S9_iPKfiiiPfSC_PS2_PT2_iSB_SB_,comdat
.Lfunc_end1020:
	.size	_Z39paged_attention_ll4mi_QKV_mfma16_kernelIDF16_hLN4vllm18Fp8KVCacheDataTypeE1EhLi32ELi128ELi256ELb1ELi13EEvPKT_PKT0_S7_ifPKiS9_S9_iPKfiiiPfSC_PS2_PT2_iSB_SB_, .Lfunc_end1020-_Z39paged_attention_ll4mi_QKV_mfma16_kernelIDF16_hLN4vllm18Fp8KVCacheDataTypeE1EhLi32ELi128ELi256ELb1ELi13EEvPKT_PKT0_S7_ifPKiS9_S9_iPKfiiiPfSC_PS2_PT2_iSB_SB_
                                        ; -- End function
	.section	.AMDGPU.csdata,"",@progbits
; Kernel info:
; codeLenInByte = 6420
; NumSgprs: 56
; NumVgprs: 78
; NumAgprs: 0
; TotalNumVgprs: 78
; ScratchSize: 0
; MemoryBound: 0
; FloatMode: 240
; IeeeMode: 1
; LDSByteSize: 8192 bytes/workgroup (compile time only)
; SGPRBlocks: 6
; VGPRBlocks: 9
; NumSGPRsForWavesPerEU: 56
; NumVGPRsForWavesPerEU: 78
; AccumOffset: 80
; Occupancy: 6
; WaveLimiterHint : 1
; COMPUTE_PGM_RSRC2:SCRATCH_EN: 0
; COMPUTE_PGM_RSRC2:USER_SGPR: 2
; COMPUTE_PGM_RSRC2:TRAP_HANDLER: 0
; COMPUTE_PGM_RSRC2:TGID_X_EN: 1
; COMPUTE_PGM_RSRC2:TGID_Y_EN: 1
; COMPUTE_PGM_RSRC2:TGID_Z_EN: 1
; COMPUTE_PGM_RSRC2:TIDIG_COMP_CNT: 0
; COMPUTE_PGM_RSRC3_GFX90A:ACCUM_OFFSET: 19
; COMPUTE_PGM_RSRC3_GFX90A:TG_SPLIT: 0
	.section	.text._Z39paged_attention_ll4mi_QKV_mfma16_kernelIDF16_hLN4vllm18Fp8KVCacheDataTypeE1EhLi32ELi128ELi256ELb1ELi14EEvPKT_PKT0_S7_ifPKiS9_S9_iPKfiiiPfSC_PS2_PT2_iSB_SB_,"axG",@progbits,_Z39paged_attention_ll4mi_QKV_mfma16_kernelIDF16_hLN4vllm18Fp8KVCacheDataTypeE1EhLi32ELi128ELi256ELb1ELi14EEvPKT_PKT0_S7_ifPKiS9_S9_iPKfiiiPfSC_PS2_PT2_iSB_SB_,comdat
	.protected	_Z39paged_attention_ll4mi_QKV_mfma16_kernelIDF16_hLN4vllm18Fp8KVCacheDataTypeE1EhLi32ELi128ELi256ELb1ELi14EEvPKT_PKT0_S7_ifPKiS9_S9_iPKfiiiPfSC_PS2_PT2_iSB_SB_ ; -- Begin function _Z39paged_attention_ll4mi_QKV_mfma16_kernelIDF16_hLN4vllm18Fp8KVCacheDataTypeE1EhLi32ELi128ELi256ELb1ELi14EEvPKT_PKT0_S7_ifPKiS9_S9_iPKfiiiPfSC_PS2_PT2_iSB_SB_
	.globl	_Z39paged_attention_ll4mi_QKV_mfma16_kernelIDF16_hLN4vllm18Fp8KVCacheDataTypeE1EhLi32ELi128ELi256ELb1ELi14EEvPKT_PKT0_S7_ifPKiS9_S9_iPKfiiiPfSC_PS2_PT2_iSB_SB_
	.p2align	8
	.type	_Z39paged_attention_ll4mi_QKV_mfma16_kernelIDF16_hLN4vllm18Fp8KVCacheDataTypeE1EhLi32ELi128ELi256ELb1ELi14EEvPKT_PKT0_S7_ifPKiS9_S9_iPKfiiiPfSC_PS2_PT2_iSB_SB_,@function
_Z39paged_attention_ll4mi_QKV_mfma16_kernelIDF16_hLN4vllm18Fp8KVCacheDataTypeE1EhLi32ELi128ELi256ELb1ELi14EEvPKT_PKT0_S7_ifPKiS9_S9_iPKfiiiPfSC_PS2_PT2_iSB_SB_: ; @_Z39paged_attention_ll4mi_QKV_mfma16_kernelIDF16_hLN4vllm18Fp8KVCacheDataTypeE1EhLi32ELi128ELi256ELb1ELi14EEvPKT_PKT0_S7_ifPKiS9_S9_iPKfiiiPfSC_PS2_PT2_iSB_SB_
; %bb.0:
	s_load_dwordx2 s[10:11], s[0:1], 0x30
	s_mov_b32 s6, s3
	s_mov_b64 s[8:9], 0
	s_waitcnt lgkmcnt(0)
	s_cmp_lg_u64 s[10:11], 0
	s_cselect_b64 s[12:13], -1, 0
	s_and_b64 vcc, exec, s[12:13]
	s_cbranch_vccz .LBB1021_7
; %bb.1:
	s_add_i32 s14, s2, 1
	s_mov_b32 s15, 0
	s_lshl_b64 s[16:17], s[14:15], 2
	s_add_u32 s16, s10, s16
	s_mov_b32 s3, s15
	s_addc_u32 s17, s11, s17
	s_lshl_b64 s[14:15], s[2:3], 2
	s_add_u32 s14, s10, s14
	s_addc_u32 s15, s11, s15
	s_load_dword s5, s[16:17], 0x0
	s_load_dword s7, s[14:15], 0x0
	s_waitcnt lgkmcnt(0)
	s_sub_i32 s5, s5, s7
	s_cmp_eq_u32 s5, 1
	s_cselect_b64 s[14:15], -1, 0
	s_andn2_b64 vcc, exec, s[8:9]
	s_cbranch_vccnz .LBB1021_3
.LBB1021_2:
	s_mov_b32 s3, 0
	s_mov_b64 s[14:15], -1
.LBB1021_3:
	s_andn2_b64 vcc, exec, s[14:15]
	s_cbranch_vccnz .LBB1021_20
; %bb.4:
	s_load_dwordx2 s[8:9], s[0:1], 0x28
	s_lshl_b64 s[14:15], s[2:3], 2
	s_waitcnt lgkmcnt(0)
	s_add_u32 s8, s8, s14
	s_addc_u32 s9, s9, s15
	s_load_dword s7, s[8:9], 0x0
	s_lshl_b32 s18, s6, 8
	s_waitcnt lgkmcnt(0)
	s_cmp_ge_i32 s18, s7
	s_cbranch_scc1 .LBB1021_20
; %bb.5:
	s_load_dwordx2 s[8:9], s[0:1], 0x20
	s_load_dword s5, s[0:1], 0x38
	s_add_i32 s16, s7, 31
	s_ashr_i32 s17, s16, 31
	v_and_b32_e32 v1, 0xcf, v0
	s_lshr_b32 s17, s17, 27
	v_add_u32_e32 v1, s18, v1
	s_add_i32 s16, s16, s17
	v_ashrrev_i32_e32 v2, 31, v1
	s_ashr_i32 s19, s16, 5
	v_lshrrev_b32_e32 v4, 27, v2
	s_add_i32 s19, s19, -1
	s_waitcnt lgkmcnt(0)
	s_mul_i32 s16, s2, s5
	s_mov_b32 s17, 0
	v_add_u32_e32 v2, v1, v4
	s_lshl_b64 s[16:17], s[16:17], 2
	v_ashrrev_i32_e32 v2, 5, v2
	v_mov_b32_e32 v5, s19
	v_cmp_gt_i32_e32 vcc, s7, v1
	s_add_u32 s8, s8, s16
	s_addc_u32 s9, s9, s17
	v_cndmask_b32_e32 v2, v5, v2, vcc
	v_ashrrev_i32_e32 v3, 31, v2
	v_lshl_add_u64 v[6:7], v[2:3], 2, s[8:9]
	v_or_b32_e32 v2, 16, v1
	v_add_u32_e32 v3, v2, v4
	v_ashrrev_i32_e32 v3, 5, v3
	v_cmp_gt_i32_e32 vcc, s7, v2
	s_load_dwordx2 s[16:17], s[0:1], 0x8
	s_nop 0
	v_cndmask_b32_e32 v2, v5, v3, vcc
	v_ashrrev_i32_e32 v3, 31, v2
	v_lshl_add_u64 v[8:9], v[2:3], 2, s[8:9]
	v_or_b32_e32 v2, 32, v1
	v_add_u32_e32 v3, v2, v4
	v_ashrrev_i32_e32 v3, 5, v3
	v_cmp_gt_i32_e32 vcc, s7, v2
	v_or_b32_e32 v1, 48, v1
	s_nop 0
	v_cndmask_b32_e32 v2, v5, v3, vcc
	v_ashrrev_i32_e32 v3, 31, v2
	v_lshl_add_u64 v[12:13], v[2:3], 2, s[8:9]
	v_add_u32_e32 v2, v1, v4
	v_ashrrev_i32_e32 v2, 5, v2
	v_cmp_gt_i32_e32 vcc, s7, v1
	s_nop 1
	v_cndmask_b32_e32 v2, v5, v2, vcc
	v_ashrrev_i32_e32 v3, 31, v2
	v_lshl_add_u64 v[14:15], v[2:3], 2, s[8:9]
	global_load_dword v4, v[6:7], off
	global_load_dword v3, v[8:9], off
	;; [unrolled: 1-line block ×4, first 2 shown]
	s_andn2_b64 vcc, exec, s[12:13]
	s_cbranch_vccnz .LBB1021_8
; %bb.6:
	s_add_u32 s10, s10, s14
	s_addc_u32 s11, s11, s15
	s_load_dword s5, s[10:11], 0x0
	s_branch .LBB1021_9
.LBB1021_7:
	s_mov_b64 s[14:15], 0
	s_branch .LBB1021_2
.LBB1021_8:
	s_mov_b32 s5, s2
.LBB1021_9:
	s_load_dwordx2 s[10:11], s[0:1], 0x10
	s_load_dwordx4 s[44:47], s[0:1], 0x48
	v_lshrrev_b32_e32 v57, 6, v0
	v_bfe_u32 v62, v0, 4, 2
	v_and_b32_e32 v56, 15, v0
	v_lshl_or_b32 v5, v57, 2, v62
	v_lshlrev_b32_e32 v1, 3, v56
	s_mul_i32 s48, s4, 14
	v_cmp_gt_u32_e32 vcc, 14, v5
	v_lshlrev_b32_e32 v54, 1, v1
	v_lshlrev_b32_e32 v1, 4, v0
	s_and_saveexec_b64 s[12:13], vcc
	s_cbranch_execz .LBB1021_11
; %bb.10:
	s_load_dwordx2 s[14:15], s[0:1], 0x0
	s_waitcnt lgkmcnt(0)
	s_ashr_i32 s20, s44, 31
	s_mul_hi_u32 s21, s5, s44
	s_mul_i32 s20, s5, s20
	s_add_i32 s21, s21, s20
	s_mul_i32 s20, s5, s44
	s_lshl_b64 s[20:21], s[20:21], 1
	s_add_u32 s14, s14, s20
	v_add_lshl_u32 v6, v5, s48, 7
	s_addc_u32 s15, s15, s21
	v_ashrrev_i32_e32 v7, 31, v6
	v_lshl_add_u64 v[6:7], v[6:7], 1, s[14:15]
	v_mov_b32_e32 v55, 0
	v_lshl_add_u64 v[6:7], v[6:7], 0, v[54:55]
	global_load_dwordx4 v[6:9], v[6:7], off
	v_lshlrev_b32_e32 v12, 8, v0
	v_lshlrev_b32_e32 v11, 8, v56
	v_and_b32_e32 v12, 0x600, v12
	s_movk_i32 s5, 0x800
	v_and_or_b32 v11, v11, s5, v12
	v_lshlrev_b32_e32 v5, 5, v5
	v_and_b32_e32 v12, 16, v1
	v_or3_b32 v5, v11, v5, v12
	s_waitcnt vmcnt(0)
	ds_write_b128 v5, v[6:9]
.LBB1021_11:
	s_or_b64 exec, exec, s[12:13]
	s_waitcnt lgkmcnt(0)
	s_mul_i32 s12, s4, s46
	s_add_u32 s4, s16, s12
	s_addc_u32 s5, s17, 0
	v_mov_b32_e32 v59, 0
	v_mov_b64_e32 v[12:13], s[4:5]
	v_and_b32_e32 v34, 48, v0
	s_waitcnt vmcnt(3)
	v_mad_i64_i32 v[4:5], s[4:5], v4, s45, v[12:13]
	v_lshlrev_b32_e32 v14, 4, v56
	v_mov_b32_e32 v15, v59
	v_lshlrev_b32_e32 v58, 5, v34
	v_lshl_add_u64 v[4:5], v[4:5], 0, v[14:15]
	v_lshl_add_u64 v[4:5], v[4:5], 0, v[58:59]
	s_barrier
	global_load_dwordx4 v[50:53], v[4:5], off
	global_load_dwordx4 v[46:49], v[4:5], off offset:2048
	s_waitcnt vmcnt(4)
	v_mad_i64_i32 v[4:5], s[4:5], v3, s45, v[12:13]
	v_or_b32_e32 v16, 0x100, v14
	v_mov_b32_e32 v17, v59
	s_waitcnt vmcnt(3)
	v_mad_i64_i32 v[2:3], s[4:5], v2, s45, v[12:13]
	v_lshl_add_u64 v[4:5], v[4:5], 0, v[16:17]
	v_lshl_add_u64 v[2:3], v[2:3], 0, v[14:15]
	s_waitcnt vmcnt(2)
	v_mad_i64_i32 v[10:11], s[4:5], v10, s45, v[12:13]
	v_lshl_add_u64 v[4:5], v[4:5], 0, v[58:59]
	v_lshl_add_u64 v[14:15], v[2:3], 0, v[58:59]
	;; [unrolled: 1-line block ×3, first 2 shown]
	global_load_dwordx4 v[36:39], v[4:5], off
	global_load_dwordx4 v[6:9], v[4:5], off offset:2048
	s_nop 0
	global_load_dwordx4 v[2:5], v[14:15], off
	global_load_dwordx4 v[42:45], v[14:15], off offset:2048
	v_lshl_add_u64 v[14:15], v[10:11], 0, v[58:59]
	global_load_dwordx4 v[26:29], v[14:15], off
	global_load_dwordx4 v[10:13], v[14:15], off offset:2048
	v_add_u32_e32 v14, -14, v56
	v_cmp_gt_u32_e32 vcc, 14, v56
	v_and_b32_e32 v55, 63, v0
	v_mov_b32_e32 v63, 0
	v_cndmask_b32_e32 v14, v14, v56, vcc
	v_lshlrev_b32_e32 v14, 5, v14
	v_lshl_add_u32 v14, v62, 9, v14
	ds_read_b128 v[30:33], v14
	ds_read_b128 v[22:25], v14 offset:16
	ds_read_b128 v[18:21], v14 offset:2048
	;; [unrolled: 1-line block ×3, first 2 shown]
	s_and_saveexec_b64 s[4:5], vcc
	s_cbranch_execz .LBB1021_13
; %bb.12:
	s_load_dwordx2 s[14:15], s[0:1], 0x40
	v_add_u32_e32 v40, s48, v56
	v_ashrrev_i32_e32 v41, 31, v40
	s_waitcnt lgkmcnt(0)
	v_lshl_add_u64 v[40:41], v[40:41], 2, s[14:15]
	global_load_dword v63, v[40:41], off
.LBB1021_13:
	s_or_b64 exec, exec, s[4:5]
	s_ashr_i32 s4, s18, 31
	v_or_b32_e32 v58, s18, v34
	s_lshr_b32 s4, s4, 27
	v_add_u32_e32 v34, s4, v58
	v_cmp_gt_i32_e32 vcc, s7, v58
	v_or_b32_e32 v40, 64, v58
	v_or_b32_e32 v60, 0x80, v58
	;; [unrolled: 1-line block ×3, first 2 shown]
	v_add_u32_e32 v64, s4, v58
	v_ashrrev_i32_e32 v69, 5, v64
	s_waitcnt vmcnt(7)
	v_cvt_pk_f32_fp8_e32 v[64:65], v50
	v_cvt_pk_f32_fp8_sdwa v[66:67], v50 src0_sel:WORD_1
	v_cvt_pk_f32_fp8_e32 v[70:71], v51
	v_cvt_pk_f32_fp8_sdwa v[50:51], v51 src0_sel:WORD_1
	v_cvt_pkrtz_f16_f32 v64, v64, v65
	v_cvt_pkrtz_f16_f32 v65, v66, v67
	;; [unrolled: 1-line block ×3, first 2 shown]
	v_cvt_pk_f32_fp8_e32 v[72:73], v52
	v_cvt_pk_f32_fp8_sdwa v[74:75], v52 src0_sel:WORD_1
	v_cvt_pkrtz_f16_f32 v71, v50, v51
	s_waitcnt lgkmcnt(3)
	v_mfma_f32_16x16x16_f16 v[64:67], v[64:65], v[30:31], 0
	v_cvt_pkrtz_f16_f32 v72, v72, v73
	v_cvt_pkrtz_f16_f32 v73, v74, v75
	v_cvt_pk_f32_fp8_e32 v[74:75], v53
	v_cvt_pk_f32_fp8_sdwa v[76:77], v53 src0_sel:WORD_1
	v_mfma_f32_16x16x16_f16 v[50:53], v[70:71], v[32:33], v[64:67]
	v_ashrrev_i32_e32 v34, 5, v34
	v_mov_b32_e32 v68, s19
	v_add_u32_e32 v41, s4, v40
	v_cndmask_b32_e32 v34, v68, v34, vcc
	v_ashrrev_i32_e32 v41, 5, v41
	v_cmp_gt_i32_e32 vcc, s7, v40
	v_add_u32_e32 v61, s4, v60
	v_cvt_pkrtz_f16_f32 v64, v74, v75
	v_cvt_pkrtz_f16_f32 v65, v76, v77
	v_cndmask_b32_e32 v40, v68, v41, vcc
	v_ashrrev_i32_e32 v61, 5, v61
	v_cmp_gt_i32_e32 vcc, s7, v60
	s_waitcnt lgkmcnt(2)
	v_mfma_f32_16x16x16_f16 v[50:53], v[72:73], v[22:23], v[50:53]
	s_waitcnt vmcnt(6)
	v_cvt_pk_f32_fp8_e32 v[66:67], v46
	v_cndmask_b32_e32 v60, v68, v61, vcc
	v_cmp_gt_i32_e32 vcc, s7, v58
	v_ashrrev_i32_e32 v35, 31, v34
	v_lshl_add_u64 v[34:35], v[34:35], 2, s[8:9]
	v_cndmask_b32_e32 v68, v68, v69, vcc
	v_ashrrev_i32_e32 v41, 31, v40
	v_ashrrev_i32_e32 v61, 31, v60
	;; [unrolled: 1-line block ×3, first 2 shown]
	v_lshl_add_u64 v[40:41], v[40:41], 2, s[8:9]
	v_lshl_add_u64 v[60:61], v[60:61], 2, s[8:9]
	;; [unrolled: 1-line block ×3, first 2 shown]
	v_mfma_f32_16x16x16_f16 v[50:53], v[64:65], v[24:25], v[50:53]
	v_cvt_pkrtz_f16_f32 v74, v66, v67
	global_load_dword v68, v[34:35], off
	global_load_dword v66, v[40:41], off
	;; [unrolled: 1-line block ×4, first 2 shown]
	v_cvt_pk_f32_fp8_sdwa v[70:71], v46 src0_sel:WORD_1
	v_cvt_pk_f32_fp8_e32 v[40:41], v48
	s_waitcnt vmcnt(9)
	v_cvt_pk_f32_fp8_e32 v[60:61], v36
	s_add_u32 s4, s10, s12
	v_cvt_pkrtz_f16_f32 v75, v70, v71
	v_cvt_pk_f32_fp8_e32 v[70:71], v47
	v_cvt_pk_f32_fp8_sdwa v[46:47], v47 src0_sel:WORD_1
	s_waitcnt lgkmcnt(1)
	v_mfma_f32_16x16x16_f16 v[50:53], v[74:75], v[18:19], v[50:53]
	v_cvt_pkrtz_f16_f32 v34, v70, v71
	v_cvt_pkrtz_f16_f32 v35, v46, v47
	v_cvt_pk_f32_fp8_sdwa v[46:47], v48 src0_sel:WORD_1
	v_cvt_pkrtz_f16_f32 v40, v40, v41
	v_mfma_f32_16x16x16_f16 v[50:53], v[34:35], v[20:21], v[50:53]
	v_cvt_pkrtz_f16_f32 v41, v46, v47
	v_cvt_pk_f32_fp8_e32 v[34:35], v49
	v_cvt_pk_f32_fp8_sdwa v[46:47], v49 src0_sel:WORD_1
	v_cvt_pk_f32_fp8_sdwa v[70:71], v36 src0_sel:WORD_1
	s_addc_u32 s5, s11, 0
	v_cvt_pkrtz_f16_f32 v34, v34, v35
	v_cvt_pkrtz_f16_f32 v35, v46, v47
	s_waitcnt lgkmcnt(0)
	v_mfma_f32_16x16x16_f16 v[46:49], v[40:41], v[14:15], v[50:53]
	v_cvt_pkrtz_f16_f32 v40, v60, v61
	v_cvt_pkrtz_f16_f32 v41, v70, v71
	s_waitcnt vmcnt(8)
	v_cvt_pk_f32_fp8_sdwa v[60:61], v6 src0_sel:WORD_1
	v_cvt_pk_f32_fp8_e32 v[50:51], v37
	v_cvt_pk_f32_fp8_sdwa v[52:53], v37 src0_sel:WORD_1
	v_mfma_f32_16x16x16_f16 v[34:37], v[34:35], v[16:17], v[46:49]
	v_and_b32_e32 v58, 16, v0
	v_cvt_pkrtz_f16_f32 v50, v50, v51
	v_cvt_pkrtz_f16_f32 v51, v52, v53
	v_mfma_f32_16x16x16_f16 v[46:49], v[40:41], v[30:31], 0
	v_cvt_pk_f32_fp8_e32 v[40:41], v38
	v_cvt_pk_f32_fp8_sdwa v[52:53], v38 src0_sel:WORD_1
	v_lshl_or_b32 v64, v57, 4, v56
	v_mfma_f32_16x16x16_f16 v[46:49], v[50:51], v[32:33], v[46:49]
	v_cvt_pk_f32_fp8_e32 v[50:51], v39
	v_cvt_pkrtz_f16_f32 v40, v40, v41
	v_cvt_pkrtz_f16_f32 v41, v52, v53
	v_cvt_pk_f32_fp8_sdwa v[38:39], v39 src0_sel:WORD_1
	v_cvt_pkrtz_f16_f32 v50, v50, v51
	v_cvt_pk_f32_fp8_e32 v[52:53], v6
	s_waitcnt vmcnt(6)
	v_cvt_pk_f32_fp8_e32 v[74:75], v43
	v_cvt_pkrtz_f16_f32 v51, v38, v39
	v_mfma_f32_16x16x16_f16 v[38:41], v[40:41], v[22:23], v[46:49]
	s_nop 2
	v_cvt_pkrtz_f16_f32 v48, v52, v53
	v_cvt_pkrtz_f16_f32 v49, v60, v61
	v_cvt_pk_f32_fp8_e32 v[52:53], v7
	v_cvt_pk_f32_fp8_sdwa v[6:7], v7 src0_sel:WORD_1
	v_mfma_f32_16x16x16_f16 v[38:41], v[50:51], v[24:25], v[38:41]
	v_lshl_add_u64 v[46:47], s[4:5], 0, v[58:59]
	v_cvt_pkrtz_f16_f32 v50, v52, v53
	v_cvt_pkrtz_f16_f32 v51, v6, v7
	v_mfma_f32_16x16x16_f16 v[38:41], v[48:49], v[18:19], v[38:41]
	v_cvt_pk_f32_fp8_e32 v[6:7], v8
	v_cvt_pk_f32_fp8_sdwa v[48:49], v8 src0_sel:WORD_1
	v_cvt_pk_f32_fp8_sdwa v[52:53], v2 src0_sel:WORD_1
	v_mfma_f32_16x16x16_f16 v[38:41], v[50:51], v[20:21], v[38:41]
	v_cvt_pk_f32_fp8_e32 v[50:51], v9
	v_cvt_pkrtz_f16_f32 v6, v6, v7
	v_cvt_pkrtz_f16_f32 v7, v48, v49
	v_cvt_pk_f32_fp8_sdwa v[8:9], v9 src0_sel:WORD_1
	v_cvt_pkrtz_f16_f32 v48, v50, v51
	v_cvt_pk_f32_fp8_e32 v[50:51], v2
	v_lshlrev_b32_e32 v58, 5, v64
	v_cvt_pkrtz_f16_f32 v49, v8, v9
	v_mfma_f32_16x16x16_f16 v[6:9], v[6:7], v[14:15], v[38:41]
	v_cvt_pkrtz_f16_f32 v50, v50, v51
	v_cvt_pkrtz_f16_f32 v51, v52, v53
	v_cvt_pk_f32_fp8_e32 v[52:53], v3
	v_cvt_pk_f32_fp8_sdwa v[2:3], v3 src0_sel:WORD_1
	v_mfma_f32_16x16x16_f16 v[38:41], v[48:49], v[16:17], v[6:9]
	v_lshl_add_u64 v[48:49], v[46:47], 0, v[58:59]
	v_cvt_pkrtz_f16_f32 v52, v52, v53
	v_cvt_pkrtz_f16_f32 v53, v2, v3
	v_mfma_f32_16x16x16_f16 v[6:9], v[50:51], v[30:31], 0
	v_cvt_pk_f32_fp8_e32 v[2:3], v4
	v_cvt_pk_f32_fp8_sdwa v[50:51], v4 src0_sel:WORD_1
	s_waitcnt vmcnt(3)
	v_mad_i64_i32 v[60:61], s[4:5], v68, s45, v[48:49]
	v_cvt_pkrtz_f16_f32 v2, v2, v3
	v_cvt_pkrtz_f16_f32 v3, v50, v51
	v_mfma_f32_16x16x16_f16 v[6:9], v[52:53], v[32:33], v[6:9]
	v_cvt_pk_f32_fp8_e32 v[50:51], v5
	v_cvt_pk_f32_fp8_sdwa v[4:5], v5 src0_sel:WORD_1
	s_waitcnt vmcnt(2)
	v_mad_i64_i32 v[70:71], s[4:5], v66, s45, v[48:49]
	v_cvt_pkrtz_f16_f32 v50, v50, v51
	v_cvt_pkrtz_f16_f32 v51, v4, v5
	v_mfma_f32_16x16x16_f16 v[2:5], v[2:3], v[22:23], v[6:9]
	v_or_b32_e32 v58, 0x800, v58
	s_nop 1
	v_cvt_pk_f32_fp8_e32 v[6:7], v42
	v_cvt_pk_f32_fp8_sdwa v[8:9], v42 src0_sel:WORD_1
	v_cvt_pk_f32_fp8_sdwa v[42:43], v43 src0_sel:WORD_1
	v_mfma_f32_16x16x16_f16 v[50:53], v[50:51], v[24:25], v[2:5]
	v_cvt_pkrtz_f16_f32 v72, v6, v7
	v_cvt_pkrtz_f16_f32 v73, v8, v9
	global_load_dwordx4 v[6:9], v[60:61], off
	global_load_dwordx4 v[2:5], v[70:71], off
	v_cvt_pkrtz_f16_f32 v60, v74, v75
	v_cvt_pkrtz_f16_f32 v61, v42, v43
	v_mfma_f32_16x16x16_f16 v[70:73], v[72:73], v[18:19], v[50:53]
	v_cvt_pk_f32_fp8_e32 v[42:43], v44
	v_cvt_pkrtz_f16_f32 v42, v42, v43
	s_nop 0
	v_cvt_pk_f32_fp8_sdwa v[52:53], v44 src0_sel:WORD_1
	v_mfma_f32_16x16x16_f16 v[70:73], v[60:61], v[20:21], v[70:73]
	v_cvt_pk_f32_fp8_e32 v[60:61], v45
	s_waitcnt vmcnt(3)
	v_mad_i64_i32 v[50:51], s[4:5], v67, s45, v[48:49]
	s_load_dword s4, s[0:1], 0x1c
	s_load_dwordx4 s[40:43], s[0:1], 0x80
	v_cvt_pkrtz_f16_f32 v43, v52, v53
	v_cvt_pkrtz_f16_f32 v74, v60, v61
	v_cvt_pk_f32_fp8_e32 v[52:53], v26
	v_cvt_pk_f32_fp8_sdwa v[60:61], v26 src0_sel:WORD_1
	s_load_dword s33, s[0:1], 0x98
	s_waitcnt lgkmcnt(0)
	s_load_dword s5, s[40:41], 0x0
	v_cvt_pk_f32_fp8_sdwa v[44:45], v45 src0_sel:WORD_1
	v_cvt_pkrtz_f16_f32 v52, v52, v53
	v_cvt_pkrtz_f16_f32 v53, v60, v61
	v_cvt_pk_f32_fp8_e32 v[60:61], v27
	v_cvt_pk_f32_fp8_sdwa v[26:27], v27 src0_sel:WORD_1
	v_cvt_pkrtz_f16_f32 v75, v44, v45
	v_mfma_f32_16x16x16_f16 v[42:45], v[42:43], v[14:15], v[70:73]
	v_cvt_pkrtz_f16_f32 v60, v60, v61
	v_cvt_pkrtz_f16_f32 v61, v26, v27
	v_mov_b32_e32 v26, s4
	v_mfma_f32_16x16x16_f16 v[70:73], v[52:53], v[30:31], 0
	s_waitcnt lgkmcnt(0)
	v_mul_f32_e32 v52, s5, v26
	v_cvt_pk_f32_fp8_e32 v[26:27], v28
	v_cvt_pk_f32_fp8_sdwa v[30:31], v28 src0_sel:WORD_1
	v_mfma_f32_16x16x16_f16 v[70:73], v[60:61], v[32:33], v[70:73]
	v_cvt_pk_f32_fp8_e32 v[32:33], v29
	v_cvt_pk_f32_fp8_sdwa v[28:29], v29 src0_sel:WORD_1
	v_cvt_pkrtz_f16_f32 v26, v26, v27
	v_cvt_pkrtz_f16_f32 v27, v30, v31
	v_mfma_f32_16x16x16_f16 v[42:45], v[74:75], v[16:17], v[42:45]
	v_cvt_pkrtz_f16_f32 v32, v32, v33
	v_cvt_pkrtz_f16_f32 v33, v28, v29
	v_cvt_pk_f32_fp8_e32 v[60:61], v10
	v_cvt_pk_f32_fp8_sdwa v[74:75], v10 src0_sel:WORD_1
	v_mfma_f32_16x16x16_f16 v[26:29], v[26:27], v[22:23], v[70:73]
	v_pk_mul_f32 v[30:31], v[52:53], v[36:37] op_sel_hi:[0,1]
	v_cvt_pkrtz_f16_f32 v36, v60, v61
	v_cvt_pkrtz_f16_f32 v37, v74, v75
	v_cvt_pk_f32_fp8_e32 v[60:61], v11
	v_cvt_pk_f32_fp8_sdwa v[70:71], v11 src0_sel:WORD_1
	v_mfma_f32_16x16x16_f16 v[22:25], v[32:33], v[24:25], v[26:29]
	v_pk_mul_f32 v[10:11], v[52:53], v[34:35] op_sel_hi:[0,1]
	v_cvt_pkrtz_f16_f32 v60, v60, v61
	v_cvt_pkrtz_f16_f32 v61, v70, v71
	v_mfma_f32_16x16x16_f16 v[32:35], v[36:37], v[18:19], v[22:25]
	v_cvt_pk_f32_fp8_e32 v[18:19], v12
	v_cvt_pk_f32_fp8_sdwa v[36:37], v12 src0_sel:WORD_1
	s_waitcnt vmcnt(2)
	v_mad_i64_i32 v[48:49], s[8:9], v65, s45, v[48:49]
	global_load_dwordx4 v[26:29], v[50:51], off
	global_load_dwordx4 v[22:25], v[48:49], off
	v_cvt_pkrtz_f16_f32 v48, v18, v19
	v_cvt_pkrtz_f16_f32 v49, v36, v37
	v_cvt_pk_f32_fp8_e32 v[36:37], v13
	v_cvt_pk_f32_fp8_sdwa v[12:13], v13 src0_sel:WORD_1
	v_mfma_f32_16x16x16_f16 v[18:21], v[60:61], v[20:21], v[32:35]
	v_pk_mul_f32 v[40:41], v[52:53], v[40:41] op_sel_hi:[0,1]
	v_pk_mul_f32 v[42:43], v[52:53], v[42:43] op_sel_hi:[0,1]
	s_mov_b32 s40, 0xff7fffff
	v_cvt_pkrtz_f16_f32 v32, v36, v37
	v_cvt_pkrtz_f16_f32 v33, v12, v13
	v_mfma_f32_16x16x16_f16 v[12:15], v[48:49], v[14:15], v[18:21]
	v_pk_mul_f32 v[48:49], v[52:53], v[38:39] op_sel_hi:[0,1]
	v_pk_mul_f32 v[38:39], v[52:53], v[44:45] op_sel_hi:[0,1]
	v_mfma_f32_16x16x16_f16 v[12:15], v[32:33], v[16:17], v[12:15]
	s_nop 6
	v_pk_mul_f32 v[36:37], v[52:53], v[12:13] op_sel_hi:[0,1]
	v_and_b32_e32 v12, 0xc0, v0
	v_add_u32_e32 v12, s18, v12
	v_lshl_or_b32 v12, v62, 2, v12
	v_or_b32_e32 v13, 1, v12
	v_pk_mul_f32 v[34:35], v[52:53], v[14:15] op_sel_hi:[0,1]
	v_subrev_u32_e32 v14, s7, v13
	v_add_u32_e32 v16, 1, v14
	v_add_u32_e32 v17, 2, v14
	v_cvt_f32_i32_e32 v15, v14
	v_cvt_f32_i32_e32 v16, v16
	;; [unrolled: 1-line block ×3, first 2 shown]
	v_add_u32_e32 v18, 3, v14
	v_fma_f32 v10, v63, v15, v10
	v_fmac_f32_e32 v11, v63, v16
	v_fma_f32 v51, v63, v17, v30
	v_add_u32_e32 v15, 16, v14
	v_add_u32_e32 v16, 17, v14
	;; [unrolled: 1-line block ×3, first 2 shown]
	v_cvt_f32_i32_e32 v18, v18
	v_cvt_f32_i32_e32 v15, v15
	v_cvt_f32_i32_e32 v16, v16
	v_cvt_f32_i32_e32 v17, v17
	v_fmac_f32_e32 v31, v63, v18
	v_add_u32_e32 v18, 19, v14
	v_fma_f32 v48, v63, v15, v48
	v_fmac_f32_e32 v49, v63, v16
	v_fma_f32 v40, v63, v17, v40
	v_add_u32_e32 v15, 32, v14
	v_add_u32_e32 v16, 33, v14
	v_add_u32_e32 v17, 34, v14
	v_cvt_f32_i32_e32 v18, v18
	v_cvt_f32_i32_e32 v15, v15
	v_cvt_f32_i32_e32 v16, v16
	v_cvt_f32_i32_e32 v17, v17
	v_fmac_f32_e32 v41, v63, v18
	v_add_u32_e32 v18, 35, v14
	v_fma_f32 v42, v63, v15, v42
	v_fmac_f32_e32 v43, v63, v16
	v_fma_f32 v38, v63, v17, v38
	v_add_u32_e32 v15, 48, v14
	v_add_u32_e32 v16, 49, v14
	;; [unrolled: 1-line block ×4, first 2 shown]
	v_cvt_f32_i32_e32 v14, v14
	v_cvt_f32_i32_e32 v15, v15
	;; [unrolled: 1-line block ×3, first 2 shown]
	v_cmp_gt_i32_e64 s[8:9], s7, v12
	v_fmac_f32_e32 v35, v63, v14
	v_mov_b32_e32 v14, 0xff7fffff
	v_cmp_gt_i32_e64 s[10:11], s7, v13
	v_fma_f32 v36, v63, v15, v36
	v_cndmask_b32_e64 v15, v14, v10, s[8:9]
	v_cndmask_b32_e64 v13, v14, v11, s[10:11]
	v_fmac_f32_e32 v37, v63, v16
	v_max3_f32 v13, v15, s40, v13
	v_or_b32_e32 v15, 2, v12
	v_or_b32_e32 v16, 3, v12
	v_cmp_gt_i32_e64 s[12:13], s7, v15
	v_cmp_gt_i32_e64 s[14:15], s7, v16
	v_cvt_f32_i32_e32 v18, v18
	v_cndmask_b32_e64 v15, v14, v51, s[12:13]
	v_cndmask_b32_e64 v16, v14, v31, s[14:15]
	v_max3_f32 v13, v13, v15, v16
	v_or_b32_e32 v15, 16, v12
	v_or_b32_e32 v16, 17, v12
	v_cmp_gt_i32_e64 s[16:17], s7, v15
	v_cmp_gt_i32_e64 s[18:19], s7, v16
	v_fmac_f32_e32 v39, v63, v18
	v_cndmask_b32_e64 v15, v14, v48, s[16:17]
	v_cndmask_b32_e64 v16, v14, v49, s[18:19]
	v_max3_f32 v13, v13, v15, v16
	v_or_b32_e32 v15, 18, v12
	v_or_b32_e32 v16, 19, v12
	v_cmp_gt_i32_e64 s[20:21], s7, v15
	v_cmp_gt_i32_e64 s[22:23], s7, v16
	v_cvt_f32_i32_e32 v17, v17
	v_cndmask_b32_e64 v15, v14, v40, s[20:21]
	v_cndmask_b32_e64 v16, v14, v41, s[22:23]
	v_max3_f32 v13, v13, v15, v16
	v_or_b32_e32 v15, 32, v12
	v_or_b32_e32 v16, 33, v12
	v_cmp_gt_i32_e64 s[24:25], s7, v15
	v_cmp_gt_i32_e64 s[26:27], s7, v16
	v_fma_f32 v34, v63, v17, v34
	v_cndmask_b32_e64 v15, v14, v42, s[24:25]
	v_cndmask_b32_e64 v16, v14, v43, s[26:27]
	v_max3_f32 v13, v13, v15, v16
	v_or_b32_e32 v15, 34, v12
	v_or_b32_e32 v16, 35, v12
	v_cmp_gt_i32_e64 s[28:29], s7, v15
	v_cmp_gt_i32_e64 s[30:31], s7, v16
	s_nop 0
	v_cndmask_b32_e64 v15, v14, v38, s[28:29]
	v_cndmask_b32_e64 v16, v14, v39, s[30:31]
	v_max3_f32 v13, v13, v15, v16
	v_or_b32_e32 v15, 48, v12
	v_or_b32_e32 v16, 49, v12
	v_cmp_gt_i32_e64 s[34:35], s7, v15
	v_cmp_gt_i32_e64 s[36:37], s7, v16
	s_nop 0
	v_cndmask_b32_e64 v15, v14, v36, s[34:35]
	v_cndmask_b32_e64 v16, v14, v37, s[36:37]
	v_max3_f32 v13, v13, v15, v16
	v_or_b32_e32 v15, 50, v12
	v_or_b32_e32 v12, 51, v12
	v_cmp_gt_i32_e32 vcc, s7, v15
	v_cmp_gt_i32_e64 s[4:5], s7, v12
	s_nop 0
	v_cndmask_b32_e32 v15, v14, v34, vcc
	v_cndmask_b32_e64 v12, v14, v35, s[4:5]
	v_max3_f32 v16, v13, v15, v12
	v_mbcnt_lo_u32_b32 v12, -1, 0
	v_mbcnt_hi_u32_b32 v17, -1, v12
	v_and_b32_e32 v12, 64, v17
	v_add_u32_e32 v18, 64, v12
	v_xor_b32_e32 v12, 32, v17
	v_cmp_lt_i32_e64 s[38:39], v12, v18
	s_nop 1
	v_cndmask_b32_e64 v12, v17, v12, s[38:39]
	v_lshlrev_b32_e32 v52, 2, v12
	ds_bpermute_b32 v19, v52, v16
	v_lshl_add_u64 v[12:13], v[46:47], 0, v[58:59]
	v_mad_i64_i32 v[14:15], s[38:39], v68, s45, v[12:13]
	s_waitcnt lgkmcnt(0)
	v_max_f32_e32 v19, v19, v19
	v_max_f32_e32 v19, v16, v19
	v_xor_b32_e32 v16, 16, v17
	v_cmp_lt_i32_e64 s[38:39], v16, v18
	s_nop 1
	v_cndmask_b32_e64 v16, v17, v16, s[38:39]
	v_lshlrev_b32_e32 v53, 2, v16
	ds_bpermute_b32 v18, v53, v19
	v_mad_i64_i32 v[16:17], s[38:39], v66, s45, v[12:13]
	v_mad_i64_i32 v[44:45], s[38:39], v67, s45, v[12:13]
	s_waitcnt lgkmcnt(0)
	v_max_f32_e32 v18, v18, v18
	v_max_f32_e32 v50, v19, v18
	v_sub_f32_e32 v10, v10, v50
	v_mul_f32_e32 v10, 0x3fb8aa3b, v10
	v_exp_f32_e32 v18, v10
	v_sub_f32_e32 v10, v11, v50
	v_mul_f32_e32 v10, 0x3fb8aa3b, v10
	v_exp_f32_e32 v19, v10
	v_mad_i64_i32 v[10:11], s[38:39], v65, s45, v[12:13]
	v_sub_f32_e32 v12, v51, v50
	v_mul_f32_e32 v12, 0x3fb8aa3b, v12
	v_cndmask_b32_e64 v46, 0, v18, s[8:9]
	v_cndmask_b32_e64 v47, 0, v19, s[10:11]
	v_sub_f32_e32 v58, v31, v50
	global_load_dwordx4 v[30:33], v[14:15], off
	global_load_dwordx4 v[18:21], v[16:17], off
	v_exp_f32_e32 v51, v12
	global_load_dwordx4 v[14:17], v[44:45], off
	s_nop 0
	global_load_dwordx4 v[10:13], v[10:11], off
	v_sub_f32_e32 v45, v48, v50
	v_sub_f32_e32 v48, v49, v50
	v_sub_f32_e32 v40, v40, v50
	v_sub_f32_e32 v42, v42, v50
	v_mul_f32_e32 v44, 0x3fb8aa3b, v58
	v_mul_f32_e32 v45, 0x3fb8aa3b, v45
	;; [unrolled: 1-line block ×5, first 2 shown]
	v_exp_f32_e32 v44, v44
	v_exp_f32_e32 v45, v45
	;; [unrolled: 1-line block ×3, first 2 shown]
	v_cndmask_b32_e64 v48, 0, v51, s[12:13]
	v_exp_f32_e32 v40, v40
	v_exp_f32_e32 v51, v42
	v_sub_f32_e32 v42, v43, v50
	v_mul_f32_e32 v42, 0x3fb8aa3b, v42
	v_cndmask_b32_e64 v49, 0, v44, s[14:15]
	v_cndmask_b32_e64 v44, 0, v45, s[16:17]
	;; [unrolled: 1-line block ×3, first 2 shown]
	v_sub_f32_e32 v41, v41, v50
	v_exp_f32_e32 v58, v42
	v_cndmask_b32_e64 v42, 0, v40, s[20:21]
	v_cndmask_b32_e64 v40, 0, v51, s[24:25]
	v_add_f32_e32 v51, 0, v46
	v_mul_f32_e32 v41, 0x3fb8aa3b, v41
	v_add_f32_e32 v51, v51, v47
	v_exp_f32_e32 v41, v41
	v_add_f32_e32 v51, v51, v48
	v_sub_f32_e32 v38, v38, v50
	v_add_f32_e32 v51, v51, v49
	v_sub_f32_e32 v39, v39, v50
	v_mul_f32_e32 v38, 0x3fb8aa3b, v38
	v_add_f32_e32 v51, v51, v44
	v_exp_f32_e32 v38, v38
	v_mul_f32_e32 v39, 0x3fb8aa3b, v39
	v_sub_f32_e32 v36, v36, v50
	v_add_f32_e32 v51, v51, v45
	v_cndmask_b32_e64 v43, 0, v41, s[22:23]
	v_exp_f32_e32 v39, v39
	v_mul_f32_e32 v36, 0x3fb8aa3b, v36
	v_sub_f32_e32 v37, v37, v50
	v_add_f32_e32 v51, v51, v42
	v_exp_f32_e32 v36, v36
	v_mul_f32_e32 v37, 0x3fb8aa3b, v37
	v_add_f32_e32 v51, v51, v43
	v_sub_f32_e32 v34, v34, v50
	v_cndmask_b32_e64 v41, 0, v58, s[26:27]
	v_exp_f32_e32 v37, v37
	v_add_f32_e32 v51, v51, v40
	v_mul_f32_e32 v34, 0x3fb8aa3b, v34
	v_sub_f32_e32 v35, v35, v50
	v_cndmask_b32_e64 v38, 0, v38, s[28:29]
	v_add_f32_e32 v51, v51, v41
	v_exp_f32_e32 v34, v34
	v_mul_f32_e32 v35, 0x3fb8aa3b, v35
	v_cndmask_b32_e64 v39, 0, v39, s[30:31]
	v_add_f32_e32 v51, v51, v38
	v_exp_f32_e32 v35, v35
	v_cndmask_b32_e64 v36, 0, v36, s[34:35]
	v_add_f32_e32 v51, v51, v39
	v_cndmask_b32_e64 v37, 0, v37, s[36:37]
	v_add_f32_e32 v51, v51, v36
	v_add_f32_e32 v51, v51, v37
	v_cndmask_b32_e32 v34, 0, v34, vcc
	v_add_f32_e32 v51, v51, v34
	v_cndmask_b32_e64 v35, 0, v35, s[4:5]
	v_add_f32_e32 v51, v51, v35
	ds_bpermute_b32 v52, v52, v51
	v_cmp_gt_u32_e32 vcc, 16, v55
	s_waitcnt lgkmcnt(0)
	s_barrier
	v_add_f32_e32 v51, v51, v52
	ds_bpermute_b32 v52, v53, v51
	s_and_saveexec_b64 s[4:5], vcc
	s_cbranch_execz .LBB1021_15
; %bb.14:
	s_waitcnt lgkmcnt(0)
	v_add_f32_e32 v51, v51, v52
	v_lshlrev_b32_e32 v52, 2, v64
	ds_write2st64_b32 v52, v50, v51 offset1:1
.LBB1021_15:
	s_or_b64 exec, exec, s[4:5]
	v_lshlrev_b32_e32 v51, 2, v56
	s_load_dword s7, s[0:1], 0x94
	s_waitcnt lgkmcnt(0)
	s_barrier
	ds_read2_b32 v[52:53], v51 offset1:16
	ds_read2_b32 v[58:59], v51 offset0:32 offset1:48
	ds_read2_b32 v[60:61], v51 offset0:64 offset1:80
	s_mul_i32 s8, s33, 14
	s_waitcnt lgkmcnt(2)
	v_max3_f32 v50, v52, s40, v53
	s_waitcnt lgkmcnt(1)
	v_max3_f32 v50, v50, v58, v59
	v_sub_f32_e32 v52, v52, v50
	v_mul_f32_e32 v52, 0x3fb8aa3b, v52
	v_exp_f32_e32 v55, v52
	v_sub_f32_e32 v52, v53, v50
	v_mul_f32_e32 v52, 0x3fb8aa3b, v52
	v_exp_f32_e32 v63, v52
	;; [unrolled: 3-line block ×3, first 2 shown]
	ds_read2_b32 v[52:53], v51 offset0:96 offset1:112
	v_sub_f32_e32 v51, v59, v50
	v_mul_f32_e32 v51, 0x3fb8aa3b, v51
	v_exp_f32_e32 v59, v51
	s_waitcnt lgkmcnt(1)
	v_fma_f32 v51, v55, v60, 0
	v_fmac_f32_e32 v51, v63, v61
	s_waitcnt lgkmcnt(0)
	v_fmac_f32_e32 v51, v58, v52
	v_fmac_f32_e32 v51, v59, v53
	v_add_f32_e32 v52, 0x358637bd, v51
	v_div_scale_f32 v53, s[4:5], v52, v52, 1.0
	v_rcp_f32_e32 v60, v53
	s_barrier
	v_fma_f32 v61, -v53, v60, 1.0
	v_fmac_f32_e32 v60, v61, v60
	v_div_scale_f32 v61, vcc, 1.0, v52, 1.0
	v_mul_f32_e32 v64, v61, v60
	v_fma_f32 v65, -v53, v64, v61
	v_fmac_f32_e32 v64, v65, v60
	v_fma_f32 v53, -v53, v64, v61
	v_div_fmas_f32 v53, v53, v60, v64
	v_cmp_eq_u32_e32 vcc, 1, v57
	v_div_fixup_f32 v52, v53, v52, 1.0
	s_nop 0
	v_cndmask_b32_e32 v53, v55, v63, vcc
	v_cmp_eq_u32_e32 vcc, 2, v57
	s_nop 1
	v_cndmask_b32_e32 v53, v53, v58, vcc
	v_cmp_eq_u32_e32 vcc, 3, v57
	s_nop 1
	v_cndmask_b32_e32 v53, v53, v59, vcc
	v_mul_f32_e32 v52, v53, v52
	v_pk_mul_f32 v[48:49], v[52:53], v[48:49] op_sel_hi:[0,1]
	v_pk_mul_f32 v[46:47], v[52:53], v[46:47] op_sel_hi:[0,1]
	v_cvt_f16_f32_e32 v53, v48
	v_cvt_f16_f32_e32 v49, v49
	;; [unrolled: 1-line block ×4, first 2 shown]
	v_pk_mul_f32 v[42:43], v[52:53], v[42:43] op_sel_hi:[0,1]
	v_pk_mul_f32 v[44:45], v[52:53], v[44:45] op_sel_hi:[0,1]
	v_pack_b32_f16 v49, v53, v49
	v_cvt_f16_f32_e32 v44, v44
	v_cvt_f16_f32_e32 v45, v45
	;; [unrolled: 1-line block ×4, first 2 shown]
	v_pack_b32_f16 v48, v46, v47
	v_lshlrev_b32_e32 v47, 3, v62
	v_lshlrev_b32_e32 v46, 5, v56
	;; [unrolled: 1-line block ×3, first 2 shown]
	v_or3_b32 v55, v42, v46, v47
	v_pack_b32_f16 v42, v44, v45
	v_pack_b32_f16 v43, v53, v43
	v_pk_mul_f32 v[38:39], v[52:53], v[38:39] op_sel_hi:[0,1]
	v_pk_mul_f32 v[40:41], v[52:53], v[40:41] op_sel_hi:[0,1]
	;; [unrolled: 1-line block ×4, first 2 shown]
	ds_write2st64_b64 v55, v[48:49], v[42:43] offset1:1
	v_cvt_f16_f32_e32 v40, v40
	v_cvt_f16_f32_e32 v41, v41
	;; [unrolled: 1-line block ×8, first 2 shown]
	v_pack_b32_f16 v34, v40, v41
	v_pack_b32_f16 v35, v38, v39
	;; [unrolled: 1-line block ×4, first 2 shown]
	v_cmp_gt_u32_e32 vcc, 14, v0
	ds_write2st64_b64 v55, v[34:35], v[36:37] offset0:2 offset1:3
	s_and_saveexec_b64 s[4:5], vcc
	s_cbranch_execz .LBB1021_17
; %bb.16:
	s_mov_b32 s49, 0
	v_mov_b32_e32 v57, 0
	v_lshl_add_u64 v[34:35], s[48:49], 0, v[56:57]
	v_mov_b32_e32 v36, s8
	v_mad_u64_u32 v[34:35], s[10:11], s2, v36, v[34:35]
	s_mul_i32 s3, s3, s8
	v_mov_b32_e32 v36, s6
	v_mov_b32_e32 v37, v57
	s_load_dwordx4 s[12:15], s[0:1], 0x58
	v_add_u32_e32 v38, s3, v35
	v_mad_u64_u32 v[34:35], s[10:11], v34, s7, v[36:37]
	v_mov_b32_e32 v36, v35
	v_mad_u64_u32 v[36:37], s[10:11], v38, s7, v[36:37]
	v_mov_b32_e32 v35, v36
	v_lshlrev_b64 v[34:35], 2, v[34:35]
	s_waitcnt lgkmcnt(0)
	v_lshl_add_u64 v[36:37], s[14:15], 0, v[34:35]
	v_lshl_add_u64 v[34:35], s[12:13], 0, v[34:35]
	global_store_dword v[36:37], v50, off
	global_store_dword v[34:35], v51, off
.LBB1021_17:
	s_or_b64 exec, exec, s[4:5]
	s_waitcnt vmcnt(7)
	v_cvt_pk_f32_fp8_e32 v[34:35], v6
	v_cvt_pk_f32_fp8_sdwa v[36:37], v6 src0_sel:WORD_1
	v_lshl_or_b32 v50, v62, 9, v46
	s_waitcnt lgkmcnt(0)
	s_barrier
	v_cvt_pk_f32_fp8_e32 v[38:39], v7
	v_cvt_pkrtz_f16_f32 v6, v34, v35
	v_cvt_pk_f32_fp8_sdwa v[40:41], v7 src0_sel:WORD_1
	v_cvt_pkrtz_f16_f32 v7, v36, v37
	ds_read_b128 v[34:37], v50
	v_cvt_pkrtz_f16_f32 v46, v38, v39
	v_cvt_pkrtz_f16_f32 v47, v40, v41
	ds_read_b128 v[38:41], v50 offset:16
	v_cvt_pk_f32_fp8_e32 v[48:49], v8
	v_cvt_pk_f32_fp8_sdwa v[52:53], v8 src0_sel:WORD_1
	s_waitcnt lgkmcnt(1)
	v_mfma_f32_16x16x16_f16 v[42:45], v[6:7], v[34:35], 0
	s_waitcnt vmcnt(6)
	v_cvt_pk_f32_fp8_e32 v[58:59], v4
	v_cvt_pkrtz_f16_f32 v6, v48, v49
	v_cvt_pkrtz_f16_f32 v7, v52, v53
	v_cvt_pk_f32_fp8_e32 v[48:49], v9
	v_mfma_f32_16x16x16_f16 v[42:45], v[46:47], v[36:37], v[42:45]
	v_cvt_pk_f32_fp8_sdwa v[46:47], v9 src0_sel:WORD_1
	v_cvt_pk_f32_fp8_sdwa v[60:61], v4 src0_sel:WORD_1
	v_cvt_pkrtz_f16_f32 v48, v48, v49
	s_waitcnt lgkmcnt(0)
	v_mfma_f32_16x16x16_f16 v[6:9], v[6:7], v[38:39], v[42:45]
	v_cvt_pkrtz_f16_f32 v49, v46, v47
	s_waitcnt vmcnt(5)
	v_cvt_pk_f32_fp8_e32 v[64:65], v28
	v_cvt_pk_f32_fp8_sdwa v[66:67], v28 src0_sel:WORD_1
	v_cvt_pk_f32_fp8_e32 v[42:43], v2
	v_mfma_f32_16x16x16_f16 v[46:49], v[48:49], v[40:41], v[6:9]
	s_waitcnt vmcnt(4)
	v_cvt_pk_f32_fp8_sdwa v[68:69], v24 src0_sel:WORD_1
	s_load_dword s4, s[42:43], 0x0
	v_cvt_pk_f32_fp8_sdwa v[6:7], v2 src0_sel:WORD_1
	v_cvt_pk_f32_fp8_e32 v[8:9], v3
	v_cvt_pkrtz_f16_f32 v2, v42, v43
	v_cvt_pk_f32_fp8_sdwa v[42:43], v3 src0_sel:WORD_1
	v_cvt_pkrtz_f16_f32 v3, v6, v7
	v_cvt_pkrtz_f16_f32 v52, v8, v9
	ds_read_b128 v[6:9], v50 offset:2048
	v_cvt_pkrtz_f16_f32 v53, v42, v43
	ds_read_b128 v[42:45], v50 offset:2064
	s_waitcnt lgkmcnt(0)
	v_mfma_f32_16x16x16_f16 v[46:49], v[2:3], v[6:7], v[46:49]
	v_cvt_pkrtz_f16_f32 v2, v58, v59
	v_cvt_pkrtz_f16_f32 v3, v60, v61
	v_cvt_pk_f32_fp8_e32 v[58:59], v5
	v_mfma_f32_16x16x16_f16 v[46:49], v[52:53], v[8:9], v[46:49]
	v_cvt_pk_f32_fp8_sdwa v[52:53], v5 src0_sel:WORD_1
	s_mov_b32 s3, 0
	v_cvt_pkrtz_f16_f32 v58, v58, v59
	v_mfma_f32_16x16x16_f16 v[2:5], v[2:3], v[42:43], v[46:49]
	v_cvt_pkrtz_f16_f32 v59, v52, v53
	v_cmp_gt_u32_e32 vcc, 64, v0
	s_nop 0
	v_cvt_pk_f32_fp8_e32 v[46:47], v26
	v_mfma_f32_16x16x16_f16 v[58:61], v[58:59], v[44:45], v[2:5]
	s_nop 2
	v_cvt_pk_f32_fp8_sdwa v[2:3], v26 src0_sel:WORD_1
	v_cvt_pk_f32_fp8_e32 v[4:5], v27
	v_cvt_pkrtz_f16_f32 v26, v46, v47
	v_cvt_pk_f32_fp8_sdwa v[46:47], v27 src0_sel:WORD_1
	v_cvt_pkrtz_f16_f32 v27, v2, v3
	v_cvt_pkrtz_f16_f32 v52, v4, v5
	ds_read_b128 v[2:5], v50 offset:4096
	v_cvt_pkrtz_f16_f32 v53, v46, v47
	ds_read_b128 v[46:49], v50 offset:4112
	s_waitcnt lgkmcnt(1)
	v_mfma_f32_16x16x16_f16 v[58:61], v[26:27], v[2:3], v[58:61]
	v_cvt_pkrtz_f16_f32 v26, v64, v65
	v_cvt_pkrtz_f16_f32 v27, v66, v67
	v_cvt_pk_f32_fp8_e32 v[64:65], v29
	v_mfma_f32_16x16x16_f16 v[58:61], v[52:53], v[4:5], v[58:61]
	v_cvt_pk_f32_fp8_sdwa v[52:53], v29 src0_sel:WORD_1
	v_cvt_pk_f32_fp8_e32 v[66:67], v24
	v_cvt_pkrtz_f16_f32 v64, v64, v65
	s_waitcnt lgkmcnt(0)
	v_mfma_f32_16x16x16_f16 v[26:29], v[26:27], v[46:47], v[58:61]
	v_cvt_pkrtz_f16_f32 v65, v52, v53
	v_cvt_pk_f32_fp8_e32 v[52:53], v22
	s_nop 0
	v_mfma_f32_16x16x16_f16 v[58:61], v[64:65], v[48:49], v[26:29]
	s_nop 2
	v_cvt_pk_f32_fp8_sdwa v[26:27], v22 src0_sel:WORD_1
	v_cvt_pk_f32_fp8_e32 v[28:29], v23
	v_cvt_pkrtz_f16_f32 v22, v52, v53
	v_cvt_pk_f32_fp8_sdwa v[52:53], v23 src0_sel:WORD_1
	v_cvt_pkrtz_f16_f32 v23, v26, v27
	v_cvt_pkrtz_f16_f32 v64, v28, v29
	ds_read_b128 v[26:29], v50 offset:6144
	v_cvt_pkrtz_f16_f32 v65, v52, v53
	s_waitcnt lgkmcnt(0)
	v_mfma_f32_16x16x16_f16 v[58:61], v[22:23], v[26:27], v[58:61]
	ds_read_b128 v[50:53], v50 offset:6160
	v_cvt_pkrtz_f16_f32 v22, v66, v67
	v_cvt_pkrtz_f16_f32 v23, v68, v69
	v_mfma_f32_16x16x16_f16 v[58:61], v[64:65], v[28:29], v[58:61]
	v_cvt_pk_f32_fp8_e32 v[66:67], v25
	v_cvt_pk_f32_fp8_sdwa v[64:65], v25 src0_sel:WORD_1
	s_waitcnt vmcnt(3)
	v_cvt_pk_f32_fp8_sdwa v[68:69], v32 src0_sel:WORD_1
	s_waitcnt lgkmcnt(0)
	v_mfma_f32_16x16x16_f16 v[22:25], v[22:23], v[50:51], v[58:61]
	v_cvt_pkrtz_f16_f32 v66, v66, v67
	v_cvt_pkrtz_f16_f32 v67, v64, v65
	v_cvt_pk_f32_fp8_e32 v[64:65], v31
	v_cvt_pk_f32_fp8_e32 v[58:59], v30
	v_cvt_pk_f32_fp8_sdwa v[60:61], v30 src0_sel:WORD_1
	v_cvt_pk_f32_fp8_sdwa v[30:31], v31 src0_sel:WORD_1
	v_mfma_f32_16x16x16_f16 v[22:25], v[66:67], v[52:53], v[22:25]
	v_cvt_pkrtz_f16_f32 v58, v58, v59
	v_cvt_pkrtz_f16_f32 v59, v60, v61
	;; [unrolled: 1-line block ×3, first 2 shown]
	v_cvt_pk_f32_fp8_e32 v[66:67], v32
	v_cvt_pkrtz_f16_f32 v65, v30, v31
	v_mfma_f32_16x16x16_f16 v[58:61], v[58:59], v[34:35], 0
	v_cvt_pkrtz_f16_f32 v30, v66, v67
	v_cvt_pkrtz_f16_f32 v31, v68, v69
	v_cvt_pk_f32_fp8_e32 v[66:67], v33
	v_mfma_f32_16x16x16_f16 v[34:37], v[64:65], v[36:37], v[58:61]
	s_barrier
	s_nop 1
	v_cvt_pk_f32_fp8_sdwa v[58:59], v33 src0_sel:WORD_1
	v_cvt_pkrtz_f16_f32 v60, v66, v67
	v_mfma_f32_16x16x16_f16 v[30:33], v[30:31], v[38:39], v[34:37]
	s_waitcnt vmcnt(2)
	v_cvt_pk_f32_fp8_e32 v[38:39], v19
	v_cvt_pkrtz_f16_f32 v61, v58, v59
	v_cvt_pk_f32_fp8_e32 v[34:35], v18
	v_cvt_pk_f32_fp8_sdwa v[36:37], v18 src0_sel:WORD_1
	v_cvt_pk_f32_fp8_sdwa v[18:19], v19 src0_sel:WORD_1
	v_mfma_f32_16x16x16_f16 v[30:33], v[60:61], v[40:41], v[30:33]
	v_cvt_pkrtz_f16_f32 v34, v34, v35
	v_cvt_pkrtz_f16_f32 v35, v36, v37
	;; [unrolled: 1-line block ×3, first 2 shown]
	v_cvt_pk_f32_fp8_e32 v[38:39], v20
	v_cvt_pk_f32_fp8_sdwa v[40:41], v20 src0_sel:WORD_1
	v_cvt_pkrtz_f16_f32 v37, v18, v19
	v_mfma_f32_16x16x16_f16 v[30:33], v[34:35], v[6:7], v[30:33]
	v_cvt_pkrtz_f16_f32 v18, v38, v39
	v_cvt_pkrtz_f16_f32 v19, v40, v41
	v_cvt_pk_f32_fp8_e32 v[34:35], v21
	v_cvt_pk_f32_fp8_sdwa v[20:21], v21 src0_sel:WORD_1
	v_mfma_f32_16x16x16_f16 v[6:9], v[36:37], v[8:9], v[30:33]
	s_nop 2
	v_cvt_pkrtz_f16_f32 v30, v34, v35
	v_cvt_pkrtz_f16_f32 v31, v20, v21
	v_mfma_f32_16x16x16_f16 v[6:9], v[18:19], v[42:43], v[6:9]
	s_waitcnt vmcnt(1)
	v_cvt_pk_f32_fp8_e32 v[18:19], v14
	v_cvt_pk_f32_fp8_sdwa v[20:21], v14 src0_sel:WORD_1
	v_cvt_pk_f32_fp8_sdwa v[32:33], v16 src0_sel:WORD_1
	v_mfma_f32_16x16x16_f16 v[6:9], v[30:31], v[44:45], v[6:9]
	v_cvt_pk_f32_fp8_e32 v[30:31], v15
	v_cvt_pkrtz_f16_f32 v18, v18, v19
	v_cvt_pkrtz_f16_f32 v19, v20, v21
	v_cvt_pk_f32_fp8_sdwa v[14:15], v15 src0_sel:WORD_1
	v_cvt_pkrtz_f16_f32 v20, v30, v31
	v_cvt_pk_f32_fp8_e32 v[30:31], v16
	v_mfma_f32_16x16x16_f16 v[6:9], v[18:19], v[2:3], v[6:9]
	v_cvt_pkrtz_f16_f32 v21, v14, v15
	v_cvt_pkrtz_f16_f32 v14, v30, v31
	;; [unrolled: 1-line block ×3, first 2 shown]
	v_cvt_pk_f32_fp8_e32 v[18:19], v17
	v_cvt_pk_f32_fp8_sdwa v[16:17], v17 src0_sel:WORD_1
	v_mfma_f32_16x16x16_f16 v[2:5], v[20:21], v[4:5], v[6:9]
	s_waitcnt vmcnt(0)
	v_cvt_pk_f32_fp8_sdwa v[20:21], v12 src0_sel:WORD_1
	s_nop 0
	v_cvt_pkrtz_f16_f32 v8, v18, v19
	v_cvt_pkrtz_f16_f32 v9, v16, v17
	v_mfma_f32_16x16x16_f16 v[2:5], v[14:15], v[46:47], v[2:5]
	v_cvt_pk_f32_fp8_e32 v[16:17], v10
	v_cvt_pk_f32_fp8_sdwa v[18:19], v10 src0_sel:WORD_1
	v_pk_mul_f32 v[6:7], v[24:25], s[4:5] op_sel_hi:[1,0]
	v_mfma_f32_16x16x16_f16 v[2:5], v[8:9], v[48:49], v[2:5]
	v_cvt_pk_f32_fp8_e32 v[8:9], v11
	v_cvt_pkrtz_f16_f32 v16, v16, v17
	v_cvt_pkrtz_f16_f32 v17, v18, v19
	v_cvt_pk_f32_fp8_sdwa v[10:11], v11 src0_sel:WORD_1
	v_cvt_pkrtz_f16_f32 v8, v8, v9
	v_cvt_pk_f32_fp8_e32 v[18:19], v12
	v_mfma_f32_16x16x16_f16 v[2:5], v[16:17], v[26:27], v[2:5]
	v_cvt_pkrtz_f16_f32 v9, v10, v11
	v_cvt_pkrtz_f16_f32 v10, v18, v19
	;; [unrolled: 1-line block ×3, first 2 shown]
	v_cvt_pk_f32_fp8_e32 v[16:17], v13
	v_cvt_pk_f32_fp8_sdwa v[12:13], v13 src0_sel:WORD_1
	v_mfma_f32_16x16x16_f16 v[2:5], v[8:9], v[28:29], v[2:5]
	v_pk_mul_f32 v[14:15], v[22:23], s[4:5] op_sel_hi:[1,0]
	v_cvt_pkrtz_f16_f32 v8, v16, v17
	v_cvt_pkrtz_f16_f32 v9, v12, v13
	v_mfma_f32_16x16x16_f16 v[2:5], v[10:11], v[50:51], v[2:5]
	v_cvt_f16_f32_e32 v14, v14
	v_cvt_f16_f32_e32 v10, v15
	;; [unrolled: 1-line block ×3, first 2 shown]
	v_mfma_f32_16x16x16_f16 v[2:5], v[8:9], v[52:53], v[2:5]
	v_cvt_f16_f32_e32 v7, v7
	s_nop 5
	v_pk_mul_f32 v[4:5], v[4:5], s[4:5] op_sel_hi:[1,0]
	v_pk_mul_f32 v[2:3], v[2:3], s[4:5] op_sel_hi:[1,0]
	v_cvt_f16_f32_e32 v11, v4
	v_cvt_f16_f32_e32 v8, v2
	;; [unrolled: 1-line block ×4, first 2 shown]
	v_pack_b32_f16 v2, v14, v10
	v_pack_b32_f16 v3, v6, v7
	;; [unrolled: 1-line block ×4, first 2 shown]
	ds_write2st64_b64 v55, v[2:3], v[4:5] offset1:1
	s_waitcnt lgkmcnt(0)
	s_barrier
	s_and_saveexec_b64 s[4:5], vcc
	s_cbranch_execz .LBB1021_20
; %bb.18:
	s_load_dwordx2 s[4:5], s[0:1], 0x68
	s_lshl_b32 s0, s7, 7
	s_mul_i32 s1, s8, s2
	v_lshlrev_b32_e32 v3, 6, v56
	s_mul_hi_u32 s9, s1, s0
	s_mul_i32 s8, s1, s0
	v_lshl_or_b32 v0, v0, 10, v3
	s_lshl_b64 s[8:9], s[8:9], 1
	v_lshlrev_b32_e32 v2, 5, v62
	v_and_b32_e32 v1, 16, v1
	v_and_b32_e32 v0, 0x1a00, v0
	s_waitcnt lgkmcnt(0)
	s_add_u32 s1, s4, s8
	v_or3_b32 v2, v0, v2, v1
	s_addc_u32 s4, s5, s9
	s_lshl_b32 s2, s6, 7
	ds_read_b128 v[4:7], v2 offset:256
	s_lshl_b64 s[2:3], s[2:3], 1
	ds_read_b128 v[8:11], v2 offset:128
	ds_read_b128 v[12:15], v2
	s_add_u32 s2, s1, s2
	s_addc_u32 s3, s4, s3
	v_mov_b32_e32 v55, 0
	v_add_u32_e32 v18, s48, v62
	v_lshl_add_u64 v[0:1], s[2:3], 0, v[54:55]
	v_mad_u64_u32 v[16:17], s[2:3], v18, s0, 0
	v_lshl_add_u64 v[16:17], v[16:17], 1, v[0:1]
	s_waitcnt lgkmcnt(0)
	global_store_dwordx4 v[16:17], v[12:15], off
	v_or_b32_e32 v3, 12, v62
	v_cmp_gt_u32_e32 vcc, 14, v3
	v_add_u32_e32 v12, 4, v18
	v_mad_u64_u32 v[12:13], s[2:3], v12, s0, 0
	v_lshl_add_u64 v[12:13], v[12:13], 1, v[0:1]
	global_store_dwordx4 v[12:13], v[8:11], off
	s_nop 1
	v_add_u32_e32 v8, 8, v18
	v_mad_u64_u32 v[8:9], s[2:3], v8, s0, 0
	v_lshl_add_u64 v[8:9], v[8:9], 1, v[0:1]
	global_store_dwordx4 v[8:9], v[4:7], off
	s_and_b64 exec, exec, vcc
	s_cbranch_execz .LBB1021_20
; %bb.19:
	ds_read_b128 v[4:7], v2 offset:384
	v_add_u32_e32 v2, s48, v3
	v_mad_u64_u32 v[2:3], s[0:1], v2, s0, 0
	v_lshl_add_u64 v[0:1], v[2:3], 1, v[0:1]
	s_waitcnt lgkmcnt(0)
	global_store_dwordx4 v[0:1], v[4:7], off
.LBB1021_20:
	s_endpgm
	.section	.rodata,"a",@progbits
	.p2align	6, 0x0
	.amdhsa_kernel _Z39paged_attention_ll4mi_QKV_mfma16_kernelIDF16_hLN4vllm18Fp8KVCacheDataTypeE1EhLi32ELi128ELi256ELb1ELi14EEvPKT_PKT0_S7_ifPKiS9_S9_iPKfiiiPfSC_PS2_PT2_iSB_SB_
		.amdhsa_group_segment_fixed_size 8192
		.amdhsa_private_segment_fixed_size 0
		.amdhsa_kernarg_size 400
		.amdhsa_user_sgpr_count 2
		.amdhsa_user_sgpr_dispatch_ptr 0
		.amdhsa_user_sgpr_queue_ptr 0
		.amdhsa_user_sgpr_kernarg_segment_ptr 1
		.amdhsa_user_sgpr_dispatch_id 0
		.amdhsa_user_sgpr_kernarg_preload_length 0
		.amdhsa_user_sgpr_kernarg_preload_offset 0
		.amdhsa_user_sgpr_private_segment_size 0
		.amdhsa_uses_dynamic_stack 0
		.amdhsa_enable_private_segment 0
		.amdhsa_system_sgpr_workgroup_id_x 1
		.amdhsa_system_sgpr_workgroup_id_y 1
		.amdhsa_system_sgpr_workgroup_id_z 1
		.amdhsa_system_sgpr_workgroup_info 0
		.amdhsa_system_vgpr_workitem_id 0
		.amdhsa_next_free_vgpr 78
		.amdhsa_next_free_sgpr 50
		.amdhsa_accum_offset 80
		.amdhsa_reserve_vcc 1
		.amdhsa_float_round_mode_32 0
		.amdhsa_float_round_mode_16_64 0
		.amdhsa_float_denorm_mode_32 3
		.amdhsa_float_denorm_mode_16_64 3
		.amdhsa_dx10_clamp 1
		.amdhsa_ieee_mode 1
		.amdhsa_fp16_overflow 0
		.amdhsa_tg_split 0
		.amdhsa_exception_fp_ieee_invalid_op 0
		.amdhsa_exception_fp_denorm_src 0
		.amdhsa_exception_fp_ieee_div_zero 0
		.amdhsa_exception_fp_ieee_overflow 0
		.amdhsa_exception_fp_ieee_underflow 0
		.amdhsa_exception_fp_ieee_inexact 0
		.amdhsa_exception_int_div_zero 0
	.end_amdhsa_kernel
	.section	.text._Z39paged_attention_ll4mi_QKV_mfma16_kernelIDF16_hLN4vllm18Fp8KVCacheDataTypeE1EhLi32ELi128ELi256ELb1ELi14EEvPKT_PKT0_S7_ifPKiS9_S9_iPKfiiiPfSC_PS2_PT2_iSB_SB_,"axG",@progbits,_Z39paged_attention_ll4mi_QKV_mfma16_kernelIDF16_hLN4vllm18Fp8KVCacheDataTypeE1EhLi32ELi128ELi256ELb1ELi14EEvPKT_PKT0_S7_ifPKiS9_S9_iPKfiiiPfSC_PS2_PT2_iSB_SB_,comdat
.Lfunc_end1021:
	.size	_Z39paged_attention_ll4mi_QKV_mfma16_kernelIDF16_hLN4vllm18Fp8KVCacheDataTypeE1EhLi32ELi128ELi256ELb1ELi14EEvPKT_PKT0_S7_ifPKiS9_S9_iPKfiiiPfSC_PS2_PT2_iSB_SB_, .Lfunc_end1021-_Z39paged_attention_ll4mi_QKV_mfma16_kernelIDF16_hLN4vllm18Fp8KVCacheDataTypeE1EhLi32ELi128ELi256ELb1ELi14EEvPKT_PKT0_S7_ifPKiS9_S9_iPKfiiiPfSC_PS2_PT2_iSB_SB_
                                        ; -- End function
	.section	.AMDGPU.csdata,"",@progbits
; Kernel info:
; codeLenInByte = 6416
; NumSgprs: 56
; NumVgprs: 78
; NumAgprs: 0
; TotalNumVgprs: 78
; ScratchSize: 0
; MemoryBound: 0
; FloatMode: 240
; IeeeMode: 1
; LDSByteSize: 8192 bytes/workgroup (compile time only)
; SGPRBlocks: 6
; VGPRBlocks: 9
; NumSGPRsForWavesPerEU: 56
; NumVGPRsForWavesPerEU: 78
; AccumOffset: 80
; Occupancy: 6
; WaveLimiterHint : 1
; COMPUTE_PGM_RSRC2:SCRATCH_EN: 0
; COMPUTE_PGM_RSRC2:USER_SGPR: 2
; COMPUTE_PGM_RSRC2:TRAP_HANDLER: 0
; COMPUTE_PGM_RSRC2:TGID_X_EN: 1
; COMPUTE_PGM_RSRC2:TGID_Y_EN: 1
; COMPUTE_PGM_RSRC2:TGID_Z_EN: 1
; COMPUTE_PGM_RSRC2:TIDIG_COMP_CNT: 0
; COMPUTE_PGM_RSRC3_GFX90A:ACCUM_OFFSET: 19
; COMPUTE_PGM_RSRC3_GFX90A:TG_SPLIT: 0
	.section	.text._Z39paged_attention_ll4mi_QKV_mfma16_kernelIDF16_hLN4vllm18Fp8KVCacheDataTypeE1EhLi32ELi128ELi256ELb1ELi15EEvPKT_PKT0_S7_ifPKiS9_S9_iPKfiiiPfSC_PS2_PT2_iSB_SB_,"axG",@progbits,_Z39paged_attention_ll4mi_QKV_mfma16_kernelIDF16_hLN4vllm18Fp8KVCacheDataTypeE1EhLi32ELi128ELi256ELb1ELi15EEvPKT_PKT0_S7_ifPKiS9_S9_iPKfiiiPfSC_PS2_PT2_iSB_SB_,comdat
	.protected	_Z39paged_attention_ll4mi_QKV_mfma16_kernelIDF16_hLN4vllm18Fp8KVCacheDataTypeE1EhLi32ELi128ELi256ELb1ELi15EEvPKT_PKT0_S7_ifPKiS9_S9_iPKfiiiPfSC_PS2_PT2_iSB_SB_ ; -- Begin function _Z39paged_attention_ll4mi_QKV_mfma16_kernelIDF16_hLN4vllm18Fp8KVCacheDataTypeE1EhLi32ELi128ELi256ELb1ELi15EEvPKT_PKT0_S7_ifPKiS9_S9_iPKfiiiPfSC_PS2_PT2_iSB_SB_
	.globl	_Z39paged_attention_ll4mi_QKV_mfma16_kernelIDF16_hLN4vllm18Fp8KVCacheDataTypeE1EhLi32ELi128ELi256ELb1ELi15EEvPKT_PKT0_S7_ifPKiS9_S9_iPKfiiiPfSC_PS2_PT2_iSB_SB_
	.p2align	8
	.type	_Z39paged_attention_ll4mi_QKV_mfma16_kernelIDF16_hLN4vllm18Fp8KVCacheDataTypeE1EhLi32ELi128ELi256ELb1ELi15EEvPKT_PKT0_S7_ifPKiS9_S9_iPKfiiiPfSC_PS2_PT2_iSB_SB_,@function
_Z39paged_attention_ll4mi_QKV_mfma16_kernelIDF16_hLN4vllm18Fp8KVCacheDataTypeE1EhLi32ELi128ELi256ELb1ELi15EEvPKT_PKT0_S7_ifPKiS9_S9_iPKfiiiPfSC_PS2_PT2_iSB_SB_: ; @_Z39paged_attention_ll4mi_QKV_mfma16_kernelIDF16_hLN4vllm18Fp8KVCacheDataTypeE1EhLi32ELi128ELi256ELb1ELi15EEvPKT_PKT0_S7_ifPKiS9_S9_iPKfiiiPfSC_PS2_PT2_iSB_SB_
; %bb.0:
	s_load_dwordx2 s[10:11], s[0:1], 0x30
	s_mov_b32 s6, s3
	s_mov_b64 s[8:9], 0
	s_waitcnt lgkmcnt(0)
	s_cmp_lg_u64 s[10:11], 0
	s_cselect_b64 s[12:13], -1, 0
	s_and_b64 vcc, exec, s[12:13]
	s_cbranch_vccz .LBB1022_7
; %bb.1:
	s_add_i32 s14, s2, 1
	s_mov_b32 s15, 0
	s_lshl_b64 s[16:17], s[14:15], 2
	s_add_u32 s16, s10, s16
	s_mov_b32 s3, s15
	s_addc_u32 s17, s11, s17
	s_lshl_b64 s[14:15], s[2:3], 2
	s_add_u32 s14, s10, s14
	s_addc_u32 s15, s11, s15
	s_load_dword s5, s[16:17], 0x0
	s_load_dword s7, s[14:15], 0x0
	s_waitcnt lgkmcnt(0)
	s_sub_i32 s5, s5, s7
	s_cmp_eq_u32 s5, 1
	s_cselect_b64 s[14:15], -1, 0
	s_andn2_b64 vcc, exec, s[8:9]
	s_cbranch_vccnz .LBB1022_3
.LBB1022_2:
	s_mov_b32 s3, 0
	s_mov_b64 s[14:15], -1
.LBB1022_3:
	s_andn2_b64 vcc, exec, s[14:15]
	s_cbranch_vccnz .LBB1022_20
; %bb.4:
	s_load_dwordx2 s[8:9], s[0:1], 0x28
	s_lshl_b64 s[14:15], s[2:3], 2
	s_waitcnt lgkmcnt(0)
	s_add_u32 s8, s8, s14
	s_addc_u32 s9, s9, s15
	s_load_dword s7, s[8:9], 0x0
	s_lshl_b32 s18, s6, 8
	s_waitcnt lgkmcnt(0)
	s_cmp_ge_i32 s18, s7
	s_cbranch_scc1 .LBB1022_20
; %bb.5:
	s_load_dwordx2 s[8:9], s[0:1], 0x20
	s_load_dword s5, s[0:1], 0x38
	s_add_i32 s16, s7, 31
	s_ashr_i32 s17, s16, 31
	v_and_b32_e32 v1, 0xcf, v0
	s_lshr_b32 s17, s17, 27
	v_add_u32_e32 v1, s18, v1
	s_add_i32 s16, s16, s17
	v_ashrrev_i32_e32 v2, 31, v1
	s_ashr_i32 s19, s16, 5
	v_lshrrev_b32_e32 v4, 27, v2
	s_add_i32 s19, s19, -1
	s_waitcnt lgkmcnt(0)
	s_mul_i32 s16, s2, s5
	s_mov_b32 s17, 0
	v_add_u32_e32 v2, v1, v4
	s_lshl_b64 s[16:17], s[16:17], 2
	v_ashrrev_i32_e32 v2, 5, v2
	v_mov_b32_e32 v5, s19
	v_cmp_gt_i32_e32 vcc, s7, v1
	s_add_u32 s8, s8, s16
	s_addc_u32 s9, s9, s17
	v_cndmask_b32_e32 v2, v5, v2, vcc
	v_ashrrev_i32_e32 v3, 31, v2
	v_lshl_add_u64 v[6:7], v[2:3], 2, s[8:9]
	v_or_b32_e32 v2, 16, v1
	v_add_u32_e32 v3, v2, v4
	v_ashrrev_i32_e32 v3, 5, v3
	v_cmp_gt_i32_e32 vcc, s7, v2
	s_load_dwordx2 s[16:17], s[0:1], 0x8
	s_nop 0
	v_cndmask_b32_e32 v2, v5, v3, vcc
	v_ashrrev_i32_e32 v3, 31, v2
	v_lshl_add_u64 v[8:9], v[2:3], 2, s[8:9]
	v_or_b32_e32 v2, 32, v1
	v_add_u32_e32 v3, v2, v4
	v_ashrrev_i32_e32 v3, 5, v3
	v_cmp_gt_i32_e32 vcc, s7, v2
	v_or_b32_e32 v1, 48, v1
	s_nop 0
	v_cndmask_b32_e32 v2, v5, v3, vcc
	v_ashrrev_i32_e32 v3, 31, v2
	v_lshl_add_u64 v[12:13], v[2:3], 2, s[8:9]
	v_add_u32_e32 v2, v1, v4
	v_ashrrev_i32_e32 v2, 5, v2
	v_cmp_gt_i32_e32 vcc, s7, v1
	s_nop 1
	v_cndmask_b32_e32 v2, v5, v2, vcc
	v_ashrrev_i32_e32 v3, 31, v2
	v_lshl_add_u64 v[14:15], v[2:3], 2, s[8:9]
	global_load_dword v4, v[6:7], off
	global_load_dword v3, v[8:9], off
	;; [unrolled: 1-line block ×4, first 2 shown]
	s_andn2_b64 vcc, exec, s[12:13]
	s_cbranch_vccnz .LBB1022_8
; %bb.6:
	s_add_u32 s10, s10, s14
	s_addc_u32 s11, s11, s15
	s_load_dword s5, s[10:11], 0x0
	s_branch .LBB1022_9
.LBB1022_7:
	s_mov_b64 s[14:15], 0
	s_branch .LBB1022_2
.LBB1022_8:
	s_mov_b32 s5, s2
.LBB1022_9:
	s_load_dwordx2 s[10:11], s[0:1], 0x10
	s_load_dwordx4 s[44:47], s[0:1], 0x48
	v_lshrrev_b32_e32 v57, 6, v0
	v_bfe_u32 v62, v0, 4, 2
	v_and_b32_e32 v56, 15, v0
	v_lshl_or_b32 v5, v57, 2, v62
	v_lshlrev_b32_e32 v1, 3, v56
	s_mul_i32 s48, s4, 15
	v_cmp_gt_u32_e32 vcc, 15, v5
	v_lshlrev_b32_e32 v54, 1, v1
	v_lshlrev_b32_e32 v1, 4, v0
	s_and_saveexec_b64 s[12:13], vcc
	s_cbranch_execz .LBB1022_11
; %bb.10:
	s_load_dwordx2 s[14:15], s[0:1], 0x0
	s_waitcnt lgkmcnt(0)
	s_ashr_i32 s20, s44, 31
	s_mul_hi_u32 s21, s5, s44
	s_mul_i32 s20, s5, s20
	s_add_i32 s21, s21, s20
	s_mul_i32 s20, s5, s44
	s_lshl_b64 s[20:21], s[20:21], 1
	s_add_u32 s14, s14, s20
	v_add_lshl_u32 v6, v5, s48, 7
	s_addc_u32 s15, s15, s21
	v_ashrrev_i32_e32 v7, 31, v6
	v_lshl_add_u64 v[6:7], v[6:7], 1, s[14:15]
	v_mov_b32_e32 v55, 0
	v_lshl_add_u64 v[6:7], v[6:7], 0, v[54:55]
	global_load_dwordx4 v[6:9], v[6:7], off
	v_lshlrev_b32_e32 v12, 8, v0
	v_lshlrev_b32_e32 v11, 8, v56
	v_and_b32_e32 v12, 0x600, v12
	s_movk_i32 s5, 0x800
	v_and_or_b32 v11, v11, s5, v12
	v_lshlrev_b32_e32 v5, 5, v5
	v_and_b32_e32 v12, 16, v1
	v_or3_b32 v5, v11, v5, v12
	s_waitcnt vmcnt(0)
	ds_write_b128 v5, v[6:9]
.LBB1022_11:
	s_or_b64 exec, exec, s[12:13]
	s_waitcnt lgkmcnt(0)
	s_mul_i32 s12, s4, s46
	s_add_u32 s4, s16, s12
	s_addc_u32 s5, s17, 0
	v_mov_b32_e32 v59, 0
	v_mov_b64_e32 v[12:13], s[4:5]
	v_and_b32_e32 v34, 48, v0
	s_waitcnt vmcnt(3)
	v_mad_i64_i32 v[4:5], s[4:5], v4, s45, v[12:13]
	v_lshlrev_b32_e32 v14, 4, v56
	v_mov_b32_e32 v15, v59
	v_lshlrev_b32_e32 v58, 5, v34
	v_lshl_add_u64 v[4:5], v[4:5], 0, v[14:15]
	v_lshl_add_u64 v[4:5], v[4:5], 0, v[58:59]
	s_barrier
	global_load_dwordx4 v[50:53], v[4:5], off
	global_load_dwordx4 v[46:49], v[4:5], off offset:2048
	s_waitcnt vmcnt(4)
	v_mad_i64_i32 v[4:5], s[4:5], v3, s45, v[12:13]
	v_or_b32_e32 v16, 0x100, v14
	v_mov_b32_e32 v17, v59
	s_waitcnt vmcnt(3)
	v_mad_i64_i32 v[2:3], s[4:5], v2, s45, v[12:13]
	s_waitcnt vmcnt(2)
	v_mad_i64_i32 v[10:11], s[4:5], v10, s45, v[12:13]
	v_lshl_add_u64 v[4:5], v[4:5], 0, v[16:17]
	v_lshl_add_u64 v[2:3], v[2:3], 0, v[14:15]
	;; [unrolled: 1-line block ×6, first 2 shown]
	global_load_dwordx4 v[36:39], v[4:5], off
	global_load_dwordx4 v[6:9], v[4:5], off offset:2048
	s_nop 0
	global_load_dwordx4 v[2:5], v[14:15], off
	global_load_dwordx4 v[42:45], v[14:15], off offset:2048
	global_load_dwordx4 v[26:29], v[10:11], off
	s_nop 0
	global_load_dwordx4 v[14:17], v[10:11], off offset:2048
	v_cmp_ne_u32_e32 vcc, 15, v56
	v_and_b32_e32 v55, 63, v0
	v_mov_b32_e32 v63, 0
	v_cndmask_b32_e32 v10, 0, v56, vcc
	v_lshlrev_b32_e32 v10, 5, v10
	v_lshl_or_b32 v10, v62, 9, v10
	ds_read_b128 v[30:33], v10
	ds_read_b128 v[22:25], v10 offset:16
	ds_read_b128 v[18:21], v10 offset:2048
	;; [unrolled: 1-line block ×3, first 2 shown]
	s_and_saveexec_b64 s[4:5], vcc
	s_cbranch_execz .LBB1022_13
; %bb.12:
	s_load_dwordx2 s[14:15], s[0:1], 0x40
	v_add_u32_e32 v40, s48, v56
	v_ashrrev_i32_e32 v41, 31, v40
	s_waitcnt lgkmcnt(0)
	v_lshl_add_u64 v[40:41], v[40:41], 2, s[14:15]
	global_load_dword v63, v[40:41], off
.LBB1022_13:
	s_or_b64 exec, exec, s[4:5]
	s_ashr_i32 s4, s18, 31
	v_or_b32_e32 v58, s18, v34
	s_lshr_b32 s4, s4, 27
	v_add_u32_e32 v34, s4, v58
	v_cmp_gt_i32_e32 vcc, s7, v58
	v_or_b32_e32 v40, 64, v58
	v_or_b32_e32 v60, 0x80, v58
	;; [unrolled: 1-line block ×3, first 2 shown]
	v_add_u32_e32 v64, s4, v58
	v_ashrrev_i32_e32 v69, 5, v64
	s_waitcnt vmcnt(7)
	v_cvt_pk_f32_fp8_e32 v[64:65], v50
	v_cvt_pk_f32_fp8_sdwa v[66:67], v50 src0_sel:WORD_1
	v_cvt_pk_f32_fp8_e32 v[70:71], v51
	v_cvt_pk_f32_fp8_sdwa v[50:51], v51 src0_sel:WORD_1
	v_cvt_pkrtz_f16_f32 v64, v64, v65
	v_cvt_pkrtz_f16_f32 v65, v66, v67
	;; [unrolled: 1-line block ×3, first 2 shown]
	v_cvt_pk_f32_fp8_e32 v[72:73], v52
	v_cvt_pk_f32_fp8_sdwa v[74:75], v52 src0_sel:WORD_1
	v_cvt_pkrtz_f16_f32 v71, v50, v51
	s_waitcnt lgkmcnt(3)
	v_mfma_f32_16x16x16_f16 v[64:67], v[64:65], v[30:31], 0
	v_cvt_pkrtz_f16_f32 v72, v72, v73
	v_cvt_pkrtz_f16_f32 v73, v74, v75
	v_cvt_pk_f32_fp8_e32 v[74:75], v53
	v_cvt_pk_f32_fp8_sdwa v[76:77], v53 src0_sel:WORD_1
	v_mfma_f32_16x16x16_f16 v[50:53], v[70:71], v[32:33], v[64:67]
	v_ashrrev_i32_e32 v34, 5, v34
	v_mov_b32_e32 v68, s19
	v_add_u32_e32 v41, s4, v40
	v_cndmask_b32_e32 v34, v68, v34, vcc
	v_ashrrev_i32_e32 v41, 5, v41
	v_cmp_gt_i32_e32 vcc, s7, v40
	v_add_u32_e32 v61, s4, v60
	v_cvt_pkrtz_f16_f32 v64, v74, v75
	v_cvt_pkrtz_f16_f32 v65, v76, v77
	v_cndmask_b32_e32 v40, v68, v41, vcc
	v_ashrrev_i32_e32 v61, 5, v61
	v_cmp_gt_i32_e32 vcc, s7, v60
	s_waitcnt lgkmcnt(2)
	v_mfma_f32_16x16x16_f16 v[50:53], v[72:73], v[22:23], v[50:53]
	s_waitcnt vmcnt(6)
	v_cvt_pk_f32_fp8_e32 v[66:67], v46
	v_cndmask_b32_e32 v60, v68, v61, vcc
	v_cmp_gt_i32_e32 vcc, s7, v58
	v_ashrrev_i32_e32 v35, 31, v34
	v_lshl_add_u64 v[34:35], v[34:35], 2, s[8:9]
	v_cndmask_b32_e32 v68, v68, v69, vcc
	v_ashrrev_i32_e32 v41, 31, v40
	v_ashrrev_i32_e32 v61, 31, v60
	;; [unrolled: 1-line block ×3, first 2 shown]
	v_lshl_add_u64 v[40:41], v[40:41], 2, s[8:9]
	v_lshl_add_u64 v[60:61], v[60:61], 2, s[8:9]
	;; [unrolled: 1-line block ×3, first 2 shown]
	v_mfma_f32_16x16x16_f16 v[50:53], v[64:65], v[24:25], v[50:53]
	v_cvt_pkrtz_f16_f32 v74, v66, v67
	global_load_dword v68, v[34:35], off
	global_load_dword v66, v[40:41], off
	;; [unrolled: 1-line block ×4, first 2 shown]
	v_cvt_pk_f32_fp8_sdwa v[70:71], v46 src0_sel:WORD_1
	v_cvt_pk_f32_fp8_e32 v[40:41], v48
	s_waitcnt vmcnt(9)
	v_cvt_pk_f32_fp8_e32 v[60:61], v36
	s_add_u32 s4, s10, s12
	v_cvt_pkrtz_f16_f32 v75, v70, v71
	v_cvt_pk_f32_fp8_e32 v[70:71], v47
	v_cvt_pk_f32_fp8_sdwa v[46:47], v47 src0_sel:WORD_1
	s_waitcnt lgkmcnt(1)
	v_mfma_f32_16x16x16_f16 v[50:53], v[74:75], v[18:19], v[50:53]
	v_cvt_pkrtz_f16_f32 v34, v70, v71
	v_cvt_pkrtz_f16_f32 v35, v46, v47
	v_cvt_pk_f32_fp8_sdwa v[46:47], v48 src0_sel:WORD_1
	v_cvt_pkrtz_f16_f32 v40, v40, v41
	v_mfma_f32_16x16x16_f16 v[50:53], v[34:35], v[20:21], v[50:53]
	v_cvt_pkrtz_f16_f32 v41, v46, v47
	v_cvt_pk_f32_fp8_e32 v[34:35], v49
	v_cvt_pk_f32_fp8_sdwa v[46:47], v49 src0_sel:WORD_1
	v_cvt_pk_f32_fp8_sdwa v[70:71], v36 src0_sel:WORD_1
	s_addc_u32 s5, s11, 0
	v_cvt_pkrtz_f16_f32 v34, v34, v35
	v_cvt_pkrtz_f16_f32 v35, v46, v47
	s_waitcnt lgkmcnt(0)
	v_mfma_f32_16x16x16_f16 v[46:49], v[40:41], v[10:11], v[50:53]
	v_cvt_pkrtz_f16_f32 v40, v60, v61
	v_cvt_pkrtz_f16_f32 v41, v70, v71
	s_waitcnt vmcnt(8)
	v_cvt_pk_f32_fp8_sdwa v[60:61], v6 src0_sel:WORD_1
	v_cvt_pk_f32_fp8_e32 v[50:51], v37
	v_cvt_pk_f32_fp8_sdwa v[52:53], v37 src0_sel:WORD_1
	v_mfma_f32_16x16x16_f16 v[34:37], v[34:35], v[12:13], v[46:49]
	v_and_b32_e32 v58, 16, v0
	v_cvt_pkrtz_f16_f32 v50, v50, v51
	v_cvt_pkrtz_f16_f32 v51, v52, v53
	v_mfma_f32_16x16x16_f16 v[46:49], v[40:41], v[30:31], 0
	v_cvt_pk_f32_fp8_e32 v[40:41], v38
	v_cvt_pk_f32_fp8_sdwa v[52:53], v38 src0_sel:WORD_1
	v_lshl_or_b32 v64, v57, 4, v56
	v_mfma_f32_16x16x16_f16 v[46:49], v[50:51], v[32:33], v[46:49]
	v_cvt_pk_f32_fp8_e32 v[50:51], v39
	v_cvt_pkrtz_f16_f32 v40, v40, v41
	v_cvt_pkrtz_f16_f32 v41, v52, v53
	v_cvt_pk_f32_fp8_sdwa v[38:39], v39 src0_sel:WORD_1
	v_cvt_pkrtz_f16_f32 v50, v50, v51
	v_cvt_pk_f32_fp8_e32 v[52:53], v6
	s_waitcnt vmcnt(6)
	v_cvt_pk_f32_fp8_e32 v[74:75], v43
	v_cvt_pkrtz_f16_f32 v51, v38, v39
	v_mfma_f32_16x16x16_f16 v[38:41], v[40:41], v[22:23], v[46:49]
	s_nop 2
	v_cvt_pkrtz_f16_f32 v48, v52, v53
	v_cvt_pkrtz_f16_f32 v49, v60, v61
	v_cvt_pk_f32_fp8_e32 v[52:53], v7
	v_cvt_pk_f32_fp8_sdwa v[6:7], v7 src0_sel:WORD_1
	v_mfma_f32_16x16x16_f16 v[38:41], v[50:51], v[24:25], v[38:41]
	v_lshl_add_u64 v[46:47], s[4:5], 0, v[58:59]
	v_cvt_pkrtz_f16_f32 v50, v52, v53
	v_cvt_pkrtz_f16_f32 v51, v6, v7
	v_mfma_f32_16x16x16_f16 v[38:41], v[48:49], v[18:19], v[38:41]
	v_cvt_pk_f32_fp8_e32 v[6:7], v8
	v_cvt_pk_f32_fp8_sdwa v[48:49], v8 src0_sel:WORD_1
	v_cvt_pk_f32_fp8_sdwa v[52:53], v2 src0_sel:WORD_1
	v_mfma_f32_16x16x16_f16 v[38:41], v[50:51], v[20:21], v[38:41]
	v_cvt_pk_f32_fp8_e32 v[50:51], v9
	v_cvt_pkrtz_f16_f32 v6, v6, v7
	v_cvt_pkrtz_f16_f32 v7, v48, v49
	v_cvt_pk_f32_fp8_sdwa v[8:9], v9 src0_sel:WORD_1
	v_cvt_pkrtz_f16_f32 v48, v50, v51
	v_cvt_pk_f32_fp8_e32 v[50:51], v2
	v_lshlrev_b32_e32 v58, 5, v64
	v_cvt_pkrtz_f16_f32 v49, v8, v9
	v_mfma_f32_16x16x16_f16 v[6:9], v[6:7], v[10:11], v[38:41]
	v_cvt_pkrtz_f16_f32 v50, v50, v51
	v_cvt_pkrtz_f16_f32 v51, v52, v53
	v_cvt_pk_f32_fp8_e32 v[52:53], v3
	v_cvt_pk_f32_fp8_sdwa v[2:3], v3 src0_sel:WORD_1
	v_mfma_f32_16x16x16_f16 v[38:41], v[48:49], v[12:13], v[6:9]
	v_lshl_add_u64 v[48:49], v[46:47], 0, v[58:59]
	v_cvt_pkrtz_f16_f32 v52, v52, v53
	v_cvt_pkrtz_f16_f32 v53, v2, v3
	v_mfma_f32_16x16x16_f16 v[6:9], v[50:51], v[30:31], 0
	v_cvt_pk_f32_fp8_e32 v[2:3], v4
	v_cvt_pk_f32_fp8_sdwa v[50:51], v4 src0_sel:WORD_1
	s_waitcnt vmcnt(3)
	v_mad_i64_i32 v[60:61], s[4:5], v68, s45, v[48:49]
	v_cvt_pkrtz_f16_f32 v2, v2, v3
	v_cvt_pkrtz_f16_f32 v3, v50, v51
	v_mfma_f32_16x16x16_f16 v[6:9], v[52:53], v[32:33], v[6:9]
	v_cvt_pk_f32_fp8_e32 v[50:51], v5
	v_cvt_pk_f32_fp8_sdwa v[4:5], v5 src0_sel:WORD_1
	s_waitcnt vmcnt(2)
	v_mad_i64_i32 v[70:71], s[4:5], v66, s45, v[48:49]
	v_cvt_pkrtz_f16_f32 v50, v50, v51
	v_cvt_pkrtz_f16_f32 v51, v4, v5
	v_mfma_f32_16x16x16_f16 v[2:5], v[2:3], v[22:23], v[6:9]
	v_or_b32_e32 v58, 0x800, v58
	s_nop 1
	v_cvt_pk_f32_fp8_e32 v[6:7], v42
	v_cvt_pk_f32_fp8_sdwa v[8:9], v42 src0_sel:WORD_1
	v_cvt_pk_f32_fp8_sdwa v[42:43], v43 src0_sel:WORD_1
	v_mfma_f32_16x16x16_f16 v[50:53], v[50:51], v[24:25], v[2:5]
	v_cvt_pkrtz_f16_f32 v72, v6, v7
	v_cvt_pkrtz_f16_f32 v73, v8, v9
	global_load_dwordx4 v[6:9], v[60:61], off
	global_load_dwordx4 v[2:5], v[70:71], off
	v_cvt_pkrtz_f16_f32 v60, v74, v75
	v_cvt_pkrtz_f16_f32 v61, v42, v43
	v_mfma_f32_16x16x16_f16 v[70:73], v[72:73], v[18:19], v[50:53]
	v_cvt_pk_f32_fp8_e32 v[42:43], v44
	v_cvt_pkrtz_f16_f32 v42, v42, v43
	s_nop 0
	v_cvt_pk_f32_fp8_sdwa v[52:53], v44 src0_sel:WORD_1
	v_mfma_f32_16x16x16_f16 v[70:73], v[60:61], v[20:21], v[70:73]
	v_cvt_pk_f32_fp8_e32 v[60:61], v45
	s_waitcnt vmcnt(3)
	v_mad_i64_i32 v[50:51], s[4:5], v67, s45, v[48:49]
	s_load_dword s4, s[0:1], 0x1c
	s_load_dwordx4 s[40:43], s[0:1], 0x80
	v_cvt_pkrtz_f16_f32 v43, v52, v53
	v_cvt_pkrtz_f16_f32 v74, v60, v61
	v_cvt_pk_f32_fp8_e32 v[52:53], v26
	v_cvt_pk_f32_fp8_sdwa v[60:61], v26 src0_sel:WORD_1
	s_load_dword s33, s[0:1], 0x98
	s_waitcnt lgkmcnt(0)
	s_load_dword s5, s[40:41], 0x0
	v_cvt_pk_f32_fp8_sdwa v[44:45], v45 src0_sel:WORD_1
	v_cvt_pkrtz_f16_f32 v52, v52, v53
	v_cvt_pkrtz_f16_f32 v53, v60, v61
	v_cvt_pk_f32_fp8_e32 v[60:61], v27
	v_cvt_pk_f32_fp8_sdwa v[26:27], v27 src0_sel:WORD_1
	v_cvt_pkrtz_f16_f32 v75, v44, v45
	v_mfma_f32_16x16x16_f16 v[42:45], v[42:43], v[10:11], v[70:73]
	v_cvt_pkrtz_f16_f32 v60, v60, v61
	v_cvt_pkrtz_f16_f32 v61, v26, v27
	v_mov_b32_e32 v26, s4
	v_mfma_f32_16x16x16_f16 v[70:73], v[52:53], v[30:31], 0
	s_waitcnt lgkmcnt(0)
	v_mul_f32_e32 v52, s5, v26
	v_cvt_pk_f32_fp8_e32 v[26:27], v28
	v_cvt_pk_f32_fp8_sdwa v[30:31], v28 src0_sel:WORD_1
	v_mfma_f32_16x16x16_f16 v[70:73], v[60:61], v[32:33], v[70:73]
	v_cvt_pk_f32_fp8_e32 v[32:33], v29
	v_cvt_pk_f32_fp8_sdwa v[28:29], v29 src0_sel:WORD_1
	v_cvt_pkrtz_f16_f32 v26, v26, v27
	v_cvt_pkrtz_f16_f32 v27, v30, v31
	v_mfma_f32_16x16x16_f16 v[42:45], v[74:75], v[12:13], v[42:45]
	v_cvt_pkrtz_f16_f32 v32, v32, v33
	v_cvt_pkrtz_f16_f32 v33, v28, v29
	v_cvt_pk_f32_fp8_e32 v[60:61], v14
	v_cvt_pk_f32_fp8_sdwa v[74:75], v14 src0_sel:WORD_1
	v_mfma_f32_16x16x16_f16 v[26:29], v[26:27], v[22:23], v[70:73]
	v_pk_mul_f32 v[30:31], v[52:53], v[36:37] op_sel_hi:[0,1]
	v_cvt_pkrtz_f16_f32 v36, v60, v61
	v_cvt_pkrtz_f16_f32 v37, v74, v75
	v_cvt_pk_f32_fp8_e32 v[60:61], v15
	v_cvt_pk_f32_fp8_sdwa v[70:71], v15 src0_sel:WORD_1
	v_mfma_f32_16x16x16_f16 v[22:25], v[32:33], v[24:25], v[26:29]
	v_pk_mul_f32 v[14:15], v[52:53], v[34:35] op_sel_hi:[0,1]
	v_cvt_pkrtz_f16_f32 v60, v60, v61
	v_cvt_pkrtz_f16_f32 v61, v70, v71
	v_mfma_f32_16x16x16_f16 v[32:35], v[36:37], v[18:19], v[22:25]
	v_cvt_pk_f32_fp8_e32 v[18:19], v16
	v_cvt_pk_f32_fp8_sdwa v[36:37], v16 src0_sel:WORD_1
	s_waitcnt vmcnt(2)
	v_mad_i64_i32 v[48:49], s[8:9], v65, s45, v[48:49]
	global_load_dwordx4 v[26:29], v[50:51], off
	global_load_dwordx4 v[22:25], v[48:49], off
	v_cvt_pkrtz_f16_f32 v48, v18, v19
	v_cvt_pkrtz_f16_f32 v49, v36, v37
	v_cvt_pk_f32_fp8_e32 v[36:37], v17
	v_cvt_pk_f32_fp8_sdwa v[50:51], v17 src0_sel:WORD_1
	v_mfma_f32_16x16x16_f16 v[16:19], v[60:61], v[20:21], v[32:35]
	v_pk_mul_f32 v[40:41], v[52:53], v[40:41] op_sel_hi:[0,1]
	v_cvt_pkrtz_f16_f32 v20, v36, v37
	v_cvt_pkrtz_f16_f32 v21, v50, v51
	v_mfma_f32_16x16x16_f16 v[16:19], v[48:49], v[10:11], v[16:19]
	v_pk_mul_f32 v[48:49], v[52:53], v[38:39] op_sel_hi:[0,1]
	v_pk_mul_f32 v[38:39], v[52:53], v[44:45] op_sel_hi:[0,1]
	;; [unrolled: 1-line block ×3, first 2 shown]
	v_mfma_f32_16x16x16_f16 v[10:13], v[20:21], v[12:13], v[16:19]
	s_mov_b32 s40, 0xff7fffff
	s_nop 5
	v_pk_mul_f32 v[36:37], v[52:53], v[10:11] op_sel_hi:[0,1]
	v_and_b32_e32 v10, 0xc0, v0
	v_add_u32_e32 v10, s18, v10
	v_lshl_or_b32 v10, v62, 2, v10
	v_or_b32_e32 v11, 1, v10
	v_pk_mul_f32 v[34:35], v[52:53], v[12:13] op_sel_hi:[0,1]
	v_subrev_u32_e32 v12, s7, v11
	v_add_u32_e32 v16, 1, v12
	v_add_u32_e32 v17, 2, v12
	v_cvt_f32_i32_e32 v13, v12
	v_cvt_f32_i32_e32 v16, v16
	;; [unrolled: 1-line block ×3, first 2 shown]
	v_add_u32_e32 v18, 3, v12
	v_fma_f32 v14, v63, v13, v14
	v_fmac_f32_e32 v15, v63, v16
	v_fma_f32 v51, v63, v17, v30
	v_add_u32_e32 v13, 16, v12
	v_add_u32_e32 v16, 17, v12
	;; [unrolled: 1-line block ×3, first 2 shown]
	v_cvt_f32_i32_e32 v18, v18
	v_cvt_f32_i32_e32 v13, v13
	;; [unrolled: 1-line block ×4, first 2 shown]
	v_fmac_f32_e32 v31, v63, v18
	v_add_u32_e32 v18, 19, v12
	v_fma_f32 v48, v63, v13, v48
	v_fmac_f32_e32 v49, v63, v16
	v_fma_f32 v40, v63, v17, v40
	v_add_u32_e32 v13, 32, v12
	v_add_u32_e32 v16, 33, v12
	v_add_u32_e32 v17, 34, v12
	v_cvt_f32_i32_e32 v18, v18
	v_cvt_f32_i32_e32 v13, v13
	;; [unrolled: 1-line block ×4, first 2 shown]
	v_fmac_f32_e32 v41, v63, v18
	v_add_u32_e32 v18, 35, v12
	v_fma_f32 v42, v63, v13, v42
	v_fmac_f32_e32 v43, v63, v16
	v_fma_f32 v38, v63, v17, v38
	v_add_u32_e32 v13, 48, v12
	v_add_u32_e32 v16, 49, v12
	;; [unrolled: 1-line block ×4, first 2 shown]
	v_cvt_f32_i32_e32 v12, v12
	v_cvt_f32_i32_e32 v13, v13
	;; [unrolled: 1-line block ×3, first 2 shown]
	v_cmp_gt_i32_e64 s[8:9], s7, v10
	v_fmac_f32_e32 v35, v63, v12
	v_mov_b32_e32 v12, 0xff7fffff
	v_cmp_gt_i32_e64 s[10:11], s7, v11
	v_fma_f32 v36, v63, v13, v36
	v_cndmask_b32_e64 v13, v12, v14, s[8:9]
	v_cndmask_b32_e64 v11, v12, v15, s[10:11]
	v_fmac_f32_e32 v37, v63, v16
	v_max3_f32 v11, v13, s40, v11
	v_or_b32_e32 v13, 2, v10
	v_or_b32_e32 v16, 3, v10
	v_cmp_gt_i32_e64 s[12:13], s7, v13
	v_cmp_gt_i32_e64 s[14:15], s7, v16
	v_cvt_f32_i32_e32 v18, v18
	v_cndmask_b32_e64 v13, v12, v51, s[12:13]
	v_cndmask_b32_e64 v16, v12, v31, s[14:15]
	v_max3_f32 v11, v11, v13, v16
	v_or_b32_e32 v13, 16, v10
	v_or_b32_e32 v16, 17, v10
	v_cmp_gt_i32_e64 s[16:17], s7, v13
	v_cmp_gt_i32_e64 s[18:19], s7, v16
	v_fmac_f32_e32 v39, v63, v18
	v_cndmask_b32_e64 v13, v12, v48, s[16:17]
	v_cndmask_b32_e64 v16, v12, v49, s[18:19]
	v_max3_f32 v11, v11, v13, v16
	v_or_b32_e32 v13, 18, v10
	v_or_b32_e32 v16, 19, v10
	v_cmp_gt_i32_e64 s[20:21], s7, v13
	v_cmp_gt_i32_e64 s[22:23], s7, v16
	v_cvt_f32_i32_e32 v17, v17
	v_cndmask_b32_e64 v13, v12, v40, s[20:21]
	v_cndmask_b32_e64 v16, v12, v41, s[22:23]
	v_max3_f32 v11, v11, v13, v16
	v_or_b32_e32 v13, 32, v10
	v_or_b32_e32 v16, 33, v10
	v_cmp_gt_i32_e64 s[24:25], s7, v13
	v_cmp_gt_i32_e64 s[26:27], s7, v16
	v_fma_f32 v34, v63, v17, v34
	v_cndmask_b32_e64 v13, v12, v42, s[24:25]
	v_cndmask_b32_e64 v16, v12, v43, s[26:27]
	v_max3_f32 v11, v11, v13, v16
	v_or_b32_e32 v13, 34, v10
	v_or_b32_e32 v16, 35, v10
	v_cmp_gt_i32_e64 s[28:29], s7, v13
	v_cmp_gt_i32_e64 s[30:31], s7, v16
	s_nop 0
	v_cndmask_b32_e64 v13, v12, v38, s[28:29]
	v_cndmask_b32_e64 v16, v12, v39, s[30:31]
	v_max3_f32 v11, v11, v13, v16
	v_or_b32_e32 v13, 48, v10
	v_or_b32_e32 v16, 49, v10
	v_cmp_gt_i32_e64 s[34:35], s7, v13
	v_cmp_gt_i32_e64 s[36:37], s7, v16
	s_nop 0
	v_cndmask_b32_e64 v13, v12, v36, s[34:35]
	v_cndmask_b32_e64 v16, v12, v37, s[36:37]
	v_max3_f32 v11, v11, v13, v16
	v_or_b32_e32 v13, 50, v10
	v_or_b32_e32 v10, 51, v10
	v_cmp_gt_i32_e32 vcc, s7, v13
	v_cmp_gt_i32_e64 s[4:5], s7, v10
	s_nop 0
	v_cndmask_b32_e32 v13, v12, v34, vcc
	v_cndmask_b32_e64 v10, v12, v35, s[4:5]
	v_max3_f32 v16, v11, v13, v10
	v_mbcnt_lo_u32_b32 v10, -1, 0
	v_mbcnt_hi_u32_b32 v17, -1, v10
	v_and_b32_e32 v10, 64, v17
	v_add_u32_e32 v18, 64, v10
	v_xor_b32_e32 v10, 32, v17
	v_cmp_lt_i32_e64 s[38:39], v10, v18
	s_nop 1
	v_cndmask_b32_e64 v10, v17, v10, s[38:39]
	v_lshlrev_b32_e32 v52, 2, v10
	ds_bpermute_b32 v19, v52, v16
	v_lshl_add_u64 v[10:11], v[46:47], 0, v[58:59]
	v_mad_i64_i32 v[12:13], s[38:39], v68, s45, v[10:11]
	s_waitcnt lgkmcnt(0)
	v_max_f32_e32 v19, v19, v19
	v_max_f32_e32 v19, v16, v19
	v_xor_b32_e32 v16, 16, v17
	v_cmp_lt_i32_e64 s[38:39], v16, v18
	s_nop 1
	v_cndmask_b32_e64 v16, v17, v16, s[38:39]
	v_lshlrev_b32_e32 v53, 2, v16
	ds_bpermute_b32 v18, v53, v19
	v_mad_i64_i32 v[16:17], s[38:39], v66, s45, v[10:11]
	v_mad_i64_i32 v[44:45], s[38:39], v67, s45, v[10:11]
	s_waitcnt lgkmcnt(0)
	v_max_f32_e32 v18, v18, v18
	v_max_f32_e32 v50, v19, v18
	v_sub_f32_e32 v14, v14, v50
	v_sub_f32_e32 v15, v15, v50
	v_mul_f32_e32 v14, 0x3fb8aa3b, v14
	v_mul_f32_e32 v15, 0x3fb8aa3b, v15
	v_exp_f32_e32 v14, v14
	v_exp_f32_e32 v15, v15
	v_sub_f32_e32 v58, v31, v50
	global_load_dwordx4 v[30:33], v[12:13], off
	global_load_dwordx4 v[18:21], v[16:17], off
	v_sub_f32_e32 v12, v51, v50
	v_mad_i64_i32 v[10:11], s[38:39], v65, s45, v[10:11]
	v_mul_f32_e32 v12, 0x3fb8aa3b, v12
	v_cndmask_b32_e64 v46, 0, v14, s[8:9]
	v_cndmask_b32_e64 v47, 0, v15, s[10:11]
	v_exp_f32_e32 v51, v12
	global_load_dwordx4 v[14:17], v[44:45], off
	s_nop 0
	global_load_dwordx4 v[10:13], v[10:11], off
	v_sub_f32_e32 v45, v48, v50
	v_sub_f32_e32 v48, v49, v50
	;; [unrolled: 1-line block ×4, first 2 shown]
	v_mul_f32_e32 v44, 0x3fb8aa3b, v58
	v_mul_f32_e32 v45, 0x3fb8aa3b, v45
	;; [unrolled: 1-line block ×5, first 2 shown]
	v_exp_f32_e32 v44, v44
	v_exp_f32_e32 v45, v45
	;; [unrolled: 1-line block ×3, first 2 shown]
	v_cndmask_b32_e64 v48, 0, v51, s[12:13]
	v_exp_f32_e32 v40, v40
	v_exp_f32_e32 v51, v42
	v_sub_f32_e32 v42, v43, v50
	v_mul_f32_e32 v42, 0x3fb8aa3b, v42
	v_cndmask_b32_e64 v49, 0, v44, s[14:15]
	v_cndmask_b32_e64 v44, 0, v45, s[16:17]
	;; [unrolled: 1-line block ×3, first 2 shown]
	v_sub_f32_e32 v41, v41, v50
	v_exp_f32_e32 v58, v42
	v_cndmask_b32_e64 v42, 0, v40, s[20:21]
	v_cndmask_b32_e64 v40, 0, v51, s[24:25]
	v_add_f32_e32 v51, 0, v46
	v_mul_f32_e32 v41, 0x3fb8aa3b, v41
	v_add_f32_e32 v51, v51, v47
	v_exp_f32_e32 v41, v41
	v_add_f32_e32 v51, v51, v48
	v_sub_f32_e32 v38, v38, v50
	v_add_f32_e32 v51, v51, v49
	v_sub_f32_e32 v39, v39, v50
	v_mul_f32_e32 v38, 0x3fb8aa3b, v38
	v_add_f32_e32 v51, v51, v44
	v_exp_f32_e32 v38, v38
	v_mul_f32_e32 v39, 0x3fb8aa3b, v39
	v_sub_f32_e32 v36, v36, v50
	v_add_f32_e32 v51, v51, v45
	v_cndmask_b32_e64 v43, 0, v41, s[22:23]
	v_exp_f32_e32 v39, v39
	v_mul_f32_e32 v36, 0x3fb8aa3b, v36
	v_sub_f32_e32 v37, v37, v50
	v_add_f32_e32 v51, v51, v42
	v_exp_f32_e32 v36, v36
	v_mul_f32_e32 v37, 0x3fb8aa3b, v37
	v_add_f32_e32 v51, v51, v43
	v_sub_f32_e32 v34, v34, v50
	v_cndmask_b32_e64 v41, 0, v58, s[26:27]
	v_exp_f32_e32 v37, v37
	v_add_f32_e32 v51, v51, v40
	v_mul_f32_e32 v34, 0x3fb8aa3b, v34
	v_sub_f32_e32 v35, v35, v50
	v_cndmask_b32_e64 v38, 0, v38, s[28:29]
	v_add_f32_e32 v51, v51, v41
	v_exp_f32_e32 v34, v34
	v_mul_f32_e32 v35, 0x3fb8aa3b, v35
	v_cndmask_b32_e64 v39, 0, v39, s[30:31]
	v_add_f32_e32 v51, v51, v38
	v_exp_f32_e32 v35, v35
	v_cndmask_b32_e64 v36, 0, v36, s[34:35]
	v_add_f32_e32 v51, v51, v39
	v_cndmask_b32_e64 v37, 0, v37, s[36:37]
	v_add_f32_e32 v51, v51, v36
	v_add_f32_e32 v51, v51, v37
	v_cndmask_b32_e32 v34, 0, v34, vcc
	v_add_f32_e32 v51, v51, v34
	v_cndmask_b32_e64 v35, 0, v35, s[4:5]
	v_add_f32_e32 v51, v51, v35
	ds_bpermute_b32 v52, v52, v51
	v_cmp_gt_u32_e32 vcc, 16, v55
	s_waitcnt lgkmcnt(0)
	s_barrier
	v_add_f32_e32 v51, v51, v52
	ds_bpermute_b32 v52, v53, v51
	s_and_saveexec_b64 s[4:5], vcc
	s_cbranch_execz .LBB1022_15
; %bb.14:
	s_waitcnt lgkmcnt(0)
	v_add_f32_e32 v51, v51, v52
	v_lshlrev_b32_e32 v52, 2, v64
	ds_write2st64_b32 v52, v50, v51 offset1:1
.LBB1022_15:
	s_or_b64 exec, exec, s[4:5]
	v_lshlrev_b32_e32 v51, 2, v56
	s_load_dword s7, s[0:1], 0x94
	s_waitcnt lgkmcnt(0)
	s_barrier
	ds_read2_b32 v[52:53], v51 offset1:16
	ds_read2_b32 v[58:59], v51 offset0:32 offset1:48
	ds_read2_b32 v[60:61], v51 offset0:64 offset1:80
	s_mul_i32 s8, s33, 15
	s_waitcnt lgkmcnt(2)
	v_max3_f32 v50, v52, s40, v53
	s_waitcnt lgkmcnt(1)
	v_max3_f32 v50, v50, v58, v59
	v_sub_f32_e32 v52, v52, v50
	v_mul_f32_e32 v52, 0x3fb8aa3b, v52
	v_exp_f32_e32 v55, v52
	v_sub_f32_e32 v52, v53, v50
	v_mul_f32_e32 v52, 0x3fb8aa3b, v52
	v_exp_f32_e32 v63, v52
	;; [unrolled: 3-line block ×3, first 2 shown]
	ds_read2_b32 v[52:53], v51 offset0:96 offset1:112
	v_sub_f32_e32 v51, v59, v50
	v_mul_f32_e32 v51, 0x3fb8aa3b, v51
	v_exp_f32_e32 v59, v51
	s_waitcnt lgkmcnt(1)
	v_fma_f32 v51, v55, v60, 0
	v_fmac_f32_e32 v51, v63, v61
	s_waitcnt lgkmcnt(0)
	v_fmac_f32_e32 v51, v58, v52
	v_fmac_f32_e32 v51, v59, v53
	v_add_f32_e32 v52, 0x358637bd, v51
	v_div_scale_f32 v53, s[4:5], v52, v52, 1.0
	v_rcp_f32_e32 v60, v53
	s_barrier
	v_fma_f32 v61, -v53, v60, 1.0
	v_fmac_f32_e32 v60, v61, v60
	v_div_scale_f32 v61, vcc, 1.0, v52, 1.0
	v_mul_f32_e32 v64, v61, v60
	v_fma_f32 v65, -v53, v64, v61
	v_fmac_f32_e32 v64, v65, v60
	v_fma_f32 v53, -v53, v64, v61
	v_div_fmas_f32 v53, v53, v60, v64
	v_cmp_eq_u32_e32 vcc, 1, v57
	v_div_fixup_f32 v52, v53, v52, 1.0
	s_nop 0
	v_cndmask_b32_e32 v53, v55, v63, vcc
	v_cmp_eq_u32_e32 vcc, 2, v57
	s_nop 1
	v_cndmask_b32_e32 v53, v53, v58, vcc
	v_cmp_eq_u32_e32 vcc, 3, v57
	s_nop 1
	v_cndmask_b32_e32 v53, v53, v59, vcc
	v_mul_f32_e32 v52, v53, v52
	v_pk_mul_f32 v[48:49], v[52:53], v[48:49] op_sel_hi:[0,1]
	v_pk_mul_f32 v[46:47], v[52:53], v[46:47] op_sel_hi:[0,1]
	v_cvt_f16_f32_e32 v53, v48
	v_cvt_f16_f32_e32 v49, v49
	;; [unrolled: 1-line block ×4, first 2 shown]
	v_pk_mul_f32 v[42:43], v[52:53], v[42:43] op_sel_hi:[0,1]
	v_pk_mul_f32 v[44:45], v[52:53], v[44:45] op_sel_hi:[0,1]
	v_pack_b32_f16 v49, v53, v49
	v_cvt_f16_f32_e32 v44, v44
	v_cvt_f16_f32_e32 v45, v45
	;; [unrolled: 1-line block ×4, first 2 shown]
	v_pack_b32_f16 v48, v46, v47
	v_lshlrev_b32_e32 v47, 3, v62
	v_lshlrev_b32_e32 v46, 5, v56
	v_lshlrev_b32_e32 v42, 11, v57
	v_or3_b32 v55, v42, v46, v47
	v_pack_b32_f16 v42, v44, v45
	v_pack_b32_f16 v43, v53, v43
	v_pk_mul_f32 v[38:39], v[52:53], v[38:39] op_sel_hi:[0,1]
	v_pk_mul_f32 v[40:41], v[52:53], v[40:41] op_sel_hi:[0,1]
	;; [unrolled: 1-line block ×4, first 2 shown]
	ds_write2st64_b64 v55, v[48:49], v[42:43] offset1:1
	v_cvt_f16_f32_e32 v40, v40
	v_cvt_f16_f32_e32 v41, v41
	;; [unrolled: 1-line block ×8, first 2 shown]
	v_pack_b32_f16 v34, v40, v41
	v_pack_b32_f16 v35, v38, v39
	;; [unrolled: 1-line block ×4, first 2 shown]
	v_cmp_gt_u32_e32 vcc, 15, v0
	ds_write2st64_b64 v55, v[34:35], v[36:37] offset0:2 offset1:3
	s_and_saveexec_b64 s[4:5], vcc
	s_cbranch_execz .LBB1022_17
; %bb.16:
	s_mov_b32 s49, 0
	v_mov_b32_e32 v57, 0
	v_lshl_add_u64 v[34:35], s[48:49], 0, v[56:57]
	v_mov_b32_e32 v36, s8
	v_mad_u64_u32 v[34:35], s[10:11], s2, v36, v[34:35]
	s_mul_i32 s3, s3, s8
	v_mov_b32_e32 v36, s6
	v_mov_b32_e32 v37, v57
	s_load_dwordx4 s[12:15], s[0:1], 0x58
	v_add_u32_e32 v38, s3, v35
	v_mad_u64_u32 v[34:35], s[10:11], v34, s7, v[36:37]
	v_mov_b32_e32 v36, v35
	v_mad_u64_u32 v[36:37], s[10:11], v38, s7, v[36:37]
	v_mov_b32_e32 v35, v36
	v_lshlrev_b64 v[34:35], 2, v[34:35]
	s_waitcnt lgkmcnt(0)
	v_lshl_add_u64 v[36:37], s[14:15], 0, v[34:35]
	v_lshl_add_u64 v[34:35], s[12:13], 0, v[34:35]
	global_store_dword v[36:37], v50, off
	global_store_dword v[34:35], v51, off
.LBB1022_17:
	s_or_b64 exec, exec, s[4:5]
	s_waitcnt vmcnt(7)
	v_cvt_pk_f32_fp8_e32 v[34:35], v6
	v_cvt_pk_f32_fp8_sdwa v[36:37], v6 src0_sel:WORD_1
	v_lshl_or_b32 v50, v62, 9, v46
	s_waitcnt lgkmcnt(0)
	s_barrier
	v_cvt_pk_f32_fp8_e32 v[38:39], v7
	v_cvt_pkrtz_f16_f32 v6, v34, v35
	v_cvt_pk_f32_fp8_sdwa v[40:41], v7 src0_sel:WORD_1
	v_cvt_pkrtz_f16_f32 v7, v36, v37
	ds_read_b128 v[34:37], v50
	v_cvt_pkrtz_f16_f32 v46, v38, v39
	v_cvt_pkrtz_f16_f32 v47, v40, v41
	ds_read_b128 v[38:41], v50 offset:16
	v_cvt_pk_f32_fp8_e32 v[48:49], v8
	v_cvt_pk_f32_fp8_sdwa v[52:53], v8 src0_sel:WORD_1
	s_waitcnt lgkmcnt(1)
	v_mfma_f32_16x16x16_f16 v[42:45], v[6:7], v[34:35], 0
	s_waitcnt vmcnt(6)
	v_cvt_pk_f32_fp8_e32 v[58:59], v4
	v_cvt_pkrtz_f16_f32 v6, v48, v49
	v_cvt_pkrtz_f16_f32 v7, v52, v53
	v_cvt_pk_f32_fp8_e32 v[48:49], v9
	v_mfma_f32_16x16x16_f16 v[42:45], v[46:47], v[36:37], v[42:45]
	v_cvt_pk_f32_fp8_sdwa v[46:47], v9 src0_sel:WORD_1
	v_cvt_pk_f32_fp8_sdwa v[60:61], v4 src0_sel:WORD_1
	v_cvt_pkrtz_f16_f32 v48, v48, v49
	s_waitcnt lgkmcnt(0)
	v_mfma_f32_16x16x16_f16 v[6:9], v[6:7], v[38:39], v[42:45]
	v_cvt_pkrtz_f16_f32 v49, v46, v47
	s_waitcnt vmcnt(5)
	v_cvt_pk_f32_fp8_e32 v[64:65], v28
	v_cvt_pk_f32_fp8_sdwa v[66:67], v28 src0_sel:WORD_1
	v_cvt_pk_f32_fp8_e32 v[42:43], v2
	v_mfma_f32_16x16x16_f16 v[46:49], v[48:49], v[40:41], v[6:9]
	s_waitcnt vmcnt(4)
	v_cvt_pk_f32_fp8_sdwa v[68:69], v24 src0_sel:WORD_1
	s_load_dword s4, s[42:43], 0x0
	v_cvt_pk_f32_fp8_sdwa v[6:7], v2 src0_sel:WORD_1
	v_cvt_pk_f32_fp8_e32 v[8:9], v3
	v_cvt_pkrtz_f16_f32 v2, v42, v43
	v_cvt_pk_f32_fp8_sdwa v[42:43], v3 src0_sel:WORD_1
	v_cvt_pkrtz_f16_f32 v3, v6, v7
	v_cvt_pkrtz_f16_f32 v52, v8, v9
	ds_read_b128 v[6:9], v50 offset:2048
	v_cvt_pkrtz_f16_f32 v53, v42, v43
	ds_read_b128 v[42:45], v50 offset:2064
	s_waitcnt lgkmcnt(0)
	v_mfma_f32_16x16x16_f16 v[46:49], v[2:3], v[6:7], v[46:49]
	v_cvt_pkrtz_f16_f32 v2, v58, v59
	v_cvt_pkrtz_f16_f32 v3, v60, v61
	v_cvt_pk_f32_fp8_e32 v[58:59], v5
	v_mfma_f32_16x16x16_f16 v[46:49], v[52:53], v[8:9], v[46:49]
	v_cvt_pk_f32_fp8_sdwa v[52:53], v5 src0_sel:WORD_1
	s_mov_b32 s3, 0
	v_cvt_pkrtz_f16_f32 v58, v58, v59
	v_mfma_f32_16x16x16_f16 v[2:5], v[2:3], v[42:43], v[46:49]
	v_cvt_pkrtz_f16_f32 v59, v52, v53
	v_cmp_gt_u32_e32 vcc, 64, v0
	s_nop 0
	v_cvt_pk_f32_fp8_e32 v[46:47], v26
	v_mfma_f32_16x16x16_f16 v[58:61], v[58:59], v[44:45], v[2:5]
	s_nop 2
	v_cvt_pk_f32_fp8_sdwa v[2:3], v26 src0_sel:WORD_1
	v_cvt_pk_f32_fp8_e32 v[4:5], v27
	v_cvt_pkrtz_f16_f32 v26, v46, v47
	v_cvt_pk_f32_fp8_sdwa v[46:47], v27 src0_sel:WORD_1
	v_cvt_pkrtz_f16_f32 v27, v2, v3
	v_cvt_pkrtz_f16_f32 v52, v4, v5
	ds_read_b128 v[2:5], v50 offset:4096
	v_cvt_pkrtz_f16_f32 v53, v46, v47
	ds_read_b128 v[46:49], v50 offset:4112
	s_waitcnt lgkmcnt(1)
	v_mfma_f32_16x16x16_f16 v[58:61], v[26:27], v[2:3], v[58:61]
	v_cvt_pkrtz_f16_f32 v26, v64, v65
	v_cvt_pkrtz_f16_f32 v27, v66, v67
	v_cvt_pk_f32_fp8_e32 v[64:65], v29
	v_mfma_f32_16x16x16_f16 v[58:61], v[52:53], v[4:5], v[58:61]
	v_cvt_pk_f32_fp8_sdwa v[52:53], v29 src0_sel:WORD_1
	v_cvt_pk_f32_fp8_e32 v[66:67], v24
	v_cvt_pkrtz_f16_f32 v64, v64, v65
	s_waitcnt lgkmcnt(0)
	v_mfma_f32_16x16x16_f16 v[26:29], v[26:27], v[46:47], v[58:61]
	v_cvt_pkrtz_f16_f32 v65, v52, v53
	v_cvt_pk_f32_fp8_e32 v[52:53], v22
	s_nop 0
	v_mfma_f32_16x16x16_f16 v[58:61], v[64:65], v[48:49], v[26:29]
	s_nop 2
	v_cvt_pk_f32_fp8_sdwa v[26:27], v22 src0_sel:WORD_1
	v_cvt_pk_f32_fp8_e32 v[28:29], v23
	v_cvt_pkrtz_f16_f32 v22, v52, v53
	v_cvt_pk_f32_fp8_sdwa v[52:53], v23 src0_sel:WORD_1
	v_cvt_pkrtz_f16_f32 v23, v26, v27
	v_cvt_pkrtz_f16_f32 v64, v28, v29
	ds_read_b128 v[26:29], v50 offset:6144
	v_cvt_pkrtz_f16_f32 v65, v52, v53
	s_waitcnt lgkmcnt(0)
	v_mfma_f32_16x16x16_f16 v[58:61], v[22:23], v[26:27], v[58:61]
	ds_read_b128 v[50:53], v50 offset:6160
	v_cvt_pkrtz_f16_f32 v22, v66, v67
	v_cvt_pkrtz_f16_f32 v23, v68, v69
	v_mfma_f32_16x16x16_f16 v[58:61], v[64:65], v[28:29], v[58:61]
	v_cvt_pk_f32_fp8_e32 v[66:67], v25
	v_cvt_pk_f32_fp8_sdwa v[64:65], v25 src0_sel:WORD_1
	s_waitcnt vmcnt(3)
	v_cvt_pk_f32_fp8_sdwa v[68:69], v32 src0_sel:WORD_1
	s_waitcnt lgkmcnt(0)
	v_mfma_f32_16x16x16_f16 v[22:25], v[22:23], v[50:51], v[58:61]
	v_cvt_pkrtz_f16_f32 v66, v66, v67
	v_cvt_pkrtz_f16_f32 v67, v64, v65
	v_cvt_pk_f32_fp8_e32 v[64:65], v31
	v_cvt_pk_f32_fp8_e32 v[58:59], v30
	v_cvt_pk_f32_fp8_sdwa v[60:61], v30 src0_sel:WORD_1
	v_cvt_pk_f32_fp8_sdwa v[30:31], v31 src0_sel:WORD_1
	v_mfma_f32_16x16x16_f16 v[22:25], v[66:67], v[52:53], v[22:25]
	v_cvt_pkrtz_f16_f32 v58, v58, v59
	v_cvt_pkrtz_f16_f32 v59, v60, v61
	;; [unrolled: 1-line block ×3, first 2 shown]
	v_cvt_pk_f32_fp8_e32 v[66:67], v32
	v_cvt_pkrtz_f16_f32 v65, v30, v31
	v_mfma_f32_16x16x16_f16 v[58:61], v[58:59], v[34:35], 0
	v_cvt_pkrtz_f16_f32 v30, v66, v67
	v_cvt_pkrtz_f16_f32 v31, v68, v69
	v_cvt_pk_f32_fp8_e32 v[66:67], v33
	v_mfma_f32_16x16x16_f16 v[34:37], v[64:65], v[36:37], v[58:61]
	s_barrier
	s_nop 1
	v_cvt_pk_f32_fp8_sdwa v[58:59], v33 src0_sel:WORD_1
	v_cvt_pkrtz_f16_f32 v60, v66, v67
	v_mfma_f32_16x16x16_f16 v[30:33], v[30:31], v[38:39], v[34:37]
	s_waitcnt vmcnt(2)
	v_cvt_pk_f32_fp8_e32 v[38:39], v19
	v_cvt_pkrtz_f16_f32 v61, v58, v59
	v_cvt_pk_f32_fp8_e32 v[34:35], v18
	v_cvt_pk_f32_fp8_sdwa v[36:37], v18 src0_sel:WORD_1
	v_cvt_pk_f32_fp8_sdwa v[18:19], v19 src0_sel:WORD_1
	v_mfma_f32_16x16x16_f16 v[30:33], v[60:61], v[40:41], v[30:33]
	v_cvt_pkrtz_f16_f32 v34, v34, v35
	v_cvt_pkrtz_f16_f32 v35, v36, v37
	;; [unrolled: 1-line block ×3, first 2 shown]
	v_cvt_pk_f32_fp8_e32 v[38:39], v20
	v_cvt_pk_f32_fp8_sdwa v[40:41], v20 src0_sel:WORD_1
	v_cvt_pkrtz_f16_f32 v37, v18, v19
	v_mfma_f32_16x16x16_f16 v[30:33], v[34:35], v[6:7], v[30:33]
	v_cvt_pkrtz_f16_f32 v18, v38, v39
	v_cvt_pkrtz_f16_f32 v19, v40, v41
	v_cvt_pk_f32_fp8_e32 v[34:35], v21
	v_cvt_pk_f32_fp8_sdwa v[20:21], v21 src0_sel:WORD_1
	v_mfma_f32_16x16x16_f16 v[6:9], v[36:37], v[8:9], v[30:33]
	s_nop 2
	v_cvt_pkrtz_f16_f32 v30, v34, v35
	v_cvt_pkrtz_f16_f32 v31, v20, v21
	v_mfma_f32_16x16x16_f16 v[6:9], v[18:19], v[42:43], v[6:9]
	s_waitcnt vmcnt(1)
	v_cvt_pk_f32_fp8_e32 v[18:19], v14
	v_cvt_pk_f32_fp8_sdwa v[20:21], v14 src0_sel:WORD_1
	v_cvt_pk_f32_fp8_sdwa v[32:33], v16 src0_sel:WORD_1
	v_mfma_f32_16x16x16_f16 v[6:9], v[30:31], v[44:45], v[6:9]
	v_cvt_pk_f32_fp8_e32 v[30:31], v15
	v_cvt_pkrtz_f16_f32 v18, v18, v19
	v_cvt_pkrtz_f16_f32 v19, v20, v21
	v_cvt_pk_f32_fp8_sdwa v[14:15], v15 src0_sel:WORD_1
	v_cvt_pkrtz_f16_f32 v20, v30, v31
	v_cvt_pk_f32_fp8_e32 v[30:31], v16
	v_mfma_f32_16x16x16_f16 v[6:9], v[18:19], v[2:3], v[6:9]
	v_cvt_pkrtz_f16_f32 v21, v14, v15
	v_cvt_pkrtz_f16_f32 v14, v30, v31
	;; [unrolled: 1-line block ×3, first 2 shown]
	v_cvt_pk_f32_fp8_e32 v[18:19], v17
	v_cvt_pk_f32_fp8_sdwa v[16:17], v17 src0_sel:WORD_1
	v_mfma_f32_16x16x16_f16 v[2:5], v[20:21], v[4:5], v[6:9]
	s_waitcnt vmcnt(0)
	v_cvt_pk_f32_fp8_sdwa v[20:21], v12 src0_sel:WORD_1
	s_nop 0
	v_cvt_pkrtz_f16_f32 v8, v18, v19
	v_cvt_pkrtz_f16_f32 v9, v16, v17
	v_mfma_f32_16x16x16_f16 v[2:5], v[14:15], v[46:47], v[2:5]
	v_cvt_pk_f32_fp8_e32 v[16:17], v10
	v_cvt_pk_f32_fp8_sdwa v[18:19], v10 src0_sel:WORD_1
	v_pk_mul_f32 v[6:7], v[24:25], s[4:5] op_sel_hi:[1,0]
	v_mfma_f32_16x16x16_f16 v[2:5], v[8:9], v[48:49], v[2:5]
	v_cvt_pk_f32_fp8_e32 v[8:9], v11
	v_cvt_pkrtz_f16_f32 v16, v16, v17
	v_cvt_pkrtz_f16_f32 v17, v18, v19
	v_cvt_pk_f32_fp8_sdwa v[10:11], v11 src0_sel:WORD_1
	v_cvt_pkrtz_f16_f32 v8, v8, v9
	v_cvt_pk_f32_fp8_e32 v[18:19], v12
	v_mfma_f32_16x16x16_f16 v[2:5], v[16:17], v[26:27], v[2:5]
	v_cvt_pkrtz_f16_f32 v9, v10, v11
	v_cvt_pkrtz_f16_f32 v10, v18, v19
	;; [unrolled: 1-line block ×3, first 2 shown]
	v_cvt_pk_f32_fp8_e32 v[16:17], v13
	v_cvt_pk_f32_fp8_sdwa v[12:13], v13 src0_sel:WORD_1
	v_mfma_f32_16x16x16_f16 v[2:5], v[8:9], v[28:29], v[2:5]
	v_pk_mul_f32 v[14:15], v[22:23], s[4:5] op_sel_hi:[1,0]
	v_cvt_pkrtz_f16_f32 v8, v16, v17
	v_cvt_pkrtz_f16_f32 v9, v12, v13
	v_mfma_f32_16x16x16_f16 v[2:5], v[10:11], v[50:51], v[2:5]
	v_cvt_f16_f32_e32 v14, v14
	v_cvt_f16_f32_e32 v10, v15
	;; [unrolled: 1-line block ×3, first 2 shown]
	v_mfma_f32_16x16x16_f16 v[2:5], v[8:9], v[52:53], v[2:5]
	v_cvt_f16_f32_e32 v7, v7
	s_nop 5
	v_pk_mul_f32 v[4:5], v[4:5], s[4:5] op_sel_hi:[1,0]
	v_pk_mul_f32 v[2:3], v[2:3], s[4:5] op_sel_hi:[1,0]
	v_cvt_f16_f32_e32 v11, v4
	v_cvt_f16_f32_e32 v8, v2
	;; [unrolled: 1-line block ×4, first 2 shown]
	v_pack_b32_f16 v2, v14, v10
	v_pack_b32_f16 v3, v6, v7
	;; [unrolled: 1-line block ×4, first 2 shown]
	ds_write2st64_b64 v55, v[2:3], v[4:5] offset1:1
	s_waitcnt lgkmcnt(0)
	s_barrier
	s_and_saveexec_b64 s[4:5], vcc
	s_cbranch_execz .LBB1022_20
; %bb.18:
	s_load_dwordx2 s[4:5], s[0:1], 0x68
	s_lshl_b32 s0, s7, 7
	s_mul_i32 s1, s8, s2
	v_lshlrev_b32_e32 v3, 6, v56
	s_mul_hi_u32 s9, s1, s0
	s_mul_i32 s8, s1, s0
	v_lshl_or_b32 v0, v0, 10, v3
	s_lshl_b64 s[8:9], s[8:9], 1
	v_lshlrev_b32_e32 v2, 5, v62
	v_and_b32_e32 v1, 16, v1
	v_and_b32_e32 v0, 0x1a00, v0
	s_waitcnt lgkmcnt(0)
	s_add_u32 s1, s4, s8
	v_or3_b32 v2, v0, v2, v1
	s_addc_u32 s4, s5, s9
	s_lshl_b32 s2, s6, 7
	ds_read_b128 v[4:7], v2 offset:256
	s_lshl_b64 s[2:3], s[2:3], 1
	ds_read_b128 v[8:11], v2 offset:128
	ds_read_b128 v[12:15], v2
	s_add_u32 s2, s1, s2
	s_addc_u32 s3, s4, s3
	v_mov_b32_e32 v55, 0
	v_add_u32_e32 v3, s48, v62
	v_lshl_add_u64 v[0:1], s[2:3], 0, v[54:55]
	v_mad_u64_u32 v[16:17], s[2:3], v3, s0, 0
	v_lshl_add_u64 v[16:17], v[16:17], 1, v[0:1]
	s_waitcnt lgkmcnt(0)
	global_store_dwordx4 v[16:17], v[12:15], off
	v_cmp_ne_u32_e32 vcc, 3, v62
	s_nop 0
	v_add_u32_e32 v12, 4, v3
	v_mad_u64_u32 v[12:13], s[2:3], v12, s0, 0
	v_lshl_add_u64 v[12:13], v[12:13], 1, v[0:1]
	v_add_u32_e32 v3, 8, v3
	global_store_dwordx4 v[12:13], v[8:11], off
	s_nop 1
	v_mad_u64_u32 v[8:9], s[2:3], v3, s0, 0
	v_lshl_add_u64 v[8:9], v[8:9], 1, v[0:1]
	global_store_dwordx4 v[8:9], v[4:7], off
	s_and_b64 exec, exec, vcc
	s_cbranch_execz .LBB1022_20
; %bb.19:
	ds_read_b128 v[2:5], v2 offset:384
	v_add3_u32 v6, s48, v62, 12
	v_mad_u64_u32 v[6:7], s[0:1], v6, s0, 0
	v_lshl_add_u64 v[0:1], v[6:7], 1, v[0:1]
	s_waitcnt lgkmcnt(0)
	global_store_dwordx4 v[0:1], v[2:5], off
.LBB1022_20:
	s_endpgm
	.section	.rodata,"a",@progbits
	.p2align	6, 0x0
	.amdhsa_kernel _Z39paged_attention_ll4mi_QKV_mfma16_kernelIDF16_hLN4vllm18Fp8KVCacheDataTypeE1EhLi32ELi128ELi256ELb1ELi15EEvPKT_PKT0_S7_ifPKiS9_S9_iPKfiiiPfSC_PS2_PT2_iSB_SB_
		.amdhsa_group_segment_fixed_size 8192
		.amdhsa_private_segment_fixed_size 0
		.amdhsa_kernarg_size 400
		.amdhsa_user_sgpr_count 2
		.amdhsa_user_sgpr_dispatch_ptr 0
		.amdhsa_user_sgpr_queue_ptr 0
		.amdhsa_user_sgpr_kernarg_segment_ptr 1
		.amdhsa_user_sgpr_dispatch_id 0
		.amdhsa_user_sgpr_kernarg_preload_length 0
		.amdhsa_user_sgpr_kernarg_preload_offset 0
		.amdhsa_user_sgpr_private_segment_size 0
		.amdhsa_uses_dynamic_stack 0
		.amdhsa_enable_private_segment 0
		.amdhsa_system_sgpr_workgroup_id_x 1
		.amdhsa_system_sgpr_workgroup_id_y 1
		.amdhsa_system_sgpr_workgroup_id_z 1
		.amdhsa_system_sgpr_workgroup_info 0
		.amdhsa_system_vgpr_workitem_id 0
		.amdhsa_next_free_vgpr 78
		.amdhsa_next_free_sgpr 50
		.amdhsa_accum_offset 80
		.amdhsa_reserve_vcc 1
		.amdhsa_float_round_mode_32 0
		.amdhsa_float_round_mode_16_64 0
		.amdhsa_float_denorm_mode_32 3
		.amdhsa_float_denorm_mode_16_64 3
		.amdhsa_dx10_clamp 1
		.amdhsa_ieee_mode 1
		.amdhsa_fp16_overflow 0
		.amdhsa_tg_split 0
		.amdhsa_exception_fp_ieee_invalid_op 0
		.amdhsa_exception_fp_denorm_src 0
		.amdhsa_exception_fp_ieee_div_zero 0
		.amdhsa_exception_fp_ieee_overflow 0
		.amdhsa_exception_fp_ieee_underflow 0
		.amdhsa_exception_fp_ieee_inexact 0
		.amdhsa_exception_int_div_zero 0
	.end_amdhsa_kernel
	.section	.text._Z39paged_attention_ll4mi_QKV_mfma16_kernelIDF16_hLN4vllm18Fp8KVCacheDataTypeE1EhLi32ELi128ELi256ELb1ELi15EEvPKT_PKT0_S7_ifPKiS9_S9_iPKfiiiPfSC_PS2_PT2_iSB_SB_,"axG",@progbits,_Z39paged_attention_ll4mi_QKV_mfma16_kernelIDF16_hLN4vllm18Fp8KVCacheDataTypeE1EhLi32ELi128ELi256ELb1ELi15EEvPKT_PKT0_S7_ifPKiS9_S9_iPKfiiiPfSC_PS2_PT2_iSB_SB_,comdat
.Lfunc_end1022:
	.size	_Z39paged_attention_ll4mi_QKV_mfma16_kernelIDF16_hLN4vllm18Fp8KVCacheDataTypeE1EhLi32ELi128ELi256ELb1ELi15EEvPKT_PKT0_S7_ifPKiS9_S9_iPKfiiiPfSC_PS2_PT2_iSB_SB_, .Lfunc_end1022-_Z39paged_attention_ll4mi_QKV_mfma16_kernelIDF16_hLN4vllm18Fp8KVCacheDataTypeE1EhLi32ELi128ELi256ELb1ELi15EEvPKT_PKT0_S7_ifPKiS9_S9_iPKfiiiPfSC_PS2_PT2_iSB_SB_
                                        ; -- End function
	.section	.AMDGPU.csdata,"",@progbits
; Kernel info:
; codeLenInByte = 6420
; NumSgprs: 56
; NumVgprs: 78
; NumAgprs: 0
; TotalNumVgprs: 78
; ScratchSize: 0
; MemoryBound: 0
; FloatMode: 240
; IeeeMode: 1
; LDSByteSize: 8192 bytes/workgroup (compile time only)
; SGPRBlocks: 6
; VGPRBlocks: 9
; NumSGPRsForWavesPerEU: 56
; NumVGPRsForWavesPerEU: 78
; AccumOffset: 80
; Occupancy: 6
; WaveLimiterHint : 1
; COMPUTE_PGM_RSRC2:SCRATCH_EN: 0
; COMPUTE_PGM_RSRC2:USER_SGPR: 2
; COMPUTE_PGM_RSRC2:TRAP_HANDLER: 0
; COMPUTE_PGM_RSRC2:TGID_X_EN: 1
; COMPUTE_PGM_RSRC2:TGID_Y_EN: 1
; COMPUTE_PGM_RSRC2:TGID_Z_EN: 1
; COMPUTE_PGM_RSRC2:TIDIG_COMP_CNT: 0
; COMPUTE_PGM_RSRC3_GFX90A:ACCUM_OFFSET: 19
; COMPUTE_PGM_RSRC3_GFX90A:TG_SPLIT: 0
	.section	.text._Z39paged_attention_ll4mi_QKV_mfma16_kernelIDF16_hLN4vllm18Fp8KVCacheDataTypeE1EhLi32ELi128ELi256ELb1ELi16EEvPKT_PKT0_S7_ifPKiS9_S9_iPKfiiiPfSC_PS2_PT2_iSB_SB_,"axG",@progbits,_Z39paged_attention_ll4mi_QKV_mfma16_kernelIDF16_hLN4vllm18Fp8KVCacheDataTypeE1EhLi32ELi128ELi256ELb1ELi16EEvPKT_PKT0_S7_ifPKiS9_S9_iPKfiiiPfSC_PS2_PT2_iSB_SB_,comdat
	.protected	_Z39paged_attention_ll4mi_QKV_mfma16_kernelIDF16_hLN4vllm18Fp8KVCacheDataTypeE1EhLi32ELi128ELi256ELb1ELi16EEvPKT_PKT0_S7_ifPKiS9_S9_iPKfiiiPfSC_PS2_PT2_iSB_SB_ ; -- Begin function _Z39paged_attention_ll4mi_QKV_mfma16_kernelIDF16_hLN4vllm18Fp8KVCacheDataTypeE1EhLi32ELi128ELi256ELb1ELi16EEvPKT_PKT0_S7_ifPKiS9_S9_iPKfiiiPfSC_PS2_PT2_iSB_SB_
	.globl	_Z39paged_attention_ll4mi_QKV_mfma16_kernelIDF16_hLN4vllm18Fp8KVCacheDataTypeE1EhLi32ELi128ELi256ELb1ELi16EEvPKT_PKT0_S7_ifPKiS9_S9_iPKfiiiPfSC_PS2_PT2_iSB_SB_
	.p2align	8
	.type	_Z39paged_attention_ll4mi_QKV_mfma16_kernelIDF16_hLN4vllm18Fp8KVCacheDataTypeE1EhLi32ELi128ELi256ELb1ELi16EEvPKT_PKT0_S7_ifPKiS9_S9_iPKfiiiPfSC_PS2_PT2_iSB_SB_,@function
_Z39paged_attention_ll4mi_QKV_mfma16_kernelIDF16_hLN4vllm18Fp8KVCacheDataTypeE1EhLi32ELi128ELi256ELb1ELi16EEvPKT_PKT0_S7_ifPKiS9_S9_iPKfiiiPfSC_PS2_PT2_iSB_SB_: ; @_Z39paged_attention_ll4mi_QKV_mfma16_kernelIDF16_hLN4vllm18Fp8KVCacheDataTypeE1EhLi32ELi128ELi256ELb1ELi16EEvPKT_PKT0_S7_ifPKiS9_S9_iPKfiiiPfSC_PS2_PT2_iSB_SB_
; %bb.0:
	s_load_dwordx2 s[14:15], s[0:1], 0x30
	s_mov_b32 s33, s3
	s_mov_b64 s[6:7], 0
	s_waitcnt lgkmcnt(0)
	s_cmp_lg_u64 s[14:15], 0
	s_cselect_b64 s[16:17], -1, 0
	s_and_b64 vcc, exec, s[16:17]
	s_cbranch_vccz .LBB1023_7
; %bb.1:
	s_add_i32 s8, s2, 1
	s_mov_b32 s9, 0
	s_lshl_b64 s[10:11], s[8:9], 2
	s_add_u32 s10, s14, s10
	s_mov_b32 s3, s9
	s_addc_u32 s11, s15, s11
	s_lshl_b64 s[8:9], s[2:3], 2
	s_add_u32 s8, s14, s8
	s_addc_u32 s9, s15, s9
	s_load_dword s5, s[10:11], 0x0
	s_load_dword s12, s[8:9], 0x0
	s_waitcnt lgkmcnt(0)
	s_sub_i32 s5, s5, s12
	s_cmp_eq_u32 s5, 1
	s_cselect_b64 s[8:9], -1, 0
	s_andn2_b64 vcc, exec, s[6:7]
	s_cbranch_vccnz .LBB1023_3
.LBB1023_2:
	s_mov_b32 s3, 0
	s_mov_b64 s[8:9], -1
.LBB1023_3:
	s_andn2_b64 vcc, exec, s[8:9]
	s_cbranch_vccnz .LBB1023_17
; %bb.4:
	s_load_dwordx2 s[6:7], s[0:1], 0x28
	s_lshl_b64 s[18:19], s[2:3], 2
	s_waitcnt lgkmcnt(0)
	s_add_u32 s6, s6, s18
	s_addc_u32 s7, s7, s19
	s_load_dword s5, s[6:7], 0x0
	s_lshl_b32 s20, s33, 8
	s_waitcnt lgkmcnt(0)
	s_cmp_ge_i32 s20, s5
	s_cbranch_scc1 .LBB1023_17
; %bb.5:
	s_load_dwordx2 s[6:7], s[0:1], 0x20
	s_load_dword s8, s[0:1], 0x38
	s_add_i32 s9, s5, 31
	s_ashr_i32 s10, s9, 31
	v_and_b32_e32 v1, 0xcf, v0
	s_lshr_b32 s10, s10, 27
	v_add_u32_e32 v1, s20, v1
	s_add_i32 s9, s9, s10
	v_ashrrev_i32_e32 v2, 31, v1
	s_ashr_i32 s21, s9, 5
	v_lshrrev_b32_e32 v10, 27, v2
	s_add_i32 s21, s21, -1
	s_waitcnt lgkmcnt(0)
	s_mul_i32 s8, s2, s8
	s_mov_b32 s9, 0
	v_add_u32_e32 v2, v1, v10
	s_lshl_b64 s[8:9], s[8:9], 2
	v_ashrrev_i32_e32 v2, 5, v2
	v_mov_b32_e32 v11, s21
	v_cmp_gt_i32_e32 vcc, s5, v1
	s_add_u32 s6, s6, s8
	s_addc_u32 s7, s7, s9
	v_cndmask_b32_e32 v2, v11, v2, vcc
	v_ashrrev_i32_e32 v3, 31, v2
	v_lshl_add_u64 v[4:5], v[2:3], 2, s[6:7]
	v_or_b32_e32 v2, 16, v1
	v_add_u32_e32 v3, v2, v10
	v_ashrrev_i32_e32 v3, 5, v3
	v_cmp_gt_i32_e32 vcc, s5, v2
	s_nop 1
	v_cndmask_b32_e32 v2, v11, v3, vcc
	v_ashrrev_i32_e32 v3, 31, v2
	v_lshl_add_u64 v[6:7], v[2:3], 2, s[6:7]
	v_or_b32_e32 v2, 32, v1
	v_add_u32_e32 v3, v2, v10
	v_ashrrev_i32_e32 v3, 5, v3
	v_cmp_gt_i32_e32 vcc, s5, v2
	v_or_b32_e32 v1, 48, v1
	s_nop 0
	v_cndmask_b32_e32 v2, v11, v3, vcc
	v_ashrrev_i32_e32 v3, 31, v2
	v_lshl_add_u64 v[8:9], v[2:3], 2, s[6:7]
	v_add_u32_e32 v2, v1, v10
	v_ashrrev_i32_e32 v2, 5, v2
	v_cmp_gt_i32_e32 vcc, s5, v1
	s_nop 1
	v_cndmask_b32_e32 v2, v11, v2, vcc
	v_ashrrev_i32_e32 v3, 31, v2
	v_lshl_add_u64 v[10:11], v[2:3], 2, s[6:7]
	global_load_dword v2, v[4:5], off
	global_load_dword v28, v[6:7], off
	global_load_dword v26, v[8:9], off
	global_load_dword v27, v[10:11], off
	s_load_dwordx2 s[12:13], s[0:1], 0x40
	s_load_dwordx4 s[8:11], s[0:1], 0x8
	s_andn2_b64 vcc, exec, s[16:17]
	s_cbranch_vccnz .LBB1023_8
; %bb.6:
	s_add_u32 s14, s14, s18
	s_addc_u32 s15, s15, s19
	s_load_dword s16, s[14:15], 0x0
	s_branch .LBB1023_9
.LBB1023_7:
	s_mov_b64 s[8:9], 0
	s_branch .LBB1023_2
.LBB1023_8:
	s_mov_b32 s16, s2
.LBB1023_9:
	s_load_dwordx4 s[40:43], s[0:1], 0x48
	v_and_b32_e32 v64, 15, v0
	v_lshlrev_b32_e32 v3, 3, v64
	s_movk_i32 s14, 0x100
	v_lshrrev_b32_e32 v66, 6, v0
	v_and_b32_e32 v67, 63, v0
	v_bfe_u32 v1, v0, 4, 2
	s_lshl_b32 s44, s4, 4
	v_cmp_gt_u32_e32 vcc, s14, v0
	v_lshlrev_b32_e32 v54, 1, v3
	v_lshlrev_b32_e32 v65, 4, v0
	s_and_saveexec_b64 s[14:15], vcc
	s_cbranch_execz .LBB1023_11
; %bb.10:
	s_load_dwordx2 s[18:19], s[0:1], 0x0
	s_waitcnt lgkmcnt(0)
	s_ashr_i32 s17, s40, 31
	s_mul_hi_u32 s22, s16, s40
	s_mul_i32 s17, s16, s17
	s_add_i32 s17, s22, s17
	s_mul_i32 s16, s16, s40
	v_lshl_or_b32 v3, v66, 2, v1
	s_lshl_b64 s[16:17], s[16:17], 1
	s_add_u32 s16, s18, s16
	v_add_lshl_u32 v4, v3, s44, 7
	s_addc_u32 s17, s19, s17
	v_ashrrev_i32_e32 v5, 31, v4
	v_lshl_add_u64 v[4:5], v[4:5], 1, s[16:17]
	v_mov_b32_e32 v55, 0
	v_lshl_add_u64 v[4:5], v[4:5], 0, v[54:55]
	global_load_dwordx4 v[4:7], v[4:5], off
	v_lshlrev_b32_e32 v9, 8, v0
	v_lshlrev_b32_e32 v8, 8, v64
	v_and_b32_e32 v9, 0x600, v9
	s_movk_i32 s16, 0x800
	v_and_or_b32 v8, v8, s16, v9
	v_lshlrev_b32_e32 v3, 5, v3
	v_and_b32_e32 v9, 16, v65
	v_or3_b32 v3, v8, v3, v9
	s_waitcnt vmcnt(0)
	ds_write_b128 v3, v[4:7]
.LBB1023_11:
	s_or_b64 exec, exec, s[14:15]
	s_waitcnt lgkmcnt(0)
	s_mul_i32 s14, s4, s42
	s_add_u32 s8, s8, s14
	s_addc_u32 s9, s9, 0
	v_mov_b32_e32 v53, 0
	v_mov_b64_e32 v[24:25], s[8:9]
	v_and_b32_e32 v4, 48, v0
	s_waitcnt vmcnt(3)
	v_mad_i64_i32 v[2:3], s[8:9], v2, s41, v[24:25]
	v_lshlrev_b32_e32 v22, 4, v64
	v_mov_b32_e32 v23, v53
	v_lshlrev_b32_e32 v52, 5, v4
	v_lshl_add_u64 v[2:3], v[2:3], 0, v[22:23]
	v_lshl_add_u64 v[2:3], v[2:3], 0, v[52:53]
	s_load_dword s40, s[0:1], 0x98
	s_load_dwordx4 s[36:39], s[0:1], 0x80
	s_waitcnt lgkmcnt(0)
	s_barrier
	global_load_dwordx4 v[30:33], v[2:3], off
	global_load_dwordx4 v[18:21], v[2:3], off offset:2048
	v_or_b32_e32 v34, 0x100, v22
	v_mov_b32_e32 v35, v53
	s_waitcnt vmcnt(4)
	v_mad_i64_i32 v[28:29], s[8:9], v28, s41, v[24:25]
	v_lshlrev_b32_e32 v68, 5, v64
	v_lshl_add_u64 v[28:29], v[28:29], 0, v[34:35]
	v_lshl_or_b32 v55, v1, 9, v68
	v_lshl_add_u64 v[28:29], v[28:29], 0, v[52:53]
	v_or_b32_e32 v38, s20, v4
	ds_read_b128 v[14:17], v55
	ds_read_b128 v[2:5], v55 offset:16
	ds_read_b128 v[10:13], v55 offset:2048
	;; [unrolled: 1-line block ×3, first 2 shown]
	global_load_dwordx4 v[46:49], v[28:29], off
	v_or_b32_e32 v50, s44, v64
	v_ashrrev_i32_e32 v51, 31, v50
	v_lshl_add_u64 v[36:37], v[50:51], 2, s[12:13]
	s_ashr_i32 s12, s20, 31
	s_lshr_b32 s12, s12, 27
	v_or_b32_e32 v43, 0x80, v38
	v_or_b32_e32 v44, 0xc0, v38
	global_load_dword v51, v[36:37], off
	s_waitcnt vmcnt(5)
	v_mad_i64_i32 v[36:37], s[8:9], v26, s41, v[24:25]
	v_add_u32_e32 v26, s12, v38
	v_mov_b32_e32 v42, s21
	v_or_b32_e32 v39, 64, v38
	v_add_u32_e32 v40, s12, v43
	v_add_u32_e32 v41, s12, v44
	v_ashrrev_i32_e32 v26, 5, v26
	v_cmp_gt_i32_e32 vcc, s5, v38
	s_waitcnt vmcnt(4)
	v_mad_i64_i32 v[24:25], s[8:9], v27, s41, v[24:25]
	v_add_u32_e32 v27, s12, v39
	v_lshl_add_u64 v[22:23], v[36:37], 0, v[22:23]
	v_ashrrev_i32_e32 v36, 5, v40
	v_ashrrev_i32_e32 v37, 5, v41
	v_cndmask_b32_e32 v58, v42, v26, vcc
	v_cmp_gt_i32_e32 vcc, s5, v39
	global_load_dwordx4 v[38:41], v[28:29], off offset:2048
	v_lshl_add_u64 v[24:25], v[24:25], 0, v[34:35]
	v_ashrrev_i32_e32 v27, 5, v27
	v_lshl_add_u64 v[22:23], v[22:23], 0, v[52:53]
	v_lshl_add_u64 v[34:35], v[24:25], 0, v[52:53]
	v_cndmask_b32_e32 v60, v42, v27, vcc
	global_load_dwordx4 v[26:29], v[22:23], off
	s_nop 0
	global_load_dwordx4 v[22:25], v[22:23], off offset:2048
	v_ashrrev_i32_e32 v61, 31, v60
	v_lshl_add_u64 v[70:71], v[60:61], 2, s[6:7]
	v_cmp_gt_i32_e32 vcc, s5, v43
	v_ashrrev_i32_e32 v59, 31, v58
	v_lshl_add_u64 v[58:59], v[58:59], 2, s[6:7]
	v_cndmask_b32_e32 v62, v42, v36, vcc
	v_cmp_gt_i32_e32 vcc, s5, v44
	v_ashrrev_i32_e32 v63, 31, v62
	v_lshl_add_u64 v[62:63], v[62:63], 2, s[6:7]
	v_cndmask_b32_e32 v56, v42, v37, vcc
	global_load_dwordx4 v[42:45], v[34:35], off
	s_nop 0
	global_load_dwordx4 v[34:37], v[34:35], off offset:2048
	v_ashrrev_i32_e32 v57, 31, v56
	v_and_b32_e32 v52, 16, v0
	s_load_dword s4, s[0:1], 0x1c
	s_mov_b32 s42, 0xff7fffff
	s_waitcnt vmcnt(8)
	v_cvt_pk_f32_fp8_e32 v[60:61], v30
	v_cvt_pk_f32_fp8_sdwa v[72:73], v30 src0_sel:WORD_1
	v_cvt_pk_f32_fp8_e32 v[74:75], v31
	v_cvt_pk_f32_fp8_sdwa v[30:31], v31 src0_sel:WORD_1
	v_cvt_pkrtz_f16_f32 v60, v60, v61
	v_cvt_pkrtz_f16_f32 v61, v72, v73
	v_cvt_pk_f32_fp8_e32 v[76:77], v32
	v_cvt_pk_f32_fp8_sdwa v[78:79], v32 src0_sel:WORD_1
	v_cvt_pkrtz_f16_f32 v74, v74, v75
	v_cvt_pkrtz_f16_f32 v75, v30, v31
	v_cvt_pk_f32_fp8_e32 v[80:81], v33
	v_cvt_pk_f32_fp8_sdwa v[72:73], v33 src0_sel:WORD_1
	s_waitcnt lgkmcnt(0)
	v_mfma_f32_16x16x16_f16 v[30:33], v[60:61], v[14:15], 0
	v_cvt_pkrtz_f16_f32 v76, v76, v77
	v_cvt_pkrtz_f16_f32 v77, v78, v79
	s_waitcnt vmcnt(7)
	v_cvt_pk_f32_fp8_e32 v[82:83], v18
	v_mfma_f32_16x16x16_f16 v[30:33], v[74:75], v[16:17], v[30:33]
	v_cvt_pk_f32_fp8_sdwa v[60:61], v18 src0_sel:WORD_1
	v_cvt_pkrtz_f16_f32 v78, v80, v81
	v_cvt_pkrtz_f16_f32 v79, v72, v73
	v_mfma_f32_16x16x16_f16 v[30:33], v[76:77], v[2:3], v[30:33]
	v_cvt_pk_f32_fp8_e32 v[74:75], v19
	v_cvt_pk_f32_fp8_sdwa v[18:19], v19 src0_sel:WORD_1
	v_cvt_pkrtz_f16_f32 v72, v82, v83
	v_cvt_pkrtz_f16_f32 v73, v60, v61
	v_mfma_f32_16x16x16_f16 v[30:33], v[78:79], v[4:5], v[30:33]
	v_lshl_add_u64 v[76:77], v[56:57], 2, s[6:7]
	v_cvt_pkrtz_f16_f32 v74, v74, v75
	v_cvt_pkrtz_f16_f32 v75, v18, v19
	global_load_dword v60, v[58:59], off
	s_nop 0
	global_load_dword v59, v[70:71], off
	global_load_dword v56, v[62:63], off
	;; [unrolled: 1-line block ×3, first 2 shown]
	v_cvt_pk_f32_fp8_e32 v[18:19], v20
	v_cvt_pk_f32_fp8_sdwa v[62:63], v20 src0_sel:WORD_1
	v_mfma_f32_16x16x16_f16 v[30:33], v[72:73], v[10:11], v[30:33]
	v_cvt_pk_f32_fp8_e32 v[70:71], v21
	v_cvt_pkrtz_f16_f32 v18, v18, v19
	v_cvt_pkrtz_f16_f32 v19, v62, v63
	v_cvt_pk_f32_fp8_sdwa v[20:21], v21 src0_sel:WORD_1
	v_mfma_f32_16x16x16_f16 v[30:33], v[74:75], v[12:13], v[30:33]
	v_cvt_pkrtz_f16_f32 v62, v70, v71
	s_waitcnt vmcnt(10)
	v_cvt_pk_f32_fp8_e32 v[70:71], v46
	v_cvt_pk_f32_fp8_sdwa v[72:73], v46 src0_sel:WORD_1
	v_cvt_pkrtz_f16_f32 v63, v20, v21
	v_mfma_f32_16x16x16_f16 v[18:21], v[18:19], v[6:7], v[30:33]
	s_add_u32 s6, s10, s14
	s_addc_u32 s7, s11, 0
	v_lshl_or_b32 v58, v66, 4, v64
	v_cvt_pkrtz_f16_f32 v30, v70, v71
	v_cvt_pkrtz_f16_f32 v31, v72, v73
	v_cvt_pk_f32_fp8_e32 v[32:33], v47
	v_cvt_pk_f32_fp8_sdwa v[46:47], v47 src0_sel:WORD_1
	v_mfma_f32_16x16x16_f16 v[18:21], v[62:63], v[8:9], v[18:21]
	v_cvt_pk_f32_fp8_sdwa v[70:71], v48 src0_sel:WORD_1
	v_cvt_pkrtz_f16_f32 v62, v32, v33
	v_cvt_pkrtz_f16_f32 v63, v46, v47
	v_mfma_f32_16x16x16_f16 v[30:33], v[30:31], v[14:15], 0
	v_cvt_pk_f32_fp8_e32 v[46:47], v48
	s_waitcnt vmcnt(8)
	v_cvt_pk_f32_fp8_sdwa v[72:73], v38 src0_sel:WORD_1
	v_cvt_pkrtz_f16_f32 v46, v46, v47
	v_mfma_f32_16x16x16_f16 v[30:33], v[62:63], v[16:17], v[30:33]
	v_cvt_pk_f32_fp8_e32 v[62:63], v49
	v_cvt_pkrtz_f16_f32 v47, v70, v71
	v_cvt_pk_f32_fp8_sdwa v[48:49], v49 src0_sel:WORD_1
	v_cvt_pk_f32_fp8_e32 v[70:71], v38
	v_cvt_pkrtz_f16_f32 v62, v62, v63
	v_mfma_f32_16x16x16_f16 v[30:33], v[46:47], v[2:3], v[30:33]
	v_cvt_pkrtz_f16_f32 v63, v48, v49
	v_cvt_pkrtz_f16_f32 v46, v70, v71
	;; [unrolled: 1-line block ×3, first 2 shown]
	v_cvt_pk_f32_fp8_e32 v[48:49], v39
	v_cvt_pk_f32_fp8_sdwa v[38:39], v39 src0_sel:WORD_1
	v_mfma_f32_16x16x16_f16 v[30:33], v[62:63], v[4:5], v[30:33]
	v_cvt_pk_f32_fp8_sdwa v[62:63], v40 src0_sel:WORD_1
	v_cvt_pkrtz_f16_f32 v48, v48, v49
	v_cvt_pkrtz_f16_f32 v49, v38, v39
	v_mfma_f32_16x16x16_f16 v[30:33], v[46:47], v[10:11], v[30:33]
	v_cvt_pk_f32_fp8_e32 v[46:47], v40
	s_waitcnt vmcnt(7)
	v_cvt_pk_f32_fp8_sdwa v[70:71], v26 src0_sel:WORD_1
	v_lshl_add_u64 v[38:39], s[6:7], 0, v[52:53]
	v_mfma_f32_16x16x16_f16 v[30:33], v[48:49], v[12:13], v[30:33]
	v_cvt_pkrtz_f16_f32 v46, v46, v47
	v_cvt_pkrtz_f16_f32 v47, v62, v63
	v_cvt_pk_f32_fp8_e32 v[48:49], v41
	v_cvt_pk_f32_fp8_sdwa v[40:41], v41 src0_sel:WORD_1
	v_cvt_pk_f32_fp8_e32 v[62:63], v26
	v_mfma_f32_16x16x16_f16 v[30:33], v[46:47], v[6:7], v[30:33]
	v_cvt_pkrtz_f16_f32 v48, v48, v49
	v_cvt_pkrtz_f16_f32 v49, v40, v41
	;; [unrolled: 1-line block ×4, first 2 shown]
	v_cvt_pk_f32_fp8_e32 v[46:47], v27
	v_cvt_pk_f32_fp8_sdwa v[26:27], v27 src0_sel:WORD_1
	v_mfma_f32_16x16x16_f16 v[30:33], v[48:49], v[8:9], v[30:33]
	s_waitcnt vmcnt(6)
	v_cvt_pk_f32_fp8_sdwa v[70:71], v22 src0_sel:WORD_1
	v_cvt_pkrtz_f16_f32 v62, v46, v47
	v_cvt_pkrtz_f16_f32 v63, v26, v27
	v_mfma_f32_16x16x16_f16 v[46:49], v[40:41], v[14:15], 0
	v_cvt_pk_f32_fp8_e32 v[26:27], v28
	v_cvt_pk_f32_fp8_sdwa v[40:41], v28 src0_sel:WORD_1
	v_lshlrev_b32_e32 v52, 5, v58
	v_mfma_f32_16x16x16_f16 v[46:49], v[62:63], v[16:17], v[46:49]
	v_cvt_pk_f32_fp8_e32 v[62:63], v29
	v_cvt_pkrtz_f16_f32 v26, v26, v27
	v_cvt_pkrtz_f16_f32 v27, v40, v41
	v_cvt_pk_f32_fp8_sdwa v[28:29], v29 src0_sel:WORD_1
	v_cvt_pkrtz_f16_f32 v40, v62, v63
	v_cvt_pk_f32_fp8_e32 v[62:63], v22
	v_cvt_pkrtz_f16_f32 v41, v28, v29
	v_mfma_f32_16x16x16_f16 v[26:29], v[26:27], v[2:3], v[46:49]
	s_nop 2
	v_cvt_pkrtz_f16_f32 v46, v62, v63
	v_cvt_pkrtz_f16_f32 v47, v70, v71
	v_cvt_pk_f32_fp8_e32 v[48:49], v23
	v_cvt_pk_f32_fp8_sdwa v[62:63], v23 src0_sel:WORD_1
	v_mfma_f32_16x16x16_f16 v[26:29], v[40:41], v[4:5], v[26:29]
	v_lshl_add_u64 v[22:23], v[38:39], 0, v[52:53]
	v_cvt_pkrtz_f16_f32 v40, v48, v49
	v_cvt_pkrtz_f16_f32 v41, v62, v63
	v_mfma_f32_16x16x16_f16 v[26:29], v[46:47], v[10:11], v[26:29]
	v_cvt_pk_f32_fp8_e32 v[46:47], v24
	v_cvt_pk_f32_fp8_sdwa v[48:49], v24 src0_sel:WORD_1
	s_waitcnt vmcnt(3)
	v_mad_i64_i32 v[62:63], s[6:7], v60, s41, v[22:23]
	v_mfma_f32_16x16x16_f16 v[26:29], v[40:41], v[12:13], v[26:29]
	v_cvt_pkrtz_f16_f32 v40, v46, v47
	v_cvt_pkrtz_f16_f32 v41, v48, v49
	v_cvt_pk_f32_fp8_e32 v[46:47], v25
	v_cvt_pk_f32_fp8_sdwa v[24:25], v25 src0_sel:WORD_1
	s_waitcnt vmcnt(2)
	v_mad_i64_i32 v[48:49], s[6:7], v59, s41, v[22:23]
	v_cvt_pkrtz_f16_f32 v46, v46, v47
	v_cvt_pkrtz_f16_f32 v47, v24, v25
	v_mfma_f32_16x16x16_f16 v[24:27], v[40:41], v[6:7], v[26:29]
	v_cvt_pk_f32_fp8_sdwa v[40:41], v42 src0_sel:WORD_1
	s_load_dword s6, s[36:37], 0x0
	v_or_b32_e32 v52, 0x800, v52
	v_cvt_pk_f32_fp8_e32 v[28:29], v42
	v_mfma_f32_16x16x16_f16 v[70:73], v[46:47], v[8:9], v[24:27]
	v_cvt_pk_f32_fp8_sdwa v[46:47], v44 src0_sel:WORD_1
	s_nop 1
	v_cvt_pk_f32_fp8_e32 v[24:25], v43
	v_cvt_pkrtz_f16_f32 v26, v28, v29
	v_cvt_pkrtz_f16_f32 v27, v40, v41
	v_cvt_pk_f32_fp8_sdwa v[28:29], v43 src0_sel:WORD_1
	v_cvt_pkrtz_f16_f32 v40, v24, v25
	v_cvt_pk_f32_fp8_e32 v[42:43], v44
	v_mfma_f32_16x16x16_f16 v[24:27], v[26:27], v[14:15], 0
	v_cvt_pkrtz_f16_f32 v41, v28, v29
	v_cvt_pkrtz_f16_f32 v28, v42, v43
	;; [unrolled: 1-line block ×3, first 2 shown]
	v_cvt_pk_f32_fp8_e32 v[42:43], v45
	v_cvt_pk_f32_fp8_sdwa v[44:45], v45 src0_sel:WORD_1
	v_mfma_f32_16x16x16_f16 v[14:17], v[40:41], v[16:17], v[24:27]
	v_cvt_pkrtz_f16_f32 v40, v42, v43
	v_cvt_pkrtz_f16_f32 v41, v44, v45
	v_mfma_f32_16x16x16_f16 v[14:17], v[28:29], v[2:3], v[14:17]
	v_cvt_pk_f32_fp8_e32 v[2:3], v34
	v_mov_b32_e32 v24, s4
	s_waitcnt lgkmcnt(0)
	v_mul_f32_e32 v28, s6, v24
	v_mfma_f32_16x16x16_f16 v[14:17], v[40:41], v[4:5], v[14:17]
	v_cvt_pk_f32_fp8_sdwa v[4:5], v34 src0_sel:WORD_1
	v_pk_mul_f32 v[24:25], v[28:29], v[20:21] op_sel_hi:[0,1]
	v_pk_mul_f32 v[26:27], v[28:29], v[18:19] op_sel_hi:[0,1]
	v_cvt_pk_f32_fp8_e32 v[18:19], v35
	v_cvt_pk_f32_fp8_sdwa v[20:21], v35 src0_sel:WORD_1
	v_cvt_pkrtz_f16_f32 v34, v2, v3
	v_cvt_pkrtz_f16_f32 v35, v4, v5
	;; [unrolled: 1-line block ×4, first 2 shown]
	v_cvt_pk_f32_fp8_e32 v[42:43], v36
	v_cvt_pk_f32_fp8_sdwa v[44:45], v36 src0_sel:WORD_1
	v_mfma_f32_16x16x16_f16 v[14:17], v[34:35], v[10:11], v[14:17]
	v_pk_mul_f32 v[46:47], v[28:29], v[30:31] op_sel_hi:[0,1]
	v_cvt_pkrtz_f16_f32 v34, v42, v43
	v_cvt_pkrtz_f16_f32 v35, v44, v45
	v_cvt_pk_f32_fp8_e32 v[44:45], v37
	v_cvt_pk_f32_fp8_sdwa v[36:37], v37 src0_sel:WORD_1
	v_mfma_f32_16x16x16_f16 v[10:13], v[40:41], v[12:13], v[14:17]
	v_pk_mul_f32 v[42:43], v[28:29], v[32:33] op_sel_hi:[0,1]
	v_pk_mul_f32 v[40:41], v[28:29], v[72:73] op_sel_hi:[0,1]
	global_load_dwordx4 v[18:21], v[62:63], off
	global_load_dwordx4 v[2:5], v[48:49], off
	v_cvt_pkrtz_f16_f32 v14, v44, v45
	v_cvt_pkrtz_f16_f32 v15, v36, v37
	v_mfma_f32_16x16x16_f16 v[10:13], v[34:35], v[6:7], v[10:13]
	v_pk_mul_f32 v[44:45], v[28:29], v[70:71] op_sel_hi:[0,1]
	v_mfma_f32_16x16x16_f16 v[6:9], v[14:15], v[8:9], v[10:13]
	s_nop 6
	v_pk_mul_f32 v[36:37], v[28:29], v[6:7] op_sel_hi:[0,1]
	v_and_b32_e32 v6, 0xc0, v0
	v_add_u32_e32 v6, s20, v6
	v_lshl_or_b32 v6, v1, 2, v6
	v_or_b32_e32 v7, 1, v6
	v_pk_mul_f32 v[34:35], v[28:29], v[8:9] op_sel_hi:[0,1]
	v_subrev_u32_e32 v8, s5, v7
	v_add_u32_e32 v10, 1, v8
	v_add_u32_e32 v11, 2, v8
	v_cvt_f32_i32_e32 v9, v8
	v_cvt_f32_i32_e32 v10, v10
	;; [unrolled: 1-line block ×3, first 2 shown]
	v_add_u32_e32 v12, 3, v8
	v_fma_f32 v13, v51, v9, v26
	v_fmac_f32_e32 v27, v51, v10
	v_fma_f32 v24, v51, v11, v24
	v_add_u32_e32 v9, 16, v8
	v_add_u32_e32 v10, 17, v8
	;; [unrolled: 1-line block ×3, first 2 shown]
	v_cvt_f32_i32_e32 v12, v12
	v_cvt_f32_i32_e32 v9, v9
	;; [unrolled: 1-line block ×4, first 2 shown]
	v_fmac_f32_e32 v25, v51, v12
	v_add_u32_e32 v12, 19, v8
	v_fma_f32 v46, v51, v9, v46
	v_fmac_f32_e32 v47, v51, v10
	v_fma_f32 v42, v51, v11, v42
	v_add_u32_e32 v9, 32, v8
	v_add_u32_e32 v10, 33, v8
	;; [unrolled: 1-line block ×3, first 2 shown]
	v_cvt_f32_i32_e32 v12, v12
	v_cvt_f32_i32_e32 v9, v9
	;; [unrolled: 1-line block ×4, first 2 shown]
	v_fmac_f32_e32 v43, v51, v12
	v_add_u32_e32 v12, 35, v8
	v_fma_f32 v44, v51, v9, v44
	v_fmac_f32_e32 v45, v51, v10
	v_fma_f32 v40, v51, v11, v40
	v_add_u32_e32 v9, 48, v8
	v_add_u32_e32 v10, 49, v8
	;; [unrolled: 1-line block ×4, first 2 shown]
	v_cvt_f32_i32_e32 v8, v8
	v_cvt_f32_i32_e32 v9, v9
	;; [unrolled: 1-line block ×3, first 2 shown]
	v_cmp_gt_i32_e64 s[18:19], s5, v6
	v_fmac_f32_e32 v35, v51, v8
	v_mov_b32_e32 v8, 0xff7fffff
	v_cmp_gt_i32_e64 s[22:23], s5, v7
	v_fma_f32 v36, v51, v9, v36
	v_cndmask_b32_e64 v9, v8, v13, s[18:19]
	v_cndmask_b32_e64 v7, v8, v27, s[22:23]
	v_fmac_f32_e32 v37, v51, v10
	v_max3_f32 v7, v9, s42, v7
	v_or_b32_e32 v9, 2, v6
	v_or_b32_e32 v10, 3, v6
	v_cmp_gt_i32_e64 s[28:29], s5, v9
	v_cmp_gt_i32_e64 s[34:35], s5, v10
	v_cvt_f32_i32_e32 v12, v12
	v_cndmask_b32_e64 v9, v8, v24, s[28:29]
	v_cndmask_b32_e64 v10, v8, v25, s[34:35]
	v_max3_f32 v7, v7, v9, v10
	v_or_b32_e32 v9, 16, v6
	v_or_b32_e32 v10, 17, v6
	v_cmp_gt_i32_e64 s[12:13], s5, v9
	v_cmp_gt_i32_e64 s[16:17], s5, v10
	v_fmac_f32_e32 v41, v51, v12
	v_cndmask_b32_e64 v9, v8, v46, s[12:13]
	v_cndmask_b32_e64 v10, v8, v47, s[16:17]
	v_max3_f32 v7, v7, v9, v10
	v_or_b32_e32 v9, 18, v6
	v_or_b32_e32 v10, 19, v6
	v_cmp_gt_i32_e64 s[24:25], s5, v9
	v_cmp_gt_i32_e64 s[30:31], s5, v10
	v_cvt_f32_i32_e32 v11, v11
	v_cndmask_b32_e64 v9, v8, v42, s[24:25]
	v_cndmask_b32_e64 v10, v8, v43, s[30:31]
	v_max3_f32 v7, v7, v9, v10
	v_or_b32_e32 v9, 32, v6
	v_or_b32_e32 v10, 33, v6
	v_cmp_gt_i32_e64 s[10:11], s5, v9
	v_cmp_gt_i32_e64 s[14:15], s5, v10
	v_fma_f32 v34, v51, v11, v34
	v_cndmask_b32_e64 v9, v8, v44, s[10:11]
	v_cndmask_b32_e64 v10, v8, v45, s[14:15]
	v_max3_f32 v7, v7, v9, v10
	v_or_b32_e32 v9, 34, v6
	v_or_b32_e32 v10, 35, v6
	v_cmp_gt_i32_e64 s[20:21], s5, v9
	v_cmp_gt_i32_e64 s[26:27], s5, v10
	s_nop 0
	v_cndmask_b32_e64 v9, v8, v40, s[20:21]
	v_cndmask_b32_e64 v10, v8, v41, s[26:27]
	v_max3_f32 v7, v7, v9, v10
	v_or_b32_e32 v9, 48, v6
	v_or_b32_e32 v10, 49, v6
	v_cmp_gt_i32_e64 s[6:7], s5, v9
	v_cmp_gt_i32_e64 s[8:9], s5, v10
	s_nop 0
	v_cndmask_b32_e64 v9, v8, v36, s[6:7]
	v_cndmask_b32_e64 v10, v8, v37, s[8:9]
	v_max3_f32 v7, v7, v9, v10
	v_or_b32_e32 v9, 50, v6
	v_or_b32_e32 v6, 51, v6
	v_cmp_gt_i32_e32 vcc, s5, v9
	v_cmp_gt_i32_e64 s[4:5], s5, v6
	s_nop 0
	v_cndmask_b32_e32 v9, v8, v34, vcc
	v_cndmask_b32_e64 v6, v8, v35, s[4:5]
	v_max3_f32 v6, v7, v9, v6
	v_mbcnt_lo_u32_b32 v7, -1, 0
	v_mbcnt_hi_u32_b32 v7, -1, v7
	v_and_b32_e32 v8, 64, v7
	v_add_u32_e32 v12, 64, v8
	v_xor_b32_e32 v8, 32, v7
	v_cmp_lt_i32_e64 s[36:37], v8, v12
	s_nop 1
	v_cndmask_b32_e64 v8, v7, v8, s[36:37]
	v_lshlrev_b32_e32 v51, 2, v8
	ds_bpermute_b32 v14, v51, v6
	s_waitcnt vmcnt(3)
	v_mad_i64_i32 v[8:9], s[36:37], v56, s41, v[22:23]
	s_waitcnt vmcnt(2)
	v_mad_i64_i32 v[10:11], s[36:37], v57, s41, v[22:23]
	s_waitcnt lgkmcnt(0)
	v_max_f32_e32 v14, v14, v14
	v_max_f32_e32 v22, v6, v14
	v_xor_b32_e32 v6, 16, v7
	v_cmp_lt_i32_e64 s[36:37], v6, v12
	global_load_dwordx4 v[30:33], v[8:9], off
	global_load_dwordx4 v[14:17], v[10:11], off
	v_cndmask_b32_e64 v6, v7, v6, s[36:37]
	v_lshlrev_b32_e32 v62, 2, v6
	ds_bpermute_b32 v12, v62, v22
	v_lshl_add_u64 v[6:7], v[38:39], 0, v[52:53]
	v_mad_i64_i32 v[10:11], s[36:37], v59, s41, v[6:7]
	s_waitcnt lgkmcnt(0)
	v_max_f32_e32 v8, v12, v12
	v_max_f32_e32 v61, v22, v8
	v_sub_f32_e32 v12, v27, v61
	v_mul_f32_e32 v12, 0x3fb8aa3b, v12
	v_exp_f32_e32 v39, v12
	v_sub_f32_e32 v12, v24, v61
	v_mul_f32_e32 v12, 0x3fb8aa3b, v12
	v_sub_f32_e32 v13, v13, v61
	v_exp_f32_e32 v52, v12
	v_sub_f32_e32 v12, v25, v61
	v_mad_i64_i32 v[8:9], s[36:37], v60, s41, v[6:7]
	v_mul_f32_e32 v13, 0x3fb8aa3b, v13
	v_mul_f32_e32 v12, 0x3fb8aa3b, v12
	v_exp_f32_e32 v38, v13
	v_exp_f32_e32 v53, v12
	global_load_dwordx4 v[26:29], v[8:9], off
	s_nop 0
	global_load_dwordx4 v[10:13], v[10:11], off
	v_mad_i64_i32 v[8:9], s[36:37], v56, s41, v[6:7]
	v_mad_i64_i32 v[6:7], s[36:37], v57, s41, v[6:7]
	global_load_dwordx4 v[22:25], v[8:9], off
	s_nop 0
	global_load_dwordx4 v[6:9], v[6:7], off
	v_cndmask_b32_e64 v48, 0, v38, s[18:19]
	v_cndmask_b32_e64 v49, 0, v39, s[22:23]
	v_sub_f32_e32 v38, v46, v61
	v_sub_f32_e32 v39, v47, v61
	v_mul_f32_e32 v38, 0x3fb8aa3b, v38
	v_mul_f32_e32 v39, 0x3fb8aa3b, v39
	v_exp_f32_e32 v38, v38
	v_exp_f32_e32 v39, v39
	v_sub_f32_e32 v42, v42, v61
	v_mul_f32_e32 v42, 0x3fb8aa3b, v42
	v_exp_f32_e32 v46, v42
	v_sub_f32_e32 v42, v43, v61
	v_mul_f32_e32 v42, 0x3fb8aa3b, v42
	v_exp_f32_e32 v47, v42
	v_cndmask_b32_e64 v42, 0, v38, s[12:13]
	v_cndmask_b32_e64 v43, 0, v39, s[16:17]
	v_sub_f32_e32 v38, v45, v61
	v_sub_f32_e32 v39, v44, v61
	v_mul_f32_e32 v39, 0x3fb8aa3b, v39
	v_mul_f32_e32 v38, 0x3fb8aa3b, v38
	v_exp_f32_e32 v39, v39
	v_exp_f32_e32 v44, v38
	v_sub_f32_e32 v38, v40, v61
	v_mul_f32_e32 v38, 0x3fb8aa3b, v38
	v_exp_f32_e32 v40, v38
	v_sub_f32_e32 v38, v41, v61
	v_mul_f32_e32 v38, 0x3fb8aa3b, v38
	v_exp_f32_e32 v41, v38
	v_cndmask_b32_e64 v38, 0, v39, s[10:11]
	v_cndmask_b32_e64 v39, 0, v44, s[14:15]
	v_add_f32_e32 v44, 0, v48
	v_cndmask_b32_e64 v52, 0, v52, s[28:29]
	v_add_f32_e32 v44, v44, v49
	;; [unrolled: 2-line block ×3, first 2 shown]
	v_add_f32_e32 v44, v44, v53
	v_add_f32_e32 v44, v44, v42
	v_cndmask_b32_e64 v46, 0, v46, s[24:25]
	v_add_f32_e32 v44, v44, v43
	v_sub_f32_e32 v36, v36, v61
	v_cndmask_b32_e64 v47, 0, v47, s[30:31]
	v_add_f32_e32 v44, v44, v46
	v_mul_f32_e32 v36, 0x3fb8aa3b, v36
	v_sub_f32_e32 v37, v37, v61
	v_add_f32_e32 v44, v44, v47
	v_exp_f32_e32 v36, v36
	v_mul_f32_e32 v37, 0x3fb8aa3b, v37
	v_sub_f32_e32 v34, v34, v61
	v_add_f32_e32 v44, v44, v38
	v_exp_f32_e32 v37, v37
	v_mul_f32_e32 v34, 0x3fb8aa3b, v34
	v_sub_f32_e32 v35, v35, v61
	v_cndmask_b32_e64 v40, 0, v40, s[20:21]
	v_add_f32_e32 v44, v44, v39
	v_exp_f32_e32 v34, v34
	v_mul_f32_e32 v35, 0x3fb8aa3b, v35
	v_cndmask_b32_e64 v41, 0, v41, s[26:27]
	v_add_f32_e32 v44, v44, v40
	v_exp_f32_e32 v35, v35
	v_add_f32_e32 v44, v44, v41
	v_cndmask_b32_e64 v36, 0, v36, s[6:7]
	v_add_f32_e32 v44, v44, v36
	v_cndmask_b32_e64 v37, 0, v37, s[8:9]
	v_add_f32_e32 v44, v44, v37
	v_cndmask_b32_e32 v34, 0, v34, vcc
	v_add_f32_e32 v44, v44, v34
	v_cndmask_b32_e64 v35, 0, v35, s[4:5]
	v_add_f32_e32 v44, v44, v35
	ds_bpermute_b32 v45, v51, v44
	v_cmp_gt_u32_e32 vcc, 16, v67
	s_waitcnt lgkmcnt(0)
	s_barrier
	v_add_f32_e32 v44, v44, v45
	ds_bpermute_b32 v45, v62, v44
	s_and_saveexec_b64 s[4:5], vcc
	s_cbranch_execz .LBB1023_13
; %bb.12:
	s_waitcnt lgkmcnt(0)
	v_add_f32_e32 v44, v44, v45
	v_lshlrev_b32_e32 v45, 2, v58
	ds_write2st64_b32 v45, v61, v44 offset1:1
.LBB1023_13:
	s_or_b64 exec, exec, s[4:5]
	s_waitcnt lgkmcnt(0)
	v_lshlrev_b32_e32 v45, 2, v64
	s_load_dword s6, s[0:1], 0x94
	s_waitcnt lgkmcnt(0)
	s_barrier
	ds_read2_b32 v[56:57], v45 offset1:16
	ds_read2_b32 v[58:59], v45 offset0:32 offset1:48
	ds_read2_b32 v[60:61], v45 offset0:64 offset1:80
	s_lshl_b32 s7, s40, 4
	s_waitcnt lgkmcnt(2)
	v_max3_f32 v44, v56, s42, v57
	s_waitcnt lgkmcnt(1)
	v_max3_f32 v44, v44, v58, v59
	v_sub_f32_e32 v51, v56, v44
	v_sub_f32_e32 v56, v57, v44
	v_mul_f32_e32 v56, 0x3fb8aa3b, v56
	v_mul_f32_e32 v51, 0x3fb8aa3b, v51
	v_exp_f32_e32 v62, v56
	v_sub_f32_e32 v56, v58, v44
	v_exp_f32_e32 v51, v51
	v_mul_f32_e32 v56, 0x3fb8aa3b, v56
	v_exp_f32_e32 v58, v56
	ds_read2_b32 v[56:57], v45 offset0:96 offset1:112
	v_sub_f32_e32 v45, v59, v44
	v_mul_f32_e32 v45, 0x3fb8aa3b, v45
	v_exp_f32_e32 v59, v45
	s_waitcnt lgkmcnt(1)
	v_fma_f32 v45, v51, v60, 0
	v_fmac_f32_e32 v45, v62, v61
	s_waitcnt lgkmcnt(0)
	v_fmac_f32_e32 v45, v58, v56
	v_fmac_f32_e32 v45, v59, v57
	v_add_f32_e32 v56, 0x358637bd, v45
	v_div_scale_f32 v57, s[4:5], v56, v56, 1.0
	v_rcp_f32_e32 v60, v57
	s_barrier
	v_fma_f32 v61, -v57, v60, 1.0
	v_fmac_f32_e32 v60, v61, v60
	v_div_scale_f32 v61, vcc, 1.0, v56, 1.0
	v_mul_f32_e32 v63, v61, v60
	v_fma_f32 v67, -v57, v63, v61
	v_fmac_f32_e32 v63, v67, v60
	v_fma_f32 v57, -v57, v63, v61
	v_div_fmas_f32 v57, v57, v60, v63
	v_cmp_eq_u32_e32 vcc, 1, v66
	v_div_fixup_f32 v56, v57, v56, 1.0
	s_nop 0
	v_cndmask_b32_e32 v51, v51, v62, vcc
	v_cmp_eq_u32_e32 vcc, 2, v66
	s_nop 1
	v_cndmask_b32_e32 v51, v51, v58, vcc
	v_cmp_eq_u32_e32 vcc, 3, v66
	s_nop 1
	v_cndmask_b32_e32 v51, v51, v59, vcc
	v_mul_f32_e32 v58, v51, v56
	v_pk_mul_f32 v[52:53], v[58:59], v[52:53] op_sel_hi:[0,1]
	v_pk_mul_f32 v[48:49], v[58:59], v[48:49] op_sel_hi:[0,1]
	v_cvt_f16_f32_e32 v48, v48
	v_cvt_f16_f32_e32 v49, v49
	;; [unrolled: 1-line block ×4, first 2 shown]
	v_pk_mul_f32 v[46:47], v[58:59], v[46:47] op_sel_hi:[0,1]
	v_pk_mul_f32 v[42:43], v[58:59], v[42:43] op_sel_hi:[0,1]
	v_cvt_f16_f32_e32 v42, v42
	v_cvt_f16_f32_e32 v43, v43
	;; [unrolled: 1-line block ×4, first 2 shown]
	v_pack_b32_f16 v48, v48, v49
	v_pack_b32_f16 v49, v51, v52
	v_lshlrev_b32_e32 v51, 3, v1
	v_lshlrev_b32_e32 v52, 11, v66
	v_or3_b32 v56, v52, v68, v51
	v_pack_b32_f16 v42, v42, v43
	v_pack_b32_f16 v43, v46, v47
	v_pk_mul_f32 v[40:41], v[58:59], v[40:41] op_sel_hi:[0,1]
	v_pk_mul_f32 v[38:39], v[58:59], v[38:39] op_sel_hi:[0,1]
	;; [unrolled: 1-line block ×4, first 2 shown]
	ds_write2st64_b64 v56, v[48:49], v[42:43] offset1:1
	v_cvt_f16_f32_e32 v38, v38
	v_cvt_f16_f32_e32 v39, v39
	;; [unrolled: 1-line block ×8, first 2 shown]
	v_pack_b32_f16 v34, v38, v39
	v_pack_b32_f16 v35, v40, v41
	;; [unrolled: 1-line block ×4, first 2 shown]
	v_cmp_gt_u32_e32 vcc, 16, v0
	ds_write2st64_b64 v56, v[34:35], v[36:37] offset0:2 offset1:3
	s_and_saveexec_b64 s[4:5], vcc
	s_cbranch_execz .LBB1023_15
; %bb.14:
	v_mov_b32_e32 v51, 0
	v_mov_b32_e32 v34, s7
	s_mul_i32 s3, s3, s7
	v_mad_u64_u32 v[34:35], s[12:13], s2, v34, v[50:51]
	v_mov_b32_e32 v50, s33
	s_load_dwordx4 s[8:11], s[0:1], 0x58
	v_add_u32_e32 v37, s3, v35
	v_mad_u64_u32 v[34:35], s[12:13], v34, s6, v[50:51]
	v_mov_b32_e32 v36, v35
	v_mad_u64_u32 v[36:37], s[12:13], v37, s6, v[36:37]
	v_mov_b32_e32 v35, v36
	v_lshlrev_b64 v[34:35], 2, v[34:35]
	s_waitcnt lgkmcnt(0)
	v_lshl_add_u64 v[36:37], s[10:11], 0, v[34:35]
	v_lshl_add_u64 v[34:35], s[8:9], 0, v[34:35]
	global_store_dword v[36:37], v44, off
	global_store_dword v[34:35], v45, off
.LBB1023_15:
	s_or_b64 exec, exec, s[4:5]
	s_waitcnt vmcnt(7)
	v_cvt_pk_f32_fp8_e32 v[34:35], v18
	v_cvt_pk_f32_fp8_sdwa v[36:37], v18 src0_sel:WORD_1
	s_waitcnt lgkmcnt(0)
	s_barrier
	v_cvt_pk_f32_fp8_e32 v[38:39], v19
	v_cvt_pkrtz_f16_f32 v18, v34, v35
	v_cvt_pk_f32_fp8_sdwa v[40:41], v19 src0_sel:WORD_1
	v_cvt_pkrtz_f16_f32 v19, v36, v37
	ds_read_b128 v[34:37], v55
	v_cvt_pkrtz_f16_f32 v46, v38, v39
	v_cvt_pkrtz_f16_f32 v47, v40, v41
	ds_read_b128 v[38:41], v55 offset:16
	v_cvt_pk_f32_fp8_e32 v[48:49], v20
	v_cvt_pk_f32_fp8_sdwa v[50:51], v20 src0_sel:WORD_1
	s_waitcnt lgkmcnt(1)
	v_mfma_f32_16x16x16_f16 v[42:45], v[18:19], v[34:35], 0
	s_waitcnt vmcnt(6)
	v_cvt_pk_f32_fp8_e32 v[52:53], v4
	v_cvt_pkrtz_f16_f32 v18, v48, v49
	v_cvt_pkrtz_f16_f32 v19, v50, v51
	v_cvt_pk_f32_fp8_e32 v[48:49], v21
	v_mfma_f32_16x16x16_f16 v[42:45], v[46:47], v[36:37], v[42:45]
	v_cvt_pk_f32_fp8_sdwa v[46:47], v21 src0_sel:WORD_1
	v_cvt_pk_f32_fp8_sdwa v[58:59], v4 src0_sel:WORD_1
	v_cvt_pkrtz_f16_f32 v48, v48, v49
	s_waitcnt lgkmcnt(0)
	v_mfma_f32_16x16x16_f16 v[18:21], v[18:19], v[38:39], v[42:45]
	v_cvt_pkrtz_f16_f32 v49, v46, v47
	s_waitcnt vmcnt(5)
	v_cvt_pk_f32_fp8_e32 v[60:61], v32
	v_cvt_pk_f32_fp8_sdwa v[62:63], v32 src0_sel:WORD_1
	v_cvt_pk_f32_fp8_e32 v[42:43], v2
	v_mfma_f32_16x16x16_f16 v[46:49], v[48:49], v[40:41], v[18:21]
	s_waitcnt vmcnt(4)
	v_cvt_pk_f32_fp8_e32 v[66:67], v16
	v_cvt_pk_f32_fp8_sdwa v[68:69], v16 src0_sel:WORD_1
	v_cvt_pk_f32_fp8_sdwa v[18:19], v2 src0_sel:WORD_1
	v_cvt_pk_f32_fp8_e32 v[20:21], v3
	v_cvt_pkrtz_f16_f32 v2, v42, v43
	v_cvt_pk_f32_fp8_sdwa v[42:43], v3 src0_sel:WORD_1
	v_cvt_pkrtz_f16_f32 v3, v18, v19
	v_cvt_pkrtz_f16_f32 v50, v20, v21
	ds_read_b128 v[18:21], v55 offset:2048
	v_cvt_pkrtz_f16_f32 v51, v42, v43
	ds_read_b128 v[42:45], v55 offset:2064
	s_waitcnt lgkmcnt(1)
	v_mfma_f32_16x16x16_f16 v[46:49], v[2:3], v[18:19], v[46:49]
	v_cvt_pkrtz_f16_f32 v2, v52, v53
	v_cvt_pkrtz_f16_f32 v3, v58, v59
	v_cvt_pk_f32_fp8_e32 v[52:53], v5
	v_mfma_f32_16x16x16_f16 v[46:49], v[50:51], v[20:21], v[46:49]
	v_cvt_pk_f32_fp8_sdwa v[50:51], v5 src0_sel:WORD_1
	s_load_dword s4, s[38:39], 0x0
	v_cvt_pkrtz_f16_f32 v52, v52, v53
	s_waitcnt lgkmcnt(0)
	v_mfma_f32_16x16x16_f16 v[2:5], v[2:3], v[42:43], v[46:49]
	v_cvt_pkrtz_f16_f32 v53, v50, v51
	s_mov_b32 s3, 0
	v_cmp_gt_u32_e32 vcc, 64, v0
	v_cvt_pk_f32_fp8_e32 v[46:47], v30
	v_mfma_f32_16x16x16_f16 v[50:53], v[52:53], v[44:45], v[2:5]
	s_nop 2
	v_cvt_pk_f32_fp8_sdwa v[2:3], v30 src0_sel:WORD_1
	v_cvt_pk_f32_fp8_e32 v[4:5], v31
	v_cvt_pkrtz_f16_f32 v30, v46, v47
	v_cvt_pk_f32_fp8_sdwa v[46:47], v31 src0_sel:WORD_1
	v_cvt_pkrtz_f16_f32 v31, v2, v3
	v_cvt_pkrtz_f16_f32 v58, v4, v5
	ds_read_b128 v[2:5], v55 offset:4096
	v_cvt_pkrtz_f16_f32 v59, v46, v47
	ds_read_b128 v[46:49], v55 offset:4112
	s_waitcnt lgkmcnt(1)
	v_mfma_f32_16x16x16_f16 v[50:53], v[30:31], v[2:3], v[50:53]
	v_cvt_pkrtz_f16_f32 v30, v60, v61
	v_cvt_pkrtz_f16_f32 v31, v62, v63
	v_cvt_pk_f32_fp8_e32 v[60:61], v33
	v_mfma_f32_16x16x16_f16 v[50:53], v[58:59], v[4:5], v[50:53]
	v_cvt_pk_f32_fp8_sdwa v[58:59], v33 src0_sel:WORD_1
	v_cvt_pkrtz_f16_f32 v60, v60, v61
	s_waitcnt lgkmcnt(0)
	v_mfma_f32_16x16x16_f16 v[30:33], v[30:31], v[46:47], v[50:53]
	v_cvt_pkrtz_f16_f32 v61, v58, v59
	s_nop 1
	v_cvt_pk_f32_fp8_e32 v[50:51], v14
	v_mfma_f32_16x16x16_f16 v[58:61], v[60:61], v[48:49], v[30:33]
	s_nop 2
	v_cvt_pk_f32_fp8_sdwa v[30:31], v14 src0_sel:WORD_1
	v_cvt_pk_f32_fp8_e32 v[32:33], v15
	v_cvt_pkrtz_f16_f32 v14, v50, v51
	v_cvt_pk_f32_fp8_sdwa v[50:51], v15 src0_sel:WORD_1
	v_cvt_pkrtz_f16_f32 v15, v30, v31
	v_cvt_pkrtz_f16_f32 v62, v32, v33
	ds_read_b128 v[30:33], v55 offset:6144
	v_cvt_pkrtz_f16_f32 v63, v50, v51
	ds_read_b128 v[50:53], v55 offset:6160
	s_waitcnt lgkmcnt(1)
	v_mfma_f32_16x16x16_f16 v[58:61], v[14:15], v[30:31], v[58:61]
	v_cvt_pkrtz_f16_f32 v14, v66, v67
	v_cvt_pkrtz_f16_f32 v15, v68, v69
	v_cvt_pk_f32_fp8_e32 v[66:67], v17
	v_mfma_f32_16x16x16_f16 v[58:61], v[62:63], v[32:33], v[58:61]
	v_cvt_pk_f32_fp8_sdwa v[62:63], v17 src0_sel:WORD_1
	s_waitcnt vmcnt(3)
	v_cvt_pk_f32_fp8_sdwa v[68:69], v28 src0_sel:WORD_1
	v_cvt_pkrtz_f16_f32 v66, v66, v67
	s_waitcnt lgkmcnt(0)
	v_mfma_f32_16x16x16_f16 v[14:17], v[14:15], v[50:51], v[58:61]
	v_cvt_pkrtz_f16_f32 v67, v62, v63
	v_cvt_pk_f32_fp8_e32 v[62:63], v27
	s_nop 0
	v_cvt_pk_f32_fp8_e32 v[58:59], v26
	v_cvt_pk_f32_fp8_sdwa v[60:61], v26 src0_sel:WORD_1
	v_cvt_pk_f32_fp8_sdwa v[26:27], v27 src0_sel:WORD_1
	v_mfma_f32_16x16x16_f16 v[14:17], v[66:67], v[52:53], v[14:17]
	v_cvt_pkrtz_f16_f32 v58, v58, v59
	v_cvt_pkrtz_f16_f32 v59, v60, v61
	v_cvt_pkrtz_f16_f32 v62, v62, v63
	v_cvt_pk_f32_fp8_e32 v[66:67], v28
	v_cvt_pkrtz_f16_f32 v63, v26, v27
	v_mfma_f32_16x16x16_f16 v[58:61], v[58:59], v[34:35], 0
	v_cvt_pkrtz_f16_f32 v26, v66, v67
	v_cvt_pkrtz_f16_f32 v27, v68, v69
	v_cvt_pk_f32_fp8_e32 v[66:67], v29
	v_mfma_f32_16x16x16_f16 v[34:37], v[62:63], v[36:37], v[58:61]
	v_pk_mul_f32 v[14:15], v[14:15], s[4:5] op_sel_hi:[1,0]
	s_barrier
	v_cvt_f16_f32_e32 v14, v14
	v_cvt_pk_f32_fp8_sdwa v[58:59], v29 src0_sel:WORD_1
	v_cvt_pkrtz_f16_f32 v60, v66, v67
	v_mfma_f32_16x16x16_f16 v[26:29], v[26:27], v[38:39], v[34:37]
	s_waitcnt vmcnt(2)
	v_cvt_pk_f32_fp8_e32 v[38:39], v11
	v_cvt_pkrtz_f16_f32 v61, v58, v59
	v_cvt_pk_f32_fp8_e32 v[34:35], v10
	v_cvt_pk_f32_fp8_sdwa v[36:37], v10 src0_sel:WORD_1
	v_cvt_pk_f32_fp8_sdwa v[10:11], v11 src0_sel:WORD_1
	v_mfma_f32_16x16x16_f16 v[26:29], v[60:61], v[40:41], v[26:29]
	v_cvt_pkrtz_f16_f32 v34, v34, v35
	v_cvt_pkrtz_f16_f32 v35, v36, v37
	;; [unrolled: 1-line block ×3, first 2 shown]
	v_cvt_pk_f32_fp8_e32 v[38:39], v12
	v_cvt_pk_f32_fp8_sdwa v[40:41], v12 src0_sel:WORD_1
	v_cvt_pkrtz_f16_f32 v37, v10, v11
	v_mfma_f32_16x16x16_f16 v[26:29], v[34:35], v[18:19], v[26:29]
	v_cvt_pkrtz_f16_f32 v18, v38, v39
	v_cvt_pkrtz_f16_f32 v19, v40, v41
	v_cvt_pk_f32_fp8_e32 v[34:35], v13
	v_cvt_pk_f32_fp8_sdwa v[38:39], v13 src0_sel:WORD_1
	v_mfma_f32_16x16x16_f16 v[10:13], v[36:37], v[20:21], v[26:29]
	v_cvt_pkrtz_f16_f32 v20, v34, v35
	v_cvt_pkrtz_f16_f32 v21, v38, v39
	v_mfma_f32_16x16x16_f16 v[10:13], v[18:19], v[42:43], v[10:13]
	s_waitcnt vmcnt(1)
	v_cvt_pk_f32_fp8_e32 v[18:19], v22
	v_cvt_pk_f32_fp8_sdwa v[26:27], v22 src0_sel:WORD_1
	v_cvt_pk_f32_fp8_sdwa v[28:29], v24 src0_sel:WORD_1
	v_mfma_f32_16x16x16_f16 v[10:13], v[20:21], v[44:45], v[10:13]
	v_cvt_pk_f32_fp8_e32 v[20:21], v23
	v_cvt_pkrtz_f16_f32 v18, v18, v19
	v_cvt_pkrtz_f16_f32 v19, v26, v27
	v_cvt_pk_f32_fp8_sdwa v[22:23], v23 src0_sel:WORD_1
	v_cvt_pkrtz_f16_f32 v20, v20, v21
	v_cvt_pk_f32_fp8_e32 v[26:27], v24
	v_mfma_f32_16x16x16_f16 v[10:13], v[18:19], v[2:3], v[10:13]
	v_cvt_pkrtz_f16_f32 v21, v22, v23
	v_cvt_pkrtz_f16_f32 v18, v26, v27
	;; [unrolled: 1-line block ×3, first 2 shown]
	v_cvt_pk_f32_fp8_e32 v[22:23], v25
	v_cvt_pk_f32_fp8_sdwa v[24:25], v25 src0_sel:WORD_1
	v_mfma_f32_16x16x16_f16 v[2:5], v[20:21], v[4:5], v[10:13]
	s_waitcnt vmcnt(0)
	v_cvt_pk_f32_fp8_sdwa v[20:21], v8 src0_sel:WORD_1
	s_nop 0
	v_cvt_pkrtz_f16_f32 v12, v22, v23
	v_cvt_pkrtz_f16_f32 v13, v24, v25
	v_pk_mul_f32 v[10:11], v[16:17], s[4:5] op_sel_hi:[1,0]
	v_mfma_f32_16x16x16_f16 v[2:5], v[18:19], v[46:47], v[2:5]
	v_cvt_pk_f32_fp8_e32 v[16:17], v6
	v_cvt_pk_f32_fp8_sdwa v[18:19], v6 src0_sel:WORD_1
	v_cvt_pkrtz_f16_f32 v16, v16, v17
	v_mfma_f32_16x16x16_f16 v[2:5], v[12:13], v[48:49], v[2:5]
	v_cvt_pk_f32_fp8_e32 v[12:13], v7
	v_cvt_pkrtz_f16_f32 v17, v18, v19
	v_cvt_pk_f32_fp8_sdwa v[6:7], v7 src0_sel:WORD_1
	v_cvt_pk_f32_fp8_e32 v[18:19], v8
	v_cvt_pkrtz_f16_f32 v12, v12, v13
	v_mfma_f32_16x16x16_f16 v[2:5], v[16:17], v[30:31], v[2:5]
	v_cvt_pkrtz_f16_f32 v13, v6, v7
	v_cvt_pkrtz_f16_f32 v6, v18, v19
	;; [unrolled: 1-line block ×3, first 2 shown]
	v_cvt_pk_f32_fp8_e32 v[16:17], v9
	v_cvt_pk_f32_fp8_sdwa v[8:9], v9 src0_sel:WORD_1
	v_mfma_f32_16x16x16_f16 v[2:5], v[12:13], v[32:33], v[2:5]
	v_cvt_pkrtz_f16_f32 v12, v16, v17
	v_cvt_pkrtz_f16_f32 v13, v8, v9
	v_mfma_f32_16x16x16_f16 v[2:5], v[6:7], v[50:51], v[2:5]
	v_cvt_f16_f32_e32 v6, v15
	v_cvt_f16_f32_e32 v7, v10
	;; [unrolled: 1-line block ×3, first 2 shown]
	v_mfma_f32_16x16x16_f16 v[2:5], v[12:13], v[52:53], v[2:5]
	s_nop 6
	v_pk_mul_f32 v[4:5], v[4:5], s[4:5] op_sel_hi:[1,0]
	v_pk_mul_f32 v[2:3], v[2:3], s[4:5] op_sel_hi:[1,0]
	v_cvt_f16_f32_e32 v11, v4
	v_cvt_f16_f32_e32 v9, v2
	;; [unrolled: 1-line block ×4, first 2 shown]
	v_pack_b32_f16 v2, v14, v6
	v_pack_b32_f16 v3, v7, v8
	;; [unrolled: 1-line block ×4, first 2 shown]
	ds_write2st64_b64 v56, v[2:3], v[4:5] offset1:1
	s_waitcnt lgkmcnt(0)
	s_barrier
	s_and_saveexec_b64 s[4:5], vcc
	s_cbranch_execz .LBB1023_17
; %bb.16:
	s_load_dwordx2 s[0:1], s[0:1], 0x68
	s_lshl_b32 s6, s6, 7
	s_mul_i32 s2, s7, s2
	s_mul_hi_u32 s5, s2, s6
	s_mul_i32 s4, s2, s6
	s_lshl_b64 s[4:5], s[4:5], 1
	s_waitcnt lgkmcnt(0)
	s_add_u32 s4, s0, s4
	v_lshlrev_b32_e32 v4, 6, v64
	s_addc_u32 s5, s1, s5
	s_lshl_b32 s2, s33, 7
	v_lshl_or_b32 v0, v0, 10, v4
	s_lshl_b64 s[0:1], s[2:3], 1
	v_lshlrev_b32_e32 v2, 5, v1
	v_and_b32_e32 v3, 16, v65
	v_and_b32_e32 v0, 0x1a00, v0
	s_add_u32 s0, s4, s0
	v_or3_b32 v0, v0, v2, v3
	s_addc_u32 s1, s5, s1
	v_mov_b32_e32 v55, 0
	v_or_b32_e32 v20, s44, v1
	ds_read_b128 v[2:5], v0
	ds_read_b128 v[6:9], v0 offset:128
	ds_read_b128 v[10:13], v0 offset:256
	;; [unrolled: 1-line block ×3, first 2 shown]
	v_lshl_add_u64 v[18:19], s[0:1], 0, v[54:55]
	v_mad_u64_u32 v[0:1], s[0:1], v20, s6, 0
	v_lshl_add_u64 v[0:1], v[0:1], 1, v[18:19]
	s_waitcnt lgkmcnt(3)
	global_store_dwordx4 v[0:1], v[2:5], off
	v_or_b32_e32 v0, 4, v20
	v_mad_u64_u32 v[0:1], s[0:1], v0, s6, 0
	v_lshl_add_u64 v[0:1], v[0:1], 1, v[18:19]
	s_waitcnt lgkmcnt(2)
	global_store_dwordx4 v[0:1], v[6:9], off
	v_or_b32_e32 v0, 8, v20
	;; [unrolled: 5-line block ×3, first 2 shown]
	v_mad_u64_u32 v[0:1], s[0:1], v0, s6, 0
	v_lshl_add_u64 v[0:1], v[0:1], 1, v[18:19]
	s_waitcnt lgkmcnt(0)
	global_store_dwordx4 v[0:1], v[14:17], off
.LBB1023_17:
	s_endpgm
	.section	.rodata,"a",@progbits
	.p2align	6, 0x0
	.amdhsa_kernel _Z39paged_attention_ll4mi_QKV_mfma16_kernelIDF16_hLN4vllm18Fp8KVCacheDataTypeE1EhLi32ELi128ELi256ELb1ELi16EEvPKT_PKT0_S7_ifPKiS9_S9_iPKfiiiPfSC_PS2_PT2_iSB_SB_
		.amdhsa_group_segment_fixed_size 8192
		.amdhsa_private_segment_fixed_size 0
		.amdhsa_kernarg_size 400
		.amdhsa_user_sgpr_count 2
		.amdhsa_user_sgpr_dispatch_ptr 0
		.amdhsa_user_sgpr_queue_ptr 0
		.amdhsa_user_sgpr_kernarg_segment_ptr 1
		.amdhsa_user_sgpr_dispatch_id 0
		.amdhsa_user_sgpr_kernarg_preload_length 0
		.amdhsa_user_sgpr_kernarg_preload_offset 0
		.amdhsa_user_sgpr_private_segment_size 0
		.amdhsa_uses_dynamic_stack 0
		.amdhsa_enable_private_segment 0
		.amdhsa_system_sgpr_workgroup_id_x 1
		.amdhsa_system_sgpr_workgroup_id_y 1
		.amdhsa_system_sgpr_workgroup_id_z 1
		.amdhsa_system_sgpr_workgroup_info 0
		.amdhsa_system_vgpr_workitem_id 0
		.amdhsa_next_free_vgpr 84
		.amdhsa_next_free_sgpr 45
		.amdhsa_accum_offset 84
		.amdhsa_reserve_vcc 1
		.amdhsa_float_round_mode_32 0
		.amdhsa_float_round_mode_16_64 0
		.amdhsa_float_denorm_mode_32 3
		.amdhsa_float_denorm_mode_16_64 3
		.amdhsa_dx10_clamp 1
		.amdhsa_ieee_mode 1
		.amdhsa_fp16_overflow 0
		.amdhsa_tg_split 0
		.amdhsa_exception_fp_ieee_invalid_op 0
		.amdhsa_exception_fp_denorm_src 0
		.amdhsa_exception_fp_ieee_div_zero 0
		.amdhsa_exception_fp_ieee_overflow 0
		.amdhsa_exception_fp_ieee_underflow 0
		.amdhsa_exception_fp_ieee_inexact 0
		.amdhsa_exception_int_div_zero 0
	.end_amdhsa_kernel
	.section	.text._Z39paged_attention_ll4mi_QKV_mfma16_kernelIDF16_hLN4vllm18Fp8KVCacheDataTypeE1EhLi32ELi128ELi256ELb1ELi16EEvPKT_PKT0_S7_ifPKiS9_S9_iPKfiiiPfSC_PS2_PT2_iSB_SB_,"axG",@progbits,_Z39paged_attention_ll4mi_QKV_mfma16_kernelIDF16_hLN4vllm18Fp8KVCacheDataTypeE1EhLi32ELi128ELi256ELb1ELi16EEvPKT_PKT0_S7_ifPKiS9_S9_iPKfiiiPfSC_PS2_PT2_iSB_SB_,comdat
.Lfunc_end1023:
	.size	_Z39paged_attention_ll4mi_QKV_mfma16_kernelIDF16_hLN4vllm18Fp8KVCacheDataTypeE1EhLi32ELi128ELi256ELb1ELi16EEvPKT_PKT0_S7_ifPKiS9_S9_iPKfiiiPfSC_PS2_PT2_iSB_SB_, .Lfunc_end1023-_Z39paged_attention_ll4mi_QKV_mfma16_kernelIDF16_hLN4vllm18Fp8KVCacheDataTypeE1EhLi32ELi128ELi256ELb1ELi16EEvPKT_PKT0_S7_ifPKiS9_S9_iPKfiiiPfSC_PS2_PT2_iSB_SB_
                                        ; -- End function
	.section	.AMDGPU.csdata,"",@progbits
; Kernel info:
; codeLenInByte = 6336
; NumSgprs: 51
; NumVgprs: 84
; NumAgprs: 0
; TotalNumVgprs: 84
; ScratchSize: 0
; MemoryBound: 0
; FloatMode: 240
; IeeeMode: 1
; LDSByteSize: 8192 bytes/workgroup (compile time only)
; SGPRBlocks: 6
; VGPRBlocks: 10
; NumSGPRsForWavesPerEU: 51
; NumVGPRsForWavesPerEU: 84
; AccumOffset: 84
; Occupancy: 5
; WaveLimiterHint : 1
; COMPUTE_PGM_RSRC2:SCRATCH_EN: 0
; COMPUTE_PGM_RSRC2:USER_SGPR: 2
; COMPUTE_PGM_RSRC2:TRAP_HANDLER: 0
; COMPUTE_PGM_RSRC2:TGID_X_EN: 1
; COMPUTE_PGM_RSRC2:TGID_Y_EN: 1
; COMPUTE_PGM_RSRC2:TGID_Z_EN: 1
; COMPUTE_PGM_RSRC2:TIDIG_COMP_CNT: 0
; COMPUTE_PGM_RSRC3_GFX90A:ACCUM_OFFSET: 20
; COMPUTE_PGM_RSRC3_GFX90A:TG_SPLIT: 0
	.section	.text._Z39paged_attention_ll4mi_QKV_mfma16_kernelIDF16_hLN4vllm18Fp8KVCacheDataTypeE1EhLi32ELi128ELi256ELb1ELi1EEvPKT_PKT0_S7_ifPKiS9_S9_iPKfiiiPfSC_PS2_PT2_iSB_SB_,"axG",@progbits,_Z39paged_attention_ll4mi_QKV_mfma16_kernelIDF16_hLN4vllm18Fp8KVCacheDataTypeE1EhLi32ELi128ELi256ELb1ELi1EEvPKT_PKT0_S7_ifPKiS9_S9_iPKfiiiPfSC_PS2_PT2_iSB_SB_,comdat
	.protected	_Z39paged_attention_ll4mi_QKV_mfma16_kernelIDF16_hLN4vllm18Fp8KVCacheDataTypeE1EhLi32ELi128ELi256ELb1ELi1EEvPKT_PKT0_S7_ifPKiS9_S9_iPKfiiiPfSC_PS2_PT2_iSB_SB_ ; -- Begin function _Z39paged_attention_ll4mi_QKV_mfma16_kernelIDF16_hLN4vllm18Fp8KVCacheDataTypeE1EhLi32ELi128ELi256ELb1ELi1EEvPKT_PKT0_S7_ifPKiS9_S9_iPKfiiiPfSC_PS2_PT2_iSB_SB_
	.globl	_Z39paged_attention_ll4mi_QKV_mfma16_kernelIDF16_hLN4vllm18Fp8KVCacheDataTypeE1EhLi32ELi128ELi256ELb1ELi1EEvPKT_PKT0_S7_ifPKiS9_S9_iPKfiiiPfSC_PS2_PT2_iSB_SB_
	.p2align	8
	.type	_Z39paged_attention_ll4mi_QKV_mfma16_kernelIDF16_hLN4vllm18Fp8KVCacheDataTypeE1EhLi32ELi128ELi256ELb1ELi1EEvPKT_PKT0_S7_ifPKiS9_S9_iPKfiiiPfSC_PS2_PT2_iSB_SB_,@function
_Z39paged_attention_ll4mi_QKV_mfma16_kernelIDF16_hLN4vllm18Fp8KVCacheDataTypeE1EhLi32ELi128ELi256ELb1ELi1EEvPKT_PKT0_S7_ifPKiS9_S9_iPKfiiiPfSC_PS2_PT2_iSB_SB_: ; @_Z39paged_attention_ll4mi_QKV_mfma16_kernelIDF16_hLN4vllm18Fp8KVCacheDataTypeE1EhLi32ELi128ELi256ELb1ELi1EEvPKT_PKT0_S7_ifPKiS9_S9_iPKfiiiPfSC_PS2_PT2_iSB_SB_
; %bb.0:
	s_load_dwordx2 s[8:9], s[0:1], 0x30
	s_mov_b32 s33, s3
	s_mov_b64 s[6:7], 0
	s_waitcnt lgkmcnt(0)
	s_cmp_lg_u64 s[8:9], 0
	s_cselect_b64 s[10:11], -1, 0
	s_and_b64 vcc, exec, s[10:11]
	s_cbranch_vccz .LBB1024_7
; %bb.1:
	s_add_i32 s12, s2, 1
	s_mov_b32 s13, 0
	s_lshl_b64 s[14:15], s[12:13], 2
	s_add_u32 s14, s8, s14
	s_mov_b32 s3, s13
	s_addc_u32 s15, s9, s15
	s_lshl_b64 s[12:13], s[2:3], 2
	s_add_u32 s12, s8, s12
	s_addc_u32 s13, s9, s13
	s_load_dword s5, s[14:15], 0x0
	s_load_dword s16, s[12:13], 0x0
	s_waitcnt lgkmcnt(0)
	s_sub_i32 s5, s5, s16
	s_cmp_eq_u32 s5, 1
	s_cselect_b64 s[12:13], -1, 0
	s_andn2_b64 vcc, exec, s[6:7]
	s_cbranch_vccnz .LBB1024_3
.LBB1024_2:
	s_mov_b32 s3, 0
	s_mov_b64 s[12:13], -1
.LBB1024_3:
	s_andn2_b64 vcc, exec, s[12:13]
	s_cbranch_vccnz .LBB1024_19
; %bb.4:
	s_load_dwordx2 s[6:7], s[0:1], 0x28
	s_lshl_b64 s[12:13], s[2:3], 2
	s_waitcnt lgkmcnt(0)
	s_add_u32 s6, s6, s12
	s_addc_u32 s7, s7, s13
	s_load_dword s38, s[6:7], 0x0
	s_lshl_b32 s16, s33, 8
	s_waitcnt lgkmcnt(0)
	s_cmp_ge_i32 s16, s38
	s_cbranch_scc1 .LBB1024_19
; %bb.5:
	s_load_dwordx2 s[6:7], s[0:1], 0x20
	s_load_dword s5, s[0:1], 0x38
	s_add_i32 s14, s38, 31
	s_ashr_i32 s15, s14, 31
	v_and_b32_e32 v1, 0xcf, v0
	s_lshr_b32 s15, s15, 27
	v_add_u32_e32 v1, s16, v1
	s_add_i32 s14, s14, s15
	v_ashrrev_i32_e32 v2, 31, v1
	s_ashr_i32 s17, s14, 5
	v_lshrrev_b32_e32 v4, 27, v2
	s_add_i32 s17, s17, -1
	s_waitcnt lgkmcnt(0)
	s_mul_i32 s14, s2, s5
	s_mov_b32 s15, 0
	v_add_u32_e32 v2, v1, v4
	s_lshl_b64 s[14:15], s[14:15], 2
	v_ashrrev_i32_e32 v2, 5, v2
	v_mov_b32_e32 v5, s17
	v_cmp_gt_i32_e32 vcc, s38, v1
	s_add_u32 s6, s6, s14
	s_addc_u32 s7, s7, s15
	v_cndmask_b32_e32 v2, v5, v2, vcc
	v_ashrrev_i32_e32 v3, 31, v2
	v_lshl_add_u64 v[6:7], v[2:3], 2, s[6:7]
	v_or_b32_e32 v2, 16, v1
	v_add_u32_e32 v3, v2, v4
	v_ashrrev_i32_e32 v3, 5, v3
	v_cmp_gt_i32_e32 vcc, s38, v2
	s_load_dwordx2 s[14:15], s[0:1], 0x8
	s_nop 0
	v_cndmask_b32_e32 v2, v5, v3, vcc
	v_ashrrev_i32_e32 v3, 31, v2
	v_lshl_add_u64 v[8:9], v[2:3], 2, s[6:7]
	v_or_b32_e32 v2, 32, v1
	v_add_u32_e32 v3, v2, v4
	v_ashrrev_i32_e32 v3, 5, v3
	v_cmp_gt_i32_e32 vcc, s38, v2
	v_or_b32_e32 v1, 48, v1
	s_nop 0
	v_cndmask_b32_e32 v2, v5, v3, vcc
	v_ashrrev_i32_e32 v3, 31, v2
	v_lshl_add_u64 v[10:11], v[2:3], 2, s[6:7]
	v_add_u32_e32 v2, v1, v4
	v_ashrrev_i32_e32 v2, 5, v2
	v_cmp_gt_i32_e32 vcc, s38, v1
	s_nop 1
	v_cndmask_b32_e32 v2, v5, v2, vcc
	v_ashrrev_i32_e32 v3, 31, v2
	v_lshl_add_u64 v[12:13], v[2:3], 2, s[6:7]
	global_load_dword v5, v[6:7], off
	global_load_dword v4, v[8:9], off
	;; [unrolled: 1-line block ×4, first 2 shown]
	s_andn2_b64 vcc, exec, s[10:11]
	s_cbranch_vccnz .LBB1024_8
; %bb.6:
	s_add_u32 s8, s8, s12
	s_addc_u32 s9, s9, s13
	s_load_dword s5, s[8:9], 0x0
	s_branch .LBB1024_9
.LBB1024_7:
	s_mov_b64 s[12:13], 0
	s_branch .LBB1024_2
.LBB1024_8:
	s_mov_b32 s5, s2
.LBB1024_9:
	s_load_dwordx2 s[8:9], s[0:1], 0x10
	s_load_dwordx4 s[44:47], s[0:1], 0x48
	v_lshrrev_b32_e32 v59, 6, v0
	v_bfe_u32 v56, v0, 4, 2
	v_and_b32_e32 v57, 15, v0
	v_lshl_or_b32 v1, v59, 2, v56
	v_lshlrev_b32_e32 v6, 3, v57
	v_cmp_eq_u32_e32 vcc, 0, v1
	v_lshlrev_b32_e32 v1, 1, v6
	v_lshlrev_b32_e32 v58, 4, v0
	s_and_saveexec_b64 s[10:11], vcc
	s_cbranch_execz .LBB1024_11
; %bb.10:
	s_load_dwordx2 s[12:13], s[0:1], 0x0
	s_waitcnt lgkmcnt(0)
	s_ashr_i32 s18, s44, 31
	s_mul_hi_u32 s19, s5, s44
	s_mul_i32 s18, s5, s18
	s_add_i32 s19, s19, s18
	s_mul_i32 s18, s5, s44
	s_lshl_b64 s[18:19], s[18:19], 1
	s_add_u32 s5, s12, s18
	s_addc_u32 s18, s13, s19
	s_lshl_b32 s12, s4, 7
	s_ashr_i32 s13, s12, 31
	s_lshl_b64 s[12:13], s[12:13], 1
	s_add_u32 s12, s5, s12
	s_addc_u32 s13, s18, s13
	global_load_dwordx4 v[6:9], v1, s[12:13]
	v_lshlrev_b32_e32 v10, 8, v0
	v_lshlrev_b32_e32 v11, 8, v57
	v_and_b32_e32 v10, 0x600, v10
	v_and_b32_e32 v11, 0x800, v11
	;; [unrolled: 1-line block ×3, first 2 shown]
	v_or3_b32 v10, v11, v10, v12
	s_waitcnt vmcnt(0)
	ds_write_b128 v10, v[6:9]
.LBB1024_11:
	s_or_b64 exec, exec, s[10:11]
	s_waitcnt lgkmcnt(0)
	s_mul_i32 s12, s4, s46
	s_add_u32 s10, s14, s12
	s_addc_u32 s11, s15, 0
	v_mov_b32_e32 v51, 0
	v_mov_b64_e32 v[10:11], s[10:11]
	v_lshlrev_b32_e32 v8, 4, v57
	v_and_b32_e32 v52, 48, v0
	s_waitcnt vmcnt(3)
	v_mad_i64_i32 v[6:7], s[10:11], v5, s45, v[10:11]
	v_mov_b32_e32 v9, v51
	s_waitcnt vmcnt(2)
	v_mad_i64_i32 v[4:5], s[10:11], v4, s45, v[10:11]
	v_or_b32_e32 v12, 0x100, v8
	v_mov_b32_e32 v13, v51
	v_lshlrev_b32_e32 v50, 5, v52
	v_lshl_add_u64 v[6:7], v[6:7], 0, v[8:9]
	v_lshl_add_u64 v[4:5], v[4:5], 0, v[12:13]
	v_lshl_add_u64 v[6:7], v[6:7], 0, v[50:51]
	v_lshl_add_u64 v[4:5], v[4:5], 0, v[50:51]
	s_barrier
	global_load_dwordx4 v[46:49], v[6:7], off
	global_load_dwordx4 v[42:45], v[6:7], off offset:2048
	global_load_dwordx4 v[38:41], v[4:5], off
	global_load_dwordx4 v[14:17], v[4:5], off offset:2048
	s_waitcnt vmcnt(5)
	v_mad_i64_i32 v[4:5], s[10:11], v3, s45, v[10:11]
	s_waitcnt vmcnt(4)
	v_mad_i64_i32 v[2:3], s[10:11], v2, s45, v[10:11]
	v_lshl_add_u64 v[4:5], v[4:5], 0, v[8:9]
	v_lshl_add_u64 v[2:3], v[2:3], 0, v[12:13]
	;; [unrolled: 1-line block ×4, first 2 shown]
	global_load_dwordx4 v[6:9], v[4:5], off
	global_load_dwordx4 v[34:37], v[4:5], off offset:2048
	global_load_dwordx4 v[10:13], v[2:3], off
	global_load_dwordx4 v[22:25], v[2:3], off offset:2048
	v_lshlrev_b32_e32 v18, 9, v56
	ds_read_b128 v[30:33], v18
	ds_read_b128 v[2:5], v18 offset:16
	ds_read_b128 v[26:29], v18 offset:2048
	;; [unrolled: 1-line block ×3, first 2 shown]
	v_and_b32_e32 v60, 63, v0
	v_cmp_eq_u32_e32 vcc, 0, v57
	v_mov_b32_e32 v61, 0
	s_and_saveexec_b64 s[10:11], vcc
	s_cbranch_execz .LBB1024_13
; %bb.12:
	s_load_dwordx2 s[14:15], s[0:1], 0x40
	s_ashr_i32 s5, s4, 31
	s_lshl_b64 s[18:19], s[4:5], 2
	s_waitcnt lgkmcnt(0)
	s_add_u32 s14, s14, s18
	s_addc_u32 s15, s15, s19
	s_load_dword s5, s[14:15], 0x0
	s_waitcnt lgkmcnt(0)
	v_mov_b32_e32 v61, s5
.LBB1024_13:
	s_or_b64 exec, exec, s[10:11]
	s_ashr_i32 s10, s16, 31
	v_or_b32_e32 v50, s16, v52
	s_lshr_b32 s10, s10, 27
	v_add_u32_e32 v52, s10, v50
	v_or_b32_e32 v54, 64, v50
	v_ashrrev_i32_e32 v52, 5, v52
	v_mov_b32_e32 v66, s17
	v_cmp_gt_i32_e32 vcc, s38, v50
	v_add_u32_e32 v55, s10, v54
	v_or_b32_e32 v62, 0x80, v50
	v_cndmask_b32_e32 v52, v66, v52, vcc
	v_ashrrev_i32_e32 v55, 5, v55
	v_cmp_gt_i32_e32 vcc, s38, v54
	v_add_u32_e32 v63, s10, v62
	v_ashrrev_i32_e32 v63, 5, v63
	v_cndmask_b32_e32 v54, v66, v55, vcc
	v_cmp_gt_i32_e32 vcc, s38, v62
	s_waitcnt vmcnt(7)
	v_cvt_pk_f32_fp8_sdwa v[64:65], v46 src0_sel:WORD_1
	v_or_b32_e32 v50, 0xc0, v50
	v_cndmask_b32_e32 v62, v66, v63, vcc
	v_ashrrev_i32_e32 v63, 31, v62
	v_lshl_add_u64 v[72:73], v[62:63], 2, s[6:7]
	v_cvt_pk_f32_fp8_e32 v[62:63], v46
	v_add_u32_e32 v46, s10, v50
	v_ashrrev_i32_e32 v67, 5, v46
	v_cmp_gt_i32_e32 vcc, s38, v50
	v_cvt_pkrtz_f16_f32 v62, v62, v63
	v_cvt_pkrtz_f16_f32 v63, v64, v65
	v_cvt_pk_f32_fp8_e32 v[64:65], v47
	v_cvt_pk_f32_fp8_sdwa v[46:47], v47 src0_sel:WORD_1
	v_ashrrev_i32_e32 v53, 31, v52
	v_cndmask_b32_e32 v66, v66, v67, vcc
	v_cvt_pkrtz_f16_f32 v68, v64, v65
	v_cvt_pkrtz_f16_f32 v69, v46, v47
	s_waitcnt lgkmcnt(3)
	v_mfma_f32_16x16x16_f16 v[62:65], v[62:63], v[30:31], 0
	v_lshl_add_u64 v[52:53], v[52:53], 2, s[6:7]
	v_ashrrev_i32_e32 v55, 31, v54
	v_ashrrev_i32_e32 v67, 31, v66
	s_load_dword s5, s[0:1], 0x1c
	s_load_dwordx4 s[40:43], s[0:1], 0x80
	v_lshl_add_u64 v[54:55], v[54:55], 2, s[6:7]
	v_lshl_add_u64 v[76:77], v[66:67], 2, s[6:7]
	v_mfma_f32_16x16x16_f16 v[68:71], v[68:69], v[32:33], v[62:65]
	s_nop 2
	global_load_dword v65, v[52:53], off
	global_load_dword v66, v[54:55], off
	;; [unrolled: 1-line block ×4, first 2 shown]
	v_cvt_pk_f32_fp8_e32 v[46:47], v48
	v_cvt_pk_f32_fp8_sdwa v[74:75], v48 src0_sel:WORD_1
	s_waitcnt vmcnt(10)
	v_cvt_pk_f32_fp8_e32 v[54:55], v42
	s_add_u32 s6, s8, s12
	v_cvt_pkrtz_f16_f32 v46, v46, v47
	v_cvt_pkrtz_f16_f32 v47, v74, v75
	v_cvt_pk_f32_fp8_e32 v[74:75], v49
	v_cvt_pk_f32_fp8_sdwa v[48:49], v49 src0_sel:WORD_1
	v_cvt_pkrtz_f16_f32 v54, v54, v55
	s_addc_u32 s7, s9, 0
	v_cvt_pkrtz_f16_f32 v52, v74, v75
	v_cvt_pkrtz_f16_f32 v53, v48, v49
	s_waitcnt lgkmcnt(0)
	v_mfma_f32_16x16x16_f16 v[46:49], v[46:47], v[2:3], v[68:71]
	v_and_b32_e32 v50, 16, v0
	v_lshl_or_b32 v62, v59, 4, v57
	s_waitcnt vmcnt(7)
	v_cvt_pk_f32_fp8_sdwa v[76:77], v9 src0_sel:WORD_1
	v_cvt_pk_f32_fp8_sdwa v[68:69], v42 src0_sel:WORD_1
	v_mfma_f32_16x16x16_f16 v[46:49], v[52:53], v[4:5], v[46:49]
	v_cvt_pk_f32_fp8_e32 v[52:53], v43
	v_cvt_pk_f32_fp8_sdwa v[42:43], v43 src0_sel:WORD_1
	v_cvt_pkrtz_f16_f32 v55, v68, v69
	v_cvt_pk_f32_fp8_e32 v[68:69], v44
	v_cvt_pkrtz_f16_f32 v52, v52, v53
	v_cvt_pk_f32_fp8_sdwa v[70:71], v44 src0_sel:WORD_1
	v_cvt_pkrtz_f16_f32 v53, v42, v43
	v_mfma_f32_16x16x16_f16 v[46:49], v[54:55], v[26:27], v[46:49]
	v_cvt_pkrtz_f16_f32 v54, v68, v69
	v_cvt_pkrtz_f16_f32 v55, v70, v71
	v_cvt_pk_f32_fp8_e32 v[68:69], v45
	v_cvt_pk_f32_fp8_sdwa v[70:71], v45 src0_sel:WORD_1
	v_mfma_f32_16x16x16_f16 v[42:45], v[52:53], v[28:29], v[46:49]
	v_cvt_pk_f32_fp8_sdwa v[52:53], v38 src0_sel:WORD_1
	s_nop 1
	v_cvt_pkrtz_f16_f32 v46, v68, v69
	v_cvt_pkrtz_f16_f32 v47, v70, v71
	v_mfma_f32_16x16x16_f16 v[42:45], v[54:55], v[18:19], v[42:45]
	v_cvt_pk_f32_fp8_e32 v[48:49], v38
	v_cvt_pk_f32_fp8_e32 v[54:55], v40
	v_cvt_pk_f32_fp8_sdwa v[68:69], v40 src0_sel:WORD_1
	v_mfma_f32_16x16x16_f16 v[42:45], v[46:47], v[20:21], v[42:45]
	v_cvt_pk_f32_fp8_e32 v[46:47], v39
	v_cvt_pkrtz_f16_f32 v48, v48, v49
	v_cvt_pkrtz_f16_f32 v49, v52, v53
	v_cvt_pk_f32_fp8_sdwa v[38:39], v39 src0_sel:WORD_1
	v_cvt_pkrtz_f16_f32 v52, v46, v47
	v_mfma_f32_16x16x16_f16 v[46:49], v[48:49], v[30:31], 0
	v_cvt_pkrtz_f16_f32 v53, v38, v39
	v_cvt_pkrtz_f16_f32 v54, v54, v55
	;; [unrolled: 1-line block ×3, first 2 shown]
	v_cvt_pk_f32_fp8_e32 v[68:69], v41
	v_cvt_pk_f32_fp8_sdwa v[70:71], v41 src0_sel:WORD_1
	v_mfma_f32_16x16x16_f16 v[38:41], v[52:53], v[32:33], v[46:49]
	v_cvt_pk_f32_fp8_e32 v[52:53], v14
	v_cvt_pkrtz_f16_f32 v52, v52, v53
	s_nop 0
	v_cvt_pkrtz_f16_f32 v48, v68, v69
	v_cvt_pkrtz_f16_f32 v49, v70, v71
	v_mfma_f32_16x16x16_f16 v[38:41], v[54:55], v[2:3], v[38:41]
	v_cvt_pk_f32_fp8_sdwa v[54:55], v14 src0_sel:WORD_1
	v_cvt_pk_f32_fp8_sdwa v[68:69], v16 src0_sel:WORD_1
	v_lshl_add_u64 v[46:47], s[6:7], 0, v[50:51]
	v_mfma_f32_16x16x16_f16 v[38:41], v[48:49], v[4:5], v[38:41]
	v_cvt_pk_f32_fp8_e32 v[48:49], v15
	v_cvt_pkrtz_f16_f32 v53, v54, v55
	v_cvt_pk_f32_fp8_sdwa v[14:15], v15 src0_sel:WORD_1
	v_cvt_pk_f32_fp8_e32 v[54:55], v16
	v_cvt_pkrtz_f16_f32 v48, v48, v49
	v_mfma_f32_16x16x16_f16 v[38:41], v[52:53], v[26:27], v[38:41]
	v_cvt_pkrtz_f16_f32 v49, v14, v15
	v_cvt_pkrtz_f16_f32 v52, v54, v55
	;; [unrolled: 1-line block ×3, first 2 shown]
	v_cvt_pk_f32_fp8_e32 v[54:55], v17
	v_cvt_pk_f32_fp8_sdwa v[68:69], v17 src0_sel:WORD_1
	v_mfma_f32_16x16x16_f16 v[14:17], v[48:49], v[28:29], v[38:41]
	v_cvt_pk_f32_fp8_e32 v[48:49], v6
	v_lshlrev_b32_e32 v50, 5, v62
	v_lshl_add_u64 v[72:73], v[46:47], 0, v[50:51]
	v_cvt_pkrtz_f16_f32 v38, v54, v55
	v_cvt_pkrtz_f16_f32 v39, v68, v69
	v_mfma_f32_16x16x16_f16 v[14:17], v[52:53], v[18:19], v[14:17]
	v_cvt_pk_f32_fp8_sdwa v[52:53], v6 src0_sel:WORD_1
	v_cvt_pk_f32_fp8_sdwa v[68:69], v8 src0_sel:WORD_1
	s_waitcnt vmcnt(2)
	v_mad_i64_i32 v[70:71], s[6:7], v66, s45, v[72:73]
	v_mfma_f32_16x16x16_f16 v[38:41], v[38:39], v[20:21], v[14:17]
	v_cvt_pkrtz_f16_f32 v75, v68, v69
	v_cvt_pk_f32_fp8_e32 v[68:69], v9
	v_or_b32_e32 v50, 0x800, v50
	v_cvt_pkrtz_f16_f32 v14, v48, v49
	v_cvt_pkrtz_f16_f32 v15, v52, v53
	v_cvt_pk_f32_fp8_e32 v[16:17], v7
	v_cvt_pk_f32_fp8_sdwa v[6:7], v7 src0_sel:WORD_1
	v_mad_i64_i32 v[48:49], s[6:7], v65, s45, v[72:73]
	v_cvt_pkrtz_f16_f32 v52, v16, v17
	v_cvt_pkrtz_f16_f32 v53, v6, v7
	v_cvt_pk_f32_fp8_e32 v[6:7], v8
	v_mfma_f32_16x16x16_f16 v[14:17], v[14:15], v[30:31], 0
	v_lshl_add_u64 v[46:47], v[46:47], 0, v[50:51]
	v_cvt_pkrtz_f16_f32 v74, v6, v7
	v_mfma_f32_16x16x16_f16 v[52:55], v[52:53], v[32:33], v[14:17]
	s_nop 3
	global_load_dwordx4 v[14:17], v[48:49], off
	global_load_dwordx4 v[6:9], v[70:71], off
	v_cvt_pkrtz_f16_f32 v48, v68, v69
	v_cvt_pkrtz_f16_f32 v49, v76, v77
	v_mfma_f32_16x16x16_f16 v[68:71], v[74:75], v[2:3], v[52:55]
	v_cvt_pk_f32_fp8_e32 v[74:75], v35
	v_cvt_pk_f32_fp8_sdwa v[76:77], v37 src0_sel:WORD_1
	s_waitcnt vmcnt(3)
	v_mad_i64_i32 v[52:53], s[6:7], v63, s45, v[72:73]
	s_waitcnt vmcnt(2)
	v_mad_i64_i32 v[54:55], s[6:7], v64, s45, v[72:73]
	v_mfma_f32_16x16x16_f16 v[68:71], v[48:49], v[4:5], v[68:71]
	v_cvt_pk_f32_fp8_e32 v[48:49], v34
	v_cvt_pk_f32_fp8_sdwa v[72:73], v34 src0_sel:WORD_1
	v_cvt_pk_f32_fp8_sdwa v[34:35], v35 src0_sel:WORD_1
	v_cvt_pkrtz_f16_f32 v51, v76, v77
	v_cvt_pkrtz_f16_f32 v48, v48, v49
	;; [unrolled: 1-line block ×5, first 2 shown]
	v_cvt_pk_f32_fp8_e32 v[34:35], v36
	v_cvt_pk_f32_fp8_sdwa v[74:75], v36 src0_sel:WORD_1
	v_mfma_f32_16x16x16_f16 v[68:71], v[48:49], v[26:27], v[68:71]
	s_load_dword s6, s[40:41], 0x0
	v_cvt_pkrtz_f16_f32 v48, v34, v35
	v_cvt_pkrtz_f16_f32 v49, v74, v75
	v_cvt_pk_f32_fp8_e32 v[74:75], v37
	v_mfma_f32_16x16x16_f16 v[34:37], v[72:73], v[28:29], v[68:71]
	v_cvt_pk_f32_fp8_sdwa v[72:73], v12 src0_sel:WORD_1
	v_cvt_pkrtz_f16_f32 v50, v74, v75
	v_mfma_f32_16x16x16_f16 v[34:37], v[48:49], v[18:19], v[34:37]
	v_cvt_pk_f32_fp8_e32 v[48:49], v10
	v_cvt_pk_f32_fp8_sdwa v[68:69], v10 src0_sel:WORD_1
	v_cvt_pk_f32_fp8_e32 v[70:71], v12
	v_mfma_f32_16x16x16_f16 v[34:37], v[50:51], v[20:21], v[34:37]
	v_cvt_pk_f32_fp8_e32 v[50:51], v11
	v_cvt_pkrtz_f16_f32 v48, v48, v49
	v_cvt_pkrtz_f16_f32 v49, v68, v69
	v_cvt_pk_f32_fp8_sdwa v[10:11], v11 src0_sel:WORD_1
	v_cvt_pkrtz_f16_f32 v68, v50, v51
	v_mfma_f32_16x16x16_f16 v[48:51], v[48:49], v[30:31], 0
	v_cvt_pkrtz_f16_f32 v69, v10, v11
	v_cvt_pkrtz_f16_f32 v30, v70, v71
	;; [unrolled: 1-line block ×3, first 2 shown]
	v_cvt_pk_f32_fp8_e32 v[70:71], v13
	v_cvt_pk_f32_fp8_sdwa v[72:73], v13 src0_sel:WORD_1
	v_mfma_f32_16x16x16_f16 v[10:13], v[68:69], v[32:33], v[48:51]
	v_cvt_pk_f32_fp8_e32 v[68:69], v24
	v_cvt_pkrtz_f16_f32 v32, v70, v71
	v_cvt_pkrtz_f16_f32 v33, v72, v73
	v_mfma_f32_16x16x16_f16 v[10:13], v[30:31], v[2:3], v[10:13]
	v_mov_b32_e32 v48, s5
	s_waitcnt lgkmcnt(0)
	v_mul_f32_e32 v50, s6, v48
	v_pk_mul_f32 v[48:49], v[50:51], v[44:45] op_sel_hi:[0,1]
	v_pk_mul_f32 v[30:31], v[50:51], v[42:43] op_sel_hi:[0,1]
	v_mfma_f32_16x16x16_f16 v[42:45], v[32:33], v[4:5], v[10:13]
	v_cvt_pk_f32_fp8_e32 v[2:3], v22
	v_cvt_pk_f32_fp8_sdwa v[4:5], v22 src0_sel:WORD_1
	v_cvt_pk_f32_fp8_sdwa v[70:71], v24 src0_sel:WORD_1
	v_cvt_pk_f32_fp8_e32 v[10:11], v23
	v_cvt_pk_f32_fp8_sdwa v[12:13], v23 src0_sel:WORD_1
	v_cvt_pkrtz_f16_f32 v22, v2, v3
	v_cvt_pkrtz_f16_f32 v23, v4, v5
	;; [unrolled: 1-line block ×4, first 2 shown]
	v_mfma_f32_16x16x16_f16 v[42:45], v[22:23], v[26:27], v[42:45]
	global_load_dwordx4 v[10:13], v[52:53], off
	global_load_dwordx4 v[2:5], v[54:55], off
	v_cvt_pkrtz_f16_f32 v26, v68, v69
	v_cvt_pkrtz_f16_f32 v27, v70, v71
	v_cvt_pk_f32_fp8_e32 v[52:53], v25
	v_cvt_pk_f32_fp8_sdwa v[54:55], v25 src0_sel:WORD_1
	v_mfma_f32_16x16x16_f16 v[22:25], v[32:33], v[28:29], v[42:45]
	v_pk_mul_f32 v[40:41], v[50:51], v[40:41] op_sel_hi:[0,1]
	v_cvt_pkrtz_f16_f32 v28, v52, v53
	v_cvt_pkrtz_f16_f32 v29, v54, v55
	v_mfma_f32_16x16x16_f16 v[22:25], v[26:27], v[18:19], v[22:25]
	v_pk_mul_f32 v[44:45], v[50:51], v[38:39] op_sel_hi:[0,1]
	v_pk_mul_f32 v[38:39], v[50:51], v[36:37] op_sel_hi:[0,1]
	;; [unrolled: 1-line block ×3, first 2 shown]
	v_mfma_f32_16x16x16_f16 v[18:21], v[28:29], v[20:21], v[22:25]
	s_mov_b32 s5, 0xff7fffff
	s_nop 5
	v_pk_mul_f32 v[36:37], v[50:51], v[18:19] op_sel_hi:[0,1]
	v_and_b32_e32 v18, 0xc0, v0
	v_add_u32_e32 v18, s16, v18
	v_lshl_or_b32 v18, v56, 2, v18
	v_or_b32_e32 v19, 1, v18
	v_pk_mul_f32 v[34:35], v[50:51], v[20:21] op_sel_hi:[0,1]
	v_subrev_u32_e32 v20, s38, v19
	v_add_u32_e32 v22, 1, v20
	v_add_u32_e32 v23, 2, v20
	v_cvt_f32_i32_e32 v21, v20
	v_cvt_f32_i32_e32 v22, v22
	;; [unrolled: 1-line block ×3, first 2 shown]
	v_add_u32_e32 v24, 3, v20
	v_fma_f32 v28, v61, v21, v30
	v_fmac_f32_e32 v31, v61, v22
	v_fma_f32 v29, v61, v23, v48
	v_add_u32_e32 v21, 16, v20
	v_add_u32_e32 v22, 17, v20
	;; [unrolled: 1-line block ×3, first 2 shown]
	v_cvt_f32_i32_e32 v24, v24
	v_cvt_f32_i32_e32 v21, v21
	;; [unrolled: 1-line block ×4, first 2 shown]
	v_fmac_f32_e32 v49, v61, v24
	v_add_u32_e32 v24, 19, v20
	v_fma_f32 v44, v61, v21, v44
	v_fmac_f32_e32 v45, v61, v22
	v_fma_f32 v40, v61, v23, v40
	v_add_u32_e32 v21, 32, v20
	v_add_u32_e32 v22, 33, v20
	;; [unrolled: 1-line block ×3, first 2 shown]
	v_cvt_f32_i32_e32 v24, v24
	v_cvt_f32_i32_e32 v21, v21
	;; [unrolled: 1-line block ×4, first 2 shown]
	v_fmac_f32_e32 v41, v61, v24
	v_add_u32_e32 v24, 35, v20
	v_fma_f32 v42, v61, v21, v42
	v_fmac_f32_e32 v43, v61, v22
	v_fma_f32 v38, v61, v23, v38
	v_add_u32_e32 v21, 48, v20
	v_add_u32_e32 v22, 49, v20
	;; [unrolled: 1-line block ×4, first 2 shown]
	v_cvt_f32_i32_e32 v20, v20
	v_cvt_f32_i32_e32 v21, v21
	;; [unrolled: 1-line block ×3, first 2 shown]
	v_cmp_gt_i32_e64 s[36:37], s38, v18
	v_fmac_f32_e32 v35, v61, v20
	v_mov_b32_e32 v20, 0xff7fffff
	v_cmp_gt_i32_e64 s[24:25], s38, v19
	v_fma_f32 v36, v61, v21, v36
	v_cndmask_b32_e64 v21, v20, v28, s[36:37]
	v_cndmask_b32_e64 v19, v20, v31, s[24:25]
	v_fmac_f32_e32 v37, v61, v22
	v_max3_f32 v19, v21, s5, v19
	v_or_b32_e32 v21, 2, v18
	v_or_b32_e32 v22, 3, v18
	v_cmp_gt_i32_e64 s[28:29], s38, v21
	v_cmp_gt_i32_e64 s[34:35], s38, v22
	v_cvt_f32_i32_e32 v24, v24
	v_cndmask_b32_e64 v21, v20, v29, s[28:29]
	v_cndmask_b32_e64 v22, v20, v49, s[34:35]
	v_max3_f32 v19, v19, v21, v22
	v_or_b32_e32 v21, 16, v18
	v_or_b32_e32 v22, 17, v18
	v_cmp_gt_i32_e64 s[18:19], s38, v21
	v_cmp_gt_i32_e64 s[22:23], s38, v22
	v_fmac_f32_e32 v39, v61, v24
	v_cndmask_b32_e64 v21, v20, v44, s[18:19]
	v_cndmask_b32_e64 v22, v20, v45, s[22:23]
	v_max3_f32 v19, v19, v21, v22
	v_or_b32_e32 v21, 18, v18
	v_or_b32_e32 v22, 19, v18
	v_cmp_gt_i32_e64 s[26:27], s38, v21
	v_cmp_gt_i32_e64 s[30:31], s38, v22
	v_cvt_f32_i32_e32 v23, v23
	v_cndmask_b32_e64 v21, v20, v40, s[26:27]
	v_cndmask_b32_e64 v22, v20, v41, s[30:31]
	v_max3_f32 v19, v19, v21, v22
	v_or_b32_e32 v21, 32, v18
	v_or_b32_e32 v22, 33, v18
	v_cmp_gt_i32_e64 s[12:13], s38, v21
	v_cmp_gt_i32_e64 s[14:15], s38, v22
	v_fma_f32 v34, v61, v23, v34
	v_cndmask_b32_e64 v21, v20, v42, s[12:13]
	v_cndmask_b32_e64 v22, v20, v43, s[14:15]
	v_max3_f32 v19, v19, v21, v22
	v_or_b32_e32 v21, 34, v18
	v_or_b32_e32 v22, 35, v18
	v_cmp_gt_i32_e64 s[16:17], s38, v21
	v_cmp_gt_i32_e64 s[20:21], s38, v22
	s_nop 0
	v_cndmask_b32_e64 v21, v20, v38, s[16:17]
	v_cndmask_b32_e64 v22, v20, v39, s[20:21]
	v_max3_f32 v19, v19, v21, v22
	v_or_b32_e32 v21, 48, v18
	v_or_b32_e32 v22, 49, v18
	v_cmp_gt_i32_e64 s[8:9], s38, v21
	v_cmp_gt_i32_e64 s[10:11], s38, v22
	s_nop 0
	v_cndmask_b32_e64 v21, v20, v36, s[8:9]
	v_cndmask_b32_e64 v22, v20, v37, s[10:11]
	v_max3_f32 v19, v19, v21, v22
	v_or_b32_e32 v21, 50, v18
	v_or_b32_e32 v18, 51, v18
	v_cmp_gt_i32_e32 vcc, s38, v21
	v_cmp_gt_i32_e64 s[6:7], s38, v18
	s_nop 0
	v_cndmask_b32_e32 v21, v20, v34, vcc
	v_cndmask_b32_e64 v18, v20, v35, s[6:7]
	v_max3_f32 v22, v19, v21, v18
	v_mbcnt_lo_u32_b32 v18, -1, 0
	v_mbcnt_hi_u32_b32 v23, -1, v18
	v_and_b32_e32 v18, 64, v23
	v_add_u32_e32 v24, 64, v18
	v_xor_b32_e32 v18, 32, v23
	v_cmp_lt_i32_e64 s[38:39], v18, v24
	s_nop 1
	v_cndmask_b32_e64 v18, v23, v18, s[38:39]
	v_lshlrev_b32_e32 v51, 2, v18
	ds_bpermute_b32 v25, v51, v22
	v_mad_i64_i32 v[18:19], s[38:39], v65, s45, v[46:47]
	v_mad_i64_i32 v[20:21], s[38:39], v66, s45, v[46:47]
	s_waitcnt lgkmcnt(0)
	v_max_f32_e32 v25, v25, v25
	v_max_f32_e32 v22, v22, v25
	v_xor_b32_e32 v25, 16, v23
	v_cmp_lt_i32_e64 s[38:39], v25, v24
	s_nop 1
	v_cndmask_b32_e64 v23, v23, v25, s[38:39]
	v_lshlrev_b32_e32 v54, 2, v23
	ds_bpermute_b32 v23, v54, v22
	v_mad_i64_i32 v[26:27], s[38:39], v63, s45, v[46:47]
	v_mad_i64_i32 v[52:53], s[38:39], v64, s45, v[46:47]
	s_waitcnt lgkmcnt(0)
	v_max_f32_e32 v23, v23, v23
	v_max_f32_e32 v50, v22, v23
	v_sub_f32_e32 v46, v31, v50
	global_load_dwordx4 v[30:33], v[18:19], off
	global_load_dwordx4 v[22:25], v[20:21], off
	v_sub_f32_e32 v18, v28, v50
	v_mul_f32_e32 v18, 0x3fb8aa3b, v18
	v_mul_f32_e32 v19, 0x3fb8aa3b, v46
	v_exp_f32_e32 v18, v18
	v_exp_f32_e32 v47, v19
	v_sub_f32_e32 v19, v29, v50
	v_mul_f32_e32 v19, 0x3fb8aa3b, v19
	v_exp_f32_e32 v48, v19
	v_sub_f32_e32 v19, v49, v50
	v_mul_f32_e32 v19, 0x3fb8aa3b, v19
	v_exp_f32_e32 v49, v19
	v_cndmask_b32_e64 v46, 0, v18, s[36:37]
	global_load_dwordx4 v[26:29], v[26:27], off
	s_nop 0
	global_load_dwordx4 v[18:21], v[52:53], off
	v_sub_f32_e32 v44, v44, v50
	v_sub_f32_e32 v40, v40, v50
	v_mul_f32_e32 v44, 0x3fb8aa3b, v44
	v_mul_f32_e32 v40, 0x3fb8aa3b, v40
	v_exp_f32_e32 v44, v44
	v_exp_f32_e32 v52, v40
	v_sub_f32_e32 v45, v45, v50
	v_sub_f32_e32 v40, v41, v50
	;; [unrolled: 1-line block ×4, first 2 shown]
	v_mul_f32_e32 v45, 0x3fb8aa3b, v45
	v_mul_f32_e32 v40, 0x3fb8aa3b, v40
	;; [unrolled: 1-line block ×4, first 2 shown]
	v_exp_f32_e32 v45, v45
	v_exp_f32_e32 v53, v40
	v_cndmask_b32_e64 v40, 0, v44, s[18:19]
	v_cndmask_b32_e64 v44, 0, v52, s[26:27]
	v_exp_f32_e32 v42, v42
	v_exp_f32_e32 v52, v38
	v_sub_f32_e32 v38, v39, v50
	v_mul_f32_e32 v38, 0x3fb8aa3b, v38
	v_cndmask_b32_e64 v47, 0, v47, s[24:25]
	v_cndmask_b32_e64 v41, 0, v45, s[22:23]
	;; [unrolled: 1-line block ×3, first 2 shown]
	v_exp_f32_e32 v53, v38
	v_cndmask_b32_e64 v38, 0, v42, s[12:13]
	v_cndmask_b32_e64 v42, 0, v52, s[16:17]
	v_add_f32_e32 v52, 0, v46
	v_cndmask_b32_e64 v48, 0, v48, s[28:29]
	v_add_f32_e32 v52, v52, v47
	v_cndmask_b32_e64 v49, 0, v49, s[34:35]
	v_sub_f32_e32 v43, v43, v50
	v_add_f32_e32 v52, v52, v48
	v_mul_f32_e32 v43, 0x3fb8aa3b, v43
	v_add_f32_e32 v52, v52, v49
	v_exp_f32_e32 v43, v43
	v_add_f32_e32 v52, v52, v40
	v_add_f32_e32 v52, v52, v41
	v_sub_f32_e32 v36, v36, v50
	v_add_f32_e32 v52, v52, v44
	v_mul_f32_e32 v36, 0x3fb8aa3b, v36
	v_sub_f32_e32 v37, v37, v50
	v_add_f32_e32 v52, v52, v45
	v_exp_f32_e32 v36, v36
	v_mul_f32_e32 v37, 0x3fb8aa3b, v37
	v_sub_f32_e32 v34, v34, v50
	v_cndmask_b32_e64 v39, 0, v43, s[14:15]
	v_add_f32_e32 v52, v52, v38
	v_exp_f32_e32 v37, v37
	v_mul_f32_e32 v34, 0x3fb8aa3b, v34
	v_sub_f32_e32 v35, v35, v50
	v_add_f32_e32 v52, v52, v39
	v_exp_f32_e32 v34, v34
	v_mul_f32_e32 v35, 0x3fb8aa3b, v35
	v_cndmask_b32_e64 v43, 0, v53, s[20:21]
	v_add_f32_e32 v52, v52, v42
	v_exp_f32_e32 v35, v35
	v_add_f32_e32 v52, v52, v43
	v_cndmask_b32_e64 v36, 0, v36, s[8:9]
	v_add_f32_e32 v52, v52, v36
	v_cndmask_b32_e64 v37, 0, v37, s[10:11]
	v_add_f32_e32 v52, v52, v37
	v_cndmask_b32_e32 v34, 0, v34, vcc
	v_add_f32_e32 v52, v52, v34
	v_cndmask_b32_e64 v35, 0, v35, s[6:7]
	v_add_f32_e32 v52, v52, v35
	ds_bpermute_b32 v51, v51, v52
	v_cmp_lt_u32_e64 s[6:7], 15, v60
	v_cmp_gt_u32_e32 vcc, 16, v60
	s_waitcnt lgkmcnt(0)
	s_barrier
	v_add_f32_e32 v51, v52, v51
	ds_bpermute_b32 v52, v54, v51
	s_waitcnt lgkmcnt(0)
	s_and_saveexec_b64 s[8:9], vcc
	s_cbranch_execz .LBB1024_15
; %bb.14:
	v_add_f32_e32 v51, v51, v52
	v_lshlrev_b32_e32 v52, 2, v62
	ds_write2st64_b32 v52, v50, v51 offset1:1
.LBB1024_15:
	s_or_b64 exec, exec, s[8:9]
	v_lshlrev_b32_e32 v51, 2, v57
	s_load_dwordx2 s[8:9], s[0:1], 0x94
	s_waitcnt lgkmcnt(0)
	s_barrier
	ds_read2_b32 v[52:53], v51 offset1:16
	ds_read2_b32 v[54:55], v51 offset0:32 offset1:48
	ds_read2_b32 v[60:61], v51 offset0:64 offset1:80
	s_waitcnt lgkmcnt(2)
	v_max3_f32 v50, v52, s5, v53
	s_waitcnt lgkmcnt(1)
	v_max3_f32 v50, v50, v54, v55
	v_sub_f32_e32 v52, v52, v50
	v_mul_f32_e32 v52, 0x3fb8aa3b, v52
	v_exp_f32_e32 v62, v52
	v_sub_f32_e32 v52, v53, v50
	v_mul_f32_e32 v52, 0x3fb8aa3b, v52
	v_exp_f32_e32 v63, v52
	;; [unrolled: 3-line block ×3, first 2 shown]
	ds_read2_b32 v[52:53], v51 offset0:96 offset1:112
	v_sub_f32_e32 v51, v55, v50
	v_mul_f32_e32 v51, 0x3fb8aa3b, v51
	v_exp_f32_e32 v55, v51
	s_waitcnt lgkmcnt(1)
	v_fma_f32 v51, v62, v60, 0
	v_fmac_f32_e32 v51, v63, v61
	s_waitcnt lgkmcnt(0)
	v_fmac_f32_e32 v51, v54, v52
	v_fmac_f32_e32 v51, v55, v53
	v_add_f32_e32 v53, 0x358637bd, v51
	v_div_scale_f32 v60, s[10:11], v53, v53, 1.0
	v_rcp_f32_e32 v61, v60
	s_barrier
	v_fma_f32 v64, -v60, v61, 1.0
	v_fmac_f32_e32 v61, v64, v61
	v_div_scale_f32 v64, vcc, 1.0, v53, 1.0
	v_mul_f32_e32 v65, v64, v61
	v_fma_f32 v66, -v60, v65, v64
	v_fmac_f32_e32 v65, v66, v61
	v_fma_f32 v60, -v60, v65, v64
	v_div_fmas_f32 v60, v60, v61, v65
	v_cmp_eq_u32_e32 vcc, 1, v59
	v_div_fixup_f32 v53, v60, v53, 1.0
	v_mov_b32_e32 v52, 0
	v_cndmask_b32_e32 v60, v62, v63, vcc
	v_cmp_eq_u32_e32 vcc, 2, v59
	s_nop 1
	v_cndmask_b32_e32 v54, v60, v54, vcc
	v_cmp_eq_u32_e32 vcc, 3, v59
	s_nop 1
	v_cndmask_b32_e32 v54, v54, v55, vcc
	v_mul_f32_e32 v60, v54, v53
	v_pk_mul_f32 v[48:49], v[60:61], v[48:49] op_sel_hi:[0,1]
	v_pk_mul_f32 v[46:47], v[60:61], v[46:47] op_sel_hi:[0,1]
	v_cvt_f16_f32_e32 v46, v46
	v_cvt_f16_f32_e32 v47, v47
	;; [unrolled: 1-line block ×4, first 2 shown]
	v_pk_mul_f32 v[44:45], v[60:61], v[44:45] op_sel_hi:[0,1]
	v_pk_mul_f32 v[40:41], v[60:61], v[40:41] op_sel_hi:[0,1]
	v_cvt_f16_f32_e32 v40, v40
	v_cvt_f16_f32_e32 v41, v41
	;; [unrolled: 1-line block ×4, first 2 shown]
	v_pack_b32_f16 v48, v46, v47
	v_pack_b32_f16 v49, v53, v49
	v_lshlrev_b32_e32 v47, 3, v56
	v_lshlrev_b32_e32 v46, 5, v57
	;; [unrolled: 1-line block ×3, first 2 shown]
	v_or3_b32 v54, v53, v46, v47
	v_pack_b32_f16 v40, v40, v41
	v_pack_b32_f16 v41, v44, v45
	ds_write2st64_b64 v54, v[48:49], v[40:41] offset1:1
	v_pk_mul_f32 v[40:41], v[60:61], v[42:43] op_sel_hi:[0,1]
	v_pk_mul_f32 v[38:39], v[60:61], v[38:39] op_sel_hi:[0,1]
	;; [unrolled: 1-line block ×4, first 2 shown]
	v_cvt_f16_f32_e32 v38, v38
	v_cvt_f16_f32_e32 v39, v39
	;; [unrolled: 1-line block ×8, first 2 shown]
	v_pack_b32_f16 v34, v38, v39
	v_pack_b32_f16 v35, v40, v41
	;; [unrolled: 1-line block ×4, first 2 shown]
	v_cmp_eq_u32_e32 vcc, 0, v0
	ds_write2st64_b64 v54, v[34:35], v[36:37] offset0:2 offset1:3
	s_and_saveexec_b64 s[10:11], vcc
	s_cbranch_execz .LBB1024_17
; %bb.16:
	s_mul_i32 s3, s3, s9
	s_mul_hi_u32 s5, s2, s9
	s_add_i32 s5, s5, s3
	s_mul_i32 s3, s2, s9
	s_add_u32 s3, s3, s4
	s_addc_u32 s5, s5, 0
	s_load_dwordx4 s[12:15], s[0:1], 0x58
	s_mul_i32 s5, s5, s8
	s_mul_hi_u32 s16, s3, s8
	s_add_i32 s5, s16, s5
	s_mul_i32 s3, s3, s8
	s_add_u32 s16, s3, s33
	s_addc_u32 s17, s5, 0
	s_lshl_b64 s[16:17], s[16:17], 2
	s_waitcnt lgkmcnt(0)
	s_add_u32 s14, s14, s16
	s_addc_u32 s15, s15, s17
	s_add_u32 s12, s12, s16
	s_addc_u32 s13, s13, s17
	global_store_dword v52, v50, s[14:15]
	global_store_dword v52, v51, s[12:13]
.LBB1024_17:
	s_or_b64 exec, exec, s[10:11]
	s_waitcnt vmcnt(7)
	v_cvt_pk_f32_fp8_e32 v[34:35], v14
	v_cvt_pk_f32_fp8_sdwa v[36:37], v14 src0_sel:WORD_1
	v_lshl_or_b32 v50, v56, 9, v46
	s_waitcnt lgkmcnt(0)
	s_barrier
	v_cvt_pk_f32_fp8_e32 v[38:39], v15
	v_cvt_pkrtz_f16_f32 v14, v34, v35
	v_cvt_pk_f32_fp8_sdwa v[40:41], v15 src0_sel:WORD_1
	v_cvt_pkrtz_f16_f32 v15, v36, v37
	ds_read_b128 v[34:37], v50
	v_cvt_pkrtz_f16_f32 v46, v38, v39
	v_cvt_pkrtz_f16_f32 v47, v40, v41
	ds_read_b128 v[38:41], v50 offset:16
	v_cvt_pk_f32_fp8_e32 v[48:49], v16
	v_cvt_pk_f32_fp8_sdwa v[52:53], v16 src0_sel:WORD_1
	s_waitcnt lgkmcnt(1)
	v_mfma_f32_16x16x16_f16 v[42:45], v[14:15], v[34:35], 0
	s_waitcnt vmcnt(6)
	v_cvt_pk_f32_fp8_e32 v[60:61], v8
	v_cvt_pkrtz_f16_f32 v14, v48, v49
	v_cvt_pkrtz_f16_f32 v15, v52, v53
	v_cvt_pk_f32_fp8_e32 v[48:49], v17
	v_mfma_f32_16x16x16_f16 v[42:45], v[46:47], v[36:37], v[42:45]
	v_cvt_pk_f32_fp8_sdwa v[46:47], v17 src0_sel:WORD_1
	v_cvt_pk_f32_fp8_sdwa v[62:63], v8 src0_sel:WORD_1
	v_cvt_pkrtz_f16_f32 v48, v48, v49
	s_waitcnt lgkmcnt(0)
	v_mfma_f32_16x16x16_f16 v[14:17], v[14:15], v[38:39], v[42:45]
	v_cvt_pkrtz_f16_f32 v49, v46, v47
	s_waitcnt vmcnt(5)
	v_cvt_pk_f32_fp8_e32 v[64:65], v12
	v_cvt_pk_f32_fp8_sdwa v[66:67], v12 src0_sel:WORD_1
	v_cvt_pk_f32_fp8_e32 v[42:43], v6
	v_mfma_f32_16x16x16_f16 v[46:49], v[48:49], v[40:41], v[14:17]
	s_waitcnt vmcnt(4)
	v_cvt_pk_f32_fp8_sdwa v[68:69], v4 src0_sel:WORD_1
	s_load_dword s10, s[42:43], 0x0
	v_cvt_pk_f32_fp8_sdwa v[14:15], v6 src0_sel:WORD_1
	v_cvt_pk_f32_fp8_e32 v[16:17], v7
	v_cvt_pkrtz_f16_f32 v6, v42, v43
	v_cvt_pk_f32_fp8_sdwa v[42:43], v7 src0_sel:WORD_1
	v_cvt_pkrtz_f16_f32 v7, v14, v15
	v_cvt_pkrtz_f16_f32 v52, v16, v17
	ds_read_b128 v[14:17], v50 offset:2048
	v_cvt_pkrtz_f16_f32 v53, v42, v43
	ds_read_b128 v[42:45], v50 offset:2064
	s_waitcnt lgkmcnt(0)
	v_mfma_f32_16x16x16_f16 v[46:49], v[6:7], v[14:15], v[46:49]
	v_cvt_pkrtz_f16_f32 v6, v60, v61
	v_cvt_pkrtz_f16_f32 v7, v62, v63
	v_cvt_pk_f32_fp8_e32 v[60:61], v9
	v_mfma_f32_16x16x16_f16 v[46:49], v[52:53], v[16:17], v[46:49]
	v_cvt_pk_f32_fp8_sdwa v[52:53], v9 src0_sel:WORD_1
	v_cmp_gt_u32_e32 vcc, 64, v0
	v_cvt_pkrtz_f16_f32 v60, v60, v61
	v_mfma_f32_16x16x16_f16 v[6:9], v[6:7], v[42:43], v[46:49]
	v_cvt_pkrtz_f16_f32 v61, v52, v53
	s_xor_b64 s[6:7], s[6:7], -1
	s_mov_b32 s3, 0
	v_cvt_pk_f32_fp8_e32 v[46:47], v10
	v_mfma_f32_16x16x16_f16 v[60:63], v[60:61], v[44:45], v[6:9]
	s_and_b64 s[6:7], vcc, s[6:7]
	s_nop 1
	v_cvt_pk_f32_fp8_sdwa v[6:7], v10 src0_sel:WORD_1
	v_cvt_pk_f32_fp8_e32 v[8:9], v11
	v_cvt_pkrtz_f16_f32 v10, v46, v47
	v_cvt_pk_f32_fp8_sdwa v[46:47], v11 src0_sel:WORD_1
	v_cvt_pkrtz_f16_f32 v11, v6, v7
	v_cvt_pkrtz_f16_f32 v52, v8, v9
	ds_read_b128 v[6:9], v50 offset:4096
	v_cvt_pkrtz_f16_f32 v53, v46, v47
	ds_read_b128 v[46:49], v50 offset:4112
	s_waitcnt lgkmcnt(1)
	v_mfma_f32_16x16x16_f16 v[60:63], v[10:11], v[6:7], v[60:63]
	v_cvt_pkrtz_f16_f32 v10, v64, v65
	v_cvt_pkrtz_f16_f32 v11, v66, v67
	v_cvt_pk_f32_fp8_e32 v[64:65], v13
	v_mfma_f32_16x16x16_f16 v[60:63], v[52:53], v[8:9], v[60:63]
	v_cvt_pk_f32_fp8_sdwa v[52:53], v13 src0_sel:WORD_1
	v_cvt_pk_f32_fp8_e32 v[66:67], v4
	v_cvt_pkrtz_f16_f32 v64, v64, v65
	s_waitcnt lgkmcnt(0)
	v_mfma_f32_16x16x16_f16 v[10:13], v[10:11], v[46:47], v[60:63]
	v_cvt_pkrtz_f16_f32 v65, v52, v53
	v_cvt_pk_f32_fp8_e32 v[52:53], v2
	s_nop 0
	v_mfma_f32_16x16x16_f16 v[60:63], v[64:65], v[48:49], v[10:13]
	s_nop 2
	v_cvt_pk_f32_fp8_sdwa v[10:11], v2 src0_sel:WORD_1
	v_cvt_pk_f32_fp8_e32 v[12:13], v3
	v_cvt_pkrtz_f16_f32 v2, v52, v53
	v_cvt_pk_f32_fp8_sdwa v[52:53], v3 src0_sel:WORD_1
	v_cvt_pkrtz_f16_f32 v3, v10, v11
	v_cvt_pkrtz_f16_f32 v64, v12, v13
	ds_read_b128 v[10:13], v50 offset:6144
	v_cvt_pkrtz_f16_f32 v65, v52, v53
	s_waitcnt lgkmcnt(0)
	v_mfma_f32_16x16x16_f16 v[60:63], v[2:3], v[10:11], v[60:63]
	ds_read_b128 v[50:53], v50 offset:6160
	v_cvt_pkrtz_f16_f32 v2, v66, v67
	v_cvt_pkrtz_f16_f32 v3, v68, v69
	v_mfma_f32_16x16x16_f16 v[60:63], v[64:65], v[12:13], v[60:63]
	v_cvt_pk_f32_fp8_e32 v[66:67], v5
	v_cvt_pk_f32_fp8_sdwa v[64:65], v5 src0_sel:WORD_1
	s_waitcnt vmcnt(3)
	v_cvt_pk_f32_fp8_sdwa v[68:69], v32 src0_sel:WORD_1
	s_waitcnt lgkmcnt(0)
	v_mfma_f32_16x16x16_f16 v[2:5], v[2:3], v[50:51], v[60:63]
	v_cvt_pkrtz_f16_f32 v66, v66, v67
	v_cvt_pkrtz_f16_f32 v67, v64, v65
	v_cvt_pk_f32_fp8_e32 v[64:65], v31
	v_cvt_pk_f32_fp8_e32 v[60:61], v30
	v_cvt_pk_f32_fp8_sdwa v[62:63], v30 src0_sel:WORD_1
	v_cvt_pk_f32_fp8_sdwa v[30:31], v31 src0_sel:WORD_1
	v_mfma_f32_16x16x16_f16 v[2:5], v[66:67], v[52:53], v[2:5]
	v_cvt_pkrtz_f16_f32 v60, v60, v61
	v_cvt_pkrtz_f16_f32 v61, v62, v63
	;; [unrolled: 1-line block ×3, first 2 shown]
	v_cvt_pk_f32_fp8_e32 v[66:67], v32
	v_cvt_pkrtz_f16_f32 v65, v30, v31
	v_mfma_f32_16x16x16_f16 v[60:63], v[60:61], v[34:35], 0
	v_cvt_pkrtz_f16_f32 v30, v66, v67
	v_cvt_pkrtz_f16_f32 v31, v68, v69
	v_cvt_pk_f32_fp8_e32 v[66:67], v33
	v_mfma_f32_16x16x16_f16 v[34:37], v[64:65], v[36:37], v[60:63]
	s_barrier
	s_nop 1
	v_cvt_pk_f32_fp8_sdwa v[60:61], v33 src0_sel:WORD_1
	v_cvt_pkrtz_f16_f32 v62, v66, v67
	v_mfma_f32_16x16x16_f16 v[30:33], v[30:31], v[38:39], v[34:37]
	s_waitcnt vmcnt(2)
	v_cvt_pk_f32_fp8_e32 v[38:39], v23
	v_cvt_pkrtz_f16_f32 v63, v60, v61
	v_cvt_pk_f32_fp8_e32 v[34:35], v22
	v_cvt_pk_f32_fp8_sdwa v[36:37], v22 src0_sel:WORD_1
	v_cvt_pk_f32_fp8_sdwa v[22:23], v23 src0_sel:WORD_1
	v_mfma_f32_16x16x16_f16 v[30:33], v[62:63], v[40:41], v[30:33]
	v_cvt_pkrtz_f16_f32 v34, v34, v35
	v_cvt_pkrtz_f16_f32 v35, v36, v37
	v_cvt_pkrtz_f16_f32 v36, v38, v39
	v_cvt_pk_f32_fp8_e32 v[38:39], v24
	v_cvt_pk_f32_fp8_sdwa v[40:41], v24 src0_sel:WORD_1
	v_cvt_pkrtz_f16_f32 v37, v22, v23
	v_mfma_f32_16x16x16_f16 v[30:33], v[34:35], v[14:15], v[30:33]
	v_cvt_pkrtz_f16_f32 v22, v38, v39
	v_cvt_pkrtz_f16_f32 v23, v40, v41
	v_cvt_pk_f32_fp8_e32 v[34:35], v25
	v_cvt_pk_f32_fp8_sdwa v[24:25], v25 src0_sel:WORD_1
	v_mfma_f32_16x16x16_f16 v[14:17], v[36:37], v[16:17], v[30:33]
	s_nop 2
	v_cvt_pkrtz_f16_f32 v30, v34, v35
	v_cvt_pkrtz_f16_f32 v31, v24, v25
	v_mfma_f32_16x16x16_f16 v[14:17], v[22:23], v[42:43], v[14:17]
	s_waitcnt vmcnt(1)
	v_cvt_pk_f32_fp8_e32 v[22:23], v26
	v_cvt_pk_f32_fp8_sdwa v[24:25], v26 src0_sel:WORD_1
	v_cvt_pk_f32_fp8_sdwa v[32:33], v28 src0_sel:WORD_1
	v_mfma_f32_16x16x16_f16 v[14:17], v[30:31], v[44:45], v[14:17]
	v_cvt_pk_f32_fp8_e32 v[30:31], v27
	v_cvt_pkrtz_f16_f32 v22, v22, v23
	v_cvt_pkrtz_f16_f32 v23, v24, v25
	v_cvt_pk_f32_fp8_sdwa v[24:25], v27 src0_sel:WORD_1
	v_cvt_pkrtz_f16_f32 v26, v30, v31
	v_cvt_pk_f32_fp8_e32 v[30:31], v28
	v_mfma_f32_16x16x16_f16 v[14:17], v[22:23], v[6:7], v[14:17]
	v_cvt_pkrtz_f16_f32 v27, v24, v25
	v_cvt_pkrtz_f16_f32 v22, v30, v31
	v_cvt_pkrtz_f16_f32 v23, v32, v33
	v_cvt_pk_f32_fp8_e32 v[24:25], v29
	v_cvt_pk_f32_fp8_sdwa v[28:29], v29 src0_sel:WORD_1
	v_mfma_f32_16x16x16_f16 v[6:9], v[26:27], v[8:9], v[14:17]
	s_nop 2
	v_cvt_pkrtz_f16_f32 v16, v24, v25
	v_cvt_pkrtz_f16_f32 v17, v28, v29
	v_pk_mul_f32 v[14:15], v[4:5], s[10:11] op_sel_hi:[1,0]
	v_mfma_f32_16x16x16_f16 v[4:7], v[22:23], v[46:47], v[6:9]
	s_waitcnt vmcnt(0)
	v_cvt_pk_f32_fp8_e32 v[22:23], v18
	v_cvt_pk_f32_fp8_sdwa v[24:25], v18 src0_sel:WORD_1
	v_pk_mul_f32 v[8:9], v[2:3], s[10:11] op_sel_hi:[1,0]
	v_mfma_f32_16x16x16_f16 v[2:5], v[16:17], v[48:49], v[4:7]
	v_cvt_pkrtz_f16_f32 v16, v22, v23
	v_cvt_pkrtz_f16_f32 v17, v24, v25
	v_cvt_pk_f32_fp8_e32 v[22:23], v20
	v_cvt_pk_f32_fp8_e32 v[6:7], v19
	v_cvt_pk_f32_fp8_sdwa v[18:19], v19 src0_sel:WORD_1
	v_cvt_pk_f32_fp8_sdwa v[24:25], v20 src0_sel:WORD_1
	v_mfma_f32_16x16x16_f16 v[2:5], v[16:17], v[10:11], v[2:5]
	v_cvt_pkrtz_f16_f32 v6, v6, v7
	v_cvt_pkrtz_f16_f32 v7, v18, v19
	;; [unrolled: 1-line block ×4, first 2 shown]
	v_cvt_pk_f32_fp8_e32 v[16:17], v21
	v_cvt_pk_f32_fp8_sdwa v[18:19], v21 src0_sel:WORD_1
	v_mfma_f32_16x16x16_f16 v[2:5], v[6:7], v[12:13], v[2:5]
	v_cvt_f16_f32_e32 v8, v8
	v_cvt_pkrtz_f16_f32 v6, v16, v17
	v_cvt_pkrtz_f16_f32 v7, v18, v19
	v_mfma_f32_16x16x16_f16 v[2:5], v[10:11], v[50:51], v[2:5]
	v_cvt_f16_f32_e32 v9, v9
	v_cvt_f16_f32_e32 v10, v14
	;; [unrolled: 1-line block ×3, first 2 shown]
	v_mfma_f32_16x16x16_f16 v[2:5], v[6:7], v[52:53], v[2:5]
	s_nop 6
	v_pk_mul_f32 v[4:5], v[4:5], s[10:11] op_sel_hi:[1,0]
	v_pk_mul_f32 v[2:3], v[2:3], s[10:11] op_sel_hi:[1,0]
	v_cvt_f16_f32_e32 v12, v4
	v_cvt_f16_f32_e32 v6, v2
	;; [unrolled: 1-line block ×4, first 2 shown]
	v_pack_b32_f16 v2, v8, v9
	v_pack_b32_f16 v3, v10, v11
	;; [unrolled: 1-line block ×4, first 2 shown]
	ds_write2st64_b64 v54, v[2:3], v[4:5] offset1:1
	s_waitcnt lgkmcnt(0)
	s_barrier
	s_and_saveexec_b64 s[10:11], s[6:7]
	s_cbranch_execz .LBB1024_19
; %bb.18:
	s_load_dwordx2 s[0:1], s[0:1], 0x68
	s_mul_i32 s2, s9, s2
	s_lshl_b32 s5, s8, 7
	s_mul_hi_u32 s7, s2, s5
	s_mul_i32 s6, s2, s5
	v_lshlrev_b32_e32 v4, 6, v57
	s_lshl_b64 s[6:7], s[6:7], 1
	v_lshl_or_b32 v0, v0, 10, v4
	s_waitcnt lgkmcnt(0)
	s_add_u32 s6, s0, s6
	v_lshlrev_b32_e32 v2, 5, v56
	v_and_b32_e32 v3, 16, v58
	v_and_b32_e32 v0, 0x1a00, v0
	s_addc_u32 s7, s1, s7
	s_lshl_b32 s2, s33, 7
	v_or3_b32 v0, v0, v2, v3
	s_lshl_b64 s[0:1], s[2:3], 1
	ds_read_b128 v[2:5], v0
	s_add_u32 s2, s6, s0
	s_addc_u32 s3, s7, s1
	s_mul_hi_u32 s1, s5, s4
	s_mul_i32 s0, s5, s4
	s_lshl_b64 s[0:1], s[0:1], 1
	s_add_u32 s0, s2, s0
	s_addc_u32 s1, s3, s1
	s_waitcnt lgkmcnt(0)
	global_store_dwordx4 v1, v[2:5], s[0:1]
.LBB1024_19:
	s_endpgm
	.section	.rodata,"a",@progbits
	.p2align	6, 0x0
	.amdhsa_kernel _Z39paged_attention_ll4mi_QKV_mfma16_kernelIDF16_hLN4vllm18Fp8KVCacheDataTypeE1EhLi32ELi128ELi256ELb1ELi1EEvPKT_PKT0_S7_ifPKiS9_S9_iPKfiiiPfSC_PS2_PT2_iSB_SB_
		.amdhsa_group_segment_fixed_size 8192
		.amdhsa_private_segment_fixed_size 0
		.amdhsa_kernarg_size 400
		.amdhsa_user_sgpr_count 2
		.amdhsa_user_sgpr_dispatch_ptr 0
		.amdhsa_user_sgpr_queue_ptr 0
		.amdhsa_user_sgpr_kernarg_segment_ptr 1
		.amdhsa_user_sgpr_dispatch_id 0
		.amdhsa_user_sgpr_kernarg_preload_length 0
		.amdhsa_user_sgpr_kernarg_preload_offset 0
		.amdhsa_user_sgpr_private_segment_size 0
		.amdhsa_uses_dynamic_stack 0
		.amdhsa_enable_private_segment 0
		.amdhsa_system_sgpr_workgroup_id_x 1
		.amdhsa_system_sgpr_workgroup_id_y 1
		.amdhsa_system_sgpr_workgroup_id_z 1
		.amdhsa_system_sgpr_workgroup_info 0
		.amdhsa_system_vgpr_workitem_id 0
		.amdhsa_next_free_vgpr 78
		.amdhsa_next_free_sgpr 48
		.amdhsa_accum_offset 80
		.amdhsa_reserve_vcc 1
		.amdhsa_float_round_mode_32 0
		.amdhsa_float_round_mode_16_64 0
		.amdhsa_float_denorm_mode_32 3
		.amdhsa_float_denorm_mode_16_64 3
		.amdhsa_dx10_clamp 1
		.amdhsa_ieee_mode 1
		.amdhsa_fp16_overflow 0
		.amdhsa_tg_split 0
		.amdhsa_exception_fp_ieee_invalid_op 0
		.amdhsa_exception_fp_denorm_src 0
		.amdhsa_exception_fp_ieee_div_zero 0
		.amdhsa_exception_fp_ieee_overflow 0
		.amdhsa_exception_fp_ieee_underflow 0
		.amdhsa_exception_fp_ieee_inexact 0
		.amdhsa_exception_int_div_zero 0
	.end_amdhsa_kernel
	.section	.text._Z39paged_attention_ll4mi_QKV_mfma16_kernelIDF16_hLN4vllm18Fp8KVCacheDataTypeE1EhLi32ELi128ELi256ELb1ELi1EEvPKT_PKT0_S7_ifPKiS9_S9_iPKfiiiPfSC_PS2_PT2_iSB_SB_,"axG",@progbits,_Z39paged_attention_ll4mi_QKV_mfma16_kernelIDF16_hLN4vllm18Fp8KVCacheDataTypeE1EhLi32ELi128ELi256ELb1ELi1EEvPKT_PKT0_S7_ifPKiS9_S9_iPKfiiiPfSC_PS2_PT2_iSB_SB_,comdat
.Lfunc_end1024:
	.size	_Z39paged_attention_ll4mi_QKV_mfma16_kernelIDF16_hLN4vllm18Fp8KVCacheDataTypeE1EhLi32ELi128ELi256ELb1ELi1EEvPKT_PKT0_S7_ifPKiS9_S9_iPKfiiiPfSC_PS2_PT2_iSB_SB_, .Lfunc_end1024-_Z39paged_attention_ll4mi_QKV_mfma16_kernelIDF16_hLN4vllm18Fp8KVCacheDataTypeE1EhLi32ELi128ELi256ELb1ELi1EEvPKT_PKT0_S7_ifPKiS9_S9_iPKfiiiPfSC_PS2_PT2_iSB_SB_
                                        ; -- End function
	.section	.AMDGPU.csdata,"",@progbits
; Kernel info:
; codeLenInByte = 6192
; NumSgprs: 54
; NumVgprs: 78
; NumAgprs: 0
; TotalNumVgprs: 78
; ScratchSize: 0
; MemoryBound: 0
; FloatMode: 240
; IeeeMode: 1
; LDSByteSize: 8192 bytes/workgroup (compile time only)
; SGPRBlocks: 6
; VGPRBlocks: 9
; NumSGPRsForWavesPerEU: 54
; NumVGPRsForWavesPerEU: 78
; AccumOffset: 80
; Occupancy: 6
; WaveLimiterHint : 1
; COMPUTE_PGM_RSRC2:SCRATCH_EN: 0
; COMPUTE_PGM_RSRC2:USER_SGPR: 2
; COMPUTE_PGM_RSRC2:TRAP_HANDLER: 0
; COMPUTE_PGM_RSRC2:TGID_X_EN: 1
; COMPUTE_PGM_RSRC2:TGID_Y_EN: 1
; COMPUTE_PGM_RSRC2:TGID_Z_EN: 1
; COMPUTE_PGM_RSRC2:TIDIG_COMP_CNT: 0
; COMPUTE_PGM_RSRC3_GFX90A:ACCUM_OFFSET: 19
; COMPUTE_PGM_RSRC3_GFX90A:TG_SPLIT: 0
	.section	.text._Z39paged_attention_ll4mi_QKV_mfma16_kernelIDF16_hLN4vllm18Fp8KVCacheDataTypeE1EhLi32ELi128ELi256ELb1ELi2EEvPKT_PKT0_S7_ifPKiS9_S9_iPKfiiiPfSC_PS2_PT2_iSB_SB_,"axG",@progbits,_Z39paged_attention_ll4mi_QKV_mfma16_kernelIDF16_hLN4vllm18Fp8KVCacheDataTypeE1EhLi32ELi128ELi256ELb1ELi2EEvPKT_PKT0_S7_ifPKiS9_S9_iPKfiiiPfSC_PS2_PT2_iSB_SB_,comdat
	.protected	_Z39paged_attention_ll4mi_QKV_mfma16_kernelIDF16_hLN4vllm18Fp8KVCacheDataTypeE1EhLi32ELi128ELi256ELb1ELi2EEvPKT_PKT0_S7_ifPKiS9_S9_iPKfiiiPfSC_PS2_PT2_iSB_SB_ ; -- Begin function _Z39paged_attention_ll4mi_QKV_mfma16_kernelIDF16_hLN4vllm18Fp8KVCacheDataTypeE1EhLi32ELi128ELi256ELb1ELi2EEvPKT_PKT0_S7_ifPKiS9_S9_iPKfiiiPfSC_PS2_PT2_iSB_SB_
	.globl	_Z39paged_attention_ll4mi_QKV_mfma16_kernelIDF16_hLN4vllm18Fp8KVCacheDataTypeE1EhLi32ELi128ELi256ELb1ELi2EEvPKT_PKT0_S7_ifPKiS9_S9_iPKfiiiPfSC_PS2_PT2_iSB_SB_
	.p2align	8
	.type	_Z39paged_attention_ll4mi_QKV_mfma16_kernelIDF16_hLN4vllm18Fp8KVCacheDataTypeE1EhLi32ELi128ELi256ELb1ELi2EEvPKT_PKT0_S7_ifPKiS9_S9_iPKfiiiPfSC_PS2_PT2_iSB_SB_,@function
_Z39paged_attention_ll4mi_QKV_mfma16_kernelIDF16_hLN4vllm18Fp8KVCacheDataTypeE1EhLi32ELi128ELi256ELb1ELi2EEvPKT_PKT0_S7_ifPKiS9_S9_iPKfiiiPfSC_PS2_PT2_iSB_SB_: ; @_Z39paged_attention_ll4mi_QKV_mfma16_kernelIDF16_hLN4vllm18Fp8KVCacheDataTypeE1EhLi32ELi128ELi256ELb1ELi2EEvPKT_PKT0_S7_ifPKiS9_S9_iPKfiiiPfSC_PS2_PT2_iSB_SB_
; %bb.0:
	s_load_dwordx2 s[8:9], s[0:1], 0x30
	s_mov_b32 s10, s3
	s_mov_b64 s[6:7], 0
	s_waitcnt lgkmcnt(0)
	s_cmp_lg_u64 s[8:9], 0
	s_cselect_b64 s[12:13], -1, 0
	s_and_b64 vcc, exec, s[12:13]
	s_cbranch_vccz .LBB1025_7
; %bb.1:
	s_add_i32 s14, s2, 1
	s_mov_b32 s15, 0
	s_lshl_b64 s[16:17], s[14:15], 2
	s_add_u32 s16, s8, s16
	s_mov_b32 s3, s15
	s_addc_u32 s17, s9, s17
	s_lshl_b64 s[14:15], s[2:3], 2
	s_add_u32 s14, s8, s14
	s_addc_u32 s15, s9, s15
	s_load_dword s5, s[16:17], 0x0
	s_load_dword s11, s[14:15], 0x0
	s_waitcnt lgkmcnt(0)
	s_sub_i32 s5, s5, s11
	s_cmp_eq_u32 s5, 1
	s_cselect_b64 s[14:15], -1, 0
	s_andn2_b64 vcc, exec, s[6:7]
	s_cbranch_vccnz .LBB1025_3
.LBB1025_2:
	s_mov_b32 s3, 0
	s_mov_b64 s[14:15], -1
.LBB1025_3:
	s_andn2_b64 vcc, exec, s[14:15]
	s_cbranch_vccnz .LBB1025_19
; %bb.4:
	s_load_dwordx2 s[6:7], s[0:1], 0x28
	s_lshl_b64 s[14:15], s[2:3], 2
	s_waitcnt lgkmcnt(0)
	s_add_u32 s6, s6, s14
	s_addc_u32 s7, s7, s15
	s_load_dword s33, s[6:7], 0x0
	s_lshl_b32 s18, s10, 8
	s_waitcnt lgkmcnt(0)
	s_cmp_ge_i32 s18, s33
	s_cbranch_scc1 .LBB1025_19
; %bb.5:
	s_load_dwordx2 s[6:7], s[0:1], 0x20
	s_load_dword s5, s[0:1], 0x38
	s_add_i32 s11, s33, 31
	s_ashr_i32 s16, s11, 31
	v_and_b32_e32 v1, 0xcf, v0
	s_lshr_b32 s16, s16, 27
	v_add_u32_e32 v1, s18, v1
	s_add_i32 s11, s11, s16
	v_ashrrev_i32_e32 v2, 31, v1
	s_ashr_i32 s19, s11, 5
	v_lshrrev_b32_e32 v4, 27, v2
	s_add_i32 s19, s19, -1
	s_waitcnt lgkmcnt(0)
	s_mul_i32 s16, s2, s5
	s_mov_b32 s17, 0
	v_add_u32_e32 v2, v1, v4
	s_lshl_b64 s[16:17], s[16:17], 2
	v_ashrrev_i32_e32 v2, 5, v2
	v_mov_b32_e32 v5, s19
	v_cmp_gt_i32_e32 vcc, s33, v1
	s_add_u32 s6, s6, s16
	s_addc_u32 s7, s7, s17
	v_cndmask_b32_e32 v2, v5, v2, vcc
	v_ashrrev_i32_e32 v3, 31, v2
	v_lshl_add_u64 v[6:7], v[2:3], 2, s[6:7]
	v_or_b32_e32 v2, 16, v1
	v_add_u32_e32 v3, v2, v4
	v_ashrrev_i32_e32 v3, 5, v3
	v_cmp_gt_i32_e32 vcc, s33, v2
	s_load_dwordx2 s[16:17], s[0:1], 0x8
	s_nop 0
	v_cndmask_b32_e32 v2, v5, v3, vcc
	v_ashrrev_i32_e32 v3, 31, v2
	v_lshl_add_u64 v[8:9], v[2:3], 2, s[6:7]
	v_or_b32_e32 v2, 32, v1
	v_add_u32_e32 v3, v2, v4
	v_ashrrev_i32_e32 v3, 5, v3
	v_cmp_gt_i32_e32 vcc, s33, v2
	v_or_b32_e32 v1, 48, v1
	s_nop 0
	v_cndmask_b32_e32 v2, v5, v3, vcc
	v_ashrrev_i32_e32 v3, 31, v2
	v_lshl_add_u64 v[12:13], v[2:3], 2, s[6:7]
	v_add_u32_e32 v2, v1, v4
	v_ashrrev_i32_e32 v2, 5, v2
	v_cmp_gt_i32_e32 vcc, s33, v1
	s_nop 1
	v_cndmask_b32_e32 v2, v5, v2, vcc
	v_ashrrev_i32_e32 v3, 31, v2
	v_lshl_add_u64 v[14:15], v[2:3], 2, s[6:7]
	global_load_dword v4, v[6:7], off
	global_load_dword v3, v[8:9], off
	;; [unrolled: 1-line block ×4, first 2 shown]
	s_andn2_b64 vcc, exec, s[12:13]
	s_cbranch_vccnz .LBB1025_8
; %bb.6:
	s_add_u32 s8, s8, s14
	s_addc_u32 s9, s9, s15
	s_load_dword s5, s[8:9], 0x0
	s_branch .LBB1025_9
.LBB1025_7:
	s_mov_b64 s[14:15], 0
	s_branch .LBB1025_2
.LBB1025_8:
	s_mov_b32 s5, s2
.LBB1025_9:
	s_load_dwordx2 s[8:9], s[0:1], 0x10
	s_load_dwordx4 s[44:47], s[0:1], 0x48
	v_lshrrev_b32_e32 v58, 6, v0
	v_bfe_u32 v1, v0, 4, 2
	v_and_b32_e32 v56, 15, v0
	v_lshl_or_b32 v5, v58, 2, v1
	v_lshlrev_b32_e32 v6, 3, v56
	s_lshl_b32 s11, s4, 1
	v_cmp_gt_u32_e32 vcc, 2, v5
	v_lshlrev_b32_e32 v54, 1, v6
	v_lshlrev_b32_e32 v57, 4, v0
	s_and_saveexec_b64 s[12:13], vcc
	s_cbranch_execz .LBB1025_11
; %bb.10:
	s_load_dwordx2 s[14:15], s[0:1], 0x0
	s_waitcnt lgkmcnt(0)
	s_ashr_i32 s20, s44, 31
	s_mul_hi_u32 s21, s5, s44
	s_mul_i32 s20, s5, s20
	s_add_i32 s21, s21, s20
	s_mul_i32 s20, s5, s44
	s_lshl_b64 s[20:21], s[20:21], 1
	s_add_u32 s14, s14, s20
	v_add_lshl_u32 v6, v1, s11, 7
	s_addc_u32 s15, s15, s21
	v_ashrrev_i32_e32 v7, 31, v6
	v_lshl_add_u64 v[6:7], v[6:7], 1, s[14:15]
	v_mov_b32_e32 v55, 0
	v_lshl_add_u64 v[6:7], v[6:7], 0, v[54:55]
	global_load_dwordx4 v[6:9], v[6:7], off
	v_lshlrev_b32_e32 v12, 8, v0
	v_lshlrev_b32_e32 v11, 8, v56
	v_and_b32_e32 v12, 0x600, v12
	s_movk_i32 s5, 0x800
	v_and_or_b32 v11, v11, s5, v12
	v_lshlrev_b32_e32 v5, 5, v5
	v_and_b32_e32 v12, 16, v57
	v_or3_b32 v5, v11, v5, v12
	s_waitcnt vmcnt(0)
	ds_write_b128 v5, v[6:9]
.LBB1025_11:
	s_or_b64 exec, exec, s[12:13]
	s_waitcnt lgkmcnt(0)
	s_mul_i32 s12, s4, s46
	s_add_u32 s4, s16, s12
	s_addc_u32 s5, s17, 0
	v_mov_b32_e32 v51, 0
	v_mov_b64_e32 v[12:13], s[4:5]
	v_and_b32_e32 v52, 48, v0
	s_waitcnt vmcnt(3)
	v_mad_i64_i32 v[4:5], s[4:5], v4, s45, v[12:13]
	v_lshlrev_b32_e32 v14, 4, v56
	v_mov_b32_e32 v15, v51
	v_lshlrev_b32_e32 v50, 5, v52
	v_lshl_add_u64 v[4:5], v[4:5], 0, v[14:15]
	v_lshl_add_u64 v[4:5], v[4:5], 0, v[50:51]
	s_barrier
	global_load_dwordx4 v[46:49], v[4:5], off
	global_load_dwordx4 v[34:37], v[4:5], off offset:2048
	s_waitcnt vmcnt(4)
	v_mad_i64_i32 v[4:5], s[4:5], v3, s45, v[12:13]
	v_or_b32_e32 v16, 0x100, v14
	v_mov_b32_e32 v17, v51
	s_waitcnt vmcnt(3)
	v_mad_i64_i32 v[2:3], s[4:5], v2, s45, v[12:13]
	s_waitcnt vmcnt(2)
	v_mad_i64_i32 v[10:11], s[4:5], v10, s45, v[12:13]
	v_lshl_add_u64 v[4:5], v[4:5], 0, v[16:17]
	v_lshl_add_u64 v[2:3], v[2:3], 0, v[14:15]
	;; [unrolled: 1-line block ×6, first 2 shown]
	global_load_dwordx4 v[38:41], v[4:5], off
	global_load_dwordx4 v[6:9], v[4:5], off offset:2048
	s_nop 0
	global_load_dwordx4 v[2:5], v[14:15], off
	global_load_dwordx4 v[42:45], v[14:15], off offset:2048
	global_load_dwordx4 v[26:29], v[10:11], off
	s_nop 0
	global_load_dwordx4 v[14:17], v[10:11], off offset:2048
	v_and_b32_e32 v10, 1, v0
	v_lshlrev_b32_e32 v10, 5, v10
	v_lshl_or_b32 v10, v1, 9, v10
	ds_read_b128 v[30:33], v10
	ds_read_b128 v[22:25], v10 offset:16
	ds_read_b128 v[18:21], v10 offset:2048
	;; [unrolled: 1-line block ×3, first 2 shown]
	v_and_b32_e32 v55, 63, v0
	v_cmp_gt_u32_e32 vcc, 2, v56
	v_mov_b32_e32 v59, 0
	s_and_saveexec_b64 s[4:5], vcc
	s_cbranch_execz .LBB1025_13
; %bb.12:
	s_load_dwordx2 s[14:15], s[0:1], 0x40
	v_or_b32_e32 v60, s11, v56
	v_ashrrev_i32_e32 v61, 31, v60
	s_waitcnt lgkmcnt(0)
	v_lshl_add_u64 v[60:61], v[60:61], 2, s[14:15]
	global_load_dword v59, v[60:61], off
.LBB1025_13:
	s_or_b64 exec, exec, s[4:5]
	s_ashr_i32 s4, s18, 31
	v_or_b32_e32 v50, s18, v52
	s_lshr_b32 s4, s4, 27
	v_add_u32_e32 v52, s4, v50
	v_or_b32_e32 v60, 64, v50
	v_ashrrev_i32_e32 v52, 5, v52
	v_mov_b32_e32 v66, s19
	v_cmp_gt_i32_e32 vcc, s33, v50
	v_add_u32_e32 v61, s4, v60
	v_ashrrev_i32_e32 v61, 5, v61
	v_cndmask_b32_e32 v52, v66, v52, vcc
	v_cmp_gt_i32_e32 vcc, s33, v60
	s_waitcnt vmcnt(7)
	v_cvt_pk_f32_fp8_sdwa v[62:63], v46 src0_sel:WORD_1
	v_ashrrev_i32_e32 v53, 31, v52
	v_cndmask_b32_e32 v60, v66, v61, vcc
	v_ashrrev_i32_e32 v61, 31, v60
	v_lshl_add_u64 v[64:65], v[60:61], 2, s[6:7]
	v_or_b32_e32 v60, 0x80, v50
	v_add_u32_e32 v61, s4, v60
	v_ashrrev_i32_e32 v61, 5, v61
	v_cmp_gt_i32_e32 vcc, s33, v60
	v_or_b32_e32 v50, 0xc0, v50
	v_cvt_pk_f32_fp8_sdwa v[72:73], v48 src0_sel:WORD_1
	v_cndmask_b32_e32 v60, v66, v61, vcc
	v_ashrrev_i32_e32 v61, 31, v60
	v_lshl_add_u64 v[70:71], v[60:61], 2, s[6:7]
	v_cvt_pk_f32_fp8_e32 v[60:61], v46
	v_add_u32_e32 v46, s4, v50
	v_ashrrev_i32_e32 v67, 5, v46
	v_cmp_gt_i32_e32 vcc, s33, v50
	v_cvt_pkrtz_f16_f32 v60, v60, v61
	v_cvt_pkrtz_f16_f32 v61, v62, v63
	v_cvt_pk_f32_fp8_e32 v[62:63], v47
	v_cvt_pk_f32_fp8_sdwa v[46:47], v47 src0_sel:WORD_1
	v_cndmask_b32_e32 v66, v66, v67, vcc
	v_lshl_add_u64 v[52:53], v[52:53], 2, s[6:7]
	v_cvt_pkrtz_f16_f32 v68, v62, v63
	v_cvt_pkrtz_f16_f32 v69, v46, v47
	s_waitcnt lgkmcnt(3)
	v_mfma_f32_16x16x16_f16 v[60:63], v[60:61], v[30:31], 0
	v_cvt_pk_f32_fp8_e32 v[46:47], v48
	v_ashrrev_i32_e32 v67, 31, v66
	v_lshl_add_u64 v[74:75], v[66:67], 2, s[6:7]
	v_mfma_f32_16x16x16_f16 v[66:69], v[68:69], v[32:33], v[60:63]
	s_nop 2
	global_load_dword v63, v[52:53], off
	s_nop 0
	global_load_dword v64, v[64:65], off
	;; [unrolled: 2-line block ×3, first 2 shown]
	global_load_dword v62, v[74:75], off
	v_cvt_pkrtz_f16_f32 v46, v46, v47
	v_cvt_pkrtz_f16_f32 v47, v72, v73
	v_cvt_pk_f32_fp8_e32 v[72:73], v49
	v_cvt_pk_f32_fp8_sdwa v[48:49], v49 src0_sel:WORD_1
	s_waitcnt vmcnt(10)
	v_cvt_pk_f32_fp8_sdwa v[70:71], v36 src0_sel:WORD_1
	s_waitcnt vmcnt(7)
	v_cvt_pk_f32_fp8_sdwa v[76:77], v5 src0_sel:WORD_1
	v_cvt_pkrtz_f16_f32 v52, v72, v73
	v_cvt_pkrtz_f16_f32 v53, v48, v49
	s_waitcnt lgkmcnt(2)
	v_mfma_f32_16x16x16_f16 v[46:49], v[46:47], v[22:23], v[66:69]
	v_cvt_pk_f32_fp8_sdwa v[72:73], v4 src0_sel:WORD_1
	s_add_u32 s4, s8, s12
	s_addc_u32 s5, s9, 0
	v_cvt_pk_f32_fp8_e32 v[66:67], v34
	v_cvt_pk_f32_fp8_sdwa v[68:69], v34 src0_sel:WORD_1
	v_mfma_f32_16x16x16_f16 v[46:49], v[52:53], v[24:25], v[46:49]
	v_cvt_pk_f32_fp8_e32 v[52:53], v35
	v_cvt_pkrtz_f16_f32 v66, v66, v67
	v_cvt_pkrtz_f16_f32 v67, v68, v69
	v_cvt_pk_f32_fp8_sdwa v[34:35], v35 src0_sel:WORD_1
	v_cvt_pkrtz_f16_f32 v52, v52, v53
	v_cvt_pk_f32_fp8_e32 v[68:69], v36
	s_waitcnt lgkmcnt(1)
	v_mfma_f32_16x16x16_f16 v[46:49], v[66:67], v[18:19], v[46:49]
	v_cvt_pkrtz_f16_f32 v53, v34, v35
	v_cvt_pkrtz_f16_f32 v66, v68, v69
	;; [unrolled: 1-line block ×3, first 2 shown]
	v_cvt_pk_f32_fp8_e32 v[68:69], v37
	v_cvt_pk_f32_fp8_sdwa v[70:71], v37 src0_sel:WORD_1
	v_mfma_f32_16x16x16_f16 v[34:37], v[52:53], v[20:21], v[46:49]
	v_cvt_pk_f32_fp8_sdwa v[52:53], v38 src0_sel:WORD_1
	v_and_b32_e32 v50, 16, v0
	v_lshl_or_b32 v60, v58, 4, v56
	v_cvt_pkrtz_f16_f32 v46, v68, v69
	v_cvt_pkrtz_f16_f32 v47, v70, v71
	s_waitcnt lgkmcnt(0)
	v_mfma_f32_16x16x16_f16 v[34:37], v[66:67], v[10:11], v[34:37]
	v_cvt_pk_f32_fp8_e32 v[48:49], v38
	v_cvt_pk_f32_fp8_e32 v[66:67], v40
	v_cvt_pk_f32_fp8_sdwa v[68:69], v40 src0_sel:WORD_1
	v_mfma_f32_16x16x16_f16 v[34:37], v[46:47], v[12:13], v[34:37]
	v_cvt_pk_f32_fp8_e32 v[46:47], v39
	v_cvt_pkrtz_f16_f32 v48, v48, v49
	v_cvt_pkrtz_f16_f32 v49, v52, v53
	v_cvt_pk_f32_fp8_sdwa v[38:39], v39 src0_sel:WORD_1
	v_cvt_pkrtz_f16_f32 v52, v46, v47
	v_mfma_f32_16x16x16_f16 v[46:49], v[48:49], v[30:31], 0
	v_cvt_pkrtz_f16_f32 v53, v38, v39
	v_cvt_pkrtz_f16_f32 v66, v66, v67
	;; [unrolled: 1-line block ×3, first 2 shown]
	v_cvt_pk_f32_fp8_e32 v[68:69], v41
	v_cvt_pk_f32_fp8_sdwa v[70:71], v41 src0_sel:WORD_1
	v_mfma_f32_16x16x16_f16 v[38:41], v[52:53], v[32:33], v[46:49]
	v_cvt_pk_f32_fp8_e32 v[52:53], v6
	v_cvt_pkrtz_f16_f32 v52, v52, v53
	s_nop 0
	v_cvt_pkrtz_f16_f32 v48, v68, v69
	v_cvt_pkrtz_f16_f32 v49, v70, v71
	v_mfma_f32_16x16x16_f16 v[38:41], v[66:67], v[22:23], v[38:41]
	v_cvt_pk_f32_fp8_sdwa v[66:67], v6 src0_sel:WORD_1
	v_cvt_pk_f32_fp8_sdwa v[68:69], v8 src0_sel:WORD_1
	v_lshl_add_u64 v[46:47], s[4:5], 0, v[50:51]
	v_mfma_f32_16x16x16_f16 v[38:41], v[48:49], v[24:25], v[38:41]
	v_cvt_pk_f32_fp8_e32 v[48:49], v7
	v_cvt_pkrtz_f16_f32 v53, v66, v67
	v_cvt_pk_f32_fp8_sdwa v[6:7], v7 src0_sel:WORD_1
	v_cvt_pk_f32_fp8_e32 v[66:67], v8
	v_cvt_pkrtz_f16_f32 v48, v48, v49
	v_mfma_f32_16x16x16_f16 v[38:41], v[52:53], v[18:19], v[38:41]
	v_cvt_pkrtz_f16_f32 v49, v6, v7
	v_cvt_pkrtz_f16_f32 v52, v66, v67
	;; [unrolled: 1-line block ×3, first 2 shown]
	v_cvt_pk_f32_fp8_e32 v[66:67], v9
	v_cvt_pk_f32_fp8_sdwa v[68:69], v9 src0_sel:WORD_1
	v_mfma_f32_16x16x16_f16 v[6:9], v[48:49], v[20:21], v[38:41]
	v_cvt_pk_f32_fp8_e32 v[48:49], v2
	v_lshlrev_b32_e32 v50, 5, v60
	v_lshl_add_u64 v[70:71], v[46:47], 0, v[50:51]
	v_cvt_pkrtz_f16_f32 v38, v66, v67
	v_cvt_pkrtz_f16_f32 v39, v68, v69
	v_mfma_f32_16x16x16_f16 v[6:9], v[52:53], v[10:11], v[6:9]
	v_cvt_pk_f32_fp8_sdwa v[52:53], v2 src0_sel:WORD_1
	s_waitcnt vmcnt(2)
	v_mad_i64_i32 v[74:75], s[4:5], v64, s45, v[70:71]
	v_mfma_f32_16x16x16_f16 v[38:41], v[38:39], v[12:13], v[6:9]
	v_or_b32_e32 v50, 0x800, v50
	v_lshl_add_u64 v[46:47], v[46:47], 0, v[50:51]
	s_nop 0
	v_cvt_pkrtz_f16_f32 v6, v48, v49
	v_cvt_pkrtz_f16_f32 v7, v52, v53
	v_cvt_pk_f32_fp8_e32 v[8:9], v3
	v_cvt_pk_f32_fp8_sdwa v[2:3], v3 src0_sel:WORD_1
	v_mad_i64_i32 v[48:49], s[4:5], v63, s45, v[70:71]
	v_cvt_pkrtz_f16_f32 v52, v8, v9
	v_cvt_pkrtz_f16_f32 v53, v2, v3
	v_mfma_f32_16x16x16_f16 v[6:9], v[6:7], v[30:31], 0
	v_cvt_pk_f32_fp8_e32 v[2:3], v4
	v_mfma_f32_16x16x16_f16 v[66:69], v[52:53], v[32:33], v[6:9]
	v_cvt_pkrtz_f16_f32 v52, v2, v3
	v_cvt_pkrtz_f16_f32 v53, v72, v73
	v_cvt_pk_f32_fp8_e32 v[72:73], v5
	s_nop 1
	global_load_dwordx4 v[6:9], v[48:49], off
	global_load_dwordx4 v[2:5], v[74:75], off
	v_mfma_f32_16x16x16_f16 v[66:69], v[52:53], v[22:23], v[66:69]
	v_cvt_pkrtz_f16_f32 v72, v72, v73
	v_cvt_pkrtz_f16_f32 v73, v76, v77
	s_waitcnt vmcnt(3)
	v_mad_i64_i32 v[48:49], s[4:5], v61, s45, v[70:71]
	s_waitcnt vmcnt(2)
	v_mad_i64_i32 v[52:53], s[4:5], v62, s45, v[70:71]
	v_mfma_f32_16x16x16_f16 v[66:69], v[72:73], v[24:25], v[66:69]
	v_cvt_pk_f32_fp8_e32 v[70:71], v42
	v_cvt_pk_f32_fp8_sdwa v[72:73], v42 src0_sel:WORD_1
	v_cvt_pk_f32_fp8_e32 v[74:75], v43
	v_cvt_pk_f32_fp8_sdwa v[42:43], v43 src0_sel:WORD_1
	v_cvt_pkrtz_f16_f32 v70, v70, v71
	v_cvt_pkrtz_f16_f32 v71, v72, v73
	;; [unrolled: 1-line block ×4, first 2 shown]
	v_cvt_pk_f32_fp8_e32 v[42:43], v44
	v_cvt_pk_f32_fp8_sdwa v[74:75], v44 src0_sel:WORD_1
	v_mfma_f32_16x16x16_f16 v[66:69], v[70:71], v[18:19], v[66:69]
	v_cvt_pk_f32_fp8_sdwa v[76:77], v45 src0_sel:WORD_1
	v_cvt_pkrtz_f16_f32 v70, v42, v43
	v_cvt_pkrtz_f16_f32 v71, v74, v75
	v_cvt_pk_f32_fp8_e32 v[74:75], v45
	v_mfma_f32_16x16x16_f16 v[42:45], v[72:73], v[20:21], v[66:69]
	v_cvt_pkrtz_f16_f32 v51, v76, v77
	v_cvt_pk_f32_fp8_sdwa v[72:73], v26 src0_sel:WORD_1
	v_cvt_pkrtz_f16_f32 v50, v74, v75
	v_mfma_f32_16x16x16_f16 v[42:45], v[70:71], v[10:11], v[42:45]
	v_cvt_pk_f32_fp8_e32 v[70:71], v26
	s_load_dword s4, s[0:1], 0x1c
	s_load_dwordx4 s[40:43], s[0:1], 0x80
	s_load_dword s44, s[0:1], 0x98
	s_waitcnt lgkmcnt(0)
	s_load_dword s5, s[40:41], 0x0
	v_mfma_f32_16x16x16_f16 v[66:69], v[50:51], v[12:13], v[42:45]
	s_mov_b32 s40, 0xff7fffff
	s_nop 1
	v_cvt_pk_f32_fp8_e32 v[42:43], v27
	v_cvt_pkrtz_f16_f32 v44, v70, v71
	v_cvt_pkrtz_f16_f32 v45, v72, v73
	v_cvt_pk_f32_fp8_sdwa v[26:27], v27 src0_sel:WORD_1
	v_cvt_pkrtz_f16_f32 v50, v42, v43
	v_cvt_pk_f32_fp8_e32 v[70:71], v28
	v_cvt_pk_f32_fp8_sdwa v[72:73], v28 src0_sel:WORD_1
	v_cvt_pkrtz_f16_f32 v51, v26, v27
	v_mfma_f32_16x16x16_f16 v[42:45], v[44:45], v[30:31], 0
	v_cvt_pkrtz_f16_f32 v30, v70, v71
	v_cvt_pkrtz_f16_f32 v31, v72, v73
	v_cvt_pk_f32_fp8_e32 v[70:71], v29
	v_cvt_pk_f32_fp8_sdwa v[72:73], v29 src0_sel:WORD_1
	v_mfma_f32_16x16x16_f16 v[26:29], v[50:51], v[32:33], v[42:45]
	v_cvt_pkrtz_f16_f32 v32, v70, v71
	v_cvt_pkrtz_f16_f32 v33, v72, v73
	v_mfma_f32_16x16x16_f16 v[26:29], v[30:31], v[22:23], v[26:29]
	v_mov_b32_e32 v42, s4
	s_waitcnt lgkmcnt(0)
	v_mul_f32_e32 v50, s5, v42
	v_pk_mul_f32 v[30:31], v[50:51], v[34:35] op_sel_hi:[0,1]
	v_mfma_f32_16x16x16_f16 v[32:35], v[32:33], v[24:25], v[26:29]
	v_cvt_pk_f32_fp8_e32 v[22:23], v14
	v_cvt_pk_f32_fp8_sdwa v[24:25], v14 src0_sel:WORD_1
	v_pk_mul_f32 v[42:43], v[50:51], v[36:37] op_sel_hi:[0,1]
	v_cvt_pk_f32_fp8_e32 v[26:27], v15
	v_cvt_pk_f32_fp8_sdwa v[14:15], v15 src0_sel:WORD_1
	v_cvt_pkrtz_f16_f32 v36, v22, v23
	v_cvt_pkrtz_f16_f32 v37, v24, v25
	;; [unrolled: 1-line block ×4, first 2 shown]
	v_cvt_pk_f32_fp8_e32 v[14:15], v16
	v_cvt_pk_f32_fp8_sdwa v[70:71], v16 src0_sel:WORD_1
	v_mfma_f32_16x16x16_f16 v[32:35], v[36:37], v[18:19], v[32:35]
	global_load_dwordx4 v[26:29], v[48:49], off
	global_load_dwordx4 v[22:25], v[52:53], off
	v_cvt_pkrtz_f16_f32 v18, v14, v15
	v_cvt_pkrtz_f16_f32 v19, v70, v71
	v_cvt_pk_f32_fp8_e32 v[36:37], v17
	v_cvt_pk_f32_fp8_sdwa v[48:49], v17 src0_sel:WORD_1
	v_mfma_f32_16x16x16_f16 v[14:17], v[44:45], v[20:21], v[32:35]
	v_pk_mul_f32 v[44:45], v[50:51], v[40:41] op_sel_hi:[0,1]
	v_cvt_pkrtz_f16_f32 v20, v36, v37
	v_cvt_pkrtz_f16_f32 v21, v48, v49
	v_mfma_f32_16x16x16_f16 v[14:17], v[18:19], v[10:11], v[14:17]
	v_pk_mul_f32 v[48:49], v[50:51], v[38:39] op_sel_hi:[0,1]
	v_pk_mul_f32 v[38:39], v[50:51], v[68:69] op_sel_hi:[0,1]
	;; [unrolled: 1-line block ×3, first 2 shown]
	v_mfma_f32_16x16x16_f16 v[10:13], v[20:21], v[12:13], v[14:17]
	s_nop 6
	v_pk_mul_f32 v[36:37], v[50:51], v[10:11] op_sel_hi:[0,1]
	v_and_b32_e32 v10, 0xc0, v0
	v_add_u32_e32 v10, s18, v10
	v_lshl_or_b32 v10, v1, 2, v10
	v_or_b32_e32 v11, 1, v10
	v_pk_mul_f32 v[34:35], v[50:51], v[12:13] op_sel_hi:[0,1]
	v_subrev_u32_e32 v12, s33, v11
	v_add_u32_e32 v14, 1, v12
	v_add_u32_e32 v15, 2, v12
	v_cvt_f32_i32_e32 v13, v12
	v_cvt_f32_i32_e32 v14, v14
	;; [unrolled: 1-line block ×3, first 2 shown]
	v_add_u32_e32 v16, 3, v12
	v_fma_f32 v17, v59, v13, v30
	v_fmac_f32_e32 v31, v59, v14
	v_fma_f32 v42, v59, v15, v42
	v_add_u32_e32 v13, 16, v12
	v_add_u32_e32 v14, 17, v12
	;; [unrolled: 1-line block ×3, first 2 shown]
	v_cvt_f32_i32_e32 v16, v16
	v_cvt_f32_i32_e32 v13, v13
	;; [unrolled: 1-line block ×4, first 2 shown]
	v_fmac_f32_e32 v43, v59, v16
	v_add_u32_e32 v16, 19, v12
	v_fma_f32 v52, v59, v13, v48
	v_fmac_f32_e32 v49, v59, v14
	v_fma_f32 v44, v59, v15, v44
	v_add_u32_e32 v13, 32, v12
	v_add_u32_e32 v14, 33, v12
	;; [unrolled: 1-line block ×3, first 2 shown]
	v_cvt_f32_i32_e32 v16, v16
	v_cvt_f32_i32_e32 v13, v13
	v_cvt_f32_i32_e32 v14, v14
	v_cvt_f32_i32_e32 v15, v15
	v_fmac_f32_e32 v45, v59, v16
	v_add_u32_e32 v16, 35, v12
	v_fma_f32 v40, v59, v13, v40
	v_fmac_f32_e32 v41, v59, v14
	v_fma_f32 v38, v59, v15, v38
	v_add_u32_e32 v13, 48, v12
	v_add_u32_e32 v14, 49, v12
	;; [unrolled: 1-line block ×4, first 2 shown]
	v_cvt_f32_i32_e32 v12, v12
	v_cvt_f32_i32_e32 v13, v13
	;; [unrolled: 1-line block ×3, first 2 shown]
	v_cmp_gt_i32_e64 s[12:13], s33, v10
	v_fmac_f32_e32 v35, v59, v12
	v_mov_b32_e32 v12, 0xff7fffff
	v_cmp_gt_i32_e64 s[14:15], s33, v11
	v_fma_f32 v36, v59, v13, v36
	v_cndmask_b32_e64 v13, v12, v17, s[12:13]
	v_cndmask_b32_e64 v11, v12, v31, s[14:15]
	v_fmac_f32_e32 v37, v59, v14
	v_max3_f32 v11, v13, s40, v11
	v_or_b32_e32 v13, 2, v10
	v_or_b32_e32 v14, 3, v10
	v_cmp_gt_i32_e64 s[16:17], s33, v13
	v_cmp_gt_i32_e64 s[18:19], s33, v14
	v_cvt_f32_i32_e32 v16, v16
	v_cndmask_b32_e64 v13, v12, v42, s[16:17]
	v_cndmask_b32_e64 v14, v12, v43, s[18:19]
	v_max3_f32 v11, v11, v13, v14
	v_or_b32_e32 v13, 16, v10
	v_or_b32_e32 v14, 17, v10
	v_cmp_gt_i32_e64 s[20:21], s33, v13
	v_cmp_gt_i32_e64 s[22:23], s33, v14
	v_fmac_f32_e32 v39, v59, v16
	v_cndmask_b32_e64 v13, v12, v52, s[20:21]
	v_cndmask_b32_e64 v14, v12, v49, s[22:23]
	v_max3_f32 v11, v11, v13, v14
	v_or_b32_e32 v13, 18, v10
	v_or_b32_e32 v14, 19, v10
	v_cmp_gt_i32_e64 s[24:25], s33, v13
	v_cmp_gt_i32_e64 s[26:27], s33, v14
	v_cvt_f32_i32_e32 v15, v15
	v_cndmask_b32_e64 v13, v12, v44, s[24:25]
	v_cndmask_b32_e64 v14, v12, v45, s[26:27]
	v_max3_f32 v11, v11, v13, v14
	v_or_b32_e32 v13, 32, v10
	v_or_b32_e32 v14, 33, v10
	v_cmp_gt_i32_e64 s[28:29], s33, v13
	v_cmp_gt_i32_e64 s[30:31], s33, v14
	v_fma_f32 v34, v59, v15, v34
	v_cndmask_b32_e64 v13, v12, v40, s[28:29]
	v_cndmask_b32_e64 v14, v12, v41, s[30:31]
	v_max3_f32 v11, v11, v13, v14
	v_or_b32_e32 v13, 34, v10
	v_or_b32_e32 v14, 35, v10
	v_cmp_gt_i32_e64 s[34:35], s33, v13
	v_cmp_gt_i32_e64 s[36:37], s33, v14
	s_nop 0
	v_cndmask_b32_e64 v13, v12, v38, s[34:35]
	v_cndmask_b32_e64 v14, v12, v39, s[36:37]
	v_max3_f32 v11, v11, v13, v14
	v_or_b32_e32 v13, 48, v10
	v_or_b32_e32 v14, 49, v10
	v_cmp_gt_i32_e64 s[6:7], s33, v13
	v_cmp_gt_i32_e64 s[8:9], s33, v14
	s_nop 0
	v_cndmask_b32_e64 v13, v12, v36, s[6:7]
	v_cndmask_b32_e64 v14, v12, v37, s[8:9]
	v_max3_f32 v11, v11, v13, v14
	v_or_b32_e32 v13, 50, v10
	v_or_b32_e32 v10, 51, v10
	v_cmp_gt_i32_e32 vcc, s33, v13
	v_cmp_gt_i32_e64 s[4:5], s33, v10
	s_nop 0
	v_cndmask_b32_e32 v13, v12, v34, vcc
	v_cndmask_b32_e64 v10, v12, v35, s[4:5]
	v_max3_f32 v14, v11, v13, v10
	v_mbcnt_lo_u32_b32 v10, -1, 0
	v_mbcnt_hi_u32_b32 v15, -1, v10
	v_and_b32_e32 v10, 64, v15
	v_add_u32_e32 v16, 64, v10
	v_xor_b32_e32 v10, 32, v15
	v_cmp_lt_i32_e64 s[38:39], v10, v16
	s_nop 1
	v_cndmask_b32_e64 v10, v15, v10, s[38:39]
	v_lshlrev_b32_e32 v53, 2, v10
	ds_bpermute_b32 v18, v53, v14
	v_mad_i64_i32 v[10:11], s[38:39], v63, s45, v[46:47]
	v_mad_i64_i32 v[12:13], s[38:39], v64, s45, v[46:47]
	s_waitcnt lgkmcnt(0)
	v_max_f32_e32 v18, v18, v18
	v_max_f32_e32 v18, v14, v18
	v_xor_b32_e32 v14, 16, v15
	v_cmp_lt_i32_e64 s[38:39], v14, v16
	s_nop 1
	v_cndmask_b32_e64 v14, v15, v14, s[38:39]
	v_lshlrev_b32_e32 v59, 2, v14
	ds_bpermute_b32 v16, v59, v18
	v_mad_i64_i32 v[14:15], s[38:39], v61, s45, v[46:47]
	v_mad_i64_i32 v[46:47], s[38:39], v62, s45, v[46:47]
	s_waitcnt lgkmcnt(0)
	v_max_f32_e32 v16, v16, v16
	v_max_f32_e32 v48, v18, v16
	v_sub_f32_e32 v16, v31, v48
	global_load_dwordx4 v[30:33], v[10:11], off
	global_load_dwordx4 v[18:21], v[12:13], off
	v_sub_f32_e32 v10, v17, v48
	v_mul_f32_e32 v10, 0x3fb8aa3b, v10
	v_exp_f32_e32 v50, v10
	v_mul_f32_e32 v10, 0x3fb8aa3b, v16
	v_exp_f32_e32 v51, v10
	v_sub_f32_e32 v10, v42, v48
	v_mul_f32_e32 v10, 0x3fb8aa3b, v10
	v_exp_f32_e32 v42, v10
	v_sub_f32_e32 v10, v43, v48
	v_mul_f32_e32 v10, 0x3fb8aa3b, v10
	v_exp_f32_e32 v43, v10
	global_load_dwordx4 v[14:17], v[14:15], off
	s_nop 0
	global_load_dwordx4 v[10:13], v[46:47], off
	v_sub_f32_e32 v40, v40, v48
	v_sub_f32_e32 v38, v38, v48
	v_mul_f32_e32 v40, 0x3fb8aa3b, v40
	v_mul_f32_e32 v38, 0x3fb8aa3b, v38
	v_cndmask_b32_e64 v47, 0, v51, s[14:15]
	v_cndmask_b32_e64 v51, 0, v43, s[18:19]
	v_sub_f32_e32 v43, v49, v48
	v_exp_f32_e32 v40, v40
	v_exp_f32_e32 v49, v38
	v_cndmask_b32_e64 v46, 0, v50, s[12:13]
	v_cndmask_b32_e64 v50, 0, v42, s[16:17]
	v_sub_f32_e32 v42, v52, v48
	v_mul_f32_e32 v42, 0x3fb8aa3b, v42
	v_sub_f32_e32 v38, v39, v48
	v_exp_f32_e32 v42, v42
	v_mul_f32_e32 v43, 0x3fb8aa3b, v43
	v_sub_f32_e32 v44, v44, v48
	v_mul_f32_e32 v38, 0x3fb8aa3b, v38
	v_exp_f32_e32 v43, v43
	v_mul_f32_e32 v44, 0x3fb8aa3b, v44
	v_sub_f32_e32 v45, v45, v48
	v_exp_f32_e32 v52, v38
	v_cndmask_b32_e64 v38, 0, v40, s[28:29]
	v_cndmask_b32_e64 v40, 0, v49, s[34:35]
	v_add_f32_e32 v49, 0, v46
	v_exp_f32_e32 v44, v44
	v_mul_f32_e32 v45, 0x3fb8aa3b, v45
	v_add_f32_e32 v49, v49, v47
	v_exp_f32_e32 v45, v45
	v_sub_f32_e32 v41, v41, v48
	v_add_f32_e32 v49, v49, v50
	v_cndmask_b32_e64 v42, 0, v42, s[20:21]
	v_mul_f32_e32 v41, 0x3fb8aa3b, v41
	v_add_f32_e32 v49, v49, v51
	v_cndmask_b32_e64 v43, 0, v43, s[22:23]
	v_exp_f32_e32 v41, v41
	v_add_f32_e32 v49, v49, v42
	v_cndmask_b32_e64 v44, 0, v44, s[24:25]
	v_add_f32_e32 v49, v49, v43
	v_sub_f32_e32 v36, v36, v48
	v_cndmask_b32_e64 v45, 0, v45, s[26:27]
	v_add_f32_e32 v49, v49, v44
	v_mul_f32_e32 v36, 0x3fb8aa3b, v36
	v_sub_f32_e32 v37, v37, v48
	v_add_f32_e32 v49, v49, v45
	v_exp_f32_e32 v36, v36
	v_mul_f32_e32 v37, 0x3fb8aa3b, v37
	v_sub_f32_e32 v34, v34, v48
	v_cndmask_b32_e64 v39, 0, v41, s[30:31]
	v_add_f32_e32 v49, v49, v38
	v_exp_f32_e32 v37, v37
	v_mul_f32_e32 v34, 0x3fb8aa3b, v34
	v_sub_f32_e32 v35, v35, v48
	v_add_f32_e32 v49, v49, v39
	v_exp_f32_e32 v34, v34
	v_mul_f32_e32 v35, 0x3fb8aa3b, v35
	v_cndmask_b32_e64 v41, 0, v52, s[36:37]
	v_add_f32_e32 v49, v49, v40
	v_exp_f32_e32 v35, v35
	v_add_f32_e32 v49, v49, v41
	v_cndmask_b32_e64 v36, 0, v36, s[6:7]
	v_add_f32_e32 v49, v49, v36
	v_cndmask_b32_e64 v37, 0, v37, s[8:9]
	v_add_f32_e32 v49, v49, v37
	v_cndmask_b32_e32 v34, 0, v34, vcc
	v_add_f32_e32 v49, v49, v34
	v_cndmask_b32_e64 v35, 0, v35, s[4:5]
	v_add_f32_e32 v49, v49, v35
	ds_bpermute_b32 v52, v53, v49
	v_cmp_gt_u32_e32 vcc, 16, v55
	s_waitcnt lgkmcnt(0)
	s_barrier
	v_add_f32_e32 v49, v49, v52
	ds_bpermute_b32 v52, v59, v49
	s_and_saveexec_b64 s[4:5], vcc
	s_cbranch_execz .LBB1025_15
; %bb.14:
	s_waitcnt lgkmcnt(0)
	v_add_f32_e32 v49, v49, v52
	v_lshlrev_b32_e32 v52, 2, v60
	ds_write2st64_b32 v52, v48, v49 offset1:1
.LBB1025_15:
	s_or_b64 exec, exec, s[4:5]
	v_lshlrev_b32_e32 v49, 2, v56
	s_load_dword s6, s[0:1], 0x94
	s_waitcnt lgkmcnt(0)
	s_barrier
	ds_read2_b32 v[52:53], v49 offset1:16
	ds_read2_b32 v[60:61], v49 offset0:32 offset1:48
	ds_read2_b32 v[62:63], v49 offset0:64 offset1:80
	s_lshl_b32 s7, s44, 1
	s_waitcnt lgkmcnt(2)
	v_max3_f32 v48, v52, s40, v53
	s_waitcnt lgkmcnt(1)
	v_max3_f32 v48, v48, v60, v61
	v_sub_f32_e32 v52, v52, v48
	v_mul_f32_e32 v52, 0x3fb8aa3b, v52
	v_exp_f32_e32 v59, v52
	v_sub_f32_e32 v52, v53, v48
	v_mul_f32_e32 v52, 0x3fb8aa3b, v52
	v_exp_f32_e32 v64, v52
	;; [unrolled: 3-line block ×3, first 2 shown]
	ds_read2_b32 v[52:53], v49 offset0:96 offset1:112
	v_sub_f32_e32 v49, v61, v48
	v_mul_f32_e32 v49, 0x3fb8aa3b, v49
	v_exp_f32_e32 v61, v49
	s_waitcnt lgkmcnt(1)
	v_fma_f32 v49, v59, v62, 0
	v_fmac_f32_e32 v49, v64, v63
	s_waitcnt lgkmcnt(0)
	v_fmac_f32_e32 v49, v60, v52
	v_fmac_f32_e32 v49, v61, v53
	v_add_f32_e32 v52, 0x358637bd, v49
	v_div_scale_f32 v53, s[4:5], v52, v52, 1.0
	v_rcp_f32_e32 v62, v53
	s_barrier
	v_fma_f32 v63, -v53, v62, 1.0
	v_fmac_f32_e32 v62, v63, v62
	v_div_scale_f32 v63, vcc, 1.0, v52, 1.0
	v_mul_f32_e32 v65, v63, v62
	v_fma_f32 v66, -v53, v65, v63
	v_fmac_f32_e32 v65, v66, v62
	v_fma_f32 v53, -v53, v65, v63
	v_div_fmas_f32 v53, v53, v62, v65
	v_cmp_eq_u32_e32 vcc, 1, v58
	v_div_fixup_f32 v52, v53, v52, 1.0
	s_nop 0
	v_cndmask_b32_e32 v53, v59, v64, vcc
	v_cmp_eq_u32_e32 vcc, 2, v58
	s_nop 1
	v_cndmask_b32_e32 v53, v53, v60, vcc
	v_cmp_eq_u32_e32 vcc, 3, v58
	s_nop 1
	v_cndmask_b32_e32 v53, v53, v61, vcc
	v_mul_f32_e32 v52, v53, v52
	v_pk_mul_f32 v[50:51], v[52:53], v[50:51] op_sel_hi:[0,1]
	v_pk_mul_f32 v[46:47], v[52:53], v[46:47] op_sel_hi:[0,1]
	v_cvt_f16_f32_e32 v53, v50
	v_cvt_f16_f32_e32 v46, v46
	;; [unrolled: 1-line block ×4, first 2 shown]
	v_pk_mul_f32 v[44:45], v[52:53], v[44:45] op_sel_hi:[0,1]
	v_pk_mul_f32 v[42:43], v[52:53], v[42:43] op_sel_hi:[0,1]
	v_cvt_f16_f32_e32 v42, v42
	v_cvt_f16_f32_e32 v43, v43
	;; [unrolled: 1-line block ×4, first 2 shown]
	v_pack_b32_f16 v50, v46, v47
	v_pack_b32_f16 v51, v53, v51
	v_lshlrev_b32_e32 v47, 3, v1
	v_lshlrev_b32_e32 v46, 5, v56
	;; [unrolled: 1-line block ×3, first 2 shown]
	v_or3_b32 v58, v53, v46, v47
	v_pack_b32_f16 v42, v42, v43
	v_pack_b32_f16 v43, v44, v45
	v_pk_mul_f32 v[40:41], v[52:53], v[40:41] op_sel_hi:[0,1]
	v_pk_mul_f32 v[38:39], v[52:53], v[38:39] op_sel_hi:[0,1]
	;; [unrolled: 1-line block ×4, first 2 shown]
	ds_write2st64_b64 v58, v[50:51], v[42:43] offset1:1
	v_cvt_f16_f32_e32 v38, v38
	v_cvt_f16_f32_e32 v39, v39
	;; [unrolled: 1-line block ×8, first 2 shown]
	v_pack_b32_f16 v34, v38, v39
	v_pack_b32_f16 v35, v40, v41
	;; [unrolled: 1-line block ×4, first 2 shown]
	v_cmp_gt_u32_e32 vcc, 2, v0
	ds_write2st64_b64 v58, v[34:35], v[36:37] offset0:2 offset1:3
	s_and_saveexec_b64 s[4:5], vcc
	s_cbranch_execz .LBB1025_17
; %bb.16:
	v_or_b32_e32 v34, s11, v0
	v_mov_b32_e32 v35, 0
	v_mov_b32_e32 v36, s7
	v_mad_u64_u32 v[36:37], s[8:9], s2, v36, v[34:35]
	v_mov_b32_e32 v34, s10
	s_load_dwordx4 s[12:15], s[0:1], 0x58
	s_mul_i32 s3, s3, s7
	v_mad_u64_u32 v[34:35], s[8:9], v36, s6, v[34:35]
	v_add_u32_e32 v37, s3, v37
	v_mov_b32_e32 v36, v35
	v_mad_u64_u32 v[36:37], s[8:9], v37, s6, v[36:37]
	v_mov_b32_e32 v35, v36
	v_lshlrev_b64 v[34:35], 2, v[34:35]
	s_waitcnt lgkmcnt(0)
	v_lshl_add_u64 v[36:37], s[14:15], 0, v[34:35]
	v_lshl_add_u64 v[34:35], s[12:13], 0, v[34:35]
	global_store_dword v[36:37], v48, off
	global_store_dword v[34:35], v49, off
.LBB1025_17:
	s_or_b64 exec, exec, s[4:5]
	s_waitcnt vmcnt(7)
	v_cvt_pk_f32_fp8_e32 v[34:35], v6
	v_cvt_pk_f32_fp8_sdwa v[36:37], v6 src0_sel:WORD_1
	v_lshl_or_b32 v50, v1, 9, v46
	s_waitcnt lgkmcnt(0)
	s_barrier
	v_cvt_pk_f32_fp8_e32 v[38:39], v7
	v_cvt_pkrtz_f16_f32 v6, v34, v35
	v_cvt_pk_f32_fp8_sdwa v[40:41], v7 src0_sel:WORD_1
	v_cvt_pkrtz_f16_f32 v7, v36, v37
	ds_read_b128 v[34:37], v50
	v_cvt_pkrtz_f16_f32 v46, v38, v39
	v_cvt_pkrtz_f16_f32 v47, v40, v41
	ds_read_b128 v[38:41], v50 offset:16
	v_cvt_pk_f32_fp8_e32 v[48:49], v8
	v_cvt_pk_f32_fp8_sdwa v[52:53], v8 src0_sel:WORD_1
	s_waitcnt lgkmcnt(1)
	v_mfma_f32_16x16x16_f16 v[42:45], v[6:7], v[34:35], 0
	s_waitcnt vmcnt(6)
	v_cvt_pk_f32_fp8_e32 v[60:61], v4
	v_cvt_pkrtz_f16_f32 v6, v48, v49
	v_cvt_pkrtz_f16_f32 v7, v52, v53
	v_cvt_pk_f32_fp8_e32 v[48:49], v9
	v_mfma_f32_16x16x16_f16 v[42:45], v[46:47], v[36:37], v[42:45]
	v_cvt_pk_f32_fp8_sdwa v[46:47], v9 src0_sel:WORD_1
	v_cvt_pk_f32_fp8_sdwa v[62:63], v4 src0_sel:WORD_1
	v_cvt_pkrtz_f16_f32 v48, v48, v49
	s_waitcnt lgkmcnt(0)
	v_mfma_f32_16x16x16_f16 v[6:9], v[6:7], v[38:39], v[42:45]
	v_cvt_pkrtz_f16_f32 v49, v46, v47
	s_waitcnt vmcnt(5)
	v_cvt_pk_f32_fp8_e32 v[64:65], v28
	v_cvt_pk_f32_fp8_sdwa v[66:67], v28 src0_sel:WORD_1
	v_cvt_pk_f32_fp8_e32 v[42:43], v2
	v_mfma_f32_16x16x16_f16 v[46:49], v[48:49], v[40:41], v[6:9]
	s_waitcnt vmcnt(4)
	v_cvt_pk_f32_fp8_sdwa v[68:69], v24 src0_sel:WORD_1
	s_load_dword s4, s[42:43], 0x0
	v_cvt_pk_f32_fp8_sdwa v[6:7], v2 src0_sel:WORD_1
	v_cvt_pk_f32_fp8_e32 v[8:9], v3
	v_cvt_pkrtz_f16_f32 v2, v42, v43
	v_cvt_pk_f32_fp8_sdwa v[42:43], v3 src0_sel:WORD_1
	v_cvt_pkrtz_f16_f32 v3, v6, v7
	v_cvt_pkrtz_f16_f32 v52, v8, v9
	ds_read_b128 v[6:9], v50 offset:2048
	v_cvt_pkrtz_f16_f32 v53, v42, v43
	ds_read_b128 v[42:45], v50 offset:2064
	s_waitcnt lgkmcnt(0)
	v_mfma_f32_16x16x16_f16 v[46:49], v[2:3], v[6:7], v[46:49]
	v_cvt_pkrtz_f16_f32 v2, v60, v61
	v_cvt_pkrtz_f16_f32 v3, v62, v63
	v_cvt_pk_f32_fp8_e32 v[60:61], v5
	v_mfma_f32_16x16x16_f16 v[46:49], v[52:53], v[8:9], v[46:49]
	v_cvt_pk_f32_fp8_sdwa v[52:53], v5 src0_sel:WORD_1
	v_cmp_gt_u32_e32 vcc, 64, v0
	v_cvt_pkrtz_f16_f32 v60, v60, v61
	v_mfma_f32_16x16x16_f16 v[2:5], v[2:3], v[42:43], v[46:49]
	v_cvt_pkrtz_f16_f32 v61, v52, v53
	s_mov_b32 s3, 0
	s_nop 0
	v_cvt_pk_f32_fp8_e32 v[46:47], v26
	v_mfma_f32_16x16x16_f16 v[60:63], v[60:61], v[44:45], v[2:5]
	s_nop 2
	v_cvt_pk_f32_fp8_sdwa v[2:3], v26 src0_sel:WORD_1
	v_cvt_pk_f32_fp8_e32 v[4:5], v27
	v_cvt_pkrtz_f16_f32 v26, v46, v47
	v_cvt_pk_f32_fp8_sdwa v[46:47], v27 src0_sel:WORD_1
	v_cvt_pkrtz_f16_f32 v27, v2, v3
	v_cvt_pkrtz_f16_f32 v52, v4, v5
	ds_read_b128 v[2:5], v50 offset:4096
	v_cvt_pkrtz_f16_f32 v53, v46, v47
	ds_read_b128 v[46:49], v50 offset:4112
	s_waitcnt lgkmcnt(1)
	v_mfma_f32_16x16x16_f16 v[60:63], v[26:27], v[2:3], v[60:63]
	v_cvt_pkrtz_f16_f32 v26, v64, v65
	v_cvt_pkrtz_f16_f32 v27, v66, v67
	v_cvt_pk_f32_fp8_e32 v[64:65], v29
	v_mfma_f32_16x16x16_f16 v[60:63], v[52:53], v[4:5], v[60:63]
	v_cvt_pk_f32_fp8_sdwa v[52:53], v29 src0_sel:WORD_1
	v_cvt_pk_f32_fp8_e32 v[66:67], v24
	v_cvt_pkrtz_f16_f32 v64, v64, v65
	s_waitcnt lgkmcnt(0)
	v_mfma_f32_16x16x16_f16 v[26:29], v[26:27], v[46:47], v[60:63]
	v_cvt_pkrtz_f16_f32 v65, v52, v53
	v_cvt_pk_f32_fp8_e32 v[52:53], v22
	s_nop 0
	v_mfma_f32_16x16x16_f16 v[60:63], v[64:65], v[48:49], v[26:29]
	s_nop 2
	v_cvt_pk_f32_fp8_sdwa v[26:27], v22 src0_sel:WORD_1
	v_cvt_pk_f32_fp8_e32 v[28:29], v23
	v_cvt_pkrtz_f16_f32 v22, v52, v53
	v_cvt_pk_f32_fp8_sdwa v[52:53], v23 src0_sel:WORD_1
	v_cvt_pkrtz_f16_f32 v23, v26, v27
	v_cvt_pkrtz_f16_f32 v64, v28, v29
	ds_read_b128 v[26:29], v50 offset:6144
	v_cvt_pkrtz_f16_f32 v65, v52, v53
	s_waitcnt lgkmcnt(0)
	v_mfma_f32_16x16x16_f16 v[60:63], v[22:23], v[26:27], v[60:63]
	ds_read_b128 v[50:53], v50 offset:6160
	v_cvt_pkrtz_f16_f32 v22, v66, v67
	v_cvt_pkrtz_f16_f32 v23, v68, v69
	v_mfma_f32_16x16x16_f16 v[60:63], v[64:65], v[28:29], v[60:63]
	v_cvt_pk_f32_fp8_e32 v[66:67], v25
	v_cvt_pk_f32_fp8_sdwa v[64:65], v25 src0_sel:WORD_1
	s_waitcnt vmcnt(3)
	v_cvt_pk_f32_fp8_sdwa v[68:69], v32 src0_sel:WORD_1
	s_waitcnt lgkmcnt(0)
	v_mfma_f32_16x16x16_f16 v[22:25], v[22:23], v[50:51], v[60:63]
	v_cvt_pkrtz_f16_f32 v66, v66, v67
	v_cvt_pkrtz_f16_f32 v67, v64, v65
	v_cvt_pk_f32_fp8_e32 v[64:65], v31
	v_cvt_pk_f32_fp8_e32 v[60:61], v30
	v_cvt_pk_f32_fp8_sdwa v[62:63], v30 src0_sel:WORD_1
	v_cvt_pk_f32_fp8_sdwa v[30:31], v31 src0_sel:WORD_1
	v_mfma_f32_16x16x16_f16 v[22:25], v[66:67], v[52:53], v[22:25]
	v_cvt_pkrtz_f16_f32 v60, v60, v61
	v_cvt_pkrtz_f16_f32 v61, v62, v63
	;; [unrolled: 1-line block ×3, first 2 shown]
	v_cvt_pk_f32_fp8_e32 v[66:67], v32
	v_cvt_pkrtz_f16_f32 v65, v30, v31
	v_mfma_f32_16x16x16_f16 v[60:63], v[60:61], v[34:35], 0
	v_cvt_pkrtz_f16_f32 v30, v66, v67
	v_cvt_pkrtz_f16_f32 v31, v68, v69
	v_cvt_pk_f32_fp8_e32 v[66:67], v33
	v_mfma_f32_16x16x16_f16 v[34:37], v[64:65], v[36:37], v[60:63]
	s_barrier
	s_nop 1
	v_cvt_pk_f32_fp8_sdwa v[60:61], v33 src0_sel:WORD_1
	v_cvt_pkrtz_f16_f32 v62, v66, v67
	v_mfma_f32_16x16x16_f16 v[30:33], v[30:31], v[38:39], v[34:37]
	s_waitcnt vmcnt(2)
	v_cvt_pk_f32_fp8_e32 v[38:39], v19
	v_cvt_pkrtz_f16_f32 v63, v60, v61
	v_cvt_pk_f32_fp8_e32 v[34:35], v18
	v_cvt_pk_f32_fp8_sdwa v[36:37], v18 src0_sel:WORD_1
	v_cvt_pk_f32_fp8_sdwa v[18:19], v19 src0_sel:WORD_1
	v_mfma_f32_16x16x16_f16 v[30:33], v[62:63], v[40:41], v[30:33]
	v_cvt_pkrtz_f16_f32 v34, v34, v35
	v_cvt_pkrtz_f16_f32 v35, v36, v37
	;; [unrolled: 1-line block ×3, first 2 shown]
	v_cvt_pk_f32_fp8_e32 v[38:39], v20
	v_cvt_pk_f32_fp8_sdwa v[40:41], v20 src0_sel:WORD_1
	v_cvt_pkrtz_f16_f32 v37, v18, v19
	v_mfma_f32_16x16x16_f16 v[30:33], v[34:35], v[6:7], v[30:33]
	v_cvt_pkrtz_f16_f32 v18, v38, v39
	v_cvt_pkrtz_f16_f32 v19, v40, v41
	v_cvt_pk_f32_fp8_e32 v[34:35], v21
	v_cvt_pk_f32_fp8_sdwa v[20:21], v21 src0_sel:WORD_1
	v_mfma_f32_16x16x16_f16 v[6:9], v[36:37], v[8:9], v[30:33]
	s_nop 2
	v_cvt_pkrtz_f16_f32 v30, v34, v35
	v_cvt_pkrtz_f16_f32 v31, v20, v21
	v_mfma_f32_16x16x16_f16 v[6:9], v[18:19], v[42:43], v[6:9]
	s_waitcnt vmcnt(1)
	v_cvt_pk_f32_fp8_e32 v[18:19], v14
	v_cvt_pk_f32_fp8_sdwa v[20:21], v14 src0_sel:WORD_1
	v_cvt_pk_f32_fp8_sdwa v[32:33], v16 src0_sel:WORD_1
	v_mfma_f32_16x16x16_f16 v[6:9], v[30:31], v[44:45], v[6:9]
	v_cvt_pk_f32_fp8_e32 v[30:31], v15
	v_cvt_pkrtz_f16_f32 v18, v18, v19
	v_cvt_pkrtz_f16_f32 v19, v20, v21
	v_cvt_pk_f32_fp8_sdwa v[14:15], v15 src0_sel:WORD_1
	v_cvt_pkrtz_f16_f32 v20, v30, v31
	v_cvt_pk_f32_fp8_e32 v[30:31], v16
	v_mfma_f32_16x16x16_f16 v[6:9], v[18:19], v[2:3], v[6:9]
	v_cvt_pkrtz_f16_f32 v21, v14, v15
	v_cvt_pkrtz_f16_f32 v14, v30, v31
	;; [unrolled: 1-line block ×3, first 2 shown]
	v_cvt_pk_f32_fp8_e32 v[18:19], v17
	v_cvt_pk_f32_fp8_sdwa v[16:17], v17 src0_sel:WORD_1
	v_mfma_f32_16x16x16_f16 v[2:5], v[20:21], v[4:5], v[6:9]
	s_waitcnt vmcnt(0)
	v_cvt_pk_f32_fp8_sdwa v[20:21], v12 src0_sel:WORD_1
	s_nop 0
	v_cvt_pkrtz_f16_f32 v8, v18, v19
	v_cvt_pkrtz_f16_f32 v9, v16, v17
	v_mfma_f32_16x16x16_f16 v[2:5], v[14:15], v[46:47], v[2:5]
	v_cvt_pk_f32_fp8_e32 v[16:17], v10
	v_cvt_pk_f32_fp8_sdwa v[18:19], v10 src0_sel:WORD_1
	v_pk_mul_f32 v[6:7], v[24:25], s[4:5] op_sel_hi:[1,0]
	v_mfma_f32_16x16x16_f16 v[2:5], v[8:9], v[48:49], v[2:5]
	v_cvt_pk_f32_fp8_e32 v[8:9], v11
	v_cvt_pkrtz_f16_f32 v16, v16, v17
	v_cvt_pkrtz_f16_f32 v17, v18, v19
	v_cvt_pk_f32_fp8_sdwa v[10:11], v11 src0_sel:WORD_1
	v_cvt_pkrtz_f16_f32 v8, v8, v9
	v_cvt_pk_f32_fp8_e32 v[18:19], v12
	v_mfma_f32_16x16x16_f16 v[2:5], v[16:17], v[26:27], v[2:5]
	v_cvt_pkrtz_f16_f32 v9, v10, v11
	v_cvt_pkrtz_f16_f32 v10, v18, v19
	;; [unrolled: 1-line block ×3, first 2 shown]
	v_cvt_pk_f32_fp8_e32 v[16:17], v13
	v_cvt_pk_f32_fp8_sdwa v[12:13], v13 src0_sel:WORD_1
	v_mfma_f32_16x16x16_f16 v[2:5], v[8:9], v[28:29], v[2:5]
	v_pk_mul_f32 v[14:15], v[22:23], s[4:5] op_sel_hi:[1,0]
	v_cvt_pkrtz_f16_f32 v8, v16, v17
	v_cvt_pkrtz_f16_f32 v9, v12, v13
	v_mfma_f32_16x16x16_f16 v[2:5], v[10:11], v[50:51], v[2:5]
	v_cvt_f16_f32_e32 v14, v14
	v_cvt_f16_f32_e32 v10, v15
	;; [unrolled: 1-line block ×3, first 2 shown]
	v_mfma_f32_16x16x16_f16 v[2:5], v[8:9], v[52:53], v[2:5]
	v_cvt_f16_f32_e32 v7, v7
	s_nop 5
	v_pk_mul_f32 v[4:5], v[4:5], s[4:5] op_sel_hi:[1,0]
	v_pk_mul_f32 v[2:3], v[2:3], s[4:5] op_sel_hi:[1,0]
	v_cvt_f16_f32_e32 v11, v4
	v_cvt_f16_f32_e32 v8, v2
	v_cvt_f16_f32_e32 v9, v3
	v_cvt_f16_f32_e32 v5, v5
	v_cmp_gt_u32_e64 s[4:5], 32, v55
	v_pack_b32_f16 v2, v14, v10
	v_pack_b32_f16 v3, v6, v7
	;; [unrolled: 1-line block ×4, first 2 shown]
	s_and_b64 s[4:5], vcc, s[4:5]
	ds_write2st64_b64 v58, v[2:3], v[4:5] offset1:1
	s_waitcnt lgkmcnt(0)
	s_barrier
	s_and_saveexec_b64 s[8:9], s[4:5]
	s_cbranch_execz .LBB1025_19
; %bb.18:
	s_load_dwordx2 s[0:1], s[0:1], 0x68
	s_mul_i32 s2, s7, s2
	s_lshl_b32 s6, s6, 7
	v_lshlrev_b32_e32 v4, 6, v56
	s_mul_hi_u32 s5, s2, s6
	s_mul_i32 s4, s2, s6
	v_lshl_or_b32 v0, v0, 10, v4
	s_lshl_b64 s[4:5], s[4:5], 1
	v_lshlrev_b32_e32 v2, 5, v1
	v_and_b32_e32 v3, 16, v57
	v_and_b32_e32 v0, 0x1a00, v0
	s_waitcnt lgkmcnt(0)
	s_add_u32 s4, s0, s4
	v_or3_b32 v0, v0, v2, v3
	s_addc_u32 s5, s1, s5
	s_lshl_b32 s2, s10, 7
	ds_read_b128 v[2:5], v0
	s_lshl_b64 s[0:1], s[2:3], 1
	s_add_u32 s0, s4, s0
	v_or_b32_e32 v0, s11, v1
	s_addc_u32 s1, s5, s1
	v_mad_u64_u32 v[0:1], s[2:3], s6, v0, 0
	v_lshl_add_u64 v[0:1], v[0:1], 1, s[0:1]
	v_mov_b32_e32 v55, 0
	v_lshl_add_u64 v[0:1], v[0:1], 0, v[54:55]
	s_waitcnt lgkmcnt(0)
	global_store_dwordx4 v[0:1], v[2:5], off
.LBB1025_19:
	s_endpgm
	.section	.rodata,"a",@progbits
	.p2align	6, 0x0
	.amdhsa_kernel _Z39paged_attention_ll4mi_QKV_mfma16_kernelIDF16_hLN4vllm18Fp8KVCacheDataTypeE1EhLi32ELi128ELi256ELb1ELi2EEvPKT_PKT0_S7_ifPKiS9_S9_iPKfiiiPfSC_PS2_PT2_iSB_SB_
		.amdhsa_group_segment_fixed_size 8192
		.amdhsa_private_segment_fixed_size 0
		.amdhsa_kernarg_size 400
		.amdhsa_user_sgpr_count 2
		.amdhsa_user_sgpr_dispatch_ptr 0
		.amdhsa_user_sgpr_queue_ptr 0
		.amdhsa_user_sgpr_kernarg_segment_ptr 1
		.amdhsa_user_sgpr_dispatch_id 0
		.amdhsa_user_sgpr_kernarg_preload_length 0
		.amdhsa_user_sgpr_kernarg_preload_offset 0
		.amdhsa_user_sgpr_private_segment_size 0
		.amdhsa_uses_dynamic_stack 0
		.amdhsa_enable_private_segment 0
		.amdhsa_system_sgpr_workgroup_id_x 1
		.amdhsa_system_sgpr_workgroup_id_y 1
		.amdhsa_system_sgpr_workgroup_id_z 1
		.amdhsa_system_sgpr_workgroup_info 0
		.amdhsa_system_vgpr_workitem_id 0
		.amdhsa_next_free_vgpr 78
		.amdhsa_next_free_sgpr 48
		.amdhsa_accum_offset 80
		.amdhsa_reserve_vcc 1
		.amdhsa_float_round_mode_32 0
		.amdhsa_float_round_mode_16_64 0
		.amdhsa_float_denorm_mode_32 3
		.amdhsa_float_denorm_mode_16_64 3
		.amdhsa_dx10_clamp 1
		.amdhsa_ieee_mode 1
		.amdhsa_fp16_overflow 0
		.amdhsa_tg_split 0
		.amdhsa_exception_fp_ieee_invalid_op 0
		.amdhsa_exception_fp_denorm_src 0
		.amdhsa_exception_fp_ieee_div_zero 0
		.amdhsa_exception_fp_ieee_overflow 0
		.amdhsa_exception_fp_ieee_underflow 0
		.amdhsa_exception_fp_ieee_inexact 0
		.amdhsa_exception_int_div_zero 0
	.end_amdhsa_kernel
	.section	.text._Z39paged_attention_ll4mi_QKV_mfma16_kernelIDF16_hLN4vllm18Fp8KVCacheDataTypeE1EhLi32ELi128ELi256ELb1ELi2EEvPKT_PKT0_S7_ifPKiS9_S9_iPKfiiiPfSC_PS2_PT2_iSB_SB_,"axG",@progbits,_Z39paged_attention_ll4mi_QKV_mfma16_kernelIDF16_hLN4vllm18Fp8KVCacheDataTypeE1EhLi32ELi128ELi256ELb1ELi2EEvPKT_PKT0_S7_ifPKiS9_S9_iPKfiiiPfSC_PS2_PT2_iSB_SB_,comdat
.Lfunc_end1025:
	.size	_Z39paged_attention_ll4mi_QKV_mfma16_kernelIDF16_hLN4vllm18Fp8KVCacheDataTypeE1EhLi32ELi128ELi256ELb1ELi2EEvPKT_PKT0_S7_ifPKiS9_S9_iPKfiiiPfSC_PS2_PT2_iSB_SB_, .Lfunc_end1025-_Z39paged_attention_ll4mi_QKV_mfma16_kernelIDF16_hLN4vllm18Fp8KVCacheDataTypeE1EhLi32ELi128ELi256ELb1ELi2EEvPKT_PKT0_S7_ifPKiS9_S9_iPKfiiiPfSC_PS2_PT2_iSB_SB_
                                        ; -- End function
	.section	.AMDGPU.csdata,"",@progbits
; Kernel info:
; codeLenInByte = 6288
; NumSgprs: 54
; NumVgprs: 78
; NumAgprs: 0
; TotalNumVgprs: 78
; ScratchSize: 0
; MemoryBound: 0
; FloatMode: 240
; IeeeMode: 1
; LDSByteSize: 8192 bytes/workgroup (compile time only)
; SGPRBlocks: 6
; VGPRBlocks: 9
; NumSGPRsForWavesPerEU: 54
; NumVGPRsForWavesPerEU: 78
; AccumOffset: 80
; Occupancy: 6
; WaveLimiterHint : 1
; COMPUTE_PGM_RSRC2:SCRATCH_EN: 0
; COMPUTE_PGM_RSRC2:USER_SGPR: 2
; COMPUTE_PGM_RSRC2:TRAP_HANDLER: 0
; COMPUTE_PGM_RSRC2:TGID_X_EN: 1
; COMPUTE_PGM_RSRC2:TGID_Y_EN: 1
; COMPUTE_PGM_RSRC2:TGID_Z_EN: 1
; COMPUTE_PGM_RSRC2:TIDIG_COMP_CNT: 0
; COMPUTE_PGM_RSRC3_GFX90A:ACCUM_OFFSET: 19
; COMPUTE_PGM_RSRC3_GFX90A:TG_SPLIT: 0
	.section	.text._Z39paged_attention_ll4mi_QKV_mfma16_kernelIDF16_hLN4vllm18Fp8KVCacheDataTypeE1EhLi32ELi128ELi256ELb1ELi3EEvPKT_PKT0_S7_ifPKiS9_S9_iPKfiiiPfSC_PS2_PT2_iSB_SB_,"axG",@progbits,_Z39paged_attention_ll4mi_QKV_mfma16_kernelIDF16_hLN4vllm18Fp8KVCacheDataTypeE1EhLi32ELi128ELi256ELb1ELi3EEvPKT_PKT0_S7_ifPKiS9_S9_iPKfiiiPfSC_PS2_PT2_iSB_SB_,comdat
	.protected	_Z39paged_attention_ll4mi_QKV_mfma16_kernelIDF16_hLN4vllm18Fp8KVCacheDataTypeE1EhLi32ELi128ELi256ELb1ELi3EEvPKT_PKT0_S7_ifPKiS9_S9_iPKfiiiPfSC_PS2_PT2_iSB_SB_ ; -- Begin function _Z39paged_attention_ll4mi_QKV_mfma16_kernelIDF16_hLN4vllm18Fp8KVCacheDataTypeE1EhLi32ELi128ELi256ELb1ELi3EEvPKT_PKT0_S7_ifPKiS9_S9_iPKfiiiPfSC_PS2_PT2_iSB_SB_
	.globl	_Z39paged_attention_ll4mi_QKV_mfma16_kernelIDF16_hLN4vllm18Fp8KVCacheDataTypeE1EhLi32ELi128ELi256ELb1ELi3EEvPKT_PKT0_S7_ifPKiS9_S9_iPKfiiiPfSC_PS2_PT2_iSB_SB_
	.p2align	8
	.type	_Z39paged_attention_ll4mi_QKV_mfma16_kernelIDF16_hLN4vllm18Fp8KVCacheDataTypeE1EhLi32ELi128ELi256ELb1ELi3EEvPKT_PKT0_S7_ifPKiS9_S9_iPKfiiiPfSC_PS2_PT2_iSB_SB_,@function
_Z39paged_attention_ll4mi_QKV_mfma16_kernelIDF16_hLN4vllm18Fp8KVCacheDataTypeE1EhLi32ELi128ELi256ELb1ELi3EEvPKT_PKT0_S7_ifPKiS9_S9_iPKfiiiPfSC_PS2_PT2_iSB_SB_: ; @_Z39paged_attention_ll4mi_QKV_mfma16_kernelIDF16_hLN4vllm18Fp8KVCacheDataTypeE1EhLi32ELi128ELi256ELb1ELi3EEvPKT_PKT0_S7_ifPKiS9_S9_iPKfiiiPfSC_PS2_PT2_iSB_SB_
; %bb.0:
	s_load_dwordx2 s[10:11], s[0:1], 0x30
	s_mov_b32 s6, s3
	s_mov_b64 s[8:9], 0
	s_waitcnt lgkmcnt(0)
	s_cmp_lg_u64 s[10:11], 0
	s_cselect_b64 s[12:13], -1, 0
	s_and_b64 vcc, exec, s[12:13]
	s_cbranch_vccz .LBB1026_7
; %bb.1:
	s_add_i32 s14, s2, 1
	s_mov_b32 s15, 0
	s_lshl_b64 s[16:17], s[14:15], 2
	s_add_u32 s16, s10, s16
	s_mov_b32 s3, s15
	s_addc_u32 s17, s11, s17
	s_lshl_b64 s[14:15], s[2:3], 2
	s_add_u32 s14, s10, s14
	s_addc_u32 s15, s11, s15
	s_load_dword s5, s[16:17], 0x0
	s_load_dword s7, s[14:15], 0x0
	s_waitcnt lgkmcnt(0)
	s_sub_i32 s5, s5, s7
	s_cmp_eq_u32 s5, 1
	s_cselect_b64 s[14:15], -1, 0
	s_andn2_b64 vcc, exec, s[8:9]
	s_cbranch_vccnz .LBB1026_3
.LBB1026_2:
	s_mov_b32 s3, 0
	s_mov_b64 s[14:15], -1
.LBB1026_3:
	s_andn2_b64 vcc, exec, s[14:15]
	s_cbranch_vccnz .LBB1026_19
; %bb.4:
	s_load_dwordx2 s[8:9], s[0:1], 0x28
	s_lshl_b64 s[16:17], s[2:3], 2
	s_waitcnt lgkmcnt(0)
	s_add_u32 s8, s8, s16
	s_addc_u32 s9, s9, s17
	s_load_dword s7, s[8:9], 0x0
	s_lshl_b32 s18, s6, 8
	s_waitcnt lgkmcnt(0)
	s_cmp_ge_i32 s18, s7
	s_cbranch_scc1 .LBB1026_19
; %bb.5:
	s_load_dwordx2 s[8:9], s[0:1], 0x20
	s_load_dword s5, s[0:1], 0x38
	s_add_i32 s14, s7, 31
	s_ashr_i32 s15, s14, 31
	v_and_b32_e32 v1, 0xcf, v0
	s_lshr_b32 s15, s15, 27
	v_add_u32_e32 v1, s18, v1
	s_add_i32 s14, s14, s15
	v_ashrrev_i32_e32 v2, 31, v1
	s_ashr_i32 s19, s14, 5
	v_lshrrev_b32_e32 v4, 27, v2
	s_add_i32 s19, s19, -1
	s_waitcnt lgkmcnt(0)
	s_mul_i32 s14, s2, s5
	s_mov_b32 s15, 0
	v_add_u32_e32 v2, v1, v4
	s_lshl_b64 s[14:15], s[14:15], 2
	v_ashrrev_i32_e32 v2, 5, v2
	v_mov_b32_e32 v5, s19
	v_cmp_gt_i32_e32 vcc, s7, v1
	s_add_u32 s8, s8, s14
	s_addc_u32 s9, s9, s15
	v_cndmask_b32_e32 v2, v5, v2, vcc
	v_ashrrev_i32_e32 v3, 31, v2
	v_lshl_add_u64 v[6:7], v[2:3], 2, s[8:9]
	v_or_b32_e32 v2, 16, v1
	v_add_u32_e32 v3, v2, v4
	v_ashrrev_i32_e32 v3, 5, v3
	v_cmp_gt_i32_e32 vcc, s7, v2
	s_load_dwordx2 s[14:15], s[0:1], 0x8
	s_nop 0
	v_cndmask_b32_e32 v2, v5, v3, vcc
	v_ashrrev_i32_e32 v3, 31, v2
	v_lshl_add_u64 v[8:9], v[2:3], 2, s[8:9]
	v_or_b32_e32 v2, 32, v1
	v_add_u32_e32 v3, v2, v4
	v_ashrrev_i32_e32 v3, 5, v3
	v_cmp_gt_i32_e32 vcc, s7, v2
	v_or_b32_e32 v1, 48, v1
	s_nop 0
	v_cndmask_b32_e32 v2, v5, v3, vcc
	v_ashrrev_i32_e32 v3, 31, v2
	v_lshl_add_u64 v[12:13], v[2:3], 2, s[8:9]
	v_add_u32_e32 v2, v1, v4
	v_ashrrev_i32_e32 v2, 5, v2
	v_cmp_gt_i32_e32 vcc, s7, v1
	s_nop 1
	v_cndmask_b32_e32 v2, v5, v2, vcc
	v_ashrrev_i32_e32 v3, 31, v2
	v_lshl_add_u64 v[14:15], v[2:3], 2, s[8:9]
	global_load_dword v4, v[6:7], off
	global_load_dword v3, v[8:9], off
	;; [unrolled: 1-line block ×4, first 2 shown]
	s_andn2_b64 vcc, exec, s[12:13]
	s_cbranch_vccnz .LBB1026_8
; %bb.6:
	s_add_u32 s10, s10, s16
	s_addc_u32 s11, s11, s17
	s_load_dword s5, s[10:11], 0x0
	s_branch .LBB1026_9
.LBB1026_7:
	s_mov_b64 s[14:15], 0
	s_branch .LBB1026_2
.LBB1026_8:
	s_mov_b32 s5, s2
.LBB1026_9:
	s_load_dwordx2 s[10:11], s[0:1], 0x10
	s_load_dwordx4 s[44:47], s[0:1], 0x48
	v_lshrrev_b32_e32 v57, 6, v0
	v_bfe_u32 v62, v0, 4, 2
	v_and_b32_e32 v56, 15, v0
	s_mul_i32 s48, s4, 3
	v_lshl_or_b32 v5, v57, 2, v62
	v_lshlrev_b32_e32 v6, 3, v56
	v_add_u32_e32 v1, s48, v62
	v_cmp_gt_u32_e32 vcc, 3, v5
	v_lshlrev_b32_e32 v54, 1, v6
	v_lshlrev_b32_e32 v63, 4, v0
	s_and_saveexec_b64 s[12:13], vcc
	s_cbranch_execz .LBB1026_11
; %bb.10:
	s_load_dwordx2 s[16:17], s[0:1], 0x0
	s_waitcnt lgkmcnt(0)
	s_ashr_i32 s20, s44, 31
	s_mul_hi_u32 s21, s5, s44
	s_mul_i32 s20, s5, s20
	s_add_i32 s21, s21, s20
	s_mul_i32 s20, s5, s44
	s_lshl_b64 s[20:21], s[20:21], 1
	s_add_u32 s16, s16, s20
	v_lshlrev_b32_e32 v6, 7, v1
	s_addc_u32 s17, s17, s21
	v_ashrrev_i32_e32 v7, 31, v6
	v_lshl_add_u64 v[6:7], v[6:7], 1, s[16:17]
	v_mov_b32_e32 v55, 0
	v_lshl_add_u64 v[6:7], v[6:7], 0, v[54:55]
	global_load_dwordx4 v[6:9], v[6:7], off
	v_lshlrev_b32_e32 v12, 8, v0
	v_lshlrev_b32_e32 v11, 8, v56
	v_and_b32_e32 v12, 0x600, v12
	s_movk_i32 s5, 0x800
	v_and_or_b32 v11, v11, s5, v12
	v_lshlrev_b32_e32 v5, 5, v5
	v_and_b32_e32 v12, 16, v63
	v_or3_b32 v5, v11, v5, v12
	s_waitcnt vmcnt(0)
	ds_write_b128 v5, v[6:9]
.LBB1026_11:
	s_or_b64 exec, exec, s[12:13]
	s_waitcnt lgkmcnt(0)
	s_mul_i32 s12, s4, s46
	s_add_u32 s4, s14, s12
	s_addc_u32 s5, s15, 0
	v_mov_b32_e32 v59, 0
	v_mov_b64_e32 v[12:13], s[4:5]
	v_and_b32_e32 v34, 48, v0
	s_waitcnt vmcnt(3)
	v_mad_i64_i32 v[4:5], s[4:5], v4, s45, v[12:13]
	v_lshlrev_b32_e32 v14, 4, v56
	v_mov_b32_e32 v15, v59
	v_lshlrev_b32_e32 v58, 5, v34
	v_lshl_add_u64 v[4:5], v[4:5], 0, v[14:15]
	v_lshl_add_u64 v[4:5], v[4:5], 0, v[58:59]
	s_barrier
	global_load_dwordx4 v[50:53], v[4:5], off
	global_load_dwordx4 v[46:49], v[4:5], off offset:2048
	s_waitcnt vmcnt(4)
	v_mad_i64_i32 v[4:5], s[4:5], v3, s45, v[12:13]
	v_or_b32_e32 v16, 0x100, v14
	v_mov_b32_e32 v17, v59
	s_waitcnt vmcnt(3)
	v_mad_i64_i32 v[2:3], s[4:5], v2, s45, v[12:13]
	v_lshl_add_u64 v[4:5], v[4:5], 0, v[16:17]
	v_lshl_add_u64 v[2:3], v[2:3], 0, v[14:15]
	s_waitcnt vmcnt(2)
	v_mad_i64_i32 v[10:11], s[4:5], v10, s45, v[12:13]
	v_lshl_add_u64 v[4:5], v[4:5], 0, v[58:59]
	v_lshl_add_u64 v[14:15], v[2:3], 0, v[58:59]
	;; [unrolled: 1-line block ×3, first 2 shown]
	global_load_dwordx4 v[36:39], v[4:5], off
	global_load_dwordx4 v[6:9], v[4:5], off offset:2048
	s_nop 0
	global_load_dwordx4 v[2:5], v[14:15], off
	global_load_dwordx4 v[42:45], v[14:15], off offset:2048
	v_lshl_add_u64 v[14:15], v[10:11], 0, v[58:59]
	global_load_dwordx4 v[26:29], v[14:15], off
	global_load_dwordx4 v[10:13], v[14:15], off offset:2048
	v_mul_lo_u16_e32 v14, 0x56, v56
	v_mov_b32_e32 v15, 3
	v_mul_lo_u16_sdwa v14, v14, v15 dst_sel:DWORD dst_unused:UNUSED_PAD src0_sel:BYTE_1 src1_sel:DWORD
	v_sub_u16_e32 v14, v56, v14
	v_mov_b32_e32 v15, 5
	v_lshlrev_b32_sdwa v14, v15, v14 dst_sel:DWORD dst_unused:UNUSED_PAD src0_sel:DWORD src1_sel:BYTE_0
	v_lshl_add_u32 v14, v62, 9, v14
	ds_read_b128 v[30:33], v14
	ds_read_b128 v[22:25], v14 offset:16
	ds_read_b128 v[18:21], v14 offset:2048
	;; [unrolled: 1-line block ×3, first 2 shown]
	v_and_b32_e32 v55, 63, v0
	v_cmp_gt_u32_e32 vcc, 3, v56
	v_mov_b32_e32 v64, 0
	s_and_saveexec_b64 s[4:5], vcc
	s_cbranch_execz .LBB1026_13
; %bb.12:
	s_load_dwordx2 s[14:15], s[0:1], 0x40
	v_add_u32_e32 v40, s48, v56
	v_ashrrev_i32_e32 v41, 31, v40
	s_waitcnt lgkmcnt(0)
	v_lshl_add_u64 v[40:41], v[40:41], 2, s[14:15]
	global_load_dword v64, v[40:41], off
.LBB1026_13:
	s_or_b64 exec, exec, s[4:5]
	s_ashr_i32 s4, s18, 31
	v_or_b32_e32 v58, s18, v34
	s_lshr_b32 s4, s4, 27
	v_add_u32_e32 v34, s4, v58
	v_cmp_gt_i32_e32 vcc, s7, v58
	v_or_b32_e32 v40, 64, v58
	v_or_b32_e32 v60, 0x80, v58
	;; [unrolled: 1-line block ×3, first 2 shown]
	v_add_u32_e32 v66, s4, v58
	v_ashrrev_i32_e32 v70, 5, v66
	s_waitcnt vmcnt(7)
	v_cvt_pk_f32_fp8_e32 v[66:67], v50
	v_cvt_pk_f32_fp8_sdwa v[68:69], v50 src0_sel:WORD_1
	v_cvt_pk_f32_fp8_e32 v[72:73], v51
	v_cvt_pk_f32_fp8_sdwa v[50:51], v51 src0_sel:WORD_1
	v_cvt_pkrtz_f16_f32 v66, v66, v67
	v_cvt_pkrtz_f16_f32 v67, v68, v69
	;; [unrolled: 1-line block ×3, first 2 shown]
	v_cvt_pk_f32_fp8_e32 v[74:75], v52
	v_cvt_pk_f32_fp8_sdwa v[76:77], v52 src0_sel:WORD_1
	v_cvt_pkrtz_f16_f32 v73, v50, v51
	s_waitcnt lgkmcnt(3)
	v_mfma_f32_16x16x16_f16 v[66:69], v[66:67], v[30:31], 0
	v_cvt_pkrtz_f16_f32 v74, v74, v75
	v_cvt_pkrtz_f16_f32 v75, v76, v77
	v_cvt_pk_f32_fp8_e32 v[76:77], v53
	v_cvt_pk_f32_fp8_sdwa v[78:79], v53 src0_sel:WORD_1
	v_mfma_f32_16x16x16_f16 v[50:53], v[72:73], v[32:33], v[66:69]
	v_ashrrev_i32_e32 v34, 5, v34
	v_mov_b32_e32 v65, s19
	v_add_u32_e32 v41, s4, v40
	v_cndmask_b32_e32 v34, v65, v34, vcc
	v_ashrrev_i32_e32 v41, 5, v41
	v_cmp_gt_i32_e32 vcc, s7, v40
	v_add_u32_e32 v61, s4, v60
	v_cvt_pkrtz_f16_f32 v66, v76, v77
	v_cvt_pkrtz_f16_f32 v67, v78, v79
	v_cndmask_b32_e32 v40, v65, v41, vcc
	v_ashrrev_i32_e32 v61, 5, v61
	v_cmp_gt_i32_e32 vcc, s7, v60
	s_waitcnt lgkmcnt(2)
	v_mfma_f32_16x16x16_f16 v[50:53], v[74:75], v[22:23], v[50:53]
	s_waitcnt vmcnt(6)
	v_cvt_pk_f32_fp8_e32 v[68:69], v46
	v_cndmask_b32_e32 v60, v65, v61, vcc
	v_cmp_gt_i32_e32 vcc, s7, v58
	v_ashrrev_i32_e32 v35, 31, v34
	v_lshl_add_u64 v[34:35], v[34:35], 2, s[8:9]
	v_cndmask_b32_e32 v70, v65, v70, vcc
	v_ashrrev_i32_e32 v41, 31, v40
	v_ashrrev_i32_e32 v61, 31, v60
	;; [unrolled: 1-line block ×3, first 2 shown]
	v_lshl_add_u64 v[40:41], v[40:41], 2, s[8:9]
	v_lshl_add_u64 v[60:61], v[60:61], 2, s[8:9]
	;; [unrolled: 1-line block ×3, first 2 shown]
	v_mfma_f32_16x16x16_f16 v[50:53], v[66:67], v[24:25], v[50:53]
	v_cvt_pkrtz_f16_f32 v74, v68, v69
	global_load_dword v69, v[34:35], off
	global_load_dword v67, v[40:41], off
	;; [unrolled: 1-line block ×4, first 2 shown]
	v_cvt_pk_f32_fp8_sdwa v[72:73], v46 src0_sel:WORD_1
	v_cvt_pk_f32_fp8_e32 v[40:41], v48
	s_waitcnt vmcnt(9)
	v_cvt_pk_f32_fp8_e32 v[60:61], v36
	v_cvt_pk_f32_fp8_sdwa v[70:71], v36 src0_sel:WORD_1
	v_cvt_pkrtz_f16_f32 v75, v72, v73
	v_cvt_pk_f32_fp8_e32 v[72:73], v47
	v_cvt_pk_f32_fp8_sdwa v[46:47], v47 src0_sel:WORD_1
	s_waitcnt lgkmcnt(1)
	v_mfma_f32_16x16x16_f16 v[50:53], v[74:75], v[18:19], v[50:53]
	v_cvt_pkrtz_f16_f32 v34, v72, v73
	v_cvt_pkrtz_f16_f32 v35, v46, v47
	v_cvt_pk_f32_fp8_sdwa v[46:47], v48 src0_sel:WORD_1
	v_cvt_pkrtz_f16_f32 v40, v40, v41
	v_mfma_f32_16x16x16_f16 v[50:53], v[34:35], v[20:21], v[50:53]
	v_cvt_pkrtz_f16_f32 v41, v46, v47
	v_cvt_pk_f32_fp8_e32 v[34:35], v49
	v_cvt_pk_f32_fp8_sdwa v[46:47], v49 src0_sel:WORD_1
	s_add_u32 s4, s10, s12
	s_addc_u32 s5, s11, 0
	v_cvt_pkrtz_f16_f32 v34, v34, v35
	v_cvt_pkrtz_f16_f32 v35, v46, v47
	s_waitcnt lgkmcnt(0)
	v_mfma_f32_16x16x16_f16 v[46:49], v[40:41], v[14:15], v[50:53]
	v_cvt_pkrtz_f16_f32 v40, v60, v61
	v_cvt_pkrtz_f16_f32 v41, v70, v71
	s_waitcnt vmcnt(8)
	v_cvt_pk_f32_fp8_sdwa v[60:61], v6 src0_sel:WORD_1
	v_cvt_pk_f32_fp8_e32 v[50:51], v37
	v_cvt_pk_f32_fp8_sdwa v[52:53], v37 src0_sel:WORD_1
	v_mfma_f32_16x16x16_f16 v[34:37], v[34:35], v[16:17], v[46:49]
	v_and_b32_e32 v58, 16, v0
	v_cvt_pkrtz_f16_f32 v50, v50, v51
	v_cvt_pkrtz_f16_f32 v51, v52, v53
	v_mfma_f32_16x16x16_f16 v[46:49], v[40:41], v[30:31], 0
	v_cvt_pk_f32_fp8_e32 v[40:41], v38
	v_cvt_pk_f32_fp8_sdwa v[52:53], v38 src0_sel:WORD_1
	v_lshl_or_b32 v65, v57, 4, v56
	v_mfma_f32_16x16x16_f16 v[46:49], v[50:51], v[32:33], v[46:49]
	v_cvt_pk_f32_fp8_e32 v[50:51], v39
	v_cvt_pkrtz_f16_f32 v40, v40, v41
	v_cvt_pkrtz_f16_f32 v41, v52, v53
	v_cvt_pk_f32_fp8_sdwa v[38:39], v39 src0_sel:WORD_1
	v_cvt_pkrtz_f16_f32 v50, v50, v51
	v_cvt_pk_f32_fp8_e32 v[52:53], v6
	s_waitcnt vmcnt(6)
	v_cvt_pk_f32_fp8_e32 v[74:75], v43
	v_cvt_pkrtz_f16_f32 v51, v38, v39
	v_mfma_f32_16x16x16_f16 v[38:41], v[40:41], v[22:23], v[46:49]
	s_nop 2
	v_cvt_pkrtz_f16_f32 v48, v52, v53
	v_cvt_pkrtz_f16_f32 v49, v60, v61
	v_cvt_pk_f32_fp8_e32 v[52:53], v7
	v_cvt_pk_f32_fp8_sdwa v[6:7], v7 src0_sel:WORD_1
	v_mfma_f32_16x16x16_f16 v[38:41], v[50:51], v[24:25], v[38:41]
	v_lshl_add_u64 v[46:47], s[4:5], 0, v[58:59]
	v_cvt_pkrtz_f16_f32 v50, v52, v53
	v_cvt_pkrtz_f16_f32 v51, v6, v7
	v_mfma_f32_16x16x16_f16 v[38:41], v[48:49], v[18:19], v[38:41]
	v_cvt_pk_f32_fp8_e32 v[6:7], v8
	v_cvt_pk_f32_fp8_sdwa v[48:49], v8 src0_sel:WORD_1
	v_cvt_pk_f32_fp8_sdwa v[52:53], v2 src0_sel:WORD_1
	v_mfma_f32_16x16x16_f16 v[38:41], v[50:51], v[20:21], v[38:41]
	v_cvt_pk_f32_fp8_e32 v[50:51], v9
	v_cvt_pkrtz_f16_f32 v6, v6, v7
	v_cvt_pkrtz_f16_f32 v7, v48, v49
	v_cvt_pk_f32_fp8_sdwa v[8:9], v9 src0_sel:WORD_1
	v_cvt_pkrtz_f16_f32 v48, v50, v51
	v_cvt_pk_f32_fp8_e32 v[50:51], v2
	v_lshlrev_b32_e32 v58, 5, v65
	v_cvt_pkrtz_f16_f32 v49, v8, v9
	v_mfma_f32_16x16x16_f16 v[6:9], v[6:7], v[14:15], v[38:41]
	v_cvt_pkrtz_f16_f32 v50, v50, v51
	v_cvt_pkrtz_f16_f32 v51, v52, v53
	v_cvt_pk_f32_fp8_e32 v[52:53], v3
	v_cvt_pk_f32_fp8_sdwa v[2:3], v3 src0_sel:WORD_1
	v_mfma_f32_16x16x16_f16 v[38:41], v[48:49], v[16:17], v[6:9]
	v_lshl_add_u64 v[48:49], v[46:47], 0, v[58:59]
	v_cvt_pkrtz_f16_f32 v52, v52, v53
	v_cvt_pkrtz_f16_f32 v53, v2, v3
	v_mfma_f32_16x16x16_f16 v[6:9], v[50:51], v[30:31], 0
	v_cvt_pk_f32_fp8_e32 v[2:3], v4
	v_cvt_pk_f32_fp8_sdwa v[50:51], v4 src0_sel:WORD_1
	s_waitcnt vmcnt(3)
	v_mad_i64_i32 v[60:61], s[4:5], v69, s45, v[48:49]
	v_cvt_pkrtz_f16_f32 v2, v2, v3
	v_cvt_pkrtz_f16_f32 v3, v50, v51
	v_mfma_f32_16x16x16_f16 v[6:9], v[52:53], v[32:33], v[6:9]
	v_cvt_pk_f32_fp8_e32 v[50:51], v5
	v_cvt_pk_f32_fp8_sdwa v[4:5], v5 src0_sel:WORD_1
	s_waitcnt vmcnt(2)
	v_mad_i64_i32 v[70:71], s[4:5], v67, s45, v[48:49]
	v_cvt_pkrtz_f16_f32 v50, v50, v51
	v_cvt_pkrtz_f16_f32 v51, v4, v5
	v_mfma_f32_16x16x16_f16 v[2:5], v[2:3], v[22:23], v[6:9]
	v_or_b32_e32 v58, 0x800, v58
	s_nop 1
	v_cvt_pk_f32_fp8_e32 v[6:7], v42
	v_cvt_pk_f32_fp8_sdwa v[8:9], v42 src0_sel:WORD_1
	v_cvt_pk_f32_fp8_sdwa v[42:43], v43 src0_sel:WORD_1
	v_mfma_f32_16x16x16_f16 v[50:53], v[50:51], v[24:25], v[2:5]
	v_cvt_pkrtz_f16_f32 v72, v6, v7
	v_cvt_pkrtz_f16_f32 v73, v8, v9
	global_load_dwordx4 v[6:9], v[60:61], off
	global_load_dwordx4 v[2:5], v[70:71], off
	v_cvt_pkrtz_f16_f32 v60, v74, v75
	v_cvt_pkrtz_f16_f32 v61, v42, v43
	v_mfma_f32_16x16x16_f16 v[70:73], v[72:73], v[18:19], v[50:53]
	v_cvt_pk_f32_fp8_e32 v[42:43], v44
	v_cvt_pkrtz_f16_f32 v42, v42, v43
	s_nop 0
	v_cvt_pk_f32_fp8_sdwa v[52:53], v44 src0_sel:WORD_1
	v_mfma_f32_16x16x16_f16 v[70:73], v[60:61], v[20:21], v[70:73]
	v_cvt_pk_f32_fp8_e32 v[60:61], v45
	s_waitcnt vmcnt(3)
	v_mad_i64_i32 v[50:51], s[4:5], v68, s45, v[48:49]
	s_load_dword s4, s[0:1], 0x1c
	s_load_dwordx4 s[40:43], s[0:1], 0x80
	v_cvt_pkrtz_f16_f32 v43, v52, v53
	v_cvt_pkrtz_f16_f32 v74, v60, v61
	v_cvt_pk_f32_fp8_e32 v[52:53], v26
	v_cvt_pk_f32_fp8_sdwa v[60:61], v26 src0_sel:WORD_1
	s_load_dword s33, s[0:1], 0x98
	s_waitcnt lgkmcnt(0)
	s_load_dword s5, s[40:41], 0x0
	v_cvt_pk_f32_fp8_sdwa v[44:45], v45 src0_sel:WORD_1
	v_cvt_pkrtz_f16_f32 v52, v52, v53
	v_cvt_pkrtz_f16_f32 v53, v60, v61
	v_cvt_pk_f32_fp8_e32 v[60:61], v27
	v_cvt_pk_f32_fp8_sdwa v[26:27], v27 src0_sel:WORD_1
	v_cvt_pkrtz_f16_f32 v75, v44, v45
	v_mfma_f32_16x16x16_f16 v[42:45], v[42:43], v[14:15], v[70:73]
	v_cvt_pkrtz_f16_f32 v60, v60, v61
	v_cvt_pkrtz_f16_f32 v61, v26, v27
	v_mov_b32_e32 v26, s4
	v_mfma_f32_16x16x16_f16 v[70:73], v[52:53], v[30:31], 0
	s_waitcnt lgkmcnt(0)
	v_mul_f32_e32 v52, s5, v26
	v_cvt_pk_f32_fp8_e32 v[26:27], v28
	v_cvt_pk_f32_fp8_sdwa v[30:31], v28 src0_sel:WORD_1
	v_mfma_f32_16x16x16_f16 v[70:73], v[60:61], v[32:33], v[70:73]
	v_cvt_pk_f32_fp8_e32 v[32:33], v29
	v_cvt_pk_f32_fp8_sdwa v[28:29], v29 src0_sel:WORD_1
	v_cvt_pkrtz_f16_f32 v26, v26, v27
	v_cvt_pkrtz_f16_f32 v27, v30, v31
	v_mfma_f32_16x16x16_f16 v[42:45], v[74:75], v[16:17], v[42:45]
	v_cvt_pkrtz_f16_f32 v32, v32, v33
	v_cvt_pkrtz_f16_f32 v33, v28, v29
	v_cvt_pk_f32_fp8_e32 v[60:61], v10
	v_cvt_pk_f32_fp8_sdwa v[74:75], v10 src0_sel:WORD_1
	v_mfma_f32_16x16x16_f16 v[26:29], v[26:27], v[22:23], v[70:73]
	v_pk_mul_f32 v[30:31], v[52:53], v[36:37] op_sel_hi:[0,1]
	v_cvt_pkrtz_f16_f32 v36, v60, v61
	v_cvt_pkrtz_f16_f32 v37, v74, v75
	v_cvt_pk_f32_fp8_e32 v[60:61], v11
	v_cvt_pk_f32_fp8_sdwa v[70:71], v11 src0_sel:WORD_1
	v_mfma_f32_16x16x16_f16 v[22:25], v[32:33], v[24:25], v[26:29]
	v_pk_mul_f32 v[10:11], v[52:53], v[34:35] op_sel_hi:[0,1]
	v_cvt_pkrtz_f16_f32 v60, v60, v61
	v_cvt_pkrtz_f16_f32 v61, v70, v71
	v_mfma_f32_16x16x16_f16 v[32:35], v[36:37], v[18:19], v[22:25]
	v_cvt_pk_f32_fp8_e32 v[18:19], v12
	v_cvt_pk_f32_fp8_sdwa v[36:37], v12 src0_sel:WORD_1
	s_waitcnt vmcnt(2)
	v_mad_i64_i32 v[48:49], s[8:9], v66, s45, v[48:49]
	global_load_dwordx4 v[26:29], v[50:51], off
	global_load_dwordx4 v[22:25], v[48:49], off
	v_cvt_pkrtz_f16_f32 v48, v18, v19
	v_cvt_pkrtz_f16_f32 v49, v36, v37
	v_cvt_pk_f32_fp8_e32 v[36:37], v13
	v_cvt_pk_f32_fp8_sdwa v[12:13], v13 src0_sel:WORD_1
	v_mfma_f32_16x16x16_f16 v[18:21], v[60:61], v[20:21], v[32:35]
	v_pk_mul_f32 v[40:41], v[52:53], v[40:41] op_sel_hi:[0,1]
	v_pk_mul_f32 v[42:43], v[52:53], v[42:43] op_sel_hi:[0,1]
	s_mov_b32 s40, 0xff7fffff
	v_cvt_pkrtz_f16_f32 v32, v36, v37
	v_cvt_pkrtz_f16_f32 v33, v12, v13
	v_mfma_f32_16x16x16_f16 v[12:15], v[48:49], v[14:15], v[18:21]
	v_pk_mul_f32 v[48:49], v[52:53], v[38:39] op_sel_hi:[0,1]
	v_pk_mul_f32 v[38:39], v[52:53], v[44:45] op_sel_hi:[0,1]
	v_mfma_f32_16x16x16_f16 v[12:15], v[32:33], v[16:17], v[12:15]
	s_nop 6
	v_pk_mul_f32 v[36:37], v[52:53], v[12:13] op_sel_hi:[0,1]
	v_and_b32_e32 v12, 0xc0, v0
	v_add_u32_e32 v12, s18, v12
	v_lshl_or_b32 v12, v62, 2, v12
	v_or_b32_e32 v13, 1, v12
	v_pk_mul_f32 v[34:35], v[52:53], v[14:15] op_sel_hi:[0,1]
	v_subrev_u32_e32 v14, s7, v13
	v_add_u32_e32 v16, 1, v14
	v_add_u32_e32 v17, 2, v14
	v_cvt_f32_i32_e32 v15, v14
	v_cvt_f32_i32_e32 v16, v16
	;; [unrolled: 1-line block ×3, first 2 shown]
	v_add_u32_e32 v18, 3, v14
	v_fma_f32 v10, v64, v15, v10
	v_fmac_f32_e32 v11, v64, v16
	v_fma_f32 v51, v64, v17, v30
	v_add_u32_e32 v15, 16, v14
	v_add_u32_e32 v16, 17, v14
	;; [unrolled: 1-line block ×3, first 2 shown]
	v_cvt_f32_i32_e32 v18, v18
	v_cvt_f32_i32_e32 v15, v15
	;; [unrolled: 1-line block ×4, first 2 shown]
	v_fmac_f32_e32 v31, v64, v18
	v_add_u32_e32 v18, 19, v14
	v_fma_f32 v48, v64, v15, v48
	v_fmac_f32_e32 v49, v64, v16
	v_fma_f32 v40, v64, v17, v40
	v_add_u32_e32 v15, 32, v14
	v_add_u32_e32 v16, 33, v14
	;; [unrolled: 1-line block ×3, first 2 shown]
	v_cvt_f32_i32_e32 v18, v18
	v_cvt_f32_i32_e32 v15, v15
	;; [unrolled: 1-line block ×4, first 2 shown]
	v_fmac_f32_e32 v41, v64, v18
	v_add_u32_e32 v18, 35, v14
	v_fma_f32 v42, v64, v15, v42
	v_fmac_f32_e32 v43, v64, v16
	v_fma_f32 v38, v64, v17, v38
	v_add_u32_e32 v15, 48, v14
	v_add_u32_e32 v16, 49, v14
	;; [unrolled: 1-line block ×4, first 2 shown]
	v_cvt_f32_i32_e32 v14, v14
	v_cvt_f32_i32_e32 v15, v15
	;; [unrolled: 1-line block ×3, first 2 shown]
	v_cmp_gt_i32_e64 s[8:9], s7, v12
	v_fmac_f32_e32 v35, v64, v14
	v_mov_b32_e32 v14, 0xff7fffff
	v_cmp_gt_i32_e64 s[10:11], s7, v13
	v_fma_f32 v36, v64, v15, v36
	v_cndmask_b32_e64 v15, v14, v10, s[8:9]
	v_cndmask_b32_e64 v13, v14, v11, s[10:11]
	v_fmac_f32_e32 v37, v64, v16
	v_max3_f32 v13, v15, s40, v13
	v_or_b32_e32 v15, 2, v12
	v_or_b32_e32 v16, 3, v12
	v_cmp_gt_i32_e64 s[12:13], s7, v15
	v_cmp_gt_i32_e64 s[14:15], s7, v16
	v_cvt_f32_i32_e32 v18, v18
	v_cndmask_b32_e64 v15, v14, v51, s[12:13]
	v_cndmask_b32_e64 v16, v14, v31, s[14:15]
	v_max3_f32 v13, v13, v15, v16
	v_or_b32_e32 v15, 16, v12
	v_or_b32_e32 v16, 17, v12
	v_cmp_gt_i32_e64 s[16:17], s7, v15
	v_cmp_gt_i32_e64 s[18:19], s7, v16
	v_fmac_f32_e32 v39, v64, v18
	v_cndmask_b32_e64 v15, v14, v48, s[16:17]
	v_cndmask_b32_e64 v16, v14, v49, s[18:19]
	v_max3_f32 v13, v13, v15, v16
	v_or_b32_e32 v15, 18, v12
	v_or_b32_e32 v16, 19, v12
	v_cmp_gt_i32_e64 s[20:21], s7, v15
	v_cmp_gt_i32_e64 s[22:23], s7, v16
	v_cvt_f32_i32_e32 v17, v17
	v_cndmask_b32_e64 v15, v14, v40, s[20:21]
	v_cndmask_b32_e64 v16, v14, v41, s[22:23]
	v_max3_f32 v13, v13, v15, v16
	v_or_b32_e32 v15, 32, v12
	v_or_b32_e32 v16, 33, v12
	v_cmp_gt_i32_e64 s[24:25], s7, v15
	v_cmp_gt_i32_e64 s[26:27], s7, v16
	v_fma_f32 v34, v64, v17, v34
	v_cndmask_b32_e64 v15, v14, v42, s[24:25]
	v_cndmask_b32_e64 v16, v14, v43, s[26:27]
	v_max3_f32 v13, v13, v15, v16
	v_or_b32_e32 v15, 34, v12
	v_or_b32_e32 v16, 35, v12
	v_cmp_gt_i32_e64 s[28:29], s7, v15
	v_cmp_gt_i32_e64 s[30:31], s7, v16
	s_nop 0
	v_cndmask_b32_e64 v15, v14, v38, s[28:29]
	v_cndmask_b32_e64 v16, v14, v39, s[30:31]
	v_max3_f32 v13, v13, v15, v16
	v_or_b32_e32 v15, 48, v12
	v_or_b32_e32 v16, 49, v12
	v_cmp_gt_i32_e64 s[34:35], s7, v15
	v_cmp_gt_i32_e64 s[36:37], s7, v16
	s_nop 0
	v_cndmask_b32_e64 v15, v14, v36, s[34:35]
	v_cndmask_b32_e64 v16, v14, v37, s[36:37]
	v_max3_f32 v13, v13, v15, v16
	v_or_b32_e32 v15, 50, v12
	v_or_b32_e32 v12, 51, v12
	v_cmp_gt_i32_e32 vcc, s7, v15
	v_cmp_gt_i32_e64 s[4:5], s7, v12
	s_nop 0
	v_cndmask_b32_e32 v15, v14, v34, vcc
	v_cndmask_b32_e64 v12, v14, v35, s[4:5]
	v_max3_f32 v16, v13, v15, v12
	v_mbcnt_lo_u32_b32 v12, -1, 0
	v_mbcnt_hi_u32_b32 v17, -1, v12
	v_and_b32_e32 v12, 64, v17
	v_add_u32_e32 v18, 64, v12
	v_xor_b32_e32 v12, 32, v17
	v_cmp_lt_i32_e64 s[38:39], v12, v18
	s_nop 1
	v_cndmask_b32_e64 v12, v17, v12, s[38:39]
	v_lshlrev_b32_e32 v52, 2, v12
	ds_bpermute_b32 v19, v52, v16
	v_lshl_add_u64 v[12:13], v[46:47], 0, v[58:59]
	v_mad_i64_i32 v[14:15], s[38:39], v69, s45, v[12:13]
	s_waitcnt lgkmcnt(0)
	v_max_f32_e32 v19, v19, v19
	v_max_f32_e32 v19, v16, v19
	v_xor_b32_e32 v16, 16, v17
	v_cmp_lt_i32_e64 s[38:39], v16, v18
	s_nop 1
	v_cndmask_b32_e64 v16, v17, v16, s[38:39]
	v_lshlrev_b32_e32 v53, 2, v16
	ds_bpermute_b32 v18, v53, v19
	v_mad_i64_i32 v[16:17], s[38:39], v67, s45, v[12:13]
	v_mad_i64_i32 v[44:45], s[38:39], v68, s45, v[12:13]
	s_waitcnt lgkmcnt(0)
	v_max_f32_e32 v18, v18, v18
	v_max_f32_e32 v50, v19, v18
	v_sub_f32_e32 v10, v10, v50
	v_mul_f32_e32 v10, 0x3fb8aa3b, v10
	v_exp_f32_e32 v18, v10
	v_sub_f32_e32 v10, v11, v50
	v_mul_f32_e32 v10, 0x3fb8aa3b, v10
	v_exp_f32_e32 v19, v10
	v_mad_i64_i32 v[10:11], s[38:39], v66, s45, v[12:13]
	v_sub_f32_e32 v12, v51, v50
	v_mul_f32_e32 v12, 0x3fb8aa3b, v12
	v_cndmask_b32_e64 v46, 0, v18, s[8:9]
	v_cndmask_b32_e64 v47, 0, v19, s[10:11]
	v_sub_f32_e32 v58, v31, v50
	global_load_dwordx4 v[30:33], v[14:15], off
	global_load_dwordx4 v[18:21], v[16:17], off
	v_exp_f32_e32 v51, v12
	global_load_dwordx4 v[14:17], v[44:45], off
	s_nop 0
	global_load_dwordx4 v[10:13], v[10:11], off
	v_sub_f32_e32 v45, v48, v50
	v_sub_f32_e32 v48, v49, v50
	;; [unrolled: 1-line block ×4, first 2 shown]
	v_mul_f32_e32 v44, 0x3fb8aa3b, v58
	v_mul_f32_e32 v45, 0x3fb8aa3b, v45
	;; [unrolled: 1-line block ×5, first 2 shown]
	v_exp_f32_e32 v44, v44
	v_exp_f32_e32 v45, v45
	;; [unrolled: 1-line block ×3, first 2 shown]
	v_cndmask_b32_e64 v48, 0, v51, s[12:13]
	v_exp_f32_e32 v40, v40
	v_exp_f32_e32 v51, v42
	v_sub_f32_e32 v42, v43, v50
	v_mul_f32_e32 v42, 0x3fb8aa3b, v42
	v_cndmask_b32_e64 v49, 0, v44, s[14:15]
	v_cndmask_b32_e64 v44, 0, v45, s[16:17]
	;; [unrolled: 1-line block ×3, first 2 shown]
	v_sub_f32_e32 v41, v41, v50
	v_exp_f32_e32 v58, v42
	v_cndmask_b32_e64 v42, 0, v40, s[20:21]
	v_cndmask_b32_e64 v40, 0, v51, s[24:25]
	v_add_f32_e32 v51, 0, v46
	v_mul_f32_e32 v41, 0x3fb8aa3b, v41
	v_add_f32_e32 v51, v51, v47
	v_exp_f32_e32 v41, v41
	v_add_f32_e32 v51, v51, v48
	v_sub_f32_e32 v38, v38, v50
	v_add_f32_e32 v51, v51, v49
	v_sub_f32_e32 v39, v39, v50
	v_mul_f32_e32 v38, 0x3fb8aa3b, v38
	v_add_f32_e32 v51, v51, v44
	v_exp_f32_e32 v38, v38
	v_mul_f32_e32 v39, 0x3fb8aa3b, v39
	v_sub_f32_e32 v36, v36, v50
	v_add_f32_e32 v51, v51, v45
	v_cndmask_b32_e64 v43, 0, v41, s[22:23]
	v_exp_f32_e32 v39, v39
	v_mul_f32_e32 v36, 0x3fb8aa3b, v36
	v_sub_f32_e32 v37, v37, v50
	v_add_f32_e32 v51, v51, v42
	v_exp_f32_e32 v36, v36
	v_mul_f32_e32 v37, 0x3fb8aa3b, v37
	v_add_f32_e32 v51, v51, v43
	v_sub_f32_e32 v34, v34, v50
	v_cndmask_b32_e64 v41, 0, v58, s[26:27]
	v_exp_f32_e32 v37, v37
	v_add_f32_e32 v51, v51, v40
	v_mul_f32_e32 v34, 0x3fb8aa3b, v34
	v_sub_f32_e32 v35, v35, v50
	v_cndmask_b32_e64 v38, 0, v38, s[28:29]
	v_add_f32_e32 v51, v51, v41
	v_exp_f32_e32 v34, v34
	v_mul_f32_e32 v35, 0x3fb8aa3b, v35
	v_cndmask_b32_e64 v39, 0, v39, s[30:31]
	v_add_f32_e32 v51, v51, v38
	v_exp_f32_e32 v35, v35
	v_cndmask_b32_e64 v36, 0, v36, s[34:35]
	v_add_f32_e32 v51, v51, v39
	v_cndmask_b32_e64 v37, 0, v37, s[36:37]
	v_add_f32_e32 v51, v51, v36
	v_add_f32_e32 v51, v51, v37
	v_cndmask_b32_e32 v34, 0, v34, vcc
	v_add_f32_e32 v51, v51, v34
	v_cndmask_b32_e64 v35, 0, v35, s[4:5]
	v_add_f32_e32 v51, v51, v35
	ds_bpermute_b32 v52, v52, v51
	v_cmp_gt_u32_e32 vcc, 16, v55
	s_waitcnt lgkmcnt(0)
	s_barrier
	v_add_f32_e32 v51, v51, v52
	ds_bpermute_b32 v52, v53, v51
	s_and_saveexec_b64 s[4:5], vcc
	s_cbranch_execz .LBB1026_15
; %bb.14:
	s_waitcnt lgkmcnt(0)
	v_add_f32_e32 v51, v51, v52
	v_lshlrev_b32_e32 v52, 2, v65
	ds_write2st64_b32 v52, v50, v51 offset1:1
.LBB1026_15:
	s_or_b64 exec, exec, s[4:5]
	v_lshlrev_b32_e32 v51, 2, v56
	s_load_dword s7, s[0:1], 0x94
	s_waitcnt lgkmcnt(0)
	s_barrier
	ds_read2_b32 v[52:53], v51 offset1:16
	ds_read2_b32 v[58:59], v51 offset0:32 offset1:48
	ds_read2_b32 v[60:61], v51 offset0:64 offset1:80
	s_mul_i32 s8, s33, 3
	s_waitcnt lgkmcnt(2)
	v_max3_f32 v50, v52, s40, v53
	s_waitcnt lgkmcnt(1)
	v_max3_f32 v50, v50, v58, v59
	v_sub_f32_e32 v52, v52, v50
	v_mul_f32_e32 v52, 0x3fb8aa3b, v52
	v_exp_f32_e32 v55, v52
	v_sub_f32_e32 v52, v53, v50
	v_mul_f32_e32 v52, 0x3fb8aa3b, v52
	v_exp_f32_e32 v64, v52
	;; [unrolled: 3-line block ×3, first 2 shown]
	ds_read2_b32 v[52:53], v51 offset0:96 offset1:112
	v_sub_f32_e32 v51, v59, v50
	v_mul_f32_e32 v51, 0x3fb8aa3b, v51
	v_exp_f32_e32 v59, v51
	s_waitcnt lgkmcnt(1)
	v_fma_f32 v51, v55, v60, 0
	v_fmac_f32_e32 v51, v64, v61
	s_waitcnt lgkmcnt(0)
	v_fmac_f32_e32 v51, v58, v52
	v_fmac_f32_e32 v51, v59, v53
	v_add_f32_e32 v52, 0x358637bd, v51
	v_div_scale_f32 v53, s[4:5], v52, v52, 1.0
	v_rcp_f32_e32 v60, v53
	s_barrier
	v_fma_f32 v61, -v53, v60, 1.0
	v_fmac_f32_e32 v60, v61, v60
	v_div_scale_f32 v61, vcc, 1.0, v52, 1.0
	v_mul_f32_e32 v65, v61, v60
	v_fma_f32 v66, -v53, v65, v61
	v_fmac_f32_e32 v65, v66, v60
	v_fma_f32 v53, -v53, v65, v61
	v_div_fmas_f32 v53, v53, v60, v65
	v_cmp_eq_u32_e32 vcc, 1, v57
	v_div_fixup_f32 v52, v53, v52, 1.0
	s_nop 0
	v_cndmask_b32_e32 v53, v55, v64, vcc
	v_cmp_eq_u32_e32 vcc, 2, v57
	s_nop 1
	v_cndmask_b32_e32 v53, v53, v58, vcc
	v_cmp_eq_u32_e32 vcc, 3, v57
	s_nop 1
	v_cndmask_b32_e32 v53, v53, v59, vcc
	v_mul_f32_e32 v52, v53, v52
	v_pk_mul_f32 v[48:49], v[52:53], v[48:49] op_sel_hi:[0,1]
	v_pk_mul_f32 v[46:47], v[52:53], v[46:47] op_sel_hi:[0,1]
	v_cvt_f16_f32_e32 v53, v48
	v_cvt_f16_f32_e32 v49, v49
	;; [unrolled: 1-line block ×4, first 2 shown]
	v_pk_mul_f32 v[42:43], v[52:53], v[42:43] op_sel_hi:[0,1]
	v_pk_mul_f32 v[44:45], v[52:53], v[44:45] op_sel_hi:[0,1]
	v_pack_b32_f16 v49, v53, v49
	v_cvt_f16_f32_e32 v44, v44
	v_cvt_f16_f32_e32 v45, v45
	v_cvt_f16_f32_e32 v53, v42
	v_cvt_f16_f32_e32 v43, v43
	v_pack_b32_f16 v48, v46, v47
	v_lshlrev_b32_e32 v47, 3, v62
	v_lshlrev_b32_e32 v46, 5, v56
	;; [unrolled: 1-line block ×3, first 2 shown]
	v_or3_b32 v55, v42, v46, v47
	v_pack_b32_f16 v42, v44, v45
	v_pack_b32_f16 v43, v53, v43
	v_pk_mul_f32 v[38:39], v[52:53], v[38:39] op_sel_hi:[0,1]
	v_pk_mul_f32 v[40:41], v[52:53], v[40:41] op_sel_hi:[0,1]
	;; [unrolled: 1-line block ×4, first 2 shown]
	ds_write2st64_b64 v55, v[48:49], v[42:43] offset1:1
	v_cvt_f16_f32_e32 v40, v40
	v_cvt_f16_f32_e32 v41, v41
	v_cvt_f16_f32_e32 v38, v38
	v_cvt_f16_f32_e32 v39, v39
	v_cvt_f16_f32_e32 v36, v36
	v_cvt_f16_f32_e32 v37, v37
	v_cvt_f16_f32_e32 v42, v34
	v_cvt_f16_f32_e32 v43, v35
	v_pack_b32_f16 v34, v40, v41
	v_pack_b32_f16 v35, v38, v39
	;; [unrolled: 1-line block ×4, first 2 shown]
	v_cmp_gt_u32_e32 vcc, 3, v0
	ds_write2st64_b64 v55, v[34:35], v[36:37] offset0:2 offset1:3
	s_and_saveexec_b64 s[4:5], vcc
	s_cbranch_execz .LBB1026_17
; %bb.16:
	s_mov_b32 s49, 0
	v_mov_b32_e32 v57, 0
	v_lshl_add_u64 v[34:35], s[48:49], 0, v[56:57]
	v_mov_b32_e32 v36, s8
	v_mad_u64_u32 v[34:35], s[10:11], s2, v36, v[34:35]
	s_mul_i32 s3, s3, s8
	v_mov_b32_e32 v36, s6
	v_mov_b32_e32 v37, v57
	s_load_dwordx4 s[12:15], s[0:1], 0x58
	v_add_u32_e32 v38, s3, v35
	v_mad_u64_u32 v[34:35], s[10:11], v34, s7, v[36:37]
	v_mov_b32_e32 v36, v35
	v_mad_u64_u32 v[36:37], s[10:11], v38, s7, v[36:37]
	v_mov_b32_e32 v35, v36
	v_lshlrev_b64 v[34:35], 2, v[34:35]
	s_waitcnt lgkmcnt(0)
	v_lshl_add_u64 v[36:37], s[14:15], 0, v[34:35]
	v_lshl_add_u64 v[34:35], s[12:13], 0, v[34:35]
	global_store_dword v[36:37], v50, off
	global_store_dword v[34:35], v51, off
.LBB1026_17:
	s_or_b64 exec, exec, s[4:5]
	s_waitcnt vmcnt(7)
	v_cvt_pk_f32_fp8_e32 v[34:35], v6
	v_cvt_pk_f32_fp8_sdwa v[36:37], v6 src0_sel:WORD_1
	v_lshl_or_b32 v50, v62, 9, v46
	s_waitcnt lgkmcnt(0)
	s_barrier
	v_cvt_pk_f32_fp8_e32 v[38:39], v7
	v_cvt_pkrtz_f16_f32 v6, v34, v35
	v_cvt_pk_f32_fp8_sdwa v[40:41], v7 src0_sel:WORD_1
	v_cvt_pkrtz_f16_f32 v7, v36, v37
	ds_read_b128 v[34:37], v50
	v_cvt_pkrtz_f16_f32 v46, v38, v39
	v_cvt_pkrtz_f16_f32 v47, v40, v41
	ds_read_b128 v[38:41], v50 offset:16
	v_cvt_pk_f32_fp8_e32 v[48:49], v8
	v_cvt_pk_f32_fp8_sdwa v[52:53], v8 src0_sel:WORD_1
	s_waitcnt lgkmcnt(1)
	v_mfma_f32_16x16x16_f16 v[42:45], v[6:7], v[34:35], 0
	s_waitcnt vmcnt(6)
	v_cvt_pk_f32_fp8_e32 v[58:59], v4
	v_cvt_pkrtz_f16_f32 v6, v48, v49
	v_cvt_pkrtz_f16_f32 v7, v52, v53
	v_cvt_pk_f32_fp8_e32 v[48:49], v9
	v_mfma_f32_16x16x16_f16 v[42:45], v[46:47], v[36:37], v[42:45]
	v_cvt_pk_f32_fp8_sdwa v[46:47], v9 src0_sel:WORD_1
	v_cvt_pk_f32_fp8_sdwa v[60:61], v4 src0_sel:WORD_1
	v_cvt_pkrtz_f16_f32 v48, v48, v49
	s_waitcnt lgkmcnt(0)
	v_mfma_f32_16x16x16_f16 v[6:9], v[6:7], v[38:39], v[42:45]
	v_cvt_pkrtz_f16_f32 v49, v46, v47
	s_waitcnt vmcnt(5)
	v_cvt_pk_f32_fp8_e32 v[64:65], v28
	v_cvt_pk_f32_fp8_sdwa v[66:67], v28 src0_sel:WORD_1
	v_cvt_pk_f32_fp8_e32 v[42:43], v2
	v_mfma_f32_16x16x16_f16 v[46:49], v[48:49], v[40:41], v[6:9]
	s_waitcnt vmcnt(4)
	v_cvt_pk_f32_fp8_sdwa v[68:69], v24 src0_sel:WORD_1
	s_load_dword s4, s[42:43], 0x0
	v_cvt_pk_f32_fp8_sdwa v[6:7], v2 src0_sel:WORD_1
	v_cvt_pk_f32_fp8_e32 v[8:9], v3
	v_cvt_pkrtz_f16_f32 v2, v42, v43
	v_cvt_pk_f32_fp8_sdwa v[42:43], v3 src0_sel:WORD_1
	v_cvt_pkrtz_f16_f32 v3, v6, v7
	v_cvt_pkrtz_f16_f32 v52, v8, v9
	ds_read_b128 v[6:9], v50 offset:2048
	v_cvt_pkrtz_f16_f32 v53, v42, v43
	ds_read_b128 v[42:45], v50 offset:2064
	s_waitcnt lgkmcnt(0)
	v_mfma_f32_16x16x16_f16 v[46:49], v[2:3], v[6:7], v[46:49]
	v_cvt_pkrtz_f16_f32 v2, v58, v59
	v_cvt_pkrtz_f16_f32 v3, v60, v61
	v_cvt_pk_f32_fp8_e32 v[58:59], v5
	v_mfma_f32_16x16x16_f16 v[46:49], v[52:53], v[8:9], v[46:49]
	v_cvt_pk_f32_fp8_sdwa v[52:53], v5 src0_sel:WORD_1
	v_cmp_gt_u32_e32 vcc, 64, v0
	v_cvt_pkrtz_f16_f32 v58, v58, v59
	v_mfma_f32_16x16x16_f16 v[2:5], v[2:3], v[42:43], v[46:49]
	v_cvt_pkrtz_f16_f32 v59, v52, v53
	s_mov_b32 s3, 0
	s_nop 0
	v_cvt_pk_f32_fp8_e32 v[46:47], v26
	v_mfma_f32_16x16x16_f16 v[58:61], v[58:59], v[44:45], v[2:5]
	s_nop 2
	v_cvt_pk_f32_fp8_sdwa v[2:3], v26 src0_sel:WORD_1
	v_cvt_pk_f32_fp8_e32 v[4:5], v27
	v_cvt_pkrtz_f16_f32 v26, v46, v47
	v_cvt_pk_f32_fp8_sdwa v[46:47], v27 src0_sel:WORD_1
	v_cvt_pkrtz_f16_f32 v27, v2, v3
	v_cvt_pkrtz_f16_f32 v52, v4, v5
	ds_read_b128 v[2:5], v50 offset:4096
	v_cvt_pkrtz_f16_f32 v53, v46, v47
	ds_read_b128 v[46:49], v50 offset:4112
	s_waitcnt lgkmcnt(1)
	v_mfma_f32_16x16x16_f16 v[58:61], v[26:27], v[2:3], v[58:61]
	v_cvt_pkrtz_f16_f32 v26, v64, v65
	v_cvt_pkrtz_f16_f32 v27, v66, v67
	v_cvt_pk_f32_fp8_e32 v[64:65], v29
	v_mfma_f32_16x16x16_f16 v[58:61], v[52:53], v[4:5], v[58:61]
	v_cvt_pk_f32_fp8_sdwa v[52:53], v29 src0_sel:WORD_1
	v_cvt_pk_f32_fp8_e32 v[66:67], v24
	v_cvt_pkrtz_f16_f32 v64, v64, v65
	s_waitcnt lgkmcnt(0)
	v_mfma_f32_16x16x16_f16 v[26:29], v[26:27], v[46:47], v[58:61]
	v_cvt_pkrtz_f16_f32 v65, v52, v53
	v_cvt_pk_f32_fp8_e32 v[52:53], v22
	s_nop 0
	v_mfma_f32_16x16x16_f16 v[58:61], v[64:65], v[48:49], v[26:29]
	s_nop 2
	v_cvt_pk_f32_fp8_sdwa v[26:27], v22 src0_sel:WORD_1
	v_cvt_pk_f32_fp8_e32 v[28:29], v23
	v_cvt_pkrtz_f16_f32 v22, v52, v53
	v_cvt_pk_f32_fp8_sdwa v[52:53], v23 src0_sel:WORD_1
	v_cvt_pkrtz_f16_f32 v23, v26, v27
	v_cvt_pkrtz_f16_f32 v64, v28, v29
	ds_read_b128 v[26:29], v50 offset:6144
	v_cvt_pkrtz_f16_f32 v65, v52, v53
	s_waitcnt lgkmcnt(0)
	v_mfma_f32_16x16x16_f16 v[58:61], v[22:23], v[26:27], v[58:61]
	ds_read_b128 v[50:53], v50 offset:6160
	v_cvt_pkrtz_f16_f32 v22, v66, v67
	v_cvt_pkrtz_f16_f32 v23, v68, v69
	v_mfma_f32_16x16x16_f16 v[58:61], v[64:65], v[28:29], v[58:61]
	v_cvt_pk_f32_fp8_e32 v[66:67], v25
	v_cvt_pk_f32_fp8_sdwa v[64:65], v25 src0_sel:WORD_1
	s_waitcnt vmcnt(3)
	v_cvt_pk_f32_fp8_sdwa v[68:69], v32 src0_sel:WORD_1
	s_waitcnt lgkmcnt(0)
	v_mfma_f32_16x16x16_f16 v[22:25], v[22:23], v[50:51], v[58:61]
	v_cvt_pkrtz_f16_f32 v66, v66, v67
	v_cvt_pkrtz_f16_f32 v67, v64, v65
	v_cvt_pk_f32_fp8_e32 v[64:65], v31
	v_cvt_pk_f32_fp8_e32 v[58:59], v30
	v_cvt_pk_f32_fp8_sdwa v[60:61], v30 src0_sel:WORD_1
	v_cvt_pk_f32_fp8_sdwa v[30:31], v31 src0_sel:WORD_1
	v_mfma_f32_16x16x16_f16 v[22:25], v[66:67], v[52:53], v[22:25]
	v_cvt_pkrtz_f16_f32 v58, v58, v59
	v_cvt_pkrtz_f16_f32 v59, v60, v61
	;; [unrolled: 1-line block ×3, first 2 shown]
	v_cvt_pk_f32_fp8_e32 v[66:67], v32
	v_cvt_pkrtz_f16_f32 v65, v30, v31
	v_mfma_f32_16x16x16_f16 v[58:61], v[58:59], v[34:35], 0
	v_cvt_pkrtz_f16_f32 v30, v66, v67
	v_cvt_pkrtz_f16_f32 v31, v68, v69
	v_cvt_pk_f32_fp8_e32 v[66:67], v33
	v_mfma_f32_16x16x16_f16 v[34:37], v[64:65], v[36:37], v[58:61]
	s_barrier
	s_nop 1
	v_cvt_pk_f32_fp8_sdwa v[58:59], v33 src0_sel:WORD_1
	v_cvt_pkrtz_f16_f32 v60, v66, v67
	v_mfma_f32_16x16x16_f16 v[30:33], v[30:31], v[38:39], v[34:37]
	s_waitcnt vmcnt(2)
	v_cvt_pk_f32_fp8_e32 v[38:39], v19
	v_cvt_pkrtz_f16_f32 v61, v58, v59
	v_cvt_pk_f32_fp8_e32 v[34:35], v18
	v_cvt_pk_f32_fp8_sdwa v[36:37], v18 src0_sel:WORD_1
	v_cvt_pk_f32_fp8_sdwa v[18:19], v19 src0_sel:WORD_1
	v_mfma_f32_16x16x16_f16 v[30:33], v[60:61], v[40:41], v[30:33]
	v_cvt_pkrtz_f16_f32 v34, v34, v35
	v_cvt_pkrtz_f16_f32 v35, v36, v37
	;; [unrolled: 1-line block ×3, first 2 shown]
	v_cvt_pk_f32_fp8_e32 v[38:39], v20
	v_cvt_pk_f32_fp8_sdwa v[40:41], v20 src0_sel:WORD_1
	v_cvt_pkrtz_f16_f32 v37, v18, v19
	v_mfma_f32_16x16x16_f16 v[30:33], v[34:35], v[6:7], v[30:33]
	v_cvt_pkrtz_f16_f32 v18, v38, v39
	v_cvt_pkrtz_f16_f32 v19, v40, v41
	v_cvt_pk_f32_fp8_e32 v[34:35], v21
	v_cvt_pk_f32_fp8_sdwa v[20:21], v21 src0_sel:WORD_1
	v_mfma_f32_16x16x16_f16 v[6:9], v[36:37], v[8:9], v[30:33]
	s_nop 2
	v_cvt_pkrtz_f16_f32 v30, v34, v35
	v_cvt_pkrtz_f16_f32 v31, v20, v21
	v_mfma_f32_16x16x16_f16 v[6:9], v[18:19], v[42:43], v[6:9]
	s_waitcnt vmcnt(1)
	v_cvt_pk_f32_fp8_e32 v[18:19], v14
	v_cvt_pk_f32_fp8_sdwa v[20:21], v14 src0_sel:WORD_1
	v_cvt_pk_f32_fp8_sdwa v[32:33], v16 src0_sel:WORD_1
	v_mfma_f32_16x16x16_f16 v[6:9], v[30:31], v[44:45], v[6:9]
	v_cvt_pk_f32_fp8_e32 v[30:31], v15
	v_cvt_pkrtz_f16_f32 v18, v18, v19
	v_cvt_pkrtz_f16_f32 v19, v20, v21
	v_cvt_pk_f32_fp8_sdwa v[14:15], v15 src0_sel:WORD_1
	v_cvt_pkrtz_f16_f32 v20, v30, v31
	v_cvt_pk_f32_fp8_e32 v[30:31], v16
	v_mfma_f32_16x16x16_f16 v[6:9], v[18:19], v[2:3], v[6:9]
	v_cvt_pkrtz_f16_f32 v21, v14, v15
	v_cvt_pkrtz_f16_f32 v14, v30, v31
	;; [unrolled: 1-line block ×3, first 2 shown]
	v_cvt_pk_f32_fp8_e32 v[18:19], v17
	v_cvt_pk_f32_fp8_sdwa v[16:17], v17 src0_sel:WORD_1
	v_mfma_f32_16x16x16_f16 v[2:5], v[20:21], v[4:5], v[6:9]
	s_waitcnt vmcnt(0)
	v_cvt_pk_f32_fp8_sdwa v[20:21], v12 src0_sel:WORD_1
	s_nop 0
	v_cvt_pkrtz_f16_f32 v8, v18, v19
	v_cvt_pkrtz_f16_f32 v9, v16, v17
	v_mfma_f32_16x16x16_f16 v[2:5], v[14:15], v[46:47], v[2:5]
	v_cvt_pk_f32_fp8_e32 v[16:17], v10
	v_cvt_pk_f32_fp8_sdwa v[18:19], v10 src0_sel:WORD_1
	v_pk_mul_f32 v[6:7], v[24:25], s[4:5] op_sel_hi:[1,0]
	v_mfma_f32_16x16x16_f16 v[2:5], v[8:9], v[48:49], v[2:5]
	v_cvt_pk_f32_fp8_e32 v[8:9], v11
	v_cvt_pkrtz_f16_f32 v16, v16, v17
	v_cvt_pkrtz_f16_f32 v17, v18, v19
	v_cvt_pk_f32_fp8_sdwa v[10:11], v11 src0_sel:WORD_1
	v_cvt_pkrtz_f16_f32 v8, v8, v9
	v_cvt_pk_f32_fp8_e32 v[18:19], v12
	v_mfma_f32_16x16x16_f16 v[2:5], v[16:17], v[26:27], v[2:5]
	v_cvt_pkrtz_f16_f32 v9, v10, v11
	v_cvt_pkrtz_f16_f32 v10, v18, v19
	;; [unrolled: 1-line block ×3, first 2 shown]
	v_cvt_pk_f32_fp8_e32 v[16:17], v13
	v_cvt_pk_f32_fp8_sdwa v[12:13], v13 src0_sel:WORD_1
	v_mfma_f32_16x16x16_f16 v[2:5], v[8:9], v[28:29], v[2:5]
	v_pk_mul_f32 v[14:15], v[22:23], s[4:5] op_sel_hi:[1,0]
	v_cvt_pkrtz_f16_f32 v8, v16, v17
	v_cvt_pkrtz_f16_f32 v9, v12, v13
	v_mfma_f32_16x16x16_f16 v[2:5], v[10:11], v[50:51], v[2:5]
	v_cvt_f16_f32_e32 v14, v14
	v_cvt_f16_f32_e32 v10, v15
	;; [unrolled: 1-line block ×3, first 2 shown]
	v_mfma_f32_16x16x16_f16 v[2:5], v[8:9], v[52:53], v[2:5]
	v_cvt_f16_f32_e32 v7, v7
	s_nop 5
	v_pk_mul_f32 v[4:5], v[4:5], s[4:5] op_sel_hi:[1,0]
	v_pk_mul_f32 v[2:3], v[2:3], s[4:5] op_sel_hi:[1,0]
	v_cvt_f16_f32_e32 v11, v4
	v_cvt_f16_f32_e32 v8, v2
	;; [unrolled: 1-line block ×4, first 2 shown]
	v_cmp_ne_u32_e64 s[4:5], 3, v62
	v_pack_b32_f16 v2, v14, v10
	v_pack_b32_f16 v3, v6, v7
	;; [unrolled: 1-line block ×4, first 2 shown]
	s_and_b64 s[4:5], vcc, s[4:5]
	ds_write2st64_b64 v55, v[2:3], v[4:5] offset1:1
	s_waitcnt lgkmcnt(0)
	s_barrier
	s_and_saveexec_b64 s[10:11], s[4:5]
	s_cbranch_execz .LBB1026_19
; %bb.18:
	s_load_dwordx2 s[0:1], s[0:1], 0x68
	s_mul_i32 s2, s8, s2
	s_lshl_b32 s7, s7, 7
	v_lshlrev_b32_e32 v4, 6, v56
	s_mul_hi_u32 s5, s2, s7
	s_mul_i32 s4, s2, s7
	v_lshl_or_b32 v0, v0, 10, v4
	s_lshl_b64 s[4:5], s[4:5], 1
	v_lshlrev_b32_e32 v2, 5, v62
	v_and_b32_e32 v3, 16, v63
	v_and_b32_e32 v0, 0x1a00, v0
	s_waitcnt lgkmcnt(0)
	s_add_u32 s4, s0, s4
	v_or3_b32 v0, v0, v2, v3
	s_addc_u32 s5, s1, s5
	s_lshl_b32 s2, s6, 7
	ds_read_b128 v[2:5], v0
	s_lshl_b64 s[0:1], s[2:3], 1
	s_add_u32 s0, s4, s0
	s_addc_u32 s1, s5, s1
	v_mad_u64_u32 v[0:1], s[2:3], s7, v1, 0
	v_lshl_add_u64 v[0:1], v[0:1], 1, s[0:1]
	v_mov_b32_e32 v55, 0
	v_lshl_add_u64 v[0:1], v[0:1], 0, v[54:55]
	s_waitcnt lgkmcnt(0)
	global_store_dwordx4 v[0:1], v[2:5], off
.LBB1026_19:
	s_endpgm
	.section	.rodata,"a",@progbits
	.p2align	6, 0x0
	.amdhsa_kernel _Z39paged_attention_ll4mi_QKV_mfma16_kernelIDF16_hLN4vllm18Fp8KVCacheDataTypeE1EhLi32ELi128ELi256ELb1ELi3EEvPKT_PKT0_S7_ifPKiS9_S9_iPKfiiiPfSC_PS2_PT2_iSB_SB_
		.amdhsa_group_segment_fixed_size 8192
		.amdhsa_private_segment_fixed_size 0
		.amdhsa_kernarg_size 400
		.amdhsa_user_sgpr_count 2
		.amdhsa_user_sgpr_dispatch_ptr 0
		.amdhsa_user_sgpr_queue_ptr 0
		.amdhsa_user_sgpr_kernarg_segment_ptr 1
		.amdhsa_user_sgpr_dispatch_id 0
		.amdhsa_user_sgpr_kernarg_preload_length 0
		.amdhsa_user_sgpr_kernarg_preload_offset 0
		.amdhsa_user_sgpr_private_segment_size 0
		.amdhsa_uses_dynamic_stack 0
		.amdhsa_enable_private_segment 0
		.amdhsa_system_sgpr_workgroup_id_x 1
		.amdhsa_system_sgpr_workgroup_id_y 1
		.amdhsa_system_sgpr_workgroup_id_z 1
		.amdhsa_system_sgpr_workgroup_info 0
		.amdhsa_system_vgpr_workitem_id 0
		.amdhsa_next_free_vgpr 80
		.amdhsa_next_free_sgpr 50
		.amdhsa_accum_offset 80
		.amdhsa_reserve_vcc 1
		.amdhsa_float_round_mode_32 0
		.amdhsa_float_round_mode_16_64 0
		.amdhsa_float_denorm_mode_32 3
		.amdhsa_float_denorm_mode_16_64 3
		.amdhsa_dx10_clamp 1
		.amdhsa_ieee_mode 1
		.amdhsa_fp16_overflow 0
		.amdhsa_tg_split 0
		.amdhsa_exception_fp_ieee_invalid_op 0
		.amdhsa_exception_fp_denorm_src 0
		.amdhsa_exception_fp_ieee_div_zero 0
		.amdhsa_exception_fp_ieee_overflow 0
		.amdhsa_exception_fp_ieee_underflow 0
		.amdhsa_exception_fp_ieee_inexact 0
		.amdhsa_exception_int_div_zero 0
	.end_amdhsa_kernel
	.section	.text._Z39paged_attention_ll4mi_QKV_mfma16_kernelIDF16_hLN4vllm18Fp8KVCacheDataTypeE1EhLi32ELi128ELi256ELb1ELi3EEvPKT_PKT0_S7_ifPKiS9_S9_iPKfiiiPfSC_PS2_PT2_iSB_SB_,"axG",@progbits,_Z39paged_attention_ll4mi_QKV_mfma16_kernelIDF16_hLN4vllm18Fp8KVCacheDataTypeE1EhLi32ELi128ELi256ELb1ELi3EEvPKT_PKT0_S7_ifPKiS9_S9_iPKfiiiPfSC_PS2_PT2_iSB_SB_,comdat
.Lfunc_end1026:
	.size	_Z39paged_attention_ll4mi_QKV_mfma16_kernelIDF16_hLN4vllm18Fp8KVCacheDataTypeE1EhLi32ELi128ELi256ELb1ELi3EEvPKT_PKT0_S7_ifPKiS9_S9_iPKfiiiPfSC_PS2_PT2_iSB_SB_, .Lfunc_end1026-_Z39paged_attention_ll4mi_QKV_mfma16_kernelIDF16_hLN4vllm18Fp8KVCacheDataTypeE1EhLi32ELi128ELi256ELb1ELi3EEvPKT_PKT0_S7_ifPKiS9_S9_iPKfiiiPfSC_PS2_PT2_iSB_SB_
                                        ; -- End function
	.section	.AMDGPU.csdata,"",@progbits
; Kernel info:
; codeLenInByte = 6316
; NumSgprs: 56
; NumVgprs: 80
; NumAgprs: 0
; TotalNumVgprs: 80
; ScratchSize: 0
; MemoryBound: 0
; FloatMode: 240
; IeeeMode: 1
; LDSByteSize: 8192 bytes/workgroup (compile time only)
; SGPRBlocks: 6
; VGPRBlocks: 9
; NumSGPRsForWavesPerEU: 56
; NumVGPRsForWavesPerEU: 80
; AccumOffset: 80
; Occupancy: 6
; WaveLimiterHint : 1
; COMPUTE_PGM_RSRC2:SCRATCH_EN: 0
; COMPUTE_PGM_RSRC2:USER_SGPR: 2
; COMPUTE_PGM_RSRC2:TRAP_HANDLER: 0
; COMPUTE_PGM_RSRC2:TGID_X_EN: 1
; COMPUTE_PGM_RSRC2:TGID_Y_EN: 1
; COMPUTE_PGM_RSRC2:TGID_Z_EN: 1
; COMPUTE_PGM_RSRC2:TIDIG_COMP_CNT: 0
; COMPUTE_PGM_RSRC3_GFX90A:ACCUM_OFFSET: 19
; COMPUTE_PGM_RSRC3_GFX90A:TG_SPLIT: 0
	.section	.text._Z39paged_attention_ll4mi_QKV_mfma16_kernelIDF16_hLN4vllm18Fp8KVCacheDataTypeE1EhLi32ELi128ELi256ELb1ELi4EEvPKT_PKT0_S7_ifPKiS9_S9_iPKfiiiPfSC_PS2_PT2_iSB_SB_,"axG",@progbits,_Z39paged_attention_ll4mi_QKV_mfma16_kernelIDF16_hLN4vllm18Fp8KVCacheDataTypeE1EhLi32ELi128ELi256ELb1ELi4EEvPKT_PKT0_S7_ifPKiS9_S9_iPKfiiiPfSC_PS2_PT2_iSB_SB_,comdat
	.protected	_Z39paged_attention_ll4mi_QKV_mfma16_kernelIDF16_hLN4vllm18Fp8KVCacheDataTypeE1EhLi32ELi128ELi256ELb1ELi4EEvPKT_PKT0_S7_ifPKiS9_S9_iPKfiiiPfSC_PS2_PT2_iSB_SB_ ; -- Begin function _Z39paged_attention_ll4mi_QKV_mfma16_kernelIDF16_hLN4vllm18Fp8KVCacheDataTypeE1EhLi32ELi128ELi256ELb1ELi4EEvPKT_PKT0_S7_ifPKiS9_S9_iPKfiiiPfSC_PS2_PT2_iSB_SB_
	.globl	_Z39paged_attention_ll4mi_QKV_mfma16_kernelIDF16_hLN4vllm18Fp8KVCacheDataTypeE1EhLi32ELi128ELi256ELb1ELi4EEvPKT_PKT0_S7_ifPKiS9_S9_iPKfiiiPfSC_PS2_PT2_iSB_SB_
	.p2align	8
	.type	_Z39paged_attention_ll4mi_QKV_mfma16_kernelIDF16_hLN4vllm18Fp8KVCacheDataTypeE1EhLi32ELi128ELi256ELb1ELi4EEvPKT_PKT0_S7_ifPKiS9_S9_iPKfiiiPfSC_PS2_PT2_iSB_SB_,@function
_Z39paged_attention_ll4mi_QKV_mfma16_kernelIDF16_hLN4vllm18Fp8KVCacheDataTypeE1EhLi32ELi128ELi256ELb1ELi4EEvPKT_PKT0_S7_ifPKiS9_S9_iPKfiiiPfSC_PS2_PT2_iSB_SB_: ; @_Z39paged_attention_ll4mi_QKV_mfma16_kernelIDF16_hLN4vllm18Fp8KVCacheDataTypeE1EhLi32ELi128ELi256ELb1ELi4EEvPKT_PKT0_S7_ifPKiS9_S9_iPKfiiiPfSC_PS2_PT2_iSB_SB_
; %bb.0:
	s_load_dwordx2 s[8:9], s[0:1], 0x30
	s_mov_b32 s12, s3
	s_mov_b64 s[6:7], 0
	s_waitcnt lgkmcnt(0)
	s_cmp_lg_u64 s[8:9], 0
	s_cselect_b64 s[10:11], -1, 0
	s_and_b64 vcc, exec, s[10:11]
	s_cbranch_vccz .LBB1027_7
; %bb.1:
	s_add_i32 s14, s2, 1
	s_mov_b32 s15, 0
	s_lshl_b64 s[16:17], s[14:15], 2
	s_add_u32 s16, s8, s16
	s_mov_b32 s3, s15
	s_addc_u32 s17, s9, s17
	s_lshl_b64 s[14:15], s[2:3], 2
	s_add_u32 s14, s8, s14
	s_addc_u32 s15, s9, s15
	s_load_dword s5, s[16:17], 0x0
	s_load_dword s13, s[14:15], 0x0
	s_waitcnt lgkmcnt(0)
	s_sub_i32 s5, s5, s13
	s_cmp_eq_u32 s5, 1
	s_cselect_b64 s[14:15], -1, 0
	s_andn2_b64 vcc, exec, s[6:7]
	s_cbranch_vccnz .LBB1027_3
.LBB1027_2:
	s_mov_b32 s3, 0
	s_mov_b64 s[14:15], -1
.LBB1027_3:
	s_andn2_b64 vcc, exec, s[14:15]
	s_cbranch_vccnz .LBB1027_19
; %bb.4:
	s_load_dwordx2 s[6:7], s[0:1], 0x28
	s_lshl_b64 s[14:15], s[2:3], 2
	s_waitcnt lgkmcnt(0)
	s_add_u32 s6, s6, s14
	s_addc_u32 s7, s7, s15
	s_load_dword s33, s[6:7], 0x0
	s_lshl_b32 s18, s12, 8
	s_waitcnt lgkmcnt(0)
	s_cmp_ge_i32 s18, s33
	s_cbranch_scc1 .LBB1027_19
; %bb.5:
	s_load_dwordx2 s[6:7], s[0:1], 0x20
	s_load_dword s5, s[0:1], 0x38
	s_add_i32 s13, s33, 31
	s_ashr_i32 s16, s13, 31
	v_and_b32_e32 v1, 0xcf, v0
	s_lshr_b32 s16, s16, 27
	v_add_u32_e32 v1, s18, v1
	s_add_i32 s13, s13, s16
	v_ashrrev_i32_e32 v2, 31, v1
	s_ashr_i32 s19, s13, 5
	v_lshrrev_b32_e32 v4, 27, v2
	s_add_i32 s19, s19, -1
	s_waitcnt lgkmcnt(0)
	s_mul_i32 s16, s2, s5
	s_mov_b32 s17, 0
	v_add_u32_e32 v2, v1, v4
	s_lshl_b64 s[16:17], s[16:17], 2
	v_ashrrev_i32_e32 v2, 5, v2
	v_mov_b32_e32 v5, s19
	v_cmp_gt_i32_e32 vcc, s33, v1
	s_add_u32 s6, s6, s16
	s_addc_u32 s7, s7, s17
	v_cndmask_b32_e32 v2, v5, v2, vcc
	v_ashrrev_i32_e32 v3, 31, v2
	v_lshl_add_u64 v[6:7], v[2:3], 2, s[6:7]
	v_or_b32_e32 v2, 16, v1
	v_add_u32_e32 v3, v2, v4
	v_ashrrev_i32_e32 v3, 5, v3
	v_cmp_gt_i32_e32 vcc, s33, v2
	s_load_dwordx2 s[16:17], s[0:1], 0x8
	s_nop 0
	v_cndmask_b32_e32 v2, v5, v3, vcc
	v_ashrrev_i32_e32 v3, 31, v2
	v_lshl_add_u64 v[8:9], v[2:3], 2, s[6:7]
	v_or_b32_e32 v2, 32, v1
	v_add_u32_e32 v3, v2, v4
	v_ashrrev_i32_e32 v3, 5, v3
	v_cmp_gt_i32_e32 vcc, s33, v2
	v_or_b32_e32 v1, 48, v1
	s_nop 0
	v_cndmask_b32_e32 v2, v5, v3, vcc
	v_ashrrev_i32_e32 v3, 31, v2
	v_lshl_add_u64 v[12:13], v[2:3], 2, s[6:7]
	v_add_u32_e32 v2, v1, v4
	v_ashrrev_i32_e32 v2, 5, v2
	v_cmp_gt_i32_e32 vcc, s33, v1
	s_nop 1
	v_cndmask_b32_e32 v2, v5, v2, vcc
	v_ashrrev_i32_e32 v3, 31, v2
	v_lshl_add_u64 v[14:15], v[2:3], 2, s[6:7]
	global_load_dword v4, v[6:7], off
	global_load_dword v3, v[8:9], off
	global_load_dword v2, v[12:13], off
	global_load_dword v10, v[14:15], off
	s_andn2_b64 vcc, exec, s[10:11]
	s_cbranch_vccnz .LBB1027_8
; %bb.6:
	s_add_u32 s8, s8, s14
	s_addc_u32 s9, s9, s15
	s_load_dword s5, s[8:9], 0x0
	s_branch .LBB1027_9
.LBB1027_7:
	s_mov_b64 s[14:15], 0
	s_branch .LBB1027_2
.LBB1027_8:
	s_mov_b32 s5, s2
.LBB1027_9:
	s_load_dwordx2 s[8:9], s[0:1], 0x10
	s_load_dwordx4 s[44:47], s[0:1], 0x48
	v_and_b32_e32 v56, 15, v0
	v_bfe_u32 v59, v0, 4, 2
	s_lshl_b32 s13, s4, 2
	v_lshlrev_b32_e32 v5, 3, v56
	v_lshrrev_b32_e32 v60, 6, v0
	v_or_b32_e32 v1, s13, v59
	v_cmp_gt_u32_e64 s[14:15], 64, v0
	v_lshlrev_b32_e32 v54, 1, v5
	v_lshlrev_b32_e32 v57, 5, v59
	;; [unrolled: 1-line block ×3, first 2 shown]
	s_and_saveexec_b64 s[10:11], s[14:15]
	s_cbranch_execz .LBB1027_11
; %bb.10:
	s_load_dwordx2 s[20:21], s[0:1], 0x0
	s_waitcnt lgkmcnt(0)
	s_ashr_i32 s22, s44, 31
	s_mul_hi_u32 s23, s5, s44
	s_mul_i32 s22, s5, s22
	s_add_i32 s23, s23, s22
	s_mul_i32 s22, s5, s44
	s_lshl_b64 s[22:23], s[22:23], 1
	s_add_u32 s20, s20, s22
	v_lshlrev_b32_e32 v6, 7, v1
	s_addc_u32 s21, s21, s23
	v_ashrrev_i32_e32 v7, 31, v6
	v_lshl_add_u64 v[6:7], v[6:7], 1, s[20:21]
	v_mov_b32_e32 v55, 0
	v_lshl_add_u64 v[6:7], v[6:7], 0, v[54:55]
	global_load_dwordx4 v[6:9], v[6:7], off
	v_lshlrev_b32_e32 v11, 8, v0
	v_lshlrev_b32_e32 v5, 8, v56
	v_and_b32_e32 v11, 0x600, v11
	s_movk_i32 s5, 0x800
	v_and_or_b32 v5, v5, s5, v11
	v_lshl_or_b32 v11, v60, 7, v57
	v_and_b32_e32 v12, 16, v58
	v_or3_b32 v5, v5, v11, v12
	s_waitcnt vmcnt(0)
	ds_write_b128 v5, v[6:9]
.LBB1027_11:
	s_or_b64 exec, exec, s[10:11]
	s_waitcnt lgkmcnt(0)
	s_mul_i32 s10, s4, s46
	s_add_u32 s4, s16, s10
	s_addc_u32 s5, s17, 0
	v_mov_b32_e32 v51, 0
	v_mov_b64_e32 v[12:13], s[4:5]
	v_and_b32_e32 v52, 48, v0
	s_waitcnt vmcnt(3)
	v_mad_i64_i32 v[4:5], s[4:5], v4, s45, v[12:13]
	v_lshlrev_b32_e32 v14, 4, v56
	v_mov_b32_e32 v15, v51
	v_lshlrev_b32_e32 v50, 5, v52
	v_lshl_add_u64 v[4:5], v[4:5], 0, v[14:15]
	v_lshl_add_u64 v[4:5], v[4:5], 0, v[50:51]
	s_barrier
	global_load_dwordx4 v[46:49], v[4:5], off
	global_load_dwordx4 v[34:37], v[4:5], off offset:2048
	s_waitcnt vmcnt(4)
	v_mad_i64_i32 v[4:5], s[4:5], v3, s45, v[12:13]
	v_or_b32_e32 v16, 0x100, v14
	v_mov_b32_e32 v17, v51
	s_waitcnt vmcnt(3)
	v_mad_i64_i32 v[2:3], s[4:5], v2, s45, v[12:13]
	s_waitcnt vmcnt(2)
	v_mad_i64_i32 v[10:11], s[4:5], v10, s45, v[12:13]
	v_lshl_add_u64 v[4:5], v[4:5], 0, v[16:17]
	v_lshl_add_u64 v[2:3], v[2:3], 0, v[14:15]
	;; [unrolled: 1-line block ×6, first 2 shown]
	global_load_dwordx4 v[38:41], v[4:5], off
	global_load_dwordx4 v[6:9], v[4:5], off offset:2048
	s_nop 0
	global_load_dwordx4 v[2:5], v[14:15], off
	global_load_dwordx4 v[42:45], v[14:15], off offset:2048
	global_load_dwordx4 v[26:29], v[10:11], off
	s_nop 0
	global_load_dwordx4 v[14:17], v[10:11], off offset:2048
	v_and_b32_e32 v10, 3, v0
	v_lshlrev_b32_e32 v10, 5, v10
	v_lshl_or_b32 v10, v59, 9, v10
	ds_read_b128 v[30:33], v10
	ds_read_b128 v[22:25], v10 offset:16
	ds_read_b128 v[18:21], v10 offset:2048
	ds_read_b128 v[10:13], v10 offset:2064
	v_and_b32_e32 v55, 63, v0
	v_cmp_gt_u32_e32 vcc, 4, v56
	v_mov_b32_e32 v61, 0
	s_and_saveexec_b64 s[4:5], vcc
	s_cbranch_execz .LBB1027_13
; %bb.12:
	s_load_dwordx2 s[16:17], s[0:1], 0x40
	v_or_b32_e32 v62, s13, v56
	v_ashrrev_i32_e32 v63, 31, v62
	s_waitcnt lgkmcnt(0)
	v_lshl_add_u64 v[62:63], v[62:63], 2, s[16:17]
	global_load_dword v61, v[62:63], off
.LBB1027_13:
	s_or_b64 exec, exec, s[4:5]
	s_ashr_i32 s4, s18, 31
	v_or_b32_e32 v50, s18, v52
	s_lshr_b32 s4, s4, 27
	v_add_u32_e32 v52, s4, v50
	v_or_b32_e32 v62, 64, v50
	v_ashrrev_i32_e32 v52, 5, v52
	v_mov_b32_e32 v68, s19
	v_cmp_gt_i32_e32 vcc, s33, v50
	v_add_u32_e32 v63, s4, v62
	v_ashrrev_i32_e32 v63, 5, v63
	v_cndmask_b32_e32 v52, v68, v52, vcc
	v_cmp_gt_i32_e32 vcc, s33, v62
	s_waitcnt vmcnt(7)
	v_cvt_pk_f32_fp8_sdwa v[64:65], v46 src0_sel:WORD_1
	v_ashrrev_i32_e32 v53, 31, v52
	v_cndmask_b32_e32 v62, v68, v63, vcc
	v_ashrrev_i32_e32 v63, 31, v62
	v_lshl_add_u64 v[66:67], v[62:63], 2, s[6:7]
	v_or_b32_e32 v62, 0x80, v50
	v_add_u32_e32 v63, s4, v62
	v_ashrrev_i32_e32 v63, 5, v63
	v_cmp_gt_i32_e32 vcc, s33, v62
	v_or_b32_e32 v50, 0xc0, v50
	v_cvt_pk_f32_fp8_sdwa v[74:75], v48 src0_sel:WORD_1
	v_cndmask_b32_e32 v62, v68, v63, vcc
	v_ashrrev_i32_e32 v63, 31, v62
	v_lshl_add_u64 v[72:73], v[62:63], 2, s[6:7]
	v_cvt_pk_f32_fp8_e32 v[62:63], v46
	v_add_u32_e32 v46, s4, v50
	v_ashrrev_i32_e32 v69, 5, v46
	v_cmp_gt_i32_e32 vcc, s33, v50
	v_cvt_pkrtz_f16_f32 v62, v62, v63
	v_cvt_pkrtz_f16_f32 v63, v64, v65
	v_cvt_pk_f32_fp8_e32 v[64:65], v47
	v_cvt_pk_f32_fp8_sdwa v[46:47], v47 src0_sel:WORD_1
	v_cndmask_b32_e32 v68, v68, v69, vcc
	v_lshl_add_u64 v[52:53], v[52:53], 2, s[6:7]
	v_cvt_pkrtz_f16_f32 v70, v64, v65
	v_cvt_pkrtz_f16_f32 v71, v46, v47
	s_waitcnt lgkmcnt(3)
	v_mfma_f32_16x16x16_f16 v[62:65], v[62:63], v[30:31], 0
	v_cvt_pk_f32_fp8_e32 v[46:47], v48
	v_ashrrev_i32_e32 v69, 31, v68
	v_lshl_add_u64 v[76:77], v[68:69], 2, s[6:7]
	v_mfma_f32_16x16x16_f16 v[68:71], v[70:71], v[32:33], v[62:65]
	s_nop 2
	global_load_dword v65, v[52:53], off
	s_nop 0
	global_load_dword v66, v[66:67], off
	;; [unrolled: 2-line block ×3, first 2 shown]
	global_load_dword v64, v[76:77], off
	v_cvt_pkrtz_f16_f32 v46, v46, v47
	v_cvt_pkrtz_f16_f32 v47, v74, v75
	v_cvt_pk_f32_fp8_e32 v[74:75], v49
	v_cvt_pk_f32_fp8_sdwa v[48:49], v49 src0_sel:WORD_1
	s_waitcnt vmcnt(10)
	v_cvt_pk_f32_fp8_sdwa v[72:73], v36 src0_sel:WORD_1
	s_waitcnt vmcnt(7)
	v_cvt_pk_f32_fp8_sdwa v[78:79], v5 src0_sel:WORD_1
	v_cvt_pkrtz_f16_f32 v52, v74, v75
	v_cvt_pkrtz_f16_f32 v53, v48, v49
	s_waitcnt lgkmcnt(2)
	v_mfma_f32_16x16x16_f16 v[46:49], v[46:47], v[22:23], v[68:71]
	v_cvt_pk_f32_fp8_sdwa v[74:75], v4 src0_sel:WORD_1
	s_add_u32 s4, s8, s10
	s_addc_u32 s5, s9, 0
	v_cvt_pk_f32_fp8_e32 v[68:69], v34
	v_cvt_pk_f32_fp8_sdwa v[70:71], v34 src0_sel:WORD_1
	v_mfma_f32_16x16x16_f16 v[46:49], v[52:53], v[24:25], v[46:49]
	v_cvt_pk_f32_fp8_e32 v[52:53], v35
	v_cvt_pkrtz_f16_f32 v68, v68, v69
	v_cvt_pkrtz_f16_f32 v69, v70, v71
	v_cvt_pk_f32_fp8_sdwa v[34:35], v35 src0_sel:WORD_1
	v_cvt_pkrtz_f16_f32 v52, v52, v53
	v_cvt_pk_f32_fp8_e32 v[70:71], v36
	s_waitcnt lgkmcnt(1)
	v_mfma_f32_16x16x16_f16 v[46:49], v[68:69], v[18:19], v[46:49]
	v_cvt_pkrtz_f16_f32 v53, v34, v35
	v_cvt_pkrtz_f16_f32 v68, v70, v71
	;; [unrolled: 1-line block ×3, first 2 shown]
	v_cvt_pk_f32_fp8_e32 v[70:71], v37
	v_cvt_pk_f32_fp8_sdwa v[72:73], v37 src0_sel:WORD_1
	v_mfma_f32_16x16x16_f16 v[34:37], v[52:53], v[20:21], v[46:49]
	v_cvt_pk_f32_fp8_sdwa v[52:53], v38 src0_sel:WORD_1
	v_and_b32_e32 v50, 16, v0
	v_lshl_or_b32 v62, v60, 4, v56
	v_cvt_pkrtz_f16_f32 v46, v70, v71
	v_cvt_pkrtz_f16_f32 v47, v72, v73
	s_waitcnt lgkmcnt(0)
	v_mfma_f32_16x16x16_f16 v[34:37], v[68:69], v[10:11], v[34:37]
	v_cvt_pk_f32_fp8_e32 v[48:49], v38
	v_cvt_pk_f32_fp8_e32 v[68:69], v40
	v_cvt_pk_f32_fp8_sdwa v[70:71], v40 src0_sel:WORD_1
	v_mfma_f32_16x16x16_f16 v[34:37], v[46:47], v[12:13], v[34:37]
	v_cvt_pk_f32_fp8_e32 v[46:47], v39
	v_cvt_pkrtz_f16_f32 v48, v48, v49
	v_cvt_pkrtz_f16_f32 v49, v52, v53
	v_cvt_pk_f32_fp8_sdwa v[38:39], v39 src0_sel:WORD_1
	v_cvt_pkrtz_f16_f32 v52, v46, v47
	v_mfma_f32_16x16x16_f16 v[46:49], v[48:49], v[30:31], 0
	v_cvt_pkrtz_f16_f32 v53, v38, v39
	v_cvt_pkrtz_f16_f32 v68, v68, v69
	;; [unrolled: 1-line block ×3, first 2 shown]
	v_cvt_pk_f32_fp8_e32 v[70:71], v41
	v_cvt_pk_f32_fp8_sdwa v[72:73], v41 src0_sel:WORD_1
	v_mfma_f32_16x16x16_f16 v[38:41], v[52:53], v[32:33], v[46:49]
	v_cvt_pk_f32_fp8_e32 v[52:53], v6
	s_mov_b32 s46, 0xff7fffff
	v_cvt_pkrtz_f16_f32 v52, v52, v53
	v_cvt_pkrtz_f16_f32 v48, v70, v71
	;; [unrolled: 1-line block ×3, first 2 shown]
	v_mfma_f32_16x16x16_f16 v[38:41], v[68:69], v[22:23], v[38:41]
	v_cvt_pk_f32_fp8_sdwa v[68:69], v6 src0_sel:WORD_1
	v_cvt_pk_f32_fp8_sdwa v[70:71], v8 src0_sel:WORD_1
	v_lshl_add_u64 v[46:47], s[4:5], 0, v[50:51]
	v_mfma_f32_16x16x16_f16 v[38:41], v[48:49], v[24:25], v[38:41]
	v_cvt_pk_f32_fp8_e32 v[48:49], v7
	v_cvt_pkrtz_f16_f32 v53, v68, v69
	v_cvt_pk_f32_fp8_sdwa v[6:7], v7 src0_sel:WORD_1
	v_cvt_pk_f32_fp8_e32 v[68:69], v8
	v_cvt_pkrtz_f16_f32 v48, v48, v49
	v_mfma_f32_16x16x16_f16 v[38:41], v[52:53], v[18:19], v[38:41]
	v_cvt_pkrtz_f16_f32 v49, v6, v7
	v_cvt_pkrtz_f16_f32 v52, v68, v69
	;; [unrolled: 1-line block ×3, first 2 shown]
	v_cvt_pk_f32_fp8_e32 v[68:69], v9
	v_cvt_pk_f32_fp8_sdwa v[70:71], v9 src0_sel:WORD_1
	v_mfma_f32_16x16x16_f16 v[6:9], v[48:49], v[20:21], v[38:41]
	v_cvt_pk_f32_fp8_e32 v[48:49], v2
	v_lshlrev_b32_e32 v50, 5, v62
	v_lshl_add_u64 v[72:73], v[46:47], 0, v[50:51]
	v_cvt_pkrtz_f16_f32 v38, v68, v69
	v_cvt_pkrtz_f16_f32 v39, v70, v71
	v_mfma_f32_16x16x16_f16 v[6:9], v[52:53], v[10:11], v[6:9]
	v_cvt_pk_f32_fp8_sdwa v[52:53], v2 src0_sel:WORD_1
	s_waitcnt vmcnt(2)
	v_mad_i64_i32 v[76:77], s[4:5], v66, s45, v[72:73]
	v_mfma_f32_16x16x16_f16 v[38:41], v[38:39], v[12:13], v[6:9]
	v_or_b32_e32 v50, 0x800, v50
	v_lshl_add_u64 v[46:47], v[46:47], 0, v[50:51]
	s_nop 0
	v_cvt_pkrtz_f16_f32 v6, v48, v49
	v_cvt_pkrtz_f16_f32 v7, v52, v53
	v_cvt_pk_f32_fp8_e32 v[8:9], v3
	v_cvt_pk_f32_fp8_sdwa v[2:3], v3 src0_sel:WORD_1
	v_mad_i64_i32 v[48:49], s[4:5], v65, s45, v[72:73]
	v_cvt_pkrtz_f16_f32 v52, v8, v9
	v_cvt_pkrtz_f16_f32 v53, v2, v3
	v_mfma_f32_16x16x16_f16 v[6:9], v[6:7], v[30:31], 0
	v_cvt_pk_f32_fp8_e32 v[2:3], v4
	v_mfma_f32_16x16x16_f16 v[68:71], v[52:53], v[32:33], v[6:9]
	v_cvt_pkrtz_f16_f32 v52, v2, v3
	v_cvt_pkrtz_f16_f32 v53, v74, v75
	v_cvt_pk_f32_fp8_e32 v[74:75], v5
	s_nop 1
	global_load_dwordx4 v[6:9], v[48:49], off
	global_load_dwordx4 v[2:5], v[76:77], off
	v_mfma_f32_16x16x16_f16 v[68:71], v[52:53], v[22:23], v[68:71]
	v_cvt_pkrtz_f16_f32 v74, v74, v75
	v_cvt_pkrtz_f16_f32 v75, v78, v79
	s_waitcnt vmcnt(3)
	v_mad_i64_i32 v[48:49], s[4:5], v63, s45, v[72:73]
	s_waitcnt vmcnt(2)
	v_mad_i64_i32 v[52:53], s[4:5], v64, s45, v[72:73]
	v_mfma_f32_16x16x16_f16 v[68:71], v[74:75], v[24:25], v[68:71]
	v_cvt_pk_f32_fp8_e32 v[72:73], v42
	v_cvt_pk_f32_fp8_sdwa v[74:75], v42 src0_sel:WORD_1
	v_cvt_pk_f32_fp8_e32 v[76:77], v43
	v_cvt_pk_f32_fp8_sdwa v[42:43], v43 src0_sel:WORD_1
	v_cvt_pkrtz_f16_f32 v72, v72, v73
	v_cvt_pkrtz_f16_f32 v73, v74, v75
	;; [unrolled: 1-line block ×4, first 2 shown]
	v_cvt_pk_f32_fp8_e32 v[42:43], v44
	v_cvt_pk_f32_fp8_sdwa v[76:77], v44 src0_sel:WORD_1
	v_mfma_f32_16x16x16_f16 v[68:71], v[72:73], v[18:19], v[68:71]
	v_cvt_pk_f32_fp8_sdwa v[78:79], v45 src0_sel:WORD_1
	v_cvt_pkrtz_f16_f32 v72, v42, v43
	v_cvt_pkrtz_f16_f32 v73, v76, v77
	v_cvt_pk_f32_fp8_e32 v[76:77], v45
	v_mfma_f32_16x16x16_f16 v[42:45], v[74:75], v[20:21], v[68:71]
	v_cvt_pkrtz_f16_f32 v51, v78, v79
	v_cvt_pk_f32_fp8_sdwa v[74:75], v26 src0_sel:WORD_1
	v_cvt_pkrtz_f16_f32 v50, v76, v77
	v_mfma_f32_16x16x16_f16 v[42:45], v[72:73], v[10:11], v[42:45]
	v_cvt_pk_f32_fp8_e32 v[72:73], v26
	s_load_dword s4, s[0:1], 0x1c
	s_load_dwordx4 s[40:43], s[0:1], 0x80
	s_load_dword s44, s[0:1], 0x98
	s_waitcnt lgkmcnt(0)
	s_load_dword s5, s[40:41], 0x0
	v_mfma_f32_16x16x16_f16 v[68:71], v[50:51], v[12:13], v[42:45]
	s_nop 2
	v_cvt_pk_f32_fp8_e32 v[42:43], v27
	v_cvt_pkrtz_f16_f32 v44, v72, v73
	v_cvt_pkrtz_f16_f32 v45, v74, v75
	v_cvt_pk_f32_fp8_sdwa v[26:27], v27 src0_sel:WORD_1
	v_cvt_pkrtz_f16_f32 v50, v42, v43
	v_cvt_pk_f32_fp8_e32 v[72:73], v28
	v_cvt_pk_f32_fp8_sdwa v[74:75], v28 src0_sel:WORD_1
	v_cvt_pkrtz_f16_f32 v51, v26, v27
	v_mfma_f32_16x16x16_f16 v[42:45], v[44:45], v[30:31], 0
	v_cvt_pkrtz_f16_f32 v30, v72, v73
	v_cvt_pkrtz_f16_f32 v31, v74, v75
	v_cvt_pk_f32_fp8_e32 v[72:73], v29
	v_cvt_pk_f32_fp8_sdwa v[74:75], v29 src0_sel:WORD_1
	v_mfma_f32_16x16x16_f16 v[26:29], v[50:51], v[32:33], v[42:45]
	v_cvt_pkrtz_f16_f32 v32, v72, v73
	v_cvt_pkrtz_f16_f32 v33, v74, v75
	v_mfma_f32_16x16x16_f16 v[26:29], v[30:31], v[22:23], v[26:29]
	v_mov_b32_e32 v42, s4
	s_waitcnt lgkmcnt(0)
	v_mul_f32_e32 v50, s5, v42
	v_pk_mul_f32 v[30:31], v[50:51], v[34:35] op_sel_hi:[0,1]
	v_mfma_f32_16x16x16_f16 v[32:35], v[32:33], v[24:25], v[26:29]
	v_cvt_pk_f32_fp8_e32 v[22:23], v14
	v_cvt_pk_f32_fp8_sdwa v[24:25], v14 src0_sel:WORD_1
	v_pk_mul_f32 v[42:43], v[50:51], v[36:37] op_sel_hi:[0,1]
	v_cvt_pk_f32_fp8_e32 v[26:27], v15
	v_cvt_pk_f32_fp8_sdwa v[14:15], v15 src0_sel:WORD_1
	v_cvt_pkrtz_f16_f32 v36, v22, v23
	v_cvt_pkrtz_f16_f32 v37, v24, v25
	;; [unrolled: 1-line block ×4, first 2 shown]
	v_cvt_pk_f32_fp8_e32 v[14:15], v16
	v_cvt_pk_f32_fp8_sdwa v[72:73], v16 src0_sel:WORD_1
	v_mfma_f32_16x16x16_f16 v[32:35], v[36:37], v[18:19], v[32:35]
	global_load_dwordx4 v[26:29], v[48:49], off
	global_load_dwordx4 v[22:25], v[52:53], off
	v_cvt_pkrtz_f16_f32 v18, v14, v15
	v_cvt_pkrtz_f16_f32 v19, v72, v73
	v_cvt_pk_f32_fp8_e32 v[36:37], v17
	v_cvt_pk_f32_fp8_sdwa v[48:49], v17 src0_sel:WORD_1
	v_mfma_f32_16x16x16_f16 v[14:17], v[44:45], v[20:21], v[32:35]
	v_pk_mul_f32 v[44:45], v[50:51], v[40:41] op_sel_hi:[0,1]
	v_cvt_pkrtz_f16_f32 v20, v36, v37
	v_cvt_pkrtz_f16_f32 v21, v48, v49
	v_mfma_f32_16x16x16_f16 v[14:17], v[18:19], v[10:11], v[14:17]
	v_pk_mul_f32 v[48:49], v[50:51], v[38:39] op_sel_hi:[0,1]
	v_pk_mul_f32 v[38:39], v[50:51], v[70:71] op_sel_hi:[0,1]
	;; [unrolled: 1-line block ×3, first 2 shown]
	v_mfma_f32_16x16x16_f16 v[10:13], v[20:21], v[12:13], v[14:17]
	s_nop 6
	v_pk_mul_f32 v[36:37], v[50:51], v[10:11] op_sel_hi:[0,1]
	v_and_b32_e32 v10, 0xc0, v0
	v_add_u32_e32 v10, s18, v10
	v_lshl_or_b32 v10, v59, 2, v10
	v_or_b32_e32 v11, 1, v10
	v_pk_mul_f32 v[34:35], v[50:51], v[12:13] op_sel_hi:[0,1]
	v_subrev_u32_e32 v12, s33, v11
	v_add_u32_e32 v14, 1, v12
	v_add_u32_e32 v15, 2, v12
	v_cvt_f32_i32_e32 v13, v12
	v_cvt_f32_i32_e32 v14, v14
	;; [unrolled: 1-line block ×3, first 2 shown]
	v_add_u32_e32 v16, 3, v12
	v_fma_f32 v17, v61, v13, v30
	v_fmac_f32_e32 v31, v61, v14
	v_fma_f32 v42, v61, v15, v42
	v_add_u32_e32 v13, 16, v12
	v_add_u32_e32 v14, 17, v12
	;; [unrolled: 1-line block ×3, first 2 shown]
	v_cvt_f32_i32_e32 v16, v16
	v_cvt_f32_i32_e32 v13, v13
	;; [unrolled: 1-line block ×4, first 2 shown]
	v_fmac_f32_e32 v43, v61, v16
	v_add_u32_e32 v16, 19, v12
	v_fma_f32 v52, v61, v13, v48
	v_fmac_f32_e32 v49, v61, v14
	v_fma_f32 v44, v61, v15, v44
	v_add_u32_e32 v13, 32, v12
	v_add_u32_e32 v14, 33, v12
	;; [unrolled: 1-line block ×3, first 2 shown]
	v_cvt_f32_i32_e32 v16, v16
	v_cvt_f32_i32_e32 v13, v13
	;; [unrolled: 1-line block ×4, first 2 shown]
	v_fmac_f32_e32 v45, v61, v16
	v_add_u32_e32 v16, 35, v12
	v_fma_f32 v40, v61, v13, v40
	v_fmac_f32_e32 v41, v61, v14
	v_fma_f32 v38, v61, v15, v38
	v_add_u32_e32 v13, 48, v12
	v_add_u32_e32 v14, 49, v12
	;; [unrolled: 1-line block ×4, first 2 shown]
	v_cvt_f32_i32_e32 v12, v12
	v_cvt_f32_i32_e32 v13, v13
	;; [unrolled: 1-line block ×3, first 2 shown]
	v_cmp_gt_i32_e64 s[4:5], s33, v10
	v_fmac_f32_e32 v35, v61, v12
	v_mov_b32_e32 v12, 0xff7fffff
	v_cmp_gt_i32_e64 s[16:17], s33, v11
	v_fma_f32 v36, v61, v13, v36
	v_cndmask_b32_e64 v13, v12, v17, s[4:5]
	v_cndmask_b32_e64 v11, v12, v31, s[16:17]
	v_fmac_f32_e32 v37, v61, v14
	v_max3_f32 v11, v13, s46, v11
	v_or_b32_e32 v13, 2, v10
	v_or_b32_e32 v14, 3, v10
	v_cmp_gt_i32_e64 s[18:19], s33, v13
	v_cmp_gt_i32_e64 s[20:21], s33, v14
	v_cvt_f32_i32_e32 v16, v16
	v_cndmask_b32_e64 v13, v12, v42, s[18:19]
	v_cndmask_b32_e64 v14, v12, v43, s[20:21]
	v_max3_f32 v11, v11, v13, v14
	v_or_b32_e32 v13, 16, v10
	v_or_b32_e32 v14, 17, v10
	v_cmp_gt_i32_e64 s[22:23], s33, v13
	v_cmp_gt_i32_e64 s[24:25], s33, v14
	v_fmac_f32_e32 v39, v61, v16
	v_cndmask_b32_e64 v13, v12, v52, s[22:23]
	v_cndmask_b32_e64 v14, v12, v49, s[24:25]
	v_max3_f32 v11, v11, v13, v14
	v_or_b32_e32 v13, 18, v10
	v_or_b32_e32 v14, 19, v10
	v_cmp_gt_i32_e64 s[26:27], s33, v13
	v_cmp_gt_i32_e64 s[28:29], s33, v14
	v_cvt_f32_i32_e32 v15, v15
	v_cndmask_b32_e64 v13, v12, v44, s[26:27]
	v_cndmask_b32_e64 v14, v12, v45, s[28:29]
	v_max3_f32 v11, v11, v13, v14
	v_or_b32_e32 v13, 32, v10
	v_or_b32_e32 v14, 33, v10
	v_cmp_gt_i32_e64 s[30:31], s33, v13
	v_cmp_gt_i32_e64 s[34:35], s33, v14
	v_fma_f32 v34, v61, v15, v34
	v_cndmask_b32_e64 v13, v12, v40, s[30:31]
	v_cndmask_b32_e64 v14, v12, v41, s[34:35]
	v_max3_f32 v11, v11, v13, v14
	v_or_b32_e32 v13, 34, v10
	v_or_b32_e32 v14, 35, v10
	v_cmp_gt_i32_e64 s[36:37], s33, v13
	v_cmp_gt_i32_e64 s[38:39], s33, v14
	s_nop 0
	v_cndmask_b32_e64 v13, v12, v38, s[36:37]
	v_cndmask_b32_e64 v14, v12, v39, s[38:39]
	v_max3_f32 v11, v11, v13, v14
	v_or_b32_e32 v13, 48, v10
	v_or_b32_e32 v14, 49, v10
	v_cmp_gt_i32_e64 s[8:9], s33, v13
	v_cmp_gt_i32_e64 s[10:11], s33, v14
	s_nop 0
	v_cndmask_b32_e64 v13, v12, v36, s[8:9]
	v_cndmask_b32_e64 v14, v12, v37, s[10:11]
	v_max3_f32 v11, v11, v13, v14
	v_or_b32_e32 v13, 50, v10
	v_or_b32_e32 v10, 51, v10
	v_cmp_gt_i32_e32 vcc, s33, v13
	v_cmp_gt_i32_e64 s[6:7], s33, v10
	s_nop 0
	v_cndmask_b32_e32 v13, v12, v34, vcc
	v_cndmask_b32_e64 v10, v12, v35, s[6:7]
	v_max3_f32 v14, v11, v13, v10
	v_mbcnt_lo_u32_b32 v10, -1, 0
	v_mbcnt_hi_u32_b32 v15, -1, v10
	v_and_b32_e32 v10, 64, v15
	v_add_u32_e32 v16, 64, v10
	v_xor_b32_e32 v10, 32, v15
	v_cmp_lt_i32_e64 s[40:41], v10, v16
	s_nop 1
	v_cndmask_b32_e64 v10, v15, v10, s[40:41]
	v_lshlrev_b32_e32 v53, 2, v10
	ds_bpermute_b32 v18, v53, v14
	v_mad_i64_i32 v[10:11], s[40:41], v65, s45, v[46:47]
	v_mad_i64_i32 v[12:13], s[40:41], v66, s45, v[46:47]
	s_waitcnt lgkmcnt(0)
	v_max_f32_e32 v18, v18, v18
	v_max_f32_e32 v18, v14, v18
	v_xor_b32_e32 v14, 16, v15
	v_cmp_lt_i32_e64 s[40:41], v14, v16
	s_nop 1
	v_cndmask_b32_e64 v14, v15, v14, s[40:41]
	v_lshlrev_b32_e32 v61, 2, v14
	ds_bpermute_b32 v16, v61, v18
	v_mad_i64_i32 v[14:15], s[40:41], v63, s45, v[46:47]
	v_mad_i64_i32 v[46:47], s[40:41], v64, s45, v[46:47]
	s_waitcnt lgkmcnt(0)
	v_max_f32_e32 v16, v16, v16
	v_max_f32_e32 v48, v18, v16
	v_sub_f32_e32 v16, v31, v48
	global_load_dwordx4 v[30:33], v[10:11], off
	global_load_dwordx4 v[18:21], v[12:13], off
	v_sub_f32_e32 v10, v17, v48
	v_mul_f32_e32 v10, 0x3fb8aa3b, v10
	v_exp_f32_e32 v50, v10
	v_mul_f32_e32 v10, 0x3fb8aa3b, v16
	v_exp_f32_e32 v51, v10
	v_sub_f32_e32 v10, v42, v48
	v_mul_f32_e32 v10, 0x3fb8aa3b, v10
	v_exp_f32_e32 v42, v10
	v_sub_f32_e32 v10, v43, v48
	v_mul_f32_e32 v10, 0x3fb8aa3b, v10
	v_exp_f32_e32 v43, v10
	global_load_dwordx4 v[14:17], v[14:15], off
	s_nop 0
	global_load_dwordx4 v[10:13], v[46:47], off
	v_sub_f32_e32 v40, v40, v48
	v_sub_f32_e32 v38, v38, v48
	v_mul_f32_e32 v40, 0x3fb8aa3b, v40
	v_mul_f32_e32 v38, 0x3fb8aa3b, v38
	v_cndmask_b32_e64 v47, 0, v51, s[16:17]
	v_cndmask_b32_e64 v51, 0, v43, s[20:21]
	v_sub_f32_e32 v43, v49, v48
	v_exp_f32_e32 v40, v40
	v_exp_f32_e32 v49, v38
	v_cndmask_b32_e64 v46, 0, v50, s[4:5]
	v_cndmask_b32_e64 v50, 0, v42, s[18:19]
	v_sub_f32_e32 v42, v52, v48
	v_mul_f32_e32 v42, 0x3fb8aa3b, v42
	v_sub_f32_e32 v38, v39, v48
	v_exp_f32_e32 v42, v42
	v_mul_f32_e32 v43, 0x3fb8aa3b, v43
	v_sub_f32_e32 v44, v44, v48
	v_mul_f32_e32 v38, 0x3fb8aa3b, v38
	v_exp_f32_e32 v43, v43
	v_mul_f32_e32 v44, 0x3fb8aa3b, v44
	v_sub_f32_e32 v45, v45, v48
	v_exp_f32_e32 v52, v38
	v_cndmask_b32_e64 v38, 0, v40, s[30:31]
	v_cndmask_b32_e64 v40, 0, v49, s[36:37]
	v_add_f32_e32 v49, 0, v46
	v_exp_f32_e32 v44, v44
	v_mul_f32_e32 v45, 0x3fb8aa3b, v45
	v_add_f32_e32 v49, v49, v47
	v_exp_f32_e32 v45, v45
	v_sub_f32_e32 v41, v41, v48
	v_add_f32_e32 v49, v49, v50
	v_cndmask_b32_e64 v42, 0, v42, s[22:23]
	v_mul_f32_e32 v41, 0x3fb8aa3b, v41
	v_add_f32_e32 v49, v49, v51
	v_cndmask_b32_e64 v43, 0, v43, s[24:25]
	v_exp_f32_e32 v41, v41
	v_add_f32_e32 v49, v49, v42
	v_cndmask_b32_e64 v44, 0, v44, s[26:27]
	v_add_f32_e32 v49, v49, v43
	v_sub_f32_e32 v36, v36, v48
	v_cndmask_b32_e64 v45, 0, v45, s[28:29]
	v_add_f32_e32 v49, v49, v44
	v_mul_f32_e32 v36, 0x3fb8aa3b, v36
	v_sub_f32_e32 v37, v37, v48
	v_add_f32_e32 v49, v49, v45
	v_exp_f32_e32 v36, v36
	v_mul_f32_e32 v37, 0x3fb8aa3b, v37
	v_sub_f32_e32 v34, v34, v48
	v_cndmask_b32_e64 v39, 0, v41, s[34:35]
	v_add_f32_e32 v49, v49, v38
	v_exp_f32_e32 v37, v37
	v_mul_f32_e32 v34, 0x3fb8aa3b, v34
	v_sub_f32_e32 v35, v35, v48
	v_add_f32_e32 v49, v49, v39
	v_exp_f32_e32 v34, v34
	v_mul_f32_e32 v35, 0x3fb8aa3b, v35
	v_cndmask_b32_e64 v41, 0, v52, s[38:39]
	v_add_f32_e32 v49, v49, v40
	v_exp_f32_e32 v35, v35
	v_add_f32_e32 v49, v49, v41
	v_cndmask_b32_e64 v36, 0, v36, s[8:9]
	v_add_f32_e32 v49, v49, v36
	v_cndmask_b32_e64 v37, 0, v37, s[10:11]
	v_add_f32_e32 v49, v49, v37
	v_cndmask_b32_e32 v34, 0, v34, vcc
	v_add_f32_e32 v49, v49, v34
	v_cndmask_b32_e64 v35, 0, v35, s[6:7]
	v_add_f32_e32 v49, v49, v35
	ds_bpermute_b32 v52, v53, v49
	v_cmp_gt_u32_e32 vcc, 16, v55
	s_waitcnt lgkmcnt(0)
	s_barrier
	v_add_f32_e32 v49, v49, v52
	ds_bpermute_b32 v52, v61, v49
	s_and_saveexec_b64 s[4:5], vcc
	s_cbranch_execz .LBB1027_15
; %bb.14:
	s_waitcnt lgkmcnt(0)
	v_add_f32_e32 v49, v49, v52
	v_lshlrev_b32_e32 v52, 2, v62
	ds_write2st64_b32 v52, v48, v49 offset1:1
.LBB1027_15:
	s_or_b64 exec, exec, s[4:5]
	v_lshlrev_b32_e32 v49, 2, v56
	s_load_dword s6, s[0:1], 0x94
	s_waitcnt lgkmcnt(0)
	s_barrier
	ds_read2_b32 v[52:53], v49 offset1:16
	ds_read2_b32 v[62:63], v49 offset0:32 offset1:48
	ds_read2_b32 v[64:65], v49 offset0:64 offset1:80
	s_lshl_b32 s7, s44, 2
	s_waitcnt lgkmcnt(2)
	v_max3_f32 v48, v52, s46, v53
	s_waitcnt lgkmcnt(1)
	v_max3_f32 v48, v48, v62, v63
	v_sub_f32_e32 v52, v52, v48
	v_mul_f32_e32 v52, 0x3fb8aa3b, v52
	v_exp_f32_e32 v55, v52
	v_sub_f32_e32 v52, v53, v48
	v_mul_f32_e32 v52, 0x3fb8aa3b, v52
	v_exp_f32_e32 v61, v52
	;; [unrolled: 3-line block ×3, first 2 shown]
	ds_read2_b32 v[52:53], v49 offset0:96 offset1:112
	v_sub_f32_e32 v49, v63, v48
	v_mul_f32_e32 v49, 0x3fb8aa3b, v49
	v_exp_f32_e32 v63, v49
	s_waitcnt lgkmcnt(1)
	v_fma_f32 v49, v55, v64, 0
	v_fmac_f32_e32 v49, v61, v65
	s_waitcnt lgkmcnt(0)
	v_fmac_f32_e32 v49, v62, v52
	v_fmac_f32_e32 v49, v63, v53
	v_add_f32_e32 v52, 0x358637bd, v49
	v_div_scale_f32 v53, s[4:5], v52, v52, 1.0
	v_rcp_f32_e32 v64, v53
	s_barrier
	v_fma_f32 v65, -v53, v64, 1.0
	v_fmac_f32_e32 v64, v65, v64
	v_div_scale_f32 v65, vcc, 1.0, v52, 1.0
	v_mul_f32_e32 v66, v65, v64
	v_fma_f32 v67, -v53, v66, v65
	v_fmac_f32_e32 v66, v67, v64
	v_fma_f32 v53, -v53, v66, v65
	v_div_fmas_f32 v53, v53, v64, v66
	v_cmp_eq_u32_e32 vcc, 1, v60
	v_div_fixup_f32 v52, v53, v52, 1.0
	s_nop 0
	v_cndmask_b32_e32 v53, v55, v61, vcc
	v_cmp_eq_u32_e32 vcc, 2, v60
	s_nop 1
	v_cndmask_b32_e32 v53, v53, v62, vcc
	v_cmp_eq_u32_e32 vcc, 3, v60
	s_nop 1
	v_cndmask_b32_e32 v53, v53, v63, vcc
	v_mul_f32_e32 v52, v53, v52
	v_pk_mul_f32 v[50:51], v[52:53], v[50:51] op_sel_hi:[0,1]
	v_pk_mul_f32 v[46:47], v[52:53], v[46:47] op_sel_hi:[0,1]
	v_cvt_f16_f32_e32 v53, v50
	v_cvt_f16_f32_e32 v46, v46
	;; [unrolled: 1-line block ×4, first 2 shown]
	v_pk_mul_f32 v[44:45], v[52:53], v[44:45] op_sel_hi:[0,1]
	v_pk_mul_f32 v[42:43], v[52:53], v[42:43] op_sel_hi:[0,1]
	v_cvt_f16_f32_e32 v42, v42
	v_cvt_f16_f32_e32 v43, v43
	;; [unrolled: 1-line block ×4, first 2 shown]
	v_pack_b32_f16 v50, v46, v47
	v_pack_b32_f16 v51, v53, v51
	v_lshlrev_b32_e32 v47, 3, v59
	v_lshlrev_b32_e32 v46, 5, v56
	v_lshlrev_b32_e32 v53, 11, v60
	v_or3_b32 v55, v53, v46, v47
	v_pack_b32_f16 v42, v42, v43
	v_pack_b32_f16 v43, v44, v45
	v_pk_mul_f32 v[40:41], v[52:53], v[40:41] op_sel_hi:[0,1]
	v_pk_mul_f32 v[38:39], v[52:53], v[38:39] op_sel_hi:[0,1]
	;; [unrolled: 1-line block ×4, first 2 shown]
	ds_write2st64_b64 v55, v[50:51], v[42:43] offset1:1
	v_cvt_f16_f32_e32 v38, v38
	v_cvt_f16_f32_e32 v39, v39
	;; [unrolled: 1-line block ×8, first 2 shown]
	v_pack_b32_f16 v34, v38, v39
	v_pack_b32_f16 v35, v40, v41
	;; [unrolled: 1-line block ×4, first 2 shown]
	v_cmp_gt_u32_e32 vcc, 4, v0
	ds_write2st64_b64 v55, v[34:35], v[36:37] offset0:2 offset1:3
	s_and_saveexec_b64 s[4:5], vcc
	s_cbranch_execz .LBB1027_17
; %bb.16:
	v_or_b32_e32 v34, s13, v0
	v_mov_b32_e32 v35, 0
	v_mov_b32_e32 v36, s7
	v_mad_u64_u32 v[36:37], s[16:17], s2, v36, v[34:35]
	v_mov_b32_e32 v34, s12
	s_load_dwordx4 s[8:11], s[0:1], 0x58
	s_mul_i32 s3, s3, s7
	v_mad_u64_u32 v[34:35], s[16:17], v36, s6, v[34:35]
	v_add_u32_e32 v37, s3, v37
	v_mov_b32_e32 v36, v35
	v_mad_u64_u32 v[36:37], s[16:17], v37, s6, v[36:37]
	v_mov_b32_e32 v35, v36
	v_lshlrev_b64 v[34:35], 2, v[34:35]
	s_waitcnt lgkmcnt(0)
	v_lshl_add_u64 v[36:37], s[10:11], 0, v[34:35]
	v_lshl_add_u64 v[34:35], s[8:9], 0, v[34:35]
	global_store_dword v[36:37], v48, off
	global_store_dword v[34:35], v49, off
.LBB1027_17:
	s_or_b64 exec, exec, s[4:5]
	s_waitcnt vmcnt(7)
	v_cvt_pk_f32_fp8_e32 v[34:35], v6
	v_cvt_pk_f32_fp8_sdwa v[36:37], v6 src0_sel:WORD_1
	v_lshl_or_b32 v50, v59, 9, v46
	s_waitcnt lgkmcnt(0)
	s_barrier
	v_cvt_pk_f32_fp8_e32 v[38:39], v7
	v_cvt_pkrtz_f16_f32 v6, v34, v35
	v_cvt_pk_f32_fp8_sdwa v[40:41], v7 src0_sel:WORD_1
	v_cvt_pkrtz_f16_f32 v7, v36, v37
	ds_read_b128 v[34:37], v50
	v_cvt_pkrtz_f16_f32 v46, v38, v39
	v_cvt_pkrtz_f16_f32 v47, v40, v41
	ds_read_b128 v[38:41], v50 offset:16
	v_cvt_pk_f32_fp8_e32 v[48:49], v8
	v_cvt_pk_f32_fp8_sdwa v[52:53], v8 src0_sel:WORD_1
	s_waitcnt lgkmcnt(1)
	v_mfma_f32_16x16x16_f16 v[42:45], v[6:7], v[34:35], 0
	s_waitcnt vmcnt(6)
	v_cvt_pk_f32_fp8_e32 v[60:61], v4
	v_cvt_pkrtz_f16_f32 v6, v48, v49
	v_cvt_pkrtz_f16_f32 v7, v52, v53
	v_cvt_pk_f32_fp8_e32 v[48:49], v9
	v_mfma_f32_16x16x16_f16 v[42:45], v[46:47], v[36:37], v[42:45]
	v_cvt_pk_f32_fp8_sdwa v[46:47], v9 src0_sel:WORD_1
	v_cvt_pk_f32_fp8_sdwa v[62:63], v4 src0_sel:WORD_1
	v_cvt_pkrtz_f16_f32 v48, v48, v49
	s_waitcnt lgkmcnt(0)
	v_mfma_f32_16x16x16_f16 v[6:9], v[6:7], v[38:39], v[42:45]
	v_cvt_pkrtz_f16_f32 v49, v46, v47
	s_waitcnt vmcnt(5)
	v_cvt_pk_f32_fp8_e32 v[64:65], v28
	v_cvt_pk_f32_fp8_sdwa v[66:67], v28 src0_sel:WORD_1
	v_cvt_pk_f32_fp8_e32 v[42:43], v2
	v_mfma_f32_16x16x16_f16 v[46:49], v[48:49], v[40:41], v[6:9]
	s_waitcnt vmcnt(4)
	v_cvt_pk_f32_fp8_sdwa v[68:69], v24 src0_sel:WORD_1
	s_load_dword s4, s[42:43], 0x0
	v_cvt_pk_f32_fp8_sdwa v[6:7], v2 src0_sel:WORD_1
	v_cvt_pk_f32_fp8_e32 v[8:9], v3
	v_cvt_pkrtz_f16_f32 v2, v42, v43
	v_cvt_pk_f32_fp8_sdwa v[42:43], v3 src0_sel:WORD_1
	v_cvt_pkrtz_f16_f32 v3, v6, v7
	v_cvt_pkrtz_f16_f32 v52, v8, v9
	ds_read_b128 v[6:9], v50 offset:2048
	v_cvt_pkrtz_f16_f32 v53, v42, v43
	ds_read_b128 v[42:45], v50 offset:2064
	s_waitcnt lgkmcnt(0)
	v_mfma_f32_16x16x16_f16 v[46:49], v[2:3], v[6:7], v[46:49]
	v_cvt_pkrtz_f16_f32 v2, v60, v61
	v_cvt_pkrtz_f16_f32 v3, v62, v63
	v_cvt_pk_f32_fp8_e32 v[60:61], v5
	v_mfma_f32_16x16x16_f16 v[46:49], v[52:53], v[8:9], v[46:49]
	v_cvt_pk_f32_fp8_sdwa v[52:53], v5 src0_sel:WORD_1
	s_mov_b32 s3, 0
	v_cvt_pkrtz_f16_f32 v60, v60, v61
	v_mfma_f32_16x16x16_f16 v[2:5], v[2:3], v[42:43], v[46:49]
	v_cvt_pkrtz_f16_f32 v61, v52, v53
	s_nop 1
	v_cvt_pk_f32_fp8_e32 v[46:47], v26
	v_mfma_f32_16x16x16_f16 v[60:63], v[60:61], v[44:45], v[2:5]
	s_nop 2
	v_cvt_pk_f32_fp8_sdwa v[2:3], v26 src0_sel:WORD_1
	v_cvt_pk_f32_fp8_e32 v[4:5], v27
	v_cvt_pkrtz_f16_f32 v26, v46, v47
	v_cvt_pk_f32_fp8_sdwa v[46:47], v27 src0_sel:WORD_1
	v_cvt_pkrtz_f16_f32 v27, v2, v3
	v_cvt_pkrtz_f16_f32 v52, v4, v5
	ds_read_b128 v[2:5], v50 offset:4096
	v_cvt_pkrtz_f16_f32 v53, v46, v47
	ds_read_b128 v[46:49], v50 offset:4112
	s_waitcnt lgkmcnt(1)
	v_mfma_f32_16x16x16_f16 v[60:63], v[26:27], v[2:3], v[60:63]
	v_cvt_pkrtz_f16_f32 v26, v64, v65
	v_cvt_pkrtz_f16_f32 v27, v66, v67
	v_cvt_pk_f32_fp8_e32 v[64:65], v29
	v_mfma_f32_16x16x16_f16 v[60:63], v[52:53], v[4:5], v[60:63]
	v_cvt_pk_f32_fp8_sdwa v[52:53], v29 src0_sel:WORD_1
	v_cvt_pk_f32_fp8_e32 v[66:67], v24
	v_cvt_pkrtz_f16_f32 v64, v64, v65
	s_waitcnt lgkmcnt(0)
	v_mfma_f32_16x16x16_f16 v[26:29], v[26:27], v[46:47], v[60:63]
	v_cvt_pkrtz_f16_f32 v65, v52, v53
	v_cvt_pk_f32_fp8_e32 v[52:53], v22
	s_nop 0
	v_mfma_f32_16x16x16_f16 v[60:63], v[64:65], v[48:49], v[26:29]
	s_nop 2
	v_cvt_pk_f32_fp8_sdwa v[26:27], v22 src0_sel:WORD_1
	v_cvt_pk_f32_fp8_e32 v[28:29], v23
	v_cvt_pkrtz_f16_f32 v22, v52, v53
	v_cvt_pk_f32_fp8_sdwa v[52:53], v23 src0_sel:WORD_1
	v_cvt_pkrtz_f16_f32 v23, v26, v27
	v_cvt_pkrtz_f16_f32 v64, v28, v29
	ds_read_b128 v[26:29], v50 offset:6144
	v_cvt_pkrtz_f16_f32 v65, v52, v53
	s_waitcnt lgkmcnt(0)
	v_mfma_f32_16x16x16_f16 v[60:63], v[22:23], v[26:27], v[60:63]
	ds_read_b128 v[50:53], v50 offset:6160
	v_cvt_pkrtz_f16_f32 v22, v66, v67
	v_cvt_pkrtz_f16_f32 v23, v68, v69
	v_mfma_f32_16x16x16_f16 v[60:63], v[64:65], v[28:29], v[60:63]
	v_cvt_pk_f32_fp8_e32 v[66:67], v25
	v_cvt_pk_f32_fp8_sdwa v[64:65], v25 src0_sel:WORD_1
	s_waitcnt vmcnt(3)
	v_cvt_pk_f32_fp8_sdwa v[68:69], v32 src0_sel:WORD_1
	s_waitcnt lgkmcnt(0)
	v_mfma_f32_16x16x16_f16 v[22:25], v[22:23], v[50:51], v[60:63]
	v_cvt_pkrtz_f16_f32 v66, v66, v67
	v_cvt_pkrtz_f16_f32 v67, v64, v65
	v_cvt_pk_f32_fp8_e32 v[64:65], v31
	v_cvt_pk_f32_fp8_e32 v[60:61], v30
	v_cvt_pk_f32_fp8_sdwa v[62:63], v30 src0_sel:WORD_1
	v_cvt_pk_f32_fp8_sdwa v[30:31], v31 src0_sel:WORD_1
	v_mfma_f32_16x16x16_f16 v[22:25], v[66:67], v[52:53], v[22:25]
	v_cvt_pkrtz_f16_f32 v60, v60, v61
	v_cvt_pkrtz_f16_f32 v61, v62, v63
	;; [unrolled: 1-line block ×3, first 2 shown]
	v_cvt_pk_f32_fp8_e32 v[66:67], v32
	v_cvt_pkrtz_f16_f32 v65, v30, v31
	v_mfma_f32_16x16x16_f16 v[60:63], v[60:61], v[34:35], 0
	v_cvt_pkrtz_f16_f32 v30, v66, v67
	v_cvt_pkrtz_f16_f32 v31, v68, v69
	v_cvt_pk_f32_fp8_e32 v[66:67], v33
	v_mfma_f32_16x16x16_f16 v[34:37], v[64:65], v[36:37], v[60:63]
	s_barrier
	s_nop 1
	v_cvt_pk_f32_fp8_sdwa v[60:61], v33 src0_sel:WORD_1
	v_cvt_pkrtz_f16_f32 v62, v66, v67
	v_mfma_f32_16x16x16_f16 v[30:33], v[30:31], v[38:39], v[34:37]
	s_waitcnt vmcnt(2)
	v_cvt_pk_f32_fp8_e32 v[38:39], v19
	v_cvt_pkrtz_f16_f32 v63, v60, v61
	v_cvt_pk_f32_fp8_e32 v[34:35], v18
	v_cvt_pk_f32_fp8_sdwa v[36:37], v18 src0_sel:WORD_1
	v_cvt_pk_f32_fp8_sdwa v[18:19], v19 src0_sel:WORD_1
	v_mfma_f32_16x16x16_f16 v[30:33], v[62:63], v[40:41], v[30:33]
	v_cvt_pkrtz_f16_f32 v34, v34, v35
	v_cvt_pkrtz_f16_f32 v35, v36, v37
	;; [unrolled: 1-line block ×3, first 2 shown]
	v_cvt_pk_f32_fp8_e32 v[38:39], v20
	v_cvt_pk_f32_fp8_sdwa v[40:41], v20 src0_sel:WORD_1
	v_cvt_pkrtz_f16_f32 v37, v18, v19
	v_mfma_f32_16x16x16_f16 v[30:33], v[34:35], v[6:7], v[30:33]
	v_cvt_pkrtz_f16_f32 v18, v38, v39
	v_cvt_pkrtz_f16_f32 v19, v40, v41
	v_cvt_pk_f32_fp8_e32 v[34:35], v21
	v_cvt_pk_f32_fp8_sdwa v[20:21], v21 src0_sel:WORD_1
	v_mfma_f32_16x16x16_f16 v[6:9], v[36:37], v[8:9], v[30:33]
	s_nop 2
	v_cvt_pkrtz_f16_f32 v30, v34, v35
	v_cvt_pkrtz_f16_f32 v31, v20, v21
	v_mfma_f32_16x16x16_f16 v[6:9], v[18:19], v[42:43], v[6:9]
	s_waitcnt vmcnt(1)
	v_cvt_pk_f32_fp8_e32 v[18:19], v14
	v_cvt_pk_f32_fp8_sdwa v[20:21], v14 src0_sel:WORD_1
	v_cvt_pk_f32_fp8_sdwa v[32:33], v16 src0_sel:WORD_1
	v_mfma_f32_16x16x16_f16 v[6:9], v[30:31], v[44:45], v[6:9]
	v_cvt_pk_f32_fp8_e32 v[30:31], v15
	v_cvt_pkrtz_f16_f32 v18, v18, v19
	v_cvt_pkrtz_f16_f32 v19, v20, v21
	v_cvt_pk_f32_fp8_sdwa v[14:15], v15 src0_sel:WORD_1
	v_cvt_pkrtz_f16_f32 v20, v30, v31
	v_cvt_pk_f32_fp8_e32 v[30:31], v16
	v_mfma_f32_16x16x16_f16 v[6:9], v[18:19], v[2:3], v[6:9]
	v_cvt_pkrtz_f16_f32 v21, v14, v15
	v_cvt_pkrtz_f16_f32 v14, v30, v31
	;; [unrolled: 1-line block ×3, first 2 shown]
	v_cvt_pk_f32_fp8_e32 v[18:19], v17
	v_cvt_pk_f32_fp8_sdwa v[16:17], v17 src0_sel:WORD_1
	v_mfma_f32_16x16x16_f16 v[2:5], v[20:21], v[4:5], v[6:9]
	s_waitcnt vmcnt(0)
	v_cvt_pk_f32_fp8_sdwa v[20:21], v12 src0_sel:WORD_1
	s_nop 0
	v_cvt_pkrtz_f16_f32 v8, v18, v19
	v_cvt_pkrtz_f16_f32 v9, v16, v17
	v_mfma_f32_16x16x16_f16 v[2:5], v[14:15], v[46:47], v[2:5]
	v_cvt_pk_f32_fp8_e32 v[16:17], v10
	v_cvt_pk_f32_fp8_sdwa v[18:19], v10 src0_sel:WORD_1
	v_pk_mul_f32 v[6:7], v[24:25], s[4:5] op_sel_hi:[1,0]
	v_mfma_f32_16x16x16_f16 v[2:5], v[8:9], v[48:49], v[2:5]
	v_cvt_pk_f32_fp8_e32 v[8:9], v11
	v_cvt_pkrtz_f16_f32 v16, v16, v17
	v_cvt_pkrtz_f16_f32 v17, v18, v19
	v_cvt_pk_f32_fp8_sdwa v[10:11], v11 src0_sel:WORD_1
	v_cvt_pkrtz_f16_f32 v8, v8, v9
	v_cvt_pk_f32_fp8_e32 v[18:19], v12
	v_mfma_f32_16x16x16_f16 v[2:5], v[16:17], v[26:27], v[2:5]
	v_cvt_pkrtz_f16_f32 v9, v10, v11
	v_cvt_pkrtz_f16_f32 v10, v18, v19
	v_cvt_pkrtz_f16_f32 v11, v20, v21
	v_cvt_pk_f32_fp8_e32 v[16:17], v13
	v_cvt_pk_f32_fp8_sdwa v[12:13], v13 src0_sel:WORD_1
	v_mfma_f32_16x16x16_f16 v[2:5], v[8:9], v[28:29], v[2:5]
	v_pk_mul_f32 v[14:15], v[22:23], s[4:5] op_sel_hi:[1,0]
	v_cvt_pkrtz_f16_f32 v8, v16, v17
	v_cvt_pkrtz_f16_f32 v9, v12, v13
	v_mfma_f32_16x16x16_f16 v[2:5], v[10:11], v[50:51], v[2:5]
	v_cvt_f16_f32_e32 v14, v14
	v_cvt_f16_f32_e32 v10, v15
	;; [unrolled: 1-line block ×3, first 2 shown]
	v_mfma_f32_16x16x16_f16 v[2:5], v[8:9], v[52:53], v[2:5]
	v_cvt_f16_f32_e32 v7, v7
	s_nop 5
	v_pk_mul_f32 v[4:5], v[4:5], s[4:5] op_sel_hi:[1,0]
	v_pk_mul_f32 v[2:3], v[2:3], s[4:5] op_sel_hi:[1,0]
	v_cvt_f16_f32_e32 v11, v4
	v_cvt_f16_f32_e32 v8, v2
	;; [unrolled: 1-line block ×4, first 2 shown]
	v_pack_b32_f16 v2, v14, v10
	v_pack_b32_f16 v3, v6, v7
	v_pack_b32_f16 v4, v8, v9
	v_pack_b32_f16 v5, v11, v5
	ds_write2st64_b64 v55, v[2:3], v[4:5] offset1:1
	s_waitcnt lgkmcnt(0)
	s_barrier
	s_and_saveexec_b64 s[4:5], s[14:15]
	s_cbranch_execz .LBB1027_19
; %bb.18:
	s_load_dwordx2 s[0:1], s[0:1], 0x68
	s_lshl_b32 s6, s6, 7
	s_mul_i32 s2, s7, s2
	v_lshlrev_b32_e32 v3, 6, v56
	s_mul_hi_u32 s5, s2, s6
	s_mul_i32 s4, s2, s6
	v_lshl_or_b32 v0, v0, 10, v3
	s_lshl_b64 s[4:5], s[4:5], 1
	v_and_b32_e32 v2, 16, v58
	v_and_b32_e32 v0, 0x1a00, v0
	s_waitcnt lgkmcnt(0)
	s_add_u32 s4, s0, s4
	v_or3_b32 v0, v0, v57, v2
	s_addc_u32 s5, s1, s5
	s_lshl_b32 s2, s12, 7
	ds_read_b128 v[2:5], v0
	s_lshl_b64 s[0:1], s[2:3], 1
	s_add_u32 s0, s4, s0
	s_addc_u32 s1, s5, s1
	v_mad_u64_u32 v[0:1], s[2:3], s6, v1, 0
	v_lshl_add_u64 v[0:1], v[0:1], 1, s[0:1]
	v_mov_b32_e32 v55, 0
	v_lshl_add_u64 v[0:1], v[0:1], 0, v[54:55]
	s_waitcnt lgkmcnt(0)
	global_store_dwordx4 v[0:1], v[2:5], off
.LBB1027_19:
	s_endpgm
	.section	.rodata,"a",@progbits
	.p2align	6, 0x0
	.amdhsa_kernel _Z39paged_attention_ll4mi_QKV_mfma16_kernelIDF16_hLN4vllm18Fp8KVCacheDataTypeE1EhLi32ELi128ELi256ELb1ELi4EEvPKT_PKT0_S7_ifPKiS9_S9_iPKfiiiPfSC_PS2_PT2_iSB_SB_
		.amdhsa_group_segment_fixed_size 8192
		.amdhsa_private_segment_fixed_size 0
		.amdhsa_kernarg_size 400
		.amdhsa_user_sgpr_count 2
		.amdhsa_user_sgpr_dispatch_ptr 0
		.amdhsa_user_sgpr_queue_ptr 0
		.amdhsa_user_sgpr_kernarg_segment_ptr 1
		.amdhsa_user_sgpr_dispatch_id 0
		.amdhsa_user_sgpr_kernarg_preload_length 0
		.amdhsa_user_sgpr_kernarg_preload_offset 0
		.amdhsa_user_sgpr_private_segment_size 0
		.amdhsa_uses_dynamic_stack 0
		.amdhsa_enable_private_segment 0
		.amdhsa_system_sgpr_workgroup_id_x 1
		.amdhsa_system_sgpr_workgroup_id_y 1
		.amdhsa_system_sgpr_workgroup_id_z 1
		.amdhsa_system_sgpr_workgroup_info 0
		.amdhsa_system_vgpr_workitem_id 0
		.amdhsa_next_free_vgpr 80
		.amdhsa_next_free_sgpr 48
		.amdhsa_accum_offset 80
		.amdhsa_reserve_vcc 1
		.amdhsa_float_round_mode_32 0
		.amdhsa_float_round_mode_16_64 0
		.amdhsa_float_denorm_mode_32 3
		.amdhsa_float_denorm_mode_16_64 3
		.amdhsa_dx10_clamp 1
		.amdhsa_ieee_mode 1
		.amdhsa_fp16_overflow 0
		.amdhsa_tg_split 0
		.amdhsa_exception_fp_ieee_invalid_op 0
		.amdhsa_exception_fp_denorm_src 0
		.amdhsa_exception_fp_ieee_div_zero 0
		.amdhsa_exception_fp_ieee_overflow 0
		.amdhsa_exception_fp_ieee_underflow 0
		.amdhsa_exception_fp_ieee_inexact 0
		.amdhsa_exception_int_div_zero 0
	.end_amdhsa_kernel
	.section	.text._Z39paged_attention_ll4mi_QKV_mfma16_kernelIDF16_hLN4vllm18Fp8KVCacheDataTypeE1EhLi32ELi128ELi256ELb1ELi4EEvPKT_PKT0_S7_ifPKiS9_S9_iPKfiiiPfSC_PS2_PT2_iSB_SB_,"axG",@progbits,_Z39paged_attention_ll4mi_QKV_mfma16_kernelIDF16_hLN4vllm18Fp8KVCacheDataTypeE1EhLi32ELi128ELi256ELb1ELi4EEvPKT_PKT0_S7_ifPKiS9_S9_iPKfiiiPfSC_PS2_PT2_iSB_SB_,comdat
.Lfunc_end1027:
	.size	_Z39paged_attention_ll4mi_QKV_mfma16_kernelIDF16_hLN4vllm18Fp8KVCacheDataTypeE1EhLi32ELi128ELi256ELb1ELi4EEvPKT_PKT0_S7_ifPKiS9_S9_iPKfiiiPfSC_PS2_PT2_iSB_SB_, .Lfunc_end1027-_Z39paged_attention_ll4mi_QKV_mfma16_kernelIDF16_hLN4vllm18Fp8KVCacheDataTypeE1EhLi32ELi128ELi256ELb1ELi4EEvPKT_PKT0_S7_ifPKiS9_S9_iPKfiiiPfSC_PS2_PT2_iSB_SB_
                                        ; -- End function
	.section	.AMDGPU.csdata,"",@progbits
; Kernel info:
; codeLenInByte = 6264
; NumSgprs: 54
; NumVgprs: 80
; NumAgprs: 0
; TotalNumVgprs: 80
; ScratchSize: 0
; MemoryBound: 0
; FloatMode: 240
; IeeeMode: 1
; LDSByteSize: 8192 bytes/workgroup (compile time only)
; SGPRBlocks: 6
; VGPRBlocks: 9
; NumSGPRsForWavesPerEU: 54
; NumVGPRsForWavesPerEU: 80
; AccumOffset: 80
; Occupancy: 6
; WaveLimiterHint : 1
; COMPUTE_PGM_RSRC2:SCRATCH_EN: 0
; COMPUTE_PGM_RSRC2:USER_SGPR: 2
; COMPUTE_PGM_RSRC2:TRAP_HANDLER: 0
; COMPUTE_PGM_RSRC2:TGID_X_EN: 1
; COMPUTE_PGM_RSRC2:TGID_Y_EN: 1
; COMPUTE_PGM_RSRC2:TGID_Z_EN: 1
; COMPUTE_PGM_RSRC2:TIDIG_COMP_CNT: 0
; COMPUTE_PGM_RSRC3_GFX90A:ACCUM_OFFSET: 19
; COMPUTE_PGM_RSRC3_GFX90A:TG_SPLIT: 0
	.section	.text._Z38paged_attention_ll4mi_QKV_mfma4_kernelIDF16_hLN4vllm18Fp8KVCacheDataTypeE1EhLi32ELi128ELi256ELb0ELi1EEvPKT_PKT0_S7_ifPKiS9_S9_iPKfiiiPfSC_PS2_PT2_iSB_SB_,"axG",@progbits,_Z38paged_attention_ll4mi_QKV_mfma4_kernelIDF16_hLN4vllm18Fp8KVCacheDataTypeE1EhLi32ELi128ELi256ELb0ELi1EEvPKT_PKT0_S7_ifPKiS9_S9_iPKfiiiPfSC_PS2_PT2_iSB_SB_,comdat
	.protected	_Z38paged_attention_ll4mi_QKV_mfma4_kernelIDF16_hLN4vllm18Fp8KVCacheDataTypeE1EhLi32ELi128ELi256ELb0ELi1EEvPKT_PKT0_S7_ifPKiS9_S9_iPKfiiiPfSC_PS2_PT2_iSB_SB_ ; -- Begin function _Z38paged_attention_ll4mi_QKV_mfma4_kernelIDF16_hLN4vllm18Fp8KVCacheDataTypeE1EhLi32ELi128ELi256ELb0ELi1EEvPKT_PKT0_S7_ifPKiS9_S9_iPKfiiiPfSC_PS2_PT2_iSB_SB_
	.globl	_Z38paged_attention_ll4mi_QKV_mfma4_kernelIDF16_hLN4vllm18Fp8KVCacheDataTypeE1EhLi32ELi128ELi256ELb0ELi1EEvPKT_PKT0_S7_ifPKiS9_S9_iPKfiiiPfSC_PS2_PT2_iSB_SB_
	.p2align	8
	.type	_Z38paged_attention_ll4mi_QKV_mfma4_kernelIDF16_hLN4vllm18Fp8KVCacheDataTypeE1EhLi32ELi128ELi256ELb0ELi1EEvPKT_PKT0_S7_ifPKiS9_S9_iPKfiiiPfSC_PS2_PT2_iSB_SB_,@function
_Z38paged_attention_ll4mi_QKV_mfma4_kernelIDF16_hLN4vllm18Fp8KVCacheDataTypeE1EhLi32ELi128ELi256ELb0ELi1EEvPKT_PKT0_S7_ifPKiS9_S9_iPKfiiiPfSC_PS2_PT2_iSB_SB_: ; @_Z38paged_attention_ll4mi_QKV_mfma4_kernelIDF16_hLN4vllm18Fp8KVCacheDataTypeE1EhLi32ELi128ELi256ELb0ELi1EEvPKT_PKT0_S7_ifPKiS9_S9_iPKfiiiPfSC_PS2_PT2_iSB_SB_
; %bb.0:
	s_load_dwordx2 s[20:21], s[0:1], 0x30
	s_mov_b32 s24, s3
	s_mov_b64 s[6:7], 0
	s_waitcnt lgkmcnt(0)
	s_cmp_lg_u64 s[20:21], 0
	s_cselect_b64 s[22:23], -1, 0
	s_and_b64 vcc, exec, s[22:23]
	s_cbranch_vccz .LBB1028_10
; %bb.1:
	s_add_i32 s8, s2, 1
	s_mov_b32 s9, 0
	s_lshl_b64 s[10:11], s[8:9], 2
	s_add_u32 s10, s20, s10
	s_mov_b32 s3, s9
	s_addc_u32 s11, s21, s11
	s_lshl_b64 s[8:9], s[2:3], 2
	s_add_u32 s8, s20, s8
	s_addc_u32 s9, s21, s9
	s_load_dword s5, s[10:11], 0x0
	s_load_dword s12, s[8:9], 0x0
	s_waitcnt lgkmcnt(0)
	s_sub_i32 s5, s5, s12
	s_cmp_eq_u32 s5, 1
	s_cselect_b64 s[8:9], -1, 0
	s_andn2_b64 vcc, exec, s[6:7]
	s_cbranch_vccnz .LBB1028_3
.LBB1028_2:
	s_mov_b32 s3, 0
	s_mov_b64 s[8:9], -1
.LBB1028_3:
	s_andn2_b64 vcc, exec, s[8:9]
	s_cbranch_vccnz .LBB1028_25
; %bb.4:
	s_load_dword s5, s[0:1], 0x9c
	s_load_dwordx2 s[6:7], s[0:1], 0x28
	s_add_u32 s28, s0, 0x90
	s_addc_u32 s29, s1, 0
	s_lshl_b64 s[34:35], s[2:3], 2
	s_waitcnt lgkmcnt(0)
	s_and_b32 s5, s5, 0xffff
	s_add_u32 s6, s6, s34
	s_addc_u32 s7, s7, s35
	s_load_dword s3, s[6:7], 0x0
	s_mul_i32 s10, s24, s5
	s_waitcnt lgkmcnt(0)
	s_cmp_ge_i32 s10, s3
	s_cbranch_scc1 .LBB1028_25
; %bb.5:
	v_and_b32_e32 v1, 0xc0, v0
	v_add_u32_e32 v4, s10, v1
	v_lshrrev_b32_e32 v38, 6, v0
	v_cmp_le_i32_e64 s[6:7], s3, v4
                                        ; implicit-def: $sgpr25
                                        ; implicit-def: $sgpr11
	s_and_saveexec_b64 s[8:9], s[6:7]
	s_xor_b64 s[8:9], exec, s[8:9]
	s_cbranch_execz .LBB1028_7
; %bb.6:
	v_mul_u32_u24_e32 v1, 20, v38
	v_or_b32_e32 v1, 0x1400, v1
	v_mov_b32_e32 v2, 0x1450
	v_mov_b32_e32 v3, 0xff7fffff
	v_mad_u32_u24 v2, v38, 20, v2
	ds_write2_b32 v1, v3, v3 offset1:1
	v_mov_b32_e32 v1, 0
	ds_write2_b32 v2, v1, v1 offset1:1
	v_mov_b32_e32 v2, 0x1408
	v_mov_b32_e32 v4, 0x1458
	s_mov_b32 s11, 0xff7fffff
	s_mov_b32 s25, 0
	v_mad_u32_u24 v2, v38, 20, v2
	v_mad_u32_u24 v4, v38, 20, v4
	ds_write2_b32 v2, v3, v3 offset1:1
	ds_write2_b32 v4, v1, v1 offset1:1
                                        ; implicit-def: $vgpr4
.LBB1028_7:
	s_or_saveexec_b64 s[30:31], s[8:9]
	s_load_dwordx2 s[26:27], s[0:1], 0x68
	s_load_dwordx4 s[16:19], s[0:1], 0x58
	s_load_dword s5, s[28:29], 0x4
	s_load_dwordx4 s[12:15], s[0:1], 0x80
	v_and_b32_e32 v1, 63, v0
	v_and_b32_e32 v39, 3, v0
	v_mov_b32_e32 v37, s25
	v_mov_b32_e32 v40, s11
	v_mov_b32_e32 v36, s25
	v_mov_b32_e32 v35, s25
	v_mov_b32_e32 v34, s25
                                        ; implicit-def: $vgpr30_vgpr31
                                        ; implicit-def: $vgpr22_vgpr23
                                        ; implicit-def: $vgpr14_vgpr15
                                        ; implicit-def: $vgpr10_vgpr11
                                        ; implicit-def: $vgpr6_vgpr7
                                        ; implicit-def: $vgpr2_vgpr3
                                        ; implicit-def: $vgpr26_vgpr27
                                        ; implicit-def: $vgpr18_vgpr19
	s_xor_b64 exec, exec, s[30:31]
	s_cbranch_execz .LBB1028_17
; %bb.8:
	s_load_dwordx2 s[8:9], s[0:1], 0x20
	s_load_dword s11, s[0:1], 0x38
	s_add_i32 s25, s3, 31
	s_ashr_i32 s33, s25, 31
	s_lshr_b32 s33, s33, 27
	v_add_u32_e32 v36, s10, v0
	s_add_i32 s25, s25, s33
	v_ashrrev_i32_e32 v2, 31, v36
	s_ashr_i32 s25, s25, 5
	v_lshrrev_b32_e32 v2, 27, v2
	s_add_i32 s25, s25, -1
	s_waitcnt lgkmcnt(0)
	s_mul_i32 s36, s2, s11
	s_mov_b32 s37, 0
	v_add_u32_e32 v2, v36, v2
	s_lshl_b64 s[36:37], s[36:37], 2
	v_ashrrev_i32_e32 v2, 5, v2
	v_mov_b32_e32 v3, s25
	v_cmp_gt_i32_e32 vcc, s3, v36
	s_add_u32 s8, s8, s36
	s_addc_u32 s9, s9, s37
	v_cndmask_b32_e32 v2, v3, v2, vcc
	v_ashrrev_i32_e32 v3, 31, v2
	v_lshl_add_u64 v[6:7], v[2:3], 2, s[8:9]
	v_ashrrev_i32_e32 v2, 31, v4
	v_lshrrev_b32_e32 v2, 27, v2
	v_add_u32_e32 v2, v4, v2
	v_ashrrev_i32_e32 v8, 5, v2
	v_min_i32_e32 v2, s25, v8
	v_ashrrev_i32_e32 v3, 31, v2
	v_lshl_add_u64 v[4:5], v[2:3], 2, s[8:9]
	v_add_u32_e32 v2, 1, v8
	v_min_i32_e32 v2, s25, v2
	v_ashrrev_i32_e32 v3, 31, v2
	v_lshl_add_u64 v[8:9], v[2:3], 2, s[8:9]
	global_load_dword v2, v[6:7], off
	global_load_dword v26, v[4:5], off
	;; [unrolled: 1-line block ×3, first 2 shown]
	s_load_dwordx4 s[8:11], s[0:1], 0x8
	s_andn2_b64 vcc, exec, s[22:23]
	s_cbranch_vccnz .LBB1028_11
; %bb.9:
	s_add_u32 s20, s20, s34
	s_addc_u32 s21, s21, s35
	s_load_dword s25, s[20:21], 0x0
	s_branch .LBB1028_12
.LBB1028_10:
	s_mov_b64 s[8:9], 0
	s_branch .LBB1028_2
.LBB1028_11:
	s_mov_b32 s25, s2
.LBB1028_12:
	s_load_dwordx4 s[20:23], s[0:1], 0x48
	v_cmp_eq_u32_e32 vcc, 0, v39
	s_mov_b32 s37, 0
	v_mov_b32_e32 v37, 0
	v_mov_b32_e32 v23, 0
	;; [unrolled: 1-line block ×6, first 2 shown]
	s_and_saveexec_b64 s[34:35], vcc
	s_cbranch_execz .LBB1028_14
; %bb.13:
	s_load_dwordx2 s[38:39], s[0:1], 0x0
	s_waitcnt lgkmcnt(0)
	s_ashr_i32 s23, s20, 31
	s_mul_hi_u32 s33, s25, s20
	s_mul_i32 s23, s25, s23
	s_add_i32 s41, s33, s23
	s_mul_i32 s40, s25, s20
	s_lshl_b64 s[40:41], s[40:41], 1
	s_add_u32 s20, s38, s40
	s_addc_u32 s23, s39, s41
	s_lshl_b32 s36, s4, 7
	s_lshl_b64 s[36:37], s[36:37], 1
	s_add_u32 s36, s20, s36
	s_addc_u32 s37, s23, s37
	v_lshlrev_b32_e32 v3, 2, v1
	global_load_dwordx4 v[18:21], v3, s[36:37]
	v_mov_b32_e32 v37, 1.0
.LBB1028_14:
	s_or_b64 exec, exec, s[34:35]
	s_waitcnt lgkmcnt(0)
	s_mul_i32 s20, s4, s22
	s_add_u32 s8, s20, s8
	s_addc_u32 s9, 0, s9
	v_mov_b64_e32 v[4:5], s[8:9]
	s_waitcnt vmcnt(2)
	v_mad_i64_i32 v[2:3], s[8:9], v2, s21, v[4:5]
	v_lshlrev_b32_e32 v4, 4, v0
	v_and_b32_e32 v22, 0x1f0, v4
	v_lshl_add_u64 v[24:25], v[2:3], 0, v[22:23]
	global_load_dwordx4 v[14:17], v[24:25], off
	global_load_dwordx4 v[10:13], v[24:25], off offset:512
	global_load_dwordx4 v[6:9], v[24:25], off offset:1024
	;; [unrolled: 1-line block ×3, first 2 shown]
	s_waitcnt vmcnt(4)
	v_mul_hi_i32 v28, v27, s21
	v_ashrrev_i32_e32 v28, 31, v28
	v_mul_hi_i32 v22, v26, s21
	v_mov_b32_e32 v29, v23
	v_lshrrev_b32_e32 v28, 29, v28
	v_ashrrev_i32_e32 v22, 31, v22
	s_add_u32 s8, s10, s20
	v_mad_i64_i32 v[28:29], s[22:23], v27, s21, v[28:29]
	s_addc_u32 s9, s11, 0
	v_and_b32_e32 v28, -8, v28
	v_lshrrev_b32_e32 v22, 29, v22
	v_lshl_add_u64 v[30:31], s[8:9], 0, v[28:29]
	v_mad_i64_i32 v[32:33], s[10:11], v26, s21, v[22:23]
	global_load_dwordx4 v[26:29], v[24:25], off offset:2048
	global_load_dwordx4 v[40:43], v[24:25], off offset:2560
	global_load_dwordx4 v[44:47], v[24:25], off offset:3072
	global_load_dwordx4 v[48:51], v[24:25], off offset:3584
	v_lshlrev_b32_e32 v22, 5, v1
	v_and_b32_e32 v32, -8, v32
	v_lshl_add_u64 v[34:35], v[30:31], 0, v[22:23]
	v_lshl_add_u64 v[30:31], s[8:9], 0, v[32:33]
	;; [unrolled: 1-line block ×3, first 2 shown]
	s_load_dword s0, s[0:1], 0x1c
	v_cmp_eq_u32_e32 vcc, 1, v39
	s_waitcnt vmcnt(7)
	v_cvt_pk_f32_fp8_e32 v[22:23], v14
	v_cvt_pk_f32_fp8_sdwa v[30:31], v14 src0_sel:WORD_1
	v_cvt_pk_f32_fp8_e32 v[32:33], v15
	v_cvt_pk_f32_fp8_sdwa v[14:15], v15 src0_sel:WORD_1
	;; [unrolled: 2-line block ×3, first 2 shown]
	s_waitcnt vmcnt(4)
	v_cvt_pk_f32_fp8_e32 v[92:93], v2
	v_cvt_pk_f32_fp8_sdwa v[94:95], v2 src0_sel:WORD_1
	v_cvt_pk_f32_fp8_e32 v[96:97], v3
	v_cvt_pk_f32_fp8_sdwa v[98:99], v3 src0_sel:WORD_1
	v_cvt_pkrtz_f16_f32 v2, v22, v23
	v_cvt_pkrtz_f16_f32 v3, v30, v31
	v_cvt_pk_f32_fp8_e32 v[58:59], v17
	v_cvt_pk_f32_fp8_sdwa v[16:17], v17 src0_sel:WORD_1
	v_mfma_f32_4x4x4_16b_f16 a[0:3], v[18:19], v[2:3], 0 cbsz:4
	v_cvt_pk_f32_fp8_e32 v[100:101], v4
	v_cvt_pk_f32_fp8_sdwa v[102:103], v4 src0_sel:WORD_1
	v_cvt_pk_f32_fp8_e32 v[104:105], v5
	v_cvt_pk_f32_fp8_sdwa v[106:107], v5 src0_sel:WORD_1
	v_cvt_pkrtz_f16_f32 v4, v32, v33
	v_cvt_pkrtz_f16_f32 v5, v14, v15
	v_cvt_pk_f32_fp8_e32 v[60:61], v10
	v_cvt_pk_f32_fp8_sdwa v[62:63], v10 src0_sel:WORD_1
	v_mfma_f32_4x4x4_16b_f16 a[0:3], v[20:21], v[4:5], a[0:3] cbsz:4
	v_cvt_pk_f32_fp8_e32 v[76:77], v6
	v_cvt_pk_f32_fp8_sdwa v[78:79], v6 src0_sel:WORD_1
	v_cvt_pk_f32_fp8_e32 v[80:81], v7
	v_cvt_pk_f32_fp8_sdwa v[82:83], v7 src0_sel:WORD_1
	v_cvt_pkrtz_f16_f32 v6, v54, v55
	v_cvt_pkrtz_f16_f32 v7, v56, v57
	v_cvt_pk_f32_fp8_e32 v[64:65], v11
	v_cvt_pk_f32_fp8_sdwa v[66:67], v11 src0_sel:WORD_1
	v_mfma_f32_4x4x4_16b_f16 a[0:3], v[18:19], v[6:7], a[0:3] cbsz:4 abid:1
	v_cvt_pkrtz_f16_f32 v54, v58, v59
	v_cvt_pkrtz_f16_f32 v55, v16, v17
	v_cvt_pk_f32_fp8_e32 v[68:69], v12
	v_cvt_pk_f32_fp8_sdwa v[70:71], v12 src0_sel:WORD_1
	v_mfma_f32_4x4x4_16b_f16 a[0:3], v[20:21], v[54:55], a[0:3] cbsz:4 abid:1
	;; [unrolled: 5-line block ×3, first 2 shown]
	v_cvt_pkrtz_f16_f32 v58, v64, v65
	v_cvt_pkrtz_f16_f32 v59, v66, v67
	;; [unrolled: 1-line block ×4, first 2 shown]
	v_mfma_f32_4x4x4_16b_f16 a[0:3], v[20:21], v[58:59], a[0:3] cbsz:4 abid:2
	v_cvt_pkrtz_f16_f32 v62, v72, v73
	v_cvt_pkrtz_f16_f32 v63, v74, v75
	v_mfma_f32_4x4x4_16b_f16 a[0:3], v[18:19], v[60:61], a[0:3] cbsz:4 abid:3
	v_cvt_pk_f32_fp8_e32 v[84:85], v8
	v_cvt_pk_f32_fp8_sdwa v[86:87], v8 src0_sel:WORD_1
	v_mfma_f32_4x4x4_16b_f16 a[0:3], v[20:21], v[62:63], a[0:3] cbsz:4 abid:3
	v_cvt_pkrtz_f16_f32 v64, v76, v77
	v_cvt_pkrtz_f16_f32 v65, v78, v79
	v_cvt_pk_f32_fp8_e32 v[88:89], v9
	v_cvt_pk_f32_fp8_sdwa v[90:91], v9 src0_sel:WORD_1
	v_mfma_f32_4x4x4_16b_f16 a[0:3], v[18:19], v[64:65], a[0:3] cbsz:4 abid:4
	global_load_dwordx4 v[10:13], v[34:35], off offset:16
	global_load_dwordx4 v[14:17], v[34:35], off
	global_load_dwordx4 v[22:25], v[52:53], off offset:16
	global_load_dwordx4 v[30:33], v[52:53], off
	global_load_dwordx4 v[2:5], v[52:53], off offset:2064
	global_load_dwordx4 v[6:9], v[52:53], off offset:2048
	v_cvt_pkrtz_f16_f32 v52, v80, v81
	v_cvt_pkrtz_f16_f32 v53, v82, v83
	;; [unrolled: 1-line block ×4, first 2 shown]
	v_mfma_f32_4x4x4_16b_f16 a[0:3], v[20:21], v[52:53], a[0:3] cbsz:4 abid:4
	v_cvt_pkrtz_f16_f32 v56, v88, v89
	v_cvt_pkrtz_f16_f32 v57, v90, v91
	v_mfma_f32_4x4x4_16b_f16 a[0:3], v[18:19], v[54:55], a[0:3] cbsz:4 abid:5
	v_cvt_pkrtz_f16_f32 v52, v92, v93
	v_cvt_pkrtz_f16_f32 v53, v94, v95
	;; [unrolled: 3-line block ×5, first 2 shown]
	v_mfma_f32_4x4x4_16b_f16 a[0:3], v[18:19], v[52:53], a[0:3] cbsz:4 abid:7
	s_waitcnt vmcnt(9)
	v_cvt_pk_f32_fp8_e32 v[52:53], v26
	v_cvt_pk_f32_fp8_e32 v[56:57], v27
	v_mfma_f32_4x4x4_16b_f16 a[0:3], v[20:21], v[54:55], a[0:3] cbsz:4 abid:7
	v_cvt_pk_f32_fp8_sdwa v[54:55], v26 src0_sel:WORD_1
	v_cvt_pk_f32_fp8_sdwa v[26:27], v27 src0_sel:WORD_1
	v_cvt_pkrtz_f16_f32 v52, v52, v53
	s_load_dword s1, s[12:13], 0x0
	v_cvt_pkrtz_f16_f32 v53, v54, v55
	v_cvt_pkrtz_f16_f32 v54, v56, v57
	;; [unrolled: 1-line block ×3, first 2 shown]
	v_mfma_f32_4x4x4_16b_f16 a[0:3], v[18:19], v[52:53], a[0:3] cbsz:4 abid:8
	v_cvt_pk_f32_fp8_e32 v[26:27], v28
	v_cvt_pk_f32_fp8_sdwa v[52:53], v28 src0_sel:WORD_1
	v_mfma_f32_4x4x4_16b_f16 a[0:3], v[20:21], v[54:55], a[0:3] cbsz:4 abid:8
	v_cvt_pk_f32_fp8_e32 v[54:55], v29
	v_cvt_pk_f32_fp8_sdwa v[28:29], v29 src0_sel:WORD_1
	v_cvt_pkrtz_f16_f32 v26, v26, v27
	v_cvt_pkrtz_f16_f32 v27, v52, v53
	;; [unrolled: 1-line block ×4, first 2 shown]
	v_mfma_f32_4x4x4_16b_f16 a[0:3], v[18:19], v[26:27], a[0:3] cbsz:4 abid:9
	s_waitcnt vmcnt(8)
	v_cvt_pk_f32_fp8_e32 v[26:27], v40
	v_cvt_pk_f32_fp8_sdwa v[28:29], v40 src0_sel:WORD_1
	v_mfma_f32_4x4x4_16b_f16 a[0:3], v[20:21], v[52:53], a[0:3] cbsz:4 abid:9
	v_cvt_pk_f32_fp8_e32 v[52:53], v41
	v_cvt_pk_f32_fp8_sdwa v[40:41], v41 src0_sel:WORD_1
	v_cvt_pkrtz_f16_f32 v26, v26, v27
	v_cvt_pkrtz_f16_f32 v27, v28, v29
	;; [unrolled: 1-line block ×4, first 2 shown]
	v_mfma_f32_4x4x4_16b_f16 a[0:3], v[18:19], v[26:27], a[0:3] cbsz:4 abid:10
	v_cvt_pk_f32_fp8_e32 v[26:27], v42
	v_cvt_pk_f32_fp8_e32 v[40:41], v43
	v_mfma_f32_4x4x4_16b_f16 a[0:3], v[20:21], v[28:29], a[0:3] cbsz:4 abid:10
	v_cvt_pk_f32_fp8_sdwa v[28:29], v42 src0_sel:WORD_1
	v_cvt_pk_f32_fp8_sdwa v[42:43], v43 src0_sel:WORD_1
	v_cvt_pkrtz_f16_f32 v26, v26, v27
	v_cvt_pkrtz_f16_f32 v27, v28, v29
	v_cvt_pkrtz_f16_f32 v28, v40, v41
	s_nop 0
	v_mfma_f32_4x4x4_16b_f16 a[0:3], v[18:19], v[26:27], a[0:3] cbsz:4 abid:11
	v_cvt_pkrtz_f16_f32 v29, v42, v43
	s_waitcnt vmcnt(7)
	v_cvt_pk_f32_fp8_e32 v[26:27], v44
	v_cvt_pk_f32_fp8_e32 v[40:41], v45
	v_mfma_f32_4x4x4_16b_f16 a[0:3], v[20:21], v[28:29], a[0:3] cbsz:4 abid:11
	v_cvt_pk_f32_fp8_sdwa v[28:29], v44 src0_sel:WORD_1
	v_cvt_pk_f32_fp8_sdwa v[42:43], v45 src0_sel:WORD_1
	v_cvt_pkrtz_f16_f32 v26, v26, v27
	v_cvt_pkrtz_f16_f32 v27, v28, v29
	;; [unrolled: 1-line block ×3, first 2 shown]
	s_nop 0
	v_mfma_f32_4x4x4_16b_f16 a[0:3], v[18:19], v[26:27], a[0:3] cbsz:4 abid:12
	v_cvt_pkrtz_f16_f32 v29, v42, v43
	v_cvt_pk_f32_fp8_e32 v[26:27], v46
	v_cvt_pk_f32_fp8_e32 v[40:41], v47
	v_mfma_f32_4x4x4_16b_f16 a[0:3], v[20:21], v[28:29], a[0:3] cbsz:4 abid:12
	v_cvt_pk_f32_fp8_sdwa v[28:29], v46 src0_sel:WORD_1
	v_cvt_pk_f32_fp8_sdwa v[42:43], v47 src0_sel:WORD_1
	v_cvt_pkrtz_f16_f32 v26, v26, v27
	v_cvt_pkrtz_f16_f32 v27, v28, v29
	;; [unrolled: 1-line block ×3, first 2 shown]
	s_nop 0
	v_mfma_f32_4x4x4_16b_f16 a[0:3], v[18:19], v[26:27], a[0:3] cbsz:4 abid:13
	v_cvt_pkrtz_f16_f32 v29, v42, v43
	s_waitcnt vmcnt(6)
	v_cvt_pk_f32_fp8_e32 v[26:27], v48
	v_cvt_pk_f32_fp8_e32 v[40:41], v49
	v_mfma_f32_4x4x4_16b_f16 a[0:3], v[20:21], v[28:29], a[0:3] cbsz:4 abid:13
	v_cvt_pk_f32_fp8_sdwa v[28:29], v48 src0_sel:WORD_1
	v_cvt_pk_f32_fp8_sdwa v[42:43], v49 src0_sel:WORD_1
	v_cvt_pkrtz_f16_f32 v26, v26, v27
	v_cvt_pkrtz_f16_f32 v27, v28, v29
	;; [unrolled: 1-line block ×3, first 2 shown]
	s_nop 0
	v_mfma_f32_4x4x4_16b_f16 a[0:3], v[18:19], v[26:27], a[0:3] cbsz:4 abid:14
	v_cvt_pk_f32_fp8_e32 v[26:27], v50
	v_cvt_pk_f32_fp8_sdwa v[40:41], v50 src0_sel:WORD_1
	v_cvt_pkrtz_f16_f32 v29, v42, v43
	v_cvt_pkrtz_f16_f32 v26, v26, v27
	s_nop 0
	v_mfma_f32_4x4x4_16b_f16 a[0:3], v[20:21], v[28:29], a[0:3] cbsz:4 abid:14
	v_cvt_pk_f32_fp8_e32 v[28:29], v51
	v_cvt_pkrtz_f16_f32 v27, v40, v41
	v_cvt_pk_f32_fp8_sdwa v[40:41], v51 src0_sel:WORD_1
	v_cvt_pkrtz_f16_f32 v28, v28, v29
	v_mfma_f32_4x4x4_16b_f16 a[0:3], v[18:19], v[26:27], a[0:3] cbsz:4 abid:15
	v_cvt_pkrtz_f16_f32 v29, v40, v41
	s_waitcnt lgkmcnt(0)
	v_mov_b32_e32 v18, s0
	v_mul_f32_e32 v40, s1, v18
	v_mfma_f32_4x4x4_16b_f16 a[0:3], v[20:21], v[28:29], a[0:3] cbsz:4 abid:15
	s_nop 4
	v_accvgpr_read_b32 v19, a1
	v_accvgpr_read_b32 v18, a0
	v_pk_mul_f32 v[42:43], v[18:19], v[40:41] op_sel_hi:[1,0]
	global_load_dwordx4 v[18:21], v[34:35], off offset:2064
	global_load_dwordx4 v[26:29], v[34:35], off offset:2048
	v_accvgpr_read_b32 v35, a3
	v_accvgpr_read_b32 v34, a2
	v_pk_mul_f32 v[34:35], v[34:35], v[40:41] op_sel_hi:[1,0]
	v_mfma_f32_4x4x1_16b_f32 a[0:3], v42, v37, 0
	v_cndmask_b32_e64 v37, 0, 1.0, vcc
	v_cmp_eq_u32_e32 vcc, 2, v39
	v_mov_b32_e32 v41, 0xff7fffff
	v_mfma_f32_4x4x1_16b_f32 a[0:3], v43, v37, a[0:3]
	v_cndmask_b32_e64 v37, 0, 1.0, vcc
	v_cmp_eq_u32_e32 vcc, 3, v39
	s_nop 0
	v_mfma_f32_4x4x1_16b_f32 a[0:3], v34, v37, a[0:3]
	v_cndmask_b32_e64 v34, 0, 1.0, vcc
	s_nop 1
	v_mfma_f32_4x4x1_16b_f32 a[0:3], v35, v34, a[0:3]
	v_and_b32_e32 v34, -4, v36
	v_cmp_gt_i32_e32 vcc, s3, v34
	v_or_b32_e32 v36, 3, v36
	v_cmp_gt_i32_e64 s[10:11], s3, v36
	v_accvgpr_read_b32 v37, a0
	v_max_f32_e32 v40, v37, v37
	v_max_f32_e32 v40, 0xff7fffff, v40
	v_accvgpr_read_b32 v42, a1
	v_cndmask_b32_e32 v40, v41, v40, vcc
	v_or_b32_e32 v41, 1, v34
	v_max_f32_e32 v43, v42, v42
	v_max_f32_e32 v43, v40, v43
	v_cmp_gt_i32_e64 s[0:1], s3, v41
	v_accvgpr_read_b32 v41, a2
	v_or_b32_e32 v34, 2, v34
	v_cndmask_b32_e64 v40, v40, v43, s[0:1]
	v_max_f32_e32 v43, v41, v41
	v_max_f32_e32 v43, v40, v43
	v_cmp_gt_i32_e64 s[8:9], s3, v34
	v_lshlrev_b32_e32 v35, 2, v0
	v_and_or_b32 v35, v35, 48, v39
	v_cndmask_b32_e64 v34, v40, v43, s[8:9]
	v_accvgpr_read_b32 v43, a3
	v_max_f32_e32 v40, v43, v43
	v_max_f32_e32 v40, v34, v40
	v_cndmask_b32_e64 v34, v34, v40, s[10:11]
	;;#ASMSTART
	v_nop
 v_nop
 v_max_f32_dpp v34, v34, v34 row_ror:4
	;;#ASMEND
	v_lshlrev_b32_e32 v44, 2, v35
	;;#ASMSTART
	v_nop
 v_nop
 v_max_f32_dpp v34, v34, v34 row_ror:8
	;;#ASMEND
	ds_bpermute_b32 v34, v44, v34
	s_waitcnt lgkmcnt(0)
	;;#ASMSTART
	v_nop
 v_nop
 v_max_f32_dpp v34, v34, v34 row_ror:4
	;;#ASMEND
	s_nop 0
	;;#ASMSTART
	v_nop
 v_nop
 v_max_f32_dpp v40, v34, v34 row_ror:8
	;;#ASMEND
	s_nop 0
	v_sub_f32_e32 v34, v37, v40
	v_mul_f32_e32 v34, 0x3fb8aa3b, v34
	v_sub_f32_e32 v35, v42, v40
	v_exp_f32_e32 v34, v34
	v_mul_f32_e32 v35, 0x3fb8aa3b, v35
	v_sub_f32_e32 v37, v41, v40
	v_exp_f32_e32 v35, v35
	;; [unrolled: 3-line block ×3, first 2 shown]
	v_mul_f32_e32 v41, 0x3fb8aa3b, v41
	v_exp_f32_e32 v41, v41
	v_cndmask_b32_e32 v34, 0, v34, vcc
	v_add_f32_e32 v36, 0, v34
	v_cndmask_b32_e64 v35, 0, v35, s[0:1]
	v_add_f32_e32 v42, v36, v35
	v_cndmask_b32_e64 v36, 0, v37, s[8:9]
	v_add_f32_e32 v42, v42, v36
	v_cndmask_b32_e64 v37, 0, v41, s[10:11]
	v_add_f32_e32 v41, v42, v37
	;;#ASMSTART
	v_nop
 v_nop
 v_add_f32_dpp v41, v41, v41 row_ror:4
	;;#ASMEND
	v_cmp_gt_u32_e32 vcc, 4, v1
	;;#ASMSTART
	v_nop
 v_nop
 v_add_f32_dpp v41, v41, v41 row_ror:8
	;;#ASMEND
	ds_bpermute_b32 v41, v44, v41
	s_waitcnt lgkmcnt(0)
	;;#ASMSTART
	v_nop
 v_nop
 v_add_f32_dpp v41, v41, v41 row_ror:4
	;;#ASMEND
	s_nop 0
	;;#ASMSTART
	v_nop
 v_nop
 v_add_f32_dpp v41, v41, v41 row_ror:8
	;;#ASMEND
	s_and_saveexec_b64 s[0:1], vcc
	s_cbranch_execz .LBB1028_16
; %bb.15:
	v_mul_u32_u24_e32 v42, 20, v38
	v_lshl_add_u32 v42, v39, 2, v42
	v_add_u32_e32 v42, 0x1400, v42
	ds_write2_b32 v42, v40, v41 offset1:20
.LBB1028_16:
	s_or_b64 exec, exec, s[0:1]
.LBB1028_17:
	s_or_b64 exec, exec, s[30:31]
	s_waitcnt lgkmcnt(0)
	s_barrier
	s_load_dword s0, s[28:29], 0x8
	v_lshlrev_b32_e32 v41, 2, v39
	v_add_u32_e32 v42, 0x1400, v41
	ds_read2_b32 v[44:45], v42 offset1:5
	ds_read2_b32 v[46:47], v42 offset0:10 offset1:15
	s_mul_i32 s1, s5, s2
	s_waitcnt lgkmcnt(0)
	s_mul_i32 s0, s1, s0
	s_mov_b32 s1, 0xff7fffff
	v_max3_f32 v41, v44, s1, v45
	v_max3_f32 v41, v41, v46, v47
	v_sub_f32_e32 v43, v44, v41
	v_sub_f32_e32 v44, v45, v41
	v_mul_f32_e32 v44, 0x3fb8aa3b, v44
	ds_read2_b32 v[48:49], v42 offset0:20 offset1:25
	v_mul_f32_e32 v43, 0x3fb8aa3b, v43
	v_exp_f32_e32 v51, v44
	ds_read2_b32 v[44:45], v42 offset0:30 offset1:35
	v_sub_f32_e32 v42, v46, v41
	v_exp_f32_e32 v50, v43
	v_mul_f32_e32 v42, 0x3fb8aa3b, v42
	v_exp_f32_e32 v46, v42
	v_sub_f32_e32 v42, v47, v41
	v_mul_f32_e32 v42, 0x3fb8aa3b, v42
	v_exp_f32_e32 v47, v42
	s_waitcnt lgkmcnt(1)
	v_fma_f32 v42, v50, v48, 0
	v_fmac_f32_e32 v42, v51, v49
	s_waitcnt lgkmcnt(0)
	v_fmac_f32_e32 v42, v46, v44
	v_mov_b32_e32 v43, 0
	v_fmac_f32_e32 v42, v47, v45
	s_mov_b32 s1, 0
	v_cmp_eq_u32_e32 vcc, 0, v39
	s_and_saveexec_b64 s[2:3], vcc
	s_cbranch_execz .LBB1028_19
; %bb.18:
	s_lshl_b64 s[8:9], s[0:1], 2
	s_add_u32 s12, s16, s8
	s_mov_b32 s25, s1
	s_addc_u32 s13, s17, s9
	s_lshl_b64 s[10:11], s[24:25], 2
	s_add_u32 s12, s12, s10
	s_addc_u32 s13, s13, s11
	s_add_u32 s8, s18, s8
	s_addc_u32 s9, s19, s9
	;; [unrolled: 2-line block ×3, first 2 shown]
	s_mul_i32 s8, s5, s4
	s_mov_b32 s9, s1
	s_lshl_b64 s[8:9], s[8:9], 2
	s_add_u32 s10, s12, s8
	s_addc_u32 s11, s13, s9
	s_add_u32 s8, s16, s8
	s_addc_u32 s9, s17, s9
	global_store_dword v43, v41, s[8:9]
	global_store_dword v43, v42, s[10:11]
.LBB1028_19:
	s_or_b64 exec, exec, s[2:3]
	v_lshlrev_b32_e32 v38, 3, v38
	s_and_saveexec_b64 s[2:3], s[6:7]
	s_xor_b64 s[2:3], exec, s[2:3]
	s_cbranch_execz .LBB1028_21
; %bb.20:
	s_mov_b32 s6, 0
	s_mov_b32 s7, s6
	s_waitcnt vmcnt(3)
	v_mad_u32_u24 v4, v1, 40, v38
	v_mov_b64_e32 v[2:3], s[6:7]
	ds_write2st64_b64 v4, v[2:3], v[2:3] offset1:5
                                        ; implicit-def: $vgpr37
                                        ; implicit-def: $vgpr35
                                        ; implicit-def: $vgpr40
                                        ; implicit-def: $vgpr30_vgpr31
                                        ; implicit-def: $vgpr22_vgpr23
                                        ; implicit-def: $vgpr14_vgpr15
                                        ; implicit-def: $vgpr10_vgpr11
                                        ; implicit-def: $vgpr6_vgpr7
                                        ; implicit-def: $vgpr2_vgpr3
                                        ; implicit-def: $vgpr26_vgpr27
                                        ; implicit-def: $vgpr18_vgpr19
                                        ; implicit-def: $vgpr41
                                        ; implicit-def: $vgpr42
                                        ; implicit-def: $vgpr38
.LBB1028_21:
	s_andn2_saveexec_b64 s[2:3], s[2:3]
	s_cbranch_execz .LBB1028_23
; %bb.22:
	v_add_f32_e32 v39, 0x358637bd, v42
	v_div_scale_f32 v42, s[6:7], v39, v39, 1.0
	v_rcp_f32_e32 v43, v42
	v_sub_f32_e32 v40, v40, v41
	v_mul_f32_e32 v40, 0x3fb8aa3b, v40
	v_exp_f32_e32 v40, v40
	v_fma_f32 v41, -v42, v43, 1.0
	v_fmac_f32_e32 v43, v41, v43
	v_div_scale_f32 v41, vcc, 1.0, v39, 1.0
	v_mul_f32_e32 v44, v41, v43
	v_fma_f32 v45, -v42, v44, v41
	v_fmac_f32_e32 v44, v45, v43
	v_fma_f32 v41, -v42, v44, v41
	v_div_fmas_f32 v41, v41, v43, v44
	v_div_fixup_f32 v39, v41, v39, 1.0
	v_mul_f32_e32 v40, v40, v39
	v_pk_mul_f32 v[36:37], v[36:37], v[40:41] op_sel_hi:[1,0]
	v_pk_mul_f32 v[34:35], v[34:35], v[40:41] op_sel_hi:[1,0]
	v_cvt_f16_f32_e32 v36, v36
	v_cvt_f16_f32_e32 v34, v34
	;; [unrolled: 1-line block ×4, first 2 shown]
	s_waitcnt vmcnt(4)
	v_cvt_pk_f32_fp8_sdwa v[40:41], v30 src0_sel:WORD_1
	v_cvt_pk_f32_fp8_e32 v[42:43], v31
	v_pack_b32_f16 v34, v34, v35
	v_pack_b32_f16 v35, v36, v37
	v_cvt_pk_f32_fp8_e32 v[36:37], v30
	v_cvt_pk_f32_fp8_sdwa v[30:31], v31 src0_sel:WORD_1
	s_load_dword s6, s[14:15], 0x0
	v_cvt_pkrtz_f16_f32 v36, v36, v37
	v_cvt_pkrtz_f16_f32 v37, v40, v41
	;; [unrolled: 1-line block ×3, first 2 shown]
	v_cvt_pk_f32_fp8_e32 v[30:31], v32
	v_mfma_f32_4x4x4_16b_f16 a[0:3], v[34:35], v[36:37], 0 cbsz:4
	v_cvt_pk_f32_fp8_sdwa v[36:37], v32 src0_sel:WORD_1
	v_cvt_pkrtz_f16_f32 v40, v42, v43
	v_cvt_pkrtz_f16_f32 v30, v30, v31
	;; [unrolled: 1-line block ×3, first 2 shown]
	v_mfma_f32_4x4x4_16b_f16 a[0:3], v[34:35], v[40:41], a[0:3] cbsz:4 abid:1
	v_cvt_pk_f32_fp8_e32 v[40:41], v33
	v_cvt_pk_f32_fp8_sdwa v[32:33], v33 src0_sel:WORD_1
	v_mfma_f32_4x4x4_16b_f16 a[0:3], v[34:35], v[30:31], a[0:3] cbsz:4 abid:2
	v_cvt_pk_f32_fp8_e32 v[30:31], v22
	v_cvt_pkrtz_f16_f32 v36, v40, v41
	v_cvt_pkrtz_f16_f32 v37, v32, v33
	v_cvt_pk_f32_fp8_sdwa v[32:33], v22 src0_sel:WORD_1
	v_cvt_pkrtz_f16_f32 v30, v30, v31
	v_mfma_f32_4x4x4_16b_f16 a[0:3], v[34:35], v[36:37], a[0:3] cbsz:4 abid:3
	v_cvt_pk_f32_fp8_e32 v[36:37], v23
	v_cvt_pk_f32_fp8_sdwa v[22:23], v23 src0_sel:WORD_1
	v_cvt_pkrtz_f16_f32 v31, v32, v33
	v_cvt_pkrtz_f16_f32 v32, v36, v37
	v_cvt_pkrtz_f16_f32 v33, v22, v23
	v_mfma_f32_4x4x4_16b_f16 a[0:3], v[34:35], v[30:31], a[0:3] cbsz:4 abid:4
	v_cvt_pk_f32_fp8_e32 v[22:23], v24
	v_cvt_pk_f32_fp8_sdwa v[30:31], v24 src0_sel:WORD_1
	v_mfma_f32_4x4x4_16b_f16 a[0:3], v[34:35], v[32:33], a[0:3] cbsz:4 abid:5
	v_cvt_pk_f32_fp8_e32 v[32:33], v25
	v_cvt_pk_f32_fp8_sdwa v[24:25], v25 src0_sel:WORD_1
	v_cvt_pkrtz_f16_f32 v22, v22, v23
	v_cvt_pkrtz_f16_f32 v23, v30, v31
	v_cvt_pkrtz_f16_f32 v30, v32, v33
	v_cvt_pkrtz_f16_f32 v31, v24, v25
	v_mfma_f32_4x4x4_16b_f16 a[0:3], v[34:35], v[22:23], a[0:3] cbsz:4 abid:6
	v_cvt_pk_f32_fp8_e32 v[22:23], v14
	v_cvt_pk_f32_fp8_sdwa v[24:25], v14 src0_sel:WORD_1
	v_mfma_f32_4x4x4_16b_f16 a[0:3], v[34:35], v[30:31], a[0:3] cbsz:4 abid:7
	v_cvt_pk_f32_fp8_e32 v[30:31], v15
	v_cvt_pk_f32_fp8_sdwa v[14:15], v15 src0_sel:WORD_1
	v_cvt_pkrtz_f16_f32 v22, v22, v23
	;; [unrolled: 10-line block ×5, first 2 shown]
	v_cvt_pkrtz_f16_f32 v11, v14, v15
	v_cvt_pkrtz_f16_f32 v14, v16, v17
	v_cvt_pkrtz_f16_f32 v15, v12, v13
	v_mfma_f32_4x4x4_16b_f16 a[0:3], v[34:35], v[10:11], a[0:3] cbsz:4 abid:14
	s_waitcnt vmcnt(2)
	v_cvt_pk_f32_fp8_e32 v[16:17], v7
	v_mfma_f32_4x4x4_16b_f16 a[0:3], v[34:35], v[14:15], a[0:3] cbsz:4 abid:15
	v_cvt_pk_f32_fp8_sdwa v[14:15], v6 src0_sel:WORD_1
	s_nop 3
	v_accvgpr_read_b32 v11, a1
	v_accvgpr_read_b32 v10, a0
	s_waitcnt lgkmcnt(0)
	v_pk_mul_f32 v[10:11], v[10:11], s[6:7] op_sel_hi:[1,0]
	s_nop 0
	v_cvt_f16_f32_e32 v12, v10
	v_cvt_f16_f32_e32 v13, v11
	v_accvgpr_read_b32 v11, a3
	v_accvgpr_read_b32 v10, a2
	v_pk_mul_f32 v[10:11], v[10:11], s[6:7] op_sel_hi:[1,0]
	v_pack_b32_f16 v12, v12, v13
	v_cvt_f16_f32_e32 v13, v10
	v_cvt_f16_f32_e32 v22, v11
	v_cvt_pk_f32_fp8_e32 v[10:11], v6
	v_cvt_pk_f32_fp8_sdwa v[6:7], v7 src0_sel:WORD_1
	v_pack_b32_f16 v13, v13, v22
	v_cvt_pkrtz_f16_f32 v10, v10, v11
	v_cvt_pkrtz_f16_f32 v11, v14, v15
	;; [unrolled: 1-line block ×4, first 2 shown]
	v_mfma_f32_4x4x4_16b_f16 a[0:3], v[34:35], v[10:11], 0 cbsz:4
	v_cvt_pk_f32_fp8_e32 v[6:7], v8
	v_cvt_pk_f32_fp8_sdwa v[10:11], v8 src0_sel:WORD_1
	v_mfma_f32_4x4x4_16b_f16 a[0:3], v[34:35], v[14:15], a[0:3] cbsz:4 abid:1
	v_cvt_pk_f32_fp8_e32 v[14:15], v9
	v_cvt_pk_f32_fp8_sdwa v[8:9], v9 src0_sel:WORD_1
	v_cvt_pkrtz_f16_f32 v6, v6, v7
	v_cvt_pkrtz_f16_f32 v7, v10, v11
	v_cvt_pkrtz_f16_f32 v10, v14, v15
	v_cvt_pkrtz_f16_f32 v11, v8, v9
	v_mfma_f32_4x4x4_16b_f16 a[0:3], v[34:35], v[6:7], a[0:3] cbsz:4 abid:2
	v_cvt_pk_f32_fp8_e32 v[6:7], v2
	v_cvt_pk_f32_fp8_sdwa v[8:9], v2 src0_sel:WORD_1
	v_mfma_f32_4x4x4_16b_f16 a[0:3], v[34:35], v[10:11], a[0:3] cbsz:4 abid:3
	v_cvt_pk_f32_fp8_e32 v[10:11], v3
	v_cvt_pk_f32_fp8_sdwa v[2:3], v3 src0_sel:WORD_1
	v_cvt_pkrtz_f16_f32 v6, v6, v7
	v_cvt_pkrtz_f16_f32 v7, v8, v9
	v_cvt_pkrtz_f16_f32 v8, v10, v11
	v_cvt_pkrtz_f16_f32 v9, v2, v3
	v_mfma_f32_4x4x4_16b_f16 a[0:3], v[34:35], v[6:7], a[0:3] cbsz:4 abid:4
	;; [unrolled: 10-line block ×3, first 2 shown]
	s_waitcnt vmcnt(0)
	v_cvt_pk_f32_fp8_e32 v[2:3], v26
	v_cvt_pk_f32_fp8_sdwa v[4:5], v26 src0_sel:WORD_1
	v_mfma_f32_4x4x4_16b_f16 a[0:3], v[34:35], v[6:7], a[0:3] cbsz:4 abid:7
	v_cvt_pk_f32_fp8_e32 v[6:7], v27
	v_cvt_pk_f32_fp8_sdwa v[8:9], v27 src0_sel:WORD_1
	v_cvt_pkrtz_f16_f32 v2, v2, v3
	v_cvt_pkrtz_f16_f32 v3, v4, v5
	;; [unrolled: 1-line block ×4, first 2 shown]
	v_mfma_f32_4x4x4_16b_f16 a[0:3], v[34:35], v[2:3], a[0:3] cbsz:4 abid:8
	v_cvt_pk_f32_fp8_e32 v[2:3], v28
	v_cvt_pk_f32_fp8_e32 v[6:7], v29
	v_mfma_f32_4x4x4_16b_f16 a[0:3], v[34:35], v[4:5], a[0:3] cbsz:4 abid:9
	v_cvt_pk_f32_fp8_sdwa v[4:5], v28 src0_sel:WORD_1
	v_cvt_pk_f32_fp8_sdwa v[8:9], v29 src0_sel:WORD_1
	v_cvt_pkrtz_f16_f32 v2, v2, v3
	v_cvt_pkrtz_f16_f32 v3, v4, v5
	v_cvt_pkrtz_f16_f32 v4, v6, v7
	s_nop 0
	v_mfma_f32_4x4x4_16b_f16 a[0:3], v[34:35], v[2:3], a[0:3] cbsz:4 abid:10
	v_cvt_pkrtz_f16_f32 v5, v8, v9
	v_cvt_pk_f32_fp8_e32 v[2:3], v18
	v_cvt_pk_f32_fp8_e32 v[6:7], v19
	v_mfma_f32_4x4x4_16b_f16 a[0:3], v[34:35], v[4:5], a[0:3] cbsz:4 abid:11
	v_cvt_pk_f32_fp8_sdwa v[4:5], v18 src0_sel:WORD_1
	v_cvt_pk_f32_fp8_sdwa v[8:9], v19 src0_sel:WORD_1
	v_cvt_pkrtz_f16_f32 v2, v2, v3
	v_cvt_pkrtz_f16_f32 v3, v4, v5
	v_cvt_pkrtz_f16_f32 v4, v6, v7
	s_nop 0
	v_mfma_f32_4x4x4_16b_f16 a[0:3], v[34:35], v[2:3], a[0:3] cbsz:4 abid:12
	v_cvt_pkrtz_f16_f32 v5, v8, v9
	;; [unrolled: 11-line block ×3, first 2 shown]
	v_mad_u32_u24 v7, v1, 40, v38
	s_nop 0
	v_mfma_f32_4x4x4_16b_f16 a[0:3], v[34:35], v[4:5], a[0:3] cbsz:4 abid:15
	s_nop 4
	v_accvgpr_read_b32 v5, a1
	v_accvgpr_read_b32 v3, a3
	;; [unrolled: 1-line block ×4, first 2 shown]
	v_pk_mul_f32 v[2:3], v[2:3], s[6:7] op_sel_hi:[1,0]
	v_pk_mul_f32 v[4:5], v[4:5], s[6:7] op_sel_hi:[1,0]
	v_cvt_f16_f32_e32 v6, v2
	v_cvt_f16_f32_e32 v4, v4
	;; [unrolled: 1-line block ×4, first 2 shown]
	v_pack_b32_f16 v2, v4, v5
	v_pack_b32_f16 v3, v6, v3
	ds_write2st64_b64 v7, v[12:13], v[2:3] offset1:5
.LBB1028_23:
	s_or_b64 exec, exec, s[2:3]
	v_cmp_gt_u32_e32 vcc, 64, v0
	s_waitcnt lgkmcnt(0)
	s_barrier
	s_and_saveexec_b64 s[2:3], vcc
	s_cbranch_execz .LBB1028_25
; %bb.24:
	s_waitcnt vmcnt(3)
	v_mov_b32_e32 v2, 0xa00
	v_mad_u32_u24 v2, v1, 40, v2
	s_waitcnt vmcnt(2)
	v_mov_b32_e32 v6, 0xa10
	ds_read2_b64 v[2:5], v2 offset1:1
	s_waitcnt lgkmcnt(0)
	v_mad_u32_u24 v3, v1, 40, v6
	ds_read2_b64 v[6:9], v3 offset1:1
	v_mul_u32_u24_e32 v1, 40, v1
	s_lshl_b32 s0, s0, 7
	v_pk_add_f16 v2, v2, 0
	s_lshl_b64 s[2:3], s[0:1], 1
	v_pk_add_f16 v2, v2, v4
	s_add_u32 s2, s26, s2
	s_waitcnt lgkmcnt(0)
	v_pk_add_f16 v2, v2, v6
	s_addc_u32 s3, s27, s3
	v_pk_add_f16 v10, v2, v8
	ds_read2_b64 v[2:5], v1 offset1:1
	ds_read2_b64 v[6:9], v1 offset0:2 offset1:3
	s_lshl_b32 s0, s24, 7
	s_lshl_b64 s[0:1], s[0:1], 1
	s_add_u32 s0, s2, s0
	s_waitcnt lgkmcnt(1)
	v_pk_add_f16 v2, v2, 0
	s_mul_i32 s4, s4, s5
	v_pk_add_f16 v2, v2, v4
	s_addc_u32 s1, s3, s1
	v_lshl_or_b32 v0, s4, 7, v0
	v_mov_b32_e32 v1, 0
	s_waitcnt lgkmcnt(0)
	v_pk_add_f16 v2, v2, v6
	v_lshl_add_u64 v[0:1], v[0:1], 1, s[0:1]
	v_pk_add_f16 v2, v2, v8
	global_store_short v[0:1], v2, off
	global_store_short v[0:1], v10, off offset:128
.LBB1028_25:
	s_endpgm
	.section	.rodata,"a",@progbits
	.p2align	6, 0x0
	.amdhsa_kernel _Z38paged_attention_ll4mi_QKV_mfma4_kernelIDF16_hLN4vllm18Fp8KVCacheDataTypeE1EhLi32ELi128ELi256ELb0ELi1EEvPKT_PKT0_S7_ifPKiS9_S9_iPKfiiiPfSC_PS2_PT2_iSB_SB_
		.amdhsa_group_segment_fixed_size 5280
		.amdhsa_private_segment_fixed_size 0
		.amdhsa_kernarg_size 400
		.amdhsa_user_sgpr_count 2
		.amdhsa_user_sgpr_dispatch_ptr 0
		.amdhsa_user_sgpr_queue_ptr 0
		.amdhsa_user_sgpr_kernarg_segment_ptr 1
		.amdhsa_user_sgpr_dispatch_id 0
		.amdhsa_user_sgpr_kernarg_preload_length 0
		.amdhsa_user_sgpr_kernarg_preload_offset 0
		.amdhsa_user_sgpr_private_segment_size 0
		.amdhsa_uses_dynamic_stack 0
		.amdhsa_enable_private_segment 0
		.amdhsa_system_sgpr_workgroup_id_x 1
		.amdhsa_system_sgpr_workgroup_id_y 1
		.amdhsa_system_sgpr_workgroup_id_z 1
		.amdhsa_system_sgpr_workgroup_info 0
		.amdhsa_system_vgpr_workitem_id 0
		.amdhsa_next_free_vgpr 112
		.amdhsa_next_free_sgpr 42
		.amdhsa_accum_offset 108
		.amdhsa_reserve_vcc 1
		.amdhsa_float_round_mode_32 0
		.amdhsa_float_round_mode_16_64 0
		.amdhsa_float_denorm_mode_32 3
		.amdhsa_float_denorm_mode_16_64 3
		.amdhsa_dx10_clamp 1
		.amdhsa_ieee_mode 1
		.amdhsa_fp16_overflow 0
		.amdhsa_tg_split 0
		.amdhsa_exception_fp_ieee_invalid_op 0
		.amdhsa_exception_fp_denorm_src 0
		.amdhsa_exception_fp_ieee_div_zero 0
		.amdhsa_exception_fp_ieee_overflow 0
		.amdhsa_exception_fp_ieee_underflow 0
		.amdhsa_exception_fp_ieee_inexact 0
		.amdhsa_exception_int_div_zero 0
	.end_amdhsa_kernel
	.section	.text._Z38paged_attention_ll4mi_QKV_mfma4_kernelIDF16_hLN4vllm18Fp8KVCacheDataTypeE1EhLi32ELi128ELi256ELb0ELi1EEvPKT_PKT0_S7_ifPKiS9_S9_iPKfiiiPfSC_PS2_PT2_iSB_SB_,"axG",@progbits,_Z38paged_attention_ll4mi_QKV_mfma4_kernelIDF16_hLN4vllm18Fp8KVCacheDataTypeE1EhLi32ELi128ELi256ELb0ELi1EEvPKT_PKT0_S7_ifPKiS9_S9_iPKfiiiPfSC_PS2_PT2_iSB_SB_,comdat
.Lfunc_end1028:
	.size	_Z38paged_attention_ll4mi_QKV_mfma4_kernelIDF16_hLN4vllm18Fp8KVCacheDataTypeE1EhLi32ELi128ELi256ELb0ELi1EEvPKT_PKT0_S7_ifPKiS9_S9_iPKfiiiPfSC_PS2_PT2_iSB_SB_, .Lfunc_end1028-_Z38paged_attention_ll4mi_QKV_mfma4_kernelIDF16_hLN4vllm18Fp8KVCacheDataTypeE1EhLi32ELi128ELi256ELb0ELi1EEvPKT_PKT0_S7_ifPKiS9_S9_iPKfiiiPfSC_PS2_PT2_iSB_SB_
                                        ; -- End function
	.section	.AMDGPU.csdata,"",@progbits
; Kernel info:
; codeLenInByte = 5116
; NumSgprs: 48
; NumVgprs: 108
; NumAgprs: 4
; TotalNumVgprs: 112
; ScratchSize: 0
; MemoryBound: 0
; FloatMode: 240
; IeeeMode: 1
; LDSByteSize: 5280 bytes/workgroup (compile time only)
; SGPRBlocks: 5
; VGPRBlocks: 13
; NumSGPRsForWavesPerEU: 48
; NumVGPRsForWavesPerEU: 112
; AccumOffset: 108
; Occupancy: 4
; WaveLimiterHint : 1
; COMPUTE_PGM_RSRC2:SCRATCH_EN: 0
; COMPUTE_PGM_RSRC2:USER_SGPR: 2
; COMPUTE_PGM_RSRC2:TRAP_HANDLER: 0
; COMPUTE_PGM_RSRC2:TGID_X_EN: 1
; COMPUTE_PGM_RSRC2:TGID_Y_EN: 1
; COMPUTE_PGM_RSRC2:TGID_Z_EN: 1
; COMPUTE_PGM_RSRC2:TIDIG_COMP_CNT: 0
; COMPUTE_PGM_RSRC3_GFX90A:ACCUM_OFFSET: 26
; COMPUTE_PGM_RSRC3_GFX90A:TG_SPLIT: 0
	.section	.text._Z38paged_attention_ll4mi_QKV_mfma4_kernelIDF16_hLN4vllm18Fp8KVCacheDataTypeE1EhLi32ELi128ELi256ELb0ELi2EEvPKT_PKT0_S7_ifPKiS9_S9_iPKfiiiPfSC_PS2_PT2_iSB_SB_,"axG",@progbits,_Z38paged_attention_ll4mi_QKV_mfma4_kernelIDF16_hLN4vllm18Fp8KVCacheDataTypeE1EhLi32ELi128ELi256ELb0ELi2EEvPKT_PKT0_S7_ifPKiS9_S9_iPKfiiiPfSC_PS2_PT2_iSB_SB_,comdat
	.protected	_Z38paged_attention_ll4mi_QKV_mfma4_kernelIDF16_hLN4vllm18Fp8KVCacheDataTypeE1EhLi32ELi128ELi256ELb0ELi2EEvPKT_PKT0_S7_ifPKiS9_S9_iPKfiiiPfSC_PS2_PT2_iSB_SB_ ; -- Begin function _Z38paged_attention_ll4mi_QKV_mfma4_kernelIDF16_hLN4vllm18Fp8KVCacheDataTypeE1EhLi32ELi128ELi256ELb0ELi2EEvPKT_PKT0_S7_ifPKiS9_S9_iPKfiiiPfSC_PS2_PT2_iSB_SB_
	.globl	_Z38paged_attention_ll4mi_QKV_mfma4_kernelIDF16_hLN4vllm18Fp8KVCacheDataTypeE1EhLi32ELi128ELi256ELb0ELi2EEvPKT_PKT0_S7_ifPKiS9_S9_iPKfiiiPfSC_PS2_PT2_iSB_SB_
	.p2align	8
	.type	_Z38paged_attention_ll4mi_QKV_mfma4_kernelIDF16_hLN4vllm18Fp8KVCacheDataTypeE1EhLi32ELi128ELi256ELb0ELi2EEvPKT_PKT0_S7_ifPKiS9_S9_iPKfiiiPfSC_PS2_PT2_iSB_SB_,@function
_Z38paged_attention_ll4mi_QKV_mfma4_kernelIDF16_hLN4vllm18Fp8KVCacheDataTypeE1EhLi32ELi128ELi256ELb0ELi2EEvPKT_PKT0_S7_ifPKiS9_S9_iPKfiiiPfSC_PS2_PT2_iSB_SB_: ; @_Z38paged_attention_ll4mi_QKV_mfma4_kernelIDF16_hLN4vllm18Fp8KVCacheDataTypeE1EhLi32ELi128ELi256ELb0ELi2EEvPKT_PKT0_S7_ifPKiS9_S9_iPKfiiiPfSC_PS2_PT2_iSB_SB_
; %bb.0:
	s_load_dwordx2 s[20:21], s[0:1], 0x30
	s_mov_b32 s24, s3
	s_mov_b64 s[6:7], 0
	s_waitcnt lgkmcnt(0)
	s_cmp_lg_u64 s[20:21], 0
	s_cselect_b64 s[22:23], -1, 0
	s_and_b64 vcc, exec, s[22:23]
	s_cbranch_vccz .LBB1029_10
; %bb.1:
	s_add_i32 s8, s2, 1
	s_mov_b32 s9, 0
	s_lshl_b64 s[10:11], s[8:9], 2
	s_add_u32 s10, s20, s10
	s_mov_b32 s3, s9
	s_addc_u32 s11, s21, s11
	s_lshl_b64 s[8:9], s[2:3], 2
	s_add_u32 s8, s20, s8
	s_addc_u32 s9, s21, s9
	s_load_dword s5, s[10:11], 0x0
	s_load_dword s12, s[8:9], 0x0
	s_waitcnt lgkmcnt(0)
	s_sub_i32 s5, s5, s12
	s_cmp_eq_u32 s5, 1
	s_cselect_b64 s[8:9], -1, 0
	s_andn2_b64 vcc, exec, s[6:7]
	s_cbranch_vccnz .LBB1029_3
.LBB1029_2:
	s_mov_b32 s3, 0
	s_mov_b64 s[8:9], -1
.LBB1029_3:
	s_andn2_b64 vcc, exec, s[8:9]
	s_cbranch_vccnz .LBB1029_25
; %bb.4:
	s_load_dword s5, s[0:1], 0x9c
	s_load_dwordx2 s[6:7], s[0:1], 0x28
	s_add_u32 s28, s0, 0x90
	s_addc_u32 s29, s1, 0
	s_lshl_b64 s[34:35], s[2:3], 2
	s_waitcnt lgkmcnt(0)
	s_and_b32 s5, s5, 0xffff
	s_add_u32 s6, s6, s34
	s_addc_u32 s7, s7, s35
	s_load_dword s3, s[6:7], 0x0
	s_mul_i32 s10, s24, s5
	s_waitcnt lgkmcnt(0)
	s_cmp_ge_i32 s10, s3
	s_cbranch_scc1 .LBB1029_25
; %bb.5:
	v_and_b32_e32 v1, 0xc0, v0
	v_add_u32_e32 v4, s10, v1
	v_lshrrev_b32_e32 v38, 6, v0
	v_cmp_le_i32_e64 s[6:7], s3, v4
                                        ; implicit-def: $sgpr25
                                        ; implicit-def: $sgpr11
	s_and_saveexec_b64 s[8:9], s[6:7]
	s_xor_b64 s[8:9], exec, s[8:9]
	s_cbranch_execz .LBB1029_7
; %bb.6:
	v_mul_u32_u24_e32 v1, 20, v38
	v_or_b32_e32 v1, 0x1400, v1
	v_mov_b32_e32 v2, 0x1450
	v_mov_b32_e32 v3, 0xff7fffff
	v_mad_u32_u24 v2, v38, 20, v2
	ds_write2_b32 v1, v3, v3 offset1:1
	v_mov_b32_e32 v1, 0
	ds_write2_b32 v2, v1, v1 offset1:1
	v_mov_b32_e32 v2, 0x1408
	v_mov_b32_e32 v4, 0x1458
	s_mov_b32 s11, 0xff7fffff
	s_mov_b32 s25, 0
	v_mad_u32_u24 v2, v38, 20, v2
	v_mad_u32_u24 v4, v38, 20, v4
	ds_write2_b32 v2, v3, v3 offset1:1
	ds_write2_b32 v4, v1, v1 offset1:1
                                        ; implicit-def: $vgpr4
.LBB1029_7:
	s_or_saveexec_b64 s[30:31], s[8:9]
	s_load_dwordx2 s[26:27], s[0:1], 0x68
	s_load_dwordx4 s[16:19], s[0:1], 0x58
	s_load_dword s5, s[28:29], 0x4
	s_load_dwordx4 s[12:15], s[0:1], 0x80
	v_and_b32_e32 v1, 63, v0
	v_and_b32_e32 v39, 3, v0
	v_mov_b32_e32 v37, s25
	v_mov_b32_e32 v40, s11
	;; [unrolled: 1-line block ×5, first 2 shown]
                                        ; implicit-def: $vgpr30_vgpr31
                                        ; implicit-def: $vgpr26_vgpr27
                                        ; implicit-def: $vgpr22_vgpr23
                                        ; implicit-def: $vgpr18_vgpr19
                                        ; implicit-def: $vgpr14_vgpr15
                                        ; implicit-def: $vgpr6_vgpr7
                                        ; implicit-def: $vgpr10_vgpr11
                                        ; implicit-def: $vgpr2_vgpr3
	s_xor_b64 exec, exec, s[30:31]
	s_cbranch_execz .LBB1029_17
; %bb.8:
	s_load_dwordx2 s[8:9], s[0:1], 0x20
	s_load_dword s11, s[0:1], 0x38
	s_add_i32 s25, s3, 31
	s_ashr_i32 s33, s25, 31
	s_lshr_b32 s33, s33, 27
	v_add_u32_e32 v40, s10, v0
	s_add_i32 s25, s25, s33
	v_ashrrev_i32_e32 v2, 31, v40
	s_ashr_i32 s25, s25, 5
	v_lshrrev_b32_e32 v2, 27, v2
	s_add_i32 s25, s25, -1
	s_waitcnt lgkmcnt(0)
	s_mul_i32 s36, s2, s11
	s_mov_b32 s37, 0
	v_add_u32_e32 v2, v40, v2
	s_lshl_b64 s[36:37], s[36:37], 2
	v_ashrrev_i32_e32 v2, 5, v2
	v_mov_b32_e32 v3, s25
	v_cmp_gt_i32_e32 vcc, s3, v40
	s_add_u32 s8, s8, s36
	s_addc_u32 s9, s9, s37
	v_cndmask_b32_e32 v2, v3, v2, vcc
	v_ashrrev_i32_e32 v3, 31, v2
	v_lshl_add_u64 v[6:7], v[2:3], 2, s[8:9]
	v_ashrrev_i32_e32 v2, 31, v4
	v_lshrrev_b32_e32 v2, 27, v2
	v_add_u32_e32 v2, v4, v2
	v_ashrrev_i32_e32 v8, 5, v2
	v_min_i32_e32 v2, s25, v8
	v_ashrrev_i32_e32 v3, 31, v2
	v_lshl_add_u64 v[4:5], v[2:3], 2, s[8:9]
	v_add_u32_e32 v2, 1, v8
	v_min_i32_e32 v2, s25, v2
	v_ashrrev_i32_e32 v3, 31, v2
	v_lshl_add_u64 v[8:9], v[2:3], 2, s[8:9]
	global_load_dword v2, v[6:7], off
	global_load_dword v22, v[4:5], off
	;; [unrolled: 1-line block ×3, first 2 shown]
	s_load_dwordx4 s[8:11], s[0:1], 0x8
	s_andn2_b64 vcc, exec, s[22:23]
	s_cbranch_vccnz .LBB1029_11
; %bb.9:
	s_add_u32 s20, s20, s34
	s_addc_u32 s21, s21, s35
	s_load_dword s25, s[20:21], 0x0
	s_branch .LBB1029_12
.LBB1029_10:
	s_mov_b64 s[8:9], 0
	s_branch .LBB1029_2
.LBB1029_11:
	s_mov_b32 s25, s2
.LBB1029_12:
	s_load_dwordx4 s[20:23], s[0:1], 0x48
	v_cmp_gt_u32_e32 vcc, 2, v39
	s_mov_b32 s37, 0
	v_mov_b32_e32 v19, 0
	v_mov_b32_e32 v34, 0
	;; [unrolled: 1-line block ×5, first 2 shown]
	s_and_saveexec_b64 s[34:35], vcc
	s_cbranch_execz .LBB1029_14
; %bb.13:
	s_load_dwordx2 s[38:39], s[0:1], 0x0
	s_waitcnt lgkmcnt(0)
	s_ashr_i32 s23, s20, 31
	s_mul_hi_u32 s33, s25, s20
	s_mul_i32 s23, s25, s23
	s_add_i32 s41, s33, s23
	s_mul_i32 s40, s25, s20
	s_lshl_b64 s[40:41], s[40:41], 1
	s_add_u32 s20, s38, s40
	s_addc_u32 s23, s39, s41
	s_lshl_b32 s36, s4, 8
	s_lshl_b64 s[36:37], s[36:37], 1
	v_lshlrev_b32_e32 v3, 2, v1
	s_add_u32 s36, s20, s36
	v_and_b32_e32 v3, 0xf0, v3
	s_addc_u32 s37, s23, s37
	v_lshl_or_b32 v3, v39, 8, v3
	global_load_dwordx4 v[34:37], v3, s[36:37]
.LBB1029_14:
	s_or_b64 exec, exec, s[34:35]
	s_waitcnt lgkmcnt(0)
	s_mul_i32 s20, s4, s22
	s_add_u32 s8, s20, s8
	s_addc_u32 s9, 0, s9
	v_mov_b64_e32 v[4:5], s[8:9]
	s_waitcnt vmcnt(2)
	v_mad_i64_i32 v[2:3], s[8:9], v2, s21, v[4:5]
	v_lshlrev_b32_e32 v4, 4, v0
	v_and_b32_e32 v18, 0x1f0, v4
	v_lshl_add_u64 v[20:21], v[2:3], 0, v[18:19]
	global_load_dwordx4 v[14:17], v[20:21], off
	global_load_dwordx4 v[10:13], v[20:21], off offset:512
	global_load_dwordx4 v[6:9], v[20:21], off offset:1024
	;; [unrolled: 1-line block ×7, first 2 shown]
	s_waitcnt vmcnt(9)
	v_mul_hi_i32 v18, v22, s21
	s_waitcnt vmcnt(8)
	v_mul_hi_i32 v24, v23, s21
	v_ashrrev_i32_e32 v18, 31, v18
	v_ashrrev_i32_e32 v24, 31, v24
	v_mov_b32_e32 v25, v19
	v_lshrrev_b32_e32 v24, 29, v24
	s_add_u32 s8, s10, s20
	v_lshrrev_b32_e32 v18, 29, v18
	v_mad_i64_i32 v[24:25], s[22:23], v23, s21, v[24:25]
	s_addc_u32 s9, s11, 0
	v_mad_i64_i32 v[22:23], s[10:11], v22, s21, v[18:19]
	v_and_b32_e32 v24, -8, v24
	v_and_b32_e32 v22, -8, v22
	v_lshl_add_u64 v[24:25], s[8:9], 0, v[24:25]
	v_lshlrev_b32_e32 v18, 5, v1
	v_lshl_add_u64 v[22:23], s[8:9], 0, v[22:23]
	v_lshl_add_u64 v[58:59], v[24:25], 0, v[18:19]
	;; [unrolled: 1-line block ×3, first 2 shown]
	s_load_dword s0, s[0:1], 0x1c
	v_cmp_eq_u32_e32 vcc, 0, v39
	v_mov_b32_e32 v41, 0xff7fffff
	s_waitcnt vmcnt(7)
	v_cvt_pk_f32_fp8_e32 v[18:19], v14
	v_cvt_pk_f32_fp8_sdwa v[22:23], v14 src0_sel:WORD_1
	v_cvt_pk_f32_fp8_e32 v[24:25], v15
	v_cvt_pk_f32_fp8_sdwa v[14:15], v15 src0_sel:WORD_1
	;; [unrolled: 2-line block ×3, first 2 shown]
	s_waitcnt vmcnt(5)
	v_cvt_pk_f32_fp8_e32 v[72:73], v6
	v_cvt_pk_f32_fp8_sdwa v[74:75], v6 src0_sel:WORD_1
	v_cvt_pk_f32_fp8_e32 v[76:77], v7
	v_cvt_pk_f32_fp8_sdwa v[78:79], v7 src0_sel:WORD_1
	v_cvt_pkrtz_f16_f32 v6, v18, v19
	v_cvt_pkrtz_f16_f32 v7, v22, v23
	v_cvt_pk_f32_fp8_e32 v[30:31], v17
	v_cvt_pk_f32_fp8_sdwa v[16:17], v17 src0_sel:WORD_1
	v_mfma_f32_4x4x4_16b_f16 a[0:3], v[34:35], v[6:7], 0 cbsz:4
	v_cvt_pk_f32_fp8_e32 v[80:81], v8
	v_cvt_pk_f32_fp8_sdwa v[82:83], v8 src0_sel:WORD_1
	v_cvt_pk_f32_fp8_e32 v[84:85], v9
	v_cvt_pk_f32_fp8_sdwa v[86:87], v9 src0_sel:WORD_1
	v_cvt_pkrtz_f16_f32 v8, v24, v25
	v_cvt_pkrtz_f16_f32 v9, v14, v15
	v_cvt_pk_f32_fp8_e32 v[32:33], v10
	v_cvt_pk_f32_fp8_sdwa v[62:63], v10 src0_sel:WORD_1
	v_mfma_f32_4x4x4_16b_f16 a[0:3], v[36:37], v[8:9], a[0:3] cbsz:4
	v_cvt_pkrtz_f16_f32 v14, v26, v27
	v_cvt_pkrtz_f16_f32 v15, v28, v29
	v_cvt_pk_f32_fp8_e32 v[64:65], v11
	v_cvt_pk_f32_fp8_sdwa v[10:11], v11 src0_sel:WORD_1
	v_mfma_f32_4x4x4_16b_f16 a[0:3], v[34:35], v[14:15], a[0:3] cbsz:4 abid:1
	v_cvt_pkrtz_f16_f32 v100, v30, v31
	v_cvt_pkrtz_f16_f32 v101, v16, v17
	v_cvt_pk_f32_fp8_e32 v[66:67], v12
	v_cvt_pk_f32_fp8_sdwa v[68:69], v12 src0_sel:WORD_1
	v_mfma_f32_4x4x4_16b_f16 a[0:3], v[36:37], v[100:101], a[0:3] cbsz:4 abid:1
	;; [unrolled: 5-line block ×3, first 2 shown]
	v_cvt_pkrtz_f16_f32 v62, v64, v65
	v_cvt_pkrtz_f16_f32 v63, v10, v11
	v_cvt_pkrtz_f16_f32 v10, v66, v67
	v_cvt_pkrtz_f16_f32 v11, v68, v69
	v_mfma_f32_4x4x4_16b_f16 a[0:3], v[36:37], v[62:63], a[0:3] cbsz:4 abid:2
	v_cvt_pkrtz_f16_f32 v64, v70, v71
	v_cvt_pkrtz_f16_f32 v65, v12, v13
	v_mfma_f32_4x4x4_16b_f16 a[0:3], v[34:35], v[10:11], a[0:3] cbsz:4 abid:3
	v_cvt_pkrtz_f16_f32 v12, v72, v73
	v_cvt_pkrtz_f16_f32 v13, v74, v75
	v_mfma_f32_4x4x4_16b_f16 a[0:3], v[36:37], v[64:65], a[0:3] cbsz:4 abid:3
	global_load_dwordx4 v[18:21], v[58:59], off offset:16
	global_load_dwordx4 v[22:25], v[58:59], off
	v_mfma_f32_4x4x4_16b_f16 a[0:3], v[34:35], v[12:13], a[0:3] cbsz:4 abid:4
	global_load_dwordx4 v[26:29], v[60:61], off offset:16
	global_load_dwordx4 v[30:33], v[60:61], off
	global_load_dwordx4 v[6:9], v[60:61], off offset:2064
	global_load_dwordx4 v[14:17], v[60:61], off offset:2048
	v_cvt_pkrtz_f16_f32 v60, v76, v77
	v_cvt_pkrtz_f16_f32 v61, v78, v79
	s_waitcnt vmcnt(10)
	v_cvt_pk_f32_fp8_e32 v[88:89], v2
	v_cvt_pk_f32_fp8_sdwa v[90:91], v2 src0_sel:WORD_1
	v_mfma_f32_4x4x4_16b_f16 a[0:3], v[36:37], v[60:61], a[0:3] cbsz:4 abid:4
	v_cvt_pkrtz_f16_f32 v62, v80, v81
	v_cvt_pkrtz_f16_f32 v63, v82, v83
	v_cvt_pk_f32_fp8_e32 v[92:93], v3
	v_cvt_pk_f32_fp8_sdwa v[2:3], v3 src0_sel:WORD_1
	v_mfma_f32_4x4x4_16b_f16 a[0:3], v[34:35], v[62:63], a[0:3] cbsz:4 abid:5
	v_cvt_pkrtz_f16_f32 v10, v84, v85
	v_cvt_pkrtz_f16_f32 v11, v86, v87
	;; [unrolled: 5-line block ×4, first 2 shown]
	v_cvt_pkrtz_f16_f32 v2, v94, v95
	v_cvt_pkrtz_f16_f32 v3, v96, v97
	v_mfma_f32_4x4x4_16b_f16 a[0:3], v[36:37], v[10:11], a[0:3] cbsz:4 abid:6
	v_cvt_pkrtz_f16_f32 v11, v4, v5
	s_waitcnt vmcnt(9)
	v_cvt_pk_f32_fp8_sdwa v[4:5], v42 src0_sel:WORD_1
	v_mfma_f32_4x4x4_16b_f16 a[0:3], v[34:35], v[2:3], a[0:3] cbsz:4 abid:7
	v_cvt_pk_f32_fp8_e32 v[2:3], v42
	v_cvt_pkrtz_f16_f32 v10, v98, v99
	v_cvt_pk_f32_fp8_sdwa v[12:13], v43 src0_sel:WORD_1
	v_cvt_pk_f32_fp8_sdwa v[60:61], v44 src0_sel:WORD_1
	v_mfma_f32_4x4x4_16b_f16 a[0:3], v[36:37], v[10:11], a[0:3] cbsz:4 abid:7
	v_cvt_pk_f32_fp8_e32 v[10:11], v43
	v_cvt_pkrtz_f16_f32 v2, v2, v3
	v_cvt_pkrtz_f16_f32 v3, v4, v5
	v_cvt_pk_f32_fp8_e32 v[42:43], v44
	v_cvt_pk_f32_fp8_e32 v[62:63], v45
	v_mfma_f32_4x4x4_16b_f16 a[0:3], v[34:35], v[2:3], a[0:3] cbsz:4 abid:8
	v_cvt_pk_f32_fp8_sdwa v[44:45], v45 src0_sel:WORD_1
	v_cvt_pkrtz_f16_f32 v4, v10, v11
	v_cvt_pkrtz_f16_f32 v5, v12, v13
	;; [unrolled: 1-line block ×4, first 2 shown]
	v_mfma_f32_4x4x4_16b_f16 a[0:3], v[36:37], v[4:5], a[0:3] cbsz:4 abid:8
	global_load_dwordx4 v[2:5], v[58:59], off offset:2064
	global_load_dwordx4 v[10:13], v[58:59], off offset:2048
	v_cvt_pkrtz_f16_f32 v59, v44, v45
	v_mfma_f32_4x4x4_16b_f16 a[0:3], v[34:35], v[42:43], a[0:3] cbsz:4 abid:9
	s_waitcnt vmcnt(10)
	v_cvt_pk_f32_fp8_e32 v[42:43], v46
	v_cvt_pk_f32_fp8_sdwa v[44:45], v46 src0_sel:WORD_1
	v_cvt_pkrtz_f16_f32 v58, v62, v63
	s_load_dword s1, s[12:13], 0x0
	v_cvt_pkrtz_f16_f32 v42, v42, v43
	v_mfma_f32_4x4x4_16b_f16 a[0:3], v[36:37], v[58:59], a[0:3] cbsz:4 abid:9
	v_cvt_pk_f32_fp8_e32 v[58:59], v47
	v_cvt_pk_f32_fp8_sdwa v[46:47], v47 src0_sel:WORD_1
	v_cvt_pkrtz_f16_f32 v43, v44, v45
	v_cvt_pkrtz_f16_f32 v44, v58, v59
	s_nop 0
	v_mfma_f32_4x4x4_16b_f16 a[0:3], v[34:35], v[42:43], a[0:3] cbsz:4 abid:10
	v_cvt_pkrtz_f16_f32 v45, v46, v47
	v_cvt_pk_f32_fp8_e32 v[42:43], v48
	v_cvt_pk_f32_fp8_e32 v[46:47], v49
	v_mfma_f32_4x4x4_16b_f16 a[0:3], v[36:37], v[44:45], a[0:3] cbsz:4 abid:10
	v_cvt_pk_f32_fp8_sdwa v[44:45], v48 src0_sel:WORD_1
	v_cvt_pk_f32_fp8_sdwa v[48:49], v49 src0_sel:WORD_1
	v_cvt_pkrtz_f16_f32 v42, v42, v43
	v_cvt_pkrtz_f16_f32 v43, v44, v45
	;; [unrolled: 1-line block ×3, first 2 shown]
	s_nop 0
	v_mfma_f32_4x4x4_16b_f16 a[0:3], v[34:35], v[42:43], a[0:3] cbsz:4 abid:11
	v_cvt_pkrtz_f16_f32 v45, v48, v49
	s_waitcnt vmcnt(9)
	v_cvt_pk_f32_fp8_e32 v[42:43], v50
	v_cvt_pk_f32_fp8_e32 v[46:47], v51
	v_mfma_f32_4x4x4_16b_f16 a[0:3], v[36:37], v[44:45], a[0:3] cbsz:4 abid:11
	v_cvt_pk_f32_fp8_sdwa v[44:45], v50 src0_sel:WORD_1
	v_cvt_pk_f32_fp8_sdwa v[48:49], v51 src0_sel:WORD_1
	v_cvt_pkrtz_f16_f32 v42, v42, v43
	v_cvt_pkrtz_f16_f32 v43, v44, v45
	;; [unrolled: 1-line block ×3, first 2 shown]
	s_nop 0
	v_mfma_f32_4x4x4_16b_f16 a[0:3], v[34:35], v[42:43], a[0:3] cbsz:4 abid:12
	v_cvt_pkrtz_f16_f32 v45, v48, v49
	v_cvt_pk_f32_fp8_e32 v[42:43], v52
	v_cvt_pk_f32_fp8_e32 v[46:47], v53
	v_mfma_f32_4x4x4_16b_f16 a[0:3], v[36:37], v[44:45], a[0:3] cbsz:4 abid:12
	v_cvt_pk_f32_fp8_sdwa v[44:45], v52 src0_sel:WORD_1
	v_cvt_pk_f32_fp8_sdwa v[48:49], v53 src0_sel:WORD_1
	v_cvt_pkrtz_f16_f32 v42, v42, v43
	v_cvt_pkrtz_f16_f32 v43, v44, v45
	;; [unrolled: 1-line block ×3, first 2 shown]
	s_nop 0
	v_mfma_f32_4x4x4_16b_f16 a[0:3], v[34:35], v[42:43], a[0:3] cbsz:4 abid:13
	v_cvt_pkrtz_f16_f32 v45, v48, v49
	s_waitcnt vmcnt(8)
	v_cvt_pk_f32_fp8_e32 v[42:43], v54
	v_cvt_pk_f32_fp8_e32 v[46:47], v55
	v_mfma_f32_4x4x4_16b_f16 a[0:3], v[36:37], v[44:45], a[0:3] cbsz:4 abid:13
	v_cvt_pk_f32_fp8_sdwa v[44:45], v54 src0_sel:WORD_1
	v_cvt_pk_f32_fp8_sdwa v[48:49], v55 src0_sel:WORD_1
	v_cvt_pkrtz_f16_f32 v42, v42, v43
	v_cvt_pkrtz_f16_f32 v43, v44, v45
	;; [unrolled: 1-line block ×3, first 2 shown]
	s_nop 0
	v_mfma_f32_4x4x4_16b_f16 a[0:3], v[34:35], v[42:43], a[0:3] cbsz:4 abid:14
	v_cvt_pkrtz_f16_f32 v45, v48, v49
	v_cvt_pk_f32_fp8_e32 v[42:43], v56
	v_cvt_pk_f32_fp8_e32 v[46:47], v57
	v_mfma_f32_4x4x4_16b_f16 a[0:3], v[36:37], v[44:45], a[0:3] cbsz:4 abid:14
	v_cvt_pk_f32_fp8_sdwa v[44:45], v56 src0_sel:WORD_1
	v_cvt_pk_f32_fp8_sdwa v[48:49], v57 src0_sel:WORD_1
	v_cvt_pkrtz_f16_f32 v42, v42, v43
	v_cvt_pkrtz_f16_f32 v43, v44, v45
	;; [unrolled: 1-line block ×3, first 2 shown]
	s_nop 0
	v_mfma_f32_4x4x4_16b_f16 a[0:3], v[34:35], v[42:43], a[0:3] cbsz:4 abid:15
	v_cvt_pkrtz_f16_f32 v45, v48, v49
	s_waitcnt lgkmcnt(0)
	v_mov_b32_e32 v34, s0
	v_mfma_f32_4x4x4_16b_f16 a[0:3], v[36:37], v[44:45], a[0:3] cbsz:4 abid:15
	v_mul_f32_e32 v36, s1, v34
	s_nop 3
	v_accvgpr_read_b32 v43, a1
	v_accvgpr_read_b32 v42, a0
	v_pk_mul_f32 v[42:43], v[42:43], v[36:37] op_sel_hi:[1,0]
	v_accvgpr_read_b32 v35, a3
	v_accvgpr_read_b32 v34, a2
	v_pk_mul_f32 v[34:35], v[34:35], v[36:37] op_sel_hi:[1,0]
	v_cndmask_b32_e64 v36, 0, 1.0, vcc
	v_cmp_eq_u32_e32 vcc, 1, v39
	s_nop 0
	v_mfma_f32_4x4x1_16b_f32 a[0:3], v42, v36, 0
	v_cndmask_b32_e64 v36, 0, 1.0, vcc
	v_cmp_eq_u32_e32 vcc, 2, v39
	s_nop 0
	v_mfma_f32_4x4x1_16b_f32 a[0:3], v43, v36, a[0:3]
	;; [unrolled: 4-line block ×3, first 2 shown]
	v_cndmask_b32_e64 v34, 0, 1.0, vcc
	s_nop 1
	v_mfma_f32_4x4x1_16b_f32 a[0:3], v35, v34, a[0:3]
	v_and_b32_e32 v34, -4, v40
	v_cmp_gt_i32_e32 vcc, s3, v34
	v_lshlrev_b32_e32 v35, 2, v0
	v_and_or_b32 v35, v35, 48, v39
	v_accvgpr_read_b32 v36, a0
	v_max_f32_e32 v37, v36, v36
	v_max_f32_e32 v37, 0xff7fffff, v37
	v_accvgpr_read_b32 v42, a1
	v_cndmask_b32_e32 v37, v41, v37, vcc
	v_or_b32_e32 v41, 1, v34
	v_max_f32_e32 v43, v42, v42
	v_max_f32_e32 v43, v37, v43
	v_cmp_gt_i32_e64 s[0:1], s3, v41
	v_accvgpr_read_b32 v41, a2
	v_or_b32_e32 v34, 2, v34
	v_cndmask_b32_e64 v37, v37, v43, s[0:1]
	v_max_f32_e32 v43, v41, v41
	v_max_f32_e32 v43, v37, v43
	v_cmp_gt_i32_e64 s[8:9], s3, v34
	v_lshlrev_b32_e32 v44, 2, v35
	s_nop 0
	v_cndmask_b32_e64 v34, v37, v43, s[8:9]
	v_accvgpr_read_b32 v43, a3
	v_or_b32_e32 v37, 3, v40
	v_max_f32_e32 v40, v43, v43
	v_max_f32_e32 v40, v34, v40
	v_cmp_gt_i32_e64 s[10:11], s3, v37
	s_nop 1
	v_cndmask_b32_e64 v34, v34, v40, s[10:11]
	;;#ASMSTART
	v_nop
 v_nop
 v_max_f32_dpp v34, v34, v34 row_ror:4
	;;#ASMEND
	s_nop 0
	;;#ASMSTART
	v_nop
 v_nop
 v_max_f32_dpp v34, v34, v34 row_ror:8
	;;#ASMEND
	ds_bpermute_b32 v34, v44, v34
	s_waitcnt lgkmcnt(0)
	;;#ASMSTART
	v_nop
 v_nop
 v_max_f32_dpp v34, v34, v34 row_ror:4
	;;#ASMEND
	s_nop 0
	;;#ASMSTART
	v_nop
 v_nop
 v_max_f32_dpp v40, v34, v34 row_ror:8
	;;#ASMEND
	s_nop 0
	v_sub_f32_e32 v34, v36, v40
	v_mul_f32_e32 v34, 0x3fb8aa3b, v34
	v_sub_f32_e32 v35, v42, v40
	v_exp_f32_e32 v34, v34
	v_mul_f32_e32 v35, 0x3fb8aa3b, v35
	v_sub_f32_e32 v37, v41, v40
	v_exp_f32_e32 v35, v35
	;; [unrolled: 3-line block ×3, first 2 shown]
	v_mul_f32_e32 v41, 0x3fb8aa3b, v41
	v_exp_f32_e32 v41, v41
	v_cndmask_b32_e32 v34, 0, v34, vcc
	v_add_f32_e32 v36, 0, v34
	v_cndmask_b32_e64 v35, 0, v35, s[0:1]
	v_add_f32_e32 v42, v36, v35
	v_cndmask_b32_e64 v36, 0, v37, s[8:9]
	;; [unrolled: 2-line block ×3, first 2 shown]
	v_add_f32_e32 v41, v42, v37
	;;#ASMSTART
	v_nop
 v_nop
 v_add_f32_dpp v41, v41, v41 row_ror:4
	;;#ASMEND
	v_cmp_gt_u32_e32 vcc, 4, v1
	;;#ASMSTART
	v_nop
 v_nop
 v_add_f32_dpp v41, v41, v41 row_ror:8
	;;#ASMEND
	ds_bpermute_b32 v41, v44, v41
	s_waitcnt lgkmcnt(0)
	;;#ASMSTART
	v_nop
 v_nop
 v_add_f32_dpp v41, v41, v41 row_ror:4
	;;#ASMEND
	s_nop 0
	;;#ASMSTART
	v_nop
 v_nop
 v_add_f32_dpp v41, v41, v41 row_ror:8
	;;#ASMEND
	s_and_saveexec_b64 s[0:1], vcc
	s_cbranch_execz .LBB1029_16
; %bb.15:
	v_mul_u32_u24_e32 v42, 20, v38
	v_lshl_add_u32 v42, v39, 2, v42
	v_add_u32_e32 v42, 0x1400, v42
	ds_write2_b32 v42, v40, v41 offset1:20
.LBB1029_16:
	s_or_b64 exec, exec, s[0:1]
.LBB1029_17:
	s_or_b64 exec, exec, s[30:31]
	s_waitcnt lgkmcnt(0)
	s_barrier
	s_load_dword s0, s[28:29], 0x8
	v_lshlrev_b32_e32 v41, 2, v39
	v_add_u32_e32 v48, 0x1400, v41
	ds_read2_b32 v[42:43], v48 offset1:5
	ds_read2_b32 v[44:45], v48 offset0:10 offset1:15
	s_mul_i32 s1, s2, s5
	s_waitcnt lgkmcnt(0)
	s_mul_i32 s1, s1, s0
	s_lshl_b32 s0, s1, 1
	s_mov_b32 s1, 0xff7fffff
	v_max3_f32 v41, v42, s1, v43
	v_max3_f32 v41, v41, v44, v45
	v_sub_f32_e32 v42, v42, v41
	ds_read2_b32 v[46:47], v48 offset0:20 offset1:25
	v_mul_f32_e32 v42, 0x3fb8aa3b, v42
	v_sub_f32_e32 v43, v43, v41
	v_exp_f32_e32 v42, v42
	v_mul_f32_e32 v43, 0x3fb8aa3b, v43
	v_sub_f32_e32 v44, v44, v41
	v_exp_f32_e32 v43, v43
	ds_read2_b32 v[48:49], v48 offset0:30 offset1:35
	v_mul_f32_e32 v44, 0x3fb8aa3b, v44
	v_sub_f32_e32 v45, v45, v41
	v_exp_f32_e32 v44, v44
	v_mul_f32_e32 v45, 0x3fb8aa3b, v45
	v_exp_f32_e32 v45, v45
	s_waitcnt lgkmcnt(1)
	v_fma_f32 v42, v42, v46, 0
	v_fmac_f32_e32 v42, v43, v47
	s_waitcnt lgkmcnt(0)
	v_fmac_f32_e32 v42, v44, v48
	s_lshl_b32 s8, s4, 1
	v_fmac_f32_e32 v42, v45, v49
	v_cmp_gt_u32_e32 vcc, 2, v39
	s_and_saveexec_b64 s[2:3], vcc
	s_cbranch_execz .LBB1029_19
; %bb.18:
	s_mov_b32 s1, 0
	s_lshl_b64 s[10:11], s[0:1], 2
	s_add_u32 s4, s16, s10
	s_mov_b32 s25, s1
	s_addc_u32 s9, s17, s11
	s_lshl_b64 s[12:13], s[24:25], 2
	s_add_u32 s16, s4, s12
	s_addc_u32 s17, s9, s13
	s_add_u32 s1, s18, s10
	s_addc_u32 s4, s19, s11
	v_or_b32_e32 v39, s8, v39
	s_add_u32 s10, s1, s12
	v_mul_lo_u32 v44, s5, v39
	v_mov_b32_e32 v45, 0
	s_addc_u32 s11, s4, s13
	v_lshlrev_b64 v[44:45], 2, v[44:45]
	v_lshl_add_u64 v[46:47], s[16:17], 0, v[44:45]
	v_lshl_add_u64 v[44:45], s[10:11], 0, v[44:45]
	global_store_dword v[44:45], v41, off
	global_store_dword v[46:47], v42, off
.LBB1029_19:
	s_or_b64 exec, exec, s[2:3]
	v_lshlrev_b32_e32 v38, 3, v38
	s_and_saveexec_b64 s[2:3], s[6:7]
	s_xor_b64 s[2:3], exec, s[2:3]
	s_cbranch_execz .LBB1029_21
; %bb.20:
	s_mov_b32 s6, 0
	s_mov_b32 s7, s6
	s_waitcnt vmcnt(1)
	v_mad_u32_u24 v4, v1, 40, v38
	v_mov_b64_e32 v[2:3], s[6:7]
	ds_write2st64_b64 v4, v[2:3], v[2:3] offset1:5
                                        ; implicit-def: $vgpr37
                                        ; implicit-def: $vgpr35
                                        ; implicit-def: $vgpr40
                                        ; implicit-def: $vgpr30_vgpr31
                                        ; implicit-def: $vgpr26_vgpr27
                                        ; implicit-def: $vgpr22_vgpr23
                                        ; implicit-def: $vgpr18_vgpr19
                                        ; implicit-def: $vgpr14_vgpr15
                                        ; implicit-def: $vgpr6_vgpr7
                                        ; implicit-def: $vgpr10_vgpr11
                                        ; implicit-def: $vgpr2_vgpr3
                                        ; implicit-def: $vgpr41
                                        ; implicit-def: $vgpr42
                                        ; implicit-def: $vgpr38
.LBB1029_21:
	s_andn2_saveexec_b64 s[2:3], s[2:3]
	s_cbranch_execz .LBB1029_23
; %bb.22:
	v_add_f32_e32 v39, 0x358637bd, v42
	v_div_scale_f32 v42, s[6:7], v39, v39, 1.0
	v_rcp_f32_e32 v43, v42
	v_sub_f32_e32 v40, v40, v41
	v_mul_f32_e32 v40, 0x3fb8aa3b, v40
	v_exp_f32_e32 v40, v40
	v_fma_f32 v41, -v42, v43, 1.0
	v_fmac_f32_e32 v43, v41, v43
	v_div_scale_f32 v41, vcc, 1.0, v39, 1.0
	v_mul_f32_e32 v44, v41, v43
	v_fma_f32 v45, -v42, v44, v41
	v_fmac_f32_e32 v44, v45, v43
	v_fma_f32 v41, -v42, v44, v41
	v_div_fmas_f32 v41, v41, v43, v44
	v_div_fixup_f32 v39, v41, v39, 1.0
	v_mul_f32_e32 v40, v40, v39
	v_pk_mul_f32 v[36:37], v[36:37], v[40:41] op_sel_hi:[1,0]
	v_pk_mul_f32 v[34:35], v[34:35], v[40:41] op_sel_hi:[1,0]
	v_cvt_f16_f32_e32 v36, v36
	v_cvt_f16_f32_e32 v34, v34
	;; [unrolled: 1-line block ×4, first 2 shown]
	s_waitcnt vmcnt(4)
	v_cvt_pk_f32_fp8_sdwa v[40:41], v30 src0_sel:WORD_1
	v_cvt_pk_f32_fp8_e32 v[42:43], v31
	v_pack_b32_f16 v34, v34, v35
	v_pack_b32_f16 v35, v36, v37
	v_cvt_pk_f32_fp8_e32 v[36:37], v30
	v_cvt_pk_f32_fp8_sdwa v[30:31], v31 src0_sel:WORD_1
	s_load_dword s4, s[14:15], 0x0
	v_cvt_pkrtz_f16_f32 v36, v36, v37
	v_cvt_pkrtz_f16_f32 v37, v40, v41
	;; [unrolled: 1-line block ×3, first 2 shown]
	v_cvt_pk_f32_fp8_e32 v[30:31], v32
	v_mfma_f32_4x4x4_16b_f16 a[0:3], v[34:35], v[36:37], 0 cbsz:4
	v_cvt_pk_f32_fp8_sdwa v[36:37], v32 src0_sel:WORD_1
	v_cvt_pkrtz_f16_f32 v40, v42, v43
	v_cvt_pkrtz_f16_f32 v30, v30, v31
	;; [unrolled: 1-line block ×3, first 2 shown]
	v_mfma_f32_4x4x4_16b_f16 a[0:3], v[34:35], v[40:41], a[0:3] cbsz:4 abid:1
	v_cvt_pk_f32_fp8_e32 v[40:41], v33
	v_cvt_pk_f32_fp8_sdwa v[32:33], v33 src0_sel:WORD_1
	v_mfma_f32_4x4x4_16b_f16 a[0:3], v[34:35], v[30:31], a[0:3] cbsz:4 abid:2
	v_cvt_pk_f32_fp8_e32 v[30:31], v26
	v_cvt_pkrtz_f16_f32 v36, v40, v41
	v_cvt_pkrtz_f16_f32 v37, v32, v33
	v_cvt_pk_f32_fp8_sdwa v[32:33], v26 src0_sel:WORD_1
	v_cvt_pkrtz_f16_f32 v30, v30, v31
	v_mfma_f32_4x4x4_16b_f16 a[0:3], v[34:35], v[36:37], a[0:3] cbsz:4 abid:3
	v_cvt_pk_f32_fp8_e32 v[36:37], v27
	v_cvt_pk_f32_fp8_sdwa v[26:27], v27 src0_sel:WORD_1
	v_cvt_pkrtz_f16_f32 v31, v32, v33
	v_cvt_pkrtz_f16_f32 v32, v36, v37
	v_cvt_pkrtz_f16_f32 v33, v26, v27
	v_mfma_f32_4x4x4_16b_f16 a[0:3], v[34:35], v[30:31], a[0:3] cbsz:4 abid:4
	v_cvt_pk_f32_fp8_e32 v[26:27], v28
	v_cvt_pk_f32_fp8_sdwa v[30:31], v28 src0_sel:WORD_1
	v_mfma_f32_4x4x4_16b_f16 a[0:3], v[34:35], v[32:33], a[0:3] cbsz:4 abid:5
	v_cvt_pk_f32_fp8_e32 v[32:33], v29
	v_cvt_pk_f32_fp8_sdwa v[28:29], v29 src0_sel:WORD_1
	v_cvt_pkrtz_f16_f32 v26, v26, v27
	v_cvt_pkrtz_f16_f32 v27, v30, v31
	v_cvt_pkrtz_f16_f32 v30, v32, v33
	v_cvt_pkrtz_f16_f32 v31, v28, v29
	v_mfma_f32_4x4x4_16b_f16 a[0:3], v[34:35], v[26:27], a[0:3] cbsz:4 abid:6
	v_cvt_pk_f32_fp8_e32 v[26:27], v22
	v_cvt_pk_f32_fp8_sdwa v[28:29], v22 src0_sel:WORD_1
	v_mfma_f32_4x4x4_16b_f16 a[0:3], v[34:35], v[30:31], a[0:3] cbsz:4 abid:7
	v_cvt_pk_f32_fp8_e32 v[30:31], v23
	v_cvt_pk_f32_fp8_sdwa v[22:23], v23 src0_sel:WORD_1
	v_cvt_pkrtz_f16_f32 v26, v26, v27
	;; [unrolled: 10-line block ×5, first 2 shown]
	v_cvt_pkrtz_f16_f32 v19, v22, v23
	v_cvt_pkrtz_f16_f32 v22, v24, v25
	;; [unrolled: 1-line block ×3, first 2 shown]
	v_mfma_f32_4x4x4_16b_f16 a[0:3], v[34:35], v[18:19], a[0:3] cbsz:4 abid:14
	s_waitcnt vmcnt(2)
	v_cvt_pk_f32_fp8_e32 v[24:25], v15
	v_mfma_f32_4x4x4_16b_f16 a[0:3], v[34:35], v[22:23], a[0:3] cbsz:4 abid:15
	v_cvt_pk_f32_fp8_sdwa v[22:23], v14 src0_sel:WORD_1
	s_nop 3
	v_accvgpr_read_b32 v19, a1
	v_accvgpr_read_b32 v18, a0
	s_waitcnt lgkmcnt(0)
	v_pk_mul_f32 v[18:19], v[18:19], s[4:5] op_sel_hi:[1,0]
	s_nop 0
	v_cvt_f16_f32_e32 v20, v18
	v_cvt_f16_f32_e32 v21, v19
	v_accvgpr_read_b32 v19, a3
	v_accvgpr_read_b32 v18, a2
	v_pk_mul_f32 v[18:19], v[18:19], s[4:5] op_sel_hi:[1,0]
	v_pack_b32_f16 v20, v20, v21
	v_cvt_f16_f32_e32 v21, v18
	v_cvt_f16_f32_e32 v26, v19
	v_cvt_pk_f32_fp8_e32 v[18:19], v14
	v_cvt_pk_f32_fp8_sdwa v[14:15], v15 src0_sel:WORD_1
	v_pack_b32_f16 v21, v21, v26
	v_cvt_pkrtz_f16_f32 v18, v18, v19
	v_cvt_pkrtz_f16_f32 v19, v22, v23
	;; [unrolled: 1-line block ×4, first 2 shown]
	v_mfma_f32_4x4x4_16b_f16 a[0:3], v[34:35], v[18:19], 0 cbsz:4
	v_cvt_pk_f32_fp8_e32 v[14:15], v16
	v_cvt_pk_f32_fp8_sdwa v[18:19], v16 src0_sel:WORD_1
	v_mfma_f32_4x4x4_16b_f16 a[0:3], v[34:35], v[22:23], a[0:3] cbsz:4 abid:1
	v_cvt_pk_f32_fp8_e32 v[22:23], v17
	v_cvt_pk_f32_fp8_sdwa v[16:17], v17 src0_sel:WORD_1
	v_cvt_pkrtz_f16_f32 v14, v14, v15
	v_cvt_pkrtz_f16_f32 v15, v18, v19
	v_cvt_pkrtz_f16_f32 v18, v22, v23
	v_cvt_pkrtz_f16_f32 v19, v16, v17
	v_mfma_f32_4x4x4_16b_f16 a[0:3], v[34:35], v[14:15], a[0:3] cbsz:4 abid:2
	v_cvt_pk_f32_fp8_e32 v[14:15], v6
	v_cvt_pk_f32_fp8_sdwa v[16:17], v6 src0_sel:WORD_1
	v_mfma_f32_4x4x4_16b_f16 a[0:3], v[34:35], v[18:19], a[0:3] cbsz:4 abid:3
	v_cvt_pk_f32_fp8_e32 v[18:19], v7
	v_cvt_pk_f32_fp8_sdwa v[6:7], v7 src0_sel:WORD_1
	v_cvt_pkrtz_f16_f32 v14, v14, v15
	v_cvt_pkrtz_f16_f32 v15, v16, v17
	v_cvt_pkrtz_f16_f32 v16, v18, v19
	v_cvt_pkrtz_f16_f32 v17, v6, v7
	v_mfma_f32_4x4x4_16b_f16 a[0:3], v[34:35], v[14:15], a[0:3] cbsz:4 abid:4
	;; [unrolled: 10-line block ×3, first 2 shown]
	s_waitcnt vmcnt(0)
	v_cvt_pk_f32_fp8_e32 v[6:7], v10
	v_cvt_pk_f32_fp8_sdwa v[8:9], v10 src0_sel:WORD_1
	v_mfma_f32_4x4x4_16b_f16 a[0:3], v[34:35], v[14:15], a[0:3] cbsz:4 abid:7
	v_cvt_pk_f32_fp8_e32 v[14:15], v11
	v_cvt_pk_f32_fp8_sdwa v[10:11], v11 src0_sel:WORD_1
	v_cvt_pkrtz_f16_f32 v6, v6, v7
	v_cvt_pkrtz_f16_f32 v7, v8, v9
	;; [unrolled: 1-line block ×4, first 2 shown]
	v_mfma_f32_4x4x4_16b_f16 a[0:3], v[34:35], v[6:7], a[0:3] cbsz:4 abid:8
	v_cvt_pk_f32_fp8_e32 v[6:7], v12
	v_cvt_pk_f32_fp8_e32 v[10:11], v13
	v_mfma_f32_4x4x4_16b_f16 a[0:3], v[34:35], v[8:9], a[0:3] cbsz:4 abid:9
	v_cvt_pk_f32_fp8_sdwa v[8:9], v12 src0_sel:WORD_1
	v_cvt_pk_f32_fp8_sdwa v[12:13], v13 src0_sel:WORD_1
	v_cvt_pkrtz_f16_f32 v6, v6, v7
	v_cvt_pkrtz_f16_f32 v7, v8, v9
	;; [unrolled: 1-line block ×3, first 2 shown]
	s_nop 0
	v_mfma_f32_4x4x4_16b_f16 a[0:3], v[34:35], v[6:7], a[0:3] cbsz:4 abid:10
	v_cvt_pkrtz_f16_f32 v9, v12, v13
	v_cvt_pk_f32_fp8_e32 v[6:7], v2
	v_cvt_pk_f32_fp8_e32 v[10:11], v3
	v_mfma_f32_4x4x4_16b_f16 a[0:3], v[34:35], v[8:9], a[0:3] cbsz:4 abid:11
	v_cvt_pk_f32_fp8_sdwa v[8:9], v2 src0_sel:WORD_1
	v_cvt_pk_f32_fp8_sdwa v[2:3], v3 src0_sel:WORD_1
	v_cvt_pkrtz_f16_f32 v6, v6, v7
	v_cvt_pkrtz_f16_f32 v7, v8, v9
	;; [unrolled: 1-line block ×3, first 2 shown]
	s_nop 0
	v_mfma_f32_4x4x4_16b_f16 a[0:3], v[34:35], v[6:7], a[0:3] cbsz:4 abid:12
	v_cvt_pk_f32_fp8_e32 v[2:3], v4
	v_cvt_pk_f32_fp8_sdwa v[6:7], v4 src0_sel:WORD_1
	v_cvt_pkrtz_f16_f32 v8, v10, v11
	v_cvt_pkrtz_f16_f32 v2, v2, v3
	s_nop 0
	v_mfma_f32_4x4x4_16b_f16 a[0:3], v[34:35], v[8:9], a[0:3] cbsz:4 abid:13
	v_cvt_pk_f32_fp8_e32 v[8:9], v5
	v_cvt_pk_f32_fp8_sdwa v[4:5], v5 src0_sel:WORD_1
	v_cvt_pkrtz_f16_f32 v3, v6, v7
	v_cvt_pkrtz_f16_f32 v6, v8, v9
	s_nop 0
	v_mfma_f32_4x4x4_16b_f16 a[0:3], v[34:35], v[2:3], a[0:3] cbsz:4 abid:14
	v_cvt_pkrtz_f16_f32 v7, v4, v5
	s_nop 1
	v_mfma_f32_4x4x4_16b_f16 a[0:3], v[34:35], v[6:7], a[0:3] cbsz:4 abid:15
	v_mad_u32_u24 v7, v1, 40, v38
	s_nop 3
	v_accvgpr_read_b32 v5, a1
	v_accvgpr_read_b32 v3, a3
	;; [unrolled: 1-line block ×4, first 2 shown]
	v_pk_mul_f32 v[2:3], v[2:3], s[4:5] op_sel_hi:[1,0]
	v_pk_mul_f32 v[4:5], v[4:5], s[4:5] op_sel_hi:[1,0]
	v_cvt_f16_f32_e32 v6, v2
	v_cvt_f16_f32_e32 v4, v4
	v_cvt_f16_f32_e32 v5, v5
	v_cvt_f16_f32_e32 v3, v3
	v_pack_b32_f16 v2, v4, v5
	v_pack_b32_f16 v3, v6, v3
	ds_write2st64_b64 v7, v[20:21], v[2:3] offset1:5
.LBB1029_23:
	s_or_b64 exec, exec, s[2:3]
	v_cmp_gt_u32_e32 vcc, 64, v0
	s_waitcnt lgkmcnt(0)
	s_barrier
	s_and_saveexec_b64 s[2:3], vcc
	s_cbranch_execz .LBB1029_25
; %bb.24:
	s_waitcnt vmcnt(3)
	v_mul_u32_u24_e32 v6, 40, v1
	s_waitcnt vmcnt(1)
	ds_read2_b64 v[2:5], v6 offset1:1
	s_mov_b32 s1, 0
	s_waitcnt lgkmcnt(0)
	v_mov_b32_e32 v3, 0xa00
	s_lshl_b32 s0, s0, 7
	ds_read2_b64 v[6:9], v6 offset0:2 offset1:3
	v_mad_u32_u24 v3, v1, 40, v3
	v_pk_add_f16 v2, v2, 0
	s_lshl_b64 s[2:3], s[0:1], 1
	s_waitcnt lgkmcnt(0)
	v_pk_add_f16 v7, v2, v4
	v_mov_b32_e32 v9, 0xa10
	ds_read2_b64 v[2:5], v3 offset1:1
	s_add_u32 s2, s26, s2
	v_mad_u32_u24 v1, v1, 40, v9
	s_waitcnt vmcnt(0)
	ds_read2_b64 v[10:13], v1 offset1:1
	s_addc_u32 s3, s27, s3
	s_lshl_b32 s0, s24, 7
	s_lshl_b64 s[0:1], s[0:1], 1
	s_add_u32 s0, s2, s0
	v_pk_add_f16 v1, v7, v6
	s_addc_u32 s1, s3, s1
	s_lshl_b32 s2, s5, 7
	v_pk_add_f16 v6, v1, v8
	s_waitcnt lgkmcnt(1)
	v_pk_add_f16 v1, v2, 0
	s_mul_i32 s3, s2, s8
	v_pk_add_f16 v1, v1, v4
	v_or_b32_e32 v2, s3, v0
	v_mov_b32_e32 v3, 0
	s_add_i32 s3, s3, s2
	s_waitcnt lgkmcnt(0)
	v_pk_add_f16 v1, v1, v10
	v_lshl_add_u64 v[4:5], v[2:3], 1, s[0:1]
	v_or_b32_e32 v2, s3, v0
	v_pk_add_f16 v7, v1, v12
	v_lshl_add_u64 v[0:1], v[2:3], 1, s[0:1]
	global_store_short v[4:5], v6, off
	global_store_short_d16_hi v[0:1], v6, off
	global_store_short v[4:5], v7, off offset:128
	global_store_short_d16_hi v[0:1], v7, off offset:128
.LBB1029_25:
	s_endpgm
	.section	.rodata,"a",@progbits
	.p2align	6, 0x0
	.amdhsa_kernel _Z38paged_attention_ll4mi_QKV_mfma4_kernelIDF16_hLN4vllm18Fp8KVCacheDataTypeE1EhLi32ELi128ELi256ELb0ELi2EEvPKT_PKT0_S7_ifPKiS9_S9_iPKfiiiPfSC_PS2_PT2_iSB_SB_
		.amdhsa_group_segment_fixed_size 5280
		.amdhsa_private_segment_fixed_size 0
		.amdhsa_kernarg_size 400
		.amdhsa_user_sgpr_count 2
		.amdhsa_user_sgpr_dispatch_ptr 0
		.amdhsa_user_sgpr_queue_ptr 0
		.amdhsa_user_sgpr_kernarg_segment_ptr 1
		.amdhsa_user_sgpr_dispatch_id 0
		.amdhsa_user_sgpr_kernarg_preload_length 0
		.amdhsa_user_sgpr_kernarg_preload_offset 0
		.amdhsa_user_sgpr_private_segment_size 0
		.amdhsa_uses_dynamic_stack 0
		.amdhsa_enable_private_segment 0
		.amdhsa_system_sgpr_workgroup_id_x 1
		.amdhsa_system_sgpr_workgroup_id_y 1
		.amdhsa_system_sgpr_workgroup_id_z 1
		.amdhsa_system_sgpr_workgroup_info 0
		.amdhsa_system_vgpr_workitem_id 0
		.amdhsa_next_free_vgpr 108
		.amdhsa_next_free_sgpr 42
		.amdhsa_accum_offset 104
		.amdhsa_reserve_vcc 1
		.amdhsa_float_round_mode_32 0
		.amdhsa_float_round_mode_16_64 0
		.amdhsa_float_denorm_mode_32 3
		.amdhsa_float_denorm_mode_16_64 3
		.amdhsa_dx10_clamp 1
		.amdhsa_ieee_mode 1
		.amdhsa_fp16_overflow 0
		.amdhsa_tg_split 0
		.amdhsa_exception_fp_ieee_invalid_op 0
		.amdhsa_exception_fp_denorm_src 0
		.amdhsa_exception_fp_ieee_div_zero 0
		.amdhsa_exception_fp_ieee_overflow 0
		.amdhsa_exception_fp_ieee_underflow 0
		.amdhsa_exception_fp_ieee_inexact 0
		.amdhsa_exception_int_div_zero 0
	.end_amdhsa_kernel
	.section	.text._Z38paged_attention_ll4mi_QKV_mfma4_kernelIDF16_hLN4vllm18Fp8KVCacheDataTypeE1EhLi32ELi128ELi256ELb0ELi2EEvPKT_PKT0_S7_ifPKiS9_S9_iPKfiiiPfSC_PS2_PT2_iSB_SB_,"axG",@progbits,_Z38paged_attention_ll4mi_QKV_mfma4_kernelIDF16_hLN4vllm18Fp8KVCacheDataTypeE1EhLi32ELi128ELi256ELb0ELi2EEvPKT_PKT0_S7_ifPKiS9_S9_iPKfiiiPfSC_PS2_PT2_iSB_SB_,comdat
.Lfunc_end1029:
	.size	_Z38paged_attention_ll4mi_QKV_mfma4_kernelIDF16_hLN4vllm18Fp8KVCacheDataTypeE1EhLi32ELi128ELi256ELb0ELi2EEvPKT_PKT0_S7_ifPKiS9_S9_iPKfiiiPfSC_PS2_PT2_iSB_SB_, .Lfunc_end1029-_Z38paged_attention_ll4mi_QKV_mfma4_kernelIDF16_hLN4vllm18Fp8KVCacheDataTypeE1EhLi32ELi128ELi256ELb0ELi2EEvPKT_PKT0_S7_ifPKiS9_S9_iPKfiiiPfSC_PS2_PT2_iSB_SB_
                                        ; -- End function
	.section	.AMDGPU.csdata,"",@progbits
; Kernel info:
; codeLenInByte = 5228
; NumSgprs: 48
; NumVgprs: 104
; NumAgprs: 4
; TotalNumVgprs: 108
; ScratchSize: 0
; MemoryBound: 0
; FloatMode: 240
; IeeeMode: 1
; LDSByteSize: 5280 bytes/workgroup (compile time only)
; SGPRBlocks: 5
; VGPRBlocks: 13
; NumSGPRsForWavesPerEU: 48
; NumVGPRsForWavesPerEU: 108
; AccumOffset: 104
; Occupancy: 4
; WaveLimiterHint : 1
; COMPUTE_PGM_RSRC2:SCRATCH_EN: 0
; COMPUTE_PGM_RSRC2:USER_SGPR: 2
; COMPUTE_PGM_RSRC2:TRAP_HANDLER: 0
; COMPUTE_PGM_RSRC2:TGID_X_EN: 1
; COMPUTE_PGM_RSRC2:TGID_Y_EN: 1
; COMPUTE_PGM_RSRC2:TGID_Z_EN: 1
; COMPUTE_PGM_RSRC2:TIDIG_COMP_CNT: 0
; COMPUTE_PGM_RSRC3_GFX90A:ACCUM_OFFSET: 25
; COMPUTE_PGM_RSRC3_GFX90A:TG_SPLIT: 0
	.section	.text._Z38paged_attention_ll4mi_QKV_mfma4_kernelIDF16_hLN4vllm18Fp8KVCacheDataTypeE1EhLi32ELi128ELi256ELb0ELi3EEvPKT_PKT0_S7_ifPKiS9_S9_iPKfiiiPfSC_PS2_PT2_iSB_SB_,"axG",@progbits,_Z38paged_attention_ll4mi_QKV_mfma4_kernelIDF16_hLN4vllm18Fp8KVCacheDataTypeE1EhLi32ELi128ELi256ELb0ELi3EEvPKT_PKT0_S7_ifPKiS9_S9_iPKfiiiPfSC_PS2_PT2_iSB_SB_,comdat
	.protected	_Z38paged_attention_ll4mi_QKV_mfma4_kernelIDF16_hLN4vllm18Fp8KVCacheDataTypeE1EhLi32ELi128ELi256ELb0ELi3EEvPKT_PKT0_S7_ifPKiS9_S9_iPKfiiiPfSC_PS2_PT2_iSB_SB_ ; -- Begin function _Z38paged_attention_ll4mi_QKV_mfma4_kernelIDF16_hLN4vllm18Fp8KVCacheDataTypeE1EhLi32ELi128ELi256ELb0ELi3EEvPKT_PKT0_S7_ifPKiS9_S9_iPKfiiiPfSC_PS2_PT2_iSB_SB_
	.globl	_Z38paged_attention_ll4mi_QKV_mfma4_kernelIDF16_hLN4vllm18Fp8KVCacheDataTypeE1EhLi32ELi128ELi256ELb0ELi3EEvPKT_PKT0_S7_ifPKiS9_S9_iPKfiiiPfSC_PS2_PT2_iSB_SB_
	.p2align	8
	.type	_Z38paged_attention_ll4mi_QKV_mfma4_kernelIDF16_hLN4vllm18Fp8KVCacheDataTypeE1EhLi32ELi128ELi256ELb0ELi3EEvPKT_PKT0_S7_ifPKiS9_S9_iPKfiiiPfSC_PS2_PT2_iSB_SB_,@function
_Z38paged_attention_ll4mi_QKV_mfma4_kernelIDF16_hLN4vllm18Fp8KVCacheDataTypeE1EhLi32ELi128ELi256ELb0ELi3EEvPKT_PKT0_S7_ifPKiS9_S9_iPKfiiiPfSC_PS2_PT2_iSB_SB_: ; @_Z38paged_attention_ll4mi_QKV_mfma4_kernelIDF16_hLN4vllm18Fp8KVCacheDataTypeE1EhLi32ELi128ELi256ELb0ELi3EEvPKT_PKT0_S7_ifPKiS9_S9_iPKfiiiPfSC_PS2_PT2_iSB_SB_
; %bb.0:
	s_load_dwordx2 s[20:21], s[0:1], 0x30
	s_mov_b32 s24, s3
	s_mov_b64 s[6:7], 0
	s_waitcnt lgkmcnt(0)
	s_cmp_lg_u64 s[20:21], 0
	s_cselect_b64 s[22:23], -1, 0
	s_and_b64 vcc, exec, s[22:23]
	s_cbranch_vccz .LBB1030_10
; %bb.1:
	s_add_i32 s8, s2, 1
	s_mov_b32 s9, 0
	s_lshl_b64 s[10:11], s[8:9], 2
	s_add_u32 s10, s20, s10
	s_mov_b32 s3, s9
	s_addc_u32 s11, s21, s11
	s_lshl_b64 s[8:9], s[2:3], 2
	s_add_u32 s8, s20, s8
	s_addc_u32 s9, s21, s9
	s_load_dword s5, s[10:11], 0x0
	s_load_dword s12, s[8:9], 0x0
	s_waitcnt lgkmcnt(0)
	s_sub_i32 s5, s5, s12
	s_cmp_eq_u32 s5, 1
	s_cselect_b64 s[8:9], -1, 0
	s_andn2_b64 vcc, exec, s[6:7]
	s_cbranch_vccnz .LBB1030_3
.LBB1030_2:
	s_mov_b32 s3, 0
	s_mov_b64 s[8:9], -1
.LBB1030_3:
	s_andn2_b64 vcc, exec, s[8:9]
	s_cbranch_vccnz .LBB1030_25
; %bb.4:
	s_load_dword s5, s[0:1], 0x9c
	s_load_dwordx2 s[6:7], s[0:1], 0x28
	s_add_u32 s28, s0, 0x90
	s_addc_u32 s29, s1, 0
	s_lshl_b64 s[34:35], s[2:3], 2
	s_waitcnt lgkmcnt(0)
	s_and_b32 s5, s5, 0xffff
	s_add_u32 s6, s6, s34
	s_addc_u32 s7, s7, s35
	s_load_dword s3, s[6:7], 0x0
	s_mul_i32 s10, s24, s5
	s_waitcnt lgkmcnt(0)
	s_cmp_ge_i32 s10, s3
	s_cbranch_scc1 .LBB1030_25
; %bb.5:
	v_and_b32_e32 v1, 0xc0, v0
	v_add_u32_e32 v4, s10, v1
	v_lshrrev_b32_e32 v38, 6, v0
	v_cmp_le_i32_e64 s[6:7], s3, v4
                                        ; implicit-def: $sgpr25
                                        ; implicit-def: $sgpr11
	s_and_saveexec_b64 s[8:9], s[6:7]
	s_xor_b64 s[8:9], exec, s[8:9]
	s_cbranch_execz .LBB1030_7
; %bb.6:
	v_mul_u32_u24_e32 v1, 20, v38
	v_or_b32_e32 v1, 0x1400, v1
	v_mov_b32_e32 v2, 0x1450
	v_mov_b32_e32 v3, 0xff7fffff
	v_mad_u32_u24 v2, v38, 20, v2
	ds_write2_b32 v1, v3, v3 offset1:1
	v_mov_b32_e32 v1, 0
	ds_write2_b32 v2, v1, v1 offset1:1
	v_mov_b32_e32 v2, 0x1408
	v_mov_b32_e32 v4, 0x1458
	s_mov_b32 s11, 0xff7fffff
	s_mov_b32 s25, 0
	v_mad_u32_u24 v2, v38, 20, v2
	v_mad_u32_u24 v4, v38, 20, v4
	ds_write2_b32 v2, v3, v3 offset1:1
	ds_write2_b32 v4, v1, v1 offset1:1
                                        ; implicit-def: $vgpr4
.LBB1030_7:
	s_or_saveexec_b64 s[30:31], s[8:9]
	s_load_dwordx2 s[26:27], s[0:1], 0x68
	s_load_dwordx4 s[16:19], s[0:1], 0x58
	s_load_dword s5, s[28:29], 0x4
	s_load_dwordx4 s[12:15], s[0:1], 0x80
	v_and_b32_e32 v1, 63, v0
	v_and_b32_e32 v39, 3, v0
	v_mov_b32_e32 v37, s25
	v_mov_b32_e32 v40, s11
	;; [unrolled: 1-line block ×5, first 2 shown]
                                        ; implicit-def: $vgpr30_vgpr31
                                        ; implicit-def: $vgpr22_vgpr23
                                        ; implicit-def: $vgpr14_vgpr15
                                        ; implicit-def: $vgpr10_vgpr11
                                        ; implicit-def: $vgpr6_vgpr7
                                        ; implicit-def: $vgpr2_vgpr3
                                        ; implicit-def: $vgpr26_vgpr27
                                        ; implicit-def: $vgpr18_vgpr19
	s_xor_b64 exec, exec, s[30:31]
	s_cbranch_execz .LBB1030_17
; %bb.8:
	s_load_dwordx2 s[8:9], s[0:1], 0x20
	s_load_dword s11, s[0:1], 0x38
	s_add_i32 s25, s3, 31
	s_ashr_i32 s33, s25, 31
	s_lshr_b32 s33, s33, 27
	v_add_u32_e32 v36, s10, v0
	s_add_i32 s25, s25, s33
	v_ashrrev_i32_e32 v2, 31, v36
	s_ashr_i32 s25, s25, 5
	v_lshrrev_b32_e32 v2, 27, v2
	s_add_i32 s25, s25, -1
	s_waitcnt lgkmcnt(0)
	s_mul_i32 s36, s2, s11
	s_mov_b32 s37, 0
	v_add_u32_e32 v2, v36, v2
	s_lshl_b64 s[36:37], s[36:37], 2
	v_ashrrev_i32_e32 v2, 5, v2
	v_mov_b32_e32 v3, s25
	v_cmp_gt_i32_e32 vcc, s3, v36
	s_add_u32 s8, s8, s36
	s_addc_u32 s9, s9, s37
	v_cndmask_b32_e32 v2, v3, v2, vcc
	v_ashrrev_i32_e32 v3, 31, v2
	v_lshl_add_u64 v[6:7], v[2:3], 2, s[8:9]
	v_ashrrev_i32_e32 v2, 31, v4
	v_lshrrev_b32_e32 v2, 27, v2
	v_add_u32_e32 v2, v4, v2
	v_ashrrev_i32_e32 v8, 5, v2
	v_min_i32_e32 v2, s25, v8
	v_ashrrev_i32_e32 v3, 31, v2
	v_lshl_add_u64 v[4:5], v[2:3], 2, s[8:9]
	v_add_u32_e32 v2, 1, v8
	v_min_i32_e32 v2, s25, v2
	v_ashrrev_i32_e32 v3, 31, v2
	v_lshl_add_u64 v[8:9], v[2:3], 2, s[8:9]
	global_load_dword v2, v[6:7], off
	global_load_dword v26, v[4:5], off
	;; [unrolled: 1-line block ×3, first 2 shown]
	s_load_dwordx4 s[8:11], s[0:1], 0x8
	s_andn2_b64 vcc, exec, s[22:23]
	s_cbranch_vccnz .LBB1030_11
; %bb.9:
	s_add_u32 s20, s20, s34
	s_addc_u32 s21, s21, s35
	s_load_dword s25, s[20:21], 0x0
	s_branch .LBB1030_12
.LBB1030_10:
	s_mov_b64 s[8:9], 0
	s_branch .LBB1030_2
.LBB1030_11:
	s_mov_b32 s25, s2
.LBB1030_12:
	s_load_dwordx4 s[20:23], s[0:1], 0x48
	v_cmp_ne_u32_e32 vcc, 3, v39
	s_mov_b32 s37, 0
	v_mov_b32_e32 v37, 1.0
	v_mov_b32_e32 v23, 0
	v_mov_b32_e32 v18, 0
	;; [unrolled: 1-line block ×5, first 2 shown]
	s_and_saveexec_b64 s[34:35], vcc
	s_cbranch_execz .LBB1030_14
; %bb.13:
	s_load_dwordx2 s[38:39], s[0:1], 0x0
	s_waitcnt lgkmcnt(0)
	s_ashr_i32 s23, s20, 31
	s_mul_hi_u32 s33, s25, s20
	s_mul_i32 s23, s25, s23
	s_add_i32 s41, s33, s23
	s_mul_i32 s40, s25, s20
	s_lshl_b64 s[40:41], s[40:41], 1
	s_add_u32 s20, s38, s40
	s_mul_i32 s36, s4, 0x180
	s_addc_u32 s23, s39, s41
	s_lshl_b64 s[36:37], s[36:37], 1
	v_lshlrev_b32_e32 v3, 2, v1
	s_add_u32 s36, s20, s36
	v_and_b32_e32 v3, 0xf0, v3
	s_addc_u32 s37, s23, s37
	v_lshl_or_b32 v3, v39, 8, v3
	global_load_dwordx4 v[18:21], v3, s[36:37]
	v_mov_b32_e32 v37, 0
.LBB1030_14:
	s_or_b64 exec, exec, s[34:35]
	s_waitcnt lgkmcnt(0)
	s_mul_i32 s20, s4, s22
	s_add_u32 s8, s20, s8
	s_addc_u32 s9, 0, s9
	v_mov_b64_e32 v[4:5], s[8:9]
	s_waitcnt vmcnt(2)
	v_mad_i64_i32 v[2:3], s[8:9], v2, s21, v[4:5]
	v_lshlrev_b32_e32 v4, 4, v0
	v_and_b32_e32 v22, 0x1f0, v4
	v_lshl_add_u64 v[24:25], v[2:3], 0, v[22:23]
	global_load_dwordx4 v[14:17], v[24:25], off
	global_load_dwordx4 v[10:13], v[24:25], off offset:512
	global_load_dwordx4 v[6:9], v[24:25], off offset:1024
	global_load_dwordx4 v[2:5], v[24:25], off offset:1536
	s_waitcnt vmcnt(4)
	v_mul_hi_i32 v28, v27, s21
	v_ashrrev_i32_e32 v28, 31, v28
	v_mul_hi_i32 v22, v26, s21
	v_mov_b32_e32 v29, v23
	v_lshrrev_b32_e32 v28, 29, v28
	v_ashrrev_i32_e32 v22, 31, v22
	s_add_u32 s8, s10, s20
	v_mad_i64_i32 v[28:29], s[22:23], v27, s21, v[28:29]
	s_addc_u32 s9, s11, 0
	v_and_b32_e32 v28, -8, v28
	v_lshrrev_b32_e32 v22, 29, v22
	v_lshl_add_u64 v[30:31], s[8:9], 0, v[28:29]
	v_mad_i64_i32 v[32:33], s[10:11], v26, s21, v[22:23]
	global_load_dwordx4 v[26:29], v[24:25], off offset:2048
	global_load_dwordx4 v[40:43], v[24:25], off offset:2560
	;; [unrolled: 1-line block ×4, first 2 shown]
	v_lshlrev_b32_e32 v22, 5, v1
	v_and_b32_e32 v32, -8, v32
	v_lshl_add_u64 v[34:35], v[30:31], 0, v[22:23]
	v_lshl_add_u64 v[30:31], s[8:9], 0, v[32:33]
	;; [unrolled: 1-line block ×3, first 2 shown]
	s_load_dword s0, s[0:1], 0x1c
	v_cmp_eq_u32_e32 vcc, 0, v39
	s_waitcnt vmcnt(7)
	v_cvt_pk_f32_fp8_e32 v[22:23], v14
	v_cvt_pk_f32_fp8_sdwa v[30:31], v14 src0_sel:WORD_1
	v_cvt_pk_f32_fp8_e32 v[32:33], v15
	v_cvt_pk_f32_fp8_sdwa v[14:15], v15 src0_sel:WORD_1
	;; [unrolled: 2-line block ×3, first 2 shown]
	s_waitcnt vmcnt(4)
	v_cvt_pk_f32_fp8_e32 v[92:93], v2
	v_cvt_pk_f32_fp8_sdwa v[94:95], v2 src0_sel:WORD_1
	v_cvt_pk_f32_fp8_e32 v[96:97], v3
	v_cvt_pk_f32_fp8_sdwa v[98:99], v3 src0_sel:WORD_1
	v_cvt_pkrtz_f16_f32 v2, v22, v23
	v_cvt_pkrtz_f16_f32 v3, v30, v31
	v_cvt_pk_f32_fp8_e32 v[58:59], v17
	v_cvt_pk_f32_fp8_sdwa v[16:17], v17 src0_sel:WORD_1
	v_mfma_f32_4x4x4_16b_f16 a[0:3], v[18:19], v[2:3], 0 cbsz:4
	v_cvt_pk_f32_fp8_e32 v[100:101], v4
	v_cvt_pk_f32_fp8_sdwa v[102:103], v4 src0_sel:WORD_1
	v_cvt_pk_f32_fp8_e32 v[104:105], v5
	v_cvt_pk_f32_fp8_sdwa v[106:107], v5 src0_sel:WORD_1
	v_cvt_pkrtz_f16_f32 v4, v32, v33
	v_cvt_pkrtz_f16_f32 v5, v14, v15
	v_cvt_pk_f32_fp8_e32 v[60:61], v10
	v_cvt_pk_f32_fp8_sdwa v[62:63], v10 src0_sel:WORD_1
	v_mfma_f32_4x4x4_16b_f16 a[0:3], v[20:21], v[4:5], a[0:3] cbsz:4
	v_cvt_pk_f32_fp8_e32 v[76:77], v6
	v_cvt_pk_f32_fp8_sdwa v[78:79], v6 src0_sel:WORD_1
	v_cvt_pk_f32_fp8_e32 v[80:81], v7
	v_cvt_pk_f32_fp8_sdwa v[82:83], v7 src0_sel:WORD_1
	v_cvt_pkrtz_f16_f32 v6, v54, v55
	v_cvt_pkrtz_f16_f32 v7, v56, v57
	v_cvt_pk_f32_fp8_e32 v[64:65], v11
	v_cvt_pk_f32_fp8_sdwa v[66:67], v11 src0_sel:WORD_1
	v_mfma_f32_4x4x4_16b_f16 a[0:3], v[18:19], v[6:7], a[0:3] cbsz:4 abid:1
	v_cvt_pkrtz_f16_f32 v54, v58, v59
	v_cvt_pkrtz_f16_f32 v55, v16, v17
	v_cvt_pk_f32_fp8_e32 v[68:69], v12
	v_cvt_pk_f32_fp8_sdwa v[70:71], v12 src0_sel:WORD_1
	v_mfma_f32_4x4x4_16b_f16 a[0:3], v[20:21], v[54:55], a[0:3] cbsz:4 abid:1
	;; [unrolled: 5-line block ×3, first 2 shown]
	v_cvt_pkrtz_f16_f32 v58, v64, v65
	v_cvt_pkrtz_f16_f32 v59, v66, v67
	;; [unrolled: 1-line block ×4, first 2 shown]
	v_mfma_f32_4x4x4_16b_f16 a[0:3], v[20:21], v[58:59], a[0:3] cbsz:4 abid:2
	v_cvt_pkrtz_f16_f32 v62, v72, v73
	v_cvt_pkrtz_f16_f32 v63, v74, v75
	v_mfma_f32_4x4x4_16b_f16 a[0:3], v[18:19], v[60:61], a[0:3] cbsz:4 abid:3
	v_cvt_pk_f32_fp8_e32 v[84:85], v8
	v_cvt_pk_f32_fp8_sdwa v[86:87], v8 src0_sel:WORD_1
	v_mfma_f32_4x4x4_16b_f16 a[0:3], v[20:21], v[62:63], a[0:3] cbsz:4 abid:3
	v_cvt_pkrtz_f16_f32 v64, v76, v77
	v_cvt_pkrtz_f16_f32 v65, v78, v79
	v_cvt_pk_f32_fp8_e32 v[88:89], v9
	v_cvt_pk_f32_fp8_sdwa v[90:91], v9 src0_sel:WORD_1
	v_mfma_f32_4x4x4_16b_f16 a[0:3], v[18:19], v[64:65], a[0:3] cbsz:4 abid:4
	global_load_dwordx4 v[10:13], v[34:35], off offset:16
	global_load_dwordx4 v[14:17], v[34:35], off
	global_load_dwordx4 v[22:25], v[52:53], off offset:16
	global_load_dwordx4 v[30:33], v[52:53], off
	global_load_dwordx4 v[2:5], v[52:53], off offset:2064
	global_load_dwordx4 v[6:9], v[52:53], off offset:2048
	v_cvt_pkrtz_f16_f32 v52, v80, v81
	v_cvt_pkrtz_f16_f32 v53, v82, v83
	;; [unrolled: 1-line block ×4, first 2 shown]
	v_mfma_f32_4x4x4_16b_f16 a[0:3], v[20:21], v[52:53], a[0:3] cbsz:4 abid:4
	v_cvt_pkrtz_f16_f32 v56, v88, v89
	v_cvt_pkrtz_f16_f32 v57, v90, v91
	v_mfma_f32_4x4x4_16b_f16 a[0:3], v[18:19], v[54:55], a[0:3] cbsz:4 abid:5
	v_cvt_pkrtz_f16_f32 v52, v92, v93
	v_cvt_pkrtz_f16_f32 v53, v94, v95
	;; [unrolled: 3-line block ×5, first 2 shown]
	v_mfma_f32_4x4x4_16b_f16 a[0:3], v[18:19], v[52:53], a[0:3] cbsz:4 abid:7
	s_waitcnt vmcnt(9)
	v_cvt_pk_f32_fp8_e32 v[52:53], v26
	v_cvt_pk_f32_fp8_e32 v[56:57], v27
	v_mfma_f32_4x4x4_16b_f16 a[0:3], v[20:21], v[54:55], a[0:3] cbsz:4 abid:7
	v_cvt_pk_f32_fp8_sdwa v[54:55], v26 src0_sel:WORD_1
	v_cvt_pkrtz_f16_f32 v26, v52, v53
	v_cvt_pk_f32_fp8_sdwa v[52:53], v27 src0_sel:WORD_1
	s_load_dword s1, s[12:13], 0x0
	v_cvt_pkrtz_f16_f32 v27, v54, v55
	v_cvt_pkrtz_f16_f32 v54, v56, v57
	;; [unrolled: 1-line block ×3, first 2 shown]
	v_mfma_f32_4x4x4_16b_f16 a[0:3], v[18:19], v[26:27], a[0:3] cbsz:4 abid:8
	v_cvt_pk_f32_fp8_e32 v[26:27], v28
	v_cvt_pk_f32_fp8_sdwa v[52:53], v28 src0_sel:WORD_1
	v_mfma_f32_4x4x4_16b_f16 a[0:3], v[20:21], v[54:55], a[0:3] cbsz:4 abid:8
	v_cvt_pk_f32_fp8_e32 v[54:55], v29
	v_cvt_pk_f32_fp8_sdwa v[28:29], v29 src0_sel:WORD_1
	v_cvt_pkrtz_f16_f32 v26, v26, v27
	v_cvt_pkrtz_f16_f32 v27, v52, v53
	;; [unrolled: 1-line block ×4, first 2 shown]
	v_mfma_f32_4x4x4_16b_f16 a[0:3], v[18:19], v[26:27], a[0:3] cbsz:4 abid:9
	s_waitcnt vmcnt(8)
	v_cvt_pk_f32_fp8_e32 v[26:27], v40
	v_cvt_pk_f32_fp8_sdwa v[28:29], v40 src0_sel:WORD_1
	v_mfma_f32_4x4x4_16b_f16 a[0:3], v[20:21], v[52:53], a[0:3] cbsz:4 abid:9
	v_cvt_pk_f32_fp8_e32 v[52:53], v41
	v_cvt_pk_f32_fp8_sdwa v[40:41], v41 src0_sel:WORD_1
	v_cvt_pkrtz_f16_f32 v26, v26, v27
	v_cvt_pkrtz_f16_f32 v27, v28, v29
	;; [unrolled: 1-line block ×4, first 2 shown]
	v_mfma_f32_4x4x4_16b_f16 a[0:3], v[18:19], v[26:27], a[0:3] cbsz:4 abid:10
	v_cvt_pk_f32_fp8_e32 v[26:27], v42
	v_cvt_pk_f32_fp8_e32 v[40:41], v43
	v_mfma_f32_4x4x4_16b_f16 a[0:3], v[20:21], v[28:29], a[0:3] cbsz:4 abid:10
	v_cvt_pk_f32_fp8_sdwa v[28:29], v42 src0_sel:WORD_1
	v_cvt_pk_f32_fp8_sdwa v[42:43], v43 src0_sel:WORD_1
	v_cvt_pkrtz_f16_f32 v26, v26, v27
	v_cvt_pkrtz_f16_f32 v27, v28, v29
	;; [unrolled: 1-line block ×3, first 2 shown]
	s_nop 0
	v_mfma_f32_4x4x4_16b_f16 a[0:3], v[18:19], v[26:27], a[0:3] cbsz:4 abid:11
	v_cvt_pkrtz_f16_f32 v29, v42, v43
	s_waitcnt vmcnt(7)
	v_cvt_pk_f32_fp8_e32 v[26:27], v44
	v_cvt_pk_f32_fp8_e32 v[40:41], v45
	v_mfma_f32_4x4x4_16b_f16 a[0:3], v[20:21], v[28:29], a[0:3] cbsz:4 abid:11
	v_cvt_pk_f32_fp8_sdwa v[28:29], v44 src0_sel:WORD_1
	v_cvt_pk_f32_fp8_sdwa v[42:43], v45 src0_sel:WORD_1
	v_cvt_pkrtz_f16_f32 v26, v26, v27
	v_cvt_pkrtz_f16_f32 v27, v28, v29
	;; [unrolled: 1-line block ×3, first 2 shown]
	s_nop 0
	v_mfma_f32_4x4x4_16b_f16 a[0:3], v[18:19], v[26:27], a[0:3] cbsz:4 abid:12
	v_cvt_pkrtz_f16_f32 v29, v42, v43
	v_cvt_pk_f32_fp8_e32 v[26:27], v46
	v_cvt_pk_f32_fp8_e32 v[40:41], v47
	v_mfma_f32_4x4x4_16b_f16 a[0:3], v[20:21], v[28:29], a[0:3] cbsz:4 abid:12
	v_cvt_pk_f32_fp8_sdwa v[28:29], v46 src0_sel:WORD_1
	v_cvt_pk_f32_fp8_sdwa v[42:43], v47 src0_sel:WORD_1
	v_cvt_pkrtz_f16_f32 v26, v26, v27
	v_cvt_pkrtz_f16_f32 v27, v28, v29
	;; [unrolled: 1-line block ×3, first 2 shown]
	s_nop 0
	v_mfma_f32_4x4x4_16b_f16 a[0:3], v[18:19], v[26:27], a[0:3] cbsz:4 abid:13
	v_cvt_pkrtz_f16_f32 v29, v42, v43
	s_waitcnt vmcnt(6)
	v_cvt_pk_f32_fp8_e32 v[26:27], v48
	v_cvt_pk_f32_fp8_e32 v[40:41], v49
	v_mfma_f32_4x4x4_16b_f16 a[0:3], v[20:21], v[28:29], a[0:3] cbsz:4 abid:13
	v_cvt_pk_f32_fp8_sdwa v[28:29], v48 src0_sel:WORD_1
	v_cvt_pk_f32_fp8_sdwa v[42:43], v49 src0_sel:WORD_1
	v_cvt_pkrtz_f16_f32 v26, v26, v27
	v_cvt_pkrtz_f16_f32 v27, v28, v29
	v_cvt_pkrtz_f16_f32 v28, v40, v41
	s_nop 0
	v_mfma_f32_4x4x4_16b_f16 a[0:3], v[18:19], v[26:27], a[0:3] cbsz:4 abid:14
	v_cvt_pkrtz_f16_f32 v29, v42, v43
	v_cvt_pk_f32_fp8_e32 v[26:27], v50
	v_cvt_pk_f32_fp8_e32 v[40:41], v51
	v_mfma_f32_4x4x4_16b_f16 a[0:3], v[20:21], v[28:29], a[0:3] cbsz:4 abid:14
	v_cvt_pk_f32_fp8_sdwa v[28:29], v50 src0_sel:WORD_1
	v_cvt_pk_f32_fp8_sdwa v[42:43], v51 src0_sel:WORD_1
	v_cvt_pkrtz_f16_f32 v26, v26, v27
	v_cvt_pkrtz_f16_f32 v27, v28, v29
	;; [unrolled: 1-line block ×3, first 2 shown]
	s_nop 0
	v_mfma_f32_4x4x4_16b_f16 a[0:3], v[18:19], v[26:27], a[0:3] cbsz:4 abid:15
	v_cvt_pkrtz_f16_f32 v29, v42, v43
	s_waitcnt lgkmcnt(0)
	v_mov_b32_e32 v18, s0
	v_mfma_f32_4x4x4_16b_f16 a[0:3], v[20:21], v[28:29], a[0:3] cbsz:4 abid:15
	v_mul_f32_e32 v20, s1, v18
	s_nop 3
	v_accvgpr_read_b32 v27, a1
	v_accvgpr_read_b32 v26, a0
	v_pk_mul_f32 v[26:27], v[26:27], v[20:21] op_sel_hi:[1,0]
	v_accvgpr_read_b32 v19, a3
	v_accvgpr_read_b32 v18, a2
	v_pk_mul_f32 v[40:41], v[18:19], v[20:21] op_sel_hi:[1,0]
	v_cndmask_b32_e64 v18, 0, 1.0, vcc
	v_cmp_eq_u32_e32 vcc, 1, v39
	s_nop 0
	v_mfma_f32_4x4x1_16b_f32 a[0:3], v26, v18, 0
	v_cndmask_b32_e64 v18, 0, 1.0, vcc
	v_cmp_eq_u32_e32 vcc, 2, v39
	s_nop 0
	v_mfma_f32_4x4x1_16b_f32 a[0:3], v27, v18, a[0:3]
	v_cndmask_b32_e64 v18, 0, 1.0, vcc
	s_nop 1
	v_mfma_f32_4x4x1_16b_f32 a[0:3], v40, v18, a[0:3]
	global_load_dwordx4 v[18:21], v[34:35], off offset:2064
	global_load_dwordx4 v[26:29], v[34:35], off offset:2048
	v_mfma_f32_4x4x1_16b_f32 a[0:3], v41, v37, a[0:3]
	v_and_b32_e32 v34, -4, v36
	v_mov_b32_e32 v41, 0xff7fffff
	v_cmp_gt_i32_e32 vcc, s3, v34
	v_or_b32_e32 v36, 3, v36
	v_accvgpr_read_b32 v37, a0
	v_max_f32_e32 v40, v37, v37
	v_max_f32_e32 v40, 0xff7fffff, v40
	v_accvgpr_read_b32 v42, a1
	v_cndmask_b32_e32 v40, v41, v40, vcc
	v_or_b32_e32 v41, 1, v34
	v_max_f32_e32 v43, v42, v42
	v_max_f32_e32 v43, v40, v43
	v_cmp_gt_i32_e64 s[0:1], s3, v41
	v_accvgpr_read_b32 v41, a2
	v_or_b32_e32 v34, 2, v34
	v_cndmask_b32_e64 v40, v40, v43, s[0:1]
	v_max_f32_e32 v43, v41, v41
	v_max_f32_e32 v43, v40, v43
	v_cmp_gt_i32_e64 s[8:9], s3, v34
	v_cmp_gt_i32_e64 s[10:11], s3, v36
	v_lshlrev_b32_e32 v35, 2, v0
	v_cndmask_b32_e64 v34, v40, v43, s[8:9]
	v_accvgpr_read_b32 v43, a3
	v_max_f32_e32 v40, v43, v43
	v_max_f32_e32 v40, v34, v40
	v_cndmask_b32_e64 v34, v34, v40, s[10:11]
	v_and_or_b32 v35, v35, 48, v39
	;;#ASMSTART
	v_nop
 v_nop
 v_max_f32_dpp v34, v34, v34 row_ror:4
	;;#ASMEND
	v_lshlrev_b32_e32 v44, 2, v35
	;;#ASMSTART
	v_nop
 v_nop
 v_max_f32_dpp v34, v34, v34 row_ror:8
	;;#ASMEND
	ds_bpermute_b32 v34, v44, v34
	s_waitcnt lgkmcnt(0)
	;;#ASMSTART
	v_nop
 v_nop
 v_max_f32_dpp v34, v34, v34 row_ror:4
	;;#ASMEND
	s_nop 0
	;;#ASMSTART
	v_nop
 v_nop
 v_max_f32_dpp v40, v34, v34 row_ror:8
	;;#ASMEND
	s_nop 0
	v_sub_f32_e32 v34, v37, v40
	v_mul_f32_e32 v34, 0x3fb8aa3b, v34
	v_sub_f32_e32 v35, v42, v40
	v_exp_f32_e32 v34, v34
	v_mul_f32_e32 v35, 0x3fb8aa3b, v35
	v_sub_f32_e32 v37, v41, v40
	v_exp_f32_e32 v35, v35
	v_mul_f32_e32 v37, 0x3fb8aa3b, v37
	v_sub_f32_e32 v41, v43, v40
	v_exp_f32_e32 v37, v37
	v_mul_f32_e32 v41, 0x3fb8aa3b, v41
	v_exp_f32_e32 v41, v41
	v_cndmask_b32_e32 v34, 0, v34, vcc
	v_add_f32_e32 v36, 0, v34
	v_cndmask_b32_e64 v35, 0, v35, s[0:1]
	v_add_f32_e32 v42, v36, v35
	v_cndmask_b32_e64 v36, 0, v37, s[8:9]
	;; [unrolled: 2-line block ×3, first 2 shown]
	v_add_f32_e32 v41, v42, v37
	;;#ASMSTART
	v_nop
 v_nop
 v_add_f32_dpp v41, v41, v41 row_ror:4
	;;#ASMEND
	v_cmp_gt_u32_e32 vcc, 4, v1
	;;#ASMSTART
	v_nop
 v_nop
 v_add_f32_dpp v41, v41, v41 row_ror:8
	;;#ASMEND
	ds_bpermute_b32 v41, v44, v41
	s_waitcnt lgkmcnt(0)
	;;#ASMSTART
	v_nop
 v_nop
 v_add_f32_dpp v41, v41, v41 row_ror:4
	;;#ASMEND
	s_nop 0
	;;#ASMSTART
	v_nop
 v_nop
 v_add_f32_dpp v41, v41, v41 row_ror:8
	;;#ASMEND
	s_and_saveexec_b64 s[0:1], vcc
	s_cbranch_execz .LBB1030_16
; %bb.15:
	v_mul_u32_u24_e32 v42, 20, v38
	v_lshl_add_u32 v42, v39, 2, v42
	v_add_u32_e32 v42, 0x1400, v42
	ds_write2_b32 v42, v40, v41 offset1:20
.LBB1030_16:
	s_or_b64 exec, exec, s[0:1]
.LBB1030_17:
	s_or_b64 exec, exec, s[30:31]
	s_waitcnt lgkmcnt(0)
	s_barrier
	s_load_dword s0, s[28:29], 0x8
	v_lshlrev_b32_e32 v41, 2, v39
	v_add_u32_e32 v48, 0x1400, v41
	ds_read2_b32 v[42:43], v48 offset1:5
	ds_read2_b32 v[44:45], v48 offset0:10 offset1:15
	s_mul_i32 s1, s2, s5
	s_waitcnt lgkmcnt(0)
	s_mul_i32 s0, s1, s0
	s_mov_b32 s1, 0xff7fffff
	v_max3_f32 v41, v42, s1, v43
	v_max3_f32 v41, v41, v44, v45
	v_sub_f32_e32 v42, v42, v41
	ds_read2_b32 v[46:47], v48 offset0:20 offset1:25
	v_mul_f32_e32 v42, 0x3fb8aa3b, v42
	v_sub_f32_e32 v43, v43, v41
	v_exp_f32_e32 v42, v42
	v_mul_f32_e32 v43, 0x3fb8aa3b, v43
	v_sub_f32_e32 v44, v44, v41
	v_exp_f32_e32 v43, v43
	ds_read2_b32 v[48:49], v48 offset0:30 offset1:35
	v_mul_f32_e32 v44, 0x3fb8aa3b, v44
	v_sub_f32_e32 v45, v45, v41
	v_exp_f32_e32 v44, v44
	v_mul_f32_e32 v45, 0x3fb8aa3b, v45
	v_exp_f32_e32 v45, v45
	s_waitcnt lgkmcnt(1)
	v_fma_f32 v42, v42, v46, 0
	v_fmac_f32_e32 v42, v43, v47
	s_waitcnt lgkmcnt(0)
	v_fmac_f32_e32 v42, v44, v48
	s_mul_i32 s8, s4, 3
	s_mul_i32 s0, s0, 3
	v_fmac_f32_e32 v42, v45, v49
	v_cmp_ne_u32_e32 vcc, 3, v39
	s_and_saveexec_b64 s[2:3], vcc
	s_cbranch_execz .LBB1030_19
; %bb.18:
	s_mov_b32 s1, 0
	s_lshl_b64 s[10:11], s[0:1], 2
	s_add_u32 s4, s16, s10
	s_mov_b32 s25, s1
	s_addc_u32 s9, s17, s11
	s_lshl_b64 s[12:13], s[24:25], 2
	s_add_u32 s16, s4, s12
	s_addc_u32 s17, s9, s13
	s_add_u32 s1, s18, s10
	s_addc_u32 s4, s19, s11
	v_add_u32_e32 v39, s8, v39
	s_add_u32 s10, s1, s12
	v_mul_lo_u32 v44, s5, v39
	v_mov_b32_e32 v45, 0
	s_addc_u32 s11, s4, s13
	v_lshlrev_b64 v[44:45], 2, v[44:45]
	v_lshl_add_u64 v[46:47], s[16:17], 0, v[44:45]
	v_lshl_add_u64 v[44:45], s[10:11], 0, v[44:45]
	global_store_dword v[44:45], v41, off
	global_store_dword v[46:47], v42, off
.LBB1030_19:
	s_or_b64 exec, exec, s[2:3]
	v_lshlrev_b32_e32 v38, 3, v38
	s_and_saveexec_b64 s[2:3], s[6:7]
	s_xor_b64 s[2:3], exec, s[2:3]
	s_cbranch_execz .LBB1030_21
; %bb.20:
	s_mov_b32 s6, 0
	s_mov_b32 s7, s6
	s_waitcnt vmcnt(3)
	v_mad_u32_u24 v4, v1, 40, v38
	v_mov_b64_e32 v[2:3], s[6:7]
	ds_write2st64_b64 v4, v[2:3], v[2:3] offset1:5
                                        ; implicit-def: $vgpr37
                                        ; implicit-def: $vgpr35
                                        ; implicit-def: $vgpr40
                                        ; implicit-def: $vgpr30_vgpr31
                                        ; implicit-def: $vgpr22_vgpr23
                                        ; implicit-def: $vgpr14_vgpr15
                                        ; implicit-def: $vgpr10_vgpr11
                                        ; implicit-def: $vgpr6_vgpr7
                                        ; implicit-def: $vgpr2_vgpr3
                                        ; implicit-def: $vgpr26_vgpr27
                                        ; implicit-def: $vgpr18_vgpr19
                                        ; implicit-def: $vgpr41
                                        ; implicit-def: $vgpr42
                                        ; implicit-def: $vgpr38
.LBB1030_21:
	s_andn2_saveexec_b64 s[2:3], s[2:3]
	s_cbranch_execz .LBB1030_23
; %bb.22:
	v_add_f32_e32 v39, 0x358637bd, v42
	v_div_scale_f32 v42, s[6:7], v39, v39, 1.0
	v_rcp_f32_e32 v43, v42
	v_sub_f32_e32 v40, v40, v41
	v_mul_f32_e32 v40, 0x3fb8aa3b, v40
	v_exp_f32_e32 v40, v40
	v_fma_f32 v41, -v42, v43, 1.0
	v_fmac_f32_e32 v43, v41, v43
	v_div_scale_f32 v41, vcc, 1.0, v39, 1.0
	v_mul_f32_e32 v44, v41, v43
	v_fma_f32 v45, -v42, v44, v41
	v_fmac_f32_e32 v44, v45, v43
	v_fma_f32 v41, -v42, v44, v41
	v_div_fmas_f32 v41, v41, v43, v44
	v_div_fixup_f32 v39, v41, v39, 1.0
	v_mul_f32_e32 v40, v40, v39
	v_pk_mul_f32 v[36:37], v[36:37], v[40:41] op_sel_hi:[1,0]
	v_pk_mul_f32 v[34:35], v[34:35], v[40:41] op_sel_hi:[1,0]
	v_cvt_f16_f32_e32 v36, v36
	v_cvt_f16_f32_e32 v34, v34
	;; [unrolled: 1-line block ×4, first 2 shown]
	s_waitcnt vmcnt(4)
	v_cvt_pk_f32_fp8_sdwa v[40:41], v30 src0_sel:WORD_1
	v_cvt_pk_f32_fp8_e32 v[42:43], v31
	v_pack_b32_f16 v34, v34, v35
	v_pack_b32_f16 v35, v36, v37
	v_cvt_pk_f32_fp8_e32 v[36:37], v30
	v_cvt_pk_f32_fp8_sdwa v[30:31], v31 src0_sel:WORD_1
	s_load_dword s4, s[14:15], 0x0
	v_cvt_pkrtz_f16_f32 v36, v36, v37
	v_cvt_pkrtz_f16_f32 v37, v40, v41
	;; [unrolled: 1-line block ×3, first 2 shown]
	v_cvt_pk_f32_fp8_e32 v[30:31], v32
	v_mfma_f32_4x4x4_16b_f16 a[0:3], v[34:35], v[36:37], 0 cbsz:4
	v_cvt_pk_f32_fp8_sdwa v[36:37], v32 src0_sel:WORD_1
	v_cvt_pkrtz_f16_f32 v40, v42, v43
	v_cvt_pkrtz_f16_f32 v30, v30, v31
	;; [unrolled: 1-line block ×3, first 2 shown]
	v_mfma_f32_4x4x4_16b_f16 a[0:3], v[34:35], v[40:41], a[0:3] cbsz:4 abid:1
	v_cvt_pk_f32_fp8_e32 v[40:41], v33
	v_cvt_pk_f32_fp8_sdwa v[32:33], v33 src0_sel:WORD_1
	v_mfma_f32_4x4x4_16b_f16 a[0:3], v[34:35], v[30:31], a[0:3] cbsz:4 abid:2
	v_cvt_pk_f32_fp8_e32 v[30:31], v22
	v_cvt_pkrtz_f16_f32 v36, v40, v41
	v_cvt_pkrtz_f16_f32 v37, v32, v33
	v_cvt_pk_f32_fp8_sdwa v[32:33], v22 src0_sel:WORD_1
	v_cvt_pkrtz_f16_f32 v30, v30, v31
	v_mfma_f32_4x4x4_16b_f16 a[0:3], v[34:35], v[36:37], a[0:3] cbsz:4 abid:3
	v_cvt_pk_f32_fp8_e32 v[36:37], v23
	v_cvt_pk_f32_fp8_sdwa v[22:23], v23 src0_sel:WORD_1
	v_cvt_pkrtz_f16_f32 v31, v32, v33
	v_cvt_pkrtz_f16_f32 v32, v36, v37
	v_cvt_pkrtz_f16_f32 v33, v22, v23
	v_mfma_f32_4x4x4_16b_f16 a[0:3], v[34:35], v[30:31], a[0:3] cbsz:4 abid:4
	v_cvt_pk_f32_fp8_e32 v[22:23], v24
	v_cvt_pk_f32_fp8_sdwa v[30:31], v24 src0_sel:WORD_1
	v_mfma_f32_4x4x4_16b_f16 a[0:3], v[34:35], v[32:33], a[0:3] cbsz:4 abid:5
	v_cvt_pk_f32_fp8_e32 v[32:33], v25
	v_cvt_pk_f32_fp8_sdwa v[24:25], v25 src0_sel:WORD_1
	v_cvt_pkrtz_f16_f32 v22, v22, v23
	v_cvt_pkrtz_f16_f32 v23, v30, v31
	v_cvt_pkrtz_f16_f32 v30, v32, v33
	v_cvt_pkrtz_f16_f32 v31, v24, v25
	v_mfma_f32_4x4x4_16b_f16 a[0:3], v[34:35], v[22:23], a[0:3] cbsz:4 abid:6
	v_cvt_pk_f32_fp8_e32 v[22:23], v14
	v_cvt_pk_f32_fp8_sdwa v[24:25], v14 src0_sel:WORD_1
	v_mfma_f32_4x4x4_16b_f16 a[0:3], v[34:35], v[30:31], a[0:3] cbsz:4 abid:7
	v_cvt_pk_f32_fp8_e32 v[30:31], v15
	v_cvt_pk_f32_fp8_sdwa v[14:15], v15 src0_sel:WORD_1
	v_cvt_pkrtz_f16_f32 v22, v22, v23
	;; [unrolled: 10-line block ×5, first 2 shown]
	v_cvt_pkrtz_f16_f32 v11, v14, v15
	v_cvt_pkrtz_f16_f32 v14, v16, v17
	;; [unrolled: 1-line block ×3, first 2 shown]
	v_mfma_f32_4x4x4_16b_f16 a[0:3], v[34:35], v[10:11], a[0:3] cbsz:4 abid:14
	s_waitcnt vmcnt(2)
	v_cvt_pk_f32_fp8_e32 v[16:17], v7
	v_mfma_f32_4x4x4_16b_f16 a[0:3], v[34:35], v[14:15], a[0:3] cbsz:4 abid:15
	v_cvt_pk_f32_fp8_sdwa v[14:15], v6 src0_sel:WORD_1
	s_nop 3
	v_accvgpr_read_b32 v11, a1
	v_accvgpr_read_b32 v10, a0
	s_waitcnt lgkmcnt(0)
	v_pk_mul_f32 v[10:11], v[10:11], s[4:5] op_sel_hi:[1,0]
	s_nop 0
	v_cvt_f16_f32_e32 v12, v10
	v_cvt_f16_f32_e32 v13, v11
	v_accvgpr_read_b32 v11, a3
	v_accvgpr_read_b32 v10, a2
	v_pk_mul_f32 v[10:11], v[10:11], s[4:5] op_sel_hi:[1,0]
	v_pack_b32_f16 v12, v12, v13
	v_cvt_f16_f32_e32 v13, v10
	v_cvt_f16_f32_e32 v22, v11
	v_cvt_pk_f32_fp8_e32 v[10:11], v6
	v_cvt_pk_f32_fp8_sdwa v[6:7], v7 src0_sel:WORD_1
	v_pack_b32_f16 v13, v13, v22
	v_cvt_pkrtz_f16_f32 v10, v10, v11
	v_cvt_pkrtz_f16_f32 v11, v14, v15
	;; [unrolled: 1-line block ×4, first 2 shown]
	v_mfma_f32_4x4x4_16b_f16 a[0:3], v[34:35], v[10:11], 0 cbsz:4
	v_cvt_pk_f32_fp8_e32 v[6:7], v8
	v_cvt_pk_f32_fp8_sdwa v[10:11], v8 src0_sel:WORD_1
	v_mfma_f32_4x4x4_16b_f16 a[0:3], v[34:35], v[14:15], a[0:3] cbsz:4 abid:1
	v_cvt_pk_f32_fp8_e32 v[14:15], v9
	v_cvt_pk_f32_fp8_sdwa v[8:9], v9 src0_sel:WORD_1
	v_cvt_pkrtz_f16_f32 v6, v6, v7
	v_cvt_pkrtz_f16_f32 v7, v10, v11
	v_cvt_pkrtz_f16_f32 v10, v14, v15
	v_cvt_pkrtz_f16_f32 v11, v8, v9
	v_mfma_f32_4x4x4_16b_f16 a[0:3], v[34:35], v[6:7], a[0:3] cbsz:4 abid:2
	v_cvt_pk_f32_fp8_e32 v[6:7], v2
	v_cvt_pk_f32_fp8_sdwa v[8:9], v2 src0_sel:WORD_1
	v_mfma_f32_4x4x4_16b_f16 a[0:3], v[34:35], v[10:11], a[0:3] cbsz:4 abid:3
	v_cvt_pk_f32_fp8_e32 v[10:11], v3
	v_cvt_pk_f32_fp8_sdwa v[2:3], v3 src0_sel:WORD_1
	v_cvt_pkrtz_f16_f32 v6, v6, v7
	v_cvt_pkrtz_f16_f32 v7, v8, v9
	v_cvt_pkrtz_f16_f32 v8, v10, v11
	v_cvt_pkrtz_f16_f32 v9, v2, v3
	v_mfma_f32_4x4x4_16b_f16 a[0:3], v[34:35], v[6:7], a[0:3] cbsz:4 abid:4
	v_cvt_pk_f32_fp8_e32 v[2:3], v4
	v_cvt_pk_f32_fp8_sdwa v[6:7], v4 src0_sel:WORD_1
	v_mfma_f32_4x4x4_16b_f16 a[0:3], v[34:35], v[8:9], a[0:3] cbsz:4 abid:5
	v_cvt_pk_f32_fp8_e32 v[8:9], v5
	v_cvt_pk_f32_fp8_sdwa v[4:5], v5 src0_sel:WORD_1
	v_cvt_pkrtz_f16_f32 v2, v2, v3
	v_cvt_pkrtz_f16_f32 v3, v6, v7
	v_cvt_pkrtz_f16_f32 v6, v8, v9
	v_cvt_pkrtz_f16_f32 v7, v4, v5
	v_mfma_f32_4x4x4_16b_f16 a[0:3], v[34:35], v[2:3], a[0:3] cbsz:4 abid:6
	s_waitcnt vmcnt(0)
	v_cvt_pk_f32_fp8_e32 v[2:3], v26
	v_cvt_pk_f32_fp8_sdwa v[4:5], v26 src0_sel:WORD_1
	v_mfma_f32_4x4x4_16b_f16 a[0:3], v[34:35], v[6:7], a[0:3] cbsz:4 abid:7
	v_cvt_pk_f32_fp8_e32 v[6:7], v27
	v_cvt_pk_f32_fp8_sdwa v[8:9], v27 src0_sel:WORD_1
	v_cvt_pkrtz_f16_f32 v2, v2, v3
	v_cvt_pkrtz_f16_f32 v3, v4, v5
	;; [unrolled: 1-line block ×4, first 2 shown]
	v_mfma_f32_4x4x4_16b_f16 a[0:3], v[34:35], v[2:3], a[0:3] cbsz:4 abid:8
	v_cvt_pk_f32_fp8_e32 v[2:3], v28
	v_cvt_pk_f32_fp8_e32 v[6:7], v29
	v_mfma_f32_4x4x4_16b_f16 a[0:3], v[34:35], v[4:5], a[0:3] cbsz:4 abid:9
	v_cvt_pk_f32_fp8_sdwa v[4:5], v28 src0_sel:WORD_1
	v_cvt_pk_f32_fp8_sdwa v[8:9], v29 src0_sel:WORD_1
	v_cvt_pkrtz_f16_f32 v2, v2, v3
	v_cvt_pkrtz_f16_f32 v3, v4, v5
	v_cvt_pkrtz_f16_f32 v4, v6, v7
	s_nop 0
	v_mfma_f32_4x4x4_16b_f16 a[0:3], v[34:35], v[2:3], a[0:3] cbsz:4 abid:10
	v_cvt_pkrtz_f16_f32 v5, v8, v9
	v_cvt_pk_f32_fp8_e32 v[2:3], v18
	v_cvt_pk_f32_fp8_e32 v[6:7], v19
	v_mfma_f32_4x4x4_16b_f16 a[0:3], v[34:35], v[4:5], a[0:3] cbsz:4 abid:11
	v_cvt_pk_f32_fp8_sdwa v[4:5], v18 src0_sel:WORD_1
	v_cvt_pk_f32_fp8_sdwa v[8:9], v19 src0_sel:WORD_1
	v_cvt_pkrtz_f16_f32 v2, v2, v3
	v_cvt_pkrtz_f16_f32 v3, v4, v5
	v_cvt_pkrtz_f16_f32 v4, v6, v7
	s_nop 0
	v_mfma_f32_4x4x4_16b_f16 a[0:3], v[34:35], v[2:3], a[0:3] cbsz:4 abid:12
	v_cvt_pkrtz_f16_f32 v5, v8, v9
	;; [unrolled: 11-line block ×3, first 2 shown]
	v_mad_u32_u24 v7, v1, 40, v38
	s_nop 0
	v_mfma_f32_4x4x4_16b_f16 a[0:3], v[34:35], v[4:5], a[0:3] cbsz:4 abid:15
	s_nop 4
	v_accvgpr_read_b32 v5, a1
	v_accvgpr_read_b32 v3, a3
	v_accvgpr_read_b32 v2, a2
	v_accvgpr_read_b32 v4, a0
	v_pk_mul_f32 v[2:3], v[2:3], s[4:5] op_sel_hi:[1,0]
	v_pk_mul_f32 v[4:5], v[4:5], s[4:5] op_sel_hi:[1,0]
	v_cvt_f16_f32_e32 v6, v2
	v_cvt_f16_f32_e32 v4, v4
	;; [unrolled: 1-line block ×4, first 2 shown]
	v_pack_b32_f16 v2, v4, v5
	v_pack_b32_f16 v3, v6, v3
	ds_write2st64_b64 v7, v[12:13], v[2:3] offset1:5
.LBB1030_23:
	s_or_b64 exec, exec, s[2:3]
	v_cmp_gt_u32_e32 vcc, 64, v0
	s_waitcnt lgkmcnt(0)
	s_barrier
	s_and_saveexec_b64 s[2:3], vcc
	s_cbranch_execz .LBB1030_25
; %bb.24:
	s_waitcnt vmcnt(2)
	v_mul_u32_u24_e32 v6, 40, v1
	ds_read2_b64 v[2:5], v6 offset1:1
	ds_read2_b64 v[6:9], v6 offset0:2 offset1:3
	s_mov_b32 s1, 0
	s_lshl_b32 s0, s0, 7
	s_lshl_b64 s[2:3], s[0:1], 1
	s_waitcnt lgkmcnt(1)
	v_pk_add_f16 v2, v2, 0
	v_pk_add_f16 v3, v3, 0
	;; [unrolled: 1-line block ×4, first 2 shown]
	s_waitcnt lgkmcnt(0)
	v_pk_add_f16 v2, v2, v6
	v_pk_add_f16 v6, v3, v7
	v_pk_add_f16 v10, v2, v8
	v_mov_b32_e32 v2, 0xa00
	v_mad_u32_u24 v2, v1, 40, v2
	ds_read2_b64 v[2:5], v2 offset1:1
	v_pk_add_f16 v11, v6, v9
	v_mov_b32_e32 v6, 0xa10
	v_mad_u32_u24 v1, v1, 40, v6
	ds_read2_b64 v[6:9], v1 offset1:1
	s_add_u32 s2, s26, s2
	s_addc_u32 s3, s27, s3
	s_lshl_b32 s0, s24, 7
	s_lshl_b64 s[0:1], s[0:1], 1
	s_waitcnt lgkmcnt(1)
	v_pk_add_f16 v1, v2, 0
	v_pk_add_f16 v2, v3, 0
	s_add_u32 s0, s2, s0
	v_pk_add_f16 v2, v2, v5
	s_addc_u32 s1, s3, s1
	s_lshl_b32 s2, s5, 7
	s_waitcnt lgkmcnt(0)
	v_pk_add_f16 v2, v2, v7
	s_mul_i32 s3, s2, s8
	v_pk_add_f16 v9, v2, v9
	v_or_b32_e32 v2, s3, v0
	v_mov_b32_e32 v3, 0
	s_add_i32 s3, s3, s2
	v_pk_add_f16 v1, v1, v4
	v_lshl_add_u64 v[4:5], v[2:3], 1, s[0:1]
	v_or_b32_e32 v2, s3, v0
	s_add_i32 s3, s3, s2
	v_pk_add_f16 v1, v1, v6
	v_lshl_add_u64 v[6:7], v[2:3], 1, s[0:1]
	v_or_b32_e32 v2, s3, v0
	v_pk_add_f16 v8, v1, v8
	v_lshl_add_u64 v[0:1], v[2:3], 1, s[0:1]
	global_store_short v[4:5], v10, off
	global_store_short_d16_hi v[6:7], v10, off
	global_store_short v[0:1], v11, off
	global_store_short v[4:5], v8, off offset:128
	global_store_short_d16_hi v[6:7], v8, off offset:128
	global_store_short v[0:1], v9, off offset:128
.LBB1030_25:
	s_endpgm
	.section	.rodata,"a",@progbits
	.p2align	6, 0x0
	.amdhsa_kernel _Z38paged_attention_ll4mi_QKV_mfma4_kernelIDF16_hLN4vllm18Fp8KVCacheDataTypeE1EhLi32ELi128ELi256ELb0ELi3EEvPKT_PKT0_S7_ifPKiS9_S9_iPKfiiiPfSC_PS2_PT2_iSB_SB_
		.amdhsa_group_segment_fixed_size 5280
		.amdhsa_private_segment_fixed_size 0
		.amdhsa_kernarg_size 400
		.amdhsa_user_sgpr_count 2
		.amdhsa_user_sgpr_dispatch_ptr 0
		.amdhsa_user_sgpr_queue_ptr 0
		.amdhsa_user_sgpr_kernarg_segment_ptr 1
		.amdhsa_user_sgpr_dispatch_id 0
		.amdhsa_user_sgpr_kernarg_preload_length 0
		.amdhsa_user_sgpr_kernarg_preload_offset 0
		.amdhsa_user_sgpr_private_segment_size 0
		.amdhsa_uses_dynamic_stack 0
		.amdhsa_enable_private_segment 0
		.amdhsa_system_sgpr_workgroup_id_x 1
		.amdhsa_system_sgpr_workgroup_id_y 1
		.amdhsa_system_sgpr_workgroup_id_z 1
		.amdhsa_system_sgpr_workgroup_info 0
		.amdhsa_system_vgpr_workitem_id 0
		.amdhsa_next_free_vgpr 112
		.amdhsa_next_free_sgpr 42
		.amdhsa_accum_offset 108
		.amdhsa_reserve_vcc 1
		.amdhsa_float_round_mode_32 0
		.amdhsa_float_round_mode_16_64 0
		.amdhsa_float_denorm_mode_32 3
		.amdhsa_float_denorm_mode_16_64 3
		.amdhsa_dx10_clamp 1
		.amdhsa_ieee_mode 1
		.amdhsa_fp16_overflow 0
		.amdhsa_tg_split 0
		.amdhsa_exception_fp_ieee_invalid_op 0
		.amdhsa_exception_fp_denorm_src 0
		.amdhsa_exception_fp_ieee_div_zero 0
		.amdhsa_exception_fp_ieee_overflow 0
		.amdhsa_exception_fp_ieee_underflow 0
		.amdhsa_exception_fp_ieee_inexact 0
		.amdhsa_exception_int_div_zero 0
	.end_amdhsa_kernel
	.section	.text._Z38paged_attention_ll4mi_QKV_mfma4_kernelIDF16_hLN4vllm18Fp8KVCacheDataTypeE1EhLi32ELi128ELi256ELb0ELi3EEvPKT_PKT0_S7_ifPKiS9_S9_iPKfiiiPfSC_PS2_PT2_iSB_SB_,"axG",@progbits,_Z38paged_attention_ll4mi_QKV_mfma4_kernelIDF16_hLN4vllm18Fp8KVCacheDataTypeE1EhLi32ELi128ELi256ELb0ELi3EEvPKT_PKT0_S7_ifPKiS9_S9_iPKfiiiPfSC_PS2_PT2_iSB_SB_,comdat
.Lfunc_end1030:
	.size	_Z38paged_attention_ll4mi_QKV_mfma4_kernelIDF16_hLN4vllm18Fp8KVCacheDataTypeE1EhLi32ELi128ELi256ELb0ELi3EEvPKT_PKT0_S7_ifPKiS9_S9_iPKfiiiPfSC_PS2_PT2_iSB_SB_, .Lfunc_end1030-_Z38paged_attention_ll4mi_QKV_mfma4_kernelIDF16_hLN4vllm18Fp8KVCacheDataTypeE1EhLi32ELi128ELi256ELb0ELi3EEvPKT_PKT0_S7_ifPKiS9_S9_iPKfiiiPfSC_PS2_PT2_iSB_SB_
                                        ; -- End function
	.section	.AMDGPU.csdata,"",@progbits
; Kernel info:
; codeLenInByte = 5284
; NumSgprs: 48
; NumVgprs: 108
; NumAgprs: 4
; TotalNumVgprs: 112
; ScratchSize: 0
; MemoryBound: 0
; FloatMode: 240
; IeeeMode: 1
; LDSByteSize: 5280 bytes/workgroup (compile time only)
; SGPRBlocks: 5
; VGPRBlocks: 13
; NumSGPRsForWavesPerEU: 48
; NumVGPRsForWavesPerEU: 112
; AccumOffset: 108
; Occupancy: 4
; WaveLimiterHint : 1
; COMPUTE_PGM_RSRC2:SCRATCH_EN: 0
; COMPUTE_PGM_RSRC2:USER_SGPR: 2
; COMPUTE_PGM_RSRC2:TRAP_HANDLER: 0
; COMPUTE_PGM_RSRC2:TGID_X_EN: 1
; COMPUTE_PGM_RSRC2:TGID_Y_EN: 1
; COMPUTE_PGM_RSRC2:TGID_Z_EN: 1
; COMPUTE_PGM_RSRC2:TIDIG_COMP_CNT: 0
; COMPUTE_PGM_RSRC3_GFX90A:ACCUM_OFFSET: 26
; COMPUTE_PGM_RSRC3_GFX90A:TG_SPLIT: 0
	.section	.text._Z38paged_attention_ll4mi_QKV_mfma4_kernelIDF16_hLN4vllm18Fp8KVCacheDataTypeE1EhLi32ELi128ELi256ELb0ELi4EEvPKT_PKT0_S7_ifPKiS9_S9_iPKfiiiPfSC_PS2_PT2_iSB_SB_,"axG",@progbits,_Z38paged_attention_ll4mi_QKV_mfma4_kernelIDF16_hLN4vllm18Fp8KVCacheDataTypeE1EhLi32ELi128ELi256ELb0ELi4EEvPKT_PKT0_S7_ifPKiS9_S9_iPKfiiiPfSC_PS2_PT2_iSB_SB_,comdat
	.protected	_Z38paged_attention_ll4mi_QKV_mfma4_kernelIDF16_hLN4vllm18Fp8KVCacheDataTypeE1EhLi32ELi128ELi256ELb0ELi4EEvPKT_PKT0_S7_ifPKiS9_S9_iPKfiiiPfSC_PS2_PT2_iSB_SB_ ; -- Begin function _Z38paged_attention_ll4mi_QKV_mfma4_kernelIDF16_hLN4vllm18Fp8KVCacheDataTypeE1EhLi32ELi128ELi256ELb0ELi4EEvPKT_PKT0_S7_ifPKiS9_S9_iPKfiiiPfSC_PS2_PT2_iSB_SB_
	.globl	_Z38paged_attention_ll4mi_QKV_mfma4_kernelIDF16_hLN4vllm18Fp8KVCacheDataTypeE1EhLi32ELi128ELi256ELb0ELi4EEvPKT_PKT0_S7_ifPKiS9_S9_iPKfiiiPfSC_PS2_PT2_iSB_SB_
	.p2align	8
	.type	_Z38paged_attention_ll4mi_QKV_mfma4_kernelIDF16_hLN4vllm18Fp8KVCacheDataTypeE1EhLi32ELi128ELi256ELb0ELi4EEvPKT_PKT0_S7_ifPKiS9_S9_iPKfiiiPfSC_PS2_PT2_iSB_SB_,@function
_Z38paged_attention_ll4mi_QKV_mfma4_kernelIDF16_hLN4vllm18Fp8KVCacheDataTypeE1EhLi32ELi128ELi256ELb0ELi4EEvPKT_PKT0_S7_ifPKiS9_S9_iPKfiiiPfSC_PS2_PT2_iSB_SB_: ; @_Z38paged_attention_ll4mi_QKV_mfma4_kernelIDF16_hLN4vllm18Fp8KVCacheDataTypeE1EhLi32ELi128ELi256ELb0ELi4EEvPKT_PKT0_S7_ifPKiS9_S9_iPKfiiiPfSC_PS2_PT2_iSB_SB_
; %bb.0:
	s_load_dwordx2 s[8:9], s[0:1], 0x30
	s_mov_b32 s24, s3
	s_mov_b64 s[6:7], 0
	s_waitcnt lgkmcnt(0)
	s_cmp_lg_u64 s[8:9], 0
	s_cselect_b64 s[10:11], -1, 0
	s_and_b64 vcc, exec, s[10:11]
	s_cbranch_vccz .LBB1031_20
; %bb.1:
	s_add_i32 s12, s2, 1
	s_mov_b32 s13, 0
	s_lshl_b64 s[14:15], s[12:13], 2
	s_add_u32 s14, s8, s14
	s_mov_b32 s3, s13
	s_addc_u32 s15, s9, s15
	s_lshl_b64 s[12:13], s[2:3], 2
	s_add_u32 s12, s8, s12
	s_addc_u32 s13, s9, s13
	s_load_dword s5, s[14:15], 0x0
	s_load_dword s16, s[12:13], 0x0
	s_mov_b64 s[34:35], s[2:3]
	s_waitcnt lgkmcnt(0)
	s_sub_i32 s5, s5, s16
	s_cmp_eq_u32 s5, 1
	s_cselect_b64 s[12:13], -1, 0
	s_andn2_b64 vcc, exec, s[6:7]
	s_cbranch_vccnz .LBB1031_3
.LBB1031_2:
	s_mov_b32 s3, 0
	s_mov_b64 s[12:13], -1
	s_mov_b64 s[34:35], s[2:3]
.LBB1031_3:
	s_andn2_b64 vcc, exec, s[12:13]
	s_cbranch_vccnz .LBB1031_19
; %bb.4:
	s_load_dword s3, s[0:1], 0x9c
	s_load_dwordx2 s[6:7], s[0:1], 0x28
	s_add_u32 s28, s0, 0x90
	s_addc_u32 s29, s1, 0
	s_lshl_b64 s[40:41], s[34:35], 2
	s_waitcnt lgkmcnt(0)
	s_and_b32 s5, s3, 0xffff
	s_add_u32 s6, s6, s40
	s_addc_u32 s7, s7, s41
	s_load_dword s3, s[6:7], 0x0
	s_mul_i32 s20, s24, s5
	s_waitcnt lgkmcnt(0)
	s_cmp_ge_i32 s20, s3
	s_cbranch_scc1 .LBB1031_19
; %bb.5:
	v_and_b32_e32 v1, 0xc0, v0
	v_add_u32_e32 v4, s20, v1
	v_lshrrev_b32_e32 v38, 6, v0
	v_cmp_le_i32_e64 s[6:7], s3, v4
                                        ; implicit-def: $sgpr22
                                        ; implicit-def: $sgpr21
	s_and_saveexec_b64 s[12:13], s[6:7]
	s_xor_b64 s[12:13], exec, s[12:13]
	s_cbranch_execz .LBB1031_7
; %bb.6:
	v_mul_u32_u24_e32 v1, 20, v38
	v_or_b32_e32 v1, 0x1400, v1
	v_mov_b32_e32 v2, 0x1450
	v_mov_b32_e32 v3, 0xff7fffff
	v_mad_u32_u24 v2, v38, 20, v2
	ds_write2_b32 v1, v3, v3 offset1:1
	v_mov_b32_e32 v1, 0
	ds_write2_b32 v2, v1, v1 offset1:1
	v_mov_b32_e32 v2, 0x1408
	v_mov_b32_e32 v4, 0x1458
	s_mov_b32 s21, 0xff7fffff
	s_mov_b32 s22, 0
	v_mad_u32_u24 v2, v38, 20, v2
	v_mad_u32_u24 v4, v38, 20, v4
	ds_write2_b32 v2, v3, v3 offset1:1
	ds_write2_b32 v4, v1, v1 offset1:1
                                        ; implicit-def: $vgpr4
.LBB1031_7:
	s_or_saveexec_b64 s[30:31], s[12:13]
	s_load_dwordx2 s[26:27], s[0:1], 0x68
	s_load_dwordx4 s[16:19], s[0:1], 0x58
	s_load_dword s5, s[28:29], 0x4
	s_load_dwordx4 s[12:15], s[0:1], 0x80
	v_and_b32_e32 v1, 63, v0
	v_and_b32_e32 v39, 3, v0
	v_mov_b32_e32 v37, s22
	v_mov_b32_e32 v40, s21
	;; [unrolled: 1-line block ×5, first 2 shown]
                                        ; implicit-def: $vgpr30_vgpr31
                                        ; implicit-def: $vgpr26_vgpr27
                                        ; implicit-def: $vgpr22_vgpr23
                                        ; implicit-def: $vgpr18_vgpr19
                                        ; implicit-def: $vgpr14_vgpr15
                                        ; implicit-def: $vgpr6_vgpr7
                                        ; implicit-def: $vgpr10_vgpr11
                                        ; implicit-def: $vgpr2_vgpr3
	s_xor_b64 exec, exec, s[30:31]
	s_cbranch_execz .LBB1031_13
; %bb.8:
	s_load_dwordx2 s[22:23], s[0:1], 0x20
	s_load_dword s21, s[0:1], 0x38
	s_add_i32 s25, s3, 31
	s_ashr_i32 s33, s25, 31
	s_lshr_b32 s33, s33, 27
	v_add_u32_e32 v34, s20, v0
	s_add_i32 s25, s25, s33
	v_ashrrev_i32_e32 v2, 31, v34
	s_ashr_i32 s25, s25, 5
	v_lshrrev_b32_e32 v2, 27, v2
	s_add_i32 s25, s25, -1
	s_waitcnt lgkmcnt(0)
	s_mul_i32 s36, s2, s21
	s_mov_b32 s37, 0
	v_add_u32_e32 v2, v34, v2
	s_lshl_b64 s[38:39], s[36:37], 2
	v_ashrrev_i32_e32 v2, 5, v2
	v_mov_b32_e32 v3, s25
	v_cmp_gt_i32_e32 vcc, s3, v34
	s_add_u32 s22, s22, s38
	s_addc_u32 s23, s23, s39
	v_cndmask_b32_e32 v2, v3, v2, vcc
	v_ashrrev_i32_e32 v3, 31, v2
	v_lshl_add_u64 v[6:7], v[2:3], 2, s[22:23]
	v_ashrrev_i32_e32 v2, 31, v4
	v_lshrrev_b32_e32 v2, 27, v2
	v_add_u32_e32 v2, v4, v2
	v_ashrrev_i32_e32 v4, 5, v2
	v_min_i32_e32 v2, s25, v4
	v_ashrrev_i32_e32 v3, 31, v2
	v_lshl_add_u64 v[8:9], v[2:3], 2, s[22:23]
	v_add_u32_e32 v2, 1, v4
	v_min_i32_e32 v2, s25, v2
	v_ashrrev_i32_e32 v3, 31, v2
	v_lshl_add_u64 v[10:11], v[2:3], 2, s[22:23]
	global_load_dword v4, v[6:7], off
	global_load_dword v2, v[8:9], off
	;; [unrolled: 1-line block ×3, first 2 shown]
	s_load_dwordx4 s[20:23], s[0:1], 0x0
	s_load_dwordx2 s[38:39], s[0:1], 0x10
	s_andn2_b64 vcc, exec, s[10:11]
	s_cbranch_vccnz .LBB1031_10
; %bb.9:
	s_add_u32 s8, s8, s40
	s_addc_u32 s9, s9, s41
	s_load_dword s36, s[8:9], 0x0
	s_waitcnt lgkmcnt(0)
	s_mov_b64 s[34:35], s[36:37]
.LBB1031_10:
	s_load_dwordx4 s[8:11], s[0:1], 0x48
	s_waitcnt lgkmcnt(0)
	s_load_dword s11, s[0:1], 0x1c
                                        ; kill: killed $sgpr0 killed $sgpr1
	v_mov_b32_e32 v17, 0
	v_mov_b32_e32 v21, v17
	v_cmp_eq_u32_e32 vcc, 0, v39
	s_ashr_i32 s1, s8, 31
	s_mul_hi_u32 s25, s34, s8
	s_mul_i32 s1, s34, s1
	s_mul_i32 s33, s35, s8
	s_add_i32 s1, s25, s1
	s_mul_i32 s0, s34, s8
	s_add_i32 s1, s1, s33
	s_lshl_b64 s[0:1], s[0:1], 1
	s_add_u32 s8, s20, s0
	s_addc_u32 s20, s21, s1
	s_lshl_b32 s36, s4, 9
	s_lshl_b64 s[0:1], s[36:37], 1
	s_add_u32 s0, s8, s0
	s_addc_u32 s1, s20, s1
	s_mul_i32 s8, s4, s10
	s_add_u32 s20, s8, s22
	s_addc_u32 s21, 0, s23
	v_mov_b64_e32 v[6:7], s[20:21]
	s_waitcnt vmcnt(2)
	v_mad_i64_i32 v[4:5], s[20:21], v4, s9, v[6:7]
	v_lshlrev_b32_e32 v6, 4, v0
	v_and_b32_e32 v16, 0x1f0, v6
	v_lshl_add_u64 v[18:19], v[4:5], 0, v[16:17]
	global_load_dwordx4 v[4:7], v[18:19], off
	global_load_dwordx4 v[8:11], v[18:19], off offset:512
	global_load_dwordx4 v[12:15], v[18:19], off offset:1024
	v_lshlrev_b32_e32 v16, 2, v1
	v_and_b32_e32 v16, 0xf0, v16
	v_lshl_or_b32 v16, v39, 8, v16
	global_load_dwordx4 v[40:43], v16, s[0:1]
	global_load_dwordx4 v[44:47], v[18:19], off offset:1536
	global_load_dwordx4 v[48:51], v[18:19], off offset:2048
	;; [unrolled: 1-line block ×5, first 2 shown]
	s_waitcnt vmcnt(9)
	v_mul_hi_i32 v20, v3, s9
	v_mul_hi_i32 v16, v2, s9
	v_ashrrev_i32_e32 v20, 31, v20
	v_ashrrev_i32_e32 v16, 31, v16
	v_lshrrev_b32_e32 v20, 29, v20
	v_mad_i64_i32 v[20:21], s[0:1], v3, s9, v[20:21]
	v_lshrrev_b32_e32 v16, 29, v16
	s_add_u32 s0, s38, s8
	v_mad_i64_i32 v[2:3], s[8:9], v2, s9, v[16:17]
	v_and_b32_e32 v20, -8, v20
	s_addc_u32 s1, s39, 0
	v_and_b32_e32 v2, -8, v2
	v_lshl_add_u64 v[20:21], s[0:1], 0, v[20:21]
	v_lshlrev_b32_e32 v16, 5, v1
	v_lshl_add_u64 v[2:3], s[0:1], 0, v[2:3]
	v_lshl_add_u64 v[36:37], v[20:21], 0, v[16:17]
	;; [unrolled: 1-line block ×3, first 2 shown]
	s_waitcnt lgkmcnt(0)
	v_mov_b32_e32 v35, s11
	s_waitcnt vmcnt(8)
	v_cvt_pk_f32_fp8_e32 v[16:17], v4
	v_cvt_pk_f32_fp8_sdwa v[20:21], v4 src0_sel:WORD_1
	v_cvt_pk_f32_fp8_e32 v[22:23], v5
	v_cvt_pk_f32_fp8_sdwa v[4:5], v5 src0_sel:WORD_1
	v_cvt_pk_f32_fp8_e32 v[24:25], v6
	v_cvt_pk_f32_fp8_sdwa v[26:27], v6 src0_sel:WORD_1
	s_waitcnt vmcnt(6)
	v_cvt_pk_f32_fp8_e32 v[78:79], v14
	v_cvt_pk_f32_fp8_sdwa v[80:81], v14 src0_sel:WORD_1
	v_cvt_pk_f32_fp8_e32 v[82:83], v15
	v_cvt_pk_f32_fp8_sdwa v[84:85], v15 src0_sel:WORD_1
	v_cvt_pkrtz_f16_f32 v14, v16, v17
	v_cvt_pkrtz_f16_f32 v15, v20, v21
	v_cvt_pk_f32_fp8_e32 v[28:29], v7
	v_cvt_pk_f32_fp8_sdwa v[6:7], v7 src0_sel:WORD_1
	s_waitcnt vmcnt(5)
	v_mfma_f32_4x4x4_16b_f16 a[0:3], v[40:41], v[14:15], 0 cbsz:4
	v_cvt_pkrtz_f16_f32 v16, v22, v23
	v_cvt_pkrtz_f16_f32 v17, v4, v5
	v_cvt_pk_f32_fp8_e32 v[30:31], v8
	v_cvt_pk_f32_fp8_sdwa v[32:33], v8 src0_sel:WORD_1
	v_mfma_f32_4x4x4_16b_f16 a[0:3], v[42:43], v[16:17], a[0:3] cbsz:4
	v_cvt_pkrtz_f16_f32 v4, v24, v25
	v_cvt_pkrtz_f16_f32 v5, v26, v27
	v_cvt_pk_f32_fp8_e32 v[64:65], v9
	v_cvt_pk_f32_fp8_sdwa v[8:9], v9 src0_sel:WORD_1
	v_mfma_f32_4x4x4_16b_f16 a[0:3], v[40:41], v[4:5], a[0:3] cbsz:4 abid:1
	v_cvt_pkrtz_f16_f32 v86, v28, v29
	v_cvt_pkrtz_f16_f32 v87, v6, v7
	v_cvt_pk_f32_fp8_e32 v[66:67], v10
	v_cvt_pk_f32_fp8_sdwa v[68:69], v10 src0_sel:WORD_1
	v_mfma_f32_4x4x4_16b_f16 a[0:3], v[42:43], v[86:87], a[0:3] cbsz:4 abid:1
	;; [unrolled: 5-line block ×5, first 2 shown]
	v_cvt_pkrtz_f16_f32 v68, v70, v71
	v_cvt_pkrtz_f16_f32 v69, v10, v11
	;; [unrolled: 1-line block ×4, first 2 shown]
	v_mfma_f32_4x4x4_16b_f16 a[0:3], v[42:43], v[68:69], a[0:3] cbsz:4 abid:3
	v_cvt_pkrtz_f16_f32 v72, v76, v77
	v_cvt_pkrtz_f16_f32 v73, v12, v13
	v_mfma_f32_4x4x4_16b_f16 a[0:3], v[40:41], v[10:11], a[0:3] cbsz:4 abid:4
	v_cvt_pkrtz_f16_f32 v12, v78, v79
	v_cvt_pkrtz_f16_f32 v13, v80, v81
	v_mfma_f32_4x4x4_16b_f16 a[0:3], v[42:43], v[72:73], a[0:3] cbsz:4 abid:4
	global_load_dwordx4 v[18:21], v[36:37], off offset:16
	global_load_dwordx4 v[22:25], v[36:37], off
	global_load_dwordx4 v[26:29], v[2:3], off offset:16
	global_load_dwordx4 v[30:33], v[2:3], off
	global_load_dwordx4 v[6:9], v[2:3], off offset:2064
	global_load_dwordx4 v[14:17], v[2:3], off offset:2048
	s_waitcnt vmcnt(10)
	v_cvt_pk_f32_fp8_e32 v[2:3], v44
	v_cvt_pk_f32_fp8_sdwa v[4:5], v44 src0_sel:WORD_1
	v_mfma_f32_4x4x4_16b_f16 a[0:3], v[40:41], v[12:13], a[0:3] cbsz:4 abid:5
	v_cvt_pkrtz_f16_f32 v10, v82, v83
	v_cvt_pkrtz_f16_f32 v11, v84, v85
	v_cvt_pk_f32_fp8_e32 v[70:71], v45
	v_cvt_pkrtz_f16_f32 v2, v2, v3
	v_mfma_f32_4x4x4_16b_f16 a[0:3], v[42:43], v[10:11], a[0:3] cbsz:4 abid:5
	v_cvt_pk_f32_fp8_sdwa v[10:11], v45 src0_sel:WORD_1
	v_cvt_pkrtz_f16_f32 v3, v4, v5
	v_cvt_pk_f32_fp8_e32 v[44:45], v46
	v_cvt_pk_f32_fp8_sdwa v[64:65], v46 src0_sel:WORD_1
	v_mfma_f32_4x4x4_16b_f16 a[0:3], v[40:41], v[2:3], a[0:3] cbsz:4 abid:6
	v_cvt_pkrtz_f16_f32 v4, v70, v71
	v_cvt_pkrtz_f16_f32 v5, v10, v11
	v_cvt_pk_f32_fp8_e32 v[66:67], v47
	v_cvt_pk_f32_fp8_sdwa v[46:47], v47 src0_sel:WORD_1
	v_mfma_f32_4x4x4_16b_f16 a[0:3], v[42:43], v[4:5], a[0:3] cbsz:4 abid:6
	global_load_dwordx4 v[2:5], v[36:37], off offset:2064
	global_load_dwordx4 v[10:13], v[36:37], off offset:2048
	v_cvt_pkrtz_f16_f32 v36, v44, v45
	v_cvt_pkrtz_f16_f32 v37, v64, v65
	;; [unrolled: 1-line block ×4, first 2 shown]
	v_mfma_f32_4x4x4_16b_f16 a[0:3], v[40:41], v[36:37], a[0:3] cbsz:4 abid:7
	s_waitcnt vmcnt(11)
	v_cvt_pk_f32_fp8_e32 v[36:37], v48
	v_cvt_pk_f32_fp8_e32 v[46:47], v49
	v_mfma_f32_4x4x4_16b_f16 a[0:3], v[42:43], v[44:45], a[0:3] cbsz:4 abid:7
	v_cvt_pk_f32_fp8_sdwa v[44:45], v48 src0_sel:WORD_1
	v_cvt_pk_f32_fp8_sdwa v[48:49], v49 src0_sel:WORD_1
	v_cvt_pkrtz_f16_f32 v36, v36, v37
	s_load_dword s0, s[12:13], 0x0
	v_cvt_pkrtz_f16_f32 v37, v44, v45
	v_cvt_pkrtz_f16_f32 v44, v46, v47
	;; [unrolled: 1-line block ×3, first 2 shown]
	v_mfma_f32_4x4x4_16b_f16 a[0:3], v[40:41], v[36:37], a[0:3] cbsz:4 abid:8
	v_cvt_pk_f32_fp8_e32 v[36:37], v50
	v_cvt_pk_f32_fp8_e32 v[46:47], v51
	v_mfma_f32_4x4x4_16b_f16 a[0:3], v[42:43], v[44:45], a[0:3] cbsz:4 abid:8
	v_cvt_pk_f32_fp8_sdwa v[44:45], v50 src0_sel:WORD_1
	v_cvt_pk_f32_fp8_sdwa v[48:49], v51 src0_sel:WORD_1
	v_cvt_pkrtz_f16_f32 v36, v36, v37
	v_cvt_pkrtz_f16_f32 v37, v44, v45
	v_cvt_pkrtz_f16_f32 v44, v46, v47
	s_nop 0
	v_mfma_f32_4x4x4_16b_f16 a[0:3], v[40:41], v[36:37], a[0:3] cbsz:4 abid:9
	v_cvt_pkrtz_f16_f32 v45, v48, v49
	s_waitcnt vmcnt(10)
	v_cvt_pk_f32_fp8_e32 v[36:37], v52
	v_cvt_pk_f32_fp8_e32 v[46:47], v53
	v_mfma_f32_4x4x4_16b_f16 a[0:3], v[42:43], v[44:45], a[0:3] cbsz:4 abid:9
	v_cvt_pk_f32_fp8_sdwa v[44:45], v52 src0_sel:WORD_1
	v_cvt_pk_f32_fp8_sdwa v[48:49], v53 src0_sel:WORD_1
	v_cvt_pkrtz_f16_f32 v36, v36, v37
	v_cvt_pkrtz_f16_f32 v37, v44, v45
	v_cvt_pkrtz_f16_f32 v44, v46, v47
	s_nop 0
	v_mfma_f32_4x4x4_16b_f16 a[0:3], v[40:41], v[36:37], a[0:3] cbsz:4 abid:10
	v_cvt_pkrtz_f16_f32 v45, v48, v49
	v_cvt_pk_f32_fp8_e32 v[36:37], v54
	v_cvt_pk_f32_fp8_e32 v[46:47], v55
	v_mfma_f32_4x4x4_16b_f16 a[0:3], v[42:43], v[44:45], a[0:3] cbsz:4 abid:10
	v_cvt_pk_f32_fp8_sdwa v[44:45], v54 src0_sel:WORD_1
	v_cvt_pk_f32_fp8_sdwa v[48:49], v55 src0_sel:WORD_1
	v_cvt_pkrtz_f16_f32 v36, v36, v37
	v_cvt_pkrtz_f16_f32 v37, v44, v45
	v_cvt_pkrtz_f16_f32 v44, v46, v47
	s_nop 0
	v_mfma_f32_4x4x4_16b_f16 a[0:3], v[40:41], v[36:37], a[0:3] cbsz:4 abid:11
	v_cvt_pkrtz_f16_f32 v45, v48, v49
	s_waitcnt vmcnt(9)
	v_cvt_pk_f32_fp8_e32 v[36:37], v56
	v_cvt_pk_f32_fp8_e32 v[46:47], v57
	v_mfma_f32_4x4x4_16b_f16 a[0:3], v[42:43], v[44:45], a[0:3] cbsz:4 abid:11
	v_cvt_pk_f32_fp8_sdwa v[44:45], v56 src0_sel:WORD_1
	v_cvt_pk_f32_fp8_sdwa v[48:49], v57 src0_sel:WORD_1
	v_cvt_pkrtz_f16_f32 v36, v36, v37
	v_cvt_pkrtz_f16_f32 v37, v44, v45
	v_cvt_pkrtz_f16_f32 v44, v46, v47
	s_nop 0
	v_mfma_f32_4x4x4_16b_f16 a[0:3], v[40:41], v[36:37], a[0:3] cbsz:4 abid:12
	v_cvt_pkrtz_f16_f32 v45, v48, v49
	;; [unrolled: 23-line block ×3, first 2 shown]
	v_cvt_pk_f32_fp8_e32 v[36:37], v62
	v_cvt_pk_f32_fp8_e32 v[46:47], v63
	v_mfma_f32_4x4x4_16b_f16 a[0:3], v[42:43], v[44:45], a[0:3] cbsz:4 abid:14
	v_cvt_pk_f32_fp8_sdwa v[44:45], v62 src0_sel:WORD_1
	v_cvt_pk_f32_fp8_sdwa v[48:49], v63 src0_sel:WORD_1
	v_cvt_pkrtz_f16_f32 v36, v36, v37
	v_cvt_pkrtz_f16_f32 v37, v44, v45
	;; [unrolled: 1-line block ×3, first 2 shown]
	s_nop 0
	v_mfma_f32_4x4x4_16b_f16 a[0:3], v[40:41], v[36:37], a[0:3] cbsz:4 abid:15
	v_cvt_pkrtz_f16_f32 v45, v48, v49
	s_waitcnt lgkmcnt(0)
	v_mul_f32_e32 v40, s0, v35
	v_cndmask_b32_e64 v35, 0, 1.0, vcc
	v_mfma_f32_4x4x4_16b_f16 a[0:3], v[42:43], v[44:45], a[0:3] cbsz:4 abid:15
	v_cmp_eq_u32_e32 vcc, 1, v39
	s_nop 3
	v_accvgpr_read_b32 v43, a1
	v_accvgpr_read_b32 v42, a0
	v_pk_mul_f32 v[42:43], v[42:43], v[40:41] op_sel_hi:[1,0]
	v_accvgpr_read_b32 v37, a3
	v_accvgpr_read_b32 v36, a2
	v_pk_mul_f32 v[36:37], v[36:37], v[40:41] op_sel_hi:[1,0]
	v_mfma_f32_4x4x1_16b_f32 a[0:3], v42, v35, 0
	v_cndmask_b32_e64 v35, 0, 1.0, vcc
	v_cmp_eq_u32_e32 vcc, 2, v39
	v_mov_b32_e32 v41, 0xff7fffff
	v_mfma_f32_4x4x1_16b_f32 a[0:3], v43, v35, a[0:3]
	v_cndmask_b32_e64 v35, 0, 1.0, vcc
	v_cmp_eq_u32_e32 vcc, 3, v39
	s_nop 0
	v_mfma_f32_4x4x1_16b_f32 a[0:3], v36, v35, a[0:3]
	v_cndmask_b32_e64 v35, 0, 1.0, vcc
	v_lshlrev_b32_e32 v36, 2, v0
	v_and_or_b32 v36, v36, 48, v39
	v_mfma_f32_4x4x1_16b_f32 a[0:3], v37, v35, a[0:3]
	v_and_b32_e32 v35, -4, v34
	v_cmp_gt_i32_e32 vcc, s3, v35
	v_or_b32_e32 v34, 3, v34
	v_cmp_gt_i32_e64 s[10:11], s3, v34
	v_accvgpr_read_b32 v37, a0
	v_max_f32_e32 v40, v37, v37
	v_max_f32_e32 v40, 0xff7fffff, v40
	v_accvgpr_read_b32 v42, a1
	v_cndmask_b32_e32 v40, v41, v40, vcc
	v_or_b32_e32 v41, 1, v35
	v_max_f32_e32 v43, v42, v42
	v_max_f32_e32 v43, v40, v43
	v_cmp_gt_i32_e64 s[0:1], s3, v41
	v_accvgpr_read_b32 v41, a2
	v_or_b32_e32 v35, 2, v35
	v_cndmask_b32_e64 v40, v40, v43, s[0:1]
	v_max_f32_e32 v43, v41, v41
	v_max_f32_e32 v43, v40, v43
	v_cmp_gt_i32_e64 s[8:9], s3, v35
	v_lshlrev_b32_e32 v44, 2, v36
	s_nop 0
	v_cndmask_b32_e64 v35, v40, v43, s[8:9]
	v_accvgpr_read_b32 v43, a3
	v_max_f32_e32 v40, v43, v43
	v_max_f32_e32 v40, v35, v40
	v_cndmask_b32_e64 v34, v35, v40, s[10:11]
	;;#ASMSTART
	v_nop
 v_nop
 v_max_f32_dpp v34, v34, v34 row_ror:4
	;;#ASMEND
	s_nop 0
	;;#ASMSTART
	v_nop
 v_nop
 v_max_f32_dpp v34, v34, v34 row_ror:8
	;;#ASMEND
	ds_bpermute_b32 v34, v44, v34
	s_waitcnt lgkmcnt(0)
	;;#ASMSTART
	v_nop
 v_nop
 v_max_f32_dpp v34, v34, v34 row_ror:4
	;;#ASMEND
	s_nop 0
	;;#ASMSTART
	v_nop
 v_nop
 v_max_f32_dpp v40, v34, v34 row_ror:8
	;;#ASMEND
	s_nop 0
	v_sub_f32_e32 v34, v37, v40
	v_mul_f32_e32 v34, 0x3fb8aa3b, v34
	v_sub_f32_e32 v35, v42, v40
	v_exp_f32_e32 v34, v34
	v_mul_f32_e32 v35, 0x3fb8aa3b, v35
	v_sub_f32_e32 v37, v41, v40
	v_exp_f32_e32 v35, v35
	;; [unrolled: 3-line block ×3, first 2 shown]
	v_mul_f32_e32 v41, 0x3fb8aa3b, v41
	v_exp_f32_e32 v41, v41
	v_cndmask_b32_e32 v34, 0, v34, vcc
	v_add_f32_e32 v36, 0, v34
	v_cndmask_b32_e64 v35, 0, v35, s[0:1]
	v_add_f32_e32 v42, v36, v35
	v_cndmask_b32_e64 v36, 0, v37, s[8:9]
	;; [unrolled: 2-line block ×3, first 2 shown]
	v_add_f32_e32 v41, v42, v37
	;;#ASMSTART
	v_nop
 v_nop
 v_add_f32_dpp v41, v41, v41 row_ror:4
	;;#ASMEND
	v_cmp_gt_u32_e32 vcc, 4, v1
	;;#ASMSTART
	v_nop
 v_nop
 v_add_f32_dpp v41, v41, v41 row_ror:8
	;;#ASMEND
	ds_bpermute_b32 v41, v44, v41
	s_waitcnt lgkmcnt(0)
	;;#ASMSTART
	v_nop
 v_nop
 v_add_f32_dpp v41, v41, v41 row_ror:4
	;;#ASMEND
	s_nop 0
	;;#ASMSTART
	v_nop
 v_nop
 v_add_f32_dpp v41, v41, v41 row_ror:8
	;;#ASMEND
	s_and_saveexec_b64 s[0:1], vcc
	s_cbranch_execz .LBB1031_12
; %bb.11:
	v_mul_u32_u24_e32 v42, 20, v38
	v_lshl_add_u32 v42, v39, 2, v42
	v_add_u32_e32 v42, 0x1400, v42
	ds_write2_b32 v42, v40, v41 offset1:20
.LBB1031_12:
	s_or_b64 exec, exec, s[0:1]
.LBB1031_13:
	s_or_b64 exec, exec, s[30:31]
	v_lshlrev_b32_e32 v41, 2, v39
	v_add_u32_e32 v48, 0x1400, v41
	s_waitcnt lgkmcnt(0)
	s_barrier
	s_load_dword s0, s[28:29], 0x8
	ds_read2_b32 v[42:43], v48 offset1:5
	ds_read2_b32 v[44:45], v48 offset0:10 offset1:15
	s_mov_b32 s10, 0xff7fffff
	s_mul_i32 s1, s2, s5
	ds_read2_b32 v[46:47], v48 offset0:20 offset1:25
	s_waitcnt lgkmcnt(0)
	v_max3_f32 v41, v42, s10, v43
	v_max3_f32 v41, v41, v44, v45
	s_mul_i32 s1, s1, s0
	v_sub_f32_e32 v42, v42, v41
	s_lshl_b32 s0, s1, 2
	s_mov_b32 s1, 0
	v_mul_f32_e32 v42, 0x3fb8aa3b, v42
	v_sub_f32_e32 v43, v43, v41
	s_lshl_b32 s8, s4, 2
	s_lshl_b64 s[2:3], s[0:1], 2
	v_exp_f32_e32 v42, v42
	v_mul_f32_e32 v43, 0x3fb8aa3b, v43
	v_sub_f32_e32 v44, v44, v41
	s_add_u32 s4, s16, s2
	v_exp_f32_e32 v43, v43
	ds_read2_b32 v[48:49], v48 offset0:30 offset1:35
	v_mul_f32_e32 v44, 0x3fb8aa3b, v44
	v_sub_f32_e32 v45, v45, v41
	s_addc_u32 s9, s17, s3
	v_exp_f32_e32 v44, v44
	v_mul_f32_e32 v45, 0x3fb8aa3b, v45
	s_mov_b32 s25, s1
	s_add_u32 s10, s18, s2
	v_exp_f32_e32 v45, v45
	s_addc_u32 s11, s19, s3
	s_lshl_b64 s[2:3], s[24:25], 2
	v_fma_f32 v42, v42, v46, 0
	s_add_u32 s10, s10, s2
	v_fmac_f32_e32 v42, v43, v47
	s_addc_u32 s11, s11, s3
	s_waitcnt lgkmcnt(0)
	v_fmac_f32_e32 v42, v44, v48
	v_or_b32_e32 v39, s8, v39
	v_fmac_f32_e32 v42, v45, v49
	s_add_u32 s2, s4, s2
	v_mul_lo_u32 v44, s5, v39
	v_mov_b32_e32 v45, 0
	s_addc_u32 s3, s9, s3
	v_lshlrev_b64 v[44:45], 2, v[44:45]
	v_lshl_add_u64 v[46:47], s[10:11], 0, v[44:45]
	v_lshl_add_u64 v[44:45], s[2:3], 0, v[44:45]
	v_lshlrev_b32_e32 v38, 3, v38
	global_store_dword v[46:47], v41, off
	global_store_dword v[44:45], v42, off
	s_and_saveexec_b64 s[2:3], s[6:7]
	s_xor_b64 s[2:3], exec, s[2:3]
	s_cbranch_execz .LBB1031_15
; %bb.14:
	s_mov_b32 s6, s1
	s_mov_b32 s7, s1
	s_waitcnt vmcnt(3)
	v_mad_u32_u24 v4, v1, 40, v38
	v_mov_b64_e32 v[2:3], s[6:7]
	ds_write2st64_b64 v4, v[2:3], v[2:3] offset1:5
                                        ; implicit-def: $vgpr37
                                        ; implicit-def: $vgpr35
                                        ; implicit-def: $vgpr40
                                        ; implicit-def: $vgpr30_vgpr31
                                        ; implicit-def: $vgpr26_vgpr27
                                        ; implicit-def: $vgpr22_vgpr23
                                        ; implicit-def: $vgpr18_vgpr19
                                        ; implicit-def: $vgpr14_vgpr15
                                        ; implicit-def: $vgpr6_vgpr7
                                        ; implicit-def: $vgpr10_vgpr11
                                        ; implicit-def: $vgpr2_vgpr3
                                        ; implicit-def: $vgpr41
                                        ; implicit-def: $vgpr42
                                        ; implicit-def: $vgpr38
.LBB1031_15:
	s_andn2_saveexec_b64 s[2:3], s[2:3]
	s_cbranch_execz .LBB1031_17
; %bb.16:
	v_add_f32_e32 v39, 0x358637bd, v42
	v_div_scale_f32 v42, s[6:7], v39, v39, 1.0
	v_rcp_f32_e32 v43, v42
	v_sub_f32_e32 v40, v40, v41
	v_mul_f32_e32 v40, 0x3fb8aa3b, v40
	v_exp_f32_e32 v40, v40
	v_fma_f32 v41, -v42, v43, 1.0
	v_fmac_f32_e32 v43, v41, v43
	v_div_scale_f32 v41, vcc, 1.0, v39, 1.0
	v_mul_f32_e32 v44, v41, v43
	v_fma_f32 v45, -v42, v44, v41
	v_fmac_f32_e32 v44, v45, v43
	v_fma_f32 v41, -v42, v44, v41
	v_div_fmas_f32 v41, v41, v43, v44
	v_div_fixup_f32 v39, v41, v39, 1.0
	v_mul_f32_e32 v40, v40, v39
	v_pk_mul_f32 v[36:37], v[36:37], v[40:41] op_sel_hi:[1,0]
	v_pk_mul_f32 v[34:35], v[34:35], v[40:41] op_sel_hi:[1,0]
	v_cvt_f16_f32_e32 v36, v36
	v_cvt_f16_f32_e32 v34, v34
	;; [unrolled: 1-line block ×4, first 2 shown]
	s_waitcnt vmcnt(6)
	v_cvt_pk_f32_fp8_sdwa v[40:41], v30 src0_sel:WORD_1
	v_cvt_pk_f32_fp8_e32 v[42:43], v31
	v_pack_b32_f16 v34, v34, v35
	v_pack_b32_f16 v35, v36, v37
	v_cvt_pk_f32_fp8_e32 v[36:37], v30
	v_cvt_pk_f32_fp8_sdwa v[30:31], v31 src0_sel:WORD_1
	s_load_dword s4, s[14:15], 0x0
	v_cvt_pkrtz_f16_f32 v36, v36, v37
	v_cvt_pkrtz_f16_f32 v37, v40, v41
	;; [unrolled: 1-line block ×3, first 2 shown]
	v_cvt_pk_f32_fp8_e32 v[30:31], v32
	v_mfma_f32_4x4x4_16b_f16 a[0:3], v[34:35], v[36:37], 0 cbsz:4
	v_cvt_pk_f32_fp8_sdwa v[36:37], v32 src0_sel:WORD_1
	v_cvt_pkrtz_f16_f32 v40, v42, v43
	v_cvt_pkrtz_f16_f32 v30, v30, v31
	v_cvt_pkrtz_f16_f32 v31, v36, v37
	v_mfma_f32_4x4x4_16b_f16 a[0:3], v[34:35], v[40:41], a[0:3] cbsz:4 abid:1
	v_cvt_pk_f32_fp8_e32 v[40:41], v33
	v_cvt_pk_f32_fp8_sdwa v[32:33], v33 src0_sel:WORD_1
	v_mfma_f32_4x4x4_16b_f16 a[0:3], v[34:35], v[30:31], a[0:3] cbsz:4 abid:2
	v_cvt_pk_f32_fp8_e32 v[30:31], v26
	v_cvt_pkrtz_f16_f32 v36, v40, v41
	v_cvt_pkrtz_f16_f32 v37, v32, v33
	v_cvt_pk_f32_fp8_sdwa v[32:33], v26 src0_sel:WORD_1
	v_cvt_pkrtz_f16_f32 v30, v30, v31
	v_mfma_f32_4x4x4_16b_f16 a[0:3], v[34:35], v[36:37], a[0:3] cbsz:4 abid:3
	v_cvt_pk_f32_fp8_e32 v[36:37], v27
	v_cvt_pk_f32_fp8_sdwa v[26:27], v27 src0_sel:WORD_1
	v_cvt_pkrtz_f16_f32 v31, v32, v33
	v_cvt_pkrtz_f16_f32 v32, v36, v37
	v_cvt_pkrtz_f16_f32 v33, v26, v27
	v_mfma_f32_4x4x4_16b_f16 a[0:3], v[34:35], v[30:31], a[0:3] cbsz:4 abid:4
	v_cvt_pk_f32_fp8_e32 v[26:27], v28
	v_cvt_pk_f32_fp8_sdwa v[30:31], v28 src0_sel:WORD_1
	v_mfma_f32_4x4x4_16b_f16 a[0:3], v[34:35], v[32:33], a[0:3] cbsz:4 abid:5
	v_cvt_pk_f32_fp8_e32 v[32:33], v29
	v_cvt_pk_f32_fp8_sdwa v[28:29], v29 src0_sel:WORD_1
	v_cvt_pkrtz_f16_f32 v26, v26, v27
	v_cvt_pkrtz_f16_f32 v27, v30, v31
	v_cvt_pkrtz_f16_f32 v30, v32, v33
	v_cvt_pkrtz_f16_f32 v31, v28, v29
	v_mfma_f32_4x4x4_16b_f16 a[0:3], v[34:35], v[26:27], a[0:3] cbsz:4 abid:6
	v_cvt_pk_f32_fp8_e32 v[26:27], v22
	v_cvt_pk_f32_fp8_sdwa v[28:29], v22 src0_sel:WORD_1
	v_mfma_f32_4x4x4_16b_f16 a[0:3], v[34:35], v[30:31], a[0:3] cbsz:4 abid:7
	v_cvt_pk_f32_fp8_e32 v[30:31], v23
	v_cvt_pk_f32_fp8_sdwa v[22:23], v23 src0_sel:WORD_1
	v_cvt_pkrtz_f16_f32 v26, v26, v27
	;; [unrolled: 10-line block ×5, first 2 shown]
	v_cvt_pkrtz_f16_f32 v19, v22, v23
	v_cvt_pkrtz_f16_f32 v22, v24, v25
	;; [unrolled: 1-line block ×3, first 2 shown]
	v_mfma_f32_4x4x4_16b_f16 a[0:3], v[34:35], v[18:19], a[0:3] cbsz:4 abid:14
	s_waitcnt vmcnt(4)
	v_cvt_pk_f32_fp8_e32 v[24:25], v15
	v_mfma_f32_4x4x4_16b_f16 a[0:3], v[34:35], v[22:23], a[0:3] cbsz:4 abid:15
	v_cvt_pk_f32_fp8_sdwa v[22:23], v14 src0_sel:WORD_1
	s_nop 3
	v_accvgpr_read_b32 v19, a1
	v_accvgpr_read_b32 v18, a0
	s_waitcnt lgkmcnt(0)
	v_pk_mul_f32 v[18:19], v[18:19], s[4:5] op_sel_hi:[1,0]
	s_nop 0
	v_cvt_f16_f32_e32 v20, v18
	v_cvt_f16_f32_e32 v21, v19
	v_accvgpr_read_b32 v19, a3
	v_accvgpr_read_b32 v18, a2
	v_pk_mul_f32 v[18:19], v[18:19], s[4:5] op_sel_hi:[1,0]
	v_pack_b32_f16 v20, v20, v21
	v_cvt_f16_f32_e32 v21, v18
	v_cvt_f16_f32_e32 v26, v19
	v_cvt_pk_f32_fp8_e32 v[18:19], v14
	v_cvt_pk_f32_fp8_sdwa v[14:15], v15 src0_sel:WORD_1
	v_pack_b32_f16 v21, v21, v26
	v_cvt_pkrtz_f16_f32 v18, v18, v19
	v_cvt_pkrtz_f16_f32 v19, v22, v23
	v_cvt_pkrtz_f16_f32 v22, v24, v25
	v_cvt_pkrtz_f16_f32 v23, v14, v15
	v_mfma_f32_4x4x4_16b_f16 a[0:3], v[34:35], v[18:19], 0 cbsz:4
	v_cvt_pk_f32_fp8_e32 v[14:15], v16
	v_cvt_pk_f32_fp8_sdwa v[18:19], v16 src0_sel:WORD_1
	v_mfma_f32_4x4x4_16b_f16 a[0:3], v[34:35], v[22:23], a[0:3] cbsz:4 abid:1
	v_cvt_pk_f32_fp8_e32 v[22:23], v17
	v_cvt_pk_f32_fp8_sdwa v[16:17], v17 src0_sel:WORD_1
	v_cvt_pkrtz_f16_f32 v14, v14, v15
	v_cvt_pkrtz_f16_f32 v15, v18, v19
	v_cvt_pkrtz_f16_f32 v18, v22, v23
	v_cvt_pkrtz_f16_f32 v19, v16, v17
	v_mfma_f32_4x4x4_16b_f16 a[0:3], v[34:35], v[14:15], a[0:3] cbsz:4 abid:2
	v_cvt_pk_f32_fp8_e32 v[14:15], v6
	v_cvt_pk_f32_fp8_sdwa v[16:17], v6 src0_sel:WORD_1
	v_mfma_f32_4x4x4_16b_f16 a[0:3], v[34:35], v[18:19], a[0:3] cbsz:4 abid:3
	v_cvt_pk_f32_fp8_e32 v[18:19], v7
	v_cvt_pk_f32_fp8_sdwa v[6:7], v7 src0_sel:WORD_1
	v_cvt_pkrtz_f16_f32 v14, v14, v15
	v_cvt_pkrtz_f16_f32 v15, v16, v17
	v_cvt_pkrtz_f16_f32 v16, v18, v19
	v_cvt_pkrtz_f16_f32 v17, v6, v7
	v_mfma_f32_4x4x4_16b_f16 a[0:3], v[34:35], v[14:15], a[0:3] cbsz:4 abid:4
	;; [unrolled: 10-line block ×3, first 2 shown]
	s_waitcnt vmcnt(2)
	v_cvt_pk_f32_fp8_e32 v[6:7], v10
	v_cvt_pk_f32_fp8_sdwa v[8:9], v10 src0_sel:WORD_1
	v_mfma_f32_4x4x4_16b_f16 a[0:3], v[34:35], v[14:15], a[0:3] cbsz:4 abid:7
	v_cvt_pk_f32_fp8_e32 v[14:15], v11
	v_cvt_pk_f32_fp8_sdwa v[10:11], v11 src0_sel:WORD_1
	v_cvt_pkrtz_f16_f32 v6, v6, v7
	v_cvt_pkrtz_f16_f32 v7, v8, v9
	;; [unrolled: 1-line block ×4, first 2 shown]
	v_mfma_f32_4x4x4_16b_f16 a[0:3], v[34:35], v[6:7], a[0:3] cbsz:4 abid:8
	v_cvt_pk_f32_fp8_e32 v[6:7], v12
	v_cvt_pk_f32_fp8_e32 v[10:11], v13
	v_mfma_f32_4x4x4_16b_f16 a[0:3], v[34:35], v[8:9], a[0:3] cbsz:4 abid:9
	v_cvt_pk_f32_fp8_sdwa v[8:9], v12 src0_sel:WORD_1
	v_cvt_pk_f32_fp8_sdwa v[12:13], v13 src0_sel:WORD_1
	v_cvt_pkrtz_f16_f32 v6, v6, v7
	v_cvt_pkrtz_f16_f32 v7, v8, v9
	;; [unrolled: 1-line block ×3, first 2 shown]
	s_nop 0
	v_mfma_f32_4x4x4_16b_f16 a[0:3], v[34:35], v[6:7], a[0:3] cbsz:4 abid:10
	v_cvt_pkrtz_f16_f32 v9, v12, v13
	v_cvt_pk_f32_fp8_e32 v[6:7], v2
	v_cvt_pk_f32_fp8_e32 v[10:11], v3
	v_mfma_f32_4x4x4_16b_f16 a[0:3], v[34:35], v[8:9], a[0:3] cbsz:4 abid:11
	v_cvt_pk_f32_fp8_sdwa v[8:9], v2 src0_sel:WORD_1
	v_cvt_pk_f32_fp8_sdwa v[2:3], v3 src0_sel:WORD_1
	v_cvt_pkrtz_f16_f32 v6, v6, v7
	v_cvt_pkrtz_f16_f32 v7, v8, v9
	;; [unrolled: 1-line block ×3, first 2 shown]
	s_nop 0
	v_mfma_f32_4x4x4_16b_f16 a[0:3], v[34:35], v[6:7], a[0:3] cbsz:4 abid:12
	v_cvt_pk_f32_fp8_e32 v[2:3], v4
	v_cvt_pk_f32_fp8_sdwa v[6:7], v4 src0_sel:WORD_1
	v_cvt_pkrtz_f16_f32 v8, v10, v11
	v_cvt_pkrtz_f16_f32 v2, v2, v3
	s_nop 0
	v_mfma_f32_4x4x4_16b_f16 a[0:3], v[34:35], v[8:9], a[0:3] cbsz:4 abid:13
	v_cvt_pk_f32_fp8_e32 v[8:9], v5
	v_cvt_pk_f32_fp8_sdwa v[4:5], v5 src0_sel:WORD_1
	v_cvt_pkrtz_f16_f32 v3, v6, v7
	v_cvt_pkrtz_f16_f32 v6, v8, v9
	s_nop 0
	v_mfma_f32_4x4x4_16b_f16 a[0:3], v[34:35], v[2:3], a[0:3] cbsz:4 abid:14
	v_cvt_pkrtz_f16_f32 v7, v4, v5
	s_nop 1
	v_mfma_f32_4x4x4_16b_f16 a[0:3], v[34:35], v[6:7], a[0:3] cbsz:4 abid:15
	v_mad_u32_u24 v7, v1, 40, v38
	s_nop 3
	v_accvgpr_read_b32 v5, a1
	v_accvgpr_read_b32 v3, a3
	;; [unrolled: 1-line block ×4, first 2 shown]
	v_pk_mul_f32 v[2:3], v[2:3], s[4:5] op_sel_hi:[1,0]
	v_pk_mul_f32 v[4:5], v[4:5], s[4:5] op_sel_hi:[1,0]
	v_cvt_f16_f32_e32 v6, v2
	v_cvt_f16_f32_e32 v4, v4
	;; [unrolled: 1-line block ×4, first 2 shown]
	v_pack_b32_f16 v2, v4, v5
	v_pack_b32_f16 v3, v6, v3
	ds_write2st64_b64 v7, v[20:21], v[2:3] offset1:5
.LBB1031_17:
	s_or_b64 exec, exec, s[2:3]
	v_cmp_gt_u32_e32 vcc, 64, v0
	s_waitcnt lgkmcnt(0)
	s_barrier
	s_and_saveexec_b64 s[2:3], vcc
	s_cbranch_execz .LBB1031_19
; %bb.18:
	s_waitcnt vmcnt(5)
	v_mul_u32_u24_e32 v6, 40, v1
	s_waitcnt vmcnt(3)
	ds_read2_b64 v[2:5], v6 offset1:1
	ds_read2_b64 v[6:9], v6 offset0:2 offset1:3
	s_lshl_b32 s0, s0, 7
	s_lshl_b64 s[2:3], s[0:1], 1
	s_add_u32 s2, s26, s2
	s_waitcnt lgkmcnt(1)
	v_pk_add_f16 v2, v2, 0
	v_pk_add_f16 v3, v3, 0
	;; [unrolled: 1-line block ×4, first 2 shown]
	s_waitcnt lgkmcnt(0)
	v_pk_add_f16 v2, v2, v6
	v_pk_add_f16 v6, v3, v7
	s_waitcnt vmcnt(2)
	v_pk_add_f16 v10, v2, v8
	v_mov_b32_e32 v2, 0xa00
	v_mad_u32_u24 v2, v1, 40, v2
	ds_read2_b64 v[2:5], v2 offset1:1
	v_pk_add_f16 v11, v6, v9
	v_mov_b32_e32 v6, 0xa10
	v_mad_u32_u24 v1, v1, 40, v6
	ds_read2_b64 v[6:9], v1 offset1:1
	s_addc_u32 s3, s27, s3
	s_lshl_b32 s0, s24, 7
	s_lshl_b64 s[0:1], s[0:1], 1
	s_waitcnt lgkmcnt(1)
	v_pk_add_f16 v1, v2, 0
	v_pk_add_f16 v2, v3, 0
	s_add_u32 s0, s2, s0
	v_pk_add_f16 v2, v2, v5
	s_addc_u32 s1, s3, s1
	s_lshl_b32 s2, s5, 7
	s_waitcnt lgkmcnt(0)
	v_pk_add_f16 v2, v2, v7
	s_mul_i32 s3, s2, s8
	v_pk_add_f16 v13, v2, v9
	v_or_b32_e32 v2, s3, v0
	v_mov_b32_e32 v3, 0
	s_add_i32 s3, s3, s2
	v_pk_add_f16 v1, v1, v4
	v_lshl_add_u64 v[4:5], v[2:3], 1, s[0:1]
	v_or_b32_e32 v2, s3, v0
	s_add_i32 s3, s3, s2
	v_pk_add_f16 v1, v1, v6
	v_lshl_add_u64 v[6:7], v[2:3], 1, s[0:1]
	v_or_b32_e32 v2, s3, v0
	s_add_i32 s3, s3, s2
	v_pk_add_f16 v12, v1, v8
	v_lshl_add_u64 v[8:9], v[2:3], 1, s[0:1]
	v_or_b32_e32 v2, s3, v0
	v_lshl_add_u64 v[0:1], v[2:3], 1, s[0:1]
	global_store_short v[4:5], v10, off
	global_store_short_d16_hi v[6:7], v10, off
	global_store_short v[8:9], v11, off
	global_store_short_d16_hi v[0:1], v11, off
	global_store_short v[4:5], v12, off offset:128
	global_store_short_d16_hi v[6:7], v12, off offset:128
	global_store_short v[8:9], v13, off offset:128
	global_store_short_d16_hi v[0:1], v13, off offset:128
.LBB1031_19:
	s_endpgm
.LBB1031_20:
	s_mov_b64 s[12:13], 0
                                        ; implicit-def: $sgpr34_sgpr35
	s_branch .LBB1031_2
	.section	.rodata,"a",@progbits
	.p2align	6, 0x0
	.amdhsa_kernel _Z38paged_attention_ll4mi_QKV_mfma4_kernelIDF16_hLN4vllm18Fp8KVCacheDataTypeE1EhLi32ELi128ELi256ELb0ELi4EEvPKT_PKT0_S7_ifPKiS9_S9_iPKfiiiPfSC_PS2_PT2_iSB_SB_
		.amdhsa_group_segment_fixed_size 5280
		.amdhsa_private_segment_fixed_size 0
		.amdhsa_kernarg_size 400
		.amdhsa_user_sgpr_count 2
		.amdhsa_user_sgpr_dispatch_ptr 0
		.amdhsa_user_sgpr_queue_ptr 0
		.amdhsa_user_sgpr_kernarg_segment_ptr 1
		.amdhsa_user_sgpr_dispatch_id 0
		.amdhsa_user_sgpr_kernarg_preload_length 0
		.amdhsa_user_sgpr_kernarg_preload_offset 0
		.amdhsa_user_sgpr_private_segment_size 0
		.amdhsa_uses_dynamic_stack 0
		.amdhsa_enable_private_segment 0
		.amdhsa_system_sgpr_workgroup_id_x 1
		.amdhsa_system_sgpr_workgroup_id_y 1
		.amdhsa_system_sgpr_workgroup_id_z 1
		.amdhsa_system_sgpr_workgroup_info 0
		.amdhsa_system_vgpr_workitem_id 0
		.amdhsa_next_free_vgpr 96
		.amdhsa_next_free_sgpr 42
		.amdhsa_accum_offset 92
		.amdhsa_reserve_vcc 1
		.amdhsa_float_round_mode_32 0
		.amdhsa_float_round_mode_16_64 0
		.amdhsa_float_denorm_mode_32 3
		.amdhsa_float_denorm_mode_16_64 3
		.amdhsa_dx10_clamp 1
		.amdhsa_ieee_mode 1
		.amdhsa_fp16_overflow 0
		.amdhsa_tg_split 0
		.amdhsa_exception_fp_ieee_invalid_op 0
		.amdhsa_exception_fp_denorm_src 0
		.amdhsa_exception_fp_ieee_div_zero 0
		.amdhsa_exception_fp_ieee_overflow 0
		.amdhsa_exception_fp_ieee_underflow 0
		.amdhsa_exception_fp_ieee_inexact 0
		.amdhsa_exception_int_div_zero 0
	.end_amdhsa_kernel
	.section	.text._Z38paged_attention_ll4mi_QKV_mfma4_kernelIDF16_hLN4vllm18Fp8KVCacheDataTypeE1EhLi32ELi128ELi256ELb0ELi4EEvPKT_PKT0_S7_ifPKiS9_S9_iPKfiiiPfSC_PS2_PT2_iSB_SB_,"axG",@progbits,_Z38paged_attention_ll4mi_QKV_mfma4_kernelIDF16_hLN4vllm18Fp8KVCacheDataTypeE1EhLi32ELi128ELi256ELb0ELi4EEvPKT_PKT0_S7_ifPKiS9_S9_iPKfiiiPfSC_PS2_PT2_iSB_SB_,comdat
.Lfunc_end1031:
	.size	_Z38paged_attention_ll4mi_QKV_mfma4_kernelIDF16_hLN4vllm18Fp8KVCacheDataTypeE1EhLi32ELi128ELi256ELb0ELi4EEvPKT_PKT0_S7_ifPKiS9_S9_iPKfiiiPfSC_PS2_PT2_iSB_SB_, .Lfunc_end1031-_Z38paged_attention_ll4mi_QKV_mfma4_kernelIDF16_hLN4vllm18Fp8KVCacheDataTypeE1EhLi32ELi128ELi256ELb0ELi4EEvPKT_PKT0_S7_ifPKiS9_S9_iPKfiiiPfSC_PS2_PT2_iSB_SB_
                                        ; -- End function
	.section	.AMDGPU.csdata,"",@progbits
; Kernel info:
; codeLenInByte = 5300
; NumSgprs: 48
; NumVgprs: 90
; NumAgprs: 4
; TotalNumVgprs: 96
; ScratchSize: 0
; MemoryBound: 0
; FloatMode: 240
; IeeeMode: 1
; LDSByteSize: 5280 bytes/workgroup (compile time only)
; SGPRBlocks: 5
; VGPRBlocks: 11
; NumSGPRsForWavesPerEU: 48
; NumVGPRsForWavesPerEU: 96
; AccumOffset: 92
; Occupancy: 5
; WaveLimiterHint : 1
; COMPUTE_PGM_RSRC2:SCRATCH_EN: 0
; COMPUTE_PGM_RSRC2:USER_SGPR: 2
; COMPUTE_PGM_RSRC2:TRAP_HANDLER: 0
; COMPUTE_PGM_RSRC2:TGID_X_EN: 1
; COMPUTE_PGM_RSRC2:TGID_Y_EN: 1
; COMPUTE_PGM_RSRC2:TGID_Z_EN: 1
; COMPUTE_PGM_RSRC2:TIDIG_COMP_CNT: 0
; COMPUTE_PGM_RSRC3_GFX90A:ACCUM_OFFSET: 22
; COMPUTE_PGM_RSRC3_GFX90A:TG_SPLIT: 0
	.section	.text._Z39paged_attention_ll4mi_QKV_mfma16_kernelIDF16_hLN4vllm18Fp8KVCacheDataTypeE1EhLi32ELi128ELi256ELb0ELi5EEvPKT_PKT0_S7_ifPKiS9_S9_iPKfiiiPfSC_PS2_PT2_iSB_SB_,"axG",@progbits,_Z39paged_attention_ll4mi_QKV_mfma16_kernelIDF16_hLN4vllm18Fp8KVCacheDataTypeE1EhLi32ELi128ELi256ELb0ELi5EEvPKT_PKT0_S7_ifPKiS9_S9_iPKfiiiPfSC_PS2_PT2_iSB_SB_,comdat
	.protected	_Z39paged_attention_ll4mi_QKV_mfma16_kernelIDF16_hLN4vllm18Fp8KVCacheDataTypeE1EhLi32ELi128ELi256ELb0ELi5EEvPKT_PKT0_S7_ifPKiS9_S9_iPKfiiiPfSC_PS2_PT2_iSB_SB_ ; -- Begin function _Z39paged_attention_ll4mi_QKV_mfma16_kernelIDF16_hLN4vllm18Fp8KVCacheDataTypeE1EhLi32ELi128ELi256ELb0ELi5EEvPKT_PKT0_S7_ifPKiS9_S9_iPKfiiiPfSC_PS2_PT2_iSB_SB_
	.globl	_Z39paged_attention_ll4mi_QKV_mfma16_kernelIDF16_hLN4vllm18Fp8KVCacheDataTypeE1EhLi32ELi128ELi256ELb0ELi5EEvPKT_PKT0_S7_ifPKiS9_S9_iPKfiiiPfSC_PS2_PT2_iSB_SB_
	.p2align	8
	.type	_Z39paged_attention_ll4mi_QKV_mfma16_kernelIDF16_hLN4vllm18Fp8KVCacheDataTypeE1EhLi32ELi128ELi256ELb0ELi5EEvPKT_PKT0_S7_ifPKiS9_S9_iPKfiiiPfSC_PS2_PT2_iSB_SB_,@function
_Z39paged_attention_ll4mi_QKV_mfma16_kernelIDF16_hLN4vllm18Fp8KVCacheDataTypeE1EhLi32ELi128ELi256ELb0ELi5EEvPKT_PKT0_S7_ifPKiS9_S9_iPKfiiiPfSC_PS2_PT2_iSB_SB_: ; @_Z39paged_attention_ll4mi_QKV_mfma16_kernelIDF16_hLN4vllm18Fp8KVCacheDataTypeE1EhLi32ELi128ELi256ELb0ELi5EEvPKT_PKT0_S7_ifPKiS9_S9_iPKfiiiPfSC_PS2_PT2_iSB_SB_
; %bb.0:
	s_load_dwordx2 s[12:13], s[0:1], 0x30
	s_mov_b32 s22, s3
	s_mov_b64 s[6:7], 0
	s_waitcnt lgkmcnt(0)
	s_cmp_lg_u64 s[12:13], 0
	s_cselect_b64 s[14:15], -1, 0
	s_and_b64 vcc, exec, s[14:15]
	s_cbranch_vccz .LBB1032_7
; %bb.1:
	s_add_i32 s8, s2, 1
	s_mov_b32 s9, 0
	s_lshl_b64 s[10:11], s[8:9], 2
	s_add_u32 s10, s12, s10
	s_mov_b32 s3, s9
	s_addc_u32 s11, s13, s11
	s_lshl_b64 s[8:9], s[2:3], 2
	s_add_u32 s8, s12, s8
	s_addc_u32 s9, s13, s9
	s_load_dword s5, s[10:11], 0x0
	s_load_dword s16, s[8:9], 0x0
	s_waitcnt lgkmcnt(0)
	s_sub_i32 s5, s5, s16
	s_cmp_eq_u32 s5, 1
	s_cselect_b64 s[8:9], -1, 0
	s_andn2_b64 vcc, exec, s[6:7]
	s_cbranch_vccnz .LBB1032_3
.LBB1032_2:
	s_mov_b32 s3, 0
	s_mov_b64 s[8:9], -1
.LBB1032_3:
	s_andn2_b64 vcc, exec, s[8:9]
	s_cbranch_vccnz .LBB1032_18
; %bb.4:
	s_load_dwordx2 s[6:7], s[0:1], 0x28
	s_lshl_b64 s[16:17], s[2:3], 2
	s_waitcnt lgkmcnt(0)
	s_add_u32 s6, s6, s16
	s_addc_u32 s7, s7, s17
	s_load_dword s5, s[6:7], 0x0
	s_lshl_b32 s18, s22, 8
	s_waitcnt lgkmcnt(0)
	s_cmp_ge_i32 s18, s5
	s_cbranch_scc1 .LBB1032_18
; %bb.5:
	s_load_dwordx2 s[6:7], s[0:1], 0x20
	s_load_dword s8, s[0:1], 0x38
	s_add_i32 s9, s5, 31
	s_ashr_i32 s10, s9, 31
	v_and_b32_e32 v1, 0xcf, v0
	s_lshr_b32 s10, s10, 27
	v_add_u32_e32 v1, s18, v1
	s_add_i32 s9, s9, s10
	v_ashrrev_i32_e32 v2, 31, v1
	s_ashr_i32 s19, s9, 5
	v_lshrrev_b32_e32 v6, 27, v2
	s_add_i32 s19, s19, -1
	s_waitcnt lgkmcnt(0)
	s_mul_i32 s8, s2, s8
	s_mov_b32 s9, 0
	v_add_u32_e32 v2, v1, v6
	s_lshl_b64 s[8:9], s[8:9], 2
	v_ashrrev_i32_e32 v2, 5, v2
	v_mov_b32_e32 v7, s19
	v_cmp_gt_i32_e32 vcc, s5, v1
	s_add_u32 s6, s6, s8
	s_addc_u32 s7, s7, s9
	v_cndmask_b32_e32 v2, v7, v2, vcc
	v_ashrrev_i32_e32 v3, 31, v2
	v_lshl_add_u64 v[4:5], v[2:3], 2, s[6:7]
	v_or_b32_e32 v2, 16, v1
	v_add_u32_e32 v3, v2, v6
	v_ashrrev_i32_e32 v3, 5, v3
	v_cmp_gt_i32_e32 vcc, s5, v2
	s_load_dwordx4 s[8:11], s[0:1], 0x8
	s_nop 0
	v_cndmask_b32_e32 v2, v7, v3, vcc
	v_ashrrev_i32_e32 v3, 31, v2
	v_lshl_add_u64 v[10:11], v[2:3], 2, s[6:7]
	v_or_b32_e32 v2, 32, v1
	v_add_u32_e32 v3, v2, v6
	v_ashrrev_i32_e32 v3, 5, v3
	v_cmp_gt_i32_e32 vcc, s5, v2
	v_or_b32_e32 v1, 48, v1
	s_nop 0
	v_cndmask_b32_e32 v2, v7, v3, vcc
	v_ashrrev_i32_e32 v3, 31, v2
	v_lshl_add_u64 v[12:13], v[2:3], 2, s[6:7]
	v_add_u32_e32 v2, v1, v6
	v_ashrrev_i32_e32 v2, 5, v2
	v_cmp_gt_i32_e32 vcc, s5, v1
	s_nop 1
	v_cndmask_b32_e32 v2, v7, v2, vcc
	v_ashrrev_i32_e32 v3, 31, v2
	v_lshl_add_u64 v[14:15], v[2:3], 2, s[6:7]
	global_load_dword v2, v[4:5], off
	global_load_dword v8, v[10:11], off
	;; [unrolled: 1-line block ×4, first 2 shown]
	s_andn2_b64 vcc, exec, s[14:15]
	s_cbranch_vccnz .LBB1032_8
; %bb.6:
	s_add_u32 s12, s12, s16
	s_addc_u32 s13, s13, s17
	s_load_dword s14, s[12:13], 0x0
	s_branch .LBB1032_9
.LBB1032_7:
	s_mov_b64 s[8:9], 0
	s_branch .LBB1032_2
.LBB1032_8:
	s_mov_b32 s14, s2
.LBB1032_9:
	s_load_dwordx4 s[44:47], s[0:1], 0x48
	v_lshrrev_b32_e32 v57, 6, v0
	v_bfe_u32 v60, v0, 4, 2
	v_and_b32_e32 v56, 15, v0
	v_lshl_or_b32 v3, v57, 2, v60
	v_lshlrev_b32_e32 v1, 3, v56
	v_and_b32_e32 v61, 63, v0
	s_mul_i32 s48, s4, 5
	v_cmp_gt_u32_e32 vcc, 5, v3
	v_lshlrev_b32_e32 v54, 1, v1
	v_lshlrev_b32_e32 v1, 4, v0
	s_and_saveexec_b64 s[12:13], vcc
	s_cbranch_execz .LBB1032_11
; %bb.10:
	s_load_dwordx2 s[16:17], s[0:1], 0x0
	s_waitcnt lgkmcnt(0)
	s_ashr_i32 s15, s44, 31
	s_mul_hi_u32 s20, s14, s44
	s_mul_i32 s15, s14, s15
	s_add_i32 s15, s20, s15
	s_mul_i32 s14, s14, s44
	s_lshl_b64 s[14:15], s[14:15], 1
	s_add_u32 s14, s16, s14
	v_add_lshl_u32 v4, v3, s48, 7
	s_addc_u32 s15, s17, s15
	v_ashrrev_i32_e32 v5, 31, v4
	v_lshl_add_u64 v[4:5], v[4:5], 1, s[14:15]
	v_mov_b32_e32 v55, 0
	v_lshl_add_u64 v[4:5], v[4:5], 0, v[54:55]
	global_load_dwordx4 v[10:13], v[4:5], off
	v_lshlrev_b32_e32 v5, 8, v0
	v_lshlrev_b32_e32 v4, 8, v56
	v_and_b32_e32 v5, 0x600, v5
	s_movk_i32 s14, 0x800
	v_and_or_b32 v4, v4, s14, v5
	v_lshlrev_b32_e32 v3, 5, v3
	v_and_b32_e32 v5, 16, v1
	v_or3_b32 v3, v4, v3, v5
	s_waitcnt vmcnt(0)
	ds_write_b128 v3, v[10:13]
.LBB1032_11:
	s_or_b64 exec, exec, s[12:13]
	s_waitcnt lgkmcnt(0)
	s_mul_i32 s12, s4, s46
	s_add_u32 s8, s8, s12
	s_addc_u32 s9, s9, 0
	v_mov_b32_e32 v59, 0
	v_mov_b64_e32 v[4:5], s[8:9]
	v_and_b32_e32 v9, 48, v0
	s_waitcnt vmcnt(3)
	v_mad_i64_i32 v[10:11], s[8:9], v2, s45, v[4:5]
	v_lshlrev_b32_e32 v2, 4, v56
	v_mov_b32_e32 v3, v59
	v_lshlrev_b32_e32 v58, 5, v9
	v_lshl_add_u64 v[10:11], v[10:11], 0, v[2:3]
	v_lshl_add_u64 v[14:15], v[10:11], 0, v[58:59]
	s_load_dword s23, s[0:1], 0x98
	s_load_dwordx4 s[40:43], s[0:1], 0x80
	s_waitcnt lgkmcnt(0)
	s_barrier
	global_load_dwordx4 v[10:13], v[14:15], off
	global_load_dwordx4 v[30:33], v[14:15], off offset:2048
	v_mul_lo_u16_e32 v16, 52, v56
	v_mov_b32_e32 v17, 5
	v_mul_lo_u16_sdwa v14, v16, v17 dst_sel:DWORD dst_unused:UNUSED_PAD src0_sel:BYTE_1 src1_sel:DWORD
	v_or_b32_e32 v25, s18, v9
	v_sub_u16_e32 v9, v56, v14
	s_ashr_i32 s8, s18, 31
	v_lshlrev_b32_sdwa v9, v17, v9 dst_sel:DWORD dst_unused:UNUSED_PAD src0_sel:DWORD src1_sel:BYTE_0
	v_or_b32_e32 v18, 0x100, v2
	v_mov_b32_e32 v19, v59
	s_lshr_b32 s13, s8, 27
	v_lshl_add_u32 v41, v60, 9, v9
	s_waitcnt vmcnt(4)
	v_mad_i64_i32 v[8:9], s[8:9], v8, s45, v[4:5]
	s_waitcnt vmcnt(3)
	v_mad_i64_i32 v[20:21], s[8:9], v6, s45, v[4:5]
	;; [unrolled: 2-line block ×3, first 2 shown]
	v_lshl_add_u64 v[6:7], v[8:9], 0, v[18:19]
	v_lshl_add_u64 v[22:23], v[6:7], 0, v[58:59]
	global_load_dwordx4 v[46:49], v[22:23], off
	v_or_b32_e32 v38, 64, v25
	v_or_b32_e32 v39, 0x80, v25
	;; [unrolled: 1-line block ×3, first 2 shown]
	v_add_u32_e32 v42, s13, v25
	v_add_u32_e32 v43, s13, v38
	;; [unrolled: 1-line block ×4, first 2 shown]
	ds_read_b128 v[34:37], v41
	ds_read_b128 v[26:29], v41 offset:16
	ds_read_b128 v[14:17], v41 offset:2048
	;; [unrolled: 1-line block ×3, first 2 shown]
	v_lshl_add_u64 v[2:3], v[20:21], 0, v[2:3]
	v_ashrrev_i32_e32 v20, 5, v42
	v_ashrrev_i32_e32 v21, 5, v43
	;; [unrolled: 1-line block ×4, first 2 shown]
	global_load_dwordx4 v[42:45], v[22:23], off offset:2048
	v_mov_b32_e32 v24, s19
	v_cmp_gt_i32_e32 vcc, s5, v25
	v_lshl_add_u64 v[4:5], v[4:5], 0, v[18:19]
	v_lshl_add_u64 v[2:3], v[2:3], 0, v[58:59]
	v_cndmask_b32_e32 v50, v24, v20, vcc
	v_cmp_gt_i32_e32 vcc, s5, v38
	v_lshl_add_u64 v[18:19], v[4:5], 0, v[58:59]
	v_and_b32_e32 v58, 16, v0
	v_cndmask_b32_e32 v52, v24, v21, vcc
	v_cmp_gt_i32_e32 vcc, s5, v39
	v_ashrrev_i32_e32 v53, 31, v52
	v_lshl_add_u64 v[52:53], v[52:53], 2, s[6:7]
	v_cndmask_b32_e32 v62, v24, v41, vcc
	v_cmp_gt_i32_e32 vcc, s5, v40
	v_ashrrev_i32_e32 v63, 31, v62
	v_lshl_add_u64 v[66:67], v[62:63], 2, s[6:7]
	v_cndmask_b32_e32 v64, v24, v51, vcc
	global_load_dwordx4 v[22:25], v[2:3], off
	s_nop 0
	global_load_dwordx4 v[2:5], v[2:3], off offset:2048
	s_nop 0
	global_load_dwordx4 v[38:41], v[18:19], off
	s_nop 0
	global_load_dwordx4 v[18:21], v[18:19], off offset:2048
	v_ashrrev_i32_e32 v51, 31, v50
	v_ashrrev_i32_e32 v65, 31, v64
	v_lshl_add_u64 v[50:51], v[50:51], 2, s[6:7]
	v_lshl_add_u64 v[68:69], v[64:65], 2, s[6:7]
	global_load_dword v65, v[50:51], off
	global_load_dword v63, v[52:53], off
	;; [unrolled: 1-line block ×4, first 2 shown]
	s_add_u32 s6, s10, s12
	s_addc_u32 s7, s11, 0
	v_lshl_or_b32 v64, v57, 4, v56
	s_load_dword s4, s[0:1], 0x1c
	s_mov_b32 s33, 0xff7fffff
	s_waitcnt vmcnt(11)
	v_cvt_pk_f32_fp8_e32 v[50:51], v10
	v_cvt_pk_f32_fp8_sdwa v[52:53], v10 src0_sel:WORD_1
	v_cvt_pk_f32_fp8_e32 v[66:67], v11
	v_cvt_pk_f32_fp8_sdwa v[10:11], v11 src0_sel:WORD_1
	v_cvt_pkrtz_f16_f32 v50, v50, v51
	v_cvt_pkrtz_f16_f32 v51, v52, v53
	v_cvt_pk_f32_fp8_e32 v[68:69], v12
	v_cvt_pk_f32_fp8_sdwa v[70:71], v12 src0_sel:WORD_1
	v_cvt_pkrtz_f16_f32 v66, v66, v67
	v_cvt_pkrtz_f16_f32 v67, v10, v11
	s_waitcnt lgkmcnt(0)
	v_mfma_f32_16x16x16_f16 v[50:53], v[50:51], v[34:35], 0
	v_cvt_pk_f32_fp8_e32 v[10:11], v13
	v_cvt_pkrtz_f16_f32 v68, v68, v69
	v_cvt_pkrtz_f16_f32 v69, v70, v71
	v_cvt_pk_f32_fp8_sdwa v[12:13], v13 src0_sel:WORD_1
	v_mfma_f32_16x16x16_f16 v[50:53], v[66:67], v[36:37], v[50:53]
	v_cvt_pkrtz_f16_f32 v66, v10, v11
	s_waitcnt vmcnt(10)
	v_cvt_pk_f32_fp8_e32 v[70:71], v30
	v_cvt_pk_f32_fp8_sdwa v[72:73], v30 src0_sel:WORD_1
	v_cvt_pkrtz_f16_f32 v67, v12, v13
	v_mfma_f32_16x16x16_f16 v[10:13], v[68:69], v[26:27], v[50:53]
	s_waitcnt vmcnt(8)
	v_cvt_pk_f32_fp8_sdwa v[68:69], v42 src0_sel:WORD_1
	s_nop 0
	v_cvt_pkrtz_f16_f32 v50, v70, v71
	v_cvt_pkrtz_f16_f32 v51, v72, v73
	v_cvt_pk_f32_fp8_e32 v[52:53], v31
	v_cvt_pk_f32_fp8_sdwa v[30:31], v31 src0_sel:WORD_1
	v_mfma_f32_16x16x16_f16 v[10:13], v[66:67], v[28:29], v[10:13]
	v_cvt_pk_f32_fp8_sdwa v[66:67], v46 src0_sel:WORD_1
	v_cvt_pkrtz_f16_f32 v52, v52, v53
	v_cvt_pkrtz_f16_f32 v53, v30, v31
	v_mfma_f32_16x16x16_f16 v[10:13], v[50:51], v[14:15], v[10:13]
	v_cvt_pk_f32_fp8_e32 v[30:31], v32
	v_cvt_pk_f32_fp8_sdwa v[50:51], v32 src0_sel:WORD_1
	v_cvt_pkrtz_f16_f32 v30, v30, v31
	v_mfma_f32_16x16x16_f16 v[10:13], v[52:53], v[16:17], v[10:13]
	v_cvt_pk_f32_fp8_e32 v[52:53], v33
	v_cvt_pkrtz_f16_f32 v31, v50, v51
	v_cvt_pk_f32_fp8_sdwa v[32:33], v33 src0_sel:WORD_1
	s_waitcnt vmcnt(6)
	v_cvt_pk_f32_fp8_e32 v[72:73], v3
	v_cvt_pkrtz_f16_f32 v50, v52, v53
	v_cvt_pk_f32_fp8_e32 v[52:53], v46
	v_cvt_pkrtz_f16_f32 v51, v32, v33
	v_mfma_f32_16x16x16_f16 v[10:13], v[30:31], v[6:7], v[10:13]
	v_cvt_pkrtz_f16_f32 v31, v66, v67
	v_cvt_pkrtz_f16_f32 v30, v52, v53
	v_cvt_pk_f32_fp8_e32 v[32:33], v47
	v_cvt_pk_f32_fp8_sdwa v[46:47], v47 src0_sel:WORD_1
	v_mfma_f32_16x16x16_f16 v[50:53], v[50:51], v[8:9], v[10:13]
	v_cvt_pk_f32_fp8_sdwa v[66:67], v48 src0_sel:WORD_1
	v_cvt_pkrtz_f16_f32 v32, v32, v33
	v_cvt_pkrtz_f16_f32 v33, v46, v47
	v_mfma_f32_16x16x16_f16 v[10:13], v[30:31], v[34:35], 0
	v_cvt_pk_f32_fp8_e32 v[30:31], v48
	v_lshl_add_u64 v[46:47], s[6:7], 0, v[58:59]
	v_lshlrev_b32_e32 v58, 5, v64
	v_mfma_f32_16x16x16_f16 v[10:13], v[32:33], v[36:37], v[10:13]
	v_cvt_pk_f32_fp8_e32 v[32:33], v49
	v_cvt_pkrtz_f16_f32 v30, v30, v31
	v_cvt_pkrtz_f16_f32 v31, v66, v67
	v_cvt_pk_f32_fp8_sdwa v[48:49], v49 src0_sel:WORD_1
	v_cvt_pkrtz_f16_f32 v32, v32, v33
	v_cvt_pk_f32_fp8_e32 v[66:67], v42
	v_mfma_f32_16x16x16_f16 v[10:13], v[30:31], v[26:27], v[10:13]
	v_cvt_pkrtz_f16_f32 v33, v48, v49
	v_cvt_pkrtz_f16_f32 v30, v66, v67
	;; [unrolled: 1-line block ×3, first 2 shown]
	v_cvt_pk_f32_fp8_e32 v[48:49], v43
	v_cvt_pk_f32_fp8_sdwa v[42:43], v43 src0_sel:WORD_1
	v_mfma_f32_16x16x16_f16 v[10:13], v[32:33], v[28:29], v[10:13]
	v_lshl_add_u64 v[66:67], v[46:47], 0, v[58:59]
	v_cvt_pkrtz_f16_f32 v32, v48, v49
	v_cvt_pkrtz_f16_f32 v33, v42, v43
	v_mfma_f32_16x16x16_f16 v[10:13], v[30:31], v[14:15], v[10:13]
	v_cvt_pk_f32_fp8_e32 v[30:31], v44
	v_cvt_pk_f32_fp8_sdwa v[42:43], v44 src0_sel:WORD_1
	v_cvt_pk_f32_fp8_sdwa v[48:49], v22 src0_sel:WORD_1
	v_mfma_f32_16x16x16_f16 v[10:13], v[32:33], v[16:17], v[10:13]
	v_cvt_pkrtz_f16_f32 v30, v30, v31
	v_cvt_pkrtz_f16_f32 v31, v42, v43
	v_cvt_pk_f32_fp8_e32 v[32:33], v45
	v_cvt_pk_f32_fp8_sdwa v[42:43], v45 src0_sel:WORD_1
	v_cvt_pk_f32_fp8_e32 v[44:45], v22
	v_mfma_f32_16x16x16_f16 v[10:13], v[30:31], v[6:7], v[10:13]
	v_cvt_pkrtz_f16_f32 v32, v32, v33
	v_cvt_pkrtz_f16_f32 v33, v42, v43
	;; [unrolled: 1-line block ×4, first 2 shown]
	v_cvt_pk_f32_fp8_e32 v[48:49], v23
	v_cvt_pk_f32_fp8_sdwa v[22:23], v23 src0_sel:WORD_1
	v_mfma_f32_16x16x16_f16 v[42:45], v[32:33], v[8:9], v[10:13]
	s_waitcnt vmcnt(2)
	v_mad_i64_i32 v[68:69], s[6:7], v63, s45, v[66:67]
	v_cvt_pkrtz_f16_f32 v32, v48, v49
	v_cvt_pkrtz_f16_f32 v33, v22, v23
	v_mfma_f32_16x16x16_f16 v[10:13], v[30:31], v[34:35], 0
	v_cvt_pk_f32_fp8_e32 v[22:23], v24
	v_cvt_pk_f32_fp8_sdwa v[30:31], v24 src0_sel:WORD_1
	v_mad_i64_i32 v[48:49], s[6:7], v65, s45, v[66:67]
	v_cvt_pkrtz_f16_f32 v22, v22, v23
	v_cvt_pkrtz_f16_f32 v23, v30, v31
	v_cvt_pk_f32_fp8_e32 v[30:31], v25
	v_cvt_pk_f32_fp8_sdwa v[24:25], v25 src0_sel:WORD_1
	v_mfma_f32_16x16x16_f16 v[10:13], v[32:33], v[36:37], v[10:13]
	s_waitcnt vmcnt(0)
	v_mad_i64_i32 v[74:75], s[6:7], v62, s45, v[66:67]
	v_cvt_pkrtz_f16_f32 v70, v30, v31
	v_cvt_pkrtz_f16_f32 v71, v24, v25
	v_mfma_f32_16x16x16_f16 v[10:13], v[22:23], v[26:27], v[10:13]
	global_load_dwordx4 v[30:33], v[48:49], off
	global_load_dwordx4 v[22:25], v[68:69], off
	v_cvt_pk_f32_fp8_e32 v[68:69], v2
	v_mad_i64_i32 v[48:49], s[6:7], v55, s45, v[66:67]
	v_mfma_f32_16x16x16_f16 v[10:13], v[70:71], v[28:29], v[10:13]
	v_cvt_pk_f32_fp8_sdwa v[70:71], v2 src0_sel:WORD_1
	v_cvt_pk_f32_fp8_sdwa v[2:3], v3 src0_sel:WORD_1
	v_cvt_pkrtz_f16_f32 v68, v68, v69
	v_cvt_pk_f32_fp8_sdwa v[78:79], v5 src0_sel:WORD_1
	v_cvt_pkrtz_f16_f32 v69, v70, v71
	v_cvt_pkrtz_f16_f32 v70, v72, v73
	v_cvt_pkrtz_f16_f32 v71, v2, v3
	v_cvt_pk_f32_fp8_e32 v[2:3], v4
	v_cvt_pk_f32_fp8_sdwa v[72:73], v4 src0_sel:WORD_1
	v_mfma_f32_16x16x16_f16 v[66:69], v[68:69], v[14:15], v[10:13]
	v_or_b32_e32 v58, 0x800, v58
	v_cvt_pkrtz_f16_f32 v76, v2, v3
	v_cvt_pkrtz_f16_f32 v77, v72, v73
	v_cvt_pk_f32_fp8_e32 v[72:73], v5
	v_mfma_f32_16x16x16_f16 v[66:69], v[70:71], v[16:17], v[66:69]
	global_load_dwordx4 v[10:13], v[48:49], off
	global_load_dwordx4 v[2:5], v[74:75], off
	v_cvt_pkrtz_f16_f32 v49, v78, v79
	v_cvt_pkrtz_f16_f32 v48, v72, v73
	v_lshl_add_u64 v[46:47], v[46:47], 0, v[58:59]
	v_mfma_f32_16x16x16_f16 v[66:69], v[76:77], v[6:7], v[66:69]
	v_cvt_pk_f32_fp8_e32 v[58:59], v38
	v_cvt_pk_f32_fp8_sdwa v[70:71], v38 src0_sel:WORD_1
	v_cvt_pk_f32_fp8_e32 v[74:75], v40
	v_mfma_f32_16x16x16_f16 v[66:69], v[48:49], v[8:9], v[66:69]
	v_cvt_pk_f32_fp8_e32 v[48:49], v39
	v_cvt_pkrtz_f16_f32 v58, v58, v59
	v_cvt_pkrtz_f16_f32 v59, v70, v71
	v_cvt_pk_f32_fp8_sdwa v[38:39], v39 src0_sel:WORD_1
	v_cvt_pkrtz_f16_f32 v48, v48, v49
	v_cvt_pk_f32_fp8_sdwa v[76:77], v40 src0_sel:WORD_1
	v_mfma_f32_16x16x16_f16 v[70:73], v[58:59], v[34:35], 0
	v_cvt_pkrtz_f16_f32 v49, v38, v39
	v_cvt_pkrtz_f16_f32 v38, v74, v75
	;; [unrolled: 1-line block ×3, first 2 shown]
	v_cvt_pk_f32_fp8_e32 v[58:59], v41
	v_cvt_pk_f32_fp8_sdwa v[40:41], v41 src0_sel:WORD_1
	v_mfma_f32_16x16x16_f16 v[34:37], v[48:49], v[36:37], v[70:73]
	s_load_dword s6, s[40:41], 0x0
	v_cvt_pkrtz_f16_f32 v48, v58, v59
	v_cvt_pkrtz_f16_f32 v49, v40, v41
	v_mfma_f32_16x16x16_f16 v[70:73], v[38:39], v[26:27], v[34:37]
	v_mov_b32_e32 v74, s4
	s_waitcnt lgkmcnt(0)
	v_mul_f32_e32 v40, s6, v74
	v_pk_mul_f32 v[38:39], v[40:41], v[52:53] op_sel_hi:[0,1]
	v_mfma_f32_16x16x16_f16 v[26:29], v[48:49], v[28:29], v[70:73]
	v_cvt_pk_f32_fp8_e32 v[34:35], v18
	v_cvt_pk_f32_fp8_sdwa v[48:49], v18 src0_sel:WORD_1
	v_pk_mul_f32 v[36:37], v[40:41], v[50:51] op_sel_hi:[0,1]
	v_cvt_pk_f32_fp8_e32 v[50:51], v19
	v_cvt_pk_f32_fp8_sdwa v[18:19], v19 src0_sel:WORD_1
	v_cvt_pkrtz_f16_f32 v34, v34, v35
	v_cvt_pkrtz_f16_f32 v35, v48, v49
	v_cvt_pkrtz_f16_f32 v48, v50, v51
	v_cvt_pkrtz_f16_f32 v49, v18, v19
	v_cvt_pk_f32_fp8_e32 v[18:19], v20
	v_cvt_pk_f32_fp8_sdwa v[50:51], v20 src0_sel:WORD_1
	v_mfma_f32_16x16x16_f16 v[26:29], v[34:35], v[14:15], v[26:29]
	v_cvt_pk_f32_fp8_e32 v[34:35], v21
	v_cvt_pkrtz_f16_f32 v18, v18, v19
	v_cvt_pkrtz_f16_f32 v19, v50, v51
	v_cvt_pk_f32_fp8_sdwa v[20:21], v21 src0_sel:WORD_1
	v_mfma_f32_16x16x16_f16 v[14:17], v[48:49], v[16:17], v[26:29]
	v_pk_mul_f32 v[48:49], v[40:41], v[44:45] op_sel_hi:[0,1]
	v_pk_mul_f32 v[50:51], v[40:41], v[42:43] op_sel_hi:[0,1]
	;; [unrolled: 1-line block ×3, first 2 shown]
	v_cvt_pkrtz_f16_f32 v26, v34, v35
	v_cvt_pkrtz_f16_f32 v27, v20, v21
	v_mfma_f32_16x16x16_f16 v[14:17], v[18:19], v[6:7], v[14:17]
	v_pk_mul_f32 v[42:43], v[40:41], v[66:67] op_sel_hi:[0,1]
	v_mad_i64_i32 v[52:53], s[6:7], v65, s45, v[46:47]
	v_mfma_f32_16x16x16_f16 v[6:9], v[26:27], v[8:9], v[14:17]
	s_nop 6
	v_pk_mul_f32 v[34:35], v[40:41], v[8:9] op_sel_hi:[0,1]
	v_pk_mul_f32 v[40:41], v[40:41], v[6:7] op_sel_hi:[0,1]
	v_and_b32_e32 v6, 0xc0, v0
	v_add_u32_e32 v6, s18, v6
	v_lshl_or_b32 v6, v60, 2, v6
	v_or_b32_e32 v9, 1, v6
	v_mov_b32_e32 v7, 0xff7fffff
	v_cmp_gt_i32_e64 s[24:25], s5, v6
	v_cmp_gt_i32_e64 s[26:27], s5, v9
	v_or_b32_e32 v14, 3, v6
	v_cndmask_b32_e64 v8, v7, v36, s[24:25]
	v_cndmask_b32_e64 v9, v7, v37, s[26:27]
	v_max3_f32 v8, v8, s33, v9
	v_or_b32_e32 v9, 2, v6
	v_cmp_gt_i32_e64 s[28:29], s5, v9
	v_cmp_gt_i32_e64 s[30:31], s5, v14
	s_nop 0
	v_cndmask_b32_e64 v9, v7, v38, s[28:29]
	v_cndmask_b32_e64 v14, v7, v39, s[30:31]
	v_max3_f32 v8, v8, v9, v14
	v_or_b32_e32 v9, 16, v6
	v_or_b32_e32 v14, 17, v6
	v_cmp_gt_i32_e64 s[34:35], s5, v9
	v_cmp_gt_i32_e64 s[36:37], s5, v14
	s_nop 0
	v_cndmask_b32_e64 v9, v7, v50, s[34:35]
	v_cndmask_b32_e64 v14, v7, v51, s[36:37]
	v_max3_f32 v8, v8, v9, v14
	v_or_b32_e32 v9, 18, v6
	;; [unrolled: 8-line block ×6, first 2 shown]
	v_or_b32_e32 v6, 51, v6
	v_cmp_gt_i32_e32 vcc, s5, v9
	v_cmp_gt_i32_e64 s[4:5], s5, v6
	s_nop 0
	v_cndmask_b32_e32 v9, v7, v34, vcc
	v_cndmask_b32_e64 v6, v7, v35, s[4:5]
	v_max3_f32 v8, v8, v9, v6
	v_mbcnt_lo_u32_b32 v6, -1, 0
	v_mbcnt_hi_u32_b32 v9, -1, v6
	v_and_b32_e32 v6, 64, v9
	v_add_u32_e32 v14, 64, v6
	v_xor_b32_e32 v6, 32, v9
	v_cmp_lt_i32_e64 s[38:39], v6, v14
	s_nop 1
	v_cndmask_b32_e64 v6, v9, v6, s[38:39]
	v_lshlrev_b32_e32 v58, 2, v6
	ds_bpermute_b32 v15, v58, v8
	v_mad_i64_i32 v[6:7], s[38:39], v63, s45, v[46:47]
	global_load_dwordx4 v[26:29], v[52:53], off
	global_load_dwordx4 v[18:21], v[6:7], off
	s_waitcnt lgkmcnt(0)
	v_max_f32_e32 v6, v15, v15
	v_max_f32_e32 v15, v8, v6
	v_xor_b32_e32 v6, 16, v9
	v_cmp_lt_i32_e64 s[38:39], v6, v14
	s_nop 1
	v_cndmask_b32_e64 v6, v9, v6, s[38:39]
	v_lshlrev_b32_e32 v53, 2, v6
	ds_bpermute_b32 v14, v53, v15
	v_mad_i64_i32 v[6:7], s[38:39], v55, s45, v[46:47]
	v_mad_i64_i32 v[8:9], s[38:39], v62, s45, v[46:47]
	s_waitcnt lgkmcnt(0)
	v_max_f32_e32 v14, v14, v14
	v_max_f32_e32 v52, v15, v14
	v_sub_f32_e32 v14, v36, v52
	v_mul_f32_e32 v14, 0x3fb8aa3b, v14
	v_exp_f32_e32 v36, v14
	v_sub_f32_e32 v14, v37, v52
	v_mul_f32_e32 v14, 0x3fb8aa3b, v14
	v_exp_f32_e32 v37, v14
	global_load_dwordx4 v[14:17], v[6:7], off
	s_nop 0
	global_load_dwordx4 v[6:9], v[8:9], off
	v_sub_f32_e32 v38, v38, v52
	v_mul_f32_e32 v38, 0x3fb8aa3b, v38
	v_sub_f32_e32 v39, v39, v52
	v_exp_f32_e32 v38, v38
	v_mul_f32_e32 v39, 0x3fb8aa3b, v39
	v_exp_f32_e32 v39, v39
	v_cndmask_b32_e64 v36, 0, v36, s[24:25]
	v_add_f32_e32 v46, 0, v36
	v_cndmask_b32_e64 v37, 0, v37, s[26:27]
	v_add_f32_e32 v47, v46, v37
	;; [unrolled: 2-line block ×3, first 2 shown]
	v_cndmask_b32_e64 v47, 0, v39, s[30:31]
	v_sub_f32_e32 v39, v50, v52
	v_mul_f32_e32 v39, 0x3fb8aa3b, v39
	v_sub_f32_e32 v50, v51, v52
	v_exp_f32_e32 v39, v39
	v_mul_f32_e32 v50, 0x3fb8aa3b, v50
	v_sub_f32_e32 v48, v48, v52
	v_exp_f32_e32 v50, v50
	;; [unrolled: 3-line block ×4, first 2 shown]
	v_mul_f32_e32 v42, 0x3fb8aa3b, v42
	v_sub_f32_e32 v43, v43, v52
	v_add_f32_e32 v51, v38, v47
	v_cndmask_b32_e64 v38, 0, v39, s[34:35]
	v_exp_f32_e32 v42, v42
	v_mul_f32_e32 v43, 0x3fb8aa3b, v43
	v_sub_f32_e32 v44, v44, v52
	v_add_f32_e32 v51, v51, v38
	v_cndmask_b32_e64 v39, 0, v50, s[36:37]
	v_exp_f32_e32 v43, v43
	;; [unrolled: 5-line block ×7, first 2 shown]
	v_mul_f32_e32 v35, 0x3fb8aa3b, v35
	v_add_f32_e32 v50, v50, v44
	v_cndmask_b32_e64 v45, 0, v45, s[12:13]
	v_exp_f32_e32 v35, v35
	v_add_f32_e32 v50, v50, v45
	v_cndmask_b32_e64 v40, 0, v40, s[6:7]
	v_add_f32_e32 v50, v50, v40
	v_cndmask_b32_e64 v41, 0, v41, s[8:9]
	v_add_f32_e32 v50, v50, v41
	v_cndmask_b32_e32 v34, 0, v34, vcc
	v_add_f32_e32 v50, v50, v34
	v_cndmask_b32_e64 v35, 0, v35, s[4:5]
	v_add_f32_e32 v50, v50, v35
	ds_bpermute_b32 v51, v58, v50
	v_cmp_gt_u32_e64 s[4:5], 16, v61
	s_waitcnt lgkmcnt(0)
	s_barrier
	v_add_f32_e32 v50, v50, v51
	ds_bpermute_b32 v51, v53, v50
	s_and_saveexec_b64 s[6:7], s[4:5]
	s_cbranch_execz .LBB1032_13
; %bb.12:
	s_waitcnt lgkmcnt(0)
	v_add_f32_e32 v50, v50, v51
	v_lshlrev_b32_e32 v51, 2, v64
	ds_write2st64_b32 v51, v52, v50 offset1:1
.LBB1032_13:
	s_or_b64 exec, exec, s[6:7]
	s_waitcnt lgkmcnt(0)
	v_lshlrev_b32_e32 v51, 2, v56
	s_load_dword s8, s[0:1], 0x94
	s_waitcnt lgkmcnt(0)
	s_barrier
	ds_read2_b32 v[52:53], v51 offset1:16
	ds_read2_b32 v[58:59], v51 offset0:32 offset1:48
	ds_read2_b32 v[62:63], v51 offset0:64 offset1:80
	s_mul_i32 s9, s23, 5
	s_waitcnt lgkmcnt(2)
	v_max3_f32 v50, v52, s33, v53
	s_waitcnt lgkmcnt(1)
	v_max3_f32 v50, v50, v58, v59
	v_sub_f32_e32 v52, v52, v50
	v_mul_f32_e32 v52, 0x3fb8aa3b, v52
	v_exp_f32_e32 v55, v52
	v_sub_f32_e32 v52, v53, v50
	v_mul_f32_e32 v52, 0x3fb8aa3b, v52
	v_exp_f32_e32 v61, v52
	;; [unrolled: 3-line block ×3, first 2 shown]
	ds_read2_b32 v[52:53], v51 offset0:96 offset1:112
	v_sub_f32_e32 v51, v59, v50
	v_mul_f32_e32 v51, 0x3fb8aa3b, v51
	v_exp_f32_e32 v59, v51
	s_waitcnt lgkmcnt(1)
	v_fma_f32 v51, v55, v62, 0
	v_fmac_f32_e32 v51, v61, v63
	s_waitcnt lgkmcnt(0)
	v_fmac_f32_e32 v51, v58, v52
	v_fmac_f32_e32 v51, v59, v53
	v_add_f32_e32 v52, 0x358637bd, v51
	v_div_scale_f32 v53, s[6:7], v52, v52, 1.0
	v_rcp_f32_e32 v62, v53
	s_barrier
	v_fma_f32 v63, -v53, v62, 1.0
	v_fmac_f32_e32 v62, v63, v62
	v_div_scale_f32 v63, vcc, 1.0, v52, 1.0
	v_mul_f32_e32 v64, v63, v62
	v_fma_f32 v65, -v53, v64, v63
	v_fmac_f32_e32 v64, v65, v62
	v_fma_f32 v53, -v53, v64, v63
	v_div_fmas_f32 v53, v53, v62, v64
	v_cmp_eq_u32_e32 vcc, 1, v57
	v_div_fixup_f32 v52, v53, v52, 1.0
	s_nop 0
	v_cndmask_b32_e32 v53, v55, v61, vcc
	v_cmp_eq_u32_e32 vcc, 2, v57
	s_nop 1
	v_cndmask_b32_e32 v53, v53, v58, vcc
	v_cmp_eq_u32_e32 vcc, 3, v57
	s_nop 1
	v_cndmask_b32_e32 v53, v53, v59, vcc
	v_mul_f32_e32 v52, v53, v52
	v_pk_mul_f32 v[46:47], v[52:53], v[46:47] op_sel_hi:[0,1]
	v_pk_mul_f32 v[36:37], v[52:53], v[36:37] op_sel_hi:[0,1]
	v_cvt_f16_f32_e32 v53, v46
	v_cvt_f16_f32_e32 v36, v36
	;; [unrolled: 1-line block ×4, first 2 shown]
	v_pk_mul_f32 v[48:49], v[52:53], v[48:49] op_sel_hi:[0,1]
	v_pk_mul_f32 v[38:39], v[52:53], v[38:39] op_sel_hi:[0,1]
	v_cvt_f16_f32_e32 v38, v38
	v_cvt_f16_f32_e32 v39, v39
	;; [unrolled: 1-line block ×4, first 2 shown]
	v_pack_b32_f16 v46, v36, v37
	v_pack_b32_f16 v47, v53, v47
	v_lshlrev_b32_e32 v37, 3, v60
	v_lshlrev_b32_e32 v36, 5, v56
	;; [unrolled: 1-line block ×3, first 2 shown]
	v_or3_b32 v55, v53, v36, v37
	v_pack_b32_f16 v38, v38, v39
	v_pack_b32_f16 v39, v48, v49
	ds_write2st64_b64 v55, v[46:47], v[38:39] offset1:1
	v_pk_mul_f32 v[38:39], v[52:53], v[44:45] op_sel_hi:[0,1]
	v_pk_mul_f32 v[42:43], v[52:53], v[42:43] op_sel_hi:[0,1]
	v_cvt_f16_f32_e32 v37, v42
	v_cvt_f16_f32_e32 v42, v43
	;; [unrolled: 1-line block ×4, first 2 shown]
	v_pk_mul_f32 v[34:35], v[52:53], v[34:35] op_sel_hi:[0,1]
	v_pk_mul_f32 v[38:39], v[52:53], v[40:41] op_sel_hi:[0,1]
	v_cvt_f16_f32_e32 v38, v38
	v_cvt_f16_f32_e32 v39, v39
	;; [unrolled: 1-line block ×4, first 2 shown]
	v_pack_b32_f16 v34, v37, v42
	v_pack_b32_f16 v35, v43, v44
	;; [unrolled: 1-line block ×4, first 2 shown]
	v_cmp_gt_u32_e32 vcc, 5, v0
	ds_write2st64_b64 v55, v[34:35], v[38:39] offset0:2 offset1:3
	s_and_saveexec_b64 s[6:7], vcc
	s_cbranch_execz .LBB1032_15
; %bb.14:
	s_mov_b32 s49, 0
	v_mov_b32_e32 v57, 0
	v_lshl_add_u64 v[34:35], s[48:49], 0, v[56:57]
	v_mov_b32_e32 v37, s9
	v_mad_u64_u32 v[34:35], s[10:11], s2, v37, v[34:35]
	s_mul_i32 s3, s3, s9
	v_mov_b32_e32 v38, s22
	v_mov_b32_e32 v39, v57
	s_load_dwordx4 s[12:15], s[0:1], 0x58
	v_add_u32_e32 v37, s3, v35
	v_mad_u64_u32 v[34:35], s[10:11], v34, s8, v[38:39]
	v_mov_b32_e32 v38, v35
	v_mad_u64_u32 v[38:39], s[10:11], v37, s8, v[38:39]
	v_mov_b32_e32 v35, v38
	v_lshlrev_b64 v[34:35], 2, v[34:35]
	s_waitcnt lgkmcnt(0)
	v_lshl_add_u64 v[38:39], s[14:15], 0, v[34:35]
	v_lshl_add_u64 v[34:35], s[12:13], 0, v[34:35]
	global_store_dword v[38:39], v50, off
	global_store_dword v[34:35], v51, off
.LBB1032_15:
	s_or_b64 exec, exec, s[6:7]
	s_waitcnt vmcnt(7)
	v_cvt_pk_f32_fp8_e32 v[34:35], v30
	v_lshl_or_b32 v50, v60, 9, v36
	v_cvt_pk_f32_fp8_sdwa v[36:37], v30 src0_sel:WORD_1
	s_waitcnt lgkmcnt(0)
	s_barrier
	v_cvt_pk_f32_fp8_e32 v[38:39], v31
	v_cvt_pkrtz_f16_f32 v30, v34, v35
	v_cvt_pk_f32_fp8_sdwa v[40:41], v31 src0_sel:WORD_1
	v_cvt_pkrtz_f16_f32 v31, v36, v37
	ds_read_b128 v[34:37], v50
	v_cvt_pkrtz_f16_f32 v46, v38, v39
	v_cvt_pkrtz_f16_f32 v47, v40, v41
	ds_read_b128 v[38:41], v50 offset:16
	v_cvt_pk_f32_fp8_e32 v[48:49], v32
	v_cvt_pk_f32_fp8_sdwa v[52:53], v32 src0_sel:WORD_1
	s_waitcnt lgkmcnt(1)
	v_mfma_f32_16x16x16_f16 v[42:45], v[30:31], v[34:35], 0
	s_waitcnt vmcnt(6)
	v_cvt_pk_f32_fp8_e32 v[58:59], v24
	v_cvt_pkrtz_f16_f32 v30, v48, v49
	v_cvt_pkrtz_f16_f32 v31, v52, v53
	v_cvt_pk_f32_fp8_e32 v[48:49], v33
	v_mfma_f32_16x16x16_f16 v[42:45], v[46:47], v[36:37], v[42:45]
	v_cvt_pk_f32_fp8_sdwa v[46:47], v33 src0_sel:WORD_1
	v_cvt_pk_f32_fp8_sdwa v[62:63], v24 src0_sel:WORD_1
	v_cvt_pkrtz_f16_f32 v48, v48, v49
	s_waitcnt lgkmcnt(0)
	v_mfma_f32_16x16x16_f16 v[30:33], v[30:31], v[38:39], v[42:45]
	v_cvt_pkrtz_f16_f32 v49, v46, v47
	s_waitcnt vmcnt(5)
	v_cvt_pk_f32_fp8_sdwa v[66:67], v12 src0_sel:WORD_1
	s_waitcnt vmcnt(4)
	v_cvt_pk_f32_fp8_sdwa v[68:69], v4 src0_sel:WORD_1
	v_cvt_pk_f32_fp8_e32 v[42:43], v22
	v_mfma_f32_16x16x16_f16 v[46:49], v[48:49], v[40:41], v[30:33]
	s_waitcnt vmcnt(3)
	v_cvt_pk_f32_fp8_sdwa v[70:71], v28 src0_sel:WORD_1
	s_load_dword s6, s[42:43], 0x0
	v_cvt_pk_f32_fp8_sdwa v[30:31], v22 src0_sel:WORD_1
	v_cvt_pk_f32_fp8_e32 v[32:33], v23
	v_cvt_pkrtz_f16_f32 v22, v42, v43
	v_cvt_pk_f32_fp8_sdwa v[42:43], v23 src0_sel:WORD_1
	v_cvt_pkrtz_f16_f32 v23, v30, v31
	v_cvt_pkrtz_f16_f32 v52, v32, v33
	ds_read_b128 v[30:33], v50 offset:2048
	v_cvt_pkrtz_f16_f32 v53, v42, v43
	ds_read_b128 v[42:45], v50 offset:2064
	s_waitcnt lgkmcnt(0)
	v_mfma_f32_16x16x16_f16 v[46:49], v[22:23], v[30:31], v[46:49]
	v_cvt_pkrtz_f16_f32 v22, v58, v59
	v_cvt_pkrtz_f16_f32 v23, v62, v63
	v_cvt_pk_f32_fp8_e32 v[58:59], v25
	v_mfma_f32_16x16x16_f16 v[46:49], v[52:53], v[32:33], v[46:49]
	v_cvt_pk_f32_fp8_sdwa v[52:53], v25 src0_sel:WORD_1
	s_mov_b32 s3, 0
	v_cvt_pkrtz_f16_f32 v58, v58, v59
	v_mfma_f32_16x16x16_f16 v[22:25], v[22:23], v[42:43], v[46:49]
	v_cvt_pkrtz_f16_f32 v59, v52, v53
	v_cmp_gt_u32_e32 vcc, 64, v0
	s_nop 0
	v_cvt_pk_f32_fp8_e32 v[46:47], v10
	v_mfma_f32_16x16x16_f16 v[62:65], v[58:59], v[44:45], v[22:25]
	v_cvt_pk_f32_fp8_e32 v[58:59], v12
	s_nop 1
	v_cvt_pk_f32_fp8_sdwa v[22:23], v10 src0_sel:WORD_1
	v_cvt_pk_f32_fp8_e32 v[24:25], v11
	v_cvt_pkrtz_f16_f32 v10, v46, v47
	v_cvt_pk_f32_fp8_sdwa v[46:47], v11 src0_sel:WORD_1
	v_cvt_pkrtz_f16_f32 v11, v22, v23
	v_cvt_pkrtz_f16_f32 v52, v24, v25
	ds_read_b128 v[22:25], v50 offset:4096
	v_cvt_pkrtz_f16_f32 v53, v46, v47
	ds_read_b128 v[46:49], v50 offset:4112
	s_waitcnt lgkmcnt(1)
	v_mfma_f32_16x16x16_f16 v[62:65], v[10:11], v[22:23], v[62:65]
	v_cvt_pkrtz_f16_f32 v10, v58, v59
	v_cvt_pkrtz_f16_f32 v11, v66, v67
	v_cvt_pk_f32_fp8_e32 v[58:59], v13
	v_mfma_f32_16x16x16_f16 v[62:65], v[52:53], v[24:25], v[62:65]
	v_cvt_pk_f32_fp8_sdwa v[52:53], v13 src0_sel:WORD_1
	v_cvt_pk_f32_fp8_e32 v[66:67], v4
	v_cvt_pkrtz_f16_f32 v58, v58, v59
	s_waitcnt lgkmcnt(0)
	v_mfma_f32_16x16x16_f16 v[10:13], v[10:11], v[46:47], v[62:65]
	v_cvt_pkrtz_f16_f32 v59, v52, v53
	v_cvt_pk_f32_fp8_e32 v[52:53], v2
	s_nop 0
	v_mfma_f32_16x16x16_f16 v[62:65], v[58:59], v[48:49], v[10:13]
	s_nop 2
	v_cvt_pk_f32_fp8_sdwa v[10:11], v2 src0_sel:WORD_1
	v_cvt_pk_f32_fp8_e32 v[12:13], v3
	v_cvt_pkrtz_f16_f32 v2, v52, v53
	v_cvt_pk_f32_fp8_sdwa v[52:53], v3 src0_sel:WORD_1
	v_cvt_pkrtz_f16_f32 v3, v10, v11
	v_cvt_pkrtz_f16_f32 v58, v12, v13
	ds_read_b128 v[10:13], v50 offset:6144
	v_cvt_pkrtz_f16_f32 v59, v52, v53
	s_waitcnt lgkmcnt(0)
	v_mfma_f32_16x16x16_f16 v[62:65], v[2:3], v[10:11], v[62:65]
	ds_read_b128 v[50:53], v50 offset:6160
	v_cvt_pkrtz_f16_f32 v2, v66, v67
	v_cvt_pkrtz_f16_f32 v3, v68, v69
	v_cvt_pk_f32_fp8_e32 v[66:67], v5
	v_mfma_f32_16x16x16_f16 v[62:65], v[58:59], v[12:13], v[62:65]
	v_cvt_pk_f32_fp8_sdwa v[58:59], v5 src0_sel:WORD_1
	v_cvt_pk_f32_fp8_e32 v[68:69], v28
	v_cvt_pkrtz_f16_f32 v66, v66, v67
	s_waitcnt lgkmcnt(0)
	v_mfma_f32_16x16x16_f16 v[2:5], v[2:3], v[50:51], v[62:65]
	v_cvt_pkrtz_f16_f32 v67, v58, v59
	v_cvt_pk_f32_fp8_e32 v[58:59], v26
	s_nop 0
	v_cvt_pk_f32_fp8_sdwa v[62:63], v26 src0_sel:WORD_1
	v_cvt_pk_f32_fp8_e32 v[64:65], v27
	v_cvt_pkrtz_f16_f32 v58, v58, v59
	v_cvt_pk_f32_fp8_sdwa v[26:27], v27 src0_sel:WORD_1
	v_cvt_pkrtz_f16_f32 v59, v62, v63
	v_mfma_f32_16x16x16_f16 v[2:5], v[66:67], v[52:53], v[2:5]
	v_cvt_pkrtz_f16_f32 v66, v64, v65
	v_cvt_pkrtz_f16_f32 v67, v26, v27
	v_cvt_pkrtz_f16_f32 v26, v68, v69
	v_mfma_f32_16x16x16_f16 v[62:65], v[58:59], v[34:35], 0
	v_cvt_pkrtz_f16_f32 v27, v70, v71
	v_cvt_pk_f32_fp8_e32 v[58:59], v29
	s_barrier
	v_mfma_f32_16x16x16_f16 v[34:37], v[66:67], v[36:37], v[62:65]
	v_cvt_pkrtz_f16_f32 v58, v58, v59
	s_nop 1
	v_cvt_pk_f32_fp8_sdwa v[62:63], v29 src0_sel:WORD_1
	v_mfma_f32_16x16x16_f16 v[26:29], v[26:27], v[38:39], v[34:37]
	s_waitcnt vmcnt(2)
	v_cvt_pk_f32_fp8_e32 v[38:39], v19
	v_cvt_pkrtz_f16_f32 v59, v62, v63
	v_cvt_pk_f32_fp8_e32 v[34:35], v18
	v_cvt_pk_f32_fp8_sdwa v[36:37], v18 src0_sel:WORD_1
	v_cvt_pk_f32_fp8_sdwa v[18:19], v19 src0_sel:WORD_1
	v_mfma_f32_16x16x16_f16 v[26:29], v[58:59], v[40:41], v[26:29]
	v_cvt_pkrtz_f16_f32 v34, v34, v35
	v_cvt_pkrtz_f16_f32 v35, v36, v37
	;; [unrolled: 1-line block ×3, first 2 shown]
	v_cvt_pk_f32_fp8_e32 v[38:39], v20
	v_cvt_pk_f32_fp8_sdwa v[40:41], v20 src0_sel:WORD_1
	v_cvt_pkrtz_f16_f32 v37, v18, v19
	v_mfma_f32_16x16x16_f16 v[26:29], v[34:35], v[30:31], v[26:29]
	v_cvt_pkrtz_f16_f32 v30, v38, v39
	v_cvt_pkrtz_f16_f32 v31, v40, v41
	v_cvt_pk_f32_fp8_e32 v[34:35], v21
	v_cvt_pk_f32_fp8_sdwa v[38:39], v21 src0_sel:WORD_1
	v_mfma_f32_16x16x16_f16 v[18:21], v[36:37], v[32:33], v[26:29]
	s_waitcnt vmcnt(1)
	v_cvt_pk_f32_fp8_sdwa v[32:33], v16 src0_sel:WORD_1
	s_nop 0
	v_cvt_pkrtz_f16_f32 v26, v34, v35
	v_cvt_pkrtz_f16_f32 v27, v38, v39
	v_mfma_f32_16x16x16_f16 v[18:21], v[30:31], v[42:43], v[18:21]
	v_cvt_pk_f32_fp8_e32 v[28:29], v14
	v_cvt_pk_f32_fp8_sdwa v[30:31], v14 src0_sel:WORD_1
	v_cvt_pkrtz_f16_f32 v28, v28, v29
	v_mfma_f32_16x16x16_f16 v[18:21], v[26:27], v[44:45], v[18:21]
	v_cvt_pk_f32_fp8_e32 v[26:27], v15
	v_cvt_pkrtz_f16_f32 v29, v30, v31
	v_cvt_pk_f32_fp8_sdwa v[14:15], v15 src0_sel:WORD_1
	v_cvt_pk_f32_fp8_e32 v[30:31], v16
	v_cvt_pkrtz_f16_f32 v26, v26, v27
	v_mfma_f32_16x16x16_f16 v[18:21], v[28:29], v[22:23], v[18:21]
	v_cvt_pkrtz_f16_f32 v27, v14, v15
	v_cvt_pkrtz_f16_f32 v22, v30, v31
	;; [unrolled: 1-line block ×3, first 2 shown]
	v_cvt_pk_f32_fp8_e32 v[28:29], v17
	v_cvt_pk_f32_fp8_sdwa v[30:31], v17 src0_sel:WORD_1
	v_mfma_f32_16x16x16_f16 v[14:17], v[26:27], v[24:25], v[18:21]
	s_waitcnt vmcnt(0)
	v_cvt_pk_f32_fp8_sdwa v[24:25], v6 src0_sel:WORD_1
	s_nop 0
	v_pk_mul_f32 v[18:19], v[4:5], s[6:7] op_sel_hi:[1,0]
	v_cvt_pkrtz_f16_f32 v4, v28, v29
	v_cvt_pkrtz_f16_f32 v5, v30, v31
	v_mfma_f32_16x16x16_f16 v[14:17], v[22:23], v[46:47], v[14:17]
	v_cvt_pk_f32_fp8_e32 v[22:23], v6
	v_pk_mul_f32 v[20:21], v[2:3], s[6:7] op_sel_hi:[1,0]
	v_mfma_f32_16x16x16_f16 v[2:5], v[4:5], v[48:49], v[14:17]
	s_nop 3
	v_cvt_pk_f32_fp8_e32 v[14:15], v7
	v_cvt_pkrtz_f16_f32 v16, v22, v23
	v_cvt_pkrtz_f16_f32 v17, v24, v25
	v_cvt_pk_f32_fp8_sdwa v[6:7], v7 src0_sel:WORD_1
	v_cvt_pkrtz_f16_f32 v14, v14, v15
	v_cvt_pk_f32_fp8_e32 v[22:23], v8
	v_cvt_pk_f32_fp8_sdwa v[24:25], v8 src0_sel:WORD_1
	v_cvt_pkrtz_f16_f32 v15, v6, v7
	v_mfma_f32_16x16x16_f16 v[2:5], v[16:17], v[10:11], v[2:5]
	v_cvt_pkrtz_f16_f32 v6, v22, v23
	v_cvt_pkrtz_f16_f32 v7, v24, v25
	v_cvt_pk_f32_fp8_e32 v[10:11], v9
	v_cvt_pk_f32_fp8_sdwa v[8:9], v9 src0_sel:WORD_1
	v_mfma_f32_16x16x16_f16 v[2:5], v[14:15], v[12:13], v[2:5]
	v_cvt_f16_f32_e32 v12, v20
	v_cvt_pkrtz_f16_f32 v10, v10, v11
	v_cvt_pkrtz_f16_f32 v11, v8, v9
	v_mfma_f32_16x16x16_f16 v[2:5], v[6:7], v[50:51], v[2:5]
	v_cvt_f16_f32_e32 v6, v21
	v_cvt_f16_f32_e32 v7, v18
	;; [unrolled: 1-line block ×3, first 2 shown]
	v_mfma_f32_16x16x16_f16 v[2:5], v[10:11], v[52:53], v[2:5]
	s_nop 6
	v_pk_mul_f32 v[4:5], v[4:5], s[6:7] op_sel_hi:[1,0]
	v_pk_mul_f32 v[2:3], v[2:3], s[6:7] op_sel_hi:[1,0]
	v_cvt_f16_f32_e32 v11, v4
	v_cvt_f16_f32_e32 v9, v2
	;; [unrolled: 1-line block ×4, first 2 shown]
	v_pack_b32_f16 v2, v12, v6
	v_pack_b32_f16 v3, v7, v8
	;; [unrolled: 1-line block ×4, first 2 shown]
	ds_write2st64_b64 v55, v[2:3], v[4:5] offset1:1
	s_waitcnt lgkmcnt(0)
	s_barrier
	s_and_saveexec_b64 s[6:7], vcc
	s_cbranch_execz .LBB1032_18
; %bb.16:
	s_load_dwordx2 s[6:7], s[0:1], 0x68
	s_lshl_b32 s0, s8, 7
	s_mul_i32 s1, s9, s2
	v_lshlrev_b32_e32 v3, 6, v56
	s_mul_hi_u32 s9, s1, s0
	s_mul_i32 s8, s1, s0
	v_lshl_or_b32 v0, v0, 10, v3
	s_lshl_b64 s[8:9], s[8:9], 1
	v_lshlrev_b32_e32 v2, 5, v60
	v_and_b32_e32 v1, 16, v1
	v_and_b32_e32 v0, 0x1a00, v0
	s_waitcnt lgkmcnt(0)
	s_add_u32 s1, s6, s8
	v_or3_b32 v2, v0, v2, v1
	s_addc_u32 s6, s7, s9
	s_lshl_b32 s2, s22, 7
	s_lshl_b64 s[2:3], s[2:3], 1
	ds_read_b128 v[4:7], v2
	s_add_u32 s2, s1, s2
	s_addc_u32 s3, s6, s3
	v_mov_b32_e32 v55, 0
	v_add_u32_e32 v3, s48, v60
	v_lshl_add_u64 v[0:1], s[2:3], 0, v[54:55]
	v_mad_u64_u32 v[8:9], s[2:3], v3, s0, 0
	v_lshl_add_u64 v[8:9], v[8:9], 1, v[0:1]
	s_waitcnt lgkmcnt(0)
	global_store_dwordx4 v[8:9], v[4:7], off
	s_and_b64 exec, exec, s[4:5]
	s_cbranch_execz .LBB1032_18
; %bb.17:
	ds_read_b128 v[2:5], v2 offset:128
	v_add3_u32 v6, s48, v60, 4
	v_mad_u64_u32 v[6:7], s[0:1], v6, s0, 0
	v_lshl_add_u64 v[0:1], v[6:7], 1, v[0:1]
	s_waitcnt lgkmcnt(0)
	global_store_dwordx4 v[0:1], v[2:5], off
.LBB1032_18:
	s_endpgm
	.section	.rodata,"a",@progbits
	.p2align	6, 0x0
	.amdhsa_kernel _Z39paged_attention_ll4mi_QKV_mfma16_kernelIDF16_hLN4vllm18Fp8KVCacheDataTypeE1EhLi32ELi128ELi256ELb0ELi5EEvPKT_PKT0_S7_ifPKiS9_S9_iPKfiiiPfSC_PS2_PT2_iSB_SB_
		.amdhsa_group_segment_fixed_size 8192
		.amdhsa_private_segment_fixed_size 0
		.amdhsa_kernarg_size 400
		.amdhsa_user_sgpr_count 2
		.amdhsa_user_sgpr_dispatch_ptr 0
		.amdhsa_user_sgpr_queue_ptr 0
		.amdhsa_user_sgpr_kernarg_segment_ptr 1
		.amdhsa_user_sgpr_dispatch_id 0
		.amdhsa_user_sgpr_kernarg_preload_length 0
		.amdhsa_user_sgpr_kernarg_preload_offset 0
		.amdhsa_user_sgpr_private_segment_size 0
		.amdhsa_uses_dynamic_stack 0
		.amdhsa_enable_private_segment 0
		.amdhsa_system_sgpr_workgroup_id_x 1
		.amdhsa_system_sgpr_workgroup_id_y 1
		.amdhsa_system_sgpr_workgroup_id_z 1
		.amdhsa_system_sgpr_workgroup_info 0
		.amdhsa_system_vgpr_workitem_id 0
		.amdhsa_next_free_vgpr 80
		.amdhsa_next_free_sgpr 50
		.amdhsa_accum_offset 80
		.amdhsa_reserve_vcc 1
		.amdhsa_float_round_mode_32 0
		.amdhsa_float_round_mode_16_64 0
		.amdhsa_float_denorm_mode_32 3
		.amdhsa_float_denorm_mode_16_64 3
		.amdhsa_dx10_clamp 1
		.amdhsa_ieee_mode 1
		.amdhsa_fp16_overflow 0
		.amdhsa_tg_split 0
		.amdhsa_exception_fp_ieee_invalid_op 0
		.amdhsa_exception_fp_denorm_src 0
		.amdhsa_exception_fp_ieee_div_zero 0
		.amdhsa_exception_fp_ieee_overflow 0
		.amdhsa_exception_fp_ieee_underflow 0
		.amdhsa_exception_fp_ieee_inexact 0
		.amdhsa_exception_int_div_zero 0
	.end_amdhsa_kernel
	.section	.text._Z39paged_attention_ll4mi_QKV_mfma16_kernelIDF16_hLN4vllm18Fp8KVCacheDataTypeE1EhLi32ELi128ELi256ELb0ELi5EEvPKT_PKT0_S7_ifPKiS9_S9_iPKfiiiPfSC_PS2_PT2_iSB_SB_,"axG",@progbits,_Z39paged_attention_ll4mi_QKV_mfma16_kernelIDF16_hLN4vllm18Fp8KVCacheDataTypeE1EhLi32ELi128ELi256ELb0ELi5EEvPKT_PKT0_S7_ifPKiS9_S9_iPKfiiiPfSC_PS2_PT2_iSB_SB_,comdat
.Lfunc_end1032:
	.size	_Z39paged_attention_ll4mi_QKV_mfma16_kernelIDF16_hLN4vllm18Fp8KVCacheDataTypeE1EhLi32ELi128ELi256ELb0ELi5EEvPKT_PKT0_S7_ifPKiS9_S9_iPKfiiiPfSC_PS2_PT2_iSB_SB_, .Lfunc_end1032-_Z39paged_attention_ll4mi_QKV_mfma16_kernelIDF16_hLN4vllm18Fp8KVCacheDataTypeE1EhLi32ELi128ELi256ELb0ELi5EEvPKT_PKT0_S7_ifPKiS9_S9_iPKfiiiPfSC_PS2_PT2_iSB_SB_
                                        ; -- End function
	.section	.AMDGPU.csdata,"",@progbits
; Kernel info:
; codeLenInByte = 6072
; NumSgprs: 56
; NumVgprs: 80
; NumAgprs: 0
; TotalNumVgprs: 80
; ScratchSize: 0
; MemoryBound: 0
; FloatMode: 240
; IeeeMode: 1
; LDSByteSize: 8192 bytes/workgroup (compile time only)
; SGPRBlocks: 6
; VGPRBlocks: 9
; NumSGPRsForWavesPerEU: 56
; NumVGPRsForWavesPerEU: 80
; AccumOffset: 80
; Occupancy: 6
; WaveLimiterHint : 1
; COMPUTE_PGM_RSRC2:SCRATCH_EN: 0
; COMPUTE_PGM_RSRC2:USER_SGPR: 2
; COMPUTE_PGM_RSRC2:TRAP_HANDLER: 0
; COMPUTE_PGM_RSRC2:TGID_X_EN: 1
; COMPUTE_PGM_RSRC2:TGID_Y_EN: 1
; COMPUTE_PGM_RSRC2:TGID_Z_EN: 1
; COMPUTE_PGM_RSRC2:TIDIG_COMP_CNT: 0
; COMPUTE_PGM_RSRC3_GFX90A:ACCUM_OFFSET: 19
; COMPUTE_PGM_RSRC3_GFX90A:TG_SPLIT: 0
	.section	.text._Z39paged_attention_ll4mi_QKV_mfma16_kernelIDF16_hLN4vllm18Fp8KVCacheDataTypeE1EhLi32ELi128ELi256ELb0ELi6EEvPKT_PKT0_S7_ifPKiS9_S9_iPKfiiiPfSC_PS2_PT2_iSB_SB_,"axG",@progbits,_Z39paged_attention_ll4mi_QKV_mfma16_kernelIDF16_hLN4vllm18Fp8KVCacheDataTypeE1EhLi32ELi128ELi256ELb0ELi6EEvPKT_PKT0_S7_ifPKiS9_S9_iPKfiiiPfSC_PS2_PT2_iSB_SB_,comdat
	.protected	_Z39paged_attention_ll4mi_QKV_mfma16_kernelIDF16_hLN4vllm18Fp8KVCacheDataTypeE1EhLi32ELi128ELi256ELb0ELi6EEvPKT_PKT0_S7_ifPKiS9_S9_iPKfiiiPfSC_PS2_PT2_iSB_SB_ ; -- Begin function _Z39paged_attention_ll4mi_QKV_mfma16_kernelIDF16_hLN4vllm18Fp8KVCacheDataTypeE1EhLi32ELi128ELi256ELb0ELi6EEvPKT_PKT0_S7_ifPKiS9_S9_iPKfiiiPfSC_PS2_PT2_iSB_SB_
	.globl	_Z39paged_attention_ll4mi_QKV_mfma16_kernelIDF16_hLN4vllm18Fp8KVCacheDataTypeE1EhLi32ELi128ELi256ELb0ELi6EEvPKT_PKT0_S7_ifPKiS9_S9_iPKfiiiPfSC_PS2_PT2_iSB_SB_
	.p2align	8
	.type	_Z39paged_attention_ll4mi_QKV_mfma16_kernelIDF16_hLN4vllm18Fp8KVCacheDataTypeE1EhLi32ELi128ELi256ELb0ELi6EEvPKT_PKT0_S7_ifPKiS9_S9_iPKfiiiPfSC_PS2_PT2_iSB_SB_,@function
_Z39paged_attention_ll4mi_QKV_mfma16_kernelIDF16_hLN4vllm18Fp8KVCacheDataTypeE1EhLi32ELi128ELi256ELb0ELi6EEvPKT_PKT0_S7_ifPKiS9_S9_iPKfiiiPfSC_PS2_PT2_iSB_SB_: ; @_Z39paged_attention_ll4mi_QKV_mfma16_kernelIDF16_hLN4vllm18Fp8KVCacheDataTypeE1EhLi32ELi128ELi256ELb0ELi6EEvPKT_PKT0_S7_ifPKiS9_S9_iPKfiiiPfSC_PS2_PT2_iSB_SB_
; %bb.0:
	s_load_dwordx2 s[12:13], s[0:1], 0x30
	s_mov_b32 s22, s3
	s_mov_b64 s[6:7], 0
	s_waitcnt lgkmcnt(0)
	s_cmp_lg_u64 s[12:13], 0
	s_cselect_b64 s[14:15], -1, 0
	s_and_b64 vcc, exec, s[14:15]
	s_cbranch_vccz .LBB1033_7
; %bb.1:
	s_add_i32 s8, s2, 1
	s_mov_b32 s9, 0
	s_lshl_b64 s[10:11], s[8:9], 2
	s_add_u32 s10, s12, s10
	s_mov_b32 s3, s9
	s_addc_u32 s11, s13, s11
	s_lshl_b64 s[8:9], s[2:3], 2
	s_add_u32 s8, s12, s8
	s_addc_u32 s9, s13, s9
	s_load_dword s5, s[10:11], 0x0
	s_load_dword s16, s[8:9], 0x0
	s_waitcnt lgkmcnt(0)
	s_sub_i32 s5, s5, s16
	s_cmp_eq_u32 s5, 1
	s_cselect_b64 s[8:9], -1, 0
	s_andn2_b64 vcc, exec, s[6:7]
	s_cbranch_vccnz .LBB1033_3
.LBB1033_2:
	s_mov_b32 s3, 0
	s_mov_b64 s[8:9], -1
.LBB1033_3:
	s_andn2_b64 vcc, exec, s[8:9]
	s_cbranch_vccnz .LBB1033_18
; %bb.4:
	s_load_dwordx2 s[6:7], s[0:1], 0x28
	s_lshl_b64 s[16:17], s[2:3], 2
	s_waitcnt lgkmcnt(0)
	s_add_u32 s6, s6, s16
	s_addc_u32 s7, s7, s17
	s_load_dword s5, s[6:7], 0x0
	s_lshl_b32 s18, s22, 8
	s_waitcnt lgkmcnt(0)
	s_cmp_ge_i32 s18, s5
	s_cbranch_scc1 .LBB1033_18
; %bb.5:
	s_load_dwordx2 s[6:7], s[0:1], 0x20
	s_load_dword s8, s[0:1], 0x38
	s_add_i32 s9, s5, 31
	s_ashr_i32 s10, s9, 31
	v_and_b32_e32 v1, 0xcf, v0
	s_lshr_b32 s10, s10, 27
	v_add_u32_e32 v1, s18, v1
	s_add_i32 s9, s9, s10
	v_ashrrev_i32_e32 v2, 31, v1
	s_ashr_i32 s19, s9, 5
	v_lshrrev_b32_e32 v6, 27, v2
	s_add_i32 s19, s19, -1
	s_waitcnt lgkmcnt(0)
	s_mul_i32 s8, s2, s8
	s_mov_b32 s9, 0
	v_add_u32_e32 v2, v1, v6
	s_lshl_b64 s[8:9], s[8:9], 2
	v_ashrrev_i32_e32 v2, 5, v2
	v_mov_b32_e32 v7, s19
	v_cmp_gt_i32_e32 vcc, s5, v1
	s_add_u32 s6, s6, s8
	s_addc_u32 s7, s7, s9
	v_cndmask_b32_e32 v2, v7, v2, vcc
	v_ashrrev_i32_e32 v3, 31, v2
	v_lshl_add_u64 v[4:5], v[2:3], 2, s[6:7]
	v_or_b32_e32 v2, 16, v1
	v_add_u32_e32 v3, v2, v6
	v_ashrrev_i32_e32 v3, 5, v3
	v_cmp_gt_i32_e32 vcc, s5, v2
	s_load_dwordx4 s[8:11], s[0:1], 0x8
	s_nop 0
	v_cndmask_b32_e32 v2, v7, v3, vcc
	v_ashrrev_i32_e32 v3, 31, v2
	v_lshl_add_u64 v[10:11], v[2:3], 2, s[6:7]
	v_or_b32_e32 v2, 32, v1
	v_add_u32_e32 v3, v2, v6
	v_ashrrev_i32_e32 v3, 5, v3
	v_cmp_gt_i32_e32 vcc, s5, v2
	v_or_b32_e32 v1, 48, v1
	s_nop 0
	v_cndmask_b32_e32 v2, v7, v3, vcc
	v_ashrrev_i32_e32 v3, 31, v2
	v_lshl_add_u64 v[12:13], v[2:3], 2, s[6:7]
	v_add_u32_e32 v2, v1, v6
	v_ashrrev_i32_e32 v2, 5, v2
	v_cmp_gt_i32_e32 vcc, s5, v1
	s_nop 1
	v_cndmask_b32_e32 v2, v7, v2, vcc
	v_ashrrev_i32_e32 v3, 31, v2
	v_lshl_add_u64 v[14:15], v[2:3], 2, s[6:7]
	global_load_dword v2, v[4:5], off
	global_load_dword v8, v[10:11], off
	;; [unrolled: 1-line block ×4, first 2 shown]
	s_andn2_b64 vcc, exec, s[14:15]
	s_cbranch_vccnz .LBB1033_8
; %bb.6:
	s_add_u32 s12, s12, s16
	s_addc_u32 s13, s13, s17
	s_load_dword s14, s[12:13], 0x0
	s_branch .LBB1033_9
.LBB1033_7:
	s_mov_b64 s[8:9], 0
	s_branch .LBB1033_2
.LBB1033_8:
	s_mov_b32 s14, s2
.LBB1033_9:
	s_load_dwordx4 s[44:47], s[0:1], 0x48
	v_lshrrev_b32_e32 v57, 6, v0
	v_bfe_u32 v60, v0, 4, 2
	v_and_b32_e32 v56, 15, v0
	v_lshl_or_b32 v3, v57, 2, v60
	v_lshlrev_b32_e32 v1, 3, v56
	v_and_b32_e32 v61, 63, v0
	s_mul_i32 s48, s4, 6
	v_cmp_gt_u32_e32 vcc, 6, v3
	v_lshlrev_b32_e32 v54, 1, v1
	v_lshlrev_b32_e32 v1, 4, v0
	s_and_saveexec_b64 s[12:13], vcc
	s_cbranch_execz .LBB1033_11
; %bb.10:
	s_load_dwordx2 s[16:17], s[0:1], 0x0
	s_waitcnt lgkmcnt(0)
	s_ashr_i32 s15, s44, 31
	s_mul_hi_u32 s20, s14, s44
	s_mul_i32 s15, s14, s15
	s_add_i32 s15, s20, s15
	s_mul_i32 s14, s14, s44
	s_lshl_b64 s[14:15], s[14:15], 1
	s_add_u32 s14, s16, s14
	v_add_lshl_u32 v4, v3, s48, 7
	s_addc_u32 s15, s17, s15
	v_ashrrev_i32_e32 v5, 31, v4
	v_lshl_add_u64 v[4:5], v[4:5], 1, s[14:15]
	v_mov_b32_e32 v55, 0
	v_lshl_add_u64 v[4:5], v[4:5], 0, v[54:55]
	global_load_dwordx4 v[10:13], v[4:5], off
	v_lshlrev_b32_e32 v5, 8, v0
	v_lshlrev_b32_e32 v4, 8, v56
	v_and_b32_e32 v5, 0x600, v5
	s_movk_i32 s14, 0x800
	v_and_or_b32 v4, v4, s14, v5
	v_lshlrev_b32_e32 v3, 5, v3
	v_and_b32_e32 v5, 16, v1
	v_or3_b32 v3, v4, v3, v5
	s_waitcnt vmcnt(0)
	ds_write_b128 v3, v[10:13]
.LBB1033_11:
	s_or_b64 exec, exec, s[12:13]
	s_waitcnt lgkmcnt(0)
	s_mul_i32 s12, s4, s46
	s_add_u32 s8, s8, s12
	s_addc_u32 s9, s9, 0
	v_mov_b32_e32 v59, 0
	v_mov_b64_e32 v[4:5], s[8:9]
	v_and_b32_e32 v9, 48, v0
	s_waitcnt vmcnt(3)
	v_mad_i64_i32 v[10:11], s[8:9], v2, s45, v[4:5]
	v_lshlrev_b32_e32 v2, 4, v56
	v_mov_b32_e32 v3, v59
	v_lshlrev_b32_e32 v58, 5, v9
	v_lshl_add_u64 v[10:11], v[10:11], 0, v[2:3]
	v_lshl_add_u64 v[14:15], v[10:11], 0, v[58:59]
	s_load_dword s23, s[0:1], 0x98
	s_load_dwordx4 s[40:43], s[0:1], 0x80
	s_waitcnt lgkmcnt(0)
	s_barrier
	global_load_dwordx4 v[10:13], v[14:15], off
	global_load_dwordx4 v[30:33], v[14:15], off offset:2048
	v_mul_lo_u16_e32 v16, 43, v56
	v_mov_b32_e32 v17, 6
	v_mul_lo_u16_sdwa v14, v16, v17 dst_sel:DWORD dst_unused:UNUSED_PAD src0_sel:BYTE_1 src1_sel:DWORD
	v_mov_b32_e32 v20, 5
	v_or_b32_e32 v25, s18, v9
	v_sub_u16_e32 v9, v56, v14
	s_ashr_i32 s8, s18, 31
	v_lshlrev_b32_sdwa v9, v20, v9 dst_sel:DWORD dst_unused:UNUSED_PAD src0_sel:DWORD src1_sel:BYTE_0
	v_or_b32_e32 v18, 0x100, v2
	v_mov_b32_e32 v19, v59
	s_lshr_b32 s13, s8, 27
	v_lshl_add_u32 v41, v60, 9, v9
	s_waitcnt vmcnt(4)
	v_mad_i64_i32 v[8:9], s[8:9], v8, s45, v[4:5]
	s_waitcnt vmcnt(3)
	v_mad_i64_i32 v[20:21], s[8:9], v6, s45, v[4:5]
	;; [unrolled: 2-line block ×3, first 2 shown]
	v_lshl_add_u64 v[6:7], v[8:9], 0, v[18:19]
	v_lshl_add_u64 v[22:23], v[6:7], 0, v[58:59]
	global_load_dwordx4 v[46:49], v[22:23], off
	v_or_b32_e32 v38, 64, v25
	v_or_b32_e32 v39, 0x80, v25
	;; [unrolled: 1-line block ×3, first 2 shown]
	v_add_u32_e32 v42, s13, v25
	v_add_u32_e32 v43, s13, v38
	;; [unrolled: 1-line block ×4, first 2 shown]
	ds_read_b128 v[34:37], v41
	ds_read_b128 v[26:29], v41 offset:16
	ds_read_b128 v[14:17], v41 offset:2048
	;; [unrolled: 1-line block ×3, first 2 shown]
	v_lshl_add_u64 v[2:3], v[20:21], 0, v[2:3]
	v_ashrrev_i32_e32 v20, 5, v42
	v_ashrrev_i32_e32 v21, 5, v43
	;; [unrolled: 1-line block ×4, first 2 shown]
	global_load_dwordx4 v[42:45], v[22:23], off offset:2048
	v_mov_b32_e32 v24, s19
	v_cmp_gt_i32_e32 vcc, s5, v25
	v_lshl_add_u64 v[4:5], v[4:5], 0, v[18:19]
	v_lshl_add_u64 v[2:3], v[2:3], 0, v[58:59]
	v_cndmask_b32_e32 v50, v24, v20, vcc
	v_cmp_gt_i32_e32 vcc, s5, v38
	v_lshl_add_u64 v[18:19], v[4:5], 0, v[58:59]
	v_and_b32_e32 v58, 16, v0
	v_cndmask_b32_e32 v52, v24, v21, vcc
	v_cmp_gt_i32_e32 vcc, s5, v39
	v_ashrrev_i32_e32 v53, 31, v52
	v_lshl_add_u64 v[52:53], v[52:53], 2, s[6:7]
	v_cndmask_b32_e32 v62, v24, v41, vcc
	v_cmp_gt_i32_e32 vcc, s5, v40
	v_ashrrev_i32_e32 v63, 31, v62
	v_lshl_add_u64 v[62:63], v[62:63], 2, s[6:7]
	v_cndmask_b32_e32 v64, v24, v51, vcc
	global_load_dwordx4 v[22:25], v[2:3], off
	s_nop 0
	global_load_dwordx4 v[2:5], v[2:3], off offset:2048
	s_nop 0
	global_load_dwordx4 v[38:41], v[18:19], off
	s_nop 0
	global_load_dwordx4 v[18:21], v[18:19], off offset:2048
	v_ashrrev_i32_e32 v65, 31, v64
	v_lshl_add_u64 v[66:67], v[64:65], 2, s[6:7]
	v_ashrrev_i32_e32 v51, 31, v50
	v_lshl_add_u64 v[50:51], v[50:51], 2, s[6:7]
	s_add_u32 s6, s10, s12
	s_addc_u32 s7, s11, 0
	v_lshl_or_b32 v55, v57, 4, v56
	s_load_dword s4, s[0:1], 0x1c
	s_mov_b32 s33, 0xff7fffff
	s_waitcnt vmcnt(7)
	v_cvt_pk_f32_fp8_e32 v[64:65], v10
	v_cvt_pk_f32_fp8_sdwa v[68:69], v10 src0_sel:WORD_1
	v_cvt_pk_f32_fp8_e32 v[70:71], v11
	v_cvt_pk_f32_fp8_sdwa v[10:11], v11 src0_sel:WORD_1
	v_cvt_pkrtz_f16_f32 v72, v64, v65
	v_cvt_pkrtz_f16_f32 v73, v68, v69
	global_load_dword v65, v[50:51], off
	global_load_dword v64, v[52:53], off
	s_nop 0
	global_load_dword v62, v[62:63], off
	s_nop 0
	global_load_dword v63, v[66:67], off
	v_cvt_pk_f32_fp8_e32 v[66:67], v12
	v_cvt_pkrtz_f16_f32 v68, v70, v71
	v_cvt_pkrtz_f16_f32 v69, v10, v11
	v_cvt_pk_f32_fp8_sdwa v[10:11], v12 src0_sel:WORD_1
	s_waitcnt lgkmcnt(0)
	v_mfma_f32_16x16x16_f16 v[50:53], v[72:73], v[34:35], 0
	v_cvt_pk_f32_fp8_e32 v[70:71], v13
	v_cvt_pkrtz_f16_f32 v66, v66, v67
	v_cvt_pkrtz_f16_f32 v67, v10, v11
	v_cvt_pk_f32_fp8_sdwa v[10:11], v13 src0_sel:WORD_1
	v_mfma_f32_16x16x16_f16 v[50:53], v[68:69], v[36:37], v[50:53]
	v_cvt_pkrtz_f16_f32 v68, v70, v71
	s_waitcnt vmcnt(10)
	v_cvt_pk_f32_fp8_e32 v[70:71], v30
	v_cvt_pk_f32_fp8_sdwa v[72:73], v30 src0_sel:WORD_1
	v_cvt_pkrtz_f16_f32 v69, v10, v11
	v_mfma_f32_16x16x16_f16 v[10:13], v[66:67], v[26:27], v[50:53]
	s_waitcnt vmcnt(9)
	v_cvt_pk_f32_fp8_sdwa v[66:67], v46 src0_sel:WORD_1
	s_waitcnt vmcnt(6)
	v_cvt_pk_f32_fp8_sdwa v[78:79], v5 src0_sel:WORD_1
	v_cvt_pkrtz_f16_f32 v50, v70, v71
	v_cvt_pkrtz_f16_f32 v51, v72, v73
	v_cvt_pk_f32_fp8_e32 v[52:53], v31
	v_cvt_pk_f32_fp8_sdwa v[30:31], v31 src0_sel:WORD_1
	v_mfma_f32_16x16x16_f16 v[10:13], v[68:69], v[28:29], v[10:13]
	v_cvt_pk_f32_fp8_sdwa v[68:69], v42 src0_sel:WORD_1
	v_cvt_pkrtz_f16_f32 v52, v52, v53
	v_cvt_pkrtz_f16_f32 v53, v30, v31
	v_mfma_f32_16x16x16_f16 v[10:13], v[50:51], v[14:15], v[10:13]
	v_cvt_pk_f32_fp8_e32 v[30:31], v32
	v_cvt_pk_f32_fp8_sdwa v[50:51], v32 src0_sel:WORD_1
	v_cvt_pk_f32_fp8_e32 v[72:73], v3
	v_mfma_f32_16x16x16_f16 v[10:13], v[52:53], v[16:17], v[10:13]
	v_cvt_pk_f32_fp8_e32 v[52:53], v33
	v_cvt_pkrtz_f16_f32 v30, v30, v31
	v_cvt_pkrtz_f16_f32 v31, v50, v51
	v_cvt_pk_f32_fp8_sdwa v[32:33], v33 src0_sel:WORD_1
	v_cvt_pkrtz_f16_f32 v50, v52, v53
	v_cvt_pk_f32_fp8_e32 v[52:53], v46
	v_mfma_f32_16x16x16_f16 v[10:13], v[30:31], v[6:7], v[10:13]
	v_cvt_pkrtz_f16_f32 v51, v32, v33
	v_cvt_pkrtz_f16_f32 v30, v52, v53
	;; [unrolled: 1-line block ×3, first 2 shown]
	v_cvt_pk_f32_fp8_e32 v[32:33], v47
	v_cvt_pk_f32_fp8_sdwa v[46:47], v47 src0_sel:WORD_1
	v_mfma_f32_16x16x16_f16 v[50:53], v[50:51], v[8:9], v[10:13]
	v_cvt_pk_f32_fp8_sdwa v[66:67], v48 src0_sel:WORD_1
	v_cvt_pkrtz_f16_f32 v32, v32, v33
	v_cvt_pkrtz_f16_f32 v33, v46, v47
	v_mfma_f32_16x16x16_f16 v[10:13], v[30:31], v[34:35], 0
	v_cvt_pk_f32_fp8_e32 v[30:31], v48
	v_lshl_add_u64 v[46:47], s[6:7], 0, v[58:59]
	v_lshlrev_b32_e32 v58, 5, v55
	v_mfma_f32_16x16x16_f16 v[10:13], v[32:33], v[36:37], v[10:13]
	v_cvt_pk_f32_fp8_e32 v[32:33], v49
	v_cvt_pkrtz_f16_f32 v30, v30, v31
	v_cvt_pkrtz_f16_f32 v31, v66, v67
	v_cvt_pk_f32_fp8_sdwa v[48:49], v49 src0_sel:WORD_1
	v_cvt_pkrtz_f16_f32 v32, v32, v33
	v_cvt_pk_f32_fp8_e32 v[66:67], v42
	v_mfma_f32_16x16x16_f16 v[10:13], v[30:31], v[26:27], v[10:13]
	v_cvt_pkrtz_f16_f32 v33, v48, v49
	v_cvt_pkrtz_f16_f32 v30, v66, v67
	;; [unrolled: 1-line block ×3, first 2 shown]
	v_cvt_pk_f32_fp8_e32 v[48:49], v43
	v_cvt_pk_f32_fp8_sdwa v[42:43], v43 src0_sel:WORD_1
	v_mfma_f32_16x16x16_f16 v[10:13], v[32:33], v[28:29], v[10:13]
	v_lshl_add_u64 v[66:67], v[46:47], 0, v[58:59]
	v_cvt_pkrtz_f16_f32 v32, v48, v49
	v_cvt_pkrtz_f16_f32 v33, v42, v43
	v_mfma_f32_16x16x16_f16 v[10:13], v[30:31], v[14:15], v[10:13]
	v_cvt_pk_f32_fp8_e32 v[30:31], v44
	v_cvt_pk_f32_fp8_sdwa v[42:43], v44 src0_sel:WORD_1
	v_cvt_pk_f32_fp8_sdwa v[48:49], v22 src0_sel:WORD_1
	v_mfma_f32_16x16x16_f16 v[10:13], v[32:33], v[16:17], v[10:13]
	v_cvt_pkrtz_f16_f32 v30, v30, v31
	v_cvt_pkrtz_f16_f32 v31, v42, v43
	v_cvt_pk_f32_fp8_e32 v[32:33], v45
	v_cvt_pk_f32_fp8_sdwa v[42:43], v45 src0_sel:WORD_1
	v_cvt_pk_f32_fp8_e32 v[44:45], v22
	v_mfma_f32_16x16x16_f16 v[10:13], v[30:31], v[6:7], v[10:13]
	v_cvt_pkrtz_f16_f32 v32, v32, v33
	v_cvt_pkrtz_f16_f32 v33, v42, v43
	;; [unrolled: 1-line block ×4, first 2 shown]
	v_cvt_pk_f32_fp8_e32 v[48:49], v23
	v_cvt_pk_f32_fp8_sdwa v[22:23], v23 src0_sel:WORD_1
	v_mfma_f32_16x16x16_f16 v[42:45], v[32:33], v[8:9], v[10:13]
	s_waitcnt vmcnt(2)
	v_mad_i64_i32 v[68:69], s[6:7], v64, s45, v[66:67]
	v_cvt_pkrtz_f16_f32 v32, v48, v49
	v_cvt_pkrtz_f16_f32 v33, v22, v23
	v_mfma_f32_16x16x16_f16 v[10:13], v[30:31], v[34:35], 0
	v_cvt_pk_f32_fp8_e32 v[22:23], v24
	v_cvt_pk_f32_fp8_sdwa v[30:31], v24 src0_sel:WORD_1
	v_mad_i64_i32 v[48:49], s[6:7], v65, s45, v[66:67]
	v_cvt_pkrtz_f16_f32 v22, v22, v23
	v_cvt_pkrtz_f16_f32 v23, v30, v31
	v_cvt_pk_f32_fp8_e32 v[30:31], v25
	v_cvt_pk_f32_fp8_sdwa v[24:25], v25 src0_sel:WORD_1
	v_mfma_f32_16x16x16_f16 v[10:13], v[32:33], v[36:37], v[10:13]
	s_waitcnt vmcnt(0)
	v_mad_i64_i32 v[74:75], s[6:7], v63, s45, v[66:67]
	v_cvt_pkrtz_f16_f32 v70, v30, v31
	v_cvt_pkrtz_f16_f32 v71, v24, v25
	v_mfma_f32_16x16x16_f16 v[10:13], v[22:23], v[26:27], v[10:13]
	global_load_dwordx4 v[30:33], v[48:49], off
	global_load_dwordx4 v[22:25], v[68:69], off
	v_cvt_pk_f32_fp8_e32 v[68:69], v2
	v_mad_i64_i32 v[48:49], s[6:7], v62, s45, v[66:67]
	v_mfma_f32_16x16x16_f16 v[10:13], v[70:71], v[28:29], v[10:13]
	v_cvt_pk_f32_fp8_sdwa v[70:71], v2 src0_sel:WORD_1
	v_cvt_pk_f32_fp8_sdwa v[2:3], v3 src0_sel:WORD_1
	v_cvt_pkrtz_f16_f32 v68, v68, v69
	v_or_b32_e32 v58, 0x800, v58
	v_cvt_pkrtz_f16_f32 v69, v70, v71
	v_cvt_pkrtz_f16_f32 v70, v72, v73
	;; [unrolled: 1-line block ×3, first 2 shown]
	v_cvt_pk_f32_fp8_e32 v[2:3], v4
	v_cvt_pk_f32_fp8_sdwa v[72:73], v4 src0_sel:WORD_1
	v_mfma_f32_16x16x16_f16 v[66:69], v[68:69], v[14:15], v[10:13]
	v_lshl_add_u64 v[46:47], v[46:47], 0, v[58:59]
	v_cvt_pkrtz_f16_f32 v76, v2, v3
	v_cvt_pkrtz_f16_f32 v77, v72, v73
	v_cvt_pk_f32_fp8_e32 v[72:73], v5
	v_mfma_f32_16x16x16_f16 v[66:69], v[70:71], v[16:17], v[66:69]
	global_load_dwordx4 v[10:13], v[48:49], off
	global_load_dwordx4 v[2:5], v[74:75], off
	v_cvt_pkrtz_f16_f32 v49, v78, v79
	v_cvt_pkrtz_f16_f32 v48, v72, v73
	v_mfma_f32_16x16x16_f16 v[66:69], v[76:77], v[6:7], v[66:69]
	v_cvt_pk_f32_fp8_e32 v[58:59], v38
	v_cvt_pk_f32_fp8_sdwa v[70:71], v38 src0_sel:WORD_1
	v_cvt_pk_f32_fp8_e32 v[74:75], v40
	v_mfma_f32_16x16x16_f16 v[66:69], v[48:49], v[8:9], v[66:69]
	v_cvt_pk_f32_fp8_e32 v[48:49], v39
	v_cvt_pkrtz_f16_f32 v58, v58, v59
	v_cvt_pkrtz_f16_f32 v59, v70, v71
	v_cvt_pk_f32_fp8_sdwa v[38:39], v39 src0_sel:WORD_1
	v_cvt_pkrtz_f16_f32 v48, v48, v49
	v_cvt_pk_f32_fp8_sdwa v[76:77], v40 src0_sel:WORD_1
	v_mfma_f32_16x16x16_f16 v[70:73], v[58:59], v[34:35], 0
	v_cvt_pkrtz_f16_f32 v49, v38, v39
	v_cvt_pkrtz_f16_f32 v38, v74, v75
	;; [unrolled: 1-line block ×3, first 2 shown]
	v_cvt_pk_f32_fp8_e32 v[58:59], v41
	v_cvt_pk_f32_fp8_sdwa v[40:41], v41 src0_sel:WORD_1
	v_mfma_f32_16x16x16_f16 v[34:37], v[48:49], v[36:37], v[70:73]
	s_load_dword s6, s[40:41], 0x0
	v_cvt_pkrtz_f16_f32 v48, v58, v59
	v_cvt_pkrtz_f16_f32 v49, v40, v41
	v_mfma_f32_16x16x16_f16 v[70:73], v[38:39], v[26:27], v[34:37]
	v_mov_b32_e32 v74, s4
	s_waitcnt lgkmcnt(0)
	v_mul_f32_e32 v40, s6, v74
	v_pk_mul_f32 v[38:39], v[40:41], v[52:53] op_sel_hi:[0,1]
	v_mfma_f32_16x16x16_f16 v[26:29], v[48:49], v[28:29], v[70:73]
	v_cvt_pk_f32_fp8_e32 v[34:35], v18
	v_cvt_pk_f32_fp8_sdwa v[48:49], v18 src0_sel:WORD_1
	v_pk_mul_f32 v[36:37], v[40:41], v[50:51] op_sel_hi:[0,1]
	v_cvt_pk_f32_fp8_e32 v[50:51], v19
	v_cvt_pk_f32_fp8_sdwa v[18:19], v19 src0_sel:WORD_1
	v_cvt_pkrtz_f16_f32 v34, v34, v35
	v_cvt_pkrtz_f16_f32 v35, v48, v49
	;; [unrolled: 1-line block ×4, first 2 shown]
	v_cvt_pk_f32_fp8_e32 v[18:19], v20
	v_cvt_pk_f32_fp8_sdwa v[50:51], v20 src0_sel:WORD_1
	v_mfma_f32_16x16x16_f16 v[26:29], v[34:35], v[14:15], v[26:29]
	v_cvt_pk_f32_fp8_e32 v[34:35], v21
	v_cvt_pkrtz_f16_f32 v18, v18, v19
	v_cvt_pkrtz_f16_f32 v19, v50, v51
	v_cvt_pk_f32_fp8_sdwa v[20:21], v21 src0_sel:WORD_1
	v_mfma_f32_16x16x16_f16 v[14:17], v[48:49], v[16:17], v[26:29]
	v_pk_mul_f32 v[48:49], v[40:41], v[44:45] op_sel_hi:[0,1]
	v_pk_mul_f32 v[50:51], v[40:41], v[42:43] op_sel_hi:[0,1]
	;; [unrolled: 1-line block ×3, first 2 shown]
	v_cvt_pkrtz_f16_f32 v26, v34, v35
	v_cvt_pkrtz_f16_f32 v27, v20, v21
	v_mfma_f32_16x16x16_f16 v[14:17], v[18:19], v[6:7], v[14:17]
	v_pk_mul_f32 v[42:43], v[40:41], v[66:67] op_sel_hi:[0,1]
	v_mad_i64_i32 v[52:53], s[6:7], v65, s45, v[46:47]
	v_mfma_f32_16x16x16_f16 v[6:9], v[26:27], v[8:9], v[14:17]
	s_nop 6
	v_pk_mul_f32 v[34:35], v[40:41], v[8:9] op_sel_hi:[0,1]
	v_pk_mul_f32 v[40:41], v[40:41], v[6:7] op_sel_hi:[0,1]
	v_and_b32_e32 v6, 0xc0, v0
	v_add_u32_e32 v6, s18, v6
	v_lshl_or_b32 v6, v60, 2, v6
	v_or_b32_e32 v9, 1, v6
	v_mov_b32_e32 v7, 0xff7fffff
	v_cmp_gt_i32_e64 s[24:25], s5, v6
	v_cmp_gt_i32_e64 s[26:27], s5, v9
	v_or_b32_e32 v14, 3, v6
	v_cndmask_b32_e64 v8, v7, v36, s[24:25]
	v_cndmask_b32_e64 v9, v7, v37, s[26:27]
	v_max3_f32 v8, v8, s33, v9
	v_or_b32_e32 v9, 2, v6
	v_cmp_gt_i32_e64 s[28:29], s5, v9
	v_cmp_gt_i32_e64 s[30:31], s5, v14
	s_nop 0
	v_cndmask_b32_e64 v9, v7, v38, s[28:29]
	v_cndmask_b32_e64 v14, v7, v39, s[30:31]
	v_max3_f32 v8, v8, v9, v14
	v_or_b32_e32 v9, 16, v6
	v_or_b32_e32 v14, 17, v6
	v_cmp_gt_i32_e64 s[34:35], s5, v9
	v_cmp_gt_i32_e64 s[36:37], s5, v14
	s_nop 0
	v_cndmask_b32_e64 v9, v7, v50, s[34:35]
	v_cndmask_b32_e64 v14, v7, v51, s[36:37]
	v_max3_f32 v8, v8, v9, v14
	v_or_b32_e32 v9, 18, v6
	;; [unrolled: 8-line block ×6, first 2 shown]
	v_or_b32_e32 v6, 51, v6
	v_cmp_gt_i32_e32 vcc, s5, v9
	v_cmp_gt_i32_e64 s[4:5], s5, v6
	s_nop 0
	v_cndmask_b32_e32 v9, v7, v34, vcc
	v_cndmask_b32_e64 v6, v7, v35, s[4:5]
	v_max3_f32 v8, v8, v9, v6
	v_mbcnt_lo_u32_b32 v6, -1, 0
	v_mbcnt_hi_u32_b32 v9, -1, v6
	v_and_b32_e32 v6, 64, v9
	v_add_u32_e32 v14, 64, v6
	v_xor_b32_e32 v6, 32, v9
	v_cmp_lt_i32_e64 s[38:39], v6, v14
	s_nop 1
	v_cndmask_b32_e64 v6, v9, v6, s[38:39]
	v_lshlrev_b32_e32 v58, 2, v6
	ds_bpermute_b32 v15, v58, v8
	v_mad_i64_i32 v[6:7], s[38:39], v64, s45, v[46:47]
	global_load_dwordx4 v[26:29], v[52:53], off
	global_load_dwordx4 v[18:21], v[6:7], off
	s_waitcnt lgkmcnt(0)
	v_max_f32_e32 v6, v15, v15
	v_max_f32_e32 v15, v8, v6
	v_xor_b32_e32 v6, 16, v9
	v_cmp_lt_i32_e64 s[38:39], v6, v14
	s_nop 1
	v_cndmask_b32_e64 v6, v9, v6, s[38:39]
	v_lshlrev_b32_e32 v53, 2, v6
	ds_bpermute_b32 v14, v53, v15
	v_mad_i64_i32 v[6:7], s[38:39], v62, s45, v[46:47]
	v_mad_i64_i32 v[8:9], s[38:39], v63, s45, v[46:47]
	s_waitcnt lgkmcnt(0)
	v_max_f32_e32 v14, v14, v14
	v_max_f32_e32 v52, v15, v14
	v_sub_f32_e32 v14, v36, v52
	v_mul_f32_e32 v14, 0x3fb8aa3b, v14
	v_exp_f32_e32 v36, v14
	v_sub_f32_e32 v14, v37, v52
	v_mul_f32_e32 v14, 0x3fb8aa3b, v14
	v_exp_f32_e32 v37, v14
	global_load_dwordx4 v[14:17], v[6:7], off
	s_nop 0
	global_load_dwordx4 v[6:9], v[8:9], off
	v_sub_f32_e32 v38, v38, v52
	v_mul_f32_e32 v38, 0x3fb8aa3b, v38
	v_sub_f32_e32 v39, v39, v52
	v_exp_f32_e32 v38, v38
	v_mul_f32_e32 v39, 0x3fb8aa3b, v39
	v_exp_f32_e32 v39, v39
	v_cndmask_b32_e64 v36, 0, v36, s[24:25]
	v_add_f32_e32 v46, 0, v36
	v_cndmask_b32_e64 v37, 0, v37, s[26:27]
	v_add_f32_e32 v47, v46, v37
	;; [unrolled: 2-line block ×3, first 2 shown]
	v_cndmask_b32_e64 v47, 0, v39, s[30:31]
	v_sub_f32_e32 v39, v50, v52
	v_mul_f32_e32 v39, 0x3fb8aa3b, v39
	v_sub_f32_e32 v50, v51, v52
	v_exp_f32_e32 v39, v39
	v_mul_f32_e32 v50, 0x3fb8aa3b, v50
	v_sub_f32_e32 v48, v48, v52
	v_exp_f32_e32 v50, v50
	;; [unrolled: 3-line block ×4, first 2 shown]
	v_mul_f32_e32 v42, 0x3fb8aa3b, v42
	v_sub_f32_e32 v43, v43, v52
	v_add_f32_e32 v51, v38, v47
	v_cndmask_b32_e64 v38, 0, v39, s[34:35]
	v_exp_f32_e32 v42, v42
	v_mul_f32_e32 v43, 0x3fb8aa3b, v43
	v_sub_f32_e32 v44, v44, v52
	v_add_f32_e32 v51, v51, v38
	v_cndmask_b32_e64 v39, 0, v50, s[36:37]
	v_exp_f32_e32 v43, v43
	;; [unrolled: 5-line block ×7, first 2 shown]
	v_mul_f32_e32 v35, 0x3fb8aa3b, v35
	v_add_f32_e32 v50, v50, v44
	v_cndmask_b32_e64 v45, 0, v45, s[12:13]
	v_exp_f32_e32 v35, v35
	v_add_f32_e32 v50, v50, v45
	v_cndmask_b32_e64 v40, 0, v40, s[6:7]
	v_add_f32_e32 v50, v50, v40
	v_cndmask_b32_e64 v41, 0, v41, s[8:9]
	v_add_f32_e32 v50, v50, v41
	v_cndmask_b32_e32 v34, 0, v34, vcc
	v_add_f32_e32 v50, v50, v34
	v_cndmask_b32_e64 v35, 0, v35, s[4:5]
	v_add_f32_e32 v50, v50, v35
	ds_bpermute_b32 v51, v58, v50
	v_cmp_gt_u32_e32 vcc, 16, v61
	s_waitcnt lgkmcnt(0)
	s_barrier
	v_add_f32_e32 v50, v50, v51
	ds_bpermute_b32 v51, v53, v50
	s_and_saveexec_b64 s[4:5], vcc
	s_cbranch_execz .LBB1033_13
; %bb.12:
	s_waitcnt lgkmcnt(0)
	v_add_f32_e32 v50, v50, v51
	v_lshlrev_b32_e32 v51, 2, v55
	ds_write2st64_b32 v51, v52, v50 offset1:1
.LBB1033_13:
	s_or_b64 exec, exec, s[4:5]
	s_waitcnt lgkmcnt(0)
	v_lshlrev_b32_e32 v51, 2, v56
	s_load_dword s6, s[0:1], 0x94
	s_waitcnt lgkmcnt(0)
	s_barrier
	ds_read2_b32 v[52:53], v51 offset1:16
	ds_read2_b32 v[58:59], v51 offset0:32 offset1:48
	ds_read2_b32 v[62:63], v51 offset0:64 offset1:80
	s_mul_i32 s7, s23, 6
	s_waitcnt lgkmcnt(2)
	v_max3_f32 v50, v52, s33, v53
	s_waitcnt lgkmcnt(1)
	v_max3_f32 v50, v50, v58, v59
	v_sub_f32_e32 v52, v52, v50
	v_mul_f32_e32 v52, 0x3fb8aa3b, v52
	v_exp_f32_e32 v55, v52
	v_sub_f32_e32 v52, v53, v50
	v_mul_f32_e32 v52, 0x3fb8aa3b, v52
	v_exp_f32_e32 v61, v52
	;; [unrolled: 3-line block ×3, first 2 shown]
	ds_read2_b32 v[52:53], v51 offset0:96 offset1:112
	v_sub_f32_e32 v51, v59, v50
	v_mul_f32_e32 v51, 0x3fb8aa3b, v51
	v_exp_f32_e32 v59, v51
	s_waitcnt lgkmcnt(1)
	v_fma_f32 v51, v55, v62, 0
	v_fmac_f32_e32 v51, v61, v63
	s_waitcnt lgkmcnt(0)
	v_fmac_f32_e32 v51, v58, v52
	v_fmac_f32_e32 v51, v59, v53
	v_add_f32_e32 v52, 0x358637bd, v51
	v_div_scale_f32 v53, s[4:5], v52, v52, 1.0
	v_rcp_f32_e32 v62, v53
	s_barrier
	v_fma_f32 v63, -v53, v62, 1.0
	v_fmac_f32_e32 v62, v63, v62
	v_div_scale_f32 v63, vcc, 1.0, v52, 1.0
	v_mul_f32_e32 v64, v63, v62
	v_fma_f32 v65, -v53, v64, v63
	v_fmac_f32_e32 v64, v65, v62
	v_fma_f32 v53, -v53, v64, v63
	v_div_fmas_f32 v53, v53, v62, v64
	v_cmp_eq_u32_e32 vcc, 1, v57
	v_div_fixup_f32 v52, v53, v52, 1.0
	s_nop 0
	v_cndmask_b32_e32 v53, v55, v61, vcc
	v_cmp_eq_u32_e32 vcc, 2, v57
	s_nop 1
	v_cndmask_b32_e32 v53, v53, v58, vcc
	v_cmp_eq_u32_e32 vcc, 3, v57
	s_nop 1
	v_cndmask_b32_e32 v53, v53, v59, vcc
	v_mul_f32_e32 v52, v53, v52
	v_pk_mul_f32 v[46:47], v[52:53], v[46:47] op_sel_hi:[0,1]
	v_pk_mul_f32 v[36:37], v[52:53], v[36:37] op_sel_hi:[0,1]
	v_cvt_f16_f32_e32 v53, v46
	v_cvt_f16_f32_e32 v36, v36
	;; [unrolled: 1-line block ×4, first 2 shown]
	v_pk_mul_f32 v[48:49], v[52:53], v[48:49] op_sel_hi:[0,1]
	v_pk_mul_f32 v[38:39], v[52:53], v[38:39] op_sel_hi:[0,1]
	v_cvt_f16_f32_e32 v38, v38
	v_cvt_f16_f32_e32 v39, v39
	;; [unrolled: 1-line block ×4, first 2 shown]
	v_pack_b32_f16 v46, v36, v37
	v_pack_b32_f16 v47, v53, v47
	v_lshlrev_b32_e32 v37, 3, v60
	v_lshlrev_b32_e32 v36, 5, v56
	;; [unrolled: 1-line block ×3, first 2 shown]
	v_or3_b32 v55, v53, v36, v37
	v_pack_b32_f16 v38, v38, v39
	v_pack_b32_f16 v39, v48, v49
	ds_write2st64_b64 v55, v[46:47], v[38:39] offset1:1
	v_pk_mul_f32 v[38:39], v[52:53], v[44:45] op_sel_hi:[0,1]
	v_pk_mul_f32 v[42:43], v[52:53], v[42:43] op_sel_hi:[0,1]
	v_cvt_f16_f32_e32 v37, v42
	v_cvt_f16_f32_e32 v42, v43
	;; [unrolled: 1-line block ×4, first 2 shown]
	v_pk_mul_f32 v[34:35], v[52:53], v[34:35] op_sel_hi:[0,1]
	v_pk_mul_f32 v[38:39], v[52:53], v[40:41] op_sel_hi:[0,1]
	v_cvt_f16_f32_e32 v38, v38
	v_cvt_f16_f32_e32 v39, v39
	;; [unrolled: 1-line block ×4, first 2 shown]
	v_pack_b32_f16 v34, v37, v42
	v_pack_b32_f16 v35, v43, v44
	;; [unrolled: 1-line block ×4, first 2 shown]
	v_cmp_gt_u32_e32 vcc, 6, v0
	ds_write2st64_b64 v55, v[34:35], v[38:39] offset0:2 offset1:3
	s_and_saveexec_b64 s[4:5], vcc
	s_cbranch_execz .LBB1033_15
; %bb.14:
	s_mov_b32 s49, 0
	v_mov_b32_e32 v57, 0
	v_lshl_add_u64 v[34:35], s[48:49], 0, v[56:57]
	v_mov_b32_e32 v37, s7
	v_mad_u64_u32 v[34:35], s[12:13], s2, v37, v[34:35]
	s_mul_i32 s3, s3, s7
	v_mov_b32_e32 v38, s22
	v_mov_b32_e32 v39, v57
	s_load_dwordx4 s[8:11], s[0:1], 0x58
	v_add_u32_e32 v37, s3, v35
	v_mad_u64_u32 v[34:35], s[12:13], v34, s6, v[38:39]
	v_mov_b32_e32 v38, v35
	v_mad_u64_u32 v[38:39], s[12:13], v37, s6, v[38:39]
	v_mov_b32_e32 v35, v38
	v_lshlrev_b64 v[34:35], 2, v[34:35]
	s_waitcnt lgkmcnt(0)
	v_lshl_add_u64 v[38:39], s[10:11], 0, v[34:35]
	v_lshl_add_u64 v[34:35], s[8:9], 0, v[34:35]
	global_store_dword v[38:39], v50, off
	global_store_dword v[34:35], v51, off
.LBB1033_15:
	s_or_b64 exec, exec, s[4:5]
	s_waitcnt vmcnt(7)
	v_cvt_pk_f32_fp8_e32 v[34:35], v30
	v_lshl_or_b32 v50, v60, 9, v36
	v_cvt_pk_f32_fp8_sdwa v[36:37], v30 src0_sel:WORD_1
	s_waitcnt lgkmcnt(0)
	s_barrier
	v_cvt_pk_f32_fp8_e32 v[38:39], v31
	v_cvt_pkrtz_f16_f32 v30, v34, v35
	v_cvt_pk_f32_fp8_sdwa v[40:41], v31 src0_sel:WORD_1
	v_cvt_pkrtz_f16_f32 v31, v36, v37
	ds_read_b128 v[34:37], v50
	v_cvt_pkrtz_f16_f32 v46, v38, v39
	v_cvt_pkrtz_f16_f32 v47, v40, v41
	ds_read_b128 v[38:41], v50 offset:16
	v_cvt_pk_f32_fp8_e32 v[48:49], v32
	v_cvt_pk_f32_fp8_sdwa v[52:53], v32 src0_sel:WORD_1
	s_waitcnt lgkmcnt(1)
	v_mfma_f32_16x16x16_f16 v[42:45], v[30:31], v[34:35], 0
	s_waitcnt vmcnt(6)
	v_cvt_pk_f32_fp8_e32 v[58:59], v24
	v_cvt_pkrtz_f16_f32 v30, v48, v49
	v_cvt_pkrtz_f16_f32 v31, v52, v53
	v_cvt_pk_f32_fp8_e32 v[48:49], v33
	v_mfma_f32_16x16x16_f16 v[42:45], v[46:47], v[36:37], v[42:45]
	v_cvt_pk_f32_fp8_sdwa v[46:47], v33 src0_sel:WORD_1
	v_cvt_pk_f32_fp8_sdwa v[62:63], v24 src0_sel:WORD_1
	v_cvt_pkrtz_f16_f32 v48, v48, v49
	s_waitcnt lgkmcnt(0)
	v_mfma_f32_16x16x16_f16 v[30:33], v[30:31], v[38:39], v[42:45]
	v_cvt_pkrtz_f16_f32 v49, v46, v47
	s_waitcnt vmcnt(5)
	v_cvt_pk_f32_fp8_sdwa v[66:67], v12 src0_sel:WORD_1
	s_waitcnt vmcnt(4)
	v_cvt_pk_f32_fp8_sdwa v[68:69], v4 src0_sel:WORD_1
	v_cvt_pk_f32_fp8_e32 v[42:43], v22
	v_mfma_f32_16x16x16_f16 v[46:49], v[48:49], v[40:41], v[30:33]
	s_waitcnt vmcnt(3)
	v_cvt_pk_f32_fp8_sdwa v[70:71], v28 src0_sel:WORD_1
	s_load_dword s4, s[42:43], 0x0
	v_cvt_pk_f32_fp8_sdwa v[30:31], v22 src0_sel:WORD_1
	v_cvt_pk_f32_fp8_e32 v[32:33], v23
	v_cvt_pkrtz_f16_f32 v22, v42, v43
	v_cvt_pk_f32_fp8_sdwa v[42:43], v23 src0_sel:WORD_1
	v_cvt_pkrtz_f16_f32 v23, v30, v31
	v_cvt_pkrtz_f16_f32 v52, v32, v33
	ds_read_b128 v[30:33], v50 offset:2048
	v_cvt_pkrtz_f16_f32 v53, v42, v43
	ds_read_b128 v[42:45], v50 offset:2064
	s_waitcnt lgkmcnt(0)
	v_mfma_f32_16x16x16_f16 v[46:49], v[22:23], v[30:31], v[46:49]
	v_cvt_pkrtz_f16_f32 v22, v58, v59
	v_cvt_pkrtz_f16_f32 v23, v62, v63
	v_cvt_pk_f32_fp8_e32 v[58:59], v25
	v_mfma_f32_16x16x16_f16 v[46:49], v[52:53], v[32:33], v[46:49]
	v_cvt_pk_f32_fp8_sdwa v[52:53], v25 src0_sel:WORD_1
	s_mov_b32 s3, 0
	v_cvt_pkrtz_f16_f32 v58, v58, v59
	v_mfma_f32_16x16x16_f16 v[22:25], v[22:23], v[42:43], v[46:49]
	v_cvt_pkrtz_f16_f32 v59, v52, v53
	v_cmp_gt_u32_e32 vcc, 64, v0
	s_nop 0
	v_cvt_pk_f32_fp8_e32 v[46:47], v10
	v_mfma_f32_16x16x16_f16 v[62:65], v[58:59], v[44:45], v[22:25]
	v_cvt_pk_f32_fp8_e32 v[58:59], v12
	s_nop 1
	v_cvt_pk_f32_fp8_sdwa v[22:23], v10 src0_sel:WORD_1
	v_cvt_pk_f32_fp8_e32 v[24:25], v11
	v_cvt_pkrtz_f16_f32 v10, v46, v47
	v_cvt_pk_f32_fp8_sdwa v[46:47], v11 src0_sel:WORD_1
	v_cvt_pkrtz_f16_f32 v11, v22, v23
	v_cvt_pkrtz_f16_f32 v52, v24, v25
	ds_read_b128 v[22:25], v50 offset:4096
	v_cvt_pkrtz_f16_f32 v53, v46, v47
	ds_read_b128 v[46:49], v50 offset:4112
	s_waitcnt lgkmcnt(1)
	v_mfma_f32_16x16x16_f16 v[62:65], v[10:11], v[22:23], v[62:65]
	v_cvt_pkrtz_f16_f32 v10, v58, v59
	v_cvt_pkrtz_f16_f32 v11, v66, v67
	v_cvt_pk_f32_fp8_e32 v[58:59], v13
	v_mfma_f32_16x16x16_f16 v[62:65], v[52:53], v[24:25], v[62:65]
	v_cvt_pk_f32_fp8_sdwa v[52:53], v13 src0_sel:WORD_1
	v_cvt_pk_f32_fp8_e32 v[66:67], v4
	v_cvt_pkrtz_f16_f32 v58, v58, v59
	s_waitcnt lgkmcnt(0)
	v_mfma_f32_16x16x16_f16 v[10:13], v[10:11], v[46:47], v[62:65]
	v_cvt_pkrtz_f16_f32 v59, v52, v53
	v_cvt_pk_f32_fp8_e32 v[52:53], v2
	s_nop 0
	v_mfma_f32_16x16x16_f16 v[62:65], v[58:59], v[48:49], v[10:13]
	s_nop 2
	v_cvt_pk_f32_fp8_sdwa v[10:11], v2 src0_sel:WORD_1
	v_cvt_pk_f32_fp8_e32 v[12:13], v3
	v_cvt_pkrtz_f16_f32 v2, v52, v53
	v_cvt_pk_f32_fp8_sdwa v[52:53], v3 src0_sel:WORD_1
	v_cvt_pkrtz_f16_f32 v3, v10, v11
	v_cvt_pkrtz_f16_f32 v58, v12, v13
	ds_read_b128 v[10:13], v50 offset:6144
	v_cvt_pkrtz_f16_f32 v59, v52, v53
	s_waitcnt lgkmcnt(0)
	v_mfma_f32_16x16x16_f16 v[62:65], v[2:3], v[10:11], v[62:65]
	ds_read_b128 v[50:53], v50 offset:6160
	v_cvt_pkrtz_f16_f32 v2, v66, v67
	v_cvt_pkrtz_f16_f32 v3, v68, v69
	v_cvt_pk_f32_fp8_e32 v[66:67], v5
	v_mfma_f32_16x16x16_f16 v[62:65], v[58:59], v[12:13], v[62:65]
	v_cvt_pk_f32_fp8_sdwa v[58:59], v5 src0_sel:WORD_1
	v_cvt_pk_f32_fp8_e32 v[68:69], v28
	v_cvt_pkrtz_f16_f32 v66, v66, v67
	s_waitcnt lgkmcnt(0)
	v_mfma_f32_16x16x16_f16 v[2:5], v[2:3], v[50:51], v[62:65]
	v_cvt_pkrtz_f16_f32 v67, v58, v59
	v_cvt_pk_f32_fp8_e32 v[58:59], v26
	s_nop 0
	v_cvt_pk_f32_fp8_sdwa v[62:63], v26 src0_sel:WORD_1
	v_cvt_pk_f32_fp8_e32 v[64:65], v27
	v_cvt_pkrtz_f16_f32 v58, v58, v59
	v_cvt_pk_f32_fp8_sdwa v[26:27], v27 src0_sel:WORD_1
	v_cvt_pkrtz_f16_f32 v59, v62, v63
	v_mfma_f32_16x16x16_f16 v[2:5], v[66:67], v[52:53], v[2:5]
	v_cvt_pkrtz_f16_f32 v66, v64, v65
	v_cvt_pkrtz_f16_f32 v67, v26, v27
	;; [unrolled: 1-line block ×3, first 2 shown]
	v_mfma_f32_16x16x16_f16 v[62:65], v[58:59], v[34:35], 0
	v_cvt_pkrtz_f16_f32 v27, v70, v71
	v_cvt_pk_f32_fp8_e32 v[58:59], v29
	s_barrier
	v_mfma_f32_16x16x16_f16 v[34:37], v[66:67], v[36:37], v[62:65]
	v_cvt_pkrtz_f16_f32 v58, v58, v59
	s_nop 1
	v_cvt_pk_f32_fp8_sdwa v[62:63], v29 src0_sel:WORD_1
	v_mfma_f32_16x16x16_f16 v[26:29], v[26:27], v[38:39], v[34:37]
	s_waitcnt vmcnt(2)
	v_cvt_pk_f32_fp8_e32 v[38:39], v19
	v_cvt_pkrtz_f16_f32 v59, v62, v63
	v_cvt_pk_f32_fp8_e32 v[34:35], v18
	v_cvt_pk_f32_fp8_sdwa v[36:37], v18 src0_sel:WORD_1
	v_cvt_pk_f32_fp8_sdwa v[18:19], v19 src0_sel:WORD_1
	v_mfma_f32_16x16x16_f16 v[26:29], v[58:59], v[40:41], v[26:29]
	v_cvt_pkrtz_f16_f32 v34, v34, v35
	v_cvt_pkrtz_f16_f32 v35, v36, v37
	v_cvt_pkrtz_f16_f32 v36, v38, v39
	v_cvt_pk_f32_fp8_e32 v[38:39], v20
	v_cvt_pk_f32_fp8_sdwa v[40:41], v20 src0_sel:WORD_1
	v_cvt_pkrtz_f16_f32 v37, v18, v19
	v_mfma_f32_16x16x16_f16 v[26:29], v[34:35], v[30:31], v[26:29]
	v_cvt_pkrtz_f16_f32 v30, v38, v39
	v_cvt_pkrtz_f16_f32 v31, v40, v41
	v_cvt_pk_f32_fp8_e32 v[34:35], v21
	v_cvt_pk_f32_fp8_sdwa v[38:39], v21 src0_sel:WORD_1
	v_mfma_f32_16x16x16_f16 v[18:21], v[36:37], v[32:33], v[26:29]
	s_waitcnt vmcnt(1)
	v_cvt_pk_f32_fp8_sdwa v[32:33], v16 src0_sel:WORD_1
	s_nop 0
	v_cvt_pkrtz_f16_f32 v26, v34, v35
	v_cvt_pkrtz_f16_f32 v27, v38, v39
	v_mfma_f32_16x16x16_f16 v[18:21], v[30:31], v[42:43], v[18:21]
	v_cvt_pk_f32_fp8_e32 v[28:29], v14
	v_cvt_pk_f32_fp8_sdwa v[30:31], v14 src0_sel:WORD_1
	v_cvt_pkrtz_f16_f32 v28, v28, v29
	v_mfma_f32_16x16x16_f16 v[18:21], v[26:27], v[44:45], v[18:21]
	v_cvt_pk_f32_fp8_e32 v[26:27], v15
	v_cvt_pkrtz_f16_f32 v29, v30, v31
	v_cvt_pk_f32_fp8_sdwa v[14:15], v15 src0_sel:WORD_1
	v_cvt_pk_f32_fp8_e32 v[30:31], v16
	v_cvt_pkrtz_f16_f32 v26, v26, v27
	v_mfma_f32_16x16x16_f16 v[18:21], v[28:29], v[22:23], v[18:21]
	v_cvt_pkrtz_f16_f32 v27, v14, v15
	v_cvt_pkrtz_f16_f32 v22, v30, v31
	;; [unrolled: 1-line block ×3, first 2 shown]
	v_cvt_pk_f32_fp8_e32 v[28:29], v17
	v_cvt_pk_f32_fp8_sdwa v[30:31], v17 src0_sel:WORD_1
	v_mfma_f32_16x16x16_f16 v[14:17], v[26:27], v[24:25], v[18:21]
	s_waitcnt vmcnt(0)
	v_cvt_pk_f32_fp8_sdwa v[24:25], v6 src0_sel:WORD_1
	s_nop 0
	v_pk_mul_f32 v[18:19], v[4:5], s[4:5] op_sel_hi:[1,0]
	v_cvt_pkrtz_f16_f32 v4, v28, v29
	v_cvt_pkrtz_f16_f32 v5, v30, v31
	v_mfma_f32_16x16x16_f16 v[14:17], v[22:23], v[46:47], v[14:17]
	v_cvt_pk_f32_fp8_e32 v[22:23], v6
	v_pk_mul_f32 v[20:21], v[2:3], s[4:5] op_sel_hi:[1,0]
	v_mfma_f32_16x16x16_f16 v[2:5], v[4:5], v[48:49], v[14:17]
	s_nop 3
	v_cvt_pk_f32_fp8_e32 v[14:15], v7
	v_cvt_pkrtz_f16_f32 v16, v22, v23
	v_cvt_pkrtz_f16_f32 v17, v24, v25
	v_cvt_pk_f32_fp8_sdwa v[6:7], v7 src0_sel:WORD_1
	v_cvt_pkrtz_f16_f32 v14, v14, v15
	v_cvt_pk_f32_fp8_e32 v[22:23], v8
	v_cvt_pk_f32_fp8_sdwa v[24:25], v8 src0_sel:WORD_1
	v_cvt_pkrtz_f16_f32 v15, v6, v7
	v_mfma_f32_16x16x16_f16 v[2:5], v[16:17], v[10:11], v[2:5]
	v_cvt_pkrtz_f16_f32 v6, v22, v23
	v_cvt_pkrtz_f16_f32 v7, v24, v25
	v_cvt_pk_f32_fp8_e32 v[10:11], v9
	v_cvt_pk_f32_fp8_sdwa v[8:9], v9 src0_sel:WORD_1
	v_mfma_f32_16x16x16_f16 v[2:5], v[14:15], v[12:13], v[2:5]
	v_cvt_f16_f32_e32 v12, v20
	v_cvt_pkrtz_f16_f32 v10, v10, v11
	v_cvt_pkrtz_f16_f32 v11, v8, v9
	v_mfma_f32_16x16x16_f16 v[2:5], v[6:7], v[50:51], v[2:5]
	v_cvt_f16_f32_e32 v6, v21
	v_cvt_f16_f32_e32 v7, v18
	;; [unrolled: 1-line block ×3, first 2 shown]
	v_mfma_f32_16x16x16_f16 v[2:5], v[10:11], v[52:53], v[2:5]
	s_nop 6
	v_pk_mul_f32 v[4:5], v[4:5], s[4:5] op_sel_hi:[1,0]
	v_pk_mul_f32 v[2:3], v[2:3], s[4:5] op_sel_hi:[1,0]
	v_cvt_f16_f32_e32 v11, v4
	v_cvt_f16_f32_e32 v9, v2
	;; [unrolled: 1-line block ×4, first 2 shown]
	v_pack_b32_f16 v2, v12, v6
	v_pack_b32_f16 v3, v7, v8
	;; [unrolled: 1-line block ×4, first 2 shown]
	ds_write2st64_b64 v55, v[2:3], v[4:5] offset1:1
	s_waitcnt lgkmcnt(0)
	s_barrier
	s_and_saveexec_b64 s[4:5], vcc
	s_cbranch_execz .LBB1033_18
; %bb.16:
	s_load_dwordx2 s[4:5], s[0:1], 0x68
	s_lshl_b32 s0, s6, 7
	s_mul_i32 s1, s7, s2
	v_lshlrev_b32_e32 v4, 6, v56
	s_mul_hi_u32 s7, s1, s0
	s_mul_i32 s6, s1, s0
	v_lshl_or_b32 v0, v0, 10, v4
	s_lshl_b64 s[6:7], s[6:7], 1
	v_lshlrev_b32_e32 v3, 5, v60
	v_and_b32_e32 v1, 16, v1
	v_and_b32_e32 v0, 0x1a00, v0
	s_waitcnt lgkmcnt(0)
	s_add_u32 s1, s4, s6
	v_or3_b32 v3, v0, v3, v1
	s_addc_u32 s4, s5, s7
	s_lshl_b32 s2, s22, 7
	s_lshl_b64 s[2:3], s[2:3], 1
	ds_read_b128 v[4:7], v3
	s_add_u32 s2, s1, s2
	s_addc_u32 s3, s4, s3
	v_mov_b32_e32 v55, 0
	v_add_u32_e32 v8, s48, v60
	v_or_b32_e32 v2, 4, v60
	v_lshl_add_u64 v[0:1], s[2:3], 0, v[54:55]
	v_mad_u64_u32 v[8:9], s[2:3], v8, s0, 0
	v_lshl_add_u64 v[8:9], v[8:9], 1, v[0:1]
	v_cmp_gt_u32_e32 vcc, 6, v2
	s_waitcnt lgkmcnt(0)
	global_store_dwordx4 v[8:9], v[4:7], off
	s_and_b64 exec, exec, vcc
	s_cbranch_execz .LBB1033_18
; %bb.17:
	ds_read_b128 v[4:7], v3 offset:128
	v_add_u32_e32 v2, s48, v2
	v_mad_u64_u32 v[2:3], s[0:1], v2, s0, 0
	v_lshl_add_u64 v[0:1], v[2:3], 1, v[0:1]
	s_waitcnt lgkmcnt(0)
	global_store_dwordx4 v[0:1], v[4:7], off
.LBB1033_18:
	s_endpgm
	.section	.rodata,"a",@progbits
	.p2align	6, 0x0
	.amdhsa_kernel _Z39paged_attention_ll4mi_QKV_mfma16_kernelIDF16_hLN4vllm18Fp8KVCacheDataTypeE1EhLi32ELi128ELi256ELb0ELi6EEvPKT_PKT0_S7_ifPKiS9_S9_iPKfiiiPfSC_PS2_PT2_iSB_SB_
		.amdhsa_group_segment_fixed_size 8192
		.amdhsa_private_segment_fixed_size 0
		.amdhsa_kernarg_size 400
		.amdhsa_user_sgpr_count 2
		.amdhsa_user_sgpr_dispatch_ptr 0
		.amdhsa_user_sgpr_queue_ptr 0
		.amdhsa_user_sgpr_kernarg_segment_ptr 1
		.amdhsa_user_sgpr_dispatch_id 0
		.amdhsa_user_sgpr_kernarg_preload_length 0
		.amdhsa_user_sgpr_kernarg_preload_offset 0
		.amdhsa_user_sgpr_private_segment_size 0
		.amdhsa_uses_dynamic_stack 0
		.amdhsa_enable_private_segment 0
		.amdhsa_system_sgpr_workgroup_id_x 1
		.amdhsa_system_sgpr_workgroup_id_y 1
		.amdhsa_system_sgpr_workgroup_id_z 1
		.amdhsa_system_sgpr_workgroup_info 0
		.amdhsa_system_vgpr_workitem_id 0
		.amdhsa_next_free_vgpr 80
		.amdhsa_next_free_sgpr 50
		.amdhsa_accum_offset 80
		.amdhsa_reserve_vcc 1
		.amdhsa_float_round_mode_32 0
		.amdhsa_float_round_mode_16_64 0
		.amdhsa_float_denorm_mode_32 3
		.amdhsa_float_denorm_mode_16_64 3
		.amdhsa_dx10_clamp 1
		.amdhsa_ieee_mode 1
		.amdhsa_fp16_overflow 0
		.amdhsa_tg_split 0
		.amdhsa_exception_fp_ieee_invalid_op 0
		.amdhsa_exception_fp_denorm_src 0
		.amdhsa_exception_fp_ieee_div_zero 0
		.amdhsa_exception_fp_ieee_overflow 0
		.amdhsa_exception_fp_ieee_underflow 0
		.amdhsa_exception_fp_ieee_inexact 0
		.amdhsa_exception_int_div_zero 0
	.end_amdhsa_kernel
	.section	.text._Z39paged_attention_ll4mi_QKV_mfma16_kernelIDF16_hLN4vllm18Fp8KVCacheDataTypeE1EhLi32ELi128ELi256ELb0ELi6EEvPKT_PKT0_S7_ifPKiS9_S9_iPKfiiiPfSC_PS2_PT2_iSB_SB_,"axG",@progbits,_Z39paged_attention_ll4mi_QKV_mfma16_kernelIDF16_hLN4vllm18Fp8KVCacheDataTypeE1EhLi32ELi128ELi256ELb0ELi6EEvPKT_PKT0_S7_ifPKiS9_S9_iPKfiiiPfSC_PS2_PT2_iSB_SB_,comdat
.Lfunc_end1033:
	.size	_Z39paged_attention_ll4mi_QKV_mfma16_kernelIDF16_hLN4vllm18Fp8KVCacheDataTypeE1EhLi32ELi128ELi256ELb0ELi6EEvPKT_PKT0_S7_ifPKiS9_S9_iPKfiiiPfSC_PS2_PT2_iSB_SB_, .Lfunc_end1033-_Z39paged_attention_ll4mi_QKV_mfma16_kernelIDF16_hLN4vllm18Fp8KVCacheDataTypeE1EhLi32ELi128ELi256ELb0ELi6EEvPKT_PKT0_S7_ifPKiS9_S9_iPKfiiiPfSC_PS2_PT2_iSB_SB_
                                        ; -- End function
	.section	.AMDGPU.csdata,"",@progbits
; Kernel info:
; codeLenInByte = 6080
; NumSgprs: 56
; NumVgprs: 80
; NumAgprs: 0
; TotalNumVgprs: 80
; ScratchSize: 0
; MemoryBound: 0
; FloatMode: 240
; IeeeMode: 1
; LDSByteSize: 8192 bytes/workgroup (compile time only)
; SGPRBlocks: 6
; VGPRBlocks: 9
; NumSGPRsForWavesPerEU: 56
; NumVGPRsForWavesPerEU: 80
; AccumOffset: 80
; Occupancy: 6
; WaveLimiterHint : 1
; COMPUTE_PGM_RSRC2:SCRATCH_EN: 0
; COMPUTE_PGM_RSRC2:USER_SGPR: 2
; COMPUTE_PGM_RSRC2:TRAP_HANDLER: 0
; COMPUTE_PGM_RSRC2:TGID_X_EN: 1
; COMPUTE_PGM_RSRC2:TGID_Y_EN: 1
; COMPUTE_PGM_RSRC2:TGID_Z_EN: 1
; COMPUTE_PGM_RSRC2:TIDIG_COMP_CNT: 0
; COMPUTE_PGM_RSRC3_GFX90A:ACCUM_OFFSET: 19
; COMPUTE_PGM_RSRC3_GFX90A:TG_SPLIT: 0
	.section	.text._Z39paged_attention_ll4mi_QKV_mfma16_kernelIDF16_hLN4vllm18Fp8KVCacheDataTypeE1EhLi32ELi128ELi256ELb0ELi7EEvPKT_PKT0_S7_ifPKiS9_S9_iPKfiiiPfSC_PS2_PT2_iSB_SB_,"axG",@progbits,_Z39paged_attention_ll4mi_QKV_mfma16_kernelIDF16_hLN4vllm18Fp8KVCacheDataTypeE1EhLi32ELi128ELi256ELb0ELi7EEvPKT_PKT0_S7_ifPKiS9_S9_iPKfiiiPfSC_PS2_PT2_iSB_SB_,comdat
	.protected	_Z39paged_attention_ll4mi_QKV_mfma16_kernelIDF16_hLN4vllm18Fp8KVCacheDataTypeE1EhLi32ELi128ELi256ELb0ELi7EEvPKT_PKT0_S7_ifPKiS9_S9_iPKfiiiPfSC_PS2_PT2_iSB_SB_ ; -- Begin function _Z39paged_attention_ll4mi_QKV_mfma16_kernelIDF16_hLN4vllm18Fp8KVCacheDataTypeE1EhLi32ELi128ELi256ELb0ELi7EEvPKT_PKT0_S7_ifPKiS9_S9_iPKfiiiPfSC_PS2_PT2_iSB_SB_
	.globl	_Z39paged_attention_ll4mi_QKV_mfma16_kernelIDF16_hLN4vllm18Fp8KVCacheDataTypeE1EhLi32ELi128ELi256ELb0ELi7EEvPKT_PKT0_S7_ifPKiS9_S9_iPKfiiiPfSC_PS2_PT2_iSB_SB_
	.p2align	8
	.type	_Z39paged_attention_ll4mi_QKV_mfma16_kernelIDF16_hLN4vllm18Fp8KVCacheDataTypeE1EhLi32ELi128ELi256ELb0ELi7EEvPKT_PKT0_S7_ifPKiS9_S9_iPKfiiiPfSC_PS2_PT2_iSB_SB_,@function
_Z39paged_attention_ll4mi_QKV_mfma16_kernelIDF16_hLN4vllm18Fp8KVCacheDataTypeE1EhLi32ELi128ELi256ELb0ELi7EEvPKT_PKT0_S7_ifPKiS9_S9_iPKfiiiPfSC_PS2_PT2_iSB_SB_: ; @_Z39paged_attention_ll4mi_QKV_mfma16_kernelIDF16_hLN4vllm18Fp8KVCacheDataTypeE1EhLi32ELi128ELi256ELb0ELi7EEvPKT_PKT0_S7_ifPKiS9_S9_iPKfiiiPfSC_PS2_PT2_iSB_SB_
; %bb.0:
	s_load_dwordx2 s[12:13], s[0:1], 0x30
	s_mov_b32 s22, s3
	s_mov_b64 s[6:7], 0
	s_waitcnt lgkmcnt(0)
	s_cmp_lg_u64 s[12:13], 0
	s_cselect_b64 s[14:15], -1, 0
	s_and_b64 vcc, exec, s[14:15]
	s_cbranch_vccz .LBB1034_7
; %bb.1:
	s_add_i32 s8, s2, 1
	s_mov_b32 s9, 0
	s_lshl_b64 s[10:11], s[8:9], 2
	s_add_u32 s10, s12, s10
	s_mov_b32 s3, s9
	s_addc_u32 s11, s13, s11
	s_lshl_b64 s[8:9], s[2:3], 2
	s_add_u32 s8, s12, s8
	s_addc_u32 s9, s13, s9
	s_load_dword s5, s[10:11], 0x0
	s_load_dword s16, s[8:9], 0x0
	s_waitcnt lgkmcnt(0)
	s_sub_i32 s5, s5, s16
	s_cmp_eq_u32 s5, 1
	s_cselect_b64 s[8:9], -1, 0
	s_andn2_b64 vcc, exec, s[6:7]
	s_cbranch_vccnz .LBB1034_3
.LBB1034_2:
	s_mov_b32 s3, 0
	s_mov_b64 s[8:9], -1
.LBB1034_3:
	s_andn2_b64 vcc, exec, s[8:9]
	s_cbranch_vccnz .LBB1034_18
; %bb.4:
	s_load_dwordx2 s[6:7], s[0:1], 0x28
	s_lshl_b64 s[16:17], s[2:3], 2
	s_waitcnt lgkmcnt(0)
	s_add_u32 s6, s6, s16
	s_addc_u32 s7, s7, s17
	s_load_dword s5, s[6:7], 0x0
	s_lshl_b32 s18, s22, 8
	s_waitcnt lgkmcnt(0)
	s_cmp_ge_i32 s18, s5
	s_cbranch_scc1 .LBB1034_18
; %bb.5:
	s_load_dwordx2 s[6:7], s[0:1], 0x20
	s_load_dword s8, s[0:1], 0x38
	s_add_i32 s9, s5, 31
	s_ashr_i32 s10, s9, 31
	v_and_b32_e32 v1, 0xcf, v0
	s_lshr_b32 s10, s10, 27
	v_add_u32_e32 v1, s18, v1
	s_add_i32 s9, s9, s10
	v_ashrrev_i32_e32 v2, 31, v1
	s_ashr_i32 s19, s9, 5
	v_lshrrev_b32_e32 v6, 27, v2
	s_add_i32 s19, s19, -1
	s_waitcnt lgkmcnt(0)
	s_mul_i32 s8, s2, s8
	s_mov_b32 s9, 0
	v_add_u32_e32 v2, v1, v6
	s_lshl_b64 s[8:9], s[8:9], 2
	v_ashrrev_i32_e32 v2, 5, v2
	v_mov_b32_e32 v7, s19
	v_cmp_gt_i32_e32 vcc, s5, v1
	s_add_u32 s6, s6, s8
	s_addc_u32 s7, s7, s9
	v_cndmask_b32_e32 v2, v7, v2, vcc
	v_ashrrev_i32_e32 v3, 31, v2
	v_lshl_add_u64 v[4:5], v[2:3], 2, s[6:7]
	v_or_b32_e32 v2, 16, v1
	v_add_u32_e32 v3, v2, v6
	v_ashrrev_i32_e32 v3, 5, v3
	v_cmp_gt_i32_e32 vcc, s5, v2
	s_load_dwordx4 s[8:11], s[0:1], 0x8
	s_nop 0
	v_cndmask_b32_e32 v2, v7, v3, vcc
	v_ashrrev_i32_e32 v3, 31, v2
	v_lshl_add_u64 v[10:11], v[2:3], 2, s[6:7]
	v_or_b32_e32 v2, 32, v1
	v_add_u32_e32 v3, v2, v6
	v_ashrrev_i32_e32 v3, 5, v3
	v_cmp_gt_i32_e32 vcc, s5, v2
	v_or_b32_e32 v1, 48, v1
	s_nop 0
	v_cndmask_b32_e32 v2, v7, v3, vcc
	v_ashrrev_i32_e32 v3, 31, v2
	v_lshl_add_u64 v[12:13], v[2:3], 2, s[6:7]
	v_add_u32_e32 v2, v1, v6
	v_ashrrev_i32_e32 v2, 5, v2
	v_cmp_gt_i32_e32 vcc, s5, v1
	s_nop 1
	v_cndmask_b32_e32 v2, v7, v2, vcc
	v_ashrrev_i32_e32 v3, 31, v2
	v_lshl_add_u64 v[14:15], v[2:3], 2, s[6:7]
	global_load_dword v2, v[4:5], off
	global_load_dword v8, v[10:11], off
	;; [unrolled: 1-line block ×4, first 2 shown]
	s_andn2_b64 vcc, exec, s[14:15]
	s_cbranch_vccnz .LBB1034_8
; %bb.6:
	s_add_u32 s12, s12, s16
	s_addc_u32 s13, s13, s17
	s_load_dword s14, s[12:13], 0x0
	s_branch .LBB1034_9
.LBB1034_7:
	s_mov_b64 s[8:9], 0
	s_branch .LBB1034_2
.LBB1034_8:
	s_mov_b32 s14, s2
.LBB1034_9:
	s_load_dwordx4 s[44:47], s[0:1], 0x48
	v_lshrrev_b32_e32 v57, 6, v0
	v_bfe_u32 v60, v0, 4, 2
	v_and_b32_e32 v56, 15, v0
	v_lshl_or_b32 v3, v57, 2, v60
	v_lshlrev_b32_e32 v1, 3, v56
	v_and_b32_e32 v61, 63, v0
	s_mul_i32 s48, s4, 7
	v_cmp_gt_u32_e32 vcc, 7, v3
	v_lshlrev_b32_e32 v54, 1, v1
	v_lshlrev_b32_e32 v1, 4, v0
	s_and_saveexec_b64 s[12:13], vcc
	s_cbranch_execz .LBB1034_11
; %bb.10:
	s_load_dwordx2 s[16:17], s[0:1], 0x0
	s_waitcnt lgkmcnt(0)
	s_ashr_i32 s15, s44, 31
	s_mul_hi_u32 s20, s14, s44
	s_mul_i32 s15, s14, s15
	s_add_i32 s15, s20, s15
	s_mul_i32 s14, s14, s44
	s_lshl_b64 s[14:15], s[14:15], 1
	s_add_u32 s14, s16, s14
	v_add_lshl_u32 v4, v3, s48, 7
	s_addc_u32 s15, s17, s15
	v_ashrrev_i32_e32 v5, 31, v4
	v_lshl_add_u64 v[4:5], v[4:5], 1, s[14:15]
	v_mov_b32_e32 v55, 0
	v_lshl_add_u64 v[4:5], v[4:5], 0, v[54:55]
	global_load_dwordx4 v[10:13], v[4:5], off
	v_lshlrev_b32_e32 v5, 8, v0
	v_lshlrev_b32_e32 v4, 8, v56
	v_and_b32_e32 v5, 0x600, v5
	s_movk_i32 s14, 0x800
	v_and_or_b32 v4, v4, s14, v5
	v_lshlrev_b32_e32 v3, 5, v3
	v_and_b32_e32 v5, 16, v1
	v_or3_b32 v3, v4, v3, v5
	s_waitcnt vmcnt(0)
	ds_write_b128 v3, v[10:13]
.LBB1034_11:
	s_or_b64 exec, exec, s[12:13]
	s_waitcnt lgkmcnt(0)
	s_mul_i32 s12, s4, s46
	s_add_u32 s8, s8, s12
	s_addc_u32 s9, s9, 0
	v_mov_b32_e32 v59, 0
	v_mov_b64_e32 v[4:5], s[8:9]
	v_and_b32_e32 v9, 48, v0
	s_waitcnt vmcnt(3)
	v_mad_i64_i32 v[10:11], s[8:9], v2, s45, v[4:5]
	v_lshlrev_b32_e32 v2, 4, v56
	v_mov_b32_e32 v3, v59
	v_lshlrev_b32_e32 v58, 5, v9
	v_lshl_add_u64 v[10:11], v[10:11], 0, v[2:3]
	v_lshl_add_u64 v[14:15], v[10:11], 0, v[58:59]
	s_load_dword s23, s[0:1], 0x98
	s_load_dwordx4 s[40:43], s[0:1], 0x80
	s_waitcnt lgkmcnt(0)
	s_barrier
	global_load_dwordx4 v[10:13], v[14:15], off
	global_load_dwordx4 v[30:33], v[14:15], off offset:2048
	v_mul_lo_u16_e32 v16, 37, v56
	v_mov_b32_e32 v17, 7
	v_mul_lo_u16_sdwa v14, v16, v17 dst_sel:DWORD dst_unused:UNUSED_PAD src0_sel:BYTE_1 src1_sel:DWORD
	v_mov_b32_e32 v20, 5
	v_or_b32_e32 v25, s18, v9
	v_sub_u16_e32 v9, v56, v14
	s_ashr_i32 s8, s18, 31
	v_lshlrev_b32_sdwa v9, v20, v9 dst_sel:DWORD dst_unused:UNUSED_PAD src0_sel:DWORD src1_sel:BYTE_0
	v_or_b32_e32 v18, 0x100, v2
	v_mov_b32_e32 v19, v59
	s_lshr_b32 s13, s8, 27
	v_lshl_add_u32 v41, v60, 9, v9
	s_waitcnt vmcnt(4)
	v_mad_i64_i32 v[8:9], s[8:9], v8, s45, v[4:5]
	s_waitcnt vmcnt(3)
	v_mad_i64_i32 v[20:21], s[8:9], v6, s45, v[4:5]
	;; [unrolled: 2-line block ×3, first 2 shown]
	v_lshl_add_u64 v[6:7], v[8:9], 0, v[18:19]
	v_lshl_add_u64 v[22:23], v[6:7], 0, v[58:59]
	global_load_dwordx4 v[46:49], v[22:23], off
	v_or_b32_e32 v38, 64, v25
	v_or_b32_e32 v39, 0x80, v25
	;; [unrolled: 1-line block ×3, first 2 shown]
	v_add_u32_e32 v42, s13, v25
	v_add_u32_e32 v43, s13, v38
	;; [unrolled: 1-line block ×4, first 2 shown]
	ds_read_b128 v[34:37], v41
	ds_read_b128 v[26:29], v41 offset:16
	ds_read_b128 v[14:17], v41 offset:2048
	;; [unrolled: 1-line block ×3, first 2 shown]
	v_lshl_add_u64 v[2:3], v[20:21], 0, v[2:3]
	v_ashrrev_i32_e32 v20, 5, v42
	v_ashrrev_i32_e32 v21, 5, v43
	;; [unrolled: 1-line block ×4, first 2 shown]
	global_load_dwordx4 v[42:45], v[22:23], off offset:2048
	v_mov_b32_e32 v24, s19
	v_cmp_gt_i32_e32 vcc, s5, v25
	v_lshl_add_u64 v[4:5], v[4:5], 0, v[18:19]
	v_lshl_add_u64 v[2:3], v[2:3], 0, v[58:59]
	v_cndmask_b32_e32 v50, v24, v20, vcc
	v_cmp_gt_i32_e32 vcc, s5, v38
	v_lshl_add_u64 v[18:19], v[4:5], 0, v[58:59]
	v_and_b32_e32 v58, 16, v0
	v_cndmask_b32_e32 v52, v24, v21, vcc
	v_cmp_gt_i32_e32 vcc, s5, v39
	v_ashrrev_i32_e32 v53, 31, v52
	v_lshl_add_u64 v[52:53], v[52:53], 2, s[6:7]
	v_cndmask_b32_e32 v62, v24, v41, vcc
	v_cmp_gt_i32_e32 vcc, s5, v40
	v_ashrrev_i32_e32 v63, 31, v62
	v_lshl_add_u64 v[62:63], v[62:63], 2, s[6:7]
	v_cndmask_b32_e32 v64, v24, v51, vcc
	global_load_dwordx4 v[22:25], v[2:3], off
	s_nop 0
	global_load_dwordx4 v[2:5], v[2:3], off offset:2048
	s_nop 0
	global_load_dwordx4 v[38:41], v[18:19], off
	s_nop 0
	global_load_dwordx4 v[18:21], v[18:19], off offset:2048
	v_ashrrev_i32_e32 v65, 31, v64
	v_lshl_add_u64 v[66:67], v[64:65], 2, s[6:7]
	v_ashrrev_i32_e32 v51, 31, v50
	v_lshl_add_u64 v[50:51], v[50:51], 2, s[6:7]
	s_add_u32 s6, s10, s12
	s_addc_u32 s7, s11, 0
	v_lshl_or_b32 v55, v57, 4, v56
	s_load_dword s4, s[0:1], 0x1c
	s_mov_b32 s33, 0xff7fffff
	s_waitcnt vmcnt(7)
	v_cvt_pk_f32_fp8_e32 v[64:65], v10
	v_cvt_pk_f32_fp8_sdwa v[68:69], v10 src0_sel:WORD_1
	v_cvt_pk_f32_fp8_e32 v[70:71], v11
	v_cvt_pk_f32_fp8_sdwa v[10:11], v11 src0_sel:WORD_1
	v_cvt_pkrtz_f16_f32 v72, v64, v65
	v_cvt_pkrtz_f16_f32 v73, v68, v69
	global_load_dword v65, v[50:51], off
	global_load_dword v64, v[52:53], off
	s_nop 0
	global_load_dword v62, v[62:63], off
	s_nop 0
	global_load_dword v63, v[66:67], off
	v_cvt_pk_f32_fp8_e32 v[66:67], v12
	v_cvt_pkrtz_f16_f32 v68, v70, v71
	v_cvt_pkrtz_f16_f32 v69, v10, v11
	v_cvt_pk_f32_fp8_sdwa v[10:11], v12 src0_sel:WORD_1
	s_waitcnt lgkmcnt(0)
	v_mfma_f32_16x16x16_f16 v[50:53], v[72:73], v[34:35], 0
	v_cvt_pk_f32_fp8_e32 v[70:71], v13
	v_cvt_pkrtz_f16_f32 v66, v66, v67
	v_cvt_pkrtz_f16_f32 v67, v10, v11
	v_cvt_pk_f32_fp8_sdwa v[10:11], v13 src0_sel:WORD_1
	v_mfma_f32_16x16x16_f16 v[50:53], v[68:69], v[36:37], v[50:53]
	v_cvt_pkrtz_f16_f32 v68, v70, v71
	s_waitcnt vmcnt(10)
	v_cvt_pk_f32_fp8_e32 v[70:71], v30
	v_cvt_pk_f32_fp8_sdwa v[72:73], v30 src0_sel:WORD_1
	v_cvt_pkrtz_f16_f32 v69, v10, v11
	v_mfma_f32_16x16x16_f16 v[10:13], v[66:67], v[26:27], v[50:53]
	s_waitcnt vmcnt(9)
	v_cvt_pk_f32_fp8_sdwa v[66:67], v46 src0_sel:WORD_1
	s_waitcnt vmcnt(6)
	v_cvt_pk_f32_fp8_sdwa v[78:79], v5 src0_sel:WORD_1
	v_cvt_pkrtz_f16_f32 v50, v70, v71
	v_cvt_pkrtz_f16_f32 v51, v72, v73
	v_cvt_pk_f32_fp8_e32 v[52:53], v31
	v_cvt_pk_f32_fp8_sdwa v[30:31], v31 src0_sel:WORD_1
	v_mfma_f32_16x16x16_f16 v[10:13], v[68:69], v[28:29], v[10:13]
	v_cvt_pk_f32_fp8_sdwa v[68:69], v42 src0_sel:WORD_1
	v_cvt_pkrtz_f16_f32 v52, v52, v53
	v_cvt_pkrtz_f16_f32 v53, v30, v31
	v_mfma_f32_16x16x16_f16 v[10:13], v[50:51], v[14:15], v[10:13]
	v_cvt_pk_f32_fp8_e32 v[30:31], v32
	v_cvt_pk_f32_fp8_sdwa v[50:51], v32 src0_sel:WORD_1
	v_cvt_pk_f32_fp8_e32 v[72:73], v3
	v_mfma_f32_16x16x16_f16 v[10:13], v[52:53], v[16:17], v[10:13]
	v_cvt_pk_f32_fp8_e32 v[52:53], v33
	v_cvt_pkrtz_f16_f32 v30, v30, v31
	v_cvt_pkrtz_f16_f32 v31, v50, v51
	v_cvt_pk_f32_fp8_sdwa v[32:33], v33 src0_sel:WORD_1
	v_cvt_pkrtz_f16_f32 v50, v52, v53
	v_cvt_pk_f32_fp8_e32 v[52:53], v46
	v_mfma_f32_16x16x16_f16 v[10:13], v[30:31], v[6:7], v[10:13]
	v_cvt_pkrtz_f16_f32 v51, v32, v33
	v_cvt_pkrtz_f16_f32 v30, v52, v53
	;; [unrolled: 1-line block ×3, first 2 shown]
	v_cvt_pk_f32_fp8_e32 v[32:33], v47
	v_cvt_pk_f32_fp8_sdwa v[46:47], v47 src0_sel:WORD_1
	v_mfma_f32_16x16x16_f16 v[50:53], v[50:51], v[8:9], v[10:13]
	v_cvt_pk_f32_fp8_sdwa v[66:67], v48 src0_sel:WORD_1
	v_cvt_pkrtz_f16_f32 v32, v32, v33
	v_cvt_pkrtz_f16_f32 v33, v46, v47
	v_mfma_f32_16x16x16_f16 v[10:13], v[30:31], v[34:35], 0
	v_cvt_pk_f32_fp8_e32 v[30:31], v48
	v_lshl_add_u64 v[46:47], s[6:7], 0, v[58:59]
	v_lshlrev_b32_e32 v58, 5, v55
	v_mfma_f32_16x16x16_f16 v[10:13], v[32:33], v[36:37], v[10:13]
	v_cvt_pk_f32_fp8_e32 v[32:33], v49
	v_cvt_pkrtz_f16_f32 v30, v30, v31
	v_cvt_pkrtz_f16_f32 v31, v66, v67
	v_cvt_pk_f32_fp8_sdwa v[48:49], v49 src0_sel:WORD_1
	v_cvt_pkrtz_f16_f32 v32, v32, v33
	v_cvt_pk_f32_fp8_e32 v[66:67], v42
	v_mfma_f32_16x16x16_f16 v[10:13], v[30:31], v[26:27], v[10:13]
	v_cvt_pkrtz_f16_f32 v33, v48, v49
	v_cvt_pkrtz_f16_f32 v30, v66, v67
	;; [unrolled: 1-line block ×3, first 2 shown]
	v_cvt_pk_f32_fp8_e32 v[48:49], v43
	v_cvt_pk_f32_fp8_sdwa v[42:43], v43 src0_sel:WORD_1
	v_mfma_f32_16x16x16_f16 v[10:13], v[32:33], v[28:29], v[10:13]
	v_lshl_add_u64 v[66:67], v[46:47], 0, v[58:59]
	v_cvt_pkrtz_f16_f32 v32, v48, v49
	v_cvt_pkrtz_f16_f32 v33, v42, v43
	v_mfma_f32_16x16x16_f16 v[10:13], v[30:31], v[14:15], v[10:13]
	v_cvt_pk_f32_fp8_e32 v[30:31], v44
	v_cvt_pk_f32_fp8_sdwa v[42:43], v44 src0_sel:WORD_1
	v_cvt_pk_f32_fp8_sdwa v[48:49], v22 src0_sel:WORD_1
	v_mfma_f32_16x16x16_f16 v[10:13], v[32:33], v[16:17], v[10:13]
	v_cvt_pkrtz_f16_f32 v30, v30, v31
	v_cvt_pkrtz_f16_f32 v31, v42, v43
	v_cvt_pk_f32_fp8_e32 v[32:33], v45
	v_cvt_pk_f32_fp8_sdwa v[42:43], v45 src0_sel:WORD_1
	v_cvt_pk_f32_fp8_e32 v[44:45], v22
	v_mfma_f32_16x16x16_f16 v[10:13], v[30:31], v[6:7], v[10:13]
	v_cvt_pkrtz_f16_f32 v32, v32, v33
	v_cvt_pkrtz_f16_f32 v33, v42, v43
	;; [unrolled: 1-line block ×4, first 2 shown]
	v_cvt_pk_f32_fp8_e32 v[48:49], v23
	v_cvt_pk_f32_fp8_sdwa v[22:23], v23 src0_sel:WORD_1
	v_mfma_f32_16x16x16_f16 v[42:45], v[32:33], v[8:9], v[10:13]
	s_waitcnt vmcnt(2)
	v_mad_i64_i32 v[68:69], s[6:7], v64, s45, v[66:67]
	v_cvt_pkrtz_f16_f32 v32, v48, v49
	v_cvt_pkrtz_f16_f32 v33, v22, v23
	v_mfma_f32_16x16x16_f16 v[10:13], v[30:31], v[34:35], 0
	v_cvt_pk_f32_fp8_e32 v[22:23], v24
	v_cvt_pk_f32_fp8_sdwa v[30:31], v24 src0_sel:WORD_1
	v_mad_i64_i32 v[48:49], s[6:7], v65, s45, v[66:67]
	v_cvt_pkrtz_f16_f32 v22, v22, v23
	v_cvt_pkrtz_f16_f32 v23, v30, v31
	v_cvt_pk_f32_fp8_e32 v[30:31], v25
	v_cvt_pk_f32_fp8_sdwa v[24:25], v25 src0_sel:WORD_1
	v_mfma_f32_16x16x16_f16 v[10:13], v[32:33], v[36:37], v[10:13]
	s_waitcnt vmcnt(0)
	v_mad_i64_i32 v[74:75], s[6:7], v63, s45, v[66:67]
	v_cvt_pkrtz_f16_f32 v70, v30, v31
	v_cvt_pkrtz_f16_f32 v71, v24, v25
	v_mfma_f32_16x16x16_f16 v[10:13], v[22:23], v[26:27], v[10:13]
	global_load_dwordx4 v[30:33], v[48:49], off
	global_load_dwordx4 v[22:25], v[68:69], off
	v_cvt_pk_f32_fp8_e32 v[68:69], v2
	v_mad_i64_i32 v[48:49], s[6:7], v62, s45, v[66:67]
	v_mfma_f32_16x16x16_f16 v[10:13], v[70:71], v[28:29], v[10:13]
	v_cvt_pk_f32_fp8_sdwa v[70:71], v2 src0_sel:WORD_1
	v_cvt_pk_f32_fp8_sdwa v[2:3], v3 src0_sel:WORD_1
	v_cvt_pkrtz_f16_f32 v68, v68, v69
	v_or_b32_e32 v58, 0x800, v58
	v_cvt_pkrtz_f16_f32 v69, v70, v71
	v_cvt_pkrtz_f16_f32 v70, v72, v73
	;; [unrolled: 1-line block ×3, first 2 shown]
	v_cvt_pk_f32_fp8_e32 v[2:3], v4
	v_cvt_pk_f32_fp8_sdwa v[72:73], v4 src0_sel:WORD_1
	v_mfma_f32_16x16x16_f16 v[66:69], v[68:69], v[14:15], v[10:13]
	v_lshl_add_u64 v[46:47], v[46:47], 0, v[58:59]
	v_cvt_pkrtz_f16_f32 v76, v2, v3
	v_cvt_pkrtz_f16_f32 v77, v72, v73
	v_cvt_pk_f32_fp8_e32 v[72:73], v5
	v_mfma_f32_16x16x16_f16 v[66:69], v[70:71], v[16:17], v[66:69]
	global_load_dwordx4 v[10:13], v[48:49], off
	global_load_dwordx4 v[2:5], v[74:75], off
	v_cvt_pkrtz_f16_f32 v49, v78, v79
	v_cvt_pkrtz_f16_f32 v48, v72, v73
	v_mfma_f32_16x16x16_f16 v[66:69], v[76:77], v[6:7], v[66:69]
	v_cvt_pk_f32_fp8_e32 v[58:59], v38
	v_cvt_pk_f32_fp8_sdwa v[70:71], v38 src0_sel:WORD_1
	v_cvt_pk_f32_fp8_e32 v[74:75], v40
	v_mfma_f32_16x16x16_f16 v[66:69], v[48:49], v[8:9], v[66:69]
	v_cvt_pk_f32_fp8_e32 v[48:49], v39
	v_cvt_pkrtz_f16_f32 v58, v58, v59
	v_cvt_pkrtz_f16_f32 v59, v70, v71
	v_cvt_pk_f32_fp8_sdwa v[38:39], v39 src0_sel:WORD_1
	v_cvt_pkrtz_f16_f32 v48, v48, v49
	v_cvt_pk_f32_fp8_sdwa v[76:77], v40 src0_sel:WORD_1
	v_mfma_f32_16x16x16_f16 v[70:73], v[58:59], v[34:35], 0
	v_cvt_pkrtz_f16_f32 v49, v38, v39
	v_cvt_pkrtz_f16_f32 v38, v74, v75
	;; [unrolled: 1-line block ×3, first 2 shown]
	v_cvt_pk_f32_fp8_e32 v[58:59], v41
	v_cvt_pk_f32_fp8_sdwa v[40:41], v41 src0_sel:WORD_1
	v_mfma_f32_16x16x16_f16 v[34:37], v[48:49], v[36:37], v[70:73]
	s_load_dword s6, s[40:41], 0x0
	v_cvt_pkrtz_f16_f32 v48, v58, v59
	v_cvt_pkrtz_f16_f32 v49, v40, v41
	v_mfma_f32_16x16x16_f16 v[70:73], v[38:39], v[26:27], v[34:37]
	v_mov_b32_e32 v74, s4
	s_waitcnt lgkmcnt(0)
	v_mul_f32_e32 v40, s6, v74
	v_pk_mul_f32 v[38:39], v[40:41], v[52:53] op_sel_hi:[0,1]
	v_mfma_f32_16x16x16_f16 v[26:29], v[48:49], v[28:29], v[70:73]
	v_cvt_pk_f32_fp8_e32 v[34:35], v18
	v_cvt_pk_f32_fp8_sdwa v[48:49], v18 src0_sel:WORD_1
	v_pk_mul_f32 v[36:37], v[40:41], v[50:51] op_sel_hi:[0,1]
	v_cvt_pk_f32_fp8_e32 v[50:51], v19
	v_cvt_pk_f32_fp8_sdwa v[18:19], v19 src0_sel:WORD_1
	v_cvt_pkrtz_f16_f32 v34, v34, v35
	v_cvt_pkrtz_f16_f32 v35, v48, v49
	v_cvt_pkrtz_f16_f32 v48, v50, v51
	v_cvt_pkrtz_f16_f32 v49, v18, v19
	v_cvt_pk_f32_fp8_e32 v[18:19], v20
	v_cvt_pk_f32_fp8_sdwa v[50:51], v20 src0_sel:WORD_1
	v_mfma_f32_16x16x16_f16 v[26:29], v[34:35], v[14:15], v[26:29]
	v_cvt_pk_f32_fp8_e32 v[34:35], v21
	v_cvt_pkrtz_f16_f32 v18, v18, v19
	v_cvt_pkrtz_f16_f32 v19, v50, v51
	v_cvt_pk_f32_fp8_sdwa v[20:21], v21 src0_sel:WORD_1
	v_mfma_f32_16x16x16_f16 v[14:17], v[48:49], v[16:17], v[26:29]
	v_pk_mul_f32 v[48:49], v[40:41], v[44:45] op_sel_hi:[0,1]
	v_pk_mul_f32 v[50:51], v[40:41], v[42:43] op_sel_hi:[0,1]
	;; [unrolled: 1-line block ×3, first 2 shown]
	v_cvt_pkrtz_f16_f32 v26, v34, v35
	v_cvt_pkrtz_f16_f32 v27, v20, v21
	v_mfma_f32_16x16x16_f16 v[14:17], v[18:19], v[6:7], v[14:17]
	v_pk_mul_f32 v[42:43], v[40:41], v[66:67] op_sel_hi:[0,1]
	v_mad_i64_i32 v[52:53], s[6:7], v65, s45, v[46:47]
	v_mfma_f32_16x16x16_f16 v[6:9], v[26:27], v[8:9], v[14:17]
	s_nop 6
	v_pk_mul_f32 v[34:35], v[40:41], v[8:9] op_sel_hi:[0,1]
	v_pk_mul_f32 v[40:41], v[40:41], v[6:7] op_sel_hi:[0,1]
	v_and_b32_e32 v6, 0xc0, v0
	v_add_u32_e32 v6, s18, v6
	v_lshl_or_b32 v6, v60, 2, v6
	v_or_b32_e32 v9, 1, v6
	v_mov_b32_e32 v7, 0xff7fffff
	v_cmp_gt_i32_e64 s[24:25], s5, v6
	v_cmp_gt_i32_e64 s[26:27], s5, v9
	v_or_b32_e32 v14, 3, v6
	v_cndmask_b32_e64 v8, v7, v36, s[24:25]
	v_cndmask_b32_e64 v9, v7, v37, s[26:27]
	v_max3_f32 v8, v8, s33, v9
	v_or_b32_e32 v9, 2, v6
	v_cmp_gt_i32_e64 s[28:29], s5, v9
	v_cmp_gt_i32_e64 s[30:31], s5, v14
	s_nop 0
	v_cndmask_b32_e64 v9, v7, v38, s[28:29]
	v_cndmask_b32_e64 v14, v7, v39, s[30:31]
	v_max3_f32 v8, v8, v9, v14
	v_or_b32_e32 v9, 16, v6
	v_or_b32_e32 v14, 17, v6
	v_cmp_gt_i32_e64 s[34:35], s5, v9
	v_cmp_gt_i32_e64 s[36:37], s5, v14
	s_nop 0
	v_cndmask_b32_e64 v9, v7, v50, s[34:35]
	v_cndmask_b32_e64 v14, v7, v51, s[36:37]
	v_max3_f32 v8, v8, v9, v14
	v_or_b32_e32 v9, 18, v6
	;; [unrolled: 8-line block ×6, first 2 shown]
	v_or_b32_e32 v6, 51, v6
	v_cmp_gt_i32_e32 vcc, s5, v9
	v_cmp_gt_i32_e64 s[4:5], s5, v6
	s_nop 0
	v_cndmask_b32_e32 v9, v7, v34, vcc
	v_cndmask_b32_e64 v6, v7, v35, s[4:5]
	v_max3_f32 v8, v8, v9, v6
	v_mbcnt_lo_u32_b32 v6, -1, 0
	v_mbcnt_hi_u32_b32 v9, -1, v6
	v_and_b32_e32 v6, 64, v9
	v_add_u32_e32 v14, 64, v6
	v_xor_b32_e32 v6, 32, v9
	v_cmp_lt_i32_e64 s[38:39], v6, v14
	s_nop 1
	v_cndmask_b32_e64 v6, v9, v6, s[38:39]
	v_lshlrev_b32_e32 v58, 2, v6
	ds_bpermute_b32 v15, v58, v8
	v_mad_i64_i32 v[6:7], s[38:39], v64, s45, v[46:47]
	global_load_dwordx4 v[26:29], v[52:53], off
	global_load_dwordx4 v[18:21], v[6:7], off
	s_waitcnt lgkmcnt(0)
	v_max_f32_e32 v6, v15, v15
	v_max_f32_e32 v15, v8, v6
	v_xor_b32_e32 v6, 16, v9
	v_cmp_lt_i32_e64 s[38:39], v6, v14
	s_nop 1
	v_cndmask_b32_e64 v6, v9, v6, s[38:39]
	v_lshlrev_b32_e32 v53, 2, v6
	ds_bpermute_b32 v14, v53, v15
	v_mad_i64_i32 v[6:7], s[38:39], v62, s45, v[46:47]
	v_mad_i64_i32 v[8:9], s[38:39], v63, s45, v[46:47]
	s_waitcnt lgkmcnt(0)
	v_max_f32_e32 v14, v14, v14
	v_max_f32_e32 v52, v15, v14
	v_sub_f32_e32 v14, v36, v52
	v_mul_f32_e32 v14, 0x3fb8aa3b, v14
	v_exp_f32_e32 v36, v14
	v_sub_f32_e32 v14, v37, v52
	v_mul_f32_e32 v14, 0x3fb8aa3b, v14
	v_exp_f32_e32 v37, v14
	global_load_dwordx4 v[14:17], v[6:7], off
	s_nop 0
	global_load_dwordx4 v[6:9], v[8:9], off
	v_sub_f32_e32 v38, v38, v52
	v_mul_f32_e32 v38, 0x3fb8aa3b, v38
	v_sub_f32_e32 v39, v39, v52
	v_exp_f32_e32 v38, v38
	v_mul_f32_e32 v39, 0x3fb8aa3b, v39
	v_exp_f32_e32 v39, v39
	v_cndmask_b32_e64 v36, 0, v36, s[24:25]
	v_add_f32_e32 v46, 0, v36
	v_cndmask_b32_e64 v37, 0, v37, s[26:27]
	v_add_f32_e32 v47, v46, v37
	;; [unrolled: 2-line block ×3, first 2 shown]
	v_cndmask_b32_e64 v47, 0, v39, s[30:31]
	v_sub_f32_e32 v39, v50, v52
	v_mul_f32_e32 v39, 0x3fb8aa3b, v39
	v_sub_f32_e32 v50, v51, v52
	v_exp_f32_e32 v39, v39
	v_mul_f32_e32 v50, 0x3fb8aa3b, v50
	v_sub_f32_e32 v48, v48, v52
	v_exp_f32_e32 v50, v50
	;; [unrolled: 3-line block ×4, first 2 shown]
	v_mul_f32_e32 v42, 0x3fb8aa3b, v42
	v_sub_f32_e32 v43, v43, v52
	v_add_f32_e32 v51, v38, v47
	v_cndmask_b32_e64 v38, 0, v39, s[34:35]
	v_exp_f32_e32 v42, v42
	v_mul_f32_e32 v43, 0x3fb8aa3b, v43
	v_sub_f32_e32 v44, v44, v52
	v_add_f32_e32 v51, v51, v38
	v_cndmask_b32_e64 v39, 0, v50, s[36:37]
	v_exp_f32_e32 v43, v43
	;; [unrolled: 5-line block ×7, first 2 shown]
	v_mul_f32_e32 v35, 0x3fb8aa3b, v35
	v_add_f32_e32 v50, v50, v44
	v_cndmask_b32_e64 v45, 0, v45, s[12:13]
	v_exp_f32_e32 v35, v35
	v_add_f32_e32 v50, v50, v45
	v_cndmask_b32_e64 v40, 0, v40, s[6:7]
	v_add_f32_e32 v50, v50, v40
	v_cndmask_b32_e64 v41, 0, v41, s[8:9]
	v_add_f32_e32 v50, v50, v41
	v_cndmask_b32_e32 v34, 0, v34, vcc
	v_add_f32_e32 v50, v50, v34
	v_cndmask_b32_e64 v35, 0, v35, s[4:5]
	v_add_f32_e32 v50, v50, v35
	ds_bpermute_b32 v51, v58, v50
	v_cmp_gt_u32_e32 vcc, 16, v61
	s_waitcnt lgkmcnt(0)
	s_barrier
	v_add_f32_e32 v50, v50, v51
	ds_bpermute_b32 v51, v53, v50
	s_and_saveexec_b64 s[4:5], vcc
	s_cbranch_execz .LBB1034_13
; %bb.12:
	s_waitcnt lgkmcnt(0)
	v_add_f32_e32 v50, v50, v51
	v_lshlrev_b32_e32 v51, 2, v55
	ds_write2st64_b32 v51, v52, v50 offset1:1
.LBB1034_13:
	s_or_b64 exec, exec, s[4:5]
	s_waitcnt lgkmcnt(0)
	v_lshlrev_b32_e32 v51, 2, v56
	s_load_dword s6, s[0:1], 0x94
	s_waitcnt lgkmcnt(0)
	s_barrier
	ds_read2_b32 v[52:53], v51 offset1:16
	ds_read2_b32 v[58:59], v51 offset0:32 offset1:48
	ds_read2_b32 v[62:63], v51 offset0:64 offset1:80
	s_mul_i32 s7, s23, 7
	s_waitcnt lgkmcnt(2)
	v_max3_f32 v50, v52, s33, v53
	s_waitcnt lgkmcnt(1)
	v_max3_f32 v50, v50, v58, v59
	v_sub_f32_e32 v52, v52, v50
	v_mul_f32_e32 v52, 0x3fb8aa3b, v52
	v_exp_f32_e32 v55, v52
	v_sub_f32_e32 v52, v53, v50
	v_mul_f32_e32 v52, 0x3fb8aa3b, v52
	v_exp_f32_e32 v61, v52
	v_sub_f32_e32 v52, v58, v50
	v_mul_f32_e32 v52, 0x3fb8aa3b, v52
	v_exp_f32_e32 v58, v52
	ds_read2_b32 v[52:53], v51 offset0:96 offset1:112
	v_sub_f32_e32 v51, v59, v50
	v_mul_f32_e32 v51, 0x3fb8aa3b, v51
	v_exp_f32_e32 v59, v51
	s_waitcnt lgkmcnt(1)
	v_fma_f32 v51, v55, v62, 0
	v_fmac_f32_e32 v51, v61, v63
	s_waitcnt lgkmcnt(0)
	v_fmac_f32_e32 v51, v58, v52
	v_fmac_f32_e32 v51, v59, v53
	v_add_f32_e32 v52, 0x358637bd, v51
	v_div_scale_f32 v53, s[4:5], v52, v52, 1.0
	v_rcp_f32_e32 v62, v53
	s_barrier
	v_fma_f32 v63, -v53, v62, 1.0
	v_fmac_f32_e32 v62, v63, v62
	v_div_scale_f32 v63, vcc, 1.0, v52, 1.0
	v_mul_f32_e32 v64, v63, v62
	v_fma_f32 v65, -v53, v64, v63
	v_fmac_f32_e32 v64, v65, v62
	v_fma_f32 v53, -v53, v64, v63
	v_div_fmas_f32 v53, v53, v62, v64
	v_cmp_eq_u32_e32 vcc, 1, v57
	v_div_fixup_f32 v52, v53, v52, 1.0
	s_nop 0
	v_cndmask_b32_e32 v53, v55, v61, vcc
	v_cmp_eq_u32_e32 vcc, 2, v57
	s_nop 1
	v_cndmask_b32_e32 v53, v53, v58, vcc
	v_cmp_eq_u32_e32 vcc, 3, v57
	s_nop 1
	v_cndmask_b32_e32 v53, v53, v59, vcc
	v_mul_f32_e32 v52, v53, v52
	v_pk_mul_f32 v[46:47], v[52:53], v[46:47] op_sel_hi:[0,1]
	v_pk_mul_f32 v[36:37], v[52:53], v[36:37] op_sel_hi:[0,1]
	v_cvt_f16_f32_e32 v53, v46
	v_cvt_f16_f32_e32 v36, v36
	;; [unrolled: 1-line block ×4, first 2 shown]
	v_pk_mul_f32 v[48:49], v[52:53], v[48:49] op_sel_hi:[0,1]
	v_pk_mul_f32 v[38:39], v[52:53], v[38:39] op_sel_hi:[0,1]
	v_cvt_f16_f32_e32 v38, v38
	v_cvt_f16_f32_e32 v39, v39
	;; [unrolled: 1-line block ×4, first 2 shown]
	v_pack_b32_f16 v46, v36, v37
	v_pack_b32_f16 v47, v53, v47
	v_lshlrev_b32_e32 v37, 3, v60
	v_lshlrev_b32_e32 v36, 5, v56
	;; [unrolled: 1-line block ×3, first 2 shown]
	v_or3_b32 v55, v53, v36, v37
	v_pack_b32_f16 v38, v38, v39
	v_pack_b32_f16 v39, v48, v49
	ds_write2st64_b64 v55, v[46:47], v[38:39] offset1:1
	v_pk_mul_f32 v[38:39], v[52:53], v[44:45] op_sel_hi:[0,1]
	v_pk_mul_f32 v[42:43], v[52:53], v[42:43] op_sel_hi:[0,1]
	v_cvt_f16_f32_e32 v37, v42
	v_cvt_f16_f32_e32 v42, v43
	;; [unrolled: 1-line block ×4, first 2 shown]
	v_pk_mul_f32 v[34:35], v[52:53], v[34:35] op_sel_hi:[0,1]
	v_pk_mul_f32 v[38:39], v[52:53], v[40:41] op_sel_hi:[0,1]
	v_cvt_f16_f32_e32 v38, v38
	v_cvt_f16_f32_e32 v39, v39
	;; [unrolled: 1-line block ×4, first 2 shown]
	v_pack_b32_f16 v34, v37, v42
	v_pack_b32_f16 v35, v43, v44
	v_pack_b32_f16 v38, v38, v39
	v_pack_b32_f16 v39, v40, v41
	v_cmp_gt_u32_e32 vcc, 7, v0
	ds_write2st64_b64 v55, v[34:35], v[38:39] offset0:2 offset1:3
	s_and_saveexec_b64 s[4:5], vcc
	s_cbranch_execz .LBB1034_15
; %bb.14:
	s_mov_b32 s49, 0
	v_mov_b32_e32 v57, 0
	v_lshl_add_u64 v[34:35], s[48:49], 0, v[56:57]
	v_mov_b32_e32 v37, s7
	v_mad_u64_u32 v[34:35], s[12:13], s2, v37, v[34:35]
	s_mul_i32 s3, s3, s7
	v_mov_b32_e32 v38, s22
	v_mov_b32_e32 v39, v57
	s_load_dwordx4 s[8:11], s[0:1], 0x58
	v_add_u32_e32 v37, s3, v35
	v_mad_u64_u32 v[34:35], s[12:13], v34, s6, v[38:39]
	v_mov_b32_e32 v38, v35
	v_mad_u64_u32 v[38:39], s[12:13], v37, s6, v[38:39]
	v_mov_b32_e32 v35, v38
	v_lshlrev_b64 v[34:35], 2, v[34:35]
	s_waitcnt lgkmcnt(0)
	v_lshl_add_u64 v[38:39], s[10:11], 0, v[34:35]
	v_lshl_add_u64 v[34:35], s[8:9], 0, v[34:35]
	global_store_dword v[38:39], v50, off
	global_store_dword v[34:35], v51, off
.LBB1034_15:
	s_or_b64 exec, exec, s[4:5]
	s_waitcnt vmcnt(7)
	v_cvt_pk_f32_fp8_e32 v[34:35], v30
	v_lshl_or_b32 v50, v60, 9, v36
	v_cvt_pk_f32_fp8_sdwa v[36:37], v30 src0_sel:WORD_1
	s_waitcnt lgkmcnt(0)
	s_barrier
	v_cvt_pk_f32_fp8_e32 v[38:39], v31
	v_cvt_pkrtz_f16_f32 v30, v34, v35
	v_cvt_pk_f32_fp8_sdwa v[40:41], v31 src0_sel:WORD_1
	v_cvt_pkrtz_f16_f32 v31, v36, v37
	ds_read_b128 v[34:37], v50
	v_cvt_pkrtz_f16_f32 v46, v38, v39
	v_cvt_pkrtz_f16_f32 v47, v40, v41
	ds_read_b128 v[38:41], v50 offset:16
	v_cvt_pk_f32_fp8_e32 v[48:49], v32
	v_cvt_pk_f32_fp8_sdwa v[52:53], v32 src0_sel:WORD_1
	s_waitcnt lgkmcnt(1)
	v_mfma_f32_16x16x16_f16 v[42:45], v[30:31], v[34:35], 0
	s_waitcnt vmcnt(6)
	v_cvt_pk_f32_fp8_e32 v[58:59], v24
	v_cvt_pkrtz_f16_f32 v30, v48, v49
	v_cvt_pkrtz_f16_f32 v31, v52, v53
	v_cvt_pk_f32_fp8_e32 v[48:49], v33
	v_mfma_f32_16x16x16_f16 v[42:45], v[46:47], v[36:37], v[42:45]
	v_cvt_pk_f32_fp8_sdwa v[46:47], v33 src0_sel:WORD_1
	v_cvt_pk_f32_fp8_sdwa v[62:63], v24 src0_sel:WORD_1
	v_cvt_pkrtz_f16_f32 v48, v48, v49
	s_waitcnt lgkmcnt(0)
	v_mfma_f32_16x16x16_f16 v[30:33], v[30:31], v[38:39], v[42:45]
	v_cvt_pkrtz_f16_f32 v49, v46, v47
	s_waitcnt vmcnt(5)
	v_cvt_pk_f32_fp8_sdwa v[66:67], v12 src0_sel:WORD_1
	s_waitcnt vmcnt(4)
	v_cvt_pk_f32_fp8_sdwa v[68:69], v4 src0_sel:WORD_1
	v_cvt_pk_f32_fp8_e32 v[42:43], v22
	v_mfma_f32_16x16x16_f16 v[46:49], v[48:49], v[40:41], v[30:33]
	s_waitcnt vmcnt(3)
	v_cvt_pk_f32_fp8_sdwa v[70:71], v28 src0_sel:WORD_1
	s_load_dword s4, s[42:43], 0x0
	v_cvt_pk_f32_fp8_sdwa v[30:31], v22 src0_sel:WORD_1
	v_cvt_pk_f32_fp8_e32 v[32:33], v23
	v_cvt_pkrtz_f16_f32 v22, v42, v43
	v_cvt_pk_f32_fp8_sdwa v[42:43], v23 src0_sel:WORD_1
	v_cvt_pkrtz_f16_f32 v23, v30, v31
	v_cvt_pkrtz_f16_f32 v52, v32, v33
	ds_read_b128 v[30:33], v50 offset:2048
	v_cvt_pkrtz_f16_f32 v53, v42, v43
	ds_read_b128 v[42:45], v50 offset:2064
	s_waitcnt lgkmcnt(0)
	v_mfma_f32_16x16x16_f16 v[46:49], v[22:23], v[30:31], v[46:49]
	v_cvt_pkrtz_f16_f32 v22, v58, v59
	v_cvt_pkrtz_f16_f32 v23, v62, v63
	v_cvt_pk_f32_fp8_e32 v[58:59], v25
	v_mfma_f32_16x16x16_f16 v[46:49], v[52:53], v[32:33], v[46:49]
	v_cvt_pk_f32_fp8_sdwa v[52:53], v25 src0_sel:WORD_1
	s_mov_b32 s3, 0
	v_cvt_pkrtz_f16_f32 v58, v58, v59
	v_mfma_f32_16x16x16_f16 v[22:25], v[22:23], v[42:43], v[46:49]
	v_cvt_pkrtz_f16_f32 v59, v52, v53
	v_cmp_gt_u32_e32 vcc, 64, v0
	s_nop 0
	v_cvt_pk_f32_fp8_e32 v[46:47], v10
	v_mfma_f32_16x16x16_f16 v[62:65], v[58:59], v[44:45], v[22:25]
	v_cvt_pk_f32_fp8_e32 v[58:59], v12
	s_nop 1
	v_cvt_pk_f32_fp8_sdwa v[22:23], v10 src0_sel:WORD_1
	v_cvt_pk_f32_fp8_e32 v[24:25], v11
	v_cvt_pkrtz_f16_f32 v10, v46, v47
	v_cvt_pk_f32_fp8_sdwa v[46:47], v11 src0_sel:WORD_1
	v_cvt_pkrtz_f16_f32 v11, v22, v23
	v_cvt_pkrtz_f16_f32 v52, v24, v25
	ds_read_b128 v[22:25], v50 offset:4096
	v_cvt_pkrtz_f16_f32 v53, v46, v47
	ds_read_b128 v[46:49], v50 offset:4112
	s_waitcnt lgkmcnt(1)
	v_mfma_f32_16x16x16_f16 v[62:65], v[10:11], v[22:23], v[62:65]
	v_cvt_pkrtz_f16_f32 v10, v58, v59
	v_cvt_pkrtz_f16_f32 v11, v66, v67
	v_cvt_pk_f32_fp8_e32 v[58:59], v13
	v_mfma_f32_16x16x16_f16 v[62:65], v[52:53], v[24:25], v[62:65]
	v_cvt_pk_f32_fp8_sdwa v[52:53], v13 src0_sel:WORD_1
	v_cvt_pk_f32_fp8_e32 v[66:67], v4
	v_cvt_pkrtz_f16_f32 v58, v58, v59
	s_waitcnt lgkmcnt(0)
	v_mfma_f32_16x16x16_f16 v[10:13], v[10:11], v[46:47], v[62:65]
	v_cvt_pkrtz_f16_f32 v59, v52, v53
	v_cvt_pk_f32_fp8_e32 v[52:53], v2
	s_nop 0
	v_mfma_f32_16x16x16_f16 v[62:65], v[58:59], v[48:49], v[10:13]
	s_nop 2
	v_cvt_pk_f32_fp8_sdwa v[10:11], v2 src0_sel:WORD_1
	v_cvt_pk_f32_fp8_e32 v[12:13], v3
	v_cvt_pkrtz_f16_f32 v2, v52, v53
	v_cvt_pk_f32_fp8_sdwa v[52:53], v3 src0_sel:WORD_1
	v_cvt_pkrtz_f16_f32 v3, v10, v11
	v_cvt_pkrtz_f16_f32 v58, v12, v13
	ds_read_b128 v[10:13], v50 offset:6144
	v_cvt_pkrtz_f16_f32 v59, v52, v53
	s_waitcnt lgkmcnt(0)
	v_mfma_f32_16x16x16_f16 v[62:65], v[2:3], v[10:11], v[62:65]
	ds_read_b128 v[50:53], v50 offset:6160
	v_cvt_pkrtz_f16_f32 v2, v66, v67
	v_cvt_pkrtz_f16_f32 v3, v68, v69
	v_cvt_pk_f32_fp8_e32 v[66:67], v5
	v_mfma_f32_16x16x16_f16 v[62:65], v[58:59], v[12:13], v[62:65]
	v_cvt_pk_f32_fp8_sdwa v[58:59], v5 src0_sel:WORD_1
	v_cvt_pk_f32_fp8_e32 v[68:69], v28
	v_cvt_pkrtz_f16_f32 v66, v66, v67
	s_waitcnt lgkmcnt(0)
	v_mfma_f32_16x16x16_f16 v[2:5], v[2:3], v[50:51], v[62:65]
	v_cvt_pkrtz_f16_f32 v67, v58, v59
	v_cvt_pk_f32_fp8_e32 v[58:59], v26
	s_nop 0
	v_cvt_pk_f32_fp8_sdwa v[62:63], v26 src0_sel:WORD_1
	v_cvt_pk_f32_fp8_e32 v[64:65], v27
	v_cvt_pkrtz_f16_f32 v58, v58, v59
	v_cvt_pk_f32_fp8_sdwa v[26:27], v27 src0_sel:WORD_1
	v_cvt_pkrtz_f16_f32 v59, v62, v63
	v_mfma_f32_16x16x16_f16 v[2:5], v[66:67], v[52:53], v[2:5]
	v_cvt_pkrtz_f16_f32 v66, v64, v65
	v_cvt_pkrtz_f16_f32 v67, v26, v27
	;; [unrolled: 1-line block ×3, first 2 shown]
	v_mfma_f32_16x16x16_f16 v[62:65], v[58:59], v[34:35], 0
	v_cvt_pkrtz_f16_f32 v27, v70, v71
	v_cvt_pk_f32_fp8_e32 v[58:59], v29
	s_barrier
	v_mfma_f32_16x16x16_f16 v[34:37], v[66:67], v[36:37], v[62:65]
	v_cvt_pkrtz_f16_f32 v58, v58, v59
	s_nop 1
	v_cvt_pk_f32_fp8_sdwa v[62:63], v29 src0_sel:WORD_1
	v_mfma_f32_16x16x16_f16 v[26:29], v[26:27], v[38:39], v[34:37]
	s_waitcnt vmcnt(2)
	v_cvt_pk_f32_fp8_e32 v[38:39], v19
	v_cvt_pkrtz_f16_f32 v59, v62, v63
	v_cvt_pk_f32_fp8_e32 v[34:35], v18
	v_cvt_pk_f32_fp8_sdwa v[36:37], v18 src0_sel:WORD_1
	v_cvt_pk_f32_fp8_sdwa v[18:19], v19 src0_sel:WORD_1
	v_mfma_f32_16x16x16_f16 v[26:29], v[58:59], v[40:41], v[26:29]
	v_cvt_pkrtz_f16_f32 v34, v34, v35
	v_cvt_pkrtz_f16_f32 v35, v36, v37
	;; [unrolled: 1-line block ×3, first 2 shown]
	v_cvt_pk_f32_fp8_e32 v[38:39], v20
	v_cvt_pk_f32_fp8_sdwa v[40:41], v20 src0_sel:WORD_1
	v_cvt_pkrtz_f16_f32 v37, v18, v19
	v_mfma_f32_16x16x16_f16 v[26:29], v[34:35], v[30:31], v[26:29]
	v_cvt_pkrtz_f16_f32 v30, v38, v39
	v_cvt_pkrtz_f16_f32 v31, v40, v41
	v_cvt_pk_f32_fp8_e32 v[34:35], v21
	v_cvt_pk_f32_fp8_sdwa v[38:39], v21 src0_sel:WORD_1
	v_mfma_f32_16x16x16_f16 v[18:21], v[36:37], v[32:33], v[26:29]
	s_waitcnt vmcnt(1)
	v_cvt_pk_f32_fp8_sdwa v[32:33], v16 src0_sel:WORD_1
	s_nop 0
	v_cvt_pkrtz_f16_f32 v26, v34, v35
	v_cvt_pkrtz_f16_f32 v27, v38, v39
	v_mfma_f32_16x16x16_f16 v[18:21], v[30:31], v[42:43], v[18:21]
	v_cvt_pk_f32_fp8_e32 v[28:29], v14
	v_cvt_pk_f32_fp8_sdwa v[30:31], v14 src0_sel:WORD_1
	v_cvt_pkrtz_f16_f32 v28, v28, v29
	v_mfma_f32_16x16x16_f16 v[18:21], v[26:27], v[44:45], v[18:21]
	v_cvt_pk_f32_fp8_e32 v[26:27], v15
	v_cvt_pkrtz_f16_f32 v29, v30, v31
	v_cvt_pk_f32_fp8_sdwa v[14:15], v15 src0_sel:WORD_1
	v_cvt_pk_f32_fp8_e32 v[30:31], v16
	v_cvt_pkrtz_f16_f32 v26, v26, v27
	v_mfma_f32_16x16x16_f16 v[18:21], v[28:29], v[22:23], v[18:21]
	v_cvt_pkrtz_f16_f32 v27, v14, v15
	v_cvt_pkrtz_f16_f32 v22, v30, v31
	;; [unrolled: 1-line block ×3, first 2 shown]
	v_cvt_pk_f32_fp8_e32 v[28:29], v17
	v_cvt_pk_f32_fp8_sdwa v[30:31], v17 src0_sel:WORD_1
	v_mfma_f32_16x16x16_f16 v[14:17], v[26:27], v[24:25], v[18:21]
	s_waitcnt vmcnt(0)
	v_cvt_pk_f32_fp8_sdwa v[24:25], v6 src0_sel:WORD_1
	s_nop 0
	v_pk_mul_f32 v[18:19], v[4:5], s[4:5] op_sel_hi:[1,0]
	v_cvt_pkrtz_f16_f32 v4, v28, v29
	v_cvt_pkrtz_f16_f32 v5, v30, v31
	v_mfma_f32_16x16x16_f16 v[14:17], v[22:23], v[46:47], v[14:17]
	v_cvt_pk_f32_fp8_e32 v[22:23], v6
	v_pk_mul_f32 v[20:21], v[2:3], s[4:5] op_sel_hi:[1,0]
	v_mfma_f32_16x16x16_f16 v[2:5], v[4:5], v[48:49], v[14:17]
	s_nop 3
	v_cvt_pk_f32_fp8_e32 v[14:15], v7
	v_cvt_pkrtz_f16_f32 v16, v22, v23
	v_cvt_pkrtz_f16_f32 v17, v24, v25
	v_cvt_pk_f32_fp8_sdwa v[6:7], v7 src0_sel:WORD_1
	v_cvt_pkrtz_f16_f32 v14, v14, v15
	v_cvt_pk_f32_fp8_e32 v[22:23], v8
	v_cvt_pk_f32_fp8_sdwa v[24:25], v8 src0_sel:WORD_1
	v_cvt_pkrtz_f16_f32 v15, v6, v7
	v_mfma_f32_16x16x16_f16 v[2:5], v[16:17], v[10:11], v[2:5]
	v_cvt_pkrtz_f16_f32 v6, v22, v23
	v_cvt_pkrtz_f16_f32 v7, v24, v25
	v_cvt_pk_f32_fp8_e32 v[10:11], v9
	v_cvt_pk_f32_fp8_sdwa v[8:9], v9 src0_sel:WORD_1
	v_mfma_f32_16x16x16_f16 v[2:5], v[14:15], v[12:13], v[2:5]
	v_cvt_f16_f32_e32 v12, v20
	v_cvt_pkrtz_f16_f32 v10, v10, v11
	v_cvt_pkrtz_f16_f32 v11, v8, v9
	v_mfma_f32_16x16x16_f16 v[2:5], v[6:7], v[50:51], v[2:5]
	v_cvt_f16_f32_e32 v6, v21
	v_cvt_f16_f32_e32 v7, v18
	;; [unrolled: 1-line block ×3, first 2 shown]
	v_mfma_f32_16x16x16_f16 v[2:5], v[10:11], v[52:53], v[2:5]
	s_nop 6
	v_pk_mul_f32 v[4:5], v[4:5], s[4:5] op_sel_hi:[1,0]
	v_pk_mul_f32 v[2:3], v[2:3], s[4:5] op_sel_hi:[1,0]
	v_cvt_f16_f32_e32 v11, v4
	v_cvt_f16_f32_e32 v9, v2
	;; [unrolled: 1-line block ×4, first 2 shown]
	v_pack_b32_f16 v2, v12, v6
	v_pack_b32_f16 v3, v7, v8
	;; [unrolled: 1-line block ×4, first 2 shown]
	ds_write2st64_b64 v55, v[2:3], v[4:5] offset1:1
	s_waitcnt lgkmcnt(0)
	s_barrier
	s_and_saveexec_b64 s[4:5], vcc
	s_cbranch_execz .LBB1034_18
; %bb.16:
	s_load_dwordx2 s[4:5], s[0:1], 0x68
	s_lshl_b32 s0, s6, 7
	s_mul_i32 s1, s7, s2
	v_lshlrev_b32_e32 v3, 6, v56
	s_mul_hi_u32 s7, s1, s0
	s_mul_i32 s6, s1, s0
	v_lshl_or_b32 v0, v0, 10, v3
	s_lshl_b64 s[6:7], s[6:7], 1
	v_lshlrev_b32_e32 v2, 5, v60
	v_and_b32_e32 v1, 16, v1
	v_and_b32_e32 v0, 0x1a00, v0
	s_waitcnt lgkmcnt(0)
	s_add_u32 s1, s4, s6
	v_or3_b32 v2, v0, v2, v1
	s_addc_u32 s4, s5, s7
	s_lshl_b32 s2, s22, 7
	s_lshl_b64 s[2:3], s[2:3], 1
	ds_read_b128 v[4:7], v2
	s_add_u32 s2, s1, s2
	s_addc_u32 s3, s4, s3
	v_mov_b32_e32 v55, 0
	v_add_u32_e32 v3, s48, v60
	v_lshl_add_u64 v[0:1], s[2:3], 0, v[54:55]
	v_mad_u64_u32 v[8:9], s[2:3], v3, s0, 0
	v_lshl_add_u64 v[8:9], v[8:9], 1, v[0:1]
	v_cmp_ne_u32_e32 vcc, 3, v60
	s_waitcnt lgkmcnt(0)
	global_store_dwordx4 v[8:9], v[4:7], off
	s_and_b64 exec, exec, vcc
	s_cbranch_execz .LBB1034_18
; %bb.17:
	ds_read_b128 v[2:5], v2 offset:128
	v_add3_u32 v6, s48, v60, 4
	v_mad_u64_u32 v[6:7], s[0:1], v6, s0, 0
	v_lshl_add_u64 v[0:1], v[6:7], 1, v[0:1]
	s_waitcnt lgkmcnt(0)
	global_store_dwordx4 v[0:1], v[2:5], off
.LBB1034_18:
	s_endpgm
	.section	.rodata,"a",@progbits
	.p2align	6, 0x0
	.amdhsa_kernel _Z39paged_attention_ll4mi_QKV_mfma16_kernelIDF16_hLN4vllm18Fp8KVCacheDataTypeE1EhLi32ELi128ELi256ELb0ELi7EEvPKT_PKT0_S7_ifPKiS9_S9_iPKfiiiPfSC_PS2_PT2_iSB_SB_
		.amdhsa_group_segment_fixed_size 8192
		.amdhsa_private_segment_fixed_size 0
		.amdhsa_kernarg_size 400
		.amdhsa_user_sgpr_count 2
		.amdhsa_user_sgpr_dispatch_ptr 0
		.amdhsa_user_sgpr_queue_ptr 0
		.amdhsa_user_sgpr_kernarg_segment_ptr 1
		.amdhsa_user_sgpr_dispatch_id 0
		.amdhsa_user_sgpr_kernarg_preload_length 0
		.amdhsa_user_sgpr_kernarg_preload_offset 0
		.amdhsa_user_sgpr_private_segment_size 0
		.amdhsa_uses_dynamic_stack 0
		.amdhsa_enable_private_segment 0
		.amdhsa_system_sgpr_workgroup_id_x 1
		.amdhsa_system_sgpr_workgroup_id_y 1
		.amdhsa_system_sgpr_workgroup_id_z 1
		.amdhsa_system_sgpr_workgroup_info 0
		.amdhsa_system_vgpr_workitem_id 0
		.amdhsa_next_free_vgpr 80
		.amdhsa_next_free_sgpr 50
		.amdhsa_accum_offset 80
		.amdhsa_reserve_vcc 1
		.amdhsa_float_round_mode_32 0
		.amdhsa_float_round_mode_16_64 0
		.amdhsa_float_denorm_mode_32 3
		.amdhsa_float_denorm_mode_16_64 3
		.amdhsa_dx10_clamp 1
		.amdhsa_ieee_mode 1
		.amdhsa_fp16_overflow 0
		.amdhsa_tg_split 0
		.amdhsa_exception_fp_ieee_invalid_op 0
		.amdhsa_exception_fp_denorm_src 0
		.amdhsa_exception_fp_ieee_div_zero 0
		.amdhsa_exception_fp_ieee_overflow 0
		.amdhsa_exception_fp_ieee_underflow 0
		.amdhsa_exception_fp_ieee_inexact 0
		.amdhsa_exception_int_div_zero 0
	.end_amdhsa_kernel
	.section	.text._Z39paged_attention_ll4mi_QKV_mfma16_kernelIDF16_hLN4vllm18Fp8KVCacheDataTypeE1EhLi32ELi128ELi256ELb0ELi7EEvPKT_PKT0_S7_ifPKiS9_S9_iPKfiiiPfSC_PS2_PT2_iSB_SB_,"axG",@progbits,_Z39paged_attention_ll4mi_QKV_mfma16_kernelIDF16_hLN4vllm18Fp8KVCacheDataTypeE1EhLi32ELi128ELi256ELb0ELi7EEvPKT_PKT0_S7_ifPKiS9_S9_iPKfiiiPfSC_PS2_PT2_iSB_SB_,comdat
.Lfunc_end1034:
	.size	_Z39paged_attention_ll4mi_QKV_mfma16_kernelIDF16_hLN4vllm18Fp8KVCacheDataTypeE1EhLi32ELi128ELi256ELb0ELi7EEvPKT_PKT0_S7_ifPKiS9_S9_iPKfiiiPfSC_PS2_PT2_iSB_SB_, .Lfunc_end1034-_Z39paged_attention_ll4mi_QKV_mfma16_kernelIDF16_hLN4vllm18Fp8KVCacheDataTypeE1EhLi32ELi128ELi256ELb0ELi7EEvPKT_PKT0_S7_ifPKiS9_S9_iPKfiiiPfSC_PS2_PT2_iSB_SB_
                                        ; -- End function
	.section	.AMDGPU.csdata,"",@progbits
; Kernel info:
; codeLenInByte = 6080
; NumSgprs: 56
; NumVgprs: 80
; NumAgprs: 0
; TotalNumVgprs: 80
; ScratchSize: 0
; MemoryBound: 0
; FloatMode: 240
; IeeeMode: 1
; LDSByteSize: 8192 bytes/workgroup (compile time only)
; SGPRBlocks: 6
; VGPRBlocks: 9
; NumSGPRsForWavesPerEU: 56
; NumVGPRsForWavesPerEU: 80
; AccumOffset: 80
; Occupancy: 6
; WaveLimiterHint : 1
; COMPUTE_PGM_RSRC2:SCRATCH_EN: 0
; COMPUTE_PGM_RSRC2:USER_SGPR: 2
; COMPUTE_PGM_RSRC2:TRAP_HANDLER: 0
; COMPUTE_PGM_RSRC2:TGID_X_EN: 1
; COMPUTE_PGM_RSRC2:TGID_Y_EN: 1
; COMPUTE_PGM_RSRC2:TGID_Z_EN: 1
; COMPUTE_PGM_RSRC2:TIDIG_COMP_CNT: 0
; COMPUTE_PGM_RSRC3_GFX90A:ACCUM_OFFSET: 19
; COMPUTE_PGM_RSRC3_GFX90A:TG_SPLIT: 0
	.section	.text._Z39paged_attention_ll4mi_QKV_mfma16_kernelIDF16_hLN4vllm18Fp8KVCacheDataTypeE1EhLi32ELi128ELi256ELb0ELi8EEvPKT_PKT0_S7_ifPKiS9_S9_iPKfiiiPfSC_PS2_PT2_iSB_SB_,"axG",@progbits,_Z39paged_attention_ll4mi_QKV_mfma16_kernelIDF16_hLN4vllm18Fp8KVCacheDataTypeE1EhLi32ELi128ELi256ELb0ELi8EEvPKT_PKT0_S7_ifPKiS9_S9_iPKfiiiPfSC_PS2_PT2_iSB_SB_,comdat
	.protected	_Z39paged_attention_ll4mi_QKV_mfma16_kernelIDF16_hLN4vllm18Fp8KVCacheDataTypeE1EhLi32ELi128ELi256ELb0ELi8EEvPKT_PKT0_S7_ifPKiS9_S9_iPKfiiiPfSC_PS2_PT2_iSB_SB_ ; -- Begin function _Z39paged_attention_ll4mi_QKV_mfma16_kernelIDF16_hLN4vllm18Fp8KVCacheDataTypeE1EhLi32ELi128ELi256ELb0ELi8EEvPKT_PKT0_S7_ifPKiS9_S9_iPKfiiiPfSC_PS2_PT2_iSB_SB_
	.globl	_Z39paged_attention_ll4mi_QKV_mfma16_kernelIDF16_hLN4vllm18Fp8KVCacheDataTypeE1EhLi32ELi128ELi256ELb0ELi8EEvPKT_PKT0_S7_ifPKiS9_S9_iPKfiiiPfSC_PS2_PT2_iSB_SB_
	.p2align	8
	.type	_Z39paged_attention_ll4mi_QKV_mfma16_kernelIDF16_hLN4vllm18Fp8KVCacheDataTypeE1EhLi32ELi128ELi256ELb0ELi8EEvPKT_PKT0_S7_ifPKiS9_S9_iPKfiiiPfSC_PS2_PT2_iSB_SB_,@function
_Z39paged_attention_ll4mi_QKV_mfma16_kernelIDF16_hLN4vllm18Fp8KVCacheDataTypeE1EhLi32ELi128ELi256ELb0ELi8EEvPKT_PKT0_S7_ifPKiS9_S9_iPKfiiiPfSC_PS2_PT2_iSB_SB_: ; @_Z39paged_attention_ll4mi_QKV_mfma16_kernelIDF16_hLN4vllm18Fp8KVCacheDataTypeE1EhLi32ELi128ELi256ELb0ELi8EEvPKT_PKT0_S7_ifPKiS9_S9_iPKfiiiPfSC_PS2_PT2_iSB_SB_
; %bb.0:
	s_load_dwordx2 s[12:13], s[0:1], 0x30
	s_mov_b32 s22, s3
	s_mov_b64 s[6:7], 0
	s_waitcnt lgkmcnt(0)
	s_cmp_lg_u64 s[12:13], 0
	s_cselect_b64 s[14:15], -1, 0
	s_and_b64 vcc, exec, s[14:15]
	s_cbranch_vccz .LBB1035_7
; %bb.1:
	s_add_i32 s8, s2, 1
	s_mov_b32 s9, 0
	s_lshl_b64 s[10:11], s[8:9], 2
	s_add_u32 s10, s12, s10
	s_mov_b32 s3, s9
	s_addc_u32 s11, s13, s11
	s_lshl_b64 s[8:9], s[2:3], 2
	s_add_u32 s8, s12, s8
	s_addc_u32 s9, s13, s9
	s_load_dword s5, s[10:11], 0x0
	s_load_dword s16, s[8:9], 0x0
	s_waitcnt lgkmcnt(0)
	s_sub_i32 s5, s5, s16
	s_cmp_eq_u32 s5, 1
	s_cselect_b64 s[8:9], -1, 0
	s_andn2_b64 vcc, exec, s[6:7]
	s_cbranch_vccnz .LBB1035_3
.LBB1035_2:
	s_mov_b32 s3, 0
	s_mov_b64 s[8:9], -1
.LBB1035_3:
	s_andn2_b64 vcc, exec, s[8:9]
	s_cbranch_vccnz .LBB1035_17
; %bb.4:
	s_load_dwordx2 s[6:7], s[0:1], 0x28
	s_lshl_b64 s[16:17], s[2:3], 2
	s_waitcnt lgkmcnt(0)
	s_add_u32 s6, s6, s16
	s_addc_u32 s7, s7, s17
	s_load_dword s38, s[6:7], 0x0
	s_lshl_b32 s18, s22, 8
	s_waitcnt lgkmcnt(0)
	s_cmp_ge_i32 s18, s38
	s_cbranch_scc1 .LBB1035_17
; %bb.5:
	s_load_dwordx2 s[6:7], s[0:1], 0x20
	s_load_dword s8, s[0:1], 0x38
	s_add_i32 s5, s38, 31
	s_ashr_i32 s9, s5, 31
	v_and_b32_e32 v1, 0xcf, v0
	s_lshr_b32 s9, s9, 27
	v_add_u32_e32 v1, s18, v1
	s_add_i32 s5, s5, s9
	v_ashrrev_i32_e32 v2, 31, v1
	s_ashr_i32 s5, s5, 5
	v_lshrrev_b32_e32 v10, 27, v2
	s_add_i32 s5, s5, -1
	s_waitcnt lgkmcnt(0)
	s_mul_i32 s8, s2, s8
	s_mov_b32 s9, 0
	v_add_u32_e32 v2, v1, v10
	s_lshl_b64 s[8:9], s[8:9], 2
	v_ashrrev_i32_e32 v2, 5, v2
	v_mov_b32_e32 v11, s5
	v_cmp_gt_i32_e32 vcc, s38, v1
	s_add_u32 s6, s6, s8
	s_addc_u32 s7, s7, s9
	v_cndmask_b32_e32 v2, v11, v2, vcc
	v_ashrrev_i32_e32 v3, 31, v2
	v_lshl_add_u64 v[4:5], v[2:3], 2, s[6:7]
	v_or_b32_e32 v2, 16, v1
	v_add_u32_e32 v3, v2, v10
	v_ashrrev_i32_e32 v3, 5, v3
	v_cmp_gt_i32_e32 vcc, s38, v2
	s_load_dwordx4 s[8:11], s[0:1], 0x8
	s_nop 0
	v_cndmask_b32_e32 v2, v11, v3, vcc
	v_ashrrev_i32_e32 v3, 31, v2
	v_lshl_add_u64 v[6:7], v[2:3], 2, s[6:7]
	v_or_b32_e32 v2, 32, v1
	v_add_u32_e32 v3, v2, v10
	v_ashrrev_i32_e32 v3, 5, v3
	v_cmp_gt_i32_e32 vcc, s38, v2
	v_or_b32_e32 v1, 48, v1
	s_nop 0
	v_cndmask_b32_e32 v2, v11, v3, vcc
	v_ashrrev_i32_e32 v3, 31, v2
	v_lshl_add_u64 v[8:9], v[2:3], 2, s[6:7]
	v_add_u32_e32 v2, v1, v10
	v_ashrrev_i32_e32 v2, 5, v2
	v_cmp_gt_i32_e32 vcc, s38, v1
	s_nop 1
	v_cndmask_b32_e32 v2, v11, v2, vcc
	v_ashrrev_i32_e32 v3, 31, v2
	v_lshl_add_u64 v[10:11], v[2:3], 2, s[6:7]
	global_load_dword v2, v[4:5], off
	global_load_dword v32, v[6:7], off
	;; [unrolled: 1-line block ×4, first 2 shown]
	s_andn2_b64 vcc, exec, s[14:15]
	s_cbranch_vccnz .LBB1035_8
; %bb.6:
	s_add_u32 s12, s12, s16
	s_addc_u32 s13, s13, s17
	s_load_dword s14, s[12:13], 0x0
	s_branch .LBB1035_9
.LBB1035_7:
	s_mov_b64 s[8:9], 0
	s_branch .LBB1035_2
.LBB1035_8:
	s_mov_b32 s14, s2
.LBB1035_9:
	s_load_dwordx4 s[44:47], s[0:1], 0x48
	v_and_b32_e32 v60, 15, v0
	v_lshlrev_b32_e32 v3, 3, v60
	s_movk_i32 s12, 0x80
	v_lshrrev_b32_e32 v62, 6, v0
	v_and_b32_e32 v63, 63, v0
	v_bfe_u32 v1, v0, 4, 2
	s_lshl_b32 s23, s4, 3
	v_cmp_gt_u32_e32 vcc, s12, v0
	v_lshlrev_b32_e32 v54, 1, v3
	v_lshlrev_b32_e32 v61, 4, v0
	s_and_saveexec_b64 s[12:13], vcc
	s_cbranch_execz .LBB1035_11
; %bb.10:
	s_load_dwordx2 s[16:17], s[0:1], 0x0
	s_waitcnt lgkmcnt(0)
	s_ashr_i32 s15, s44, 31
	s_mul_hi_u32 s19, s14, s44
	s_mul_i32 s15, s14, s15
	s_add_i32 s15, s19, s15
	s_mul_i32 s14, s14, s44
	v_lshl_or_b32 v3, v62, 2, v1
	s_lshl_b64 s[14:15], s[14:15], 1
	s_add_u32 s14, s16, s14
	v_add_lshl_u32 v4, v3, s23, 7
	s_addc_u32 s15, s17, s15
	v_ashrrev_i32_e32 v5, 31, v4
	v_lshl_add_u64 v[4:5], v[4:5], 1, s[14:15]
	v_mov_b32_e32 v55, 0
	v_lshl_add_u64 v[4:5], v[4:5], 0, v[54:55]
	global_load_dwordx4 v[4:7], v[4:5], off
	v_lshlrev_b32_e32 v9, 8, v0
	v_lshlrev_b32_e32 v8, 8, v60
	v_and_b32_e32 v9, 0x600, v9
	s_movk_i32 s14, 0x800
	v_and_or_b32 v8, v8, s14, v9
	v_lshlrev_b32_e32 v3, 5, v3
	v_and_b32_e32 v9, 16, v61
	v_or3_b32 v3, v8, v3, v9
	s_waitcnt vmcnt(0)
	ds_write_b128 v3, v[4:7]
.LBB1035_11:
	s_or_b64 exec, exec, s[12:13]
	s_waitcnt lgkmcnt(0)
	s_mul_i32 s12, s4, s46
	s_add_u32 s8, s8, s12
	s_addc_u32 s9, s9, 0
	v_mov_b32_e32 v57, 0
	v_mov_b64_e32 v[24:25], s[8:9]
	v_and_b32_e32 v8, 48, v0
	s_waitcnt vmcnt(3)
	v_mad_i64_i32 v[2:3], s[8:9], v2, s45, v[24:25]
	v_lshlrev_b32_e32 v22, 4, v60
	v_mov_b32_e32 v23, v57
	v_lshlrev_b32_e32 v56, 5, v8
	v_lshl_add_u64 v[2:3], v[2:3], 0, v[22:23]
	v_lshl_add_u64 v[6:7], v[2:3], 0, v[56:57]
	s_load_dword s33, s[0:1], 0x98
	s_load_dwordx4 s[40:43], s[0:1], 0x80
	s_waitcnt lgkmcnt(0)
	s_barrier
	global_load_dwordx4 v[10:13], v[6:7], off
	global_load_dwordx4 v[2:5], v[6:7], off offset:2048
	s_ashr_i32 s4, s18, 31
	v_and_b32_e32 v6, 7, v0
	v_mov_b32_e32 v38, s5
	v_or_b32_e32 v34, 0x100, v22
	v_mov_b32_e32 v35, v57
	s_lshr_b32 s9, s4, 27
	s_waitcnt vmcnt(4)
	v_mad_i64_i32 v[32:33], s[4:5], v32, s45, v[24:25]
	v_lshlrev_b32_e32 v6, 5, v6
	s_waitcnt vmcnt(3)
	v_mad_i64_i32 v[36:37], s[4:5], v30, s45, v[24:25]
	s_waitcnt vmcnt(2)
	v_mad_i64_i32 v[24:25], s[4:5], v31, s45, v[24:25]
	v_lshl_add_u64 v[30:31], v[32:33], 0, v[34:35]
	v_lshl_or_b32 v6, v1, 9, v6
	v_lshl_add_u64 v[30:31], v[30:31], 0, v[56:57]
	v_or_b32_e32 v39, s18, v8
	ds_read_b128 v[26:29], v6
	ds_read_b128 v[18:21], v6 offset:16
	ds_read_b128 v[14:17], v6 offset:2048
	ds_read_b128 v[6:9], v6 offset:2064
	global_load_dwordx4 v[50:53], v[30:31], off
	v_or_b32_e32 v40, 64, v39
	v_add_u32_e32 v32, s9, v39
	v_or_b32_e32 v41, 0x80, v39
	v_add_u32_e32 v33, s9, v40
	v_ashrrev_i32_e32 v32, 5, v32
	v_cmp_gt_i32_e32 vcc, s38, v39
	v_or_b32_e32 v42, 0xc0, v39
	v_add_u32_e32 v43, s9, v41
	v_ashrrev_i32_e32 v33, 5, v33
	v_cndmask_b32_e32 v46, v38, v32, vcc
	v_cmp_gt_i32_e32 vcc, s38, v40
	v_add_u32_e32 v44, s9, v42
	v_lshl_add_u64 v[22:23], v[36:37], 0, v[22:23]
	v_lshl_add_u64 v[24:25], v[24:25], 0, v[34:35]
	v_ashrrev_i32_e32 v43, 5, v43
	v_cndmask_b32_e32 v48, v38, v33, vcc
	v_cmp_gt_i32_e32 vcc, s38, v41
	v_ashrrev_i32_e32 v44, 5, v44
	v_lshl_add_u64 v[34:35], v[22:23], 0, v[56:57]
	v_lshl_add_u64 v[36:37], v[24:25], 0, v[56:57]
	v_cndmask_b32_e32 v58, v38, v43, vcc
	v_cmp_gt_i32_e32 vcc, s38, v42
	v_ashrrev_i32_e32 v47, 31, v46
	v_ashrrev_i32_e32 v49, 31, v48
	v_cndmask_b32_e32 v64, v38, v44, vcc
	global_load_dwordx4 v[30:33], v[30:31], off offset:2048
	s_nop 0
	global_load_dwordx4 v[22:25], v[34:35], off
	global_load_dwordx4 v[42:45], v[34:35], off offset:2048
	global_load_dwordx4 v[38:41], v[36:37], off
	s_nop 0
	global_load_dwordx4 v[34:37], v[36:37], off offset:2048
	v_ashrrev_i32_e32 v59, 31, v58
	v_ashrrev_i32_e32 v65, 31, v64
	v_lshl_add_u64 v[46:47], v[46:47], 2, s[6:7]
	v_lshl_add_u64 v[48:49], v[48:49], 2, s[6:7]
	;; [unrolled: 1-line block ×4, first 2 shown]
	global_load_dword v67, v[46:47], off
	global_load_dword v65, v[48:49], off
	;; [unrolled: 1-line block ×4, first 2 shown]
	s_add_u32 s4, s10, s12
	s_addc_u32 s5, s11, 0
	v_and_b32_e32 v56, 16, v0
	v_lshl_or_b32 v66, v62, 4, v60
	s_load_dword s8, s[0:1], 0x1c
	s_waitcnt vmcnt(11)
	v_cvt_pk_f32_fp8_e32 v[46:47], v10
	v_cvt_pk_f32_fp8_sdwa v[48:49], v10 src0_sel:WORD_1
	v_cvt_pk_f32_fp8_e32 v[58:59], v11
	v_cvt_pk_f32_fp8_sdwa v[10:11], v11 src0_sel:WORD_1
	v_cvt_pkrtz_f16_f32 v46, v46, v47
	v_cvt_pkrtz_f16_f32 v47, v48, v49
	v_cvt_pk_f32_fp8_e32 v[68:69], v12
	v_cvt_pk_f32_fp8_sdwa v[70:71], v12 src0_sel:WORD_1
	v_cvt_pkrtz_f16_f32 v58, v58, v59
	v_cvt_pkrtz_f16_f32 v59, v10, v11
	v_cvt_pk_f32_fp8_e32 v[48:49], v13
	v_cvt_pk_f32_fp8_sdwa v[72:73], v13 src0_sel:WORD_1
	s_waitcnt lgkmcnt(0)
	v_mfma_f32_16x16x16_f16 v[10:13], v[46:47], v[26:27], 0
	v_cvt_pkrtz_f16_f32 v68, v68, v69
	v_cvt_pkrtz_f16_f32 v69, v70, v71
	s_waitcnt vmcnt(10)
	v_cvt_pk_f32_fp8_e32 v[46:47], v2
	v_mfma_f32_16x16x16_f16 v[10:13], v[58:59], v[28:29], v[10:13]
	v_cvt_pk_f32_fp8_sdwa v[58:59], v2 src0_sel:WORD_1
	v_cvt_pkrtz_f16_f32 v48, v48, v49
	v_cvt_pkrtz_f16_f32 v49, v72, v73
	v_mfma_f32_16x16x16_f16 v[10:13], v[68:69], v[18:19], v[10:13]
	v_cvt_pk_f32_fp8_e32 v[68:69], v3
	v_cvt_pkrtz_f16_f32 v46, v46, v47
	v_cvt_pkrtz_f16_f32 v47, v58, v59
	v_cvt_pk_f32_fp8_sdwa v[2:3], v3 src0_sel:WORD_1
	v_mfma_f32_16x16x16_f16 v[10:13], v[48:49], v[20:21], v[10:13]
	v_cvt_pkrtz_f16_f32 v48, v68, v69
	v_cvt_pk_f32_fp8_e32 v[58:59], v4
	v_cvt_pk_f32_fp8_sdwa v[68:69], v4 src0_sel:WORD_1
	v_cvt_pkrtz_f16_f32 v49, v2, v3
	v_mfma_f32_16x16x16_f16 v[10:13], v[46:47], v[14:15], v[10:13]
	v_cvt_pkrtz_f16_f32 v46, v58, v59
	v_cvt_pkrtz_f16_f32 v47, v68, v69
	v_cvt_pk_f32_fp8_e32 v[58:59], v5
	v_cvt_pk_f32_fp8_sdwa v[68:69], v5 src0_sel:WORD_1
	v_mfma_f32_16x16x16_f16 v[2:5], v[48:49], v[16:17], v[10:13]
	s_waitcnt vmcnt(7)
	v_cvt_pk_f32_fp8_e32 v[72:73], v25
	s_nop 0
	v_cvt_pkrtz_f16_f32 v10, v58, v59
	v_cvt_pkrtz_f16_f32 v11, v68, v69
	v_mfma_f32_16x16x16_f16 v[2:5], v[46:47], v[6:7], v[2:5]
	v_cvt_pk_f32_fp8_e32 v[12:13], v50
	v_cvt_pk_f32_fp8_sdwa v[58:59], v50 src0_sel:WORD_1
	v_cvt_pk_f32_fp8_sdwa v[74:75], v25 src0_sel:WORD_1
	v_mfma_f32_16x16x16_f16 v[46:49], v[10:11], v[8:9], v[2:5]
	v_cvt_pk_f32_fp8_sdwa v[10:11], v51 src0_sel:WORD_1
	s_waitcnt vmcnt(6)
	v_cvt_pk_f32_fp8_sdwa v[78:79], v44 src0_sel:WORD_1
	v_cvt_pk_f32_fp8_e32 v[2:3], v51
	v_cvt_pkrtz_f16_f32 v4, v12, v13
	v_cvt_pkrtz_f16_f32 v5, v58, v59
	v_cvt_pk_f32_fp8_e32 v[50:51], v52
	v_cvt_pkrtz_f16_f32 v12, v2, v3
	v_cvt_pk_f32_fp8_sdwa v[58:59], v52 src0_sel:WORD_1
	v_cvt_pkrtz_f16_f32 v13, v10, v11
	v_mfma_f32_16x16x16_f16 v[2:5], v[4:5], v[26:27], 0
	v_cvt_pkrtz_f16_f32 v10, v50, v51
	v_cvt_pkrtz_f16_f32 v11, v58, v59
	v_cvt_pk_f32_fp8_e32 v[50:51], v53
	v_cvt_pk_f32_fp8_sdwa v[52:53], v53 src0_sel:WORD_1
	v_mfma_f32_16x16x16_f16 v[2:5], v[12:13], v[28:29], v[2:5]
	v_lshl_add_u64 v[58:59], s[4:5], 0, v[56:57]
	v_cvt_pkrtz_f16_f32 v12, v50, v51
	v_cvt_pkrtz_f16_f32 v13, v52, v53
	v_mfma_f32_16x16x16_f16 v[2:5], v[10:11], v[18:19], v[2:5]
	v_cvt_pk_f32_fp8_e32 v[10:11], v30
	v_cvt_pk_f32_fp8_sdwa v[50:51], v30 src0_sel:WORD_1
	v_cvt_pk_f32_fp8_sdwa v[52:53], v32 src0_sel:WORD_1
	v_mfma_f32_16x16x16_f16 v[2:5], v[12:13], v[20:21], v[2:5]
	v_cvt_pk_f32_fp8_e32 v[12:13], v31
	v_cvt_pkrtz_f16_f32 v10, v10, v11
	v_cvt_pkrtz_f16_f32 v11, v50, v51
	v_cvt_pk_f32_fp8_sdwa v[30:31], v31 src0_sel:WORD_1
	v_cvt_pkrtz_f16_f32 v12, v12, v13
	v_cvt_pk_f32_fp8_e32 v[50:51], v32
	v_mfma_f32_16x16x16_f16 v[2:5], v[10:11], v[14:15], v[2:5]
	v_cvt_pkrtz_f16_f32 v13, v30, v31
	v_cvt_pkrtz_f16_f32 v10, v50, v51
	;; [unrolled: 1-line block ×3, first 2 shown]
	v_cvt_pk_f32_fp8_e32 v[30:31], v33
	v_cvt_pk_f32_fp8_sdwa v[32:33], v33 src0_sel:WORD_1
	v_mfma_f32_16x16x16_f16 v[2:5], v[12:13], v[16:17], v[2:5]
	v_lshlrev_b32_e32 v56, 5, v66
	v_cvt_pkrtz_f16_f32 v12, v30, v31
	v_cvt_pkrtz_f16_f32 v13, v32, v33
	v_mfma_f32_16x16x16_f16 v[2:5], v[10:11], v[6:7], v[2:5]
	v_cvt_pk_f32_fp8_e32 v[10:11], v22
	v_cvt_pk_f32_fp8_sdwa v[30:31], v22 src0_sel:WORD_1
	v_lshl_add_u64 v[68:69], v[58:59], 0, v[56:57]
	v_mfma_f32_16x16x16_f16 v[50:53], v[12:13], v[8:9], v[2:5]
	s_waitcnt vmcnt(3)
	v_mad_i64_i32 v[12:13], s[4:5], v67, s45, v[68:69]
	s_waitcnt vmcnt(2)
	v_mad_i64_i32 v[70:71], s[4:5], v65, s45, v[68:69]
	v_cvt_pkrtz_f16_f32 v2, v10, v11
	v_cvt_pkrtz_f16_f32 v3, v30, v31
	v_cvt_pk_f32_fp8_e32 v[4:5], v23
	v_cvt_pk_f32_fp8_sdwa v[10:11], v23 src0_sel:WORD_1
	v_cvt_pk_f32_fp8_sdwa v[30:31], v24 src0_sel:WORD_1
	v_or_b32_e32 v56, 0x800, v56
	v_cvt_pkrtz_f16_f32 v22, v4, v5
	v_cvt_pkrtz_f16_f32 v23, v10, v11
	v_cvt_pk_f32_fp8_e32 v[10:11], v24
	v_mfma_f32_16x16x16_f16 v[2:5], v[2:3], v[26:27], 0
	v_cvt_pkrtz_f16_f32 v10, v10, v11
	v_cvt_pkrtz_f16_f32 v11, v30, v31
	v_mfma_f32_16x16x16_f16 v[2:5], v[22:23], v[28:29], v[2:5]
	global_load_dwordx4 v[30:33], v[12:13], off
	global_load_dwordx4 v[22:25], v[70:71], off
	v_cvt_pkrtz_f16_f32 v12, v72, v73
	v_cvt_pkrtz_f16_f32 v13, v74, v75
	v_mfma_f32_16x16x16_f16 v[2:5], v[10:11], v[18:19], v[2:5]
	v_cvt_pk_f32_fp8_e32 v[10:11], v42
	v_cvt_pk_f32_fp8_sdwa v[70:71], v42 src0_sel:WORD_1
	s_waitcnt vmcnt(3)
	v_mad_i64_i32 v[72:73], s[4:5], v55, s45, v[68:69]
	v_mfma_f32_16x16x16_f16 v[2:5], v[12:13], v[20:21], v[2:5]
	v_cvt_pkrtz_f16_f32 v10, v10, v11
	v_cvt_pkrtz_f16_f32 v11, v70, v71
	v_cvt_pk_f32_fp8_e32 v[12:13], v43
	v_cvt_pk_f32_fp8_sdwa v[42:43], v43 src0_sel:WORD_1
	s_waitcnt vmcnt(2)
	v_mad_i64_i32 v[74:75], s[4:5], v64, s45, v[68:69]
	v_cvt_pkrtz_f16_f32 v76, v12, v13
	v_cvt_pkrtz_f16_f32 v77, v42, v43
	v_cvt_pk_f32_fp8_e32 v[42:43], v44
	v_mfma_f32_16x16x16_f16 v[68:71], v[10:11], v[14:15], v[2:5]
	global_load_dwordx4 v[10:13], v[72:73], off
	s_nop 1
	global_load_dwordx4 v[2:5], v[74:75], off
	v_cvt_pkrtz_f16_f32 v73, v78, v79
	v_cvt_pkrtz_f16_f32 v72, v42, v43
	v_cvt_pk_f32_fp8_e32 v[74:75], v45
	v_cvt_pk_f32_fp8_sdwa v[44:45], v45 src0_sel:WORD_1
	v_mfma_f32_16x16x16_f16 v[68:71], v[76:77], v[16:17], v[68:71]
	v_lshl_add_u64 v[42:43], v[58:59], 0, v[56:57]
	v_cvt_pkrtz_f16_f32 v74, v74, v75
	v_cvt_pkrtz_f16_f32 v75, v44, v45
	v_mfma_f32_16x16x16_f16 v[56:59], v[72:73], v[6:7], v[68:71]
	v_cvt_pk_f32_fp8_e32 v[44:45], v38
	v_cvt_pk_f32_fp8_sdwa v[76:77], v40 src0_sel:WORD_1
	s_load_dword s4, s[40:41], 0x0
	v_cvt_pk_f32_fp8_sdwa v[68:69], v38 src0_sel:WORD_1
	v_cvt_pk_f32_fp8_e32 v[70:71], v39
	v_cvt_pkrtz_f16_f32 v44, v44, v45
	v_cvt_pk_f32_fp8_sdwa v[38:39], v39 src0_sel:WORD_1
	v_cvt_pkrtz_f16_f32 v45, v68, v69
	v_mfma_f32_16x16x16_f16 v[56:59], v[74:75], v[8:9], v[56:59]
	v_cvt_pkrtz_f16_f32 v72, v70, v71
	v_cvt_pk_f32_fp8_e32 v[74:75], v40
	v_cvt_pkrtz_f16_f32 v73, v38, v39
	v_mfma_f32_16x16x16_f16 v[68:71], v[44:45], v[26:27], 0
	v_cvt_pkrtz_f16_f32 v39, v76, v77
	v_cvt_pkrtz_f16_f32 v38, v74, v75
	v_cvt_pk_f32_fp8_e32 v[44:45], v41
	v_cvt_pk_f32_fp8_sdwa v[40:41], v41 src0_sel:WORD_1
	v_mfma_f32_16x16x16_f16 v[26:29], v[72:73], v[28:29], v[68:71]
	s_mov_b32 s40, 0xff7fffff
	v_cvt_pkrtz_f16_f32 v44, v44, v45
	v_cvt_pkrtz_f16_f32 v45, v40, v41
	v_mfma_f32_16x16x16_f16 v[26:29], v[38:39], v[18:19], v[26:29]
	v_mov_b32_e32 v68, s8
	s_waitcnt lgkmcnt(0)
	v_mul_f32_e32 v40, s4, v68
	v_pk_mul_f32 v[38:39], v[40:41], v[48:49] op_sel_hi:[0,1]
	v_mfma_f32_16x16x16_f16 v[18:21], v[44:45], v[20:21], v[26:29]
	v_cvt_pk_f32_fp8_e32 v[44:45], v35
	v_pk_mul_f32 v[46:47], v[40:41], v[46:47] op_sel_hi:[0,1]
	v_pk_mul_f32 v[48:49], v[40:41], v[52:53] op_sel_hi:[0,1]
	v_cvt_pk_f32_fp8_e32 v[26:27], v34
	v_cvt_pk_f32_fp8_sdwa v[28:29], v34 src0_sel:WORD_1
	v_cvt_pk_f32_fp8_sdwa v[34:35], v35 src0_sel:WORD_1
	v_pk_mul_f32 v[52:53], v[40:41], v[50:51] op_sel_hi:[0,1]
	v_cvt_pkrtz_f16_f32 v26, v26, v27
	v_cvt_pkrtz_f16_f32 v27, v28, v29
	;; [unrolled: 1-line block ×4, first 2 shown]
	v_cvt_pk_f32_fp8_e32 v[34:35], v36
	v_cvt_pk_f32_fp8_sdwa v[44:45], v36 src0_sel:WORD_1
	v_mfma_f32_16x16x16_f16 v[18:21], v[26:27], v[14:15], v[18:21]
	v_pk_mul_f32 v[50:51], v[40:41], v[56:57] op_sel_hi:[0,1]
	v_cvt_pkrtz_f16_f32 v26, v34, v35
	v_cvt_pkrtz_f16_f32 v27, v44, v45
	v_cvt_pk_f32_fp8_e32 v[34:35], v37
	v_cvt_pk_f32_fp8_sdwa v[36:37], v37 src0_sel:WORD_1
	v_mfma_f32_16x16x16_f16 v[14:17], v[28:29], v[16:17], v[18:21]
	v_pk_mul_f32 v[44:45], v[40:41], v[58:59] op_sel_hi:[0,1]
	v_mad_i64_i32 v[68:69], s[4:5], v67, s45, v[42:43]
	s_nop 0
	v_cvt_pkrtz_f16_f32 v18, v34, v35
	v_cvt_pkrtz_f16_f32 v19, v36, v37
	v_mfma_f32_16x16x16_f16 v[14:17], v[26:27], v[6:7], v[14:17]
	s_nop 0
	v_mfma_f32_16x16x16_f16 v[6:9], v[18:19], v[8:9], v[14:17]
	s_nop 6
	v_pk_mul_f32 v[34:35], v[40:41], v[8:9] op_sel_hi:[0,1]
	v_pk_mul_f32 v[40:41], v[40:41], v[6:7] op_sel_hi:[0,1]
	v_and_b32_e32 v6, 0xc0, v0
	v_add_u32_e32 v6, s18, v6
	v_lshl_or_b32 v6, v1, 2, v6
	v_or_b32_e32 v9, 1, v6
	v_mov_b32_e32 v7, 0xff7fffff
	v_cmp_gt_i32_e64 s[24:25], s38, v6
	v_cmp_gt_i32_e64 s[26:27], s38, v9
	v_or_b32_e32 v14, 3, v6
	v_cndmask_b32_e64 v8, v7, v46, s[24:25]
	v_cndmask_b32_e64 v9, v7, v47, s[26:27]
	v_max3_f32 v8, v8, s40, v9
	v_or_b32_e32 v9, 2, v6
	v_cmp_gt_i32_e64 s[28:29], s38, v9
	v_cmp_gt_i32_e64 s[30:31], s38, v14
	s_nop 0
	v_cndmask_b32_e64 v9, v7, v38, s[28:29]
	v_cndmask_b32_e64 v14, v7, v39, s[30:31]
	v_max3_f32 v8, v8, v9, v14
	v_or_b32_e32 v9, 16, v6
	v_or_b32_e32 v14, 17, v6
	v_cmp_gt_i32_e64 s[34:35], s38, v9
	v_cmp_gt_i32_e64 s[36:37], s38, v14
	s_nop 0
	v_cndmask_b32_e64 v9, v7, v52, s[34:35]
	v_cndmask_b32_e64 v14, v7, v53, s[36:37]
	v_max3_f32 v8, v8, v9, v14
	v_or_b32_e32 v9, 18, v6
	;; [unrolled: 8-line block ×6, first 2 shown]
	v_or_b32_e32 v6, 51, v6
	v_cmp_gt_i32_e32 vcc, s38, v9
	v_cmp_gt_i32_e64 s[4:5], s38, v6
	s_nop 0
	v_cndmask_b32_e32 v9, v7, v34, vcc
	v_cndmask_b32_e64 v6, v7, v35, s[4:5]
	v_max3_f32 v8, v8, v9, v6
	v_mbcnt_lo_u32_b32 v6, -1, 0
	v_mbcnt_hi_u32_b32 v9, -1, v6
	v_and_b32_e32 v6, 64, v9
	v_add_u32_e32 v14, 64, v6
	v_xor_b32_e32 v6, 32, v9
	v_cmp_lt_i32_e64 s[38:39], v6, v14
	s_nop 1
	v_cndmask_b32_e64 v6, v9, v6, s[38:39]
	v_lshlrev_b32_e32 v56, 2, v6
	ds_bpermute_b32 v15, v56, v8
	v_mad_i64_i32 v[6:7], s[38:39], v65, s45, v[42:43]
	global_load_dwordx4 v[26:29], v[68:69], off
	global_load_dwordx4 v[18:21], v[6:7], off
	s_waitcnt lgkmcnt(0)
	v_max_f32_e32 v6, v15, v15
	v_max_f32_e32 v15, v8, v6
	v_xor_b32_e32 v6, 16, v9
	v_cmp_lt_i32_e64 s[38:39], v6, v14
	s_nop 1
	v_cndmask_b32_e64 v6, v9, v6, s[38:39]
	v_lshlrev_b32_e32 v57, 2, v6
	ds_bpermute_b32 v14, v57, v15
	v_mad_i64_i32 v[6:7], s[38:39], v55, s45, v[42:43]
	v_mad_i64_i32 v[8:9], s[38:39], v64, s45, v[42:43]
	s_waitcnt lgkmcnt(0)
	v_max_f32_e32 v14, v14, v14
	v_max_f32_e32 v55, v15, v14
	v_sub_f32_e32 v14, v46, v55
	v_mul_f32_e32 v14, 0x3fb8aa3b, v14
	v_exp_f32_e32 v36, v14
	v_sub_f32_e32 v14, v47, v55
	v_mul_f32_e32 v14, 0x3fb8aa3b, v14
	v_exp_f32_e32 v37, v14
	global_load_dwordx4 v[14:17], v[6:7], off
	s_nop 0
	global_load_dwordx4 v[6:9], v[8:9], off
	v_sub_f32_e32 v38, v38, v55
	v_mul_f32_e32 v38, 0x3fb8aa3b, v38
	v_sub_f32_e32 v39, v39, v55
	v_exp_f32_e32 v38, v38
	v_mul_f32_e32 v39, 0x3fb8aa3b, v39
	v_exp_f32_e32 v39, v39
	v_cndmask_b32_e64 v36, 0, v36, s[24:25]
	v_add_f32_e32 v42, 0, v36
	v_cndmask_b32_e64 v37, 0, v37, s[26:27]
	v_add_f32_e32 v42, v42, v37
	;; [unrolled: 2-line block ×3, first 2 shown]
	v_cndmask_b32_e64 v47, 0, v39, s[30:31]
	v_sub_f32_e32 v39, v52, v55
	v_sub_f32_e32 v42, v53, v55
	v_mul_f32_e32 v39, 0x3fb8aa3b, v39
	v_mul_f32_e32 v42, 0x3fb8aa3b, v42
	v_exp_f32_e32 v39, v39
	v_exp_f32_e32 v42, v42
	v_add_f32_e32 v43, v38, v47
	v_sub_f32_e32 v44, v44, v55
	v_cndmask_b32_e64 v38, 0, v39, s[34:35]
	v_cndmask_b32_e64 v39, 0, v42, s[36:37]
	v_sub_f32_e32 v42, v48, v55
	v_mul_f32_e32 v42, 0x3fb8aa3b, v42
	v_exp_f32_e32 v42, v42
	v_sub_f32_e32 v48, v49, v55
	v_add_f32_e32 v43, v43, v38
	v_mul_f32_e32 v48, 0x3fb8aa3b, v48
	v_exp_f32_e32 v49, v48
	v_add_f32_e32 v43, v43, v39
	v_cndmask_b32_e64 v48, 0, v42, s[18:19]
	v_add_f32_e32 v42, v43, v48
	v_sub_f32_e32 v43, v50, v55
	v_mul_f32_e32 v43, 0x3fb8aa3b, v43
	v_sub_f32_e32 v50, v51, v55
	v_exp_f32_e32 v43, v43
	v_mul_f32_e32 v50, 0x3fb8aa3b, v50
	v_exp_f32_e32 v50, v50
	v_mul_f32_e32 v44, 0x3fb8aa3b, v44
	v_sub_f32_e32 v45, v45, v55
	v_exp_f32_e32 v44, v44
	v_mul_f32_e32 v45, 0x3fb8aa3b, v45
	v_sub_f32_e32 v40, v40, v55
	v_cndmask_b32_e64 v49, 0, v49, s[20:21]
	v_exp_f32_e32 v45, v45
	v_mul_f32_e32 v40, 0x3fb8aa3b, v40
	v_sub_f32_e32 v41, v41, v55
	v_add_f32_e32 v51, v42, v49
	v_cndmask_b32_e64 v42, 0, v43, s[14:15]
	v_exp_f32_e32 v40, v40
	v_mul_f32_e32 v41, 0x3fb8aa3b, v41
	v_sub_f32_e32 v34, v34, v55
	v_add_f32_e32 v51, v51, v42
	;; [unrolled: 5-line block ×3, first 2 shown]
	v_cndmask_b32_e64 v44, 0, v44, s[10:11]
	v_exp_f32_e32 v34, v34
	v_mul_f32_e32 v35, 0x3fb8aa3b, v35
	v_add_f32_e32 v50, v50, v44
	v_cndmask_b32_e64 v45, 0, v45, s[12:13]
	v_exp_f32_e32 v35, v35
	v_add_f32_e32 v50, v50, v45
	v_cndmask_b32_e64 v40, 0, v40, s[6:7]
	v_add_f32_e32 v50, v50, v40
	v_cndmask_b32_e64 v41, 0, v41, s[8:9]
	v_add_f32_e32 v50, v50, v41
	v_cndmask_b32_e32 v34, 0, v34, vcc
	v_add_f32_e32 v50, v50, v34
	v_cndmask_b32_e64 v35, 0, v35, s[4:5]
	v_add_f32_e32 v50, v50, v35
	ds_bpermute_b32 v51, v56, v50
	v_cmp_gt_u32_e32 vcc, 16, v63
	s_waitcnt lgkmcnt(0)
	s_barrier
	v_add_f32_e32 v50, v50, v51
	ds_bpermute_b32 v51, v57, v50
	s_and_saveexec_b64 s[4:5], vcc
	s_cbranch_execz .LBB1035_13
; %bb.12:
	s_waitcnt lgkmcnt(0)
	v_add_f32_e32 v50, v50, v51
	v_lshlrev_b32_e32 v51, 2, v66
	ds_write2st64_b32 v51, v55, v50 offset1:1
.LBB1035_13:
	s_or_b64 exec, exec, s[4:5]
	s_waitcnt lgkmcnt(0)
	v_lshlrev_b32_e32 v51, 2, v60
	s_load_dword s6, s[0:1], 0x94
	s_waitcnt lgkmcnt(0)
	s_barrier
	ds_read2_b32 v[52:53], v51 offset1:16
	ds_read2_b32 v[56:57], v51 offset0:32 offset1:48
	ds_read2_b32 v[58:59], v51 offset0:64 offset1:80
	s_lshl_b32 s7, s33, 3
	s_waitcnt lgkmcnt(2)
	v_max3_f32 v50, v52, s40, v53
	s_waitcnt lgkmcnt(1)
	v_max3_f32 v50, v50, v56, v57
	v_sub_f32_e32 v52, v52, v50
	v_mul_f32_e32 v52, 0x3fb8aa3b, v52
	v_exp_f32_e32 v55, v52
	v_sub_f32_e32 v52, v53, v50
	v_mul_f32_e32 v52, 0x3fb8aa3b, v52
	v_exp_f32_e32 v63, v52
	v_sub_f32_e32 v52, v56, v50
	v_mul_f32_e32 v52, 0x3fb8aa3b, v52
	v_exp_f32_e32 v56, v52
	ds_read2_b32 v[52:53], v51 offset0:96 offset1:112
	v_sub_f32_e32 v51, v57, v50
	v_mul_f32_e32 v51, 0x3fb8aa3b, v51
	v_exp_f32_e32 v57, v51
	s_waitcnt lgkmcnt(1)
	v_fma_f32 v51, v55, v58, 0
	v_fmac_f32_e32 v51, v63, v59
	s_waitcnt lgkmcnt(0)
	v_fmac_f32_e32 v51, v56, v52
	v_fmac_f32_e32 v51, v57, v53
	v_add_f32_e32 v52, 0x358637bd, v51
	v_div_scale_f32 v53, s[4:5], v52, v52, 1.0
	v_rcp_f32_e32 v58, v53
	s_barrier
	v_fma_f32 v59, -v53, v58, 1.0
	v_fmac_f32_e32 v58, v59, v58
	v_div_scale_f32 v59, vcc, 1.0, v52, 1.0
	v_mul_f32_e32 v64, v59, v58
	v_fma_f32 v65, -v53, v64, v59
	v_fmac_f32_e32 v64, v65, v58
	v_fma_f32 v53, -v53, v64, v59
	v_div_fmas_f32 v53, v53, v58, v64
	v_cmp_eq_u32_e32 vcc, 1, v62
	v_div_fixup_f32 v52, v53, v52, 1.0
	s_nop 0
	v_cndmask_b32_e32 v53, v55, v63, vcc
	v_cmp_eq_u32_e32 vcc, 2, v62
	s_nop 1
	v_cndmask_b32_e32 v53, v53, v56, vcc
	v_cmp_eq_u32_e32 vcc, 3, v62
	s_nop 1
	v_cndmask_b32_e32 v53, v53, v57, vcc
	v_mul_f32_e32 v52, v53, v52
	v_pk_mul_f32 v[46:47], v[52:53], v[46:47] op_sel_hi:[0,1]
	v_pk_mul_f32 v[36:37], v[52:53], v[36:37] op_sel_hi:[0,1]
	v_cvt_f16_f32_e32 v53, v46
	v_cvt_f16_f32_e32 v36, v36
	;; [unrolled: 1-line block ×4, first 2 shown]
	v_pk_mul_f32 v[48:49], v[52:53], v[48:49] op_sel_hi:[0,1]
	v_pk_mul_f32 v[38:39], v[52:53], v[38:39] op_sel_hi:[0,1]
	v_cvt_f16_f32_e32 v38, v38
	v_cvt_f16_f32_e32 v39, v39
	;; [unrolled: 1-line block ×4, first 2 shown]
	v_pack_b32_f16 v46, v36, v37
	v_pack_b32_f16 v47, v53, v47
	v_lshlrev_b32_e32 v37, 3, v1
	v_lshlrev_b32_e32 v36, 5, v60
	;; [unrolled: 1-line block ×3, first 2 shown]
	v_or3_b32 v55, v53, v36, v37
	v_pack_b32_f16 v38, v38, v39
	v_pack_b32_f16 v39, v48, v49
	ds_write2st64_b64 v55, v[46:47], v[38:39] offset1:1
	v_pk_mul_f32 v[38:39], v[52:53], v[44:45] op_sel_hi:[0,1]
	v_pk_mul_f32 v[42:43], v[52:53], v[42:43] op_sel_hi:[0,1]
	v_cvt_f16_f32_e32 v37, v42
	v_cvt_f16_f32_e32 v42, v43
	;; [unrolled: 1-line block ×4, first 2 shown]
	v_pk_mul_f32 v[34:35], v[52:53], v[34:35] op_sel_hi:[0,1]
	v_pk_mul_f32 v[38:39], v[52:53], v[40:41] op_sel_hi:[0,1]
	v_cvt_f16_f32_e32 v38, v38
	v_cvt_f16_f32_e32 v39, v39
	;; [unrolled: 1-line block ×4, first 2 shown]
	v_pack_b32_f16 v34, v37, v42
	v_pack_b32_f16 v35, v43, v44
	;; [unrolled: 1-line block ×4, first 2 shown]
	v_cmp_gt_u32_e32 vcc, 8, v0
	ds_write2st64_b64 v55, v[34:35], v[38:39] offset0:2 offset1:3
	s_and_saveexec_b64 s[4:5], vcc
	s_cbranch_execz .LBB1035_15
; %bb.14:
	v_or_b32_e32 v34, s23, v0
	v_mov_b32_e32 v35, 0
	v_mov_b32_e32 v37, s7
	v_mad_u64_u32 v[38:39], s[12:13], s2, v37, v[34:35]
	v_mov_b32_e32 v34, s22
	s_load_dwordx4 s[8:11], s[0:1], 0x58
	s_mul_i32 s3, s3, s7
	v_mad_u64_u32 v[34:35], s[12:13], v38, s6, v[34:35]
	v_add_u32_e32 v37, s3, v39
	v_mov_b32_e32 v38, v35
	v_mad_u64_u32 v[38:39], s[12:13], v37, s6, v[38:39]
	v_mov_b32_e32 v35, v38
	v_lshlrev_b64 v[34:35], 2, v[34:35]
	s_waitcnt lgkmcnt(0)
	v_lshl_add_u64 v[38:39], s[10:11], 0, v[34:35]
	v_lshl_add_u64 v[34:35], s[8:9], 0, v[34:35]
	global_store_dword v[38:39], v50, off
	global_store_dword v[34:35], v51, off
.LBB1035_15:
	s_or_b64 exec, exec, s[4:5]
	s_waitcnt vmcnt(7)
	v_cvt_pk_f32_fp8_e32 v[34:35], v30
	v_lshl_or_b32 v50, v1, 9, v36
	v_cvt_pk_f32_fp8_sdwa v[36:37], v30 src0_sel:WORD_1
	s_waitcnt lgkmcnt(0)
	s_barrier
	v_cvt_pk_f32_fp8_e32 v[38:39], v31
	v_cvt_pkrtz_f16_f32 v30, v34, v35
	v_cvt_pk_f32_fp8_sdwa v[40:41], v31 src0_sel:WORD_1
	v_cvt_pkrtz_f16_f32 v31, v36, v37
	ds_read_b128 v[34:37], v50
	v_cvt_pkrtz_f16_f32 v46, v38, v39
	v_cvt_pkrtz_f16_f32 v47, v40, v41
	ds_read_b128 v[38:41], v50 offset:16
	v_cvt_pk_f32_fp8_e32 v[48:49], v32
	v_cvt_pk_f32_fp8_sdwa v[52:53], v32 src0_sel:WORD_1
	s_waitcnt lgkmcnt(1)
	v_mfma_f32_16x16x16_f16 v[42:45], v[30:31], v[34:35], 0
	s_waitcnt vmcnt(6)
	v_cvt_pk_f32_fp8_e32 v[56:57], v24
	v_cvt_pkrtz_f16_f32 v30, v48, v49
	v_cvt_pkrtz_f16_f32 v31, v52, v53
	v_cvt_pk_f32_fp8_e32 v[48:49], v33
	v_mfma_f32_16x16x16_f16 v[42:45], v[46:47], v[36:37], v[42:45]
	v_cvt_pk_f32_fp8_sdwa v[46:47], v33 src0_sel:WORD_1
	v_cvt_pk_f32_fp8_sdwa v[58:59], v24 src0_sel:WORD_1
	v_cvt_pkrtz_f16_f32 v48, v48, v49
	s_waitcnt lgkmcnt(0)
	v_mfma_f32_16x16x16_f16 v[30:33], v[30:31], v[38:39], v[42:45]
	v_cvt_pkrtz_f16_f32 v49, v46, v47
	s_waitcnt vmcnt(5)
	v_cvt_pk_f32_fp8_e32 v[62:63], v12
	v_cvt_pk_f32_fp8_sdwa v[64:65], v12 src0_sel:WORD_1
	v_cvt_pk_f32_fp8_e32 v[42:43], v22
	v_mfma_f32_16x16x16_f16 v[46:49], v[48:49], v[40:41], v[30:33]
	s_waitcnt vmcnt(4)
	v_cvt_pk_f32_fp8_sdwa v[66:67], v4 src0_sel:WORD_1
	s_load_dword s4, s[42:43], 0x0
	v_cvt_pk_f32_fp8_sdwa v[30:31], v22 src0_sel:WORD_1
	v_cvt_pk_f32_fp8_e32 v[32:33], v23
	v_cvt_pkrtz_f16_f32 v22, v42, v43
	v_cvt_pk_f32_fp8_sdwa v[42:43], v23 src0_sel:WORD_1
	v_cvt_pkrtz_f16_f32 v23, v30, v31
	v_cvt_pkrtz_f16_f32 v52, v32, v33
	ds_read_b128 v[30:33], v50 offset:2048
	v_cvt_pkrtz_f16_f32 v53, v42, v43
	ds_read_b128 v[42:45], v50 offset:2064
	s_waitcnt lgkmcnt(0)
	v_mfma_f32_16x16x16_f16 v[46:49], v[22:23], v[30:31], v[46:49]
	v_cvt_pkrtz_f16_f32 v22, v56, v57
	v_cvt_pkrtz_f16_f32 v23, v58, v59
	v_cvt_pk_f32_fp8_e32 v[56:57], v25
	v_mfma_f32_16x16x16_f16 v[46:49], v[52:53], v[32:33], v[46:49]
	v_cvt_pk_f32_fp8_sdwa v[52:53], v25 src0_sel:WORD_1
	s_mov_b32 s3, 0
	v_cvt_pkrtz_f16_f32 v56, v56, v57
	v_mfma_f32_16x16x16_f16 v[22:25], v[22:23], v[42:43], v[46:49]
	v_cvt_pkrtz_f16_f32 v57, v52, v53
	v_cmp_gt_u32_e32 vcc, 64, v0
	s_nop 0
	v_cvt_pk_f32_fp8_e32 v[46:47], v10
	v_mfma_f32_16x16x16_f16 v[56:59], v[56:57], v[44:45], v[22:25]
	s_nop 2
	v_cvt_pk_f32_fp8_sdwa v[22:23], v10 src0_sel:WORD_1
	v_cvt_pk_f32_fp8_e32 v[24:25], v11
	v_cvt_pkrtz_f16_f32 v10, v46, v47
	v_cvt_pk_f32_fp8_sdwa v[46:47], v11 src0_sel:WORD_1
	v_cvt_pkrtz_f16_f32 v11, v22, v23
	v_cvt_pkrtz_f16_f32 v52, v24, v25
	ds_read_b128 v[22:25], v50 offset:4096
	v_cvt_pkrtz_f16_f32 v53, v46, v47
	ds_read_b128 v[46:49], v50 offset:4112
	s_waitcnt lgkmcnt(1)
	v_mfma_f32_16x16x16_f16 v[56:59], v[10:11], v[22:23], v[56:59]
	v_cvt_pkrtz_f16_f32 v10, v62, v63
	v_cvt_pkrtz_f16_f32 v11, v64, v65
	v_cvt_pk_f32_fp8_e32 v[62:63], v13
	v_mfma_f32_16x16x16_f16 v[56:59], v[52:53], v[24:25], v[56:59]
	v_cvt_pk_f32_fp8_sdwa v[52:53], v13 src0_sel:WORD_1
	v_cvt_pk_f32_fp8_e32 v[64:65], v4
	v_cvt_pkrtz_f16_f32 v62, v62, v63
	s_waitcnt lgkmcnt(0)
	v_mfma_f32_16x16x16_f16 v[10:13], v[10:11], v[46:47], v[56:59]
	v_cvt_pkrtz_f16_f32 v63, v52, v53
	v_cvt_pk_f32_fp8_e32 v[52:53], v2
	s_nop 0
	v_mfma_f32_16x16x16_f16 v[56:59], v[62:63], v[48:49], v[10:13]
	s_nop 2
	v_cvt_pk_f32_fp8_sdwa v[10:11], v2 src0_sel:WORD_1
	v_cvt_pk_f32_fp8_e32 v[12:13], v3
	v_cvt_pkrtz_f16_f32 v2, v52, v53
	v_cvt_pk_f32_fp8_sdwa v[52:53], v3 src0_sel:WORD_1
	v_cvt_pkrtz_f16_f32 v3, v10, v11
	v_cvt_pkrtz_f16_f32 v62, v12, v13
	ds_read_b128 v[10:13], v50 offset:6144
	v_cvt_pkrtz_f16_f32 v63, v52, v53
	s_waitcnt lgkmcnt(0)
	v_mfma_f32_16x16x16_f16 v[56:59], v[2:3], v[10:11], v[56:59]
	ds_read_b128 v[50:53], v50 offset:6160
	v_cvt_pkrtz_f16_f32 v2, v64, v65
	v_cvt_pkrtz_f16_f32 v3, v66, v67
	v_mfma_f32_16x16x16_f16 v[56:59], v[62:63], v[12:13], v[56:59]
	v_cvt_pk_f32_fp8_e32 v[64:65], v5
	v_cvt_pk_f32_fp8_sdwa v[62:63], v5 src0_sel:WORD_1
	s_waitcnt vmcnt(3)
	v_cvt_pk_f32_fp8_sdwa v[66:67], v28 src0_sel:WORD_1
	s_waitcnt lgkmcnt(0)
	v_mfma_f32_16x16x16_f16 v[2:5], v[2:3], v[50:51], v[56:59]
	v_cvt_pkrtz_f16_f32 v64, v64, v65
	v_cvt_pkrtz_f16_f32 v65, v62, v63
	v_cvt_pk_f32_fp8_e32 v[62:63], v27
	v_cvt_pk_f32_fp8_e32 v[56:57], v26
	v_cvt_pk_f32_fp8_sdwa v[58:59], v26 src0_sel:WORD_1
	v_cvt_pk_f32_fp8_sdwa v[26:27], v27 src0_sel:WORD_1
	v_mfma_f32_16x16x16_f16 v[2:5], v[64:65], v[52:53], v[2:5]
	v_cvt_pkrtz_f16_f32 v56, v56, v57
	v_cvt_pkrtz_f16_f32 v57, v58, v59
	;; [unrolled: 1-line block ×3, first 2 shown]
	v_cvt_pk_f32_fp8_e32 v[64:65], v28
	v_cvt_pkrtz_f16_f32 v63, v26, v27
	v_mfma_f32_16x16x16_f16 v[56:59], v[56:57], v[34:35], 0
	v_cvt_pkrtz_f16_f32 v26, v64, v65
	v_cvt_pkrtz_f16_f32 v27, v66, v67
	v_cvt_pk_f32_fp8_e32 v[64:65], v29
	v_mfma_f32_16x16x16_f16 v[34:37], v[62:63], v[36:37], v[56:59]
	s_barrier
	s_nop 1
	v_cvt_pk_f32_fp8_sdwa v[56:57], v29 src0_sel:WORD_1
	v_cvt_pkrtz_f16_f32 v58, v64, v65
	v_mfma_f32_16x16x16_f16 v[26:29], v[26:27], v[38:39], v[34:37]
	s_waitcnt vmcnt(2)
	v_cvt_pk_f32_fp8_e32 v[38:39], v19
	v_cvt_pkrtz_f16_f32 v59, v56, v57
	v_cvt_pk_f32_fp8_e32 v[34:35], v18
	v_cvt_pk_f32_fp8_sdwa v[36:37], v18 src0_sel:WORD_1
	v_cvt_pk_f32_fp8_sdwa v[18:19], v19 src0_sel:WORD_1
	v_mfma_f32_16x16x16_f16 v[26:29], v[58:59], v[40:41], v[26:29]
	v_cvt_pkrtz_f16_f32 v34, v34, v35
	v_cvt_pkrtz_f16_f32 v35, v36, v37
	;; [unrolled: 1-line block ×3, first 2 shown]
	v_cvt_pk_f32_fp8_e32 v[38:39], v20
	v_cvt_pk_f32_fp8_sdwa v[40:41], v20 src0_sel:WORD_1
	v_cvt_pkrtz_f16_f32 v37, v18, v19
	v_mfma_f32_16x16x16_f16 v[26:29], v[34:35], v[30:31], v[26:29]
	v_cvt_pkrtz_f16_f32 v30, v38, v39
	v_cvt_pkrtz_f16_f32 v31, v40, v41
	v_cvt_pk_f32_fp8_e32 v[34:35], v21
	v_cvt_pk_f32_fp8_sdwa v[38:39], v21 src0_sel:WORD_1
	v_mfma_f32_16x16x16_f16 v[18:21], v[36:37], v[32:33], v[26:29]
	s_waitcnt vmcnt(1)
	v_cvt_pk_f32_fp8_sdwa v[32:33], v16 src0_sel:WORD_1
	s_nop 0
	v_cvt_pkrtz_f16_f32 v26, v34, v35
	v_cvt_pkrtz_f16_f32 v27, v38, v39
	v_mfma_f32_16x16x16_f16 v[18:21], v[30:31], v[42:43], v[18:21]
	v_cvt_pk_f32_fp8_e32 v[28:29], v14
	v_cvt_pk_f32_fp8_sdwa v[30:31], v14 src0_sel:WORD_1
	v_cvt_pkrtz_f16_f32 v28, v28, v29
	v_mfma_f32_16x16x16_f16 v[18:21], v[26:27], v[44:45], v[18:21]
	v_cvt_pk_f32_fp8_e32 v[26:27], v15
	v_cvt_pkrtz_f16_f32 v29, v30, v31
	v_cvt_pk_f32_fp8_sdwa v[14:15], v15 src0_sel:WORD_1
	v_cvt_pk_f32_fp8_e32 v[30:31], v16
	v_cvt_pkrtz_f16_f32 v26, v26, v27
	v_mfma_f32_16x16x16_f16 v[18:21], v[28:29], v[22:23], v[18:21]
	v_cvt_pkrtz_f16_f32 v27, v14, v15
	v_cvt_pkrtz_f16_f32 v22, v30, v31
	;; [unrolled: 1-line block ×3, first 2 shown]
	v_cvt_pk_f32_fp8_e32 v[28:29], v17
	v_cvt_pk_f32_fp8_sdwa v[30:31], v17 src0_sel:WORD_1
	v_mfma_f32_16x16x16_f16 v[14:17], v[26:27], v[24:25], v[18:21]
	s_waitcnt vmcnt(0)
	v_cvt_pk_f32_fp8_sdwa v[24:25], v6 src0_sel:WORD_1
	s_nop 0
	v_pk_mul_f32 v[18:19], v[4:5], s[4:5] op_sel_hi:[1,0]
	v_cvt_pkrtz_f16_f32 v4, v28, v29
	v_cvt_pkrtz_f16_f32 v5, v30, v31
	v_mfma_f32_16x16x16_f16 v[14:17], v[22:23], v[46:47], v[14:17]
	v_cvt_pk_f32_fp8_e32 v[22:23], v6
	v_pk_mul_f32 v[20:21], v[2:3], s[4:5] op_sel_hi:[1,0]
	v_mfma_f32_16x16x16_f16 v[2:5], v[4:5], v[48:49], v[14:17]
	s_nop 3
	v_cvt_pk_f32_fp8_e32 v[14:15], v7
	v_cvt_pkrtz_f16_f32 v16, v22, v23
	v_cvt_pkrtz_f16_f32 v17, v24, v25
	v_cvt_pk_f32_fp8_sdwa v[6:7], v7 src0_sel:WORD_1
	v_cvt_pkrtz_f16_f32 v14, v14, v15
	v_cvt_pk_f32_fp8_e32 v[22:23], v8
	v_cvt_pk_f32_fp8_sdwa v[24:25], v8 src0_sel:WORD_1
	v_cvt_pkrtz_f16_f32 v15, v6, v7
	v_mfma_f32_16x16x16_f16 v[2:5], v[16:17], v[10:11], v[2:5]
	v_cvt_pkrtz_f16_f32 v6, v22, v23
	v_cvt_pkrtz_f16_f32 v7, v24, v25
	v_cvt_pk_f32_fp8_e32 v[10:11], v9
	v_cvt_pk_f32_fp8_sdwa v[8:9], v9 src0_sel:WORD_1
	v_mfma_f32_16x16x16_f16 v[2:5], v[14:15], v[12:13], v[2:5]
	v_cvt_f16_f32_e32 v12, v20
	v_cvt_pkrtz_f16_f32 v10, v10, v11
	v_cvt_pkrtz_f16_f32 v11, v8, v9
	v_mfma_f32_16x16x16_f16 v[2:5], v[6:7], v[50:51], v[2:5]
	v_cvt_f16_f32_e32 v6, v21
	v_cvt_f16_f32_e32 v7, v18
	;; [unrolled: 1-line block ×3, first 2 shown]
	v_mfma_f32_16x16x16_f16 v[2:5], v[10:11], v[52:53], v[2:5]
	s_nop 6
	v_pk_mul_f32 v[4:5], v[4:5], s[4:5] op_sel_hi:[1,0]
	v_pk_mul_f32 v[2:3], v[2:3], s[4:5] op_sel_hi:[1,0]
	v_cvt_f16_f32_e32 v11, v4
	v_cvt_f16_f32_e32 v9, v2
	;; [unrolled: 1-line block ×4, first 2 shown]
	v_pack_b32_f16 v2, v12, v6
	v_pack_b32_f16 v3, v7, v8
	;; [unrolled: 1-line block ×4, first 2 shown]
	ds_write2st64_b64 v55, v[2:3], v[4:5] offset1:1
	s_waitcnt lgkmcnt(0)
	s_barrier
	s_and_saveexec_b64 s[4:5], vcc
	s_cbranch_execz .LBB1035_17
; %bb.16:
	s_load_dwordx2 s[0:1], s[0:1], 0x68
	s_lshl_b32 s6, s6, 7
	s_mul_i32 s2, s7, s2
	s_mul_hi_u32 s5, s2, s6
	s_mul_i32 s4, s2, s6
	v_lshlrev_b32_e32 v4, 6, v60
	s_lshl_b64 s[4:5], s[4:5], 1
	v_lshl_or_b32 v0, v0, 10, v4
	s_waitcnt lgkmcnt(0)
	s_add_u32 s4, s0, s4
	v_lshlrev_b32_e32 v2, 5, v1
	v_and_b32_e32 v3, 16, v61
	v_and_b32_e32 v0, 0x1a00, v0
	s_addc_u32 s5, s1, s5
	s_lshl_b32 s2, s22, 7
	v_or3_b32 v0, v0, v2, v3
	s_lshl_b64 s[0:1], s[2:3], 1
	ds_read_b128 v[2:5], v0
	ds_read_b128 v[6:9], v0 offset:128
	s_add_u32 s0, s4, s0
	s_addc_u32 s1, s5, s1
	v_mov_b32_e32 v55, 0
	v_or_b32_e32 v12, s23, v1
	v_lshl_add_u64 v[10:11], s[0:1], 0, v[54:55]
	v_mad_u64_u32 v[0:1], s[0:1], v12, s6, 0
	v_lshl_add_u64 v[0:1], v[0:1], 1, v[10:11]
	s_waitcnt lgkmcnt(1)
	global_store_dwordx4 v[0:1], v[2:5], off
	v_or_b32_e32 v0, 4, v12
	v_mad_u64_u32 v[0:1], s[0:1], v0, s6, 0
	v_lshl_add_u64 v[0:1], v[0:1], 1, v[10:11]
	s_waitcnt lgkmcnt(0)
	global_store_dwordx4 v[0:1], v[6:9], off
.LBB1035_17:
	s_endpgm
	.section	.rodata,"a",@progbits
	.p2align	6, 0x0
	.amdhsa_kernel _Z39paged_attention_ll4mi_QKV_mfma16_kernelIDF16_hLN4vllm18Fp8KVCacheDataTypeE1EhLi32ELi128ELi256ELb0ELi8EEvPKT_PKT0_S7_ifPKiS9_S9_iPKfiiiPfSC_PS2_PT2_iSB_SB_
		.amdhsa_group_segment_fixed_size 8192
		.amdhsa_private_segment_fixed_size 0
		.amdhsa_kernarg_size 400
		.amdhsa_user_sgpr_count 2
		.amdhsa_user_sgpr_dispatch_ptr 0
		.amdhsa_user_sgpr_queue_ptr 0
		.amdhsa_user_sgpr_kernarg_segment_ptr 1
		.amdhsa_user_sgpr_dispatch_id 0
		.amdhsa_user_sgpr_kernarg_preload_length 0
		.amdhsa_user_sgpr_kernarg_preload_offset 0
		.amdhsa_user_sgpr_private_segment_size 0
		.amdhsa_uses_dynamic_stack 0
		.amdhsa_enable_private_segment 0
		.amdhsa_system_sgpr_workgroup_id_x 1
		.amdhsa_system_sgpr_workgroup_id_y 1
		.amdhsa_system_sgpr_workgroup_id_z 1
		.amdhsa_system_sgpr_workgroup_info 0
		.amdhsa_system_vgpr_workitem_id 0
		.amdhsa_next_free_vgpr 80
		.amdhsa_next_free_sgpr 48
		.amdhsa_accum_offset 80
		.amdhsa_reserve_vcc 1
		.amdhsa_float_round_mode_32 0
		.amdhsa_float_round_mode_16_64 0
		.amdhsa_float_denorm_mode_32 3
		.amdhsa_float_denorm_mode_16_64 3
		.amdhsa_dx10_clamp 1
		.amdhsa_ieee_mode 1
		.amdhsa_fp16_overflow 0
		.amdhsa_tg_split 0
		.amdhsa_exception_fp_ieee_invalid_op 0
		.amdhsa_exception_fp_denorm_src 0
		.amdhsa_exception_fp_ieee_div_zero 0
		.amdhsa_exception_fp_ieee_overflow 0
		.amdhsa_exception_fp_ieee_underflow 0
		.amdhsa_exception_fp_ieee_inexact 0
		.amdhsa_exception_int_div_zero 0
	.end_amdhsa_kernel
	.section	.text._Z39paged_attention_ll4mi_QKV_mfma16_kernelIDF16_hLN4vllm18Fp8KVCacheDataTypeE1EhLi32ELi128ELi256ELb0ELi8EEvPKT_PKT0_S7_ifPKiS9_S9_iPKfiiiPfSC_PS2_PT2_iSB_SB_,"axG",@progbits,_Z39paged_attention_ll4mi_QKV_mfma16_kernelIDF16_hLN4vllm18Fp8KVCacheDataTypeE1EhLi32ELi128ELi256ELb0ELi8EEvPKT_PKT0_S7_ifPKiS9_S9_iPKfiiiPfSC_PS2_PT2_iSB_SB_,comdat
.Lfunc_end1035:
	.size	_Z39paged_attention_ll4mi_QKV_mfma16_kernelIDF16_hLN4vllm18Fp8KVCacheDataTypeE1EhLi32ELi128ELi256ELb0ELi8EEvPKT_PKT0_S7_ifPKiS9_S9_iPKfiiiPfSC_PS2_PT2_iSB_SB_, .Lfunc_end1035-_Z39paged_attention_ll4mi_QKV_mfma16_kernelIDF16_hLN4vllm18Fp8KVCacheDataTypeE1EhLi32ELi128ELi256ELb0ELi8EEvPKT_PKT0_S7_ifPKiS9_S9_iPKfiiiPfSC_PS2_PT2_iSB_SB_
                                        ; -- End function
	.section	.AMDGPU.csdata,"",@progbits
; Kernel info:
; codeLenInByte = 6040
; NumSgprs: 54
; NumVgprs: 80
; NumAgprs: 0
; TotalNumVgprs: 80
; ScratchSize: 0
; MemoryBound: 0
; FloatMode: 240
; IeeeMode: 1
; LDSByteSize: 8192 bytes/workgroup (compile time only)
; SGPRBlocks: 6
; VGPRBlocks: 9
; NumSGPRsForWavesPerEU: 54
; NumVGPRsForWavesPerEU: 80
; AccumOffset: 80
; Occupancy: 6
; WaveLimiterHint : 1
; COMPUTE_PGM_RSRC2:SCRATCH_EN: 0
; COMPUTE_PGM_RSRC2:USER_SGPR: 2
; COMPUTE_PGM_RSRC2:TRAP_HANDLER: 0
; COMPUTE_PGM_RSRC2:TGID_X_EN: 1
; COMPUTE_PGM_RSRC2:TGID_Y_EN: 1
; COMPUTE_PGM_RSRC2:TGID_Z_EN: 1
; COMPUTE_PGM_RSRC2:TIDIG_COMP_CNT: 0
; COMPUTE_PGM_RSRC3_GFX90A:ACCUM_OFFSET: 19
; COMPUTE_PGM_RSRC3_GFX90A:TG_SPLIT: 0
	.section	.text._Z39paged_attention_ll4mi_QKV_mfma16_kernelIDF16_hLN4vllm18Fp8KVCacheDataTypeE1EhLi32ELi128ELi256ELb0ELi9EEvPKT_PKT0_S7_ifPKiS9_S9_iPKfiiiPfSC_PS2_PT2_iSB_SB_,"axG",@progbits,_Z39paged_attention_ll4mi_QKV_mfma16_kernelIDF16_hLN4vllm18Fp8KVCacheDataTypeE1EhLi32ELi128ELi256ELb0ELi9EEvPKT_PKT0_S7_ifPKiS9_S9_iPKfiiiPfSC_PS2_PT2_iSB_SB_,comdat
	.protected	_Z39paged_attention_ll4mi_QKV_mfma16_kernelIDF16_hLN4vllm18Fp8KVCacheDataTypeE1EhLi32ELi128ELi256ELb0ELi9EEvPKT_PKT0_S7_ifPKiS9_S9_iPKfiiiPfSC_PS2_PT2_iSB_SB_ ; -- Begin function _Z39paged_attention_ll4mi_QKV_mfma16_kernelIDF16_hLN4vllm18Fp8KVCacheDataTypeE1EhLi32ELi128ELi256ELb0ELi9EEvPKT_PKT0_S7_ifPKiS9_S9_iPKfiiiPfSC_PS2_PT2_iSB_SB_
	.globl	_Z39paged_attention_ll4mi_QKV_mfma16_kernelIDF16_hLN4vllm18Fp8KVCacheDataTypeE1EhLi32ELi128ELi256ELb0ELi9EEvPKT_PKT0_S7_ifPKiS9_S9_iPKfiiiPfSC_PS2_PT2_iSB_SB_
	.p2align	8
	.type	_Z39paged_attention_ll4mi_QKV_mfma16_kernelIDF16_hLN4vllm18Fp8KVCacheDataTypeE1EhLi32ELi128ELi256ELb0ELi9EEvPKT_PKT0_S7_ifPKiS9_S9_iPKfiiiPfSC_PS2_PT2_iSB_SB_,@function
_Z39paged_attention_ll4mi_QKV_mfma16_kernelIDF16_hLN4vllm18Fp8KVCacheDataTypeE1EhLi32ELi128ELi256ELb0ELi9EEvPKT_PKT0_S7_ifPKiS9_S9_iPKfiiiPfSC_PS2_PT2_iSB_SB_: ; @_Z39paged_attention_ll4mi_QKV_mfma16_kernelIDF16_hLN4vllm18Fp8KVCacheDataTypeE1EhLi32ELi128ELi256ELb0ELi9EEvPKT_PKT0_S7_ifPKiS9_S9_iPKfiiiPfSC_PS2_PT2_iSB_SB_
; %bb.0:
	s_load_dwordx2 s[12:13], s[0:1], 0x30
	s_mov_b32 s22, s3
	s_mov_b64 s[6:7], 0
	s_waitcnt lgkmcnt(0)
	s_cmp_lg_u64 s[12:13], 0
	s_cselect_b64 s[14:15], -1, 0
	s_and_b64 vcc, exec, s[14:15]
	s_cbranch_vccz .LBB1036_7
; %bb.1:
	s_add_i32 s8, s2, 1
	s_mov_b32 s9, 0
	s_lshl_b64 s[10:11], s[8:9], 2
	s_add_u32 s10, s12, s10
	s_mov_b32 s3, s9
	s_addc_u32 s11, s13, s11
	s_lshl_b64 s[8:9], s[2:3], 2
	s_add_u32 s8, s12, s8
	s_addc_u32 s9, s13, s9
	s_load_dword s5, s[10:11], 0x0
	s_load_dword s16, s[8:9], 0x0
	s_waitcnt lgkmcnt(0)
	s_sub_i32 s5, s5, s16
	s_cmp_eq_u32 s5, 1
	s_cselect_b64 s[8:9], -1, 0
	s_andn2_b64 vcc, exec, s[6:7]
	s_cbranch_vccnz .LBB1036_3
.LBB1036_2:
	s_mov_b32 s3, 0
	s_mov_b64 s[8:9], -1
.LBB1036_3:
	s_andn2_b64 vcc, exec, s[8:9]
	s_cbranch_vccnz .LBB1036_18
; %bb.4:
	s_load_dwordx2 s[6:7], s[0:1], 0x28
	s_lshl_b64 s[16:17], s[2:3], 2
	s_waitcnt lgkmcnt(0)
	s_add_u32 s6, s6, s16
	s_addc_u32 s7, s7, s17
	s_load_dword s5, s[6:7], 0x0
	s_lshl_b32 s18, s22, 8
	s_waitcnt lgkmcnt(0)
	s_cmp_ge_i32 s18, s5
	s_cbranch_scc1 .LBB1036_18
; %bb.5:
	s_load_dwordx2 s[6:7], s[0:1], 0x20
	s_load_dword s8, s[0:1], 0x38
	s_add_i32 s9, s5, 31
	s_ashr_i32 s10, s9, 31
	v_and_b32_e32 v1, 0xcf, v0
	s_lshr_b32 s10, s10, 27
	v_add_u32_e32 v1, s18, v1
	s_add_i32 s9, s9, s10
	v_ashrrev_i32_e32 v2, 31, v1
	s_ashr_i32 s19, s9, 5
	v_lshrrev_b32_e32 v6, 27, v2
	s_add_i32 s19, s19, -1
	s_waitcnt lgkmcnt(0)
	s_mul_i32 s8, s2, s8
	s_mov_b32 s9, 0
	v_add_u32_e32 v2, v1, v6
	s_lshl_b64 s[8:9], s[8:9], 2
	v_ashrrev_i32_e32 v2, 5, v2
	v_mov_b32_e32 v7, s19
	v_cmp_gt_i32_e32 vcc, s5, v1
	s_add_u32 s6, s6, s8
	s_addc_u32 s7, s7, s9
	v_cndmask_b32_e32 v2, v7, v2, vcc
	v_ashrrev_i32_e32 v3, 31, v2
	v_lshl_add_u64 v[4:5], v[2:3], 2, s[6:7]
	v_or_b32_e32 v2, 16, v1
	v_add_u32_e32 v3, v2, v6
	v_ashrrev_i32_e32 v3, 5, v3
	v_cmp_gt_i32_e32 vcc, s5, v2
	s_load_dwordx4 s[8:11], s[0:1], 0x8
	s_nop 0
	v_cndmask_b32_e32 v2, v7, v3, vcc
	v_ashrrev_i32_e32 v3, 31, v2
	v_lshl_add_u64 v[8:9], v[2:3], 2, s[6:7]
	v_or_b32_e32 v2, 32, v1
	v_add_u32_e32 v3, v2, v6
	v_ashrrev_i32_e32 v3, 5, v3
	v_cmp_gt_i32_e32 vcc, s5, v2
	v_or_b32_e32 v1, 48, v1
	s_nop 0
	v_cndmask_b32_e32 v2, v7, v3, vcc
	v_ashrrev_i32_e32 v3, 31, v2
	v_lshl_add_u64 v[10:11], v[2:3], 2, s[6:7]
	v_add_u32_e32 v2, v1, v6
	v_ashrrev_i32_e32 v2, 5, v2
	v_cmp_gt_i32_e32 vcc, s5, v1
	s_nop 1
	v_cndmask_b32_e32 v2, v7, v2, vcc
	v_ashrrev_i32_e32 v3, 31, v2
	v_lshl_add_u64 v[12:13], v[2:3], 2, s[6:7]
	global_load_dword v2, v[4:5], off
	global_load_dword v6, v[8:9], off
	;; [unrolled: 1-line block ×4, first 2 shown]
	s_andn2_b64 vcc, exec, s[14:15]
	s_cbranch_vccnz .LBB1036_8
; %bb.6:
	s_add_u32 s12, s12, s16
	s_addc_u32 s13, s13, s17
	s_load_dword s14, s[12:13], 0x0
	s_branch .LBB1036_9
.LBB1036_7:
	s_mov_b64 s[8:9], 0
	s_branch .LBB1036_2
.LBB1036_8:
	s_mov_b32 s14, s2
.LBB1036_9:
	s_load_dwordx4 s[44:47], s[0:1], 0x48
	v_lshrrev_b32_e32 v57, 6, v0
	v_bfe_u32 v60, v0, 4, 2
	v_and_b32_e32 v56, 15, v0
	v_lshl_or_b32 v3, v57, 2, v60
	v_lshlrev_b32_e32 v1, 3, v56
	v_and_b32_e32 v61, 63, v0
	s_mul_i32 s48, s4, 9
	v_cmp_gt_u32_e32 vcc, 9, v3
	v_lshlrev_b32_e32 v54, 1, v1
	v_lshlrev_b32_e32 v1, 4, v0
	s_and_saveexec_b64 s[12:13], vcc
	s_cbranch_execz .LBB1036_11
; %bb.10:
	s_load_dwordx2 s[16:17], s[0:1], 0x0
	s_waitcnt lgkmcnt(0)
	s_ashr_i32 s15, s44, 31
	s_mul_hi_u32 s20, s14, s44
	s_mul_i32 s15, s14, s15
	s_add_i32 s15, s20, s15
	s_mul_i32 s14, s14, s44
	s_lshl_b64 s[14:15], s[14:15], 1
	s_add_u32 s14, s16, s14
	v_add_lshl_u32 v4, v3, s48, 7
	s_addc_u32 s15, s17, s15
	v_ashrrev_i32_e32 v5, 31, v4
	v_lshl_add_u64 v[4:5], v[4:5], 1, s[14:15]
	v_mov_b32_e32 v55, 0
	v_lshl_add_u64 v[4:5], v[4:5], 0, v[54:55]
	global_load_dwordx4 v[8:11], v[4:5], off
	v_lshlrev_b32_e32 v5, 8, v0
	v_lshlrev_b32_e32 v4, 8, v56
	v_and_b32_e32 v5, 0x600, v5
	s_movk_i32 s14, 0x800
	v_and_or_b32 v4, v4, s14, v5
	v_lshlrev_b32_e32 v3, 5, v3
	v_and_b32_e32 v5, 16, v1
	v_or3_b32 v3, v4, v3, v5
	s_waitcnt vmcnt(0)
	ds_write_b128 v3, v[8:11]
.LBB1036_11:
	s_or_b64 exec, exec, s[12:13]
	s_waitcnt lgkmcnt(0)
	s_mul_i32 s12, s4, s46
	s_add_u32 s8, s8, s12
	s_addc_u32 s9, s9, 0
	v_mov_b32_e32 v59, 0
	v_mov_b64_e32 v[4:5], s[8:9]
	v_and_b32_e32 v7, 48, v0
	s_waitcnt vmcnt(3)
	v_mad_i64_i32 v[8:9], s[8:9], v2, s45, v[4:5]
	v_lshlrev_b32_e32 v2, 4, v56
	v_mov_b32_e32 v3, v59
	v_lshlrev_b32_e32 v58, 5, v7
	v_lshl_add_u64 v[8:9], v[8:9], 0, v[2:3]
	v_lshl_add_u64 v[8:9], v[8:9], 0, v[58:59]
	s_load_dword s23, s[0:1], 0x98
	s_load_dwordx4 s[40:43], s[0:1], 0x80
	s_waitcnt lgkmcnt(0)
	s_barrier
	global_load_dwordx4 v[10:13], v[8:9], off
	global_load_dwordx4 v[30:33], v[8:9], off offset:2048
	v_add_u32_e32 v14, -9, v56
	v_cmp_gt_u32_e32 vcc, 9, v56
	s_ashr_i32 s8, s18, 31
	v_or_b32_e32 v24, 0x100, v2
	v_cndmask_b32_e32 v8, v14, v56, vcc
	v_mov_b32_e32 v25, v59
	s_lshr_b32 s13, s8, 27
	s_waitcnt vmcnt(4)
	v_mad_i64_i32 v[34:35], s[8:9], v6, s45, v[4:5]
	v_or_b32_e32 v39, s18, v7
	v_lshlrev_b32_e32 v7, 5, v8
	v_lshl_add_u64 v[34:35], v[34:35], 0, v[24:25]
	v_lshl_add_u32 v7, v60, 9, v7
	v_lshl_add_u64 v[34:35], v[34:35], 0, v[58:59]
	ds_read_b128 v[26:29], v7
	ds_read_b128 v[18:21], v7 offset:16
	ds_read_b128 v[14:17], v7 offset:2048
	;; [unrolled: 1-line block ×3, first 2 shown]
	global_load_dwordx4 v[46:49], v[34:35], off
	v_or_b32_e32 v41, 0x80, v39
	v_or_b32_e32 v51, 0xc0, v39
	s_waitcnt vmcnt(4)
	v_mad_i64_i32 v[36:37], s[8:9], v22, s45, v[4:5]
	s_waitcnt vmcnt(3)
	v_mad_i64_i32 v[4:5], s[8:9], v23, s45, v[4:5]
	v_add_u32_e32 v42, s13, v41
	v_add_u32_e32 v43, s13, v51
	v_lshl_add_u64 v[4:5], v[4:5], 0, v[24:25]
	v_ashrrev_i32_e32 v24, 5, v42
	v_ashrrev_i32_e32 v25, 5, v43
	global_load_dwordx4 v[42:45], v[34:35], off offset:2048
	v_or_b32_e32 v40, 64, v39
	v_add_u32_e32 v22, s13, v39
	v_mov_b32_e32 v38, s19
	v_add_u32_e32 v23, s13, v40
	v_ashrrev_i32_e32 v22, 5, v22
	v_cmp_gt_i32_e32 vcc, s5, v39
	v_ashrrev_i32_e32 v23, 5, v23
	v_lshl_add_u64 v[2:3], v[36:37], 0, v[2:3]
	v_cndmask_b32_e32 v50, v38, v22, vcc
	v_cmp_gt_i32_e32 vcc, s5, v40
	v_lshl_add_u64 v[2:3], v[2:3], 0, v[58:59]
	v_lshl_add_u64 v[36:37], v[4:5], 0, v[58:59]
	v_cndmask_b32_e32 v52, v38, v23, vcc
	v_cmp_gt_i32_e32 vcc, s5, v41
	v_ashrrev_i32_e32 v53, 31, v52
	v_lshl_add_u64 v[52:53], v[52:53], 2, s[6:7]
	v_cndmask_b32_e32 v62, v38, v24, vcc
	v_cmp_gt_i32_e32 vcc, s5, v51
	v_ashrrev_i32_e32 v51, 31, v50
	v_ashrrev_i32_e32 v63, 31, v62
	v_cndmask_b32_e32 v64, v38, v25, vcc
	global_load_dwordx4 v[22:25], v[2:3], off
	s_nop 0
	global_load_dwordx4 v[2:5], v[2:3], off offset:2048
	s_nop 0
	global_load_dwordx4 v[38:41], v[36:37], off
	s_nop 0
	global_load_dwordx4 v[34:37], v[36:37], off offset:2048
	v_ashrrev_i32_e32 v65, 31, v64
	v_lshl_add_u64 v[50:51], v[50:51], 2, s[6:7]
	v_lshl_add_u64 v[66:67], v[62:63], 2, s[6:7]
	;; [unrolled: 1-line block ×3, first 2 shown]
	global_load_dword v65, v[50:51], off
	global_load_dword v63, v[52:53], off
	;; [unrolled: 1-line block ×4, first 2 shown]
	s_add_u32 s6, s10, s12
	s_addc_u32 s7, s11, 0
	v_and_b32_e32 v58, 16, v0
	v_lshl_or_b32 v64, v57, 4, v56
	s_load_dword s4, s[0:1], 0x1c
	s_mov_b32 s33, 0xff7fffff
	s_waitcnt vmcnt(11)
	v_cvt_pk_f32_fp8_e32 v[50:51], v10
	v_cvt_pk_f32_fp8_sdwa v[52:53], v10 src0_sel:WORD_1
	v_cvt_pk_f32_fp8_e32 v[66:67], v11
	v_cvt_pk_f32_fp8_sdwa v[10:11], v11 src0_sel:WORD_1
	v_cvt_pkrtz_f16_f32 v50, v50, v51
	v_cvt_pkrtz_f16_f32 v51, v52, v53
	v_cvt_pk_f32_fp8_e32 v[68:69], v12
	v_cvt_pk_f32_fp8_sdwa v[70:71], v12 src0_sel:WORD_1
	v_cvt_pkrtz_f16_f32 v66, v66, v67
	v_cvt_pkrtz_f16_f32 v67, v10, v11
	s_waitcnt lgkmcnt(0)
	v_mfma_f32_16x16x16_f16 v[50:53], v[50:51], v[26:27], 0
	v_cvt_pk_f32_fp8_e32 v[72:73], v13
	v_cvt_pk_f32_fp8_sdwa v[74:75], v13 src0_sel:WORD_1
	v_cvt_pkrtz_f16_f32 v68, v68, v69
	v_cvt_pkrtz_f16_f32 v69, v70, v71
	v_mfma_f32_16x16x16_f16 v[10:13], v[66:67], v[28:29], v[50:53]
	s_waitcnt vmcnt(10)
	v_cvt_pk_f32_fp8_sdwa v[66:67], v30 src0_sel:WORD_1
	s_waitcnt vmcnt(6)
	v_cvt_pk_f32_fp8_sdwa v[78:79], v5 src0_sel:WORD_1
	v_cvt_pkrtz_f16_f32 v50, v72, v73
	v_cvt_pk_f32_fp8_e32 v[52:53], v30
	v_cvt_pkrtz_f16_f32 v51, v74, v75
	v_mfma_f32_16x16x16_f16 v[10:13], v[68:69], v[18:19], v[10:13]
	v_cvt_pk_f32_fp8_sdwa v[68:69], v42 src0_sel:WORD_1
	v_cvt_pkrtz_f16_f32 v52, v52, v53
	v_cvt_pkrtz_f16_f32 v53, v66, v67
	v_cvt_pk_f32_fp8_e32 v[66:67], v31
	v_cvt_pk_f32_fp8_sdwa v[30:31], v31 src0_sel:WORD_1
	v_mfma_f32_16x16x16_f16 v[10:13], v[50:51], v[20:21], v[10:13]
	v_cvt_pk_f32_fp8_e32 v[72:73], v3
	v_cvt_pkrtz_f16_f32 v50, v66, v67
	v_cvt_pkrtz_f16_f32 v51, v30, v31
	v_mfma_f32_16x16x16_f16 v[10:13], v[52:53], v[14:15], v[10:13]
	v_cvt_pk_f32_fp8_e32 v[30:31], v32
	v_cvt_pk_f32_fp8_sdwa v[52:53], v32 src0_sel:WORD_1
	v_cvt_pk_f32_fp8_sdwa v[66:67], v46 src0_sel:WORD_1
	v_mfma_f32_16x16x16_f16 v[10:13], v[50:51], v[16:17], v[10:13]
	v_cvt_pkrtz_f16_f32 v30, v30, v31
	v_cvt_pkrtz_f16_f32 v31, v52, v53
	v_cvt_pk_f32_fp8_e32 v[50:51], v33
	v_cvt_pk_f32_fp8_sdwa v[32:33], v33 src0_sel:WORD_1
	v_cvt_pk_f32_fp8_e32 v[52:53], v46
	v_mfma_f32_16x16x16_f16 v[10:13], v[30:31], v[6:7], v[10:13]
	v_cvt_pkrtz_f16_f32 v50, v50, v51
	v_cvt_pkrtz_f16_f32 v51, v32, v33
	;; [unrolled: 1-line block ×4, first 2 shown]
	v_cvt_pk_f32_fp8_e32 v[32:33], v47
	v_cvt_pk_f32_fp8_sdwa v[46:47], v47 src0_sel:WORD_1
	v_mfma_f32_16x16x16_f16 v[50:53], v[50:51], v[8:9], v[10:13]
	v_cvt_pk_f32_fp8_sdwa v[66:67], v48 src0_sel:WORD_1
	v_cvt_pkrtz_f16_f32 v32, v32, v33
	v_cvt_pkrtz_f16_f32 v33, v46, v47
	v_mfma_f32_16x16x16_f16 v[10:13], v[30:31], v[26:27], 0
	v_cvt_pk_f32_fp8_e32 v[30:31], v48
	v_lshl_add_u64 v[46:47], s[6:7], 0, v[58:59]
	v_lshlrev_b32_e32 v58, 5, v64
	v_mfma_f32_16x16x16_f16 v[10:13], v[32:33], v[28:29], v[10:13]
	v_cvt_pk_f32_fp8_e32 v[32:33], v49
	v_cvt_pkrtz_f16_f32 v30, v30, v31
	v_cvt_pkrtz_f16_f32 v31, v66, v67
	v_cvt_pk_f32_fp8_sdwa v[48:49], v49 src0_sel:WORD_1
	v_cvt_pkrtz_f16_f32 v32, v32, v33
	v_cvt_pk_f32_fp8_e32 v[66:67], v42
	v_mfma_f32_16x16x16_f16 v[10:13], v[30:31], v[18:19], v[10:13]
	v_cvt_pkrtz_f16_f32 v33, v48, v49
	v_cvt_pkrtz_f16_f32 v30, v66, v67
	;; [unrolled: 1-line block ×3, first 2 shown]
	v_cvt_pk_f32_fp8_e32 v[48:49], v43
	v_cvt_pk_f32_fp8_sdwa v[42:43], v43 src0_sel:WORD_1
	v_mfma_f32_16x16x16_f16 v[10:13], v[32:33], v[20:21], v[10:13]
	v_lshl_add_u64 v[66:67], v[46:47], 0, v[58:59]
	v_cvt_pkrtz_f16_f32 v32, v48, v49
	v_cvt_pkrtz_f16_f32 v33, v42, v43
	v_mfma_f32_16x16x16_f16 v[10:13], v[30:31], v[14:15], v[10:13]
	v_cvt_pk_f32_fp8_e32 v[30:31], v44
	v_cvt_pk_f32_fp8_sdwa v[42:43], v44 src0_sel:WORD_1
	v_cvt_pk_f32_fp8_sdwa v[48:49], v22 src0_sel:WORD_1
	v_mfma_f32_16x16x16_f16 v[10:13], v[32:33], v[16:17], v[10:13]
	v_cvt_pkrtz_f16_f32 v30, v30, v31
	v_cvt_pkrtz_f16_f32 v31, v42, v43
	v_cvt_pk_f32_fp8_e32 v[32:33], v45
	v_cvt_pk_f32_fp8_sdwa v[42:43], v45 src0_sel:WORD_1
	v_cvt_pk_f32_fp8_e32 v[44:45], v22
	v_mfma_f32_16x16x16_f16 v[10:13], v[30:31], v[6:7], v[10:13]
	v_cvt_pkrtz_f16_f32 v32, v32, v33
	v_cvt_pkrtz_f16_f32 v33, v42, v43
	;; [unrolled: 1-line block ×4, first 2 shown]
	v_cvt_pk_f32_fp8_e32 v[48:49], v23
	v_cvt_pk_f32_fp8_sdwa v[22:23], v23 src0_sel:WORD_1
	v_mfma_f32_16x16x16_f16 v[42:45], v[32:33], v[8:9], v[10:13]
	s_waitcnt vmcnt(2)
	v_mad_i64_i32 v[68:69], s[6:7], v63, s45, v[66:67]
	v_cvt_pkrtz_f16_f32 v32, v48, v49
	v_cvt_pkrtz_f16_f32 v33, v22, v23
	v_mfma_f32_16x16x16_f16 v[10:13], v[30:31], v[26:27], 0
	v_cvt_pk_f32_fp8_e32 v[22:23], v24
	v_cvt_pk_f32_fp8_sdwa v[30:31], v24 src0_sel:WORD_1
	v_mad_i64_i32 v[48:49], s[6:7], v65, s45, v[66:67]
	v_cvt_pkrtz_f16_f32 v22, v22, v23
	v_cvt_pkrtz_f16_f32 v23, v30, v31
	v_cvt_pk_f32_fp8_e32 v[30:31], v25
	v_cvt_pk_f32_fp8_sdwa v[24:25], v25 src0_sel:WORD_1
	v_mfma_f32_16x16x16_f16 v[10:13], v[32:33], v[28:29], v[10:13]
	s_waitcnt vmcnt(0)
	v_mad_i64_i32 v[74:75], s[6:7], v62, s45, v[66:67]
	v_cvt_pkrtz_f16_f32 v70, v30, v31
	v_cvt_pkrtz_f16_f32 v71, v24, v25
	v_mfma_f32_16x16x16_f16 v[10:13], v[22:23], v[18:19], v[10:13]
	global_load_dwordx4 v[30:33], v[48:49], off
	global_load_dwordx4 v[22:25], v[68:69], off
	v_cvt_pk_f32_fp8_e32 v[68:69], v2
	v_mad_i64_i32 v[48:49], s[6:7], v55, s45, v[66:67]
	v_mfma_f32_16x16x16_f16 v[10:13], v[70:71], v[20:21], v[10:13]
	v_cvt_pk_f32_fp8_sdwa v[70:71], v2 src0_sel:WORD_1
	v_cvt_pk_f32_fp8_sdwa v[2:3], v3 src0_sel:WORD_1
	v_cvt_pkrtz_f16_f32 v68, v68, v69
	v_or_b32_e32 v58, 0x800, v58
	v_cvt_pkrtz_f16_f32 v69, v70, v71
	v_cvt_pkrtz_f16_f32 v70, v72, v73
	v_cvt_pkrtz_f16_f32 v71, v2, v3
	v_cvt_pk_f32_fp8_e32 v[2:3], v4
	v_cvt_pk_f32_fp8_sdwa v[72:73], v4 src0_sel:WORD_1
	v_mfma_f32_16x16x16_f16 v[66:69], v[68:69], v[14:15], v[10:13]
	v_lshl_add_u64 v[46:47], v[46:47], 0, v[58:59]
	v_cvt_pkrtz_f16_f32 v76, v2, v3
	v_cvt_pkrtz_f16_f32 v77, v72, v73
	v_cvt_pk_f32_fp8_e32 v[72:73], v5
	v_mfma_f32_16x16x16_f16 v[66:69], v[70:71], v[16:17], v[66:69]
	global_load_dwordx4 v[10:13], v[48:49], off
	global_load_dwordx4 v[2:5], v[74:75], off
	v_cvt_pkrtz_f16_f32 v49, v78, v79
	v_cvt_pkrtz_f16_f32 v48, v72, v73
	v_mfma_f32_16x16x16_f16 v[66:69], v[76:77], v[6:7], v[66:69]
	v_cvt_pk_f32_fp8_e32 v[58:59], v38
	v_cvt_pk_f32_fp8_sdwa v[70:71], v38 src0_sel:WORD_1
	v_cvt_pk_f32_fp8_e32 v[74:75], v40
	v_mfma_f32_16x16x16_f16 v[66:69], v[48:49], v[8:9], v[66:69]
	v_cvt_pk_f32_fp8_e32 v[48:49], v39
	v_cvt_pkrtz_f16_f32 v58, v58, v59
	v_cvt_pkrtz_f16_f32 v59, v70, v71
	v_cvt_pk_f32_fp8_sdwa v[38:39], v39 src0_sel:WORD_1
	v_cvt_pkrtz_f16_f32 v48, v48, v49
	v_cvt_pk_f32_fp8_sdwa v[76:77], v40 src0_sel:WORD_1
	v_mfma_f32_16x16x16_f16 v[70:73], v[58:59], v[26:27], 0
	v_cvt_pkrtz_f16_f32 v49, v38, v39
	v_cvt_pkrtz_f16_f32 v38, v74, v75
	;; [unrolled: 1-line block ×3, first 2 shown]
	v_cvt_pk_f32_fp8_e32 v[58:59], v41
	v_cvt_pk_f32_fp8_sdwa v[40:41], v41 src0_sel:WORD_1
	v_mfma_f32_16x16x16_f16 v[26:29], v[48:49], v[28:29], v[70:73]
	s_load_dword s6, s[40:41], 0x0
	v_cvt_pkrtz_f16_f32 v48, v58, v59
	v_cvt_pkrtz_f16_f32 v49, v40, v41
	v_mfma_f32_16x16x16_f16 v[26:29], v[38:39], v[18:19], v[26:29]
	v_mov_b32_e32 v70, s4
	s_waitcnt lgkmcnt(0)
	v_mul_f32_e32 v40, s6, v70
	v_pk_mul_f32 v[38:39], v[40:41], v[52:53] op_sel_hi:[0,1]
	v_mfma_f32_16x16x16_f16 v[18:21], v[48:49], v[20:21], v[26:29]
	v_cvt_pk_f32_fp8_e32 v[48:49], v35
	v_pk_mul_f32 v[50:51], v[40:41], v[50:51] op_sel_hi:[0,1]
	v_pk_mul_f32 v[52:53], v[40:41], v[42:43] op_sel_hi:[0,1]
	v_cvt_pk_f32_fp8_e32 v[26:27], v34
	v_cvt_pk_f32_fp8_sdwa v[28:29], v34 src0_sel:WORD_1
	v_cvt_pk_f32_fp8_sdwa v[34:35], v35 src0_sel:WORD_1
	v_pk_mul_f32 v[42:43], v[40:41], v[66:67] op_sel_hi:[0,1]
	v_cvt_pkrtz_f16_f32 v26, v26, v27
	v_cvt_pkrtz_f16_f32 v27, v28, v29
	;; [unrolled: 1-line block ×4, first 2 shown]
	v_cvt_pk_f32_fp8_e32 v[34:35], v36
	v_cvt_pk_f32_fp8_sdwa v[48:49], v36 src0_sel:WORD_1
	v_mfma_f32_16x16x16_f16 v[18:21], v[26:27], v[14:15], v[18:21]
	v_mad_i64_i32 v[58:59], s[6:7], v65, s45, v[46:47]
	v_cvt_pkrtz_f16_f32 v26, v34, v35
	v_cvt_pkrtz_f16_f32 v27, v48, v49
	v_cvt_pk_f32_fp8_e32 v[34:35], v37
	v_cvt_pk_f32_fp8_sdwa v[36:37], v37 src0_sel:WORD_1
	v_mfma_f32_16x16x16_f16 v[14:17], v[28:29], v[16:17], v[18:21]
	v_pk_mul_f32 v[48:49], v[40:41], v[44:45] op_sel_hi:[0,1]
	v_pk_mul_f32 v[44:45], v[40:41], v[68:69] op_sel_hi:[0,1]
	s_nop 0
	v_cvt_pkrtz_f16_f32 v18, v34, v35
	v_cvt_pkrtz_f16_f32 v19, v36, v37
	v_mfma_f32_16x16x16_f16 v[14:17], v[26:27], v[6:7], v[14:17]
	s_nop 0
	v_mfma_f32_16x16x16_f16 v[6:9], v[18:19], v[8:9], v[14:17]
	s_nop 6
	v_pk_mul_f32 v[34:35], v[40:41], v[8:9] op_sel_hi:[0,1]
	v_pk_mul_f32 v[40:41], v[40:41], v[6:7] op_sel_hi:[0,1]
	v_and_b32_e32 v6, 0xc0, v0
	v_add_u32_e32 v6, s18, v6
	v_lshl_or_b32 v6, v60, 2, v6
	v_or_b32_e32 v9, 1, v6
	v_mov_b32_e32 v7, 0xff7fffff
	v_cmp_gt_i32_e64 s[24:25], s5, v6
	v_cmp_gt_i32_e64 s[26:27], s5, v9
	v_or_b32_e32 v14, 3, v6
	v_cndmask_b32_e64 v8, v7, v50, s[24:25]
	v_cndmask_b32_e64 v9, v7, v51, s[26:27]
	v_max3_f32 v8, v8, s33, v9
	v_or_b32_e32 v9, 2, v6
	v_cmp_gt_i32_e64 s[28:29], s5, v9
	v_cmp_gt_i32_e64 s[30:31], s5, v14
	s_nop 0
	v_cndmask_b32_e64 v9, v7, v38, s[28:29]
	v_cndmask_b32_e64 v14, v7, v39, s[30:31]
	v_max3_f32 v8, v8, v9, v14
	v_or_b32_e32 v9, 16, v6
	v_or_b32_e32 v14, 17, v6
	v_cmp_gt_i32_e64 s[34:35], s5, v9
	v_cmp_gt_i32_e64 s[36:37], s5, v14
	s_nop 0
	v_cndmask_b32_e64 v9, v7, v52, s[34:35]
	v_cndmask_b32_e64 v14, v7, v53, s[36:37]
	v_max3_f32 v8, v8, v9, v14
	v_or_b32_e32 v9, 18, v6
	;; [unrolled: 8-line block ×6, first 2 shown]
	v_or_b32_e32 v6, 51, v6
	v_cmp_gt_i32_e32 vcc, s5, v9
	v_cmp_gt_i32_e64 s[4:5], s5, v6
	s_nop 0
	v_cndmask_b32_e32 v9, v7, v34, vcc
	v_cndmask_b32_e64 v6, v7, v35, s[4:5]
	v_max3_f32 v8, v8, v9, v6
	v_mbcnt_lo_u32_b32 v6, -1, 0
	v_mbcnt_hi_u32_b32 v9, -1, v6
	v_and_b32_e32 v6, 64, v9
	v_add_u32_e32 v14, 64, v6
	v_xor_b32_e32 v6, 32, v9
	v_cmp_lt_i32_e64 s[38:39], v6, v14
	s_nop 1
	v_cndmask_b32_e64 v6, v9, v6, s[38:39]
	v_lshlrev_b32_e32 v65, 2, v6
	ds_bpermute_b32 v15, v65, v8
	v_mad_i64_i32 v[6:7], s[38:39], v63, s45, v[46:47]
	global_load_dwordx4 v[26:29], v[58:59], off
	global_load_dwordx4 v[18:21], v[6:7], off
	s_waitcnt lgkmcnt(0)
	v_max_f32_e32 v6, v15, v15
	v_max_f32_e32 v15, v8, v6
	v_xor_b32_e32 v6, 16, v9
	v_cmp_lt_i32_e64 s[38:39], v6, v14
	s_nop 1
	v_cndmask_b32_e64 v6, v9, v6, s[38:39]
	v_lshlrev_b32_e32 v58, 2, v6
	ds_bpermute_b32 v14, v58, v15
	v_mad_i64_i32 v[6:7], s[38:39], v55, s45, v[46:47]
	v_mad_i64_i32 v[8:9], s[38:39], v62, s45, v[46:47]
	s_waitcnt lgkmcnt(0)
	v_max_f32_e32 v14, v14, v14
	v_max_f32_e32 v55, v15, v14
	v_sub_f32_e32 v14, v50, v55
	v_mul_f32_e32 v14, 0x3fb8aa3b, v14
	v_exp_f32_e32 v36, v14
	v_sub_f32_e32 v14, v51, v55
	v_mul_f32_e32 v14, 0x3fb8aa3b, v14
	v_exp_f32_e32 v37, v14
	global_load_dwordx4 v[14:17], v[6:7], off
	s_nop 0
	global_load_dwordx4 v[6:9], v[8:9], off
	v_sub_f32_e32 v38, v38, v55
	v_mul_f32_e32 v38, 0x3fb8aa3b, v38
	v_sub_f32_e32 v39, v39, v55
	v_exp_f32_e32 v38, v38
	v_mul_f32_e32 v39, 0x3fb8aa3b, v39
	v_exp_f32_e32 v39, v39
	v_cndmask_b32_e64 v36, 0, v36, s[24:25]
	v_add_f32_e32 v46, 0, v36
	v_cndmask_b32_e64 v37, 0, v37, s[26:27]
	v_add_f32_e32 v47, v46, v37
	;; [unrolled: 2-line block ×3, first 2 shown]
	v_cndmask_b32_e64 v47, 0, v39, s[30:31]
	v_sub_f32_e32 v39, v52, v55
	v_mul_f32_e32 v39, 0x3fb8aa3b, v39
	v_sub_f32_e32 v50, v53, v55
	v_exp_f32_e32 v39, v39
	v_mul_f32_e32 v50, 0x3fb8aa3b, v50
	v_sub_f32_e32 v48, v48, v55
	v_exp_f32_e32 v50, v50
	;; [unrolled: 3-line block ×4, first 2 shown]
	v_mul_f32_e32 v42, 0x3fb8aa3b, v42
	v_sub_f32_e32 v43, v43, v55
	v_add_f32_e32 v51, v38, v47
	v_cndmask_b32_e64 v38, 0, v39, s[34:35]
	v_exp_f32_e32 v42, v42
	v_mul_f32_e32 v43, 0x3fb8aa3b, v43
	v_sub_f32_e32 v44, v44, v55
	v_add_f32_e32 v51, v51, v38
	v_cndmask_b32_e64 v39, 0, v50, s[36:37]
	v_exp_f32_e32 v43, v43
	;; [unrolled: 5-line block ×7, first 2 shown]
	v_mul_f32_e32 v35, 0x3fb8aa3b, v35
	v_add_f32_e32 v50, v50, v44
	v_cndmask_b32_e64 v45, 0, v45, s[12:13]
	v_exp_f32_e32 v35, v35
	v_add_f32_e32 v50, v50, v45
	v_cndmask_b32_e64 v40, 0, v40, s[6:7]
	v_add_f32_e32 v50, v50, v40
	v_cndmask_b32_e64 v41, 0, v41, s[8:9]
	v_add_f32_e32 v50, v50, v41
	v_cndmask_b32_e32 v34, 0, v34, vcc
	v_add_f32_e32 v50, v50, v34
	v_cndmask_b32_e64 v35, 0, v35, s[4:5]
	v_add_f32_e32 v50, v50, v35
	ds_bpermute_b32 v51, v65, v50
	v_cmp_gt_u32_e64 s[4:5], 16, v61
	s_waitcnt lgkmcnt(0)
	s_barrier
	v_add_f32_e32 v50, v50, v51
	ds_bpermute_b32 v51, v58, v50
	s_and_saveexec_b64 s[6:7], s[4:5]
	s_cbranch_execz .LBB1036_13
; %bb.12:
	s_waitcnt lgkmcnt(0)
	v_add_f32_e32 v50, v50, v51
	v_lshlrev_b32_e32 v51, 2, v64
	ds_write2st64_b32 v51, v55, v50 offset1:1
.LBB1036_13:
	s_or_b64 exec, exec, s[6:7]
	s_waitcnt lgkmcnt(0)
	v_lshlrev_b32_e32 v51, 2, v56
	s_load_dword s8, s[0:1], 0x94
	s_waitcnt lgkmcnt(0)
	s_barrier
	ds_read2_b32 v[52:53], v51 offset1:16
	ds_read2_b32 v[58:59], v51 offset0:32 offset1:48
	ds_read2_b32 v[62:63], v51 offset0:64 offset1:80
	s_mul_i32 s9, s23, 9
	s_waitcnt lgkmcnt(2)
	v_max3_f32 v50, v52, s33, v53
	s_waitcnt lgkmcnt(1)
	v_max3_f32 v50, v50, v58, v59
	v_sub_f32_e32 v52, v52, v50
	v_mul_f32_e32 v52, 0x3fb8aa3b, v52
	v_exp_f32_e32 v55, v52
	v_sub_f32_e32 v52, v53, v50
	v_mul_f32_e32 v52, 0x3fb8aa3b, v52
	v_exp_f32_e32 v61, v52
	v_sub_f32_e32 v52, v58, v50
	v_mul_f32_e32 v52, 0x3fb8aa3b, v52
	v_exp_f32_e32 v58, v52
	ds_read2_b32 v[52:53], v51 offset0:96 offset1:112
	v_sub_f32_e32 v51, v59, v50
	v_mul_f32_e32 v51, 0x3fb8aa3b, v51
	v_exp_f32_e32 v59, v51
	s_waitcnt lgkmcnt(1)
	v_fma_f32 v51, v55, v62, 0
	v_fmac_f32_e32 v51, v61, v63
	s_waitcnt lgkmcnt(0)
	v_fmac_f32_e32 v51, v58, v52
	v_fmac_f32_e32 v51, v59, v53
	v_add_f32_e32 v52, 0x358637bd, v51
	v_div_scale_f32 v53, s[6:7], v52, v52, 1.0
	v_rcp_f32_e32 v62, v53
	s_barrier
	v_fma_f32 v63, -v53, v62, 1.0
	v_fmac_f32_e32 v62, v63, v62
	v_div_scale_f32 v63, vcc, 1.0, v52, 1.0
	v_mul_f32_e32 v64, v63, v62
	v_fma_f32 v65, -v53, v64, v63
	v_fmac_f32_e32 v64, v65, v62
	v_fma_f32 v53, -v53, v64, v63
	v_div_fmas_f32 v53, v53, v62, v64
	v_cmp_eq_u32_e32 vcc, 1, v57
	v_div_fixup_f32 v52, v53, v52, 1.0
	s_nop 0
	v_cndmask_b32_e32 v53, v55, v61, vcc
	v_cmp_eq_u32_e32 vcc, 2, v57
	s_nop 1
	v_cndmask_b32_e32 v53, v53, v58, vcc
	v_cmp_eq_u32_e32 vcc, 3, v57
	s_nop 1
	v_cndmask_b32_e32 v53, v53, v59, vcc
	v_mul_f32_e32 v52, v53, v52
	v_pk_mul_f32 v[46:47], v[52:53], v[46:47] op_sel_hi:[0,1]
	v_pk_mul_f32 v[36:37], v[52:53], v[36:37] op_sel_hi:[0,1]
	v_cvt_f16_f32_e32 v53, v46
	v_cvt_f16_f32_e32 v36, v36
	;; [unrolled: 1-line block ×4, first 2 shown]
	v_pk_mul_f32 v[48:49], v[52:53], v[48:49] op_sel_hi:[0,1]
	v_pk_mul_f32 v[38:39], v[52:53], v[38:39] op_sel_hi:[0,1]
	v_cvt_f16_f32_e32 v38, v38
	v_cvt_f16_f32_e32 v39, v39
	;; [unrolled: 1-line block ×4, first 2 shown]
	v_pack_b32_f16 v46, v36, v37
	v_pack_b32_f16 v47, v53, v47
	v_lshlrev_b32_e32 v37, 3, v60
	v_lshlrev_b32_e32 v36, 5, v56
	;; [unrolled: 1-line block ×3, first 2 shown]
	v_or3_b32 v55, v53, v36, v37
	v_pack_b32_f16 v38, v38, v39
	v_pack_b32_f16 v39, v48, v49
	ds_write2st64_b64 v55, v[46:47], v[38:39] offset1:1
	v_pk_mul_f32 v[38:39], v[52:53], v[44:45] op_sel_hi:[0,1]
	v_pk_mul_f32 v[42:43], v[52:53], v[42:43] op_sel_hi:[0,1]
	v_cvt_f16_f32_e32 v37, v42
	v_cvt_f16_f32_e32 v42, v43
	v_cvt_f16_f32_e32 v43, v38
	v_cvt_f16_f32_e32 v44, v39
	v_pk_mul_f32 v[34:35], v[52:53], v[34:35] op_sel_hi:[0,1]
	v_pk_mul_f32 v[38:39], v[52:53], v[40:41] op_sel_hi:[0,1]
	v_cvt_f16_f32_e32 v38, v38
	v_cvt_f16_f32_e32 v39, v39
	;; [unrolled: 1-line block ×4, first 2 shown]
	v_pack_b32_f16 v34, v37, v42
	v_pack_b32_f16 v35, v43, v44
	;; [unrolled: 1-line block ×4, first 2 shown]
	v_cmp_gt_u32_e32 vcc, 9, v0
	ds_write2st64_b64 v55, v[34:35], v[38:39] offset0:2 offset1:3
	s_and_saveexec_b64 s[6:7], vcc
	s_cbranch_execz .LBB1036_15
; %bb.14:
	s_mov_b32 s49, 0
	v_mov_b32_e32 v57, 0
	v_lshl_add_u64 v[34:35], s[48:49], 0, v[56:57]
	v_mov_b32_e32 v37, s9
	v_mad_u64_u32 v[34:35], s[10:11], s2, v37, v[34:35]
	s_mul_i32 s3, s3, s9
	v_mov_b32_e32 v38, s22
	v_mov_b32_e32 v39, v57
	s_load_dwordx4 s[12:15], s[0:1], 0x58
	v_add_u32_e32 v37, s3, v35
	v_mad_u64_u32 v[34:35], s[10:11], v34, s8, v[38:39]
	v_mov_b32_e32 v38, v35
	v_mad_u64_u32 v[38:39], s[10:11], v37, s8, v[38:39]
	v_mov_b32_e32 v35, v38
	v_lshlrev_b64 v[34:35], 2, v[34:35]
	s_waitcnt lgkmcnt(0)
	v_lshl_add_u64 v[38:39], s[14:15], 0, v[34:35]
	v_lshl_add_u64 v[34:35], s[12:13], 0, v[34:35]
	global_store_dword v[38:39], v50, off
	global_store_dword v[34:35], v51, off
.LBB1036_15:
	s_or_b64 exec, exec, s[6:7]
	s_waitcnt vmcnt(7)
	v_cvt_pk_f32_fp8_e32 v[34:35], v30
	v_lshl_or_b32 v50, v60, 9, v36
	v_cvt_pk_f32_fp8_sdwa v[36:37], v30 src0_sel:WORD_1
	s_waitcnt lgkmcnt(0)
	s_barrier
	v_cvt_pk_f32_fp8_e32 v[38:39], v31
	v_cvt_pkrtz_f16_f32 v30, v34, v35
	v_cvt_pk_f32_fp8_sdwa v[40:41], v31 src0_sel:WORD_1
	v_cvt_pkrtz_f16_f32 v31, v36, v37
	ds_read_b128 v[34:37], v50
	v_cvt_pkrtz_f16_f32 v46, v38, v39
	v_cvt_pkrtz_f16_f32 v47, v40, v41
	ds_read_b128 v[38:41], v50 offset:16
	v_cvt_pk_f32_fp8_e32 v[48:49], v32
	v_cvt_pk_f32_fp8_sdwa v[52:53], v32 src0_sel:WORD_1
	s_waitcnt lgkmcnt(1)
	v_mfma_f32_16x16x16_f16 v[42:45], v[30:31], v[34:35], 0
	s_waitcnt vmcnt(6)
	v_cvt_pk_f32_fp8_e32 v[58:59], v24
	v_cvt_pkrtz_f16_f32 v30, v48, v49
	v_cvt_pkrtz_f16_f32 v31, v52, v53
	v_cvt_pk_f32_fp8_e32 v[48:49], v33
	v_mfma_f32_16x16x16_f16 v[42:45], v[46:47], v[36:37], v[42:45]
	v_cvt_pk_f32_fp8_sdwa v[46:47], v33 src0_sel:WORD_1
	v_cvt_pk_f32_fp8_sdwa v[62:63], v24 src0_sel:WORD_1
	v_cvt_pkrtz_f16_f32 v48, v48, v49
	s_waitcnt lgkmcnt(0)
	v_mfma_f32_16x16x16_f16 v[30:33], v[30:31], v[38:39], v[42:45]
	v_cvt_pkrtz_f16_f32 v49, v46, v47
	s_waitcnt vmcnt(5)
	v_cvt_pk_f32_fp8_sdwa v[66:67], v12 src0_sel:WORD_1
	s_waitcnt vmcnt(4)
	v_cvt_pk_f32_fp8_sdwa v[68:69], v4 src0_sel:WORD_1
	v_cvt_pk_f32_fp8_e32 v[42:43], v22
	v_mfma_f32_16x16x16_f16 v[46:49], v[48:49], v[40:41], v[30:33]
	s_waitcnt vmcnt(3)
	v_cvt_pk_f32_fp8_sdwa v[70:71], v28 src0_sel:WORD_1
	s_load_dword s6, s[42:43], 0x0
	v_cvt_pk_f32_fp8_sdwa v[30:31], v22 src0_sel:WORD_1
	v_cvt_pk_f32_fp8_e32 v[32:33], v23
	v_cvt_pkrtz_f16_f32 v22, v42, v43
	v_cvt_pk_f32_fp8_sdwa v[42:43], v23 src0_sel:WORD_1
	v_cvt_pkrtz_f16_f32 v23, v30, v31
	v_cvt_pkrtz_f16_f32 v52, v32, v33
	ds_read_b128 v[30:33], v50 offset:2048
	v_cvt_pkrtz_f16_f32 v53, v42, v43
	ds_read_b128 v[42:45], v50 offset:2064
	s_waitcnt lgkmcnt(0)
	v_mfma_f32_16x16x16_f16 v[46:49], v[22:23], v[30:31], v[46:49]
	v_cvt_pkrtz_f16_f32 v22, v58, v59
	v_cvt_pkrtz_f16_f32 v23, v62, v63
	v_cvt_pk_f32_fp8_e32 v[58:59], v25
	v_mfma_f32_16x16x16_f16 v[46:49], v[52:53], v[32:33], v[46:49]
	v_cvt_pk_f32_fp8_sdwa v[52:53], v25 src0_sel:WORD_1
	s_mov_b32 s3, 0
	v_cvt_pkrtz_f16_f32 v58, v58, v59
	v_mfma_f32_16x16x16_f16 v[22:25], v[22:23], v[42:43], v[46:49]
	v_cvt_pkrtz_f16_f32 v59, v52, v53
	v_cmp_gt_u32_e32 vcc, 64, v0
	s_nop 0
	v_cvt_pk_f32_fp8_e32 v[46:47], v10
	v_mfma_f32_16x16x16_f16 v[62:65], v[58:59], v[44:45], v[22:25]
	v_cvt_pk_f32_fp8_e32 v[58:59], v12
	s_nop 1
	v_cvt_pk_f32_fp8_sdwa v[22:23], v10 src0_sel:WORD_1
	v_cvt_pk_f32_fp8_e32 v[24:25], v11
	v_cvt_pkrtz_f16_f32 v10, v46, v47
	v_cvt_pk_f32_fp8_sdwa v[46:47], v11 src0_sel:WORD_1
	v_cvt_pkrtz_f16_f32 v11, v22, v23
	v_cvt_pkrtz_f16_f32 v52, v24, v25
	ds_read_b128 v[22:25], v50 offset:4096
	v_cvt_pkrtz_f16_f32 v53, v46, v47
	ds_read_b128 v[46:49], v50 offset:4112
	s_waitcnt lgkmcnt(1)
	v_mfma_f32_16x16x16_f16 v[62:65], v[10:11], v[22:23], v[62:65]
	v_cvt_pkrtz_f16_f32 v10, v58, v59
	v_cvt_pkrtz_f16_f32 v11, v66, v67
	v_cvt_pk_f32_fp8_e32 v[58:59], v13
	v_mfma_f32_16x16x16_f16 v[62:65], v[52:53], v[24:25], v[62:65]
	v_cvt_pk_f32_fp8_sdwa v[52:53], v13 src0_sel:WORD_1
	v_cvt_pk_f32_fp8_e32 v[66:67], v4
	v_cvt_pkrtz_f16_f32 v58, v58, v59
	s_waitcnt lgkmcnt(0)
	v_mfma_f32_16x16x16_f16 v[10:13], v[10:11], v[46:47], v[62:65]
	v_cvt_pkrtz_f16_f32 v59, v52, v53
	v_cvt_pk_f32_fp8_e32 v[52:53], v2
	s_nop 0
	v_mfma_f32_16x16x16_f16 v[62:65], v[58:59], v[48:49], v[10:13]
	s_nop 2
	v_cvt_pk_f32_fp8_sdwa v[10:11], v2 src0_sel:WORD_1
	v_cvt_pk_f32_fp8_e32 v[12:13], v3
	v_cvt_pkrtz_f16_f32 v2, v52, v53
	v_cvt_pk_f32_fp8_sdwa v[52:53], v3 src0_sel:WORD_1
	v_cvt_pkrtz_f16_f32 v3, v10, v11
	v_cvt_pkrtz_f16_f32 v58, v12, v13
	ds_read_b128 v[10:13], v50 offset:6144
	v_cvt_pkrtz_f16_f32 v59, v52, v53
	s_waitcnt lgkmcnt(0)
	v_mfma_f32_16x16x16_f16 v[62:65], v[2:3], v[10:11], v[62:65]
	ds_read_b128 v[50:53], v50 offset:6160
	v_cvt_pkrtz_f16_f32 v2, v66, v67
	v_cvt_pkrtz_f16_f32 v3, v68, v69
	v_cvt_pk_f32_fp8_e32 v[66:67], v5
	v_mfma_f32_16x16x16_f16 v[62:65], v[58:59], v[12:13], v[62:65]
	v_cvt_pk_f32_fp8_sdwa v[58:59], v5 src0_sel:WORD_1
	v_cvt_pk_f32_fp8_e32 v[68:69], v28
	v_cvt_pkrtz_f16_f32 v66, v66, v67
	s_waitcnt lgkmcnt(0)
	v_mfma_f32_16x16x16_f16 v[2:5], v[2:3], v[50:51], v[62:65]
	v_cvt_pkrtz_f16_f32 v67, v58, v59
	v_cvt_pk_f32_fp8_e32 v[58:59], v26
	s_nop 0
	v_cvt_pk_f32_fp8_sdwa v[62:63], v26 src0_sel:WORD_1
	v_cvt_pk_f32_fp8_e32 v[64:65], v27
	v_cvt_pkrtz_f16_f32 v58, v58, v59
	v_cvt_pk_f32_fp8_sdwa v[26:27], v27 src0_sel:WORD_1
	v_cvt_pkrtz_f16_f32 v59, v62, v63
	v_mfma_f32_16x16x16_f16 v[2:5], v[66:67], v[52:53], v[2:5]
	v_cvt_pkrtz_f16_f32 v66, v64, v65
	v_cvt_pkrtz_f16_f32 v67, v26, v27
	;; [unrolled: 1-line block ×3, first 2 shown]
	v_mfma_f32_16x16x16_f16 v[62:65], v[58:59], v[34:35], 0
	v_cvt_pkrtz_f16_f32 v27, v70, v71
	v_cvt_pk_f32_fp8_e32 v[58:59], v29
	s_barrier
	v_mfma_f32_16x16x16_f16 v[34:37], v[66:67], v[36:37], v[62:65]
	v_cvt_pkrtz_f16_f32 v58, v58, v59
	s_nop 1
	v_cvt_pk_f32_fp8_sdwa v[62:63], v29 src0_sel:WORD_1
	v_mfma_f32_16x16x16_f16 v[26:29], v[26:27], v[38:39], v[34:37]
	s_waitcnt vmcnt(2)
	v_cvt_pk_f32_fp8_e32 v[38:39], v19
	v_cvt_pkrtz_f16_f32 v59, v62, v63
	v_cvt_pk_f32_fp8_e32 v[34:35], v18
	v_cvt_pk_f32_fp8_sdwa v[36:37], v18 src0_sel:WORD_1
	v_cvt_pk_f32_fp8_sdwa v[18:19], v19 src0_sel:WORD_1
	v_mfma_f32_16x16x16_f16 v[26:29], v[58:59], v[40:41], v[26:29]
	v_cvt_pkrtz_f16_f32 v34, v34, v35
	v_cvt_pkrtz_f16_f32 v35, v36, v37
	;; [unrolled: 1-line block ×3, first 2 shown]
	v_cvt_pk_f32_fp8_e32 v[38:39], v20
	v_cvt_pk_f32_fp8_sdwa v[40:41], v20 src0_sel:WORD_1
	v_cvt_pkrtz_f16_f32 v37, v18, v19
	v_mfma_f32_16x16x16_f16 v[26:29], v[34:35], v[30:31], v[26:29]
	v_cvt_pkrtz_f16_f32 v30, v38, v39
	v_cvt_pkrtz_f16_f32 v31, v40, v41
	v_cvt_pk_f32_fp8_e32 v[34:35], v21
	v_cvt_pk_f32_fp8_sdwa v[38:39], v21 src0_sel:WORD_1
	v_mfma_f32_16x16x16_f16 v[18:21], v[36:37], v[32:33], v[26:29]
	s_waitcnt vmcnt(1)
	v_cvt_pk_f32_fp8_sdwa v[32:33], v16 src0_sel:WORD_1
	s_nop 0
	v_cvt_pkrtz_f16_f32 v26, v34, v35
	v_cvt_pkrtz_f16_f32 v27, v38, v39
	v_mfma_f32_16x16x16_f16 v[18:21], v[30:31], v[42:43], v[18:21]
	v_cvt_pk_f32_fp8_e32 v[28:29], v14
	v_cvt_pk_f32_fp8_sdwa v[30:31], v14 src0_sel:WORD_1
	v_cvt_pkrtz_f16_f32 v28, v28, v29
	v_mfma_f32_16x16x16_f16 v[18:21], v[26:27], v[44:45], v[18:21]
	v_cvt_pk_f32_fp8_e32 v[26:27], v15
	v_cvt_pkrtz_f16_f32 v29, v30, v31
	v_cvt_pk_f32_fp8_sdwa v[14:15], v15 src0_sel:WORD_1
	v_cvt_pk_f32_fp8_e32 v[30:31], v16
	v_cvt_pkrtz_f16_f32 v26, v26, v27
	v_mfma_f32_16x16x16_f16 v[18:21], v[28:29], v[22:23], v[18:21]
	v_cvt_pkrtz_f16_f32 v27, v14, v15
	v_cvt_pkrtz_f16_f32 v22, v30, v31
	;; [unrolled: 1-line block ×3, first 2 shown]
	v_cvt_pk_f32_fp8_e32 v[28:29], v17
	v_cvt_pk_f32_fp8_sdwa v[30:31], v17 src0_sel:WORD_1
	v_mfma_f32_16x16x16_f16 v[14:17], v[26:27], v[24:25], v[18:21]
	s_waitcnt vmcnt(0)
	v_cvt_pk_f32_fp8_sdwa v[24:25], v6 src0_sel:WORD_1
	s_nop 0
	v_pk_mul_f32 v[18:19], v[4:5], s[6:7] op_sel_hi:[1,0]
	v_cvt_pkrtz_f16_f32 v4, v28, v29
	v_cvt_pkrtz_f16_f32 v5, v30, v31
	v_mfma_f32_16x16x16_f16 v[14:17], v[22:23], v[46:47], v[14:17]
	v_cvt_pk_f32_fp8_e32 v[22:23], v6
	v_pk_mul_f32 v[20:21], v[2:3], s[6:7] op_sel_hi:[1,0]
	v_mfma_f32_16x16x16_f16 v[2:5], v[4:5], v[48:49], v[14:17]
	s_nop 3
	v_cvt_pk_f32_fp8_e32 v[14:15], v7
	v_cvt_pkrtz_f16_f32 v16, v22, v23
	v_cvt_pkrtz_f16_f32 v17, v24, v25
	v_cvt_pk_f32_fp8_sdwa v[6:7], v7 src0_sel:WORD_1
	v_cvt_pkrtz_f16_f32 v14, v14, v15
	v_cvt_pk_f32_fp8_e32 v[22:23], v8
	v_cvt_pk_f32_fp8_sdwa v[24:25], v8 src0_sel:WORD_1
	v_cvt_pkrtz_f16_f32 v15, v6, v7
	v_mfma_f32_16x16x16_f16 v[2:5], v[16:17], v[10:11], v[2:5]
	v_cvt_pkrtz_f16_f32 v6, v22, v23
	v_cvt_pkrtz_f16_f32 v7, v24, v25
	v_cvt_pk_f32_fp8_e32 v[10:11], v9
	v_cvt_pk_f32_fp8_sdwa v[8:9], v9 src0_sel:WORD_1
	v_mfma_f32_16x16x16_f16 v[2:5], v[14:15], v[12:13], v[2:5]
	v_cvt_f16_f32_e32 v12, v20
	v_cvt_pkrtz_f16_f32 v10, v10, v11
	v_cvt_pkrtz_f16_f32 v11, v8, v9
	v_mfma_f32_16x16x16_f16 v[2:5], v[6:7], v[50:51], v[2:5]
	v_cvt_f16_f32_e32 v6, v21
	v_cvt_f16_f32_e32 v7, v18
	;; [unrolled: 1-line block ×3, first 2 shown]
	v_mfma_f32_16x16x16_f16 v[2:5], v[10:11], v[52:53], v[2:5]
	s_nop 6
	v_pk_mul_f32 v[4:5], v[4:5], s[6:7] op_sel_hi:[1,0]
	v_pk_mul_f32 v[2:3], v[2:3], s[6:7] op_sel_hi:[1,0]
	v_cvt_f16_f32_e32 v11, v4
	v_cvt_f16_f32_e32 v9, v2
	;; [unrolled: 1-line block ×4, first 2 shown]
	v_pack_b32_f16 v2, v12, v6
	v_pack_b32_f16 v3, v7, v8
	;; [unrolled: 1-line block ×4, first 2 shown]
	ds_write2st64_b64 v55, v[2:3], v[4:5] offset1:1
	s_waitcnt lgkmcnt(0)
	s_barrier
	s_and_saveexec_b64 s[6:7], vcc
	s_cbranch_execz .LBB1036_18
; %bb.16:
	s_load_dwordx2 s[6:7], s[0:1], 0x68
	s_lshl_b32 s0, s8, 7
	s_mul_i32 s1, s9, s2
	v_lshlrev_b32_e32 v3, 6, v56
	s_mul_hi_u32 s9, s1, s0
	s_mul_i32 s8, s1, s0
	v_lshl_or_b32 v0, v0, 10, v3
	s_lshl_b64 s[8:9], s[8:9], 1
	v_lshlrev_b32_e32 v2, 5, v60
	v_and_b32_e32 v1, 16, v1
	v_and_b32_e32 v0, 0x1a00, v0
	s_waitcnt lgkmcnt(0)
	s_add_u32 s1, s6, s8
	v_or3_b32 v2, v0, v2, v1
	s_addc_u32 s6, s7, s9
	s_lshl_b32 s2, s22, 7
	s_lshl_b64 s[2:3], s[2:3], 1
	ds_read_b128 v[4:7], v2 offset:128
	ds_read_b128 v[8:11], v2
	s_add_u32 s2, s1, s2
	s_addc_u32 s3, s6, s3
	v_mov_b32_e32 v55, 0
	v_add_u32_e32 v3, s48, v60
	v_lshl_add_u64 v[0:1], s[2:3], 0, v[54:55]
	v_mad_u64_u32 v[12:13], s[2:3], v3, s0, 0
	v_lshl_add_u64 v[12:13], v[12:13], 1, v[0:1]
	v_add_u32_e32 v3, 4, v3
	s_waitcnt lgkmcnt(0)
	global_store_dwordx4 v[12:13], v[8:11], off
	s_nop 1
	v_mad_u64_u32 v[8:9], s[2:3], v3, s0, 0
	v_lshl_add_u64 v[8:9], v[8:9], 1, v[0:1]
	global_store_dwordx4 v[8:9], v[4:7], off
	s_and_b64 exec, exec, s[4:5]
	s_cbranch_execz .LBB1036_18
; %bb.17:
	ds_read_b128 v[2:5], v2 offset:256
	v_add3_u32 v6, s48, v60, 8
	v_mad_u64_u32 v[6:7], s[0:1], v6, s0, 0
	v_lshl_add_u64 v[0:1], v[6:7], 1, v[0:1]
	s_waitcnt lgkmcnt(0)
	global_store_dwordx4 v[0:1], v[2:5], off
.LBB1036_18:
	s_endpgm
	.section	.rodata,"a",@progbits
	.p2align	6, 0x0
	.amdhsa_kernel _Z39paged_attention_ll4mi_QKV_mfma16_kernelIDF16_hLN4vllm18Fp8KVCacheDataTypeE1EhLi32ELi128ELi256ELb0ELi9EEvPKT_PKT0_S7_ifPKiS9_S9_iPKfiiiPfSC_PS2_PT2_iSB_SB_
		.amdhsa_group_segment_fixed_size 8192
		.amdhsa_private_segment_fixed_size 0
		.amdhsa_kernarg_size 400
		.amdhsa_user_sgpr_count 2
		.amdhsa_user_sgpr_dispatch_ptr 0
		.amdhsa_user_sgpr_queue_ptr 0
		.amdhsa_user_sgpr_kernarg_segment_ptr 1
		.amdhsa_user_sgpr_dispatch_id 0
		.amdhsa_user_sgpr_kernarg_preload_length 0
		.amdhsa_user_sgpr_kernarg_preload_offset 0
		.amdhsa_user_sgpr_private_segment_size 0
		.amdhsa_uses_dynamic_stack 0
		.amdhsa_enable_private_segment 0
		.amdhsa_system_sgpr_workgroup_id_x 1
		.amdhsa_system_sgpr_workgroup_id_y 1
		.amdhsa_system_sgpr_workgroup_id_z 1
		.amdhsa_system_sgpr_workgroup_info 0
		.amdhsa_system_vgpr_workitem_id 0
		.amdhsa_next_free_vgpr 80
		.amdhsa_next_free_sgpr 50
		.amdhsa_accum_offset 80
		.amdhsa_reserve_vcc 1
		.amdhsa_float_round_mode_32 0
		.amdhsa_float_round_mode_16_64 0
		.amdhsa_float_denorm_mode_32 3
		.amdhsa_float_denorm_mode_16_64 3
		.amdhsa_dx10_clamp 1
		.amdhsa_ieee_mode 1
		.amdhsa_fp16_overflow 0
		.amdhsa_tg_split 0
		.amdhsa_exception_fp_ieee_invalid_op 0
		.amdhsa_exception_fp_denorm_src 0
		.amdhsa_exception_fp_ieee_div_zero 0
		.amdhsa_exception_fp_ieee_overflow 0
		.amdhsa_exception_fp_ieee_underflow 0
		.amdhsa_exception_fp_ieee_inexact 0
		.amdhsa_exception_int_div_zero 0
	.end_amdhsa_kernel
	.section	.text._Z39paged_attention_ll4mi_QKV_mfma16_kernelIDF16_hLN4vllm18Fp8KVCacheDataTypeE1EhLi32ELi128ELi256ELb0ELi9EEvPKT_PKT0_S7_ifPKiS9_S9_iPKfiiiPfSC_PS2_PT2_iSB_SB_,"axG",@progbits,_Z39paged_attention_ll4mi_QKV_mfma16_kernelIDF16_hLN4vllm18Fp8KVCacheDataTypeE1EhLi32ELi128ELi256ELb0ELi9EEvPKT_PKT0_S7_ifPKiS9_S9_iPKfiiiPfSC_PS2_PT2_iSB_SB_,comdat
.Lfunc_end1036:
	.size	_Z39paged_attention_ll4mi_QKV_mfma16_kernelIDF16_hLN4vllm18Fp8KVCacheDataTypeE1EhLi32ELi128ELi256ELb0ELi9EEvPKT_PKT0_S7_ifPKiS9_S9_iPKfiiiPfSC_PS2_PT2_iSB_SB_, .Lfunc_end1036-_Z39paged_attention_ll4mi_QKV_mfma16_kernelIDF16_hLN4vllm18Fp8KVCacheDataTypeE1EhLi32ELi128ELi256ELb0ELi9EEvPKT_PKT0_S7_ifPKiS9_S9_iPKfiiiPfSC_PS2_PT2_iSB_SB_
                                        ; -- End function
	.section	.AMDGPU.csdata,"",@progbits
; Kernel info:
; codeLenInByte = 6100
; NumSgprs: 56
; NumVgprs: 80
; NumAgprs: 0
; TotalNumVgprs: 80
; ScratchSize: 0
; MemoryBound: 0
; FloatMode: 240
; IeeeMode: 1
; LDSByteSize: 8192 bytes/workgroup (compile time only)
; SGPRBlocks: 6
; VGPRBlocks: 9
; NumSGPRsForWavesPerEU: 56
; NumVGPRsForWavesPerEU: 80
; AccumOffset: 80
; Occupancy: 6
; WaveLimiterHint : 1
; COMPUTE_PGM_RSRC2:SCRATCH_EN: 0
; COMPUTE_PGM_RSRC2:USER_SGPR: 2
; COMPUTE_PGM_RSRC2:TRAP_HANDLER: 0
; COMPUTE_PGM_RSRC2:TGID_X_EN: 1
; COMPUTE_PGM_RSRC2:TGID_Y_EN: 1
; COMPUTE_PGM_RSRC2:TGID_Z_EN: 1
; COMPUTE_PGM_RSRC2:TIDIG_COMP_CNT: 0
; COMPUTE_PGM_RSRC3_GFX90A:ACCUM_OFFSET: 19
; COMPUTE_PGM_RSRC3_GFX90A:TG_SPLIT: 0
	.section	.text._Z39paged_attention_ll4mi_QKV_mfma16_kernelIDF16_hLN4vllm18Fp8KVCacheDataTypeE1EhLi32ELi128ELi256ELb0ELi10EEvPKT_PKT0_S7_ifPKiS9_S9_iPKfiiiPfSC_PS2_PT2_iSB_SB_,"axG",@progbits,_Z39paged_attention_ll4mi_QKV_mfma16_kernelIDF16_hLN4vllm18Fp8KVCacheDataTypeE1EhLi32ELi128ELi256ELb0ELi10EEvPKT_PKT0_S7_ifPKiS9_S9_iPKfiiiPfSC_PS2_PT2_iSB_SB_,comdat
	.protected	_Z39paged_attention_ll4mi_QKV_mfma16_kernelIDF16_hLN4vllm18Fp8KVCacheDataTypeE1EhLi32ELi128ELi256ELb0ELi10EEvPKT_PKT0_S7_ifPKiS9_S9_iPKfiiiPfSC_PS2_PT2_iSB_SB_ ; -- Begin function _Z39paged_attention_ll4mi_QKV_mfma16_kernelIDF16_hLN4vllm18Fp8KVCacheDataTypeE1EhLi32ELi128ELi256ELb0ELi10EEvPKT_PKT0_S7_ifPKiS9_S9_iPKfiiiPfSC_PS2_PT2_iSB_SB_
	.globl	_Z39paged_attention_ll4mi_QKV_mfma16_kernelIDF16_hLN4vllm18Fp8KVCacheDataTypeE1EhLi32ELi128ELi256ELb0ELi10EEvPKT_PKT0_S7_ifPKiS9_S9_iPKfiiiPfSC_PS2_PT2_iSB_SB_
	.p2align	8
	.type	_Z39paged_attention_ll4mi_QKV_mfma16_kernelIDF16_hLN4vllm18Fp8KVCacheDataTypeE1EhLi32ELi128ELi256ELb0ELi10EEvPKT_PKT0_S7_ifPKiS9_S9_iPKfiiiPfSC_PS2_PT2_iSB_SB_,@function
_Z39paged_attention_ll4mi_QKV_mfma16_kernelIDF16_hLN4vllm18Fp8KVCacheDataTypeE1EhLi32ELi128ELi256ELb0ELi10EEvPKT_PKT0_S7_ifPKiS9_S9_iPKfiiiPfSC_PS2_PT2_iSB_SB_: ; @_Z39paged_attention_ll4mi_QKV_mfma16_kernelIDF16_hLN4vllm18Fp8KVCacheDataTypeE1EhLi32ELi128ELi256ELb0ELi10EEvPKT_PKT0_S7_ifPKiS9_S9_iPKfiiiPfSC_PS2_PT2_iSB_SB_
; %bb.0:
	s_load_dwordx2 s[12:13], s[0:1], 0x30
	s_mov_b32 s22, s3
	s_mov_b64 s[6:7], 0
	s_waitcnt lgkmcnt(0)
	s_cmp_lg_u64 s[12:13], 0
	s_cselect_b64 s[14:15], -1, 0
	s_and_b64 vcc, exec, s[14:15]
	s_cbranch_vccz .LBB1037_7
; %bb.1:
	s_add_i32 s8, s2, 1
	s_mov_b32 s9, 0
	s_lshl_b64 s[10:11], s[8:9], 2
	s_add_u32 s10, s12, s10
	s_mov_b32 s3, s9
	s_addc_u32 s11, s13, s11
	s_lshl_b64 s[8:9], s[2:3], 2
	s_add_u32 s8, s12, s8
	s_addc_u32 s9, s13, s9
	s_load_dword s5, s[10:11], 0x0
	s_load_dword s16, s[8:9], 0x0
	s_waitcnt lgkmcnt(0)
	s_sub_i32 s5, s5, s16
	s_cmp_eq_u32 s5, 1
	s_cselect_b64 s[8:9], -1, 0
	s_andn2_b64 vcc, exec, s[6:7]
	s_cbranch_vccnz .LBB1037_3
.LBB1037_2:
	s_mov_b32 s3, 0
	s_mov_b64 s[8:9], -1
.LBB1037_3:
	s_andn2_b64 vcc, exec, s[8:9]
	s_cbranch_vccnz .LBB1037_18
; %bb.4:
	s_load_dwordx2 s[6:7], s[0:1], 0x28
	s_lshl_b64 s[16:17], s[2:3], 2
	s_waitcnt lgkmcnt(0)
	s_add_u32 s6, s6, s16
	s_addc_u32 s7, s7, s17
	s_load_dword s5, s[6:7], 0x0
	s_lshl_b32 s18, s22, 8
	s_waitcnt lgkmcnt(0)
	s_cmp_ge_i32 s18, s5
	s_cbranch_scc1 .LBB1037_18
; %bb.5:
	s_load_dwordx2 s[6:7], s[0:1], 0x20
	s_load_dword s8, s[0:1], 0x38
	s_add_i32 s9, s5, 31
	s_ashr_i32 s10, s9, 31
	v_and_b32_e32 v1, 0xcf, v0
	s_lshr_b32 s10, s10, 27
	v_add_u32_e32 v1, s18, v1
	s_add_i32 s9, s9, s10
	v_ashrrev_i32_e32 v2, 31, v1
	s_ashr_i32 s19, s9, 5
	v_lshrrev_b32_e32 v6, 27, v2
	s_add_i32 s19, s19, -1
	s_waitcnt lgkmcnt(0)
	s_mul_i32 s8, s2, s8
	s_mov_b32 s9, 0
	v_add_u32_e32 v2, v1, v6
	s_lshl_b64 s[8:9], s[8:9], 2
	v_ashrrev_i32_e32 v2, 5, v2
	v_mov_b32_e32 v7, s19
	v_cmp_gt_i32_e32 vcc, s5, v1
	s_add_u32 s6, s6, s8
	s_addc_u32 s7, s7, s9
	v_cndmask_b32_e32 v2, v7, v2, vcc
	v_ashrrev_i32_e32 v3, 31, v2
	v_lshl_add_u64 v[4:5], v[2:3], 2, s[6:7]
	v_or_b32_e32 v2, 16, v1
	v_add_u32_e32 v3, v2, v6
	v_ashrrev_i32_e32 v3, 5, v3
	v_cmp_gt_i32_e32 vcc, s5, v2
	s_load_dwordx4 s[8:11], s[0:1], 0x8
	s_nop 0
	v_cndmask_b32_e32 v2, v7, v3, vcc
	v_ashrrev_i32_e32 v3, 31, v2
	v_lshl_add_u64 v[8:9], v[2:3], 2, s[6:7]
	v_or_b32_e32 v2, 32, v1
	v_add_u32_e32 v3, v2, v6
	v_ashrrev_i32_e32 v3, 5, v3
	v_cmp_gt_i32_e32 vcc, s5, v2
	v_or_b32_e32 v1, 48, v1
	s_nop 0
	v_cndmask_b32_e32 v2, v7, v3, vcc
	v_ashrrev_i32_e32 v3, 31, v2
	v_lshl_add_u64 v[10:11], v[2:3], 2, s[6:7]
	v_add_u32_e32 v2, v1, v6
	v_ashrrev_i32_e32 v2, 5, v2
	v_cmp_gt_i32_e32 vcc, s5, v1
	s_nop 1
	v_cndmask_b32_e32 v2, v7, v2, vcc
	v_ashrrev_i32_e32 v3, 31, v2
	v_lshl_add_u64 v[12:13], v[2:3], 2, s[6:7]
	global_load_dword v2, v[4:5], off
	global_load_dword v6, v[8:9], off
	;; [unrolled: 1-line block ×4, first 2 shown]
	s_andn2_b64 vcc, exec, s[14:15]
	s_cbranch_vccnz .LBB1037_8
; %bb.6:
	s_add_u32 s12, s12, s16
	s_addc_u32 s13, s13, s17
	s_load_dword s14, s[12:13], 0x0
	s_branch .LBB1037_9
.LBB1037_7:
	s_mov_b64 s[8:9], 0
	s_branch .LBB1037_2
.LBB1037_8:
	s_mov_b32 s14, s2
.LBB1037_9:
	s_load_dwordx4 s[44:47], s[0:1], 0x48
	v_lshrrev_b32_e32 v57, 6, v0
	v_bfe_u32 v60, v0, 4, 2
	v_and_b32_e32 v56, 15, v0
	v_lshl_or_b32 v3, v57, 2, v60
	v_lshlrev_b32_e32 v1, 3, v56
	v_and_b32_e32 v61, 63, v0
	s_mul_i32 s48, s4, 10
	v_cmp_gt_u32_e32 vcc, 10, v3
	v_lshlrev_b32_e32 v54, 1, v1
	v_lshlrev_b32_e32 v1, 4, v0
	s_and_saveexec_b64 s[12:13], vcc
	s_cbranch_execz .LBB1037_11
; %bb.10:
	s_load_dwordx2 s[16:17], s[0:1], 0x0
	s_waitcnt lgkmcnt(0)
	s_ashr_i32 s15, s44, 31
	s_mul_hi_u32 s20, s14, s44
	s_mul_i32 s15, s14, s15
	s_add_i32 s15, s20, s15
	s_mul_i32 s14, s14, s44
	s_lshl_b64 s[14:15], s[14:15], 1
	s_add_u32 s14, s16, s14
	v_add_lshl_u32 v4, v3, s48, 7
	s_addc_u32 s15, s17, s15
	v_ashrrev_i32_e32 v5, 31, v4
	v_lshl_add_u64 v[4:5], v[4:5], 1, s[14:15]
	v_mov_b32_e32 v55, 0
	v_lshl_add_u64 v[4:5], v[4:5], 0, v[54:55]
	global_load_dwordx4 v[8:11], v[4:5], off
	v_lshlrev_b32_e32 v5, 8, v0
	v_lshlrev_b32_e32 v4, 8, v56
	v_and_b32_e32 v5, 0x600, v5
	s_movk_i32 s14, 0x800
	v_and_or_b32 v4, v4, s14, v5
	v_lshlrev_b32_e32 v3, 5, v3
	v_and_b32_e32 v5, 16, v1
	v_or3_b32 v3, v4, v3, v5
	s_waitcnt vmcnt(0)
	ds_write_b128 v3, v[8:11]
.LBB1037_11:
	s_or_b64 exec, exec, s[12:13]
	s_waitcnt lgkmcnt(0)
	s_mul_i32 s12, s4, s46
	s_add_u32 s8, s8, s12
	s_addc_u32 s9, s9, 0
	v_mov_b32_e32 v59, 0
	v_mov_b64_e32 v[4:5], s[8:9]
	v_and_b32_e32 v7, 48, v0
	s_waitcnt vmcnt(3)
	v_mad_i64_i32 v[8:9], s[8:9], v2, s45, v[4:5]
	v_lshlrev_b32_e32 v2, 4, v56
	v_mov_b32_e32 v3, v59
	v_lshlrev_b32_e32 v58, 5, v7
	v_lshl_add_u64 v[8:9], v[8:9], 0, v[2:3]
	v_lshl_add_u64 v[8:9], v[8:9], 0, v[58:59]
	s_load_dword s23, s[0:1], 0x98
	s_load_dwordx4 s[40:43], s[0:1], 0x80
	s_waitcnt lgkmcnt(0)
	s_barrier
	global_load_dwordx4 v[10:13], v[8:9], off
	global_load_dwordx4 v[30:33], v[8:9], off offset:2048
	v_add_u32_e32 v14, -10, v56
	v_cmp_gt_u32_e32 vcc, 10, v56
	s_ashr_i32 s8, s18, 31
	v_or_b32_e32 v24, 0x100, v2
	v_cndmask_b32_e32 v8, v14, v56, vcc
	v_mov_b32_e32 v25, v59
	s_lshr_b32 s13, s8, 27
	s_waitcnt vmcnt(4)
	v_mad_i64_i32 v[34:35], s[8:9], v6, s45, v[4:5]
	v_or_b32_e32 v39, s18, v7
	v_lshlrev_b32_e32 v7, 5, v8
	v_lshl_add_u64 v[34:35], v[34:35], 0, v[24:25]
	v_lshl_add_u32 v7, v60, 9, v7
	v_lshl_add_u64 v[34:35], v[34:35], 0, v[58:59]
	ds_read_b128 v[26:29], v7
	ds_read_b128 v[18:21], v7 offset:16
	ds_read_b128 v[14:17], v7 offset:2048
	;; [unrolled: 1-line block ×3, first 2 shown]
	global_load_dwordx4 v[46:49], v[34:35], off
	v_or_b32_e32 v41, 0x80, v39
	v_or_b32_e32 v51, 0xc0, v39
	s_waitcnt vmcnt(4)
	v_mad_i64_i32 v[36:37], s[8:9], v22, s45, v[4:5]
	s_waitcnt vmcnt(3)
	v_mad_i64_i32 v[4:5], s[8:9], v23, s45, v[4:5]
	v_add_u32_e32 v42, s13, v41
	v_add_u32_e32 v43, s13, v51
	v_lshl_add_u64 v[4:5], v[4:5], 0, v[24:25]
	v_ashrrev_i32_e32 v24, 5, v42
	v_ashrrev_i32_e32 v25, 5, v43
	global_load_dwordx4 v[42:45], v[34:35], off offset:2048
	v_or_b32_e32 v40, 64, v39
	v_add_u32_e32 v22, s13, v39
	v_mov_b32_e32 v38, s19
	v_add_u32_e32 v23, s13, v40
	v_ashrrev_i32_e32 v22, 5, v22
	v_cmp_gt_i32_e32 vcc, s5, v39
	v_ashrrev_i32_e32 v23, 5, v23
	v_lshl_add_u64 v[2:3], v[36:37], 0, v[2:3]
	v_cndmask_b32_e32 v50, v38, v22, vcc
	v_cmp_gt_i32_e32 vcc, s5, v40
	v_lshl_add_u64 v[2:3], v[2:3], 0, v[58:59]
	v_lshl_add_u64 v[36:37], v[4:5], 0, v[58:59]
	v_cndmask_b32_e32 v52, v38, v23, vcc
	v_cmp_gt_i32_e32 vcc, s5, v41
	v_ashrrev_i32_e32 v53, 31, v52
	v_lshl_add_u64 v[52:53], v[52:53], 2, s[6:7]
	v_cndmask_b32_e32 v62, v38, v24, vcc
	v_cmp_gt_i32_e32 vcc, s5, v51
	v_ashrrev_i32_e32 v51, 31, v50
	v_ashrrev_i32_e32 v63, 31, v62
	v_cndmask_b32_e32 v64, v38, v25, vcc
	global_load_dwordx4 v[22:25], v[2:3], off
	s_nop 0
	global_load_dwordx4 v[2:5], v[2:3], off offset:2048
	s_nop 0
	global_load_dwordx4 v[38:41], v[36:37], off
	s_nop 0
	global_load_dwordx4 v[34:37], v[36:37], off offset:2048
	v_ashrrev_i32_e32 v65, 31, v64
	v_lshl_add_u64 v[50:51], v[50:51], 2, s[6:7]
	v_lshl_add_u64 v[66:67], v[62:63], 2, s[6:7]
	;; [unrolled: 1-line block ×3, first 2 shown]
	global_load_dword v65, v[50:51], off
	global_load_dword v63, v[52:53], off
	;; [unrolled: 1-line block ×4, first 2 shown]
	s_add_u32 s6, s10, s12
	s_addc_u32 s7, s11, 0
	v_and_b32_e32 v58, 16, v0
	v_lshl_or_b32 v64, v57, 4, v56
	s_load_dword s4, s[0:1], 0x1c
	s_mov_b32 s33, 0xff7fffff
	s_waitcnt vmcnt(11)
	v_cvt_pk_f32_fp8_e32 v[50:51], v10
	v_cvt_pk_f32_fp8_sdwa v[52:53], v10 src0_sel:WORD_1
	v_cvt_pk_f32_fp8_e32 v[66:67], v11
	v_cvt_pk_f32_fp8_sdwa v[10:11], v11 src0_sel:WORD_1
	v_cvt_pkrtz_f16_f32 v50, v50, v51
	v_cvt_pkrtz_f16_f32 v51, v52, v53
	v_cvt_pk_f32_fp8_e32 v[68:69], v12
	v_cvt_pk_f32_fp8_sdwa v[70:71], v12 src0_sel:WORD_1
	v_cvt_pkrtz_f16_f32 v66, v66, v67
	v_cvt_pkrtz_f16_f32 v67, v10, v11
	s_waitcnt lgkmcnt(0)
	v_mfma_f32_16x16x16_f16 v[50:53], v[50:51], v[26:27], 0
	v_cvt_pk_f32_fp8_e32 v[72:73], v13
	v_cvt_pk_f32_fp8_sdwa v[74:75], v13 src0_sel:WORD_1
	v_cvt_pkrtz_f16_f32 v68, v68, v69
	v_cvt_pkrtz_f16_f32 v69, v70, v71
	v_mfma_f32_16x16x16_f16 v[10:13], v[66:67], v[28:29], v[50:53]
	s_waitcnt vmcnt(10)
	v_cvt_pk_f32_fp8_sdwa v[66:67], v30 src0_sel:WORD_1
	s_waitcnt vmcnt(6)
	v_cvt_pk_f32_fp8_sdwa v[78:79], v5 src0_sel:WORD_1
	v_cvt_pkrtz_f16_f32 v50, v72, v73
	v_cvt_pk_f32_fp8_e32 v[52:53], v30
	v_cvt_pkrtz_f16_f32 v51, v74, v75
	v_mfma_f32_16x16x16_f16 v[10:13], v[68:69], v[18:19], v[10:13]
	v_cvt_pk_f32_fp8_sdwa v[68:69], v42 src0_sel:WORD_1
	v_cvt_pkrtz_f16_f32 v52, v52, v53
	v_cvt_pkrtz_f16_f32 v53, v66, v67
	v_cvt_pk_f32_fp8_e32 v[66:67], v31
	v_cvt_pk_f32_fp8_sdwa v[30:31], v31 src0_sel:WORD_1
	v_mfma_f32_16x16x16_f16 v[10:13], v[50:51], v[20:21], v[10:13]
	v_cvt_pk_f32_fp8_e32 v[72:73], v3
	v_cvt_pkrtz_f16_f32 v50, v66, v67
	v_cvt_pkrtz_f16_f32 v51, v30, v31
	v_mfma_f32_16x16x16_f16 v[10:13], v[52:53], v[14:15], v[10:13]
	v_cvt_pk_f32_fp8_e32 v[30:31], v32
	v_cvt_pk_f32_fp8_sdwa v[52:53], v32 src0_sel:WORD_1
	v_cvt_pk_f32_fp8_sdwa v[66:67], v46 src0_sel:WORD_1
	v_mfma_f32_16x16x16_f16 v[10:13], v[50:51], v[16:17], v[10:13]
	v_cvt_pkrtz_f16_f32 v30, v30, v31
	v_cvt_pkrtz_f16_f32 v31, v52, v53
	v_cvt_pk_f32_fp8_e32 v[50:51], v33
	v_cvt_pk_f32_fp8_sdwa v[32:33], v33 src0_sel:WORD_1
	v_cvt_pk_f32_fp8_e32 v[52:53], v46
	v_mfma_f32_16x16x16_f16 v[10:13], v[30:31], v[6:7], v[10:13]
	v_cvt_pkrtz_f16_f32 v50, v50, v51
	v_cvt_pkrtz_f16_f32 v51, v32, v33
	;; [unrolled: 1-line block ×4, first 2 shown]
	v_cvt_pk_f32_fp8_e32 v[32:33], v47
	v_cvt_pk_f32_fp8_sdwa v[46:47], v47 src0_sel:WORD_1
	v_mfma_f32_16x16x16_f16 v[50:53], v[50:51], v[8:9], v[10:13]
	v_cvt_pk_f32_fp8_sdwa v[66:67], v48 src0_sel:WORD_1
	v_cvt_pkrtz_f16_f32 v32, v32, v33
	v_cvt_pkrtz_f16_f32 v33, v46, v47
	v_mfma_f32_16x16x16_f16 v[10:13], v[30:31], v[26:27], 0
	v_cvt_pk_f32_fp8_e32 v[30:31], v48
	v_lshl_add_u64 v[46:47], s[6:7], 0, v[58:59]
	v_lshlrev_b32_e32 v58, 5, v64
	v_mfma_f32_16x16x16_f16 v[10:13], v[32:33], v[28:29], v[10:13]
	v_cvt_pk_f32_fp8_e32 v[32:33], v49
	v_cvt_pkrtz_f16_f32 v30, v30, v31
	v_cvt_pkrtz_f16_f32 v31, v66, v67
	v_cvt_pk_f32_fp8_sdwa v[48:49], v49 src0_sel:WORD_1
	v_cvt_pkrtz_f16_f32 v32, v32, v33
	v_cvt_pk_f32_fp8_e32 v[66:67], v42
	v_mfma_f32_16x16x16_f16 v[10:13], v[30:31], v[18:19], v[10:13]
	v_cvt_pkrtz_f16_f32 v33, v48, v49
	v_cvt_pkrtz_f16_f32 v30, v66, v67
	;; [unrolled: 1-line block ×3, first 2 shown]
	v_cvt_pk_f32_fp8_e32 v[48:49], v43
	v_cvt_pk_f32_fp8_sdwa v[42:43], v43 src0_sel:WORD_1
	v_mfma_f32_16x16x16_f16 v[10:13], v[32:33], v[20:21], v[10:13]
	v_lshl_add_u64 v[66:67], v[46:47], 0, v[58:59]
	v_cvt_pkrtz_f16_f32 v32, v48, v49
	v_cvt_pkrtz_f16_f32 v33, v42, v43
	v_mfma_f32_16x16x16_f16 v[10:13], v[30:31], v[14:15], v[10:13]
	v_cvt_pk_f32_fp8_e32 v[30:31], v44
	v_cvt_pk_f32_fp8_sdwa v[42:43], v44 src0_sel:WORD_1
	v_cvt_pk_f32_fp8_sdwa v[48:49], v22 src0_sel:WORD_1
	v_mfma_f32_16x16x16_f16 v[10:13], v[32:33], v[16:17], v[10:13]
	v_cvt_pkrtz_f16_f32 v30, v30, v31
	v_cvt_pkrtz_f16_f32 v31, v42, v43
	v_cvt_pk_f32_fp8_e32 v[32:33], v45
	v_cvt_pk_f32_fp8_sdwa v[42:43], v45 src0_sel:WORD_1
	v_cvt_pk_f32_fp8_e32 v[44:45], v22
	v_mfma_f32_16x16x16_f16 v[10:13], v[30:31], v[6:7], v[10:13]
	v_cvt_pkrtz_f16_f32 v32, v32, v33
	v_cvt_pkrtz_f16_f32 v33, v42, v43
	;; [unrolled: 1-line block ×4, first 2 shown]
	v_cvt_pk_f32_fp8_e32 v[48:49], v23
	v_cvt_pk_f32_fp8_sdwa v[22:23], v23 src0_sel:WORD_1
	v_mfma_f32_16x16x16_f16 v[42:45], v[32:33], v[8:9], v[10:13]
	s_waitcnt vmcnt(2)
	v_mad_i64_i32 v[68:69], s[6:7], v63, s45, v[66:67]
	v_cvt_pkrtz_f16_f32 v32, v48, v49
	v_cvt_pkrtz_f16_f32 v33, v22, v23
	v_mfma_f32_16x16x16_f16 v[10:13], v[30:31], v[26:27], 0
	v_cvt_pk_f32_fp8_e32 v[22:23], v24
	v_cvt_pk_f32_fp8_sdwa v[30:31], v24 src0_sel:WORD_1
	v_mad_i64_i32 v[48:49], s[6:7], v65, s45, v[66:67]
	v_cvt_pkrtz_f16_f32 v22, v22, v23
	v_cvt_pkrtz_f16_f32 v23, v30, v31
	v_cvt_pk_f32_fp8_e32 v[30:31], v25
	v_cvt_pk_f32_fp8_sdwa v[24:25], v25 src0_sel:WORD_1
	v_mfma_f32_16x16x16_f16 v[10:13], v[32:33], v[28:29], v[10:13]
	s_waitcnt vmcnt(0)
	v_mad_i64_i32 v[74:75], s[6:7], v62, s45, v[66:67]
	v_cvt_pkrtz_f16_f32 v70, v30, v31
	v_cvt_pkrtz_f16_f32 v71, v24, v25
	v_mfma_f32_16x16x16_f16 v[10:13], v[22:23], v[18:19], v[10:13]
	global_load_dwordx4 v[30:33], v[48:49], off
	global_load_dwordx4 v[22:25], v[68:69], off
	v_cvt_pk_f32_fp8_e32 v[68:69], v2
	v_mad_i64_i32 v[48:49], s[6:7], v55, s45, v[66:67]
	v_mfma_f32_16x16x16_f16 v[10:13], v[70:71], v[20:21], v[10:13]
	v_cvt_pk_f32_fp8_sdwa v[70:71], v2 src0_sel:WORD_1
	v_cvt_pk_f32_fp8_sdwa v[2:3], v3 src0_sel:WORD_1
	v_cvt_pkrtz_f16_f32 v68, v68, v69
	v_or_b32_e32 v58, 0x800, v58
	v_cvt_pkrtz_f16_f32 v69, v70, v71
	v_cvt_pkrtz_f16_f32 v70, v72, v73
	;; [unrolled: 1-line block ×3, first 2 shown]
	v_cvt_pk_f32_fp8_e32 v[2:3], v4
	v_cvt_pk_f32_fp8_sdwa v[72:73], v4 src0_sel:WORD_1
	v_mfma_f32_16x16x16_f16 v[66:69], v[68:69], v[14:15], v[10:13]
	v_lshl_add_u64 v[46:47], v[46:47], 0, v[58:59]
	v_cvt_pkrtz_f16_f32 v76, v2, v3
	v_cvt_pkrtz_f16_f32 v77, v72, v73
	v_cvt_pk_f32_fp8_e32 v[72:73], v5
	v_mfma_f32_16x16x16_f16 v[66:69], v[70:71], v[16:17], v[66:69]
	global_load_dwordx4 v[10:13], v[48:49], off
	global_load_dwordx4 v[2:5], v[74:75], off
	v_cvt_pkrtz_f16_f32 v49, v78, v79
	v_cvt_pkrtz_f16_f32 v48, v72, v73
	v_mfma_f32_16x16x16_f16 v[66:69], v[76:77], v[6:7], v[66:69]
	v_cvt_pk_f32_fp8_e32 v[58:59], v38
	v_cvt_pk_f32_fp8_sdwa v[70:71], v38 src0_sel:WORD_1
	v_cvt_pk_f32_fp8_e32 v[74:75], v40
	v_mfma_f32_16x16x16_f16 v[66:69], v[48:49], v[8:9], v[66:69]
	v_cvt_pk_f32_fp8_e32 v[48:49], v39
	v_cvt_pkrtz_f16_f32 v58, v58, v59
	v_cvt_pkrtz_f16_f32 v59, v70, v71
	v_cvt_pk_f32_fp8_sdwa v[38:39], v39 src0_sel:WORD_1
	v_cvt_pkrtz_f16_f32 v48, v48, v49
	v_cvt_pk_f32_fp8_sdwa v[76:77], v40 src0_sel:WORD_1
	v_mfma_f32_16x16x16_f16 v[70:73], v[58:59], v[26:27], 0
	v_cvt_pkrtz_f16_f32 v49, v38, v39
	v_cvt_pkrtz_f16_f32 v38, v74, v75
	;; [unrolled: 1-line block ×3, first 2 shown]
	v_cvt_pk_f32_fp8_e32 v[58:59], v41
	v_cvt_pk_f32_fp8_sdwa v[40:41], v41 src0_sel:WORD_1
	v_mfma_f32_16x16x16_f16 v[26:29], v[48:49], v[28:29], v[70:73]
	s_load_dword s6, s[40:41], 0x0
	v_cvt_pkrtz_f16_f32 v48, v58, v59
	v_cvt_pkrtz_f16_f32 v49, v40, v41
	v_mfma_f32_16x16x16_f16 v[26:29], v[38:39], v[18:19], v[26:29]
	v_mov_b32_e32 v70, s4
	s_waitcnt lgkmcnt(0)
	v_mul_f32_e32 v40, s6, v70
	v_pk_mul_f32 v[38:39], v[40:41], v[52:53] op_sel_hi:[0,1]
	v_mfma_f32_16x16x16_f16 v[18:21], v[48:49], v[20:21], v[26:29]
	v_cvt_pk_f32_fp8_e32 v[48:49], v35
	v_pk_mul_f32 v[50:51], v[40:41], v[50:51] op_sel_hi:[0,1]
	v_pk_mul_f32 v[52:53], v[40:41], v[42:43] op_sel_hi:[0,1]
	v_cvt_pk_f32_fp8_e32 v[26:27], v34
	v_cvt_pk_f32_fp8_sdwa v[28:29], v34 src0_sel:WORD_1
	v_cvt_pk_f32_fp8_sdwa v[34:35], v35 src0_sel:WORD_1
	v_pk_mul_f32 v[42:43], v[40:41], v[66:67] op_sel_hi:[0,1]
	v_cvt_pkrtz_f16_f32 v26, v26, v27
	v_cvt_pkrtz_f16_f32 v27, v28, v29
	;; [unrolled: 1-line block ×4, first 2 shown]
	v_cvt_pk_f32_fp8_e32 v[34:35], v36
	v_cvt_pk_f32_fp8_sdwa v[48:49], v36 src0_sel:WORD_1
	v_mfma_f32_16x16x16_f16 v[18:21], v[26:27], v[14:15], v[18:21]
	v_mad_i64_i32 v[58:59], s[6:7], v65, s45, v[46:47]
	v_cvt_pkrtz_f16_f32 v26, v34, v35
	v_cvt_pkrtz_f16_f32 v27, v48, v49
	v_cvt_pk_f32_fp8_e32 v[34:35], v37
	v_cvt_pk_f32_fp8_sdwa v[36:37], v37 src0_sel:WORD_1
	v_mfma_f32_16x16x16_f16 v[14:17], v[28:29], v[16:17], v[18:21]
	v_pk_mul_f32 v[48:49], v[40:41], v[44:45] op_sel_hi:[0,1]
	v_pk_mul_f32 v[44:45], v[40:41], v[68:69] op_sel_hi:[0,1]
	s_nop 0
	v_cvt_pkrtz_f16_f32 v18, v34, v35
	v_cvt_pkrtz_f16_f32 v19, v36, v37
	v_mfma_f32_16x16x16_f16 v[14:17], v[26:27], v[6:7], v[14:17]
	s_nop 0
	v_mfma_f32_16x16x16_f16 v[6:9], v[18:19], v[8:9], v[14:17]
	s_nop 6
	v_pk_mul_f32 v[34:35], v[40:41], v[8:9] op_sel_hi:[0,1]
	v_pk_mul_f32 v[40:41], v[40:41], v[6:7] op_sel_hi:[0,1]
	v_and_b32_e32 v6, 0xc0, v0
	v_add_u32_e32 v6, s18, v6
	v_lshl_or_b32 v6, v60, 2, v6
	v_or_b32_e32 v9, 1, v6
	v_mov_b32_e32 v7, 0xff7fffff
	v_cmp_gt_i32_e64 s[24:25], s5, v6
	v_cmp_gt_i32_e64 s[26:27], s5, v9
	v_or_b32_e32 v14, 3, v6
	v_cndmask_b32_e64 v8, v7, v50, s[24:25]
	v_cndmask_b32_e64 v9, v7, v51, s[26:27]
	v_max3_f32 v8, v8, s33, v9
	v_or_b32_e32 v9, 2, v6
	v_cmp_gt_i32_e64 s[28:29], s5, v9
	v_cmp_gt_i32_e64 s[30:31], s5, v14
	s_nop 0
	v_cndmask_b32_e64 v9, v7, v38, s[28:29]
	v_cndmask_b32_e64 v14, v7, v39, s[30:31]
	v_max3_f32 v8, v8, v9, v14
	v_or_b32_e32 v9, 16, v6
	v_or_b32_e32 v14, 17, v6
	v_cmp_gt_i32_e64 s[34:35], s5, v9
	v_cmp_gt_i32_e64 s[36:37], s5, v14
	s_nop 0
	v_cndmask_b32_e64 v9, v7, v52, s[34:35]
	v_cndmask_b32_e64 v14, v7, v53, s[36:37]
	v_max3_f32 v8, v8, v9, v14
	v_or_b32_e32 v9, 18, v6
	;; [unrolled: 8-line block ×6, first 2 shown]
	v_or_b32_e32 v6, 51, v6
	v_cmp_gt_i32_e32 vcc, s5, v9
	v_cmp_gt_i32_e64 s[4:5], s5, v6
	s_nop 0
	v_cndmask_b32_e32 v9, v7, v34, vcc
	v_cndmask_b32_e64 v6, v7, v35, s[4:5]
	v_max3_f32 v8, v8, v9, v6
	v_mbcnt_lo_u32_b32 v6, -1, 0
	v_mbcnt_hi_u32_b32 v9, -1, v6
	v_and_b32_e32 v6, 64, v9
	v_add_u32_e32 v14, 64, v6
	v_xor_b32_e32 v6, 32, v9
	v_cmp_lt_i32_e64 s[38:39], v6, v14
	s_nop 1
	v_cndmask_b32_e64 v6, v9, v6, s[38:39]
	v_lshlrev_b32_e32 v65, 2, v6
	ds_bpermute_b32 v15, v65, v8
	v_mad_i64_i32 v[6:7], s[38:39], v63, s45, v[46:47]
	global_load_dwordx4 v[26:29], v[58:59], off
	global_load_dwordx4 v[18:21], v[6:7], off
	s_waitcnt lgkmcnt(0)
	v_max_f32_e32 v6, v15, v15
	v_max_f32_e32 v15, v8, v6
	v_xor_b32_e32 v6, 16, v9
	v_cmp_lt_i32_e64 s[38:39], v6, v14
	s_nop 1
	v_cndmask_b32_e64 v6, v9, v6, s[38:39]
	v_lshlrev_b32_e32 v58, 2, v6
	ds_bpermute_b32 v14, v58, v15
	v_mad_i64_i32 v[6:7], s[38:39], v55, s45, v[46:47]
	v_mad_i64_i32 v[8:9], s[38:39], v62, s45, v[46:47]
	s_waitcnt lgkmcnt(0)
	v_max_f32_e32 v14, v14, v14
	v_max_f32_e32 v55, v15, v14
	v_sub_f32_e32 v14, v50, v55
	v_mul_f32_e32 v14, 0x3fb8aa3b, v14
	v_exp_f32_e32 v36, v14
	v_sub_f32_e32 v14, v51, v55
	v_mul_f32_e32 v14, 0x3fb8aa3b, v14
	v_exp_f32_e32 v37, v14
	global_load_dwordx4 v[14:17], v[6:7], off
	s_nop 0
	global_load_dwordx4 v[6:9], v[8:9], off
	v_sub_f32_e32 v38, v38, v55
	v_mul_f32_e32 v38, 0x3fb8aa3b, v38
	v_sub_f32_e32 v39, v39, v55
	v_exp_f32_e32 v38, v38
	v_mul_f32_e32 v39, 0x3fb8aa3b, v39
	v_exp_f32_e32 v39, v39
	v_cndmask_b32_e64 v36, 0, v36, s[24:25]
	v_add_f32_e32 v46, 0, v36
	v_cndmask_b32_e64 v37, 0, v37, s[26:27]
	v_add_f32_e32 v47, v46, v37
	;; [unrolled: 2-line block ×3, first 2 shown]
	v_cndmask_b32_e64 v47, 0, v39, s[30:31]
	v_sub_f32_e32 v39, v52, v55
	v_mul_f32_e32 v39, 0x3fb8aa3b, v39
	v_sub_f32_e32 v50, v53, v55
	v_exp_f32_e32 v39, v39
	v_mul_f32_e32 v50, 0x3fb8aa3b, v50
	v_sub_f32_e32 v48, v48, v55
	v_exp_f32_e32 v50, v50
	;; [unrolled: 3-line block ×4, first 2 shown]
	v_mul_f32_e32 v42, 0x3fb8aa3b, v42
	v_sub_f32_e32 v43, v43, v55
	v_add_f32_e32 v51, v38, v47
	v_cndmask_b32_e64 v38, 0, v39, s[34:35]
	v_exp_f32_e32 v42, v42
	v_mul_f32_e32 v43, 0x3fb8aa3b, v43
	v_sub_f32_e32 v44, v44, v55
	v_add_f32_e32 v51, v51, v38
	v_cndmask_b32_e64 v39, 0, v50, s[36:37]
	v_exp_f32_e32 v43, v43
	;; [unrolled: 5-line block ×7, first 2 shown]
	v_mul_f32_e32 v35, 0x3fb8aa3b, v35
	v_add_f32_e32 v50, v50, v44
	v_cndmask_b32_e64 v45, 0, v45, s[12:13]
	v_exp_f32_e32 v35, v35
	v_add_f32_e32 v50, v50, v45
	v_cndmask_b32_e64 v40, 0, v40, s[6:7]
	v_add_f32_e32 v50, v50, v40
	v_cndmask_b32_e64 v41, 0, v41, s[8:9]
	v_add_f32_e32 v50, v50, v41
	v_cndmask_b32_e32 v34, 0, v34, vcc
	v_add_f32_e32 v50, v50, v34
	v_cndmask_b32_e64 v35, 0, v35, s[4:5]
	v_add_f32_e32 v50, v50, v35
	ds_bpermute_b32 v51, v65, v50
	v_cmp_gt_u32_e32 vcc, 16, v61
	s_waitcnt lgkmcnt(0)
	s_barrier
	v_add_f32_e32 v50, v50, v51
	ds_bpermute_b32 v51, v58, v50
	s_and_saveexec_b64 s[4:5], vcc
	s_cbranch_execz .LBB1037_13
; %bb.12:
	s_waitcnt lgkmcnt(0)
	v_add_f32_e32 v50, v50, v51
	v_lshlrev_b32_e32 v51, 2, v64
	ds_write2st64_b32 v51, v55, v50 offset1:1
.LBB1037_13:
	s_or_b64 exec, exec, s[4:5]
	s_waitcnt lgkmcnt(0)
	v_lshlrev_b32_e32 v51, 2, v56
	s_load_dword s6, s[0:1], 0x94
	s_waitcnt lgkmcnt(0)
	s_barrier
	ds_read2_b32 v[52:53], v51 offset1:16
	ds_read2_b32 v[58:59], v51 offset0:32 offset1:48
	ds_read2_b32 v[62:63], v51 offset0:64 offset1:80
	s_mul_i32 s7, s23, 10
	s_waitcnt lgkmcnt(2)
	v_max3_f32 v50, v52, s33, v53
	s_waitcnt lgkmcnt(1)
	v_max3_f32 v50, v50, v58, v59
	v_sub_f32_e32 v52, v52, v50
	v_mul_f32_e32 v52, 0x3fb8aa3b, v52
	v_exp_f32_e32 v55, v52
	v_sub_f32_e32 v52, v53, v50
	v_mul_f32_e32 v52, 0x3fb8aa3b, v52
	v_exp_f32_e32 v61, v52
	;; [unrolled: 3-line block ×3, first 2 shown]
	ds_read2_b32 v[52:53], v51 offset0:96 offset1:112
	v_sub_f32_e32 v51, v59, v50
	v_mul_f32_e32 v51, 0x3fb8aa3b, v51
	v_exp_f32_e32 v59, v51
	s_waitcnt lgkmcnt(1)
	v_fma_f32 v51, v55, v62, 0
	v_fmac_f32_e32 v51, v61, v63
	s_waitcnt lgkmcnt(0)
	v_fmac_f32_e32 v51, v58, v52
	v_fmac_f32_e32 v51, v59, v53
	v_add_f32_e32 v52, 0x358637bd, v51
	v_div_scale_f32 v53, s[4:5], v52, v52, 1.0
	v_rcp_f32_e32 v62, v53
	s_barrier
	v_fma_f32 v63, -v53, v62, 1.0
	v_fmac_f32_e32 v62, v63, v62
	v_div_scale_f32 v63, vcc, 1.0, v52, 1.0
	v_mul_f32_e32 v64, v63, v62
	v_fma_f32 v65, -v53, v64, v63
	v_fmac_f32_e32 v64, v65, v62
	v_fma_f32 v53, -v53, v64, v63
	v_div_fmas_f32 v53, v53, v62, v64
	v_cmp_eq_u32_e32 vcc, 1, v57
	v_div_fixup_f32 v52, v53, v52, 1.0
	s_nop 0
	v_cndmask_b32_e32 v53, v55, v61, vcc
	v_cmp_eq_u32_e32 vcc, 2, v57
	s_nop 1
	v_cndmask_b32_e32 v53, v53, v58, vcc
	v_cmp_eq_u32_e32 vcc, 3, v57
	s_nop 1
	v_cndmask_b32_e32 v53, v53, v59, vcc
	v_mul_f32_e32 v52, v53, v52
	v_pk_mul_f32 v[46:47], v[52:53], v[46:47] op_sel_hi:[0,1]
	v_pk_mul_f32 v[36:37], v[52:53], v[36:37] op_sel_hi:[0,1]
	v_cvt_f16_f32_e32 v53, v46
	v_cvt_f16_f32_e32 v36, v36
	;; [unrolled: 1-line block ×4, first 2 shown]
	v_pk_mul_f32 v[48:49], v[52:53], v[48:49] op_sel_hi:[0,1]
	v_pk_mul_f32 v[38:39], v[52:53], v[38:39] op_sel_hi:[0,1]
	v_cvt_f16_f32_e32 v38, v38
	v_cvt_f16_f32_e32 v39, v39
	;; [unrolled: 1-line block ×4, first 2 shown]
	v_pack_b32_f16 v46, v36, v37
	v_pack_b32_f16 v47, v53, v47
	v_lshlrev_b32_e32 v37, 3, v60
	v_lshlrev_b32_e32 v36, 5, v56
	;; [unrolled: 1-line block ×3, first 2 shown]
	v_or3_b32 v55, v53, v36, v37
	v_pack_b32_f16 v38, v38, v39
	v_pack_b32_f16 v39, v48, v49
	ds_write2st64_b64 v55, v[46:47], v[38:39] offset1:1
	v_pk_mul_f32 v[38:39], v[52:53], v[44:45] op_sel_hi:[0,1]
	v_pk_mul_f32 v[42:43], v[52:53], v[42:43] op_sel_hi:[0,1]
	v_cvt_f16_f32_e32 v37, v42
	v_cvt_f16_f32_e32 v42, v43
	;; [unrolled: 1-line block ×4, first 2 shown]
	v_pk_mul_f32 v[34:35], v[52:53], v[34:35] op_sel_hi:[0,1]
	v_pk_mul_f32 v[38:39], v[52:53], v[40:41] op_sel_hi:[0,1]
	v_cvt_f16_f32_e32 v38, v38
	v_cvt_f16_f32_e32 v39, v39
	;; [unrolled: 1-line block ×4, first 2 shown]
	v_pack_b32_f16 v34, v37, v42
	v_pack_b32_f16 v35, v43, v44
	;; [unrolled: 1-line block ×4, first 2 shown]
	v_cmp_gt_u32_e32 vcc, 10, v0
	ds_write2st64_b64 v55, v[34:35], v[38:39] offset0:2 offset1:3
	s_and_saveexec_b64 s[4:5], vcc
	s_cbranch_execz .LBB1037_15
; %bb.14:
	s_mov_b32 s49, 0
	v_mov_b32_e32 v57, 0
	v_lshl_add_u64 v[34:35], s[48:49], 0, v[56:57]
	v_mov_b32_e32 v37, s7
	v_mad_u64_u32 v[34:35], s[12:13], s2, v37, v[34:35]
	s_mul_i32 s3, s3, s7
	v_mov_b32_e32 v38, s22
	v_mov_b32_e32 v39, v57
	s_load_dwordx4 s[8:11], s[0:1], 0x58
	v_add_u32_e32 v37, s3, v35
	v_mad_u64_u32 v[34:35], s[12:13], v34, s6, v[38:39]
	v_mov_b32_e32 v38, v35
	v_mad_u64_u32 v[38:39], s[12:13], v37, s6, v[38:39]
	v_mov_b32_e32 v35, v38
	v_lshlrev_b64 v[34:35], 2, v[34:35]
	s_waitcnt lgkmcnt(0)
	v_lshl_add_u64 v[38:39], s[10:11], 0, v[34:35]
	v_lshl_add_u64 v[34:35], s[8:9], 0, v[34:35]
	global_store_dword v[38:39], v50, off
	global_store_dword v[34:35], v51, off
.LBB1037_15:
	s_or_b64 exec, exec, s[4:5]
	s_waitcnt vmcnt(7)
	v_cvt_pk_f32_fp8_e32 v[34:35], v30
	v_lshl_or_b32 v50, v60, 9, v36
	v_cvt_pk_f32_fp8_sdwa v[36:37], v30 src0_sel:WORD_1
	s_waitcnt lgkmcnt(0)
	s_barrier
	v_cvt_pk_f32_fp8_e32 v[38:39], v31
	v_cvt_pkrtz_f16_f32 v30, v34, v35
	v_cvt_pk_f32_fp8_sdwa v[40:41], v31 src0_sel:WORD_1
	v_cvt_pkrtz_f16_f32 v31, v36, v37
	ds_read_b128 v[34:37], v50
	v_cvt_pkrtz_f16_f32 v46, v38, v39
	v_cvt_pkrtz_f16_f32 v47, v40, v41
	ds_read_b128 v[38:41], v50 offset:16
	v_cvt_pk_f32_fp8_e32 v[48:49], v32
	v_cvt_pk_f32_fp8_sdwa v[52:53], v32 src0_sel:WORD_1
	s_waitcnt lgkmcnt(1)
	v_mfma_f32_16x16x16_f16 v[42:45], v[30:31], v[34:35], 0
	s_waitcnt vmcnt(6)
	v_cvt_pk_f32_fp8_e32 v[58:59], v24
	v_cvt_pkrtz_f16_f32 v30, v48, v49
	v_cvt_pkrtz_f16_f32 v31, v52, v53
	v_cvt_pk_f32_fp8_e32 v[48:49], v33
	v_mfma_f32_16x16x16_f16 v[42:45], v[46:47], v[36:37], v[42:45]
	v_cvt_pk_f32_fp8_sdwa v[46:47], v33 src0_sel:WORD_1
	v_cvt_pk_f32_fp8_sdwa v[62:63], v24 src0_sel:WORD_1
	v_cvt_pkrtz_f16_f32 v48, v48, v49
	s_waitcnt lgkmcnt(0)
	v_mfma_f32_16x16x16_f16 v[30:33], v[30:31], v[38:39], v[42:45]
	v_cvt_pkrtz_f16_f32 v49, v46, v47
	s_waitcnt vmcnt(5)
	v_cvt_pk_f32_fp8_sdwa v[66:67], v12 src0_sel:WORD_1
	s_waitcnt vmcnt(4)
	v_cvt_pk_f32_fp8_sdwa v[68:69], v4 src0_sel:WORD_1
	v_cvt_pk_f32_fp8_e32 v[42:43], v22
	v_mfma_f32_16x16x16_f16 v[46:49], v[48:49], v[40:41], v[30:33]
	s_waitcnt vmcnt(3)
	v_cvt_pk_f32_fp8_sdwa v[70:71], v28 src0_sel:WORD_1
	s_load_dword s4, s[42:43], 0x0
	v_cvt_pk_f32_fp8_sdwa v[30:31], v22 src0_sel:WORD_1
	v_cvt_pk_f32_fp8_e32 v[32:33], v23
	v_cvt_pkrtz_f16_f32 v22, v42, v43
	v_cvt_pk_f32_fp8_sdwa v[42:43], v23 src0_sel:WORD_1
	v_cvt_pkrtz_f16_f32 v23, v30, v31
	v_cvt_pkrtz_f16_f32 v52, v32, v33
	ds_read_b128 v[30:33], v50 offset:2048
	v_cvt_pkrtz_f16_f32 v53, v42, v43
	ds_read_b128 v[42:45], v50 offset:2064
	s_waitcnt lgkmcnt(0)
	v_mfma_f32_16x16x16_f16 v[46:49], v[22:23], v[30:31], v[46:49]
	v_cvt_pkrtz_f16_f32 v22, v58, v59
	v_cvt_pkrtz_f16_f32 v23, v62, v63
	v_cvt_pk_f32_fp8_e32 v[58:59], v25
	v_mfma_f32_16x16x16_f16 v[46:49], v[52:53], v[32:33], v[46:49]
	v_cvt_pk_f32_fp8_sdwa v[52:53], v25 src0_sel:WORD_1
	s_mov_b32 s3, 0
	v_cvt_pkrtz_f16_f32 v58, v58, v59
	v_mfma_f32_16x16x16_f16 v[22:25], v[22:23], v[42:43], v[46:49]
	v_cvt_pkrtz_f16_f32 v59, v52, v53
	v_cmp_gt_u32_e32 vcc, 64, v0
	s_nop 0
	v_cvt_pk_f32_fp8_e32 v[46:47], v10
	v_mfma_f32_16x16x16_f16 v[62:65], v[58:59], v[44:45], v[22:25]
	v_cvt_pk_f32_fp8_e32 v[58:59], v12
	s_nop 1
	v_cvt_pk_f32_fp8_sdwa v[22:23], v10 src0_sel:WORD_1
	v_cvt_pk_f32_fp8_e32 v[24:25], v11
	v_cvt_pkrtz_f16_f32 v10, v46, v47
	v_cvt_pk_f32_fp8_sdwa v[46:47], v11 src0_sel:WORD_1
	v_cvt_pkrtz_f16_f32 v11, v22, v23
	v_cvt_pkrtz_f16_f32 v52, v24, v25
	ds_read_b128 v[22:25], v50 offset:4096
	v_cvt_pkrtz_f16_f32 v53, v46, v47
	ds_read_b128 v[46:49], v50 offset:4112
	s_waitcnt lgkmcnt(1)
	v_mfma_f32_16x16x16_f16 v[62:65], v[10:11], v[22:23], v[62:65]
	v_cvt_pkrtz_f16_f32 v10, v58, v59
	v_cvt_pkrtz_f16_f32 v11, v66, v67
	v_cvt_pk_f32_fp8_e32 v[58:59], v13
	v_mfma_f32_16x16x16_f16 v[62:65], v[52:53], v[24:25], v[62:65]
	v_cvt_pk_f32_fp8_sdwa v[52:53], v13 src0_sel:WORD_1
	v_cvt_pk_f32_fp8_e32 v[66:67], v4
	v_cvt_pkrtz_f16_f32 v58, v58, v59
	s_waitcnt lgkmcnt(0)
	v_mfma_f32_16x16x16_f16 v[10:13], v[10:11], v[46:47], v[62:65]
	v_cvt_pkrtz_f16_f32 v59, v52, v53
	v_cvt_pk_f32_fp8_e32 v[52:53], v2
	s_nop 0
	v_mfma_f32_16x16x16_f16 v[62:65], v[58:59], v[48:49], v[10:13]
	s_nop 2
	v_cvt_pk_f32_fp8_sdwa v[10:11], v2 src0_sel:WORD_1
	v_cvt_pk_f32_fp8_e32 v[12:13], v3
	v_cvt_pkrtz_f16_f32 v2, v52, v53
	v_cvt_pk_f32_fp8_sdwa v[52:53], v3 src0_sel:WORD_1
	v_cvt_pkrtz_f16_f32 v3, v10, v11
	v_cvt_pkrtz_f16_f32 v58, v12, v13
	ds_read_b128 v[10:13], v50 offset:6144
	v_cvt_pkrtz_f16_f32 v59, v52, v53
	s_waitcnt lgkmcnt(0)
	v_mfma_f32_16x16x16_f16 v[62:65], v[2:3], v[10:11], v[62:65]
	ds_read_b128 v[50:53], v50 offset:6160
	v_cvt_pkrtz_f16_f32 v2, v66, v67
	v_cvt_pkrtz_f16_f32 v3, v68, v69
	v_cvt_pk_f32_fp8_e32 v[66:67], v5
	v_mfma_f32_16x16x16_f16 v[62:65], v[58:59], v[12:13], v[62:65]
	v_cvt_pk_f32_fp8_sdwa v[58:59], v5 src0_sel:WORD_1
	v_cvt_pk_f32_fp8_e32 v[68:69], v28
	v_cvt_pkrtz_f16_f32 v66, v66, v67
	s_waitcnt lgkmcnt(0)
	v_mfma_f32_16x16x16_f16 v[2:5], v[2:3], v[50:51], v[62:65]
	v_cvt_pkrtz_f16_f32 v67, v58, v59
	v_cvt_pk_f32_fp8_e32 v[58:59], v26
	s_nop 0
	v_cvt_pk_f32_fp8_sdwa v[62:63], v26 src0_sel:WORD_1
	v_cvt_pk_f32_fp8_e32 v[64:65], v27
	v_cvt_pkrtz_f16_f32 v58, v58, v59
	v_cvt_pk_f32_fp8_sdwa v[26:27], v27 src0_sel:WORD_1
	v_cvt_pkrtz_f16_f32 v59, v62, v63
	v_mfma_f32_16x16x16_f16 v[2:5], v[66:67], v[52:53], v[2:5]
	v_cvt_pkrtz_f16_f32 v66, v64, v65
	v_cvt_pkrtz_f16_f32 v67, v26, v27
	;; [unrolled: 1-line block ×3, first 2 shown]
	v_mfma_f32_16x16x16_f16 v[62:65], v[58:59], v[34:35], 0
	v_cvt_pkrtz_f16_f32 v27, v70, v71
	v_cvt_pk_f32_fp8_e32 v[58:59], v29
	s_barrier
	v_mfma_f32_16x16x16_f16 v[34:37], v[66:67], v[36:37], v[62:65]
	v_cvt_pkrtz_f16_f32 v58, v58, v59
	s_nop 1
	v_cvt_pk_f32_fp8_sdwa v[62:63], v29 src0_sel:WORD_1
	v_mfma_f32_16x16x16_f16 v[26:29], v[26:27], v[38:39], v[34:37]
	s_waitcnt vmcnt(2)
	v_cvt_pk_f32_fp8_e32 v[38:39], v19
	v_cvt_pkrtz_f16_f32 v59, v62, v63
	v_cvt_pk_f32_fp8_e32 v[34:35], v18
	v_cvt_pk_f32_fp8_sdwa v[36:37], v18 src0_sel:WORD_1
	v_cvt_pk_f32_fp8_sdwa v[18:19], v19 src0_sel:WORD_1
	v_mfma_f32_16x16x16_f16 v[26:29], v[58:59], v[40:41], v[26:29]
	v_cvt_pkrtz_f16_f32 v34, v34, v35
	v_cvt_pkrtz_f16_f32 v35, v36, v37
	;; [unrolled: 1-line block ×3, first 2 shown]
	v_cvt_pk_f32_fp8_e32 v[38:39], v20
	v_cvt_pk_f32_fp8_sdwa v[40:41], v20 src0_sel:WORD_1
	v_cvt_pkrtz_f16_f32 v37, v18, v19
	v_mfma_f32_16x16x16_f16 v[26:29], v[34:35], v[30:31], v[26:29]
	v_cvt_pkrtz_f16_f32 v30, v38, v39
	v_cvt_pkrtz_f16_f32 v31, v40, v41
	v_cvt_pk_f32_fp8_e32 v[34:35], v21
	v_cvt_pk_f32_fp8_sdwa v[38:39], v21 src0_sel:WORD_1
	v_mfma_f32_16x16x16_f16 v[18:21], v[36:37], v[32:33], v[26:29]
	s_waitcnt vmcnt(1)
	v_cvt_pk_f32_fp8_sdwa v[32:33], v16 src0_sel:WORD_1
	s_nop 0
	v_cvt_pkrtz_f16_f32 v26, v34, v35
	v_cvt_pkrtz_f16_f32 v27, v38, v39
	v_mfma_f32_16x16x16_f16 v[18:21], v[30:31], v[42:43], v[18:21]
	v_cvt_pk_f32_fp8_e32 v[28:29], v14
	v_cvt_pk_f32_fp8_sdwa v[30:31], v14 src0_sel:WORD_1
	v_cvt_pkrtz_f16_f32 v28, v28, v29
	v_mfma_f32_16x16x16_f16 v[18:21], v[26:27], v[44:45], v[18:21]
	v_cvt_pk_f32_fp8_e32 v[26:27], v15
	v_cvt_pkrtz_f16_f32 v29, v30, v31
	v_cvt_pk_f32_fp8_sdwa v[14:15], v15 src0_sel:WORD_1
	v_cvt_pk_f32_fp8_e32 v[30:31], v16
	v_cvt_pkrtz_f16_f32 v26, v26, v27
	v_mfma_f32_16x16x16_f16 v[18:21], v[28:29], v[22:23], v[18:21]
	v_cvt_pkrtz_f16_f32 v27, v14, v15
	v_cvt_pkrtz_f16_f32 v22, v30, v31
	;; [unrolled: 1-line block ×3, first 2 shown]
	v_cvt_pk_f32_fp8_e32 v[28:29], v17
	v_cvt_pk_f32_fp8_sdwa v[30:31], v17 src0_sel:WORD_1
	v_mfma_f32_16x16x16_f16 v[14:17], v[26:27], v[24:25], v[18:21]
	s_waitcnt vmcnt(0)
	v_cvt_pk_f32_fp8_sdwa v[24:25], v6 src0_sel:WORD_1
	s_nop 0
	v_pk_mul_f32 v[18:19], v[4:5], s[4:5] op_sel_hi:[1,0]
	v_cvt_pkrtz_f16_f32 v4, v28, v29
	v_cvt_pkrtz_f16_f32 v5, v30, v31
	v_mfma_f32_16x16x16_f16 v[14:17], v[22:23], v[46:47], v[14:17]
	v_cvt_pk_f32_fp8_e32 v[22:23], v6
	v_pk_mul_f32 v[20:21], v[2:3], s[4:5] op_sel_hi:[1,0]
	v_mfma_f32_16x16x16_f16 v[2:5], v[4:5], v[48:49], v[14:17]
	s_nop 3
	v_cvt_pk_f32_fp8_e32 v[14:15], v7
	v_cvt_pkrtz_f16_f32 v16, v22, v23
	v_cvt_pkrtz_f16_f32 v17, v24, v25
	v_cvt_pk_f32_fp8_sdwa v[6:7], v7 src0_sel:WORD_1
	v_cvt_pkrtz_f16_f32 v14, v14, v15
	v_cvt_pk_f32_fp8_e32 v[22:23], v8
	v_cvt_pk_f32_fp8_sdwa v[24:25], v8 src0_sel:WORD_1
	v_cvt_pkrtz_f16_f32 v15, v6, v7
	v_mfma_f32_16x16x16_f16 v[2:5], v[16:17], v[10:11], v[2:5]
	v_cvt_pkrtz_f16_f32 v6, v22, v23
	v_cvt_pkrtz_f16_f32 v7, v24, v25
	v_cvt_pk_f32_fp8_e32 v[10:11], v9
	v_cvt_pk_f32_fp8_sdwa v[8:9], v9 src0_sel:WORD_1
	v_mfma_f32_16x16x16_f16 v[2:5], v[14:15], v[12:13], v[2:5]
	v_cvt_f16_f32_e32 v12, v20
	v_cvt_pkrtz_f16_f32 v10, v10, v11
	v_cvt_pkrtz_f16_f32 v11, v8, v9
	v_mfma_f32_16x16x16_f16 v[2:5], v[6:7], v[50:51], v[2:5]
	v_cvt_f16_f32_e32 v6, v21
	v_cvt_f16_f32_e32 v7, v18
	v_cvt_f16_f32_e32 v8, v19
	v_mfma_f32_16x16x16_f16 v[2:5], v[10:11], v[52:53], v[2:5]
	s_nop 6
	v_pk_mul_f32 v[4:5], v[4:5], s[4:5] op_sel_hi:[1,0]
	v_pk_mul_f32 v[2:3], v[2:3], s[4:5] op_sel_hi:[1,0]
	v_cvt_f16_f32_e32 v11, v4
	v_cvt_f16_f32_e32 v9, v2
	;; [unrolled: 1-line block ×4, first 2 shown]
	v_pack_b32_f16 v2, v12, v6
	v_pack_b32_f16 v3, v7, v8
	;; [unrolled: 1-line block ×4, first 2 shown]
	ds_write2st64_b64 v55, v[2:3], v[4:5] offset1:1
	s_waitcnt lgkmcnt(0)
	s_barrier
	s_and_saveexec_b64 s[4:5], vcc
	s_cbranch_execz .LBB1037_18
; %bb.16:
	s_load_dwordx2 s[4:5], s[0:1], 0x68
	s_lshl_b32 s0, s6, 7
	s_mul_i32 s1, s7, s2
	v_lshlrev_b32_e32 v3, 6, v56
	s_mul_hi_u32 s7, s1, s0
	s_mul_i32 s6, s1, s0
	v_lshl_or_b32 v0, v0, 10, v3
	s_lshl_b64 s[6:7], s[6:7], 1
	v_lshlrev_b32_e32 v2, 5, v60
	v_and_b32_e32 v1, 16, v1
	v_and_b32_e32 v0, 0x1a00, v0
	s_waitcnt lgkmcnt(0)
	s_add_u32 s1, s4, s6
	v_or3_b32 v2, v0, v2, v1
	s_addc_u32 s4, s5, s7
	s_lshl_b32 s2, s22, 7
	s_lshl_b64 s[2:3], s[2:3], 1
	ds_read_b128 v[4:7], v2 offset:128
	ds_read_b128 v[8:11], v2
	s_add_u32 s2, s1, s2
	s_addc_u32 s3, s4, s3
	v_mov_b32_e32 v55, 0
	v_add_u32_e32 v14, s48, v60
	v_lshl_add_u64 v[0:1], s[2:3], 0, v[54:55]
	v_mad_u64_u32 v[12:13], s[2:3], v14, s0, 0
	v_lshl_add_u64 v[12:13], v[12:13], 1, v[0:1]
	s_waitcnt lgkmcnt(0)
	global_store_dwordx4 v[12:13], v[8:11], off
	v_or_b32_e32 v3, 8, v60
	v_cmp_gt_u32_e32 vcc, 10, v3
	v_add_u32_e32 v8, 4, v14
	v_mad_u64_u32 v[8:9], s[2:3], v8, s0, 0
	v_lshl_add_u64 v[8:9], v[8:9], 1, v[0:1]
	global_store_dwordx4 v[8:9], v[4:7], off
	s_and_b64 exec, exec, vcc
	s_cbranch_execz .LBB1037_18
; %bb.17:
	ds_read_b128 v[4:7], v2 offset:256
	v_add_u32_e32 v2, s48, v3
	v_mad_u64_u32 v[2:3], s[0:1], v2, s0, 0
	v_lshl_add_u64 v[0:1], v[2:3], 1, v[0:1]
	s_waitcnt lgkmcnt(0)
	global_store_dwordx4 v[0:1], v[4:7], off
.LBB1037_18:
	s_endpgm
	.section	.rodata,"a",@progbits
	.p2align	6, 0x0
	.amdhsa_kernel _Z39paged_attention_ll4mi_QKV_mfma16_kernelIDF16_hLN4vllm18Fp8KVCacheDataTypeE1EhLi32ELi128ELi256ELb0ELi10EEvPKT_PKT0_S7_ifPKiS9_S9_iPKfiiiPfSC_PS2_PT2_iSB_SB_
		.amdhsa_group_segment_fixed_size 8192
		.amdhsa_private_segment_fixed_size 0
		.amdhsa_kernarg_size 400
		.amdhsa_user_sgpr_count 2
		.amdhsa_user_sgpr_dispatch_ptr 0
		.amdhsa_user_sgpr_queue_ptr 0
		.amdhsa_user_sgpr_kernarg_segment_ptr 1
		.amdhsa_user_sgpr_dispatch_id 0
		.amdhsa_user_sgpr_kernarg_preload_length 0
		.amdhsa_user_sgpr_kernarg_preload_offset 0
		.amdhsa_user_sgpr_private_segment_size 0
		.amdhsa_uses_dynamic_stack 0
		.amdhsa_enable_private_segment 0
		.amdhsa_system_sgpr_workgroup_id_x 1
		.amdhsa_system_sgpr_workgroup_id_y 1
		.amdhsa_system_sgpr_workgroup_id_z 1
		.amdhsa_system_sgpr_workgroup_info 0
		.amdhsa_system_vgpr_workitem_id 0
		.amdhsa_next_free_vgpr 80
		.amdhsa_next_free_sgpr 50
		.amdhsa_accum_offset 80
		.amdhsa_reserve_vcc 1
		.amdhsa_float_round_mode_32 0
		.amdhsa_float_round_mode_16_64 0
		.amdhsa_float_denorm_mode_32 3
		.amdhsa_float_denorm_mode_16_64 3
		.amdhsa_dx10_clamp 1
		.amdhsa_ieee_mode 1
		.amdhsa_fp16_overflow 0
		.amdhsa_tg_split 0
		.amdhsa_exception_fp_ieee_invalid_op 0
		.amdhsa_exception_fp_denorm_src 0
		.amdhsa_exception_fp_ieee_div_zero 0
		.amdhsa_exception_fp_ieee_overflow 0
		.amdhsa_exception_fp_ieee_underflow 0
		.amdhsa_exception_fp_ieee_inexact 0
		.amdhsa_exception_int_div_zero 0
	.end_amdhsa_kernel
	.section	.text._Z39paged_attention_ll4mi_QKV_mfma16_kernelIDF16_hLN4vllm18Fp8KVCacheDataTypeE1EhLi32ELi128ELi256ELb0ELi10EEvPKT_PKT0_S7_ifPKiS9_S9_iPKfiiiPfSC_PS2_PT2_iSB_SB_,"axG",@progbits,_Z39paged_attention_ll4mi_QKV_mfma16_kernelIDF16_hLN4vllm18Fp8KVCacheDataTypeE1EhLi32ELi128ELi256ELb0ELi10EEvPKT_PKT0_S7_ifPKiS9_S9_iPKfiiiPfSC_PS2_PT2_iSB_SB_,comdat
.Lfunc_end1037:
	.size	_Z39paged_attention_ll4mi_QKV_mfma16_kernelIDF16_hLN4vllm18Fp8KVCacheDataTypeE1EhLi32ELi128ELi256ELb0ELi10EEvPKT_PKT0_S7_ifPKiS9_S9_iPKfiiiPfSC_PS2_PT2_iSB_SB_, .Lfunc_end1037-_Z39paged_attention_ll4mi_QKV_mfma16_kernelIDF16_hLN4vllm18Fp8KVCacheDataTypeE1EhLi32ELi128ELi256ELb0ELi10EEvPKT_PKT0_S7_ifPKiS9_S9_iPKfiiiPfSC_PS2_PT2_iSB_SB_
                                        ; -- End function
	.section	.AMDGPU.csdata,"",@progbits
; Kernel info:
; codeLenInByte = 6096
; NumSgprs: 56
; NumVgprs: 80
; NumAgprs: 0
; TotalNumVgprs: 80
; ScratchSize: 0
; MemoryBound: 0
; FloatMode: 240
; IeeeMode: 1
; LDSByteSize: 8192 bytes/workgroup (compile time only)
; SGPRBlocks: 6
; VGPRBlocks: 9
; NumSGPRsForWavesPerEU: 56
; NumVGPRsForWavesPerEU: 80
; AccumOffset: 80
; Occupancy: 6
; WaveLimiterHint : 1
; COMPUTE_PGM_RSRC2:SCRATCH_EN: 0
; COMPUTE_PGM_RSRC2:USER_SGPR: 2
; COMPUTE_PGM_RSRC2:TRAP_HANDLER: 0
; COMPUTE_PGM_RSRC2:TGID_X_EN: 1
; COMPUTE_PGM_RSRC2:TGID_Y_EN: 1
; COMPUTE_PGM_RSRC2:TGID_Z_EN: 1
; COMPUTE_PGM_RSRC2:TIDIG_COMP_CNT: 0
; COMPUTE_PGM_RSRC3_GFX90A:ACCUM_OFFSET: 19
; COMPUTE_PGM_RSRC3_GFX90A:TG_SPLIT: 0
	.section	.text._Z39paged_attention_ll4mi_QKV_mfma16_kernelIDF16_hLN4vllm18Fp8KVCacheDataTypeE1EhLi32ELi128ELi256ELb0ELi11EEvPKT_PKT0_S7_ifPKiS9_S9_iPKfiiiPfSC_PS2_PT2_iSB_SB_,"axG",@progbits,_Z39paged_attention_ll4mi_QKV_mfma16_kernelIDF16_hLN4vllm18Fp8KVCacheDataTypeE1EhLi32ELi128ELi256ELb0ELi11EEvPKT_PKT0_S7_ifPKiS9_S9_iPKfiiiPfSC_PS2_PT2_iSB_SB_,comdat
	.protected	_Z39paged_attention_ll4mi_QKV_mfma16_kernelIDF16_hLN4vllm18Fp8KVCacheDataTypeE1EhLi32ELi128ELi256ELb0ELi11EEvPKT_PKT0_S7_ifPKiS9_S9_iPKfiiiPfSC_PS2_PT2_iSB_SB_ ; -- Begin function _Z39paged_attention_ll4mi_QKV_mfma16_kernelIDF16_hLN4vllm18Fp8KVCacheDataTypeE1EhLi32ELi128ELi256ELb0ELi11EEvPKT_PKT0_S7_ifPKiS9_S9_iPKfiiiPfSC_PS2_PT2_iSB_SB_
	.globl	_Z39paged_attention_ll4mi_QKV_mfma16_kernelIDF16_hLN4vllm18Fp8KVCacheDataTypeE1EhLi32ELi128ELi256ELb0ELi11EEvPKT_PKT0_S7_ifPKiS9_S9_iPKfiiiPfSC_PS2_PT2_iSB_SB_
	.p2align	8
	.type	_Z39paged_attention_ll4mi_QKV_mfma16_kernelIDF16_hLN4vllm18Fp8KVCacheDataTypeE1EhLi32ELi128ELi256ELb0ELi11EEvPKT_PKT0_S7_ifPKiS9_S9_iPKfiiiPfSC_PS2_PT2_iSB_SB_,@function
_Z39paged_attention_ll4mi_QKV_mfma16_kernelIDF16_hLN4vllm18Fp8KVCacheDataTypeE1EhLi32ELi128ELi256ELb0ELi11EEvPKT_PKT0_S7_ifPKiS9_S9_iPKfiiiPfSC_PS2_PT2_iSB_SB_: ; @_Z39paged_attention_ll4mi_QKV_mfma16_kernelIDF16_hLN4vllm18Fp8KVCacheDataTypeE1EhLi32ELi128ELi256ELb0ELi11EEvPKT_PKT0_S7_ifPKiS9_S9_iPKfiiiPfSC_PS2_PT2_iSB_SB_
; %bb.0:
	s_load_dwordx2 s[12:13], s[0:1], 0x30
	s_mov_b32 s22, s3
	s_mov_b64 s[6:7], 0
	s_waitcnt lgkmcnt(0)
	s_cmp_lg_u64 s[12:13], 0
	s_cselect_b64 s[14:15], -1, 0
	s_and_b64 vcc, exec, s[14:15]
	s_cbranch_vccz .LBB1038_7
; %bb.1:
	s_add_i32 s8, s2, 1
	s_mov_b32 s9, 0
	s_lshl_b64 s[10:11], s[8:9], 2
	s_add_u32 s10, s12, s10
	s_mov_b32 s3, s9
	s_addc_u32 s11, s13, s11
	s_lshl_b64 s[8:9], s[2:3], 2
	s_add_u32 s8, s12, s8
	s_addc_u32 s9, s13, s9
	s_load_dword s5, s[10:11], 0x0
	s_load_dword s16, s[8:9], 0x0
	s_waitcnt lgkmcnt(0)
	s_sub_i32 s5, s5, s16
	s_cmp_eq_u32 s5, 1
	s_cselect_b64 s[8:9], -1, 0
	s_andn2_b64 vcc, exec, s[6:7]
	s_cbranch_vccnz .LBB1038_3
.LBB1038_2:
	s_mov_b32 s3, 0
	s_mov_b64 s[8:9], -1
.LBB1038_3:
	s_andn2_b64 vcc, exec, s[8:9]
	s_cbranch_vccnz .LBB1038_18
; %bb.4:
	s_load_dwordx2 s[6:7], s[0:1], 0x28
	s_lshl_b64 s[16:17], s[2:3], 2
	s_waitcnt lgkmcnt(0)
	s_add_u32 s6, s6, s16
	s_addc_u32 s7, s7, s17
	s_load_dword s5, s[6:7], 0x0
	s_lshl_b32 s18, s22, 8
	s_waitcnt lgkmcnt(0)
	s_cmp_ge_i32 s18, s5
	s_cbranch_scc1 .LBB1038_18
; %bb.5:
	s_load_dwordx2 s[6:7], s[0:1], 0x20
	s_load_dword s8, s[0:1], 0x38
	s_add_i32 s9, s5, 31
	s_ashr_i32 s10, s9, 31
	v_and_b32_e32 v1, 0xcf, v0
	s_lshr_b32 s10, s10, 27
	v_add_u32_e32 v1, s18, v1
	s_add_i32 s9, s9, s10
	v_ashrrev_i32_e32 v2, 31, v1
	s_ashr_i32 s19, s9, 5
	v_lshrrev_b32_e32 v6, 27, v2
	s_add_i32 s19, s19, -1
	s_waitcnt lgkmcnt(0)
	s_mul_i32 s8, s2, s8
	s_mov_b32 s9, 0
	v_add_u32_e32 v2, v1, v6
	s_lshl_b64 s[8:9], s[8:9], 2
	v_ashrrev_i32_e32 v2, 5, v2
	v_mov_b32_e32 v7, s19
	v_cmp_gt_i32_e32 vcc, s5, v1
	s_add_u32 s6, s6, s8
	s_addc_u32 s7, s7, s9
	v_cndmask_b32_e32 v2, v7, v2, vcc
	v_ashrrev_i32_e32 v3, 31, v2
	v_lshl_add_u64 v[4:5], v[2:3], 2, s[6:7]
	v_or_b32_e32 v2, 16, v1
	v_add_u32_e32 v3, v2, v6
	v_ashrrev_i32_e32 v3, 5, v3
	v_cmp_gt_i32_e32 vcc, s5, v2
	s_load_dwordx4 s[8:11], s[0:1], 0x8
	s_nop 0
	v_cndmask_b32_e32 v2, v7, v3, vcc
	v_ashrrev_i32_e32 v3, 31, v2
	v_lshl_add_u64 v[8:9], v[2:3], 2, s[6:7]
	v_or_b32_e32 v2, 32, v1
	v_add_u32_e32 v3, v2, v6
	v_ashrrev_i32_e32 v3, 5, v3
	v_cmp_gt_i32_e32 vcc, s5, v2
	v_or_b32_e32 v1, 48, v1
	s_nop 0
	v_cndmask_b32_e32 v2, v7, v3, vcc
	v_ashrrev_i32_e32 v3, 31, v2
	v_lshl_add_u64 v[10:11], v[2:3], 2, s[6:7]
	v_add_u32_e32 v2, v1, v6
	v_ashrrev_i32_e32 v2, 5, v2
	v_cmp_gt_i32_e32 vcc, s5, v1
	s_nop 1
	v_cndmask_b32_e32 v2, v7, v2, vcc
	v_ashrrev_i32_e32 v3, 31, v2
	v_lshl_add_u64 v[12:13], v[2:3], 2, s[6:7]
	global_load_dword v2, v[4:5], off
	global_load_dword v6, v[8:9], off
	;; [unrolled: 1-line block ×4, first 2 shown]
	s_andn2_b64 vcc, exec, s[14:15]
	s_cbranch_vccnz .LBB1038_8
; %bb.6:
	s_add_u32 s12, s12, s16
	s_addc_u32 s13, s13, s17
	s_load_dword s14, s[12:13], 0x0
	s_branch .LBB1038_9
.LBB1038_7:
	s_mov_b64 s[8:9], 0
	s_branch .LBB1038_2
.LBB1038_8:
	s_mov_b32 s14, s2
.LBB1038_9:
	s_load_dwordx4 s[44:47], s[0:1], 0x48
	v_lshrrev_b32_e32 v57, 6, v0
	v_bfe_u32 v60, v0, 4, 2
	v_and_b32_e32 v56, 15, v0
	v_lshl_or_b32 v3, v57, 2, v60
	v_lshlrev_b32_e32 v1, 3, v56
	v_and_b32_e32 v61, 63, v0
	s_mul_i32 s48, s4, 11
	v_cmp_gt_u32_e32 vcc, 11, v3
	v_lshlrev_b32_e32 v54, 1, v1
	v_lshlrev_b32_e32 v1, 4, v0
	s_and_saveexec_b64 s[12:13], vcc
	s_cbranch_execz .LBB1038_11
; %bb.10:
	s_load_dwordx2 s[16:17], s[0:1], 0x0
	s_waitcnt lgkmcnt(0)
	s_ashr_i32 s15, s44, 31
	s_mul_hi_u32 s20, s14, s44
	s_mul_i32 s15, s14, s15
	s_add_i32 s15, s20, s15
	s_mul_i32 s14, s14, s44
	s_lshl_b64 s[14:15], s[14:15], 1
	s_add_u32 s14, s16, s14
	v_add_lshl_u32 v4, v3, s48, 7
	s_addc_u32 s15, s17, s15
	v_ashrrev_i32_e32 v5, 31, v4
	v_lshl_add_u64 v[4:5], v[4:5], 1, s[14:15]
	v_mov_b32_e32 v55, 0
	v_lshl_add_u64 v[4:5], v[4:5], 0, v[54:55]
	global_load_dwordx4 v[8:11], v[4:5], off
	v_lshlrev_b32_e32 v5, 8, v0
	v_lshlrev_b32_e32 v4, 8, v56
	v_and_b32_e32 v5, 0x600, v5
	s_movk_i32 s14, 0x800
	v_and_or_b32 v4, v4, s14, v5
	v_lshlrev_b32_e32 v3, 5, v3
	v_and_b32_e32 v5, 16, v1
	v_or3_b32 v3, v4, v3, v5
	s_waitcnt vmcnt(0)
	ds_write_b128 v3, v[8:11]
.LBB1038_11:
	s_or_b64 exec, exec, s[12:13]
	s_waitcnt lgkmcnt(0)
	s_mul_i32 s12, s4, s46
	s_add_u32 s8, s8, s12
	s_addc_u32 s9, s9, 0
	v_mov_b32_e32 v59, 0
	v_mov_b64_e32 v[4:5], s[8:9]
	v_and_b32_e32 v7, 48, v0
	s_waitcnt vmcnt(3)
	v_mad_i64_i32 v[8:9], s[8:9], v2, s45, v[4:5]
	v_lshlrev_b32_e32 v2, 4, v56
	v_mov_b32_e32 v3, v59
	v_lshlrev_b32_e32 v58, 5, v7
	v_lshl_add_u64 v[8:9], v[8:9], 0, v[2:3]
	v_lshl_add_u64 v[8:9], v[8:9], 0, v[58:59]
	s_load_dword s23, s[0:1], 0x98
	s_load_dwordx4 s[40:43], s[0:1], 0x80
	s_waitcnt lgkmcnt(0)
	s_barrier
	global_load_dwordx4 v[10:13], v[8:9], off
	global_load_dwordx4 v[30:33], v[8:9], off offset:2048
	v_add_u32_e32 v14, -11, v56
	v_cmp_gt_u32_e32 vcc, 11, v56
	s_ashr_i32 s8, s18, 31
	v_or_b32_e32 v24, 0x100, v2
	v_cndmask_b32_e32 v8, v14, v56, vcc
	v_mov_b32_e32 v25, v59
	s_lshr_b32 s13, s8, 27
	s_waitcnt vmcnt(4)
	v_mad_i64_i32 v[34:35], s[8:9], v6, s45, v[4:5]
	v_or_b32_e32 v39, s18, v7
	v_lshlrev_b32_e32 v7, 5, v8
	v_lshl_add_u64 v[34:35], v[34:35], 0, v[24:25]
	v_lshl_add_u32 v7, v60, 9, v7
	v_lshl_add_u64 v[34:35], v[34:35], 0, v[58:59]
	ds_read_b128 v[26:29], v7
	ds_read_b128 v[18:21], v7 offset:16
	ds_read_b128 v[14:17], v7 offset:2048
	;; [unrolled: 1-line block ×3, first 2 shown]
	global_load_dwordx4 v[46:49], v[34:35], off
	v_or_b32_e32 v41, 0x80, v39
	v_or_b32_e32 v51, 0xc0, v39
	s_waitcnt vmcnt(4)
	v_mad_i64_i32 v[36:37], s[8:9], v22, s45, v[4:5]
	s_waitcnt vmcnt(3)
	v_mad_i64_i32 v[4:5], s[8:9], v23, s45, v[4:5]
	v_add_u32_e32 v42, s13, v41
	v_add_u32_e32 v43, s13, v51
	v_lshl_add_u64 v[4:5], v[4:5], 0, v[24:25]
	v_ashrrev_i32_e32 v24, 5, v42
	v_ashrrev_i32_e32 v25, 5, v43
	global_load_dwordx4 v[42:45], v[34:35], off offset:2048
	v_or_b32_e32 v40, 64, v39
	v_add_u32_e32 v22, s13, v39
	v_mov_b32_e32 v38, s19
	v_add_u32_e32 v23, s13, v40
	v_ashrrev_i32_e32 v22, 5, v22
	v_cmp_gt_i32_e32 vcc, s5, v39
	v_ashrrev_i32_e32 v23, 5, v23
	v_lshl_add_u64 v[2:3], v[36:37], 0, v[2:3]
	v_cndmask_b32_e32 v50, v38, v22, vcc
	v_cmp_gt_i32_e32 vcc, s5, v40
	v_lshl_add_u64 v[2:3], v[2:3], 0, v[58:59]
	v_lshl_add_u64 v[36:37], v[4:5], 0, v[58:59]
	v_cndmask_b32_e32 v52, v38, v23, vcc
	v_cmp_gt_i32_e32 vcc, s5, v41
	v_ashrrev_i32_e32 v53, 31, v52
	v_lshl_add_u64 v[52:53], v[52:53], 2, s[6:7]
	v_cndmask_b32_e32 v62, v38, v24, vcc
	v_cmp_gt_i32_e32 vcc, s5, v51
	v_ashrrev_i32_e32 v51, 31, v50
	v_ashrrev_i32_e32 v63, 31, v62
	v_cndmask_b32_e32 v64, v38, v25, vcc
	global_load_dwordx4 v[22:25], v[2:3], off
	s_nop 0
	global_load_dwordx4 v[2:5], v[2:3], off offset:2048
	s_nop 0
	global_load_dwordx4 v[38:41], v[36:37], off
	s_nop 0
	global_load_dwordx4 v[34:37], v[36:37], off offset:2048
	v_ashrrev_i32_e32 v65, 31, v64
	v_lshl_add_u64 v[50:51], v[50:51], 2, s[6:7]
	v_lshl_add_u64 v[66:67], v[62:63], 2, s[6:7]
	;; [unrolled: 1-line block ×3, first 2 shown]
	global_load_dword v65, v[50:51], off
	global_load_dword v63, v[52:53], off
	;; [unrolled: 1-line block ×4, first 2 shown]
	s_add_u32 s6, s10, s12
	s_addc_u32 s7, s11, 0
	v_and_b32_e32 v58, 16, v0
	v_lshl_or_b32 v64, v57, 4, v56
	s_load_dword s4, s[0:1], 0x1c
	s_mov_b32 s33, 0xff7fffff
	s_waitcnt vmcnt(11)
	v_cvt_pk_f32_fp8_e32 v[50:51], v10
	v_cvt_pk_f32_fp8_sdwa v[52:53], v10 src0_sel:WORD_1
	v_cvt_pk_f32_fp8_e32 v[66:67], v11
	v_cvt_pk_f32_fp8_sdwa v[10:11], v11 src0_sel:WORD_1
	v_cvt_pkrtz_f16_f32 v50, v50, v51
	v_cvt_pkrtz_f16_f32 v51, v52, v53
	v_cvt_pk_f32_fp8_e32 v[68:69], v12
	v_cvt_pk_f32_fp8_sdwa v[70:71], v12 src0_sel:WORD_1
	v_cvt_pkrtz_f16_f32 v66, v66, v67
	v_cvt_pkrtz_f16_f32 v67, v10, v11
	s_waitcnt lgkmcnt(0)
	v_mfma_f32_16x16x16_f16 v[50:53], v[50:51], v[26:27], 0
	v_cvt_pk_f32_fp8_e32 v[72:73], v13
	v_cvt_pk_f32_fp8_sdwa v[74:75], v13 src0_sel:WORD_1
	v_cvt_pkrtz_f16_f32 v68, v68, v69
	v_cvt_pkrtz_f16_f32 v69, v70, v71
	v_mfma_f32_16x16x16_f16 v[10:13], v[66:67], v[28:29], v[50:53]
	s_waitcnt vmcnt(10)
	v_cvt_pk_f32_fp8_sdwa v[66:67], v30 src0_sel:WORD_1
	s_waitcnt vmcnt(6)
	v_cvt_pk_f32_fp8_sdwa v[78:79], v5 src0_sel:WORD_1
	v_cvt_pkrtz_f16_f32 v50, v72, v73
	v_cvt_pk_f32_fp8_e32 v[52:53], v30
	v_cvt_pkrtz_f16_f32 v51, v74, v75
	v_mfma_f32_16x16x16_f16 v[10:13], v[68:69], v[18:19], v[10:13]
	v_cvt_pk_f32_fp8_sdwa v[68:69], v42 src0_sel:WORD_1
	v_cvt_pkrtz_f16_f32 v52, v52, v53
	v_cvt_pkrtz_f16_f32 v53, v66, v67
	v_cvt_pk_f32_fp8_e32 v[66:67], v31
	v_cvt_pk_f32_fp8_sdwa v[30:31], v31 src0_sel:WORD_1
	v_mfma_f32_16x16x16_f16 v[10:13], v[50:51], v[20:21], v[10:13]
	v_cvt_pk_f32_fp8_e32 v[72:73], v3
	v_cvt_pkrtz_f16_f32 v50, v66, v67
	v_cvt_pkrtz_f16_f32 v51, v30, v31
	v_mfma_f32_16x16x16_f16 v[10:13], v[52:53], v[14:15], v[10:13]
	v_cvt_pk_f32_fp8_e32 v[30:31], v32
	v_cvt_pk_f32_fp8_sdwa v[52:53], v32 src0_sel:WORD_1
	v_cvt_pk_f32_fp8_sdwa v[66:67], v46 src0_sel:WORD_1
	v_mfma_f32_16x16x16_f16 v[10:13], v[50:51], v[16:17], v[10:13]
	v_cvt_pkrtz_f16_f32 v30, v30, v31
	v_cvt_pkrtz_f16_f32 v31, v52, v53
	v_cvt_pk_f32_fp8_e32 v[50:51], v33
	v_cvt_pk_f32_fp8_sdwa v[32:33], v33 src0_sel:WORD_1
	v_cvt_pk_f32_fp8_e32 v[52:53], v46
	v_mfma_f32_16x16x16_f16 v[10:13], v[30:31], v[6:7], v[10:13]
	v_cvt_pkrtz_f16_f32 v50, v50, v51
	v_cvt_pkrtz_f16_f32 v51, v32, v33
	;; [unrolled: 1-line block ×4, first 2 shown]
	v_cvt_pk_f32_fp8_e32 v[32:33], v47
	v_cvt_pk_f32_fp8_sdwa v[46:47], v47 src0_sel:WORD_1
	v_mfma_f32_16x16x16_f16 v[50:53], v[50:51], v[8:9], v[10:13]
	v_cvt_pk_f32_fp8_sdwa v[66:67], v48 src0_sel:WORD_1
	v_cvt_pkrtz_f16_f32 v32, v32, v33
	v_cvt_pkrtz_f16_f32 v33, v46, v47
	v_mfma_f32_16x16x16_f16 v[10:13], v[30:31], v[26:27], 0
	v_cvt_pk_f32_fp8_e32 v[30:31], v48
	v_lshl_add_u64 v[46:47], s[6:7], 0, v[58:59]
	v_lshlrev_b32_e32 v58, 5, v64
	v_mfma_f32_16x16x16_f16 v[10:13], v[32:33], v[28:29], v[10:13]
	v_cvt_pk_f32_fp8_e32 v[32:33], v49
	v_cvt_pkrtz_f16_f32 v30, v30, v31
	v_cvt_pkrtz_f16_f32 v31, v66, v67
	v_cvt_pk_f32_fp8_sdwa v[48:49], v49 src0_sel:WORD_1
	v_cvt_pkrtz_f16_f32 v32, v32, v33
	v_cvt_pk_f32_fp8_e32 v[66:67], v42
	v_mfma_f32_16x16x16_f16 v[10:13], v[30:31], v[18:19], v[10:13]
	v_cvt_pkrtz_f16_f32 v33, v48, v49
	v_cvt_pkrtz_f16_f32 v30, v66, v67
	;; [unrolled: 1-line block ×3, first 2 shown]
	v_cvt_pk_f32_fp8_e32 v[48:49], v43
	v_cvt_pk_f32_fp8_sdwa v[42:43], v43 src0_sel:WORD_1
	v_mfma_f32_16x16x16_f16 v[10:13], v[32:33], v[20:21], v[10:13]
	v_lshl_add_u64 v[66:67], v[46:47], 0, v[58:59]
	v_cvt_pkrtz_f16_f32 v32, v48, v49
	v_cvt_pkrtz_f16_f32 v33, v42, v43
	v_mfma_f32_16x16x16_f16 v[10:13], v[30:31], v[14:15], v[10:13]
	v_cvt_pk_f32_fp8_e32 v[30:31], v44
	v_cvt_pk_f32_fp8_sdwa v[42:43], v44 src0_sel:WORD_1
	v_cvt_pk_f32_fp8_sdwa v[48:49], v22 src0_sel:WORD_1
	v_mfma_f32_16x16x16_f16 v[10:13], v[32:33], v[16:17], v[10:13]
	v_cvt_pkrtz_f16_f32 v30, v30, v31
	v_cvt_pkrtz_f16_f32 v31, v42, v43
	v_cvt_pk_f32_fp8_e32 v[32:33], v45
	v_cvt_pk_f32_fp8_sdwa v[42:43], v45 src0_sel:WORD_1
	v_cvt_pk_f32_fp8_e32 v[44:45], v22
	v_mfma_f32_16x16x16_f16 v[10:13], v[30:31], v[6:7], v[10:13]
	v_cvt_pkrtz_f16_f32 v32, v32, v33
	v_cvt_pkrtz_f16_f32 v33, v42, v43
	;; [unrolled: 1-line block ×4, first 2 shown]
	v_cvt_pk_f32_fp8_e32 v[48:49], v23
	v_cvt_pk_f32_fp8_sdwa v[22:23], v23 src0_sel:WORD_1
	v_mfma_f32_16x16x16_f16 v[42:45], v[32:33], v[8:9], v[10:13]
	s_waitcnt vmcnt(2)
	v_mad_i64_i32 v[68:69], s[6:7], v63, s45, v[66:67]
	v_cvt_pkrtz_f16_f32 v32, v48, v49
	v_cvt_pkrtz_f16_f32 v33, v22, v23
	v_mfma_f32_16x16x16_f16 v[10:13], v[30:31], v[26:27], 0
	v_cvt_pk_f32_fp8_e32 v[22:23], v24
	v_cvt_pk_f32_fp8_sdwa v[30:31], v24 src0_sel:WORD_1
	v_mad_i64_i32 v[48:49], s[6:7], v65, s45, v[66:67]
	v_cvt_pkrtz_f16_f32 v22, v22, v23
	v_cvt_pkrtz_f16_f32 v23, v30, v31
	v_cvt_pk_f32_fp8_e32 v[30:31], v25
	v_cvt_pk_f32_fp8_sdwa v[24:25], v25 src0_sel:WORD_1
	v_mfma_f32_16x16x16_f16 v[10:13], v[32:33], v[28:29], v[10:13]
	s_waitcnt vmcnt(0)
	v_mad_i64_i32 v[74:75], s[6:7], v62, s45, v[66:67]
	v_cvt_pkrtz_f16_f32 v70, v30, v31
	v_cvt_pkrtz_f16_f32 v71, v24, v25
	v_mfma_f32_16x16x16_f16 v[10:13], v[22:23], v[18:19], v[10:13]
	global_load_dwordx4 v[30:33], v[48:49], off
	global_load_dwordx4 v[22:25], v[68:69], off
	v_cvt_pk_f32_fp8_e32 v[68:69], v2
	v_mad_i64_i32 v[48:49], s[6:7], v55, s45, v[66:67]
	v_mfma_f32_16x16x16_f16 v[10:13], v[70:71], v[20:21], v[10:13]
	v_cvt_pk_f32_fp8_sdwa v[70:71], v2 src0_sel:WORD_1
	v_cvt_pk_f32_fp8_sdwa v[2:3], v3 src0_sel:WORD_1
	v_cvt_pkrtz_f16_f32 v68, v68, v69
	v_or_b32_e32 v58, 0x800, v58
	v_cvt_pkrtz_f16_f32 v69, v70, v71
	v_cvt_pkrtz_f16_f32 v70, v72, v73
	v_cvt_pkrtz_f16_f32 v71, v2, v3
	v_cvt_pk_f32_fp8_e32 v[2:3], v4
	v_cvt_pk_f32_fp8_sdwa v[72:73], v4 src0_sel:WORD_1
	v_mfma_f32_16x16x16_f16 v[66:69], v[68:69], v[14:15], v[10:13]
	v_lshl_add_u64 v[46:47], v[46:47], 0, v[58:59]
	v_cvt_pkrtz_f16_f32 v76, v2, v3
	v_cvt_pkrtz_f16_f32 v77, v72, v73
	v_cvt_pk_f32_fp8_e32 v[72:73], v5
	v_mfma_f32_16x16x16_f16 v[66:69], v[70:71], v[16:17], v[66:69]
	global_load_dwordx4 v[10:13], v[48:49], off
	global_load_dwordx4 v[2:5], v[74:75], off
	v_cvt_pkrtz_f16_f32 v49, v78, v79
	v_cvt_pkrtz_f16_f32 v48, v72, v73
	v_mfma_f32_16x16x16_f16 v[66:69], v[76:77], v[6:7], v[66:69]
	v_cvt_pk_f32_fp8_e32 v[58:59], v38
	v_cvt_pk_f32_fp8_sdwa v[70:71], v38 src0_sel:WORD_1
	v_cvt_pk_f32_fp8_e32 v[74:75], v40
	v_mfma_f32_16x16x16_f16 v[66:69], v[48:49], v[8:9], v[66:69]
	v_cvt_pk_f32_fp8_e32 v[48:49], v39
	v_cvt_pkrtz_f16_f32 v58, v58, v59
	v_cvt_pkrtz_f16_f32 v59, v70, v71
	v_cvt_pk_f32_fp8_sdwa v[38:39], v39 src0_sel:WORD_1
	v_cvt_pkrtz_f16_f32 v48, v48, v49
	v_cvt_pk_f32_fp8_sdwa v[76:77], v40 src0_sel:WORD_1
	v_mfma_f32_16x16x16_f16 v[70:73], v[58:59], v[26:27], 0
	v_cvt_pkrtz_f16_f32 v49, v38, v39
	v_cvt_pkrtz_f16_f32 v38, v74, v75
	;; [unrolled: 1-line block ×3, first 2 shown]
	v_cvt_pk_f32_fp8_e32 v[58:59], v41
	v_cvt_pk_f32_fp8_sdwa v[40:41], v41 src0_sel:WORD_1
	v_mfma_f32_16x16x16_f16 v[26:29], v[48:49], v[28:29], v[70:73]
	s_load_dword s6, s[40:41], 0x0
	v_cvt_pkrtz_f16_f32 v48, v58, v59
	v_cvt_pkrtz_f16_f32 v49, v40, v41
	v_mfma_f32_16x16x16_f16 v[26:29], v[38:39], v[18:19], v[26:29]
	v_mov_b32_e32 v70, s4
	s_waitcnt lgkmcnt(0)
	v_mul_f32_e32 v40, s6, v70
	v_pk_mul_f32 v[38:39], v[40:41], v[52:53] op_sel_hi:[0,1]
	v_mfma_f32_16x16x16_f16 v[18:21], v[48:49], v[20:21], v[26:29]
	v_cvt_pk_f32_fp8_e32 v[48:49], v35
	v_pk_mul_f32 v[50:51], v[40:41], v[50:51] op_sel_hi:[0,1]
	v_pk_mul_f32 v[52:53], v[40:41], v[42:43] op_sel_hi:[0,1]
	v_cvt_pk_f32_fp8_e32 v[26:27], v34
	v_cvt_pk_f32_fp8_sdwa v[28:29], v34 src0_sel:WORD_1
	v_cvt_pk_f32_fp8_sdwa v[34:35], v35 src0_sel:WORD_1
	v_pk_mul_f32 v[42:43], v[40:41], v[66:67] op_sel_hi:[0,1]
	v_cvt_pkrtz_f16_f32 v26, v26, v27
	v_cvt_pkrtz_f16_f32 v27, v28, v29
	;; [unrolled: 1-line block ×4, first 2 shown]
	v_cvt_pk_f32_fp8_e32 v[34:35], v36
	v_cvt_pk_f32_fp8_sdwa v[48:49], v36 src0_sel:WORD_1
	v_mfma_f32_16x16x16_f16 v[18:21], v[26:27], v[14:15], v[18:21]
	v_mad_i64_i32 v[58:59], s[6:7], v65, s45, v[46:47]
	v_cvt_pkrtz_f16_f32 v26, v34, v35
	v_cvt_pkrtz_f16_f32 v27, v48, v49
	v_cvt_pk_f32_fp8_e32 v[34:35], v37
	v_cvt_pk_f32_fp8_sdwa v[36:37], v37 src0_sel:WORD_1
	v_mfma_f32_16x16x16_f16 v[14:17], v[28:29], v[16:17], v[18:21]
	v_pk_mul_f32 v[48:49], v[40:41], v[44:45] op_sel_hi:[0,1]
	v_pk_mul_f32 v[44:45], v[40:41], v[68:69] op_sel_hi:[0,1]
	s_nop 0
	v_cvt_pkrtz_f16_f32 v18, v34, v35
	v_cvt_pkrtz_f16_f32 v19, v36, v37
	v_mfma_f32_16x16x16_f16 v[14:17], v[26:27], v[6:7], v[14:17]
	s_nop 0
	v_mfma_f32_16x16x16_f16 v[6:9], v[18:19], v[8:9], v[14:17]
	s_nop 6
	v_pk_mul_f32 v[34:35], v[40:41], v[8:9] op_sel_hi:[0,1]
	v_pk_mul_f32 v[40:41], v[40:41], v[6:7] op_sel_hi:[0,1]
	v_and_b32_e32 v6, 0xc0, v0
	v_add_u32_e32 v6, s18, v6
	v_lshl_or_b32 v6, v60, 2, v6
	v_or_b32_e32 v9, 1, v6
	v_mov_b32_e32 v7, 0xff7fffff
	v_cmp_gt_i32_e64 s[24:25], s5, v6
	v_cmp_gt_i32_e64 s[26:27], s5, v9
	v_or_b32_e32 v14, 3, v6
	v_cndmask_b32_e64 v8, v7, v50, s[24:25]
	v_cndmask_b32_e64 v9, v7, v51, s[26:27]
	v_max3_f32 v8, v8, s33, v9
	v_or_b32_e32 v9, 2, v6
	v_cmp_gt_i32_e64 s[28:29], s5, v9
	v_cmp_gt_i32_e64 s[30:31], s5, v14
	s_nop 0
	v_cndmask_b32_e64 v9, v7, v38, s[28:29]
	v_cndmask_b32_e64 v14, v7, v39, s[30:31]
	v_max3_f32 v8, v8, v9, v14
	v_or_b32_e32 v9, 16, v6
	v_or_b32_e32 v14, 17, v6
	v_cmp_gt_i32_e64 s[34:35], s5, v9
	v_cmp_gt_i32_e64 s[36:37], s5, v14
	s_nop 0
	v_cndmask_b32_e64 v9, v7, v52, s[34:35]
	v_cndmask_b32_e64 v14, v7, v53, s[36:37]
	v_max3_f32 v8, v8, v9, v14
	v_or_b32_e32 v9, 18, v6
	v_or_b32_e32 v14, 19, v6
	v_cmp_gt_i32_e64 s[18:19], s5, v9
	v_cmp_gt_i32_e64 s[20:21], s5, v14
	s_nop 0
	v_cndmask_b32_e64 v9, v7, v48, s[18:19]
	v_cndmask_b32_e64 v14, v7, v49, s[20:21]
	v_max3_f32 v8, v8, v9, v14
	v_or_b32_e32 v9, 32, v6
	v_or_b32_e32 v14, 33, v6
	v_cmp_gt_i32_e64 s[14:15], s5, v9
	v_cmp_gt_i32_e64 s[16:17], s5, v14
	s_nop 0
	v_cndmask_b32_e64 v9, v7, v42, s[14:15]
	v_cndmask_b32_e64 v14, v7, v43, s[16:17]
	v_max3_f32 v8, v8, v9, v14
	v_or_b32_e32 v9, 34, v6
	v_or_b32_e32 v14, 35, v6
	v_cmp_gt_i32_e64 s[10:11], s5, v9
	v_cmp_gt_i32_e64 s[12:13], s5, v14
	s_nop 0
	v_cndmask_b32_e64 v9, v7, v44, s[10:11]
	v_cndmask_b32_e64 v14, v7, v45, s[12:13]
	v_max3_f32 v8, v8, v9, v14
	v_or_b32_e32 v9, 48, v6
	v_or_b32_e32 v14, 49, v6
	v_cmp_gt_i32_e64 s[6:7], s5, v9
	v_cmp_gt_i32_e64 s[8:9], s5, v14
	s_nop 0
	v_cndmask_b32_e64 v9, v7, v40, s[6:7]
	v_cndmask_b32_e64 v14, v7, v41, s[8:9]
	v_max3_f32 v8, v8, v9, v14
	v_or_b32_e32 v9, 50, v6
	v_or_b32_e32 v6, 51, v6
	v_cmp_gt_i32_e32 vcc, s5, v9
	v_cmp_gt_i32_e64 s[4:5], s5, v6
	s_nop 0
	v_cndmask_b32_e32 v9, v7, v34, vcc
	v_cndmask_b32_e64 v6, v7, v35, s[4:5]
	v_max3_f32 v8, v8, v9, v6
	v_mbcnt_lo_u32_b32 v6, -1, 0
	v_mbcnt_hi_u32_b32 v9, -1, v6
	v_and_b32_e32 v6, 64, v9
	v_add_u32_e32 v14, 64, v6
	v_xor_b32_e32 v6, 32, v9
	v_cmp_lt_i32_e64 s[38:39], v6, v14
	s_nop 1
	v_cndmask_b32_e64 v6, v9, v6, s[38:39]
	v_lshlrev_b32_e32 v65, 2, v6
	ds_bpermute_b32 v15, v65, v8
	v_mad_i64_i32 v[6:7], s[38:39], v63, s45, v[46:47]
	global_load_dwordx4 v[26:29], v[58:59], off
	global_load_dwordx4 v[18:21], v[6:7], off
	s_waitcnt lgkmcnt(0)
	v_max_f32_e32 v6, v15, v15
	v_max_f32_e32 v15, v8, v6
	v_xor_b32_e32 v6, 16, v9
	v_cmp_lt_i32_e64 s[38:39], v6, v14
	s_nop 1
	v_cndmask_b32_e64 v6, v9, v6, s[38:39]
	v_lshlrev_b32_e32 v58, 2, v6
	ds_bpermute_b32 v14, v58, v15
	v_mad_i64_i32 v[6:7], s[38:39], v55, s45, v[46:47]
	v_mad_i64_i32 v[8:9], s[38:39], v62, s45, v[46:47]
	s_waitcnt lgkmcnt(0)
	v_max_f32_e32 v14, v14, v14
	v_max_f32_e32 v55, v15, v14
	v_sub_f32_e32 v14, v50, v55
	v_mul_f32_e32 v14, 0x3fb8aa3b, v14
	v_exp_f32_e32 v36, v14
	v_sub_f32_e32 v14, v51, v55
	v_mul_f32_e32 v14, 0x3fb8aa3b, v14
	v_exp_f32_e32 v37, v14
	global_load_dwordx4 v[14:17], v[6:7], off
	s_nop 0
	global_load_dwordx4 v[6:9], v[8:9], off
	v_sub_f32_e32 v38, v38, v55
	v_mul_f32_e32 v38, 0x3fb8aa3b, v38
	v_sub_f32_e32 v39, v39, v55
	v_exp_f32_e32 v38, v38
	v_mul_f32_e32 v39, 0x3fb8aa3b, v39
	v_exp_f32_e32 v39, v39
	v_cndmask_b32_e64 v36, 0, v36, s[24:25]
	v_add_f32_e32 v46, 0, v36
	v_cndmask_b32_e64 v37, 0, v37, s[26:27]
	v_add_f32_e32 v47, v46, v37
	;; [unrolled: 2-line block ×3, first 2 shown]
	v_cndmask_b32_e64 v47, 0, v39, s[30:31]
	v_sub_f32_e32 v39, v52, v55
	v_mul_f32_e32 v39, 0x3fb8aa3b, v39
	v_sub_f32_e32 v50, v53, v55
	v_exp_f32_e32 v39, v39
	v_mul_f32_e32 v50, 0x3fb8aa3b, v50
	v_sub_f32_e32 v48, v48, v55
	v_exp_f32_e32 v50, v50
	;; [unrolled: 3-line block ×4, first 2 shown]
	v_mul_f32_e32 v42, 0x3fb8aa3b, v42
	v_sub_f32_e32 v43, v43, v55
	v_add_f32_e32 v51, v38, v47
	v_cndmask_b32_e64 v38, 0, v39, s[34:35]
	v_exp_f32_e32 v42, v42
	v_mul_f32_e32 v43, 0x3fb8aa3b, v43
	v_sub_f32_e32 v44, v44, v55
	v_add_f32_e32 v51, v51, v38
	v_cndmask_b32_e64 v39, 0, v50, s[36:37]
	v_exp_f32_e32 v43, v43
	;; [unrolled: 5-line block ×7, first 2 shown]
	v_mul_f32_e32 v35, 0x3fb8aa3b, v35
	v_add_f32_e32 v50, v50, v44
	v_cndmask_b32_e64 v45, 0, v45, s[12:13]
	v_exp_f32_e32 v35, v35
	v_add_f32_e32 v50, v50, v45
	v_cndmask_b32_e64 v40, 0, v40, s[6:7]
	v_add_f32_e32 v50, v50, v40
	v_cndmask_b32_e64 v41, 0, v41, s[8:9]
	v_add_f32_e32 v50, v50, v41
	v_cndmask_b32_e32 v34, 0, v34, vcc
	v_add_f32_e32 v50, v50, v34
	v_cndmask_b32_e64 v35, 0, v35, s[4:5]
	v_add_f32_e32 v50, v50, v35
	ds_bpermute_b32 v51, v65, v50
	v_cmp_gt_u32_e32 vcc, 16, v61
	s_waitcnt lgkmcnt(0)
	s_barrier
	v_add_f32_e32 v50, v50, v51
	ds_bpermute_b32 v51, v58, v50
	s_and_saveexec_b64 s[4:5], vcc
	s_cbranch_execz .LBB1038_13
; %bb.12:
	s_waitcnt lgkmcnt(0)
	v_add_f32_e32 v50, v50, v51
	v_lshlrev_b32_e32 v51, 2, v64
	ds_write2st64_b32 v51, v55, v50 offset1:1
.LBB1038_13:
	s_or_b64 exec, exec, s[4:5]
	s_waitcnt lgkmcnt(0)
	v_lshlrev_b32_e32 v51, 2, v56
	s_load_dword s6, s[0:1], 0x94
	s_waitcnt lgkmcnt(0)
	s_barrier
	ds_read2_b32 v[52:53], v51 offset1:16
	ds_read2_b32 v[58:59], v51 offset0:32 offset1:48
	ds_read2_b32 v[62:63], v51 offset0:64 offset1:80
	s_mul_i32 s7, s23, 11
	s_waitcnt lgkmcnt(2)
	v_max3_f32 v50, v52, s33, v53
	s_waitcnt lgkmcnt(1)
	v_max3_f32 v50, v50, v58, v59
	v_sub_f32_e32 v52, v52, v50
	v_mul_f32_e32 v52, 0x3fb8aa3b, v52
	v_exp_f32_e32 v55, v52
	v_sub_f32_e32 v52, v53, v50
	v_mul_f32_e32 v52, 0x3fb8aa3b, v52
	v_exp_f32_e32 v61, v52
	;; [unrolled: 3-line block ×3, first 2 shown]
	ds_read2_b32 v[52:53], v51 offset0:96 offset1:112
	v_sub_f32_e32 v51, v59, v50
	v_mul_f32_e32 v51, 0x3fb8aa3b, v51
	v_exp_f32_e32 v59, v51
	s_waitcnt lgkmcnt(1)
	v_fma_f32 v51, v55, v62, 0
	v_fmac_f32_e32 v51, v61, v63
	s_waitcnt lgkmcnt(0)
	v_fmac_f32_e32 v51, v58, v52
	v_fmac_f32_e32 v51, v59, v53
	v_add_f32_e32 v52, 0x358637bd, v51
	v_div_scale_f32 v53, s[4:5], v52, v52, 1.0
	v_rcp_f32_e32 v62, v53
	s_barrier
	v_fma_f32 v63, -v53, v62, 1.0
	v_fmac_f32_e32 v62, v63, v62
	v_div_scale_f32 v63, vcc, 1.0, v52, 1.0
	v_mul_f32_e32 v64, v63, v62
	v_fma_f32 v65, -v53, v64, v63
	v_fmac_f32_e32 v64, v65, v62
	v_fma_f32 v53, -v53, v64, v63
	v_div_fmas_f32 v53, v53, v62, v64
	v_cmp_eq_u32_e32 vcc, 1, v57
	v_div_fixup_f32 v52, v53, v52, 1.0
	s_nop 0
	v_cndmask_b32_e32 v53, v55, v61, vcc
	v_cmp_eq_u32_e32 vcc, 2, v57
	s_nop 1
	v_cndmask_b32_e32 v53, v53, v58, vcc
	v_cmp_eq_u32_e32 vcc, 3, v57
	s_nop 1
	v_cndmask_b32_e32 v53, v53, v59, vcc
	v_mul_f32_e32 v52, v53, v52
	v_pk_mul_f32 v[46:47], v[52:53], v[46:47] op_sel_hi:[0,1]
	v_pk_mul_f32 v[36:37], v[52:53], v[36:37] op_sel_hi:[0,1]
	v_cvt_f16_f32_e32 v53, v46
	v_cvt_f16_f32_e32 v36, v36
	;; [unrolled: 1-line block ×4, first 2 shown]
	v_pk_mul_f32 v[48:49], v[52:53], v[48:49] op_sel_hi:[0,1]
	v_pk_mul_f32 v[38:39], v[52:53], v[38:39] op_sel_hi:[0,1]
	v_cvt_f16_f32_e32 v38, v38
	v_cvt_f16_f32_e32 v39, v39
	;; [unrolled: 1-line block ×4, first 2 shown]
	v_pack_b32_f16 v46, v36, v37
	v_pack_b32_f16 v47, v53, v47
	v_lshlrev_b32_e32 v37, 3, v60
	v_lshlrev_b32_e32 v36, 5, v56
	;; [unrolled: 1-line block ×3, first 2 shown]
	v_or3_b32 v55, v53, v36, v37
	v_pack_b32_f16 v38, v38, v39
	v_pack_b32_f16 v39, v48, v49
	ds_write2st64_b64 v55, v[46:47], v[38:39] offset1:1
	v_pk_mul_f32 v[38:39], v[52:53], v[44:45] op_sel_hi:[0,1]
	v_pk_mul_f32 v[42:43], v[52:53], v[42:43] op_sel_hi:[0,1]
	v_cvt_f16_f32_e32 v37, v42
	v_cvt_f16_f32_e32 v42, v43
	;; [unrolled: 1-line block ×4, first 2 shown]
	v_pk_mul_f32 v[34:35], v[52:53], v[34:35] op_sel_hi:[0,1]
	v_pk_mul_f32 v[38:39], v[52:53], v[40:41] op_sel_hi:[0,1]
	v_cvt_f16_f32_e32 v38, v38
	v_cvt_f16_f32_e32 v39, v39
	;; [unrolled: 1-line block ×4, first 2 shown]
	v_pack_b32_f16 v34, v37, v42
	v_pack_b32_f16 v35, v43, v44
	;; [unrolled: 1-line block ×4, first 2 shown]
	v_cmp_gt_u32_e32 vcc, 11, v0
	ds_write2st64_b64 v55, v[34:35], v[38:39] offset0:2 offset1:3
	s_and_saveexec_b64 s[4:5], vcc
	s_cbranch_execz .LBB1038_15
; %bb.14:
	s_mov_b32 s49, 0
	v_mov_b32_e32 v57, 0
	v_lshl_add_u64 v[34:35], s[48:49], 0, v[56:57]
	v_mov_b32_e32 v37, s7
	v_mad_u64_u32 v[34:35], s[12:13], s2, v37, v[34:35]
	s_mul_i32 s3, s3, s7
	v_mov_b32_e32 v38, s22
	v_mov_b32_e32 v39, v57
	s_load_dwordx4 s[8:11], s[0:1], 0x58
	v_add_u32_e32 v37, s3, v35
	v_mad_u64_u32 v[34:35], s[12:13], v34, s6, v[38:39]
	v_mov_b32_e32 v38, v35
	v_mad_u64_u32 v[38:39], s[12:13], v37, s6, v[38:39]
	v_mov_b32_e32 v35, v38
	v_lshlrev_b64 v[34:35], 2, v[34:35]
	s_waitcnt lgkmcnt(0)
	v_lshl_add_u64 v[38:39], s[10:11], 0, v[34:35]
	v_lshl_add_u64 v[34:35], s[8:9], 0, v[34:35]
	global_store_dword v[38:39], v50, off
	global_store_dword v[34:35], v51, off
.LBB1038_15:
	s_or_b64 exec, exec, s[4:5]
	s_waitcnt vmcnt(7)
	v_cvt_pk_f32_fp8_e32 v[34:35], v30
	v_lshl_or_b32 v50, v60, 9, v36
	v_cvt_pk_f32_fp8_sdwa v[36:37], v30 src0_sel:WORD_1
	s_waitcnt lgkmcnt(0)
	s_barrier
	v_cvt_pk_f32_fp8_e32 v[38:39], v31
	v_cvt_pkrtz_f16_f32 v30, v34, v35
	v_cvt_pk_f32_fp8_sdwa v[40:41], v31 src0_sel:WORD_1
	v_cvt_pkrtz_f16_f32 v31, v36, v37
	ds_read_b128 v[34:37], v50
	v_cvt_pkrtz_f16_f32 v46, v38, v39
	v_cvt_pkrtz_f16_f32 v47, v40, v41
	ds_read_b128 v[38:41], v50 offset:16
	v_cvt_pk_f32_fp8_e32 v[48:49], v32
	v_cvt_pk_f32_fp8_sdwa v[52:53], v32 src0_sel:WORD_1
	s_waitcnt lgkmcnt(1)
	v_mfma_f32_16x16x16_f16 v[42:45], v[30:31], v[34:35], 0
	s_waitcnt vmcnt(6)
	v_cvt_pk_f32_fp8_e32 v[58:59], v24
	v_cvt_pkrtz_f16_f32 v30, v48, v49
	v_cvt_pkrtz_f16_f32 v31, v52, v53
	v_cvt_pk_f32_fp8_e32 v[48:49], v33
	v_mfma_f32_16x16x16_f16 v[42:45], v[46:47], v[36:37], v[42:45]
	v_cvt_pk_f32_fp8_sdwa v[46:47], v33 src0_sel:WORD_1
	v_cvt_pk_f32_fp8_sdwa v[62:63], v24 src0_sel:WORD_1
	v_cvt_pkrtz_f16_f32 v48, v48, v49
	s_waitcnt lgkmcnt(0)
	v_mfma_f32_16x16x16_f16 v[30:33], v[30:31], v[38:39], v[42:45]
	v_cvt_pkrtz_f16_f32 v49, v46, v47
	s_waitcnt vmcnt(5)
	v_cvt_pk_f32_fp8_sdwa v[66:67], v12 src0_sel:WORD_1
	s_waitcnt vmcnt(4)
	v_cvt_pk_f32_fp8_sdwa v[68:69], v4 src0_sel:WORD_1
	v_cvt_pk_f32_fp8_e32 v[42:43], v22
	v_mfma_f32_16x16x16_f16 v[46:49], v[48:49], v[40:41], v[30:33]
	s_waitcnt vmcnt(3)
	v_cvt_pk_f32_fp8_sdwa v[70:71], v28 src0_sel:WORD_1
	s_load_dword s4, s[42:43], 0x0
	v_cvt_pk_f32_fp8_sdwa v[30:31], v22 src0_sel:WORD_1
	v_cvt_pk_f32_fp8_e32 v[32:33], v23
	v_cvt_pkrtz_f16_f32 v22, v42, v43
	v_cvt_pk_f32_fp8_sdwa v[42:43], v23 src0_sel:WORD_1
	v_cvt_pkrtz_f16_f32 v23, v30, v31
	v_cvt_pkrtz_f16_f32 v52, v32, v33
	ds_read_b128 v[30:33], v50 offset:2048
	v_cvt_pkrtz_f16_f32 v53, v42, v43
	ds_read_b128 v[42:45], v50 offset:2064
	s_waitcnt lgkmcnt(0)
	v_mfma_f32_16x16x16_f16 v[46:49], v[22:23], v[30:31], v[46:49]
	v_cvt_pkrtz_f16_f32 v22, v58, v59
	v_cvt_pkrtz_f16_f32 v23, v62, v63
	v_cvt_pk_f32_fp8_e32 v[58:59], v25
	v_mfma_f32_16x16x16_f16 v[46:49], v[52:53], v[32:33], v[46:49]
	v_cvt_pk_f32_fp8_sdwa v[52:53], v25 src0_sel:WORD_1
	s_mov_b32 s3, 0
	v_cvt_pkrtz_f16_f32 v58, v58, v59
	v_mfma_f32_16x16x16_f16 v[22:25], v[22:23], v[42:43], v[46:49]
	v_cvt_pkrtz_f16_f32 v59, v52, v53
	v_cmp_gt_u32_e32 vcc, 64, v0
	s_nop 0
	v_cvt_pk_f32_fp8_e32 v[46:47], v10
	v_mfma_f32_16x16x16_f16 v[62:65], v[58:59], v[44:45], v[22:25]
	v_cvt_pk_f32_fp8_e32 v[58:59], v12
	s_nop 1
	v_cvt_pk_f32_fp8_sdwa v[22:23], v10 src0_sel:WORD_1
	v_cvt_pk_f32_fp8_e32 v[24:25], v11
	v_cvt_pkrtz_f16_f32 v10, v46, v47
	v_cvt_pk_f32_fp8_sdwa v[46:47], v11 src0_sel:WORD_1
	v_cvt_pkrtz_f16_f32 v11, v22, v23
	v_cvt_pkrtz_f16_f32 v52, v24, v25
	ds_read_b128 v[22:25], v50 offset:4096
	v_cvt_pkrtz_f16_f32 v53, v46, v47
	ds_read_b128 v[46:49], v50 offset:4112
	s_waitcnt lgkmcnt(1)
	v_mfma_f32_16x16x16_f16 v[62:65], v[10:11], v[22:23], v[62:65]
	v_cvt_pkrtz_f16_f32 v10, v58, v59
	v_cvt_pkrtz_f16_f32 v11, v66, v67
	v_cvt_pk_f32_fp8_e32 v[58:59], v13
	v_mfma_f32_16x16x16_f16 v[62:65], v[52:53], v[24:25], v[62:65]
	v_cvt_pk_f32_fp8_sdwa v[52:53], v13 src0_sel:WORD_1
	v_cvt_pk_f32_fp8_e32 v[66:67], v4
	v_cvt_pkrtz_f16_f32 v58, v58, v59
	s_waitcnt lgkmcnt(0)
	v_mfma_f32_16x16x16_f16 v[10:13], v[10:11], v[46:47], v[62:65]
	v_cvt_pkrtz_f16_f32 v59, v52, v53
	v_cvt_pk_f32_fp8_e32 v[52:53], v2
	s_nop 0
	v_mfma_f32_16x16x16_f16 v[62:65], v[58:59], v[48:49], v[10:13]
	s_nop 2
	v_cvt_pk_f32_fp8_sdwa v[10:11], v2 src0_sel:WORD_1
	v_cvt_pk_f32_fp8_e32 v[12:13], v3
	v_cvt_pkrtz_f16_f32 v2, v52, v53
	v_cvt_pk_f32_fp8_sdwa v[52:53], v3 src0_sel:WORD_1
	v_cvt_pkrtz_f16_f32 v3, v10, v11
	v_cvt_pkrtz_f16_f32 v58, v12, v13
	ds_read_b128 v[10:13], v50 offset:6144
	v_cvt_pkrtz_f16_f32 v59, v52, v53
	s_waitcnt lgkmcnt(0)
	v_mfma_f32_16x16x16_f16 v[62:65], v[2:3], v[10:11], v[62:65]
	ds_read_b128 v[50:53], v50 offset:6160
	v_cvt_pkrtz_f16_f32 v2, v66, v67
	v_cvt_pkrtz_f16_f32 v3, v68, v69
	v_cvt_pk_f32_fp8_e32 v[66:67], v5
	v_mfma_f32_16x16x16_f16 v[62:65], v[58:59], v[12:13], v[62:65]
	v_cvt_pk_f32_fp8_sdwa v[58:59], v5 src0_sel:WORD_1
	v_cvt_pk_f32_fp8_e32 v[68:69], v28
	v_cvt_pkrtz_f16_f32 v66, v66, v67
	s_waitcnt lgkmcnt(0)
	v_mfma_f32_16x16x16_f16 v[2:5], v[2:3], v[50:51], v[62:65]
	v_cvt_pkrtz_f16_f32 v67, v58, v59
	v_cvt_pk_f32_fp8_e32 v[58:59], v26
	s_nop 0
	v_cvt_pk_f32_fp8_sdwa v[62:63], v26 src0_sel:WORD_1
	v_cvt_pk_f32_fp8_e32 v[64:65], v27
	v_cvt_pkrtz_f16_f32 v58, v58, v59
	v_cvt_pk_f32_fp8_sdwa v[26:27], v27 src0_sel:WORD_1
	v_cvt_pkrtz_f16_f32 v59, v62, v63
	v_mfma_f32_16x16x16_f16 v[2:5], v[66:67], v[52:53], v[2:5]
	v_cvt_pkrtz_f16_f32 v66, v64, v65
	v_cvt_pkrtz_f16_f32 v67, v26, v27
	v_cvt_pkrtz_f16_f32 v26, v68, v69
	v_mfma_f32_16x16x16_f16 v[62:65], v[58:59], v[34:35], 0
	v_cvt_pkrtz_f16_f32 v27, v70, v71
	v_cvt_pk_f32_fp8_e32 v[58:59], v29
	s_barrier
	v_mfma_f32_16x16x16_f16 v[34:37], v[66:67], v[36:37], v[62:65]
	v_cvt_pkrtz_f16_f32 v58, v58, v59
	s_nop 1
	v_cvt_pk_f32_fp8_sdwa v[62:63], v29 src0_sel:WORD_1
	v_mfma_f32_16x16x16_f16 v[26:29], v[26:27], v[38:39], v[34:37]
	s_waitcnt vmcnt(2)
	v_cvt_pk_f32_fp8_e32 v[38:39], v19
	v_cvt_pkrtz_f16_f32 v59, v62, v63
	v_cvt_pk_f32_fp8_e32 v[34:35], v18
	v_cvt_pk_f32_fp8_sdwa v[36:37], v18 src0_sel:WORD_1
	v_cvt_pk_f32_fp8_sdwa v[18:19], v19 src0_sel:WORD_1
	v_mfma_f32_16x16x16_f16 v[26:29], v[58:59], v[40:41], v[26:29]
	v_cvt_pkrtz_f16_f32 v34, v34, v35
	v_cvt_pkrtz_f16_f32 v35, v36, v37
	;; [unrolled: 1-line block ×3, first 2 shown]
	v_cvt_pk_f32_fp8_e32 v[38:39], v20
	v_cvt_pk_f32_fp8_sdwa v[40:41], v20 src0_sel:WORD_1
	v_cvt_pkrtz_f16_f32 v37, v18, v19
	v_mfma_f32_16x16x16_f16 v[26:29], v[34:35], v[30:31], v[26:29]
	v_cvt_pkrtz_f16_f32 v30, v38, v39
	v_cvt_pkrtz_f16_f32 v31, v40, v41
	v_cvt_pk_f32_fp8_e32 v[34:35], v21
	v_cvt_pk_f32_fp8_sdwa v[38:39], v21 src0_sel:WORD_1
	v_mfma_f32_16x16x16_f16 v[18:21], v[36:37], v[32:33], v[26:29]
	s_waitcnt vmcnt(1)
	v_cvt_pk_f32_fp8_sdwa v[32:33], v16 src0_sel:WORD_1
	s_nop 0
	v_cvt_pkrtz_f16_f32 v26, v34, v35
	v_cvt_pkrtz_f16_f32 v27, v38, v39
	v_mfma_f32_16x16x16_f16 v[18:21], v[30:31], v[42:43], v[18:21]
	v_cvt_pk_f32_fp8_e32 v[28:29], v14
	v_cvt_pk_f32_fp8_sdwa v[30:31], v14 src0_sel:WORD_1
	v_cvt_pkrtz_f16_f32 v28, v28, v29
	v_mfma_f32_16x16x16_f16 v[18:21], v[26:27], v[44:45], v[18:21]
	v_cvt_pk_f32_fp8_e32 v[26:27], v15
	v_cvt_pkrtz_f16_f32 v29, v30, v31
	v_cvt_pk_f32_fp8_sdwa v[14:15], v15 src0_sel:WORD_1
	v_cvt_pk_f32_fp8_e32 v[30:31], v16
	v_cvt_pkrtz_f16_f32 v26, v26, v27
	v_mfma_f32_16x16x16_f16 v[18:21], v[28:29], v[22:23], v[18:21]
	v_cvt_pkrtz_f16_f32 v27, v14, v15
	v_cvt_pkrtz_f16_f32 v22, v30, v31
	;; [unrolled: 1-line block ×3, first 2 shown]
	v_cvt_pk_f32_fp8_e32 v[28:29], v17
	v_cvt_pk_f32_fp8_sdwa v[30:31], v17 src0_sel:WORD_1
	v_mfma_f32_16x16x16_f16 v[14:17], v[26:27], v[24:25], v[18:21]
	s_waitcnt vmcnt(0)
	v_cvt_pk_f32_fp8_sdwa v[24:25], v6 src0_sel:WORD_1
	s_nop 0
	v_pk_mul_f32 v[18:19], v[4:5], s[4:5] op_sel_hi:[1,0]
	v_cvt_pkrtz_f16_f32 v4, v28, v29
	v_cvt_pkrtz_f16_f32 v5, v30, v31
	v_mfma_f32_16x16x16_f16 v[14:17], v[22:23], v[46:47], v[14:17]
	v_cvt_pk_f32_fp8_e32 v[22:23], v6
	v_pk_mul_f32 v[20:21], v[2:3], s[4:5] op_sel_hi:[1,0]
	v_mfma_f32_16x16x16_f16 v[2:5], v[4:5], v[48:49], v[14:17]
	s_nop 3
	v_cvt_pk_f32_fp8_e32 v[14:15], v7
	v_cvt_pkrtz_f16_f32 v16, v22, v23
	v_cvt_pkrtz_f16_f32 v17, v24, v25
	v_cvt_pk_f32_fp8_sdwa v[6:7], v7 src0_sel:WORD_1
	v_cvt_pkrtz_f16_f32 v14, v14, v15
	v_cvt_pk_f32_fp8_e32 v[22:23], v8
	v_cvt_pk_f32_fp8_sdwa v[24:25], v8 src0_sel:WORD_1
	v_cvt_pkrtz_f16_f32 v15, v6, v7
	v_mfma_f32_16x16x16_f16 v[2:5], v[16:17], v[10:11], v[2:5]
	v_cvt_pkrtz_f16_f32 v6, v22, v23
	v_cvt_pkrtz_f16_f32 v7, v24, v25
	v_cvt_pk_f32_fp8_e32 v[10:11], v9
	v_cvt_pk_f32_fp8_sdwa v[8:9], v9 src0_sel:WORD_1
	v_mfma_f32_16x16x16_f16 v[2:5], v[14:15], v[12:13], v[2:5]
	v_cvt_f16_f32_e32 v12, v20
	v_cvt_pkrtz_f16_f32 v10, v10, v11
	v_cvt_pkrtz_f16_f32 v11, v8, v9
	v_mfma_f32_16x16x16_f16 v[2:5], v[6:7], v[50:51], v[2:5]
	v_cvt_f16_f32_e32 v6, v21
	v_cvt_f16_f32_e32 v7, v18
	v_cvt_f16_f32_e32 v8, v19
	v_mfma_f32_16x16x16_f16 v[2:5], v[10:11], v[52:53], v[2:5]
	s_nop 6
	v_pk_mul_f32 v[4:5], v[4:5], s[4:5] op_sel_hi:[1,0]
	v_pk_mul_f32 v[2:3], v[2:3], s[4:5] op_sel_hi:[1,0]
	v_cvt_f16_f32_e32 v11, v4
	v_cvt_f16_f32_e32 v9, v2
	v_cvt_f16_f32_e32 v10, v3
	v_cvt_f16_f32_e32 v5, v5
	v_pack_b32_f16 v2, v12, v6
	v_pack_b32_f16 v3, v7, v8
	;; [unrolled: 1-line block ×4, first 2 shown]
	ds_write2st64_b64 v55, v[2:3], v[4:5] offset1:1
	s_waitcnt lgkmcnt(0)
	s_barrier
	s_and_saveexec_b64 s[4:5], vcc
	s_cbranch_execz .LBB1038_18
; %bb.16:
	s_load_dwordx2 s[4:5], s[0:1], 0x68
	s_lshl_b32 s0, s6, 7
	s_mul_i32 s1, s7, s2
	v_lshlrev_b32_e32 v3, 6, v56
	s_mul_hi_u32 s7, s1, s0
	s_mul_i32 s6, s1, s0
	v_lshl_or_b32 v0, v0, 10, v3
	s_lshl_b64 s[6:7], s[6:7], 1
	v_lshlrev_b32_e32 v2, 5, v60
	v_and_b32_e32 v1, 16, v1
	v_and_b32_e32 v0, 0x1a00, v0
	s_waitcnt lgkmcnt(0)
	s_add_u32 s1, s4, s6
	v_or3_b32 v2, v0, v2, v1
	s_addc_u32 s4, s5, s7
	s_lshl_b32 s2, s22, 7
	s_lshl_b64 s[2:3], s[2:3], 1
	ds_read_b128 v[4:7], v2 offset:128
	ds_read_b128 v[8:11], v2
	s_add_u32 s2, s1, s2
	s_addc_u32 s3, s4, s3
	v_mov_b32_e32 v55, 0
	v_add_u32_e32 v3, s48, v60
	v_lshl_add_u64 v[0:1], s[2:3], 0, v[54:55]
	v_mad_u64_u32 v[12:13], s[2:3], v3, s0, 0
	v_lshl_add_u64 v[12:13], v[12:13], 1, v[0:1]
	v_add_u32_e32 v3, 4, v3
	s_waitcnt lgkmcnt(0)
	global_store_dwordx4 v[12:13], v[8:11], off
	v_cmp_ne_u32_e32 vcc, 3, v60
	s_nop 0
	v_mad_u64_u32 v[8:9], s[2:3], v3, s0, 0
	v_lshl_add_u64 v[8:9], v[8:9], 1, v[0:1]
	global_store_dwordx4 v[8:9], v[4:7], off
	s_and_b64 exec, exec, vcc
	s_cbranch_execz .LBB1038_18
; %bb.17:
	ds_read_b128 v[2:5], v2 offset:256
	v_add3_u32 v6, s48, v60, 8
	v_mad_u64_u32 v[6:7], s[0:1], v6, s0, 0
	v_lshl_add_u64 v[0:1], v[6:7], 1, v[0:1]
	s_waitcnt lgkmcnt(0)
	global_store_dwordx4 v[0:1], v[2:5], off
.LBB1038_18:
	s_endpgm
	.section	.rodata,"a",@progbits
	.p2align	6, 0x0
	.amdhsa_kernel _Z39paged_attention_ll4mi_QKV_mfma16_kernelIDF16_hLN4vllm18Fp8KVCacheDataTypeE1EhLi32ELi128ELi256ELb0ELi11EEvPKT_PKT0_S7_ifPKiS9_S9_iPKfiiiPfSC_PS2_PT2_iSB_SB_
		.amdhsa_group_segment_fixed_size 8192
		.amdhsa_private_segment_fixed_size 0
		.amdhsa_kernarg_size 400
		.amdhsa_user_sgpr_count 2
		.amdhsa_user_sgpr_dispatch_ptr 0
		.amdhsa_user_sgpr_queue_ptr 0
		.amdhsa_user_sgpr_kernarg_segment_ptr 1
		.amdhsa_user_sgpr_dispatch_id 0
		.amdhsa_user_sgpr_kernarg_preload_length 0
		.amdhsa_user_sgpr_kernarg_preload_offset 0
		.amdhsa_user_sgpr_private_segment_size 0
		.amdhsa_uses_dynamic_stack 0
		.amdhsa_enable_private_segment 0
		.amdhsa_system_sgpr_workgroup_id_x 1
		.amdhsa_system_sgpr_workgroup_id_y 1
		.amdhsa_system_sgpr_workgroup_id_z 1
		.amdhsa_system_sgpr_workgroup_info 0
		.amdhsa_system_vgpr_workitem_id 0
		.amdhsa_next_free_vgpr 80
		.amdhsa_next_free_sgpr 50
		.amdhsa_accum_offset 80
		.amdhsa_reserve_vcc 1
		.amdhsa_float_round_mode_32 0
		.amdhsa_float_round_mode_16_64 0
		.amdhsa_float_denorm_mode_32 3
		.amdhsa_float_denorm_mode_16_64 3
		.amdhsa_dx10_clamp 1
		.amdhsa_ieee_mode 1
		.amdhsa_fp16_overflow 0
		.amdhsa_tg_split 0
		.amdhsa_exception_fp_ieee_invalid_op 0
		.amdhsa_exception_fp_denorm_src 0
		.amdhsa_exception_fp_ieee_div_zero 0
		.amdhsa_exception_fp_ieee_overflow 0
		.amdhsa_exception_fp_ieee_underflow 0
		.amdhsa_exception_fp_ieee_inexact 0
		.amdhsa_exception_int_div_zero 0
	.end_amdhsa_kernel
	.section	.text._Z39paged_attention_ll4mi_QKV_mfma16_kernelIDF16_hLN4vllm18Fp8KVCacheDataTypeE1EhLi32ELi128ELi256ELb0ELi11EEvPKT_PKT0_S7_ifPKiS9_S9_iPKfiiiPfSC_PS2_PT2_iSB_SB_,"axG",@progbits,_Z39paged_attention_ll4mi_QKV_mfma16_kernelIDF16_hLN4vllm18Fp8KVCacheDataTypeE1EhLi32ELi128ELi256ELb0ELi11EEvPKT_PKT0_S7_ifPKiS9_S9_iPKfiiiPfSC_PS2_PT2_iSB_SB_,comdat
.Lfunc_end1038:
	.size	_Z39paged_attention_ll4mi_QKV_mfma16_kernelIDF16_hLN4vllm18Fp8KVCacheDataTypeE1EhLi32ELi128ELi256ELb0ELi11EEvPKT_PKT0_S7_ifPKiS9_S9_iPKfiiiPfSC_PS2_PT2_iSB_SB_, .Lfunc_end1038-_Z39paged_attention_ll4mi_QKV_mfma16_kernelIDF16_hLN4vllm18Fp8KVCacheDataTypeE1EhLi32ELi128ELi256ELb0ELi11EEvPKT_PKT0_S7_ifPKiS9_S9_iPKfiiiPfSC_PS2_PT2_iSB_SB_
                                        ; -- End function
	.section	.AMDGPU.csdata,"",@progbits
; Kernel info:
; codeLenInByte = 6100
; NumSgprs: 56
; NumVgprs: 80
; NumAgprs: 0
; TotalNumVgprs: 80
; ScratchSize: 0
; MemoryBound: 0
; FloatMode: 240
; IeeeMode: 1
; LDSByteSize: 8192 bytes/workgroup (compile time only)
; SGPRBlocks: 6
; VGPRBlocks: 9
; NumSGPRsForWavesPerEU: 56
; NumVGPRsForWavesPerEU: 80
; AccumOffset: 80
; Occupancy: 6
; WaveLimiterHint : 1
; COMPUTE_PGM_RSRC2:SCRATCH_EN: 0
; COMPUTE_PGM_RSRC2:USER_SGPR: 2
; COMPUTE_PGM_RSRC2:TRAP_HANDLER: 0
; COMPUTE_PGM_RSRC2:TGID_X_EN: 1
; COMPUTE_PGM_RSRC2:TGID_Y_EN: 1
; COMPUTE_PGM_RSRC2:TGID_Z_EN: 1
; COMPUTE_PGM_RSRC2:TIDIG_COMP_CNT: 0
; COMPUTE_PGM_RSRC3_GFX90A:ACCUM_OFFSET: 19
; COMPUTE_PGM_RSRC3_GFX90A:TG_SPLIT: 0
	.section	.text._Z39paged_attention_ll4mi_QKV_mfma16_kernelIDF16_hLN4vllm18Fp8KVCacheDataTypeE1EhLi32ELi128ELi256ELb0ELi12EEvPKT_PKT0_S7_ifPKiS9_S9_iPKfiiiPfSC_PS2_PT2_iSB_SB_,"axG",@progbits,_Z39paged_attention_ll4mi_QKV_mfma16_kernelIDF16_hLN4vllm18Fp8KVCacheDataTypeE1EhLi32ELi128ELi256ELb0ELi12EEvPKT_PKT0_S7_ifPKiS9_S9_iPKfiiiPfSC_PS2_PT2_iSB_SB_,comdat
	.protected	_Z39paged_attention_ll4mi_QKV_mfma16_kernelIDF16_hLN4vllm18Fp8KVCacheDataTypeE1EhLi32ELi128ELi256ELb0ELi12EEvPKT_PKT0_S7_ifPKiS9_S9_iPKfiiiPfSC_PS2_PT2_iSB_SB_ ; -- Begin function _Z39paged_attention_ll4mi_QKV_mfma16_kernelIDF16_hLN4vllm18Fp8KVCacheDataTypeE1EhLi32ELi128ELi256ELb0ELi12EEvPKT_PKT0_S7_ifPKiS9_S9_iPKfiiiPfSC_PS2_PT2_iSB_SB_
	.globl	_Z39paged_attention_ll4mi_QKV_mfma16_kernelIDF16_hLN4vllm18Fp8KVCacheDataTypeE1EhLi32ELi128ELi256ELb0ELi12EEvPKT_PKT0_S7_ifPKiS9_S9_iPKfiiiPfSC_PS2_PT2_iSB_SB_
	.p2align	8
	.type	_Z39paged_attention_ll4mi_QKV_mfma16_kernelIDF16_hLN4vllm18Fp8KVCacheDataTypeE1EhLi32ELi128ELi256ELb0ELi12EEvPKT_PKT0_S7_ifPKiS9_S9_iPKfiiiPfSC_PS2_PT2_iSB_SB_,@function
_Z39paged_attention_ll4mi_QKV_mfma16_kernelIDF16_hLN4vllm18Fp8KVCacheDataTypeE1EhLi32ELi128ELi256ELb0ELi12EEvPKT_PKT0_S7_ifPKiS9_S9_iPKfiiiPfSC_PS2_PT2_iSB_SB_: ; @_Z39paged_attention_ll4mi_QKV_mfma16_kernelIDF16_hLN4vllm18Fp8KVCacheDataTypeE1EhLi32ELi128ELi256ELb0ELi12EEvPKT_PKT0_S7_ifPKiS9_S9_iPKfiiiPfSC_PS2_PT2_iSB_SB_
; %bb.0:
	s_load_dwordx2 s[12:13], s[0:1], 0x30
	s_mov_b32 s22, s3
	s_mov_b64 s[6:7], 0
	s_waitcnt lgkmcnt(0)
	s_cmp_lg_u64 s[12:13], 0
	s_cselect_b64 s[14:15], -1, 0
	s_and_b64 vcc, exec, s[14:15]
	s_cbranch_vccz .LBB1039_7
; %bb.1:
	s_add_i32 s8, s2, 1
	s_mov_b32 s9, 0
	s_lshl_b64 s[10:11], s[8:9], 2
	s_add_u32 s10, s12, s10
	s_mov_b32 s3, s9
	s_addc_u32 s11, s13, s11
	s_lshl_b64 s[8:9], s[2:3], 2
	s_add_u32 s8, s12, s8
	s_addc_u32 s9, s13, s9
	s_load_dword s5, s[10:11], 0x0
	s_load_dword s16, s[8:9], 0x0
	s_waitcnt lgkmcnt(0)
	s_sub_i32 s5, s5, s16
	s_cmp_eq_u32 s5, 1
	s_cselect_b64 s[8:9], -1, 0
	s_andn2_b64 vcc, exec, s[6:7]
	s_cbranch_vccnz .LBB1039_3
.LBB1039_2:
	s_mov_b32 s3, 0
	s_mov_b64 s[8:9], -1
.LBB1039_3:
	s_andn2_b64 vcc, exec, s[8:9]
	s_cbranch_vccnz .LBB1039_17
; %bb.4:
	s_load_dwordx2 s[6:7], s[0:1], 0x28
	s_lshl_b64 s[16:17], s[2:3], 2
	s_waitcnt lgkmcnt(0)
	s_add_u32 s6, s6, s16
	s_addc_u32 s7, s7, s17
	s_load_dword s5, s[6:7], 0x0
	s_lshl_b32 s18, s22, 8
	s_waitcnt lgkmcnt(0)
	s_cmp_ge_i32 s18, s5
	s_cbranch_scc1 .LBB1039_17
; %bb.5:
	s_load_dwordx2 s[6:7], s[0:1], 0x20
	s_load_dword s8, s[0:1], 0x38
	s_add_i32 s9, s5, 31
	s_ashr_i32 s10, s9, 31
	v_and_b32_e32 v1, 0xcf, v0
	s_lshr_b32 s10, s10, 27
	v_add_u32_e32 v1, s18, v1
	s_add_i32 s9, s9, s10
	v_ashrrev_i32_e32 v2, 31, v1
	s_ashr_i32 s19, s9, 5
	v_lshrrev_b32_e32 v6, 27, v2
	s_add_i32 s19, s19, -1
	s_waitcnt lgkmcnt(0)
	s_mul_i32 s8, s2, s8
	s_mov_b32 s9, 0
	v_add_u32_e32 v2, v1, v6
	s_lshl_b64 s[8:9], s[8:9], 2
	v_ashrrev_i32_e32 v2, 5, v2
	v_mov_b32_e32 v7, s19
	v_cmp_gt_i32_e32 vcc, s5, v1
	s_add_u32 s6, s6, s8
	s_addc_u32 s7, s7, s9
	v_cndmask_b32_e32 v2, v7, v2, vcc
	v_ashrrev_i32_e32 v3, 31, v2
	v_lshl_add_u64 v[4:5], v[2:3], 2, s[6:7]
	v_or_b32_e32 v2, 16, v1
	v_add_u32_e32 v3, v2, v6
	v_ashrrev_i32_e32 v3, 5, v3
	v_cmp_gt_i32_e32 vcc, s5, v2
	s_load_dwordx4 s[8:11], s[0:1], 0x8
	s_nop 0
	v_cndmask_b32_e32 v2, v7, v3, vcc
	v_ashrrev_i32_e32 v3, 31, v2
	v_lshl_add_u64 v[8:9], v[2:3], 2, s[6:7]
	v_or_b32_e32 v2, 32, v1
	v_add_u32_e32 v3, v2, v6
	v_ashrrev_i32_e32 v3, 5, v3
	v_cmp_gt_i32_e32 vcc, s5, v2
	v_or_b32_e32 v1, 48, v1
	s_nop 0
	v_cndmask_b32_e32 v2, v7, v3, vcc
	v_ashrrev_i32_e32 v3, 31, v2
	v_lshl_add_u64 v[10:11], v[2:3], 2, s[6:7]
	v_add_u32_e32 v2, v1, v6
	v_ashrrev_i32_e32 v2, 5, v2
	v_cmp_gt_i32_e32 vcc, s5, v1
	s_nop 1
	v_cndmask_b32_e32 v2, v7, v2, vcc
	v_ashrrev_i32_e32 v3, 31, v2
	v_lshl_add_u64 v[12:13], v[2:3], 2, s[6:7]
	global_load_dword v2, v[4:5], off
	global_load_dword v6, v[8:9], off
	;; [unrolled: 1-line block ×4, first 2 shown]
	s_andn2_b64 vcc, exec, s[14:15]
	s_cbranch_vccnz .LBB1039_8
; %bb.6:
	s_add_u32 s12, s12, s16
	s_addc_u32 s13, s13, s17
	s_load_dword s14, s[12:13], 0x0
	s_branch .LBB1039_9
.LBB1039_7:
	s_mov_b64 s[8:9], 0
	s_branch .LBB1039_2
.LBB1039_8:
	s_mov_b32 s14, s2
.LBB1039_9:
	s_load_dwordx4 s[44:47], s[0:1], 0x48
	v_and_b32_e32 v56, 15, v0
	v_lshlrev_b32_e32 v3, 3, v56
	s_movk_i32 s12, 0xc0
	v_lshrrev_b32_e32 v57, 6, v0
	v_and_b32_e32 v61, 63, v0
	v_bfe_u32 v1, v0, 4, 2
	s_mul_i32 s48, s4, 12
	v_cmp_gt_u32_e32 vcc, s12, v0
	v_lshlrev_b32_e32 v54, 1, v3
	v_lshlrev_b32_e32 v60, 4, v0
	s_and_saveexec_b64 s[12:13], vcc
	s_cbranch_execz .LBB1039_11
; %bb.10:
	s_load_dwordx2 s[16:17], s[0:1], 0x0
	s_waitcnt lgkmcnt(0)
	s_ashr_i32 s15, s44, 31
	s_mul_hi_u32 s20, s14, s44
	s_mul_i32 s15, s14, s15
	s_add_i32 s15, s20, s15
	s_mul_i32 s14, s14, s44
	v_lshl_or_b32 v3, v57, 2, v1
	s_lshl_b64 s[14:15], s[14:15], 1
	s_add_u32 s14, s16, s14
	v_add_lshl_u32 v4, v3, s48, 7
	s_addc_u32 s15, s17, s15
	v_ashrrev_i32_e32 v5, 31, v4
	v_lshl_add_u64 v[4:5], v[4:5], 1, s[14:15]
	v_mov_b32_e32 v55, 0
	v_lshl_add_u64 v[4:5], v[4:5], 0, v[54:55]
	global_load_dwordx4 v[8:11], v[4:5], off
	v_lshlrev_b32_e32 v5, 8, v0
	v_lshlrev_b32_e32 v4, 8, v56
	v_and_b32_e32 v5, 0x600, v5
	s_movk_i32 s14, 0x800
	v_and_or_b32 v4, v4, s14, v5
	v_lshlrev_b32_e32 v3, 5, v3
	v_and_b32_e32 v5, 16, v60
	v_or3_b32 v3, v4, v3, v5
	s_waitcnt vmcnt(0)
	ds_write_b128 v3, v[8:11]
.LBB1039_11:
	s_or_b64 exec, exec, s[12:13]
	s_waitcnt lgkmcnt(0)
	s_mul_i32 s12, s4, s46
	s_add_u32 s8, s8, s12
	s_addc_u32 s9, s9, 0
	v_mov_b32_e32 v59, 0
	v_mov_b64_e32 v[4:5], s[8:9]
	v_and_b32_e32 v7, 48, v0
	s_waitcnt vmcnt(3)
	v_mad_i64_i32 v[8:9], s[8:9], v2, s45, v[4:5]
	v_lshlrev_b32_e32 v2, 4, v56
	v_mov_b32_e32 v3, v59
	v_lshlrev_b32_e32 v58, 5, v7
	v_lshl_add_u64 v[8:9], v[8:9], 0, v[2:3]
	v_lshl_add_u64 v[8:9], v[8:9], 0, v[58:59]
	s_load_dword s23, s[0:1], 0x98
	s_load_dwordx4 s[40:43], s[0:1], 0x80
	s_waitcnt lgkmcnt(0)
	s_barrier
	global_load_dwordx4 v[10:13], v[8:9], off
	global_load_dwordx4 v[30:33], v[8:9], off offset:2048
	v_add_u32_e32 v14, -12, v56
	v_cmp_gt_u32_e32 vcc, 12, v56
	s_ashr_i32 s8, s18, 31
	v_or_b32_e32 v24, 0x100, v2
	v_cndmask_b32_e32 v8, v14, v56, vcc
	v_mov_b32_e32 v25, v59
	s_lshr_b32 s13, s8, 27
	s_waitcnt vmcnt(4)
	v_mad_i64_i32 v[34:35], s[8:9], v6, s45, v[4:5]
	v_or_b32_e32 v39, s18, v7
	v_lshlrev_b32_e32 v7, 5, v8
	v_lshl_add_u64 v[34:35], v[34:35], 0, v[24:25]
	v_lshl_add_u32 v7, v1, 9, v7
	v_lshl_add_u64 v[34:35], v[34:35], 0, v[58:59]
	ds_read_b128 v[26:29], v7
	ds_read_b128 v[18:21], v7 offset:16
	ds_read_b128 v[14:17], v7 offset:2048
	;; [unrolled: 1-line block ×3, first 2 shown]
	global_load_dwordx4 v[46:49], v[34:35], off
	v_or_b32_e32 v41, 0x80, v39
	v_or_b32_e32 v51, 0xc0, v39
	s_waitcnt vmcnt(4)
	v_mad_i64_i32 v[36:37], s[8:9], v22, s45, v[4:5]
	s_waitcnt vmcnt(3)
	v_mad_i64_i32 v[4:5], s[8:9], v23, s45, v[4:5]
	v_add_u32_e32 v42, s13, v41
	v_add_u32_e32 v43, s13, v51
	v_lshl_add_u64 v[4:5], v[4:5], 0, v[24:25]
	v_ashrrev_i32_e32 v24, 5, v42
	v_ashrrev_i32_e32 v25, 5, v43
	global_load_dwordx4 v[42:45], v[34:35], off offset:2048
	v_or_b32_e32 v40, 64, v39
	v_add_u32_e32 v22, s13, v39
	v_mov_b32_e32 v38, s19
	v_add_u32_e32 v23, s13, v40
	v_ashrrev_i32_e32 v22, 5, v22
	v_cmp_gt_i32_e32 vcc, s5, v39
	v_ashrrev_i32_e32 v23, 5, v23
	v_lshl_add_u64 v[2:3], v[36:37], 0, v[2:3]
	v_cndmask_b32_e32 v50, v38, v22, vcc
	v_cmp_gt_i32_e32 vcc, s5, v40
	v_lshl_add_u64 v[2:3], v[2:3], 0, v[58:59]
	v_lshl_add_u64 v[36:37], v[4:5], 0, v[58:59]
	v_cndmask_b32_e32 v52, v38, v23, vcc
	v_cmp_gt_i32_e32 vcc, s5, v41
	v_ashrrev_i32_e32 v53, 31, v52
	v_lshl_add_u64 v[52:53], v[52:53], 2, s[6:7]
	v_cndmask_b32_e32 v62, v38, v24, vcc
	v_cmp_gt_i32_e32 vcc, s5, v51
	v_ashrrev_i32_e32 v51, 31, v50
	v_ashrrev_i32_e32 v63, 31, v62
	v_cndmask_b32_e32 v64, v38, v25, vcc
	global_load_dwordx4 v[22:25], v[2:3], off
	s_nop 0
	global_load_dwordx4 v[2:5], v[2:3], off offset:2048
	s_nop 0
	global_load_dwordx4 v[38:41], v[36:37], off
	s_nop 0
	global_load_dwordx4 v[34:37], v[36:37], off offset:2048
	v_ashrrev_i32_e32 v65, 31, v64
	v_lshl_add_u64 v[50:51], v[50:51], 2, s[6:7]
	v_lshl_add_u64 v[66:67], v[62:63], 2, s[6:7]
	;; [unrolled: 1-line block ×3, first 2 shown]
	global_load_dword v65, v[50:51], off
	global_load_dword v63, v[52:53], off
	;; [unrolled: 1-line block ×4, first 2 shown]
	s_add_u32 s6, s10, s12
	s_addc_u32 s7, s11, 0
	v_and_b32_e32 v58, 16, v0
	v_lshl_or_b32 v64, v57, 4, v56
	s_load_dword s4, s[0:1], 0x1c
	s_mov_b32 s33, 0xff7fffff
	s_waitcnt vmcnt(11)
	v_cvt_pk_f32_fp8_e32 v[50:51], v10
	v_cvt_pk_f32_fp8_sdwa v[52:53], v10 src0_sel:WORD_1
	v_cvt_pk_f32_fp8_e32 v[66:67], v11
	v_cvt_pk_f32_fp8_sdwa v[10:11], v11 src0_sel:WORD_1
	v_cvt_pkrtz_f16_f32 v50, v50, v51
	v_cvt_pkrtz_f16_f32 v51, v52, v53
	v_cvt_pk_f32_fp8_e32 v[68:69], v12
	v_cvt_pk_f32_fp8_sdwa v[70:71], v12 src0_sel:WORD_1
	v_cvt_pkrtz_f16_f32 v66, v66, v67
	v_cvt_pkrtz_f16_f32 v67, v10, v11
	s_waitcnt lgkmcnt(0)
	v_mfma_f32_16x16x16_f16 v[50:53], v[50:51], v[26:27], 0
	v_cvt_pk_f32_fp8_e32 v[72:73], v13
	v_cvt_pk_f32_fp8_sdwa v[74:75], v13 src0_sel:WORD_1
	v_cvt_pkrtz_f16_f32 v68, v68, v69
	v_cvt_pkrtz_f16_f32 v69, v70, v71
	v_mfma_f32_16x16x16_f16 v[10:13], v[66:67], v[28:29], v[50:53]
	s_waitcnt vmcnt(10)
	v_cvt_pk_f32_fp8_sdwa v[66:67], v30 src0_sel:WORD_1
	s_waitcnt vmcnt(6)
	v_cvt_pk_f32_fp8_sdwa v[78:79], v5 src0_sel:WORD_1
	v_cvt_pkrtz_f16_f32 v50, v72, v73
	v_cvt_pk_f32_fp8_e32 v[52:53], v30
	v_cvt_pkrtz_f16_f32 v51, v74, v75
	v_mfma_f32_16x16x16_f16 v[10:13], v[68:69], v[18:19], v[10:13]
	v_cvt_pk_f32_fp8_sdwa v[68:69], v42 src0_sel:WORD_1
	v_cvt_pkrtz_f16_f32 v52, v52, v53
	v_cvt_pkrtz_f16_f32 v53, v66, v67
	v_cvt_pk_f32_fp8_e32 v[66:67], v31
	v_cvt_pk_f32_fp8_sdwa v[30:31], v31 src0_sel:WORD_1
	v_mfma_f32_16x16x16_f16 v[10:13], v[50:51], v[20:21], v[10:13]
	v_cvt_pk_f32_fp8_e32 v[72:73], v3
	v_cvt_pkrtz_f16_f32 v50, v66, v67
	v_cvt_pkrtz_f16_f32 v51, v30, v31
	v_mfma_f32_16x16x16_f16 v[10:13], v[52:53], v[14:15], v[10:13]
	v_cvt_pk_f32_fp8_e32 v[30:31], v32
	v_cvt_pk_f32_fp8_sdwa v[52:53], v32 src0_sel:WORD_1
	v_cvt_pk_f32_fp8_sdwa v[66:67], v46 src0_sel:WORD_1
	v_mfma_f32_16x16x16_f16 v[10:13], v[50:51], v[16:17], v[10:13]
	v_cvt_pkrtz_f16_f32 v30, v30, v31
	v_cvt_pkrtz_f16_f32 v31, v52, v53
	v_cvt_pk_f32_fp8_e32 v[50:51], v33
	v_cvt_pk_f32_fp8_sdwa v[32:33], v33 src0_sel:WORD_1
	v_cvt_pk_f32_fp8_e32 v[52:53], v46
	v_mfma_f32_16x16x16_f16 v[10:13], v[30:31], v[6:7], v[10:13]
	v_cvt_pkrtz_f16_f32 v50, v50, v51
	v_cvt_pkrtz_f16_f32 v51, v32, v33
	;; [unrolled: 1-line block ×4, first 2 shown]
	v_cvt_pk_f32_fp8_e32 v[32:33], v47
	v_cvt_pk_f32_fp8_sdwa v[46:47], v47 src0_sel:WORD_1
	v_mfma_f32_16x16x16_f16 v[50:53], v[50:51], v[8:9], v[10:13]
	v_cvt_pk_f32_fp8_sdwa v[66:67], v48 src0_sel:WORD_1
	v_cvt_pkrtz_f16_f32 v32, v32, v33
	v_cvt_pkrtz_f16_f32 v33, v46, v47
	v_mfma_f32_16x16x16_f16 v[10:13], v[30:31], v[26:27], 0
	v_cvt_pk_f32_fp8_e32 v[30:31], v48
	v_lshl_add_u64 v[46:47], s[6:7], 0, v[58:59]
	v_lshlrev_b32_e32 v58, 5, v64
	v_mfma_f32_16x16x16_f16 v[10:13], v[32:33], v[28:29], v[10:13]
	v_cvt_pk_f32_fp8_e32 v[32:33], v49
	v_cvt_pkrtz_f16_f32 v30, v30, v31
	v_cvt_pkrtz_f16_f32 v31, v66, v67
	v_cvt_pk_f32_fp8_sdwa v[48:49], v49 src0_sel:WORD_1
	v_cvt_pkrtz_f16_f32 v32, v32, v33
	v_cvt_pk_f32_fp8_e32 v[66:67], v42
	v_mfma_f32_16x16x16_f16 v[10:13], v[30:31], v[18:19], v[10:13]
	v_cvt_pkrtz_f16_f32 v33, v48, v49
	v_cvt_pkrtz_f16_f32 v30, v66, v67
	;; [unrolled: 1-line block ×3, first 2 shown]
	v_cvt_pk_f32_fp8_e32 v[48:49], v43
	v_cvt_pk_f32_fp8_sdwa v[42:43], v43 src0_sel:WORD_1
	v_mfma_f32_16x16x16_f16 v[10:13], v[32:33], v[20:21], v[10:13]
	v_lshl_add_u64 v[66:67], v[46:47], 0, v[58:59]
	v_cvt_pkrtz_f16_f32 v32, v48, v49
	v_cvt_pkrtz_f16_f32 v33, v42, v43
	v_mfma_f32_16x16x16_f16 v[10:13], v[30:31], v[14:15], v[10:13]
	v_cvt_pk_f32_fp8_e32 v[30:31], v44
	v_cvt_pk_f32_fp8_sdwa v[42:43], v44 src0_sel:WORD_1
	v_cvt_pk_f32_fp8_sdwa v[48:49], v22 src0_sel:WORD_1
	v_mfma_f32_16x16x16_f16 v[10:13], v[32:33], v[16:17], v[10:13]
	v_cvt_pkrtz_f16_f32 v30, v30, v31
	v_cvt_pkrtz_f16_f32 v31, v42, v43
	v_cvt_pk_f32_fp8_e32 v[32:33], v45
	v_cvt_pk_f32_fp8_sdwa v[42:43], v45 src0_sel:WORD_1
	v_cvt_pk_f32_fp8_e32 v[44:45], v22
	v_mfma_f32_16x16x16_f16 v[10:13], v[30:31], v[6:7], v[10:13]
	v_cvt_pkrtz_f16_f32 v32, v32, v33
	v_cvt_pkrtz_f16_f32 v33, v42, v43
	;; [unrolled: 1-line block ×4, first 2 shown]
	v_cvt_pk_f32_fp8_e32 v[48:49], v23
	v_cvt_pk_f32_fp8_sdwa v[22:23], v23 src0_sel:WORD_1
	v_mfma_f32_16x16x16_f16 v[42:45], v[32:33], v[8:9], v[10:13]
	s_waitcnt vmcnt(2)
	v_mad_i64_i32 v[68:69], s[6:7], v63, s45, v[66:67]
	v_cvt_pkrtz_f16_f32 v32, v48, v49
	v_cvt_pkrtz_f16_f32 v33, v22, v23
	v_mfma_f32_16x16x16_f16 v[10:13], v[30:31], v[26:27], 0
	v_cvt_pk_f32_fp8_e32 v[22:23], v24
	v_cvt_pk_f32_fp8_sdwa v[30:31], v24 src0_sel:WORD_1
	v_mad_i64_i32 v[48:49], s[6:7], v65, s45, v[66:67]
	v_cvt_pkrtz_f16_f32 v22, v22, v23
	v_cvt_pkrtz_f16_f32 v23, v30, v31
	v_cvt_pk_f32_fp8_e32 v[30:31], v25
	v_cvt_pk_f32_fp8_sdwa v[24:25], v25 src0_sel:WORD_1
	v_mfma_f32_16x16x16_f16 v[10:13], v[32:33], v[28:29], v[10:13]
	s_waitcnt vmcnt(0)
	v_mad_i64_i32 v[74:75], s[6:7], v62, s45, v[66:67]
	v_cvt_pkrtz_f16_f32 v70, v30, v31
	v_cvt_pkrtz_f16_f32 v71, v24, v25
	v_mfma_f32_16x16x16_f16 v[10:13], v[22:23], v[18:19], v[10:13]
	global_load_dwordx4 v[30:33], v[48:49], off
	global_load_dwordx4 v[22:25], v[68:69], off
	v_cvt_pk_f32_fp8_e32 v[68:69], v2
	v_mad_i64_i32 v[48:49], s[6:7], v55, s45, v[66:67]
	v_mfma_f32_16x16x16_f16 v[10:13], v[70:71], v[20:21], v[10:13]
	v_cvt_pk_f32_fp8_sdwa v[70:71], v2 src0_sel:WORD_1
	v_cvt_pk_f32_fp8_sdwa v[2:3], v3 src0_sel:WORD_1
	v_cvt_pkrtz_f16_f32 v68, v68, v69
	v_or_b32_e32 v58, 0x800, v58
	v_cvt_pkrtz_f16_f32 v69, v70, v71
	v_cvt_pkrtz_f16_f32 v70, v72, v73
	;; [unrolled: 1-line block ×3, first 2 shown]
	v_cvt_pk_f32_fp8_e32 v[2:3], v4
	v_cvt_pk_f32_fp8_sdwa v[72:73], v4 src0_sel:WORD_1
	v_mfma_f32_16x16x16_f16 v[66:69], v[68:69], v[14:15], v[10:13]
	v_lshl_add_u64 v[46:47], v[46:47], 0, v[58:59]
	v_cvt_pkrtz_f16_f32 v76, v2, v3
	v_cvt_pkrtz_f16_f32 v77, v72, v73
	v_cvt_pk_f32_fp8_e32 v[72:73], v5
	v_mfma_f32_16x16x16_f16 v[66:69], v[70:71], v[16:17], v[66:69]
	global_load_dwordx4 v[10:13], v[48:49], off
	global_load_dwordx4 v[2:5], v[74:75], off
	v_cvt_pkrtz_f16_f32 v49, v78, v79
	v_cvt_pkrtz_f16_f32 v48, v72, v73
	v_mfma_f32_16x16x16_f16 v[66:69], v[76:77], v[6:7], v[66:69]
	v_cvt_pk_f32_fp8_e32 v[58:59], v38
	v_cvt_pk_f32_fp8_sdwa v[70:71], v38 src0_sel:WORD_1
	v_cvt_pk_f32_fp8_e32 v[74:75], v40
	v_mfma_f32_16x16x16_f16 v[66:69], v[48:49], v[8:9], v[66:69]
	v_cvt_pk_f32_fp8_e32 v[48:49], v39
	v_cvt_pkrtz_f16_f32 v58, v58, v59
	v_cvt_pkrtz_f16_f32 v59, v70, v71
	v_cvt_pk_f32_fp8_sdwa v[38:39], v39 src0_sel:WORD_1
	v_cvt_pkrtz_f16_f32 v48, v48, v49
	v_cvt_pk_f32_fp8_sdwa v[76:77], v40 src0_sel:WORD_1
	v_mfma_f32_16x16x16_f16 v[70:73], v[58:59], v[26:27], 0
	v_cvt_pkrtz_f16_f32 v49, v38, v39
	v_cvt_pkrtz_f16_f32 v38, v74, v75
	;; [unrolled: 1-line block ×3, first 2 shown]
	v_cvt_pk_f32_fp8_e32 v[58:59], v41
	v_cvt_pk_f32_fp8_sdwa v[40:41], v41 src0_sel:WORD_1
	v_mfma_f32_16x16x16_f16 v[26:29], v[48:49], v[28:29], v[70:73]
	s_load_dword s6, s[40:41], 0x0
	v_cvt_pkrtz_f16_f32 v48, v58, v59
	v_cvt_pkrtz_f16_f32 v49, v40, v41
	v_mfma_f32_16x16x16_f16 v[26:29], v[38:39], v[18:19], v[26:29]
	v_mov_b32_e32 v70, s4
	s_waitcnt lgkmcnt(0)
	v_mul_f32_e32 v40, s6, v70
	v_pk_mul_f32 v[38:39], v[40:41], v[52:53] op_sel_hi:[0,1]
	v_mfma_f32_16x16x16_f16 v[18:21], v[48:49], v[20:21], v[26:29]
	v_cvt_pk_f32_fp8_e32 v[48:49], v35
	v_pk_mul_f32 v[50:51], v[40:41], v[50:51] op_sel_hi:[0,1]
	v_pk_mul_f32 v[52:53], v[40:41], v[42:43] op_sel_hi:[0,1]
	v_cvt_pk_f32_fp8_e32 v[26:27], v34
	v_cvt_pk_f32_fp8_sdwa v[28:29], v34 src0_sel:WORD_1
	v_cvt_pk_f32_fp8_sdwa v[34:35], v35 src0_sel:WORD_1
	v_pk_mul_f32 v[42:43], v[40:41], v[66:67] op_sel_hi:[0,1]
	v_cvt_pkrtz_f16_f32 v26, v26, v27
	v_cvt_pkrtz_f16_f32 v27, v28, v29
	;; [unrolled: 1-line block ×4, first 2 shown]
	v_cvt_pk_f32_fp8_e32 v[34:35], v36
	v_cvt_pk_f32_fp8_sdwa v[48:49], v36 src0_sel:WORD_1
	v_mfma_f32_16x16x16_f16 v[18:21], v[26:27], v[14:15], v[18:21]
	v_mad_i64_i32 v[58:59], s[6:7], v65, s45, v[46:47]
	v_cvt_pkrtz_f16_f32 v26, v34, v35
	v_cvt_pkrtz_f16_f32 v27, v48, v49
	v_cvt_pk_f32_fp8_e32 v[34:35], v37
	v_cvt_pk_f32_fp8_sdwa v[36:37], v37 src0_sel:WORD_1
	v_mfma_f32_16x16x16_f16 v[14:17], v[28:29], v[16:17], v[18:21]
	v_pk_mul_f32 v[48:49], v[40:41], v[44:45] op_sel_hi:[0,1]
	v_pk_mul_f32 v[44:45], v[40:41], v[68:69] op_sel_hi:[0,1]
	s_nop 0
	v_cvt_pkrtz_f16_f32 v18, v34, v35
	v_cvt_pkrtz_f16_f32 v19, v36, v37
	v_mfma_f32_16x16x16_f16 v[14:17], v[26:27], v[6:7], v[14:17]
	s_nop 0
	v_mfma_f32_16x16x16_f16 v[6:9], v[18:19], v[8:9], v[14:17]
	s_nop 6
	v_pk_mul_f32 v[34:35], v[40:41], v[8:9] op_sel_hi:[0,1]
	v_pk_mul_f32 v[40:41], v[40:41], v[6:7] op_sel_hi:[0,1]
	v_and_b32_e32 v6, 0xc0, v0
	v_add_u32_e32 v6, s18, v6
	v_lshl_or_b32 v6, v1, 2, v6
	v_or_b32_e32 v9, 1, v6
	v_mov_b32_e32 v7, 0xff7fffff
	v_cmp_gt_i32_e64 s[24:25], s5, v6
	v_cmp_gt_i32_e64 s[26:27], s5, v9
	v_or_b32_e32 v14, 3, v6
	v_cndmask_b32_e64 v8, v7, v50, s[24:25]
	v_cndmask_b32_e64 v9, v7, v51, s[26:27]
	v_max3_f32 v8, v8, s33, v9
	v_or_b32_e32 v9, 2, v6
	v_cmp_gt_i32_e64 s[28:29], s5, v9
	v_cmp_gt_i32_e64 s[30:31], s5, v14
	s_nop 0
	v_cndmask_b32_e64 v9, v7, v38, s[28:29]
	v_cndmask_b32_e64 v14, v7, v39, s[30:31]
	v_max3_f32 v8, v8, v9, v14
	v_or_b32_e32 v9, 16, v6
	v_or_b32_e32 v14, 17, v6
	v_cmp_gt_i32_e64 s[34:35], s5, v9
	v_cmp_gt_i32_e64 s[36:37], s5, v14
	s_nop 0
	v_cndmask_b32_e64 v9, v7, v52, s[34:35]
	v_cndmask_b32_e64 v14, v7, v53, s[36:37]
	v_max3_f32 v8, v8, v9, v14
	v_or_b32_e32 v9, 18, v6
	;; [unrolled: 8-line block ×6, first 2 shown]
	v_or_b32_e32 v6, 51, v6
	v_cmp_gt_i32_e32 vcc, s5, v9
	v_cmp_gt_i32_e64 s[4:5], s5, v6
	s_nop 0
	v_cndmask_b32_e32 v9, v7, v34, vcc
	v_cndmask_b32_e64 v6, v7, v35, s[4:5]
	v_max3_f32 v8, v8, v9, v6
	v_mbcnt_lo_u32_b32 v6, -1, 0
	v_mbcnt_hi_u32_b32 v9, -1, v6
	v_and_b32_e32 v6, 64, v9
	v_add_u32_e32 v14, 64, v6
	v_xor_b32_e32 v6, 32, v9
	v_cmp_lt_i32_e64 s[38:39], v6, v14
	s_nop 1
	v_cndmask_b32_e64 v6, v9, v6, s[38:39]
	v_lshlrev_b32_e32 v65, 2, v6
	ds_bpermute_b32 v15, v65, v8
	v_mad_i64_i32 v[6:7], s[38:39], v63, s45, v[46:47]
	global_load_dwordx4 v[26:29], v[58:59], off
	global_load_dwordx4 v[18:21], v[6:7], off
	s_waitcnt lgkmcnt(0)
	v_max_f32_e32 v6, v15, v15
	v_max_f32_e32 v15, v8, v6
	v_xor_b32_e32 v6, 16, v9
	v_cmp_lt_i32_e64 s[38:39], v6, v14
	s_nop 1
	v_cndmask_b32_e64 v6, v9, v6, s[38:39]
	v_lshlrev_b32_e32 v58, 2, v6
	ds_bpermute_b32 v14, v58, v15
	v_mad_i64_i32 v[6:7], s[38:39], v55, s45, v[46:47]
	v_mad_i64_i32 v[8:9], s[38:39], v62, s45, v[46:47]
	s_waitcnt lgkmcnt(0)
	v_max_f32_e32 v14, v14, v14
	v_max_f32_e32 v55, v15, v14
	v_sub_f32_e32 v14, v50, v55
	v_mul_f32_e32 v14, 0x3fb8aa3b, v14
	v_exp_f32_e32 v36, v14
	v_sub_f32_e32 v14, v51, v55
	v_mul_f32_e32 v14, 0x3fb8aa3b, v14
	v_exp_f32_e32 v37, v14
	global_load_dwordx4 v[14:17], v[6:7], off
	s_nop 0
	global_load_dwordx4 v[6:9], v[8:9], off
	v_sub_f32_e32 v38, v38, v55
	v_mul_f32_e32 v38, 0x3fb8aa3b, v38
	v_sub_f32_e32 v39, v39, v55
	v_exp_f32_e32 v38, v38
	v_mul_f32_e32 v39, 0x3fb8aa3b, v39
	v_exp_f32_e32 v39, v39
	v_cndmask_b32_e64 v36, 0, v36, s[24:25]
	v_add_f32_e32 v46, 0, v36
	v_cndmask_b32_e64 v37, 0, v37, s[26:27]
	v_add_f32_e32 v47, v46, v37
	;; [unrolled: 2-line block ×3, first 2 shown]
	v_cndmask_b32_e64 v47, 0, v39, s[30:31]
	v_sub_f32_e32 v39, v52, v55
	v_mul_f32_e32 v39, 0x3fb8aa3b, v39
	v_sub_f32_e32 v50, v53, v55
	v_exp_f32_e32 v39, v39
	v_mul_f32_e32 v50, 0x3fb8aa3b, v50
	v_sub_f32_e32 v48, v48, v55
	v_exp_f32_e32 v50, v50
	;; [unrolled: 3-line block ×4, first 2 shown]
	v_mul_f32_e32 v42, 0x3fb8aa3b, v42
	v_sub_f32_e32 v43, v43, v55
	v_add_f32_e32 v51, v38, v47
	v_cndmask_b32_e64 v38, 0, v39, s[34:35]
	v_exp_f32_e32 v42, v42
	v_mul_f32_e32 v43, 0x3fb8aa3b, v43
	v_sub_f32_e32 v44, v44, v55
	v_add_f32_e32 v51, v51, v38
	v_cndmask_b32_e64 v39, 0, v50, s[36:37]
	v_exp_f32_e32 v43, v43
	;; [unrolled: 5-line block ×7, first 2 shown]
	v_mul_f32_e32 v35, 0x3fb8aa3b, v35
	v_add_f32_e32 v50, v50, v44
	v_cndmask_b32_e64 v45, 0, v45, s[12:13]
	v_exp_f32_e32 v35, v35
	v_add_f32_e32 v50, v50, v45
	v_cndmask_b32_e64 v40, 0, v40, s[6:7]
	v_add_f32_e32 v50, v50, v40
	v_cndmask_b32_e64 v41, 0, v41, s[8:9]
	v_add_f32_e32 v50, v50, v41
	v_cndmask_b32_e32 v34, 0, v34, vcc
	v_add_f32_e32 v50, v50, v34
	v_cndmask_b32_e64 v35, 0, v35, s[4:5]
	v_add_f32_e32 v50, v50, v35
	ds_bpermute_b32 v51, v65, v50
	v_cmp_gt_u32_e32 vcc, 16, v61
	s_waitcnt lgkmcnt(0)
	s_barrier
	v_add_f32_e32 v50, v50, v51
	ds_bpermute_b32 v51, v58, v50
	s_and_saveexec_b64 s[4:5], vcc
	s_cbranch_execz .LBB1039_13
; %bb.12:
	s_waitcnt lgkmcnt(0)
	v_add_f32_e32 v50, v50, v51
	v_lshlrev_b32_e32 v51, 2, v64
	ds_write2st64_b32 v51, v55, v50 offset1:1
.LBB1039_13:
	s_or_b64 exec, exec, s[4:5]
	s_waitcnt lgkmcnt(0)
	v_lshlrev_b32_e32 v51, 2, v56
	s_load_dword s6, s[0:1], 0x94
	s_waitcnt lgkmcnt(0)
	s_barrier
	ds_read2_b32 v[52:53], v51 offset1:16
	ds_read2_b32 v[58:59], v51 offset0:32 offset1:48
	ds_read2_b32 v[62:63], v51 offset0:64 offset1:80
	s_mul_i32 s7, s23, 12
	s_waitcnt lgkmcnt(2)
	v_max3_f32 v50, v52, s33, v53
	s_waitcnt lgkmcnt(1)
	v_max3_f32 v50, v50, v58, v59
	v_sub_f32_e32 v52, v52, v50
	v_mul_f32_e32 v52, 0x3fb8aa3b, v52
	v_exp_f32_e32 v55, v52
	v_sub_f32_e32 v52, v53, v50
	v_mul_f32_e32 v52, 0x3fb8aa3b, v52
	v_exp_f32_e32 v61, v52
	v_sub_f32_e32 v52, v58, v50
	v_mul_f32_e32 v52, 0x3fb8aa3b, v52
	v_exp_f32_e32 v58, v52
	ds_read2_b32 v[52:53], v51 offset0:96 offset1:112
	v_sub_f32_e32 v51, v59, v50
	v_mul_f32_e32 v51, 0x3fb8aa3b, v51
	v_exp_f32_e32 v59, v51
	s_waitcnt lgkmcnt(1)
	v_fma_f32 v51, v55, v62, 0
	v_fmac_f32_e32 v51, v61, v63
	s_waitcnt lgkmcnt(0)
	v_fmac_f32_e32 v51, v58, v52
	v_fmac_f32_e32 v51, v59, v53
	v_add_f32_e32 v52, 0x358637bd, v51
	v_div_scale_f32 v53, s[4:5], v52, v52, 1.0
	v_rcp_f32_e32 v62, v53
	s_barrier
	v_fma_f32 v63, -v53, v62, 1.0
	v_fmac_f32_e32 v62, v63, v62
	v_div_scale_f32 v63, vcc, 1.0, v52, 1.0
	v_mul_f32_e32 v64, v63, v62
	v_fma_f32 v65, -v53, v64, v63
	v_fmac_f32_e32 v64, v65, v62
	v_fma_f32 v53, -v53, v64, v63
	v_div_fmas_f32 v53, v53, v62, v64
	v_cmp_eq_u32_e32 vcc, 1, v57
	v_div_fixup_f32 v52, v53, v52, 1.0
	s_nop 0
	v_cndmask_b32_e32 v53, v55, v61, vcc
	v_cmp_eq_u32_e32 vcc, 2, v57
	s_nop 1
	v_cndmask_b32_e32 v53, v53, v58, vcc
	v_cmp_eq_u32_e32 vcc, 3, v57
	s_nop 1
	v_cndmask_b32_e32 v53, v53, v59, vcc
	v_mul_f32_e32 v52, v53, v52
	v_pk_mul_f32 v[46:47], v[52:53], v[46:47] op_sel_hi:[0,1]
	v_pk_mul_f32 v[36:37], v[52:53], v[36:37] op_sel_hi:[0,1]
	v_cvt_f16_f32_e32 v53, v46
	v_cvt_f16_f32_e32 v36, v36
	;; [unrolled: 1-line block ×4, first 2 shown]
	v_pk_mul_f32 v[48:49], v[52:53], v[48:49] op_sel_hi:[0,1]
	v_pk_mul_f32 v[38:39], v[52:53], v[38:39] op_sel_hi:[0,1]
	v_cvt_f16_f32_e32 v38, v38
	v_cvt_f16_f32_e32 v39, v39
	;; [unrolled: 1-line block ×4, first 2 shown]
	v_pack_b32_f16 v46, v36, v37
	v_pack_b32_f16 v47, v53, v47
	v_lshlrev_b32_e32 v37, 3, v1
	v_lshlrev_b32_e32 v36, 5, v56
	;; [unrolled: 1-line block ×3, first 2 shown]
	v_or3_b32 v55, v53, v36, v37
	v_pack_b32_f16 v38, v38, v39
	v_pack_b32_f16 v39, v48, v49
	ds_write2st64_b64 v55, v[46:47], v[38:39] offset1:1
	v_pk_mul_f32 v[38:39], v[52:53], v[44:45] op_sel_hi:[0,1]
	v_pk_mul_f32 v[42:43], v[52:53], v[42:43] op_sel_hi:[0,1]
	v_cvt_f16_f32_e32 v37, v42
	v_cvt_f16_f32_e32 v42, v43
	;; [unrolled: 1-line block ×4, first 2 shown]
	v_pk_mul_f32 v[34:35], v[52:53], v[34:35] op_sel_hi:[0,1]
	v_pk_mul_f32 v[38:39], v[52:53], v[40:41] op_sel_hi:[0,1]
	v_cvt_f16_f32_e32 v38, v38
	v_cvt_f16_f32_e32 v39, v39
	;; [unrolled: 1-line block ×4, first 2 shown]
	v_pack_b32_f16 v34, v37, v42
	v_pack_b32_f16 v35, v43, v44
	;; [unrolled: 1-line block ×4, first 2 shown]
	v_cmp_gt_u32_e32 vcc, 12, v0
	ds_write2st64_b64 v55, v[34:35], v[38:39] offset0:2 offset1:3
	s_and_saveexec_b64 s[4:5], vcc
	s_cbranch_execz .LBB1039_15
; %bb.14:
	s_mov_b32 s49, 0
	v_mov_b32_e32 v57, 0
	v_lshl_add_u64 v[34:35], s[48:49], 0, v[56:57]
	v_mov_b32_e32 v37, s7
	v_mad_u64_u32 v[34:35], s[12:13], s2, v37, v[34:35]
	s_mul_i32 s3, s3, s7
	v_mov_b32_e32 v38, s22
	v_mov_b32_e32 v39, v57
	s_load_dwordx4 s[8:11], s[0:1], 0x58
	v_add_u32_e32 v37, s3, v35
	v_mad_u64_u32 v[34:35], s[12:13], v34, s6, v[38:39]
	v_mov_b32_e32 v38, v35
	v_mad_u64_u32 v[38:39], s[12:13], v37, s6, v[38:39]
	v_mov_b32_e32 v35, v38
	v_lshlrev_b64 v[34:35], 2, v[34:35]
	s_waitcnt lgkmcnt(0)
	v_lshl_add_u64 v[38:39], s[10:11], 0, v[34:35]
	v_lshl_add_u64 v[34:35], s[8:9], 0, v[34:35]
	global_store_dword v[38:39], v50, off
	global_store_dword v[34:35], v51, off
.LBB1039_15:
	s_or_b64 exec, exec, s[4:5]
	s_waitcnt vmcnt(7)
	v_cvt_pk_f32_fp8_e32 v[34:35], v30
	v_lshl_or_b32 v50, v1, 9, v36
	v_cvt_pk_f32_fp8_sdwa v[36:37], v30 src0_sel:WORD_1
	s_waitcnt lgkmcnt(0)
	s_barrier
	v_cvt_pk_f32_fp8_e32 v[38:39], v31
	v_cvt_pkrtz_f16_f32 v30, v34, v35
	v_cvt_pk_f32_fp8_sdwa v[40:41], v31 src0_sel:WORD_1
	v_cvt_pkrtz_f16_f32 v31, v36, v37
	ds_read_b128 v[34:37], v50
	v_cvt_pkrtz_f16_f32 v46, v38, v39
	v_cvt_pkrtz_f16_f32 v47, v40, v41
	ds_read_b128 v[38:41], v50 offset:16
	v_cvt_pk_f32_fp8_e32 v[48:49], v32
	v_cvt_pk_f32_fp8_sdwa v[52:53], v32 src0_sel:WORD_1
	s_waitcnt lgkmcnt(1)
	v_mfma_f32_16x16x16_f16 v[42:45], v[30:31], v[34:35], 0
	s_waitcnt vmcnt(6)
	v_cvt_pk_f32_fp8_e32 v[58:59], v24
	v_cvt_pkrtz_f16_f32 v30, v48, v49
	v_cvt_pkrtz_f16_f32 v31, v52, v53
	v_cvt_pk_f32_fp8_e32 v[48:49], v33
	v_mfma_f32_16x16x16_f16 v[42:45], v[46:47], v[36:37], v[42:45]
	v_cvt_pk_f32_fp8_sdwa v[46:47], v33 src0_sel:WORD_1
	v_cvt_pk_f32_fp8_sdwa v[62:63], v24 src0_sel:WORD_1
	v_cvt_pkrtz_f16_f32 v48, v48, v49
	s_waitcnt lgkmcnt(0)
	v_mfma_f32_16x16x16_f16 v[30:33], v[30:31], v[38:39], v[42:45]
	v_cvt_pkrtz_f16_f32 v49, v46, v47
	s_waitcnt vmcnt(5)
	v_cvt_pk_f32_fp8_sdwa v[66:67], v12 src0_sel:WORD_1
	s_waitcnt vmcnt(4)
	v_cvt_pk_f32_fp8_sdwa v[68:69], v4 src0_sel:WORD_1
	v_cvt_pk_f32_fp8_e32 v[42:43], v22
	v_mfma_f32_16x16x16_f16 v[46:49], v[48:49], v[40:41], v[30:33]
	s_waitcnt vmcnt(3)
	v_cvt_pk_f32_fp8_sdwa v[70:71], v28 src0_sel:WORD_1
	s_load_dword s4, s[42:43], 0x0
	v_cvt_pk_f32_fp8_sdwa v[30:31], v22 src0_sel:WORD_1
	v_cvt_pk_f32_fp8_e32 v[32:33], v23
	v_cvt_pkrtz_f16_f32 v22, v42, v43
	v_cvt_pk_f32_fp8_sdwa v[42:43], v23 src0_sel:WORD_1
	v_cvt_pkrtz_f16_f32 v23, v30, v31
	v_cvt_pkrtz_f16_f32 v52, v32, v33
	ds_read_b128 v[30:33], v50 offset:2048
	v_cvt_pkrtz_f16_f32 v53, v42, v43
	ds_read_b128 v[42:45], v50 offset:2064
	s_waitcnt lgkmcnt(0)
	v_mfma_f32_16x16x16_f16 v[46:49], v[22:23], v[30:31], v[46:49]
	v_cvt_pkrtz_f16_f32 v22, v58, v59
	v_cvt_pkrtz_f16_f32 v23, v62, v63
	v_cvt_pk_f32_fp8_e32 v[58:59], v25
	v_mfma_f32_16x16x16_f16 v[46:49], v[52:53], v[32:33], v[46:49]
	v_cvt_pk_f32_fp8_sdwa v[52:53], v25 src0_sel:WORD_1
	s_mov_b32 s3, 0
	v_cvt_pkrtz_f16_f32 v58, v58, v59
	v_mfma_f32_16x16x16_f16 v[22:25], v[22:23], v[42:43], v[46:49]
	v_cvt_pkrtz_f16_f32 v59, v52, v53
	v_cmp_gt_u32_e32 vcc, 64, v0
	s_nop 0
	v_cvt_pk_f32_fp8_e32 v[46:47], v10
	v_mfma_f32_16x16x16_f16 v[62:65], v[58:59], v[44:45], v[22:25]
	v_cvt_pk_f32_fp8_e32 v[58:59], v12
	s_nop 1
	v_cvt_pk_f32_fp8_sdwa v[22:23], v10 src0_sel:WORD_1
	v_cvt_pk_f32_fp8_e32 v[24:25], v11
	v_cvt_pkrtz_f16_f32 v10, v46, v47
	v_cvt_pk_f32_fp8_sdwa v[46:47], v11 src0_sel:WORD_1
	v_cvt_pkrtz_f16_f32 v11, v22, v23
	v_cvt_pkrtz_f16_f32 v52, v24, v25
	ds_read_b128 v[22:25], v50 offset:4096
	v_cvt_pkrtz_f16_f32 v53, v46, v47
	ds_read_b128 v[46:49], v50 offset:4112
	s_waitcnt lgkmcnt(1)
	v_mfma_f32_16x16x16_f16 v[62:65], v[10:11], v[22:23], v[62:65]
	v_cvt_pkrtz_f16_f32 v10, v58, v59
	v_cvt_pkrtz_f16_f32 v11, v66, v67
	v_cvt_pk_f32_fp8_e32 v[58:59], v13
	v_mfma_f32_16x16x16_f16 v[62:65], v[52:53], v[24:25], v[62:65]
	v_cvt_pk_f32_fp8_sdwa v[52:53], v13 src0_sel:WORD_1
	v_cvt_pk_f32_fp8_e32 v[66:67], v4
	v_cvt_pkrtz_f16_f32 v58, v58, v59
	s_waitcnt lgkmcnt(0)
	v_mfma_f32_16x16x16_f16 v[10:13], v[10:11], v[46:47], v[62:65]
	v_cvt_pkrtz_f16_f32 v59, v52, v53
	v_cvt_pk_f32_fp8_e32 v[52:53], v2
	s_nop 0
	v_mfma_f32_16x16x16_f16 v[62:65], v[58:59], v[48:49], v[10:13]
	s_nop 2
	v_cvt_pk_f32_fp8_sdwa v[10:11], v2 src0_sel:WORD_1
	v_cvt_pk_f32_fp8_e32 v[12:13], v3
	v_cvt_pkrtz_f16_f32 v2, v52, v53
	v_cvt_pk_f32_fp8_sdwa v[52:53], v3 src0_sel:WORD_1
	v_cvt_pkrtz_f16_f32 v3, v10, v11
	v_cvt_pkrtz_f16_f32 v58, v12, v13
	ds_read_b128 v[10:13], v50 offset:6144
	v_cvt_pkrtz_f16_f32 v59, v52, v53
	s_waitcnt lgkmcnt(0)
	v_mfma_f32_16x16x16_f16 v[62:65], v[2:3], v[10:11], v[62:65]
	ds_read_b128 v[50:53], v50 offset:6160
	v_cvt_pkrtz_f16_f32 v2, v66, v67
	v_cvt_pkrtz_f16_f32 v3, v68, v69
	v_cvt_pk_f32_fp8_e32 v[66:67], v5
	v_mfma_f32_16x16x16_f16 v[62:65], v[58:59], v[12:13], v[62:65]
	v_cvt_pk_f32_fp8_sdwa v[58:59], v5 src0_sel:WORD_1
	v_cvt_pk_f32_fp8_e32 v[68:69], v28
	v_cvt_pkrtz_f16_f32 v66, v66, v67
	s_waitcnt lgkmcnt(0)
	v_mfma_f32_16x16x16_f16 v[2:5], v[2:3], v[50:51], v[62:65]
	v_cvt_pkrtz_f16_f32 v67, v58, v59
	v_cvt_pk_f32_fp8_e32 v[58:59], v26
	s_nop 0
	v_cvt_pk_f32_fp8_sdwa v[62:63], v26 src0_sel:WORD_1
	v_cvt_pk_f32_fp8_e32 v[64:65], v27
	v_cvt_pkrtz_f16_f32 v58, v58, v59
	v_cvt_pk_f32_fp8_sdwa v[26:27], v27 src0_sel:WORD_1
	v_cvt_pkrtz_f16_f32 v59, v62, v63
	v_mfma_f32_16x16x16_f16 v[2:5], v[66:67], v[52:53], v[2:5]
	v_cvt_pkrtz_f16_f32 v66, v64, v65
	v_cvt_pkrtz_f16_f32 v67, v26, v27
	;; [unrolled: 1-line block ×3, first 2 shown]
	v_mfma_f32_16x16x16_f16 v[62:65], v[58:59], v[34:35], 0
	v_cvt_pkrtz_f16_f32 v27, v70, v71
	v_cvt_pk_f32_fp8_e32 v[58:59], v29
	s_barrier
	v_mfma_f32_16x16x16_f16 v[34:37], v[66:67], v[36:37], v[62:65]
	v_cvt_pkrtz_f16_f32 v58, v58, v59
	s_nop 1
	v_cvt_pk_f32_fp8_sdwa v[62:63], v29 src0_sel:WORD_1
	v_mfma_f32_16x16x16_f16 v[26:29], v[26:27], v[38:39], v[34:37]
	s_waitcnt vmcnt(2)
	v_cvt_pk_f32_fp8_e32 v[38:39], v19
	v_cvt_pkrtz_f16_f32 v59, v62, v63
	v_cvt_pk_f32_fp8_e32 v[34:35], v18
	v_cvt_pk_f32_fp8_sdwa v[36:37], v18 src0_sel:WORD_1
	v_cvt_pk_f32_fp8_sdwa v[18:19], v19 src0_sel:WORD_1
	v_mfma_f32_16x16x16_f16 v[26:29], v[58:59], v[40:41], v[26:29]
	v_cvt_pkrtz_f16_f32 v34, v34, v35
	v_cvt_pkrtz_f16_f32 v35, v36, v37
	;; [unrolled: 1-line block ×3, first 2 shown]
	v_cvt_pk_f32_fp8_e32 v[38:39], v20
	v_cvt_pk_f32_fp8_sdwa v[40:41], v20 src0_sel:WORD_1
	v_cvt_pkrtz_f16_f32 v37, v18, v19
	v_mfma_f32_16x16x16_f16 v[26:29], v[34:35], v[30:31], v[26:29]
	v_cvt_pkrtz_f16_f32 v30, v38, v39
	v_cvt_pkrtz_f16_f32 v31, v40, v41
	v_cvt_pk_f32_fp8_e32 v[34:35], v21
	v_cvt_pk_f32_fp8_sdwa v[38:39], v21 src0_sel:WORD_1
	v_mfma_f32_16x16x16_f16 v[18:21], v[36:37], v[32:33], v[26:29]
	s_waitcnt vmcnt(1)
	v_cvt_pk_f32_fp8_sdwa v[32:33], v16 src0_sel:WORD_1
	s_nop 0
	v_cvt_pkrtz_f16_f32 v26, v34, v35
	v_cvt_pkrtz_f16_f32 v27, v38, v39
	v_mfma_f32_16x16x16_f16 v[18:21], v[30:31], v[42:43], v[18:21]
	v_cvt_pk_f32_fp8_e32 v[28:29], v14
	v_cvt_pk_f32_fp8_sdwa v[30:31], v14 src0_sel:WORD_1
	v_cvt_pkrtz_f16_f32 v28, v28, v29
	v_mfma_f32_16x16x16_f16 v[18:21], v[26:27], v[44:45], v[18:21]
	v_cvt_pk_f32_fp8_e32 v[26:27], v15
	v_cvt_pkrtz_f16_f32 v29, v30, v31
	v_cvt_pk_f32_fp8_sdwa v[14:15], v15 src0_sel:WORD_1
	v_cvt_pk_f32_fp8_e32 v[30:31], v16
	v_cvt_pkrtz_f16_f32 v26, v26, v27
	v_mfma_f32_16x16x16_f16 v[18:21], v[28:29], v[22:23], v[18:21]
	v_cvt_pkrtz_f16_f32 v27, v14, v15
	v_cvt_pkrtz_f16_f32 v22, v30, v31
	;; [unrolled: 1-line block ×3, first 2 shown]
	v_cvt_pk_f32_fp8_e32 v[28:29], v17
	v_cvt_pk_f32_fp8_sdwa v[30:31], v17 src0_sel:WORD_1
	v_mfma_f32_16x16x16_f16 v[14:17], v[26:27], v[24:25], v[18:21]
	s_waitcnt vmcnt(0)
	v_cvt_pk_f32_fp8_sdwa v[24:25], v6 src0_sel:WORD_1
	s_nop 0
	v_pk_mul_f32 v[18:19], v[4:5], s[4:5] op_sel_hi:[1,0]
	v_cvt_pkrtz_f16_f32 v4, v28, v29
	v_cvt_pkrtz_f16_f32 v5, v30, v31
	v_mfma_f32_16x16x16_f16 v[14:17], v[22:23], v[46:47], v[14:17]
	v_cvt_pk_f32_fp8_e32 v[22:23], v6
	v_pk_mul_f32 v[20:21], v[2:3], s[4:5] op_sel_hi:[1,0]
	v_mfma_f32_16x16x16_f16 v[2:5], v[4:5], v[48:49], v[14:17]
	s_nop 3
	v_cvt_pk_f32_fp8_e32 v[14:15], v7
	v_cvt_pkrtz_f16_f32 v16, v22, v23
	v_cvt_pkrtz_f16_f32 v17, v24, v25
	v_cvt_pk_f32_fp8_sdwa v[6:7], v7 src0_sel:WORD_1
	v_cvt_pkrtz_f16_f32 v14, v14, v15
	v_cvt_pk_f32_fp8_e32 v[22:23], v8
	v_cvt_pk_f32_fp8_sdwa v[24:25], v8 src0_sel:WORD_1
	v_cvt_pkrtz_f16_f32 v15, v6, v7
	v_mfma_f32_16x16x16_f16 v[2:5], v[16:17], v[10:11], v[2:5]
	v_cvt_pkrtz_f16_f32 v6, v22, v23
	v_cvt_pkrtz_f16_f32 v7, v24, v25
	v_cvt_pk_f32_fp8_e32 v[10:11], v9
	v_cvt_pk_f32_fp8_sdwa v[8:9], v9 src0_sel:WORD_1
	v_mfma_f32_16x16x16_f16 v[2:5], v[14:15], v[12:13], v[2:5]
	v_cvt_f16_f32_e32 v12, v20
	v_cvt_pkrtz_f16_f32 v10, v10, v11
	v_cvt_pkrtz_f16_f32 v11, v8, v9
	v_mfma_f32_16x16x16_f16 v[2:5], v[6:7], v[50:51], v[2:5]
	v_cvt_f16_f32_e32 v6, v21
	v_cvt_f16_f32_e32 v7, v18
	;; [unrolled: 1-line block ×3, first 2 shown]
	v_mfma_f32_16x16x16_f16 v[2:5], v[10:11], v[52:53], v[2:5]
	s_nop 6
	v_pk_mul_f32 v[4:5], v[4:5], s[4:5] op_sel_hi:[1,0]
	v_pk_mul_f32 v[2:3], v[2:3], s[4:5] op_sel_hi:[1,0]
	v_cvt_f16_f32_e32 v11, v4
	v_cvt_f16_f32_e32 v9, v2
	;; [unrolled: 1-line block ×4, first 2 shown]
	v_pack_b32_f16 v2, v12, v6
	v_pack_b32_f16 v3, v7, v8
	;; [unrolled: 1-line block ×4, first 2 shown]
	ds_write2st64_b64 v55, v[2:3], v[4:5] offset1:1
	s_waitcnt lgkmcnt(0)
	s_barrier
	s_and_saveexec_b64 s[4:5], vcc
	s_cbranch_execz .LBB1039_17
; %bb.16:
	s_load_dwordx2 s[0:1], s[0:1], 0x68
	s_lshl_b32 s6, s6, 7
	s_mul_i32 s2, s7, s2
	s_mul_hi_u32 s5, s2, s6
	s_mul_i32 s4, s2, s6
	s_lshl_b64 s[4:5], s[4:5], 1
	v_lshlrev_b32_e32 v4, 6, v56
	s_waitcnt lgkmcnt(0)
	s_add_u32 s4, s0, s4
	v_lshl_or_b32 v0, v0, 10, v4
	s_addc_u32 s5, s1, s5
	s_lshl_b32 s2, s22, 7
	v_lshlrev_b32_e32 v2, 5, v1
	v_and_b32_e32 v3, 16, v60
	v_and_b32_e32 v0, 0x1a00, v0
	s_lshl_b64 s[0:1], s[2:3], 1
	v_or3_b32 v0, v0, v2, v3
	s_add_u32 s0, s4, s0
	ds_read_b128 v[2:5], v0
	ds_read_b128 v[6:9], v0 offset:128
	ds_read_b128 v[10:13], v0 offset:256
	s_addc_u32 s1, s5, s1
	v_or_b32_e32 v16, s48, v1
	v_mov_b32_e32 v55, 0
	v_lshl_add_u64 v[0:1], s[0:1], 0, v[54:55]
	v_mad_u64_u32 v[14:15], s[0:1], v16, s6, 0
	v_lshl_add_u64 v[14:15], v[14:15], 1, v[0:1]
	s_waitcnt lgkmcnt(2)
	global_store_dwordx4 v[14:15], v[2:5], off
	s_nop 1
	v_add_u32_e32 v2, 4, v16
	v_mad_u64_u32 v[2:3], s[0:1], v2, s6, 0
	v_lshl_add_u64 v[2:3], v[2:3], 1, v[0:1]
	s_waitcnt lgkmcnt(1)
	global_store_dwordx4 v[2:3], v[6:9], off
	v_add_u32_e32 v2, 8, v16
	v_mad_u64_u32 v[2:3], s[0:1], v2, s6, 0
	v_lshl_add_u64 v[0:1], v[2:3], 1, v[0:1]
	s_waitcnt lgkmcnt(0)
	global_store_dwordx4 v[0:1], v[10:13], off
.LBB1039_17:
	s_endpgm
	.section	.rodata,"a",@progbits
	.p2align	6, 0x0
	.amdhsa_kernel _Z39paged_attention_ll4mi_QKV_mfma16_kernelIDF16_hLN4vllm18Fp8KVCacheDataTypeE1EhLi32ELi128ELi256ELb0ELi12EEvPKT_PKT0_S7_ifPKiS9_S9_iPKfiiiPfSC_PS2_PT2_iSB_SB_
		.amdhsa_group_segment_fixed_size 8192
		.amdhsa_private_segment_fixed_size 0
		.amdhsa_kernarg_size 400
		.amdhsa_user_sgpr_count 2
		.amdhsa_user_sgpr_dispatch_ptr 0
		.amdhsa_user_sgpr_queue_ptr 0
		.amdhsa_user_sgpr_kernarg_segment_ptr 1
		.amdhsa_user_sgpr_dispatch_id 0
		.amdhsa_user_sgpr_kernarg_preload_length 0
		.amdhsa_user_sgpr_kernarg_preload_offset 0
		.amdhsa_user_sgpr_private_segment_size 0
		.amdhsa_uses_dynamic_stack 0
		.amdhsa_enable_private_segment 0
		.amdhsa_system_sgpr_workgroup_id_x 1
		.amdhsa_system_sgpr_workgroup_id_y 1
		.amdhsa_system_sgpr_workgroup_id_z 1
		.amdhsa_system_sgpr_workgroup_info 0
		.amdhsa_system_vgpr_workitem_id 0
		.amdhsa_next_free_vgpr 80
		.amdhsa_next_free_sgpr 50
		.amdhsa_accum_offset 80
		.amdhsa_reserve_vcc 1
		.amdhsa_float_round_mode_32 0
		.amdhsa_float_round_mode_16_64 0
		.amdhsa_float_denorm_mode_32 3
		.amdhsa_float_denorm_mode_16_64 3
		.amdhsa_dx10_clamp 1
		.amdhsa_ieee_mode 1
		.amdhsa_fp16_overflow 0
		.amdhsa_tg_split 0
		.amdhsa_exception_fp_ieee_invalid_op 0
		.amdhsa_exception_fp_denorm_src 0
		.amdhsa_exception_fp_ieee_div_zero 0
		.amdhsa_exception_fp_ieee_overflow 0
		.amdhsa_exception_fp_ieee_underflow 0
		.amdhsa_exception_fp_ieee_inexact 0
		.amdhsa_exception_int_div_zero 0
	.end_amdhsa_kernel
	.section	.text._Z39paged_attention_ll4mi_QKV_mfma16_kernelIDF16_hLN4vllm18Fp8KVCacheDataTypeE1EhLi32ELi128ELi256ELb0ELi12EEvPKT_PKT0_S7_ifPKiS9_S9_iPKfiiiPfSC_PS2_PT2_iSB_SB_,"axG",@progbits,_Z39paged_attention_ll4mi_QKV_mfma16_kernelIDF16_hLN4vllm18Fp8KVCacheDataTypeE1EhLi32ELi128ELi256ELb0ELi12EEvPKT_PKT0_S7_ifPKiS9_S9_iPKfiiiPfSC_PS2_PT2_iSB_SB_,comdat
.Lfunc_end1039:
	.size	_Z39paged_attention_ll4mi_QKV_mfma16_kernelIDF16_hLN4vllm18Fp8KVCacheDataTypeE1EhLi32ELi128ELi256ELb0ELi12EEvPKT_PKT0_S7_ifPKiS9_S9_iPKfiiiPfSC_PS2_PT2_iSB_SB_, .Lfunc_end1039-_Z39paged_attention_ll4mi_QKV_mfma16_kernelIDF16_hLN4vllm18Fp8KVCacheDataTypeE1EhLi32ELi128ELi256ELb0ELi12EEvPKT_PKT0_S7_ifPKiS9_S9_iPKfiiiPfSC_PS2_PT2_iSB_SB_
                                        ; -- End function
	.section	.AMDGPU.csdata,"",@progbits
; Kernel info:
; codeLenInByte = 6092
; NumSgprs: 56
; NumVgprs: 80
; NumAgprs: 0
; TotalNumVgprs: 80
; ScratchSize: 0
; MemoryBound: 0
; FloatMode: 240
; IeeeMode: 1
; LDSByteSize: 8192 bytes/workgroup (compile time only)
; SGPRBlocks: 6
; VGPRBlocks: 9
; NumSGPRsForWavesPerEU: 56
; NumVGPRsForWavesPerEU: 80
; AccumOffset: 80
; Occupancy: 6
; WaveLimiterHint : 1
; COMPUTE_PGM_RSRC2:SCRATCH_EN: 0
; COMPUTE_PGM_RSRC2:USER_SGPR: 2
; COMPUTE_PGM_RSRC2:TRAP_HANDLER: 0
; COMPUTE_PGM_RSRC2:TGID_X_EN: 1
; COMPUTE_PGM_RSRC2:TGID_Y_EN: 1
; COMPUTE_PGM_RSRC2:TGID_Z_EN: 1
; COMPUTE_PGM_RSRC2:TIDIG_COMP_CNT: 0
; COMPUTE_PGM_RSRC3_GFX90A:ACCUM_OFFSET: 19
; COMPUTE_PGM_RSRC3_GFX90A:TG_SPLIT: 0
	.section	.text._Z39paged_attention_ll4mi_QKV_mfma16_kernelIDF16_hLN4vllm18Fp8KVCacheDataTypeE1EhLi32ELi128ELi256ELb0ELi13EEvPKT_PKT0_S7_ifPKiS9_S9_iPKfiiiPfSC_PS2_PT2_iSB_SB_,"axG",@progbits,_Z39paged_attention_ll4mi_QKV_mfma16_kernelIDF16_hLN4vllm18Fp8KVCacheDataTypeE1EhLi32ELi128ELi256ELb0ELi13EEvPKT_PKT0_S7_ifPKiS9_S9_iPKfiiiPfSC_PS2_PT2_iSB_SB_,comdat
	.protected	_Z39paged_attention_ll4mi_QKV_mfma16_kernelIDF16_hLN4vllm18Fp8KVCacheDataTypeE1EhLi32ELi128ELi256ELb0ELi13EEvPKT_PKT0_S7_ifPKiS9_S9_iPKfiiiPfSC_PS2_PT2_iSB_SB_ ; -- Begin function _Z39paged_attention_ll4mi_QKV_mfma16_kernelIDF16_hLN4vllm18Fp8KVCacheDataTypeE1EhLi32ELi128ELi256ELb0ELi13EEvPKT_PKT0_S7_ifPKiS9_S9_iPKfiiiPfSC_PS2_PT2_iSB_SB_
	.globl	_Z39paged_attention_ll4mi_QKV_mfma16_kernelIDF16_hLN4vllm18Fp8KVCacheDataTypeE1EhLi32ELi128ELi256ELb0ELi13EEvPKT_PKT0_S7_ifPKiS9_S9_iPKfiiiPfSC_PS2_PT2_iSB_SB_
	.p2align	8
	.type	_Z39paged_attention_ll4mi_QKV_mfma16_kernelIDF16_hLN4vllm18Fp8KVCacheDataTypeE1EhLi32ELi128ELi256ELb0ELi13EEvPKT_PKT0_S7_ifPKiS9_S9_iPKfiiiPfSC_PS2_PT2_iSB_SB_,@function
_Z39paged_attention_ll4mi_QKV_mfma16_kernelIDF16_hLN4vllm18Fp8KVCacheDataTypeE1EhLi32ELi128ELi256ELb0ELi13EEvPKT_PKT0_S7_ifPKiS9_S9_iPKfiiiPfSC_PS2_PT2_iSB_SB_: ; @_Z39paged_attention_ll4mi_QKV_mfma16_kernelIDF16_hLN4vllm18Fp8KVCacheDataTypeE1EhLi32ELi128ELi256ELb0ELi13EEvPKT_PKT0_S7_ifPKiS9_S9_iPKfiiiPfSC_PS2_PT2_iSB_SB_
; %bb.0:
	s_load_dwordx2 s[12:13], s[0:1], 0x30
	s_mov_b32 s22, s3
	s_mov_b64 s[6:7], 0
	s_waitcnt lgkmcnt(0)
	s_cmp_lg_u64 s[12:13], 0
	s_cselect_b64 s[14:15], -1, 0
	s_and_b64 vcc, exec, s[14:15]
	s_cbranch_vccz .LBB1040_7
; %bb.1:
	s_add_i32 s8, s2, 1
	s_mov_b32 s9, 0
	s_lshl_b64 s[10:11], s[8:9], 2
	s_add_u32 s10, s12, s10
	s_mov_b32 s3, s9
	s_addc_u32 s11, s13, s11
	s_lshl_b64 s[8:9], s[2:3], 2
	s_add_u32 s8, s12, s8
	s_addc_u32 s9, s13, s9
	s_load_dword s5, s[10:11], 0x0
	s_load_dword s16, s[8:9], 0x0
	s_waitcnt lgkmcnt(0)
	s_sub_i32 s5, s5, s16
	s_cmp_eq_u32 s5, 1
	s_cselect_b64 s[8:9], -1, 0
	s_andn2_b64 vcc, exec, s[6:7]
	s_cbranch_vccnz .LBB1040_3
.LBB1040_2:
	s_mov_b32 s3, 0
	s_mov_b64 s[8:9], -1
.LBB1040_3:
	s_andn2_b64 vcc, exec, s[8:9]
	s_cbranch_vccnz .LBB1040_18
; %bb.4:
	s_load_dwordx2 s[6:7], s[0:1], 0x28
	s_lshl_b64 s[16:17], s[2:3], 2
	s_waitcnt lgkmcnt(0)
	s_add_u32 s6, s6, s16
	s_addc_u32 s7, s7, s17
	s_load_dword s5, s[6:7], 0x0
	s_lshl_b32 s18, s22, 8
	s_waitcnt lgkmcnt(0)
	s_cmp_ge_i32 s18, s5
	s_cbranch_scc1 .LBB1040_18
; %bb.5:
	s_load_dwordx2 s[6:7], s[0:1], 0x20
	s_load_dword s8, s[0:1], 0x38
	s_add_i32 s9, s5, 31
	s_ashr_i32 s10, s9, 31
	v_and_b32_e32 v1, 0xcf, v0
	s_lshr_b32 s10, s10, 27
	v_add_u32_e32 v1, s18, v1
	s_add_i32 s9, s9, s10
	v_ashrrev_i32_e32 v2, 31, v1
	s_ashr_i32 s19, s9, 5
	v_lshrrev_b32_e32 v6, 27, v2
	s_add_i32 s19, s19, -1
	s_waitcnt lgkmcnt(0)
	s_mul_i32 s8, s2, s8
	s_mov_b32 s9, 0
	v_add_u32_e32 v2, v1, v6
	s_lshl_b64 s[8:9], s[8:9], 2
	v_ashrrev_i32_e32 v2, 5, v2
	v_mov_b32_e32 v7, s19
	v_cmp_gt_i32_e32 vcc, s5, v1
	s_add_u32 s6, s6, s8
	s_addc_u32 s7, s7, s9
	v_cndmask_b32_e32 v2, v7, v2, vcc
	v_ashrrev_i32_e32 v3, 31, v2
	v_lshl_add_u64 v[4:5], v[2:3], 2, s[6:7]
	v_or_b32_e32 v2, 16, v1
	v_add_u32_e32 v3, v2, v6
	v_ashrrev_i32_e32 v3, 5, v3
	v_cmp_gt_i32_e32 vcc, s5, v2
	s_load_dwordx4 s[8:11], s[0:1], 0x8
	s_nop 0
	v_cndmask_b32_e32 v2, v7, v3, vcc
	v_ashrrev_i32_e32 v3, 31, v2
	v_lshl_add_u64 v[8:9], v[2:3], 2, s[6:7]
	v_or_b32_e32 v2, 32, v1
	v_add_u32_e32 v3, v2, v6
	v_ashrrev_i32_e32 v3, 5, v3
	v_cmp_gt_i32_e32 vcc, s5, v2
	v_or_b32_e32 v1, 48, v1
	s_nop 0
	v_cndmask_b32_e32 v2, v7, v3, vcc
	v_ashrrev_i32_e32 v3, 31, v2
	v_lshl_add_u64 v[10:11], v[2:3], 2, s[6:7]
	v_add_u32_e32 v2, v1, v6
	v_ashrrev_i32_e32 v2, 5, v2
	v_cmp_gt_i32_e32 vcc, s5, v1
	s_nop 1
	v_cndmask_b32_e32 v2, v7, v2, vcc
	v_ashrrev_i32_e32 v3, 31, v2
	v_lshl_add_u64 v[12:13], v[2:3], 2, s[6:7]
	global_load_dword v2, v[4:5], off
	global_load_dword v6, v[8:9], off
	;; [unrolled: 1-line block ×4, first 2 shown]
	s_andn2_b64 vcc, exec, s[14:15]
	s_cbranch_vccnz .LBB1040_8
; %bb.6:
	s_add_u32 s12, s12, s16
	s_addc_u32 s13, s13, s17
	s_load_dword s14, s[12:13], 0x0
	s_branch .LBB1040_9
.LBB1040_7:
	s_mov_b64 s[8:9], 0
	s_branch .LBB1040_2
.LBB1040_8:
	s_mov_b32 s14, s2
.LBB1040_9:
	s_load_dwordx4 s[44:47], s[0:1], 0x48
	v_lshrrev_b32_e32 v57, 6, v0
	v_bfe_u32 v60, v0, 4, 2
	v_and_b32_e32 v56, 15, v0
	v_lshl_or_b32 v3, v57, 2, v60
	v_lshlrev_b32_e32 v1, 3, v56
	v_and_b32_e32 v61, 63, v0
	s_mul_i32 s48, s4, 13
	v_cmp_gt_u32_e32 vcc, 13, v3
	v_lshlrev_b32_e32 v54, 1, v1
	v_lshlrev_b32_e32 v1, 4, v0
	s_and_saveexec_b64 s[12:13], vcc
	s_cbranch_execz .LBB1040_11
; %bb.10:
	s_load_dwordx2 s[16:17], s[0:1], 0x0
	s_waitcnt lgkmcnt(0)
	s_ashr_i32 s15, s44, 31
	s_mul_hi_u32 s20, s14, s44
	s_mul_i32 s15, s14, s15
	s_add_i32 s15, s20, s15
	s_mul_i32 s14, s14, s44
	s_lshl_b64 s[14:15], s[14:15], 1
	s_add_u32 s14, s16, s14
	v_add_lshl_u32 v4, v3, s48, 7
	s_addc_u32 s15, s17, s15
	v_ashrrev_i32_e32 v5, 31, v4
	v_lshl_add_u64 v[4:5], v[4:5], 1, s[14:15]
	v_mov_b32_e32 v55, 0
	v_lshl_add_u64 v[4:5], v[4:5], 0, v[54:55]
	global_load_dwordx4 v[8:11], v[4:5], off
	v_lshlrev_b32_e32 v5, 8, v0
	v_lshlrev_b32_e32 v4, 8, v56
	v_and_b32_e32 v5, 0x600, v5
	s_movk_i32 s14, 0x800
	v_and_or_b32 v4, v4, s14, v5
	v_lshlrev_b32_e32 v3, 5, v3
	v_and_b32_e32 v5, 16, v1
	v_or3_b32 v3, v4, v3, v5
	s_waitcnt vmcnt(0)
	ds_write_b128 v3, v[8:11]
.LBB1040_11:
	s_or_b64 exec, exec, s[12:13]
	s_waitcnt lgkmcnt(0)
	s_mul_i32 s12, s4, s46
	s_add_u32 s8, s8, s12
	s_addc_u32 s9, s9, 0
	v_mov_b32_e32 v59, 0
	v_mov_b64_e32 v[4:5], s[8:9]
	v_and_b32_e32 v7, 48, v0
	s_waitcnt vmcnt(3)
	v_mad_i64_i32 v[8:9], s[8:9], v2, s45, v[4:5]
	v_lshlrev_b32_e32 v2, 4, v56
	v_mov_b32_e32 v3, v59
	v_lshlrev_b32_e32 v58, 5, v7
	v_lshl_add_u64 v[8:9], v[8:9], 0, v[2:3]
	v_lshl_add_u64 v[8:9], v[8:9], 0, v[58:59]
	s_load_dword s23, s[0:1], 0x98
	s_load_dwordx4 s[40:43], s[0:1], 0x80
	s_waitcnt lgkmcnt(0)
	s_barrier
	global_load_dwordx4 v[10:13], v[8:9], off
	global_load_dwordx4 v[30:33], v[8:9], off offset:2048
	v_add_u32_e32 v14, -13, v56
	v_cmp_gt_u32_e32 vcc, 13, v56
	s_ashr_i32 s8, s18, 31
	v_or_b32_e32 v24, 0x100, v2
	v_cndmask_b32_e32 v8, v14, v56, vcc
	v_mov_b32_e32 v25, v59
	s_lshr_b32 s13, s8, 27
	s_waitcnt vmcnt(4)
	v_mad_i64_i32 v[34:35], s[8:9], v6, s45, v[4:5]
	v_or_b32_e32 v39, s18, v7
	v_lshlrev_b32_e32 v7, 5, v8
	v_lshl_add_u64 v[34:35], v[34:35], 0, v[24:25]
	v_lshl_add_u32 v7, v60, 9, v7
	v_lshl_add_u64 v[34:35], v[34:35], 0, v[58:59]
	ds_read_b128 v[26:29], v7
	ds_read_b128 v[18:21], v7 offset:16
	ds_read_b128 v[14:17], v7 offset:2048
	;; [unrolled: 1-line block ×3, first 2 shown]
	global_load_dwordx4 v[46:49], v[34:35], off
	v_or_b32_e32 v41, 0x80, v39
	v_or_b32_e32 v51, 0xc0, v39
	s_waitcnt vmcnt(4)
	v_mad_i64_i32 v[36:37], s[8:9], v22, s45, v[4:5]
	s_waitcnt vmcnt(3)
	v_mad_i64_i32 v[4:5], s[8:9], v23, s45, v[4:5]
	v_add_u32_e32 v42, s13, v41
	v_add_u32_e32 v43, s13, v51
	v_lshl_add_u64 v[4:5], v[4:5], 0, v[24:25]
	v_ashrrev_i32_e32 v24, 5, v42
	v_ashrrev_i32_e32 v25, 5, v43
	global_load_dwordx4 v[42:45], v[34:35], off offset:2048
	v_or_b32_e32 v40, 64, v39
	v_add_u32_e32 v22, s13, v39
	v_mov_b32_e32 v38, s19
	v_add_u32_e32 v23, s13, v40
	v_ashrrev_i32_e32 v22, 5, v22
	v_cmp_gt_i32_e32 vcc, s5, v39
	v_ashrrev_i32_e32 v23, 5, v23
	v_lshl_add_u64 v[2:3], v[36:37], 0, v[2:3]
	v_cndmask_b32_e32 v50, v38, v22, vcc
	v_cmp_gt_i32_e32 vcc, s5, v40
	v_lshl_add_u64 v[2:3], v[2:3], 0, v[58:59]
	v_lshl_add_u64 v[36:37], v[4:5], 0, v[58:59]
	v_cndmask_b32_e32 v52, v38, v23, vcc
	v_cmp_gt_i32_e32 vcc, s5, v41
	v_ashrrev_i32_e32 v53, 31, v52
	v_lshl_add_u64 v[52:53], v[52:53], 2, s[6:7]
	v_cndmask_b32_e32 v62, v38, v24, vcc
	v_cmp_gt_i32_e32 vcc, s5, v51
	v_ashrrev_i32_e32 v51, 31, v50
	v_ashrrev_i32_e32 v63, 31, v62
	v_cndmask_b32_e32 v64, v38, v25, vcc
	global_load_dwordx4 v[22:25], v[2:3], off
	s_nop 0
	global_load_dwordx4 v[2:5], v[2:3], off offset:2048
	s_nop 0
	global_load_dwordx4 v[38:41], v[36:37], off
	s_nop 0
	global_load_dwordx4 v[34:37], v[36:37], off offset:2048
	v_ashrrev_i32_e32 v65, 31, v64
	v_lshl_add_u64 v[50:51], v[50:51], 2, s[6:7]
	v_lshl_add_u64 v[66:67], v[62:63], 2, s[6:7]
	;; [unrolled: 1-line block ×3, first 2 shown]
	global_load_dword v65, v[50:51], off
	global_load_dword v63, v[52:53], off
	;; [unrolled: 1-line block ×4, first 2 shown]
	s_add_u32 s6, s10, s12
	s_addc_u32 s7, s11, 0
	v_and_b32_e32 v58, 16, v0
	v_lshl_or_b32 v64, v57, 4, v56
	s_load_dword s4, s[0:1], 0x1c
	s_mov_b32 s33, 0xff7fffff
	s_waitcnt vmcnt(11)
	v_cvt_pk_f32_fp8_e32 v[50:51], v10
	v_cvt_pk_f32_fp8_sdwa v[52:53], v10 src0_sel:WORD_1
	v_cvt_pk_f32_fp8_e32 v[66:67], v11
	v_cvt_pk_f32_fp8_sdwa v[10:11], v11 src0_sel:WORD_1
	v_cvt_pkrtz_f16_f32 v50, v50, v51
	v_cvt_pkrtz_f16_f32 v51, v52, v53
	v_cvt_pk_f32_fp8_e32 v[68:69], v12
	v_cvt_pk_f32_fp8_sdwa v[70:71], v12 src0_sel:WORD_1
	v_cvt_pkrtz_f16_f32 v66, v66, v67
	v_cvt_pkrtz_f16_f32 v67, v10, v11
	s_waitcnt lgkmcnt(0)
	v_mfma_f32_16x16x16_f16 v[50:53], v[50:51], v[26:27], 0
	v_cvt_pk_f32_fp8_e32 v[72:73], v13
	v_cvt_pk_f32_fp8_sdwa v[74:75], v13 src0_sel:WORD_1
	v_cvt_pkrtz_f16_f32 v68, v68, v69
	v_cvt_pkrtz_f16_f32 v69, v70, v71
	v_mfma_f32_16x16x16_f16 v[10:13], v[66:67], v[28:29], v[50:53]
	s_waitcnt vmcnt(10)
	v_cvt_pk_f32_fp8_sdwa v[66:67], v30 src0_sel:WORD_1
	s_waitcnt vmcnt(6)
	v_cvt_pk_f32_fp8_sdwa v[78:79], v5 src0_sel:WORD_1
	v_cvt_pkrtz_f16_f32 v50, v72, v73
	v_cvt_pk_f32_fp8_e32 v[52:53], v30
	v_cvt_pkrtz_f16_f32 v51, v74, v75
	v_mfma_f32_16x16x16_f16 v[10:13], v[68:69], v[18:19], v[10:13]
	v_cvt_pk_f32_fp8_sdwa v[68:69], v42 src0_sel:WORD_1
	v_cvt_pkrtz_f16_f32 v52, v52, v53
	v_cvt_pkrtz_f16_f32 v53, v66, v67
	v_cvt_pk_f32_fp8_e32 v[66:67], v31
	v_cvt_pk_f32_fp8_sdwa v[30:31], v31 src0_sel:WORD_1
	v_mfma_f32_16x16x16_f16 v[10:13], v[50:51], v[20:21], v[10:13]
	v_cvt_pk_f32_fp8_e32 v[72:73], v3
	v_cvt_pkrtz_f16_f32 v50, v66, v67
	v_cvt_pkrtz_f16_f32 v51, v30, v31
	v_mfma_f32_16x16x16_f16 v[10:13], v[52:53], v[14:15], v[10:13]
	v_cvt_pk_f32_fp8_e32 v[30:31], v32
	v_cvt_pk_f32_fp8_sdwa v[52:53], v32 src0_sel:WORD_1
	v_cvt_pk_f32_fp8_sdwa v[66:67], v46 src0_sel:WORD_1
	v_mfma_f32_16x16x16_f16 v[10:13], v[50:51], v[16:17], v[10:13]
	v_cvt_pkrtz_f16_f32 v30, v30, v31
	v_cvt_pkrtz_f16_f32 v31, v52, v53
	v_cvt_pk_f32_fp8_e32 v[50:51], v33
	v_cvt_pk_f32_fp8_sdwa v[32:33], v33 src0_sel:WORD_1
	v_cvt_pk_f32_fp8_e32 v[52:53], v46
	v_mfma_f32_16x16x16_f16 v[10:13], v[30:31], v[6:7], v[10:13]
	v_cvt_pkrtz_f16_f32 v50, v50, v51
	v_cvt_pkrtz_f16_f32 v51, v32, v33
	;; [unrolled: 1-line block ×4, first 2 shown]
	v_cvt_pk_f32_fp8_e32 v[32:33], v47
	v_cvt_pk_f32_fp8_sdwa v[46:47], v47 src0_sel:WORD_1
	v_mfma_f32_16x16x16_f16 v[50:53], v[50:51], v[8:9], v[10:13]
	v_cvt_pk_f32_fp8_sdwa v[66:67], v48 src0_sel:WORD_1
	v_cvt_pkrtz_f16_f32 v32, v32, v33
	v_cvt_pkrtz_f16_f32 v33, v46, v47
	v_mfma_f32_16x16x16_f16 v[10:13], v[30:31], v[26:27], 0
	v_cvt_pk_f32_fp8_e32 v[30:31], v48
	v_lshl_add_u64 v[46:47], s[6:7], 0, v[58:59]
	v_lshlrev_b32_e32 v58, 5, v64
	v_mfma_f32_16x16x16_f16 v[10:13], v[32:33], v[28:29], v[10:13]
	v_cvt_pk_f32_fp8_e32 v[32:33], v49
	v_cvt_pkrtz_f16_f32 v30, v30, v31
	v_cvt_pkrtz_f16_f32 v31, v66, v67
	v_cvt_pk_f32_fp8_sdwa v[48:49], v49 src0_sel:WORD_1
	v_cvt_pkrtz_f16_f32 v32, v32, v33
	v_cvt_pk_f32_fp8_e32 v[66:67], v42
	v_mfma_f32_16x16x16_f16 v[10:13], v[30:31], v[18:19], v[10:13]
	v_cvt_pkrtz_f16_f32 v33, v48, v49
	v_cvt_pkrtz_f16_f32 v30, v66, v67
	;; [unrolled: 1-line block ×3, first 2 shown]
	v_cvt_pk_f32_fp8_e32 v[48:49], v43
	v_cvt_pk_f32_fp8_sdwa v[42:43], v43 src0_sel:WORD_1
	v_mfma_f32_16x16x16_f16 v[10:13], v[32:33], v[20:21], v[10:13]
	v_lshl_add_u64 v[66:67], v[46:47], 0, v[58:59]
	v_cvt_pkrtz_f16_f32 v32, v48, v49
	v_cvt_pkrtz_f16_f32 v33, v42, v43
	v_mfma_f32_16x16x16_f16 v[10:13], v[30:31], v[14:15], v[10:13]
	v_cvt_pk_f32_fp8_e32 v[30:31], v44
	v_cvt_pk_f32_fp8_sdwa v[42:43], v44 src0_sel:WORD_1
	v_cvt_pk_f32_fp8_sdwa v[48:49], v22 src0_sel:WORD_1
	v_mfma_f32_16x16x16_f16 v[10:13], v[32:33], v[16:17], v[10:13]
	v_cvt_pkrtz_f16_f32 v30, v30, v31
	v_cvt_pkrtz_f16_f32 v31, v42, v43
	v_cvt_pk_f32_fp8_e32 v[32:33], v45
	v_cvt_pk_f32_fp8_sdwa v[42:43], v45 src0_sel:WORD_1
	v_cvt_pk_f32_fp8_e32 v[44:45], v22
	v_mfma_f32_16x16x16_f16 v[10:13], v[30:31], v[6:7], v[10:13]
	v_cvt_pkrtz_f16_f32 v32, v32, v33
	v_cvt_pkrtz_f16_f32 v33, v42, v43
	;; [unrolled: 1-line block ×4, first 2 shown]
	v_cvt_pk_f32_fp8_e32 v[48:49], v23
	v_cvt_pk_f32_fp8_sdwa v[22:23], v23 src0_sel:WORD_1
	v_mfma_f32_16x16x16_f16 v[42:45], v[32:33], v[8:9], v[10:13]
	s_waitcnt vmcnt(2)
	v_mad_i64_i32 v[68:69], s[6:7], v63, s45, v[66:67]
	v_cvt_pkrtz_f16_f32 v32, v48, v49
	v_cvt_pkrtz_f16_f32 v33, v22, v23
	v_mfma_f32_16x16x16_f16 v[10:13], v[30:31], v[26:27], 0
	v_cvt_pk_f32_fp8_e32 v[22:23], v24
	v_cvt_pk_f32_fp8_sdwa v[30:31], v24 src0_sel:WORD_1
	v_mad_i64_i32 v[48:49], s[6:7], v65, s45, v[66:67]
	v_cvt_pkrtz_f16_f32 v22, v22, v23
	v_cvt_pkrtz_f16_f32 v23, v30, v31
	v_cvt_pk_f32_fp8_e32 v[30:31], v25
	v_cvt_pk_f32_fp8_sdwa v[24:25], v25 src0_sel:WORD_1
	v_mfma_f32_16x16x16_f16 v[10:13], v[32:33], v[28:29], v[10:13]
	s_waitcnt vmcnt(0)
	v_mad_i64_i32 v[74:75], s[6:7], v62, s45, v[66:67]
	v_cvt_pkrtz_f16_f32 v70, v30, v31
	v_cvt_pkrtz_f16_f32 v71, v24, v25
	v_mfma_f32_16x16x16_f16 v[10:13], v[22:23], v[18:19], v[10:13]
	global_load_dwordx4 v[30:33], v[48:49], off
	global_load_dwordx4 v[22:25], v[68:69], off
	v_cvt_pk_f32_fp8_e32 v[68:69], v2
	v_mad_i64_i32 v[48:49], s[6:7], v55, s45, v[66:67]
	v_mfma_f32_16x16x16_f16 v[10:13], v[70:71], v[20:21], v[10:13]
	v_cvt_pk_f32_fp8_sdwa v[70:71], v2 src0_sel:WORD_1
	v_cvt_pk_f32_fp8_sdwa v[2:3], v3 src0_sel:WORD_1
	v_cvt_pkrtz_f16_f32 v68, v68, v69
	v_or_b32_e32 v58, 0x800, v58
	v_cvt_pkrtz_f16_f32 v69, v70, v71
	v_cvt_pkrtz_f16_f32 v70, v72, v73
	v_cvt_pkrtz_f16_f32 v71, v2, v3
	v_cvt_pk_f32_fp8_e32 v[2:3], v4
	v_cvt_pk_f32_fp8_sdwa v[72:73], v4 src0_sel:WORD_1
	v_mfma_f32_16x16x16_f16 v[66:69], v[68:69], v[14:15], v[10:13]
	v_lshl_add_u64 v[46:47], v[46:47], 0, v[58:59]
	v_cvt_pkrtz_f16_f32 v76, v2, v3
	v_cvt_pkrtz_f16_f32 v77, v72, v73
	v_cvt_pk_f32_fp8_e32 v[72:73], v5
	v_mfma_f32_16x16x16_f16 v[66:69], v[70:71], v[16:17], v[66:69]
	global_load_dwordx4 v[10:13], v[48:49], off
	global_load_dwordx4 v[2:5], v[74:75], off
	v_cvt_pkrtz_f16_f32 v49, v78, v79
	v_cvt_pkrtz_f16_f32 v48, v72, v73
	v_mfma_f32_16x16x16_f16 v[66:69], v[76:77], v[6:7], v[66:69]
	v_cvt_pk_f32_fp8_e32 v[58:59], v38
	v_cvt_pk_f32_fp8_sdwa v[70:71], v38 src0_sel:WORD_1
	v_cvt_pk_f32_fp8_e32 v[74:75], v40
	v_mfma_f32_16x16x16_f16 v[66:69], v[48:49], v[8:9], v[66:69]
	v_cvt_pk_f32_fp8_e32 v[48:49], v39
	v_cvt_pkrtz_f16_f32 v58, v58, v59
	v_cvt_pkrtz_f16_f32 v59, v70, v71
	v_cvt_pk_f32_fp8_sdwa v[38:39], v39 src0_sel:WORD_1
	v_cvt_pkrtz_f16_f32 v48, v48, v49
	v_cvt_pk_f32_fp8_sdwa v[76:77], v40 src0_sel:WORD_1
	v_mfma_f32_16x16x16_f16 v[70:73], v[58:59], v[26:27], 0
	v_cvt_pkrtz_f16_f32 v49, v38, v39
	v_cvt_pkrtz_f16_f32 v38, v74, v75
	;; [unrolled: 1-line block ×3, first 2 shown]
	v_cvt_pk_f32_fp8_e32 v[58:59], v41
	v_cvt_pk_f32_fp8_sdwa v[40:41], v41 src0_sel:WORD_1
	v_mfma_f32_16x16x16_f16 v[26:29], v[48:49], v[28:29], v[70:73]
	s_load_dword s6, s[40:41], 0x0
	v_cvt_pkrtz_f16_f32 v48, v58, v59
	v_cvt_pkrtz_f16_f32 v49, v40, v41
	v_mfma_f32_16x16x16_f16 v[26:29], v[38:39], v[18:19], v[26:29]
	v_mov_b32_e32 v70, s4
	s_waitcnt lgkmcnt(0)
	v_mul_f32_e32 v40, s6, v70
	v_pk_mul_f32 v[38:39], v[40:41], v[52:53] op_sel_hi:[0,1]
	v_mfma_f32_16x16x16_f16 v[18:21], v[48:49], v[20:21], v[26:29]
	v_cvt_pk_f32_fp8_e32 v[48:49], v35
	v_pk_mul_f32 v[50:51], v[40:41], v[50:51] op_sel_hi:[0,1]
	v_pk_mul_f32 v[52:53], v[40:41], v[42:43] op_sel_hi:[0,1]
	v_cvt_pk_f32_fp8_e32 v[26:27], v34
	v_cvt_pk_f32_fp8_sdwa v[28:29], v34 src0_sel:WORD_1
	v_cvt_pk_f32_fp8_sdwa v[34:35], v35 src0_sel:WORD_1
	v_pk_mul_f32 v[42:43], v[40:41], v[66:67] op_sel_hi:[0,1]
	v_cvt_pkrtz_f16_f32 v26, v26, v27
	v_cvt_pkrtz_f16_f32 v27, v28, v29
	v_cvt_pkrtz_f16_f32 v28, v48, v49
	v_cvt_pkrtz_f16_f32 v29, v34, v35
	v_cvt_pk_f32_fp8_e32 v[34:35], v36
	v_cvt_pk_f32_fp8_sdwa v[48:49], v36 src0_sel:WORD_1
	v_mfma_f32_16x16x16_f16 v[18:21], v[26:27], v[14:15], v[18:21]
	v_mad_i64_i32 v[58:59], s[6:7], v65, s45, v[46:47]
	v_cvt_pkrtz_f16_f32 v26, v34, v35
	v_cvt_pkrtz_f16_f32 v27, v48, v49
	v_cvt_pk_f32_fp8_e32 v[34:35], v37
	v_cvt_pk_f32_fp8_sdwa v[36:37], v37 src0_sel:WORD_1
	v_mfma_f32_16x16x16_f16 v[14:17], v[28:29], v[16:17], v[18:21]
	v_pk_mul_f32 v[48:49], v[40:41], v[44:45] op_sel_hi:[0,1]
	v_pk_mul_f32 v[44:45], v[40:41], v[68:69] op_sel_hi:[0,1]
	s_nop 0
	v_cvt_pkrtz_f16_f32 v18, v34, v35
	v_cvt_pkrtz_f16_f32 v19, v36, v37
	v_mfma_f32_16x16x16_f16 v[14:17], v[26:27], v[6:7], v[14:17]
	s_nop 0
	v_mfma_f32_16x16x16_f16 v[6:9], v[18:19], v[8:9], v[14:17]
	s_nop 6
	v_pk_mul_f32 v[34:35], v[40:41], v[8:9] op_sel_hi:[0,1]
	v_pk_mul_f32 v[40:41], v[40:41], v[6:7] op_sel_hi:[0,1]
	v_and_b32_e32 v6, 0xc0, v0
	v_add_u32_e32 v6, s18, v6
	v_lshl_or_b32 v6, v60, 2, v6
	v_or_b32_e32 v9, 1, v6
	v_mov_b32_e32 v7, 0xff7fffff
	v_cmp_gt_i32_e64 s[24:25], s5, v6
	v_cmp_gt_i32_e64 s[26:27], s5, v9
	v_or_b32_e32 v14, 3, v6
	v_cndmask_b32_e64 v8, v7, v50, s[24:25]
	v_cndmask_b32_e64 v9, v7, v51, s[26:27]
	v_max3_f32 v8, v8, s33, v9
	v_or_b32_e32 v9, 2, v6
	v_cmp_gt_i32_e64 s[28:29], s5, v9
	v_cmp_gt_i32_e64 s[30:31], s5, v14
	s_nop 0
	v_cndmask_b32_e64 v9, v7, v38, s[28:29]
	v_cndmask_b32_e64 v14, v7, v39, s[30:31]
	v_max3_f32 v8, v8, v9, v14
	v_or_b32_e32 v9, 16, v6
	v_or_b32_e32 v14, 17, v6
	v_cmp_gt_i32_e64 s[34:35], s5, v9
	v_cmp_gt_i32_e64 s[36:37], s5, v14
	s_nop 0
	v_cndmask_b32_e64 v9, v7, v52, s[34:35]
	v_cndmask_b32_e64 v14, v7, v53, s[36:37]
	v_max3_f32 v8, v8, v9, v14
	v_or_b32_e32 v9, 18, v6
	;; [unrolled: 8-line block ×6, first 2 shown]
	v_or_b32_e32 v6, 51, v6
	v_cmp_gt_i32_e32 vcc, s5, v9
	v_cmp_gt_i32_e64 s[4:5], s5, v6
	s_nop 0
	v_cndmask_b32_e32 v9, v7, v34, vcc
	v_cndmask_b32_e64 v6, v7, v35, s[4:5]
	v_max3_f32 v8, v8, v9, v6
	v_mbcnt_lo_u32_b32 v6, -1, 0
	v_mbcnt_hi_u32_b32 v9, -1, v6
	v_and_b32_e32 v6, 64, v9
	v_add_u32_e32 v14, 64, v6
	v_xor_b32_e32 v6, 32, v9
	v_cmp_lt_i32_e64 s[38:39], v6, v14
	s_nop 1
	v_cndmask_b32_e64 v6, v9, v6, s[38:39]
	v_lshlrev_b32_e32 v65, 2, v6
	ds_bpermute_b32 v15, v65, v8
	v_mad_i64_i32 v[6:7], s[38:39], v63, s45, v[46:47]
	global_load_dwordx4 v[26:29], v[58:59], off
	global_load_dwordx4 v[18:21], v[6:7], off
	s_waitcnt lgkmcnt(0)
	v_max_f32_e32 v6, v15, v15
	v_max_f32_e32 v15, v8, v6
	v_xor_b32_e32 v6, 16, v9
	v_cmp_lt_i32_e64 s[38:39], v6, v14
	s_nop 1
	v_cndmask_b32_e64 v6, v9, v6, s[38:39]
	v_lshlrev_b32_e32 v58, 2, v6
	ds_bpermute_b32 v14, v58, v15
	v_mad_i64_i32 v[6:7], s[38:39], v55, s45, v[46:47]
	v_mad_i64_i32 v[8:9], s[38:39], v62, s45, v[46:47]
	s_waitcnt lgkmcnt(0)
	v_max_f32_e32 v14, v14, v14
	v_max_f32_e32 v55, v15, v14
	v_sub_f32_e32 v14, v50, v55
	v_mul_f32_e32 v14, 0x3fb8aa3b, v14
	v_exp_f32_e32 v36, v14
	v_sub_f32_e32 v14, v51, v55
	v_mul_f32_e32 v14, 0x3fb8aa3b, v14
	v_exp_f32_e32 v37, v14
	global_load_dwordx4 v[14:17], v[6:7], off
	s_nop 0
	global_load_dwordx4 v[6:9], v[8:9], off
	v_sub_f32_e32 v38, v38, v55
	v_mul_f32_e32 v38, 0x3fb8aa3b, v38
	v_sub_f32_e32 v39, v39, v55
	v_exp_f32_e32 v38, v38
	v_mul_f32_e32 v39, 0x3fb8aa3b, v39
	v_exp_f32_e32 v39, v39
	v_cndmask_b32_e64 v36, 0, v36, s[24:25]
	v_add_f32_e32 v46, 0, v36
	v_cndmask_b32_e64 v37, 0, v37, s[26:27]
	v_add_f32_e32 v47, v46, v37
	;; [unrolled: 2-line block ×3, first 2 shown]
	v_cndmask_b32_e64 v47, 0, v39, s[30:31]
	v_sub_f32_e32 v39, v52, v55
	v_mul_f32_e32 v39, 0x3fb8aa3b, v39
	v_sub_f32_e32 v50, v53, v55
	v_exp_f32_e32 v39, v39
	v_mul_f32_e32 v50, 0x3fb8aa3b, v50
	v_sub_f32_e32 v48, v48, v55
	v_exp_f32_e32 v50, v50
	;; [unrolled: 3-line block ×4, first 2 shown]
	v_mul_f32_e32 v42, 0x3fb8aa3b, v42
	v_sub_f32_e32 v43, v43, v55
	v_add_f32_e32 v51, v38, v47
	v_cndmask_b32_e64 v38, 0, v39, s[34:35]
	v_exp_f32_e32 v42, v42
	v_mul_f32_e32 v43, 0x3fb8aa3b, v43
	v_sub_f32_e32 v44, v44, v55
	v_add_f32_e32 v51, v51, v38
	v_cndmask_b32_e64 v39, 0, v50, s[36:37]
	v_exp_f32_e32 v43, v43
	;; [unrolled: 5-line block ×7, first 2 shown]
	v_mul_f32_e32 v35, 0x3fb8aa3b, v35
	v_add_f32_e32 v50, v50, v44
	v_cndmask_b32_e64 v45, 0, v45, s[12:13]
	v_exp_f32_e32 v35, v35
	v_add_f32_e32 v50, v50, v45
	v_cndmask_b32_e64 v40, 0, v40, s[6:7]
	v_add_f32_e32 v50, v50, v40
	v_cndmask_b32_e64 v41, 0, v41, s[8:9]
	v_add_f32_e32 v50, v50, v41
	v_cndmask_b32_e32 v34, 0, v34, vcc
	v_add_f32_e32 v50, v50, v34
	v_cndmask_b32_e64 v35, 0, v35, s[4:5]
	v_add_f32_e32 v50, v50, v35
	ds_bpermute_b32 v51, v65, v50
	v_cmp_gt_u32_e64 s[4:5], 16, v61
	s_waitcnt lgkmcnt(0)
	s_barrier
	v_add_f32_e32 v50, v50, v51
	ds_bpermute_b32 v51, v58, v50
	s_and_saveexec_b64 s[6:7], s[4:5]
	s_cbranch_execz .LBB1040_13
; %bb.12:
	s_waitcnt lgkmcnt(0)
	v_add_f32_e32 v50, v50, v51
	v_lshlrev_b32_e32 v51, 2, v64
	ds_write2st64_b32 v51, v55, v50 offset1:1
.LBB1040_13:
	s_or_b64 exec, exec, s[6:7]
	s_waitcnt lgkmcnt(0)
	v_lshlrev_b32_e32 v51, 2, v56
	s_load_dword s8, s[0:1], 0x94
	s_waitcnt lgkmcnt(0)
	s_barrier
	ds_read2_b32 v[52:53], v51 offset1:16
	ds_read2_b32 v[58:59], v51 offset0:32 offset1:48
	ds_read2_b32 v[62:63], v51 offset0:64 offset1:80
	s_mul_i32 s9, s23, 13
	s_waitcnt lgkmcnt(2)
	v_max3_f32 v50, v52, s33, v53
	s_waitcnt lgkmcnt(1)
	v_max3_f32 v50, v50, v58, v59
	v_sub_f32_e32 v52, v52, v50
	v_mul_f32_e32 v52, 0x3fb8aa3b, v52
	v_exp_f32_e32 v55, v52
	v_sub_f32_e32 v52, v53, v50
	v_mul_f32_e32 v52, 0x3fb8aa3b, v52
	v_exp_f32_e32 v61, v52
	;; [unrolled: 3-line block ×3, first 2 shown]
	ds_read2_b32 v[52:53], v51 offset0:96 offset1:112
	v_sub_f32_e32 v51, v59, v50
	v_mul_f32_e32 v51, 0x3fb8aa3b, v51
	v_exp_f32_e32 v59, v51
	s_waitcnt lgkmcnt(1)
	v_fma_f32 v51, v55, v62, 0
	v_fmac_f32_e32 v51, v61, v63
	s_waitcnt lgkmcnt(0)
	v_fmac_f32_e32 v51, v58, v52
	v_fmac_f32_e32 v51, v59, v53
	v_add_f32_e32 v52, 0x358637bd, v51
	v_div_scale_f32 v53, s[6:7], v52, v52, 1.0
	v_rcp_f32_e32 v62, v53
	s_barrier
	v_fma_f32 v63, -v53, v62, 1.0
	v_fmac_f32_e32 v62, v63, v62
	v_div_scale_f32 v63, vcc, 1.0, v52, 1.0
	v_mul_f32_e32 v64, v63, v62
	v_fma_f32 v65, -v53, v64, v63
	v_fmac_f32_e32 v64, v65, v62
	v_fma_f32 v53, -v53, v64, v63
	v_div_fmas_f32 v53, v53, v62, v64
	v_cmp_eq_u32_e32 vcc, 1, v57
	v_div_fixup_f32 v52, v53, v52, 1.0
	s_nop 0
	v_cndmask_b32_e32 v53, v55, v61, vcc
	v_cmp_eq_u32_e32 vcc, 2, v57
	s_nop 1
	v_cndmask_b32_e32 v53, v53, v58, vcc
	v_cmp_eq_u32_e32 vcc, 3, v57
	s_nop 1
	v_cndmask_b32_e32 v53, v53, v59, vcc
	v_mul_f32_e32 v52, v53, v52
	v_pk_mul_f32 v[46:47], v[52:53], v[46:47] op_sel_hi:[0,1]
	v_pk_mul_f32 v[36:37], v[52:53], v[36:37] op_sel_hi:[0,1]
	v_cvt_f16_f32_e32 v53, v46
	v_cvt_f16_f32_e32 v36, v36
	;; [unrolled: 1-line block ×4, first 2 shown]
	v_pk_mul_f32 v[48:49], v[52:53], v[48:49] op_sel_hi:[0,1]
	v_pk_mul_f32 v[38:39], v[52:53], v[38:39] op_sel_hi:[0,1]
	v_cvt_f16_f32_e32 v38, v38
	v_cvt_f16_f32_e32 v39, v39
	;; [unrolled: 1-line block ×4, first 2 shown]
	v_pack_b32_f16 v46, v36, v37
	v_pack_b32_f16 v47, v53, v47
	v_lshlrev_b32_e32 v37, 3, v60
	v_lshlrev_b32_e32 v36, 5, v56
	;; [unrolled: 1-line block ×3, first 2 shown]
	v_or3_b32 v55, v53, v36, v37
	v_pack_b32_f16 v38, v38, v39
	v_pack_b32_f16 v39, v48, v49
	ds_write2st64_b64 v55, v[46:47], v[38:39] offset1:1
	v_pk_mul_f32 v[38:39], v[52:53], v[44:45] op_sel_hi:[0,1]
	v_pk_mul_f32 v[42:43], v[52:53], v[42:43] op_sel_hi:[0,1]
	v_cvt_f16_f32_e32 v37, v42
	v_cvt_f16_f32_e32 v42, v43
	;; [unrolled: 1-line block ×4, first 2 shown]
	v_pk_mul_f32 v[34:35], v[52:53], v[34:35] op_sel_hi:[0,1]
	v_pk_mul_f32 v[38:39], v[52:53], v[40:41] op_sel_hi:[0,1]
	v_cvt_f16_f32_e32 v38, v38
	v_cvt_f16_f32_e32 v39, v39
	v_cvt_f16_f32_e32 v40, v34
	v_cvt_f16_f32_e32 v41, v35
	v_pack_b32_f16 v34, v37, v42
	v_pack_b32_f16 v35, v43, v44
	;; [unrolled: 1-line block ×4, first 2 shown]
	v_cmp_gt_u32_e32 vcc, 13, v0
	ds_write2st64_b64 v55, v[34:35], v[38:39] offset0:2 offset1:3
	s_and_saveexec_b64 s[6:7], vcc
	s_cbranch_execz .LBB1040_15
; %bb.14:
	s_mov_b32 s49, 0
	v_mov_b32_e32 v57, 0
	v_lshl_add_u64 v[34:35], s[48:49], 0, v[56:57]
	v_mov_b32_e32 v37, s9
	v_mad_u64_u32 v[34:35], s[10:11], s2, v37, v[34:35]
	s_mul_i32 s3, s3, s9
	v_mov_b32_e32 v38, s22
	v_mov_b32_e32 v39, v57
	s_load_dwordx4 s[12:15], s[0:1], 0x58
	v_add_u32_e32 v37, s3, v35
	v_mad_u64_u32 v[34:35], s[10:11], v34, s8, v[38:39]
	v_mov_b32_e32 v38, v35
	v_mad_u64_u32 v[38:39], s[10:11], v37, s8, v[38:39]
	v_mov_b32_e32 v35, v38
	v_lshlrev_b64 v[34:35], 2, v[34:35]
	s_waitcnt lgkmcnt(0)
	v_lshl_add_u64 v[38:39], s[14:15], 0, v[34:35]
	v_lshl_add_u64 v[34:35], s[12:13], 0, v[34:35]
	global_store_dword v[38:39], v50, off
	global_store_dword v[34:35], v51, off
.LBB1040_15:
	s_or_b64 exec, exec, s[6:7]
	s_waitcnt vmcnt(7)
	v_cvt_pk_f32_fp8_e32 v[34:35], v30
	v_lshl_or_b32 v50, v60, 9, v36
	v_cvt_pk_f32_fp8_sdwa v[36:37], v30 src0_sel:WORD_1
	s_waitcnt lgkmcnt(0)
	s_barrier
	v_cvt_pk_f32_fp8_e32 v[38:39], v31
	v_cvt_pkrtz_f16_f32 v30, v34, v35
	v_cvt_pk_f32_fp8_sdwa v[40:41], v31 src0_sel:WORD_1
	v_cvt_pkrtz_f16_f32 v31, v36, v37
	ds_read_b128 v[34:37], v50
	v_cvt_pkrtz_f16_f32 v46, v38, v39
	v_cvt_pkrtz_f16_f32 v47, v40, v41
	ds_read_b128 v[38:41], v50 offset:16
	v_cvt_pk_f32_fp8_e32 v[48:49], v32
	v_cvt_pk_f32_fp8_sdwa v[52:53], v32 src0_sel:WORD_1
	s_waitcnt lgkmcnt(1)
	v_mfma_f32_16x16x16_f16 v[42:45], v[30:31], v[34:35], 0
	s_waitcnt vmcnt(6)
	v_cvt_pk_f32_fp8_e32 v[58:59], v24
	v_cvt_pkrtz_f16_f32 v30, v48, v49
	v_cvt_pkrtz_f16_f32 v31, v52, v53
	v_cvt_pk_f32_fp8_e32 v[48:49], v33
	v_mfma_f32_16x16x16_f16 v[42:45], v[46:47], v[36:37], v[42:45]
	v_cvt_pk_f32_fp8_sdwa v[46:47], v33 src0_sel:WORD_1
	v_cvt_pk_f32_fp8_sdwa v[62:63], v24 src0_sel:WORD_1
	v_cvt_pkrtz_f16_f32 v48, v48, v49
	s_waitcnt lgkmcnt(0)
	v_mfma_f32_16x16x16_f16 v[30:33], v[30:31], v[38:39], v[42:45]
	v_cvt_pkrtz_f16_f32 v49, v46, v47
	s_waitcnt vmcnt(5)
	v_cvt_pk_f32_fp8_sdwa v[66:67], v12 src0_sel:WORD_1
	s_waitcnt vmcnt(4)
	v_cvt_pk_f32_fp8_sdwa v[68:69], v4 src0_sel:WORD_1
	v_cvt_pk_f32_fp8_e32 v[42:43], v22
	v_mfma_f32_16x16x16_f16 v[46:49], v[48:49], v[40:41], v[30:33]
	s_waitcnt vmcnt(3)
	v_cvt_pk_f32_fp8_sdwa v[70:71], v28 src0_sel:WORD_1
	s_load_dword s6, s[42:43], 0x0
	v_cvt_pk_f32_fp8_sdwa v[30:31], v22 src0_sel:WORD_1
	v_cvt_pk_f32_fp8_e32 v[32:33], v23
	v_cvt_pkrtz_f16_f32 v22, v42, v43
	v_cvt_pk_f32_fp8_sdwa v[42:43], v23 src0_sel:WORD_1
	v_cvt_pkrtz_f16_f32 v23, v30, v31
	v_cvt_pkrtz_f16_f32 v52, v32, v33
	ds_read_b128 v[30:33], v50 offset:2048
	v_cvt_pkrtz_f16_f32 v53, v42, v43
	ds_read_b128 v[42:45], v50 offset:2064
	s_waitcnt lgkmcnt(0)
	v_mfma_f32_16x16x16_f16 v[46:49], v[22:23], v[30:31], v[46:49]
	v_cvt_pkrtz_f16_f32 v22, v58, v59
	v_cvt_pkrtz_f16_f32 v23, v62, v63
	v_cvt_pk_f32_fp8_e32 v[58:59], v25
	v_mfma_f32_16x16x16_f16 v[46:49], v[52:53], v[32:33], v[46:49]
	v_cvt_pk_f32_fp8_sdwa v[52:53], v25 src0_sel:WORD_1
	s_mov_b32 s3, 0
	v_cvt_pkrtz_f16_f32 v58, v58, v59
	v_mfma_f32_16x16x16_f16 v[22:25], v[22:23], v[42:43], v[46:49]
	v_cvt_pkrtz_f16_f32 v59, v52, v53
	v_cmp_gt_u32_e32 vcc, 64, v0
	s_nop 0
	v_cvt_pk_f32_fp8_e32 v[46:47], v10
	v_mfma_f32_16x16x16_f16 v[62:65], v[58:59], v[44:45], v[22:25]
	v_cvt_pk_f32_fp8_e32 v[58:59], v12
	s_nop 1
	v_cvt_pk_f32_fp8_sdwa v[22:23], v10 src0_sel:WORD_1
	v_cvt_pk_f32_fp8_e32 v[24:25], v11
	v_cvt_pkrtz_f16_f32 v10, v46, v47
	v_cvt_pk_f32_fp8_sdwa v[46:47], v11 src0_sel:WORD_1
	v_cvt_pkrtz_f16_f32 v11, v22, v23
	v_cvt_pkrtz_f16_f32 v52, v24, v25
	ds_read_b128 v[22:25], v50 offset:4096
	v_cvt_pkrtz_f16_f32 v53, v46, v47
	ds_read_b128 v[46:49], v50 offset:4112
	s_waitcnt lgkmcnt(1)
	v_mfma_f32_16x16x16_f16 v[62:65], v[10:11], v[22:23], v[62:65]
	v_cvt_pkrtz_f16_f32 v10, v58, v59
	v_cvt_pkrtz_f16_f32 v11, v66, v67
	v_cvt_pk_f32_fp8_e32 v[58:59], v13
	v_mfma_f32_16x16x16_f16 v[62:65], v[52:53], v[24:25], v[62:65]
	v_cvt_pk_f32_fp8_sdwa v[52:53], v13 src0_sel:WORD_1
	v_cvt_pk_f32_fp8_e32 v[66:67], v4
	v_cvt_pkrtz_f16_f32 v58, v58, v59
	s_waitcnt lgkmcnt(0)
	v_mfma_f32_16x16x16_f16 v[10:13], v[10:11], v[46:47], v[62:65]
	v_cvt_pkrtz_f16_f32 v59, v52, v53
	v_cvt_pk_f32_fp8_e32 v[52:53], v2
	s_nop 0
	v_mfma_f32_16x16x16_f16 v[62:65], v[58:59], v[48:49], v[10:13]
	s_nop 2
	v_cvt_pk_f32_fp8_sdwa v[10:11], v2 src0_sel:WORD_1
	v_cvt_pk_f32_fp8_e32 v[12:13], v3
	v_cvt_pkrtz_f16_f32 v2, v52, v53
	v_cvt_pk_f32_fp8_sdwa v[52:53], v3 src0_sel:WORD_1
	v_cvt_pkrtz_f16_f32 v3, v10, v11
	v_cvt_pkrtz_f16_f32 v58, v12, v13
	ds_read_b128 v[10:13], v50 offset:6144
	v_cvt_pkrtz_f16_f32 v59, v52, v53
	s_waitcnt lgkmcnt(0)
	v_mfma_f32_16x16x16_f16 v[62:65], v[2:3], v[10:11], v[62:65]
	ds_read_b128 v[50:53], v50 offset:6160
	v_cvt_pkrtz_f16_f32 v2, v66, v67
	v_cvt_pkrtz_f16_f32 v3, v68, v69
	v_cvt_pk_f32_fp8_e32 v[66:67], v5
	v_mfma_f32_16x16x16_f16 v[62:65], v[58:59], v[12:13], v[62:65]
	v_cvt_pk_f32_fp8_sdwa v[58:59], v5 src0_sel:WORD_1
	v_cvt_pk_f32_fp8_e32 v[68:69], v28
	v_cvt_pkrtz_f16_f32 v66, v66, v67
	s_waitcnt lgkmcnt(0)
	v_mfma_f32_16x16x16_f16 v[2:5], v[2:3], v[50:51], v[62:65]
	v_cvt_pkrtz_f16_f32 v67, v58, v59
	v_cvt_pk_f32_fp8_e32 v[58:59], v26
	s_nop 0
	v_cvt_pk_f32_fp8_sdwa v[62:63], v26 src0_sel:WORD_1
	v_cvt_pk_f32_fp8_e32 v[64:65], v27
	v_cvt_pkrtz_f16_f32 v58, v58, v59
	v_cvt_pk_f32_fp8_sdwa v[26:27], v27 src0_sel:WORD_1
	v_cvt_pkrtz_f16_f32 v59, v62, v63
	v_mfma_f32_16x16x16_f16 v[2:5], v[66:67], v[52:53], v[2:5]
	v_cvt_pkrtz_f16_f32 v66, v64, v65
	v_cvt_pkrtz_f16_f32 v67, v26, v27
	;; [unrolled: 1-line block ×3, first 2 shown]
	v_mfma_f32_16x16x16_f16 v[62:65], v[58:59], v[34:35], 0
	v_cvt_pkrtz_f16_f32 v27, v70, v71
	v_cvt_pk_f32_fp8_e32 v[58:59], v29
	s_barrier
	v_mfma_f32_16x16x16_f16 v[34:37], v[66:67], v[36:37], v[62:65]
	v_cvt_pkrtz_f16_f32 v58, v58, v59
	s_nop 1
	v_cvt_pk_f32_fp8_sdwa v[62:63], v29 src0_sel:WORD_1
	v_mfma_f32_16x16x16_f16 v[26:29], v[26:27], v[38:39], v[34:37]
	s_waitcnt vmcnt(2)
	v_cvt_pk_f32_fp8_e32 v[38:39], v19
	v_cvt_pkrtz_f16_f32 v59, v62, v63
	v_cvt_pk_f32_fp8_e32 v[34:35], v18
	v_cvt_pk_f32_fp8_sdwa v[36:37], v18 src0_sel:WORD_1
	v_cvt_pk_f32_fp8_sdwa v[18:19], v19 src0_sel:WORD_1
	v_mfma_f32_16x16x16_f16 v[26:29], v[58:59], v[40:41], v[26:29]
	v_cvt_pkrtz_f16_f32 v34, v34, v35
	v_cvt_pkrtz_f16_f32 v35, v36, v37
	;; [unrolled: 1-line block ×3, first 2 shown]
	v_cvt_pk_f32_fp8_e32 v[38:39], v20
	v_cvt_pk_f32_fp8_sdwa v[40:41], v20 src0_sel:WORD_1
	v_cvt_pkrtz_f16_f32 v37, v18, v19
	v_mfma_f32_16x16x16_f16 v[26:29], v[34:35], v[30:31], v[26:29]
	v_cvt_pkrtz_f16_f32 v30, v38, v39
	v_cvt_pkrtz_f16_f32 v31, v40, v41
	v_cvt_pk_f32_fp8_e32 v[34:35], v21
	v_cvt_pk_f32_fp8_sdwa v[38:39], v21 src0_sel:WORD_1
	v_mfma_f32_16x16x16_f16 v[18:21], v[36:37], v[32:33], v[26:29]
	s_waitcnt vmcnt(1)
	v_cvt_pk_f32_fp8_sdwa v[32:33], v16 src0_sel:WORD_1
	s_nop 0
	v_cvt_pkrtz_f16_f32 v26, v34, v35
	v_cvt_pkrtz_f16_f32 v27, v38, v39
	v_mfma_f32_16x16x16_f16 v[18:21], v[30:31], v[42:43], v[18:21]
	v_cvt_pk_f32_fp8_e32 v[28:29], v14
	v_cvt_pk_f32_fp8_sdwa v[30:31], v14 src0_sel:WORD_1
	v_cvt_pkrtz_f16_f32 v28, v28, v29
	v_mfma_f32_16x16x16_f16 v[18:21], v[26:27], v[44:45], v[18:21]
	v_cvt_pk_f32_fp8_e32 v[26:27], v15
	v_cvt_pkrtz_f16_f32 v29, v30, v31
	v_cvt_pk_f32_fp8_sdwa v[14:15], v15 src0_sel:WORD_1
	v_cvt_pk_f32_fp8_e32 v[30:31], v16
	v_cvt_pkrtz_f16_f32 v26, v26, v27
	v_mfma_f32_16x16x16_f16 v[18:21], v[28:29], v[22:23], v[18:21]
	v_cvt_pkrtz_f16_f32 v27, v14, v15
	v_cvt_pkrtz_f16_f32 v22, v30, v31
	;; [unrolled: 1-line block ×3, first 2 shown]
	v_cvt_pk_f32_fp8_e32 v[28:29], v17
	v_cvt_pk_f32_fp8_sdwa v[30:31], v17 src0_sel:WORD_1
	v_mfma_f32_16x16x16_f16 v[14:17], v[26:27], v[24:25], v[18:21]
	s_waitcnt vmcnt(0)
	v_cvt_pk_f32_fp8_sdwa v[24:25], v6 src0_sel:WORD_1
	s_nop 0
	v_pk_mul_f32 v[18:19], v[4:5], s[6:7] op_sel_hi:[1,0]
	v_cvt_pkrtz_f16_f32 v4, v28, v29
	v_cvt_pkrtz_f16_f32 v5, v30, v31
	v_mfma_f32_16x16x16_f16 v[14:17], v[22:23], v[46:47], v[14:17]
	v_cvt_pk_f32_fp8_e32 v[22:23], v6
	v_pk_mul_f32 v[20:21], v[2:3], s[6:7] op_sel_hi:[1,0]
	v_mfma_f32_16x16x16_f16 v[2:5], v[4:5], v[48:49], v[14:17]
	s_nop 3
	v_cvt_pk_f32_fp8_e32 v[14:15], v7
	v_cvt_pkrtz_f16_f32 v16, v22, v23
	v_cvt_pkrtz_f16_f32 v17, v24, v25
	v_cvt_pk_f32_fp8_sdwa v[6:7], v7 src0_sel:WORD_1
	v_cvt_pkrtz_f16_f32 v14, v14, v15
	v_cvt_pk_f32_fp8_e32 v[22:23], v8
	v_cvt_pk_f32_fp8_sdwa v[24:25], v8 src0_sel:WORD_1
	v_cvt_pkrtz_f16_f32 v15, v6, v7
	v_mfma_f32_16x16x16_f16 v[2:5], v[16:17], v[10:11], v[2:5]
	v_cvt_pkrtz_f16_f32 v6, v22, v23
	v_cvt_pkrtz_f16_f32 v7, v24, v25
	v_cvt_pk_f32_fp8_e32 v[10:11], v9
	v_cvt_pk_f32_fp8_sdwa v[8:9], v9 src0_sel:WORD_1
	v_mfma_f32_16x16x16_f16 v[2:5], v[14:15], v[12:13], v[2:5]
	v_cvt_f16_f32_e32 v12, v20
	v_cvt_pkrtz_f16_f32 v10, v10, v11
	v_cvt_pkrtz_f16_f32 v11, v8, v9
	v_mfma_f32_16x16x16_f16 v[2:5], v[6:7], v[50:51], v[2:5]
	v_cvt_f16_f32_e32 v6, v21
	v_cvt_f16_f32_e32 v7, v18
	;; [unrolled: 1-line block ×3, first 2 shown]
	v_mfma_f32_16x16x16_f16 v[2:5], v[10:11], v[52:53], v[2:5]
	s_nop 6
	v_pk_mul_f32 v[4:5], v[4:5], s[6:7] op_sel_hi:[1,0]
	v_pk_mul_f32 v[2:3], v[2:3], s[6:7] op_sel_hi:[1,0]
	v_cvt_f16_f32_e32 v11, v4
	v_cvt_f16_f32_e32 v9, v2
	;; [unrolled: 1-line block ×4, first 2 shown]
	v_pack_b32_f16 v2, v12, v6
	v_pack_b32_f16 v3, v7, v8
	;; [unrolled: 1-line block ×4, first 2 shown]
	ds_write2st64_b64 v55, v[2:3], v[4:5] offset1:1
	s_waitcnt lgkmcnt(0)
	s_barrier
	s_and_saveexec_b64 s[6:7], vcc
	s_cbranch_execz .LBB1040_18
; %bb.16:
	s_load_dwordx2 s[6:7], s[0:1], 0x68
	s_lshl_b32 s0, s8, 7
	s_mul_i32 s1, s9, s2
	v_lshlrev_b32_e32 v3, 6, v56
	s_mul_hi_u32 s9, s1, s0
	s_mul_i32 s8, s1, s0
	v_lshl_or_b32 v0, v0, 10, v3
	s_lshl_b64 s[8:9], s[8:9], 1
	v_lshlrev_b32_e32 v2, 5, v60
	v_and_b32_e32 v1, 16, v1
	v_and_b32_e32 v0, 0x1a00, v0
	s_waitcnt lgkmcnt(0)
	s_add_u32 s1, s6, s8
	v_or3_b32 v2, v0, v2, v1
	s_addc_u32 s6, s7, s9
	s_lshl_b32 s2, s22, 7
	ds_read_b128 v[4:7], v2 offset:256
	s_lshl_b64 s[2:3], s[2:3], 1
	ds_read_b128 v[8:11], v2 offset:128
	ds_read_b128 v[12:15], v2
	s_add_u32 s2, s1, s2
	s_addc_u32 s3, s6, s3
	v_mov_b32_e32 v55, 0
	v_add_u32_e32 v3, s48, v60
	v_lshl_add_u64 v[0:1], s[2:3], 0, v[54:55]
	v_mad_u64_u32 v[16:17], s[2:3], v3, s0, 0
	v_lshl_add_u64 v[16:17], v[16:17], 1, v[0:1]
	s_waitcnt lgkmcnt(0)
	global_store_dwordx4 v[16:17], v[12:15], off
	s_nop 1
	v_add_u32_e32 v12, 4, v3
	v_mad_u64_u32 v[12:13], s[2:3], v12, s0, 0
	v_lshl_add_u64 v[12:13], v[12:13], 1, v[0:1]
	v_add_u32_e32 v3, 8, v3
	global_store_dwordx4 v[12:13], v[8:11], off
	s_nop 1
	v_mad_u64_u32 v[8:9], s[2:3], v3, s0, 0
	v_lshl_add_u64 v[8:9], v[8:9], 1, v[0:1]
	global_store_dwordx4 v[8:9], v[4:7], off
	s_and_b64 exec, exec, s[4:5]
	s_cbranch_execz .LBB1040_18
; %bb.17:
	ds_read_b128 v[2:5], v2 offset:384
	v_add3_u32 v6, s48, v60, 12
	v_mad_u64_u32 v[6:7], s[0:1], v6, s0, 0
	v_lshl_add_u64 v[0:1], v[6:7], 1, v[0:1]
	s_waitcnt lgkmcnt(0)
	global_store_dwordx4 v[0:1], v[2:5], off
.LBB1040_18:
	s_endpgm
	.section	.rodata,"a",@progbits
	.p2align	6, 0x0
	.amdhsa_kernel _Z39paged_attention_ll4mi_QKV_mfma16_kernelIDF16_hLN4vllm18Fp8KVCacheDataTypeE1EhLi32ELi128ELi256ELb0ELi13EEvPKT_PKT0_S7_ifPKiS9_S9_iPKfiiiPfSC_PS2_PT2_iSB_SB_
		.amdhsa_group_segment_fixed_size 8192
		.amdhsa_private_segment_fixed_size 0
		.amdhsa_kernarg_size 400
		.amdhsa_user_sgpr_count 2
		.amdhsa_user_sgpr_dispatch_ptr 0
		.amdhsa_user_sgpr_queue_ptr 0
		.amdhsa_user_sgpr_kernarg_segment_ptr 1
		.amdhsa_user_sgpr_dispatch_id 0
		.amdhsa_user_sgpr_kernarg_preload_length 0
		.amdhsa_user_sgpr_kernarg_preload_offset 0
		.amdhsa_user_sgpr_private_segment_size 0
		.amdhsa_uses_dynamic_stack 0
		.amdhsa_enable_private_segment 0
		.amdhsa_system_sgpr_workgroup_id_x 1
		.amdhsa_system_sgpr_workgroup_id_y 1
		.amdhsa_system_sgpr_workgroup_id_z 1
		.amdhsa_system_sgpr_workgroup_info 0
		.amdhsa_system_vgpr_workitem_id 0
		.amdhsa_next_free_vgpr 80
		.amdhsa_next_free_sgpr 50
		.amdhsa_accum_offset 80
		.amdhsa_reserve_vcc 1
		.amdhsa_float_round_mode_32 0
		.amdhsa_float_round_mode_16_64 0
		.amdhsa_float_denorm_mode_32 3
		.amdhsa_float_denorm_mode_16_64 3
		.amdhsa_dx10_clamp 1
		.amdhsa_ieee_mode 1
		.amdhsa_fp16_overflow 0
		.amdhsa_tg_split 0
		.amdhsa_exception_fp_ieee_invalid_op 0
		.amdhsa_exception_fp_denorm_src 0
		.amdhsa_exception_fp_ieee_div_zero 0
		.amdhsa_exception_fp_ieee_overflow 0
		.amdhsa_exception_fp_ieee_underflow 0
		.amdhsa_exception_fp_ieee_inexact 0
		.amdhsa_exception_int_div_zero 0
	.end_amdhsa_kernel
	.section	.text._Z39paged_attention_ll4mi_QKV_mfma16_kernelIDF16_hLN4vllm18Fp8KVCacheDataTypeE1EhLi32ELi128ELi256ELb0ELi13EEvPKT_PKT0_S7_ifPKiS9_S9_iPKfiiiPfSC_PS2_PT2_iSB_SB_,"axG",@progbits,_Z39paged_attention_ll4mi_QKV_mfma16_kernelIDF16_hLN4vllm18Fp8KVCacheDataTypeE1EhLi32ELi128ELi256ELb0ELi13EEvPKT_PKT0_S7_ifPKiS9_S9_iPKfiiiPfSC_PS2_PT2_iSB_SB_,comdat
.Lfunc_end1040:
	.size	_Z39paged_attention_ll4mi_QKV_mfma16_kernelIDF16_hLN4vllm18Fp8KVCacheDataTypeE1EhLi32ELi128ELi256ELb0ELi13EEvPKT_PKT0_S7_ifPKiS9_S9_iPKfiiiPfSC_PS2_PT2_iSB_SB_, .Lfunc_end1040-_Z39paged_attention_ll4mi_QKV_mfma16_kernelIDF16_hLN4vllm18Fp8KVCacheDataTypeE1EhLi32ELi128ELi256ELb0ELi13EEvPKT_PKT0_S7_ifPKiS9_S9_iPKfiiiPfSC_PS2_PT2_iSB_SB_
                                        ; -- End function
	.section	.AMDGPU.csdata,"",@progbits
; Kernel info:
; codeLenInByte = 6140
; NumSgprs: 56
; NumVgprs: 80
; NumAgprs: 0
; TotalNumVgprs: 80
; ScratchSize: 0
; MemoryBound: 0
; FloatMode: 240
; IeeeMode: 1
; LDSByteSize: 8192 bytes/workgroup (compile time only)
; SGPRBlocks: 6
; VGPRBlocks: 9
; NumSGPRsForWavesPerEU: 56
; NumVGPRsForWavesPerEU: 80
; AccumOffset: 80
; Occupancy: 6
; WaveLimiterHint : 1
; COMPUTE_PGM_RSRC2:SCRATCH_EN: 0
; COMPUTE_PGM_RSRC2:USER_SGPR: 2
; COMPUTE_PGM_RSRC2:TRAP_HANDLER: 0
; COMPUTE_PGM_RSRC2:TGID_X_EN: 1
; COMPUTE_PGM_RSRC2:TGID_Y_EN: 1
; COMPUTE_PGM_RSRC2:TGID_Z_EN: 1
; COMPUTE_PGM_RSRC2:TIDIG_COMP_CNT: 0
; COMPUTE_PGM_RSRC3_GFX90A:ACCUM_OFFSET: 19
; COMPUTE_PGM_RSRC3_GFX90A:TG_SPLIT: 0
	.section	.text._Z39paged_attention_ll4mi_QKV_mfma16_kernelIDF16_hLN4vllm18Fp8KVCacheDataTypeE1EhLi32ELi128ELi256ELb0ELi14EEvPKT_PKT0_S7_ifPKiS9_S9_iPKfiiiPfSC_PS2_PT2_iSB_SB_,"axG",@progbits,_Z39paged_attention_ll4mi_QKV_mfma16_kernelIDF16_hLN4vllm18Fp8KVCacheDataTypeE1EhLi32ELi128ELi256ELb0ELi14EEvPKT_PKT0_S7_ifPKiS9_S9_iPKfiiiPfSC_PS2_PT2_iSB_SB_,comdat
	.protected	_Z39paged_attention_ll4mi_QKV_mfma16_kernelIDF16_hLN4vllm18Fp8KVCacheDataTypeE1EhLi32ELi128ELi256ELb0ELi14EEvPKT_PKT0_S7_ifPKiS9_S9_iPKfiiiPfSC_PS2_PT2_iSB_SB_ ; -- Begin function _Z39paged_attention_ll4mi_QKV_mfma16_kernelIDF16_hLN4vllm18Fp8KVCacheDataTypeE1EhLi32ELi128ELi256ELb0ELi14EEvPKT_PKT0_S7_ifPKiS9_S9_iPKfiiiPfSC_PS2_PT2_iSB_SB_
	.globl	_Z39paged_attention_ll4mi_QKV_mfma16_kernelIDF16_hLN4vllm18Fp8KVCacheDataTypeE1EhLi32ELi128ELi256ELb0ELi14EEvPKT_PKT0_S7_ifPKiS9_S9_iPKfiiiPfSC_PS2_PT2_iSB_SB_
	.p2align	8
	.type	_Z39paged_attention_ll4mi_QKV_mfma16_kernelIDF16_hLN4vllm18Fp8KVCacheDataTypeE1EhLi32ELi128ELi256ELb0ELi14EEvPKT_PKT0_S7_ifPKiS9_S9_iPKfiiiPfSC_PS2_PT2_iSB_SB_,@function
_Z39paged_attention_ll4mi_QKV_mfma16_kernelIDF16_hLN4vllm18Fp8KVCacheDataTypeE1EhLi32ELi128ELi256ELb0ELi14EEvPKT_PKT0_S7_ifPKiS9_S9_iPKfiiiPfSC_PS2_PT2_iSB_SB_: ; @_Z39paged_attention_ll4mi_QKV_mfma16_kernelIDF16_hLN4vllm18Fp8KVCacheDataTypeE1EhLi32ELi128ELi256ELb0ELi14EEvPKT_PKT0_S7_ifPKiS9_S9_iPKfiiiPfSC_PS2_PT2_iSB_SB_
; %bb.0:
	s_load_dwordx2 s[12:13], s[0:1], 0x30
	s_mov_b32 s22, s3
	s_mov_b64 s[6:7], 0
	s_waitcnt lgkmcnt(0)
	s_cmp_lg_u64 s[12:13], 0
	s_cselect_b64 s[14:15], -1, 0
	s_and_b64 vcc, exec, s[14:15]
	s_cbranch_vccz .LBB1041_7
; %bb.1:
	s_add_i32 s8, s2, 1
	s_mov_b32 s9, 0
	s_lshl_b64 s[10:11], s[8:9], 2
	s_add_u32 s10, s12, s10
	s_mov_b32 s3, s9
	s_addc_u32 s11, s13, s11
	s_lshl_b64 s[8:9], s[2:3], 2
	s_add_u32 s8, s12, s8
	s_addc_u32 s9, s13, s9
	s_load_dword s5, s[10:11], 0x0
	s_load_dword s16, s[8:9], 0x0
	s_waitcnt lgkmcnt(0)
	s_sub_i32 s5, s5, s16
	s_cmp_eq_u32 s5, 1
	s_cselect_b64 s[8:9], -1, 0
	s_andn2_b64 vcc, exec, s[6:7]
	s_cbranch_vccnz .LBB1041_3
.LBB1041_2:
	s_mov_b32 s3, 0
	s_mov_b64 s[8:9], -1
.LBB1041_3:
	s_andn2_b64 vcc, exec, s[8:9]
	s_cbranch_vccnz .LBB1041_18
; %bb.4:
	s_load_dwordx2 s[6:7], s[0:1], 0x28
	s_lshl_b64 s[16:17], s[2:3], 2
	s_waitcnt lgkmcnt(0)
	s_add_u32 s6, s6, s16
	s_addc_u32 s7, s7, s17
	s_load_dword s5, s[6:7], 0x0
	s_lshl_b32 s18, s22, 8
	s_waitcnt lgkmcnt(0)
	s_cmp_ge_i32 s18, s5
	s_cbranch_scc1 .LBB1041_18
; %bb.5:
	s_load_dwordx2 s[6:7], s[0:1], 0x20
	s_load_dword s8, s[0:1], 0x38
	s_add_i32 s9, s5, 31
	s_ashr_i32 s10, s9, 31
	v_and_b32_e32 v1, 0xcf, v0
	s_lshr_b32 s10, s10, 27
	v_add_u32_e32 v1, s18, v1
	s_add_i32 s9, s9, s10
	v_ashrrev_i32_e32 v2, 31, v1
	s_ashr_i32 s19, s9, 5
	v_lshrrev_b32_e32 v6, 27, v2
	s_add_i32 s19, s19, -1
	s_waitcnt lgkmcnt(0)
	s_mul_i32 s8, s2, s8
	s_mov_b32 s9, 0
	v_add_u32_e32 v2, v1, v6
	s_lshl_b64 s[8:9], s[8:9], 2
	v_ashrrev_i32_e32 v2, 5, v2
	v_mov_b32_e32 v7, s19
	v_cmp_gt_i32_e32 vcc, s5, v1
	s_add_u32 s6, s6, s8
	s_addc_u32 s7, s7, s9
	v_cndmask_b32_e32 v2, v7, v2, vcc
	v_ashrrev_i32_e32 v3, 31, v2
	v_lshl_add_u64 v[4:5], v[2:3], 2, s[6:7]
	v_or_b32_e32 v2, 16, v1
	v_add_u32_e32 v3, v2, v6
	v_ashrrev_i32_e32 v3, 5, v3
	v_cmp_gt_i32_e32 vcc, s5, v2
	s_load_dwordx4 s[8:11], s[0:1], 0x8
	s_nop 0
	v_cndmask_b32_e32 v2, v7, v3, vcc
	v_ashrrev_i32_e32 v3, 31, v2
	v_lshl_add_u64 v[8:9], v[2:3], 2, s[6:7]
	v_or_b32_e32 v2, 32, v1
	v_add_u32_e32 v3, v2, v6
	v_ashrrev_i32_e32 v3, 5, v3
	v_cmp_gt_i32_e32 vcc, s5, v2
	v_or_b32_e32 v1, 48, v1
	s_nop 0
	v_cndmask_b32_e32 v2, v7, v3, vcc
	v_ashrrev_i32_e32 v3, 31, v2
	v_lshl_add_u64 v[10:11], v[2:3], 2, s[6:7]
	v_add_u32_e32 v2, v1, v6
	v_ashrrev_i32_e32 v2, 5, v2
	v_cmp_gt_i32_e32 vcc, s5, v1
	s_nop 1
	v_cndmask_b32_e32 v2, v7, v2, vcc
	v_ashrrev_i32_e32 v3, 31, v2
	v_lshl_add_u64 v[12:13], v[2:3], 2, s[6:7]
	global_load_dword v2, v[4:5], off
	global_load_dword v6, v[8:9], off
	;; [unrolled: 1-line block ×4, first 2 shown]
	s_andn2_b64 vcc, exec, s[14:15]
	s_cbranch_vccnz .LBB1041_8
; %bb.6:
	s_add_u32 s12, s12, s16
	s_addc_u32 s13, s13, s17
	s_load_dword s14, s[12:13], 0x0
	s_branch .LBB1041_9
.LBB1041_7:
	s_mov_b64 s[8:9], 0
	s_branch .LBB1041_2
.LBB1041_8:
	s_mov_b32 s14, s2
.LBB1041_9:
	s_load_dwordx4 s[44:47], s[0:1], 0x48
	v_lshrrev_b32_e32 v57, 6, v0
	v_bfe_u32 v60, v0, 4, 2
	v_and_b32_e32 v56, 15, v0
	v_lshl_or_b32 v3, v57, 2, v60
	v_lshlrev_b32_e32 v1, 3, v56
	v_and_b32_e32 v61, 63, v0
	s_mul_i32 s48, s4, 14
	v_cmp_gt_u32_e32 vcc, 14, v3
	v_lshlrev_b32_e32 v54, 1, v1
	v_lshlrev_b32_e32 v1, 4, v0
	s_and_saveexec_b64 s[12:13], vcc
	s_cbranch_execz .LBB1041_11
; %bb.10:
	s_load_dwordx2 s[16:17], s[0:1], 0x0
	s_waitcnt lgkmcnt(0)
	s_ashr_i32 s15, s44, 31
	s_mul_hi_u32 s20, s14, s44
	s_mul_i32 s15, s14, s15
	s_add_i32 s15, s20, s15
	s_mul_i32 s14, s14, s44
	s_lshl_b64 s[14:15], s[14:15], 1
	s_add_u32 s14, s16, s14
	v_add_lshl_u32 v4, v3, s48, 7
	s_addc_u32 s15, s17, s15
	v_ashrrev_i32_e32 v5, 31, v4
	v_lshl_add_u64 v[4:5], v[4:5], 1, s[14:15]
	v_mov_b32_e32 v55, 0
	v_lshl_add_u64 v[4:5], v[4:5], 0, v[54:55]
	global_load_dwordx4 v[8:11], v[4:5], off
	v_lshlrev_b32_e32 v5, 8, v0
	v_lshlrev_b32_e32 v4, 8, v56
	v_and_b32_e32 v5, 0x600, v5
	s_movk_i32 s14, 0x800
	v_and_or_b32 v4, v4, s14, v5
	v_lshlrev_b32_e32 v3, 5, v3
	v_and_b32_e32 v5, 16, v1
	v_or3_b32 v3, v4, v3, v5
	s_waitcnt vmcnt(0)
	ds_write_b128 v3, v[8:11]
.LBB1041_11:
	s_or_b64 exec, exec, s[12:13]
	s_waitcnt lgkmcnt(0)
	s_mul_i32 s12, s4, s46
	s_add_u32 s8, s8, s12
	s_addc_u32 s9, s9, 0
	v_mov_b32_e32 v59, 0
	v_mov_b64_e32 v[4:5], s[8:9]
	v_and_b32_e32 v7, 48, v0
	s_waitcnt vmcnt(3)
	v_mad_i64_i32 v[8:9], s[8:9], v2, s45, v[4:5]
	v_lshlrev_b32_e32 v2, 4, v56
	v_mov_b32_e32 v3, v59
	v_lshlrev_b32_e32 v58, 5, v7
	v_lshl_add_u64 v[8:9], v[8:9], 0, v[2:3]
	v_lshl_add_u64 v[8:9], v[8:9], 0, v[58:59]
	s_load_dword s23, s[0:1], 0x98
	s_load_dwordx4 s[40:43], s[0:1], 0x80
	s_waitcnt lgkmcnt(0)
	s_barrier
	global_load_dwordx4 v[10:13], v[8:9], off
	global_load_dwordx4 v[30:33], v[8:9], off offset:2048
	v_add_u32_e32 v14, -14, v56
	v_cmp_gt_u32_e32 vcc, 14, v56
	s_ashr_i32 s8, s18, 31
	v_or_b32_e32 v24, 0x100, v2
	v_cndmask_b32_e32 v8, v14, v56, vcc
	v_mov_b32_e32 v25, v59
	s_lshr_b32 s13, s8, 27
	s_waitcnt vmcnt(4)
	v_mad_i64_i32 v[34:35], s[8:9], v6, s45, v[4:5]
	v_or_b32_e32 v39, s18, v7
	v_lshlrev_b32_e32 v7, 5, v8
	v_lshl_add_u64 v[34:35], v[34:35], 0, v[24:25]
	v_lshl_add_u32 v7, v60, 9, v7
	v_lshl_add_u64 v[34:35], v[34:35], 0, v[58:59]
	ds_read_b128 v[26:29], v7
	ds_read_b128 v[18:21], v7 offset:16
	ds_read_b128 v[14:17], v7 offset:2048
	;; [unrolled: 1-line block ×3, first 2 shown]
	global_load_dwordx4 v[46:49], v[34:35], off
	v_or_b32_e32 v41, 0x80, v39
	v_or_b32_e32 v51, 0xc0, v39
	s_waitcnt vmcnt(4)
	v_mad_i64_i32 v[36:37], s[8:9], v22, s45, v[4:5]
	s_waitcnt vmcnt(3)
	v_mad_i64_i32 v[4:5], s[8:9], v23, s45, v[4:5]
	v_add_u32_e32 v42, s13, v41
	v_add_u32_e32 v43, s13, v51
	v_lshl_add_u64 v[4:5], v[4:5], 0, v[24:25]
	v_ashrrev_i32_e32 v24, 5, v42
	v_ashrrev_i32_e32 v25, 5, v43
	global_load_dwordx4 v[42:45], v[34:35], off offset:2048
	v_or_b32_e32 v40, 64, v39
	v_add_u32_e32 v22, s13, v39
	v_mov_b32_e32 v38, s19
	v_add_u32_e32 v23, s13, v40
	v_ashrrev_i32_e32 v22, 5, v22
	v_cmp_gt_i32_e32 vcc, s5, v39
	v_ashrrev_i32_e32 v23, 5, v23
	v_lshl_add_u64 v[2:3], v[36:37], 0, v[2:3]
	v_cndmask_b32_e32 v50, v38, v22, vcc
	v_cmp_gt_i32_e32 vcc, s5, v40
	v_lshl_add_u64 v[2:3], v[2:3], 0, v[58:59]
	v_lshl_add_u64 v[36:37], v[4:5], 0, v[58:59]
	v_cndmask_b32_e32 v52, v38, v23, vcc
	v_cmp_gt_i32_e32 vcc, s5, v41
	v_ashrrev_i32_e32 v53, 31, v52
	v_lshl_add_u64 v[52:53], v[52:53], 2, s[6:7]
	v_cndmask_b32_e32 v62, v38, v24, vcc
	v_cmp_gt_i32_e32 vcc, s5, v51
	v_ashrrev_i32_e32 v51, 31, v50
	v_ashrrev_i32_e32 v63, 31, v62
	v_cndmask_b32_e32 v64, v38, v25, vcc
	global_load_dwordx4 v[22:25], v[2:3], off
	s_nop 0
	global_load_dwordx4 v[2:5], v[2:3], off offset:2048
	s_nop 0
	global_load_dwordx4 v[38:41], v[36:37], off
	s_nop 0
	global_load_dwordx4 v[34:37], v[36:37], off offset:2048
	v_ashrrev_i32_e32 v65, 31, v64
	v_lshl_add_u64 v[50:51], v[50:51], 2, s[6:7]
	v_lshl_add_u64 v[66:67], v[62:63], 2, s[6:7]
	;; [unrolled: 1-line block ×3, first 2 shown]
	global_load_dword v65, v[50:51], off
	global_load_dword v63, v[52:53], off
	;; [unrolled: 1-line block ×4, first 2 shown]
	s_add_u32 s6, s10, s12
	s_addc_u32 s7, s11, 0
	v_and_b32_e32 v58, 16, v0
	v_lshl_or_b32 v64, v57, 4, v56
	s_load_dword s4, s[0:1], 0x1c
	s_mov_b32 s33, 0xff7fffff
	s_waitcnt vmcnt(11)
	v_cvt_pk_f32_fp8_e32 v[50:51], v10
	v_cvt_pk_f32_fp8_sdwa v[52:53], v10 src0_sel:WORD_1
	v_cvt_pk_f32_fp8_e32 v[66:67], v11
	v_cvt_pk_f32_fp8_sdwa v[10:11], v11 src0_sel:WORD_1
	v_cvt_pkrtz_f16_f32 v50, v50, v51
	v_cvt_pkrtz_f16_f32 v51, v52, v53
	v_cvt_pk_f32_fp8_e32 v[68:69], v12
	v_cvt_pk_f32_fp8_sdwa v[70:71], v12 src0_sel:WORD_1
	v_cvt_pkrtz_f16_f32 v66, v66, v67
	v_cvt_pkrtz_f16_f32 v67, v10, v11
	s_waitcnt lgkmcnt(0)
	v_mfma_f32_16x16x16_f16 v[50:53], v[50:51], v[26:27], 0
	v_cvt_pk_f32_fp8_e32 v[72:73], v13
	v_cvt_pk_f32_fp8_sdwa v[74:75], v13 src0_sel:WORD_1
	v_cvt_pkrtz_f16_f32 v68, v68, v69
	v_cvt_pkrtz_f16_f32 v69, v70, v71
	v_mfma_f32_16x16x16_f16 v[10:13], v[66:67], v[28:29], v[50:53]
	s_waitcnt vmcnt(10)
	v_cvt_pk_f32_fp8_sdwa v[66:67], v30 src0_sel:WORD_1
	s_waitcnt vmcnt(6)
	v_cvt_pk_f32_fp8_sdwa v[78:79], v5 src0_sel:WORD_1
	v_cvt_pkrtz_f16_f32 v50, v72, v73
	v_cvt_pk_f32_fp8_e32 v[52:53], v30
	v_cvt_pkrtz_f16_f32 v51, v74, v75
	v_mfma_f32_16x16x16_f16 v[10:13], v[68:69], v[18:19], v[10:13]
	v_cvt_pk_f32_fp8_sdwa v[68:69], v42 src0_sel:WORD_1
	v_cvt_pkrtz_f16_f32 v52, v52, v53
	v_cvt_pkrtz_f16_f32 v53, v66, v67
	v_cvt_pk_f32_fp8_e32 v[66:67], v31
	v_cvt_pk_f32_fp8_sdwa v[30:31], v31 src0_sel:WORD_1
	v_mfma_f32_16x16x16_f16 v[10:13], v[50:51], v[20:21], v[10:13]
	v_cvt_pk_f32_fp8_e32 v[72:73], v3
	v_cvt_pkrtz_f16_f32 v50, v66, v67
	v_cvt_pkrtz_f16_f32 v51, v30, v31
	v_mfma_f32_16x16x16_f16 v[10:13], v[52:53], v[14:15], v[10:13]
	v_cvt_pk_f32_fp8_e32 v[30:31], v32
	v_cvt_pk_f32_fp8_sdwa v[52:53], v32 src0_sel:WORD_1
	v_cvt_pk_f32_fp8_sdwa v[66:67], v46 src0_sel:WORD_1
	v_mfma_f32_16x16x16_f16 v[10:13], v[50:51], v[16:17], v[10:13]
	v_cvt_pkrtz_f16_f32 v30, v30, v31
	v_cvt_pkrtz_f16_f32 v31, v52, v53
	v_cvt_pk_f32_fp8_e32 v[50:51], v33
	v_cvt_pk_f32_fp8_sdwa v[32:33], v33 src0_sel:WORD_1
	v_cvt_pk_f32_fp8_e32 v[52:53], v46
	v_mfma_f32_16x16x16_f16 v[10:13], v[30:31], v[6:7], v[10:13]
	v_cvt_pkrtz_f16_f32 v50, v50, v51
	v_cvt_pkrtz_f16_f32 v51, v32, v33
	;; [unrolled: 1-line block ×4, first 2 shown]
	v_cvt_pk_f32_fp8_e32 v[32:33], v47
	v_cvt_pk_f32_fp8_sdwa v[46:47], v47 src0_sel:WORD_1
	v_mfma_f32_16x16x16_f16 v[50:53], v[50:51], v[8:9], v[10:13]
	v_cvt_pk_f32_fp8_sdwa v[66:67], v48 src0_sel:WORD_1
	v_cvt_pkrtz_f16_f32 v32, v32, v33
	v_cvt_pkrtz_f16_f32 v33, v46, v47
	v_mfma_f32_16x16x16_f16 v[10:13], v[30:31], v[26:27], 0
	v_cvt_pk_f32_fp8_e32 v[30:31], v48
	v_lshl_add_u64 v[46:47], s[6:7], 0, v[58:59]
	v_lshlrev_b32_e32 v58, 5, v64
	v_mfma_f32_16x16x16_f16 v[10:13], v[32:33], v[28:29], v[10:13]
	v_cvt_pk_f32_fp8_e32 v[32:33], v49
	v_cvt_pkrtz_f16_f32 v30, v30, v31
	v_cvt_pkrtz_f16_f32 v31, v66, v67
	v_cvt_pk_f32_fp8_sdwa v[48:49], v49 src0_sel:WORD_1
	v_cvt_pkrtz_f16_f32 v32, v32, v33
	v_cvt_pk_f32_fp8_e32 v[66:67], v42
	v_mfma_f32_16x16x16_f16 v[10:13], v[30:31], v[18:19], v[10:13]
	v_cvt_pkrtz_f16_f32 v33, v48, v49
	v_cvt_pkrtz_f16_f32 v30, v66, v67
	v_cvt_pkrtz_f16_f32 v31, v68, v69
	v_cvt_pk_f32_fp8_e32 v[48:49], v43
	v_cvt_pk_f32_fp8_sdwa v[42:43], v43 src0_sel:WORD_1
	v_mfma_f32_16x16x16_f16 v[10:13], v[32:33], v[20:21], v[10:13]
	v_lshl_add_u64 v[66:67], v[46:47], 0, v[58:59]
	v_cvt_pkrtz_f16_f32 v32, v48, v49
	v_cvt_pkrtz_f16_f32 v33, v42, v43
	v_mfma_f32_16x16x16_f16 v[10:13], v[30:31], v[14:15], v[10:13]
	v_cvt_pk_f32_fp8_e32 v[30:31], v44
	v_cvt_pk_f32_fp8_sdwa v[42:43], v44 src0_sel:WORD_1
	v_cvt_pk_f32_fp8_sdwa v[48:49], v22 src0_sel:WORD_1
	v_mfma_f32_16x16x16_f16 v[10:13], v[32:33], v[16:17], v[10:13]
	v_cvt_pkrtz_f16_f32 v30, v30, v31
	v_cvt_pkrtz_f16_f32 v31, v42, v43
	v_cvt_pk_f32_fp8_e32 v[32:33], v45
	v_cvt_pk_f32_fp8_sdwa v[42:43], v45 src0_sel:WORD_1
	v_cvt_pk_f32_fp8_e32 v[44:45], v22
	v_mfma_f32_16x16x16_f16 v[10:13], v[30:31], v[6:7], v[10:13]
	v_cvt_pkrtz_f16_f32 v32, v32, v33
	v_cvt_pkrtz_f16_f32 v33, v42, v43
	;; [unrolled: 1-line block ×4, first 2 shown]
	v_cvt_pk_f32_fp8_e32 v[48:49], v23
	v_cvt_pk_f32_fp8_sdwa v[22:23], v23 src0_sel:WORD_1
	v_mfma_f32_16x16x16_f16 v[42:45], v[32:33], v[8:9], v[10:13]
	s_waitcnt vmcnt(2)
	v_mad_i64_i32 v[68:69], s[6:7], v63, s45, v[66:67]
	v_cvt_pkrtz_f16_f32 v32, v48, v49
	v_cvt_pkrtz_f16_f32 v33, v22, v23
	v_mfma_f32_16x16x16_f16 v[10:13], v[30:31], v[26:27], 0
	v_cvt_pk_f32_fp8_e32 v[22:23], v24
	v_cvt_pk_f32_fp8_sdwa v[30:31], v24 src0_sel:WORD_1
	v_mad_i64_i32 v[48:49], s[6:7], v65, s45, v[66:67]
	v_cvt_pkrtz_f16_f32 v22, v22, v23
	v_cvt_pkrtz_f16_f32 v23, v30, v31
	v_cvt_pk_f32_fp8_e32 v[30:31], v25
	v_cvt_pk_f32_fp8_sdwa v[24:25], v25 src0_sel:WORD_1
	v_mfma_f32_16x16x16_f16 v[10:13], v[32:33], v[28:29], v[10:13]
	s_waitcnt vmcnt(0)
	v_mad_i64_i32 v[74:75], s[6:7], v62, s45, v[66:67]
	v_cvt_pkrtz_f16_f32 v70, v30, v31
	v_cvt_pkrtz_f16_f32 v71, v24, v25
	v_mfma_f32_16x16x16_f16 v[10:13], v[22:23], v[18:19], v[10:13]
	global_load_dwordx4 v[30:33], v[48:49], off
	global_load_dwordx4 v[22:25], v[68:69], off
	v_cvt_pk_f32_fp8_e32 v[68:69], v2
	v_mad_i64_i32 v[48:49], s[6:7], v55, s45, v[66:67]
	v_mfma_f32_16x16x16_f16 v[10:13], v[70:71], v[20:21], v[10:13]
	v_cvt_pk_f32_fp8_sdwa v[70:71], v2 src0_sel:WORD_1
	v_cvt_pk_f32_fp8_sdwa v[2:3], v3 src0_sel:WORD_1
	v_cvt_pkrtz_f16_f32 v68, v68, v69
	v_or_b32_e32 v58, 0x800, v58
	v_cvt_pkrtz_f16_f32 v69, v70, v71
	v_cvt_pkrtz_f16_f32 v70, v72, v73
	;; [unrolled: 1-line block ×3, first 2 shown]
	v_cvt_pk_f32_fp8_e32 v[2:3], v4
	v_cvt_pk_f32_fp8_sdwa v[72:73], v4 src0_sel:WORD_1
	v_mfma_f32_16x16x16_f16 v[66:69], v[68:69], v[14:15], v[10:13]
	v_lshl_add_u64 v[46:47], v[46:47], 0, v[58:59]
	v_cvt_pkrtz_f16_f32 v76, v2, v3
	v_cvt_pkrtz_f16_f32 v77, v72, v73
	v_cvt_pk_f32_fp8_e32 v[72:73], v5
	v_mfma_f32_16x16x16_f16 v[66:69], v[70:71], v[16:17], v[66:69]
	global_load_dwordx4 v[10:13], v[48:49], off
	global_load_dwordx4 v[2:5], v[74:75], off
	v_cvt_pkrtz_f16_f32 v49, v78, v79
	v_cvt_pkrtz_f16_f32 v48, v72, v73
	v_mfma_f32_16x16x16_f16 v[66:69], v[76:77], v[6:7], v[66:69]
	v_cvt_pk_f32_fp8_e32 v[58:59], v38
	v_cvt_pk_f32_fp8_sdwa v[70:71], v38 src0_sel:WORD_1
	v_cvt_pk_f32_fp8_e32 v[74:75], v40
	v_mfma_f32_16x16x16_f16 v[66:69], v[48:49], v[8:9], v[66:69]
	v_cvt_pk_f32_fp8_e32 v[48:49], v39
	v_cvt_pkrtz_f16_f32 v58, v58, v59
	v_cvt_pkrtz_f16_f32 v59, v70, v71
	v_cvt_pk_f32_fp8_sdwa v[38:39], v39 src0_sel:WORD_1
	v_cvt_pkrtz_f16_f32 v48, v48, v49
	v_cvt_pk_f32_fp8_sdwa v[76:77], v40 src0_sel:WORD_1
	v_mfma_f32_16x16x16_f16 v[70:73], v[58:59], v[26:27], 0
	v_cvt_pkrtz_f16_f32 v49, v38, v39
	v_cvt_pkrtz_f16_f32 v38, v74, v75
	;; [unrolled: 1-line block ×3, first 2 shown]
	v_cvt_pk_f32_fp8_e32 v[58:59], v41
	v_cvt_pk_f32_fp8_sdwa v[40:41], v41 src0_sel:WORD_1
	v_mfma_f32_16x16x16_f16 v[26:29], v[48:49], v[28:29], v[70:73]
	s_load_dword s6, s[40:41], 0x0
	v_cvt_pkrtz_f16_f32 v48, v58, v59
	v_cvt_pkrtz_f16_f32 v49, v40, v41
	v_mfma_f32_16x16x16_f16 v[26:29], v[38:39], v[18:19], v[26:29]
	v_mov_b32_e32 v70, s4
	s_waitcnt lgkmcnt(0)
	v_mul_f32_e32 v40, s6, v70
	v_pk_mul_f32 v[38:39], v[40:41], v[52:53] op_sel_hi:[0,1]
	v_mfma_f32_16x16x16_f16 v[18:21], v[48:49], v[20:21], v[26:29]
	v_cvt_pk_f32_fp8_e32 v[48:49], v35
	v_pk_mul_f32 v[50:51], v[40:41], v[50:51] op_sel_hi:[0,1]
	v_pk_mul_f32 v[52:53], v[40:41], v[42:43] op_sel_hi:[0,1]
	v_cvt_pk_f32_fp8_e32 v[26:27], v34
	v_cvt_pk_f32_fp8_sdwa v[28:29], v34 src0_sel:WORD_1
	v_cvt_pk_f32_fp8_sdwa v[34:35], v35 src0_sel:WORD_1
	v_pk_mul_f32 v[42:43], v[40:41], v[66:67] op_sel_hi:[0,1]
	v_cvt_pkrtz_f16_f32 v26, v26, v27
	v_cvt_pkrtz_f16_f32 v27, v28, v29
	;; [unrolled: 1-line block ×4, first 2 shown]
	v_cvt_pk_f32_fp8_e32 v[34:35], v36
	v_cvt_pk_f32_fp8_sdwa v[48:49], v36 src0_sel:WORD_1
	v_mfma_f32_16x16x16_f16 v[18:21], v[26:27], v[14:15], v[18:21]
	v_mad_i64_i32 v[58:59], s[6:7], v65, s45, v[46:47]
	v_cvt_pkrtz_f16_f32 v26, v34, v35
	v_cvt_pkrtz_f16_f32 v27, v48, v49
	v_cvt_pk_f32_fp8_e32 v[34:35], v37
	v_cvt_pk_f32_fp8_sdwa v[36:37], v37 src0_sel:WORD_1
	v_mfma_f32_16x16x16_f16 v[14:17], v[28:29], v[16:17], v[18:21]
	v_pk_mul_f32 v[48:49], v[40:41], v[44:45] op_sel_hi:[0,1]
	v_pk_mul_f32 v[44:45], v[40:41], v[68:69] op_sel_hi:[0,1]
	s_nop 0
	v_cvt_pkrtz_f16_f32 v18, v34, v35
	v_cvt_pkrtz_f16_f32 v19, v36, v37
	v_mfma_f32_16x16x16_f16 v[14:17], v[26:27], v[6:7], v[14:17]
	s_nop 0
	v_mfma_f32_16x16x16_f16 v[6:9], v[18:19], v[8:9], v[14:17]
	s_nop 6
	v_pk_mul_f32 v[34:35], v[40:41], v[8:9] op_sel_hi:[0,1]
	v_pk_mul_f32 v[40:41], v[40:41], v[6:7] op_sel_hi:[0,1]
	v_and_b32_e32 v6, 0xc0, v0
	v_add_u32_e32 v6, s18, v6
	v_lshl_or_b32 v6, v60, 2, v6
	v_or_b32_e32 v9, 1, v6
	v_mov_b32_e32 v7, 0xff7fffff
	v_cmp_gt_i32_e64 s[24:25], s5, v6
	v_cmp_gt_i32_e64 s[26:27], s5, v9
	v_or_b32_e32 v14, 3, v6
	v_cndmask_b32_e64 v8, v7, v50, s[24:25]
	v_cndmask_b32_e64 v9, v7, v51, s[26:27]
	v_max3_f32 v8, v8, s33, v9
	v_or_b32_e32 v9, 2, v6
	v_cmp_gt_i32_e64 s[28:29], s5, v9
	v_cmp_gt_i32_e64 s[30:31], s5, v14
	s_nop 0
	v_cndmask_b32_e64 v9, v7, v38, s[28:29]
	v_cndmask_b32_e64 v14, v7, v39, s[30:31]
	v_max3_f32 v8, v8, v9, v14
	v_or_b32_e32 v9, 16, v6
	v_or_b32_e32 v14, 17, v6
	v_cmp_gt_i32_e64 s[34:35], s5, v9
	v_cmp_gt_i32_e64 s[36:37], s5, v14
	s_nop 0
	v_cndmask_b32_e64 v9, v7, v52, s[34:35]
	v_cndmask_b32_e64 v14, v7, v53, s[36:37]
	v_max3_f32 v8, v8, v9, v14
	v_or_b32_e32 v9, 18, v6
	;; [unrolled: 8-line block ×6, first 2 shown]
	v_or_b32_e32 v6, 51, v6
	v_cmp_gt_i32_e32 vcc, s5, v9
	v_cmp_gt_i32_e64 s[4:5], s5, v6
	s_nop 0
	v_cndmask_b32_e32 v9, v7, v34, vcc
	v_cndmask_b32_e64 v6, v7, v35, s[4:5]
	v_max3_f32 v8, v8, v9, v6
	v_mbcnt_lo_u32_b32 v6, -1, 0
	v_mbcnt_hi_u32_b32 v9, -1, v6
	v_and_b32_e32 v6, 64, v9
	v_add_u32_e32 v14, 64, v6
	v_xor_b32_e32 v6, 32, v9
	v_cmp_lt_i32_e64 s[38:39], v6, v14
	s_nop 1
	v_cndmask_b32_e64 v6, v9, v6, s[38:39]
	v_lshlrev_b32_e32 v65, 2, v6
	ds_bpermute_b32 v15, v65, v8
	v_mad_i64_i32 v[6:7], s[38:39], v63, s45, v[46:47]
	global_load_dwordx4 v[26:29], v[58:59], off
	global_load_dwordx4 v[18:21], v[6:7], off
	s_waitcnt lgkmcnt(0)
	v_max_f32_e32 v6, v15, v15
	v_max_f32_e32 v15, v8, v6
	v_xor_b32_e32 v6, 16, v9
	v_cmp_lt_i32_e64 s[38:39], v6, v14
	s_nop 1
	v_cndmask_b32_e64 v6, v9, v6, s[38:39]
	v_lshlrev_b32_e32 v58, 2, v6
	ds_bpermute_b32 v14, v58, v15
	v_mad_i64_i32 v[6:7], s[38:39], v55, s45, v[46:47]
	v_mad_i64_i32 v[8:9], s[38:39], v62, s45, v[46:47]
	s_waitcnt lgkmcnt(0)
	v_max_f32_e32 v14, v14, v14
	v_max_f32_e32 v55, v15, v14
	v_sub_f32_e32 v14, v50, v55
	v_mul_f32_e32 v14, 0x3fb8aa3b, v14
	v_exp_f32_e32 v36, v14
	v_sub_f32_e32 v14, v51, v55
	v_mul_f32_e32 v14, 0x3fb8aa3b, v14
	v_exp_f32_e32 v37, v14
	global_load_dwordx4 v[14:17], v[6:7], off
	s_nop 0
	global_load_dwordx4 v[6:9], v[8:9], off
	v_sub_f32_e32 v38, v38, v55
	v_mul_f32_e32 v38, 0x3fb8aa3b, v38
	v_sub_f32_e32 v39, v39, v55
	v_exp_f32_e32 v38, v38
	v_mul_f32_e32 v39, 0x3fb8aa3b, v39
	v_exp_f32_e32 v39, v39
	v_cndmask_b32_e64 v36, 0, v36, s[24:25]
	v_add_f32_e32 v46, 0, v36
	v_cndmask_b32_e64 v37, 0, v37, s[26:27]
	v_add_f32_e32 v47, v46, v37
	v_cndmask_b32_e64 v46, 0, v38, s[28:29]
	v_add_f32_e32 v38, v47, v46
	v_cndmask_b32_e64 v47, 0, v39, s[30:31]
	v_sub_f32_e32 v39, v52, v55
	v_mul_f32_e32 v39, 0x3fb8aa3b, v39
	v_sub_f32_e32 v50, v53, v55
	v_exp_f32_e32 v39, v39
	v_mul_f32_e32 v50, 0x3fb8aa3b, v50
	v_sub_f32_e32 v48, v48, v55
	v_exp_f32_e32 v50, v50
	;; [unrolled: 3-line block ×4, first 2 shown]
	v_mul_f32_e32 v42, 0x3fb8aa3b, v42
	v_sub_f32_e32 v43, v43, v55
	v_add_f32_e32 v51, v38, v47
	v_cndmask_b32_e64 v38, 0, v39, s[34:35]
	v_exp_f32_e32 v42, v42
	v_mul_f32_e32 v43, 0x3fb8aa3b, v43
	v_sub_f32_e32 v44, v44, v55
	v_add_f32_e32 v51, v51, v38
	v_cndmask_b32_e64 v39, 0, v50, s[36:37]
	v_exp_f32_e32 v43, v43
	;; [unrolled: 5-line block ×7, first 2 shown]
	v_mul_f32_e32 v35, 0x3fb8aa3b, v35
	v_add_f32_e32 v50, v50, v44
	v_cndmask_b32_e64 v45, 0, v45, s[12:13]
	v_exp_f32_e32 v35, v35
	v_add_f32_e32 v50, v50, v45
	v_cndmask_b32_e64 v40, 0, v40, s[6:7]
	v_add_f32_e32 v50, v50, v40
	v_cndmask_b32_e64 v41, 0, v41, s[8:9]
	v_add_f32_e32 v50, v50, v41
	v_cndmask_b32_e32 v34, 0, v34, vcc
	v_add_f32_e32 v50, v50, v34
	v_cndmask_b32_e64 v35, 0, v35, s[4:5]
	v_add_f32_e32 v50, v50, v35
	ds_bpermute_b32 v51, v65, v50
	v_cmp_gt_u32_e32 vcc, 16, v61
	s_waitcnt lgkmcnt(0)
	s_barrier
	v_add_f32_e32 v50, v50, v51
	ds_bpermute_b32 v51, v58, v50
	s_and_saveexec_b64 s[4:5], vcc
	s_cbranch_execz .LBB1041_13
; %bb.12:
	s_waitcnt lgkmcnt(0)
	v_add_f32_e32 v50, v50, v51
	v_lshlrev_b32_e32 v51, 2, v64
	ds_write2st64_b32 v51, v55, v50 offset1:1
.LBB1041_13:
	s_or_b64 exec, exec, s[4:5]
	s_waitcnt lgkmcnt(0)
	v_lshlrev_b32_e32 v51, 2, v56
	s_load_dword s6, s[0:1], 0x94
	s_waitcnt lgkmcnt(0)
	s_barrier
	ds_read2_b32 v[52:53], v51 offset1:16
	ds_read2_b32 v[58:59], v51 offset0:32 offset1:48
	ds_read2_b32 v[62:63], v51 offset0:64 offset1:80
	s_mul_i32 s7, s23, 14
	s_waitcnt lgkmcnt(2)
	v_max3_f32 v50, v52, s33, v53
	s_waitcnt lgkmcnt(1)
	v_max3_f32 v50, v50, v58, v59
	v_sub_f32_e32 v52, v52, v50
	v_mul_f32_e32 v52, 0x3fb8aa3b, v52
	v_exp_f32_e32 v55, v52
	v_sub_f32_e32 v52, v53, v50
	v_mul_f32_e32 v52, 0x3fb8aa3b, v52
	v_exp_f32_e32 v61, v52
	;; [unrolled: 3-line block ×3, first 2 shown]
	ds_read2_b32 v[52:53], v51 offset0:96 offset1:112
	v_sub_f32_e32 v51, v59, v50
	v_mul_f32_e32 v51, 0x3fb8aa3b, v51
	v_exp_f32_e32 v59, v51
	s_waitcnt lgkmcnt(1)
	v_fma_f32 v51, v55, v62, 0
	v_fmac_f32_e32 v51, v61, v63
	s_waitcnt lgkmcnt(0)
	v_fmac_f32_e32 v51, v58, v52
	v_fmac_f32_e32 v51, v59, v53
	v_add_f32_e32 v52, 0x358637bd, v51
	v_div_scale_f32 v53, s[4:5], v52, v52, 1.0
	v_rcp_f32_e32 v62, v53
	s_barrier
	v_fma_f32 v63, -v53, v62, 1.0
	v_fmac_f32_e32 v62, v63, v62
	v_div_scale_f32 v63, vcc, 1.0, v52, 1.0
	v_mul_f32_e32 v64, v63, v62
	v_fma_f32 v65, -v53, v64, v63
	v_fmac_f32_e32 v64, v65, v62
	v_fma_f32 v53, -v53, v64, v63
	v_div_fmas_f32 v53, v53, v62, v64
	v_cmp_eq_u32_e32 vcc, 1, v57
	v_div_fixup_f32 v52, v53, v52, 1.0
	s_nop 0
	v_cndmask_b32_e32 v53, v55, v61, vcc
	v_cmp_eq_u32_e32 vcc, 2, v57
	s_nop 1
	v_cndmask_b32_e32 v53, v53, v58, vcc
	v_cmp_eq_u32_e32 vcc, 3, v57
	s_nop 1
	v_cndmask_b32_e32 v53, v53, v59, vcc
	v_mul_f32_e32 v52, v53, v52
	v_pk_mul_f32 v[46:47], v[52:53], v[46:47] op_sel_hi:[0,1]
	v_pk_mul_f32 v[36:37], v[52:53], v[36:37] op_sel_hi:[0,1]
	v_cvt_f16_f32_e32 v53, v46
	v_cvt_f16_f32_e32 v36, v36
	;; [unrolled: 1-line block ×4, first 2 shown]
	v_pk_mul_f32 v[48:49], v[52:53], v[48:49] op_sel_hi:[0,1]
	v_pk_mul_f32 v[38:39], v[52:53], v[38:39] op_sel_hi:[0,1]
	v_cvt_f16_f32_e32 v38, v38
	v_cvt_f16_f32_e32 v39, v39
	;; [unrolled: 1-line block ×4, first 2 shown]
	v_pack_b32_f16 v46, v36, v37
	v_pack_b32_f16 v47, v53, v47
	v_lshlrev_b32_e32 v37, 3, v60
	v_lshlrev_b32_e32 v36, 5, v56
	;; [unrolled: 1-line block ×3, first 2 shown]
	v_or3_b32 v55, v53, v36, v37
	v_pack_b32_f16 v38, v38, v39
	v_pack_b32_f16 v39, v48, v49
	ds_write2st64_b64 v55, v[46:47], v[38:39] offset1:1
	v_pk_mul_f32 v[38:39], v[52:53], v[44:45] op_sel_hi:[0,1]
	v_pk_mul_f32 v[42:43], v[52:53], v[42:43] op_sel_hi:[0,1]
	v_cvt_f16_f32_e32 v37, v42
	v_cvt_f16_f32_e32 v42, v43
	;; [unrolled: 1-line block ×4, first 2 shown]
	v_pk_mul_f32 v[34:35], v[52:53], v[34:35] op_sel_hi:[0,1]
	v_pk_mul_f32 v[38:39], v[52:53], v[40:41] op_sel_hi:[0,1]
	v_cvt_f16_f32_e32 v38, v38
	v_cvt_f16_f32_e32 v39, v39
	;; [unrolled: 1-line block ×4, first 2 shown]
	v_pack_b32_f16 v34, v37, v42
	v_pack_b32_f16 v35, v43, v44
	;; [unrolled: 1-line block ×4, first 2 shown]
	v_cmp_gt_u32_e32 vcc, 14, v0
	ds_write2st64_b64 v55, v[34:35], v[38:39] offset0:2 offset1:3
	s_and_saveexec_b64 s[4:5], vcc
	s_cbranch_execz .LBB1041_15
; %bb.14:
	s_mov_b32 s49, 0
	v_mov_b32_e32 v57, 0
	v_lshl_add_u64 v[34:35], s[48:49], 0, v[56:57]
	v_mov_b32_e32 v37, s7
	v_mad_u64_u32 v[34:35], s[12:13], s2, v37, v[34:35]
	s_mul_i32 s3, s3, s7
	v_mov_b32_e32 v38, s22
	v_mov_b32_e32 v39, v57
	s_load_dwordx4 s[8:11], s[0:1], 0x58
	v_add_u32_e32 v37, s3, v35
	v_mad_u64_u32 v[34:35], s[12:13], v34, s6, v[38:39]
	v_mov_b32_e32 v38, v35
	v_mad_u64_u32 v[38:39], s[12:13], v37, s6, v[38:39]
	v_mov_b32_e32 v35, v38
	v_lshlrev_b64 v[34:35], 2, v[34:35]
	s_waitcnt lgkmcnt(0)
	v_lshl_add_u64 v[38:39], s[10:11], 0, v[34:35]
	v_lshl_add_u64 v[34:35], s[8:9], 0, v[34:35]
	global_store_dword v[38:39], v50, off
	global_store_dword v[34:35], v51, off
.LBB1041_15:
	s_or_b64 exec, exec, s[4:5]
	s_waitcnt vmcnt(7)
	v_cvt_pk_f32_fp8_e32 v[34:35], v30
	v_lshl_or_b32 v50, v60, 9, v36
	v_cvt_pk_f32_fp8_sdwa v[36:37], v30 src0_sel:WORD_1
	s_waitcnt lgkmcnt(0)
	s_barrier
	v_cvt_pk_f32_fp8_e32 v[38:39], v31
	v_cvt_pkrtz_f16_f32 v30, v34, v35
	v_cvt_pk_f32_fp8_sdwa v[40:41], v31 src0_sel:WORD_1
	v_cvt_pkrtz_f16_f32 v31, v36, v37
	ds_read_b128 v[34:37], v50
	v_cvt_pkrtz_f16_f32 v46, v38, v39
	v_cvt_pkrtz_f16_f32 v47, v40, v41
	ds_read_b128 v[38:41], v50 offset:16
	v_cvt_pk_f32_fp8_e32 v[48:49], v32
	v_cvt_pk_f32_fp8_sdwa v[52:53], v32 src0_sel:WORD_1
	s_waitcnt lgkmcnt(1)
	v_mfma_f32_16x16x16_f16 v[42:45], v[30:31], v[34:35], 0
	s_waitcnt vmcnt(6)
	v_cvt_pk_f32_fp8_e32 v[58:59], v24
	v_cvt_pkrtz_f16_f32 v30, v48, v49
	v_cvt_pkrtz_f16_f32 v31, v52, v53
	v_cvt_pk_f32_fp8_e32 v[48:49], v33
	v_mfma_f32_16x16x16_f16 v[42:45], v[46:47], v[36:37], v[42:45]
	v_cvt_pk_f32_fp8_sdwa v[46:47], v33 src0_sel:WORD_1
	v_cvt_pk_f32_fp8_sdwa v[62:63], v24 src0_sel:WORD_1
	v_cvt_pkrtz_f16_f32 v48, v48, v49
	s_waitcnt lgkmcnt(0)
	v_mfma_f32_16x16x16_f16 v[30:33], v[30:31], v[38:39], v[42:45]
	v_cvt_pkrtz_f16_f32 v49, v46, v47
	s_waitcnt vmcnt(5)
	v_cvt_pk_f32_fp8_sdwa v[66:67], v12 src0_sel:WORD_1
	s_waitcnt vmcnt(4)
	v_cvt_pk_f32_fp8_sdwa v[68:69], v4 src0_sel:WORD_1
	v_cvt_pk_f32_fp8_e32 v[42:43], v22
	v_mfma_f32_16x16x16_f16 v[46:49], v[48:49], v[40:41], v[30:33]
	s_waitcnt vmcnt(3)
	v_cvt_pk_f32_fp8_sdwa v[70:71], v28 src0_sel:WORD_1
	s_load_dword s4, s[42:43], 0x0
	v_cvt_pk_f32_fp8_sdwa v[30:31], v22 src0_sel:WORD_1
	v_cvt_pk_f32_fp8_e32 v[32:33], v23
	v_cvt_pkrtz_f16_f32 v22, v42, v43
	v_cvt_pk_f32_fp8_sdwa v[42:43], v23 src0_sel:WORD_1
	v_cvt_pkrtz_f16_f32 v23, v30, v31
	v_cvt_pkrtz_f16_f32 v52, v32, v33
	ds_read_b128 v[30:33], v50 offset:2048
	v_cvt_pkrtz_f16_f32 v53, v42, v43
	ds_read_b128 v[42:45], v50 offset:2064
	s_waitcnt lgkmcnt(0)
	v_mfma_f32_16x16x16_f16 v[46:49], v[22:23], v[30:31], v[46:49]
	v_cvt_pkrtz_f16_f32 v22, v58, v59
	v_cvt_pkrtz_f16_f32 v23, v62, v63
	v_cvt_pk_f32_fp8_e32 v[58:59], v25
	v_mfma_f32_16x16x16_f16 v[46:49], v[52:53], v[32:33], v[46:49]
	v_cvt_pk_f32_fp8_sdwa v[52:53], v25 src0_sel:WORD_1
	s_mov_b32 s3, 0
	v_cvt_pkrtz_f16_f32 v58, v58, v59
	v_mfma_f32_16x16x16_f16 v[22:25], v[22:23], v[42:43], v[46:49]
	v_cvt_pkrtz_f16_f32 v59, v52, v53
	v_cmp_gt_u32_e32 vcc, 64, v0
	s_nop 0
	v_cvt_pk_f32_fp8_e32 v[46:47], v10
	v_mfma_f32_16x16x16_f16 v[62:65], v[58:59], v[44:45], v[22:25]
	v_cvt_pk_f32_fp8_e32 v[58:59], v12
	s_nop 1
	v_cvt_pk_f32_fp8_sdwa v[22:23], v10 src0_sel:WORD_1
	v_cvt_pk_f32_fp8_e32 v[24:25], v11
	v_cvt_pkrtz_f16_f32 v10, v46, v47
	v_cvt_pk_f32_fp8_sdwa v[46:47], v11 src0_sel:WORD_1
	v_cvt_pkrtz_f16_f32 v11, v22, v23
	v_cvt_pkrtz_f16_f32 v52, v24, v25
	ds_read_b128 v[22:25], v50 offset:4096
	v_cvt_pkrtz_f16_f32 v53, v46, v47
	ds_read_b128 v[46:49], v50 offset:4112
	s_waitcnt lgkmcnt(1)
	v_mfma_f32_16x16x16_f16 v[62:65], v[10:11], v[22:23], v[62:65]
	v_cvt_pkrtz_f16_f32 v10, v58, v59
	v_cvt_pkrtz_f16_f32 v11, v66, v67
	v_cvt_pk_f32_fp8_e32 v[58:59], v13
	v_mfma_f32_16x16x16_f16 v[62:65], v[52:53], v[24:25], v[62:65]
	v_cvt_pk_f32_fp8_sdwa v[52:53], v13 src0_sel:WORD_1
	v_cvt_pk_f32_fp8_e32 v[66:67], v4
	v_cvt_pkrtz_f16_f32 v58, v58, v59
	s_waitcnt lgkmcnt(0)
	v_mfma_f32_16x16x16_f16 v[10:13], v[10:11], v[46:47], v[62:65]
	v_cvt_pkrtz_f16_f32 v59, v52, v53
	v_cvt_pk_f32_fp8_e32 v[52:53], v2
	s_nop 0
	v_mfma_f32_16x16x16_f16 v[62:65], v[58:59], v[48:49], v[10:13]
	s_nop 2
	v_cvt_pk_f32_fp8_sdwa v[10:11], v2 src0_sel:WORD_1
	v_cvt_pk_f32_fp8_e32 v[12:13], v3
	v_cvt_pkrtz_f16_f32 v2, v52, v53
	v_cvt_pk_f32_fp8_sdwa v[52:53], v3 src0_sel:WORD_1
	v_cvt_pkrtz_f16_f32 v3, v10, v11
	v_cvt_pkrtz_f16_f32 v58, v12, v13
	ds_read_b128 v[10:13], v50 offset:6144
	v_cvt_pkrtz_f16_f32 v59, v52, v53
	s_waitcnt lgkmcnt(0)
	v_mfma_f32_16x16x16_f16 v[62:65], v[2:3], v[10:11], v[62:65]
	ds_read_b128 v[50:53], v50 offset:6160
	v_cvt_pkrtz_f16_f32 v2, v66, v67
	v_cvt_pkrtz_f16_f32 v3, v68, v69
	v_cvt_pk_f32_fp8_e32 v[66:67], v5
	v_mfma_f32_16x16x16_f16 v[62:65], v[58:59], v[12:13], v[62:65]
	v_cvt_pk_f32_fp8_sdwa v[58:59], v5 src0_sel:WORD_1
	v_cvt_pk_f32_fp8_e32 v[68:69], v28
	v_cvt_pkrtz_f16_f32 v66, v66, v67
	s_waitcnt lgkmcnt(0)
	v_mfma_f32_16x16x16_f16 v[2:5], v[2:3], v[50:51], v[62:65]
	v_cvt_pkrtz_f16_f32 v67, v58, v59
	v_cvt_pk_f32_fp8_e32 v[58:59], v26
	s_nop 0
	v_cvt_pk_f32_fp8_sdwa v[62:63], v26 src0_sel:WORD_1
	v_cvt_pk_f32_fp8_e32 v[64:65], v27
	v_cvt_pkrtz_f16_f32 v58, v58, v59
	v_cvt_pk_f32_fp8_sdwa v[26:27], v27 src0_sel:WORD_1
	v_cvt_pkrtz_f16_f32 v59, v62, v63
	v_mfma_f32_16x16x16_f16 v[2:5], v[66:67], v[52:53], v[2:5]
	v_cvt_pkrtz_f16_f32 v66, v64, v65
	v_cvt_pkrtz_f16_f32 v67, v26, v27
	;; [unrolled: 1-line block ×3, first 2 shown]
	v_mfma_f32_16x16x16_f16 v[62:65], v[58:59], v[34:35], 0
	v_cvt_pkrtz_f16_f32 v27, v70, v71
	v_cvt_pk_f32_fp8_e32 v[58:59], v29
	s_barrier
	v_mfma_f32_16x16x16_f16 v[34:37], v[66:67], v[36:37], v[62:65]
	v_cvt_pkrtz_f16_f32 v58, v58, v59
	s_nop 1
	v_cvt_pk_f32_fp8_sdwa v[62:63], v29 src0_sel:WORD_1
	v_mfma_f32_16x16x16_f16 v[26:29], v[26:27], v[38:39], v[34:37]
	s_waitcnt vmcnt(2)
	v_cvt_pk_f32_fp8_e32 v[38:39], v19
	v_cvt_pkrtz_f16_f32 v59, v62, v63
	v_cvt_pk_f32_fp8_e32 v[34:35], v18
	v_cvt_pk_f32_fp8_sdwa v[36:37], v18 src0_sel:WORD_1
	v_cvt_pk_f32_fp8_sdwa v[18:19], v19 src0_sel:WORD_1
	v_mfma_f32_16x16x16_f16 v[26:29], v[58:59], v[40:41], v[26:29]
	v_cvt_pkrtz_f16_f32 v34, v34, v35
	v_cvt_pkrtz_f16_f32 v35, v36, v37
	;; [unrolled: 1-line block ×3, first 2 shown]
	v_cvt_pk_f32_fp8_e32 v[38:39], v20
	v_cvt_pk_f32_fp8_sdwa v[40:41], v20 src0_sel:WORD_1
	v_cvt_pkrtz_f16_f32 v37, v18, v19
	v_mfma_f32_16x16x16_f16 v[26:29], v[34:35], v[30:31], v[26:29]
	v_cvt_pkrtz_f16_f32 v30, v38, v39
	v_cvt_pkrtz_f16_f32 v31, v40, v41
	v_cvt_pk_f32_fp8_e32 v[34:35], v21
	v_cvt_pk_f32_fp8_sdwa v[38:39], v21 src0_sel:WORD_1
	v_mfma_f32_16x16x16_f16 v[18:21], v[36:37], v[32:33], v[26:29]
	s_waitcnt vmcnt(1)
	v_cvt_pk_f32_fp8_sdwa v[32:33], v16 src0_sel:WORD_1
	s_nop 0
	v_cvt_pkrtz_f16_f32 v26, v34, v35
	v_cvt_pkrtz_f16_f32 v27, v38, v39
	v_mfma_f32_16x16x16_f16 v[18:21], v[30:31], v[42:43], v[18:21]
	v_cvt_pk_f32_fp8_e32 v[28:29], v14
	v_cvt_pk_f32_fp8_sdwa v[30:31], v14 src0_sel:WORD_1
	v_cvt_pkrtz_f16_f32 v28, v28, v29
	v_mfma_f32_16x16x16_f16 v[18:21], v[26:27], v[44:45], v[18:21]
	v_cvt_pk_f32_fp8_e32 v[26:27], v15
	v_cvt_pkrtz_f16_f32 v29, v30, v31
	v_cvt_pk_f32_fp8_sdwa v[14:15], v15 src0_sel:WORD_1
	v_cvt_pk_f32_fp8_e32 v[30:31], v16
	v_cvt_pkrtz_f16_f32 v26, v26, v27
	v_mfma_f32_16x16x16_f16 v[18:21], v[28:29], v[22:23], v[18:21]
	v_cvt_pkrtz_f16_f32 v27, v14, v15
	v_cvt_pkrtz_f16_f32 v22, v30, v31
	;; [unrolled: 1-line block ×3, first 2 shown]
	v_cvt_pk_f32_fp8_e32 v[28:29], v17
	v_cvt_pk_f32_fp8_sdwa v[30:31], v17 src0_sel:WORD_1
	v_mfma_f32_16x16x16_f16 v[14:17], v[26:27], v[24:25], v[18:21]
	s_waitcnt vmcnt(0)
	v_cvt_pk_f32_fp8_sdwa v[24:25], v6 src0_sel:WORD_1
	s_nop 0
	v_pk_mul_f32 v[18:19], v[4:5], s[4:5] op_sel_hi:[1,0]
	v_cvt_pkrtz_f16_f32 v4, v28, v29
	v_cvt_pkrtz_f16_f32 v5, v30, v31
	v_mfma_f32_16x16x16_f16 v[14:17], v[22:23], v[46:47], v[14:17]
	v_cvt_pk_f32_fp8_e32 v[22:23], v6
	v_pk_mul_f32 v[20:21], v[2:3], s[4:5] op_sel_hi:[1,0]
	v_mfma_f32_16x16x16_f16 v[2:5], v[4:5], v[48:49], v[14:17]
	s_nop 3
	v_cvt_pk_f32_fp8_e32 v[14:15], v7
	v_cvt_pkrtz_f16_f32 v16, v22, v23
	v_cvt_pkrtz_f16_f32 v17, v24, v25
	v_cvt_pk_f32_fp8_sdwa v[6:7], v7 src0_sel:WORD_1
	v_cvt_pkrtz_f16_f32 v14, v14, v15
	v_cvt_pk_f32_fp8_e32 v[22:23], v8
	v_cvt_pk_f32_fp8_sdwa v[24:25], v8 src0_sel:WORD_1
	v_cvt_pkrtz_f16_f32 v15, v6, v7
	v_mfma_f32_16x16x16_f16 v[2:5], v[16:17], v[10:11], v[2:5]
	v_cvt_pkrtz_f16_f32 v6, v22, v23
	v_cvt_pkrtz_f16_f32 v7, v24, v25
	v_cvt_pk_f32_fp8_e32 v[10:11], v9
	v_cvt_pk_f32_fp8_sdwa v[8:9], v9 src0_sel:WORD_1
	v_mfma_f32_16x16x16_f16 v[2:5], v[14:15], v[12:13], v[2:5]
	v_cvt_f16_f32_e32 v12, v20
	v_cvt_pkrtz_f16_f32 v10, v10, v11
	v_cvt_pkrtz_f16_f32 v11, v8, v9
	v_mfma_f32_16x16x16_f16 v[2:5], v[6:7], v[50:51], v[2:5]
	v_cvt_f16_f32_e32 v6, v21
	v_cvt_f16_f32_e32 v7, v18
	;; [unrolled: 1-line block ×3, first 2 shown]
	v_mfma_f32_16x16x16_f16 v[2:5], v[10:11], v[52:53], v[2:5]
	s_nop 6
	v_pk_mul_f32 v[4:5], v[4:5], s[4:5] op_sel_hi:[1,0]
	v_pk_mul_f32 v[2:3], v[2:3], s[4:5] op_sel_hi:[1,0]
	v_cvt_f16_f32_e32 v11, v4
	v_cvt_f16_f32_e32 v9, v2
	;; [unrolled: 1-line block ×4, first 2 shown]
	v_pack_b32_f16 v2, v12, v6
	v_pack_b32_f16 v3, v7, v8
	v_pack_b32_f16 v4, v9, v10
	v_pack_b32_f16 v5, v11, v5
	ds_write2st64_b64 v55, v[2:3], v[4:5] offset1:1
	s_waitcnt lgkmcnt(0)
	s_barrier
	s_and_saveexec_b64 s[4:5], vcc
	s_cbranch_execz .LBB1041_18
; %bb.16:
	s_load_dwordx2 s[4:5], s[0:1], 0x68
	s_lshl_b32 s0, s6, 7
	s_mul_i32 s1, s7, s2
	v_lshlrev_b32_e32 v3, 6, v56
	s_mul_hi_u32 s7, s1, s0
	s_mul_i32 s6, s1, s0
	v_lshl_or_b32 v0, v0, 10, v3
	s_lshl_b64 s[6:7], s[6:7], 1
	v_lshlrev_b32_e32 v2, 5, v60
	v_and_b32_e32 v1, 16, v1
	v_and_b32_e32 v0, 0x1a00, v0
	s_waitcnt lgkmcnt(0)
	s_add_u32 s1, s4, s6
	v_or3_b32 v2, v0, v2, v1
	s_addc_u32 s4, s5, s7
	s_lshl_b32 s2, s22, 7
	ds_read_b128 v[4:7], v2 offset:256
	s_lshl_b64 s[2:3], s[2:3], 1
	ds_read_b128 v[8:11], v2 offset:128
	ds_read_b128 v[12:15], v2
	s_add_u32 s2, s1, s2
	s_addc_u32 s3, s4, s3
	v_mov_b32_e32 v55, 0
	v_add_u32_e32 v18, s48, v60
	v_lshl_add_u64 v[0:1], s[2:3], 0, v[54:55]
	v_mad_u64_u32 v[16:17], s[2:3], v18, s0, 0
	v_lshl_add_u64 v[16:17], v[16:17], 1, v[0:1]
	s_waitcnt lgkmcnt(0)
	global_store_dwordx4 v[16:17], v[12:15], off
	v_or_b32_e32 v3, 12, v60
	v_cmp_gt_u32_e32 vcc, 14, v3
	v_add_u32_e32 v12, 4, v18
	v_mad_u64_u32 v[12:13], s[2:3], v12, s0, 0
	v_lshl_add_u64 v[12:13], v[12:13], 1, v[0:1]
	global_store_dwordx4 v[12:13], v[8:11], off
	s_nop 1
	v_add_u32_e32 v8, 8, v18
	v_mad_u64_u32 v[8:9], s[2:3], v8, s0, 0
	v_lshl_add_u64 v[8:9], v[8:9], 1, v[0:1]
	global_store_dwordx4 v[8:9], v[4:7], off
	s_and_b64 exec, exec, vcc
	s_cbranch_execz .LBB1041_18
; %bb.17:
	ds_read_b128 v[4:7], v2 offset:384
	v_add_u32_e32 v2, s48, v3
	v_mad_u64_u32 v[2:3], s[0:1], v2, s0, 0
	v_lshl_add_u64 v[0:1], v[2:3], 1, v[0:1]
	s_waitcnt lgkmcnt(0)
	global_store_dwordx4 v[0:1], v[4:7], off
.LBB1041_18:
	s_endpgm
	.section	.rodata,"a",@progbits
	.p2align	6, 0x0
	.amdhsa_kernel _Z39paged_attention_ll4mi_QKV_mfma16_kernelIDF16_hLN4vllm18Fp8KVCacheDataTypeE1EhLi32ELi128ELi256ELb0ELi14EEvPKT_PKT0_S7_ifPKiS9_S9_iPKfiiiPfSC_PS2_PT2_iSB_SB_
		.amdhsa_group_segment_fixed_size 8192
		.amdhsa_private_segment_fixed_size 0
		.amdhsa_kernarg_size 400
		.amdhsa_user_sgpr_count 2
		.amdhsa_user_sgpr_dispatch_ptr 0
		.amdhsa_user_sgpr_queue_ptr 0
		.amdhsa_user_sgpr_kernarg_segment_ptr 1
		.amdhsa_user_sgpr_dispatch_id 0
		.amdhsa_user_sgpr_kernarg_preload_length 0
		.amdhsa_user_sgpr_kernarg_preload_offset 0
		.amdhsa_user_sgpr_private_segment_size 0
		.amdhsa_uses_dynamic_stack 0
		.amdhsa_enable_private_segment 0
		.amdhsa_system_sgpr_workgroup_id_x 1
		.amdhsa_system_sgpr_workgroup_id_y 1
		.amdhsa_system_sgpr_workgroup_id_z 1
		.amdhsa_system_sgpr_workgroup_info 0
		.amdhsa_system_vgpr_workitem_id 0
		.amdhsa_next_free_vgpr 80
		.amdhsa_next_free_sgpr 50
		.amdhsa_accum_offset 80
		.amdhsa_reserve_vcc 1
		.amdhsa_float_round_mode_32 0
		.amdhsa_float_round_mode_16_64 0
		.amdhsa_float_denorm_mode_32 3
		.amdhsa_float_denorm_mode_16_64 3
		.amdhsa_dx10_clamp 1
		.amdhsa_ieee_mode 1
		.amdhsa_fp16_overflow 0
		.amdhsa_tg_split 0
		.amdhsa_exception_fp_ieee_invalid_op 0
		.amdhsa_exception_fp_denorm_src 0
		.amdhsa_exception_fp_ieee_div_zero 0
		.amdhsa_exception_fp_ieee_overflow 0
		.amdhsa_exception_fp_ieee_underflow 0
		.amdhsa_exception_fp_ieee_inexact 0
		.amdhsa_exception_int_div_zero 0
	.end_amdhsa_kernel
	.section	.text._Z39paged_attention_ll4mi_QKV_mfma16_kernelIDF16_hLN4vllm18Fp8KVCacheDataTypeE1EhLi32ELi128ELi256ELb0ELi14EEvPKT_PKT0_S7_ifPKiS9_S9_iPKfiiiPfSC_PS2_PT2_iSB_SB_,"axG",@progbits,_Z39paged_attention_ll4mi_QKV_mfma16_kernelIDF16_hLN4vllm18Fp8KVCacheDataTypeE1EhLi32ELi128ELi256ELb0ELi14EEvPKT_PKT0_S7_ifPKiS9_S9_iPKfiiiPfSC_PS2_PT2_iSB_SB_,comdat
.Lfunc_end1041:
	.size	_Z39paged_attention_ll4mi_QKV_mfma16_kernelIDF16_hLN4vllm18Fp8KVCacheDataTypeE1EhLi32ELi128ELi256ELb0ELi14EEvPKT_PKT0_S7_ifPKiS9_S9_iPKfiiiPfSC_PS2_PT2_iSB_SB_, .Lfunc_end1041-_Z39paged_attention_ll4mi_QKV_mfma16_kernelIDF16_hLN4vllm18Fp8KVCacheDataTypeE1EhLi32ELi128ELi256ELb0ELi14EEvPKT_PKT0_S7_ifPKiS9_S9_iPKfiiiPfSC_PS2_PT2_iSB_SB_
                                        ; -- End function
	.section	.AMDGPU.csdata,"",@progbits
; Kernel info:
; codeLenInByte = 6136
; NumSgprs: 56
; NumVgprs: 80
; NumAgprs: 0
; TotalNumVgprs: 80
; ScratchSize: 0
; MemoryBound: 0
; FloatMode: 240
; IeeeMode: 1
; LDSByteSize: 8192 bytes/workgroup (compile time only)
; SGPRBlocks: 6
; VGPRBlocks: 9
; NumSGPRsForWavesPerEU: 56
; NumVGPRsForWavesPerEU: 80
; AccumOffset: 80
; Occupancy: 6
; WaveLimiterHint : 1
; COMPUTE_PGM_RSRC2:SCRATCH_EN: 0
; COMPUTE_PGM_RSRC2:USER_SGPR: 2
; COMPUTE_PGM_RSRC2:TRAP_HANDLER: 0
; COMPUTE_PGM_RSRC2:TGID_X_EN: 1
; COMPUTE_PGM_RSRC2:TGID_Y_EN: 1
; COMPUTE_PGM_RSRC2:TGID_Z_EN: 1
; COMPUTE_PGM_RSRC2:TIDIG_COMP_CNT: 0
; COMPUTE_PGM_RSRC3_GFX90A:ACCUM_OFFSET: 19
; COMPUTE_PGM_RSRC3_GFX90A:TG_SPLIT: 0
	.section	.text._Z39paged_attention_ll4mi_QKV_mfma16_kernelIDF16_hLN4vllm18Fp8KVCacheDataTypeE1EhLi32ELi128ELi256ELb0ELi15EEvPKT_PKT0_S7_ifPKiS9_S9_iPKfiiiPfSC_PS2_PT2_iSB_SB_,"axG",@progbits,_Z39paged_attention_ll4mi_QKV_mfma16_kernelIDF16_hLN4vllm18Fp8KVCacheDataTypeE1EhLi32ELi128ELi256ELb0ELi15EEvPKT_PKT0_S7_ifPKiS9_S9_iPKfiiiPfSC_PS2_PT2_iSB_SB_,comdat
	.protected	_Z39paged_attention_ll4mi_QKV_mfma16_kernelIDF16_hLN4vllm18Fp8KVCacheDataTypeE1EhLi32ELi128ELi256ELb0ELi15EEvPKT_PKT0_S7_ifPKiS9_S9_iPKfiiiPfSC_PS2_PT2_iSB_SB_ ; -- Begin function _Z39paged_attention_ll4mi_QKV_mfma16_kernelIDF16_hLN4vllm18Fp8KVCacheDataTypeE1EhLi32ELi128ELi256ELb0ELi15EEvPKT_PKT0_S7_ifPKiS9_S9_iPKfiiiPfSC_PS2_PT2_iSB_SB_
	.globl	_Z39paged_attention_ll4mi_QKV_mfma16_kernelIDF16_hLN4vllm18Fp8KVCacheDataTypeE1EhLi32ELi128ELi256ELb0ELi15EEvPKT_PKT0_S7_ifPKiS9_S9_iPKfiiiPfSC_PS2_PT2_iSB_SB_
	.p2align	8
	.type	_Z39paged_attention_ll4mi_QKV_mfma16_kernelIDF16_hLN4vllm18Fp8KVCacheDataTypeE1EhLi32ELi128ELi256ELb0ELi15EEvPKT_PKT0_S7_ifPKiS9_S9_iPKfiiiPfSC_PS2_PT2_iSB_SB_,@function
_Z39paged_attention_ll4mi_QKV_mfma16_kernelIDF16_hLN4vllm18Fp8KVCacheDataTypeE1EhLi32ELi128ELi256ELb0ELi15EEvPKT_PKT0_S7_ifPKiS9_S9_iPKfiiiPfSC_PS2_PT2_iSB_SB_: ; @_Z39paged_attention_ll4mi_QKV_mfma16_kernelIDF16_hLN4vllm18Fp8KVCacheDataTypeE1EhLi32ELi128ELi256ELb0ELi15EEvPKT_PKT0_S7_ifPKiS9_S9_iPKfiiiPfSC_PS2_PT2_iSB_SB_
; %bb.0:
	s_load_dwordx2 s[12:13], s[0:1], 0x30
	s_mov_b32 s22, s3
	s_mov_b64 s[6:7], 0
	s_waitcnt lgkmcnt(0)
	s_cmp_lg_u64 s[12:13], 0
	s_cselect_b64 s[14:15], -1, 0
	s_and_b64 vcc, exec, s[14:15]
	s_cbranch_vccz .LBB1042_7
; %bb.1:
	s_add_i32 s8, s2, 1
	s_mov_b32 s9, 0
	s_lshl_b64 s[10:11], s[8:9], 2
	s_add_u32 s10, s12, s10
	s_mov_b32 s3, s9
	s_addc_u32 s11, s13, s11
	s_lshl_b64 s[8:9], s[2:3], 2
	s_add_u32 s8, s12, s8
	s_addc_u32 s9, s13, s9
	s_load_dword s5, s[10:11], 0x0
	s_load_dword s16, s[8:9], 0x0
	s_waitcnt lgkmcnt(0)
	s_sub_i32 s5, s5, s16
	s_cmp_eq_u32 s5, 1
	s_cselect_b64 s[8:9], -1, 0
	s_andn2_b64 vcc, exec, s[6:7]
	s_cbranch_vccnz .LBB1042_3
.LBB1042_2:
	s_mov_b32 s3, 0
	s_mov_b64 s[8:9], -1
.LBB1042_3:
	s_andn2_b64 vcc, exec, s[8:9]
	s_cbranch_vccnz .LBB1042_18
; %bb.4:
	s_load_dwordx2 s[6:7], s[0:1], 0x28
	s_lshl_b64 s[16:17], s[2:3], 2
	s_waitcnt lgkmcnt(0)
	s_add_u32 s6, s6, s16
	s_addc_u32 s7, s7, s17
	s_load_dword s5, s[6:7], 0x0
	s_lshl_b32 s18, s22, 8
	s_waitcnt lgkmcnt(0)
	s_cmp_ge_i32 s18, s5
	s_cbranch_scc1 .LBB1042_18
; %bb.5:
	s_load_dwordx2 s[6:7], s[0:1], 0x20
	s_load_dword s8, s[0:1], 0x38
	s_add_i32 s9, s5, 31
	s_ashr_i32 s10, s9, 31
	v_and_b32_e32 v1, 0xcf, v0
	s_lshr_b32 s10, s10, 27
	v_add_u32_e32 v1, s18, v1
	s_add_i32 s9, s9, s10
	v_ashrrev_i32_e32 v2, 31, v1
	s_ashr_i32 s19, s9, 5
	v_lshrrev_b32_e32 v10, 27, v2
	s_add_i32 s19, s19, -1
	s_waitcnt lgkmcnt(0)
	s_mul_i32 s8, s2, s8
	s_mov_b32 s9, 0
	v_add_u32_e32 v2, v1, v10
	s_lshl_b64 s[8:9], s[8:9], 2
	v_ashrrev_i32_e32 v2, 5, v2
	v_mov_b32_e32 v11, s19
	v_cmp_gt_i32_e32 vcc, s5, v1
	s_add_u32 s6, s6, s8
	s_addc_u32 s7, s7, s9
	v_cndmask_b32_e32 v2, v11, v2, vcc
	v_ashrrev_i32_e32 v3, 31, v2
	v_lshl_add_u64 v[4:5], v[2:3], 2, s[6:7]
	v_or_b32_e32 v2, 16, v1
	v_add_u32_e32 v3, v2, v10
	v_ashrrev_i32_e32 v3, 5, v3
	v_cmp_gt_i32_e32 vcc, s5, v2
	s_load_dwordx4 s[8:11], s[0:1], 0x8
	s_nop 0
	v_cndmask_b32_e32 v2, v11, v3, vcc
	v_ashrrev_i32_e32 v3, 31, v2
	v_lshl_add_u64 v[6:7], v[2:3], 2, s[6:7]
	v_or_b32_e32 v2, 32, v1
	v_add_u32_e32 v3, v2, v10
	v_ashrrev_i32_e32 v3, 5, v3
	v_cmp_gt_i32_e32 vcc, s5, v2
	v_or_b32_e32 v1, 48, v1
	s_nop 0
	v_cndmask_b32_e32 v2, v11, v3, vcc
	v_ashrrev_i32_e32 v3, 31, v2
	v_lshl_add_u64 v[8:9], v[2:3], 2, s[6:7]
	v_add_u32_e32 v2, v1, v10
	v_ashrrev_i32_e32 v2, 5, v2
	v_cmp_gt_i32_e32 vcc, s5, v1
	s_nop 1
	v_cndmask_b32_e32 v2, v11, v2, vcc
	v_ashrrev_i32_e32 v3, 31, v2
	v_lshl_add_u64 v[10:11], v[2:3], 2, s[6:7]
	global_load_dword v2, v[4:5], off
	global_load_dword v32, v[6:7], off
	;; [unrolled: 1-line block ×4, first 2 shown]
	s_andn2_b64 vcc, exec, s[14:15]
	s_cbranch_vccnz .LBB1042_8
; %bb.6:
	s_add_u32 s12, s12, s16
	s_addc_u32 s13, s13, s17
	s_load_dword s14, s[12:13], 0x0
	s_branch .LBB1042_9
.LBB1042_7:
	s_mov_b64 s[8:9], 0
	s_branch .LBB1042_2
.LBB1042_8:
	s_mov_b32 s14, s2
.LBB1042_9:
	s_load_dwordx4 s[44:47], s[0:1], 0x48
	v_lshrrev_b32_e32 v57, 6, v0
	v_bfe_u32 v60, v0, 4, 2
	v_and_b32_e32 v56, 15, v0
	v_lshl_or_b32 v3, v57, 2, v60
	v_lshlrev_b32_e32 v1, 3, v56
	v_and_b32_e32 v61, 63, v0
	s_mul_i32 s48, s4, 15
	v_cmp_gt_u32_e32 vcc, 15, v3
	v_lshlrev_b32_e32 v54, 1, v1
	v_lshlrev_b32_e32 v1, 4, v0
	s_and_saveexec_b64 s[12:13], vcc
	s_cbranch_execz .LBB1042_11
; %bb.10:
	s_load_dwordx2 s[16:17], s[0:1], 0x0
	s_waitcnt lgkmcnt(0)
	s_ashr_i32 s15, s44, 31
	s_mul_hi_u32 s20, s14, s44
	s_mul_i32 s15, s14, s15
	s_add_i32 s15, s20, s15
	s_mul_i32 s14, s14, s44
	s_lshl_b64 s[14:15], s[14:15], 1
	s_add_u32 s14, s16, s14
	v_add_lshl_u32 v4, v3, s48, 7
	s_addc_u32 s15, s17, s15
	v_ashrrev_i32_e32 v5, 31, v4
	v_lshl_add_u64 v[4:5], v[4:5], 1, s[14:15]
	v_mov_b32_e32 v55, 0
	v_lshl_add_u64 v[4:5], v[4:5], 0, v[54:55]
	global_load_dwordx4 v[4:7], v[4:5], off
	v_lshlrev_b32_e32 v9, 8, v0
	v_lshlrev_b32_e32 v8, 8, v56
	v_and_b32_e32 v9, 0x600, v9
	s_movk_i32 s14, 0x800
	v_and_or_b32 v8, v8, s14, v9
	v_lshlrev_b32_e32 v3, 5, v3
	v_and_b32_e32 v9, 16, v1
	v_or3_b32 v3, v8, v3, v9
	s_waitcnt vmcnt(0)
	ds_write_b128 v3, v[4:7]
.LBB1042_11:
	s_or_b64 exec, exec, s[12:13]
	s_waitcnt lgkmcnt(0)
	s_mul_i32 s12, s4, s46
	s_add_u32 s8, s8, s12
	s_addc_u32 s9, s9, 0
	v_mov_b32_e32 v59, 0
	v_mov_b64_e32 v[12:13], s[8:9]
	v_and_b32_e32 v8, 48, v0
	s_waitcnt vmcnt(3)
	v_mad_i64_i32 v[2:3], s[8:9], v2, s45, v[12:13]
	v_lshlrev_b32_e32 v10, 4, v56
	v_mov_b32_e32 v11, v59
	v_lshlrev_b32_e32 v58, 5, v8
	v_lshl_add_u64 v[2:3], v[2:3], 0, v[10:11]
	v_lshl_add_u64 v[6:7], v[2:3], 0, v[58:59]
	s_load_dword s23, s[0:1], 0x98
	s_load_dwordx4 s[40:43], s[0:1], 0x80
	s_waitcnt lgkmcnt(0)
	s_barrier
	global_load_dwordx4 v[22:25], v[6:7], off
	global_load_dwordx4 v[2:5], v[6:7], off offset:2048
	v_cmp_ne_u32_e32 vcc, 15, v56
	s_ashr_i32 s8, s18, 31
	v_or_b32_e32 v34, 0x100, v10
	v_cndmask_b32_e32 v6, 0, v56, vcc
	v_mov_b32_e32 v35, v59
	s_lshr_b32 s13, s8, 27
	s_waitcnt vmcnt(4)
	v_mad_i64_i32 v[32:33], s[8:9], v32, s45, v[12:13]
	v_lshlrev_b32_e32 v6, 5, v6
	v_lshl_add_u64 v[32:33], v[32:33], 0, v[34:35]
	v_lshl_or_b32 v6, v60, 9, v6
	v_lshl_add_u64 v[32:33], v[32:33], 0, v[58:59]
	v_or_b32_e32 v39, s18, v8
	ds_read_b128 v[26:29], v6
	ds_read_b128 v[18:21], v6 offset:16
	ds_read_b128 v[14:17], v6 offset:2048
	;; [unrolled: 1-line block ×3, first 2 shown]
	global_load_dwordx4 v[46:49], v[32:33], off
	v_or_b32_e32 v41, 0x80, v39
	v_or_b32_e32 v51, 0xc0, v39
	s_waitcnt vmcnt(4)
	v_mad_i64_i32 v[36:37], s[8:9], v30, s45, v[12:13]
	v_add_u32_e32 v42, s13, v41
	v_add_u32_e32 v43, s13, v51
	v_lshl_add_u64 v[10:11], v[36:37], 0, v[10:11]
	v_ashrrev_i32_e32 v36, 5, v42
	v_ashrrev_i32_e32 v37, 5, v43
	global_load_dwordx4 v[42:45], v[32:33], off offset:2048
	v_or_b32_e32 v40, 64, v39
	v_add_u32_e32 v30, s13, v39
	v_mov_b32_e32 v38, s19
	s_waitcnt vmcnt(4)
	v_mad_i64_i32 v[12:13], s[8:9], v31, s45, v[12:13]
	v_add_u32_e32 v31, s13, v40
	v_ashrrev_i32_e32 v30, 5, v30
	v_cmp_gt_i32_e32 vcc, s5, v39
	v_ashrrev_i32_e32 v31, 5, v31
	v_lshl_add_u64 v[12:13], v[12:13], 0, v[34:35]
	v_cndmask_b32_e32 v50, v38, v30, vcc
	v_cmp_gt_i32_e32 vcc, s5, v40
	v_lshl_add_u64 v[10:11], v[10:11], 0, v[58:59]
	v_lshl_add_u64 v[34:35], v[12:13], 0, v[58:59]
	v_cndmask_b32_e32 v52, v38, v31, vcc
	v_cmp_gt_i32_e32 vcc, s5, v41
	v_ashrrev_i32_e32 v53, 31, v52
	v_lshl_add_u64 v[52:53], v[52:53], 2, s[6:7]
	v_cndmask_b32_e32 v62, v38, v36, vcc
	v_cmp_gt_i32_e32 vcc, s5, v51
	v_ashrrev_i32_e32 v51, 31, v50
	v_ashrrev_i32_e32 v63, 31, v62
	v_cndmask_b32_e32 v64, v38, v37, vcc
	global_load_dwordx4 v[30:33], v[10:11], off
	s_nop 0
	global_load_dwordx4 v[10:13], v[10:11], off offset:2048
	s_nop 0
	global_load_dwordx4 v[38:41], v[34:35], off
	s_nop 0
	global_load_dwordx4 v[34:37], v[34:35], off offset:2048
	v_ashrrev_i32_e32 v65, 31, v64
	v_lshl_add_u64 v[50:51], v[50:51], 2, s[6:7]
	v_lshl_add_u64 v[66:67], v[62:63], 2, s[6:7]
	;; [unrolled: 1-line block ×3, first 2 shown]
	global_load_dword v65, v[50:51], off
	global_load_dword v63, v[52:53], off
	;; [unrolled: 1-line block ×4, first 2 shown]
	s_add_u32 s6, s10, s12
	s_addc_u32 s7, s11, 0
	v_and_b32_e32 v58, 16, v0
	v_lshl_or_b32 v64, v57, 4, v56
	s_load_dword s4, s[0:1], 0x1c
	s_mov_b32 s33, 0xff7fffff
	s_waitcnt vmcnt(11)
	v_cvt_pk_f32_fp8_e32 v[50:51], v22
	v_cvt_pk_f32_fp8_sdwa v[52:53], v22 src0_sel:WORD_1
	v_cvt_pk_f32_fp8_e32 v[66:67], v23
	v_cvt_pk_f32_fp8_sdwa v[22:23], v23 src0_sel:WORD_1
	v_cvt_pkrtz_f16_f32 v50, v50, v51
	v_cvt_pkrtz_f16_f32 v51, v52, v53
	v_cvt_pk_f32_fp8_e32 v[68:69], v24
	v_cvt_pk_f32_fp8_sdwa v[70:71], v24 src0_sel:WORD_1
	v_cvt_pkrtz_f16_f32 v66, v66, v67
	v_cvt_pkrtz_f16_f32 v67, v22, v23
	v_cvt_pk_f32_fp8_e32 v[52:53], v25
	v_cvt_pk_f32_fp8_sdwa v[72:73], v25 src0_sel:WORD_1
	s_waitcnt lgkmcnt(0)
	v_mfma_f32_16x16x16_f16 v[22:25], v[50:51], v[26:27], 0
	v_cvt_pkrtz_f16_f32 v68, v68, v69
	v_cvt_pkrtz_f16_f32 v69, v70, v71
	s_waitcnt vmcnt(10)
	v_cvt_pk_f32_fp8_e32 v[50:51], v2
	v_mfma_f32_16x16x16_f16 v[22:25], v[66:67], v[28:29], v[22:25]
	v_cvt_pk_f32_fp8_sdwa v[66:67], v2 src0_sel:WORD_1
	v_cvt_pkrtz_f16_f32 v52, v52, v53
	v_cvt_pkrtz_f16_f32 v53, v72, v73
	v_mfma_f32_16x16x16_f16 v[22:25], v[68:69], v[18:19], v[22:25]
	v_cvt_pkrtz_f16_f32 v50, v50, v51
	v_cvt_pkrtz_f16_f32 v51, v66, v67
	v_cvt_pk_f32_fp8_e32 v[66:67], v3
	v_cvt_pk_f32_fp8_sdwa v[2:3], v3 src0_sel:WORD_1
	v_mfma_f32_16x16x16_f16 v[22:25], v[52:53], v[20:21], v[22:25]
	s_waitcnt vmcnt(8)
	v_cvt_pk_f32_fp8_sdwa v[68:69], v42 src0_sel:WORD_1
	v_cvt_pkrtz_f16_f32 v52, v66, v67
	v_cvt_pkrtz_f16_f32 v53, v2, v3
	v_mfma_f32_16x16x16_f16 v[22:25], v[50:51], v[14:15], v[22:25]
	v_cvt_pk_f32_fp8_e32 v[2:3], v4
	v_cvt_pk_f32_fp8_sdwa v[50:51], v4 src0_sel:WORD_1
	v_cvt_pk_f32_fp8_sdwa v[66:67], v46 src0_sel:WORD_1
	v_mfma_f32_16x16x16_f16 v[22:25], v[52:53], v[16:17], v[22:25]
	v_cvt_pk_f32_fp8_e32 v[52:53], v5
	v_cvt_pkrtz_f16_f32 v2, v2, v3
	v_cvt_pkrtz_f16_f32 v3, v50, v51
	v_cvt_pk_f32_fp8_sdwa v[4:5], v5 src0_sel:WORD_1
	v_cvt_pkrtz_f16_f32 v50, v52, v53
	v_cvt_pk_f32_fp8_e32 v[52:53], v46
	v_cvt_pkrtz_f16_f32 v51, v4, v5
	v_mfma_f32_16x16x16_f16 v[2:5], v[2:3], v[6:7], v[22:25]
	s_waitcnt vmcnt(6)
	v_cvt_pk_f32_fp8_e32 v[72:73], v11
	s_nop 0
	v_cvt_pkrtz_f16_f32 v22, v52, v53
	v_cvt_pkrtz_f16_f32 v23, v66, v67
	v_cvt_pk_f32_fp8_e32 v[24:25], v47
	v_cvt_pk_f32_fp8_sdwa v[46:47], v47 src0_sel:WORD_1
	v_mfma_f32_16x16x16_f16 v[50:53], v[50:51], v[8:9], v[2:5]
	v_cvt_pk_f32_fp8_sdwa v[66:67], v48 src0_sel:WORD_1
	v_cvt_pkrtz_f16_f32 v24, v24, v25
	v_cvt_pkrtz_f16_f32 v25, v46, v47
	v_mfma_f32_16x16x16_f16 v[2:5], v[22:23], v[26:27], 0
	v_cvt_pk_f32_fp8_e32 v[22:23], v48
	v_lshl_add_u64 v[46:47], s[6:7], 0, v[58:59]
	v_lshlrev_b32_e32 v58, 5, v64
	v_mfma_f32_16x16x16_f16 v[2:5], v[24:25], v[28:29], v[2:5]
	v_cvt_pk_f32_fp8_e32 v[24:25], v49
	v_cvt_pkrtz_f16_f32 v22, v22, v23
	v_cvt_pkrtz_f16_f32 v23, v66, v67
	v_cvt_pk_f32_fp8_sdwa v[48:49], v49 src0_sel:WORD_1
	v_cvt_pkrtz_f16_f32 v24, v24, v25
	v_cvt_pk_f32_fp8_e32 v[66:67], v42
	v_mfma_f32_16x16x16_f16 v[2:5], v[22:23], v[18:19], v[2:5]
	v_cvt_pkrtz_f16_f32 v25, v48, v49
	v_cvt_pkrtz_f16_f32 v22, v66, v67
	;; [unrolled: 1-line block ×3, first 2 shown]
	v_cvt_pk_f32_fp8_e32 v[48:49], v43
	v_cvt_pk_f32_fp8_sdwa v[42:43], v43 src0_sel:WORD_1
	v_mfma_f32_16x16x16_f16 v[2:5], v[24:25], v[20:21], v[2:5]
	v_lshl_add_u64 v[66:67], v[46:47], 0, v[58:59]
	v_cvt_pkrtz_f16_f32 v24, v48, v49
	v_cvt_pkrtz_f16_f32 v25, v42, v43
	v_mfma_f32_16x16x16_f16 v[2:5], v[22:23], v[14:15], v[2:5]
	v_cvt_pk_f32_fp8_e32 v[22:23], v44
	v_cvt_pk_f32_fp8_sdwa v[42:43], v44 src0_sel:WORD_1
	v_cvt_pk_f32_fp8_sdwa v[48:49], v30 src0_sel:WORD_1
	v_mfma_f32_16x16x16_f16 v[2:5], v[24:25], v[16:17], v[2:5]
	v_cvt_pk_f32_fp8_e32 v[24:25], v45
	v_cvt_pkrtz_f16_f32 v22, v22, v23
	v_cvt_pkrtz_f16_f32 v23, v42, v43
	v_cvt_pk_f32_fp8_sdwa v[42:43], v45 src0_sel:WORD_1
	v_cvt_pk_f32_fp8_e32 v[44:45], v30
	v_cvt_pkrtz_f16_f32 v24, v24, v25
	v_mfma_f32_16x16x16_f16 v[2:5], v[22:23], v[6:7], v[2:5]
	v_cvt_pkrtz_f16_f32 v25, v42, v43
	v_cvt_pkrtz_f16_f32 v22, v44, v45
	;; [unrolled: 1-line block ×3, first 2 shown]
	v_cvt_pk_f32_fp8_e32 v[48:49], v31
	v_cvt_pk_f32_fp8_sdwa v[30:31], v31 src0_sel:WORD_1
	v_mfma_f32_16x16x16_f16 v[42:45], v[24:25], v[8:9], v[2:5]
	s_waitcnt vmcnt(2)
	v_mad_i64_i32 v[68:69], s[6:7], v63, s45, v[66:67]
	v_cvt_pkrtz_f16_f32 v24, v48, v49
	v_cvt_pkrtz_f16_f32 v25, v30, v31
	v_mfma_f32_16x16x16_f16 v[2:5], v[22:23], v[26:27], 0
	v_cvt_pk_f32_fp8_e32 v[22:23], v32
	v_cvt_pk_f32_fp8_sdwa v[30:31], v32 src0_sel:WORD_1
	v_mad_i64_i32 v[48:49], s[6:7], v65, s45, v[66:67]
	v_mfma_f32_16x16x16_f16 v[2:5], v[24:25], v[28:29], v[2:5]
	v_cvt_pkrtz_f16_f32 v22, v22, v23
	v_cvt_pkrtz_f16_f32 v23, v30, v31
	v_cvt_pk_f32_fp8_e32 v[24:25], v33
	v_cvt_pk_f32_fp8_sdwa v[30:31], v33 src0_sel:WORD_1
	v_mfma_f32_16x16x16_f16 v[2:5], v[22:23], v[18:19], v[2:5]
	v_cvt_pkrtz_f16_f32 v70, v24, v25
	v_cvt_pkrtz_f16_f32 v71, v30, v31
	global_load_dwordx4 v[30:33], v[48:49], off
	global_load_dwordx4 v[22:25], v[68:69], off
	v_mfma_f32_16x16x16_f16 v[2:5], v[70:71], v[20:21], v[2:5]
	v_cvt_pk_f32_fp8_e32 v[68:69], v10
	v_cvt_pk_f32_fp8_sdwa v[70:71], v10 src0_sel:WORD_1
	v_cvt_pk_f32_fp8_sdwa v[10:11], v11 src0_sel:WORD_1
	s_waitcnt vmcnt(3)
	v_mad_i64_i32 v[48:49], s[6:7], v55, s45, v[66:67]
	v_cvt_pkrtz_f16_f32 v68, v68, v69
	v_cvt_pkrtz_f16_f32 v69, v70, v71
	;; [unrolled: 1-line block ×4, first 2 shown]
	v_cvt_pk_f32_fp8_e32 v[10:11], v12
	v_cvt_pk_f32_fp8_sdwa v[72:73], v12 src0_sel:WORD_1
	s_waitcnt vmcnt(2)
	v_mad_i64_i32 v[74:75], s[6:7], v62, s45, v[66:67]
	v_mfma_f32_16x16x16_f16 v[66:69], v[68:69], v[14:15], v[2:5]
	v_cvt_pkrtz_f16_f32 v76, v10, v11
	v_cvt_pkrtz_f16_f32 v77, v72, v73
	v_cvt_pk_f32_fp8_e32 v[72:73], v13
	v_cvt_pk_f32_fp8_sdwa v[78:79], v13 src0_sel:WORD_1
	v_mfma_f32_16x16x16_f16 v[66:69], v[70:71], v[16:17], v[66:69]
	global_load_dwordx4 v[10:13], v[48:49], off
	global_load_dwordx4 v[2:5], v[74:75], off
	v_or_b32_e32 v58, 0x800, v58
	v_cvt_pkrtz_f16_f32 v48, v72, v73
	v_cvt_pkrtz_f16_f32 v49, v78, v79
	v_lshl_add_u64 v[46:47], v[46:47], 0, v[58:59]
	v_mfma_f32_16x16x16_f16 v[66:69], v[76:77], v[6:7], v[66:69]
	v_cvt_pk_f32_fp8_e32 v[58:59], v38
	v_cvt_pk_f32_fp8_sdwa v[70:71], v38 src0_sel:WORD_1
	v_cvt_pk_f32_fp8_e32 v[74:75], v40
	v_mfma_f32_16x16x16_f16 v[66:69], v[48:49], v[8:9], v[66:69]
	v_cvt_pk_f32_fp8_e32 v[48:49], v39
	v_cvt_pkrtz_f16_f32 v58, v58, v59
	v_cvt_pkrtz_f16_f32 v59, v70, v71
	v_cvt_pk_f32_fp8_sdwa v[38:39], v39 src0_sel:WORD_1
	v_cvt_pkrtz_f16_f32 v48, v48, v49
	v_cvt_pk_f32_fp8_sdwa v[76:77], v40 src0_sel:WORD_1
	v_mfma_f32_16x16x16_f16 v[70:73], v[58:59], v[26:27], 0
	v_cvt_pkrtz_f16_f32 v49, v38, v39
	v_cvt_pkrtz_f16_f32 v38, v74, v75
	;; [unrolled: 1-line block ×3, first 2 shown]
	v_cvt_pk_f32_fp8_e32 v[58:59], v41
	v_cvt_pk_f32_fp8_sdwa v[40:41], v41 src0_sel:WORD_1
	v_mfma_f32_16x16x16_f16 v[26:29], v[48:49], v[28:29], v[70:73]
	s_load_dword s6, s[40:41], 0x0
	v_cvt_pkrtz_f16_f32 v48, v58, v59
	v_cvt_pkrtz_f16_f32 v49, v40, v41
	v_mfma_f32_16x16x16_f16 v[26:29], v[38:39], v[18:19], v[26:29]
	v_mov_b32_e32 v70, s4
	s_waitcnt lgkmcnt(0)
	v_mul_f32_e32 v40, s6, v70
	v_pk_mul_f32 v[38:39], v[40:41], v[52:53] op_sel_hi:[0,1]
	v_mfma_f32_16x16x16_f16 v[18:21], v[48:49], v[20:21], v[26:29]
	v_cvt_pk_f32_fp8_e32 v[48:49], v35
	v_pk_mul_f32 v[50:51], v[40:41], v[50:51] op_sel_hi:[0,1]
	v_pk_mul_f32 v[52:53], v[40:41], v[42:43] op_sel_hi:[0,1]
	v_cvt_pk_f32_fp8_e32 v[26:27], v34
	v_cvt_pk_f32_fp8_sdwa v[28:29], v34 src0_sel:WORD_1
	v_cvt_pk_f32_fp8_sdwa v[34:35], v35 src0_sel:WORD_1
	v_pk_mul_f32 v[42:43], v[40:41], v[66:67] op_sel_hi:[0,1]
	v_cvt_pkrtz_f16_f32 v26, v26, v27
	v_cvt_pkrtz_f16_f32 v27, v28, v29
	;; [unrolled: 1-line block ×4, first 2 shown]
	v_cvt_pk_f32_fp8_e32 v[34:35], v36
	v_cvt_pk_f32_fp8_sdwa v[48:49], v36 src0_sel:WORD_1
	v_mfma_f32_16x16x16_f16 v[18:21], v[26:27], v[14:15], v[18:21]
	v_mad_i64_i32 v[58:59], s[6:7], v65, s45, v[46:47]
	v_cvt_pkrtz_f16_f32 v26, v34, v35
	v_cvt_pkrtz_f16_f32 v27, v48, v49
	v_cvt_pk_f32_fp8_e32 v[34:35], v37
	v_cvt_pk_f32_fp8_sdwa v[36:37], v37 src0_sel:WORD_1
	v_mfma_f32_16x16x16_f16 v[14:17], v[28:29], v[16:17], v[18:21]
	v_pk_mul_f32 v[48:49], v[40:41], v[44:45] op_sel_hi:[0,1]
	v_pk_mul_f32 v[44:45], v[40:41], v[68:69] op_sel_hi:[0,1]
	s_nop 0
	v_cvt_pkrtz_f16_f32 v18, v34, v35
	v_cvt_pkrtz_f16_f32 v19, v36, v37
	v_mfma_f32_16x16x16_f16 v[14:17], v[26:27], v[6:7], v[14:17]
	s_nop 0
	v_mfma_f32_16x16x16_f16 v[6:9], v[18:19], v[8:9], v[14:17]
	s_nop 6
	v_pk_mul_f32 v[34:35], v[40:41], v[8:9] op_sel_hi:[0,1]
	v_pk_mul_f32 v[40:41], v[40:41], v[6:7] op_sel_hi:[0,1]
	v_and_b32_e32 v6, 0xc0, v0
	v_add_u32_e32 v6, s18, v6
	v_lshl_or_b32 v6, v60, 2, v6
	v_or_b32_e32 v9, 1, v6
	v_mov_b32_e32 v7, 0xff7fffff
	v_cmp_gt_i32_e64 s[24:25], s5, v6
	v_cmp_gt_i32_e64 s[26:27], s5, v9
	v_or_b32_e32 v14, 3, v6
	v_cndmask_b32_e64 v8, v7, v50, s[24:25]
	v_cndmask_b32_e64 v9, v7, v51, s[26:27]
	v_max3_f32 v8, v8, s33, v9
	v_or_b32_e32 v9, 2, v6
	v_cmp_gt_i32_e64 s[28:29], s5, v9
	v_cmp_gt_i32_e64 s[30:31], s5, v14
	s_nop 0
	v_cndmask_b32_e64 v9, v7, v38, s[28:29]
	v_cndmask_b32_e64 v14, v7, v39, s[30:31]
	v_max3_f32 v8, v8, v9, v14
	v_or_b32_e32 v9, 16, v6
	v_or_b32_e32 v14, 17, v6
	v_cmp_gt_i32_e64 s[34:35], s5, v9
	v_cmp_gt_i32_e64 s[36:37], s5, v14
	s_nop 0
	v_cndmask_b32_e64 v9, v7, v52, s[34:35]
	v_cndmask_b32_e64 v14, v7, v53, s[36:37]
	v_max3_f32 v8, v8, v9, v14
	v_or_b32_e32 v9, 18, v6
	;; [unrolled: 8-line block ×6, first 2 shown]
	v_or_b32_e32 v6, 51, v6
	v_cmp_gt_i32_e32 vcc, s5, v9
	v_cmp_gt_i32_e64 s[4:5], s5, v6
	s_nop 0
	v_cndmask_b32_e32 v9, v7, v34, vcc
	v_cndmask_b32_e64 v6, v7, v35, s[4:5]
	v_max3_f32 v8, v8, v9, v6
	v_mbcnt_lo_u32_b32 v6, -1, 0
	v_mbcnt_hi_u32_b32 v9, -1, v6
	v_and_b32_e32 v6, 64, v9
	v_add_u32_e32 v14, 64, v6
	v_xor_b32_e32 v6, 32, v9
	v_cmp_lt_i32_e64 s[38:39], v6, v14
	s_nop 1
	v_cndmask_b32_e64 v6, v9, v6, s[38:39]
	v_lshlrev_b32_e32 v65, 2, v6
	ds_bpermute_b32 v15, v65, v8
	v_mad_i64_i32 v[6:7], s[38:39], v63, s45, v[46:47]
	global_load_dwordx4 v[26:29], v[58:59], off
	global_load_dwordx4 v[18:21], v[6:7], off
	s_waitcnt lgkmcnt(0)
	v_max_f32_e32 v6, v15, v15
	v_max_f32_e32 v15, v8, v6
	v_xor_b32_e32 v6, 16, v9
	v_cmp_lt_i32_e64 s[38:39], v6, v14
	s_nop 1
	v_cndmask_b32_e64 v6, v9, v6, s[38:39]
	v_lshlrev_b32_e32 v58, 2, v6
	ds_bpermute_b32 v14, v58, v15
	v_mad_i64_i32 v[6:7], s[38:39], v55, s45, v[46:47]
	v_mad_i64_i32 v[8:9], s[38:39], v62, s45, v[46:47]
	s_waitcnt lgkmcnt(0)
	v_max_f32_e32 v14, v14, v14
	v_max_f32_e32 v55, v15, v14
	v_sub_f32_e32 v14, v50, v55
	v_mul_f32_e32 v14, 0x3fb8aa3b, v14
	v_exp_f32_e32 v36, v14
	v_sub_f32_e32 v14, v51, v55
	v_mul_f32_e32 v14, 0x3fb8aa3b, v14
	v_exp_f32_e32 v37, v14
	global_load_dwordx4 v[14:17], v[6:7], off
	s_nop 0
	global_load_dwordx4 v[6:9], v[8:9], off
	v_sub_f32_e32 v38, v38, v55
	v_mul_f32_e32 v38, 0x3fb8aa3b, v38
	v_sub_f32_e32 v39, v39, v55
	v_exp_f32_e32 v38, v38
	v_mul_f32_e32 v39, 0x3fb8aa3b, v39
	v_exp_f32_e32 v39, v39
	v_cndmask_b32_e64 v36, 0, v36, s[24:25]
	v_add_f32_e32 v46, 0, v36
	v_cndmask_b32_e64 v37, 0, v37, s[26:27]
	v_add_f32_e32 v47, v46, v37
	;; [unrolled: 2-line block ×3, first 2 shown]
	v_cndmask_b32_e64 v47, 0, v39, s[30:31]
	v_sub_f32_e32 v39, v52, v55
	v_mul_f32_e32 v39, 0x3fb8aa3b, v39
	v_sub_f32_e32 v50, v53, v55
	v_exp_f32_e32 v39, v39
	v_mul_f32_e32 v50, 0x3fb8aa3b, v50
	v_sub_f32_e32 v48, v48, v55
	v_exp_f32_e32 v50, v50
	;; [unrolled: 3-line block ×4, first 2 shown]
	v_mul_f32_e32 v42, 0x3fb8aa3b, v42
	v_sub_f32_e32 v43, v43, v55
	v_add_f32_e32 v51, v38, v47
	v_cndmask_b32_e64 v38, 0, v39, s[34:35]
	v_exp_f32_e32 v42, v42
	v_mul_f32_e32 v43, 0x3fb8aa3b, v43
	v_sub_f32_e32 v44, v44, v55
	v_add_f32_e32 v51, v51, v38
	v_cndmask_b32_e64 v39, 0, v50, s[36:37]
	v_exp_f32_e32 v43, v43
	;; [unrolled: 5-line block ×7, first 2 shown]
	v_mul_f32_e32 v35, 0x3fb8aa3b, v35
	v_add_f32_e32 v50, v50, v44
	v_cndmask_b32_e64 v45, 0, v45, s[12:13]
	v_exp_f32_e32 v35, v35
	v_add_f32_e32 v50, v50, v45
	v_cndmask_b32_e64 v40, 0, v40, s[6:7]
	v_add_f32_e32 v50, v50, v40
	v_cndmask_b32_e64 v41, 0, v41, s[8:9]
	v_add_f32_e32 v50, v50, v41
	v_cndmask_b32_e32 v34, 0, v34, vcc
	v_add_f32_e32 v50, v50, v34
	v_cndmask_b32_e64 v35, 0, v35, s[4:5]
	v_add_f32_e32 v50, v50, v35
	ds_bpermute_b32 v51, v65, v50
	v_cmp_gt_u32_e32 vcc, 16, v61
	s_waitcnt lgkmcnt(0)
	s_barrier
	v_add_f32_e32 v50, v50, v51
	ds_bpermute_b32 v51, v58, v50
	s_and_saveexec_b64 s[4:5], vcc
	s_cbranch_execz .LBB1042_13
; %bb.12:
	s_waitcnt lgkmcnt(0)
	v_add_f32_e32 v50, v50, v51
	v_lshlrev_b32_e32 v51, 2, v64
	ds_write2st64_b32 v51, v55, v50 offset1:1
.LBB1042_13:
	s_or_b64 exec, exec, s[4:5]
	s_waitcnt lgkmcnt(0)
	v_lshlrev_b32_e32 v51, 2, v56
	s_load_dword s6, s[0:1], 0x94
	s_waitcnt lgkmcnt(0)
	s_barrier
	ds_read2_b32 v[52:53], v51 offset1:16
	ds_read2_b32 v[58:59], v51 offset0:32 offset1:48
	ds_read2_b32 v[62:63], v51 offset0:64 offset1:80
	s_mul_i32 s7, s23, 15
	s_waitcnt lgkmcnt(2)
	v_max3_f32 v50, v52, s33, v53
	s_waitcnt lgkmcnt(1)
	v_max3_f32 v50, v50, v58, v59
	v_sub_f32_e32 v52, v52, v50
	v_mul_f32_e32 v52, 0x3fb8aa3b, v52
	v_exp_f32_e32 v55, v52
	v_sub_f32_e32 v52, v53, v50
	v_mul_f32_e32 v52, 0x3fb8aa3b, v52
	v_exp_f32_e32 v61, v52
	;; [unrolled: 3-line block ×3, first 2 shown]
	ds_read2_b32 v[52:53], v51 offset0:96 offset1:112
	v_sub_f32_e32 v51, v59, v50
	v_mul_f32_e32 v51, 0x3fb8aa3b, v51
	v_exp_f32_e32 v59, v51
	s_waitcnt lgkmcnt(1)
	v_fma_f32 v51, v55, v62, 0
	v_fmac_f32_e32 v51, v61, v63
	s_waitcnt lgkmcnt(0)
	v_fmac_f32_e32 v51, v58, v52
	v_fmac_f32_e32 v51, v59, v53
	v_add_f32_e32 v52, 0x358637bd, v51
	v_div_scale_f32 v53, s[4:5], v52, v52, 1.0
	v_rcp_f32_e32 v62, v53
	s_barrier
	v_fma_f32 v63, -v53, v62, 1.0
	v_fmac_f32_e32 v62, v63, v62
	v_div_scale_f32 v63, vcc, 1.0, v52, 1.0
	v_mul_f32_e32 v64, v63, v62
	v_fma_f32 v65, -v53, v64, v63
	v_fmac_f32_e32 v64, v65, v62
	v_fma_f32 v53, -v53, v64, v63
	v_div_fmas_f32 v53, v53, v62, v64
	v_cmp_eq_u32_e32 vcc, 1, v57
	v_div_fixup_f32 v52, v53, v52, 1.0
	s_nop 0
	v_cndmask_b32_e32 v53, v55, v61, vcc
	v_cmp_eq_u32_e32 vcc, 2, v57
	s_nop 1
	v_cndmask_b32_e32 v53, v53, v58, vcc
	v_cmp_eq_u32_e32 vcc, 3, v57
	s_nop 1
	v_cndmask_b32_e32 v53, v53, v59, vcc
	v_mul_f32_e32 v52, v53, v52
	v_pk_mul_f32 v[46:47], v[52:53], v[46:47] op_sel_hi:[0,1]
	v_pk_mul_f32 v[36:37], v[52:53], v[36:37] op_sel_hi:[0,1]
	v_cvt_f16_f32_e32 v53, v46
	v_cvt_f16_f32_e32 v36, v36
	;; [unrolled: 1-line block ×4, first 2 shown]
	v_pk_mul_f32 v[48:49], v[52:53], v[48:49] op_sel_hi:[0,1]
	v_pk_mul_f32 v[38:39], v[52:53], v[38:39] op_sel_hi:[0,1]
	v_cvt_f16_f32_e32 v38, v38
	v_cvt_f16_f32_e32 v39, v39
	v_cvt_f16_f32_e32 v48, v48
	v_cvt_f16_f32_e32 v49, v49
	v_pack_b32_f16 v46, v36, v37
	v_pack_b32_f16 v47, v53, v47
	v_lshlrev_b32_e32 v37, 3, v60
	v_lshlrev_b32_e32 v36, 5, v56
	;; [unrolled: 1-line block ×3, first 2 shown]
	v_or3_b32 v55, v53, v36, v37
	v_pack_b32_f16 v38, v38, v39
	v_pack_b32_f16 v39, v48, v49
	ds_write2st64_b64 v55, v[46:47], v[38:39] offset1:1
	v_pk_mul_f32 v[38:39], v[52:53], v[44:45] op_sel_hi:[0,1]
	v_pk_mul_f32 v[42:43], v[52:53], v[42:43] op_sel_hi:[0,1]
	v_cvt_f16_f32_e32 v37, v42
	v_cvt_f16_f32_e32 v42, v43
	;; [unrolled: 1-line block ×4, first 2 shown]
	v_pk_mul_f32 v[34:35], v[52:53], v[34:35] op_sel_hi:[0,1]
	v_pk_mul_f32 v[38:39], v[52:53], v[40:41] op_sel_hi:[0,1]
	v_cvt_f16_f32_e32 v38, v38
	v_cvt_f16_f32_e32 v39, v39
	;; [unrolled: 1-line block ×4, first 2 shown]
	v_pack_b32_f16 v34, v37, v42
	v_pack_b32_f16 v35, v43, v44
	;; [unrolled: 1-line block ×4, first 2 shown]
	v_cmp_gt_u32_e32 vcc, 15, v0
	ds_write2st64_b64 v55, v[34:35], v[38:39] offset0:2 offset1:3
	s_and_saveexec_b64 s[4:5], vcc
	s_cbranch_execz .LBB1042_15
; %bb.14:
	s_mov_b32 s49, 0
	v_mov_b32_e32 v57, 0
	v_lshl_add_u64 v[34:35], s[48:49], 0, v[56:57]
	v_mov_b32_e32 v37, s7
	v_mad_u64_u32 v[34:35], s[12:13], s2, v37, v[34:35]
	s_mul_i32 s3, s3, s7
	v_mov_b32_e32 v38, s22
	v_mov_b32_e32 v39, v57
	s_load_dwordx4 s[8:11], s[0:1], 0x58
	v_add_u32_e32 v37, s3, v35
	v_mad_u64_u32 v[34:35], s[12:13], v34, s6, v[38:39]
	v_mov_b32_e32 v38, v35
	v_mad_u64_u32 v[38:39], s[12:13], v37, s6, v[38:39]
	v_mov_b32_e32 v35, v38
	v_lshlrev_b64 v[34:35], 2, v[34:35]
	s_waitcnt lgkmcnt(0)
	v_lshl_add_u64 v[38:39], s[10:11], 0, v[34:35]
	v_lshl_add_u64 v[34:35], s[8:9], 0, v[34:35]
	global_store_dword v[38:39], v50, off
	global_store_dword v[34:35], v51, off
.LBB1042_15:
	s_or_b64 exec, exec, s[4:5]
	s_waitcnt vmcnt(7)
	v_cvt_pk_f32_fp8_e32 v[34:35], v30
	v_lshl_or_b32 v50, v60, 9, v36
	v_cvt_pk_f32_fp8_sdwa v[36:37], v30 src0_sel:WORD_1
	s_waitcnt lgkmcnt(0)
	s_barrier
	v_cvt_pk_f32_fp8_e32 v[38:39], v31
	v_cvt_pkrtz_f16_f32 v30, v34, v35
	v_cvt_pk_f32_fp8_sdwa v[40:41], v31 src0_sel:WORD_1
	v_cvt_pkrtz_f16_f32 v31, v36, v37
	ds_read_b128 v[34:37], v50
	v_cvt_pkrtz_f16_f32 v46, v38, v39
	v_cvt_pkrtz_f16_f32 v47, v40, v41
	ds_read_b128 v[38:41], v50 offset:16
	v_cvt_pk_f32_fp8_e32 v[48:49], v32
	v_cvt_pk_f32_fp8_sdwa v[52:53], v32 src0_sel:WORD_1
	s_waitcnt lgkmcnt(1)
	v_mfma_f32_16x16x16_f16 v[42:45], v[30:31], v[34:35], 0
	s_waitcnt vmcnt(6)
	v_cvt_pk_f32_fp8_e32 v[58:59], v24
	v_cvt_pkrtz_f16_f32 v30, v48, v49
	v_cvt_pkrtz_f16_f32 v31, v52, v53
	v_cvt_pk_f32_fp8_e32 v[48:49], v33
	v_mfma_f32_16x16x16_f16 v[42:45], v[46:47], v[36:37], v[42:45]
	v_cvt_pk_f32_fp8_sdwa v[46:47], v33 src0_sel:WORD_1
	v_cvt_pk_f32_fp8_sdwa v[62:63], v24 src0_sel:WORD_1
	v_cvt_pkrtz_f16_f32 v48, v48, v49
	s_waitcnt lgkmcnt(0)
	v_mfma_f32_16x16x16_f16 v[30:33], v[30:31], v[38:39], v[42:45]
	v_cvt_pkrtz_f16_f32 v49, v46, v47
	s_waitcnt vmcnt(5)
	v_cvt_pk_f32_fp8_sdwa v[66:67], v12 src0_sel:WORD_1
	s_waitcnt vmcnt(4)
	v_cvt_pk_f32_fp8_sdwa v[68:69], v4 src0_sel:WORD_1
	v_cvt_pk_f32_fp8_e32 v[42:43], v22
	v_mfma_f32_16x16x16_f16 v[46:49], v[48:49], v[40:41], v[30:33]
	s_waitcnt vmcnt(3)
	v_cvt_pk_f32_fp8_sdwa v[70:71], v28 src0_sel:WORD_1
	s_load_dword s4, s[42:43], 0x0
	v_cvt_pk_f32_fp8_sdwa v[30:31], v22 src0_sel:WORD_1
	v_cvt_pk_f32_fp8_e32 v[32:33], v23
	v_cvt_pkrtz_f16_f32 v22, v42, v43
	v_cvt_pk_f32_fp8_sdwa v[42:43], v23 src0_sel:WORD_1
	v_cvt_pkrtz_f16_f32 v23, v30, v31
	v_cvt_pkrtz_f16_f32 v52, v32, v33
	ds_read_b128 v[30:33], v50 offset:2048
	v_cvt_pkrtz_f16_f32 v53, v42, v43
	ds_read_b128 v[42:45], v50 offset:2064
	s_waitcnt lgkmcnt(0)
	v_mfma_f32_16x16x16_f16 v[46:49], v[22:23], v[30:31], v[46:49]
	v_cvt_pkrtz_f16_f32 v22, v58, v59
	v_cvt_pkrtz_f16_f32 v23, v62, v63
	v_cvt_pk_f32_fp8_e32 v[58:59], v25
	v_mfma_f32_16x16x16_f16 v[46:49], v[52:53], v[32:33], v[46:49]
	v_cvt_pk_f32_fp8_sdwa v[52:53], v25 src0_sel:WORD_1
	s_mov_b32 s3, 0
	v_cvt_pkrtz_f16_f32 v58, v58, v59
	v_mfma_f32_16x16x16_f16 v[22:25], v[22:23], v[42:43], v[46:49]
	v_cvt_pkrtz_f16_f32 v59, v52, v53
	v_cmp_gt_u32_e32 vcc, 64, v0
	s_nop 0
	v_cvt_pk_f32_fp8_e32 v[46:47], v10
	v_mfma_f32_16x16x16_f16 v[62:65], v[58:59], v[44:45], v[22:25]
	v_cvt_pk_f32_fp8_e32 v[58:59], v12
	s_nop 1
	v_cvt_pk_f32_fp8_sdwa v[22:23], v10 src0_sel:WORD_1
	v_cvt_pk_f32_fp8_e32 v[24:25], v11
	v_cvt_pkrtz_f16_f32 v10, v46, v47
	v_cvt_pk_f32_fp8_sdwa v[46:47], v11 src0_sel:WORD_1
	v_cvt_pkrtz_f16_f32 v11, v22, v23
	v_cvt_pkrtz_f16_f32 v52, v24, v25
	ds_read_b128 v[22:25], v50 offset:4096
	v_cvt_pkrtz_f16_f32 v53, v46, v47
	ds_read_b128 v[46:49], v50 offset:4112
	s_waitcnt lgkmcnt(1)
	v_mfma_f32_16x16x16_f16 v[62:65], v[10:11], v[22:23], v[62:65]
	v_cvt_pkrtz_f16_f32 v10, v58, v59
	v_cvt_pkrtz_f16_f32 v11, v66, v67
	v_cvt_pk_f32_fp8_e32 v[58:59], v13
	v_mfma_f32_16x16x16_f16 v[62:65], v[52:53], v[24:25], v[62:65]
	v_cvt_pk_f32_fp8_sdwa v[52:53], v13 src0_sel:WORD_1
	v_cvt_pk_f32_fp8_e32 v[66:67], v4
	v_cvt_pkrtz_f16_f32 v58, v58, v59
	s_waitcnt lgkmcnt(0)
	v_mfma_f32_16x16x16_f16 v[10:13], v[10:11], v[46:47], v[62:65]
	v_cvt_pkrtz_f16_f32 v59, v52, v53
	v_cvt_pk_f32_fp8_e32 v[52:53], v2
	s_nop 0
	v_mfma_f32_16x16x16_f16 v[62:65], v[58:59], v[48:49], v[10:13]
	s_nop 2
	v_cvt_pk_f32_fp8_sdwa v[10:11], v2 src0_sel:WORD_1
	v_cvt_pk_f32_fp8_e32 v[12:13], v3
	v_cvt_pkrtz_f16_f32 v2, v52, v53
	v_cvt_pk_f32_fp8_sdwa v[52:53], v3 src0_sel:WORD_1
	v_cvt_pkrtz_f16_f32 v3, v10, v11
	v_cvt_pkrtz_f16_f32 v58, v12, v13
	ds_read_b128 v[10:13], v50 offset:6144
	v_cvt_pkrtz_f16_f32 v59, v52, v53
	s_waitcnt lgkmcnt(0)
	v_mfma_f32_16x16x16_f16 v[62:65], v[2:3], v[10:11], v[62:65]
	ds_read_b128 v[50:53], v50 offset:6160
	v_cvt_pkrtz_f16_f32 v2, v66, v67
	v_cvt_pkrtz_f16_f32 v3, v68, v69
	v_cvt_pk_f32_fp8_e32 v[66:67], v5
	v_mfma_f32_16x16x16_f16 v[62:65], v[58:59], v[12:13], v[62:65]
	v_cvt_pk_f32_fp8_sdwa v[58:59], v5 src0_sel:WORD_1
	v_cvt_pk_f32_fp8_e32 v[68:69], v28
	v_cvt_pkrtz_f16_f32 v66, v66, v67
	s_waitcnt lgkmcnt(0)
	v_mfma_f32_16x16x16_f16 v[2:5], v[2:3], v[50:51], v[62:65]
	v_cvt_pkrtz_f16_f32 v67, v58, v59
	v_cvt_pk_f32_fp8_e32 v[58:59], v26
	s_nop 0
	v_cvt_pk_f32_fp8_sdwa v[62:63], v26 src0_sel:WORD_1
	v_cvt_pk_f32_fp8_e32 v[64:65], v27
	v_cvt_pkrtz_f16_f32 v58, v58, v59
	v_cvt_pk_f32_fp8_sdwa v[26:27], v27 src0_sel:WORD_1
	v_cvt_pkrtz_f16_f32 v59, v62, v63
	v_mfma_f32_16x16x16_f16 v[2:5], v[66:67], v[52:53], v[2:5]
	v_cvt_pkrtz_f16_f32 v66, v64, v65
	v_cvt_pkrtz_f16_f32 v67, v26, v27
	;; [unrolled: 1-line block ×3, first 2 shown]
	v_mfma_f32_16x16x16_f16 v[62:65], v[58:59], v[34:35], 0
	v_cvt_pkrtz_f16_f32 v27, v70, v71
	v_cvt_pk_f32_fp8_e32 v[58:59], v29
	s_barrier
	v_mfma_f32_16x16x16_f16 v[34:37], v[66:67], v[36:37], v[62:65]
	v_cvt_pkrtz_f16_f32 v58, v58, v59
	s_nop 1
	v_cvt_pk_f32_fp8_sdwa v[62:63], v29 src0_sel:WORD_1
	v_mfma_f32_16x16x16_f16 v[26:29], v[26:27], v[38:39], v[34:37]
	s_waitcnt vmcnt(2)
	v_cvt_pk_f32_fp8_e32 v[38:39], v19
	v_cvt_pkrtz_f16_f32 v59, v62, v63
	v_cvt_pk_f32_fp8_e32 v[34:35], v18
	v_cvt_pk_f32_fp8_sdwa v[36:37], v18 src0_sel:WORD_1
	v_cvt_pk_f32_fp8_sdwa v[18:19], v19 src0_sel:WORD_1
	v_mfma_f32_16x16x16_f16 v[26:29], v[58:59], v[40:41], v[26:29]
	v_cvt_pkrtz_f16_f32 v34, v34, v35
	v_cvt_pkrtz_f16_f32 v35, v36, v37
	;; [unrolled: 1-line block ×3, first 2 shown]
	v_cvt_pk_f32_fp8_e32 v[38:39], v20
	v_cvt_pk_f32_fp8_sdwa v[40:41], v20 src0_sel:WORD_1
	v_cvt_pkrtz_f16_f32 v37, v18, v19
	v_mfma_f32_16x16x16_f16 v[26:29], v[34:35], v[30:31], v[26:29]
	v_cvt_pkrtz_f16_f32 v30, v38, v39
	v_cvt_pkrtz_f16_f32 v31, v40, v41
	v_cvt_pk_f32_fp8_e32 v[34:35], v21
	v_cvt_pk_f32_fp8_sdwa v[38:39], v21 src0_sel:WORD_1
	v_mfma_f32_16x16x16_f16 v[18:21], v[36:37], v[32:33], v[26:29]
	s_waitcnt vmcnt(1)
	v_cvt_pk_f32_fp8_sdwa v[32:33], v16 src0_sel:WORD_1
	s_nop 0
	v_cvt_pkrtz_f16_f32 v26, v34, v35
	v_cvt_pkrtz_f16_f32 v27, v38, v39
	v_mfma_f32_16x16x16_f16 v[18:21], v[30:31], v[42:43], v[18:21]
	v_cvt_pk_f32_fp8_e32 v[28:29], v14
	v_cvt_pk_f32_fp8_sdwa v[30:31], v14 src0_sel:WORD_1
	v_cvt_pkrtz_f16_f32 v28, v28, v29
	v_mfma_f32_16x16x16_f16 v[18:21], v[26:27], v[44:45], v[18:21]
	v_cvt_pk_f32_fp8_e32 v[26:27], v15
	v_cvt_pkrtz_f16_f32 v29, v30, v31
	v_cvt_pk_f32_fp8_sdwa v[14:15], v15 src0_sel:WORD_1
	v_cvt_pk_f32_fp8_e32 v[30:31], v16
	v_cvt_pkrtz_f16_f32 v26, v26, v27
	v_mfma_f32_16x16x16_f16 v[18:21], v[28:29], v[22:23], v[18:21]
	v_cvt_pkrtz_f16_f32 v27, v14, v15
	v_cvt_pkrtz_f16_f32 v22, v30, v31
	;; [unrolled: 1-line block ×3, first 2 shown]
	v_cvt_pk_f32_fp8_e32 v[28:29], v17
	v_cvt_pk_f32_fp8_sdwa v[30:31], v17 src0_sel:WORD_1
	v_mfma_f32_16x16x16_f16 v[14:17], v[26:27], v[24:25], v[18:21]
	s_waitcnt vmcnt(0)
	v_cvt_pk_f32_fp8_sdwa v[24:25], v6 src0_sel:WORD_1
	s_nop 0
	v_pk_mul_f32 v[18:19], v[4:5], s[4:5] op_sel_hi:[1,0]
	v_cvt_pkrtz_f16_f32 v4, v28, v29
	v_cvt_pkrtz_f16_f32 v5, v30, v31
	v_mfma_f32_16x16x16_f16 v[14:17], v[22:23], v[46:47], v[14:17]
	v_cvt_pk_f32_fp8_e32 v[22:23], v6
	v_pk_mul_f32 v[20:21], v[2:3], s[4:5] op_sel_hi:[1,0]
	v_mfma_f32_16x16x16_f16 v[2:5], v[4:5], v[48:49], v[14:17]
	s_nop 3
	v_cvt_pk_f32_fp8_e32 v[14:15], v7
	v_cvt_pkrtz_f16_f32 v16, v22, v23
	v_cvt_pkrtz_f16_f32 v17, v24, v25
	v_cvt_pk_f32_fp8_sdwa v[6:7], v7 src0_sel:WORD_1
	v_cvt_pkrtz_f16_f32 v14, v14, v15
	v_cvt_pk_f32_fp8_e32 v[22:23], v8
	v_cvt_pk_f32_fp8_sdwa v[24:25], v8 src0_sel:WORD_1
	v_cvt_pkrtz_f16_f32 v15, v6, v7
	v_mfma_f32_16x16x16_f16 v[2:5], v[16:17], v[10:11], v[2:5]
	v_cvt_pkrtz_f16_f32 v6, v22, v23
	v_cvt_pkrtz_f16_f32 v7, v24, v25
	v_cvt_pk_f32_fp8_e32 v[10:11], v9
	v_cvt_pk_f32_fp8_sdwa v[8:9], v9 src0_sel:WORD_1
	v_mfma_f32_16x16x16_f16 v[2:5], v[14:15], v[12:13], v[2:5]
	v_cvt_f16_f32_e32 v12, v20
	v_cvt_pkrtz_f16_f32 v10, v10, v11
	v_cvt_pkrtz_f16_f32 v11, v8, v9
	v_mfma_f32_16x16x16_f16 v[2:5], v[6:7], v[50:51], v[2:5]
	v_cvt_f16_f32_e32 v6, v21
	v_cvt_f16_f32_e32 v7, v18
	;; [unrolled: 1-line block ×3, first 2 shown]
	v_mfma_f32_16x16x16_f16 v[2:5], v[10:11], v[52:53], v[2:5]
	s_nop 6
	v_pk_mul_f32 v[4:5], v[4:5], s[4:5] op_sel_hi:[1,0]
	v_pk_mul_f32 v[2:3], v[2:3], s[4:5] op_sel_hi:[1,0]
	v_cvt_f16_f32_e32 v11, v4
	v_cvt_f16_f32_e32 v9, v2
	;; [unrolled: 1-line block ×4, first 2 shown]
	v_pack_b32_f16 v2, v12, v6
	v_pack_b32_f16 v3, v7, v8
	;; [unrolled: 1-line block ×4, first 2 shown]
	ds_write2st64_b64 v55, v[2:3], v[4:5] offset1:1
	s_waitcnt lgkmcnt(0)
	s_barrier
	s_and_saveexec_b64 s[4:5], vcc
	s_cbranch_execz .LBB1042_18
; %bb.16:
	s_load_dwordx2 s[4:5], s[0:1], 0x68
	s_lshl_b32 s0, s6, 7
	s_mul_i32 s1, s7, s2
	v_lshlrev_b32_e32 v3, 6, v56
	s_mul_hi_u32 s7, s1, s0
	s_mul_i32 s6, s1, s0
	v_lshl_or_b32 v0, v0, 10, v3
	s_lshl_b64 s[6:7], s[6:7], 1
	v_lshlrev_b32_e32 v2, 5, v60
	v_and_b32_e32 v1, 16, v1
	v_and_b32_e32 v0, 0x1a00, v0
	s_waitcnt lgkmcnt(0)
	s_add_u32 s1, s4, s6
	v_or3_b32 v2, v0, v2, v1
	s_addc_u32 s4, s5, s7
	s_lshl_b32 s2, s22, 7
	ds_read_b128 v[4:7], v2 offset:256
	s_lshl_b64 s[2:3], s[2:3], 1
	ds_read_b128 v[8:11], v2 offset:128
	ds_read_b128 v[12:15], v2
	s_add_u32 s2, s1, s2
	s_addc_u32 s3, s4, s3
	v_mov_b32_e32 v55, 0
	v_add_u32_e32 v3, s48, v60
	v_lshl_add_u64 v[0:1], s[2:3], 0, v[54:55]
	v_mad_u64_u32 v[16:17], s[2:3], v3, s0, 0
	v_lshl_add_u64 v[16:17], v[16:17], 1, v[0:1]
	s_waitcnt lgkmcnt(0)
	global_store_dwordx4 v[16:17], v[12:15], off
	v_cmp_ne_u32_e32 vcc, 3, v60
	s_nop 0
	v_add_u32_e32 v12, 4, v3
	v_mad_u64_u32 v[12:13], s[2:3], v12, s0, 0
	v_lshl_add_u64 v[12:13], v[12:13], 1, v[0:1]
	v_add_u32_e32 v3, 8, v3
	global_store_dwordx4 v[12:13], v[8:11], off
	s_nop 1
	v_mad_u64_u32 v[8:9], s[2:3], v3, s0, 0
	v_lshl_add_u64 v[8:9], v[8:9], 1, v[0:1]
	global_store_dwordx4 v[8:9], v[4:7], off
	s_and_b64 exec, exec, vcc
	s_cbranch_execz .LBB1042_18
; %bb.17:
	ds_read_b128 v[2:5], v2 offset:384
	v_add3_u32 v6, s48, v60, 12
	v_mad_u64_u32 v[6:7], s[0:1], v6, s0, 0
	v_lshl_add_u64 v[0:1], v[6:7], 1, v[0:1]
	s_waitcnt lgkmcnt(0)
	global_store_dwordx4 v[0:1], v[2:5], off
.LBB1042_18:
	s_endpgm
	.section	.rodata,"a",@progbits
	.p2align	6, 0x0
	.amdhsa_kernel _Z39paged_attention_ll4mi_QKV_mfma16_kernelIDF16_hLN4vllm18Fp8KVCacheDataTypeE1EhLi32ELi128ELi256ELb0ELi15EEvPKT_PKT0_S7_ifPKiS9_S9_iPKfiiiPfSC_PS2_PT2_iSB_SB_
		.amdhsa_group_segment_fixed_size 8192
		.amdhsa_private_segment_fixed_size 0
		.amdhsa_kernarg_size 400
		.amdhsa_user_sgpr_count 2
		.amdhsa_user_sgpr_dispatch_ptr 0
		.amdhsa_user_sgpr_queue_ptr 0
		.amdhsa_user_sgpr_kernarg_segment_ptr 1
		.amdhsa_user_sgpr_dispatch_id 0
		.amdhsa_user_sgpr_kernarg_preload_length 0
		.amdhsa_user_sgpr_kernarg_preload_offset 0
		.amdhsa_user_sgpr_private_segment_size 0
		.amdhsa_uses_dynamic_stack 0
		.amdhsa_enable_private_segment 0
		.amdhsa_system_sgpr_workgroup_id_x 1
		.amdhsa_system_sgpr_workgroup_id_y 1
		.amdhsa_system_sgpr_workgroup_id_z 1
		.amdhsa_system_sgpr_workgroup_info 0
		.amdhsa_system_vgpr_workitem_id 0
		.amdhsa_next_free_vgpr 80
		.amdhsa_next_free_sgpr 50
		.amdhsa_accum_offset 80
		.amdhsa_reserve_vcc 1
		.amdhsa_float_round_mode_32 0
		.amdhsa_float_round_mode_16_64 0
		.amdhsa_float_denorm_mode_32 3
		.amdhsa_float_denorm_mode_16_64 3
		.amdhsa_dx10_clamp 1
		.amdhsa_ieee_mode 1
		.amdhsa_fp16_overflow 0
		.amdhsa_tg_split 0
		.amdhsa_exception_fp_ieee_invalid_op 0
		.amdhsa_exception_fp_denorm_src 0
		.amdhsa_exception_fp_ieee_div_zero 0
		.amdhsa_exception_fp_ieee_overflow 0
		.amdhsa_exception_fp_ieee_underflow 0
		.amdhsa_exception_fp_ieee_inexact 0
		.amdhsa_exception_int_div_zero 0
	.end_amdhsa_kernel
	.section	.text._Z39paged_attention_ll4mi_QKV_mfma16_kernelIDF16_hLN4vllm18Fp8KVCacheDataTypeE1EhLi32ELi128ELi256ELb0ELi15EEvPKT_PKT0_S7_ifPKiS9_S9_iPKfiiiPfSC_PS2_PT2_iSB_SB_,"axG",@progbits,_Z39paged_attention_ll4mi_QKV_mfma16_kernelIDF16_hLN4vllm18Fp8KVCacheDataTypeE1EhLi32ELi128ELi256ELb0ELi15EEvPKT_PKT0_S7_ifPKiS9_S9_iPKfiiiPfSC_PS2_PT2_iSB_SB_,comdat
.Lfunc_end1042:
	.size	_Z39paged_attention_ll4mi_QKV_mfma16_kernelIDF16_hLN4vllm18Fp8KVCacheDataTypeE1EhLi32ELi128ELi256ELb0ELi15EEvPKT_PKT0_S7_ifPKiS9_S9_iPKfiiiPfSC_PS2_PT2_iSB_SB_, .Lfunc_end1042-_Z39paged_attention_ll4mi_QKV_mfma16_kernelIDF16_hLN4vllm18Fp8KVCacheDataTypeE1EhLi32ELi128ELi256ELb0ELi15EEvPKT_PKT0_S7_ifPKiS9_S9_iPKfiiiPfSC_PS2_PT2_iSB_SB_
                                        ; -- End function
	.section	.AMDGPU.csdata,"",@progbits
; Kernel info:
; codeLenInByte = 6148
; NumSgprs: 56
; NumVgprs: 80
; NumAgprs: 0
; TotalNumVgprs: 80
; ScratchSize: 0
; MemoryBound: 0
; FloatMode: 240
; IeeeMode: 1
; LDSByteSize: 8192 bytes/workgroup (compile time only)
; SGPRBlocks: 6
; VGPRBlocks: 9
; NumSGPRsForWavesPerEU: 56
; NumVGPRsForWavesPerEU: 80
; AccumOffset: 80
; Occupancy: 6
; WaveLimiterHint : 1
; COMPUTE_PGM_RSRC2:SCRATCH_EN: 0
; COMPUTE_PGM_RSRC2:USER_SGPR: 2
; COMPUTE_PGM_RSRC2:TRAP_HANDLER: 0
; COMPUTE_PGM_RSRC2:TGID_X_EN: 1
; COMPUTE_PGM_RSRC2:TGID_Y_EN: 1
; COMPUTE_PGM_RSRC2:TGID_Z_EN: 1
; COMPUTE_PGM_RSRC2:TIDIG_COMP_CNT: 0
; COMPUTE_PGM_RSRC3_GFX90A:ACCUM_OFFSET: 19
; COMPUTE_PGM_RSRC3_GFX90A:TG_SPLIT: 0
	.section	.text._Z39paged_attention_ll4mi_QKV_mfma16_kernelIDF16_hLN4vllm18Fp8KVCacheDataTypeE1EhLi32ELi128ELi256ELb0ELi16EEvPKT_PKT0_S7_ifPKiS9_S9_iPKfiiiPfSC_PS2_PT2_iSB_SB_,"axG",@progbits,_Z39paged_attention_ll4mi_QKV_mfma16_kernelIDF16_hLN4vllm18Fp8KVCacheDataTypeE1EhLi32ELi128ELi256ELb0ELi16EEvPKT_PKT0_S7_ifPKiS9_S9_iPKfiiiPfSC_PS2_PT2_iSB_SB_,comdat
	.protected	_Z39paged_attention_ll4mi_QKV_mfma16_kernelIDF16_hLN4vllm18Fp8KVCacheDataTypeE1EhLi32ELi128ELi256ELb0ELi16EEvPKT_PKT0_S7_ifPKiS9_S9_iPKfiiiPfSC_PS2_PT2_iSB_SB_ ; -- Begin function _Z39paged_attention_ll4mi_QKV_mfma16_kernelIDF16_hLN4vllm18Fp8KVCacheDataTypeE1EhLi32ELi128ELi256ELb0ELi16EEvPKT_PKT0_S7_ifPKiS9_S9_iPKfiiiPfSC_PS2_PT2_iSB_SB_
	.globl	_Z39paged_attention_ll4mi_QKV_mfma16_kernelIDF16_hLN4vllm18Fp8KVCacheDataTypeE1EhLi32ELi128ELi256ELb0ELi16EEvPKT_PKT0_S7_ifPKiS9_S9_iPKfiiiPfSC_PS2_PT2_iSB_SB_
	.p2align	8
	.type	_Z39paged_attention_ll4mi_QKV_mfma16_kernelIDF16_hLN4vllm18Fp8KVCacheDataTypeE1EhLi32ELi128ELi256ELb0ELi16EEvPKT_PKT0_S7_ifPKiS9_S9_iPKfiiiPfSC_PS2_PT2_iSB_SB_,@function
_Z39paged_attention_ll4mi_QKV_mfma16_kernelIDF16_hLN4vllm18Fp8KVCacheDataTypeE1EhLi32ELi128ELi256ELb0ELi16EEvPKT_PKT0_S7_ifPKiS9_S9_iPKfiiiPfSC_PS2_PT2_iSB_SB_: ; @_Z39paged_attention_ll4mi_QKV_mfma16_kernelIDF16_hLN4vllm18Fp8KVCacheDataTypeE1EhLi32ELi128ELi256ELb0ELi16EEvPKT_PKT0_S7_ifPKiS9_S9_iPKfiiiPfSC_PS2_PT2_iSB_SB_
; %bb.0:
	s_load_dwordx2 s[12:13], s[0:1], 0x30
	s_mov_b32 s24, s3
	s_mov_b64 s[6:7], 0
	s_waitcnt lgkmcnt(0)
	s_cmp_lg_u64 s[12:13], 0
	s_cselect_b64 s[14:15], -1, 0
	s_and_b64 vcc, exec, s[14:15]
	s_cbranch_vccz .LBB1043_7
; %bb.1:
	s_add_i32 s8, s2, 1
	s_mov_b32 s9, 0
	s_lshl_b64 s[10:11], s[8:9], 2
	s_add_u32 s10, s12, s10
	s_mov_b32 s3, s9
	s_addc_u32 s11, s13, s11
	s_lshl_b64 s[8:9], s[2:3], 2
	s_add_u32 s8, s12, s8
	s_addc_u32 s9, s13, s9
	s_load_dword s5, s[10:11], 0x0
	s_load_dword s16, s[8:9], 0x0
	s_waitcnt lgkmcnt(0)
	s_sub_i32 s5, s5, s16
	s_cmp_eq_u32 s5, 1
	s_cselect_b64 s[8:9], -1, 0
	s_andn2_b64 vcc, exec, s[6:7]
	s_cbranch_vccnz .LBB1043_3
.LBB1043_2:
	s_mov_b32 s3, 0
	s_mov_b64 s[8:9], -1
.LBB1043_3:
	s_andn2_b64 vcc, exec, s[8:9]
	s_cbranch_vccnz .LBB1043_17
; %bb.4:
	s_load_dwordx2 s[6:7], s[0:1], 0x28
	s_lshl_b64 s[16:17], s[2:3], 2
	s_waitcnt lgkmcnt(0)
	s_add_u32 s6, s6, s16
	s_addc_u32 s7, s7, s17
	s_load_dword s38, s[6:7], 0x0
	s_lshl_b32 s18, s24, 8
	s_waitcnt lgkmcnt(0)
	s_cmp_ge_i32 s18, s38
	s_cbranch_scc1 .LBB1043_17
; %bb.5:
	s_load_dwordx2 s[6:7], s[0:1], 0x20
	s_load_dword s8, s[0:1], 0x38
	s_add_i32 s5, s38, 31
	s_ashr_i32 s9, s5, 31
	v_and_b32_e32 v1, 0xcf, v0
	s_lshr_b32 s9, s9, 27
	v_add_u32_e32 v1, s18, v1
	s_add_i32 s5, s5, s9
	v_ashrrev_i32_e32 v2, 31, v1
	s_ashr_i32 s5, s5, 5
	v_lshrrev_b32_e32 v10, 27, v2
	s_add_i32 s5, s5, -1
	s_waitcnt lgkmcnt(0)
	s_mul_i32 s8, s2, s8
	s_mov_b32 s9, 0
	v_add_u32_e32 v2, v1, v10
	s_lshl_b64 s[8:9], s[8:9], 2
	v_ashrrev_i32_e32 v2, 5, v2
	v_mov_b32_e32 v11, s5
	v_cmp_gt_i32_e32 vcc, s38, v1
	s_add_u32 s6, s6, s8
	s_addc_u32 s7, s7, s9
	v_cndmask_b32_e32 v2, v11, v2, vcc
	v_ashrrev_i32_e32 v3, 31, v2
	v_lshl_add_u64 v[4:5], v[2:3], 2, s[6:7]
	v_or_b32_e32 v2, 16, v1
	v_add_u32_e32 v3, v2, v10
	v_ashrrev_i32_e32 v3, 5, v3
	v_cmp_gt_i32_e32 vcc, s38, v2
	s_load_dwordx4 s[8:11], s[0:1], 0x8
	s_nop 0
	v_cndmask_b32_e32 v2, v11, v3, vcc
	v_ashrrev_i32_e32 v3, 31, v2
	v_lshl_add_u64 v[6:7], v[2:3], 2, s[6:7]
	v_or_b32_e32 v2, 32, v1
	v_add_u32_e32 v3, v2, v10
	v_ashrrev_i32_e32 v3, 5, v3
	v_cmp_gt_i32_e32 vcc, s38, v2
	v_or_b32_e32 v1, 48, v1
	s_nop 0
	v_cndmask_b32_e32 v2, v11, v3, vcc
	v_ashrrev_i32_e32 v3, 31, v2
	v_lshl_add_u64 v[8:9], v[2:3], 2, s[6:7]
	v_add_u32_e32 v2, v1, v10
	v_ashrrev_i32_e32 v2, 5, v2
	v_cmp_gt_i32_e32 vcc, s38, v1
	s_nop 1
	v_cndmask_b32_e32 v2, v11, v2, vcc
	v_ashrrev_i32_e32 v3, 31, v2
	v_lshl_add_u64 v[10:11], v[2:3], 2, s[6:7]
	global_load_dword v2, v[4:5], off
	global_load_dword v24, v[6:7], off
	;; [unrolled: 1-line block ×4, first 2 shown]
	s_andn2_b64 vcc, exec, s[14:15]
	s_cbranch_vccnz .LBB1043_8
; %bb.6:
	s_add_u32 s12, s12, s16
	s_addc_u32 s13, s13, s17
	s_load_dword s14, s[12:13], 0x0
	s_branch .LBB1043_9
.LBB1043_7:
	s_mov_b64 s[8:9], 0
	s_branch .LBB1043_2
.LBB1043_8:
	s_mov_b32 s14, s2
.LBB1043_9:
	s_load_dwordx4 s[44:47], s[0:1], 0x48
	v_and_b32_e32 v58, 15, v0
	v_lshlrev_b32_e32 v3, 3, v58
	s_movk_i32 s12, 0x100
	v_lshrrev_b32_e32 v60, 6, v0
	v_and_b32_e32 v61, 63, v0
	v_bfe_u32 v1, v0, 4, 2
	s_lshl_b32 s25, s4, 4
	v_cmp_gt_u32_e32 vcc, s12, v0
	v_lshlrev_b32_e32 v54, 1, v3
	v_lshlrev_b32_e32 v59, 4, v0
	s_and_saveexec_b64 s[12:13], vcc
	s_cbranch_execz .LBB1043_11
; %bb.10:
	s_load_dwordx2 s[16:17], s[0:1], 0x0
	s_waitcnt lgkmcnt(0)
	s_ashr_i32 s15, s44, 31
	s_mul_hi_u32 s19, s14, s44
	s_mul_i32 s15, s14, s15
	s_add_i32 s15, s19, s15
	s_mul_i32 s14, s14, s44
	v_lshl_or_b32 v3, v60, 2, v1
	s_lshl_b64 s[14:15], s[14:15], 1
	s_add_u32 s14, s16, s14
	v_add_lshl_u32 v4, v3, s25, 7
	s_addc_u32 s15, s17, s15
	v_ashrrev_i32_e32 v5, 31, v4
	v_lshl_add_u64 v[4:5], v[4:5], 1, s[14:15]
	v_mov_b32_e32 v55, 0
	v_lshl_add_u64 v[4:5], v[4:5], 0, v[54:55]
	global_load_dwordx4 v[4:7], v[4:5], off
	v_lshlrev_b32_e32 v9, 8, v0
	v_lshlrev_b32_e32 v8, 8, v58
	v_and_b32_e32 v9, 0x600, v9
	s_movk_i32 s14, 0x800
	v_and_or_b32 v8, v8, s14, v9
	v_lshlrev_b32_e32 v3, 5, v3
	v_and_b32_e32 v9, 16, v59
	v_or3_b32 v3, v8, v3, v9
	s_waitcnt vmcnt(0)
	ds_write_b128 v3, v[4:7]
.LBB1043_11:
	s_or_b64 exec, exec, s[12:13]
	s_waitcnt lgkmcnt(0)
	s_mul_i32 s12, s4, s46
	s_add_u32 s8, s8, s12
	s_addc_u32 s9, s9, 0
	v_mov_b32_e32 v57, 0
	v_mov_b64_e32 v[16:17], s[8:9]
	v_and_b32_e32 v8, 48, v0
	s_waitcnt vmcnt(3)
	v_mad_i64_i32 v[2:3], s[8:9], v2, s45, v[16:17]
	v_lshlrev_b32_e32 v14, 4, v58
	v_mov_b32_e32 v15, v57
	v_lshlrev_b32_e32 v56, 5, v8
	v_lshl_add_u64 v[2:3], v[2:3], 0, v[14:15]
	v_lshl_add_u64 v[6:7], v[2:3], 0, v[56:57]
	s_load_dword s33, s[0:1], 0x98
	s_load_dwordx4 s[40:43], s[0:1], 0x80
	s_waitcnt lgkmcnt(0)
	s_barrier
	global_load_dwordx4 v[30:33], v[6:7], off
	global_load_dwordx4 v[2:5], v[6:7], off offset:2048
	s_ashr_i32 s4, s18, 31
	v_mov_b32_e32 v38, s5
	v_or_b32_e32 v34, 0x100, v14
	v_mov_b32_e32 v35, v57
	s_lshr_b32 s9, s4, 27
	s_waitcnt vmcnt(4)
	v_mad_i64_i32 v[24:25], s[4:5], v24, s45, v[16:17]
	v_lshlrev_b32_e32 v62, 5, v58
	v_lshl_add_u64 v[24:25], v[24:25], 0, v[34:35]
	v_lshl_or_b32 v55, v1, 9, v62
	v_lshl_add_u64 v[24:25], v[24:25], 0, v[56:57]
	v_or_b32_e32 v39, s18, v8
	ds_read_b128 v[26:29], v55
	ds_read_b128 v[18:21], v55 offset:16
	ds_read_b128 v[10:13], v55 offset:2048
	;; [unrolled: 1-line block ×3, first 2 shown]
	global_load_dwordx4 v[46:49], v[24:25], off
	v_or_b32_e32 v41, 0x80, v39
	v_or_b32_e32 v51, 0xc0, v39
	s_waitcnt vmcnt(4)
	v_mad_i64_i32 v[36:37], s[4:5], v22, s45, v[16:17]
	v_add_u32_e32 v42, s9, v41
	v_add_u32_e32 v43, s9, v51
	v_lshl_add_u64 v[14:15], v[36:37], 0, v[14:15]
	v_ashrrev_i32_e32 v36, 5, v42
	v_ashrrev_i32_e32 v37, 5, v43
	global_load_dwordx4 v[42:45], v[24:25], off offset:2048
	v_or_b32_e32 v40, 64, v39
	v_add_u32_e32 v22, s9, v39
	s_waitcnt vmcnt(4)
	v_mad_i64_i32 v[16:17], s[4:5], v23, s45, v[16:17]
	v_add_u32_e32 v23, s9, v40
	v_ashrrev_i32_e32 v22, 5, v22
	v_cmp_gt_i32_e32 vcc, s38, v39
	v_ashrrev_i32_e32 v23, 5, v23
	v_lshl_add_u64 v[16:17], v[16:17], 0, v[34:35]
	v_cndmask_b32_e32 v50, v38, v22, vcc
	v_cmp_gt_i32_e32 vcc, s38, v40
	v_lshl_add_u64 v[14:15], v[14:15], 0, v[56:57]
	v_lshl_add_u64 v[34:35], v[16:17], 0, v[56:57]
	v_cndmask_b32_e32 v52, v38, v23, vcc
	v_cmp_gt_i32_e32 vcc, s38, v41
	v_ashrrev_i32_e32 v53, 31, v52
	v_lshl_add_u64 v[52:53], v[52:53], 2, s[6:7]
	v_cndmask_b32_e32 v64, v38, v36, vcc
	v_cmp_gt_i32_e32 vcc, s38, v51
	v_ashrrev_i32_e32 v51, 31, v50
	v_lshl_add_u64 v[50:51], v[50:51], 2, s[6:7]
	v_cndmask_b32_e32 v66, v38, v37, vcc
	global_load_dwordx4 v[22:25], v[14:15], off
	s_nop 0
	global_load_dwordx4 v[14:17], v[14:15], off offset:2048
	s_nop 0
	global_load_dwordx4 v[38:41], v[34:35], off
	s_nop 0
	global_load_dwordx4 v[34:37], v[34:35], off offset:2048
	v_ashrrev_i32_e32 v67, 31, v66
	v_lshl_add_u64 v[68:69], v[66:67], 2, s[6:7]
	v_ashrrev_i32_e32 v65, 31, v64
	v_lshl_add_u64 v[64:65], v[64:65], 2, s[6:7]
	s_add_u32 s4, s10, s12
	s_addc_u32 s5, s11, 0
	v_and_b32_e32 v56, 16, v0
	v_lshl_or_b32 v63, v60, 4, v58
	s_load_dword s8, s[0:1], 0x1c
	s_waitcnt vmcnt(7)
	v_cvt_pk_f32_fp8_e32 v[66:67], v30
	v_cvt_pk_f32_fp8_sdwa v[70:71], v30 src0_sel:WORD_1
	v_cvt_pk_f32_fp8_e32 v[72:73], v31
	v_cvt_pk_f32_fp8_sdwa v[30:31], v31 src0_sel:WORD_1
	;; [unrolled: 2-line block ×4, first 2 shown]
	v_cvt_pkrtz_f16_f32 v32, v66, v67
	v_cvt_pkrtz_f16_f32 v33, v70, v71
	;; [unrolled: 1-line block ×4, first 2 shown]
	s_waitcnt lgkmcnt(0)
	v_mfma_f32_16x16x16_f16 v[30:33], v[32:33], v[26:27], 0
	v_cvt_pkrtz_f16_f32 v74, v74, v75
	v_cvt_pkrtz_f16_f32 v75, v76, v77
	s_waitcnt vmcnt(6)
	v_cvt_pk_f32_fp8_e32 v[70:71], v2
	v_mfma_f32_16x16x16_f16 v[30:33], v[66:67], v[28:29], v[30:33]
	global_load_dword v67, v[50:51], off
	global_load_dword v66, v[52:53], off
	s_nop 0
	global_load_dword v65, v[64:65], off
	s_nop 0
	global_load_dword v64, v[68:69], off
	v_cvt_pk_f32_fp8_sdwa v[82:83], v2 src0_sel:WORD_1
	v_cvt_pkrtz_f16_f32 v76, v78, v79
	v_cvt_pkrtz_f16_f32 v77, v80, v81
	v_mfma_f32_16x16x16_f16 v[30:33], v[74:75], v[18:19], v[30:33]
	v_cvt_pkrtz_f16_f32 v50, v70, v71
	v_cvt_pkrtz_f16_f32 v51, v82, v83
	v_cvt_pk_f32_fp8_e32 v[72:73], v3
	v_cvt_pk_f32_fp8_sdwa v[2:3], v3 src0_sel:WORD_1
	v_mfma_f32_16x16x16_f16 v[30:33], v[76:77], v[20:21], v[30:33]
	v_cvt_pk_f32_fp8_e32 v[68:69], v5
	v_cvt_pkrtz_f16_f32 v52, v72, v73
	v_cvt_pkrtz_f16_f32 v53, v2, v3
	v_mfma_f32_16x16x16_f16 v[30:33], v[50:51], v[10:11], v[30:33]
	v_cvt_pk_f32_fp8_e32 v[2:3], v4
	v_cvt_pk_f32_fp8_sdwa v[50:51], v4 src0_sel:WORD_1
	v_cvt_pk_f32_fp8_sdwa v[4:5], v5 src0_sel:WORD_1
	v_mfma_f32_16x16x16_f16 v[30:33], v[52:53], v[12:13], v[30:33]
	v_cvt_pkrtz_f16_f32 v2, v2, v3
	v_cvt_pkrtz_f16_f32 v3, v50, v51
	;; [unrolled: 1-line block ×3, first 2 shown]
	s_waitcnt vmcnt(9)
	v_cvt_pk_f32_fp8_e32 v[52:53], v46
	v_cvt_pk_f32_fp8_sdwa v[68:69], v46 src0_sel:WORD_1
	v_cvt_pkrtz_f16_f32 v51, v4, v5
	v_mfma_f32_16x16x16_f16 v[2:5], v[2:3], v[6:7], v[30:33]
	s_waitcnt vmcnt(8)
	v_cvt_pk_f32_fp8_sdwa v[70:71], v42 src0_sel:WORD_1
	s_waitcnt vmcnt(6)
	v_cvt_pk_f32_fp8_e32 v[74:75], v15
	v_cvt_pk_f32_fp8_sdwa v[80:81], v17 src0_sel:WORD_1
	v_cvt_pkrtz_f16_f32 v30, v52, v53
	v_cvt_pkrtz_f16_f32 v31, v68, v69
	v_cvt_pk_f32_fp8_e32 v[32:33], v47
	v_cvt_pk_f32_fp8_sdwa v[46:47], v47 src0_sel:WORD_1
	v_mfma_f32_16x16x16_f16 v[50:53], v[50:51], v[8:9], v[2:5]
	v_cvt_pk_f32_fp8_sdwa v[68:69], v48 src0_sel:WORD_1
	v_cvt_pkrtz_f16_f32 v32, v32, v33
	v_cvt_pkrtz_f16_f32 v33, v46, v47
	v_mfma_f32_16x16x16_f16 v[2:5], v[30:31], v[26:27], 0
	v_cvt_pk_f32_fp8_e32 v[30:31], v48
	v_lshl_add_u64 v[46:47], s[4:5], 0, v[56:57]
	v_lshlrev_b32_e32 v56, 5, v63
	v_mfma_f32_16x16x16_f16 v[2:5], v[32:33], v[28:29], v[2:5]
	v_cvt_pk_f32_fp8_e32 v[32:33], v49
	v_cvt_pkrtz_f16_f32 v30, v30, v31
	v_cvt_pkrtz_f16_f32 v31, v68, v69
	v_cvt_pk_f32_fp8_sdwa v[48:49], v49 src0_sel:WORD_1
	v_cvt_pkrtz_f16_f32 v32, v32, v33
	v_cvt_pk_f32_fp8_e32 v[68:69], v42
	v_mfma_f32_16x16x16_f16 v[2:5], v[30:31], v[18:19], v[2:5]
	v_cvt_pkrtz_f16_f32 v33, v48, v49
	v_cvt_pkrtz_f16_f32 v30, v68, v69
	;; [unrolled: 1-line block ×3, first 2 shown]
	v_cvt_pk_f32_fp8_e32 v[48:49], v43
	v_cvt_pk_f32_fp8_sdwa v[42:43], v43 src0_sel:WORD_1
	v_mfma_f32_16x16x16_f16 v[2:5], v[32:33], v[20:21], v[2:5]
	v_lshl_add_u64 v[68:69], v[46:47], 0, v[56:57]
	v_cvt_pkrtz_f16_f32 v32, v48, v49
	v_cvt_pkrtz_f16_f32 v33, v42, v43
	v_mfma_f32_16x16x16_f16 v[2:5], v[30:31], v[10:11], v[2:5]
	v_cvt_pk_f32_fp8_e32 v[30:31], v44
	v_cvt_pk_f32_fp8_sdwa v[42:43], v44 src0_sel:WORD_1
	v_cvt_pk_f32_fp8_sdwa v[48:49], v22 src0_sel:WORD_1
	v_mfma_f32_16x16x16_f16 v[2:5], v[32:33], v[12:13], v[2:5]
	v_cvt_pkrtz_f16_f32 v30, v30, v31
	v_cvt_pkrtz_f16_f32 v31, v42, v43
	v_cvt_pk_f32_fp8_e32 v[32:33], v45
	v_cvt_pk_f32_fp8_sdwa v[42:43], v45 src0_sel:WORD_1
	v_cvt_pk_f32_fp8_e32 v[44:45], v22
	v_mfma_f32_16x16x16_f16 v[2:5], v[30:31], v[6:7], v[2:5]
	v_cvt_pkrtz_f16_f32 v32, v32, v33
	v_cvt_pkrtz_f16_f32 v33, v42, v43
	;; [unrolled: 1-line block ×4, first 2 shown]
	v_cvt_pk_f32_fp8_e32 v[48:49], v23
	v_cvt_pk_f32_fp8_sdwa v[22:23], v23 src0_sel:WORD_1
	v_mfma_f32_16x16x16_f16 v[42:45], v[32:33], v[8:9], v[2:5]
	v_or_b32_e32 v56, 0x800, v56
	v_cvt_pkrtz_f16_f32 v32, v48, v49
	v_cvt_pkrtz_f16_f32 v33, v22, v23
	v_mfma_f32_16x16x16_f16 v[2:5], v[30:31], v[26:27], 0
	v_cvt_pk_f32_fp8_e32 v[22:23], v24
	v_cvt_pk_f32_fp8_sdwa v[30:31], v24 src0_sel:WORD_1
	s_waitcnt vmcnt(3)
	v_mad_i64_i32 v[48:49], s[4:5], v67, s45, v[68:69]
	v_cvt_pkrtz_f16_f32 v22, v22, v23
	v_cvt_pkrtz_f16_f32 v23, v30, v31
	v_cvt_pk_f32_fp8_e32 v[30:31], v25
	v_cvt_pk_f32_fp8_sdwa v[24:25], v25 src0_sel:WORD_1
	v_mfma_f32_16x16x16_f16 v[2:5], v[32:33], v[28:29], v[2:5]
	s_waitcnt vmcnt(2)
	v_mad_i64_i32 v[70:71], s[4:5], v66, s45, v[68:69]
	v_cvt_pkrtz_f16_f32 v72, v30, v31
	v_cvt_pkrtz_f16_f32 v73, v24, v25
	v_mfma_f32_16x16x16_f16 v[2:5], v[22:23], v[18:19], v[2:5]
	global_load_dwordx4 v[30:33], v[48:49], off
	global_load_dwordx4 v[22:25], v[70:71], off
	v_cvt_pk_f32_fp8_e32 v[70:71], v14
	s_waitcnt vmcnt(3)
	v_mad_i64_i32 v[48:49], s[4:5], v65, s45, v[68:69]
	v_mfma_f32_16x16x16_f16 v[2:5], v[72:73], v[20:21], v[2:5]
	v_cvt_pk_f32_fp8_sdwa v[72:73], v14 src0_sel:WORD_1
	v_cvt_pk_f32_fp8_sdwa v[14:15], v15 src0_sel:WORD_1
	v_cvt_pkrtz_f16_f32 v70, v70, v71
	s_waitcnt vmcnt(2)
	v_mad_i64_i32 v[76:77], s[4:5], v64, s45, v[68:69]
	v_cvt_pkrtz_f16_f32 v71, v72, v73
	v_cvt_pkrtz_f16_f32 v72, v74, v75
	;; [unrolled: 1-line block ×3, first 2 shown]
	v_cvt_pk_f32_fp8_e32 v[14:15], v16
	v_cvt_pk_f32_fp8_sdwa v[74:75], v16 src0_sel:WORD_1
	v_mfma_f32_16x16x16_f16 v[68:71], v[70:71], v[10:11], v[2:5]
	v_lshl_add_u64 v[46:47], v[46:47], 0, v[56:57]
	v_cvt_pkrtz_f16_f32 v78, v14, v15
	v_cvt_pkrtz_f16_f32 v79, v74, v75
	v_cvt_pk_f32_fp8_e32 v[74:75], v17
	v_mfma_f32_16x16x16_f16 v[68:71], v[72:73], v[12:13], v[68:71]
	global_load_dwordx4 v[14:17], v[48:49], off
	global_load_dwordx4 v[2:5], v[76:77], off
	v_cvt_pkrtz_f16_f32 v49, v80, v81
	v_cvt_pkrtz_f16_f32 v48, v74, v75
	v_mfma_f32_16x16x16_f16 v[68:71], v[78:79], v[6:7], v[68:71]
	v_cvt_pk_f32_fp8_e32 v[56:57], v38
	v_cvt_pk_f32_fp8_sdwa v[72:73], v38 src0_sel:WORD_1
	s_load_dword s4, s[40:41], 0x0
	v_mfma_f32_16x16x16_f16 v[68:71], v[48:49], v[8:9], v[68:71]
	v_cvt_pk_f32_fp8_e32 v[48:49], v39
	v_cvt_pkrtz_f16_f32 v56, v56, v57
	v_cvt_pkrtz_f16_f32 v57, v72, v73
	v_cvt_pk_f32_fp8_sdwa v[38:39], v39 src0_sel:WORD_1
	v_cvt_pkrtz_f16_f32 v48, v48, v49
	v_cvt_pk_f32_fp8_e32 v[76:77], v40
	v_cvt_pk_f32_fp8_sdwa v[78:79], v40 src0_sel:WORD_1
	v_cvt_pkrtz_f16_f32 v49, v38, v39
	v_mfma_f32_16x16x16_f16 v[72:75], v[56:57], v[26:27], 0
	v_cvt_pkrtz_f16_f32 v56, v76, v77
	v_cvt_pkrtz_f16_f32 v57, v78, v79
	v_cvt_pk_f32_fp8_e32 v[76:77], v41
	v_cvt_pk_f32_fp8_sdwa v[40:41], v41 src0_sel:WORD_1
	v_mov_b32_e32 v26, s8
	s_waitcnt lgkmcnt(0)
	v_mul_f32_e32 v78, s4, v26
	v_mfma_f32_16x16x16_f16 v[26:29], v[48:49], v[28:29], v[72:75]
	v_cvt_pkrtz_f16_f32 v48, v76, v77
	v_cvt_pkrtz_f16_f32 v49, v40, v41
	v_pk_mul_f32 v[38:39], v[78:79], v[52:53] op_sel_hi:[0,1]
	v_mfma_f32_16x16x16_f16 v[26:29], v[56:57], v[18:19], v[26:29]
	v_cvt_pk_f32_fp8_e32 v[18:19], v34
	v_cvt_pk_f32_fp8_sdwa v[52:53], v34 src0_sel:WORD_1
	v_pk_mul_f32 v[40:41], v[78:79], v[50:51] op_sel_hi:[0,1]
	v_mfma_f32_16x16x16_f16 v[26:29], v[48:49], v[20:21], v[26:29]
	v_cvt_pkrtz_f16_f32 v20, v18, v19
	v_cvt_pkrtz_f16_f32 v21, v52, v53
	v_cvt_pk_f32_fp8_e32 v[48:49], v35
	v_cvt_pk_f32_fp8_sdwa v[34:35], v35 src0_sel:WORD_1
	v_mfma_f32_16x16x16_f16 v[26:29], v[20:21], v[10:11], v[26:29]
	v_cvt_pkrtz_f16_f32 v48, v48, v49
	v_cvt_pkrtz_f16_f32 v49, v34, v35
	v_cvt_pk_f32_fp8_e32 v[10:11], v36
	v_cvt_pk_f32_fp8_sdwa v[20:21], v36 src0_sel:WORD_1
	s_mov_b32 s40, 0xff7fffff
	v_pk_mul_f32 v[52:53], v[78:79], v[42:43] op_sel_hi:[0,1]
	v_cvt_pkrtz_f16_f32 v50, v10, v11
	v_cvt_pkrtz_f16_f32 v51, v20, v21
	v_cvt_pk_f32_fp8_e32 v[20:21], v37
	v_cvt_pk_f32_fp8_sdwa v[36:37], v37 src0_sel:WORD_1
	v_mfma_f32_16x16x16_f16 v[10:13], v[48:49], v[12:13], v[26:29]
	v_pk_mul_f32 v[44:45], v[78:79], v[44:45] op_sel_hi:[0,1]
	v_cvt_pkrtz_f16_f32 v20, v20, v21
	v_cvt_pkrtz_f16_f32 v21, v36, v37
	v_mfma_f32_16x16x16_f16 v[10:13], v[50:51], v[6:7], v[10:13]
	v_pk_mul_f32 v[50:51], v[78:79], v[68:69] op_sel_hi:[0,1]
	v_pk_mul_f32 v[42:43], v[78:79], v[70:71] op_sel_hi:[0,1]
	v_mad_i64_i32 v[18:19], s[4:5], v67, s45, v[46:47]
	v_mfma_f32_16x16x16_f16 v[6:9], v[20:21], v[8:9], v[10:13]
	v_mad_i64_i32 v[34:35], s[4:5], v66, s45, v[46:47]
	global_load_dwordx4 v[26:29], v[18:19], off
	s_nop 0
	global_load_dwordx4 v[18:21], v[34:35], off
	s_nop 2
	v_pk_mul_f32 v[48:49], v[78:79], v[6:7] op_sel_hi:[0,1]
	v_and_b32_e32 v6, 0xc0, v0
	v_add_u32_e32 v6, s18, v6
	v_lshl_or_b32 v6, v1, 2, v6
	v_pk_mul_f32 v[36:37], v[78:79], v[8:9] op_sel_hi:[0,1]
	v_or_b32_e32 v9, 1, v6
	v_mov_b32_e32 v7, 0xff7fffff
	v_cmp_gt_i32_e64 s[26:27], s38, v6
	v_cmp_gt_i32_e64 s[28:29], s38, v9
	v_or_b32_e32 v10, 3, v6
	v_cndmask_b32_e64 v8, v7, v40, s[26:27]
	v_cndmask_b32_e64 v9, v7, v41, s[28:29]
	v_max3_f32 v8, v8, s40, v9
	v_or_b32_e32 v9, 2, v6
	v_cmp_gt_i32_e64 s[30:31], s38, v9
	v_cmp_gt_i32_e64 s[34:35], s38, v10
	s_nop 0
	v_cndmask_b32_e64 v9, v7, v38, s[30:31]
	v_cndmask_b32_e64 v10, v7, v39, s[34:35]
	v_max3_f32 v8, v8, v9, v10
	v_or_b32_e32 v9, 16, v6
	v_or_b32_e32 v10, 17, v6
	v_cmp_gt_i32_e64 s[18:19], s38, v9
	v_cmp_gt_i32_e64 s[20:21], s38, v10
	s_nop 0
	v_cndmask_b32_e64 v9, v7, v52, s[18:19]
	v_cndmask_b32_e64 v10, v7, v53, s[20:21]
	v_max3_f32 v8, v8, v9, v10
	v_or_b32_e32 v9, 18, v6
	;; [unrolled: 8-line block ×5, first 2 shown]
	v_or_b32_e32 v10, 49, v6
	v_cmp_gt_i32_e32 vcc, s38, v9
	v_cmp_gt_i32_e64 s[4:5], s38, v10
	s_nop 0
	v_cndmask_b32_e32 v9, v7, v48, vcc
	v_cndmask_b32_e64 v10, v7, v49, s[4:5]
	v_max3_f32 v8, v8, v9, v10
	v_or_b32_e32 v9, 50, v6
	v_or_b32_e32 v6, 51, v6
	v_cmp_gt_i32_e64 s[6:7], s38, v9
	v_cmp_gt_i32_e64 s[8:9], s38, v6
	s_nop 0
	v_cndmask_b32_e64 v9, v7, v36, s[6:7]
	v_cndmask_b32_e64 v6, v7, v37, s[8:9]
	v_max3_f32 v8, v8, v9, v6
	v_mbcnt_lo_u32_b32 v6, -1, 0
	v_mbcnt_hi_u32_b32 v9, -1, v6
	v_and_b32_e32 v6, 64, v9
	v_add_u32_e32 v10, 64, v6
	v_xor_b32_e32 v6, 32, v9
	v_cmp_lt_i32_e64 s[38:39], v6, v10
	s_nop 1
	v_cndmask_b32_e64 v6, v9, v6, s[38:39]
	v_lshlrev_b32_e32 v57, 2, v6
	ds_bpermute_b32 v11, v57, v8
	v_mad_i64_i32 v[6:7], s[38:39], v65, s45, v[46:47]
	s_waitcnt lgkmcnt(0)
	v_max_f32_e32 v11, v11, v11
	v_max_f32_e32 v34, v8, v11
	v_xor_b32_e32 v8, 16, v9
	v_cmp_lt_i32_e64 s[38:39], v8, v10
	s_nop 1
	v_cndmask_b32_e64 v8, v9, v8, s[38:39]
	v_lshlrev_b32_e32 v65, 2, v8
	v_mad_i64_i32 v[8:9], s[38:39], v64, s45, v[46:47]
	global_load_dwordx4 v[10:13], v[6:7], off
	s_nop 0
	global_load_dwordx4 v[6:9], v[8:9], off
	ds_bpermute_b32 v35, v65, v34
	s_waitcnt lgkmcnt(0)
	s_barrier
	v_max_f32_e32 v35, v35, v35
	v_max_f32_e32 v56, v34, v35
	v_sub_f32_e32 v46, v50, v56
	v_sub_f32_e32 v42, v42, v56
	;; [unrolled: 1-line block ×3, first 2 shown]
	v_mul_f32_e32 v46, 0x3fb8aa3b, v46
	v_mul_f32_e32 v42, 0x3fb8aa3b, v42
	;; [unrolled: 1-line block ×3, first 2 shown]
	v_sub_f32_e32 v39, v39, v56
	v_exp_f32_e32 v46, v46
	v_exp_f32_e32 v50, v42
	v_sub_f32_e32 v34, v40, v56
	v_exp_f32_e32 v38, v38
	v_mul_f32_e32 v39, 0x3fb8aa3b, v39
	v_mul_f32_e32 v34, 0x3fb8aa3b, v34
	v_sub_f32_e32 v35, v41, v56
	v_exp_f32_e32 v39, v39
	v_sub_f32_e32 v47, v51, v56
	v_sub_f32_e32 v42, v43, v56
	;; [unrolled: 1-line block ×4, first 2 shown]
	v_exp_f32_e32 v34, v34
	v_mul_f32_e32 v35, 0x3fb8aa3b, v35
	v_mul_f32_e32 v47, 0x3fb8aa3b, v47
	;; [unrolled: 1-line block ×5, first 2 shown]
	v_exp_f32_e32 v35, v35
	v_exp_f32_e32 v47, v47
	;; [unrolled: 1-line block ×3, first 2 shown]
	v_cndmask_b32_e64 v42, 0, v46, s[10:11]
	v_cndmask_b32_e64 v46, 0, v50, s[14:15]
	v_exp_f32_e32 v48, v48
	v_exp_f32_e32 v50, v36
	v_cndmask_b32_e64 v40, 0, v38, s[30:31]
	v_sub_f32_e32 v38, v52, v56
	v_cndmask_b32_e64 v41, 0, v39, s[34:35]
	v_mul_f32_e32 v38, 0x3fb8aa3b, v38
	v_sub_f32_e32 v39, v53, v56
	v_sub_f32_e32 v36, v37, v56
	v_cndmask_b32_e64 v34, 0, v34, s[26:27]
	v_exp_f32_e32 v38, v38
	v_mul_f32_e32 v39, 0x3fb8aa3b, v39
	v_sub_f32_e32 v44, v44, v56
	v_mul_f32_e32 v36, 0x3fb8aa3b, v36
	v_cndmask_b32_e64 v35, 0, v35, s[28:29]
	v_exp_f32_e32 v39, v39
	v_mul_f32_e32 v44, 0x3fb8aa3b, v44
	v_sub_f32_e32 v45, v45, v56
	v_cndmask_b32_e64 v43, 0, v47, s[12:13]
	v_cndmask_b32_e64 v47, 0, v51, s[16:17]
	v_exp_f32_e32 v51, v36
	v_cndmask_b32_e32 v36, 0, v48, vcc
	v_cndmask_b32_e64 v48, 0, v50, s[6:7]
	v_add_f32_e32 v50, 0, v34
	v_exp_f32_e32 v44, v44
	v_mul_f32_e32 v45, 0x3fb8aa3b, v45
	v_add_f32_e32 v50, v50, v35
	v_exp_f32_e32 v45, v45
	v_add_f32_e32 v50, v50, v40
	v_cndmask_b32_e64 v38, 0, v38, s[18:19]
	v_add_f32_e32 v50, v50, v41
	v_cndmask_b32_e64 v39, 0, v39, s[20:21]
	;; [unrolled: 2-line block ×4, first 2 shown]
	v_sub_f32_e32 v49, v49, v56
	v_add_f32_e32 v50, v50, v44
	v_mul_f32_e32 v49, 0x3fb8aa3b, v49
	v_add_f32_e32 v50, v50, v45
	v_exp_f32_e32 v49, v49
	v_add_f32_e32 v50, v50, v42
	v_add_f32_e32 v50, v50, v43
	;; [unrolled: 1-line block ×4, first 2 shown]
	v_cndmask_b32_e64 v37, 0, v49, s[4:5]
	v_add_f32_e32 v50, v50, v36
	v_add_f32_e32 v50, v50, v37
	v_cndmask_b32_e64 v49, 0, v51, s[8:9]
	v_add_f32_e32 v50, v50, v48
	v_add_f32_e32 v50, v50, v49
	ds_bpermute_b32 v51, v57, v50
	v_cmp_gt_u32_e32 vcc, 16, v61
	s_waitcnt lgkmcnt(0)
	v_add_f32_e32 v50, v50, v51
	ds_bpermute_b32 v51, v65, v50
	s_and_saveexec_b64 s[4:5], vcc
	s_cbranch_execz .LBB1043_13
; %bb.12:
	s_waitcnt lgkmcnt(0)
	v_add_f32_e32 v50, v50, v51
	v_lshlrev_b32_e32 v51, 2, v63
	ds_write2st64_b32 v51, v56, v50 offset1:1
.LBB1043_13:
	s_or_b64 exec, exec, s[4:5]
	s_waitcnt lgkmcnt(0)
	v_lshlrev_b32_e32 v51, 2, v58
	s_load_dword s6, s[0:1], 0x94
	s_waitcnt lgkmcnt(0)
	s_barrier
	ds_read2_b32 v[52:53], v51 offset1:16
	ds_read2_b32 v[56:57], v51 offset0:32 offset1:48
	ds_read2_b32 v[64:65], v51 offset0:64 offset1:80
	s_lshl_b32 s7, s33, 4
	s_waitcnt lgkmcnt(2)
	v_max3_f32 v50, v52, s40, v53
	s_waitcnt lgkmcnt(1)
	v_max3_f32 v50, v50, v56, v57
	v_sub_f32_e32 v52, v52, v50
	v_mul_f32_e32 v52, 0x3fb8aa3b, v52
	v_exp_f32_e32 v61, v52
	v_sub_f32_e32 v52, v53, v50
	v_mul_f32_e32 v52, 0x3fb8aa3b, v52
	v_exp_f32_e32 v63, v52
	v_sub_f32_e32 v52, v56, v50
	v_mul_f32_e32 v52, 0x3fb8aa3b, v52
	v_exp_f32_e32 v56, v52
	ds_read2_b32 v[52:53], v51 offset0:96 offset1:112
	v_sub_f32_e32 v51, v57, v50
	v_mul_f32_e32 v51, 0x3fb8aa3b, v51
	v_exp_f32_e32 v57, v51
	s_waitcnt lgkmcnt(1)
	v_fma_f32 v51, v61, v64, 0
	v_fmac_f32_e32 v51, v63, v65
	s_waitcnt lgkmcnt(0)
	v_fmac_f32_e32 v51, v56, v52
	v_fmac_f32_e32 v51, v57, v53
	v_add_f32_e32 v52, 0x358637bd, v51
	v_div_scale_f32 v53, s[4:5], v52, v52, 1.0
	v_rcp_f32_e32 v64, v53
	s_barrier
	v_fma_f32 v65, -v53, v64, 1.0
	v_fmac_f32_e32 v64, v65, v64
	v_div_scale_f32 v65, vcc, 1.0, v52, 1.0
	v_mul_f32_e32 v66, v65, v64
	v_fma_f32 v67, -v53, v66, v65
	v_fmac_f32_e32 v66, v67, v64
	v_fma_f32 v53, -v53, v66, v65
	v_div_fmas_f32 v53, v53, v64, v66
	v_cmp_eq_u32_e32 vcc, 1, v60
	v_div_fixup_f32 v52, v53, v52, 1.0
	s_nop 0
	v_cndmask_b32_e32 v53, v61, v63, vcc
	v_cmp_eq_u32_e32 vcc, 2, v60
	s_nop 1
	v_cndmask_b32_e32 v53, v53, v56, vcc
	v_cmp_eq_u32_e32 vcc, 3, v60
	s_nop 1
	v_cndmask_b32_e32 v53, v53, v57, vcc
	v_mul_f32_e32 v52, v53, v52
	v_pk_mul_f32 v[40:41], v[52:53], v[40:41] op_sel_hi:[0,1]
	v_pk_mul_f32 v[34:35], v[52:53], v[34:35] op_sel_hi:[0,1]
	v_cvt_f16_f32_e32 v34, v34
	v_cvt_f16_f32_e32 v35, v35
	;; [unrolled: 1-line block ×4, first 2 shown]
	v_lshlrev_b32_e32 v53, 3, v1
	v_pack_b32_f16 v34, v34, v35
	v_pk_mul_f32 v[38:39], v[52:53], v[38:39] op_sel_hi:[0,1]
	v_pack_b32_f16 v35, v40, v41
	v_pk_mul_f32 v[40:41], v[52:53], v[44:45] op_sel_hi:[0,1]
	v_cvt_f16_f32_e32 v38, v38
	v_cvt_f16_f32_e32 v39, v39
	;; [unrolled: 1-line block ×4, first 2 shown]
	v_lshlrev_b32_e32 v44, 11, v60
	v_or3_b32 v56, v44, v62, v53
	v_pack_b32_f16 v38, v38, v39
	v_pack_b32_f16 v39, v40, v41
	ds_write2st64_b64 v56, v[34:35], v[38:39] offset1:1
	v_pk_mul_f32 v[34:35], v[52:53], v[46:47] op_sel_hi:[0,1]
	v_pk_mul_f32 v[38:39], v[52:53], v[42:43] op_sel_hi:[0,1]
	v_cvt_f16_f32_e32 v40, v34
	v_cvt_f16_f32_e32 v41, v35
	v_pk_mul_f32 v[34:35], v[52:53], v[48:49] op_sel_hi:[0,1]
	v_pk_mul_f32 v[36:37], v[52:53], v[36:37] op_sel_hi:[0,1]
	v_cvt_f16_f32_e32 v38, v38
	v_cvt_f16_f32_e32 v39, v39
	;; [unrolled: 1-line block ×6, first 2 shown]
	v_pack_b32_f16 v34, v38, v39
	v_pack_b32_f16 v35, v40, v41
	;; [unrolled: 1-line block ×4, first 2 shown]
	v_cmp_gt_u32_e32 vcc, 16, v0
	ds_write2st64_b64 v56, v[34:35], v[36:37] offset0:2 offset1:3
	s_and_saveexec_b64 s[4:5], vcc
	s_cbranch_execz .LBB1043_15
; %bb.14:
	v_or_b32_e32 v34, s25, v0
	v_mov_b32_e32 v35, 0
	v_mov_b32_e32 v36, s7
	v_mad_u64_u32 v[36:37], s[12:13], s2, v36, v[34:35]
	v_mov_b32_e32 v34, s24
	s_load_dwordx4 s[8:11], s[0:1], 0x58
	s_mul_i32 s3, s3, s7
	v_mad_u64_u32 v[34:35], s[12:13], v36, s6, v[34:35]
	v_add_u32_e32 v37, s3, v37
	v_mov_b32_e32 v36, v35
	v_mad_u64_u32 v[36:37], s[12:13], v37, s6, v[36:37]
	v_mov_b32_e32 v35, v36
	v_lshlrev_b64 v[34:35], 2, v[34:35]
	s_waitcnt lgkmcnt(0)
	v_lshl_add_u64 v[36:37], s[10:11], 0, v[34:35]
	v_lshl_add_u64 v[34:35], s[8:9], 0, v[34:35]
	global_store_dword v[36:37], v50, off
	global_store_dword v[34:35], v51, off
.LBB1043_15:
	s_or_b64 exec, exec, s[4:5]
	s_waitcnt vmcnt(7)
	v_cvt_pk_f32_fp8_e32 v[34:35], v30
	v_cvt_pk_f32_fp8_sdwa v[36:37], v30 src0_sel:WORD_1
	s_waitcnt lgkmcnt(0)
	s_barrier
	v_cvt_pk_f32_fp8_e32 v[38:39], v31
	v_cvt_pkrtz_f16_f32 v30, v34, v35
	v_cvt_pk_f32_fp8_sdwa v[40:41], v31 src0_sel:WORD_1
	v_cvt_pkrtz_f16_f32 v31, v36, v37
	ds_read_b128 v[34:37], v55
	v_cvt_pkrtz_f16_f32 v46, v38, v39
	v_cvt_pkrtz_f16_f32 v47, v40, v41
	ds_read_b128 v[38:41], v55 offset:16
	v_cvt_pk_f32_fp8_e32 v[48:49], v32
	v_cvt_pk_f32_fp8_sdwa v[50:51], v32 src0_sel:WORD_1
	s_waitcnt lgkmcnt(1)
	v_mfma_f32_16x16x16_f16 v[42:45], v[30:31], v[34:35], 0
	s_waitcnt vmcnt(6)
	v_cvt_pk_f32_fp8_e32 v[52:53], v24
	v_cvt_pkrtz_f16_f32 v30, v48, v49
	v_cvt_pkrtz_f16_f32 v31, v50, v51
	v_cvt_pk_f32_fp8_e32 v[48:49], v33
	v_mfma_f32_16x16x16_f16 v[42:45], v[46:47], v[36:37], v[42:45]
	v_cvt_pk_f32_fp8_sdwa v[46:47], v33 src0_sel:WORD_1
	v_cvt_pk_f32_fp8_sdwa v[60:61], v24 src0_sel:WORD_1
	v_cvt_pkrtz_f16_f32 v48, v48, v49
	s_waitcnt lgkmcnt(0)
	v_mfma_f32_16x16x16_f16 v[30:33], v[30:31], v[38:39], v[42:45]
	v_cvt_pkrtz_f16_f32 v49, v46, v47
	s_waitcnt vmcnt(5)
	v_cvt_pk_f32_fp8_e32 v[62:63], v16
	v_cvt_pk_f32_fp8_sdwa v[64:65], v16 src0_sel:WORD_1
	v_cvt_pk_f32_fp8_e32 v[42:43], v22
	v_mfma_f32_16x16x16_f16 v[46:49], v[48:49], v[40:41], v[30:33]
	s_waitcnt vmcnt(4)
	v_cvt_pk_f32_fp8_e32 v[66:67], v4
	v_cvt_pk_f32_fp8_sdwa v[68:69], v4 src0_sel:WORD_1
	v_cvt_pk_f32_fp8_sdwa v[30:31], v22 src0_sel:WORD_1
	v_cvt_pk_f32_fp8_e32 v[32:33], v23
	v_cvt_pkrtz_f16_f32 v22, v42, v43
	v_cvt_pk_f32_fp8_sdwa v[42:43], v23 src0_sel:WORD_1
	v_cvt_pkrtz_f16_f32 v23, v30, v31
	v_cvt_pkrtz_f16_f32 v50, v32, v33
	ds_read_b128 v[30:33], v55 offset:2048
	v_cvt_pkrtz_f16_f32 v51, v42, v43
	ds_read_b128 v[42:45], v55 offset:2064
	s_waitcnt lgkmcnt(1)
	v_mfma_f32_16x16x16_f16 v[46:49], v[22:23], v[30:31], v[46:49]
	v_cvt_pkrtz_f16_f32 v22, v52, v53
	v_cvt_pkrtz_f16_f32 v23, v60, v61
	v_cvt_pk_f32_fp8_e32 v[52:53], v25
	v_mfma_f32_16x16x16_f16 v[46:49], v[50:51], v[32:33], v[46:49]
	v_cvt_pk_f32_fp8_sdwa v[50:51], v25 src0_sel:WORD_1
	s_load_dword s4, s[42:43], 0x0
	v_cvt_pkrtz_f16_f32 v52, v52, v53
	s_waitcnt lgkmcnt(0)
	v_mfma_f32_16x16x16_f16 v[22:25], v[22:23], v[42:43], v[46:49]
	v_cvt_pkrtz_f16_f32 v53, v50, v51
	s_mov_b32 s3, 0
	v_cmp_gt_u32_e32 vcc, 64, v0
	v_cvt_pk_f32_fp8_e32 v[46:47], v14
	v_mfma_f32_16x16x16_f16 v[50:53], v[52:53], v[44:45], v[22:25]
	s_nop 2
	v_cvt_pk_f32_fp8_sdwa v[22:23], v14 src0_sel:WORD_1
	v_cvt_pk_f32_fp8_e32 v[24:25], v15
	v_cvt_pkrtz_f16_f32 v14, v46, v47
	v_cvt_pk_f32_fp8_sdwa v[46:47], v15 src0_sel:WORD_1
	v_cvt_pkrtz_f16_f32 v15, v22, v23
	v_cvt_pkrtz_f16_f32 v60, v24, v25
	ds_read_b128 v[22:25], v55 offset:4096
	v_cvt_pkrtz_f16_f32 v61, v46, v47
	ds_read_b128 v[46:49], v55 offset:4112
	s_waitcnt lgkmcnt(1)
	v_mfma_f32_16x16x16_f16 v[50:53], v[14:15], v[22:23], v[50:53]
	v_cvt_pkrtz_f16_f32 v14, v62, v63
	v_cvt_pkrtz_f16_f32 v15, v64, v65
	v_cvt_pk_f32_fp8_e32 v[62:63], v17
	v_mfma_f32_16x16x16_f16 v[50:53], v[60:61], v[24:25], v[50:53]
	v_cvt_pk_f32_fp8_sdwa v[60:61], v17 src0_sel:WORD_1
	v_cvt_pkrtz_f16_f32 v62, v62, v63
	s_waitcnt lgkmcnt(0)
	v_mfma_f32_16x16x16_f16 v[14:17], v[14:15], v[46:47], v[50:53]
	v_cvt_pkrtz_f16_f32 v63, v60, v61
	s_nop 1
	v_cvt_pk_f32_fp8_e32 v[50:51], v2
	v_mfma_f32_16x16x16_f16 v[60:63], v[62:63], v[48:49], v[14:17]
	s_nop 2
	v_cvt_pk_f32_fp8_sdwa v[14:15], v2 src0_sel:WORD_1
	v_cvt_pk_f32_fp8_e32 v[16:17], v3
	v_cvt_pkrtz_f16_f32 v2, v50, v51
	v_cvt_pk_f32_fp8_sdwa v[50:51], v3 src0_sel:WORD_1
	v_cvt_pkrtz_f16_f32 v3, v14, v15
	v_cvt_pkrtz_f16_f32 v64, v16, v17
	ds_read_b128 v[14:17], v55 offset:6144
	v_cvt_pkrtz_f16_f32 v65, v50, v51
	ds_read_b128 v[50:53], v55 offset:6160
	s_waitcnt lgkmcnt(1)
	v_mfma_f32_16x16x16_f16 v[60:63], v[2:3], v[14:15], v[60:63]
	v_cvt_pkrtz_f16_f32 v2, v66, v67
	v_cvt_pkrtz_f16_f32 v3, v68, v69
	v_cvt_pk_f32_fp8_e32 v[66:67], v5
	v_mfma_f32_16x16x16_f16 v[60:63], v[64:65], v[16:17], v[60:63]
	v_cvt_pk_f32_fp8_sdwa v[64:65], v5 src0_sel:WORD_1
	s_waitcnt vmcnt(3)
	v_cvt_pk_f32_fp8_sdwa v[68:69], v28 src0_sel:WORD_1
	v_cvt_pkrtz_f16_f32 v66, v66, v67
	s_waitcnt lgkmcnt(0)
	v_mfma_f32_16x16x16_f16 v[2:5], v[2:3], v[50:51], v[60:63]
	v_cvt_pkrtz_f16_f32 v67, v64, v65
	v_cvt_pk_f32_fp8_e32 v[64:65], v27
	s_nop 0
	v_cvt_pk_f32_fp8_e32 v[60:61], v26
	v_cvt_pk_f32_fp8_sdwa v[62:63], v26 src0_sel:WORD_1
	v_cvt_pk_f32_fp8_sdwa v[26:27], v27 src0_sel:WORD_1
	v_mfma_f32_16x16x16_f16 v[2:5], v[66:67], v[52:53], v[2:5]
	v_cvt_pkrtz_f16_f32 v60, v60, v61
	v_cvt_pkrtz_f16_f32 v61, v62, v63
	;; [unrolled: 1-line block ×3, first 2 shown]
	v_cvt_pk_f32_fp8_e32 v[66:67], v28
	v_cvt_pkrtz_f16_f32 v65, v26, v27
	v_mfma_f32_16x16x16_f16 v[60:63], v[60:61], v[34:35], 0
	v_cvt_pkrtz_f16_f32 v26, v66, v67
	v_cvt_pkrtz_f16_f32 v27, v68, v69
	v_cvt_pk_f32_fp8_e32 v[66:67], v29
	v_mfma_f32_16x16x16_f16 v[34:37], v[64:65], v[36:37], v[60:63]
	s_barrier
	s_nop 1
	v_cvt_pk_f32_fp8_sdwa v[60:61], v29 src0_sel:WORD_1
	v_cvt_pkrtz_f16_f32 v62, v66, v67
	v_mfma_f32_16x16x16_f16 v[26:29], v[26:27], v[38:39], v[34:37]
	s_waitcnt vmcnt(2)
	v_cvt_pk_f32_fp8_e32 v[38:39], v19
	v_cvt_pkrtz_f16_f32 v63, v60, v61
	v_cvt_pk_f32_fp8_e32 v[34:35], v18
	v_cvt_pk_f32_fp8_sdwa v[36:37], v18 src0_sel:WORD_1
	v_cvt_pk_f32_fp8_sdwa v[18:19], v19 src0_sel:WORD_1
	v_mfma_f32_16x16x16_f16 v[26:29], v[62:63], v[40:41], v[26:29]
	v_cvt_pkrtz_f16_f32 v34, v34, v35
	v_cvt_pkrtz_f16_f32 v35, v36, v37
	;; [unrolled: 1-line block ×3, first 2 shown]
	v_cvt_pk_f32_fp8_e32 v[38:39], v20
	v_cvt_pk_f32_fp8_sdwa v[40:41], v20 src0_sel:WORD_1
	v_cvt_pkrtz_f16_f32 v37, v18, v19
	v_mfma_f32_16x16x16_f16 v[26:29], v[34:35], v[30:31], v[26:29]
	v_cvt_pkrtz_f16_f32 v30, v38, v39
	v_cvt_pkrtz_f16_f32 v31, v40, v41
	v_cvt_pk_f32_fp8_e32 v[34:35], v21
	v_cvt_pk_f32_fp8_sdwa v[38:39], v21 src0_sel:WORD_1
	v_mfma_f32_16x16x16_f16 v[18:21], v[36:37], v[32:33], v[26:29]
	s_waitcnt vmcnt(1)
	v_cvt_pk_f32_fp8_sdwa v[32:33], v12 src0_sel:WORD_1
	s_nop 0
	v_cvt_pkrtz_f16_f32 v26, v34, v35
	v_cvt_pkrtz_f16_f32 v27, v38, v39
	v_mfma_f32_16x16x16_f16 v[18:21], v[30:31], v[42:43], v[18:21]
	v_cvt_pk_f32_fp8_e32 v[28:29], v10
	v_cvt_pk_f32_fp8_sdwa v[30:31], v10 src0_sel:WORD_1
	v_cvt_pkrtz_f16_f32 v28, v28, v29
	v_mfma_f32_16x16x16_f16 v[18:21], v[26:27], v[44:45], v[18:21]
	v_cvt_pk_f32_fp8_e32 v[26:27], v11
	v_cvt_pkrtz_f16_f32 v29, v30, v31
	v_cvt_pk_f32_fp8_sdwa v[10:11], v11 src0_sel:WORD_1
	v_cvt_pk_f32_fp8_e32 v[30:31], v12
	v_cvt_pkrtz_f16_f32 v26, v26, v27
	v_mfma_f32_16x16x16_f16 v[18:21], v[28:29], v[22:23], v[18:21]
	v_cvt_pkrtz_f16_f32 v27, v10, v11
	v_cvt_pkrtz_f16_f32 v22, v30, v31
	;; [unrolled: 1-line block ×3, first 2 shown]
	v_cvt_pk_f32_fp8_e32 v[28:29], v13
	v_cvt_pk_f32_fp8_sdwa v[30:31], v13 src0_sel:WORD_1
	v_mfma_f32_16x16x16_f16 v[10:13], v[26:27], v[24:25], v[18:21]
	s_waitcnt vmcnt(0)
	v_cvt_pk_f32_fp8_sdwa v[24:25], v6 src0_sel:WORD_1
	s_nop 0
	v_pk_mul_f32 v[18:19], v[4:5], s[4:5] op_sel_hi:[1,0]
	v_cvt_pkrtz_f16_f32 v4, v28, v29
	v_cvt_pkrtz_f16_f32 v5, v30, v31
	v_mfma_f32_16x16x16_f16 v[10:13], v[22:23], v[46:47], v[10:13]
	v_cvt_pk_f32_fp8_e32 v[22:23], v6
	v_pk_mul_f32 v[20:21], v[2:3], s[4:5] op_sel_hi:[1,0]
	v_mfma_f32_16x16x16_f16 v[2:5], v[4:5], v[48:49], v[10:13]
	s_nop 3
	v_cvt_pk_f32_fp8_e32 v[10:11], v7
	v_cvt_pkrtz_f16_f32 v12, v22, v23
	v_cvt_pkrtz_f16_f32 v13, v24, v25
	v_cvt_pk_f32_fp8_sdwa v[6:7], v7 src0_sel:WORD_1
	v_cvt_pkrtz_f16_f32 v10, v10, v11
	v_cvt_pk_f32_fp8_e32 v[22:23], v8
	v_cvt_pk_f32_fp8_sdwa v[24:25], v8 src0_sel:WORD_1
	v_cvt_pkrtz_f16_f32 v11, v6, v7
	v_mfma_f32_16x16x16_f16 v[2:5], v[12:13], v[14:15], v[2:5]
	v_cvt_pkrtz_f16_f32 v6, v22, v23
	v_cvt_pkrtz_f16_f32 v7, v24, v25
	v_cvt_pk_f32_fp8_e32 v[12:13], v9
	v_cvt_pk_f32_fp8_sdwa v[8:9], v9 src0_sel:WORD_1
	v_mfma_f32_16x16x16_f16 v[2:5], v[10:11], v[16:17], v[2:5]
	v_cvt_f16_f32_e32 v14, v20
	v_cvt_pkrtz_f16_f32 v10, v12, v13
	v_cvt_pkrtz_f16_f32 v11, v8, v9
	v_mfma_f32_16x16x16_f16 v[2:5], v[6:7], v[50:51], v[2:5]
	v_cvt_f16_f32_e32 v6, v21
	v_cvt_f16_f32_e32 v7, v18
	;; [unrolled: 1-line block ×3, first 2 shown]
	v_mfma_f32_16x16x16_f16 v[2:5], v[10:11], v[52:53], v[2:5]
	s_nop 6
	v_pk_mul_f32 v[4:5], v[4:5], s[4:5] op_sel_hi:[1,0]
	v_pk_mul_f32 v[2:3], v[2:3], s[4:5] op_sel_hi:[1,0]
	v_cvt_f16_f32_e32 v11, v4
	v_cvt_f16_f32_e32 v9, v2
	;; [unrolled: 1-line block ×4, first 2 shown]
	v_pack_b32_f16 v2, v14, v6
	v_pack_b32_f16 v3, v7, v8
	;; [unrolled: 1-line block ×4, first 2 shown]
	ds_write2st64_b64 v56, v[2:3], v[4:5] offset1:1
	s_waitcnt lgkmcnt(0)
	s_barrier
	s_and_saveexec_b64 s[4:5], vcc
	s_cbranch_execz .LBB1043_17
; %bb.16:
	s_load_dwordx2 s[0:1], s[0:1], 0x68
	s_lshl_b32 s6, s6, 7
	s_mul_i32 s2, s7, s2
	s_mul_hi_u32 s5, s2, s6
	s_mul_i32 s4, s2, s6
	s_lshl_b64 s[4:5], s[4:5], 1
	s_waitcnt lgkmcnt(0)
	s_add_u32 s4, s0, s4
	v_lshlrev_b32_e32 v4, 6, v58
	s_addc_u32 s5, s1, s5
	s_lshl_b32 s2, s24, 7
	v_lshl_or_b32 v0, v0, 10, v4
	s_lshl_b64 s[0:1], s[2:3], 1
	v_lshlrev_b32_e32 v2, 5, v1
	v_and_b32_e32 v3, 16, v59
	v_and_b32_e32 v0, 0x1a00, v0
	s_add_u32 s0, s4, s0
	v_or3_b32 v0, v0, v2, v3
	s_addc_u32 s1, s5, s1
	v_mov_b32_e32 v55, 0
	v_or_b32_e32 v20, s25, v1
	ds_read_b128 v[2:5], v0
	ds_read_b128 v[6:9], v0 offset:128
	ds_read_b128 v[10:13], v0 offset:256
	;; [unrolled: 1-line block ×3, first 2 shown]
	v_lshl_add_u64 v[18:19], s[0:1], 0, v[54:55]
	v_mad_u64_u32 v[0:1], s[0:1], v20, s6, 0
	v_lshl_add_u64 v[0:1], v[0:1], 1, v[18:19]
	s_waitcnt lgkmcnt(3)
	global_store_dwordx4 v[0:1], v[2:5], off
	v_or_b32_e32 v0, 4, v20
	v_mad_u64_u32 v[0:1], s[0:1], v0, s6, 0
	v_lshl_add_u64 v[0:1], v[0:1], 1, v[18:19]
	s_waitcnt lgkmcnt(2)
	global_store_dwordx4 v[0:1], v[6:9], off
	v_or_b32_e32 v0, 8, v20
	;; [unrolled: 5-line block ×3, first 2 shown]
	v_mad_u64_u32 v[0:1], s[0:1], v0, s6, 0
	v_lshl_add_u64 v[0:1], v[0:1], 1, v[18:19]
	s_waitcnt lgkmcnt(0)
	global_store_dwordx4 v[0:1], v[14:17], off
.LBB1043_17:
	s_endpgm
	.section	.rodata,"a",@progbits
	.p2align	6, 0x0
	.amdhsa_kernel _Z39paged_attention_ll4mi_QKV_mfma16_kernelIDF16_hLN4vllm18Fp8KVCacheDataTypeE1EhLi32ELi128ELi256ELb0ELi16EEvPKT_PKT0_S7_ifPKiS9_S9_iPKfiiiPfSC_PS2_PT2_iSB_SB_
		.amdhsa_group_segment_fixed_size 8192
		.amdhsa_private_segment_fixed_size 0
		.amdhsa_kernarg_size 400
		.amdhsa_user_sgpr_count 2
		.amdhsa_user_sgpr_dispatch_ptr 0
		.amdhsa_user_sgpr_queue_ptr 0
		.amdhsa_user_sgpr_kernarg_segment_ptr 1
		.amdhsa_user_sgpr_dispatch_id 0
		.amdhsa_user_sgpr_kernarg_preload_length 0
		.amdhsa_user_sgpr_kernarg_preload_offset 0
		.amdhsa_user_sgpr_private_segment_size 0
		.amdhsa_uses_dynamic_stack 0
		.amdhsa_enable_private_segment 0
		.amdhsa_system_sgpr_workgroup_id_x 1
		.amdhsa_system_sgpr_workgroup_id_y 1
		.amdhsa_system_sgpr_workgroup_id_z 1
		.amdhsa_system_sgpr_workgroup_info 0
		.amdhsa_system_vgpr_workitem_id 0
		.amdhsa_next_free_vgpr 84
		.amdhsa_next_free_sgpr 48
		.amdhsa_accum_offset 84
		.amdhsa_reserve_vcc 1
		.amdhsa_float_round_mode_32 0
		.amdhsa_float_round_mode_16_64 0
		.amdhsa_float_denorm_mode_32 3
		.amdhsa_float_denorm_mode_16_64 3
		.amdhsa_dx10_clamp 1
		.amdhsa_ieee_mode 1
		.amdhsa_fp16_overflow 0
		.amdhsa_tg_split 0
		.amdhsa_exception_fp_ieee_invalid_op 0
		.amdhsa_exception_fp_denorm_src 0
		.amdhsa_exception_fp_ieee_div_zero 0
		.amdhsa_exception_fp_ieee_overflow 0
		.amdhsa_exception_fp_ieee_underflow 0
		.amdhsa_exception_fp_ieee_inexact 0
		.amdhsa_exception_int_div_zero 0
	.end_amdhsa_kernel
	.section	.text._Z39paged_attention_ll4mi_QKV_mfma16_kernelIDF16_hLN4vllm18Fp8KVCacheDataTypeE1EhLi32ELi128ELi256ELb0ELi16EEvPKT_PKT0_S7_ifPKiS9_S9_iPKfiiiPfSC_PS2_PT2_iSB_SB_,"axG",@progbits,_Z39paged_attention_ll4mi_QKV_mfma16_kernelIDF16_hLN4vllm18Fp8KVCacheDataTypeE1EhLi32ELi128ELi256ELb0ELi16EEvPKT_PKT0_S7_ifPKiS9_S9_iPKfiiiPfSC_PS2_PT2_iSB_SB_,comdat
.Lfunc_end1043:
	.size	_Z39paged_attention_ll4mi_QKV_mfma16_kernelIDF16_hLN4vllm18Fp8KVCacheDataTypeE1EhLi32ELi128ELi256ELb0ELi16EEvPKT_PKT0_S7_ifPKiS9_S9_iPKfiiiPfSC_PS2_PT2_iSB_SB_, .Lfunc_end1043-_Z39paged_attention_ll4mi_QKV_mfma16_kernelIDF16_hLN4vllm18Fp8KVCacheDataTypeE1EhLi32ELi128ELi256ELb0ELi16EEvPKT_PKT0_S7_ifPKiS9_S9_iPKfiiiPfSC_PS2_PT2_iSB_SB_
                                        ; -- End function
	.section	.AMDGPU.csdata,"",@progbits
; Kernel info:
; codeLenInByte = 6112
; NumSgprs: 54
; NumVgprs: 84
; NumAgprs: 0
; TotalNumVgprs: 84
; ScratchSize: 0
; MemoryBound: 0
; FloatMode: 240
; IeeeMode: 1
; LDSByteSize: 8192 bytes/workgroup (compile time only)
; SGPRBlocks: 6
; VGPRBlocks: 10
; NumSGPRsForWavesPerEU: 54
; NumVGPRsForWavesPerEU: 84
; AccumOffset: 84
; Occupancy: 5
; WaveLimiterHint : 1
; COMPUTE_PGM_RSRC2:SCRATCH_EN: 0
; COMPUTE_PGM_RSRC2:USER_SGPR: 2
; COMPUTE_PGM_RSRC2:TRAP_HANDLER: 0
; COMPUTE_PGM_RSRC2:TGID_X_EN: 1
; COMPUTE_PGM_RSRC2:TGID_Y_EN: 1
; COMPUTE_PGM_RSRC2:TGID_Z_EN: 1
; COMPUTE_PGM_RSRC2:TIDIG_COMP_CNT: 0
; COMPUTE_PGM_RSRC3_GFX90A:ACCUM_OFFSET: 20
; COMPUTE_PGM_RSRC3_GFX90A:TG_SPLIT: 0
	.section	.text._Z39paged_attention_ll4mi_QKV_mfma16_kernelIDF16_hLN4vllm18Fp8KVCacheDataTypeE1EhLi32ELi128ELi256ELb0ELi1EEvPKT_PKT0_S7_ifPKiS9_S9_iPKfiiiPfSC_PS2_PT2_iSB_SB_,"axG",@progbits,_Z39paged_attention_ll4mi_QKV_mfma16_kernelIDF16_hLN4vllm18Fp8KVCacheDataTypeE1EhLi32ELi128ELi256ELb0ELi1EEvPKT_PKT0_S7_ifPKiS9_S9_iPKfiiiPfSC_PS2_PT2_iSB_SB_,comdat
	.protected	_Z39paged_attention_ll4mi_QKV_mfma16_kernelIDF16_hLN4vllm18Fp8KVCacheDataTypeE1EhLi32ELi128ELi256ELb0ELi1EEvPKT_PKT0_S7_ifPKiS9_S9_iPKfiiiPfSC_PS2_PT2_iSB_SB_ ; -- Begin function _Z39paged_attention_ll4mi_QKV_mfma16_kernelIDF16_hLN4vllm18Fp8KVCacheDataTypeE1EhLi32ELi128ELi256ELb0ELi1EEvPKT_PKT0_S7_ifPKiS9_S9_iPKfiiiPfSC_PS2_PT2_iSB_SB_
	.globl	_Z39paged_attention_ll4mi_QKV_mfma16_kernelIDF16_hLN4vllm18Fp8KVCacheDataTypeE1EhLi32ELi128ELi256ELb0ELi1EEvPKT_PKT0_S7_ifPKiS9_S9_iPKfiiiPfSC_PS2_PT2_iSB_SB_
	.p2align	8
	.type	_Z39paged_attention_ll4mi_QKV_mfma16_kernelIDF16_hLN4vllm18Fp8KVCacheDataTypeE1EhLi32ELi128ELi256ELb0ELi1EEvPKT_PKT0_S7_ifPKiS9_S9_iPKfiiiPfSC_PS2_PT2_iSB_SB_,@function
_Z39paged_attention_ll4mi_QKV_mfma16_kernelIDF16_hLN4vllm18Fp8KVCacheDataTypeE1EhLi32ELi128ELi256ELb0ELi1EEvPKT_PKT0_S7_ifPKiS9_S9_iPKfiiiPfSC_PS2_PT2_iSB_SB_: ; @_Z39paged_attention_ll4mi_QKV_mfma16_kernelIDF16_hLN4vllm18Fp8KVCacheDataTypeE1EhLi32ELi128ELi256ELb0ELi1EEvPKT_PKT0_S7_ifPKiS9_S9_iPKfiiiPfSC_PS2_PT2_iSB_SB_
; %bb.0:
	s_load_dwordx2 s[12:13], s[0:1], 0x30
	s_mov_b32 s5, s3
	s_mov_b64 s[6:7], 0
	s_waitcnt lgkmcnt(0)
	s_cmp_lg_u64 s[12:13], 0
	s_cselect_b64 s[14:15], -1, 0
	s_and_b64 vcc, exec, s[14:15]
	s_cbranch_vccz .LBB1044_7
; %bb.1:
	s_add_i32 s8, s2, 1
	s_mov_b32 s9, 0
	s_lshl_b64 s[10:11], s[8:9], 2
	s_add_u32 s10, s12, s10
	s_mov_b32 s3, s9
	s_addc_u32 s11, s13, s11
	s_lshl_b64 s[8:9], s[2:3], 2
	s_add_u32 s8, s12, s8
	s_addc_u32 s9, s13, s9
	s_load_dword s16, s[10:11], 0x0
	s_load_dword s17, s[8:9], 0x0
	s_waitcnt lgkmcnt(0)
	s_sub_i32 s8, s16, s17
	s_cmp_eq_u32 s8, 1
	s_cselect_b64 s[8:9], -1, 0
	s_andn2_b64 vcc, exec, s[6:7]
	s_cbranch_vccnz .LBB1044_3
.LBB1044_2:
	s_mov_b32 s3, 0
	s_mov_b64 s[8:9], -1
.LBB1044_3:
	s_andn2_b64 vcc, exec, s[8:9]
	s_cbranch_vccnz .LBB1044_17
; %bb.4:
	s_load_dwordx2 s[6:7], s[0:1], 0x28
	s_lshl_b64 s[16:17], s[2:3], 2
	s_waitcnt lgkmcnt(0)
	s_add_u32 s6, s6, s16
	s_addc_u32 s7, s7, s17
	s_load_dword s33, s[6:7], 0x0
	s_lshl_b32 s18, s5, 8
	s_waitcnt lgkmcnt(0)
	s_cmp_ge_i32 s18, s33
	s_cbranch_scc1 .LBB1044_17
; %bb.5:
	s_load_dwordx2 s[6:7], s[0:1], 0x20
	s_load_dword s8, s[0:1], 0x38
	s_add_i32 s9, s33, 31
	s_ashr_i32 s10, s9, 31
	v_and_b32_e32 v1, 0xcf, v0
	s_lshr_b32 s10, s10, 27
	v_add_u32_e32 v1, s18, v1
	s_add_i32 s9, s9, s10
	v_ashrrev_i32_e32 v2, 31, v1
	s_ashr_i32 s19, s9, 5
	v_lshrrev_b32_e32 v10, 27, v2
	s_add_i32 s19, s19, -1
	s_waitcnt lgkmcnt(0)
	s_mul_i32 s8, s2, s8
	s_mov_b32 s9, 0
	v_add_u32_e32 v2, v1, v10
	s_lshl_b64 s[8:9], s[8:9], 2
	v_ashrrev_i32_e32 v2, 5, v2
	v_mov_b32_e32 v11, s19
	v_cmp_gt_i32_e32 vcc, s33, v1
	s_add_u32 s6, s6, s8
	s_addc_u32 s7, s7, s9
	v_cndmask_b32_e32 v2, v11, v2, vcc
	v_ashrrev_i32_e32 v3, 31, v2
	v_lshl_add_u64 v[4:5], v[2:3], 2, s[6:7]
	v_or_b32_e32 v2, 16, v1
	v_add_u32_e32 v3, v2, v10
	v_ashrrev_i32_e32 v3, 5, v3
	v_cmp_gt_i32_e32 vcc, s33, v2
	s_load_dwordx4 s[8:11], s[0:1], 0x8
	s_nop 0
	v_cndmask_b32_e32 v2, v11, v3, vcc
	v_ashrrev_i32_e32 v3, 31, v2
	v_lshl_add_u64 v[6:7], v[2:3], 2, s[6:7]
	v_or_b32_e32 v2, 32, v1
	v_add_u32_e32 v3, v2, v10
	v_ashrrev_i32_e32 v3, 5, v3
	v_cmp_gt_i32_e32 vcc, s33, v2
	v_or_b32_e32 v1, 48, v1
	s_nop 0
	v_cndmask_b32_e32 v2, v11, v3, vcc
	v_ashrrev_i32_e32 v3, 31, v2
	v_lshl_add_u64 v[8:9], v[2:3], 2, s[6:7]
	v_add_u32_e32 v2, v1, v10
	v_ashrrev_i32_e32 v2, 5, v2
	v_cmp_gt_i32_e32 vcc, s33, v1
	s_nop 1
	v_cndmask_b32_e32 v2, v11, v2, vcc
	v_ashrrev_i32_e32 v3, 31, v2
	v_lshl_add_u64 v[10:11], v[2:3], 2, s[6:7]
	global_load_dword v2, v[4:5], off
	global_load_dword v32, v[6:7], off
	global_load_dword v30, v[8:9], off
	global_load_dword v31, v[10:11], off
	s_andn2_b64 vcc, exec, s[14:15]
	s_cbranch_vccnz .LBB1044_8
; %bb.6:
	s_add_u32 s12, s12, s16
	s_addc_u32 s13, s13, s17
	s_load_dword s14, s[12:13], 0x0
	s_branch .LBB1044_9
.LBB1044_7:
	s_mov_b64 s[8:9], 0
	s_branch .LBB1044_2
.LBB1044_8:
	s_mov_b32 s14, s2
.LBB1044_9:
	s_load_dwordx4 s[44:47], s[0:1], 0x48
	v_lshrrev_b32_e32 v61, 6, v0
	v_bfe_u32 v58, v0, 4, 2
	v_and_b32_e32 v59, 15, v0
	v_lshl_or_b32 v1, v61, 2, v58
	v_lshlrev_b32_e32 v3, 3, v59
	v_and_b32_e32 v62, 63, v0
	v_cmp_eq_u32_e32 vcc, 0, v1
	v_lshlrev_b32_e32 v1, 1, v3
	v_lshlrev_b32_e32 v60, 4, v0
	s_and_saveexec_b64 s[12:13], vcc
	s_cbranch_execz .LBB1044_11
; %bb.10:
	s_load_dwordx2 s[16:17], s[0:1], 0x0
	s_waitcnt lgkmcnt(0)
	s_ashr_i32 s15, s44, 31
	s_mul_hi_u32 s20, s14, s44
	s_mul_i32 s15, s14, s15
	s_add_i32 s15, s20, s15
	s_mul_i32 s14, s14, s44
	s_lshl_b64 s[14:15], s[14:15], 1
	s_add_u32 s16, s16, s14
	s_addc_u32 s17, s17, s15
	s_lshl_b32 s14, s4, 7
	s_ashr_i32 s15, s14, 31
	s_lshl_b64 s[14:15], s[14:15], 1
	s_add_u32 s14, s16, s14
	s_addc_u32 s15, s17, s15
	global_load_dwordx4 v[4:7], v1, s[14:15]
	v_lshlrev_b32_e32 v3, 8, v0
	v_lshlrev_b32_e32 v8, 8, v59
	v_and_b32_e32 v3, 0x600, v3
	v_and_b32_e32 v8, 0x800, v8
	;; [unrolled: 1-line block ×3, first 2 shown]
	v_or3_b32 v3, v8, v3, v9
	s_waitcnt vmcnt(0)
	ds_write_b128 v3, v[4:7]
.LBB1044_11:
	s_or_b64 exec, exec, s[12:13]
	s_waitcnt lgkmcnt(0)
	s_mul_i32 s13, s4, s46
	s_add_u32 s8, s8, s13
	s_addc_u32 s9, s9, 0
	v_mov_b32_e32 v55, 0
	v_mov_b64_e32 v[24:25], s[8:9]
	v_and_b32_e32 v33, 48, v0
	s_waitcnt vmcnt(3)
	v_mad_i64_i32 v[2:3], s[8:9], v2, s45, v[24:25]
	v_lshlrev_b32_e32 v22, 4, v59
	v_mov_b32_e32 v23, v55
	v_lshlrev_b32_e32 v54, 5, v33
	v_lshl_add_u64 v[2:3], v[2:3], 0, v[22:23]
	v_lshl_add_u64 v[6:7], v[2:3], 0, v[54:55]
	s_barrier
	global_load_dwordx4 v[10:13], v[6:7], off
	global_load_dwordx4 v[2:5], v[6:7], off offset:2048
	s_ashr_i32 s8, s18, 31
	v_or_b32_e32 v34, 0x100, v22
	v_mov_b32_e32 v35, v55
	v_or_b32_e32 v39, s18, v33
	s_lshr_b32 s14, s8, 27
	s_waitcnt vmcnt(4)
	v_mad_i64_i32 v[32:33], s[8:9], v32, s45, v[24:25]
	s_waitcnt vmcnt(3)
	v_mad_i64_i32 v[36:37], s[8:9], v30, s45, v[24:25]
	;; [unrolled: 2-line block ×3, first 2 shown]
	v_lshl_add_u64 v[30:31], v[32:33], 0, v[34:35]
	v_lshlrev_b32_e32 v6, 9, v58
	v_lshl_add_u64 v[30:31], v[30:31], 0, v[54:55]
	s_load_dword s12, s[0:1], 0x1c
	s_load_dwordx4 s[40:43], s[0:1], 0x80
	ds_read_b128 v[26:29], v6
	ds_read_b128 v[18:21], v6 offset:16
	ds_read_b128 v[14:17], v6 offset:2048
	;; [unrolled: 1-line block ×3, first 2 shown]
	global_load_dwordx4 v[46:49], v[30:31], off
	v_or_b32_e32 v40, 64, v39
	v_add_u32_e32 v32, s14, v39
	v_mov_b32_e32 v38, s19
	v_add_u32_e32 v33, s14, v40
	v_ashrrev_i32_e32 v32, 5, v32
	v_cmp_gt_i32_e32 vcc, s33, v39
	v_ashrrev_i32_e32 v33, 5, v33
	v_or_b32_e32 v41, 0x80, v39
	v_cndmask_b32_e32 v52, v38, v32, vcc
	v_cmp_gt_i32_e32 vcc, s33, v40
	v_add_u32_e32 v43, s14, v41
	v_ashrrev_i32_e32 v43, 5, v43
	v_cndmask_b32_e32 v56, v38, v33, vcc
	global_load_dwordx4 v[30:33], v[30:31], off offset:2048
	v_cmp_gt_i32_e32 vcc, s33, v41
	v_ashrrev_i32_e32 v53, 31, v52
	v_or_b32_e32 v42, 0xc0, v39
	v_cndmask_b32_e32 v64, v38, v43, vcc
	v_ashrrev_i32_e32 v65, 31, v64
	v_lshl_add_u64 v[66:67], v[52:53], 2, s[6:7]
	v_lshl_add_u64 v[52:53], v[64:65], 2, s[6:7]
	v_add_u32_e32 v44, s14, v42
	v_lshl_add_u64 v[22:23], v[36:37], 0, v[22:23]
	v_lshl_add_u64 v[24:25], v[24:25], 0, v[34:35]
	v_ashrrev_i32_e32 v44, 5, v44
	v_lshl_add_u64 v[34:35], v[22:23], 0, v[54:55]
	v_lshl_add_u64 v[36:37], v[24:25], 0, v[54:55]
	v_cmp_gt_i32_e32 vcc, s33, v42
	v_ashrrev_i32_e32 v57, 31, v56
	v_lshl_add_u64 v[56:57], v[56:57], 2, s[6:7]
	v_cndmask_b32_e32 v50, v38, v44, vcc
	global_load_dwordx4 v[22:25], v[34:35], off
	global_load_dwordx4 v[38:41], v[34:35], off offset:2048
	global_load_dwordx4 v[42:45], v[36:37], off
	s_nop 0
	global_load_dwordx4 v[34:37], v[36:37], off offset:2048
	v_ashrrev_i32_e32 v51, 31, v50
	global_load_dword v66, v[66:67], off
	s_add_u32 s8, s10, s13
	global_load_dword v67, v[56:57], off
	s_addc_u32 s9, s11, 0
	v_and_b32_e32 v54, 16, v0
	v_lshl_or_b32 v63, v61, 4, v59
	s_waitcnt vmcnt(9)
	v_cvt_pk_f32_fp8_e32 v[64:65], v10
	v_cvt_pk_f32_fp8_sdwa v[68:69], v10 src0_sel:WORD_1
	v_cvt_pk_f32_fp8_e32 v[70:71], v11
	v_cvt_pk_f32_fp8_sdwa v[10:11], v11 src0_sel:WORD_1
	;; [unrolled: 2-line block ×4, first 2 shown]
	v_cvt_pkrtz_f16_f32 v12, v64, v65
	v_cvt_pkrtz_f16_f32 v13, v68, v69
	;; [unrolled: 1-line block ×4, first 2 shown]
	s_waitcnt lgkmcnt(0)
	v_mfma_f32_16x16x16_f16 v[10:13], v[12:13], v[26:27], 0
	v_cvt_pkrtz_f16_f32 v72, v72, v73
	v_cvt_pkrtz_f16_f32 v73, v74, v75
	s_waitcnt vmcnt(8)
	v_cvt_pk_f32_fp8_e32 v[80:81], v2
	v_mfma_f32_16x16x16_f16 v[10:13], v[68:69], v[28:29], v[10:13]
	v_cvt_pk_f32_fp8_sdwa v[82:83], v2 src0_sel:WORD_1
	v_cvt_pkrtz_f16_f32 v56, v76, v77
	v_cvt_pkrtz_f16_f32 v57, v78, v79
	v_mfma_f32_16x16x16_f16 v[10:13], v[72:73], v[18:19], v[10:13]
	v_cvt_pkrtz_f16_f32 v72, v80, v81
	v_cvt_pkrtz_f16_f32 v73, v82, v83
	v_cvt_pk_f32_fp8_e32 v[84:85], v3
	v_cvt_pk_f32_fp8_sdwa v[2:3], v3 src0_sel:WORD_1
	v_mfma_f32_16x16x16_f16 v[10:13], v[56:57], v[20:21], v[10:13]
	v_cvt_pk_f32_fp8_e32 v[64:65], v4
	v_cvt_pk_f32_fp8_sdwa v[70:71], v4 src0_sel:WORD_1
	v_cvt_pk_f32_fp8_e32 v[68:69], v5
	v_cvt_pk_f32_fp8_sdwa v[56:57], v5 src0_sel:WORD_1
	v_cvt_pkrtz_f16_f32 v75, v2, v3
	v_mfma_f32_16x16x16_f16 v[2:5], v[72:73], v[14:15], v[10:13]
	v_cvt_pkrtz_f16_f32 v74, v84, v85
	s_waitcnt vmcnt(5)
	v_cvt_pk_f32_fp8_e32 v[72:73], v25
	v_lshl_add_u64 v[12:13], v[50:51], 2, s[6:7]
	v_cvt_pkrtz_f16_f32 v10, v64, v65
	global_load_dword v64, v[52:53], off
	global_load_dword v65, v[12:13], off
	v_cvt_pkrtz_f16_f32 v11, v70, v71
	v_mfma_f32_16x16x16_f16 v[2:5], v[74:75], v[16:17], v[2:5]
	v_cvt_pkrtz_f16_f32 v50, v68, v69
	v_cvt_pkrtz_f16_f32 v51, v56, v57
	v_cvt_pk_f32_fp8_sdwa v[12:13], v46 src0_sel:WORD_1
	v_mfma_f32_16x16x16_f16 v[2:5], v[10:11], v[6:7], v[2:5]
	v_cvt_pk_f32_fp8_e32 v[10:11], v46
	v_cvt_pk_f32_fp8_sdwa v[56:57], v48 src0_sel:WORD_1
	v_cvt_pk_f32_fp8_sdwa v[74:75], v25 src0_sel:WORD_1
	v_mfma_f32_16x16x16_f16 v[50:53], v[50:51], v[8:9], v[2:5]
	s_waitcnt vmcnt(6)
	v_cvt_pk_f32_fp8_sdwa v[78:79], v40 src0_sel:WORD_1
	s_nop 0
	v_cvt_pk_f32_fp8_e32 v[2:3], v47
	v_cvt_pkrtz_f16_f32 v4, v10, v11
	v_cvt_pkrtz_f16_f32 v5, v12, v13
	v_cvt_pk_f32_fp8_sdwa v[10:11], v47 src0_sel:WORD_1
	v_cvt_pkrtz_f16_f32 v12, v2, v3
	v_cvt_pk_f32_fp8_e32 v[46:47], v48
	v_mfma_f32_16x16x16_f16 v[2:5], v[4:5], v[26:27], 0
	v_cvt_pkrtz_f16_f32 v13, v10, v11
	v_cvt_pkrtz_f16_f32 v10, v46, v47
	v_cvt_pkrtz_f16_f32 v11, v56, v57
	v_cvt_pk_f32_fp8_e32 v[46:47], v49
	v_cvt_pk_f32_fp8_sdwa v[48:49], v49 src0_sel:WORD_1
	v_mfma_f32_16x16x16_f16 v[2:5], v[12:13], v[28:29], v[2:5]
	v_lshl_add_u64 v[56:57], s[8:9], 0, v[54:55]
	v_cvt_pkrtz_f16_f32 v12, v46, v47
	v_cvt_pkrtz_f16_f32 v13, v48, v49
	v_mfma_f32_16x16x16_f16 v[2:5], v[10:11], v[18:19], v[2:5]
	v_cvt_pk_f32_fp8_e32 v[10:11], v30
	v_cvt_pk_f32_fp8_sdwa v[46:47], v30 src0_sel:WORD_1
	v_cvt_pk_f32_fp8_sdwa v[48:49], v32 src0_sel:WORD_1
	v_mfma_f32_16x16x16_f16 v[2:5], v[12:13], v[20:21], v[2:5]
	v_cvt_pk_f32_fp8_e32 v[12:13], v31
	v_cvt_pkrtz_f16_f32 v10, v10, v11
	v_cvt_pkrtz_f16_f32 v11, v46, v47
	v_cvt_pk_f32_fp8_sdwa v[30:31], v31 src0_sel:WORD_1
	v_cvt_pkrtz_f16_f32 v12, v12, v13
	v_cvt_pk_f32_fp8_e32 v[46:47], v32
	v_mfma_f32_16x16x16_f16 v[2:5], v[10:11], v[14:15], v[2:5]
	v_cvt_pkrtz_f16_f32 v13, v30, v31
	v_cvt_pkrtz_f16_f32 v10, v46, v47
	;; [unrolled: 1-line block ×3, first 2 shown]
	v_cvt_pk_f32_fp8_e32 v[30:31], v33
	v_cvt_pk_f32_fp8_sdwa v[32:33], v33 src0_sel:WORD_1
	v_mfma_f32_16x16x16_f16 v[2:5], v[12:13], v[16:17], v[2:5]
	v_lshlrev_b32_e32 v54, 5, v63
	v_cvt_pkrtz_f16_f32 v12, v30, v31
	v_cvt_pkrtz_f16_f32 v13, v32, v33
	v_mfma_f32_16x16x16_f16 v[2:5], v[10:11], v[6:7], v[2:5]
	v_cvt_pk_f32_fp8_e32 v[10:11], v22
	v_cvt_pk_f32_fp8_sdwa v[30:31], v22 src0_sel:WORD_1
	v_lshl_add_u64 v[68:69], v[56:57], 0, v[54:55]
	v_mfma_f32_16x16x16_f16 v[46:49], v[12:13], v[8:9], v[2:5]
	s_waitcnt vmcnt(3)
	v_mad_i64_i32 v[12:13], s[6:7], v66, s45, v[68:69]
	s_waitcnt vmcnt(2)
	v_mad_i64_i32 v[70:71], s[6:7], v67, s45, v[68:69]
	v_cvt_pkrtz_f16_f32 v2, v10, v11
	v_cvt_pkrtz_f16_f32 v3, v30, v31
	v_cvt_pk_f32_fp8_e32 v[4:5], v23
	v_cvt_pk_f32_fp8_sdwa v[10:11], v23 src0_sel:WORD_1
	v_cvt_pk_f32_fp8_sdwa v[30:31], v24 src0_sel:WORD_1
	v_or_b32_e32 v54, 0x800, v54
	v_cvt_pkrtz_f16_f32 v22, v4, v5
	v_cvt_pkrtz_f16_f32 v23, v10, v11
	v_cvt_pk_f32_fp8_e32 v[10:11], v24
	v_mfma_f32_16x16x16_f16 v[2:5], v[2:3], v[26:27], 0
	v_cvt_pkrtz_f16_f32 v10, v10, v11
	v_cvt_pkrtz_f16_f32 v11, v30, v31
	v_mfma_f32_16x16x16_f16 v[2:5], v[22:23], v[28:29], v[2:5]
	global_load_dwordx4 v[30:33], v[12:13], off
	global_load_dwordx4 v[22:25], v[70:71], off
	v_cvt_pkrtz_f16_f32 v12, v72, v73
	v_cvt_pkrtz_f16_f32 v13, v74, v75
	v_mfma_f32_16x16x16_f16 v[2:5], v[10:11], v[18:19], v[2:5]
	v_cvt_pk_f32_fp8_e32 v[10:11], v38
	v_cvt_pk_f32_fp8_sdwa v[70:71], v38 src0_sel:WORD_1
	s_waitcnt vmcnt(3)
	v_mad_i64_i32 v[72:73], s[6:7], v64, s45, v[68:69]
	v_mfma_f32_16x16x16_f16 v[2:5], v[12:13], v[20:21], v[2:5]
	v_cvt_pkrtz_f16_f32 v10, v10, v11
	v_cvt_pkrtz_f16_f32 v11, v70, v71
	v_cvt_pk_f32_fp8_e32 v[12:13], v39
	v_cvt_pk_f32_fp8_sdwa v[38:39], v39 src0_sel:WORD_1
	s_waitcnt vmcnt(2)
	v_mad_i64_i32 v[74:75], s[6:7], v65, s45, v[68:69]
	v_cvt_pkrtz_f16_f32 v76, v12, v13
	v_cvt_pkrtz_f16_f32 v77, v38, v39
	v_cvt_pk_f32_fp8_e32 v[38:39], v40
	v_mfma_f32_16x16x16_f16 v[68:71], v[10:11], v[14:15], v[2:5]
	global_load_dwordx4 v[10:13], v[72:73], off
	s_nop 1
	global_load_dwordx4 v[2:5], v[74:75], off
	v_cvt_pkrtz_f16_f32 v73, v78, v79
	v_cvt_pkrtz_f16_f32 v72, v38, v39
	v_cvt_pk_f32_fp8_e32 v[74:75], v41
	v_cvt_pk_f32_fp8_sdwa v[40:41], v41 src0_sel:WORD_1
	v_mfma_f32_16x16x16_f16 v[68:71], v[76:77], v[16:17], v[68:71]
	v_lshl_add_u64 v[38:39], v[56:57], 0, v[54:55]
	v_cvt_pkrtz_f16_f32 v56, v74, v75
	v_cvt_pkrtz_f16_f32 v57, v40, v41
	v_mfma_f32_16x16x16_f16 v[68:71], v[72:73], v[6:7], v[68:71]
	v_cvt_pk_f32_fp8_e32 v[40:41], v42
	v_cvt_pk_f32_fp8_sdwa v[72:73], v42 src0_sel:WORD_1
	s_load_dword s6, s[40:41], 0x0
	v_mfma_f32_16x16x16_f16 v[68:71], v[56:57], v[8:9], v[68:71]
	v_cvt_pk_f32_fp8_e32 v[56:57], v43
	v_cvt_pkrtz_f16_f32 v40, v40, v41
	v_cvt_pkrtz_f16_f32 v41, v72, v73
	v_cvt_pk_f32_fp8_sdwa v[42:43], v43 src0_sel:WORD_1
	v_cvt_pkrtz_f16_f32 v56, v56, v57
	v_cvt_pk_f32_fp8_e32 v[72:73], v44
	v_cvt_pk_f32_fp8_sdwa v[74:75], v44 src0_sel:WORD_1
	v_cvt_pkrtz_f16_f32 v57, v42, v43
	v_mfma_f32_16x16x16_f16 v[40:43], v[40:41], v[26:27], 0
	v_cvt_pkrtz_f16_f32 v72, v72, v73
	v_cvt_pkrtz_f16_f32 v73, v74, v75
	v_cvt_pk_f32_fp8_e32 v[74:75], v45
	v_cvt_pk_f32_fp8_sdwa v[44:45], v45 src0_sel:WORD_1
	v_mov_b32_e32 v26, s12
	s_waitcnt lgkmcnt(0)
	v_mul_f32_e32 v54, s6, v26
	v_mfma_f32_16x16x16_f16 v[26:29], v[56:57], v[28:29], v[40:43]
	v_pk_mul_f32 v[50:51], v[54:55], v[50:51] op_sel_hi:[0,1]
	s_mov_b32 s40, 0xff7fffff
	s_nop 0
	v_cvt_pkrtz_f16_f32 v42, v74, v75
	v_cvt_pkrtz_f16_f32 v43, v44, v45
	v_mfma_f32_16x16x16_f16 v[26:29], v[72:73], v[18:19], v[26:29]
	v_cvt_pk_f32_fp8_e32 v[18:19], v34
	v_cvt_pk_f32_fp8_sdwa v[44:45], v34 src0_sel:WORD_1
	v_pk_mul_f32 v[40:41], v[54:55], v[52:53] op_sel_hi:[0,1]
	v_mfma_f32_16x16x16_f16 v[26:29], v[42:43], v[20:21], v[26:29]
	v_cvt_pkrtz_f16_f32 v20, v18, v19
	v_cvt_pkrtz_f16_f32 v21, v44, v45
	v_cvt_pk_f32_fp8_e32 v[42:43], v35
	v_cvt_pk_f32_fp8_sdwa v[34:35], v35 src0_sel:WORD_1
	v_mfma_f32_16x16x16_f16 v[26:29], v[20:21], v[14:15], v[26:29]
	v_cvt_pkrtz_f16_f32 v42, v42, v43
	v_cvt_pkrtz_f16_f32 v43, v34, v35
	v_cvt_pk_f32_fp8_e32 v[14:15], v36
	v_cvt_pk_f32_fp8_sdwa v[20:21], v36 src0_sel:WORD_1
	v_pk_mul_f32 v[44:45], v[54:55], v[48:49] op_sel_hi:[0,1]
	v_mad_i64_i32 v[18:19], s[6:7], v66, s45, v[38:39]
	v_cvt_pkrtz_f16_f32 v52, v14, v15
	v_cvt_pkrtz_f16_f32 v53, v20, v21
	v_cvt_pk_f32_fp8_e32 v[20:21], v37
	v_cvt_pk_f32_fp8_sdwa v[36:37], v37 src0_sel:WORD_1
	v_mfma_f32_16x16x16_f16 v[14:17], v[42:43], v[16:17], v[26:29]
	v_pk_mul_f32 v[42:43], v[54:55], v[70:71] op_sel_hi:[0,1]
	v_cvt_pkrtz_f16_f32 v20, v20, v21
	v_cvt_pkrtz_f16_f32 v21, v36, v37
	v_mfma_f32_16x16x16_f16 v[14:17], v[52:53], v[6:7], v[14:17]
	v_pk_mul_f32 v[52:53], v[54:55], v[46:47] op_sel_hi:[0,1]
	v_pk_mul_f32 v[46:47], v[54:55], v[68:69] op_sel_hi:[0,1]
	v_mad_i64_i32 v[34:35], s[6:7], v67, s45, v[38:39]
	v_mfma_f32_16x16x16_f16 v[6:9], v[20:21], v[8:9], v[14:17]
	global_load_dwordx4 v[26:29], v[18:19], off
	s_nop 0
	global_load_dwordx4 v[18:21], v[34:35], off
	s_nop 3
	v_pk_mul_f32 v[48:49], v[54:55], v[6:7] op_sel_hi:[0,1]
	v_and_b32_e32 v6, 0xc0, v0
	v_add_u32_e32 v6, s18, v6
	v_lshl_or_b32 v6, v58, 2, v6
	v_pk_mul_f32 v[36:37], v[54:55], v[8:9] op_sel_hi:[0,1]
	v_or_b32_e32 v9, 1, v6
	v_mov_b32_e32 v7, 0xff7fffff
	v_cmp_gt_i32_e64 s[26:27], s33, v6
	v_cmp_gt_i32_e64 s[28:29], s33, v9
	v_or_b32_e32 v14, 3, v6
	v_cndmask_b32_e64 v8, v7, v50, s[26:27]
	v_cndmask_b32_e64 v9, v7, v51, s[28:29]
	v_max3_f32 v8, v8, s40, v9
	v_or_b32_e32 v9, 2, v6
	v_cmp_gt_i32_e64 s[30:31], s33, v9
	v_cmp_gt_i32_e64 s[34:35], s33, v14
	s_nop 0
	v_cndmask_b32_e64 v9, v7, v40, s[30:31]
	v_cndmask_b32_e64 v14, v7, v41, s[34:35]
	v_max3_f32 v8, v8, v9, v14
	v_or_b32_e32 v9, 16, v6
	v_or_b32_e32 v14, 17, v6
	v_cmp_gt_i32_e64 s[18:19], s33, v9
	v_cmp_gt_i32_e64 s[20:21], s33, v14
	s_nop 0
	v_cndmask_b32_e64 v9, v7, v52, s[18:19]
	v_cndmask_b32_e64 v14, v7, v53, s[20:21]
	v_max3_f32 v8, v8, v9, v14
	v_or_b32_e32 v9, 18, v6
	;; [unrolled: 8-line block ×5, first 2 shown]
	v_or_b32_e32 v14, 49, v6
	v_cmp_gt_i32_e32 vcc, s33, v9
	v_cmp_gt_i32_e64 s[24:25], s33, v14
	s_nop 0
	v_cndmask_b32_e32 v9, v7, v48, vcc
	v_cndmask_b32_e64 v14, v7, v49, s[24:25]
	v_max3_f32 v8, v8, v9, v14
	v_or_b32_e32 v9, 50, v6
	v_or_b32_e32 v6, 51, v6
	v_cmp_gt_i32_e64 s[6:7], s33, v9
	v_cmp_gt_i32_e64 s[8:9], s33, v6
	s_nop 0
	v_cndmask_b32_e64 v9, v7, v36, s[6:7]
	v_cndmask_b32_e64 v6, v7, v37, s[8:9]
	v_max3_f32 v8, v8, v9, v6
	v_mbcnt_lo_u32_b32 v6, -1, 0
	v_mbcnt_hi_u32_b32 v9, -1, v6
	v_and_b32_e32 v6, 64, v9
	v_add_u32_e32 v14, 64, v6
	v_xor_b32_e32 v6, 32, v9
	v_cmp_lt_i32_e64 s[38:39], v6, v14
	s_nop 1
	v_cndmask_b32_e64 v6, v9, v6, s[38:39]
	v_lshlrev_b32_e32 v56, 2, v6
	ds_bpermute_b32 v15, v56, v8
	v_mad_i64_i32 v[6:7], s[38:39], v64, s45, v[38:39]
	s_waitcnt lgkmcnt(0)
	v_max_f32_e32 v15, v15, v15
	v_max_f32_e32 v34, v8, v15
	v_xor_b32_e32 v8, 16, v9
	v_cmp_lt_i32_e64 s[38:39], v8, v14
	s_nop 1
	v_cndmask_b32_e64 v8, v9, v8, s[38:39]
	v_lshlrev_b32_e32 v57, 2, v8
	v_mad_i64_i32 v[8:9], s[38:39], v65, s45, v[38:39]
	global_load_dwordx4 v[14:17], v[6:7], off
	s_nop 0
	global_load_dwordx4 v[6:9], v[8:9], off
	ds_bpermute_b32 v35, v57, v34
	s_waitcnt lgkmcnt(0)
	s_barrier
	v_max_f32_e32 v35, v35, v35
	v_max_f32_e32 v54, v34, v35
	v_sub_f32_e32 v46, v46, v54
	v_sub_f32_e32 v42, v42, v54
	;; [unrolled: 1-line block ×3, first 2 shown]
	v_mul_f32_e32 v46, 0x3fb8aa3b, v46
	v_mul_f32_e32 v42, 0x3fb8aa3b, v42
	v_sub_f32_e32 v34, v50, v54
	v_mul_f32_e32 v38, 0x3fb8aa3b, v38
	v_sub_f32_e32 v39, v41, v54
	v_exp_f32_e32 v46, v46
	v_exp_f32_e32 v50, v42
	;; [unrolled: 1-line block ×3, first 2 shown]
	v_mul_f32_e32 v39, 0x3fb8aa3b, v39
	v_mul_f32_e32 v34, 0x3fb8aa3b, v34
	v_sub_f32_e32 v35, v51, v54
	v_exp_f32_e32 v39, v39
	v_sub_f32_e32 v47, v47, v54
	v_sub_f32_e32 v42, v43, v54
	;; [unrolled: 1-line block ×4, first 2 shown]
	v_exp_f32_e32 v34, v34
	v_mul_f32_e32 v35, 0x3fb8aa3b, v35
	v_mul_f32_e32 v47, 0x3fb8aa3b, v47
	;; [unrolled: 1-line block ×5, first 2 shown]
	v_exp_f32_e32 v35, v35
	v_exp_f32_e32 v47, v47
	;; [unrolled: 1-line block ×3, first 2 shown]
	v_cndmask_b32_e64 v42, 0, v46, s[10:11]
	v_cndmask_b32_e64 v46, 0, v50, s[14:15]
	v_exp_f32_e32 v48, v48
	v_exp_f32_e32 v50, v36
	v_cndmask_b32_e64 v40, 0, v38, s[30:31]
	v_sub_f32_e32 v38, v52, v54
	v_cndmask_b32_e64 v41, 0, v39, s[34:35]
	v_mul_f32_e32 v38, 0x3fb8aa3b, v38
	v_sub_f32_e32 v39, v53, v54
	v_sub_f32_e32 v36, v37, v54
	v_cndmask_b32_e64 v34, 0, v34, s[26:27]
	v_exp_f32_e32 v38, v38
	v_mul_f32_e32 v39, 0x3fb8aa3b, v39
	v_sub_f32_e32 v44, v44, v54
	v_mul_f32_e32 v36, 0x3fb8aa3b, v36
	v_cndmask_b32_e64 v35, 0, v35, s[28:29]
	v_exp_f32_e32 v39, v39
	v_mul_f32_e32 v44, 0x3fb8aa3b, v44
	v_sub_f32_e32 v45, v45, v54
	v_cndmask_b32_e64 v43, 0, v47, s[12:13]
	v_cndmask_b32_e64 v47, 0, v51, s[16:17]
	v_exp_f32_e32 v51, v36
	v_cndmask_b32_e32 v36, 0, v48, vcc
	v_cndmask_b32_e64 v48, 0, v50, s[6:7]
	v_add_f32_e32 v50, 0, v34
	v_exp_f32_e32 v44, v44
	v_mul_f32_e32 v45, 0x3fb8aa3b, v45
	v_add_f32_e32 v50, v50, v35
	v_exp_f32_e32 v45, v45
	v_add_f32_e32 v50, v50, v40
	v_cndmask_b32_e64 v38, 0, v38, s[18:19]
	v_add_f32_e32 v50, v50, v41
	v_cndmask_b32_e64 v39, 0, v39, s[20:21]
	;; [unrolled: 2-line block ×4, first 2 shown]
	v_sub_f32_e32 v49, v49, v54
	v_add_f32_e32 v50, v50, v44
	v_mul_f32_e32 v49, 0x3fb8aa3b, v49
	v_add_f32_e32 v50, v50, v45
	v_exp_f32_e32 v49, v49
	v_add_f32_e32 v50, v50, v42
	v_add_f32_e32 v50, v50, v43
	;; [unrolled: 1-line block ×4, first 2 shown]
	v_cndmask_b32_e64 v37, 0, v49, s[24:25]
	v_add_f32_e32 v50, v50, v36
	v_add_f32_e32 v50, v50, v37
	v_cndmask_b32_e64 v49, 0, v51, s[8:9]
	v_add_f32_e32 v50, v50, v48
	v_add_f32_e32 v50, v50, v49
	ds_bpermute_b32 v51, v56, v50
	v_cmp_lt_u32_e64 s[6:7], 15, v62
	v_cmp_gt_u32_e32 vcc, 16, v62
	s_waitcnt lgkmcnt(0)
	v_add_f32_e32 v50, v50, v51
	ds_bpermute_b32 v51, v57, v50
	s_and_saveexec_b64 s[8:9], vcc
	s_cbranch_execz .LBB1044_13
; %bb.12:
	s_waitcnt lgkmcnt(0)
	v_add_f32_e32 v50, v50, v51
	v_lshlrev_b32_e32 v51, 2, v63
	ds_write2st64_b32 v51, v54, v50 offset1:1
.LBB1044_13:
	s_or_b64 exec, exec, s[8:9]
	s_waitcnt lgkmcnt(0)
	v_lshlrev_b32_e32 v51, 2, v59
	s_load_dwordx2 s[8:9], s[0:1], 0x94
	s_waitcnt lgkmcnt(0)
	s_barrier
	ds_read2_b32 v[52:53], v51 offset1:16
	ds_read2_b32 v[56:57], v51 offset0:32 offset1:48
	ds_read2_b32 v[62:63], v51 offset0:64 offset1:80
	s_waitcnt lgkmcnt(2)
	v_max3_f32 v50, v52, s40, v53
	s_waitcnt lgkmcnt(1)
	v_max3_f32 v50, v50, v56, v57
	v_sub_f32_e32 v52, v52, v50
	v_mul_f32_e32 v52, 0x3fb8aa3b, v52
	v_exp_f32_e32 v54, v52
	v_sub_f32_e32 v52, v53, v50
	v_mul_f32_e32 v52, 0x3fb8aa3b, v52
	v_exp_f32_e32 v64, v52
	;; [unrolled: 3-line block ×3, first 2 shown]
	ds_read2_b32 v[52:53], v51 offset0:96 offset1:112
	v_sub_f32_e32 v51, v57, v50
	v_mul_f32_e32 v51, 0x3fb8aa3b, v51
	v_exp_f32_e32 v57, v51
	s_waitcnt lgkmcnt(1)
	v_fma_f32 v51, v54, v62, 0
	v_fmac_f32_e32 v51, v64, v63
	s_waitcnt lgkmcnt(0)
	v_fmac_f32_e32 v51, v56, v52
	v_fmac_f32_e32 v51, v57, v53
	v_add_f32_e32 v52, 0x358637bd, v51
	v_div_scale_f32 v53, s[10:11], v52, v52, 1.0
	v_rcp_f32_e32 v62, v53
	s_barrier
	v_fma_f32 v63, -v53, v62, 1.0
	v_fmac_f32_e32 v62, v63, v62
	v_div_scale_f32 v63, vcc, 1.0, v52, 1.0
	v_mul_f32_e32 v65, v63, v62
	v_fma_f32 v66, -v53, v65, v63
	v_fmac_f32_e32 v65, v66, v62
	v_fma_f32 v53, -v53, v65, v63
	v_div_fmas_f32 v53, v53, v62, v65
	v_cmp_eq_u32_e32 vcc, 1, v61
	v_div_fixup_f32 v52, v53, v52, 1.0
	s_nop 0
	v_cndmask_b32_e32 v53, v54, v64, vcc
	v_cmp_eq_u32_e32 vcc, 2, v61
	s_nop 1
	v_cndmask_b32_e32 v53, v53, v56, vcc
	v_cmp_eq_u32_e32 vcc, 3, v61
	s_nop 1
	v_cndmask_b32_e32 v53, v53, v57, vcc
	v_mul_f32_e32 v52, v53, v52
	v_pk_mul_f32 v[40:41], v[52:53], v[40:41] op_sel_hi:[0,1]
	v_pk_mul_f32 v[34:35], v[52:53], v[34:35] op_sel_hi:[0,1]
	v_cvt_f16_f32_e32 v53, v40
	v_cvt_f16_f32_e32 v34, v34
	;; [unrolled: 1-line block ×4, first 2 shown]
	v_pk_mul_f32 v[44:45], v[52:53], v[44:45] op_sel_hi:[0,1]
	v_pk_mul_f32 v[38:39], v[52:53], v[38:39] op_sel_hi:[0,1]
	v_cvt_f16_f32_e32 v38, v38
	v_cvt_f16_f32_e32 v39, v39
	;; [unrolled: 1-line block ×4, first 2 shown]
	v_pack_b32_f16 v40, v34, v35
	v_pack_b32_f16 v41, v53, v41
	v_lshlrev_b32_e32 v35, 3, v58
	v_lshlrev_b32_e32 v34, 5, v59
	;; [unrolled: 1-line block ×3, first 2 shown]
	v_or3_b32 v54, v53, v34, v35
	v_pack_b32_f16 v38, v38, v39
	v_pack_b32_f16 v39, v44, v45
	ds_write2st64_b64 v54, v[40:41], v[38:39] offset1:1
	v_pk_mul_f32 v[38:39], v[52:53], v[46:47] op_sel_hi:[0,1]
	v_pk_mul_f32 v[40:41], v[52:53], v[42:43] op_sel_hi:[0,1]
	v_cvt_f16_f32_e32 v35, v40
	v_cvt_f16_f32_e32 v40, v41
	;; [unrolled: 1-line block ×4, first 2 shown]
	v_pk_mul_f32 v[38:39], v[52:53], v[48:49] op_sel_hi:[0,1]
	v_pk_mul_f32 v[36:37], v[52:53], v[36:37] op_sel_hi:[0,1]
	v_cvt_f16_f32_e32 v43, v36
	v_cvt_f16_f32_e32 v44, v37
	;; [unrolled: 1-line block ×4, first 2 shown]
	v_pack_b32_f16 v36, v35, v40
	v_pack_b32_f16 v37, v41, v42
	;; [unrolled: 1-line block ×4, first 2 shown]
	v_cmp_eq_u32_e32 vcc, 0, v0
	ds_write2st64_b64 v54, v[36:37], v[38:39] offset0:2 offset1:3
	s_and_saveexec_b64 s[10:11], vcc
	s_cbranch_execz .LBB1044_15
; %bb.14:
	s_mul_i32 s3, s3, s9
	s_mul_hi_u32 s16, s2, s9
	s_add_i32 s16, s16, s3
	s_mul_i32 s3, s2, s9
	s_add_u32 s3, s3, s4
	s_addc_u32 s16, s16, 0
	s_load_dwordx4 s[12:15], s[0:1], 0x58
	s_mul_i32 s16, s16, s8
	s_mul_hi_u32 s17, s3, s8
	s_add_i32 s17, s17, s16
	s_mul_i32 s3, s3, s8
	s_add_u32 s16, s3, s5
	s_addc_u32 s17, s17, 0
	s_lshl_b64 s[16:17], s[16:17], 2
	s_waitcnt lgkmcnt(0)
	s_add_u32 s14, s14, s16
	s_addc_u32 s15, s15, s17
	s_add_u32 s12, s12, s16
	s_addc_u32 s13, s13, s17
	global_store_dword v55, v50, s[14:15]
	global_store_dword v55, v51, s[12:13]
.LBB1044_15:
	s_or_b64 exec, exec, s[10:11]
	s_waitcnt vmcnt(7)
	v_cvt_pk_f32_fp8_e32 v[36:37], v30
	v_lshl_or_b32 v50, v58, 9, v34
	v_cvt_pk_f32_fp8_sdwa v[34:35], v30 src0_sel:WORD_1
	s_waitcnt lgkmcnt(0)
	s_barrier
	v_cvt_pk_f32_fp8_e32 v[38:39], v31
	v_cvt_pkrtz_f16_f32 v30, v36, v37
	v_cvt_pk_f32_fp8_sdwa v[40:41], v31 src0_sel:WORD_1
	v_cvt_pkrtz_f16_f32 v31, v34, v35
	ds_read_b128 v[34:37], v50
	v_cvt_pkrtz_f16_f32 v46, v38, v39
	v_cvt_pkrtz_f16_f32 v47, v40, v41
	ds_read_b128 v[38:41], v50 offset:16
	v_cvt_pk_f32_fp8_e32 v[48:49], v32
	v_cvt_pk_f32_fp8_sdwa v[52:53], v32 src0_sel:WORD_1
	s_waitcnt lgkmcnt(1)
	v_mfma_f32_16x16x16_f16 v[42:45], v[30:31], v[34:35], 0
	s_waitcnt vmcnt(6)
	v_cvt_pk_f32_fp8_e32 v[56:57], v24
	v_cvt_pkrtz_f16_f32 v30, v48, v49
	v_cvt_pkrtz_f16_f32 v31, v52, v53
	v_cvt_pk_f32_fp8_e32 v[48:49], v33
	v_mfma_f32_16x16x16_f16 v[42:45], v[46:47], v[36:37], v[42:45]
	v_cvt_pk_f32_fp8_sdwa v[46:47], v33 src0_sel:WORD_1
	v_cvt_pk_f32_fp8_sdwa v[62:63], v24 src0_sel:WORD_1
	v_cvt_pkrtz_f16_f32 v48, v48, v49
	s_waitcnt lgkmcnt(0)
	v_mfma_f32_16x16x16_f16 v[30:33], v[30:31], v[38:39], v[42:45]
	v_cvt_pkrtz_f16_f32 v49, v46, v47
	s_waitcnt vmcnt(5)
	v_cvt_pk_f32_fp8_sdwa v[66:67], v12 src0_sel:WORD_1
	s_waitcnt vmcnt(4)
	v_cvt_pk_f32_fp8_sdwa v[68:69], v4 src0_sel:WORD_1
	v_cvt_pk_f32_fp8_e32 v[42:43], v22
	v_mfma_f32_16x16x16_f16 v[46:49], v[48:49], v[40:41], v[30:33]
	s_waitcnt vmcnt(3)
	v_cvt_pk_f32_fp8_sdwa v[70:71], v28 src0_sel:WORD_1
	s_load_dword s10, s[42:43], 0x0
	v_cvt_pk_f32_fp8_sdwa v[30:31], v22 src0_sel:WORD_1
	v_cvt_pk_f32_fp8_e32 v[32:33], v23
	v_cvt_pkrtz_f16_f32 v22, v42, v43
	v_cvt_pk_f32_fp8_sdwa v[42:43], v23 src0_sel:WORD_1
	v_cvt_pkrtz_f16_f32 v23, v30, v31
	v_cvt_pkrtz_f16_f32 v52, v32, v33
	ds_read_b128 v[30:33], v50 offset:2048
	v_cvt_pkrtz_f16_f32 v53, v42, v43
	ds_read_b128 v[42:45], v50 offset:2064
	s_waitcnt lgkmcnt(0)
	v_mfma_f32_16x16x16_f16 v[46:49], v[22:23], v[30:31], v[46:49]
	v_cvt_pkrtz_f16_f32 v22, v56, v57
	v_cvt_pkrtz_f16_f32 v23, v62, v63
	v_cvt_pk_f32_fp8_e32 v[56:57], v25
	v_mfma_f32_16x16x16_f16 v[46:49], v[52:53], v[32:33], v[46:49]
	v_cvt_pk_f32_fp8_sdwa v[52:53], v25 src0_sel:WORD_1
	v_cmp_gt_u32_e32 vcc, 64, v0
	v_cvt_pkrtz_f16_f32 v56, v56, v57
	v_mfma_f32_16x16x16_f16 v[22:25], v[22:23], v[42:43], v[46:49]
	v_cvt_pkrtz_f16_f32 v57, v52, v53
	s_xor_b64 s[6:7], s[6:7], -1
	s_mov_b32 s3, 0
	v_cvt_pk_f32_fp8_e32 v[46:47], v10
	v_mfma_f32_16x16x16_f16 v[62:65], v[56:57], v[44:45], v[22:25]
	v_cvt_pk_f32_fp8_e32 v[56:57], v12
	s_and_b64 s[6:7], vcc, s[6:7]
	s_nop 0
	v_cvt_pk_f32_fp8_sdwa v[22:23], v10 src0_sel:WORD_1
	v_cvt_pk_f32_fp8_e32 v[24:25], v11
	v_cvt_pkrtz_f16_f32 v10, v46, v47
	v_cvt_pk_f32_fp8_sdwa v[46:47], v11 src0_sel:WORD_1
	v_cvt_pkrtz_f16_f32 v11, v22, v23
	v_cvt_pkrtz_f16_f32 v52, v24, v25
	ds_read_b128 v[22:25], v50 offset:4096
	v_cvt_pkrtz_f16_f32 v53, v46, v47
	ds_read_b128 v[46:49], v50 offset:4112
	s_waitcnt lgkmcnt(1)
	v_mfma_f32_16x16x16_f16 v[62:65], v[10:11], v[22:23], v[62:65]
	v_cvt_pkrtz_f16_f32 v10, v56, v57
	v_cvt_pkrtz_f16_f32 v11, v66, v67
	v_cvt_pk_f32_fp8_e32 v[56:57], v13
	v_mfma_f32_16x16x16_f16 v[62:65], v[52:53], v[24:25], v[62:65]
	v_cvt_pk_f32_fp8_sdwa v[52:53], v13 src0_sel:WORD_1
	v_cvt_pk_f32_fp8_e32 v[66:67], v4
	v_cvt_pkrtz_f16_f32 v56, v56, v57
	s_waitcnt lgkmcnt(0)
	v_mfma_f32_16x16x16_f16 v[10:13], v[10:11], v[46:47], v[62:65]
	v_cvt_pkrtz_f16_f32 v57, v52, v53
	v_cvt_pk_f32_fp8_e32 v[52:53], v2
	s_nop 0
	v_mfma_f32_16x16x16_f16 v[62:65], v[56:57], v[48:49], v[10:13]
	s_nop 2
	v_cvt_pk_f32_fp8_sdwa v[10:11], v2 src0_sel:WORD_1
	v_cvt_pk_f32_fp8_e32 v[12:13], v3
	v_cvt_pkrtz_f16_f32 v2, v52, v53
	v_cvt_pk_f32_fp8_sdwa v[52:53], v3 src0_sel:WORD_1
	v_cvt_pkrtz_f16_f32 v3, v10, v11
	v_cvt_pkrtz_f16_f32 v56, v12, v13
	ds_read_b128 v[10:13], v50 offset:6144
	v_cvt_pkrtz_f16_f32 v57, v52, v53
	s_waitcnt lgkmcnt(0)
	v_mfma_f32_16x16x16_f16 v[62:65], v[2:3], v[10:11], v[62:65]
	ds_read_b128 v[50:53], v50 offset:6160
	v_cvt_pkrtz_f16_f32 v2, v66, v67
	v_cvt_pkrtz_f16_f32 v3, v68, v69
	v_cvt_pk_f32_fp8_e32 v[66:67], v5
	v_mfma_f32_16x16x16_f16 v[62:65], v[56:57], v[12:13], v[62:65]
	v_cvt_pk_f32_fp8_sdwa v[56:57], v5 src0_sel:WORD_1
	v_cvt_pk_f32_fp8_e32 v[68:69], v28
	v_cvt_pkrtz_f16_f32 v66, v66, v67
	s_waitcnt lgkmcnt(0)
	v_mfma_f32_16x16x16_f16 v[2:5], v[2:3], v[50:51], v[62:65]
	v_cvt_pkrtz_f16_f32 v67, v56, v57
	v_cvt_pk_f32_fp8_e32 v[56:57], v26
	s_nop 0
	v_cvt_pk_f32_fp8_sdwa v[62:63], v26 src0_sel:WORD_1
	v_cvt_pk_f32_fp8_e32 v[64:65], v27
	v_cvt_pkrtz_f16_f32 v56, v56, v57
	v_cvt_pk_f32_fp8_sdwa v[26:27], v27 src0_sel:WORD_1
	v_cvt_pkrtz_f16_f32 v57, v62, v63
	v_mfma_f32_16x16x16_f16 v[2:5], v[66:67], v[52:53], v[2:5]
	v_cvt_pkrtz_f16_f32 v66, v64, v65
	v_cvt_pkrtz_f16_f32 v67, v26, v27
	;; [unrolled: 1-line block ×3, first 2 shown]
	v_mfma_f32_16x16x16_f16 v[62:65], v[56:57], v[34:35], 0
	v_cvt_pkrtz_f16_f32 v27, v70, v71
	v_cvt_pk_f32_fp8_e32 v[56:57], v29
	s_barrier
	v_mfma_f32_16x16x16_f16 v[34:37], v[66:67], v[36:37], v[62:65]
	v_cvt_pkrtz_f16_f32 v56, v56, v57
	s_nop 1
	v_cvt_pk_f32_fp8_sdwa v[62:63], v29 src0_sel:WORD_1
	v_mfma_f32_16x16x16_f16 v[26:29], v[26:27], v[38:39], v[34:37]
	s_waitcnt vmcnt(2)
	v_cvt_pk_f32_fp8_e32 v[38:39], v19
	v_cvt_pkrtz_f16_f32 v57, v62, v63
	v_cvt_pk_f32_fp8_e32 v[34:35], v18
	v_cvt_pk_f32_fp8_sdwa v[36:37], v18 src0_sel:WORD_1
	v_cvt_pk_f32_fp8_sdwa v[18:19], v19 src0_sel:WORD_1
	v_mfma_f32_16x16x16_f16 v[26:29], v[56:57], v[40:41], v[26:29]
	v_cvt_pkrtz_f16_f32 v34, v34, v35
	v_cvt_pkrtz_f16_f32 v35, v36, v37
	;; [unrolled: 1-line block ×3, first 2 shown]
	v_cvt_pk_f32_fp8_e32 v[38:39], v20
	v_cvt_pk_f32_fp8_sdwa v[40:41], v20 src0_sel:WORD_1
	v_cvt_pkrtz_f16_f32 v37, v18, v19
	v_mfma_f32_16x16x16_f16 v[26:29], v[34:35], v[30:31], v[26:29]
	v_cvt_pkrtz_f16_f32 v30, v38, v39
	v_cvt_pkrtz_f16_f32 v31, v40, v41
	v_cvt_pk_f32_fp8_e32 v[34:35], v21
	v_cvt_pk_f32_fp8_sdwa v[38:39], v21 src0_sel:WORD_1
	v_mfma_f32_16x16x16_f16 v[18:21], v[36:37], v[32:33], v[26:29]
	s_waitcnt vmcnt(1)
	v_cvt_pk_f32_fp8_sdwa v[32:33], v16 src0_sel:WORD_1
	s_nop 0
	v_cvt_pkrtz_f16_f32 v26, v34, v35
	v_cvt_pkrtz_f16_f32 v27, v38, v39
	v_mfma_f32_16x16x16_f16 v[18:21], v[30:31], v[42:43], v[18:21]
	v_cvt_pk_f32_fp8_e32 v[28:29], v14
	v_cvt_pk_f32_fp8_sdwa v[30:31], v14 src0_sel:WORD_1
	v_cvt_pkrtz_f16_f32 v28, v28, v29
	v_mfma_f32_16x16x16_f16 v[18:21], v[26:27], v[44:45], v[18:21]
	v_cvt_pk_f32_fp8_e32 v[26:27], v15
	v_cvt_pkrtz_f16_f32 v29, v30, v31
	v_cvt_pk_f32_fp8_sdwa v[14:15], v15 src0_sel:WORD_1
	v_cvt_pk_f32_fp8_e32 v[30:31], v16
	v_cvt_pkrtz_f16_f32 v26, v26, v27
	v_mfma_f32_16x16x16_f16 v[18:21], v[28:29], v[22:23], v[18:21]
	v_cvt_pkrtz_f16_f32 v27, v14, v15
	v_cvt_pkrtz_f16_f32 v22, v30, v31
	;; [unrolled: 1-line block ×3, first 2 shown]
	v_cvt_pk_f32_fp8_e32 v[28:29], v17
	v_cvt_pk_f32_fp8_sdwa v[30:31], v17 src0_sel:WORD_1
	v_mfma_f32_16x16x16_f16 v[14:17], v[26:27], v[24:25], v[18:21]
	s_waitcnt vmcnt(0)
	v_cvt_pk_f32_fp8_sdwa v[24:25], v6 src0_sel:WORD_1
	s_nop 0
	v_pk_mul_f32 v[18:19], v[4:5], s[10:11] op_sel_hi:[1,0]
	v_cvt_pkrtz_f16_f32 v4, v28, v29
	v_cvt_pkrtz_f16_f32 v5, v30, v31
	v_mfma_f32_16x16x16_f16 v[14:17], v[22:23], v[46:47], v[14:17]
	v_cvt_pk_f32_fp8_e32 v[22:23], v6
	v_pk_mul_f32 v[20:21], v[2:3], s[10:11] op_sel_hi:[1,0]
	v_mfma_f32_16x16x16_f16 v[2:5], v[4:5], v[48:49], v[14:17]
	s_nop 3
	v_cvt_pk_f32_fp8_e32 v[14:15], v7
	v_cvt_pkrtz_f16_f32 v16, v22, v23
	v_cvt_pkrtz_f16_f32 v17, v24, v25
	v_cvt_pk_f32_fp8_sdwa v[6:7], v7 src0_sel:WORD_1
	v_cvt_pkrtz_f16_f32 v14, v14, v15
	v_cvt_pk_f32_fp8_e32 v[22:23], v8
	v_cvt_pk_f32_fp8_sdwa v[24:25], v8 src0_sel:WORD_1
	v_cvt_pkrtz_f16_f32 v15, v6, v7
	v_mfma_f32_16x16x16_f16 v[2:5], v[16:17], v[10:11], v[2:5]
	v_cvt_pkrtz_f16_f32 v6, v22, v23
	v_cvt_pkrtz_f16_f32 v7, v24, v25
	v_cvt_pk_f32_fp8_e32 v[10:11], v9
	v_cvt_pk_f32_fp8_sdwa v[8:9], v9 src0_sel:WORD_1
	v_mfma_f32_16x16x16_f16 v[2:5], v[14:15], v[12:13], v[2:5]
	v_cvt_f16_f32_e32 v12, v20
	v_cvt_pkrtz_f16_f32 v10, v10, v11
	v_cvt_pkrtz_f16_f32 v11, v8, v9
	v_mfma_f32_16x16x16_f16 v[2:5], v[6:7], v[50:51], v[2:5]
	v_cvt_f16_f32_e32 v6, v21
	v_cvt_f16_f32_e32 v7, v18
	;; [unrolled: 1-line block ×3, first 2 shown]
	v_mfma_f32_16x16x16_f16 v[2:5], v[10:11], v[52:53], v[2:5]
	s_nop 6
	v_pk_mul_f32 v[4:5], v[4:5], s[10:11] op_sel_hi:[1,0]
	v_pk_mul_f32 v[2:3], v[2:3], s[10:11] op_sel_hi:[1,0]
	v_cvt_f16_f32_e32 v11, v4
	v_cvt_f16_f32_e32 v9, v2
	v_cvt_f16_f32_e32 v10, v3
	v_cvt_f16_f32_e32 v5, v5
	v_pack_b32_f16 v2, v12, v6
	v_pack_b32_f16 v3, v7, v8
	;; [unrolled: 1-line block ×4, first 2 shown]
	ds_write2st64_b64 v54, v[2:3], v[4:5] offset1:1
	s_waitcnt lgkmcnt(0)
	s_barrier
	s_and_saveexec_b64 s[10:11], s[6:7]
	s_cbranch_execz .LBB1044_17
; %bb.16:
	s_load_dwordx2 s[0:1], s[0:1], 0x68
	s_mul_i32 s2, s9, s2
	s_lshl_b32 s8, s8, 7
	s_mul_hi_u32 s7, s2, s8
	s_mul_i32 s6, s2, s8
	v_lshlrev_b32_e32 v4, 6, v59
	s_lshl_b64 s[6:7], s[6:7], 1
	v_lshl_or_b32 v0, v0, 10, v4
	s_waitcnt lgkmcnt(0)
	s_add_u32 s6, s0, s6
	v_lshlrev_b32_e32 v2, 5, v58
	v_and_b32_e32 v3, 16, v60
	v_and_b32_e32 v0, 0x1a00, v0
	s_addc_u32 s7, s1, s7
	s_lshl_b32 s2, s5, 7
	v_or3_b32 v0, v0, v2, v3
	s_lshl_b64 s[0:1], s[2:3], 1
	ds_read_b128 v[2:5], v0
	s_add_u32 s2, s6, s0
	s_addc_u32 s3, s7, s1
	s_mul_hi_u32 s1, s8, s4
	s_mul_i32 s0, s8, s4
	s_lshl_b64 s[0:1], s[0:1], 1
	s_add_u32 s0, s2, s0
	s_addc_u32 s1, s3, s1
	s_waitcnt lgkmcnt(0)
	global_store_dwordx4 v1, v[2:5], s[0:1]
.LBB1044_17:
	s_endpgm
	.section	.rodata,"a",@progbits
	.p2align	6, 0x0
	.amdhsa_kernel _Z39paged_attention_ll4mi_QKV_mfma16_kernelIDF16_hLN4vllm18Fp8KVCacheDataTypeE1EhLi32ELi128ELi256ELb0ELi1EEvPKT_PKT0_S7_ifPKiS9_S9_iPKfiiiPfSC_PS2_PT2_iSB_SB_
		.amdhsa_group_segment_fixed_size 8192
		.amdhsa_private_segment_fixed_size 0
		.amdhsa_kernarg_size 400
		.amdhsa_user_sgpr_count 2
		.amdhsa_user_sgpr_dispatch_ptr 0
		.amdhsa_user_sgpr_queue_ptr 0
		.amdhsa_user_sgpr_kernarg_segment_ptr 1
		.amdhsa_user_sgpr_dispatch_id 0
		.amdhsa_user_sgpr_kernarg_preload_length 0
		.amdhsa_user_sgpr_kernarg_preload_offset 0
		.amdhsa_user_sgpr_private_segment_size 0
		.amdhsa_uses_dynamic_stack 0
		.amdhsa_enable_private_segment 0
		.amdhsa_system_sgpr_workgroup_id_x 1
		.amdhsa_system_sgpr_workgroup_id_y 1
		.amdhsa_system_sgpr_workgroup_id_z 1
		.amdhsa_system_sgpr_workgroup_info 0
		.amdhsa_system_vgpr_workitem_id 0
		.amdhsa_next_free_vgpr 86
		.amdhsa_next_free_sgpr 48
		.amdhsa_accum_offset 88
		.amdhsa_reserve_vcc 1
		.amdhsa_float_round_mode_32 0
		.amdhsa_float_round_mode_16_64 0
		.amdhsa_float_denorm_mode_32 3
		.amdhsa_float_denorm_mode_16_64 3
		.amdhsa_dx10_clamp 1
		.amdhsa_ieee_mode 1
		.amdhsa_fp16_overflow 0
		.amdhsa_tg_split 0
		.amdhsa_exception_fp_ieee_invalid_op 0
		.amdhsa_exception_fp_denorm_src 0
		.amdhsa_exception_fp_ieee_div_zero 0
		.amdhsa_exception_fp_ieee_overflow 0
		.amdhsa_exception_fp_ieee_underflow 0
		.amdhsa_exception_fp_ieee_inexact 0
		.amdhsa_exception_int_div_zero 0
	.end_amdhsa_kernel
	.section	.text._Z39paged_attention_ll4mi_QKV_mfma16_kernelIDF16_hLN4vllm18Fp8KVCacheDataTypeE1EhLi32ELi128ELi256ELb0ELi1EEvPKT_PKT0_S7_ifPKiS9_S9_iPKfiiiPfSC_PS2_PT2_iSB_SB_,"axG",@progbits,_Z39paged_attention_ll4mi_QKV_mfma16_kernelIDF16_hLN4vllm18Fp8KVCacheDataTypeE1EhLi32ELi128ELi256ELb0ELi1EEvPKT_PKT0_S7_ifPKiS9_S9_iPKfiiiPfSC_PS2_PT2_iSB_SB_,comdat
.Lfunc_end1044:
	.size	_Z39paged_attention_ll4mi_QKV_mfma16_kernelIDF16_hLN4vllm18Fp8KVCacheDataTypeE1EhLi32ELi128ELi256ELb0ELi1EEvPKT_PKT0_S7_ifPKiS9_S9_iPKfiiiPfSC_PS2_PT2_iSB_SB_, .Lfunc_end1044-_Z39paged_attention_ll4mi_QKV_mfma16_kernelIDF16_hLN4vllm18Fp8KVCacheDataTypeE1EhLi32ELi128ELi256ELb0ELi1EEvPKT_PKT0_S7_ifPKiS9_S9_iPKfiiiPfSC_PS2_PT2_iSB_SB_
                                        ; -- End function
	.section	.AMDGPU.csdata,"",@progbits
; Kernel info:
; codeLenInByte = 5932
; NumSgprs: 54
; NumVgprs: 86
; NumAgprs: 0
; TotalNumVgprs: 86
; ScratchSize: 0
; MemoryBound: 0
; FloatMode: 240
; IeeeMode: 1
; LDSByteSize: 8192 bytes/workgroup (compile time only)
; SGPRBlocks: 6
; VGPRBlocks: 10
; NumSGPRsForWavesPerEU: 54
; NumVGPRsForWavesPerEU: 86
; AccumOffset: 88
; Occupancy: 5
; WaveLimiterHint : 1
; COMPUTE_PGM_RSRC2:SCRATCH_EN: 0
; COMPUTE_PGM_RSRC2:USER_SGPR: 2
; COMPUTE_PGM_RSRC2:TRAP_HANDLER: 0
; COMPUTE_PGM_RSRC2:TGID_X_EN: 1
; COMPUTE_PGM_RSRC2:TGID_Y_EN: 1
; COMPUTE_PGM_RSRC2:TGID_Z_EN: 1
; COMPUTE_PGM_RSRC2:TIDIG_COMP_CNT: 0
; COMPUTE_PGM_RSRC3_GFX90A:ACCUM_OFFSET: 21
; COMPUTE_PGM_RSRC3_GFX90A:TG_SPLIT: 0
	.section	.text._Z39paged_attention_ll4mi_QKV_mfma16_kernelIDF16_hLN4vllm18Fp8KVCacheDataTypeE1EhLi32ELi128ELi256ELb0ELi2EEvPKT_PKT0_S7_ifPKiS9_S9_iPKfiiiPfSC_PS2_PT2_iSB_SB_,"axG",@progbits,_Z39paged_attention_ll4mi_QKV_mfma16_kernelIDF16_hLN4vllm18Fp8KVCacheDataTypeE1EhLi32ELi128ELi256ELb0ELi2EEvPKT_PKT0_S7_ifPKiS9_S9_iPKfiiiPfSC_PS2_PT2_iSB_SB_,comdat
	.protected	_Z39paged_attention_ll4mi_QKV_mfma16_kernelIDF16_hLN4vllm18Fp8KVCacheDataTypeE1EhLi32ELi128ELi256ELb0ELi2EEvPKT_PKT0_S7_ifPKiS9_S9_iPKfiiiPfSC_PS2_PT2_iSB_SB_ ; -- Begin function _Z39paged_attention_ll4mi_QKV_mfma16_kernelIDF16_hLN4vllm18Fp8KVCacheDataTypeE1EhLi32ELi128ELi256ELb0ELi2EEvPKT_PKT0_S7_ifPKiS9_S9_iPKfiiiPfSC_PS2_PT2_iSB_SB_
	.globl	_Z39paged_attention_ll4mi_QKV_mfma16_kernelIDF16_hLN4vllm18Fp8KVCacheDataTypeE1EhLi32ELi128ELi256ELb0ELi2EEvPKT_PKT0_S7_ifPKiS9_S9_iPKfiiiPfSC_PS2_PT2_iSB_SB_
	.p2align	8
	.type	_Z39paged_attention_ll4mi_QKV_mfma16_kernelIDF16_hLN4vllm18Fp8KVCacheDataTypeE1EhLi32ELi128ELi256ELb0ELi2EEvPKT_PKT0_S7_ifPKiS9_S9_iPKfiiiPfSC_PS2_PT2_iSB_SB_,@function
_Z39paged_attention_ll4mi_QKV_mfma16_kernelIDF16_hLN4vllm18Fp8KVCacheDataTypeE1EhLi32ELi128ELi256ELb0ELi2EEvPKT_PKT0_S7_ifPKiS9_S9_iPKfiiiPfSC_PS2_PT2_iSB_SB_: ; @_Z39paged_attention_ll4mi_QKV_mfma16_kernelIDF16_hLN4vllm18Fp8KVCacheDataTypeE1EhLi32ELi128ELi256ELb0ELi2EEvPKT_PKT0_S7_ifPKiS9_S9_iPKfiiiPfSC_PS2_PT2_iSB_SB_
; %bb.0:
	s_load_dwordx2 s[12:13], s[0:1], 0x30
	s_mov_b32 s22, s3
	s_mov_b64 s[6:7], 0
	s_waitcnt lgkmcnt(0)
	s_cmp_lg_u64 s[12:13], 0
	s_cselect_b64 s[14:15], -1, 0
	s_and_b64 vcc, exec, s[14:15]
	s_cbranch_vccz .LBB1045_7
; %bb.1:
	s_add_i32 s8, s2, 1
	s_mov_b32 s9, 0
	s_lshl_b64 s[10:11], s[8:9], 2
	s_add_u32 s10, s12, s10
	s_mov_b32 s3, s9
	s_addc_u32 s11, s13, s11
	s_lshl_b64 s[8:9], s[2:3], 2
	s_add_u32 s8, s12, s8
	s_addc_u32 s9, s13, s9
	s_load_dword s5, s[10:11], 0x0
	s_load_dword s16, s[8:9], 0x0
	s_waitcnt lgkmcnt(0)
	s_sub_i32 s5, s5, s16
	s_cmp_eq_u32 s5, 1
	s_cselect_b64 s[8:9], -1, 0
	s_andn2_b64 vcc, exec, s[6:7]
	s_cbranch_vccnz .LBB1045_3
.LBB1045_2:
	s_mov_b32 s3, 0
	s_mov_b64 s[8:9], -1
.LBB1045_3:
	s_andn2_b64 vcc, exec, s[8:9]
	s_cbranch_vccnz .LBB1045_17
; %bb.4:
	s_load_dwordx2 s[6:7], s[0:1], 0x28
	s_lshl_b64 s[16:17], s[2:3], 2
	s_waitcnt lgkmcnt(0)
	s_add_u32 s6, s6, s16
	s_addc_u32 s7, s7, s17
	s_load_dword s38, s[6:7], 0x0
	s_lshl_b32 s18, s22, 8
	s_waitcnt lgkmcnt(0)
	s_cmp_ge_i32 s18, s38
	s_cbranch_scc1 .LBB1045_17
; %bb.5:
	s_load_dwordx2 s[6:7], s[0:1], 0x20
	s_load_dword s8, s[0:1], 0x38
	s_add_i32 s5, s38, 31
	s_ashr_i32 s9, s5, 31
	v_and_b32_e32 v1, 0xcf, v0
	s_lshr_b32 s9, s9, 27
	v_add_u32_e32 v1, s18, v1
	s_add_i32 s5, s5, s9
	v_ashrrev_i32_e32 v2, 31, v1
	s_ashr_i32 s5, s5, 5
	v_lshrrev_b32_e32 v10, 27, v2
	s_add_i32 s5, s5, -1
	s_waitcnt lgkmcnt(0)
	s_mul_i32 s8, s2, s8
	s_mov_b32 s9, 0
	v_add_u32_e32 v2, v1, v10
	s_lshl_b64 s[8:9], s[8:9], 2
	v_ashrrev_i32_e32 v2, 5, v2
	v_mov_b32_e32 v11, s5
	v_cmp_gt_i32_e32 vcc, s38, v1
	s_add_u32 s6, s6, s8
	s_addc_u32 s7, s7, s9
	v_cndmask_b32_e32 v2, v11, v2, vcc
	v_ashrrev_i32_e32 v3, 31, v2
	v_lshl_add_u64 v[4:5], v[2:3], 2, s[6:7]
	v_or_b32_e32 v2, 16, v1
	v_add_u32_e32 v3, v2, v10
	v_ashrrev_i32_e32 v3, 5, v3
	v_cmp_gt_i32_e32 vcc, s38, v2
	s_load_dwordx4 s[8:11], s[0:1], 0x8
	s_nop 0
	v_cndmask_b32_e32 v2, v11, v3, vcc
	v_ashrrev_i32_e32 v3, 31, v2
	v_lshl_add_u64 v[6:7], v[2:3], 2, s[6:7]
	v_or_b32_e32 v2, 32, v1
	v_add_u32_e32 v3, v2, v10
	v_ashrrev_i32_e32 v3, 5, v3
	v_cmp_gt_i32_e32 vcc, s38, v2
	v_or_b32_e32 v1, 48, v1
	s_nop 0
	v_cndmask_b32_e32 v2, v11, v3, vcc
	v_ashrrev_i32_e32 v3, 31, v2
	v_lshl_add_u64 v[8:9], v[2:3], 2, s[6:7]
	v_add_u32_e32 v2, v1, v10
	v_ashrrev_i32_e32 v2, 5, v2
	v_cmp_gt_i32_e32 vcc, s38, v1
	s_nop 1
	v_cndmask_b32_e32 v2, v11, v2, vcc
	v_ashrrev_i32_e32 v3, 31, v2
	v_lshl_add_u64 v[10:11], v[2:3], 2, s[6:7]
	global_load_dword v2, v[4:5], off
	global_load_dword v32, v[6:7], off
	;; [unrolled: 1-line block ×4, first 2 shown]
	s_andn2_b64 vcc, exec, s[14:15]
	s_cbranch_vccnz .LBB1045_8
; %bb.6:
	s_add_u32 s12, s12, s16
	s_addc_u32 s13, s13, s17
	s_load_dword s14, s[12:13], 0x0
	s_branch .LBB1045_9
.LBB1045_7:
	s_mov_b64 s[8:9], 0
	s_branch .LBB1045_2
.LBB1045_8:
	s_mov_b32 s14, s2
.LBB1045_9:
	s_load_dwordx4 s[44:47], s[0:1], 0x48
	v_lshrrev_b32_e32 v63, 6, v0
	v_bfe_u32 v1, v0, 4, 2
	v_and_b32_e32 v60, 15, v0
	v_lshl_or_b32 v3, v63, 2, v1
	v_lshlrev_b32_e32 v4, 3, v60
	v_and_b32_e32 v62, 63, v0
	s_lshl_b32 s23, s4, 1
	v_cmp_gt_u32_e32 vcc, 2, v3
	v_lshlrev_b32_e32 v54, 1, v4
	v_lshlrev_b32_e32 v61, 4, v0
	s_and_saveexec_b64 s[12:13], vcc
	s_cbranch_execz .LBB1045_11
; %bb.10:
	s_load_dwordx2 s[16:17], s[0:1], 0x0
	s_waitcnt lgkmcnt(0)
	s_ashr_i32 s15, s44, 31
	s_mul_hi_u32 s19, s14, s44
	s_mul_i32 s15, s14, s15
	s_add_i32 s15, s19, s15
	s_mul_i32 s14, s14, s44
	s_lshl_b64 s[14:15], s[14:15], 1
	s_add_u32 s14, s16, s14
	v_add_lshl_u32 v4, v1, s23, 7
	s_addc_u32 s15, s17, s15
	v_ashrrev_i32_e32 v5, 31, v4
	v_lshl_add_u64 v[4:5], v[4:5], 1, s[14:15]
	v_mov_b32_e32 v55, 0
	v_lshl_add_u64 v[4:5], v[4:5], 0, v[54:55]
	global_load_dwordx4 v[4:7], v[4:5], off
	v_lshlrev_b32_e32 v9, 8, v0
	v_lshlrev_b32_e32 v8, 8, v60
	v_and_b32_e32 v9, 0x600, v9
	s_movk_i32 s14, 0x800
	v_and_or_b32 v8, v8, s14, v9
	v_lshlrev_b32_e32 v3, 5, v3
	v_and_b32_e32 v9, 16, v61
	v_or3_b32 v3, v8, v3, v9
	s_waitcnt vmcnt(0)
	ds_write_b128 v3, v[4:7]
.LBB1045_11:
	s_or_b64 exec, exec, s[12:13]
	s_waitcnt lgkmcnt(0)
	s_mul_i32 s12, s4, s46
	s_add_u32 s8, s8, s12
	s_addc_u32 s9, s9, 0
	v_mov_b32_e32 v57, 0
	v_mov_b64_e32 v[24:25], s[8:9]
	v_and_b32_e32 v8, 48, v0
	s_waitcnt vmcnt(3)
	v_mad_i64_i32 v[2:3], s[8:9], v2, s45, v[24:25]
	v_lshlrev_b32_e32 v22, 4, v60
	v_mov_b32_e32 v23, v57
	v_lshlrev_b32_e32 v56, 5, v8
	v_lshl_add_u64 v[2:3], v[2:3], 0, v[22:23]
	v_lshl_add_u64 v[6:7], v[2:3], 0, v[56:57]
	s_load_dword s33, s[0:1], 0x98
	s_load_dwordx4 s[40:43], s[0:1], 0x80
	s_waitcnt lgkmcnt(0)
	s_barrier
	global_load_dwordx4 v[10:13], v[6:7], off
	global_load_dwordx4 v[2:5], v[6:7], off offset:2048
	s_ashr_i32 s4, s18, 31
	v_and_b32_e32 v6, 1, v0
	v_mov_b32_e32 v38, s5
	v_or_b32_e32 v34, 0x100, v22
	v_mov_b32_e32 v35, v57
	s_lshr_b32 s9, s4, 27
	s_waitcnt vmcnt(4)
	v_mad_i64_i32 v[32:33], s[4:5], v32, s45, v[24:25]
	v_lshlrev_b32_e32 v6, 5, v6
	s_waitcnt vmcnt(3)
	v_mad_i64_i32 v[36:37], s[4:5], v30, s45, v[24:25]
	s_waitcnt vmcnt(2)
	v_mad_i64_i32 v[24:25], s[4:5], v31, s45, v[24:25]
	v_lshl_add_u64 v[30:31], v[32:33], 0, v[34:35]
	v_lshl_or_b32 v6, v1, 9, v6
	v_lshl_add_u64 v[30:31], v[30:31], 0, v[56:57]
	v_or_b32_e32 v39, s18, v8
	ds_read_b128 v[26:29], v6
	ds_read_b128 v[18:21], v6 offset:16
	ds_read_b128 v[14:17], v6 offset:2048
	;; [unrolled: 1-line block ×3, first 2 shown]
	global_load_dwordx4 v[50:53], v[30:31], off
	v_or_b32_e32 v40, 64, v39
	v_add_u32_e32 v32, s9, v39
	v_or_b32_e32 v41, 0x80, v39
	v_add_u32_e32 v33, s9, v40
	v_ashrrev_i32_e32 v32, 5, v32
	v_cmp_gt_i32_e32 vcc, s38, v39
	v_or_b32_e32 v42, 0xc0, v39
	v_add_u32_e32 v43, s9, v41
	v_ashrrev_i32_e32 v33, 5, v33
	v_cndmask_b32_e32 v46, v38, v32, vcc
	v_cmp_gt_i32_e32 vcc, s38, v40
	v_add_u32_e32 v44, s9, v42
	v_lshl_add_u64 v[22:23], v[36:37], 0, v[22:23]
	v_lshl_add_u64 v[24:25], v[24:25], 0, v[34:35]
	v_ashrrev_i32_e32 v43, 5, v43
	v_cndmask_b32_e32 v48, v38, v33, vcc
	v_cmp_gt_i32_e32 vcc, s38, v41
	v_ashrrev_i32_e32 v44, 5, v44
	v_lshl_add_u64 v[34:35], v[22:23], 0, v[56:57]
	v_lshl_add_u64 v[36:37], v[24:25], 0, v[56:57]
	v_cndmask_b32_e32 v58, v38, v43, vcc
	v_cmp_gt_i32_e32 vcc, s38, v42
	v_ashrrev_i32_e32 v47, 31, v46
	v_ashrrev_i32_e32 v49, 31, v48
	v_cndmask_b32_e32 v64, v38, v44, vcc
	global_load_dwordx4 v[30:33], v[30:31], off offset:2048
	s_nop 0
	global_load_dwordx4 v[22:25], v[34:35], off
	global_load_dwordx4 v[42:45], v[34:35], off offset:2048
	global_load_dwordx4 v[38:41], v[36:37], off
	s_nop 0
	global_load_dwordx4 v[34:37], v[36:37], off offset:2048
	v_ashrrev_i32_e32 v59, 31, v58
	v_ashrrev_i32_e32 v65, 31, v64
	v_lshl_add_u64 v[46:47], v[46:47], 2, s[6:7]
	v_lshl_add_u64 v[48:49], v[48:49], 2, s[6:7]
	;; [unrolled: 1-line block ×4, first 2 shown]
	global_load_dword v67, v[46:47], off
	global_load_dword v65, v[48:49], off
	;; [unrolled: 1-line block ×4, first 2 shown]
	s_add_u32 s4, s10, s12
	s_addc_u32 s5, s11, 0
	v_and_b32_e32 v56, 16, v0
	v_lshl_or_b32 v66, v63, 4, v60
	s_load_dword s8, s[0:1], 0x1c
	s_waitcnt vmcnt(11)
	v_cvt_pk_f32_fp8_e32 v[46:47], v10
	v_cvt_pk_f32_fp8_sdwa v[48:49], v10 src0_sel:WORD_1
	v_cvt_pk_f32_fp8_e32 v[58:59], v11
	v_cvt_pk_f32_fp8_sdwa v[10:11], v11 src0_sel:WORD_1
	v_cvt_pkrtz_f16_f32 v46, v46, v47
	v_cvt_pkrtz_f16_f32 v47, v48, v49
	v_cvt_pk_f32_fp8_e32 v[68:69], v12
	v_cvt_pk_f32_fp8_sdwa v[70:71], v12 src0_sel:WORD_1
	v_cvt_pkrtz_f16_f32 v58, v58, v59
	v_cvt_pkrtz_f16_f32 v59, v10, v11
	v_cvt_pk_f32_fp8_e32 v[48:49], v13
	v_cvt_pk_f32_fp8_sdwa v[72:73], v13 src0_sel:WORD_1
	s_waitcnt lgkmcnt(0)
	v_mfma_f32_16x16x16_f16 v[10:13], v[46:47], v[26:27], 0
	v_cvt_pkrtz_f16_f32 v68, v68, v69
	v_cvt_pkrtz_f16_f32 v69, v70, v71
	s_waitcnt vmcnt(10)
	v_cvt_pk_f32_fp8_e32 v[46:47], v2
	v_mfma_f32_16x16x16_f16 v[10:13], v[58:59], v[28:29], v[10:13]
	v_cvt_pk_f32_fp8_sdwa v[58:59], v2 src0_sel:WORD_1
	v_cvt_pkrtz_f16_f32 v48, v48, v49
	v_cvt_pkrtz_f16_f32 v49, v72, v73
	v_mfma_f32_16x16x16_f16 v[10:13], v[68:69], v[18:19], v[10:13]
	v_cvt_pk_f32_fp8_e32 v[68:69], v3
	v_cvt_pkrtz_f16_f32 v46, v46, v47
	v_cvt_pkrtz_f16_f32 v47, v58, v59
	v_cvt_pk_f32_fp8_sdwa v[2:3], v3 src0_sel:WORD_1
	v_mfma_f32_16x16x16_f16 v[10:13], v[48:49], v[20:21], v[10:13]
	v_cvt_pkrtz_f16_f32 v48, v68, v69
	v_cvt_pk_f32_fp8_e32 v[58:59], v4
	v_cvt_pk_f32_fp8_sdwa v[68:69], v4 src0_sel:WORD_1
	v_cvt_pkrtz_f16_f32 v49, v2, v3
	v_mfma_f32_16x16x16_f16 v[10:13], v[46:47], v[14:15], v[10:13]
	v_cvt_pkrtz_f16_f32 v46, v58, v59
	v_cvt_pkrtz_f16_f32 v47, v68, v69
	v_cvt_pk_f32_fp8_e32 v[58:59], v5
	v_cvt_pk_f32_fp8_sdwa v[68:69], v5 src0_sel:WORD_1
	v_mfma_f32_16x16x16_f16 v[2:5], v[48:49], v[16:17], v[10:13]
	s_waitcnt vmcnt(7)
	v_cvt_pk_f32_fp8_e32 v[72:73], v25
	s_nop 0
	v_cvt_pkrtz_f16_f32 v10, v58, v59
	v_cvt_pkrtz_f16_f32 v11, v68, v69
	v_mfma_f32_16x16x16_f16 v[2:5], v[46:47], v[6:7], v[2:5]
	v_cvt_pk_f32_fp8_e32 v[12:13], v50
	v_cvt_pk_f32_fp8_sdwa v[58:59], v50 src0_sel:WORD_1
	v_cvt_pk_f32_fp8_sdwa v[74:75], v25 src0_sel:WORD_1
	v_mfma_f32_16x16x16_f16 v[46:49], v[10:11], v[8:9], v[2:5]
	v_cvt_pk_f32_fp8_sdwa v[10:11], v51 src0_sel:WORD_1
	s_waitcnt vmcnt(6)
	v_cvt_pk_f32_fp8_sdwa v[78:79], v44 src0_sel:WORD_1
	v_cvt_pk_f32_fp8_e32 v[2:3], v51
	v_cvt_pkrtz_f16_f32 v4, v12, v13
	v_cvt_pkrtz_f16_f32 v5, v58, v59
	v_cvt_pk_f32_fp8_e32 v[50:51], v52
	v_cvt_pkrtz_f16_f32 v12, v2, v3
	v_cvt_pk_f32_fp8_sdwa v[58:59], v52 src0_sel:WORD_1
	v_cvt_pkrtz_f16_f32 v13, v10, v11
	v_mfma_f32_16x16x16_f16 v[2:5], v[4:5], v[26:27], 0
	v_cvt_pkrtz_f16_f32 v10, v50, v51
	v_cvt_pkrtz_f16_f32 v11, v58, v59
	v_cvt_pk_f32_fp8_e32 v[50:51], v53
	v_cvt_pk_f32_fp8_sdwa v[52:53], v53 src0_sel:WORD_1
	v_mfma_f32_16x16x16_f16 v[2:5], v[12:13], v[28:29], v[2:5]
	v_lshl_add_u64 v[58:59], s[4:5], 0, v[56:57]
	v_cvt_pkrtz_f16_f32 v12, v50, v51
	v_cvt_pkrtz_f16_f32 v13, v52, v53
	v_mfma_f32_16x16x16_f16 v[2:5], v[10:11], v[18:19], v[2:5]
	v_cvt_pk_f32_fp8_e32 v[10:11], v30
	v_cvt_pk_f32_fp8_sdwa v[50:51], v30 src0_sel:WORD_1
	v_cvt_pk_f32_fp8_sdwa v[52:53], v32 src0_sel:WORD_1
	v_mfma_f32_16x16x16_f16 v[2:5], v[12:13], v[20:21], v[2:5]
	v_cvt_pk_f32_fp8_e32 v[12:13], v31
	v_cvt_pkrtz_f16_f32 v10, v10, v11
	v_cvt_pkrtz_f16_f32 v11, v50, v51
	v_cvt_pk_f32_fp8_sdwa v[30:31], v31 src0_sel:WORD_1
	v_cvt_pkrtz_f16_f32 v12, v12, v13
	v_cvt_pk_f32_fp8_e32 v[50:51], v32
	v_mfma_f32_16x16x16_f16 v[2:5], v[10:11], v[14:15], v[2:5]
	v_cvt_pkrtz_f16_f32 v13, v30, v31
	v_cvt_pkrtz_f16_f32 v10, v50, v51
	;; [unrolled: 1-line block ×3, first 2 shown]
	v_cvt_pk_f32_fp8_e32 v[30:31], v33
	v_cvt_pk_f32_fp8_sdwa v[32:33], v33 src0_sel:WORD_1
	v_mfma_f32_16x16x16_f16 v[2:5], v[12:13], v[16:17], v[2:5]
	v_lshlrev_b32_e32 v56, 5, v66
	v_cvt_pkrtz_f16_f32 v12, v30, v31
	v_cvt_pkrtz_f16_f32 v13, v32, v33
	v_mfma_f32_16x16x16_f16 v[2:5], v[10:11], v[6:7], v[2:5]
	v_cvt_pk_f32_fp8_e32 v[10:11], v22
	v_cvt_pk_f32_fp8_sdwa v[30:31], v22 src0_sel:WORD_1
	v_lshl_add_u64 v[68:69], v[58:59], 0, v[56:57]
	v_mfma_f32_16x16x16_f16 v[50:53], v[12:13], v[8:9], v[2:5]
	s_waitcnt vmcnt(3)
	v_mad_i64_i32 v[12:13], s[4:5], v67, s45, v[68:69]
	s_waitcnt vmcnt(2)
	v_mad_i64_i32 v[70:71], s[4:5], v65, s45, v[68:69]
	v_cvt_pkrtz_f16_f32 v2, v10, v11
	v_cvt_pkrtz_f16_f32 v3, v30, v31
	v_cvt_pk_f32_fp8_e32 v[4:5], v23
	v_cvt_pk_f32_fp8_sdwa v[10:11], v23 src0_sel:WORD_1
	v_cvt_pk_f32_fp8_sdwa v[30:31], v24 src0_sel:WORD_1
	v_or_b32_e32 v56, 0x800, v56
	v_cvt_pkrtz_f16_f32 v22, v4, v5
	v_cvt_pkrtz_f16_f32 v23, v10, v11
	v_cvt_pk_f32_fp8_e32 v[10:11], v24
	v_mfma_f32_16x16x16_f16 v[2:5], v[2:3], v[26:27], 0
	v_cvt_pkrtz_f16_f32 v10, v10, v11
	v_cvt_pkrtz_f16_f32 v11, v30, v31
	v_mfma_f32_16x16x16_f16 v[2:5], v[22:23], v[28:29], v[2:5]
	global_load_dwordx4 v[30:33], v[12:13], off
	global_load_dwordx4 v[22:25], v[70:71], off
	v_cvt_pkrtz_f16_f32 v12, v72, v73
	v_cvt_pkrtz_f16_f32 v13, v74, v75
	v_mfma_f32_16x16x16_f16 v[2:5], v[10:11], v[18:19], v[2:5]
	v_cvt_pk_f32_fp8_e32 v[10:11], v42
	v_cvt_pk_f32_fp8_sdwa v[70:71], v42 src0_sel:WORD_1
	s_waitcnt vmcnt(3)
	v_mad_i64_i32 v[72:73], s[4:5], v55, s45, v[68:69]
	v_mfma_f32_16x16x16_f16 v[2:5], v[12:13], v[20:21], v[2:5]
	v_cvt_pkrtz_f16_f32 v10, v10, v11
	v_cvt_pkrtz_f16_f32 v11, v70, v71
	v_cvt_pk_f32_fp8_e32 v[12:13], v43
	v_cvt_pk_f32_fp8_sdwa v[42:43], v43 src0_sel:WORD_1
	s_waitcnt vmcnt(2)
	v_mad_i64_i32 v[74:75], s[4:5], v64, s45, v[68:69]
	v_cvt_pkrtz_f16_f32 v76, v12, v13
	v_cvt_pkrtz_f16_f32 v77, v42, v43
	v_cvt_pk_f32_fp8_e32 v[42:43], v44
	v_mfma_f32_16x16x16_f16 v[68:71], v[10:11], v[14:15], v[2:5]
	global_load_dwordx4 v[10:13], v[72:73], off
	s_nop 1
	global_load_dwordx4 v[2:5], v[74:75], off
	v_cvt_pkrtz_f16_f32 v73, v78, v79
	v_cvt_pkrtz_f16_f32 v72, v42, v43
	v_cvt_pk_f32_fp8_e32 v[74:75], v45
	v_cvt_pk_f32_fp8_sdwa v[44:45], v45 src0_sel:WORD_1
	v_mfma_f32_16x16x16_f16 v[68:71], v[76:77], v[16:17], v[68:71]
	v_lshl_add_u64 v[42:43], v[58:59], 0, v[56:57]
	v_cvt_pkrtz_f16_f32 v74, v74, v75
	v_cvt_pkrtz_f16_f32 v75, v44, v45
	v_mfma_f32_16x16x16_f16 v[56:59], v[72:73], v[6:7], v[68:71]
	v_cvt_pk_f32_fp8_e32 v[44:45], v38
	v_cvt_pk_f32_fp8_sdwa v[76:77], v40 src0_sel:WORD_1
	s_load_dword s4, s[40:41], 0x0
	v_cvt_pk_f32_fp8_sdwa v[68:69], v38 src0_sel:WORD_1
	v_cvt_pk_f32_fp8_e32 v[70:71], v39
	v_cvt_pkrtz_f16_f32 v44, v44, v45
	v_cvt_pk_f32_fp8_sdwa v[38:39], v39 src0_sel:WORD_1
	v_cvt_pkrtz_f16_f32 v45, v68, v69
	v_mfma_f32_16x16x16_f16 v[56:59], v[74:75], v[8:9], v[56:59]
	v_cvt_pkrtz_f16_f32 v72, v70, v71
	v_cvt_pk_f32_fp8_e32 v[74:75], v40
	v_cvt_pkrtz_f16_f32 v73, v38, v39
	v_mfma_f32_16x16x16_f16 v[68:71], v[44:45], v[26:27], 0
	v_cvt_pkrtz_f16_f32 v39, v76, v77
	v_cvt_pkrtz_f16_f32 v38, v74, v75
	v_cvt_pk_f32_fp8_e32 v[44:45], v41
	v_cvt_pk_f32_fp8_sdwa v[40:41], v41 src0_sel:WORD_1
	v_mfma_f32_16x16x16_f16 v[26:29], v[72:73], v[28:29], v[68:71]
	s_mov_b32 s40, 0xff7fffff
	v_cvt_pkrtz_f16_f32 v44, v44, v45
	v_cvt_pkrtz_f16_f32 v45, v40, v41
	v_mfma_f32_16x16x16_f16 v[26:29], v[38:39], v[18:19], v[26:29]
	v_mov_b32_e32 v68, s8
	s_waitcnt lgkmcnt(0)
	v_mul_f32_e32 v40, s4, v68
	v_pk_mul_f32 v[38:39], v[40:41], v[48:49] op_sel_hi:[0,1]
	v_mfma_f32_16x16x16_f16 v[18:21], v[44:45], v[20:21], v[26:29]
	v_cvt_pk_f32_fp8_e32 v[44:45], v35
	v_pk_mul_f32 v[46:47], v[40:41], v[46:47] op_sel_hi:[0,1]
	v_pk_mul_f32 v[48:49], v[40:41], v[52:53] op_sel_hi:[0,1]
	v_cvt_pk_f32_fp8_e32 v[26:27], v34
	v_cvt_pk_f32_fp8_sdwa v[28:29], v34 src0_sel:WORD_1
	v_cvt_pk_f32_fp8_sdwa v[34:35], v35 src0_sel:WORD_1
	v_pk_mul_f32 v[52:53], v[40:41], v[50:51] op_sel_hi:[0,1]
	v_cvt_pkrtz_f16_f32 v26, v26, v27
	v_cvt_pkrtz_f16_f32 v27, v28, v29
	;; [unrolled: 1-line block ×4, first 2 shown]
	v_cvt_pk_f32_fp8_e32 v[34:35], v36
	v_cvt_pk_f32_fp8_sdwa v[44:45], v36 src0_sel:WORD_1
	v_mfma_f32_16x16x16_f16 v[18:21], v[26:27], v[14:15], v[18:21]
	v_pk_mul_f32 v[50:51], v[40:41], v[56:57] op_sel_hi:[0,1]
	v_cvt_pkrtz_f16_f32 v26, v34, v35
	v_cvt_pkrtz_f16_f32 v27, v44, v45
	v_cvt_pk_f32_fp8_e32 v[34:35], v37
	v_cvt_pk_f32_fp8_sdwa v[36:37], v37 src0_sel:WORD_1
	v_mfma_f32_16x16x16_f16 v[14:17], v[28:29], v[16:17], v[18:21]
	v_pk_mul_f32 v[44:45], v[40:41], v[58:59] op_sel_hi:[0,1]
	v_mad_i64_i32 v[68:69], s[4:5], v67, s45, v[42:43]
	s_nop 0
	v_cvt_pkrtz_f16_f32 v18, v34, v35
	v_cvt_pkrtz_f16_f32 v19, v36, v37
	v_mfma_f32_16x16x16_f16 v[14:17], v[26:27], v[6:7], v[14:17]
	s_nop 0
	v_mfma_f32_16x16x16_f16 v[6:9], v[18:19], v[8:9], v[14:17]
	s_nop 6
	v_pk_mul_f32 v[34:35], v[40:41], v[8:9] op_sel_hi:[0,1]
	v_pk_mul_f32 v[40:41], v[40:41], v[6:7] op_sel_hi:[0,1]
	v_and_b32_e32 v6, 0xc0, v0
	v_add_u32_e32 v6, s18, v6
	v_lshl_or_b32 v6, v1, 2, v6
	v_or_b32_e32 v9, 1, v6
	v_mov_b32_e32 v7, 0xff7fffff
	v_cmp_gt_i32_e64 s[24:25], s38, v6
	v_cmp_gt_i32_e64 s[26:27], s38, v9
	v_or_b32_e32 v14, 3, v6
	v_cndmask_b32_e64 v8, v7, v46, s[24:25]
	v_cndmask_b32_e64 v9, v7, v47, s[26:27]
	v_max3_f32 v8, v8, s40, v9
	v_or_b32_e32 v9, 2, v6
	v_cmp_gt_i32_e64 s[28:29], s38, v9
	v_cmp_gt_i32_e64 s[30:31], s38, v14
	s_nop 0
	v_cndmask_b32_e64 v9, v7, v38, s[28:29]
	v_cndmask_b32_e64 v14, v7, v39, s[30:31]
	v_max3_f32 v8, v8, v9, v14
	v_or_b32_e32 v9, 16, v6
	v_or_b32_e32 v14, 17, v6
	v_cmp_gt_i32_e64 s[34:35], s38, v9
	v_cmp_gt_i32_e64 s[36:37], s38, v14
	s_nop 0
	v_cndmask_b32_e64 v9, v7, v52, s[34:35]
	v_cndmask_b32_e64 v14, v7, v53, s[36:37]
	v_max3_f32 v8, v8, v9, v14
	v_or_b32_e32 v9, 18, v6
	;; [unrolled: 8-line block ×6, first 2 shown]
	v_or_b32_e32 v6, 51, v6
	v_cmp_gt_i32_e32 vcc, s38, v9
	v_cmp_gt_i32_e64 s[4:5], s38, v6
	s_nop 0
	v_cndmask_b32_e32 v9, v7, v34, vcc
	v_cndmask_b32_e64 v6, v7, v35, s[4:5]
	v_max3_f32 v8, v8, v9, v6
	v_mbcnt_lo_u32_b32 v6, -1, 0
	v_mbcnt_hi_u32_b32 v9, -1, v6
	v_and_b32_e32 v6, 64, v9
	v_add_u32_e32 v14, 64, v6
	v_xor_b32_e32 v6, 32, v9
	v_cmp_lt_i32_e64 s[38:39], v6, v14
	s_nop 1
	v_cndmask_b32_e64 v6, v9, v6, s[38:39]
	v_lshlrev_b32_e32 v56, 2, v6
	ds_bpermute_b32 v15, v56, v8
	v_mad_i64_i32 v[6:7], s[38:39], v65, s45, v[42:43]
	global_load_dwordx4 v[26:29], v[68:69], off
	global_load_dwordx4 v[18:21], v[6:7], off
	s_waitcnt lgkmcnt(0)
	v_max_f32_e32 v6, v15, v15
	v_max_f32_e32 v15, v8, v6
	v_xor_b32_e32 v6, 16, v9
	v_cmp_lt_i32_e64 s[38:39], v6, v14
	s_nop 1
	v_cndmask_b32_e64 v6, v9, v6, s[38:39]
	v_lshlrev_b32_e32 v57, 2, v6
	ds_bpermute_b32 v14, v57, v15
	v_mad_i64_i32 v[6:7], s[38:39], v55, s45, v[42:43]
	v_mad_i64_i32 v[8:9], s[38:39], v64, s45, v[42:43]
	s_waitcnt lgkmcnt(0)
	v_max_f32_e32 v14, v14, v14
	v_max_f32_e32 v55, v15, v14
	v_sub_f32_e32 v14, v46, v55
	v_mul_f32_e32 v14, 0x3fb8aa3b, v14
	v_exp_f32_e32 v36, v14
	v_sub_f32_e32 v14, v47, v55
	v_mul_f32_e32 v14, 0x3fb8aa3b, v14
	v_exp_f32_e32 v37, v14
	global_load_dwordx4 v[14:17], v[6:7], off
	s_nop 0
	global_load_dwordx4 v[6:9], v[8:9], off
	v_sub_f32_e32 v38, v38, v55
	v_mul_f32_e32 v38, 0x3fb8aa3b, v38
	v_sub_f32_e32 v39, v39, v55
	v_exp_f32_e32 v38, v38
	v_mul_f32_e32 v39, 0x3fb8aa3b, v39
	v_exp_f32_e32 v39, v39
	v_cndmask_b32_e64 v36, 0, v36, s[24:25]
	v_add_f32_e32 v42, 0, v36
	v_cndmask_b32_e64 v37, 0, v37, s[26:27]
	v_add_f32_e32 v42, v42, v37
	v_cndmask_b32_e64 v46, 0, v38, s[28:29]
	v_add_f32_e32 v38, v42, v46
	v_cndmask_b32_e64 v47, 0, v39, s[30:31]
	v_sub_f32_e32 v39, v52, v55
	v_sub_f32_e32 v42, v53, v55
	v_mul_f32_e32 v39, 0x3fb8aa3b, v39
	v_mul_f32_e32 v42, 0x3fb8aa3b, v42
	v_exp_f32_e32 v39, v39
	v_exp_f32_e32 v42, v42
	v_add_f32_e32 v43, v38, v47
	v_sub_f32_e32 v44, v44, v55
	v_cndmask_b32_e64 v38, 0, v39, s[34:35]
	v_cndmask_b32_e64 v39, 0, v42, s[36:37]
	v_sub_f32_e32 v42, v48, v55
	v_mul_f32_e32 v42, 0x3fb8aa3b, v42
	v_exp_f32_e32 v42, v42
	v_sub_f32_e32 v48, v49, v55
	v_add_f32_e32 v43, v43, v38
	v_mul_f32_e32 v48, 0x3fb8aa3b, v48
	v_exp_f32_e32 v49, v48
	v_add_f32_e32 v43, v43, v39
	v_cndmask_b32_e64 v48, 0, v42, s[18:19]
	v_add_f32_e32 v42, v43, v48
	v_sub_f32_e32 v43, v50, v55
	v_mul_f32_e32 v43, 0x3fb8aa3b, v43
	v_sub_f32_e32 v50, v51, v55
	v_exp_f32_e32 v43, v43
	v_mul_f32_e32 v50, 0x3fb8aa3b, v50
	v_exp_f32_e32 v50, v50
	v_mul_f32_e32 v44, 0x3fb8aa3b, v44
	v_sub_f32_e32 v45, v45, v55
	v_exp_f32_e32 v44, v44
	v_mul_f32_e32 v45, 0x3fb8aa3b, v45
	v_sub_f32_e32 v40, v40, v55
	v_cndmask_b32_e64 v49, 0, v49, s[20:21]
	v_exp_f32_e32 v45, v45
	v_mul_f32_e32 v40, 0x3fb8aa3b, v40
	v_sub_f32_e32 v41, v41, v55
	v_add_f32_e32 v51, v42, v49
	v_cndmask_b32_e64 v42, 0, v43, s[14:15]
	v_exp_f32_e32 v40, v40
	v_mul_f32_e32 v41, 0x3fb8aa3b, v41
	v_sub_f32_e32 v34, v34, v55
	v_add_f32_e32 v51, v51, v42
	;; [unrolled: 5-line block ×3, first 2 shown]
	v_cndmask_b32_e64 v44, 0, v44, s[10:11]
	v_exp_f32_e32 v34, v34
	v_mul_f32_e32 v35, 0x3fb8aa3b, v35
	v_add_f32_e32 v50, v50, v44
	v_cndmask_b32_e64 v45, 0, v45, s[12:13]
	v_exp_f32_e32 v35, v35
	v_add_f32_e32 v50, v50, v45
	v_cndmask_b32_e64 v40, 0, v40, s[6:7]
	v_add_f32_e32 v50, v50, v40
	v_cndmask_b32_e64 v41, 0, v41, s[8:9]
	v_add_f32_e32 v50, v50, v41
	v_cndmask_b32_e32 v34, 0, v34, vcc
	v_add_f32_e32 v50, v50, v34
	v_cndmask_b32_e64 v35, 0, v35, s[4:5]
	v_add_f32_e32 v50, v50, v35
	ds_bpermute_b32 v51, v56, v50
	v_cmp_gt_u32_e32 vcc, 16, v62
	s_waitcnt lgkmcnt(0)
	s_barrier
	v_add_f32_e32 v50, v50, v51
	ds_bpermute_b32 v51, v57, v50
	s_and_saveexec_b64 s[4:5], vcc
	s_cbranch_execz .LBB1045_13
; %bb.12:
	s_waitcnt lgkmcnt(0)
	v_add_f32_e32 v50, v50, v51
	v_lshlrev_b32_e32 v51, 2, v66
	ds_write2st64_b32 v51, v55, v50 offset1:1
.LBB1045_13:
	s_or_b64 exec, exec, s[4:5]
	s_waitcnt lgkmcnt(0)
	v_lshlrev_b32_e32 v51, 2, v60
	s_load_dword s6, s[0:1], 0x94
	s_waitcnt lgkmcnt(0)
	s_barrier
	ds_read2_b32 v[52:53], v51 offset1:16
	ds_read2_b32 v[56:57], v51 offset0:32 offset1:48
	ds_read2_b32 v[58:59], v51 offset0:64 offset1:80
	s_lshl_b32 s7, s33, 1
	s_waitcnt lgkmcnt(2)
	v_max3_f32 v50, v52, s40, v53
	s_waitcnt lgkmcnt(1)
	v_max3_f32 v50, v50, v56, v57
	v_sub_f32_e32 v52, v52, v50
	v_mul_f32_e32 v52, 0x3fb8aa3b, v52
	v_exp_f32_e32 v55, v52
	v_sub_f32_e32 v52, v53, v50
	v_mul_f32_e32 v52, 0x3fb8aa3b, v52
	v_exp_f32_e32 v64, v52
	;; [unrolled: 3-line block ×3, first 2 shown]
	ds_read2_b32 v[52:53], v51 offset0:96 offset1:112
	v_sub_f32_e32 v51, v57, v50
	v_mul_f32_e32 v51, 0x3fb8aa3b, v51
	v_exp_f32_e32 v57, v51
	s_waitcnt lgkmcnt(1)
	v_fma_f32 v51, v55, v58, 0
	v_fmac_f32_e32 v51, v64, v59
	s_waitcnt lgkmcnt(0)
	v_fmac_f32_e32 v51, v56, v52
	v_fmac_f32_e32 v51, v57, v53
	v_add_f32_e32 v52, 0x358637bd, v51
	v_div_scale_f32 v53, s[4:5], v52, v52, 1.0
	v_rcp_f32_e32 v58, v53
	s_barrier
	v_fma_f32 v59, -v53, v58, 1.0
	v_fmac_f32_e32 v58, v59, v58
	v_div_scale_f32 v59, vcc, 1.0, v52, 1.0
	v_mul_f32_e32 v65, v59, v58
	v_fma_f32 v66, -v53, v65, v59
	v_fmac_f32_e32 v65, v66, v58
	v_fma_f32 v53, -v53, v65, v59
	v_div_fmas_f32 v53, v53, v58, v65
	v_cmp_eq_u32_e32 vcc, 1, v63
	v_div_fixup_f32 v52, v53, v52, 1.0
	s_nop 0
	v_cndmask_b32_e32 v53, v55, v64, vcc
	v_cmp_eq_u32_e32 vcc, 2, v63
	s_nop 1
	v_cndmask_b32_e32 v53, v53, v56, vcc
	v_cmp_eq_u32_e32 vcc, 3, v63
	s_nop 1
	v_cndmask_b32_e32 v53, v53, v57, vcc
	v_mul_f32_e32 v52, v53, v52
	v_pk_mul_f32 v[46:47], v[52:53], v[46:47] op_sel_hi:[0,1]
	v_pk_mul_f32 v[36:37], v[52:53], v[36:37] op_sel_hi:[0,1]
	v_cvt_f16_f32_e32 v53, v46
	v_cvt_f16_f32_e32 v36, v36
	;; [unrolled: 1-line block ×4, first 2 shown]
	v_pk_mul_f32 v[48:49], v[52:53], v[48:49] op_sel_hi:[0,1]
	v_pk_mul_f32 v[38:39], v[52:53], v[38:39] op_sel_hi:[0,1]
	v_cvt_f16_f32_e32 v38, v38
	v_cvt_f16_f32_e32 v39, v39
	;; [unrolled: 1-line block ×4, first 2 shown]
	v_pack_b32_f16 v46, v36, v37
	v_pack_b32_f16 v47, v53, v47
	v_lshlrev_b32_e32 v37, 3, v1
	v_lshlrev_b32_e32 v36, 5, v60
	;; [unrolled: 1-line block ×3, first 2 shown]
	v_or3_b32 v55, v53, v36, v37
	v_pack_b32_f16 v38, v38, v39
	v_pack_b32_f16 v39, v48, v49
	ds_write2st64_b64 v55, v[46:47], v[38:39] offset1:1
	v_pk_mul_f32 v[38:39], v[52:53], v[44:45] op_sel_hi:[0,1]
	v_pk_mul_f32 v[42:43], v[52:53], v[42:43] op_sel_hi:[0,1]
	v_cvt_f16_f32_e32 v37, v42
	v_cvt_f16_f32_e32 v42, v43
	;; [unrolled: 1-line block ×4, first 2 shown]
	v_pk_mul_f32 v[34:35], v[52:53], v[34:35] op_sel_hi:[0,1]
	v_pk_mul_f32 v[38:39], v[52:53], v[40:41] op_sel_hi:[0,1]
	v_cvt_f16_f32_e32 v38, v38
	v_cvt_f16_f32_e32 v39, v39
	;; [unrolled: 1-line block ×4, first 2 shown]
	v_pack_b32_f16 v34, v37, v42
	v_pack_b32_f16 v35, v43, v44
	;; [unrolled: 1-line block ×4, first 2 shown]
	v_cmp_gt_u32_e32 vcc, 2, v0
	ds_write2st64_b64 v55, v[34:35], v[38:39] offset0:2 offset1:3
	s_and_saveexec_b64 s[4:5], vcc
	s_cbranch_execz .LBB1045_15
; %bb.14:
	v_or_b32_e32 v34, s23, v0
	v_mov_b32_e32 v35, 0
	v_mov_b32_e32 v37, s7
	v_mad_u64_u32 v[38:39], s[12:13], s2, v37, v[34:35]
	v_mov_b32_e32 v34, s22
	s_load_dwordx4 s[8:11], s[0:1], 0x58
	s_mul_i32 s3, s3, s7
	v_mad_u64_u32 v[34:35], s[12:13], v38, s6, v[34:35]
	v_add_u32_e32 v37, s3, v39
	v_mov_b32_e32 v38, v35
	v_mad_u64_u32 v[38:39], s[12:13], v37, s6, v[38:39]
	v_mov_b32_e32 v35, v38
	v_lshlrev_b64 v[34:35], 2, v[34:35]
	s_waitcnt lgkmcnt(0)
	v_lshl_add_u64 v[38:39], s[10:11], 0, v[34:35]
	v_lshl_add_u64 v[34:35], s[8:9], 0, v[34:35]
	global_store_dword v[38:39], v50, off
	global_store_dword v[34:35], v51, off
.LBB1045_15:
	s_or_b64 exec, exec, s[4:5]
	s_waitcnt vmcnt(7)
	v_cvt_pk_f32_fp8_e32 v[34:35], v30
	v_lshl_or_b32 v50, v1, 9, v36
	v_cvt_pk_f32_fp8_sdwa v[36:37], v30 src0_sel:WORD_1
	s_waitcnt lgkmcnt(0)
	s_barrier
	v_cvt_pk_f32_fp8_e32 v[38:39], v31
	v_cvt_pkrtz_f16_f32 v30, v34, v35
	v_cvt_pk_f32_fp8_sdwa v[40:41], v31 src0_sel:WORD_1
	v_cvt_pkrtz_f16_f32 v31, v36, v37
	ds_read_b128 v[34:37], v50
	v_cvt_pkrtz_f16_f32 v46, v38, v39
	v_cvt_pkrtz_f16_f32 v47, v40, v41
	ds_read_b128 v[38:41], v50 offset:16
	v_cvt_pk_f32_fp8_e32 v[48:49], v32
	v_cvt_pk_f32_fp8_sdwa v[52:53], v32 src0_sel:WORD_1
	s_waitcnt lgkmcnt(1)
	v_mfma_f32_16x16x16_f16 v[42:45], v[30:31], v[34:35], 0
	s_waitcnt vmcnt(6)
	v_cvt_pk_f32_fp8_e32 v[56:57], v24
	v_cvt_pkrtz_f16_f32 v30, v48, v49
	v_cvt_pkrtz_f16_f32 v31, v52, v53
	v_cvt_pk_f32_fp8_e32 v[48:49], v33
	v_mfma_f32_16x16x16_f16 v[42:45], v[46:47], v[36:37], v[42:45]
	v_cvt_pk_f32_fp8_sdwa v[46:47], v33 src0_sel:WORD_1
	v_cvt_pk_f32_fp8_sdwa v[58:59], v24 src0_sel:WORD_1
	v_cvt_pkrtz_f16_f32 v48, v48, v49
	s_waitcnt lgkmcnt(0)
	v_mfma_f32_16x16x16_f16 v[30:33], v[30:31], v[38:39], v[42:45]
	v_cvt_pkrtz_f16_f32 v49, v46, v47
	s_waitcnt vmcnt(5)
	v_cvt_pk_f32_fp8_e32 v[64:65], v12
	v_cvt_pk_f32_fp8_sdwa v[66:67], v12 src0_sel:WORD_1
	v_cvt_pk_f32_fp8_e32 v[42:43], v22
	v_mfma_f32_16x16x16_f16 v[46:49], v[48:49], v[40:41], v[30:33]
	s_waitcnt vmcnt(4)
	v_cvt_pk_f32_fp8_sdwa v[68:69], v4 src0_sel:WORD_1
	s_load_dword s4, s[42:43], 0x0
	v_cvt_pk_f32_fp8_sdwa v[30:31], v22 src0_sel:WORD_1
	v_cvt_pk_f32_fp8_e32 v[32:33], v23
	v_cvt_pkrtz_f16_f32 v22, v42, v43
	v_cvt_pk_f32_fp8_sdwa v[42:43], v23 src0_sel:WORD_1
	v_cvt_pkrtz_f16_f32 v23, v30, v31
	v_cvt_pkrtz_f16_f32 v52, v32, v33
	ds_read_b128 v[30:33], v50 offset:2048
	v_cvt_pkrtz_f16_f32 v53, v42, v43
	ds_read_b128 v[42:45], v50 offset:2064
	s_waitcnt lgkmcnt(0)
	v_mfma_f32_16x16x16_f16 v[46:49], v[22:23], v[30:31], v[46:49]
	v_cvt_pkrtz_f16_f32 v22, v56, v57
	v_cvt_pkrtz_f16_f32 v23, v58, v59
	v_cvt_pk_f32_fp8_e32 v[56:57], v25
	v_mfma_f32_16x16x16_f16 v[46:49], v[52:53], v[32:33], v[46:49]
	v_cvt_pk_f32_fp8_sdwa v[52:53], v25 src0_sel:WORD_1
	v_cmp_gt_u32_e32 vcc, 64, v0
	v_cvt_pkrtz_f16_f32 v56, v56, v57
	v_mfma_f32_16x16x16_f16 v[22:25], v[22:23], v[42:43], v[46:49]
	v_cvt_pkrtz_f16_f32 v57, v52, v53
	s_mov_b32 s3, 0
	s_nop 0
	v_cvt_pk_f32_fp8_e32 v[46:47], v10
	v_mfma_f32_16x16x16_f16 v[56:59], v[56:57], v[44:45], v[22:25]
	s_nop 2
	v_cvt_pk_f32_fp8_sdwa v[22:23], v10 src0_sel:WORD_1
	v_cvt_pk_f32_fp8_e32 v[24:25], v11
	v_cvt_pkrtz_f16_f32 v10, v46, v47
	v_cvt_pk_f32_fp8_sdwa v[46:47], v11 src0_sel:WORD_1
	v_cvt_pkrtz_f16_f32 v11, v22, v23
	v_cvt_pkrtz_f16_f32 v52, v24, v25
	ds_read_b128 v[22:25], v50 offset:4096
	v_cvt_pkrtz_f16_f32 v53, v46, v47
	ds_read_b128 v[46:49], v50 offset:4112
	s_waitcnt lgkmcnt(1)
	v_mfma_f32_16x16x16_f16 v[56:59], v[10:11], v[22:23], v[56:59]
	v_cvt_pkrtz_f16_f32 v10, v64, v65
	v_cvt_pkrtz_f16_f32 v11, v66, v67
	v_cvt_pk_f32_fp8_e32 v[64:65], v13
	v_mfma_f32_16x16x16_f16 v[56:59], v[52:53], v[24:25], v[56:59]
	v_cvt_pk_f32_fp8_sdwa v[52:53], v13 src0_sel:WORD_1
	v_cvt_pk_f32_fp8_e32 v[66:67], v4
	v_cvt_pkrtz_f16_f32 v64, v64, v65
	s_waitcnt lgkmcnt(0)
	v_mfma_f32_16x16x16_f16 v[10:13], v[10:11], v[46:47], v[56:59]
	v_cvt_pkrtz_f16_f32 v65, v52, v53
	v_cvt_pk_f32_fp8_e32 v[52:53], v2
	s_nop 0
	v_mfma_f32_16x16x16_f16 v[56:59], v[64:65], v[48:49], v[10:13]
	s_nop 2
	v_cvt_pk_f32_fp8_sdwa v[10:11], v2 src0_sel:WORD_1
	v_cvt_pk_f32_fp8_e32 v[12:13], v3
	v_cvt_pkrtz_f16_f32 v2, v52, v53
	v_cvt_pk_f32_fp8_sdwa v[52:53], v3 src0_sel:WORD_1
	v_cvt_pkrtz_f16_f32 v3, v10, v11
	v_cvt_pkrtz_f16_f32 v64, v12, v13
	ds_read_b128 v[10:13], v50 offset:6144
	v_cvt_pkrtz_f16_f32 v65, v52, v53
	s_waitcnt lgkmcnt(0)
	v_mfma_f32_16x16x16_f16 v[56:59], v[2:3], v[10:11], v[56:59]
	ds_read_b128 v[50:53], v50 offset:6160
	v_cvt_pkrtz_f16_f32 v2, v66, v67
	v_cvt_pkrtz_f16_f32 v3, v68, v69
	v_mfma_f32_16x16x16_f16 v[56:59], v[64:65], v[12:13], v[56:59]
	v_cvt_pk_f32_fp8_e32 v[66:67], v5
	v_cvt_pk_f32_fp8_sdwa v[64:65], v5 src0_sel:WORD_1
	s_waitcnt vmcnt(3)
	v_cvt_pk_f32_fp8_sdwa v[68:69], v28 src0_sel:WORD_1
	s_waitcnt lgkmcnt(0)
	v_mfma_f32_16x16x16_f16 v[2:5], v[2:3], v[50:51], v[56:59]
	v_cvt_pkrtz_f16_f32 v66, v66, v67
	v_cvt_pkrtz_f16_f32 v67, v64, v65
	v_cvt_pk_f32_fp8_e32 v[64:65], v27
	v_cvt_pk_f32_fp8_e32 v[56:57], v26
	v_cvt_pk_f32_fp8_sdwa v[58:59], v26 src0_sel:WORD_1
	v_cvt_pk_f32_fp8_sdwa v[26:27], v27 src0_sel:WORD_1
	v_mfma_f32_16x16x16_f16 v[2:5], v[66:67], v[52:53], v[2:5]
	v_cvt_pkrtz_f16_f32 v56, v56, v57
	v_cvt_pkrtz_f16_f32 v57, v58, v59
	;; [unrolled: 1-line block ×3, first 2 shown]
	v_cvt_pk_f32_fp8_e32 v[66:67], v28
	v_cvt_pkrtz_f16_f32 v65, v26, v27
	v_mfma_f32_16x16x16_f16 v[56:59], v[56:57], v[34:35], 0
	v_cvt_pkrtz_f16_f32 v26, v66, v67
	v_cvt_pkrtz_f16_f32 v27, v68, v69
	v_cvt_pk_f32_fp8_e32 v[66:67], v29
	v_mfma_f32_16x16x16_f16 v[34:37], v[64:65], v[36:37], v[56:59]
	s_barrier
	s_nop 1
	v_cvt_pk_f32_fp8_sdwa v[56:57], v29 src0_sel:WORD_1
	v_cvt_pkrtz_f16_f32 v58, v66, v67
	v_mfma_f32_16x16x16_f16 v[26:29], v[26:27], v[38:39], v[34:37]
	s_waitcnt vmcnt(2)
	v_cvt_pk_f32_fp8_e32 v[38:39], v19
	v_cvt_pkrtz_f16_f32 v59, v56, v57
	v_cvt_pk_f32_fp8_e32 v[34:35], v18
	v_cvt_pk_f32_fp8_sdwa v[36:37], v18 src0_sel:WORD_1
	v_cvt_pk_f32_fp8_sdwa v[18:19], v19 src0_sel:WORD_1
	v_mfma_f32_16x16x16_f16 v[26:29], v[58:59], v[40:41], v[26:29]
	v_cvt_pkrtz_f16_f32 v34, v34, v35
	v_cvt_pkrtz_f16_f32 v35, v36, v37
	;; [unrolled: 1-line block ×3, first 2 shown]
	v_cvt_pk_f32_fp8_e32 v[38:39], v20
	v_cvt_pk_f32_fp8_sdwa v[40:41], v20 src0_sel:WORD_1
	v_cvt_pkrtz_f16_f32 v37, v18, v19
	v_mfma_f32_16x16x16_f16 v[26:29], v[34:35], v[30:31], v[26:29]
	v_cvt_pkrtz_f16_f32 v30, v38, v39
	v_cvt_pkrtz_f16_f32 v31, v40, v41
	v_cvt_pk_f32_fp8_e32 v[34:35], v21
	v_cvt_pk_f32_fp8_sdwa v[38:39], v21 src0_sel:WORD_1
	v_mfma_f32_16x16x16_f16 v[18:21], v[36:37], v[32:33], v[26:29]
	s_waitcnt vmcnt(1)
	v_cvt_pk_f32_fp8_sdwa v[32:33], v16 src0_sel:WORD_1
	s_nop 0
	v_cvt_pkrtz_f16_f32 v26, v34, v35
	v_cvt_pkrtz_f16_f32 v27, v38, v39
	v_mfma_f32_16x16x16_f16 v[18:21], v[30:31], v[42:43], v[18:21]
	v_cvt_pk_f32_fp8_e32 v[28:29], v14
	v_cvt_pk_f32_fp8_sdwa v[30:31], v14 src0_sel:WORD_1
	v_cvt_pkrtz_f16_f32 v28, v28, v29
	v_mfma_f32_16x16x16_f16 v[18:21], v[26:27], v[44:45], v[18:21]
	v_cvt_pk_f32_fp8_e32 v[26:27], v15
	v_cvt_pkrtz_f16_f32 v29, v30, v31
	v_cvt_pk_f32_fp8_sdwa v[14:15], v15 src0_sel:WORD_1
	v_cvt_pk_f32_fp8_e32 v[30:31], v16
	v_cvt_pkrtz_f16_f32 v26, v26, v27
	v_mfma_f32_16x16x16_f16 v[18:21], v[28:29], v[22:23], v[18:21]
	v_cvt_pkrtz_f16_f32 v27, v14, v15
	v_cvt_pkrtz_f16_f32 v22, v30, v31
	;; [unrolled: 1-line block ×3, first 2 shown]
	v_cvt_pk_f32_fp8_e32 v[28:29], v17
	v_cvt_pk_f32_fp8_sdwa v[30:31], v17 src0_sel:WORD_1
	v_mfma_f32_16x16x16_f16 v[14:17], v[26:27], v[24:25], v[18:21]
	s_waitcnt vmcnt(0)
	v_cvt_pk_f32_fp8_sdwa v[24:25], v6 src0_sel:WORD_1
	s_nop 0
	v_pk_mul_f32 v[18:19], v[4:5], s[4:5] op_sel_hi:[1,0]
	v_cvt_pkrtz_f16_f32 v4, v28, v29
	v_cvt_pkrtz_f16_f32 v5, v30, v31
	v_mfma_f32_16x16x16_f16 v[14:17], v[22:23], v[46:47], v[14:17]
	v_cvt_pk_f32_fp8_e32 v[22:23], v6
	v_pk_mul_f32 v[20:21], v[2:3], s[4:5] op_sel_hi:[1,0]
	v_mfma_f32_16x16x16_f16 v[2:5], v[4:5], v[48:49], v[14:17]
	s_nop 3
	v_cvt_pk_f32_fp8_e32 v[14:15], v7
	v_cvt_pkrtz_f16_f32 v16, v22, v23
	v_cvt_pkrtz_f16_f32 v17, v24, v25
	v_cvt_pk_f32_fp8_sdwa v[6:7], v7 src0_sel:WORD_1
	v_cvt_pkrtz_f16_f32 v14, v14, v15
	v_cvt_pk_f32_fp8_e32 v[22:23], v8
	v_cvt_pk_f32_fp8_sdwa v[24:25], v8 src0_sel:WORD_1
	v_cvt_pkrtz_f16_f32 v15, v6, v7
	v_mfma_f32_16x16x16_f16 v[2:5], v[16:17], v[10:11], v[2:5]
	v_cvt_pkrtz_f16_f32 v6, v22, v23
	v_cvt_pkrtz_f16_f32 v7, v24, v25
	v_cvt_pk_f32_fp8_e32 v[10:11], v9
	v_cvt_pk_f32_fp8_sdwa v[8:9], v9 src0_sel:WORD_1
	v_mfma_f32_16x16x16_f16 v[2:5], v[14:15], v[12:13], v[2:5]
	v_cvt_f16_f32_e32 v12, v20
	v_cvt_pkrtz_f16_f32 v10, v10, v11
	v_cvt_pkrtz_f16_f32 v11, v8, v9
	v_mfma_f32_16x16x16_f16 v[2:5], v[6:7], v[50:51], v[2:5]
	v_cvt_f16_f32_e32 v6, v21
	v_cvt_f16_f32_e32 v7, v18
	;; [unrolled: 1-line block ×3, first 2 shown]
	v_mfma_f32_16x16x16_f16 v[2:5], v[10:11], v[52:53], v[2:5]
	s_nop 6
	v_pk_mul_f32 v[4:5], v[4:5], s[4:5] op_sel_hi:[1,0]
	v_pk_mul_f32 v[2:3], v[2:3], s[4:5] op_sel_hi:[1,0]
	v_cvt_f16_f32_e32 v11, v4
	v_cvt_f16_f32_e32 v9, v2
	;; [unrolled: 1-line block ×4, first 2 shown]
	v_cmp_gt_u32_e64 s[4:5], 32, v62
	v_pack_b32_f16 v2, v12, v6
	v_pack_b32_f16 v3, v7, v8
	;; [unrolled: 1-line block ×4, first 2 shown]
	s_and_b64 s[4:5], vcc, s[4:5]
	ds_write2st64_b64 v55, v[2:3], v[4:5] offset1:1
	s_waitcnt lgkmcnt(0)
	s_barrier
	s_and_saveexec_b64 s[8:9], s[4:5]
	s_cbranch_execz .LBB1045_17
; %bb.16:
	s_load_dwordx2 s[0:1], s[0:1], 0x68
	s_mul_i32 s2, s7, s2
	s_lshl_b32 s6, s6, 7
	v_lshlrev_b32_e32 v4, 6, v60
	s_mul_hi_u32 s5, s2, s6
	s_mul_i32 s4, s2, s6
	v_lshl_or_b32 v0, v0, 10, v4
	s_lshl_b64 s[4:5], s[4:5], 1
	v_lshlrev_b32_e32 v2, 5, v1
	v_and_b32_e32 v3, 16, v61
	v_and_b32_e32 v0, 0x1a00, v0
	s_waitcnt lgkmcnt(0)
	s_add_u32 s4, s0, s4
	v_or3_b32 v0, v0, v2, v3
	s_addc_u32 s5, s1, s5
	s_lshl_b32 s2, s22, 7
	ds_read_b128 v[2:5], v0
	s_lshl_b64 s[0:1], s[2:3], 1
	s_add_u32 s0, s4, s0
	v_or_b32_e32 v0, s23, v1
	s_addc_u32 s1, s5, s1
	v_mad_u64_u32 v[0:1], s[2:3], s6, v0, 0
	v_lshl_add_u64 v[0:1], v[0:1], 1, s[0:1]
	v_mov_b32_e32 v55, 0
	v_lshl_add_u64 v[0:1], v[0:1], 0, v[54:55]
	s_waitcnt lgkmcnt(0)
	global_store_dwordx4 v[0:1], v[2:5], off
.LBB1045_17:
	s_endpgm
	.section	.rodata,"a",@progbits
	.p2align	6, 0x0
	.amdhsa_kernel _Z39paged_attention_ll4mi_QKV_mfma16_kernelIDF16_hLN4vllm18Fp8KVCacheDataTypeE1EhLi32ELi128ELi256ELb0ELi2EEvPKT_PKT0_S7_ifPKiS9_S9_iPKfiiiPfSC_PS2_PT2_iSB_SB_
		.amdhsa_group_segment_fixed_size 8192
		.amdhsa_private_segment_fixed_size 0
		.amdhsa_kernarg_size 400
		.amdhsa_user_sgpr_count 2
		.amdhsa_user_sgpr_dispatch_ptr 0
		.amdhsa_user_sgpr_queue_ptr 0
		.amdhsa_user_sgpr_kernarg_segment_ptr 1
		.amdhsa_user_sgpr_dispatch_id 0
		.amdhsa_user_sgpr_kernarg_preload_length 0
		.amdhsa_user_sgpr_kernarg_preload_offset 0
		.amdhsa_user_sgpr_private_segment_size 0
		.amdhsa_uses_dynamic_stack 0
		.amdhsa_enable_private_segment 0
		.amdhsa_system_sgpr_workgroup_id_x 1
		.amdhsa_system_sgpr_workgroup_id_y 1
		.amdhsa_system_sgpr_workgroup_id_z 1
		.amdhsa_system_sgpr_workgroup_info 0
		.amdhsa_system_vgpr_workitem_id 0
		.amdhsa_next_free_vgpr 80
		.amdhsa_next_free_sgpr 48
		.amdhsa_accum_offset 80
		.amdhsa_reserve_vcc 1
		.amdhsa_float_round_mode_32 0
		.amdhsa_float_round_mode_16_64 0
		.amdhsa_float_denorm_mode_32 3
		.amdhsa_float_denorm_mode_16_64 3
		.amdhsa_dx10_clamp 1
		.amdhsa_ieee_mode 1
		.amdhsa_fp16_overflow 0
		.amdhsa_tg_split 0
		.amdhsa_exception_fp_ieee_invalid_op 0
		.amdhsa_exception_fp_denorm_src 0
		.amdhsa_exception_fp_ieee_div_zero 0
		.amdhsa_exception_fp_ieee_overflow 0
		.amdhsa_exception_fp_ieee_underflow 0
		.amdhsa_exception_fp_ieee_inexact 0
		.amdhsa_exception_int_div_zero 0
	.end_amdhsa_kernel
	.section	.text._Z39paged_attention_ll4mi_QKV_mfma16_kernelIDF16_hLN4vllm18Fp8KVCacheDataTypeE1EhLi32ELi128ELi256ELb0ELi2EEvPKT_PKT0_S7_ifPKiS9_S9_iPKfiiiPfSC_PS2_PT2_iSB_SB_,"axG",@progbits,_Z39paged_attention_ll4mi_QKV_mfma16_kernelIDF16_hLN4vllm18Fp8KVCacheDataTypeE1EhLi32ELi128ELi256ELb0ELi2EEvPKT_PKT0_S7_ifPKiS9_S9_iPKfiiiPfSC_PS2_PT2_iSB_SB_,comdat
.Lfunc_end1045:
	.size	_Z39paged_attention_ll4mi_QKV_mfma16_kernelIDF16_hLN4vllm18Fp8KVCacheDataTypeE1EhLi32ELi128ELi256ELb0ELi2EEvPKT_PKT0_S7_ifPKiS9_S9_iPKfiiiPfSC_PS2_PT2_iSB_SB_, .Lfunc_end1045-_Z39paged_attention_ll4mi_QKV_mfma16_kernelIDF16_hLN4vllm18Fp8KVCacheDataTypeE1EhLi32ELi128ELi256ELb0ELi2EEvPKT_PKT0_S7_ifPKiS9_S9_iPKfiiiPfSC_PS2_PT2_iSB_SB_
                                        ; -- End function
	.section	.AMDGPU.csdata,"",@progbits
; Kernel info:
; codeLenInByte = 6008
; NumSgprs: 54
; NumVgprs: 80
; NumAgprs: 0
; TotalNumVgprs: 80
; ScratchSize: 0
; MemoryBound: 0
; FloatMode: 240
; IeeeMode: 1
; LDSByteSize: 8192 bytes/workgroup (compile time only)
; SGPRBlocks: 6
; VGPRBlocks: 9
; NumSGPRsForWavesPerEU: 54
; NumVGPRsForWavesPerEU: 80
; AccumOffset: 80
; Occupancy: 6
; WaveLimiterHint : 1
; COMPUTE_PGM_RSRC2:SCRATCH_EN: 0
; COMPUTE_PGM_RSRC2:USER_SGPR: 2
; COMPUTE_PGM_RSRC2:TRAP_HANDLER: 0
; COMPUTE_PGM_RSRC2:TGID_X_EN: 1
; COMPUTE_PGM_RSRC2:TGID_Y_EN: 1
; COMPUTE_PGM_RSRC2:TGID_Z_EN: 1
; COMPUTE_PGM_RSRC2:TIDIG_COMP_CNT: 0
; COMPUTE_PGM_RSRC3_GFX90A:ACCUM_OFFSET: 19
; COMPUTE_PGM_RSRC3_GFX90A:TG_SPLIT: 0
	.section	.text._Z39paged_attention_ll4mi_QKV_mfma16_kernelIDF16_hLN4vllm18Fp8KVCacheDataTypeE1EhLi32ELi128ELi256ELb0ELi3EEvPKT_PKT0_S7_ifPKiS9_S9_iPKfiiiPfSC_PS2_PT2_iSB_SB_,"axG",@progbits,_Z39paged_attention_ll4mi_QKV_mfma16_kernelIDF16_hLN4vllm18Fp8KVCacheDataTypeE1EhLi32ELi128ELi256ELb0ELi3EEvPKT_PKT0_S7_ifPKiS9_S9_iPKfiiiPfSC_PS2_PT2_iSB_SB_,comdat
	.protected	_Z39paged_attention_ll4mi_QKV_mfma16_kernelIDF16_hLN4vllm18Fp8KVCacheDataTypeE1EhLi32ELi128ELi256ELb0ELi3EEvPKT_PKT0_S7_ifPKiS9_S9_iPKfiiiPfSC_PS2_PT2_iSB_SB_ ; -- Begin function _Z39paged_attention_ll4mi_QKV_mfma16_kernelIDF16_hLN4vllm18Fp8KVCacheDataTypeE1EhLi32ELi128ELi256ELb0ELi3EEvPKT_PKT0_S7_ifPKiS9_S9_iPKfiiiPfSC_PS2_PT2_iSB_SB_
	.globl	_Z39paged_attention_ll4mi_QKV_mfma16_kernelIDF16_hLN4vllm18Fp8KVCacheDataTypeE1EhLi32ELi128ELi256ELb0ELi3EEvPKT_PKT0_S7_ifPKiS9_S9_iPKfiiiPfSC_PS2_PT2_iSB_SB_
	.p2align	8
	.type	_Z39paged_attention_ll4mi_QKV_mfma16_kernelIDF16_hLN4vllm18Fp8KVCacheDataTypeE1EhLi32ELi128ELi256ELb0ELi3EEvPKT_PKT0_S7_ifPKiS9_S9_iPKfiiiPfSC_PS2_PT2_iSB_SB_,@function
_Z39paged_attention_ll4mi_QKV_mfma16_kernelIDF16_hLN4vllm18Fp8KVCacheDataTypeE1EhLi32ELi128ELi256ELb0ELi3EEvPKT_PKT0_S7_ifPKiS9_S9_iPKfiiiPfSC_PS2_PT2_iSB_SB_: ; @_Z39paged_attention_ll4mi_QKV_mfma16_kernelIDF16_hLN4vllm18Fp8KVCacheDataTypeE1EhLi32ELi128ELi256ELb0ELi3EEvPKT_PKT0_S7_ifPKiS9_S9_iPKfiiiPfSC_PS2_PT2_iSB_SB_
; %bb.0:
	s_load_dwordx2 s[12:13], s[0:1], 0x30
	s_mov_b32 s22, s3
	s_mov_b64 s[6:7], 0
	s_waitcnt lgkmcnt(0)
	s_cmp_lg_u64 s[12:13], 0
	s_cselect_b64 s[14:15], -1, 0
	s_and_b64 vcc, exec, s[14:15]
	s_cbranch_vccz .LBB1046_7
; %bb.1:
	s_add_i32 s8, s2, 1
	s_mov_b32 s9, 0
	s_lshl_b64 s[10:11], s[8:9], 2
	s_add_u32 s10, s12, s10
	s_mov_b32 s3, s9
	s_addc_u32 s11, s13, s11
	s_lshl_b64 s[8:9], s[2:3], 2
	s_add_u32 s8, s12, s8
	s_addc_u32 s9, s13, s9
	s_load_dword s5, s[10:11], 0x0
	s_load_dword s16, s[8:9], 0x0
	s_waitcnt lgkmcnt(0)
	s_sub_i32 s5, s5, s16
	s_cmp_eq_u32 s5, 1
	s_cselect_b64 s[8:9], -1, 0
	s_andn2_b64 vcc, exec, s[6:7]
	s_cbranch_vccnz .LBB1046_3
.LBB1046_2:
	s_mov_b32 s3, 0
	s_mov_b64 s[8:9], -1
.LBB1046_3:
	s_andn2_b64 vcc, exec, s[8:9]
	s_cbranch_vccnz .LBB1046_17
; %bb.4:
	s_load_dwordx2 s[6:7], s[0:1], 0x28
	s_lshl_b64 s[16:17], s[2:3], 2
	s_waitcnt lgkmcnt(0)
	s_add_u32 s6, s6, s16
	s_addc_u32 s7, s7, s17
	s_load_dword s5, s[6:7], 0x0
	s_lshl_b32 s18, s22, 8
	s_waitcnt lgkmcnt(0)
	s_cmp_ge_i32 s18, s5
	s_cbranch_scc1 .LBB1046_17
; %bb.5:
	s_load_dwordx2 s[6:7], s[0:1], 0x20
	s_load_dword s8, s[0:1], 0x38
	s_add_i32 s9, s5, 31
	s_ashr_i32 s10, s9, 31
	v_and_b32_e32 v1, 0xcf, v0
	s_lshr_b32 s10, s10, 27
	v_add_u32_e32 v1, s18, v1
	s_add_i32 s9, s9, s10
	v_ashrrev_i32_e32 v2, 31, v1
	s_ashr_i32 s19, s9, 5
	v_lshrrev_b32_e32 v6, 27, v2
	s_add_i32 s19, s19, -1
	s_waitcnt lgkmcnt(0)
	s_mul_i32 s8, s2, s8
	s_mov_b32 s9, 0
	v_add_u32_e32 v2, v1, v6
	s_lshl_b64 s[8:9], s[8:9], 2
	v_ashrrev_i32_e32 v2, 5, v2
	v_mov_b32_e32 v7, s19
	v_cmp_gt_i32_e32 vcc, s5, v1
	s_add_u32 s6, s6, s8
	s_addc_u32 s7, s7, s9
	v_cndmask_b32_e32 v2, v7, v2, vcc
	v_ashrrev_i32_e32 v3, 31, v2
	v_lshl_add_u64 v[4:5], v[2:3], 2, s[6:7]
	v_or_b32_e32 v2, 16, v1
	v_add_u32_e32 v3, v2, v6
	v_ashrrev_i32_e32 v3, 5, v3
	v_cmp_gt_i32_e32 vcc, s5, v2
	s_load_dwordx4 s[8:11], s[0:1], 0x8
	s_nop 0
	v_cndmask_b32_e32 v2, v7, v3, vcc
	v_ashrrev_i32_e32 v3, 31, v2
	v_lshl_add_u64 v[10:11], v[2:3], 2, s[6:7]
	v_or_b32_e32 v2, 32, v1
	v_add_u32_e32 v3, v2, v6
	v_ashrrev_i32_e32 v3, 5, v3
	v_cmp_gt_i32_e32 vcc, s5, v2
	v_or_b32_e32 v1, 48, v1
	s_nop 0
	v_cndmask_b32_e32 v2, v7, v3, vcc
	v_ashrrev_i32_e32 v3, 31, v2
	v_lshl_add_u64 v[12:13], v[2:3], 2, s[6:7]
	v_add_u32_e32 v2, v1, v6
	v_ashrrev_i32_e32 v2, 5, v2
	v_cmp_gt_i32_e32 vcc, s5, v1
	s_nop 1
	v_cndmask_b32_e32 v2, v7, v2, vcc
	v_ashrrev_i32_e32 v3, 31, v2
	v_lshl_add_u64 v[14:15], v[2:3], 2, s[6:7]
	global_load_dword v2, v[4:5], off
	global_load_dword v8, v[10:11], off
	;; [unrolled: 1-line block ×4, first 2 shown]
	s_andn2_b64 vcc, exec, s[14:15]
	s_cbranch_vccnz .LBB1046_8
; %bb.6:
	s_add_u32 s12, s12, s16
	s_addc_u32 s13, s13, s17
	s_load_dword s14, s[12:13], 0x0
	s_branch .LBB1046_9
.LBB1046_7:
	s_mov_b64 s[8:9], 0
	s_branch .LBB1046_2
.LBB1046_8:
	s_mov_b32 s14, s2
.LBB1046_9:
	s_load_dwordx4 s[44:47], s[0:1], 0x48
	v_lshrrev_b32_e32 v57, 6, v0
	v_bfe_u32 v60, v0, 4, 2
	v_and_b32_e32 v56, 15, v0
	s_mul_i32 s48, s4, 3
	v_lshl_or_b32 v3, v57, 2, v60
	v_lshlrev_b32_e32 v4, 3, v56
	v_and_b32_e32 v62, 63, v0
	v_add_u32_e32 v1, s48, v60
	v_cmp_gt_u32_e32 vcc, 3, v3
	v_lshlrev_b32_e32 v54, 1, v4
	v_lshlrev_b32_e32 v61, 4, v0
	s_and_saveexec_b64 s[12:13], vcc
	s_cbranch_execz .LBB1046_11
; %bb.10:
	s_load_dwordx2 s[16:17], s[0:1], 0x0
	s_waitcnt lgkmcnt(0)
	s_ashr_i32 s15, s44, 31
	s_mul_hi_u32 s20, s14, s44
	s_mul_i32 s15, s14, s15
	s_add_i32 s15, s20, s15
	s_mul_i32 s14, s14, s44
	s_lshl_b64 s[14:15], s[14:15], 1
	s_add_u32 s14, s16, s14
	v_lshlrev_b32_e32 v4, 7, v1
	s_addc_u32 s15, s17, s15
	v_ashrrev_i32_e32 v5, 31, v4
	v_lshl_add_u64 v[4:5], v[4:5], 1, s[14:15]
	v_mov_b32_e32 v55, 0
	v_lshl_add_u64 v[4:5], v[4:5], 0, v[54:55]
	global_load_dwordx4 v[10:13], v[4:5], off
	v_lshlrev_b32_e32 v5, 8, v0
	v_lshlrev_b32_e32 v4, 8, v56
	v_and_b32_e32 v5, 0x600, v5
	s_movk_i32 s14, 0x800
	v_and_or_b32 v4, v4, s14, v5
	v_lshlrev_b32_e32 v3, 5, v3
	v_and_b32_e32 v5, 16, v61
	v_or3_b32 v3, v4, v3, v5
	s_waitcnt vmcnt(0)
	ds_write_b128 v3, v[10:13]
.LBB1046_11:
	s_or_b64 exec, exec, s[12:13]
	s_waitcnt lgkmcnt(0)
	s_mul_i32 s12, s4, s46
	s_add_u32 s8, s8, s12
	s_addc_u32 s9, s9, 0
	v_mov_b32_e32 v59, 0
	v_mov_b64_e32 v[4:5], s[8:9]
	v_and_b32_e32 v9, 48, v0
	s_waitcnt vmcnt(3)
	v_mad_i64_i32 v[10:11], s[8:9], v2, s45, v[4:5]
	v_lshlrev_b32_e32 v2, 4, v56
	v_mov_b32_e32 v3, v59
	v_lshlrev_b32_e32 v58, 5, v9
	v_lshl_add_u64 v[10:11], v[10:11], 0, v[2:3]
	v_lshl_add_u64 v[14:15], v[10:11], 0, v[58:59]
	s_load_dword s23, s[0:1], 0x98
	s_load_dwordx4 s[40:43], s[0:1], 0x80
	s_waitcnt lgkmcnt(0)
	s_barrier
	global_load_dwordx4 v[10:13], v[14:15], off
	global_load_dwordx4 v[30:33], v[14:15], off offset:2048
	v_mul_lo_u16_e32 v16, 0x56, v56
	v_mov_b32_e32 v17, 3
	v_mul_lo_u16_sdwa v14, v16, v17 dst_sel:DWORD dst_unused:UNUSED_PAD src0_sel:BYTE_1 src1_sel:DWORD
	v_mov_b32_e32 v20, 5
	v_or_b32_e32 v25, s18, v9
	v_sub_u16_e32 v9, v56, v14
	s_ashr_i32 s8, s18, 31
	v_lshlrev_b32_sdwa v9, v20, v9 dst_sel:DWORD dst_unused:UNUSED_PAD src0_sel:DWORD src1_sel:BYTE_0
	v_or_b32_e32 v18, 0x100, v2
	v_mov_b32_e32 v19, v59
	s_lshr_b32 s13, s8, 27
	v_lshl_add_u32 v41, v60, 9, v9
	s_waitcnt vmcnt(4)
	v_mad_i64_i32 v[8:9], s[8:9], v8, s45, v[4:5]
	s_waitcnt vmcnt(3)
	v_mad_i64_i32 v[20:21], s[8:9], v6, s45, v[4:5]
	;; [unrolled: 2-line block ×3, first 2 shown]
	v_lshl_add_u64 v[6:7], v[8:9], 0, v[18:19]
	v_lshl_add_u64 v[22:23], v[6:7], 0, v[58:59]
	global_load_dwordx4 v[46:49], v[22:23], off
	v_or_b32_e32 v38, 64, v25
	v_or_b32_e32 v39, 0x80, v25
	;; [unrolled: 1-line block ×3, first 2 shown]
	v_add_u32_e32 v42, s13, v25
	v_add_u32_e32 v43, s13, v38
	;; [unrolled: 1-line block ×4, first 2 shown]
	ds_read_b128 v[34:37], v41
	ds_read_b128 v[26:29], v41 offset:16
	ds_read_b128 v[14:17], v41 offset:2048
	;; [unrolled: 1-line block ×3, first 2 shown]
	v_lshl_add_u64 v[2:3], v[20:21], 0, v[2:3]
	v_ashrrev_i32_e32 v20, 5, v42
	v_ashrrev_i32_e32 v21, 5, v43
	;; [unrolled: 1-line block ×4, first 2 shown]
	global_load_dwordx4 v[42:45], v[22:23], off offset:2048
	v_mov_b32_e32 v24, s19
	v_cmp_gt_i32_e32 vcc, s5, v25
	v_lshl_add_u64 v[4:5], v[4:5], 0, v[18:19]
	v_lshl_add_u64 v[2:3], v[2:3], 0, v[58:59]
	v_cndmask_b32_e32 v50, v24, v20, vcc
	v_cmp_gt_i32_e32 vcc, s5, v38
	v_lshl_add_u64 v[18:19], v[4:5], 0, v[58:59]
	v_and_b32_e32 v58, 16, v0
	v_cndmask_b32_e32 v52, v24, v21, vcc
	v_cmp_gt_i32_e32 vcc, s5, v39
	v_ashrrev_i32_e32 v53, 31, v52
	v_lshl_add_u64 v[52:53], v[52:53], 2, s[6:7]
	v_cndmask_b32_e32 v64, v24, v41, vcc
	v_cmp_gt_i32_e32 vcc, s5, v40
	v_ashrrev_i32_e32 v65, 31, v64
	v_lshl_add_u64 v[68:69], v[64:65], 2, s[6:7]
	v_cndmask_b32_e32 v66, v24, v51, vcc
	global_load_dwordx4 v[22:25], v[2:3], off
	s_nop 0
	global_load_dwordx4 v[2:5], v[2:3], off offset:2048
	s_nop 0
	global_load_dwordx4 v[38:41], v[18:19], off
	s_nop 0
	global_load_dwordx4 v[18:21], v[18:19], off offset:2048
	v_ashrrev_i32_e32 v67, 31, v66
	v_lshl_add_u64 v[70:71], v[66:67], 2, s[6:7]
	v_ashrrev_i32_e32 v51, 31, v50
	v_lshl_add_u64 v[50:51], v[50:51], 2, s[6:7]
	s_add_u32 s6, s10, s12
	s_addc_u32 s7, s11, 0
	v_lshl_or_b32 v55, v57, 4, v56
	s_load_dword s4, s[0:1], 0x1c
	s_mov_b32 s33, 0xff7fffff
	s_waitcnt vmcnt(7)
	v_cvt_pk_f32_fp8_e32 v[64:65], v10
	v_cvt_pk_f32_fp8_sdwa v[66:67], v10 src0_sel:WORD_1
	v_cvt_pk_f32_fp8_e32 v[72:73], v11
	v_cvt_pk_f32_fp8_sdwa v[10:11], v11 src0_sel:WORD_1
	v_cvt_pkrtz_f16_f32 v74, v64, v65
	v_cvt_pkrtz_f16_f32 v75, v66, v67
	global_load_dword v66, v[50:51], off
	global_load_dword v65, v[52:53], off
	;; [unrolled: 1-line block ×4, first 2 shown]
	v_cvt_pk_f32_fp8_e32 v[68:69], v12
	v_cvt_pkrtz_f16_f32 v70, v72, v73
	v_cvt_pkrtz_f16_f32 v71, v10, v11
	v_cvt_pk_f32_fp8_sdwa v[10:11], v12 src0_sel:WORD_1
	s_waitcnt lgkmcnt(0)
	v_mfma_f32_16x16x16_f16 v[50:53], v[74:75], v[34:35], 0
	v_cvt_pk_f32_fp8_e32 v[72:73], v13
	v_cvt_pkrtz_f16_f32 v68, v68, v69
	v_cvt_pkrtz_f16_f32 v69, v10, v11
	v_cvt_pk_f32_fp8_sdwa v[10:11], v13 src0_sel:WORD_1
	v_mfma_f32_16x16x16_f16 v[50:53], v[70:71], v[36:37], v[50:53]
	v_cvt_pkrtz_f16_f32 v70, v72, v73
	s_waitcnt vmcnt(10)
	v_cvt_pk_f32_fp8_e32 v[72:73], v30
	v_cvt_pk_f32_fp8_sdwa v[74:75], v30 src0_sel:WORD_1
	v_cvt_pkrtz_f16_f32 v71, v10, v11
	v_mfma_f32_16x16x16_f16 v[10:13], v[68:69], v[26:27], v[50:53]
	s_waitcnt vmcnt(9)
	v_cvt_pk_f32_fp8_sdwa v[68:69], v46 src0_sel:WORD_1
	v_mov_b32_e32 v67, s4
	s_waitcnt vmcnt(6)
	v_cvt_pk_f32_fp8_sdwa v[80:81], v5 src0_sel:WORD_1
	v_cvt_pkrtz_f16_f32 v50, v72, v73
	v_cvt_pkrtz_f16_f32 v51, v74, v75
	v_cvt_pk_f32_fp8_e32 v[52:53], v31
	v_cvt_pk_f32_fp8_sdwa v[30:31], v31 src0_sel:WORD_1
	v_mfma_f32_16x16x16_f16 v[10:13], v[70:71], v[28:29], v[10:13]
	v_cvt_pk_f32_fp8_sdwa v[70:71], v42 src0_sel:WORD_1
	v_cvt_pkrtz_f16_f32 v52, v52, v53
	v_cvt_pkrtz_f16_f32 v53, v30, v31
	v_mfma_f32_16x16x16_f16 v[10:13], v[50:51], v[14:15], v[10:13]
	v_cvt_pk_f32_fp8_e32 v[30:31], v32
	v_cvt_pk_f32_fp8_sdwa v[50:51], v32 src0_sel:WORD_1
	v_cvt_pk_f32_fp8_e32 v[74:75], v3
	v_mfma_f32_16x16x16_f16 v[10:13], v[52:53], v[16:17], v[10:13]
	v_cvt_pk_f32_fp8_e32 v[52:53], v33
	v_cvt_pkrtz_f16_f32 v30, v30, v31
	v_cvt_pkrtz_f16_f32 v31, v50, v51
	v_cvt_pk_f32_fp8_sdwa v[32:33], v33 src0_sel:WORD_1
	v_cvt_pkrtz_f16_f32 v50, v52, v53
	v_cvt_pk_f32_fp8_e32 v[52:53], v46
	v_mfma_f32_16x16x16_f16 v[10:13], v[30:31], v[6:7], v[10:13]
	v_cvt_pkrtz_f16_f32 v51, v32, v33
	v_cvt_pkrtz_f16_f32 v30, v52, v53
	;; [unrolled: 1-line block ×3, first 2 shown]
	v_cvt_pk_f32_fp8_e32 v[32:33], v47
	v_cvt_pk_f32_fp8_sdwa v[46:47], v47 src0_sel:WORD_1
	v_mfma_f32_16x16x16_f16 v[50:53], v[50:51], v[8:9], v[10:13]
	v_cvt_pk_f32_fp8_sdwa v[68:69], v48 src0_sel:WORD_1
	v_cvt_pkrtz_f16_f32 v32, v32, v33
	v_cvt_pkrtz_f16_f32 v33, v46, v47
	v_mfma_f32_16x16x16_f16 v[10:13], v[30:31], v[34:35], 0
	v_cvt_pk_f32_fp8_e32 v[30:31], v48
	v_lshl_add_u64 v[46:47], s[6:7], 0, v[58:59]
	v_lshlrev_b32_e32 v58, 5, v55
	v_mfma_f32_16x16x16_f16 v[10:13], v[32:33], v[36:37], v[10:13]
	v_cvt_pk_f32_fp8_e32 v[32:33], v49
	v_cvt_pkrtz_f16_f32 v30, v30, v31
	v_cvt_pkrtz_f16_f32 v31, v68, v69
	v_cvt_pk_f32_fp8_sdwa v[48:49], v49 src0_sel:WORD_1
	v_cvt_pkrtz_f16_f32 v32, v32, v33
	v_cvt_pk_f32_fp8_e32 v[68:69], v42
	v_mfma_f32_16x16x16_f16 v[10:13], v[30:31], v[26:27], v[10:13]
	v_cvt_pkrtz_f16_f32 v33, v48, v49
	v_cvt_pkrtz_f16_f32 v30, v68, v69
	;; [unrolled: 1-line block ×3, first 2 shown]
	v_cvt_pk_f32_fp8_e32 v[48:49], v43
	v_cvt_pk_f32_fp8_sdwa v[42:43], v43 src0_sel:WORD_1
	v_mfma_f32_16x16x16_f16 v[10:13], v[32:33], v[28:29], v[10:13]
	v_lshl_add_u64 v[68:69], v[46:47], 0, v[58:59]
	v_cvt_pkrtz_f16_f32 v32, v48, v49
	v_cvt_pkrtz_f16_f32 v33, v42, v43
	v_mfma_f32_16x16x16_f16 v[10:13], v[30:31], v[14:15], v[10:13]
	v_cvt_pk_f32_fp8_e32 v[30:31], v44
	v_cvt_pk_f32_fp8_sdwa v[42:43], v44 src0_sel:WORD_1
	v_cvt_pk_f32_fp8_sdwa v[48:49], v22 src0_sel:WORD_1
	v_mfma_f32_16x16x16_f16 v[10:13], v[32:33], v[16:17], v[10:13]
	v_cvt_pkrtz_f16_f32 v30, v30, v31
	v_cvt_pkrtz_f16_f32 v31, v42, v43
	v_cvt_pk_f32_fp8_e32 v[32:33], v45
	v_cvt_pk_f32_fp8_sdwa v[42:43], v45 src0_sel:WORD_1
	v_cvt_pk_f32_fp8_e32 v[44:45], v22
	v_mfma_f32_16x16x16_f16 v[10:13], v[30:31], v[6:7], v[10:13]
	v_cvt_pkrtz_f16_f32 v32, v32, v33
	v_cvt_pkrtz_f16_f32 v33, v42, v43
	;; [unrolled: 1-line block ×4, first 2 shown]
	v_cvt_pk_f32_fp8_e32 v[48:49], v23
	v_cvt_pk_f32_fp8_sdwa v[22:23], v23 src0_sel:WORD_1
	v_mfma_f32_16x16x16_f16 v[42:45], v[32:33], v[8:9], v[10:13]
	s_waitcnt vmcnt(2)
	v_mad_i64_i32 v[70:71], s[6:7], v65, s45, v[68:69]
	v_cvt_pkrtz_f16_f32 v32, v48, v49
	v_cvt_pkrtz_f16_f32 v33, v22, v23
	v_mfma_f32_16x16x16_f16 v[10:13], v[30:31], v[34:35], 0
	v_cvt_pk_f32_fp8_e32 v[22:23], v24
	v_cvt_pk_f32_fp8_sdwa v[30:31], v24 src0_sel:WORD_1
	v_mad_i64_i32 v[48:49], s[6:7], v66, s45, v[68:69]
	v_cvt_pkrtz_f16_f32 v22, v22, v23
	v_cvt_pkrtz_f16_f32 v23, v30, v31
	v_cvt_pk_f32_fp8_e32 v[30:31], v25
	v_cvt_pk_f32_fp8_sdwa v[24:25], v25 src0_sel:WORD_1
	v_mfma_f32_16x16x16_f16 v[10:13], v[32:33], v[36:37], v[10:13]
	s_waitcnt vmcnt(0)
	v_mad_i64_i32 v[76:77], s[6:7], v64, s45, v[68:69]
	v_cvt_pkrtz_f16_f32 v72, v30, v31
	v_cvt_pkrtz_f16_f32 v73, v24, v25
	v_mfma_f32_16x16x16_f16 v[10:13], v[22:23], v[26:27], v[10:13]
	global_load_dwordx4 v[30:33], v[48:49], off
	global_load_dwordx4 v[22:25], v[70:71], off
	v_cvt_pk_f32_fp8_e32 v[70:71], v2
	v_mad_i64_i32 v[48:49], s[6:7], v63, s45, v[68:69]
	v_mfma_f32_16x16x16_f16 v[10:13], v[72:73], v[28:29], v[10:13]
	v_cvt_pk_f32_fp8_sdwa v[72:73], v2 src0_sel:WORD_1
	v_cvt_pk_f32_fp8_sdwa v[2:3], v3 src0_sel:WORD_1
	v_cvt_pkrtz_f16_f32 v70, v70, v71
	v_or_b32_e32 v58, 0x800, v58
	v_cvt_pkrtz_f16_f32 v71, v72, v73
	v_cvt_pkrtz_f16_f32 v72, v74, v75
	;; [unrolled: 1-line block ×3, first 2 shown]
	v_cvt_pk_f32_fp8_e32 v[2:3], v4
	v_cvt_pk_f32_fp8_sdwa v[74:75], v4 src0_sel:WORD_1
	v_mfma_f32_16x16x16_f16 v[68:71], v[70:71], v[14:15], v[10:13]
	v_lshl_add_u64 v[46:47], v[46:47], 0, v[58:59]
	v_cvt_pkrtz_f16_f32 v78, v2, v3
	v_cvt_pkrtz_f16_f32 v79, v74, v75
	v_cvt_pk_f32_fp8_e32 v[74:75], v5
	v_mfma_f32_16x16x16_f16 v[68:71], v[72:73], v[16:17], v[68:71]
	global_load_dwordx4 v[10:13], v[48:49], off
	global_load_dwordx4 v[2:5], v[76:77], off
	v_cvt_pkrtz_f16_f32 v49, v80, v81
	v_cvt_pkrtz_f16_f32 v48, v74, v75
	v_mfma_f32_16x16x16_f16 v[68:71], v[78:79], v[6:7], v[68:71]
	v_cvt_pk_f32_fp8_e32 v[58:59], v38
	v_cvt_pk_f32_fp8_sdwa v[72:73], v38 src0_sel:WORD_1
	v_cvt_pk_f32_fp8_e32 v[76:77], v40
	v_mfma_f32_16x16x16_f16 v[68:71], v[48:49], v[8:9], v[68:71]
	v_cvt_pk_f32_fp8_e32 v[48:49], v39
	v_cvt_pkrtz_f16_f32 v58, v58, v59
	v_cvt_pkrtz_f16_f32 v59, v72, v73
	v_cvt_pk_f32_fp8_sdwa v[38:39], v39 src0_sel:WORD_1
	v_cvt_pkrtz_f16_f32 v48, v48, v49
	v_cvt_pk_f32_fp8_sdwa v[78:79], v40 src0_sel:WORD_1
	v_mfma_f32_16x16x16_f16 v[72:75], v[58:59], v[34:35], 0
	v_cvt_pkrtz_f16_f32 v49, v38, v39
	v_cvt_pkrtz_f16_f32 v38, v76, v77
	v_cvt_pkrtz_f16_f32 v39, v78, v79
	v_cvt_pk_f32_fp8_e32 v[58:59], v41
	v_cvt_pk_f32_fp8_sdwa v[40:41], v41 src0_sel:WORD_1
	v_mfma_f32_16x16x16_f16 v[34:37], v[48:49], v[36:37], v[72:75]
	s_load_dword s6, s[40:41], 0x0
	v_cvt_pkrtz_f16_f32 v48, v58, v59
	v_cvt_pkrtz_f16_f32 v49, v40, v41
	v_mfma_f32_16x16x16_f16 v[72:75], v[38:39], v[26:27], v[34:37]
	s_waitcnt lgkmcnt(0)
	v_mul_f32_e32 v40, s6, v67
	v_pk_mul_f32 v[38:39], v[40:41], v[52:53] op_sel_hi:[0,1]
	v_mfma_f32_16x16x16_f16 v[26:29], v[48:49], v[28:29], v[72:75]
	v_cvt_pk_f32_fp8_e32 v[34:35], v18
	v_cvt_pk_f32_fp8_sdwa v[48:49], v18 src0_sel:WORD_1
	v_pk_mul_f32 v[36:37], v[40:41], v[50:51] op_sel_hi:[0,1]
	v_cvt_pk_f32_fp8_e32 v[50:51], v19
	v_cvt_pk_f32_fp8_sdwa v[18:19], v19 src0_sel:WORD_1
	v_cvt_pkrtz_f16_f32 v34, v34, v35
	v_cvt_pkrtz_f16_f32 v35, v48, v49
	;; [unrolled: 1-line block ×4, first 2 shown]
	v_cvt_pk_f32_fp8_e32 v[18:19], v20
	v_cvt_pk_f32_fp8_sdwa v[50:51], v20 src0_sel:WORD_1
	v_mfma_f32_16x16x16_f16 v[26:29], v[34:35], v[14:15], v[26:29]
	v_cvt_pk_f32_fp8_e32 v[34:35], v21
	v_cvt_pkrtz_f16_f32 v18, v18, v19
	v_cvt_pkrtz_f16_f32 v19, v50, v51
	v_cvt_pk_f32_fp8_sdwa v[20:21], v21 src0_sel:WORD_1
	v_mfma_f32_16x16x16_f16 v[14:17], v[48:49], v[16:17], v[26:29]
	v_pk_mul_f32 v[48:49], v[40:41], v[44:45] op_sel_hi:[0,1]
	v_pk_mul_f32 v[50:51], v[40:41], v[42:43] op_sel_hi:[0,1]
	;; [unrolled: 1-line block ×3, first 2 shown]
	v_cvt_pkrtz_f16_f32 v26, v34, v35
	v_cvt_pkrtz_f16_f32 v27, v20, v21
	v_mfma_f32_16x16x16_f16 v[14:17], v[18:19], v[6:7], v[14:17]
	v_pk_mul_f32 v[42:43], v[40:41], v[68:69] op_sel_hi:[0,1]
	v_mad_i64_i32 v[52:53], s[6:7], v66, s45, v[46:47]
	v_mfma_f32_16x16x16_f16 v[6:9], v[26:27], v[8:9], v[14:17]
	s_nop 6
	v_pk_mul_f32 v[34:35], v[40:41], v[8:9] op_sel_hi:[0,1]
	v_pk_mul_f32 v[40:41], v[40:41], v[6:7] op_sel_hi:[0,1]
	v_and_b32_e32 v6, 0xc0, v0
	v_add_u32_e32 v6, s18, v6
	v_lshl_or_b32 v6, v60, 2, v6
	v_or_b32_e32 v9, 1, v6
	v_mov_b32_e32 v7, 0xff7fffff
	v_cmp_gt_i32_e64 s[24:25], s5, v6
	v_cmp_gt_i32_e64 s[26:27], s5, v9
	v_or_b32_e32 v14, 3, v6
	v_cndmask_b32_e64 v8, v7, v36, s[24:25]
	v_cndmask_b32_e64 v9, v7, v37, s[26:27]
	v_max3_f32 v8, v8, s33, v9
	v_or_b32_e32 v9, 2, v6
	v_cmp_gt_i32_e64 s[28:29], s5, v9
	v_cmp_gt_i32_e64 s[30:31], s5, v14
	s_nop 0
	v_cndmask_b32_e64 v9, v7, v38, s[28:29]
	v_cndmask_b32_e64 v14, v7, v39, s[30:31]
	v_max3_f32 v8, v8, v9, v14
	v_or_b32_e32 v9, 16, v6
	v_or_b32_e32 v14, 17, v6
	v_cmp_gt_i32_e64 s[34:35], s5, v9
	v_cmp_gt_i32_e64 s[36:37], s5, v14
	s_nop 0
	v_cndmask_b32_e64 v9, v7, v50, s[34:35]
	v_cndmask_b32_e64 v14, v7, v51, s[36:37]
	v_max3_f32 v8, v8, v9, v14
	v_or_b32_e32 v9, 18, v6
	;; [unrolled: 8-line block ×6, first 2 shown]
	v_or_b32_e32 v6, 51, v6
	v_cmp_gt_i32_e32 vcc, s5, v9
	v_cmp_gt_i32_e64 s[4:5], s5, v6
	s_nop 0
	v_cndmask_b32_e32 v9, v7, v34, vcc
	v_cndmask_b32_e64 v6, v7, v35, s[4:5]
	v_max3_f32 v8, v8, v9, v6
	v_mbcnt_lo_u32_b32 v6, -1, 0
	v_mbcnt_hi_u32_b32 v9, -1, v6
	v_and_b32_e32 v6, 64, v9
	v_add_u32_e32 v14, 64, v6
	v_xor_b32_e32 v6, 32, v9
	v_cmp_lt_i32_e64 s[38:39], v6, v14
	s_nop 1
	v_cndmask_b32_e64 v6, v9, v6, s[38:39]
	v_lshlrev_b32_e32 v58, 2, v6
	ds_bpermute_b32 v15, v58, v8
	v_mad_i64_i32 v[6:7], s[38:39], v65, s45, v[46:47]
	global_load_dwordx4 v[26:29], v[52:53], off
	global_load_dwordx4 v[18:21], v[6:7], off
	s_waitcnt lgkmcnt(0)
	v_max_f32_e32 v6, v15, v15
	v_max_f32_e32 v15, v8, v6
	v_xor_b32_e32 v6, 16, v9
	v_cmp_lt_i32_e64 s[38:39], v6, v14
	s_nop 1
	v_cndmask_b32_e64 v6, v9, v6, s[38:39]
	v_lshlrev_b32_e32 v53, 2, v6
	ds_bpermute_b32 v14, v53, v15
	v_mad_i64_i32 v[6:7], s[38:39], v63, s45, v[46:47]
	v_mad_i64_i32 v[8:9], s[38:39], v64, s45, v[46:47]
	s_waitcnt lgkmcnt(0)
	v_max_f32_e32 v14, v14, v14
	v_max_f32_e32 v52, v15, v14
	v_sub_f32_e32 v14, v36, v52
	v_mul_f32_e32 v14, 0x3fb8aa3b, v14
	v_exp_f32_e32 v36, v14
	v_sub_f32_e32 v14, v37, v52
	v_mul_f32_e32 v14, 0x3fb8aa3b, v14
	v_exp_f32_e32 v37, v14
	global_load_dwordx4 v[14:17], v[6:7], off
	s_nop 0
	global_load_dwordx4 v[6:9], v[8:9], off
	v_sub_f32_e32 v38, v38, v52
	v_mul_f32_e32 v38, 0x3fb8aa3b, v38
	v_sub_f32_e32 v39, v39, v52
	v_exp_f32_e32 v38, v38
	v_mul_f32_e32 v39, 0x3fb8aa3b, v39
	v_exp_f32_e32 v39, v39
	v_cndmask_b32_e64 v36, 0, v36, s[24:25]
	v_add_f32_e32 v46, 0, v36
	v_cndmask_b32_e64 v37, 0, v37, s[26:27]
	v_add_f32_e32 v47, v46, v37
	;; [unrolled: 2-line block ×3, first 2 shown]
	v_cndmask_b32_e64 v47, 0, v39, s[30:31]
	v_sub_f32_e32 v39, v50, v52
	v_mul_f32_e32 v39, 0x3fb8aa3b, v39
	v_sub_f32_e32 v50, v51, v52
	v_exp_f32_e32 v39, v39
	v_mul_f32_e32 v50, 0x3fb8aa3b, v50
	v_sub_f32_e32 v48, v48, v52
	v_exp_f32_e32 v50, v50
	;; [unrolled: 3-line block ×4, first 2 shown]
	v_mul_f32_e32 v42, 0x3fb8aa3b, v42
	v_sub_f32_e32 v43, v43, v52
	v_add_f32_e32 v51, v38, v47
	v_cndmask_b32_e64 v38, 0, v39, s[34:35]
	v_exp_f32_e32 v42, v42
	v_mul_f32_e32 v43, 0x3fb8aa3b, v43
	v_sub_f32_e32 v44, v44, v52
	v_add_f32_e32 v51, v51, v38
	v_cndmask_b32_e64 v39, 0, v50, s[36:37]
	v_exp_f32_e32 v43, v43
	;; [unrolled: 5-line block ×7, first 2 shown]
	v_mul_f32_e32 v35, 0x3fb8aa3b, v35
	v_add_f32_e32 v50, v50, v44
	v_cndmask_b32_e64 v45, 0, v45, s[12:13]
	v_exp_f32_e32 v35, v35
	v_add_f32_e32 v50, v50, v45
	v_cndmask_b32_e64 v40, 0, v40, s[6:7]
	v_add_f32_e32 v50, v50, v40
	v_cndmask_b32_e64 v41, 0, v41, s[8:9]
	v_add_f32_e32 v50, v50, v41
	v_cndmask_b32_e32 v34, 0, v34, vcc
	v_add_f32_e32 v50, v50, v34
	v_cndmask_b32_e64 v35, 0, v35, s[4:5]
	v_add_f32_e32 v50, v50, v35
	ds_bpermute_b32 v51, v58, v50
	v_cmp_gt_u32_e32 vcc, 16, v62
	s_waitcnt lgkmcnt(0)
	s_barrier
	v_add_f32_e32 v50, v50, v51
	ds_bpermute_b32 v51, v53, v50
	s_and_saveexec_b64 s[4:5], vcc
	s_cbranch_execz .LBB1046_13
; %bb.12:
	s_waitcnt lgkmcnt(0)
	v_add_f32_e32 v50, v50, v51
	v_lshlrev_b32_e32 v51, 2, v55
	ds_write2st64_b32 v51, v52, v50 offset1:1
.LBB1046_13:
	s_or_b64 exec, exec, s[4:5]
	s_waitcnt lgkmcnt(0)
	v_lshlrev_b32_e32 v51, 2, v56
	s_load_dword s6, s[0:1], 0x94
	s_waitcnt lgkmcnt(0)
	s_barrier
	ds_read2_b32 v[52:53], v51 offset1:16
	ds_read2_b32 v[58:59], v51 offset0:32 offset1:48
	ds_read2_b32 v[62:63], v51 offset0:64 offset1:80
	s_mul_i32 s7, s23, 3
	s_waitcnt lgkmcnt(2)
	v_max3_f32 v50, v52, s33, v53
	s_waitcnt lgkmcnt(1)
	v_max3_f32 v50, v50, v58, v59
	v_sub_f32_e32 v52, v52, v50
	v_mul_f32_e32 v52, 0x3fb8aa3b, v52
	v_exp_f32_e32 v55, v52
	v_sub_f32_e32 v52, v53, v50
	v_mul_f32_e32 v52, 0x3fb8aa3b, v52
	v_exp_f32_e32 v64, v52
	;; [unrolled: 3-line block ×3, first 2 shown]
	ds_read2_b32 v[52:53], v51 offset0:96 offset1:112
	v_sub_f32_e32 v51, v59, v50
	v_mul_f32_e32 v51, 0x3fb8aa3b, v51
	v_exp_f32_e32 v59, v51
	s_waitcnt lgkmcnt(1)
	v_fma_f32 v51, v55, v62, 0
	v_fmac_f32_e32 v51, v64, v63
	s_waitcnt lgkmcnt(0)
	v_fmac_f32_e32 v51, v58, v52
	v_fmac_f32_e32 v51, v59, v53
	v_add_f32_e32 v52, 0x358637bd, v51
	v_div_scale_f32 v53, s[4:5], v52, v52, 1.0
	v_rcp_f32_e32 v62, v53
	s_barrier
	v_fma_f32 v63, -v53, v62, 1.0
	v_fmac_f32_e32 v62, v63, v62
	v_div_scale_f32 v63, vcc, 1.0, v52, 1.0
	v_mul_f32_e32 v65, v63, v62
	v_fma_f32 v66, -v53, v65, v63
	v_fmac_f32_e32 v65, v66, v62
	v_fma_f32 v53, -v53, v65, v63
	v_div_fmas_f32 v53, v53, v62, v65
	v_cmp_eq_u32_e32 vcc, 1, v57
	v_div_fixup_f32 v52, v53, v52, 1.0
	s_nop 0
	v_cndmask_b32_e32 v53, v55, v64, vcc
	v_cmp_eq_u32_e32 vcc, 2, v57
	s_nop 1
	v_cndmask_b32_e32 v53, v53, v58, vcc
	v_cmp_eq_u32_e32 vcc, 3, v57
	s_nop 1
	v_cndmask_b32_e32 v53, v53, v59, vcc
	v_mul_f32_e32 v52, v53, v52
	v_pk_mul_f32 v[46:47], v[52:53], v[46:47] op_sel_hi:[0,1]
	v_pk_mul_f32 v[36:37], v[52:53], v[36:37] op_sel_hi:[0,1]
	v_cvt_f16_f32_e32 v53, v46
	v_cvt_f16_f32_e32 v36, v36
	;; [unrolled: 1-line block ×4, first 2 shown]
	v_pk_mul_f32 v[48:49], v[52:53], v[48:49] op_sel_hi:[0,1]
	v_pk_mul_f32 v[38:39], v[52:53], v[38:39] op_sel_hi:[0,1]
	v_cvt_f16_f32_e32 v38, v38
	v_cvt_f16_f32_e32 v39, v39
	;; [unrolled: 1-line block ×4, first 2 shown]
	v_pack_b32_f16 v46, v36, v37
	v_pack_b32_f16 v47, v53, v47
	v_lshlrev_b32_e32 v37, 3, v60
	v_lshlrev_b32_e32 v36, 5, v56
	;; [unrolled: 1-line block ×3, first 2 shown]
	v_or3_b32 v55, v53, v36, v37
	v_pack_b32_f16 v38, v38, v39
	v_pack_b32_f16 v39, v48, v49
	ds_write2st64_b64 v55, v[46:47], v[38:39] offset1:1
	v_pk_mul_f32 v[38:39], v[52:53], v[44:45] op_sel_hi:[0,1]
	v_pk_mul_f32 v[42:43], v[52:53], v[42:43] op_sel_hi:[0,1]
	v_cvt_f16_f32_e32 v37, v42
	v_cvt_f16_f32_e32 v42, v43
	;; [unrolled: 1-line block ×4, first 2 shown]
	v_pk_mul_f32 v[34:35], v[52:53], v[34:35] op_sel_hi:[0,1]
	v_pk_mul_f32 v[38:39], v[52:53], v[40:41] op_sel_hi:[0,1]
	v_cvt_f16_f32_e32 v38, v38
	v_cvt_f16_f32_e32 v39, v39
	;; [unrolled: 1-line block ×4, first 2 shown]
	v_pack_b32_f16 v34, v37, v42
	v_pack_b32_f16 v35, v43, v44
	;; [unrolled: 1-line block ×4, first 2 shown]
	v_cmp_gt_u32_e32 vcc, 3, v0
	ds_write2st64_b64 v55, v[34:35], v[38:39] offset0:2 offset1:3
	s_and_saveexec_b64 s[4:5], vcc
	s_cbranch_execz .LBB1046_15
; %bb.14:
	s_mov_b32 s49, 0
	v_mov_b32_e32 v57, 0
	v_lshl_add_u64 v[34:35], s[48:49], 0, v[56:57]
	v_mov_b32_e32 v37, s7
	v_mad_u64_u32 v[34:35], s[12:13], s2, v37, v[34:35]
	s_mul_i32 s3, s3, s7
	v_mov_b32_e32 v38, s22
	v_mov_b32_e32 v39, v57
	s_load_dwordx4 s[8:11], s[0:1], 0x58
	v_add_u32_e32 v37, s3, v35
	v_mad_u64_u32 v[34:35], s[12:13], v34, s6, v[38:39]
	v_mov_b32_e32 v38, v35
	v_mad_u64_u32 v[38:39], s[12:13], v37, s6, v[38:39]
	v_mov_b32_e32 v35, v38
	v_lshlrev_b64 v[34:35], 2, v[34:35]
	s_waitcnt lgkmcnt(0)
	v_lshl_add_u64 v[38:39], s[10:11], 0, v[34:35]
	v_lshl_add_u64 v[34:35], s[8:9], 0, v[34:35]
	global_store_dword v[38:39], v50, off
	global_store_dword v[34:35], v51, off
.LBB1046_15:
	s_or_b64 exec, exec, s[4:5]
	s_waitcnt vmcnt(7)
	v_cvt_pk_f32_fp8_e32 v[34:35], v30
	v_lshl_or_b32 v50, v60, 9, v36
	v_cvt_pk_f32_fp8_sdwa v[36:37], v30 src0_sel:WORD_1
	s_waitcnt lgkmcnt(0)
	s_barrier
	v_cvt_pk_f32_fp8_e32 v[38:39], v31
	v_cvt_pkrtz_f16_f32 v30, v34, v35
	v_cvt_pk_f32_fp8_sdwa v[40:41], v31 src0_sel:WORD_1
	v_cvt_pkrtz_f16_f32 v31, v36, v37
	ds_read_b128 v[34:37], v50
	v_cvt_pkrtz_f16_f32 v46, v38, v39
	v_cvt_pkrtz_f16_f32 v47, v40, v41
	ds_read_b128 v[38:41], v50 offset:16
	v_cvt_pk_f32_fp8_e32 v[48:49], v32
	v_cvt_pk_f32_fp8_sdwa v[52:53], v32 src0_sel:WORD_1
	s_waitcnt lgkmcnt(1)
	v_mfma_f32_16x16x16_f16 v[42:45], v[30:31], v[34:35], 0
	s_waitcnt vmcnt(6)
	v_cvt_pk_f32_fp8_e32 v[58:59], v24
	v_cvt_pkrtz_f16_f32 v30, v48, v49
	v_cvt_pkrtz_f16_f32 v31, v52, v53
	v_cvt_pk_f32_fp8_e32 v[48:49], v33
	v_mfma_f32_16x16x16_f16 v[42:45], v[46:47], v[36:37], v[42:45]
	v_cvt_pk_f32_fp8_sdwa v[46:47], v33 src0_sel:WORD_1
	v_cvt_pk_f32_fp8_sdwa v[62:63], v24 src0_sel:WORD_1
	v_cvt_pkrtz_f16_f32 v48, v48, v49
	s_waitcnt lgkmcnt(0)
	v_mfma_f32_16x16x16_f16 v[30:33], v[30:31], v[38:39], v[42:45]
	v_cvt_pkrtz_f16_f32 v49, v46, v47
	s_waitcnt vmcnt(5)
	v_cvt_pk_f32_fp8_sdwa v[66:67], v12 src0_sel:WORD_1
	s_waitcnt vmcnt(4)
	v_cvt_pk_f32_fp8_sdwa v[68:69], v4 src0_sel:WORD_1
	v_cvt_pk_f32_fp8_e32 v[42:43], v22
	v_mfma_f32_16x16x16_f16 v[46:49], v[48:49], v[40:41], v[30:33]
	s_waitcnt vmcnt(3)
	v_cvt_pk_f32_fp8_sdwa v[70:71], v28 src0_sel:WORD_1
	s_load_dword s4, s[42:43], 0x0
	v_cvt_pk_f32_fp8_sdwa v[30:31], v22 src0_sel:WORD_1
	v_cvt_pk_f32_fp8_e32 v[32:33], v23
	v_cvt_pkrtz_f16_f32 v22, v42, v43
	v_cvt_pk_f32_fp8_sdwa v[42:43], v23 src0_sel:WORD_1
	v_cvt_pkrtz_f16_f32 v23, v30, v31
	v_cvt_pkrtz_f16_f32 v52, v32, v33
	ds_read_b128 v[30:33], v50 offset:2048
	v_cvt_pkrtz_f16_f32 v53, v42, v43
	ds_read_b128 v[42:45], v50 offset:2064
	s_waitcnt lgkmcnt(0)
	v_mfma_f32_16x16x16_f16 v[46:49], v[22:23], v[30:31], v[46:49]
	v_cvt_pkrtz_f16_f32 v22, v58, v59
	v_cvt_pkrtz_f16_f32 v23, v62, v63
	v_cvt_pk_f32_fp8_e32 v[58:59], v25
	v_mfma_f32_16x16x16_f16 v[46:49], v[52:53], v[32:33], v[46:49]
	v_cvt_pk_f32_fp8_sdwa v[52:53], v25 src0_sel:WORD_1
	v_cmp_gt_u32_e32 vcc, 64, v0
	v_cvt_pkrtz_f16_f32 v58, v58, v59
	v_mfma_f32_16x16x16_f16 v[22:25], v[22:23], v[42:43], v[46:49]
	v_cvt_pkrtz_f16_f32 v59, v52, v53
	s_mov_b32 s3, 0
	s_nop 0
	v_cvt_pk_f32_fp8_e32 v[46:47], v10
	v_mfma_f32_16x16x16_f16 v[62:65], v[58:59], v[44:45], v[22:25]
	v_cvt_pk_f32_fp8_e32 v[58:59], v12
	s_nop 1
	v_cvt_pk_f32_fp8_sdwa v[22:23], v10 src0_sel:WORD_1
	v_cvt_pk_f32_fp8_e32 v[24:25], v11
	v_cvt_pkrtz_f16_f32 v10, v46, v47
	v_cvt_pk_f32_fp8_sdwa v[46:47], v11 src0_sel:WORD_1
	v_cvt_pkrtz_f16_f32 v11, v22, v23
	v_cvt_pkrtz_f16_f32 v52, v24, v25
	ds_read_b128 v[22:25], v50 offset:4096
	v_cvt_pkrtz_f16_f32 v53, v46, v47
	ds_read_b128 v[46:49], v50 offset:4112
	s_waitcnt lgkmcnt(1)
	v_mfma_f32_16x16x16_f16 v[62:65], v[10:11], v[22:23], v[62:65]
	v_cvt_pkrtz_f16_f32 v10, v58, v59
	v_cvt_pkrtz_f16_f32 v11, v66, v67
	v_cvt_pk_f32_fp8_e32 v[58:59], v13
	v_mfma_f32_16x16x16_f16 v[62:65], v[52:53], v[24:25], v[62:65]
	v_cvt_pk_f32_fp8_sdwa v[52:53], v13 src0_sel:WORD_1
	v_cvt_pk_f32_fp8_e32 v[66:67], v4
	v_cvt_pkrtz_f16_f32 v58, v58, v59
	s_waitcnt lgkmcnt(0)
	v_mfma_f32_16x16x16_f16 v[10:13], v[10:11], v[46:47], v[62:65]
	v_cvt_pkrtz_f16_f32 v59, v52, v53
	v_cvt_pk_f32_fp8_e32 v[52:53], v2
	s_nop 0
	v_mfma_f32_16x16x16_f16 v[62:65], v[58:59], v[48:49], v[10:13]
	s_nop 2
	v_cvt_pk_f32_fp8_sdwa v[10:11], v2 src0_sel:WORD_1
	v_cvt_pk_f32_fp8_e32 v[12:13], v3
	v_cvt_pkrtz_f16_f32 v2, v52, v53
	v_cvt_pk_f32_fp8_sdwa v[52:53], v3 src0_sel:WORD_1
	v_cvt_pkrtz_f16_f32 v3, v10, v11
	v_cvt_pkrtz_f16_f32 v58, v12, v13
	ds_read_b128 v[10:13], v50 offset:6144
	v_cvt_pkrtz_f16_f32 v59, v52, v53
	s_waitcnt lgkmcnt(0)
	v_mfma_f32_16x16x16_f16 v[62:65], v[2:3], v[10:11], v[62:65]
	ds_read_b128 v[50:53], v50 offset:6160
	v_cvt_pkrtz_f16_f32 v2, v66, v67
	v_cvt_pkrtz_f16_f32 v3, v68, v69
	v_cvt_pk_f32_fp8_e32 v[66:67], v5
	v_mfma_f32_16x16x16_f16 v[62:65], v[58:59], v[12:13], v[62:65]
	v_cvt_pk_f32_fp8_sdwa v[58:59], v5 src0_sel:WORD_1
	v_cvt_pk_f32_fp8_e32 v[68:69], v28
	v_cvt_pkrtz_f16_f32 v66, v66, v67
	s_waitcnt lgkmcnt(0)
	v_mfma_f32_16x16x16_f16 v[2:5], v[2:3], v[50:51], v[62:65]
	v_cvt_pkrtz_f16_f32 v67, v58, v59
	v_cvt_pk_f32_fp8_e32 v[58:59], v26
	s_nop 0
	v_cvt_pk_f32_fp8_sdwa v[62:63], v26 src0_sel:WORD_1
	v_cvt_pk_f32_fp8_e32 v[64:65], v27
	v_cvt_pkrtz_f16_f32 v58, v58, v59
	v_cvt_pk_f32_fp8_sdwa v[26:27], v27 src0_sel:WORD_1
	v_cvt_pkrtz_f16_f32 v59, v62, v63
	v_mfma_f32_16x16x16_f16 v[2:5], v[66:67], v[52:53], v[2:5]
	v_cvt_pkrtz_f16_f32 v66, v64, v65
	v_cvt_pkrtz_f16_f32 v67, v26, v27
	;; [unrolled: 1-line block ×3, first 2 shown]
	v_mfma_f32_16x16x16_f16 v[62:65], v[58:59], v[34:35], 0
	v_cvt_pkrtz_f16_f32 v27, v70, v71
	v_cvt_pk_f32_fp8_e32 v[58:59], v29
	s_barrier
	v_mfma_f32_16x16x16_f16 v[34:37], v[66:67], v[36:37], v[62:65]
	v_cvt_pkrtz_f16_f32 v58, v58, v59
	s_nop 1
	v_cvt_pk_f32_fp8_sdwa v[62:63], v29 src0_sel:WORD_1
	v_mfma_f32_16x16x16_f16 v[26:29], v[26:27], v[38:39], v[34:37]
	s_waitcnt vmcnt(2)
	v_cvt_pk_f32_fp8_e32 v[38:39], v19
	v_cvt_pkrtz_f16_f32 v59, v62, v63
	v_cvt_pk_f32_fp8_e32 v[34:35], v18
	v_cvt_pk_f32_fp8_sdwa v[36:37], v18 src0_sel:WORD_1
	v_cvt_pk_f32_fp8_sdwa v[18:19], v19 src0_sel:WORD_1
	v_mfma_f32_16x16x16_f16 v[26:29], v[58:59], v[40:41], v[26:29]
	v_cvt_pkrtz_f16_f32 v34, v34, v35
	v_cvt_pkrtz_f16_f32 v35, v36, v37
	;; [unrolled: 1-line block ×3, first 2 shown]
	v_cvt_pk_f32_fp8_e32 v[38:39], v20
	v_cvt_pk_f32_fp8_sdwa v[40:41], v20 src0_sel:WORD_1
	v_cvt_pkrtz_f16_f32 v37, v18, v19
	v_mfma_f32_16x16x16_f16 v[26:29], v[34:35], v[30:31], v[26:29]
	v_cvt_pkrtz_f16_f32 v30, v38, v39
	v_cvt_pkrtz_f16_f32 v31, v40, v41
	v_cvt_pk_f32_fp8_e32 v[34:35], v21
	v_cvt_pk_f32_fp8_sdwa v[38:39], v21 src0_sel:WORD_1
	v_mfma_f32_16x16x16_f16 v[18:21], v[36:37], v[32:33], v[26:29]
	s_waitcnt vmcnt(1)
	v_cvt_pk_f32_fp8_sdwa v[32:33], v16 src0_sel:WORD_1
	s_nop 0
	v_cvt_pkrtz_f16_f32 v26, v34, v35
	v_cvt_pkrtz_f16_f32 v27, v38, v39
	v_mfma_f32_16x16x16_f16 v[18:21], v[30:31], v[42:43], v[18:21]
	v_cvt_pk_f32_fp8_e32 v[28:29], v14
	v_cvt_pk_f32_fp8_sdwa v[30:31], v14 src0_sel:WORD_1
	v_cvt_pkrtz_f16_f32 v28, v28, v29
	v_mfma_f32_16x16x16_f16 v[18:21], v[26:27], v[44:45], v[18:21]
	v_cvt_pk_f32_fp8_e32 v[26:27], v15
	v_cvt_pkrtz_f16_f32 v29, v30, v31
	v_cvt_pk_f32_fp8_sdwa v[14:15], v15 src0_sel:WORD_1
	v_cvt_pk_f32_fp8_e32 v[30:31], v16
	v_cvt_pkrtz_f16_f32 v26, v26, v27
	v_mfma_f32_16x16x16_f16 v[18:21], v[28:29], v[22:23], v[18:21]
	v_cvt_pkrtz_f16_f32 v27, v14, v15
	v_cvt_pkrtz_f16_f32 v22, v30, v31
	v_cvt_pkrtz_f16_f32 v23, v32, v33
	v_cvt_pk_f32_fp8_e32 v[28:29], v17
	v_cvt_pk_f32_fp8_sdwa v[30:31], v17 src0_sel:WORD_1
	v_mfma_f32_16x16x16_f16 v[14:17], v[26:27], v[24:25], v[18:21]
	s_waitcnt vmcnt(0)
	v_cvt_pk_f32_fp8_sdwa v[24:25], v6 src0_sel:WORD_1
	s_nop 0
	v_pk_mul_f32 v[18:19], v[4:5], s[4:5] op_sel_hi:[1,0]
	v_cvt_pkrtz_f16_f32 v4, v28, v29
	v_cvt_pkrtz_f16_f32 v5, v30, v31
	v_mfma_f32_16x16x16_f16 v[14:17], v[22:23], v[46:47], v[14:17]
	v_cvt_pk_f32_fp8_e32 v[22:23], v6
	v_pk_mul_f32 v[20:21], v[2:3], s[4:5] op_sel_hi:[1,0]
	v_mfma_f32_16x16x16_f16 v[2:5], v[4:5], v[48:49], v[14:17]
	s_nop 3
	v_cvt_pk_f32_fp8_e32 v[14:15], v7
	v_cvt_pkrtz_f16_f32 v16, v22, v23
	v_cvt_pkrtz_f16_f32 v17, v24, v25
	v_cvt_pk_f32_fp8_sdwa v[6:7], v7 src0_sel:WORD_1
	v_cvt_pkrtz_f16_f32 v14, v14, v15
	v_cvt_pk_f32_fp8_e32 v[22:23], v8
	v_cvt_pk_f32_fp8_sdwa v[24:25], v8 src0_sel:WORD_1
	v_cvt_pkrtz_f16_f32 v15, v6, v7
	v_mfma_f32_16x16x16_f16 v[2:5], v[16:17], v[10:11], v[2:5]
	v_cvt_pkrtz_f16_f32 v6, v22, v23
	v_cvt_pkrtz_f16_f32 v7, v24, v25
	v_cvt_pk_f32_fp8_e32 v[10:11], v9
	v_cvt_pk_f32_fp8_sdwa v[8:9], v9 src0_sel:WORD_1
	v_mfma_f32_16x16x16_f16 v[2:5], v[14:15], v[12:13], v[2:5]
	v_cvt_f16_f32_e32 v12, v20
	v_cvt_pkrtz_f16_f32 v10, v10, v11
	v_cvt_pkrtz_f16_f32 v11, v8, v9
	v_mfma_f32_16x16x16_f16 v[2:5], v[6:7], v[50:51], v[2:5]
	v_cvt_f16_f32_e32 v6, v21
	v_cvt_f16_f32_e32 v7, v18
	;; [unrolled: 1-line block ×3, first 2 shown]
	v_mfma_f32_16x16x16_f16 v[2:5], v[10:11], v[52:53], v[2:5]
	s_nop 6
	v_pk_mul_f32 v[4:5], v[4:5], s[4:5] op_sel_hi:[1,0]
	v_pk_mul_f32 v[2:3], v[2:3], s[4:5] op_sel_hi:[1,0]
	v_cvt_f16_f32_e32 v11, v4
	v_cvt_f16_f32_e32 v9, v2
	;; [unrolled: 1-line block ×4, first 2 shown]
	v_cmp_ne_u32_e64 s[4:5], 3, v60
	v_pack_b32_f16 v2, v12, v6
	v_pack_b32_f16 v3, v7, v8
	;; [unrolled: 1-line block ×4, first 2 shown]
	s_and_b64 s[4:5], vcc, s[4:5]
	ds_write2st64_b64 v55, v[2:3], v[4:5] offset1:1
	s_waitcnt lgkmcnt(0)
	s_barrier
	s_and_saveexec_b64 s[8:9], s[4:5]
	s_cbranch_execz .LBB1046_17
; %bb.16:
	s_load_dwordx2 s[0:1], s[0:1], 0x68
	s_mul_i32 s2, s7, s2
	s_lshl_b32 s6, s6, 7
	v_lshlrev_b32_e32 v4, 6, v56
	s_mul_hi_u32 s5, s2, s6
	s_mul_i32 s4, s2, s6
	v_lshl_or_b32 v0, v0, 10, v4
	s_lshl_b64 s[4:5], s[4:5], 1
	v_lshlrev_b32_e32 v2, 5, v60
	v_and_b32_e32 v3, 16, v61
	v_and_b32_e32 v0, 0x1a00, v0
	s_waitcnt lgkmcnt(0)
	s_add_u32 s4, s0, s4
	v_or3_b32 v0, v0, v2, v3
	s_addc_u32 s5, s1, s5
	s_lshl_b32 s2, s22, 7
	ds_read_b128 v[2:5], v0
	s_lshl_b64 s[0:1], s[2:3], 1
	s_add_u32 s0, s4, s0
	s_addc_u32 s1, s5, s1
	v_mad_u64_u32 v[0:1], s[2:3], s6, v1, 0
	v_lshl_add_u64 v[0:1], v[0:1], 1, s[0:1]
	v_mov_b32_e32 v55, 0
	v_lshl_add_u64 v[0:1], v[0:1], 0, v[54:55]
	s_waitcnt lgkmcnt(0)
	global_store_dwordx4 v[0:1], v[2:5], off
.LBB1046_17:
	s_endpgm
	.section	.rodata,"a",@progbits
	.p2align	6, 0x0
	.amdhsa_kernel _Z39paged_attention_ll4mi_QKV_mfma16_kernelIDF16_hLN4vllm18Fp8KVCacheDataTypeE1EhLi32ELi128ELi256ELb0ELi3EEvPKT_PKT0_S7_ifPKiS9_S9_iPKfiiiPfSC_PS2_PT2_iSB_SB_
		.amdhsa_group_segment_fixed_size 8192
		.amdhsa_private_segment_fixed_size 0
		.amdhsa_kernarg_size 400
		.amdhsa_user_sgpr_count 2
		.amdhsa_user_sgpr_dispatch_ptr 0
		.amdhsa_user_sgpr_queue_ptr 0
		.amdhsa_user_sgpr_kernarg_segment_ptr 1
		.amdhsa_user_sgpr_dispatch_id 0
		.amdhsa_user_sgpr_kernarg_preload_length 0
		.amdhsa_user_sgpr_kernarg_preload_offset 0
		.amdhsa_user_sgpr_private_segment_size 0
		.amdhsa_uses_dynamic_stack 0
		.amdhsa_enable_private_segment 0
		.amdhsa_system_sgpr_workgroup_id_x 1
		.amdhsa_system_sgpr_workgroup_id_y 1
		.amdhsa_system_sgpr_workgroup_id_z 1
		.amdhsa_system_sgpr_workgroup_info 0
		.amdhsa_system_vgpr_workitem_id 0
		.amdhsa_next_free_vgpr 82
		.amdhsa_next_free_sgpr 50
		.amdhsa_accum_offset 84
		.amdhsa_reserve_vcc 1
		.amdhsa_float_round_mode_32 0
		.amdhsa_float_round_mode_16_64 0
		.amdhsa_float_denorm_mode_32 3
		.amdhsa_float_denorm_mode_16_64 3
		.amdhsa_dx10_clamp 1
		.amdhsa_ieee_mode 1
		.amdhsa_fp16_overflow 0
		.amdhsa_tg_split 0
		.amdhsa_exception_fp_ieee_invalid_op 0
		.amdhsa_exception_fp_denorm_src 0
		.amdhsa_exception_fp_ieee_div_zero 0
		.amdhsa_exception_fp_ieee_overflow 0
		.amdhsa_exception_fp_ieee_underflow 0
		.amdhsa_exception_fp_ieee_inexact 0
		.amdhsa_exception_int_div_zero 0
	.end_amdhsa_kernel
	.section	.text._Z39paged_attention_ll4mi_QKV_mfma16_kernelIDF16_hLN4vllm18Fp8KVCacheDataTypeE1EhLi32ELi128ELi256ELb0ELi3EEvPKT_PKT0_S7_ifPKiS9_S9_iPKfiiiPfSC_PS2_PT2_iSB_SB_,"axG",@progbits,_Z39paged_attention_ll4mi_QKV_mfma16_kernelIDF16_hLN4vllm18Fp8KVCacheDataTypeE1EhLi32ELi128ELi256ELb0ELi3EEvPKT_PKT0_S7_ifPKiS9_S9_iPKfiiiPfSC_PS2_PT2_iSB_SB_,comdat
.Lfunc_end1046:
	.size	_Z39paged_attention_ll4mi_QKV_mfma16_kernelIDF16_hLN4vllm18Fp8KVCacheDataTypeE1EhLi32ELi128ELi256ELb0ELi3EEvPKT_PKT0_S7_ifPKiS9_S9_iPKfiiiPfSC_PS2_PT2_iSB_SB_, .Lfunc_end1046-_Z39paged_attention_ll4mi_QKV_mfma16_kernelIDF16_hLN4vllm18Fp8KVCacheDataTypeE1EhLi32ELi128ELi256ELb0ELi3EEvPKT_PKT0_S7_ifPKiS9_S9_iPKfiiiPfSC_PS2_PT2_iSB_SB_
                                        ; -- End function
	.section	.AMDGPU.csdata,"",@progbits
; Kernel info:
; codeLenInByte = 6028
; NumSgprs: 56
; NumVgprs: 82
; NumAgprs: 0
; TotalNumVgprs: 82
; ScratchSize: 0
; MemoryBound: 0
; FloatMode: 240
; IeeeMode: 1
; LDSByteSize: 8192 bytes/workgroup (compile time only)
; SGPRBlocks: 6
; VGPRBlocks: 10
; NumSGPRsForWavesPerEU: 56
; NumVGPRsForWavesPerEU: 82
; AccumOffset: 84
; Occupancy: 5
; WaveLimiterHint : 1
; COMPUTE_PGM_RSRC2:SCRATCH_EN: 0
; COMPUTE_PGM_RSRC2:USER_SGPR: 2
; COMPUTE_PGM_RSRC2:TRAP_HANDLER: 0
; COMPUTE_PGM_RSRC2:TGID_X_EN: 1
; COMPUTE_PGM_RSRC2:TGID_Y_EN: 1
; COMPUTE_PGM_RSRC2:TGID_Z_EN: 1
; COMPUTE_PGM_RSRC2:TIDIG_COMP_CNT: 0
; COMPUTE_PGM_RSRC3_GFX90A:ACCUM_OFFSET: 20
; COMPUTE_PGM_RSRC3_GFX90A:TG_SPLIT: 0
	.section	.text._Z39paged_attention_ll4mi_QKV_mfma16_kernelIDF16_hLN4vllm18Fp8KVCacheDataTypeE1EhLi32ELi128ELi256ELb0ELi4EEvPKT_PKT0_S7_ifPKiS9_S9_iPKfiiiPfSC_PS2_PT2_iSB_SB_,"axG",@progbits,_Z39paged_attention_ll4mi_QKV_mfma16_kernelIDF16_hLN4vllm18Fp8KVCacheDataTypeE1EhLi32ELi128ELi256ELb0ELi4EEvPKT_PKT0_S7_ifPKiS9_S9_iPKfiiiPfSC_PS2_PT2_iSB_SB_,comdat
	.protected	_Z39paged_attention_ll4mi_QKV_mfma16_kernelIDF16_hLN4vllm18Fp8KVCacheDataTypeE1EhLi32ELi128ELi256ELb0ELi4EEvPKT_PKT0_S7_ifPKiS9_S9_iPKfiiiPfSC_PS2_PT2_iSB_SB_ ; -- Begin function _Z39paged_attention_ll4mi_QKV_mfma16_kernelIDF16_hLN4vllm18Fp8KVCacheDataTypeE1EhLi32ELi128ELi256ELb0ELi4EEvPKT_PKT0_S7_ifPKiS9_S9_iPKfiiiPfSC_PS2_PT2_iSB_SB_
	.globl	_Z39paged_attention_ll4mi_QKV_mfma16_kernelIDF16_hLN4vllm18Fp8KVCacheDataTypeE1EhLi32ELi128ELi256ELb0ELi4EEvPKT_PKT0_S7_ifPKiS9_S9_iPKfiiiPfSC_PS2_PT2_iSB_SB_
	.p2align	8
	.type	_Z39paged_attention_ll4mi_QKV_mfma16_kernelIDF16_hLN4vllm18Fp8KVCacheDataTypeE1EhLi32ELi128ELi256ELb0ELi4EEvPKT_PKT0_S7_ifPKiS9_S9_iPKfiiiPfSC_PS2_PT2_iSB_SB_,@function
_Z39paged_attention_ll4mi_QKV_mfma16_kernelIDF16_hLN4vllm18Fp8KVCacheDataTypeE1EhLi32ELi128ELi256ELb0ELi4EEvPKT_PKT0_S7_ifPKiS9_S9_iPKfiiiPfSC_PS2_PT2_iSB_SB_: ; @_Z39paged_attention_ll4mi_QKV_mfma16_kernelIDF16_hLN4vllm18Fp8KVCacheDataTypeE1EhLi32ELi128ELi256ELb0ELi4EEvPKT_PKT0_S7_ifPKiS9_S9_iPKfiiiPfSC_PS2_PT2_iSB_SB_
; %bb.0:
	s_load_dwordx2 s[12:13], s[0:1], 0x30
	s_mov_b32 s24, s3
	s_mov_b64 s[6:7], 0
	s_waitcnt lgkmcnt(0)
	s_cmp_lg_u64 s[12:13], 0
	s_cselect_b64 s[14:15], -1, 0
	s_and_b64 vcc, exec, s[14:15]
	s_cbranch_vccz .LBB1047_7
; %bb.1:
	s_add_i32 s8, s2, 1
	s_mov_b32 s9, 0
	s_lshl_b64 s[10:11], s[8:9], 2
	s_add_u32 s10, s12, s10
	s_mov_b32 s3, s9
	s_addc_u32 s11, s13, s11
	s_lshl_b64 s[8:9], s[2:3], 2
	s_add_u32 s8, s12, s8
	s_addc_u32 s9, s13, s9
	s_load_dword s5, s[10:11], 0x0
	s_load_dword s16, s[8:9], 0x0
	s_waitcnt lgkmcnt(0)
	s_sub_i32 s5, s5, s16
	s_cmp_eq_u32 s5, 1
	s_cselect_b64 s[8:9], -1, 0
	s_andn2_b64 vcc, exec, s[6:7]
	s_cbranch_vccnz .LBB1047_3
.LBB1047_2:
	s_mov_b32 s3, 0
	s_mov_b64 s[8:9], -1
.LBB1047_3:
	s_andn2_b64 vcc, exec, s[8:9]
	s_cbranch_vccnz .LBB1047_17
; %bb.4:
	s_load_dwordx2 s[6:7], s[0:1], 0x28
	s_lshl_b64 s[16:17], s[2:3], 2
	s_waitcnt lgkmcnt(0)
	s_add_u32 s6, s6, s16
	s_addc_u32 s7, s7, s17
	s_load_dword s48, s[6:7], 0x0
	s_lshl_b32 s18, s24, 8
	s_waitcnt lgkmcnt(0)
	s_cmp_ge_i32 s18, s48
	s_cbranch_scc1 .LBB1047_17
; %bb.5:
	s_load_dwordx2 s[6:7], s[0:1], 0x20
	s_load_dword s8, s[0:1], 0x38
	s_add_i32 s5, s48, 31
	s_ashr_i32 s9, s5, 31
	v_and_b32_e32 v1, 0xcf, v0
	s_lshr_b32 s9, s9, 27
	v_add_u32_e32 v1, s18, v1
	s_add_i32 s5, s5, s9
	v_ashrrev_i32_e32 v2, 31, v1
	s_ashr_i32 s5, s5, 5
	v_lshrrev_b32_e32 v10, 27, v2
	s_add_i32 s5, s5, -1
	s_waitcnt lgkmcnt(0)
	s_mul_i32 s8, s2, s8
	s_mov_b32 s9, 0
	v_add_u32_e32 v2, v1, v10
	s_lshl_b64 s[8:9], s[8:9], 2
	v_ashrrev_i32_e32 v2, 5, v2
	v_mov_b32_e32 v11, s5
	v_cmp_gt_i32_e32 vcc, s48, v1
	s_add_u32 s6, s6, s8
	s_addc_u32 s7, s7, s9
	v_cndmask_b32_e32 v2, v11, v2, vcc
	v_ashrrev_i32_e32 v3, 31, v2
	v_lshl_add_u64 v[4:5], v[2:3], 2, s[6:7]
	v_or_b32_e32 v2, 16, v1
	v_add_u32_e32 v3, v2, v10
	v_ashrrev_i32_e32 v3, 5, v3
	v_cmp_gt_i32_e32 vcc, s48, v2
	s_load_dwordx4 s[8:11], s[0:1], 0x8
	s_nop 0
	v_cndmask_b32_e32 v2, v11, v3, vcc
	v_ashrrev_i32_e32 v3, 31, v2
	v_lshl_add_u64 v[6:7], v[2:3], 2, s[6:7]
	v_or_b32_e32 v2, 32, v1
	v_add_u32_e32 v3, v2, v10
	v_ashrrev_i32_e32 v3, 5, v3
	v_cmp_gt_i32_e32 vcc, s48, v2
	v_or_b32_e32 v1, 48, v1
	s_nop 0
	v_cndmask_b32_e32 v2, v11, v3, vcc
	v_ashrrev_i32_e32 v3, 31, v2
	v_lshl_add_u64 v[8:9], v[2:3], 2, s[6:7]
	v_add_u32_e32 v2, v1, v10
	v_ashrrev_i32_e32 v2, 5, v2
	v_cmp_gt_i32_e32 vcc, s48, v1
	s_nop 1
	v_cndmask_b32_e32 v2, v11, v2, vcc
	v_ashrrev_i32_e32 v3, 31, v2
	v_lshl_add_u64 v[10:11], v[2:3], 2, s[6:7]
	global_load_dword v2, v[4:5], off
	global_load_dword v32, v[6:7], off
	;; [unrolled: 1-line block ×4, first 2 shown]
	s_andn2_b64 vcc, exec, s[14:15]
	s_cbranch_vccnz .LBB1047_8
; %bb.6:
	s_add_u32 s12, s12, s16
	s_addc_u32 s13, s13, s17
	s_load_dword s14, s[12:13], 0x0
	s_branch .LBB1047_9
.LBB1047_7:
	s_mov_b64 s[8:9], 0
	s_branch .LBB1047_2
.LBB1047_8:
	s_mov_b32 s14, s2
.LBB1047_9:
	s_load_dwordx4 s[44:47], s[0:1], 0x48
	v_and_b32_e32 v60, 15, v0
	v_bfe_u32 v63, v0, 4, 2
	s_lshl_b32 s25, s4, 2
	v_lshlrev_b32_e32 v3, 3, v60
	v_lshrrev_b32_e32 v64, 6, v0
	v_and_b32_e32 v65, 63, v0
	v_or_b32_e32 v1, s25, v63
	v_cmp_gt_u32_e64 s[26:27], 64, v0
	v_lshlrev_b32_e32 v54, 1, v3
	v_lshlrev_b32_e32 v61, 5, v63
	v_lshlrev_b32_e32 v62, 4, v0
	s_and_saveexec_b64 s[12:13], s[26:27]
	s_cbranch_execz .LBB1047_11
; %bb.10:
	s_load_dwordx2 s[16:17], s[0:1], 0x0
	s_waitcnt lgkmcnt(0)
	s_ashr_i32 s15, s44, 31
	s_mul_hi_u32 s19, s14, s44
	s_mul_i32 s15, s14, s15
	s_add_i32 s15, s19, s15
	s_mul_i32 s14, s14, s44
	s_lshl_b64 s[14:15], s[14:15], 1
	s_add_u32 s14, s16, s14
	v_lshlrev_b32_e32 v4, 7, v1
	s_addc_u32 s15, s17, s15
	v_ashrrev_i32_e32 v5, 31, v4
	v_lshl_add_u64 v[4:5], v[4:5], 1, s[14:15]
	v_mov_b32_e32 v55, 0
	v_lshl_add_u64 v[4:5], v[4:5], 0, v[54:55]
	global_load_dwordx4 v[4:7], v[4:5], off
	v_lshlrev_b32_e32 v8, 8, v0
	v_lshlrev_b32_e32 v3, 8, v60
	v_and_b32_e32 v8, 0x600, v8
	s_movk_i32 s14, 0x800
	v_and_or_b32 v3, v3, s14, v8
	v_lshl_or_b32 v8, v64, 7, v61
	v_and_b32_e32 v9, 16, v62
	v_or3_b32 v3, v3, v8, v9
	s_waitcnt vmcnt(0)
	ds_write_b128 v3, v[4:7]
.LBB1047_11:
	s_or_b64 exec, exec, s[12:13]
	s_waitcnt lgkmcnt(0)
	s_mul_i32 s12, s4, s46
	s_add_u32 s8, s8, s12
	s_addc_u32 s9, s9, 0
	v_mov_b32_e32 v57, 0
	v_mov_b64_e32 v[24:25], s[8:9]
	v_and_b32_e32 v8, 48, v0
	s_waitcnt vmcnt(3)
	v_mad_i64_i32 v[2:3], s[8:9], v2, s45, v[24:25]
	v_lshlrev_b32_e32 v22, 4, v60
	v_mov_b32_e32 v23, v57
	v_lshlrev_b32_e32 v56, 5, v8
	v_lshl_add_u64 v[2:3], v[2:3], 0, v[22:23]
	v_lshl_add_u64 v[6:7], v[2:3], 0, v[56:57]
	s_load_dword s33, s[0:1], 0x98
	s_load_dwordx4 s[40:43], s[0:1], 0x80
	s_waitcnt lgkmcnt(0)
	s_barrier
	global_load_dwordx4 v[10:13], v[6:7], off
	global_load_dwordx4 v[2:5], v[6:7], off offset:2048
	s_ashr_i32 s4, s18, 31
	v_and_b32_e32 v6, 3, v0
	v_mov_b32_e32 v38, s5
	v_or_b32_e32 v34, 0x100, v22
	v_mov_b32_e32 v35, v57
	s_lshr_b32 s9, s4, 27
	s_waitcnt vmcnt(4)
	v_mad_i64_i32 v[32:33], s[4:5], v32, s45, v[24:25]
	v_lshlrev_b32_e32 v6, 5, v6
	s_waitcnt vmcnt(3)
	v_mad_i64_i32 v[36:37], s[4:5], v30, s45, v[24:25]
	s_waitcnt vmcnt(2)
	v_mad_i64_i32 v[24:25], s[4:5], v31, s45, v[24:25]
	v_lshl_add_u64 v[30:31], v[32:33], 0, v[34:35]
	v_lshl_or_b32 v6, v63, 9, v6
	v_lshl_add_u64 v[30:31], v[30:31], 0, v[56:57]
	v_or_b32_e32 v39, s18, v8
	ds_read_b128 v[26:29], v6
	ds_read_b128 v[18:21], v6 offset:16
	ds_read_b128 v[14:17], v6 offset:2048
	ds_read_b128 v[6:9], v6 offset:2064
	global_load_dwordx4 v[50:53], v[30:31], off
	v_or_b32_e32 v40, 64, v39
	v_add_u32_e32 v32, s9, v39
	v_or_b32_e32 v41, 0x80, v39
	v_add_u32_e32 v33, s9, v40
	v_ashrrev_i32_e32 v32, 5, v32
	v_cmp_gt_i32_e32 vcc, s48, v39
	v_or_b32_e32 v42, 0xc0, v39
	v_add_u32_e32 v43, s9, v41
	v_ashrrev_i32_e32 v33, 5, v33
	v_cndmask_b32_e32 v46, v38, v32, vcc
	v_cmp_gt_i32_e32 vcc, s48, v40
	v_add_u32_e32 v44, s9, v42
	v_lshl_add_u64 v[22:23], v[36:37], 0, v[22:23]
	v_lshl_add_u64 v[24:25], v[24:25], 0, v[34:35]
	v_ashrrev_i32_e32 v43, 5, v43
	v_cndmask_b32_e32 v48, v38, v33, vcc
	v_cmp_gt_i32_e32 vcc, s48, v41
	v_ashrrev_i32_e32 v44, 5, v44
	v_lshl_add_u64 v[34:35], v[22:23], 0, v[56:57]
	v_lshl_add_u64 v[36:37], v[24:25], 0, v[56:57]
	v_cndmask_b32_e32 v58, v38, v43, vcc
	v_cmp_gt_i32_e32 vcc, s48, v42
	v_ashrrev_i32_e32 v47, 31, v46
	v_ashrrev_i32_e32 v49, 31, v48
	v_cndmask_b32_e32 v66, v38, v44, vcc
	global_load_dwordx4 v[30:33], v[30:31], off offset:2048
	s_nop 0
	global_load_dwordx4 v[22:25], v[34:35], off
	global_load_dwordx4 v[42:45], v[34:35], off offset:2048
	global_load_dwordx4 v[38:41], v[36:37], off
	s_nop 0
	global_load_dwordx4 v[34:37], v[36:37], off offset:2048
	v_ashrrev_i32_e32 v59, 31, v58
	v_ashrrev_i32_e32 v67, 31, v66
	v_lshl_add_u64 v[46:47], v[46:47], 2, s[6:7]
	v_lshl_add_u64 v[48:49], v[48:49], 2, s[6:7]
	v_lshl_add_u64 v[58:59], v[58:59], 2, s[6:7]
	v_lshl_add_u64 v[70:71], v[66:67], 2, s[6:7]
	global_load_dword v69, v[46:47], off
	global_load_dword v67, v[48:49], off
	;; [unrolled: 1-line block ×4, first 2 shown]
	s_add_u32 s4, s10, s12
	s_addc_u32 s5, s11, 0
	v_and_b32_e32 v56, 16, v0
	v_lshl_or_b32 v68, v64, 4, v60
	s_load_dword s8, s[0:1], 0x1c
	s_mov_b32 s44, 0xff7fffff
	s_waitcnt vmcnt(11)
	v_cvt_pk_f32_fp8_e32 v[46:47], v10
	v_cvt_pk_f32_fp8_sdwa v[48:49], v10 src0_sel:WORD_1
	v_cvt_pk_f32_fp8_e32 v[58:59], v11
	v_cvt_pk_f32_fp8_sdwa v[10:11], v11 src0_sel:WORD_1
	v_cvt_pkrtz_f16_f32 v46, v46, v47
	v_cvt_pkrtz_f16_f32 v47, v48, v49
	v_cvt_pk_f32_fp8_e32 v[70:71], v12
	v_cvt_pk_f32_fp8_sdwa v[72:73], v12 src0_sel:WORD_1
	v_cvt_pkrtz_f16_f32 v58, v58, v59
	v_cvt_pkrtz_f16_f32 v59, v10, v11
	v_cvt_pk_f32_fp8_e32 v[48:49], v13
	v_cvt_pk_f32_fp8_sdwa v[74:75], v13 src0_sel:WORD_1
	s_waitcnt lgkmcnt(0)
	v_mfma_f32_16x16x16_f16 v[10:13], v[46:47], v[26:27], 0
	v_cvt_pkrtz_f16_f32 v70, v70, v71
	v_cvt_pkrtz_f16_f32 v71, v72, v73
	s_waitcnt vmcnt(10)
	v_cvt_pk_f32_fp8_e32 v[46:47], v2
	v_mfma_f32_16x16x16_f16 v[10:13], v[58:59], v[28:29], v[10:13]
	v_cvt_pk_f32_fp8_sdwa v[58:59], v2 src0_sel:WORD_1
	v_cvt_pkrtz_f16_f32 v48, v48, v49
	v_cvt_pkrtz_f16_f32 v49, v74, v75
	v_mfma_f32_16x16x16_f16 v[10:13], v[70:71], v[18:19], v[10:13]
	v_cvt_pk_f32_fp8_e32 v[70:71], v3
	v_cvt_pkrtz_f16_f32 v46, v46, v47
	v_cvt_pkrtz_f16_f32 v47, v58, v59
	v_cvt_pk_f32_fp8_sdwa v[2:3], v3 src0_sel:WORD_1
	v_mfma_f32_16x16x16_f16 v[10:13], v[48:49], v[20:21], v[10:13]
	v_cvt_pkrtz_f16_f32 v48, v70, v71
	v_cvt_pk_f32_fp8_e32 v[58:59], v4
	v_cvt_pk_f32_fp8_sdwa v[70:71], v4 src0_sel:WORD_1
	v_cvt_pkrtz_f16_f32 v49, v2, v3
	v_mfma_f32_16x16x16_f16 v[10:13], v[46:47], v[14:15], v[10:13]
	v_cvt_pkrtz_f16_f32 v46, v58, v59
	v_cvt_pkrtz_f16_f32 v47, v70, v71
	v_cvt_pk_f32_fp8_e32 v[58:59], v5
	v_cvt_pk_f32_fp8_sdwa v[70:71], v5 src0_sel:WORD_1
	v_mfma_f32_16x16x16_f16 v[2:5], v[48:49], v[16:17], v[10:13]
	s_waitcnt vmcnt(7)
	v_cvt_pk_f32_fp8_e32 v[74:75], v25
	s_nop 0
	v_cvt_pkrtz_f16_f32 v10, v58, v59
	v_cvt_pkrtz_f16_f32 v11, v70, v71
	v_mfma_f32_16x16x16_f16 v[2:5], v[46:47], v[6:7], v[2:5]
	v_cvt_pk_f32_fp8_e32 v[12:13], v50
	v_cvt_pk_f32_fp8_sdwa v[58:59], v50 src0_sel:WORD_1
	v_cvt_pk_f32_fp8_sdwa v[76:77], v25 src0_sel:WORD_1
	v_mfma_f32_16x16x16_f16 v[46:49], v[10:11], v[8:9], v[2:5]
	v_cvt_pk_f32_fp8_sdwa v[10:11], v51 src0_sel:WORD_1
	s_waitcnt vmcnt(6)
	v_cvt_pk_f32_fp8_sdwa v[80:81], v44 src0_sel:WORD_1
	v_cvt_pk_f32_fp8_e32 v[2:3], v51
	v_cvt_pkrtz_f16_f32 v4, v12, v13
	v_cvt_pkrtz_f16_f32 v5, v58, v59
	v_cvt_pk_f32_fp8_e32 v[50:51], v52
	v_cvt_pkrtz_f16_f32 v12, v2, v3
	v_cvt_pk_f32_fp8_sdwa v[58:59], v52 src0_sel:WORD_1
	v_cvt_pkrtz_f16_f32 v13, v10, v11
	v_mfma_f32_16x16x16_f16 v[2:5], v[4:5], v[26:27], 0
	v_cvt_pkrtz_f16_f32 v10, v50, v51
	v_cvt_pkrtz_f16_f32 v11, v58, v59
	v_cvt_pk_f32_fp8_e32 v[50:51], v53
	v_cvt_pk_f32_fp8_sdwa v[52:53], v53 src0_sel:WORD_1
	v_mfma_f32_16x16x16_f16 v[2:5], v[12:13], v[28:29], v[2:5]
	v_lshl_add_u64 v[58:59], s[4:5], 0, v[56:57]
	v_cvt_pkrtz_f16_f32 v12, v50, v51
	v_cvt_pkrtz_f16_f32 v13, v52, v53
	v_mfma_f32_16x16x16_f16 v[2:5], v[10:11], v[18:19], v[2:5]
	v_cvt_pk_f32_fp8_e32 v[10:11], v30
	v_cvt_pk_f32_fp8_sdwa v[50:51], v30 src0_sel:WORD_1
	v_cvt_pk_f32_fp8_sdwa v[52:53], v32 src0_sel:WORD_1
	v_mfma_f32_16x16x16_f16 v[2:5], v[12:13], v[20:21], v[2:5]
	v_cvt_pk_f32_fp8_e32 v[12:13], v31
	v_cvt_pkrtz_f16_f32 v10, v10, v11
	v_cvt_pkrtz_f16_f32 v11, v50, v51
	v_cvt_pk_f32_fp8_sdwa v[30:31], v31 src0_sel:WORD_1
	v_cvt_pkrtz_f16_f32 v12, v12, v13
	v_cvt_pk_f32_fp8_e32 v[50:51], v32
	v_mfma_f32_16x16x16_f16 v[2:5], v[10:11], v[14:15], v[2:5]
	v_cvt_pkrtz_f16_f32 v13, v30, v31
	v_cvt_pkrtz_f16_f32 v10, v50, v51
	;; [unrolled: 1-line block ×3, first 2 shown]
	v_cvt_pk_f32_fp8_e32 v[30:31], v33
	v_cvt_pk_f32_fp8_sdwa v[32:33], v33 src0_sel:WORD_1
	v_mfma_f32_16x16x16_f16 v[2:5], v[12:13], v[16:17], v[2:5]
	v_lshlrev_b32_e32 v56, 5, v68
	v_cvt_pkrtz_f16_f32 v12, v30, v31
	v_cvt_pkrtz_f16_f32 v13, v32, v33
	v_mfma_f32_16x16x16_f16 v[2:5], v[10:11], v[6:7], v[2:5]
	v_cvt_pk_f32_fp8_e32 v[10:11], v22
	v_cvt_pk_f32_fp8_sdwa v[30:31], v22 src0_sel:WORD_1
	v_lshl_add_u64 v[70:71], v[58:59], 0, v[56:57]
	v_mfma_f32_16x16x16_f16 v[50:53], v[12:13], v[8:9], v[2:5]
	s_waitcnt vmcnt(3)
	v_mad_i64_i32 v[12:13], s[4:5], v69, s45, v[70:71]
	s_waitcnt vmcnt(2)
	v_mad_i64_i32 v[72:73], s[4:5], v67, s45, v[70:71]
	v_cvt_pkrtz_f16_f32 v2, v10, v11
	v_cvt_pkrtz_f16_f32 v3, v30, v31
	v_cvt_pk_f32_fp8_e32 v[4:5], v23
	v_cvt_pk_f32_fp8_sdwa v[10:11], v23 src0_sel:WORD_1
	v_cvt_pk_f32_fp8_sdwa v[30:31], v24 src0_sel:WORD_1
	v_or_b32_e32 v56, 0x800, v56
	v_cvt_pkrtz_f16_f32 v22, v4, v5
	v_cvt_pkrtz_f16_f32 v23, v10, v11
	v_cvt_pk_f32_fp8_e32 v[10:11], v24
	v_mfma_f32_16x16x16_f16 v[2:5], v[2:3], v[26:27], 0
	v_cvt_pkrtz_f16_f32 v10, v10, v11
	v_cvt_pkrtz_f16_f32 v11, v30, v31
	v_mfma_f32_16x16x16_f16 v[2:5], v[22:23], v[28:29], v[2:5]
	global_load_dwordx4 v[30:33], v[12:13], off
	global_load_dwordx4 v[22:25], v[72:73], off
	v_cvt_pkrtz_f16_f32 v12, v74, v75
	v_cvt_pkrtz_f16_f32 v13, v76, v77
	v_mfma_f32_16x16x16_f16 v[2:5], v[10:11], v[18:19], v[2:5]
	v_cvt_pk_f32_fp8_e32 v[10:11], v42
	v_cvt_pk_f32_fp8_sdwa v[72:73], v42 src0_sel:WORD_1
	s_waitcnt vmcnt(3)
	v_mad_i64_i32 v[74:75], s[4:5], v55, s45, v[70:71]
	v_mfma_f32_16x16x16_f16 v[2:5], v[12:13], v[20:21], v[2:5]
	v_cvt_pkrtz_f16_f32 v10, v10, v11
	v_cvt_pkrtz_f16_f32 v11, v72, v73
	v_cvt_pk_f32_fp8_e32 v[12:13], v43
	v_cvt_pk_f32_fp8_sdwa v[42:43], v43 src0_sel:WORD_1
	s_waitcnt vmcnt(2)
	v_mad_i64_i32 v[76:77], s[4:5], v66, s45, v[70:71]
	v_cvt_pkrtz_f16_f32 v78, v12, v13
	v_cvt_pkrtz_f16_f32 v79, v42, v43
	v_cvt_pk_f32_fp8_e32 v[42:43], v44
	v_mfma_f32_16x16x16_f16 v[70:73], v[10:11], v[14:15], v[2:5]
	global_load_dwordx4 v[10:13], v[74:75], off
	s_nop 1
	global_load_dwordx4 v[2:5], v[76:77], off
	v_cvt_pkrtz_f16_f32 v75, v80, v81
	v_cvt_pkrtz_f16_f32 v74, v42, v43
	v_cvt_pk_f32_fp8_e32 v[76:77], v45
	v_cvt_pk_f32_fp8_sdwa v[44:45], v45 src0_sel:WORD_1
	v_mfma_f32_16x16x16_f16 v[70:73], v[78:79], v[16:17], v[70:73]
	v_lshl_add_u64 v[42:43], v[58:59], 0, v[56:57]
	v_cvt_pkrtz_f16_f32 v76, v76, v77
	v_cvt_pkrtz_f16_f32 v77, v44, v45
	v_mfma_f32_16x16x16_f16 v[56:59], v[74:75], v[6:7], v[70:73]
	v_cvt_pk_f32_fp8_e32 v[44:45], v38
	v_cvt_pk_f32_fp8_sdwa v[78:79], v40 src0_sel:WORD_1
	s_load_dword s4, s[40:41], 0x0
	v_cvt_pk_f32_fp8_sdwa v[70:71], v38 src0_sel:WORD_1
	v_cvt_pk_f32_fp8_e32 v[72:73], v39
	v_cvt_pkrtz_f16_f32 v44, v44, v45
	v_cvt_pk_f32_fp8_sdwa v[38:39], v39 src0_sel:WORD_1
	v_cvt_pkrtz_f16_f32 v45, v70, v71
	v_mfma_f32_16x16x16_f16 v[56:59], v[76:77], v[8:9], v[56:59]
	v_cvt_pkrtz_f16_f32 v74, v72, v73
	v_cvt_pk_f32_fp8_e32 v[76:77], v40
	v_cvt_pkrtz_f16_f32 v75, v38, v39
	v_mfma_f32_16x16x16_f16 v[70:73], v[44:45], v[26:27], 0
	v_cvt_pkrtz_f16_f32 v39, v78, v79
	v_cvt_pkrtz_f16_f32 v38, v76, v77
	v_cvt_pk_f32_fp8_e32 v[44:45], v41
	v_cvt_pk_f32_fp8_sdwa v[40:41], v41 src0_sel:WORD_1
	v_mfma_f32_16x16x16_f16 v[26:29], v[74:75], v[28:29], v[70:73]
	v_cvt_pkrtz_f16_f32 v44, v44, v45
	v_cvt_pkrtz_f16_f32 v45, v40, v41
	v_mfma_f32_16x16x16_f16 v[26:29], v[38:39], v[18:19], v[26:29]
	v_mov_b32_e32 v70, s8
	s_waitcnt lgkmcnt(0)
	v_mul_f32_e32 v40, s4, v70
	v_pk_mul_f32 v[38:39], v[40:41], v[48:49] op_sel_hi:[0,1]
	v_mfma_f32_16x16x16_f16 v[18:21], v[44:45], v[20:21], v[26:29]
	v_cvt_pk_f32_fp8_e32 v[44:45], v35
	v_pk_mul_f32 v[46:47], v[40:41], v[46:47] op_sel_hi:[0,1]
	v_pk_mul_f32 v[48:49], v[40:41], v[52:53] op_sel_hi:[0,1]
	v_cvt_pk_f32_fp8_e32 v[26:27], v34
	v_cvt_pk_f32_fp8_sdwa v[28:29], v34 src0_sel:WORD_1
	v_cvt_pk_f32_fp8_sdwa v[34:35], v35 src0_sel:WORD_1
	v_pk_mul_f32 v[52:53], v[40:41], v[50:51] op_sel_hi:[0,1]
	v_cvt_pkrtz_f16_f32 v26, v26, v27
	v_cvt_pkrtz_f16_f32 v27, v28, v29
	;; [unrolled: 1-line block ×4, first 2 shown]
	v_cvt_pk_f32_fp8_e32 v[34:35], v36
	v_cvt_pk_f32_fp8_sdwa v[44:45], v36 src0_sel:WORD_1
	v_mfma_f32_16x16x16_f16 v[18:21], v[26:27], v[14:15], v[18:21]
	v_pk_mul_f32 v[50:51], v[40:41], v[56:57] op_sel_hi:[0,1]
	v_cvt_pkrtz_f16_f32 v26, v34, v35
	v_cvt_pkrtz_f16_f32 v27, v44, v45
	v_cvt_pk_f32_fp8_e32 v[34:35], v37
	v_cvt_pk_f32_fp8_sdwa v[36:37], v37 src0_sel:WORD_1
	v_mfma_f32_16x16x16_f16 v[14:17], v[28:29], v[16:17], v[18:21]
	v_pk_mul_f32 v[44:45], v[40:41], v[58:59] op_sel_hi:[0,1]
	v_mad_i64_i32 v[70:71], s[4:5], v69, s45, v[42:43]
	s_nop 0
	v_cvt_pkrtz_f16_f32 v18, v34, v35
	v_cvt_pkrtz_f16_f32 v19, v36, v37
	v_mfma_f32_16x16x16_f16 v[14:17], v[26:27], v[6:7], v[14:17]
	s_nop 0
	v_mfma_f32_16x16x16_f16 v[6:9], v[18:19], v[8:9], v[14:17]
	s_nop 6
	v_pk_mul_f32 v[34:35], v[40:41], v[8:9] op_sel_hi:[0,1]
	v_pk_mul_f32 v[40:41], v[40:41], v[6:7] op_sel_hi:[0,1]
	v_and_b32_e32 v6, 0xc0, v0
	v_add_u32_e32 v6, s18, v6
	v_lshl_or_b32 v6, v63, 2, v6
	v_or_b32_e32 v9, 1, v6
	v_mov_b32_e32 v7, 0xff7fffff
	v_cmp_gt_i32_e64 s[4:5], s48, v6
	v_cmp_gt_i32_e64 s[28:29], s48, v9
	v_or_b32_e32 v14, 3, v6
	v_cndmask_b32_e64 v8, v7, v46, s[4:5]
	v_cndmask_b32_e64 v9, v7, v47, s[28:29]
	v_max3_f32 v8, v8, s44, v9
	v_or_b32_e32 v9, 2, v6
	v_cmp_gt_i32_e64 s[30:31], s48, v9
	v_cmp_gt_i32_e64 s[34:35], s48, v14
	s_nop 0
	v_cndmask_b32_e64 v9, v7, v38, s[30:31]
	v_cndmask_b32_e64 v14, v7, v39, s[34:35]
	v_max3_f32 v8, v8, v9, v14
	v_or_b32_e32 v9, 16, v6
	v_or_b32_e32 v14, 17, v6
	v_cmp_gt_i32_e64 s[36:37], s48, v9
	v_cmp_gt_i32_e64 s[38:39], s48, v14
	s_nop 0
	v_cndmask_b32_e64 v9, v7, v52, s[36:37]
	v_cndmask_b32_e64 v14, v7, v53, s[38:39]
	v_max3_f32 v8, v8, v9, v14
	v_or_b32_e32 v9, 18, v6
	;; [unrolled: 8-line block ×6, first 2 shown]
	v_or_b32_e32 v6, 51, v6
	v_cmp_gt_i32_e32 vcc, s48, v9
	v_cmp_gt_i32_e64 s[6:7], s48, v6
	s_nop 0
	v_cndmask_b32_e32 v9, v7, v34, vcc
	v_cndmask_b32_e64 v6, v7, v35, s[6:7]
	v_max3_f32 v8, v8, v9, v6
	v_mbcnt_lo_u32_b32 v6, -1, 0
	v_mbcnt_hi_u32_b32 v9, -1, v6
	v_and_b32_e32 v6, 64, v9
	v_add_u32_e32 v14, 64, v6
	v_xor_b32_e32 v6, 32, v9
	v_cmp_lt_i32_e64 s[40:41], v6, v14
	s_nop 1
	v_cndmask_b32_e64 v6, v9, v6, s[40:41]
	v_lshlrev_b32_e32 v56, 2, v6
	ds_bpermute_b32 v15, v56, v8
	v_mad_i64_i32 v[6:7], s[40:41], v67, s45, v[42:43]
	global_load_dwordx4 v[26:29], v[70:71], off
	global_load_dwordx4 v[18:21], v[6:7], off
	s_waitcnt lgkmcnt(0)
	v_max_f32_e32 v6, v15, v15
	v_max_f32_e32 v15, v8, v6
	v_xor_b32_e32 v6, 16, v9
	v_cmp_lt_i32_e64 s[40:41], v6, v14
	s_nop 1
	v_cndmask_b32_e64 v6, v9, v6, s[40:41]
	v_lshlrev_b32_e32 v57, 2, v6
	ds_bpermute_b32 v14, v57, v15
	v_mad_i64_i32 v[6:7], s[40:41], v55, s45, v[42:43]
	v_mad_i64_i32 v[8:9], s[40:41], v66, s45, v[42:43]
	s_waitcnt lgkmcnt(0)
	v_max_f32_e32 v14, v14, v14
	v_max_f32_e32 v55, v15, v14
	v_sub_f32_e32 v14, v46, v55
	v_mul_f32_e32 v14, 0x3fb8aa3b, v14
	v_exp_f32_e32 v36, v14
	v_sub_f32_e32 v14, v47, v55
	v_mul_f32_e32 v14, 0x3fb8aa3b, v14
	v_exp_f32_e32 v37, v14
	global_load_dwordx4 v[14:17], v[6:7], off
	s_nop 0
	global_load_dwordx4 v[6:9], v[8:9], off
	v_sub_f32_e32 v38, v38, v55
	v_mul_f32_e32 v38, 0x3fb8aa3b, v38
	v_sub_f32_e32 v39, v39, v55
	v_exp_f32_e32 v38, v38
	v_mul_f32_e32 v39, 0x3fb8aa3b, v39
	v_exp_f32_e32 v39, v39
	v_cndmask_b32_e64 v36, 0, v36, s[4:5]
	v_add_f32_e32 v42, 0, v36
	v_cndmask_b32_e64 v37, 0, v37, s[28:29]
	v_add_f32_e32 v42, v42, v37
	;; [unrolled: 2-line block ×3, first 2 shown]
	v_cndmask_b32_e64 v47, 0, v39, s[34:35]
	v_sub_f32_e32 v39, v52, v55
	v_sub_f32_e32 v42, v53, v55
	v_mul_f32_e32 v39, 0x3fb8aa3b, v39
	v_mul_f32_e32 v42, 0x3fb8aa3b, v42
	v_exp_f32_e32 v39, v39
	v_exp_f32_e32 v42, v42
	v_add_f32_e32 v43, v38, v47
	v_sub_f32_e32 v44, v44, v55
	v_cndmask_b32_e64 v38, 0, v39, s[36:37]
	v_cndmask_b32_e64 v39, 0, v42, s[38:39]
	v_sub_f32_e32 v42, v48, v55
	v_mul_f32_e32 v42, 0x3fb8aa3b, v42
	v_exp_f32_e32 v42, v42
	v_sub_f32_e32 v48, v49, v55
	v_add_f32_e32 v43, v43, v38
	v_mul_f32_e32 v48, 0x3fb8aa3b, v48
	v_exp_f32_e32 v49, v48
	v_add_f32_e32 v43, v43, v39
	v_cndmask_b32_e64 v48, 0, v42, s[20:21]
	v_add_f32_e32 v42, v43, v48
	v_sub_f32_e32 v43, v50, v55
	v_mul_f32_e32 v43, 0x3fb8aa3b, v43
	v_sub_f32_e32 v50, v51, v55
	v_exp_f32_e32 v43, v43
	v_mul_f32_e32 v50, 0x3fb8aa3b, v50
	v_exp_f32_e32 v50, v50
	v_mul_f32_e32 v44, 0x3fb8aa3b, v44
	v_sub_f32_e32 v45, v45, v55
	v_exp_f32_e32 v44, v44
	v_mul_f32_e32 v45, 0x3fb8aa3b, v45
	v_sub_f32_e32 v40, v40, v55
	v_cndmask_b32_e64 v49, 0, v49, s[22:23]
	v_exp_f32_e32 v45, v45
	v_mul_f32_e32 v40, 0x3fb8aa3b, v40
	v_sub_f32_e32 v41, v41, v55
	v_add_f32_e32 v51, v42, v49
	v_cndmask_b32_e64 v42, 0, v43, s[16:17]
	v_exp_f32_e32 v40, v40
	v_mul_f32_e32 v41, 0x3fb8aa3b, v41
	v_sub_f32_e32 v34, v34, v55
	v_add_f32_e32 v51, v51, v42
	;; [unrolled: 5-line block ×3, first 2 shown]
	v_cndmask_b32_e64 v44, 0, v44, s[12:13]
	v_exp_f32_e32 v34, v34
	v_mul_f32_e32 v35, 0x3fb8aa3b, v35
	v_add_f32_e32 v50, v50, v44
	v_cndmask_b32_e64 v45, 0, v45, s[14:15]
	v_exp_f32_e32 v35, v35
	v_add_f32_e32 v50, v50, v45
	v_cndmask_b32_e64 v40, 0, v40, s[8:9]
	v_add_f32_e32 v50, v50, v40
	v_cndmask_b32_e64 v41, 0, v41, s[10:11]
	v_add_f32_e32 v50, v50, v41
	v_cndmask_b32_e32 v34, 0, v34, vcc
	v_add_f32_e32 v50, v50, v34
	v_cndmask_b32_e64 v35, 0, v35, s[6:7]
	v_add_f32_e32 v50, v50, v35
	ds_bpermute_b32 v51, v56, v50
	v_cmp_gt_u32_e32 vcc, 16, v65
	s_waitcnt lgkmcnt(0)
	s_barrier
	v_add_f32_e32 v50, v50, v51
	ds_bpermute_b32 v51, v57, v50
	s_and_saveexec_b64 s[4:5], vcc
	s_cbranch_execz .LBB1047_13
; %bb.12:
	s_waitcnt lgkmcnt(0)
	v_add_f32_e32 v50, v50, v51
	v_lshlrev_b32_e32 v51, 2, v68
	ds_write2st64_b32 v51, v55, v50 offset1:1
.LBB1047_13:
	s_or_b64 exec, exec, s[4:5]
	s_waitcnt lgkmcnt(0)
	v_lshlrev_b32_e32 v51, 2, v60
	s_load_dword s6, s[0:1], 0x94
	s_waitcnt lgkmcnt(0)
	s_barrier
	ds_read2_b32 v[52:53], v51 offset1:16
	ds_read2_b32 v[56:57], v51 offset0:32 offset1:48
	ds_read2_b32 v[58:59], v51 offset0:64 offset1:80
	s_lshl_b32 s7, s33, 2
	s_waitcnt lgkmcnt(2)
	v_max3_f32 v50, v52, s44, v53
	s_waitcnt lgkmcnt(1)
	v_max3_f32 v50, v50, v56, v57
	v_sub_f32_e32 v52, v52, v50
	v_mul_f32_e32 v52, 0x3fb8aa3b, v52
	v_exp_f32_e32 v55, v52
	v_sub_f32_e32 v52, v53, v50
	v_mul_f32_e32 v52, 0x3fb8aa3b, v52
	v_exp_f32_e32 v65, v52
	;; [unrolled: 3-line block ×3, first 2 shown]
	ds_read2_b32 v[52:53], v51 offset0:96 offset1:112
	v_sub_f32_e32 v51, v57, v50
	v_mul_f32_e32 v51, 0x3fb8aa3b, v51
	v_exp_f32_e32 v57, v51
	s_waitcnt lgkmcnt(1)
	v_fma_f32 v51, v55, v58, 0
	v_fmac_f32_e32 v51, v65, v59
	s_waitcnt lgkmcnt(0)
	v_fmac_f32_e32 v51, v56, v52
	v_fmac_f32_e32 v51, v57, v53
	v_add_f32_e32 v52, 0x358637bd, v51
	v_div_scale_f32 v53, s[4:5], v52, v52, 1.0
	v_rcp_f32_e32 v58, v53
	s_barrier
	v_fma_f32 v59, -v53, v58, 1.0
	v_fmac_f32_e32 v58, v59, v58
	v_div_scale_f32 v59, vcc, 1.0, v52, 1.0
	v_mul_f32_e32 v66, v59, v58
	v_fma_f32 v67, -v53, v66, v59
	v_fmac_f32_e32 v66, v67, v58
	v_fma_f32 v53, -v53, v66, v59
	v_div_fmas_f32 v53, v53, v58, v66
	v_cmp_eq_u32_e32 vcc, 1, v64
	v_div_fixup_f32 v52, v53, v52, 1.0
	s_nop 0
	v_cndmask_b32_e32 v53, v55, v65, vcc
	v_cmp_eq_u32_e32 vcc, 2, v64
	s_nop 1
	v_cndmask_b32_e32 v53, v53, v56, vcc
	v_cmp_eq_u32_e32 vcc, 3, v64
	s_nop 1
	v_cndmask_b32_e32 v53, v53, v57, vcc
	v_mul_f32_e32 v52, v53, v52
	v_pk_mul_f32 v[46:47], v[52:53], v[46:47] op_sel_hi:[0,1]
	v_pk_mul_f32 v[36:37], v[52:53], v[36:37] op_sel_hi:[0,1]
	v_cvt_f16_f32_e32 v53, v46
	v_cvt_f16_f32_e32 v36, v36
	;; [unrolled: 1-line block ×4, first 2 shown]
	v_pk_mul_f32 v[48:49], v[52:53], v[48:49] op_sel_hi:[0,1]
	v_pk_mul_f32 v[38:39], v[52:53], v[38:39] op_sel_hi:[0,1]
	v_cvt_f16_f32_e32 v38, v38
	v_cvt_f16_f32_e32 v39, v39
	;; [unrolled: 1-line block ×4, first 2 shown]
	v_pack_b32_f16 v46, v36, v37
	v_pack_b32_f16 v47, v53, v47
	v_lshlrev_b32_e32 v37, 3, v63
	v_lshlrev_b32_e32 v36, 5, v60
	;; [unrolled: 1-line block ×3, first 2 shown]
	v_or3_b32 v55, v53, v36, v37
	v_pack_b32_f16 v38, v38, v39
	v_pack_b32_f16 v39, v48, v49
	ds_write2st64_b64 v55, v[46:47], v[38:39] offset1:1
	v_pk_mul_f32 v[38:39], v[52:53], v[44:45] op_sel_hi:[0,1]
	v_pk_mul_f32 v[42:43], v[52:53], v[42:43] op_sel_hi:[0,1]
	v_cvt_f16_f32_e32 v37, v42
	v_cvt_f16_f32_e32 v42, v43
	;; [unrolled: 1-line block ×4, first 2 shown]
	v_pk_mul_f32 v[34:35], v[52:53], v[34:35] op_sel_hi:[0,1]
	v_pk_mul_f32 v[38:39], v[52:53], v[40:41] op_sel_hi:[0,1]
	v_cvt_f16_f32_e32 v38, v38
	v_cvt_f16_f32_e32 v39, v39
	;; [unrolled: 1-line block ×4, first 2 shown]
	v_pack_b32_f16 v34, v37, v42
	v_pack_b32_f16 v35, v43, v44
	;; [unrolled: 1-line block ×4, first 2 shown]
	v_cmp_gt_u32_e32 vcc, 4, v0
	ds_write2st64_b64 v55, v[34:35], v[38:39] offset0:2 offset1:3
	s_and_saveexec_b64 s[4:5], vcc
	s_cbranch_execz .LBB1047_15
; %bb.14:
	v_or_b32_e32 v34, s25, v0
	v_mov_b32_e32 v35, 0
	v_mov_b32_e32 v37, s7
	v_mad_u64_u32 v[38:39], s[12:13], s2, v37, v[34:35]
	v_mov_b32_e32 v34, s24
	s_load_dwordx4 s[8:11], s[0:1], 0x58
	s_mul_i32 s3, s3, s7
	v_mad_u64_u32 v[34:35], s[12:13], v38, s6, v[34:35]
	v_add_u32_e32 v37, s3, v39
	v_mov_b32_e32 v38, v35
	v_mad_u64_u32 v[38:39], s[12:13], v37, s6, v[38:39]
	v_mov_b32_e32 v35, v38
	v_lshlrev_b64 v[34:35], 2, v[34:35]
	s_waitcnt lgkmcnt(0)
	v_lshl_add_u64 v[38:39], s[10:11], 0, v[34:35]
	v_lshl_add_u64 v[34:35], s[8:9], 0, v[34:35]
	global_store_dword v[38:39], v50, off
	global_store_dword v[34:35], v51, off
.LBB1047_15:
	s_or_b64 exec, exec, s[4:5]
	s_waitcnt vmcnt(7)
	v_cvt_pk_f32_fp8_e32 v[34:35], v30
	v_lshl_or_b32 v50, v63, 9, v36
	v_cvt_pk_f32_fp8_sdwa v[36:37], v30 src0_sel:WORD_1
	s_waitcnt lgkmcnt(0)
	s_barrier
	v_cvt_pk_f32_fp8_e32 v[38:39], v31
	v_cvt_pkrtz_f16_f32 v30, v34, v35
	v_cvt_pk_f32_fp8_sdwa v[40:41], v31 src0_sel:WORD_1
	v_cvt_pkrtz_f16_f32 v31, v36, v37
	ds_read_b128 v[34:37], v50
	v_cvt_pkrtz_f16_f32 v46, v38, v39
	v_cvt_pkrtz_f16_f32 v47, v40, v41
	ds_read_b128 v[38:41], v50 offset:16
	v_cvt_pk_f32_fp8_e32 v[48:49], v32
	v_cvt_pk_f32_fp8_sdwa v[52:53], v32 src0_sel:WORD_1
	s_waitcnt lgkmcnt(1)
	v_mfma_f32_16x16x16_f16 v[42:45], v[30:31], v[34:35], 0
	s_waitcnt vmcnt(6)
	v_cvt_pk_f32_fp8_e32 v[56:57], v24
	v_cvt_pkrtz_f16_f32 v30, v48, v49
	v_cvt_pkrtz_f16_f32 v31, v52, v53
	v_cvt_pk_f32_fp8_e32 v[48:49], v33
	v_mfma_f32_16x16x16_f16 v[42:45], v[46:47], v[36:37], v[42:45]
	v_cvt_pk_f32_fp8_sdwa v[46:47], v33 src0_sel:WORD_1
	v_cvt_pk_f32_fp8_sdwa v[58:59], v24 src0_sel:WORD_1
	v_cvt_pkrtz_f16_f32 v48, v48, v49
	s_waitcnt lgkmcnt(0)
	v_mfma_f32_16x16x16_f16 v[30:33], v[30:31], v[38:39], v[42:45]
	v_cvt_pkrtz_f16_f32 v49, v46, v47
	s_waitcnt vmcnt(5)
	v_cvt_pk_f32_fp8_e32 v[64:65], v12
	v_cvt_pk_f32_fp8_sdwa v[66:67], v12 src0_sel:WORD_1
	v_cvt_pk_f32_fp8_e32 v[42:43], v22
	v_mfma_f32_16x16x16_f16 v[46:49], v[48:49], v[40:41], v[30:33]
	s_waitcnt vmcnt(4)
	v_cvt_pk_f32_fp8_sdwa v[68:69], v4 src0_sel:WORD_1
	s_load_dword s4, s[42:43], 0x0
	v_cvt_pk_f32_fp8_sdwa v[30:31], v22 src0_sel:WORD_1
	v_cvt_pk_f32_fp8_e32 v[32:33], v23
	v_cvt_pkrtz_f16_f32 v22, v42, v43
	v_cvt_pk_f32_fp8_sdwa v[42:43], v23 src0_sel:WORD_1
	v_cvt_pkrtz_f16_f32 v23, v30, v31
	v_cvt_pkrtz_f16_f32 v52, v32, v33
	ds_read_b128 v[30:33], v50 offset:2048
	v_cvt_pkrtz_f16_f32 v53, v42, v43
	ds_read_b128 v[42:45], v50 offset:2064
	s_waitcnt lgkmcnt(0)
	v_mfma_f32_16x16x16_f16 v[46:49], v[22:23], v[30:31], v[46:49]
	v_cvt_pkrtz_f16_f32 v22, v56, v57
	v_cvt_pkrtz_f16_f32 v23, v58, v59
	v_cvt_pk_f32_fp8_e32 v[56:57], v25
	v_mfma_f32_16x16x16_f16 v[46:49], v[52:53], v[32:33], v[46:49]
	v_cvt_pk_f32_fp8_sdwa v[52:53], v25 src0_sel:WORD_1
	s_mov_b32 s3, 0
	v_cvt_pkrtz_f16_f32 v56, v56, v57
	v_mfma_f32_16x16x16_f16 v[22:25], v[22:23], v[42:43], v[46:49]
	v_cvt_pkrtz_f16_f32 v57, v52, v53
	s_nop 1
	v_cvt_pk_f32_fp8_e32 v[46:47], v10
	v_mfma_f32_16x16x16_f16 v[56:59], v[56:57], v[44:45], v[22:25]
	s_nop 2
	v_cvt_pk_f32_fp8_sdwa v[22:23], v10 src0_sel:WORD_1
	v_cvt_pk_f32_fp8_e32 v[24:25], v11
	v_cvt_pkrtz_f16_f32 v10, v46, v47
	v_cvt_pk_f32_fp8_sdwa v[46:47], v11 src0_sel:WORD_1
	v_cvt_pkrtz_f16_f32 v11, v22, v23
	v_cvt_pkrtz_f16_f32 v52, v24, v25
	ds_read_b128 v[22:25], v50 offset:4096
	v_cvt_pkrtz_f16_f32 v53, v46, v47
	ds_read_b128 v[46:49], v50 offset:4112
	s_waitcnt lgkmcnt(1)
	v_mfma_f32_16x16x16_f16 v[56:59], v[10:11], v[22:23], v[56:59]
	v_cvt_pkrtz_f16_f32 v10, v64, v65
	v_cvt_pkrtz_f16_f32 v11, v66, v67
	v_cvt_pk_f32_fp8_e32 v[64:65], v13
	v_mfma_f32_16x16x16_f16 v[56:59], v[52:53], v[24:25], v[56:59]
	v_cvt_pk_f32_fp8_sdwa v[52:53], v13 src0_sel:WORD_1
	v_cvt_pk_f32_fp8_e32 v[66:67], v4
	v_cvt_pkrtz_f16_f32 v64, v64, v65
	s_waitcnt lgkmcnt(0)
	v_mfma_f32_16x16x16_f16 v[10:13], v[10:11], v[46:47], v[56:59]
	v_cvt_pkrtz_f16_f32 v65, v52, v53
	v_cvt_pk_f32_fp8_e32 v[52:53], v2
	s_nop 0
	v_mfma_f32_16x16x16_f16 v[56:59], v[64:65], v[48:49], v[10:13]
	s_nop 2
	v_cvt_pk_f32_fp8_sdwa v[10:11], v2 src0_sel:WORD_1
	v_cvt_pk_f32_fp8_e32 v[12:13], v3
	v_cvt_pkrtz_f16_f32 v2, v52, v53
	v_cvt_pk_f32_fp8_sdwa v[52:53], v3 src0_sel:WORD_1
	v_cvt_pkrtz_f16_f32 v3, v10, v11
	v_cvt_pkrtz_f16_f32 v64, v12, v13
	ds_read_b128 v[10:13], v50 offset:6144
	v_cvt_pkrtz_f16_f32 v65, v52, v53
	s_waitcnt lgkmcnt(0)
	v_mfma_f32_16x16x16_f16 v[56:59], v[2:3], v[10:11], v[56:59]
	ds_read_b128 v[50:53], v50 offset:6160
	v_cvt_pkrtz_f16_f32 v2, v66, v67
	v_cvt_pkrtz_f16_f32 v3, v68, v69
	v_mfma_f32_16x16x16_f16 v[56:59], v[64:65], v[12:13], v[56:59]
	v_cvt_pk_f32_fp8_e32 v[66:67], v5
	v_cvt_pk_f32_fp8_sdwa v[64:65], v5 src0_sel:WORD_1
	s_waitcnt vmcnt(3)
	v_cvt_pk_f32_fp8_sdwa v[68:69], v28 src0_sel:WORD_1
	s_waitcnt lgkmcnt(0)
	v_mfma_f32_16x16x16_f16 v[2:5], v[2:3], v[50:51], v[56:59]
	v_cvt_pkrtz_f16_f32 v66, v66, v67
	v_cvt_pkrtz_f16_f32 v67, v64, v65
	v_cvt_pk_f32_fp8_e32 v[64:65], v27
	v_cvt_pk_f32_fp8_e32 v[56:57], v26
	v_cvt_pk_f32_fp8_sdwa v[58:59], v26 src0_sel:WORD_1
	v_cvt_pk_f32_fp8_sdwa v[26:27], v27 src0_sel:WORD_1
	v_mfma_f32_16x16x16_f16 v[2:5], v[66:67], v[52:53], v[2:5]
	v_cvt_pkrtz_f16_f32 v56, v56, v57
	v_cvt_pkrtz_f16_f32 v57, v58, v59
	;; [unrolled: 1-line block ×3, first 2 shown]
	v_cvt_pk_f32_fp8_e32 v[66:67], v28
	v_cvt_pkrtz_f16_f32 v65, v26, v27
	v_mfma_f32_16x16x16_f16 v[56:59], v[56:57], v[34:35], 0
	v_cvt_pkrtz_f16_f32 v26, v66, v67
	v_cvt_pkrtz_f16_f32 v27, v68, v69
	v_cvt_pk_f32_fp8_e32 v[66:67], v29
	v_mfma_f32_16x16x16_f16 v[34:37], v[64:65], v[36:37], v[56:59]
	s_barrier
	s_nop 1
	v_cvt_pk_f32_fp8_sdwa v[56:57], v29 src0_sel:WORD_1
	v_cvt_pkrtz_f16_f32 v58, v66, v67
	v_mfma_f32_16x16x16_f16 v[26:29], v[26:27], v[38:39], v[34:37]
	s_waitcnt vmcnt(2)
	v_cvt_pk_f32_fp8_e32 v[38:39], v19
	v_cvt_pkrtz_f16_f32 v59, v56, v57
	v_cvt_pk_f32_fp8_e32 v[34:35], v18
	v_cvt_pk_f32_fp8_sdwa v[36:37], v18 src0_sel:WORD_1
	v_cvt_pk_f32_fp8_sdwa v[18:19], v19 src0_sel:WORD_1
	v_mfma_f32_16x16x16_f16 v[26:29], v[58:59], v[40:41], v[26:29]
	v_cvt_pkrtz_f16_f32 v34, v34, v35
	v_cvt_pkrtz_f16_f32 v35, v36, v37
	;; [unrolled: 1-line block ×3, first 2 shown]
	v_cvt_pk_f32_fp8_e32 v[38:39], v20
	v_cvt_pk_f32_fp8_sdwa v[40:41], v20 src0_sel:WORD_1
	v_cvt_pkrtz_f16_f32 v37, v18, v19
	v_mfma_f32_16x16x16_f16 v[26:29], v[34:35], v[30:31], v[26:29]
	v_cvt_pkrtz_f16_f32 v30, v38, v39
	v_cvt_pkrtz_f16_f32 v31, v40, v41
	v_cvt_pk_f32_fp8_e32 v[34:35], v21
	v_cvt_pk_f32_fp8_sdwa v[38:39], v21 src0_sel:WORD_1
	v_mfma_f32_16x16x16_f16 v[18:21], v[36:37], v[32:33], v[26:29]
	s_waitcnt vmcnt(1)
	v_cvt_pk_f32_fp8_sdwa v[32:33], v16 src0_sel:WORD_1
	s_nop 0
	v_cvt_pkrtz_f16_f32 v26, v34, v35
	v_cvt_pkrtz_f16_f32 v27, v38, v39
	v_mfma_f32_16x16x16_f16 v[18:21], v[30:31], v[42:43], v[18:21]
	v_cvt_pk_f32_fp8_e32 v[28:29], v14
	v_cvt_pk_f32_fp8_sdwa v[30:31], v14 src0_sel:WORD_1
	v_cvt_pkrtz_f16_f32 v28, v28, v29
	v_mfma_f32_16x16x16_f16 v[18:21], v[26:27], v[44:45], v[18:21]
	v_cvt_pk_f32_fp8_e32 v[26:27], v15
	v_cvt_pkrtz_f16_f32 v29, v30, v31
	v_cvt_pk_f32_fp8_sdwa v[14:15], v15 src0_sel:WORD_1
	v_cvt_pk_f32_fp8_e32 v[30:31], v16
	v_cvt_pkrtz_f16_f32 v26, v26, v27
	v_mfma_f32_16x16x16_f16 v[18:21], v[28:29], v[22:23], v[18:21]
	v_cvt_pkrtz_f16_f32 v27, v14, v15
	v_cvt_pkrtz_f16_f32 v22, v30, v31
	;; [unrolled: 1-line block ×3, first 2 shown]
	v_cvt_pk_f32_fp8_e32 v[28:29], v17
	v_cvt_pk_f32_fp8_sdwa v[30:31], v17 src0_sel:WORD_1
	v_mfma_f32_16x16x16_f16 v[14:17], v[26:27], v[24:25], v[18:21]
	s_waitcnt vmcnt(0)
	v_cvt_pk_f32_fp8_sdwa v[24:25], v6 src0_sel:WORD_1
	s_nop 0
	v_pk_mul_f32 v[18:19], v[4:5], s[4:5] op_sel_hi:[1,0]
	v_cvt_pkrtz_f16_f32 v4, v28, v29
	v_cvt_pkrtz_f16_f32 v5, v30, v31
	v_mfma_f32_16x16x16_f16 v[14:17], v[22:23], v[46:47], v[14:17]
	v_cvt_pk_f32_fp8_e32 v[22:23], v6
	v_pk_mul_f32 v[20:21], v[2:3], s[4:5] op_sel_hi:[1,0]
	v_mfma_f32_16x16x16_f16 v[2:5], v[4:5], v[48:49], v[14:17]
	s_nop 3
	v_cvt_pk_f32_fp8_e32 v[14:15], v7
	v_cvt_pkrtz_f16_f32 v16, v22, v23
	v_cvt_pkrtz_f16_f32 v17, v24, v25
	v_cvt_pk_f32_fp8_sdwa v[6:7], v7 src0_sel:WORD_1
	v_cvt_pkrtz_f16_f32 v14, v14, v15
	v_cvt_pk_f32_fp8_e32 v[22:23], v8
	v_cvt_pk_f32_fp8_sdwa v[24:25], v8 src0_sel:WORD_1
	v_cvt_pkrtz_f16_f32 v15, v6, v7
	v_mfma_f32_16x16x16_f16 v[2:5], v[16:17], v[10:11], v[2:5]
	v_cvt_pkrtz_f16_f32 v6, v22, v23
	v_cvt_pkrtz_f16_f32 v7, v24, v25
	v_cvt_pk_f32_fp8_e32 v[10:11], v9
	v_cvt_pk_f32_fp8_sdwa v[8:9], v9 src0_sel:WORD_1
	v_mfma_f32_16x16x16_f16 v[2:5], v[14:15], v[12:13], v[2:5]
	v_cvt_f16_f32_e32 v12, v20
	v_cvt_pkrtz_f16_f32 v10, v10, v11
	v_cvt_pkrtz_f16_f32 v11, v8, v9
	v_mfma_f32_16x16x16_f16 v[2:5], v[6:7], v[50:51], v[2:5]
	v_cvt_f16_f32_e32 v6, v21
	v_cvt_f16_f32_e32 v7, v18
	;; [unrolled: 1-line block ×3, first 2 shown]
	v_mfma_f32_16x16x16_f16 v[2:5], v[10:11], v[52:53], v[2:5]
	s_nop 6
	v_pk_mul_f32 v[4:5], v[4:5], s[4:5] op_sel_hi:[1,0]
	v_pk_mul_f32 v[2:3], v[2:3], s[4:5] op_sel_hi:[1,0]
	v_cvt_f16_f32_e32 v11, v4
	v_cvt_f16_f32_e32 v9, v2
	;; [unrolled: 1-line block ×4, first 2 shown]
	v_pack_b32_f16 v2, v12, v6
	v_pack_b32_f16 v3, v7, v8
	;; [unrolled: 1-line block ×4, first 2 shown]
	ds_write2st64_b64 v55, v[2:3], v[4:5] offset1:1
	s_waitcnt lgkmcnt(0)
	s_barrier
	s_and_saveexec_b64 s[4:5], s[26:27]
	s_cbranch_execz .LBB1047_17
; %bb.16:
	s_load_dwordx2 s[0:1], s[0:1], 0x68
	s_lshl_b32 s6, s6, 7
	s_mul_i32 s2, s7, s2
	v_lshlrev_b32_e32 v3, 6, v60
	s_mul_hi_u32 s5, s2, s6
	s_mul_i32 s4, s2, s6
	v_lshl_or_b32 v0, v0, 10, v3
	s_lshl_b64 s[4:5], s[4:5], 1
	v_and_b32_e32 v2, 16, v62
	v_and_b32_e32 v0, 0x1a00, v0
	s_waitcnt lgkmcnt(0)
	s_add_u32 s4, s0, s4
	v_or3_b32 v0, v0, v61, v2
	s_addc_u32 s5, s1, s5
	s_lshl_b32 s2, s24, 7
	ds_read_b128 v[2:5], v0
	s_lshl_b64 s[0:1], s[2:3], 1
	s_add_u32 s0, s4, s0
	s_addc_u32 s1, s5, s1
	v_mad_u64_u32 v[0:1], s[2:3], s6, v1, 0
	v_lshl_add_u64 v[0:1], v[0:1], 1, s[0:1]
	v_mov_b32_e32 v55, 0
	v_lshl_add_u64 v[0:1], v[0:1], 0, v[54:55]
	s_waitcnt lgkmcnt(0)
	global_store_dwordx4 v[0:1], v[2:5], off
.LBB1047_17:
	s_endpgm
	.section	.rodata,"a",@progbits
	.p2align	6, 0x0
	.amdhsa_kernel _Z39paged_attention_ll4mi_QKV_mfma16_kernelIDF16_hLN4vllm18Fp8KVCacheDataTypeE1EhLi32ELi128ELi256ELb0ELi4EEvPKT_PKT0_S7_ifPKiS9_S9_iPKfiiiPfSC_PS2_PT2_iSB_SB_
		.amdhsa_group_segment_fixed_size 8192
		.amdhsa_private_segment_fixed_size 0
		.amdhsa_kernarg_size 400
		.amdhsa_user_sgpr_count 2
		.amdhsa_user_sgpr_dispatch_ptr 0
		.amdhsa_user_sgpr_queue_ptr 0
		.amdhsa_user_sgpr_kernarg_segment_ptr 1
		.amdhsa_user_sgpr_dispatch_id 0
		.amdhsa_user_sgpr_kernarg_preload_length 0
		.amdhsa_user_sgpr_kernarg_preload_offset 0
		.amdhsa_user_sgpr_private_segment_size 0
		.amdhsa_uses_dynamic_stack 0
		.amdhsa_enable_private_segment 0
		.amdhsa_system_sgpr_workgroup_id_x 1
		.amdhsa_system_sgpr_workgroup_id_y 1
		.amdhsa_system_sgpr_workgroup_id_z 1
		.amdhsa_system_sgpr_workgroup_info 0
		.amdhsa_system_vgpr_workitem_id 0
		.amdhsa_next_free_vgpr 82
		.amdhsa_next_free_sgpr 49
		.amdhsa_accum_offset 84
		.amdhsa_reserve_vcc 1
		.amdhsa_float_round_mode_32 0
		.amdhsa_float_round_mode_16_64 0
		.amdhsa_float_denorm_mode_32 3
		.amdhsa_float_denorm_mode_16_64 3
		.amdhsa_dx10_clamp 1
		.amdhsa_ieee_mode 1
		.amdhsa_fp16_overflow 0
		.amdhsa_tg_split 0
		.amdhsa_exception_fp_ieee_invalid_op 0
		.amdhsa_exception_fp_denorm_src 0
		.amdhsa_exception_fp_ieee_div_zero 0
		.amdhsa_exception_fp_ieee_overflow 0
		.amdhsa_exception_fp_ieee_underflow 0
		.amdhsa_exception_fp_ieee_inexact 0
		.amdhsa_exception_int_div_zero 0
	.end_amdhsa_kernel
	.section	.text._Z39paged_attention_ll4mi_QKV_mfma16_kernelIDF16_hLN4vllm18Fp8KVCacheDataTypeE1EhLi32ELi128ELi256ELb0ELi4EEvPKT_PKT0_S7_ifPKiS9_S9_iPKfiiiPfSC_PS2_PT2_iSB_SB_,"axG",@progbits,_Z39paged_attention_ll4mi_QKV_mfma16_kernelIDF16_hLN4vllm18Fp8KVCacheDataTypeE1EhLi32ELi128ELi256ELb0ELi4EEvPKT_PKT0_S7_ifPKiS9_S9_iPKfiiiPfSC_PS2_PT2_iSB_SB_,comdat
.Lfunc_end1047:
	.size	_Z39paged_attention_ll4mi_QKV_mfma16_kernelIDF16_hLN4vllm18Fp8KVCacheDataTypeE1EhLi32ELi128ELi256ELb0ELi4EEvPKT_PKT0_S7_ifPKiS9_S9_iPKfiiiPfSC_PS2_PT2_iSB_SB_, .Lfunc_end1047-_Z39paged_attention_ll4mi_QKV_mfma16_kernelIDF16_hLN4vllm18Fp8KVCacheDataTypeE1EhLi32ELi128ELi256ELb0ELi4EEvPKT_PKT0_S7_ifPKiS9_S9_iPKfiiiPfSC_PS2_PT2_iSB_SB_
                                        ; -- End function
	.section	.AMDGPU.csdata,"",@progbits
; Kernel info:
; codeLenInByte = 5988
; NumSgprs: 55
; NumVgprs: 82
; NumAgprs: 0
; TotalNumVgprs: 82
; ScratchSize: 0
; MemoryBound: 0
; FloatMode: 240
; IeeeMode: 1
; LDSByteSize: 8192 bytes/workgroup (compile time only)
; SGPRBlocks: 6
; VGPRBlocks: 10
; NumSGPRsForWavesPerEU: 55
; NumVGPRsForWavesPerEU: 82
; AccumOffset: 84
; Occupancy: 5
; WaveLimiterHint : 1
; COMPUTE_PGM_RSRC2:SCRATCH_EN: 0
; COMPUTE_PGM_RSRC2:USER_SGPR: 2
; COMPUTE_PGM_RSRC2:TRAP_HANDLER: 0
; COMPUTE_PGM_RSRC2:TGID_X_EN: 1
; COMPUTE_PGM_RSRC2:TGID_Y_EN: 1
; COMPUTE_PGM_RSRC2:TGID_Z_EN: 1
; COMPUTE_PGM_RSRC2:TIDIG_COMP_CNT: 0
; COMPUTE_PGM_RSRC3_GFX90A:ACCUM_OFFSET: 20
; COMPUTE_PGM_RSRC3_GFX90A:TG_SPLIT: 0
	.section	.text._Z38paged_attention_ll4mi_QKV_mfma4_kernelIDF16_hLN4vllm18Fp8KVCacheDataTypeE1EDF16_Li32ELi128ELi256ELb1ELi1EEvPKT_PKT0_S7_ifPKiS9_S9_iPKfiiiPfSC_PS2_PT2_iSB_SB_,"axG",@progbits,_Z38paged_attention_ll4mi_QKV_mfma4_kernelIDF16_hLN4vllm18Fp8KVCacheDataTypeE1EDF16_Li32ELi128ELi256ELb1ELi1EEvPKT_PKT0_S7_ifPKiS9_S9_iPKfiiiPfSC_PS2_PT2_iSB_SB_,comdat
	.protected	_Z38paged_attention_ll4mi_QKV_mfma4_kernelIDF16_hLN4vllm18Fp8KVCacheDataTypeE1EDF16_Li32ELi128ELi256ELb1ELi1EEvPKT_PKT0_S7_ifPKiS9_S9_iPKfiiiPfSC_PS2_PT2_iSB_SB_ ; -- Begin function _Z38paged_attention_ll4mi_QKV_mfma4_kernelIDF16_hLN4vllm18Fp8KVCacheDataTypeE1EDF16_Li32ELi128ELi256ELb1ELi1EEvPKT_PKT0_S7_ifPKiS9_S9_iPKfiiiPfSC_PS2_PT2_iSB_SB_
	.globl	_Z38paged_attention_ll4mi_QKV_mfma4_kernelIDF16_hLN4vllm18Fp8KVCacheDataTypeE1EDF16_Li32ELi128ELi256ELb1ELi1EEvPKT_PKT0_S7_ifPKiS9_S9_iPKfiiiPfSC_PS2_PT2_iSB_SB_
	.p2align	8
	.type	_Z38paged_attention_ll4mi_QKV_mfma4_kernelIDF16_hLN4vllm18Fp8KVCacheDataTypeE1EDF16_Li32ELi128ELi256ELb1ELi1EEvPKT_PKT0_S7_ifPKiS9_S9_iPKfiiiPfSC_PS2_PT2_iSB_SB_,@function
_Z38paged_attention_ll4mi_QKV_mfma4_kernelIDF16_hLN4vllm18Fp8KVCacheDataTypeE1EDF16_Li32ELi128ELi256ELb1ELi1EEvPKT_PKT0_S7_ifPKiS9_S9_iPKfiiiPfSC_PS2_PT2_iSB_SB_: ; @_Z38paged_attention_ll4mi_QKV_mfma4_kernelIDF16_hLN4vllm18Fp8KVCacheDataTypeE1EDF16_Li32ELi128ELi256ELb1ELi1EEvPKT_PKT0_S7_ifPKiS9_S9_iPKfiiiPfSC_PS2_PT2_iSB_SB_
; %bb.0:
	s_load_dwordx2 s[8:9], s[0:1], 0x30
	s_mov_b32 s20, s3
	s_mov_b64 s[6:7], 0
	s_waitcnt lgkmcnt(0)
	s_cmp_lg_u64 s[8:9], 0
	s_cselect_b64 s[10:11], -1, 0
	s_and_b64 vcc, exec, s[10:11]
	s_cbranch_vccz .LBB1048_10
; %bb.1:
	s_add_i32 s12, s2, 1
	s_mov_b32 s13, 0
	s_lshl_b64 s[14:15], s[12:13], 2
	s_add_u32 s14, s8, s14
	s_mov_b32 s3, s13
	s_addc_u32 s15, s9, s15
	s_lshl_b64 s[12:13], s[2:3], 2
	s_add_u32 s12, s8, s12
	s_addc_u32 s13, s9, s13
	s_load_dword s5, s[14:15], 0x0
	s_load_dword s16, s[12:13], 0x0
	s_waitcnt lgkmcnt(0)
	s_sub_i32 s5, s5, s16
	s_cmp_eq_u32 s5, 1
	s_cselect_b64 s[12:13], -1, 0
	s_andn2_b64 vcc, exec, s[6:7]
	s_cbranch_vccnz .LBB1048_3
.LBB1048_2:
	s_mov_b32 s3, 0
	s_mov_b64 s[12:13], -1
.LBB1048_3:
	s_andn2_b64 vcc, exec, s[12:13]
	s_cbranch_vccnz .LBB1048_27
; %bb.4:
	s_load_dword s5, s[0:1], 0x9c
	s_load_dwordx2 s[6:7], s[0:1], 0x28
	s_add_u32 s24, s0, 0x90
	s_addc_u32 s25, s1, 0
	s_lshl_b64 s[28:29], s[2:3], 2
	s_waitcnt lgkmcnt(0)
	s_and_b32 s5, s5, 0xffff
	s_add_u32 s6, s6, s28
	s_addc_u32 s7, s7, s29
	s_load_dword s3, s[6:7], 0x0
	s_mul_i32 s5, s20, s5
	s_waitcnt lgkmcnt(0)
	s_cmp_ge_i32 s5, s3
	s_cbranch_scc1 .LBB1048_27
; %bb.5:
	v_and_b32_e32 v1, 0xc0, v0
	v_add_u32_e32 v4, s5, v1
	v_lshrrev_b32_e32 v46, 6, v0
	v_cmp_le_i32_e64 s[6:7], s3, v4
                                        ; implicit-def: $sgpr30
                                        ; implicit-def: $sgpr21
	s_and_saveexec_b64 s[12:13], s[6:7]
	s_xor_b64 s[12:13], exec, s[12:13]
	s_cbranch_execz .LBB1048_7
; %bb.6:
	v_mul_u32_u24_e32 v1, 20, v46
	v_or_b32_e32 v1, 0x1400, v1
	v_mov_b32_e32 v2, 0x1450
	v_mov_b32_e32 v3, 0xff7fffff
	v_mad_u32_u24 v2, v46, 20, v2
	ds_write2_b32 v1, v3, v3 offset1:1
	v_mov_b32_e32 v1, 0
	ds_write2_b32 v2, v1, v1 offset1:1
	v_mov_b32_e32 v2, 0x1408
	v_mov_b32_e32 v4, 0x1458
	s_mov_b32 s21, 0xff7fffff
	s_mov_b32 s30, 0
	v_mad_u32_u24 v2, v46, 20, v2
	v_mad_u32_u24 v4, v46, 20, v4
	ds_write2_b32 v2, v3, v3 offset1:1
	ds_write2_b32 v4, v1, v1 offset1:1
                                        ; implicit-def: $vgpr4
.LBB1048_7:
	s_or_saveexec_b64 s[26:27], s[12:13]
	s_load_dwordx2 s[22:23], s[0:1], 0x68
	s_load_dwordx4 s[16:19], s[0:1], 0x58
	s_load_dword s33, s[24:25], 0x4
	s_load_dwordx4 s[12:15], s[0:1], 0x80
	v_and_b32_e32 v1, 63, v0
	v_and_b32_e32 v47, 3, v0
	v_mov_b32_e32 v37, s30
	v_mov_b32_e32 v39, s21
	;; [unrolled: 1-line block ×5, first 2 shown]
                                        ; implicit-def: $vgpr26_vgpr27
                                        ; implicit-def: $vgpr10_vgpr11
                                        ; implicit-def: $vgpr30_vgpr31
                                        ; implicit-def: $vgpr18_vgpr19
                                        ; implicit-def: $vgpr6_vgpr7
                                        ; implicit-def: $vgpr2_vgpr3
                                        ; implicit-def: $vgpr22_vgpr23
                                        ; implicit-def: $vgpr14_vgpr15
	s_xor_b64 exec, exec, s[26:27]
	s_cbranch_execz .LBB1048_19
; %bb.8:
	s_load_dwordx2 s[30:31], s[0:1], 0x20
	s_load_dword s21, s[0:1], 0x38
	s_add_i32 s34, s3, 31
	s_ashr_i32 s35, s34, 31
	s_lshr_b32 s35, s35, 27
	v_add_u32_e32 v48, s5, v0
	s_add_i32 s34, s34, s35
	v_ashrrev_i32_e32 v2, 31, v48
	s_ashr_i32 s34, s34, 5
	v_lshrrev_b32_e32 v2, 27, v2
	s_add_i32 s36, s34, -1
	s_waitcnt lgkmcnt(0)
	s_mul_i32 s34, s2, s21
	s_mov_b32 s35, 0
	v_add_u32_e32 v2, v48, v2
	s_lshl_b64 s[34:35], s[34:35], 2
	v_ashrrev_i32_e32 v2, 5, v2
	v_mov_b32_e32 v3, s36
	v_cmp_gt_i32_e32 vcc, s3, v48
	s_add_u32 s30, s30, s34
	s_addc_u32 s31, s31, s35
	v_cndmask_b32_e32 v2, v3, v2, vcc
	v_ashrrev_i32_e32 v3, 31, v2
	v_lshl_add_u64 v[6:7], v[2:3], 2, s[30:31]
	v_ashrrev_i32_e32 v2, 31, v4
	v_lshrrev_b32_e32 v2, 27, v2
	v_add_u32_e32 v2, v4, v2
	v_ashrrev_i32_e32 v8, 5, v2
	v_min_i32_e32 v2, s36, v8
	v_ashrrev_i32_e32 v3, 31, v2
	v_lshl_add_u64 v[4:5], v[2:3], 2, s[30:31]
	v_add_u32_e32 v2, 1, v8
	v_min_i32_e32 v2, s36, v2
	v_ashrrev_i32_e32 v3, 31, v2
	v_lshl_add_u64 v[8:9], v[2:3], 2, s[30:31]
	global_load_dword v2, v[6:7], off
	global_load_dword v27, v[4:5], off
	;; [unrolled: 1-line block ×3, first 2 shown]
	s_load_dwordx2 s[34:35], s[0:1], 0x8
	s_andn2_b64 vcc, exec, s[10:11]
	s_cbranch_vccnz .LBB1048_11
; %bb.9:
	s_add_u32 s8, s8, s28
	s_addc_u32 s9, s9, s29
	s_load_dword s5, s[8:9], 0x0
	s_branch .LBB1048_12
.LBB1048_10:
	s_mov_b64 s[12:13], 0
	s_branch .LBB1048_2
.LBB1048_11:
	s_mov_b32 s5, s2
.LBB1048_12:
	s_load_dwordx2 s[28:29], s[0:1], 0x10
	s_load_dwordx4 s[8:11], s[0:1], 0x48
	v_cmp_eq_u32_e32 vcc, 0, v47
	s_mov_b32 s31, 0
	v_mov_b32_e32 v43, 0
	v_mov_b32_e32 v14, 0
	v_mov_b32_e32 v15, 0
	v_mov_b32_e32 v16, 0
	v_mov_b32_e32 v17, 0
	s_and_saveexec_b64 s[36:37], vcc
	s_cbranch_execz .LBB1048_14
; %bb.13:
	s_load_dwordx2 s[38:39], s[0:1], 0x0
	s_waitcnt lgkmcnt(0)
	s_ashr_i32 s11, s8, 31
	s_mul_hi_u32 s21, s5, s8
	s_mul_i32 s11, s5, s11
	s_add_i32 s41, s21, s11
	s_mul_i32 s40, s5, s8
	s_lshl_b64 s[40:41], s[40:41], 1
	s_add_u32 s5, s38, s40
	s_addc_u32 s8, s39, s41
	s_lshl_b32 s30, s4, 7
	s_lshl_b64 s[38:39], s[30:31], 1
	s_add_u32 s38, s5, s38
	s_addc_u32 s39, s8, s39
	v_lshlrev_b32_e32 v3, 2, v1
	global_load_dwordx4 v[14:17], v3, s[38:39]
.LBB1048_14:
	s_or_b64 exec, exec, s[36:37]
	s_waitcnt lgkmcnt(0)
	s_mul_i32 s8, s4, s10
	s_add_u32 s10, s8, s34
	s_addc_u32 s11, 0, s35
	v_mov_b64_e32 v[4:5], s[10:11]
	s_waitcnt vmcnt(2)
	v_mad_i64_i32 v[2:3], s[10:11], v2, s9, v[4:5]
	v_lshlrev_b32_e32 v4, 4, v0
	v_and_b32_e32 v42, 0x1f0, v4
	v_lshl_add_u64 v[28:29], v[2:3], 0, v[42:43]
	global_load_dwordx4 v[10:13], v[28:29], off
	global_load_dwordx4 v[6:9], v[28:29], off offset:512
	global_load_dwordx4 v[2:5], v[28:29], off offset:1024
	;; [unrolled: 1-line block ×7, first 2 shown]
	v_mov_b32_e32 v42, 0
	s_and_saveexec_b64 s[10:11], vcc
	s_cbranch_execz .LBB1048_16
; %bb.15:
	s_load_dwordx2 s[34:35], s[0:1], 0x40
	s_mov_b32 s5, s31
	s_lshl_b64 s[30:31], s[4:5], 2
	v_mov_b32_e32 v43, 1.0
	s_waitcnt lgkmcnt(0)
	s_add_u32 s30, s34, s30
	s_addc_u32 s31, s35, s31
	s_load_dword s5, s[30:31], 0x0
	s_waitcnt lgkmcnt(0)
	v_mov_b32_e32 v42, s5
.LBB1048_16:
	s_or_b64 exec, exec, s[10:11]
	s_waitcnt vmcnt(9)
	v_mul_hi_i32 v28, v27, s9
	v_ashrrev_i32_e32 v28, 31, v28
	s_add_u32 s10, s28, s8
	v_lshrrev_b32_e32 v28, 29, v28
	v_mov_b32_e32 v29, 0
	s_addc_u32 s11, s29, 0
	v_mad_i64_i32 v[44:45], s[28:29], v27, s9, v[28:29]
	v_and_b32_e32 v44, -8, v44
	s_waitcnt vmcnt(8)
	v_mul_hi_i32 v27, v26, s9
	v_lshl_add_u64 v[44:45], s[10:11], 0, v[44:45]
	v_lshlrev_b32_e32 v28, 5, v1
	v_ashrrev_i32_e32 v27, 31, v27
	v_lshl_add_u64 v[50:51], v[44:45], 0, v[28:29]
	v_lshrrev_b32_e32 v44, 29, v27
	v_mov_b32_e32 v45, v29
	v_mad_i64_i32 v[26:27], s[8:9], v26, s9, v[44:45]
	v_and_b32_e32 v26, -8, v26
	s_waitcnt vmcnt(7)
	v_cvt_pk_f32_fp8_e32 v[52:53], v10
	v_cvt_pk_f32_fp8_sdwa v[54:55], v10 src0_sel:WORD_1
	v_lshl_add_u64 v[26:27], s[10:11], 0, v[26:27]
	v_lshl_add_u64 v[44:45], v[26:27], 0, v[28:29]
	v_cvt_pk_f32_fp8_e32 v[26:27], v11
	v_cvt_pk_f32_fp8_sdwa v[10:11], v11 src0_sel:WORD_1
	v_cvt_pkrtz_f16_f32 v28, v52, v53
	v_cvt_pkrtz_f16_f32 v29, v54, v55
	;; [unrolled: 1-line block ×4, first 2 shown]
	v_mfma_f32_4x4x4_16b_f16 a[0:3], v[14:15], v[28:29], 0 cbsz:4
	v_cvt_pk_f32_fp8_e32 v[10:11], v12
	v_cvt_pk_f32_fp8_e32 v[28:29], v13
	v_mfma_f32_4x4x4_16b_f16 a[0:3], v[16:17], v[26:27], a[0:3] cbsz:4
	v_cvt_pk_f32_fp8_sdwa v[26:27], v12 src0_sel:WORD_1
	v_cvt_pk_f32_fp8_sdwa v[12:13], v13 src0_sel:WORD_1
	v_cvt_pkrtz_f16_f32 v10, v10, v11
	s_waitcnt vmcnt(4)
	v_cvt_pk_f32_fp8_e32 v[52:53], v41
	v_cvt_pkrtz_f16_f32 v11, v26, v27
	v_cvt_pkrtz_f16_f32 v26, v28, v29
	;; [unrolled: 1-line block ×3, first 2 shown]
	v_mfma_f32_4x4x4_16b_f16 a[0:3], v[14:15], v[10:11], a[0:3] cbsz:4 abid:1
	v_cvt_pk_f32_fp8_e32 v[10:11], v6
	v_cvt_pk_f32_fp8_sdwa v[12:13], v6 src0_sel:WORD_1
	v_mfma_f32_4x4x4_16b_f16 a[0:3], v[16:17], v[26:27], a[0:3] cbsz:4 abid:1
	v_cvt_pk_f32_fp8_e32 v[26:27], v7
	v_cvt_pk_f32_fp8_sdwa v[6:7], v7 src0_sel:WORD_1
	v_cvt_pkrtz_f16_f32 v28, v10, v11
	v_cvt_pkrtz_f16_f32 v29, v12, v13
	;; [unrolled: 1-line block ×4, first 2 shown]
	v_mfma_f32_4x4x4_16b_f16 a[0:3], v[14:15], v[28:29], a[0:3] cbsz:4 abid:2
	v_cvt_pk_f32_fp8_e32 v[6:7], v8
	v_cvt_pk_f32_fp8_sdwa v[28:29], v8 src0_sel:WORD_1
	v_mfma_f32_4x4x4_16b_f16 a[0:3], v[16:17], v[26:27], a[0:3] cbsz:4 abid:2
	v_cvt_pk_f32_fp8_e32 v[26:27], v9
	v_cvt_pkrtz_f16_f32 v6, v6, v7
	v_cvt_pkrtz_f16_f32 v7, v28, v29
	v_cvt_pk_f32_fp8_sdwa v[8:9], v9 src0_sel:WORD_1
	v_cvt_pk_f32_fp8_sdwa v[28:29], v2 src0_sel:WORD_1
	v_mfma_f32_4x4x4_16b_f16 a[0:3], v[14:15], v[6:7], a[0:3] cbsz:4 abid:3
	v_cvt_pk_f32_fp8_e32 v[6:7], v2
	v_cvt_pkrtz_f16_f32 v26, v26, v27
	v_cvt_pkrtz_f16_f32 v27, v8, v9
	v_cvt_pk_f32_fp8_sdwa v[8:9], v3 src0_sel:WORD_1
	v_cvt_pkrtz_f16_f32 v2, v6, v7
	v_cvt_pk_f32_fp8_e32 v[6:7], v3
	v_mfma_f32_4x4x4_16b_f16 a[0:3], v[16:17], v[26:27], a[0:3] cbsz:4 abid:3
	v_cvt_pkrtz_f16_f32 v3, v28, v29
	global_load_dwordx4 v[10:13], v[50:51], off offset:16
	global_load_dwordx4 v[26:29], v[50:51], off
	v_mfma_f32_4x4x4_16b_f16 a[0:3], v[14:15], v[2:3], a[0:3] cbsz:4 abid:4
	v_cvt_pkrtz_f16_f32 v6, v6, v7
	v_cvt_pkrtz_f16_f32 v7, v8, v9
	v_cvt_pk_f32_fp8_e32 v[2:3], v4
	v_cvt_pk_f32_fp8_e32 v[8:9], v5
	v_mfma_f32_4x4x4_16b_f16 a[0:3], v[16:17], v[6:7], a[0:3] cbsz:4 abid:4
	v_cvt_pk_f32_fp8_sdwa v[6:7], v4 src0_sel:WORD_1
	v_cvt_pk_f32_fp8_sdwa v[4:5], v5 src0_sel:WORD_1
	v_cvt_pkrtz_f16_f32 v2, v2, v3
	s_load_dword s0, s[0:1], 0x1c
	v_cvt_pkrtz_f16_f32 v3, v6, v7
	v_cvt_pkrtz_f16_f32 v7, v4, v5
	v_cvt_pk_f32_fp8_sdwa v[4:5], v38 src0_sel:WORD_1
	v_mfma_f32_4x4x4_16b_f16 a[0:3], v[14:15], v[2:3], a[0:3] cbsz:4 abid:5
	v_cvt_pk_f32_fp8_e32 v[2:3], v38
	v_cvt_pkrtz_f16_f32 v6, v8, v9
	v_cvt_pk_f32_fp8_sdwa v[8:9], v39 src0_sel:WORD_1
	s_load_dword s1, s[12:13], 0x0
	v_mfma_f32_4x4x4_16b_f16 a[0:3], v[16:17], v[6:7], a[0:3] cbsz:4 abid:5
	v_cvt_pk_f32_fp8_e32 v[6:7], v39
	v_cvt_pkrtz_f16_f32 v38, v2, v3
	v_cvt_pkrtz_f16_f32 v39, v4, v5
	global_load_dwordx4 v[2:5], v[50:51], off offset:2064
	v_cvt_pkrtz_f16_f32 v6, v6, v7
	v_mfma_f32_4x4x4_16b_f16 a[0:3], v[14:15], v[38:39], a[0:3] cbsz:4 abid:6
	v_cvt_pk_f32_fp8_sdwa v[38:39], v40 src0_sel:WORD_1
	v_cvt_pkrtz_f16_f32 v7, v8, v9
	v_cvt_pk_f32_fp8_e32 v[8:9], v40
	v_cvt_pkrtz_f16_f32 v40, v52, v53
	v_cvt_pkrtz_f16_f32 v55, v38, v39
	v_cvt_pk_f32_fp8_sdwa v[38:39], v41 src0_sel:WORD_1
	v_mfma_f32_4x4x4_16b_f16 a[0:3], v[16:17], v[6:7], a[0:3] cbsz:4 abid:6
	v_cvt_pkrtz_f16_f32 v54, v8, v9
	global_load_dwordx4 v[6:9], v[50:51], off offset:2048
	s_waitcnt vmcnt(7)
	v_cvt_pk_f32_fp8_e32 v[50:51], v18
	v_cvt_pk_f32_fp8_sdwa v[52:53], v18 src0_sel:WORD_1
	v_mfma_f32_4x4x4_16b_f16 a[0:3], v[14:15], v[54:55], a[0:3] cbsz:4 abid:7
	v_cvt_pkrtz_f16_f32 v41, v38, v39
	v_cvt_pk_f32_fp8_e32 v[38:39], v19
	v_cvt_pk_f32_fp8_sdwa v[18:19], v19 src0_sel:WORD_1
	v_mfma_f32_4x4x4_16b_f16 a[0:3], v[16:17], v[40:41], a[0:3] cbsz:4 abid:7
	v_cvt_pkrtz_f16_f32 v40, v50, v51
	v_cvt_pkrtz_f16_f32 v41, v52, v53
	;; [unrolled: 1-line block ×4, first 2 shown]
	v_mfma_f32_4x4x4_16b_f16 a[0:3], v[14:15], v[40:41], a[0:3] cbsz:4 abid:8
	v_cvt_pk_f32_fp8_e32 v[40:41], v20
	v_cvt_pk_f32_fp8_e32 v[50:51], v21
	v_mfma_f32_4x4x4_16b_f16 a[0:3], v[16:17], v[38:39], a[0:3] cbsz:4 abid:8
	v_cvt_pk_f32_fp8_sdwa v[38:39], v20 src0_sel:WORD_1
	v_cvt_pk_f32_fp8_sdwa v[52:53], v21 src0_sel:WORD_1
	v_cvt_pkrtz_f16_f32 v40, v40, v41
	global_load_dwordx4 v[18:21], v[44:45], off offset:16
	v_cvt_pkrtz_f16_f32 v41, v38, v39
	v_cvt_pkrtz_f16_f32 v38, v50, v51
	;; [unrolled: 1-line block ×3, first 2 shown]
	v_mfma_f32_4x4x4_16b_f16 a[0:3], v[14:15], v[40:41], a[0:3] cbsz:4 abid:9
	s_waitcnt vmcnt(7)
	v_cvt_pk_f32_fp8_sdwa v[40:41], v30 src0_sel:WORD_1
	v_cvt_pk_f32_fp8_e32 v[50:51], v31
	v_mfma_f32_4x4x4_16b_f16 a[0:3], v[16:17], v[38:39], a[0:3] cbsz:4 abid:9
	v_cvt_pk_f32_fp8_e32 v[38:39], v30
	v_cvt_pk_f32_fp8_sdwa v[30:31], v31 src0_sel:WORD_1
	v_cvt_pk_f32_fp8_sdwa v[52:53], v33 src0_sel:WORD_1
	v_cmp_eq_u32_e32 vcc, 1, v47
	v_cvt_pkrtz_f16_f32 v38, v38, v39
	v_cvt_pkrtz_f16_f32 v39, v40, v41
	;; [unrolled: 1-line block ×4, first 2 shown]
	v_mfma_f32_4x4x4_16b_f16 a[0:3], v[14:15], v[38:39], a[0:3] cbsz:4 abid:10
	v_cvt_pk_f32_fp8_e32 v[38:39], v32
	v_cvt_pk_f32_fp8_e32 v[50:51], v33
	v_mfma_f32_4x4x4_16b_f16 a[0:3], v[16:17], v[40:41], a[0:3] cbsz:4 abid:10
	v_cvt_pk_f32_fp8_sdwa v[40:41], v32 src0_sel:WORD_1
	global_load_dwordx4 v[30:33], v[44:45], off
	v_cvt_pkrtz_f16_f32 v38, v38, v39
	v_cvt_pkrtz_f16_f32 v39, v40, v41
	;; [unrolled: 1-line block ×3, first 2 shown]
	s_nop 0
	v_mfma_f32_4x4x4_16b_f16 a[0:3], v[14:15], v[38:39], a[0:3] cbsz:4 abid:11
	v_cvt_pkrtz_f16_f32 v41, v52, v53
	s_waitcnt vmcnt(7)
	v_cvt_pk_f32_fp8_e32 v[38:39], v34
	v_cvt_pk_f32_fp8_e32 v[50:51], v35
	v_mfma_f32_4x4x4_16b_f16 a[0:3], v[16:17], v[40:41], a[0:3] cbsz:4 abid:11
	v_cvt_pk_f32_fp8_sdwa v[40:41], v34 src0_sel:WORD_1
	v_cvt_pk_f32_fp8_sdwa v[34:35], v35 src0_sel:WORD_1
	v_cvt_pkrtz_f16_f32 v38, v38, v39
	v_cvt_pkrtz_f16_f32 v39, v40, v41
	;; [unrolled: 1-line block ×3, first 2 shown]
	s_nop 0
	v_mfma_f32_4x4x4_16b_f16 a[0:3], v[14:15], v[38:39], a[0:3] cbsz:4 abid:12
	v_cvt_pk_f32_fp8_e32 v[34:35], v36
	v_cvt_pk_f32_fp8_sdwa v[38:39], v36 src0_sel:WORD_1
	v_cvt_pkrtz_f16_f32 v40, v50, v51
	v_cvt_pkrtz_f16_f32 v34, v34, v35
	s_nop 0
	v_mfma_f32_4x4x4_16b_f16 a[0:3], v[16:17], v[40:41], a[0:3] cbsz:4 abid:12
	v_cvt_pk_f32_fp8_e32 v[40:41], v37
	v_cvt_pk_f32_fp8_sdwa v[36:37], v37 src0_sel:WORD_1
	v_cvt_pkrtz_f16_f32 v35, v38, v39
	v_cvt_pkrtz_f16_f32 v38, v40, v41
	s_nop 0
	v_mfma_f32_4x4x4_16b_f16 a[0:3], v[14:15], v[34:35], a[0:3] cbsz:4 abid:13
	v_cvt_pkrtz_f16_f32 v39, v36, v37
	s_waitcnt vmcnt(6)
	v_cvt_pk_f32_fp8_e32 v[34:35], v22
	v_cvt_pk_f32_fp8_sdwa v[36:37], v22 src0_sel:WORD_1
	v_mfma_f32_4x4x4_16b_f16 a[0:3], v[16:17], v[38:39], a[0:3] cbsz:4 abid:13
	v_cvt_pk_f32_fp8_e32 v[38:39], v23
	v_cvt_pk_f32_fp8_sdwa v[22:23], v23 src0_sel:WORD_1
	v_cvt_pkrtz_f16_f32 v34, v34, v35
	v_cvt_pkrtz_f16_f32 v35, v36, v37
	;; [unrolled: 1-line block ×4, first 2 shown]
	v_mfma_f32_4x4x4_16b_f16 a[0:3], v[14:15], v[34:35], a[0:3] cbsz:4 abid:14
	v_cvt_pk_f32_fp8_e32 v[22:23], v24
	v_cvt_pk_f32_fp8_sdwa v[34:35], v24 src0_sel:WORD_1
	v_mfma_f32_4x4x4_16b_f16 a[0:3], v[16:17], v[36:37], a[0:3] cbsz:4 abid:14
	v_cvt_pk_f32_fp8_e32 v[36:37], v25
	v_cvt_pk_f32_fp8_sdwa v[24:25], v25 src0_sel:WORD_1
	v_cvt_pkrtz_f16_f32 v22, v22, v23
	v_cvt_pkrtz_f16_f32 v23, v34, v35
	;; [unrolled: 1-line block ×4, first 2 shown]
	v_mfma_f32_4x4x4_16b_f16 a[0:3], v[14:15], v[22:23], a[0:3] cbsz:4 abid:15
	s_waitcnt lgkmcnt(0)
	v_mov_b32_e32 v14, s0
	v_mov_b32_e32 v41, 0xff7fffff
	v_mfma_f32_4x4x4_16b_f16 a[0:3], v[16:17], v[34:35], a[0:3] cbsz:4 abid:15
	v_mul_f32_e32 v34, s1, v14
	s_nop 3
	v_accvgpr_read_b32 v15, a1
	v_accvgpr_read_b32 v14, a0
	v_pk_mul_f32 v[36:37], v[14:15], v[34:35] op_sel_hi:[1,0]
	global_load_dwordx4 v[14:17], v[44:45], off offset:2064
	global_load_dwordx4 v[22:25], v[44:45], off offset:2048
	v_accvgpr_read_b32 v39, a3
	v_accvgpr_read_b32 v38, a2
	v_pk_mul_f32 v[34:35], v[38:39], v[34:35] op_sel_hi:[1,0]
	v_mfma_f32_4x4x1_16b_f32 a[0:3], v36, v43, 0
	v_cndmask_b32_e64 v36, 0, 1.0, vcc
	v_cmp_eq_u32_e32 vcc, 2, v47
	s_nop 0
	v_mfma_f32_4x4x1_16b_f32 a[0:3], v37, v36, a[0:3]
	v_cndmask_b32_e64 v36, 0, 1.0, vcc
	v_cmp_eq_u32_e32 vcc, 3, v47
	s_nop 0
	v_mfma_f32_4x4x1_16b_f32 a[0:3], v34, v36, a[0:3]
	v_cndmask_b32_e64 v34, 0, 1.0, vcc
	s_nop 1
	v_mfma_f32_4x4x1_16b_f32 a[0:3], v35, v34, a[0:3]
	v_and_b32_e32 v34, -4, v48
	v_subrev_u32_e32 v35, s3, v34
	v_add_u32_e32 v36, 1, v35
	v_cvt_f32_i32_e32 v36, v36
	v_add_u32_e32 v37, 2, v35
	v_cvt_f32_i32_e32 v37, v37
	v_accvgpr_read_b32 v38, a0
	v_fma_f32 v36, v42, v36, v38
	v_accvgpr_read_b32 v38, a1
	v_fma_f32 v37, v42, v37, v38
	v_add_u32_e32 v38, 3, v35
	v_cvt_f32_i32_e32 v38, v38
	v_add_u32_e32 v35, 4, v35
	v_cvt_f32_i32_e32 v35, v35
	v_accvgpr_read_b32 v39, a2
	v_fma_f32 v38, v42, v38, v39
	v_max_f32_e32 v39, 0xff7fffff, v36
	v_cmp_gt_i32_e32 vcc, s3, v34
	v_accvgpr_read_b32 v40, a3
	v_fmac_f32_e32 v40, v42, v35
	v_cndmask_b32_e32 v39, v41, v39, vcc
	v_or_b32_e32 v41, 1, v34
	v_max_f32_e32 v42, v39, v37
	v_cmp_gt_i32_e64 s[0:1], s3, v41
	v_or_b32_e32 v34, 2, v34
	v_cmp_gt_i32_e64 s[8:9], s3, v34
	v_cndmask_b32_e64 v39, v39, v42, s[0:1]
	v_max_f32_e32 v41, v39, v38
	v_cndmask_b32_e64 v34, v39, v41, s[8:9]
	v_or_b32_e32 v39, 3, v48
	v_max_f32_e32 v41, v34, v40
	v_cmp_gt_i32_e64 s[10:11], s3, v39
	v_lshlrev_b32_e32 v35, 2, v0
	v_and_or_b32 v35, v35, 48, v47
	v_cndmask_b32_e64 v34, v34, v41, s[10:11]
	;;#ASMSTART
	v_nop
 v_nop
 v_max_f32_dpp v34, v34, v34 row_ror:4
	;;#ASMEND
	v_lshlrev_b32_e32 v41, 2, v35
	;;#ASMSTART
	v_nop
 v_nop
 v_max_f32_dpp v34, v34, v34 row_ror:8
	;;#ASMEND
	ds_bpermute_b32 v34, v41, v34
	s_waitcnt lgkmcnt(0)
	;;#ASMSTART
	v_nop
 v_nop
 v_max_f32_dpp v34, v34, v34 row_ror:4
	;;#ASMEND
	s_nop 0
	;;#ASMSTART
	v_nop
 v_nop
 v_max_f32_dpp v39, v34, v34 row_ror:8
	;;#ASMEND
	s_nop 0
	v_sub_f32_e32 v34, v36, v39
	v_mul_f32_e32 v34, 0x3fb8aa3b, v34
	v_sub_f32_e32 v35, v37, v39
	v_exp_f32_e32 v34, v34
	v_mul_f32_e32 v35, 0x3fb8aa3b, v35
	v_sub_f32_e32 v37, v38, v39
	v_exp_f32_e32 v35, v35
	;; [unrolled: 3-line block ×3, first 2 shown]
	v_mul_f32_e32 v38, 0x3fb8aa3b, v38
	v_exp_f32_e32 v38, v38
	v_cndmask_b32_e32 v34, 0, v34, vcc
	v_add_f32_e32 v36, 0, v34
	v_cndmask_b32_e64 v35, 0, v35, s[0:1]
	v_add_f32_e32 v40, v36, v35
	v_cndmask_b32_e64 v36, 0, v37, s[8:9]
	v_add_f32_e32 v40, v40, v36
	v_cndmask_b32_e64 v37, 0, v38, s[10:11]
	v_add_f32_e32 v38, v40, v37
	;;#ASMSTART
	v_nop
 v_nop
 v_add_f32_dpp v38, v38, v38 row_ror:4
	;;#ASMEND
	v_cmp_gt_u32_e32 vcc, 4, v1
	;;#ASMSTART
	v_nop
 v_nop
 v_add_f32_dpp v38, v38, v38 row_ror:8
	;;#ASMEND
	ds_bpermute_b32 v38, v41, v38
	s_waitcnt lgkmcnt(0)
	;;#ASMSTART
	v_nop
 v_nop
 v_add_f32_dpp v38, v38, v38 row_ror:4
	;;#ASMEND
	s_nop 0
	;;#ASMSTART
	v_nop
 v_nop
 v_add_f32_dpp v38, v38, v38 row_ror:8
	;;#ASMEND
	s_and_saveexec_b64 s[0:1], vcc
	s_cbranch_execz .LBB1048_18
; %bb.17:
	v_mul_u32_u24_e32 v40, 20, v46
	v_lshl_add_u32 v40, v47, 2, v40
	v_add_u32_e32 v40, 0x1400, v40
	ds_write2_b32 v40, v39, v38 offset1:20
.LBB1048_18:
	s_or_b64 exec, exec, s[0:1]
.LBB1048_19:
	s_or_b64 exec, exec, s[26:27]
	s_waitcnt lgkmcnt(0)
	s_barrier
	s_load_dword s0, s[24:25], 0x8
	v_lshlrev_b32_e32 v38, 2, v47
	v_add_u32_e32 v41, 0x1400, v38
	ds_read2_b32 v[42:43], v41 offset1:5
	ds_read2_b32 v[44:45], v41 offset0:10 offset1:15
	s_mul_i32 s1, s33, s2
	s_waitcnt lgkmcnt(0)
	s_mul_i32 s0, s1, s0
	s_mov_b32 s1, 0xff7fffff
	v_max3_f32 v38, v42, s1, v43
	v_max3_f32 v40, v38, v44, v45
	v_sub_f32_e32 v38, v42, v40
	v_sub_f32_e32 v42, v43, v40
	v_mul_f32_e32 v42, 0x3fb8aa3b, v42
	ds_read2_b32 v[48:49], v41 offset0:20 offset1:25
	v_mul_f32_e32 v38, 0x3fb8aa3b, v38
	v_exp_f32_e32 v51, v42
	ds_read2_b32 v[42:43], v41 offset0:30 offset1:35
	v_sub_f32_e32 v41, v44, v40
	v_exp_f32_e32 v50, v38
	v_mul_f32_e32 v41, 0x3fb8aa3b, v41
	v_exp_f32_e32 v44, v41
	v_sub_f32_e32 v41, v45, v40
	v_mul_f32_e32 v41, 0x3fb8aa3b, v41
	v_exp_f32_e32 v45, v41
	s_waitcnt lgkmcnt(1)
	v_fma_f32 v41, v50, v48, 0
	v_fmac_f32_e32 v41, v51, v49
	s_waitcnt lgkmcnt(0)
	v_fmac_f32_e32 v41, v44, v42
	v_mov_b32_e32 v38, 0
	v_fmac_f32_e32 v41, v45, v43
	s_mov_b32 s1, 0
	v_cmp_eq_u32_e32 vcc, 0, v47
	s_and_saveexec_b64 s[2:3], vcc
	s_cbranch_execz .LBB1048_21
; %bb.20:
	s_lshl_b64 s[8:9], s[0:1], 2
	s_add_u32 s5, s16, s8
	s_mov_b32 s21, s1
	s_addc_u32 s12, s17, s9
	s_lshl_b64 s[10:11], s[20:21], 2
	s_add_u32 s5, s5, s10
	s_addc_u32 s12, s12, s11
	s_add_u32 s8, s18, s8
	s_addc_u32 s9, s19, s9
	;; [unrolled: 2-line block ×3, first 2 shown]
	s_mul_i32 s8, s33, s4
	s_mov_b32 s9, s1
	s_lshl_b64 s[8:9], s[8:9], 2
	s_add_u32 s10, s5, s8
	s_addc_u32 s11, s12, s9
	s_add_u32 s8, s13, s8
	s_addc_u32 s9, s16, s9
	global_store_dword v38, v40, s[8:9]
	global_store_dword v38, v41, s[10:11]
.LBB1048_21:
	s_or_b64 exec, exec, s[2:3]
	v_lshlrev_b32_e32 v38, 3, v46
	s_and_saveexec_b64 s[2:3], s[6:7]
	s_xor_b64 s[2:3], exec, s[2:3]
	s_cbranch_execz .LBB1048_23
; %bb.22:
	s_mov_b32 s6, 0
	s_mov_b32 s7, s6
	s_waitcnt vmcnt(5)
	v_mad_u32_u24 v4, v1, 40, v38
	v_mov_b64_e32 v[2:3], s[6:7]
	ds_write2st64_b64 v4, v[2:3], v[2:3] offset1:5
                                        ; implicit-def: $vgpr37
                                        ; implicit-def: $vgpr35
                                        ; implicit-def: $vgpr39
                                        ; implicit-def: $vgpr26_vgpr27
                                        ; implicit-def: $vgpr10_vgpr11
                                        ; implicit-def: $vgpr30_vgpr31
                                        ; implicit-def: $vgpr18_vgpr19
                                        ; implicit-def: $vgpr6_vgpr7
                                        ; implicit-def: $vgpr2_vgpr3
                                        ; implicit-def: $vgpr22_vgpr23
                                        ; implicit-def: $vgpr14_vgpr15
                                        ; implicit-def: $vgpr40
                                        ; implicit-def: $vgpr41
                                        ; implicit-def: $vgpr38
.LBB1048_23:
	s_andn2_saveexec_b64 s[2:3], s[2:3]
	s_cbranch_execz .LBB1048_25
; %bb.24:
	v_add_f32_e32 v41, 0x358637bd, v41
	v_div_scale_f32 v42, s[6:7], v41, v41, 1.0
	v_rcp_f32_e32 v43, v42
	v_sub_f32_e32 v39, v39, v40
	v_mul_f32_e32 v39, 0x3fb8aa3b, v39
	v_exp_f32_e32 v39, v39
	v_fma_f32 v40, -v42, v43, 1.0
	v_fmac_f32_e32 v43, v40, v43
	v_div_scale_f32 v40, vcc, 1.0, v41, 1.0
	v_mul_f32_e32 v44, v40, v43
	v_fma_f32 v45, -v42, v44, v40
	v_fmac_f32_e32 v44, v45, v43
	v_fma_f32 v40, -v42, v44, v40
	v_div_fmas_f32 v40, v40, v43, v44
	v_div_fixup_f32 v40, v40, v41, 1.0
	v_mul_f32_e32 v40, v39, v40
	v_pk_mul_f32 v[36:37], v[36:37], v[40:41] op_sel_hi:[1,0]
	v_pk_mul_f32 v[34:35], v[34:35], v[40:41] op_sel_hi:[1,0]
	v_cvt_f16_f32_e32 v36, v36
	v_cvt_f16_f32_e32 v34, v34
	;; [unrolled: 1-line block ×4, first 2 shown]
	s_waitcnt vmcnt(6)
	v_cvt_pk_f32_fp8_sdwa v[40:41], v26 src0_sel:WORD_1
	v_cvt_pk_f32_fp8_e32 v[42:43], v27
	v_pack_b32_f16 v34, v34, v35
	v_pack_b32_f16 v35, v36, v37
	v_cvt_pk_f32_fp8_e32 v[36:37], v26
	v_cvt_pk_f32_fp8_sdwa v[26:27], v27 src0_sel:WORD_1
	s_load_dword s6, s[14:15], 0x0
	v_cvt_pkrtz_f16_f32 v36, v36, v37
	v_cvt_pkrtz_f16_f32 v37, v40, v41
	;; [unrolled: 1-line block ×4, first 2 shown]
	v_mfma_f32_4x4x4_16b_f16 a[0:3], v[34:35], v[36:37], 0 cbsz:4
	v_cvt_pk_f32_fp8_e32 v[26:27], v28
	v_cvt_pk_f32_fp8_sdwa v[36:37], v28 src0_sel:WORD_1
	v_mfma_f32_4x4x4_16b_f16 a[0:3], v[34:35], v[40:41], a[0:3] cbsz:4 abid:1
	v_cvt_pk_f32_fp8_e32 v[40:41], v29
	v_cvt_pk_f32_fp8_sdwa v[28:29], v29 src0_sel:WORD_1
	v_cvt_pkrtz_f16_f32 v26, v26, v27
	v_cvt_pkrtz_f16_f32 v27, v36, v37
	v_cvt_pkrtz_f16_f32 v36, v40, v41
	v_cvt_pkrtz_f16_f32 v37, v28, v29
	v_mfma_f32_4x4x4_16b_f16 a[0:3], v[34:35], v[26:27], a[0:3] cbsz:4 abid:2
	v_cvt_pk_f32_fp8_e32 v[26:27], v10
	v_cvt_pk_f32_fp8_sdwa v[28:29], v10 src0_sel:WORD_1
	v_mfma_f32_4x4x4_16b_f16 a[0:3], v[34:35], v[36:37], a[0:3] cbsz:4 abid:3
	v_cvt_pk_f32_fp8_e32 v[36:37], v11
	v_cvt_pk_f32_fp8_sdwa v[10:11], v11 src0_sel:WORD_1
	v_cvt_pkrtz_f16_f32 v26, v26, v27
	v_cvt_pkrtz_f16_f32 v27, v28, v29
	v_cvt_pkrtz_f16_f32 v28, v36, v37
	v_cvt_pkrtz_f16_f32 v29, v10, v11
	v_mfma_f32_4x4x4_16b_f16 a[0:3], v[34:35], v[26:27], a[0:3] cbsz:4 abid:4
	;; [unrolled: 10-line block ×3, first 2 shown]
	s_waitcnt vmcnt(2)
	v_cvt_pk_f32_fp8_e32 v[10:11], v30
	v_cvt_pk_f32_fp8_sdwa v[12:13], v30 src0_sel:WORD_1
	v_mfma_f32_4x4x4_16b_f16 a[0:3], v[34:35], v[26:27], a[0:3] cbsz:4 abid:7
	v_cvt_pk_f32_fp8_e32 v[26:27], v31
	v_cvt_pk_f32_fp8_sdwa v[28:29], v31 src0_sel:WORD_1
	v_cvt_pkrtz_f16_f32 v10, v10, v11
	v_cvt_pkrtz_f16_f32 v11, v12, v13
	;; [unrolled: 1-line block ×4, first 2 shown]
	v_mfma_f32_4x4x4_16b_f16 a[0:3], v[34:35], v[10:11], a[0:3] cbsz:4 abid:8
	v_cvt_pk_f32_fp8_e32 v[10:11], v32
	v_cvt_pk_f32_fp8_e32 v[26:27], v33
	v_mfma_f32_4x4x4_16b_f16 a[0:3], v[34:35], v[12:13], a[0:3] cbsz:4 abid:9
	v_cvt_pk_f32_fp8_sdwa v[12:13], v32 src0_sel:WORD_1
	v_cvt_pk_f32_fp8_sdwa v[28:29], v33 src0_sel:WORD_1
	v_cvt_pkrtz_f16_f32 v10, v10, v11
	v_cvt_pkrtz_f16_f32 v11, v12, v13
	v_cvt_pkrtz_f16_f32 v12, v26, v27
	s_nop 0
	v_mfma_f32_4x4x4_16b_f16 a[0:3], v[34:35], v[10:11], a[0:3] cbsz:4 abid:10
	v_cvt_pkrtz_f16_f32 v13, v28, v29
	v_cvt_pk_f32_fp8_e32 v[10:11], v18
	v_cvt_pk_f32_fp8_e32 v[26:27], v19
	v_mfma_f32_4x4x4_16b_f16 a[0:3], v[34:35], v[12:13], a[0:3] cbsz:4 abid:11
	v_cvt_pk_f32_fp8_sdwa v[12:13], v18 src0_sel:WORD_1
	v_cvt_pk_f32_fp8_sdwa v[18:19], v19 src0_sel:WORD_1
	v_cvt_pkrtz_f16_f32 v10, v10, v11
	v_cvt_pkrtz_f16_f32 v11, v12, v13
	v_cvt_pkrtz_f16_f32 v12, v26, v27
	s_nop 0
	v_mfma_f32_4x4x4_16b_f16 a[0:3], v[34:35], v[10:11], a[0:3] cbsz:4 abid:12
	v_cvt_pkrtz_f16_f32 v13, v18, v19
	;; [unrolled: 11-line block ×3, first 2 shown]
	v_cvt_pk_f32_fp8_sdwa v[18:19], v6 src0_sel:WORD_1
	v_cvt_pk_f32_fp8_e32 v[20:21], v7
	v_mfma_f32_4x4x4_16b_f16 a[0:3], v[34:35], v[12:13], a[0:3] cbsz:4 abid:15
	s_nop 4
	v_accvgpr_read_b32 v11, a1
	v_accvgpr_read_b32 v10, a0
	s_waitcnt lgkmcnt(0)
	v_pk_mul_f32 v[10:11], v[10:11], s[6:7] op_sel_hi:[1,0]
	s_nop 0
	v_cvt_f16_f32_e32 v12, v10
	v_cvt_f16_f32_e32 v13, v11
	v_accvgpr_read_b32 v11, a3
	v_accvgpr_read_b32 v10, a2
	v_pk_mul_f32 v[10:11], v[10:11], s[6:7] op_sel_hi:[1,0]
	v_pack_b32_f16 v12, v12, v13
	v_cvt_f16_f32_e32 v13, v10
	v_cvt_f16_f32_e32 v26, v11
	v_cvt_pk_f32_fp8_e32 v[10:11], v6
	v_cvt_pk_f32_fp8_sdwa v[6:7], v7 src0_sel:WORD_1
	v_pack_b32_f16 v13, v13, v26
	v_cvt_pkrtz_f16_f32 v10, v10, v11
	v_cvt_pkrtz_f16_f32 v11, v18, v19
	;; [unrolled: 1-line block ×4, first 2 shown]
	v_mfma_f32_4x4x4_16b_f16 a[0:3], v[34:35], v[10:11], 0 cbsz:4
	v_cvt_pk_f32_fp8_e32 v[6:7], v8
	v_cvt_pk_f32_fp8_sdwa v[10:11], v8 src0_sel:WORD_1
	v_mfma_f32_4x4x4_16b_f16 a[0:3], v[34:35], v[18:19], a[0:3] cbsz:4 abid:1
	v_cvt_pk_f32_fp8_e32 v[18:19], v9
	v_cvt_pk_f32_fp8_sdwa v[8:9], v9 src0_sel:WORD_1
	v_cvt_pkrtz_f16_f32 v6, v6, v7
	v_cvt_pkrtz_f16_f32 v7, v10, v11
	v_cvt_pkrtz_f16_f32 v10, v18, v19
	v_cvt_pkrtz_f16_f32 v11, v8, v9
	v_mfma_f32_4x4x4_16b_f16 a[0:3], v[34:35], v[6:7], a[0:3] cbsz:4 abid:2
	v_cvt_pk_f32_fp8_e32 v[6:7], v2
	v_cvt_pk_f32_fp8_sdwa v[8:9], v2 src0_sel:WORD_1
	v_mfma_f32_4x4x4_16b_f16 a[0:3], v[34:35], v[10:11], a[0:3] cbsz:4 abid:3
	v_cvt_pk_f32_fp8_e32 v[10:11], v3
	v_cvt_pk_f32_fp8_sdwa v[2:3], v3 src0_sel:WORD_1
	v_cvt_pkrtz_f16_f32 v6, v6, v7
	v_cvt_pkrtz_f16_f32 v7, v8, v9
	v_cvt_pkrtz_f16_f32 v8, v10, v11
	v_cvt_pkrtz_f16_f32 v9, v2, v3
	v_mfma_f32_4x4x4_16b_f16 a[0:3], v[34:35], v[6:7], a[0:3] cbsz:4 abid:4
	;; [unrolled: 10-line block ×3, first 2 shown]
	s_waitcnt vmcnt(0)
	v_cvt_pk_f32_fp8_e32 v[2:3], v22
	v_cvt_pk_f32_fp8_sdwa v[4:5], v22 src0_sel:WORD_1
	v_mfma_f32_4x4x4_16b_f16 a[0:3], v[34:35], v[6:7], a[0:3] cbsz:4 abid:7
	v_cvt_pk_f32_fp8_e32 v[6:7], v23
	v_cvt_pk_f32_fp8_sdwa v[8:9], v23 src0_sel:WORD_1
	v_cvt_pkrtz_f16_f32 v2, v2, v3
	v_cvt_pkrtz_f16_f32 v3, v4, v5
	;; [unrolled: 1-line block ×4, first 2 shown]
	v_mfma_f32_4x4x4_16b_f16 a[0:3], v[34:35], v[2:3], a[0:3] cbsz:4 abid:8
	v_cvt_pk_f32_fp8_e32 v[2:3], v24
	v_cvt_pk_f32_fp8_e32 v[6:7], v25
	v_mfma_f32_4x4x4_16b_f16 a[0:3], v[34:35], v[4:5], a[0:3] cbsz:4 abid:9
	v_cvt_pk_f32_fp8_sdwa v[4:5], v24 src0_sel:WORD_1
	v_cvt_pk_f32_fp8_sdwa v[8:9], v25 src0_sel:WORD_1
	v_cvt_pkrtz_f16_f32 v2, v2, v3
	v_cvt_pkrtz_f16_f32 v3, v4, v5
	v_cvt_pkrtz_f16_f32 v4, v6, v7
	s_nop 0
	v_mfma_f32_4x4x4_16b_f16 a[0:3], v[34:35], v[2:3], a[0:3] cbsz:4 abid:10
	v_cvt_pkrtz_f16_f32 v5, v8, v9
	v_cvt_pk_f32_fp8_e32 v[2:3], v14
	v_cvt_pk_f32_fp8_e32 v[6:7], v15
	v_mfma_f32_4x4x4_16b_f16 a[0:3], v[34:35], v[4:5], a[0:3] cbsz:4 abid:11
	v_cvt_pk_f32_fp8_sdwa v[4:5], v14 src0_sel:WORD_1
	v_cvt_pk_f32_fp8_sdwa v[8:9], v15 src0_sel:WORD_1
	v_cvt_pkrtz_f16_f32 v2, v2, v3
	v_cvt_pkrtz_f16_f32 v3, v4, v5
	v_cvt_pkrtz_f16_f32 v4, v6, v7
	s_nop 0
	v_mfma_f32_4x4x4_16b_f16 a[0:3], v[34:35], v[2:3], a[0:3] cbsz:4 abid:12
	v_cvt_pkrtz_f16_f32 v5, v8, v9
	;; [unrolled: 11-line block ×3, first 2 shown]
	v_mad_u32_u24 v7, v1, 40, v38
	s_nop 0
	v_mfma_f32_4x4x4_16b_f16 a[0:3], v[34:35], v[4:5], a[0:3] cbsz:4 abid:15
	s_nop 4
	v_accvgpr_read_b32 v5, a1
	v_accvgpr_read_b32 v3, a3
	;; [unrolled: 1-line block ×4, first 2 shown]
	v_pk_mul_f32 v[2:3], v[2:3], s[6:7] op_sel_hi:[1,0]
	v_pk_mul_f32 v[4:5], v[4:5], s[6:7] op_sel_hi:[1,0]
	v_cvt_f16_f32_e32 v6, v2
	v_cvt_f16_f32_e32 v4, v4
	;; [unrolled: 1-line block ×4, first 2 shown]
	v_pack_b32_f16 v2, v4, v5
	v_pack_b32_f16 v3, v6, v3
	ds_write2st64_b64 v7, v[12:13], v[2:3] offset1:5
.LBB1048_25:
	s_or_b64 exec, exec, s[2:3]
	v_cmp_gt_u32_e32 vcc, 64, v0
	s_waitcnt lgkmcnt(0)
	s_barrier
	s_and_saveexec_b64 s[2:3], vcc
	s_cbranch_execz .LBB1048_27
; %bb.26:
	s_waitcnt vmcnt(5)
	v_mov_b32_e32 v2, 0xa00
	v_mad_u32_u24 v2, v1, 40, v2
	s_waitcnt vmcnt(4)
	v_mov_b32_e32 v6, 0xa10
	ds_read2_b64 v[2:5], v2 offset1:1
	s_waitcnt lgkmcnt(0)
	v_mad_u32_u24 v3, v1, 40, v6
	ds_read2_b64 v[6:9], v3 offset1:1
	v_mul_u32_u24_e32 v1, 40, v1
	s_lshl_b32 s0, s0, 7
	v_pk_add_f16 v2, v2, 0
	s_lshl_b64 s[2:3], s[0:1], 1
	v_pk_add_f16 v2, v2, v4
	s_add_u32 s2, s22, s2
	s_waitcnt lgkmcnt(0)
	v_pk_add_f16 v2, v2, v6
	s_addc_u32 s3, s23, s3
	v_pk_add_f16 v10, v2, v8
	ds_read2_b64 v[2:5], v1 offset1:1
	ds_read2_b64 v[6:9], v1 offset0:2 offset1:3
	s_lshl_b32 s0, s20, 7
	s_lshl_b64 s[0:1], s[0:1], 1
	s_add_u32 s0, s2, s0
	s_waitcnt lgkmcnt(1)
	v_pk_add_f16 v2, v2, 0
	s_mul_i32 s2, s4, s33
	v_pk_add_f16 v2, v2, v4
	s_addc_u32 s1, s3, s1
	v_lshl_or_b32 v0, s2, 7, v0
	v_mov_b32_e32 v1, 0
	s_waitcnt lgkmcnt(0)
	v_pk_add_f16 v2, v2, v6
	v_lshl_add_u64 v[0:1], v[0:1], 1, s[0:1]
	v_pk_add_f16 v2, v2, v8
	global_store_short v[0:1], v2, off
	global_store_short v[0:1], v10, off offset:128
.LBB1048_27:
	s_endpgm
	.section	.rodata,"a",@progbits
	.p2align	6, 0x0
	.amdhsa_kernel _Z38paged_attention_ll4mi_QKV_mfma4_kernelIDF16_hLN4vllm18Fp8KVCacheDataTypeE1EDF16_Li32ELi128ELi256ELb1ELi1EEvPKT_PKT0_S7_ifPKiS9_S9_iPKfiiiPfSC_PS2_PT2_iSB_SB_
		.amdhsa_group_segment_fixed_size 5280
		.amdhsa_private_segment_fixed_size 0
		.amdhsa_kernarg_size 400
		.amdhsa_user_sgpr_count 2
		.amdhsa_user_sgpr_dispatch_ptr 0
		.amdhsa_user_sgpr_queue_ptr 0
		.amdhsa_user_sgpr_kernarg_segment_ptr 1
		.amdhsa_user_sgpr_dispatch_id 0
		.amdhsa_user_sgpr_kernarg_preload_length 0
		.amdhsa_user_sgpr_kernarg_preload_offset 0
		.amdhsa_user_sgpr_private_segment_size 0
		.amdhsa_uses_dynamic_stack 0
		.amdhsa_enable_private_segment 0
		.amdhsa_system_sgpr_workgroup_id_x 1
		.amdhsa_system_sgpr_workgroup_id_y 1
		.amdhsa_system_sgpr_workgroup_id_z 1
		.amdhsa_system_sgpr_workgroup_info 0
		.amdhsa_system_vgpr_workitem_id 0
		.amdhsa_next_free_vgpr 60
		.amdhsa_next_free_sgpr 42
		.amdhsa_accum_offset 56
		.amdhsa_reserve_vcc 1
		.amdhsa_float_round_mode_32 0
		.amdhsa_float_round_mode_16_64 0
		.amdhsa_float_denorm_mode_32 3
		.amdhsa_float_denorm_mode_16_64 3
		.amdhsa_dx10_clamp 1
		.amdhsa_ieee_mode 1
		.amdhsa_fp16_overflow 0
		.amdhsa_tg_split 0
		.amdhsa_exception_fp_ieee_invalid_op 0
		.amdhsa_exception_fp_denorm_src 0
		.amdhsa_exception_fp_ieee_div_zero 0
		.amdhsa_exception_fp_ieee_overflow 0
		.amdhsa_exception_fp_ieee_underflow 0
		.amdhsa_exception_fp_ieee_inexact 0
		.amdhsa_exception_int_div_zero 0
	.end_amdhsa_kernel
	.section	.text._Z38paged_attention_ll4mi_QKV_mfma4_kernelIDF16_hLN4vllm18Fp8KVCacheDataTypeE1EDF16_Li32ELi128ELi256ELb1ELi1EEvPKT_PKT0_S7_ifPKiS9_S9_iPKfiiiPfSC_PS2_PT2_iSB_SB_,"axG",@progbits,_Z38paged_attention_ll4mi_QKV_mfma4_kernelIDF16_hLN4vllm18Fp8KVCacheDataTypeE1EDF16_Li32ELi128ELi256ELb1ELi1EEvPKT_PKT0_S7_ifPKiS9_S9_iPKfiiiPfSC_PS2_PT2_iSB_SB_,comdat
.Lfunc_end1048:
	.size	_Z38paged_attention_ll4mi_QKV_mfma4_kernelIDF16_hLN4vllm18Fp8KVCacheDataTypeE1EDF16_Li32ELi128ELi256ELb1ELi1EEvPKT_PKT0_S7_ifPKiS9_S9_iPKfiiiPfSC_PS2_PT2_iSB_SB_, .Lfunc_end1048-_Z38paged_attention_ll4mi_QKV_mfma4_kernelIDF16_hLN4vllm18Fp8KVCacheDataTypeE1EDF16_Li32ELi128ELi256ELb1ELi1EEvPKT_PKT0_S7_ifPKiS9_S9_iPKfiiiPfSC_PS2_PT2_iSB_SB_
                                        ; -- End function
	.section	.AMDGPU.csdata,"",@progbits
; Kernel info:
; codeLenInByte = 5248
; NumSgprs: 48
; NumVgprs: 56
; NumAgprs: 4
; TotalNumVgprs: 60
; ScratchSize: 0
; MemoryBound: 0
; FloatMode: 240
; IeeeMode: 1
; LDSByteSize: 5280 bytes/workgroup (compile time only)
; SGPRBlocks: 5
; VGPRBlocks: 7
; NumSGPRsForWavesPerEU: 48
; NumVGPRsForWavesPerEU: 60
; AccumOffset: 56
; Occupancy: 8
; WaveLimiterHint : 1
; COMPUTE_PGM_RSRC2:SCRATCH_EN: 0
; COMPUTE_PGM_RSRC2:USER_SGPR: 2
; COMPUTE_PGM_RSRC2:TRAP_HANDLER: 0
; COMPUTE_PGM_RSRC2:TGID_X_EN: 1
; COMPUTE_PGM_RSRC2:TGID_Y_EN: 1
; COMPUTE_PGM_RSRC2:TGID_Z_EN: 1
; COMPUTE_PGM_RSRC2:TIDIG_COMP_CNT: 0
; COMPUTE_PGM_RSRC3_GFX90A:ACCUM_OFFSET: 13
; COMPUTE_PGM_RSRC3_GFX90A:TG_SPLIT: 0
	.section	.text._Z38paged_attention_ll4mi_QKV_mfma4_kernelIDF16_hLN4vllm18Fp8KVCacheDataTypeE1EDF16_Li32ELi128ELi256ELb1ELi2EEvPKT_PKT0_S7_ifPKiS9_S9_iPKfiiiPfSC_PS2_PT2_iSB_SB_,"axG",@progbits,_Z38paged_attention_ll4mi_QKV_mfma4_kernelIDF16_hLN4vllm18Fp8KVCacheDataTypeE1EDF16_Li32ELi128ELi256ELb1ELi2EEvPKT_PKT0_S7_ifPKiS9_S9_iPKfiiiPfSC_PS2_PT2_iSB_SB_,comdat
	.protected	_Z38paged_attention_ll4mi_QKV_mfma4_kernelIDF16_hLN4vllm18Fp8KVCacheDataTypeE1EDF16_Li32ELi128ELi256ELb1ELi2EEvPKT_PKT0_S7_ifPKiS9_S9_iPKfiiiPfSC_PS2_PT2_iSB_SB_ ; -- Begin function _Z38paged_attention_ll4mi_QKV_mfma4_kernelIDF16_hLN4vllm18Fp8KVCacheDataTypeE1EDF16_Li32ELi128ELi256ELb1ELi2EEvPKT_PKT0_S7_ifPKiS9_S9_iPKfiiiPfSC_PS2_PT2_iSB_SB_
	.globl	_Z38paged_attention_ll4mi_QKV_mfma4_kernelIDF16_hLN4vllm18Fp8KVCacheDataTypeE1EDF16_Li32ELi128ELi256ELb1ELi2EEvPKT_PKT0_S7_ifPKiS9_S9_iPKfiiiPfSC_PS2_PT2_iSB_SB_
	.p2align	8
	.type	_Z38paged_attention_ll4mi_QKV_mfma4_kernelIDF16_hLN4vllm18Fp8KVCacheDataTypeE1EDF16_Li32ELi128ELi256ELb1ELi2EEvPKT_PKT0_S7_ifPKiS9_S9_iPKfiiiPfSC_PS2_PT2_iSB_SB_,@function
_Z38paged_attention_ll4mi_QKV_mfma4_kernelIDF16_hLN4vllm18Fp8KVCacheDataTypeE1EDF16_Li32ELi128ELi256ELb1ELi2EEvPKT_PKT0_S7_ifPKiS9_S9_iPKfiiiPfSC_PS2_PT2_iSB_SB_: ; @_Z38paged_attention_ll4mi_QKV_mfma4_kernelIDF16_hLN4vllm18Fp8KVCacheDataTypeE1EDF16_Li32ELi128ELi256ELb1ELi2EEvPKT_PKT0_S7_ifPKiS9_S9_iPKfiiiPfSC_PS2_PT2_iSB_SB_
; %bb.0:
	s_load_dwordx2 s[16:17], s[0:1], 0x30
	s_mov_b32 s20, s3
	s_mov_b64 s[6:7], 0
	s_waitcnt lgkmcnt(0)
	s_cmp_lg_u64 s[16:17], 0
	s_cselect_b64 s[18:19], -1, 0
	s_and_b64 vcc, exec, s[18:19]
	s_cbranch_vccz .LBB1049_10
; %bb.1:
	s_add_i32 s8, s2, 1
	s_mov_b32 s9, 0
	s_lshl_b64 s[10:11], s[8:9], 2
	s_add_u32 s10, s16, s10
	s_mov_b32 s3, s9
	s_addc_u32 s11, s17, s11
	s_lshl_b64 s[8:9], s[2:3], 2
	s_add_u32 s8, s16, s8
	s_addc_u32 s9, s17, s9
	s_load_dword s5, s[10:11], 0x0
	s_load_dword s12, s[8:9], 0x0
	s_waitcnt lgkmcnt(0)
	s_sub_i32 s5, s5, s12
	s_cmp_eq_u32 s5, 1
	s_cselect_b64 s[8:9], -1, 0
	s_andn2_b64 vcc, exec, s[6:7]
	s_cbranch_vccnz .LBB1049_3
.LBB1049_2:
	s_mov_b32 s3, 0
	s_mov_b64 s[8:9], -1
.LBB1049_3:
	s_andn2_b64 vcc, exec, s[8:9]
	s_cbranch_vccnz .LBB1049_27
; %bb.4:
	s_load_dword s5, s[0:1], 0x9c
	s_load_dwordx2 s[6:7], s[0:1], 0x28
	s_add_u32 s24, s0, 0x90
	s_addc_u32 s25, s1, 0
	s_lshl_b64 s[28:29], s[2:3], 2
	s_waitcnt lgkmcnt(0)
	s_and_b32 s5, s5, 0xffff
	s_add_u32 s6, s6, s28
	s_addc_u32 s7, s7, s29
	s_load_dword s3, s[6:7], 0x0
	s_mul_i32 s5, s20, s5
	s_waitcnt lgkmcnt(0)
	s_cmp_ge_i32 s5, s3
	s_cbranch_scc1 .LBB1049_27
; %bb.5:
	v_and_b32_e32 v1, 0xc0, v0
	v_add_u32_e32 v4, s5, v1
	v_lshrrev_b32_e32 v42, 6, v0
	v_cmp_le_i32_e64 s[6:7], s3, v4
                                        ; implicit-def: $sgpr30
                                        ; implicit-def: $sgpr21
	s_and_saveexec_b64 s[8:9], s[6:7]
	s_xor_b64 s[8:9], exec, s[8:9]
	s_cbranch_execz .LBB1049_7
; %bb.6:
	v_mul_u32_u24_e32 v1, 20, v42
	v_or_b32_e32 v1, 0x1400, v1
	v_mov_b32_e32 v2, 0x1450
	v_mov_b32_e32 v3, 0xff7fffff
	v_mad_u32_u24 v2, v42, 20, v2
	ds_write2_b32 v1, v3, v3 offset1:1
	v_mov_b32_e32 v1, 0
	ds_write2_b32 v2, v1, v1 offset1:1
	v_mov_b32_e32 v2, 0x1408
	v_mov_b32_e32 v4, 0x1458
	s_mov_b32 s21, 0xff7fffff
	s_mov_b32 s30, 0
	v_mad_u32_u24 v2, v42, 20, v2
	v_mad_u32_u24 v4, v42, 20, v4
	ds_write2_b32 v2, v3, v3 offset1:1
	ds_write2_b32 v4, v1, v1 offset1:1
                                        ; implicit-def: $vgpr4
.LBB1049_7:
	s_or_saveexec_b64 s[26:27], s[8:9]
	s_load_dwordx2 s[22:23], s[0:1], 0x68
	s_load_dwordx4 s[12:15], s[0:1], 0x58
	s_load_dword s33, s[24:25], 0x4
	s_load_dwordx4 s[8:11], s[0:1], 0x80
	v_and_b32_e32 v1, 63, v0
	v_and_b32_e32 v43, 3, v0
	s_lshl_b32 s38, s4, 1
	v_mov_b32_e32 v37, s30
	v_mov_b32_e32 v39, s21
	;; [unrolled: 1-line block ×5, first 2 shown]
                                        ; implicit-def: $vgpr26_vgpr27
                                        ; implicit-def: $vgpr14_vgpr15
                                        ; implicit-def: $vgpr30_vgpr31
                                        ; implicit-def: $vgpr22_vgpr23
                                        ; implicit-def: $vgpr6_vgpr7
                                        ; implicit-def: $vgpr2_vgpr3
                                        ; implicit-def: $vgpr18_vgpr19
                                        ; implicit-def: $vgpr10_vgpr11
	s_xor_b64 exec, exec, s[26:27]
	s_cbranch_execz .LBB1049_19
; %bb.8:
	s_load_dwordx2 s[30:31], s[0:1], 0x20
	s_load_dword s21, s[0:1], 0x38
	s_add_i32 s34, s3, 31
	s_ashr_i32 s35, s34, 31
	s_lshr_b32 s35, s35, 27
	v_add_u32_e32 v44, s5, v0
	s_add_i32 s34, s34, s35
	v_ashrrev_i32_e32 v2, 31, v44
	s_ashr_i32 s34, s34, 5
	v_lshrrev_b32_e32 v2, 27, v2
	s_add_i32 s36, s34, -1
	s_waitcnt lgkmcnt(0)
	s_mul_i32 s34, s2, s21
	s_mov_b32 s35, 0
	v_add_u32_e32 v2, v44, v2
	s_lshl_b64 s[34:35], s[34:35], 2
	v_ashrrev_i32_e32 v2, 5, v2
	v_mov_b32_e32 v3, s36
	v_cmp_gt_i32_e32 vcc, s3, v44
	s_add_u32 s30, s30, s34
	s_addc_u32 s31, s31, s35
	v_cndmask_b32_e32 v2, v3, v2, vcc
	v_ashrrev_i32_e32 v3, 31, v2
	v_lshl_add_u64 v[6:7], v[2:3], 2, s[30:31]
	v_ashrrev_i32_e32 v2, 31, v4
	v_lshrrev_b32_e32 v2, 27, v2
	v_add_u32_e32 v2, v4, v2
	v_ashrrev_i32_e32 v8, 5, v2
	v_min_i32_e32 v2, s36, v8
	v_ashrrev_i32_e32 v3, 31, v2
	v_lshl_add_u64 v[4:5], v[2:3], 2, s[30:31]
	v_add_u32_e32 v2, 1, v8
	v_min_i32_e32 v2, s36, v2
	v_ashrrev_i32_e32 v3, 31, v2
	v_lshl_add_u64 v[8:9], v[2:3], 2, s[30:31]
	global_load_dword v2, v[6:7], off
	global_load_dword v29, v[4:5], off
	;; [unrolled: 1-line block ×3, first 2 shown]
	s_load_dwordx2 s[30:31], s[0:1], 0x8
	s_andn2_b64 vcc, exec, s[18:19]
	s_cbranch_vccnz .LBB1049_11
; %bb.9:
	s_add_u32 s16, s16, s28
	s_addc_u32 s17, s17, s29
	s_load_dword s5, s[16:17], 0x0
	s_branch .LBB1049_12
.LBB1049_10:
	s_mov_b64 s[8:9], 0
	s_branch .LBB1049_2
.LBB1049_11:
	s_mov_b32 s5, s2
.LBB1049_12:
	s_load_dwordx2 s[28:29], s[0:1], 0x10
	s_load_dwordx4 s[16:19], s[0:1], 0x48
	v_cmp_gt_u32_e32 vcc, 2, v43
	s_mov_b32 s37, 0
	v_mov_b32_e32 v27, 0
	v_mov_b32_e32 v34, 0
	;; [unrolled: 1-line block ×5, first 2 shown]
	s_and_saveexec_b64 s[34:35], vcc
	s_cbranch_execz .LBB1049_14
; %bb.13:
	s_load_dwordx2 s[40:41], s[0:1], 0x0
	s_waitcnt lgkmcnt(0)
	s_ashr_i32 s19, s16, 31
	s_mul_hi_u32 s21, s5, s16
	s_mul_i32 s19, s5, s19
	s_add_i32 s43, s21, s19
	s_mul_i32 s42, s5, s16
	s_lshl_b64 s[42:43], s[42:43], 1
	s_add_u32 s5, s40, s42
	s_addc_u32 s16, s41, s43
	s_lshl_b32 s36, s4, 8
	s_lshl_b64 s[36:37], s[36:37], 1
	v_lshlrev_b32_e32 v3, 2, v1
	s_add_u32 s36, s5, s36
	v_and_b32_e32 v3, 0xf0, v3
	s_addc_u32 s37, s16, s37
	v_lshl_or_b32 v3, v43, 8, v3
	global_load_dwordx4 v[34:37], v3, s[36:37]
.LBB1049_14:
	s_or_b64 exec, exec, s[34:35]
	s_waitcnt lgkmcnt(0)
	s_mul_i32 s16, s4, s18
	s_add_u32 s4, s16, s30
	s_addc_u32 s5, 0, s31
	v_mov_b64_e32 v[4:5], s[4:5]
	s_waitcnt vmcnt(2)
	v_mad_i64_i32 v[2:3], s[4:5], v2, s17, v[4:5]
	v_lshlrev_b32_e32 v4, 4, v0
	v_and_b32_e32 v26, 0x1f0, v4
	v_lshl_add_u64 v[46:47], v[2:3], 0, v[26:27]
	global_load_dwordx4 v[14:17], v[46:47], off
	global_load_dwordx4 v[6:9], v[46:47], off offset:512
	global_load_dwordx4 v[2:5], v[46:47], off offset:1024
	;; [unrolled: 1-line block ×7, first 2 shown]
	v_mov_b32_e32 v45, 0
	s_and_saveexec_b64 s[4:5], vcc
	s_cbranch_execz .LBB1049_16
; %bb.15:
	s_load_dwordx2 s[18:19], s[0:1], 0x40
	v_or_b32_e32 v46, s38, v43
	v_mov_b32_e32 v47, 0
	s_waitcnt lgkmcnt(0)
	v_lshl_add_u64 v[46:47], v[46:47], 2, s[18:19]
	global_load_dword v45, v[46:47], off
.LBB1049_16:
	s_or_b64 exec, exec, s[4:5]
	s_waitcnt vmcnt(9)
	v_mul_hi_i32 v26, v29, s17
	v_ashrrev_i32_e32 v26, 31, v26
	v_lshrrev_b32_e32 v46, 29, v26
	v_mov_b32_e32 v47, 0
	v_mad_i64_i32 v[48:49], s[18:19], v29, s17, v[46:47]
	s_waitcnt vmcnt(8)
	v_mul_hi_i32 v29, v28, s17
	v_ashrrev_i32_e32 v29, 31, v29
	v_lshrrev_b32_e32 v46, 29, v29
	s_add_u32 s4, s28, s16
	v_mad_i64_i32 v[28:29], s[16:17], v28, s17, v[46:47]
	s_addc_u32 s5, s29, 0
	v_and_b32_e32 v48, -8, v48
	v_and_b32_e32 v28, -8, v28
	s_waitcnt vmcnt(7)
	v_cvt_pk_f32_fp8_e32 v[46:47], v14
	v_cvt_pk_f32_fp8_sdwa v[50:51], v14 src0_sel:WORD_1
	v_lshl_add_u64 v[48:49], s[4:5], 0, v[48:49]
	v_lshlrev_b32_e32 v26, 5, v1
	v_lshl_add_u64 v[28:29], s[4:5], 0, v[28:29]
	v_lshl_add_u64 v[48:49], v[48:49], 0, v[26:27]
	v_lshl_add_u64 v[52:53], v[28:29], 0, v[26:27]
	v_cvt_pk_f32_fp8_e32 v[26:27], v15
	v_cvt_pk_f32_fp8_sdwa v[28:29], v15 src0_sel:WORD_1
	v_cvt_pkrtz_f16_f32 v14, v46, v47
	v_cvt_pkrtz_f16_f32 v15, v50, v51
	;; [unrolled: 1-line block ×4, first 2 shown]
	v_mfma_f32_4x4x4_16b_f16 a[0:3], v[34:35], v[14:15], 0 cbsz:4
	v_cvt_pk_f32_fp8_sdwa v[28:29], v16 src0_sel:WORD_1
	v_cvt_pk_f32_fp8_e32 v[46:47], v17
	v_mfma_f32_4x4x4_16b_f16 a[0:3], v[36:37], v[26:27], a[0:3] cbsz:4
	v_cvt_pk_f32_fp8_e32 v[26:27], v16
	v_cvt_pk_f32_fp8_sdwa v[50:51], v17 src0_sel:WORD_1
	global_load_dwordx4 v[14:17], v[48:49], off offset:16
	s_waitcnt vmcnt(2)
	v_cvt_pk_f32_fp8_sdwa v[54:55], v21 src0_sel:WORD_1
	v_cvt_pkrtz_f16_f32 v26, v26, v27
	v_cvt_pkrtz_f16_f32 v27, v28, v29
	;; [unrolled: 1-line block ×4, first 2 shown]
	v_mfma_f32_4x4x4_16b_f16 a[0:3], v[34:35], v[26:27], a[0:3] cbsz:4 abid:1
	v_cvt_pk_f32_fp8_e32 v[26:27], v6
	v_cvt_pk_f32_fp8_e32 v[46:47], v7
	v_mfma_f32_4x4x4_16b_f16 a[0:3], v[36:37], v[28:29], a[0:3] cbsz:4 abid:1
	v_cvt_pk_f32_fp8_sdwa v[28:29], v6 src0_sel:WORD_1
	v_cvt_pkrtz_f16_f32 v6, v26, v27
	v_cvt_pk_f32_fp8_sdwa v[26:27], v7 src0_sel:WORD_1
	v_cvt_pk_f32_fp8_e32 v[50:51], v9
	v_cvt_pkrtz_f16_f32 v7, v28, v29
	v_cvt_pkrtz_f16_f32 v28, v46, v47
	v_cvt_pk_f32_fp8_sdwa v[46:47], v8 src0_sel:WORD_1
	v_mfma_f32_4x4x4_16b_f16 a[0:3], v[34:35], v[6:7], a[0:3] cbsz:4 abid:2
	v_cvt_pk_f32_fp8_e32 v[6:7], v8
	v_cvt_pkrtz_f16_f32 v29, v26, v27
	v_cvt_pk_f32_fp8_sdwa v[8:9], v9 src0_sel:WORD_1
	s_load_dword s0, s[0:1], 0x1c
	v_mfma_f32_4x4x4_16b_f16 a[0:3], v[36:37], v[28:29], a[0:3] cbsz:4 abid:2
	global_load_dwordx4 v[26:29], v[48:49], off
	v_cvt_pkrtz_f16_f32 v6, v6, v7
	v_cvt_pkrtz_f16_f32 v7, v46, v47
	v_cvt_pkrtz_f16_f32 v47, v8, v9
	v_cvt_pk_f32_fp8_sdwa v[8:9], v2 src0_sel:WORD_1
	v_mfma_f32_4x4x4_16b_f16 a[0:3], v[34:35], v[6:7], a[0:3] cbsz:4 abid:3
	v_cvt_pk_f32_fp8_e32 v[6:7], v2
	v_cvt_pkrtz_f16_f32 v46, v50, v51
	v_cvt_pk_f32_fp8_sdwa v[50:51], v5 src0_sel:WORD_1
	s_load_dword s1, s[8:9], 0x0
	v_mfma_f32_4x4x4_16b_f16 a[0:3], v[36:37], v[46:47], a[0:3] cbsz:4 abid:3
	v_cvt_pk_f32_fp8_e32 v[46:47], v3
	v_cvt_pkrtz_f16_f32 v2, v6, v7
	v_cvt_pk_f32_fp8_sdwa v[6:7], v3 src0_sel:WORD_1
	v_cvt_pkrtz_f16_f32 v3, v8, v9
	v_cvt_pkrtz_f16_f32 v8, v46, v47
	v_cvt_pk_f32_fp8_e32 v[46:47], v5
	v_mfma_f32_4x4x4_16b_f16 a[0:3], v[34:35], v[2:3], a[0:3] cbsz:4 abid:4
	v_cvt_pkrtz_f16_f32 v9, v6, v7
	v_cvt_pk_f32_fp8_e32 v[6:7], v4
	v_cmp_eq_u32_e32 vcc, 0, v43
	v_mfma_f32_4x4x4_16b_f16 a[0:3], v[36:37], v[8:9], a[0:3] cbsz:4 abid:4
	v_cvt_pk_f32_fp8_sdwa v[8:9], v4 src0_sel:WORD_1
	v_cvt_pkrtz_f16_f32 v6, v6, v7
	global_load_dwordx4 v[2:5], v[48:49], off offset:2064
	v_cvt_pkrtz_f16_f32 v7, v8, v9
	v_cvt_pkrtz_f16_f32 v8, v46, v47
	s_nop 0
	v_mfma_f32_4x4x4_16b_f16 a[0:3], v[34:35], v[6:7], a[0:3] cbsz:4 abid:5
	v_cvt_pkrtz_f16_f32 v9, v50, v51
	v_cvt_pk_f32_fp8_e32 v[6:7], v22
	v_cvt_pk_f32_fp8_e32 v[46:47], v23
	v_mfma_f32_4x4x4_16b_f16 a[0:3], v[36:37], v[8:9], a[0:3] cbsz:4 abid:5
	v_cvt_pk_f32_fp8_sdwa v[8:9], v22 src0_sel:WORD_1
	v_cvt_pk_f32_fp8_sdwa v[50:51], v23 src0_sel:WORD_1
	v_cvt_pkrtz_f16_f32 v22, v6, v7
	v_cvt_pkrtz_f16_f32 v46, v46, v47
	;; [unrolled: 1-line block ×3, first 2 shown]
	global_load_dwordx4 v[6:9], v[48:49], off offset:2048
	v_cvt_pkrtz_f16_f32 v47, v50, v51
	v_mfma_f32_4x4x4_16b_f16 a[0:3], v[34:35], v[22:23], a[0:3] cbsz:4 abid:6
	v_cvt_pk_f32_fp8_e32 v[22:23], v24
	v_cvt_pk_f32_fp8_e32 v[48:49], v25
	v_mfma_f32_4x4x4_16b_f16 a[0:3], v[36:37], v[46:47], a[0:3] cbsz:4 abid:6
	v_cvt_pk_f32_fp8_sdwa v[46:47], v24 src0_sel:WORD_1
	v_cvt_pk_f32_fp8_sdwa v[24:25], v25 src0_sel:WORD_1
	v_cvt_pkrtz_f16_f32 v22, v22, v23
	v_cvt_pk_f32_fp8_e32 v[50:51], v11
	v_cvt_pkrtz_f16_f32 v23, v46, v47
	v_cvt_pkrtz_f16_f32 v46, v48, v49
	;; [unrolled: 1-line block ×3, first 2 shown]
	v_mfma_f32_4x4x4_16b_f16 a[0:3], v[34:35], v[22:23], a[0:3] cbsz:4 abid:7
	v_cvt_pk_f32_fp8_e32 v[22:23], v30
	v_cvt_pk_f32_fp8_sdwa v[24:25], v30 src0_sel:WORD_1
	v_mfma_f32_4x4x4_16b_f16 a[0:3], v[36:37], v[46:47], a[0:3] cbsz:4 abid:7
	v_cvt_pk_f32_fp8_e32 v[46:47], v31
	v_cvt_pk_f32_fp8_sdwa v[30:31], v31 src0_sel:WORD_1
	v_cvt_pkrtz_f16_f32 v48, v22, v23
	v_cvt_pkrtz_f16_f32 v49, v24, v25
	;; [unrolled: 1-line block ×4, first 2 shown]
	v_mfma_f32_4x4x4_16b_f16 a[0:3], v[34:35], v[48:49], a[0:3] cbsz:4 abid:8
	v_cvt_pk_f32_fp8_e32 v[30:31], v32
	v_cvt_pk_f32_fp8_sdwa v[48:49], v32 src0_sel:WORD_1
	v_mfma_f32_4x4x4_16b_f16 a[0:3], v[36:37], v[46:47], a[0:3] cbsz:4 abid:8
	v_cvt_pk_f32_fp8_e32 v[46:47], v33
	v_cvt_pk_f32_fp8_sdwa v[32:33], v33 src0_sel:WORD_1
	v_cvt_pkrtz_f16_f32 v30, v30, v31
	v_cvt_pkrtz_f16_f32 v31, v48, v49
	v_cvt_pk_f32_fp8_sdwa v[48:49], v10 src0_sel:WORD_1
	v_cvt_pkrtz_f16_f32 v46, v46, v47
	v_mfma_f32_4x4x4_16b_f16 a[0:3], v[34:35], v[30:31], a[0:3] cbsz:4 abid:9
	v_cvt_pk_f32_fp8_e32 v[30:31], v10
	v_cvt_pkrtz_f16_f32 v47, v32, v33
	v_cvt_pk_f32_fp8_sdwa v[10:11], v11 src0_sel:WORD_1
	global_load_dwordx4 v[22:25], v[52:53], off offset:16
	v_mfma_f32_4x4x4_16b_f16 a[0:3], v[36:37], v[46:47], a[0:3] cbsz:4 abid:9
	v_cvt_pkrtz_f16_f32 v46, v30, v31
	global_load_dwordx4 v[30:33], v[52:53], off
	v_cvt_pkrtz_f16_f32 v47, v48, v49
	v_cvt_pkrtz_f16_f32 v48, v50, v51
	;; [unrolled: 1-line block ×3, first 2 shown]
	v_mfma_f32_4x4x4_16b_f16 a[0:3], v[34:35], v[46:47], a[0:3] cbsz:4 abid:10
	v_cvt_pk_f32_fp8_e32 v[10:11], v12
	v_cvt_pk_f32_fp8_sdwa v[46:47], v12 src0_sel:WORD_1
	v_mfma_f32_4x4x4_16b_f16 a[0:3], v[36:37], v[48:49], a[0:3] cbsz:4 abid:10
	v_cvt_pk_f32_fp8_e32 v[48:49], v13
	v_cvt_pk_f32_fp8_sdwa v[12:13], v13 src0_sel:WORD_1
	v_cvt_pkrtz_f16_f32 v10, v10, v11
	v_cvt_pkrtz_f16_f32 v11, v46, v47
	;; [unrolled: 1-line block ×4, first 2 shown]
	v_mfma_f32_4x4x4_16b_f16 a[0:3], v[34:35], v[10:11], a[0:3] cbsz:4 abid:11
	v_cvt_pk_f32_fp8_e32 v[10:11], v18
	v_cvt_pk_f32_fp8_sdwa v[12:13], v18 src0_sel:WORD_1
	v_mfma_f32_4x4x4_16b_f16 a[0:3], v[36:37], v[46:47], a[0:3] cbsz:4 abid:11
	v_cvt_pk_f32_fp8_e32 v[46:47], v19
	v_cvt_pk_f32_fp8_sdwa v[48:49], v19 src0_sel:WORD_1
	v_cvt_pkrtz_f16_f32 v18, v10, v11
	v_cvt_pkrtz_f16_f32 v19, v12, v13
	;; [unrolled: 1-line block ×4, first 2 shown]
	v_mfma_f32_4x4x4_16b_f16 a[0:3], v[34:35], v[18:19], a[0:3] cbsz:4 abid:12
	global_load_dwordx4 v[10:13], v[52:53], off offset:2064
	v_cvt_pk_f32_fp8_sdwa v[48:49], v20 src0_sel:WORD_1
	v_mfma_f32_4x4x4_16b_f16 a[0:3], v[36:37], v[46:47], a[0:3] cbsz:4 abid:12
	v_cvt_pk_f32_fp8_e32 v[46:47], v20
	v_cvt_pk_f32_fp8_e32 v[50:51], v21
	global_load_dwordx4 v[18:21], v[52:53], off offset:2048
	v_cvt_pkrtz_f16_f32 v46, v46, v47
	v_cvt_pkrtz_f16_f32 v47, v48, v49
	;; [unrolled: 1-line block ×4, first 2 shown]
	v_mfma_f32_4x4x4_16b_f16 a[0:3], v[34:35], v[46:47], a[0:3] cbsz:4 abid:13
	s_waitcnt vmcnt(8)
	v_cvt_pk_f32_fp8_e32 v[46:47], v38
	v_cvt_pk_f32_fp8_e32 v[50:51], v39
	v_mfma_f32_4x4x4_16b_f16 a[0:3], v[36:37], v[48:49], a[0:3] cbsz:4 abid:13
	v_cvt_pk_f32_fp8_sdwa v[48:49], v38 src0_sel:WORD_1
	v_cvt_pkrtz_f16_f32 v38, v46, v47
	v_cvt_pk_f32_fp8_sdwa v[46:47], v39 src0_sel:WORD_1
	v_cvt_pkrtz_f16_f32 v39, v48, v49
	v_cvt_pkrtz_f16_f32 v48, v50, v51
	s_nop 0
	v_mfma_f32_4x4x4_16b_f16 a[0:3], v[34:35], v[38:39], a[0:3] cbsz:4 abid:14
	v_cvt_pkrtz_f16_f32 v49, v46, v47
	v_cvt_pk_f32_fp8_e32 v[38:39], v40
	v_cvt_pk_f32_fp8_sdwa v[46:47], v40 src0_sel:WORD_1
	v_mfma_f32_4x4x4_16b_f16 a[0:3], v[36:37], v[48:49], a[0:3] cbsz:4 abid:14
	v_cvt_pk_f32_fp8_e32 v[48:49], v41
	v_cvt_pk_f32_fp8_sdwa v[40:41], v41 src0_sel:WORD_1
	v_cvt_pkrtz_f16_f32 v38, v38, v39
	v_cvt_pkrtz_f16_f32 v39, v46, v47
	;; [unrolled: 1-line block ×4, first 2 shown]
	v_mfma_f32_4x4x4_16b_f16 a[0:3], v[34:35], v[38:39], a[0:3] cbsz:4 abid:15
	s_waitcnt lgkmcnt(0)
	v_mov_b32_e32 v34, s0
	v_mov_b32_e32 v41, 0xff7fffff
	v_mfma_f32_4x4x4_16b_f16 a[0:3], v[36:37], v[46:47], a[0:3] cbsz:4 abid:15
	v_mul_f32_e32 v36, s1, v34
	s_nop 3
	v_accvgpr_read_b32 v39, a1
	v_accvgpr_read_b32 v38, a0
	v_pk_mul_f32 v[38:39], v[38:39], v[36:37] op_sel_hi:[1,0]
	v_accvgpr_read_b32 v35, a3
	v_accvgpr_read_b32 v34, a2
	v_pk_mul_f32 v[34:35], v[34:35], v[36:37] op_sel_hi:[1,0]
	v_cndmask_b32_e64 v36, 0, 1.0, vcc
	v_cmp_eq_u32_e32 vcc, 1, v43
	s_nop 0
	v_mfma_f32_4x4x1_16b_f32 a[0:3], v38, v36, 0
	v_cndmask_b32_e64 v36, 0, 1.0, vcc
	v_cmp_eq_u32_e32 vcc, 2, v43
	s_nop 0
	v_mfma_f32_4x4x1_16b_f32 a[0:3], v39, v36, a[0:3]
	;; [unrolled: 4-line block ×3, first 2 shown]
	v_cndmask_b32_e64 v34, 0, 1.0, vcc
	s_nop 1
	v_mfma_f32_4x4x1_16b_f32 a[0:3], v35, v34, a[0:3]
	v_and_b32_e32 v34, -4, v44
	v_subrev_u32_e32 v35, s3, v34
	v_add_u32_e32 v36, 1, v35
	v_cvt_f32_i32_e32 v36, v36
	v_add_u32_e32 v37, 2, v35
	v_cvt_f32_i32_e32 v37, v37
	v_accvgpr_read_b32 v38, a0
	v_fma_f32 v36, v45, v36, v38
	v_accvgpr_read_b32 v38, a1
	v_fma_f32 v37, v45, v37, v38
	v_add_u32_e32 v38, 3, v35
	v_cvt_f32_i32_e32 v38, v38
	v_add_u32_e32 v35, 4, v35
	v_cvt_f32_i32_e32 v35, v35
	v_accvgpr_read_b32 v39, a2
	v_fma_f32 v38, v45, v38, v39
	v_max_f32_e32 v39, 0xff7fffff, v36
	v_cmp_gt_i32_e32 vcc, s3, v34
	v_accvgpr_read_b32 v40, a3
	v_fmac_f32_e32 v40, v45, v35
	v_cndmask_b32_e32 v39, v41, v39, vcc
	v_or_b32_e32 v41, 1, v34
	v_max_f32_e32 v45, v39, v37
	v_cmp_gt_i32_e64 s[0:1], s3, v41
	v_or_b32_e32 v34, 2, v34
	v_cmp_gt_i32_e64 s[4:5], s3, v34
	v_cndmask_b32_e64 v39, v39, v45, s[0:1]
	v_max_f32_e32 v41, v39, v38
	v_cndmask_b32_e64 v34, v39, v41, s[4:5]
	v_or_b32_e32 v39, 3, v44
	v_max_f32_e32 v41, v34, v40
	v_cmp_gt_i32_e64 s[8:9], s3, v39
	v_lshlrev_b32_e32 v35, 2, v0
	v_and_or_b32 v35, v35, 48, v43
	v_cndmask_b32_e64 v34, v34, v41, s[8:9]
	;;#ASMSTART
	v_nop
 v_nop
 v_max_f32_dpp v34, v34, v34 row_ror:4
	;;#ASMEND
	v_lshlrev_b32_e32 v41, 2, v35
	;;#ASMSTART
	v_nop
 v_nop
 v_max_f32_dpp v34, v34, v34 row_ror:8
	;;#ASMEND
	ds_bpermute_b32 v34, v41, v34
	s_waitcnt lgkmcnt(0)
	;;#ASMSTART
	v_nop
 v_nop
 v_max_f32_dpp v34, v34, v34 row_ror:4
	;;#ASMEND
	s_nop 0
	;;#ASMSTART
	v_nop
 v_nop
 v_max_f32_dpp v39, v34, v34 row_ror:8
	;;#ASMEND
	s_nop 0
	v_sub_f32_e32 v34, v36, v39
	v_mul_f32_e32 v34, 0x3fb8aa3b, v34
	v_sub_f32_e32 v35, v37, v39
	v_exp_f32_e32 v34, v34
	v_mul_f32_e32 v35, 0x3fb8aa3b, v35
	v_sub_f32_e32 v37, v38, v39
	v_exp_f32_e32 v35, v35
	;; [unrolled: 3-line block ×3, first 2 shown]
	v_mul_f32_e32 v38, 0x3fb8aa3b, v38
	v_exp_f32_e32 v38, v38
	v_cndmask_b32_e32 v34, 0, v34, vcc
	v_add_f32_e32 v36, 0, v34
	v_cndmask_b32_e64 v35, 0, v35, s[0:1]
	v_add_f32_e32 v40, v36, v35
	v_cndmask_b32_e64 v36, 0, v37, s[4:5]
	;; [unrolled: 2-line block ×3, first 2 shown]
	v_add_f32_e32 v38, v40, v37
	;;#ASMSTART
	v_nop
 v_nop
 v_add_f32_dpp v38, v38, v38 row_ror:4
	;;#ASMEND
	v_cmp_gt_u32_e32 vcc, 4, v1
	;;#ASMSTART
	v_nop
 v_nop
 v_add_f32_dpp v38, v38, v38 row_ror:8
	;;#ASMEND
	ds_bpermute_b32 v38, v41, v38
	s_waitcnt lgkmcnt(0)
	;;#ASMSTART
	v_nop
 v_nop
 v_add_f32_dpp v38, v38, v38 row_ror:4
	;;#ASMEND
	s_nop 0
	;;#ASMSTART
	v_nop
 v_nop
 v_add_f32_dpp v38, v38, v38 row_ror:8
	;;#ASMEND
	s_and_saveexec_b64 s[0:1], vcc
	s_cbranch_execz .LBB1049_18
; %bb.17:
	v_mul_u32_u24_e32 v40, 20, v42
	v_lshl_add_u32 v40, v43, 2, v40
	v_add_u32_e32 v40, 0x1400, v40
	ds_write2_b32 v40, v39, v38 offset1:20
.LBB1049_18:
	s_or_b64 exec, exec, s[0:1]
.LBB1049_19:
	s_or_b64 exec, exec, s[26:27]
	s_waitcnt lgkmcnt(0)
	s_barrier
	s_load_dword s0, s[24:25], 0x8
	v_lshlrev_b32_e32 v38, 2, v43
	v_add_u32_e32 v38, 0x1400, v38
	ds_read2_b32 v[44:45], v38 offset1:5
	ds_read2_b32 v[46:47], v38 offset0:10 offset1:15
	s_mul_i32 s1, s2, s33
	s_waitcnt lgkmcnt(0)
	s_mul_i32 s1, s1, s0
	s_lshl_b32 s0, s1, 1
	s_mov_b32 s1, 0xff7fffff
	v_max3_f32 v40, v44, s1, v45
	v_max3_f32 v40, v40, v46, v47
	v_sub_f32_e32 v41, v44, v40
	v_sub_f32_e32 v44, v45, v40
	ds_read2_b32 v[48:49], v38 offset0:20 offset1:25
	v_mul_f32_e32 v41, 0x3fb8aa3b, v41
	v_mul_f32_e32 v44, 0x3fb8aa3b, v44
	v_exp_f32_e32 v41, v41
	v_exp_f32_e32 v50, v44
	ds_read2_b32 v[44:45], v38 offset0:30 offset1:35
	v_sub_f32_e32 v38, v46, v40
	v_mul_f32_e32 v38, 0x3fb8aa3b, v38
	v_sub_f32_e32 v46, v47, v40
	v_exp_f32_e32 v38, v38
	v_mul_f32_e32 v46, 0x3fb8aa3b, v46
	v_exp_f32_e32 v46, v46
	s_waitcnt lgkmcnt(1)
	v_fma_f32 v41, v41, v48, 0
	v_fmac_f32_e32 v41, v50, v49
	s_waitcnt lgkmcnt(0)
	v_fmac_f32_e32 v41, v38, v44
	v_fmac_f32_e32 v41, v46, v45
	v_cmp_gt_u32_e32 vcc, 2, v43
	s_and_saveexec_b64 s[2:3], vcc
	s_cbranch_execz .LBB1049_21
; %bb.20:
	s_mov_b32 s1, 0
	s_lshl_b64 s[4:5], s[0:1], 2
	s_add_u32 s12, s12, s4
	s_mov_b32 s21, s1
	s_addc_u32 s13, s13, s5
	s_lshl_b64 s[8:9], s[20:21], 2
	s_add_u32 s12, s12, s8
	s_addc_u32 s13, s13, s9
	s_add_u32 s1, s14, s4
	s_addc_u32 s5, s15, s5
	v_or_b32_e32 v38, s38, v43
	s_add_u32 s4, s1, s8
	v_mul_lo_u32 v44, s33, v38
	v_mov_b32_e32 v45, 0
	s_addc_u32 s5, s5, s9
	v_lshlrev_b64 v[44:45], 2, v[44:45]
	v_lshl_add_u64 v[46:47], s[12:13], 0, v[44:45]
	v_lshl_add_u64 v[44:45], s[4:5], 0, v[44:45]
	global_store_dword v[44:45], v40, off
	global_store_dword v[46:47], v41, off
.LBB1049_21:
	s_or_b64 exec, exec, s[2:3]
	v_lshlrev_b32_e32 v38, 3, v42
	s_and_saveexec_b64 s[2:3], s[6:7]
	s_xor_b64 s[2:3], exec, s[2:3]
	s_cbranch_execz .LBB1049_23
; %bb.22:
	s_mov_b32 s4, 0
	s_mov_b32 s5, s4
	s_waitcnt vmcnt(5)
	v_mad_u32_u24 v4, v1, 40, v38
	v_mov_b64_e32 v[2:3], s[4:5]
	ds_write2st64_b64 v4, v[2:3], v[2:3] offset1:5
                                        ; implicit-def: $vgpr37
                                        ; implicit-def: $vgpr35
                                        ; implicit-def: $vgpr39
                                        ; implicit-def: $vgpr26_vgpr27
                                        ; implicit-def: $vgpr14_vgpr15
                                        ; implicit-def: $vgpr30_vgpr31
                                        ; implicit-def: $vgpr22_vgpr23
                                        ; implicit-def: $vgpr6_vgpr7
                                        ; implicit-def: $vgpr2_vgpr3
                                        ; implicit-def: $vgpr18_vgpr19
                                        ; implicit-def: $vgpr10_vgpr11
                                        ; implicit-def: $vgpr40
                                        ; implicit-def: $vgpr41
                                        ; implicit-def: $vgpr38
.LBB1049_23:
	s_andn2_saveexec_b64 s[2:3], s[2:3]
	s_cbranch_execz .LBB1049_25
; %bb.24:
	v_add_f32_e32 v41, 0x358637bd, v41
	v_div_scale_f32 v42, s[4:5], v41, v41, 1.0
	v_rcp_f32_e32 v43, v42
	v_sub_f32_e32 v39, v39, v40
	v_mul_f32_e32 v39, 0x3fb8aa3b, v39
	v_exp_f32_e32 v39, v39
	v_fma_f32 v40, -v42, v43, 1.0
	v_fmac_f32_e32 v43, v40, v43
	v_div_scale_f32 v40, vcc, 1.0, v41, 1.0
	v_mul_f32_e32 v44, v40, v43
	v_fma_f32 v45, -v42, v44, v40
	v_fmac_f32_e32 v44, v45, v43
	v_fma_f32 v40, -v42, v44, v40
	v_div_fmas_f32 v40, v40, v43, v44
	v_div_fixup_f32 v40, v40, v41, 1.0
	v_mul_f32_e32 v40, v39, v40
	v_pk_mul_f32 v[36:37], v[36:37], v[40:41] op_sel_hi:[1,0]
	v_pk_mul_f32 v[34:35], v[34:35], v[40:41] op_sel_hi:[1,0]
	v_cvt_f16_f32_e32 v36, v36
	v_cvt_f16_f32_e32 v34, v34
	v_cvt_f16_f32_e32 v35, v35
	v_cvt_f16_f32_e32 v37, v37
	s_waitcnt vmcnt(6)
	v_cvt_pk_f32_fp8_sdwa v[40:41], v26 src0_sel:WORD_1
	v_cvt_pk_f32_fp8_e32 v[42:43], v27
	v_pack_b32_f16 v34, v34, v35
	v_pack_b32_f16 v35, v36, v37
	v_cvt_pk_f32_fp8_e32 v[36:37], v26
	v_cvt_pk_f32_fp8_sdwa v[26:27], v27 src0_sel:WORD_1
	s_load_dword s4, s[10:11], 0x0
	v_cvt_pkrtz_f16_f32 v36, v36, v37
	v_cvt_pkrtz_f16_f32 v37, v40, v41
	v_cvt_pkrtz_f16_f32 v40, v42, v43
	v_cvt_pkrtz_f16_f32 v41, v26, v27
	v_mfma_f32_4x4x4_16b_f16 a[0:3], v[34:35], v[36:37], 0 cbsz:4
	v_cvt_pk_f32_fp8_e32 v[26:27], v28
	v_cvt_pk_f32_fp8_sdwa v[36:37], v28 src0_sel:WORD_1
	v_mfma_f32_4x4x4_16b_f16 a[0:3], v[34:35], v[40:41], a[0:3] cbsz:4 abid:1
	v_cvt_pk_f32_fp8_e32 v[40:41], v29
	v_cvt_pk_f32_fp8_sdwa v[28:29], v29 src0_sel:WORD_1
	v_cvt_pkrtz_f16_f32 v26, v26, v27
	v_cvt_pkrtz_f16_f32 v27, v36, v37
	v_cvt_pkrtz_f16_f32 v36, v40, v41
	v_cvt_pkrtz_f16_f32 v37, v28, v29
	v_mfma_f32_4x4x4_16b_f16 a[0:3], v[34:35], v[26:27], a[0:3] cbsz:4 abid:2
	v_cvt_pk_f32_fp8_e32 v[26:27], v14
	v_cvt_pk_f32_fp8_sdwa v[28:29], v14 src0_sel:WORD_1
	v_mfma_f32_4x4x4_16b_f16 a[0:3], v[34:35], v[36:37], a[0:3] cbsz:4 abid:3
	v_cvt_pk_f32_fp8_e32 v[36:37], v15
	v_cvt_pk_f32_fp8_sdwa v[14:15], v15 src0_sel:WORD_1
	v_cvt_pkrtz_f16_f32 v26, v26, v27
	v_cvt_pkrtz_f16_f32 v27, v28, v29
	v_cvt_pkrtz_f16_f32 v28, v36, v37
	v_cvt_pkrtz_f16_f32 v29, v14, v15
	v_mfma_f32_4x4x4_16b_f16 a[0:3], v[34:35], v[26:27], a[0:3] cbsz:4 abid:4
	;; [unrolled: 10-line block ×3, first 2 shown]
	s_waitcnt vmcnt(2)
	v_cvt_pk_f32_fp8_e32 v[14:15], v30
	v_cvt_pk_f32_fp8_sdwa v[16:17], v30 src0_sel:WORD_1
	v_mfma_f32_4x4x4_16b_f16 a[0:3], v[34:35], v[26:27], a[0:3] cbsz:4 abid:7
	v_cvt_pk_f32_fp8_e32 v[26:27], v31
	v_cvt_pk_f32_fp8_sdwa v[28:29], v31 src0_sel:WORD_1
	v_cvt_pkrtz_f16_f32 v14, v14, v15
	v_cvt_pkrtz_f16_f32 v15, v16, v17
	;; [unrolled: 1-line block ×4, first 2 shown]
	v_mfma_f32_4x4x4_16b_f16 a[0:3], v[34:35], v[14:15], a[0:3] cbsz:4 abid:8
	v_cvt_pk_f32_fp8_e32 v[14:15], v32
	v_cvt_pk_f32_fp8_e32 v[26:27], v33
	v_mfma_f32_4x4x4_16b_f16 a[0:3], v[34:35], v[16:17], a[0:3] cbsz:4 abid:9
	v_cvt_pk_f32_fp8_sdwa v[16:17], v32 src0_sel:WORD_1
	v_cvt_pk_f32_fp8_sdwa v[28:29], v33 src0_sel:WORD_1
	v_cvt_pkrtz_f16_f32 v14, v14, v15
	v_cvt_pkrtz_f16_f32 v15, v16, v17
	v_cvt_pkrtz_f16_f32 v16, v26, v27
	s_nop 0
	v_mfma_f32_4x4x4_16b_f16 a[0:3], v[34:35], v[14:15], a[0:3] cbsz:4 abid:10
	v_cvt_pkrtz_f16_f32 v17, v28, v29
	v_cvt_pk_f32_fp8_e32 v[14:15], v22
	v_cvt_pk_f32_fp8_e32 v[26:27], v23
	v_mfma_f32_4x4x4_16b_f16 a[0:3], v[34:35], v[16:17], a[0:3] cbsz:4 abid:11
	v_cvt_pk_f32_fp8_sdwa v[16:17], v22 src0_sel:WORD_1
	v_cvt_pk_f32_fp8_sdwa v[22:23], v23 src0_sel:WORD_1
	v_cvt_pkrtz_f16_f32 v14, v14, v15
	v_cvt_pkrtz_f16_f32 v15, v16, v17
	v_cvt_pkrtz_f16_f32 v16, v26, v27
	s_nop 0
	v_mfma_f32_4x4x4_16b_f16 a[0:3], v[34:35], v[14:15], a[0:3] cbsz:4 abid:12
	v_cvt_pkrtz_f16_f32 v17, v22, v23
	;; [unrolled: 11-line block ×3, first 2 shown]
	v_cvt_pk_f32_fp8_sdwa v[22:23], v6 src0_sel:WORD_1
	v_cvt_pk_f32_fp8_e32 v[24:25], v7
	v_mfma_f32_4x4x4_16b_f16 a[0:3], v[34:35], v[16:17], a[0:3] cbsz:4 abid:15
	s_nop 4
	v_accvgpr_read_b32 v15, a1
	v_accvgpr_read_b32 v14, a0
	s_waitcnt lgkmcnt(0)
	v_pk_mul_f32 v[14:15], v[14:15], s[4:5] op_sel_hi:[1,0]
	s_nop 0
	v_cvt_f16_f32_e32 v16, v14
	v_cvt_f16_f32_e32 v17, v15
	v_accvgpr_read_b32 v15, a3
	v_accvgpr_read_b32 v14, a2
	v_pk_mul_f32 v[14:15], v[14:15], s[4:5] op_sel_hi:[1,0]
	v_pack_b32_f16 v16, v16, v17
	v_cvt_f16_f32_e32 v17, v14
	v_cvt_f16_f32_e32 v26, v15
	v_cvt_pk_f32_fp8_e32 v[14:15], v6
	v_cvt_pk_f32_fp8_sdwa v[6:7], v7 src0_sel:WORD_1
	v_pack_b32_f16 v17, v17, v26
	v_cvt_pkrtz_f16_f32 v14, v14, v15
	v_cvt_pkrtz_f16_f32 v15, v22, v23
	;; [unrolled: 1-line block ×4, first 2 shown]
	v_mfma_f32_4x4x4_16b_f16 a[0:3], v[34:35], v[14:15], 0 cbsz:4
	v_cvt_pk_f32_fp8_e32 v[6:7], v8
	v_cvt_pk_f32_fp8_sdwa v[14:15], v8 src0_sel:WORD_1
	v_mfma_f32_4x4x4_16b_f16 a[0:3], v[34:35], v[22:23], a[0:3] cbsz:4 abid:1
	v_cvt_pk_f32_fp8_e32 v[22:23], v9
	v_cvt_pk_f32_fp8_sdwa v[8:9], v9 src0_sel:WORD_1
	v_cvt_pkrtz_f16_f32 v6, v6, v7
	v_cvt_pkrtz_f16_f32 v7, v14, v15
	v_cvt_pkrtz_f16_f32 v14, v22, v23
	v_cvt_pkrtz_f16_f32 v15, v8, v9
	v_mfma_f32_4x4x4_16b_f16 a[0:3], v[34:35], v[6:7], a[0:3] cbsz:4 abid:2
	v_cvt_pk_f32_fp8_e32 v[6:7], v2
	v_cvt_pk_f32_fp8_sdwa v[8:9], v2 src0_sel:WORD_1
	v_mfma_f32_4x4x4_16b_f16 a[0:3], v[34:35], v[14:15], a[0:3] cbsz:4 abid:3
	v_cvt_pk_f32_fp8_e32 v[14:15], v3
	v_cvt_pk_f32_fp8_sdwa v[2:3], v3 src0_sel:WORD_1
	v_cvt_pkrtz_f16_f32 v6, v6, v7
	v_cvt_pkrtz_f16_f32 v7, v8, v9
	v_cvt_pkrtz_f16_f32 v8, v14, v15
	v_cvt_pkrtz_f16_f32 v9, v2, v3
	v_mfma_f32_4x4x4_16b_f16 a[0:3], v[34:35], v[6:7], a[0:3] cbsz:4 abid:4
	;; [unrolled: 10-line block ×3, first 2 shown]
	s_waitcnt vmcnt(0)
	v_cvt_pk_f32_fp8_e32 v[2:3], v18
	v_cvt_pk_f32_fp8_sdwa v[4:5], v18 src0_sel:WORD_1
	v_mfma_f32_4x4x4_16b_f16 a[0:3], v[34:35], v[6:7], a[0:3] cbsz:4 abid:7
	v_cvt_pk_f32_fp8_e32 v[6:7], v19
	v_cvt_pk_f32_fp8_sdwa v[8:9], v19 src0_sel:WORD_1
	v_cvt_pkrtz_f16_f32 v2, v2, v3
	v_cvt_pkrtz_f16_f32 v3, v4, v5
	;; [unrolled: 1-line block ×4, first 2 shown]
	v_mfma_f32_4x4x4_16b_f16 a[0:3], v[34:35], v[2:3], a[0:3] cbsz:4 abid:8
	v_cvt_pk_f32_fp8_e32 v[2:3], v20
	v_cvt_pk_f32_fp8_e32 v[6:7], v21
	v_mfma_f32_4x4x4_16b_f16 a[0:3], v[34:35], v[4:5], a[0:3] cbsz:4 abid:9
	v_cvt_pk_f32_fp8_sdwa v[4:5], v20 src0_sel:WORD_1
	v_cvt_pk_f32_fp8_sdwa v[8:9], v21 src0_sel:WORD_1
	v_cvt_pkrtz_f16_f32 v2, v2, v3
	v_cvt_pkrtz_f16_f32 v3, v4, v5
	v_cvt_pkrtz_f16_f32 v4, v6, v7
	s_nop 0
	v_mfma_f32_4x4x4_16b_f16 a[0:3], v[34:35], v[2:3], a[0:3] cbsz:4 abid:10
	v_cvt_pkrtz_f16_f32 v5, v8, v9
	v_cvt_pk_f32_fp8_e32 v[2:3], v10
	v_cvt_pk_f32_fp8_e32 v[6:7], v11
	v_mfma_f32_4x4x4_16b_f16 a[0:3], v[34:35], v[4:5], a[0:3] cbsz:4 abid:11
	v_cvt_pk_f32_fp8_sdwa v[4:5], v10 src0_sel:WORD_1
	v_cvt_pk_f32_fp8_sdwa v[8:9], v11 src0_sel:WORD_1
	v_cvt_pkrtz_f16_f32 v2, v2, v3
	v_cvt_pkrtz_f16_f32 v3, v4, v5
	v_cvt_pkrtz_f16_f32 v4, v6, v7
	s_nop 0
	v_mfma_f32_4x4x4_16b_f16 a[0:3], v[34:35], v[2:3], a[0:3] cbsz:4 abid:12
	v_cvt_pkrtz_f16_f32 v5, v8, v9
	;; [unrolled: 11-line block ×3, first 2 shown]
	v_mad_u32_u24 v7, v1, 40, v38
	s_nop 0
	v_mfma_f32_4x4x4_16b_f16 a[0:3], v[34:35], v[4:5], a[0:3] cbsz:4 abid:15
	s_nop 4
	v_accvgpr_read_b32 v5, a1
	v_accvgpr_read_b32 v3, a3
	;; [unrolled: 1-line block ×4, first 2 shown]
	v_pk_mul_f32 v[2:3], v[2:3], s[4:5] op_sel_hi:[1,0]
	v_pk_mul_f32 v[4:5], v[4:5], s[4:5] op_sel_hi:[1,0]
	v_cvt_f16_f32_e32 v6, v2
	v_cvt_f16_f32_e32 v4, v4
	;; [unrolled: 1-line block ×4, first 2 shown]
	v_pack_b32_f16 v2, v4, v5
	v_pack_b32_f16 v3, v6, v3
	ds_write2st64_b64 v7, v[16:17], v[2:3] offset1:5
.LBB1049_25:
	s_or_b64 exec, exec, s[2:3]
	v_cmp_gt_u32_e32 vcc, 64, v0
	s_waitcnt lgkmcnt(0)
	s_barrier
	s_and_saveexec_b64 s[2:3], vcc
	s_cbranch_execz .LBB1049_27
; %bb.26:
	s_waitcnt vmcnt(4)
	v_mul_u32_u24_e32 v6, 40, v1
	ds_read2_b64 v[2:5], v6 offset1:1
	s_mov_b32 s1, 0
	s_waitcnt lgkmcnt(0)
	v_mov_b32_e32 v3, 0xa00
	s_lshl_b32 s0, s0, 7
	ds_read2_b64 v[6:9], v6 offset0:2 offset1:3
	v_mad_u32_u24 v3, v1, 40, v3
	v_pk_add_f16 v2, v2, 0
	s_lshl_b64 s[2:3], s[0:1], 1
	s_waitcnt lgkmcnt(0)
	v_pk_add_f16 v7, v2, v4
	v_mov_b32_e32 v9, 0xa10
	ds_read2_b64 v[2:5], v3 offset1:1
	s_add_u32 s2, s22, s2
	v_mad_u32_u24 v1, v1, 40, v9
	s_waitcnt vmcnt(1)
	ds_read2_b64 v[10:13], v1 offset1:1
	s_addc_u32 s3, s23, s3
	s_lshl_b32 s0, s20, 7
	s_lshl_b64 s[0:1], s[0:1], 1
	s_add_u32 s0, s2, s0
	v_pk_add_f16 v1, v7, v6
	s_addc_u32 s1, s3, s1
	s_lshl_b32 s2, s33, 7
	v_pk_add_f16 v6, v1, v8
	s_waitcnt lgkmcnt(1)
	v_pk_add_f16 v1, v2, 0
	s_mul_i32 s3, s2, s38
	v_pk_add_f16 v1, v1, v4
	v_or_b32_e32 v2, s3, v0
	v_mov_b32_e32 v3, 0
	s_add_i32 s3, s3, s2
	s_waitcnt lgkmcnt(0)
	v_pk_add_f16 v1, v1, v10
	v_lshl_add_u64 v[4:5], v[2:3], 1, s[0:1]
	v_or_b32_e32 v2, s3, v0
	v_pk_add_f16 v7, v1, v12
	v_lshl_add_u64 v[0:1], v[2:3], 1, s[0:1]
	global_store_short v[4:5], v6, off
	global_store_short_d16_hi v[0:1], v6, off
	global_store_short v[4:5], v7, off offset:128
	global_store_short_d16_hi v[0:1], v7, off offset:128
.LBB1049_27:
	s_endpgm
	.section	.rodata,"a",@progbits
	.p2align	6, 0x0
	.amdhsa_kernel _Z38paged_attention_ll4mi_QKV_mfma4_kernelIDF16_hLN4vllm18Fp8KVCacheDataTypeE1EDF16_Li32ELi128ELi256ELb1ELi2EEvPKT_PKT0_S7_ifPKiS9_S9_iPKfiiiPfSC_PS2_PT2_iSB_SB_
		.amdhsa_group_segment_fixed_size 5280
		.amdhsa_private_segment_fixed_size 0
		.amdhsa_kernarg_size 400
		.amdhsa_user_sgpr_count 2
		.amdhsa_user_sgpr_dispatch_ptr 0
		.amdhsa_user_sgpr_queue_ptr 0
		.amdhsa_user_sgpr_kernarg_segment_ptr 1
		.amdhsa_user_sgpr_dispatch_id 0
		.amdhsa_user_sgpr_kernarg_preload_length 0
		.amdhsa_user_sgpr_kernarg_preload_offset 0
		.amdhsa_user_sgpr_private_segment_size 0
		.amdhsa_uses_dynamic_stack 0
		.amdhsa_enable_private_segment 0
		.amdhsa_system_sgpr_workgroup_id_x 1
		.amdhsa_system_sgpr_workgroup_id_y 1
		.amdhsa_system_sgpr_workgroup_id_z 1
		.amdhsa_system_sgpr_workgroup_info 0
		.amdhsa_system_vgpr_workitem_id 0
		.amdhsa_next_free_vgpr 60
		.amdhsa_next_free_sgpr 44
		.amdhsa_accum_offset 56
		.amdhsa_reserve_vcc 1
		.amdhsa_float_round_mode_32 0
		.amdhsa_float_round_mode_16_64 0
		.amdhsa_float_denorm_mode_32 3
		.amdhsa_float_denorm_mode_16_64 3
		.amdhsa_dx10_clamp 1
		.amdhsa_ieee_mode 1
		.amdhsa_fp16_overflow 0
		.amdhsa_tg_split 0
		.amdhsa_exception_fp_ieee_invalid_op 0
		.amdhsa_exception_fp_denorm_src 0
		.amdhsa_exception_fp_ieee_div_zero 0
		.amdhsa_exception_fp_ieee_overflow 0
		.amdhsa_exception_fp_ieee_underflow 0
		.amdhsa_exception_fp_ieee_inexact 0
		.amdhsa_exception_int_div_zero 0
	.end_amdhsa_kernel
	.section	.text._Z38paged_attention_ll4mi_QKV_mfma4_kernelIDF16_hLN4vllm18Fp8KVCacheDataTypeE1EDF16_Li32ELi128ELi256ELb1ELi2EEvPKT_PKT0_S7_ifPKiS9_S9_iPKfiiiPfSC_PS2_PT2_iSB_SB_,"axG",@progbits,_Z38paged_attention_ll4mi_QKV_mfma4_kernelIDF16_hLN4vllm18Fp8KVCacheDataTypeE1EDF16_Li32ELi128ELi256ELb1ELi2EEvPKT_PKT0_S7_ifPKiS9_S9_iPKfiiiPfSC_PS2_PT2_iSB_SB_,comdat
.Lfunc_end1049:
	.size	_Z38paged_attention_ll4mi_QKV_mfma4_kernelIDF16_hLN4vllm18Fp8KVCacheDataTypeE1EDF16_Li32ELi128ELi256ELb1ELi2EEvPKT_PKT0_S7_ifPKiS9_S9_iPKfiiiPfSC_PS2_PT2_iSB_SB_, .Lfunc_end1049-_Z38paged_attention_ll4mi_QKV_mfma4_kernelIDF16_hLN4vllm18Fp8KVCacheDataTypeE1EDF16_Li32ELi128ELi256ELb1ELi2EEvPKT_PKT0_S7_ifPKiS9_S9_iPKfiiiPfSC_PS2_PT2_iSB_SB_
                                        ; -- End function
	.section	.AMDGPU.csdata,"",@progbits
; Kernel info:
; codeLenInByte = 5296
; NumSgprs: 50
; NumVgprs: 56
; NumAgprs: 4
; TotalNumVgprs: 60
; ScratchSize: 0
; MemoryBound: 0
; FloatMode: 240
; IeeeMode: 1
; LDSByteSize: 5280 bytes/workgroup (compile time only)
; SGPRBlocks: 6
; VGPRBlocks: 7
; NumSGPRsForWavesPerEU: 50
; NumVGPRsForWavesPerEU: 60
; AccumOffset: 56
; Occupancy: 8
; WaveLimiterHint : 1
; COMPUTE_PGM_RSRC2:SCRATCH_EN: 0
; COMPUTE_PGM_RSRC2:USER_SGPR: 2
; COMPUTE_PGM_RSRC2:TRAP_HANDLER: 0
; COMPUTE_PGM_RSRC2:TGID_X_EN: 1
; COMPUTE_PGM_RSRC2:TGID_Y_EN: 1
; COMPUTE_PGM_RSRC2:TGID_Z_EN: 1
; COMPUTE_PGM_RSRC2:TIDIG_COMP_CNT: 0
; COMPUTE_PGM_RSRC3_GFX90A:ACCUM_OFFSET: 13
; COMPUTE_PGM_RSRC3_GFX90A:TG_SPLIT: 0
	.section	.text._Z38paged_attention_ll4mi_QKV_mfma4_kernelIDF16_hLN4vllm18Fp8KVCacheDataTypeE1EDF16_Li32ELi128ELi256ELb1ELi3EEvPKT_PKT0_S7_ifPKiS9_S9_iPKfiiiPfSC_PS2_PT2_iSB_SB_,"axG",@progbits,_Z38paged_attention_ll4mi_QKV_mfma4_kernelIDF16_hLN4vllm18Fp8KVCacheDataTypeE1EDF16_Li32ELi128ELi256ELb1ELi3EEvPKT_PKT0_S7_ifPKiS9_S9_iPKfiiiPfSC_PS2_PT2_iSB_SB_,comdat
	.protected	_Z38paged_attention_ll4mi_QKV_mfma4_kernelIDF16_hLN4vllm18Fp8KVCacheDataTypeE1EDF16_Li32ELi128ELi256ELb1ELi3EEvPKT_PKT0_S7_ifPKiS9_S9_iPKfiiiPfSC_PS2_PT2_iSB_SB_ ; -- Begin function _Z38paged_attention_ll4mi_QKV_mfma4_kernelIDF16_hLN4vllm18Fp8KVCacheDataTypeE1EDF16_Li32ELi128ELi256ELb1ELi3EEvPKT_PKT0_S7_ifPKiS9_S9_iPKfiiiPfSC_PS2_PT2_iSB_SB_
	.globl	_Z38paged_attention_ll4mi_QKV_mfma4_kernelIDF16_hLN4vllm18Fp8KVCacheDataTypeE1EDF16_Li32ELi128ELi256ELb1ELi3EEvPKT_PKT0_S7_ifPKiS9_S9_iPKfiiiPfSC_PS2_PT2_iSB_SB_
	.p2align	8
	.type	_Z38paged_attention_ll4mi_QKV_mfma4_kernelIDF16_hLN4vllm18Fp8KVCacheDataTypeE1EDF16_Li32ELi128ELi256ELb1ELi3EEvPKT_PKT0_S7_ifPKiS9_S9_iPKfiiiPfSC_PS2_PT2_iSB_SB_,@function
_Z38paged_attention_ll4mi_QKV_mfma4_kernelIDF16_hLN4vllm18Fp8KVCacheDataTypeE1EDF16_Li32ELi128ELi256ELb1ELi3EEvPKT_PKT0_S7_ifPKiS9_S9_iPKfiiiPfSC_PS2_PT2_iSB_SB_: ; @_Z38paged_attention_ll4mi_QKV_mfma4_kernelIDF16_hLN4vllm18Fp8KVCacheDataTypeE1EDF16_Li32ELi128ELi256ELb1ELi3EEvPKT_PKT0_S7_ifPKiS9_S9_iPKfiiiPfSC_PS2_PT2_iSB_SB_
; %bb.0:
	s_load_dwordx2 s[16:17], s[0:1], 0x30
	s_mov_b32 s20, s3
	s_mov_b64 s[6:7], 0
	s_waitcnt lgkmcnt(0)
	s_cmp_lg_u64 s[16:17], 0
	s_cselect_b64 s[18:19], -1, 0
	s_and_b64 vcc, exec, s[18:19]
	s_cbranch_vccz .LBB1050_10
; %bb.1:
	s_add_i32 s8, s2, 1
	s_mov_b32 s9, 0
	s_lshl_b64 s[10:11], s[8:9], 2
	s_add_u32 s10, s16, s10
	s_mov_b32 s3, s9
	s_addc_u32 s11, s17, s11
	s_lshl_b64 s[8:9], s[2:3], 2
	s_add_u32 s8, s16, s8
	s_addc_u32 s9, s17, s9
	s_load_dword s5, s[10:11], 0x0
	s_load_dword s12, s[8:9], 0x0
	s_waitcnt lgkmcnt(0)
	s_sub_i32 s5, s5, s12
	s_cmp_eq_u32 s5, 1
	s_cselect_b64 s[8:9], -1, 0
	s_andn2_b64 vcc, exec, s[6:7]
	s_cbranch_vccnz .LBB1050_3
.LBB1050_2:
	s_mov_b32 s3, 0
	s_mov_b64 s[8:9], -1
.LBB1050_3:
	s_andn2_b64 vcc, exec, s[8:9]
	s_cbranch_vccnz .LBB1050_27
; %bb.4:
	s_load_dword s5, s[0:1], 0x9c
	s_load_dwordx2 s[6:7], s[0:1], 0x28
	s_add_u32 s24, s0, 0x90
	s_addc_u32 s25, s1, 0
	s_lshl_b64 s[28:29], s[2:3], 2
	s_waitcnt lgkmcnt(0)
	s_and_b32 s5, s5, 0xffff
	s_add_u32 s6, s6, s28
	s_addc_u32 s7, s7, s29
	s_load_dword s3, s[6:7], 0x0
	s_mul_i32 s5, s20, s5
	s_waitcnt lgkmcnt(0)
	s_cmp_ge_i32 s5, s3
	s_cbranch_scc1 .LBB1050_27
; %bb.5:
	v_and_b32_e32 v1, 0xc0, v0
	v_add_u32_e32 v4, s5, v1
	v_lshrrev_b32_e32 v46, 6, v0
	v_cmp_le_i32_e64 s[6:7], s3, v4
                                        ; implicit-def: $sgpr30
                                        ; implicit-def: $sgpr21
	s_and_saveexec_b64 s[8:9], s[6:7]
	s_xor_b64 s[8:9], exec, s[8:9]
	s_cbranch_execz .LBB1050_7
; %bb.6:
	v_mul_u32_u24_e32 v1, 20, v46
	v_or_b32_e32 v1, 0x1400, v1
	v_mov_b32_e32 v2, 0x1450
	v_mov_b32_e32 v3, 0xff7fffff
	v_mad_u32_u24 v2, v46, 20, v2
	ds_write2_b32 v1, v3, v3 offset1:1
	v_mov_b32_e32 v1, 0
	ds_write2_b32 v2, v1, v1 offset1:1
	v_mov_b32_e32 v2, 0x1408
	v_mov_b32_e32 v4, 0x1458
	s_mov_b32 s21, 0xff7fffff
	s_mov_b32 s30, 0
	v_mad_u32_u24 v2, v46, 20, v2
	v_mad_u32_u24 v4, v46, 20, v4
	ds_write2_b32 v2, v3, v3 offset1:1
	ds_write2_b32 v4, v1, v1 offset1:1
                                        ; implicit-def: $vgpr4
.LBB1050_7:
	s_or_saveexec_b64 s[26:27], s[8:9]
	s_load_dwordx2 s[22:23], s[0:1], 0x68
	s_load_dwordx4 s[12:15], s[0:1], 0x58
	s_load_dword s33, s[24:25], 0x4
	s_load_dwordx4 s[8:11], s[0:1], 0x80
	v_and_b32_e32 v1, 63, v0
	v_and_b32_e32 v47, 3, v0
	s_mul_i32 s38, s4, 3
	v_mov_b32_e32 v37, s30
	v_mov_b32_e32 v39, s21
	;; [unrolled: 1-line block ×5, first 2 shown]
                                        ; implicit-def: $vgpr26_vgpr27
                                        ; implicit-def: $vgpr10_vgpr11
                                        ; implicit-def: $vgpr30_vgpr31
                                        ; implicit-def: $vgpr18_vgpr19
                                        ; implicit-def: $vgpr6_vgpr7
                                        ; implicit-def: $vgpr2_vgpr3
                                        ; implicit-def: $vgpr22_vgpr23
                                        ; implicit-def: $vgpr14_vgpr15
	s_xor_b64 exec, exec, s[26:27]
	s_cbranch_execz .LBB1050_19
; %bb.8:
	s_load_dwordx2 s[30:31], s[0:1], 0x20
	s_load_dword s21, s[0:1], 0x38
	s_add_i32 s34, s3, 31
	s_ashr_i32 s35, s34, 31
	s_lshr_b32 s35, s35, 27
	v_add_u32_e32 v48, s5, v0
	s_add_i32 s34, s34, s35
	v_ashrrev_i32_e32 v2, 31, v48
	s_ashr_i32 s34, s34, 5
	v_lshrrev_b32_e32 v2, 27, v2
	s_add_i32 s36, s34, -1
	s_waitcnt lgkmcnt(0)
	s_mul_i32 s34, s2, s21
	s_mov_b32 s35, 0
	v_add_u32_e32 v2, v48, v2
	s_lshl_b64 s[34:35], s[34:35], 2
	v_ashrrev_i32_e32 v2, 5, v2
	v_mov_b32_e32 v3, s36
	v_cmp_gt_i32_e32 vcc, s3, v48
	s_add_u32 s30, s30, s34
	s_addc_u32 s31, s31, s35
	v_cndmask_b32_e32 v2, v3, v2, vcc
	v_ashrrev_i32_e32 v3, 31, v2
	v_lshl_add_u64 v[6:7], v[2:3], 2, s[30:31]
	v_ashrrev_i32_e32 v2, 31, v4
	v_lshrrev_b32_e32 v2, 27, v2
	v_add_u32_e32 v2, v4, v2
	v_ashrrev_i32_e32 v8, 5, v2
	v_min_i32_e32 v2, s36, v8
	v_ashrrev_i32_e32 v3, 31, v2
	v_lshl_add_u64 v[4:5], v[2:3], 2, s[30:31]
	v_add_u32_e32 v2, 1, v8
	v_min_i32_e32 v2, s36, v2
	v_ashrrev_i32_e32 v3, 31, v2
	v_lshl_add_u64 v[8:9], v[2:3], 2, s[30:31]
	global_load_dword v2, v[6:7], off
	global_load_dword v29, v[4:5], off
	;; [unrolled: 1-line block ×3, first 2 shown]
	s_load_dwordx2 s[30:31], s[0:1], 0x8
	s_andn2_b64 vcc, exec, s[18:19]
	s_cbranch_vccnz .LBB1050_11
; %bb.9:
	s_add_u32 s16, s16, s28
	s_addc_u32 s17, s17, s29
	s_load_dword s5, s[16:17], 0x0
	s_branch .LBB1050_12
.LBB1050_10:
	s_mov_b64 s[8:9], 0
	s_branch .LBB1050_2
.LBB1050_11:
	s_mov_b32 s5, s2
.LBB1050_12:
	s_load_dwordx2 s[28:29], s[0:1], 0x10
	s_load_dwordx4 s[16:19], s[0:1], 0x48
	v_cmp_ne_u32_e32 vcc, 3, v47
	s_mov_b32 s37, 0
	v_mov_b32_e32 v27, 0
	v_mov_b32_e32 v14, 0
	;; [unrolled: 1-line block ×5, first 2 shown]
	s_and_saveexec_b64 s[34:35], vcc
	s_cbranch_execz .LBB1050_14
; %bb.13:
	s_load_dwordx2 s[40:41], s[0:1], 0x0
	s_waitcnt lgkmcnt(0)
	s_ashr_i32 s19, s16, 31
	s_mul_hi_u32 s21, s5, s16
	s_mul_i32 s19, s5, s19
	s_add_i32 s43, s21, s19
	s_mul_i32 s42, s5, s16
	s_lshl_b64 s[42:43], s[42:43], 1
	s_add_u32 s5, s40, s42
	s_mul_i32 s36, s4, 0x180
	s_addc_u32 s16, s41, s43
	s_lshl_b64 s[36:37], s[36:37], 1
	v_lshlrev_b32_e32 v3, 2, v1
	s_add_u32 s36, s5, s36
	v_and_b32_e32 v3, 0xf0, v3
	s_addc_u32 s37, s16, s37
	v_lshl_or_b32 v3, v47, 8, v3
	global_load_dwordx4 v[14:17], v3, s[36:37]
.LBB1050_14:
	s_or_b64 exec, exec, s[34:35]
	s_waitcnt lgkmcnt(0)
	s_mul_i32 s16, s4, s18
	s_add_u32 s4, s16, s30
	s_addc_u32 s5, 0, s31
	v_mov_b64_e32 v[4:5], s[4:5]
	s_waitcnt vmcnt(2)
	v_mad_i64_i32 v[2:3], s[4:5], v2, s17, v[4:5]
	v_lshlrev_b32_e32 v4, 4, v0
	v_and_b32_e32 v26, 0x1f0, v4
	v_lshl_add_u64 v[42:43], v[2:3], 0, v[26:27]
	global_load_dwordx4 v[10:13], v[42:43], off
	global_load_dwordx4 v[6:9], v[42:43], off offset:512
	global_load_dwordx4 v[2:5], v[42:43], off offset:1024
	;; [unrolled: 1-line block ×7, first 2 shown]
	v_mov_b32_e32 v43, 1.0
	v_mov_b32_e32 v42, 0
	s_and_saveexec_b64 s[4:5], vcc
	s_cbranch_execz .LBB1050_16
; %bb.15:
	s_load_dwordx2 s[18:19], s[0:1], 0x40
	v_add_u32_e32 v42, s38, v47
	v_mov_b32_e32 v43, 0
	s_waitcnt lgkmcnt(0)
	v_lshl_add_u64 v[44:45], v[42:43], 2, s[18:19]
	global_load_dword v42, v[44:45], off
.LBB1050_16:
	s_or_b64 exec, exec, s[4:5]
	s_waitcnt vmcnt(9)
	v_mul_hi_i32 v26, v29, s17
	v_ashrrev_i32_e32 v26, 31, v26
	v_lshrrev_b32_e32 v44, 29, v26
	v_mov_b32_e32 v45, 0
	v_mad_i64_i32 v[50:51], s[18:19], v29, s17, v[44:45]
	s_waitcnt vmcnt(8)
	v_mul_hi_i32 v29, v28, s17
	v_ashrrev_i32_e32 v29, 31, v29
	v_lshrrev_b32_e32 v44, 29, v29
	s_add_u32 s4, s28, s16
	v_mad_i64_i32 v[28:29], s[16:17], v28, s17, v[44:45]
	s_addc_u32 s5, s29, 0
	v_and_b32_e32 v50, -8, v50
	v_and_b32_e32 v28, -8, v28
	s_waitcnt vmcnt(7)
	v_cvt_pk_f32_fp8_e32 v[52:53], v10
	v_cvt_pk_f32_fp8_sdwa v[54:55], v10 src0_sel:WORD_1
	v_lshl_add_u64 v[50:51], s[4:5], 0, v[50:51]
	v_lshlrev_b32_e32 v26, 5, v1
	v_lshl_add_u64 v[28:29], s[4:5], 0, v[28:29]
	v_lshl_add_u64 v[50:51], v[50:51], 0, v[26:27]
	;; [unrolled: 1-line block ×3, first 2 shown]
	v_cvt_pk_f32_fp8_e32 v[26:27], v11
	v_cvt_pk_f32_fp8_sdwa v[10:11], v11 src0_sel:WORD_1
	v_cvt_pkrtz_f16_f32 v28, v52, v53
	v_cvt_pkrtz_f16_f32 v29, v54, v55
	;; [unrolled: 1-line block ×4, first 2 shown]
	v_mfma_f32_4x4x4_16b_f16 a[0:3], v[14:15], v[28:29], 0 cbsz:4
	v_cvt_pk_f32_fp8_e32 v[10:11], v12
	v_cvt_pk_f32_fp8_e32 v[28:29], v13
	v_mfma_f32_4x4x4_16b_f16 a[0:3], v[16:17], v[26:27], a[0:3] cbsz:4
	v_cvt_pk_f32_fp8_sdwa v[26:27], v12 src0_sel:WORD_1
	v_cvt_pk_f32_fp8_sdwa v[12:13], v13 src0_sel:WORD_1
	v_cvt_pkrtz_f16_f32 v10, v10, v11
	s_waitcnt vmcnt(4)
	v_cvt_pk_f32_fp8_e32 v[52:53], v41
	v_cvt_pkrtz_f16_f32 v11, v26, v27
	v_cvt_pkrtz_f16_f32 v26, v28, v29
	;; [unrolled: 1-line block ×3, first 2 shown]
	v_mfma_f32_4x4x4_16b_f16 a[0:3], v[14:15], v[10:11], a[0:3] cbsz:4 abid:1
	v_cvt_pk_f32_fp8_e32 v[10:11], v6
	v_cvt_pk_f32_fp8_sdwa v[12:13], v6 src0_sel:WORD_1
	v_mfma_f32_4x4x4_16b_f16 a[0:3], v[16:17], v[26:27], a[0:3] cbsz:4 abid:1
	v_cvt_pk_f32_fp8_e32 v[26:27], v7
	v_cvt_pk_f32_fp8_sdwa v[6:7], v7 src0_sel:WORD_1
	v_cvt_pkrtz_f16_f32 v28, v10, v11
	v_cvt_pkrtz_f16_f32 v29, v12, v13
	;; [unrolled: 1-line block ×4, first 2 shown]
	v_mfma_f32_4x4x4_16b_f16 a[0:3], v[14:15], v[28:29], a[0:3] cbsz:4 abid:2
	v_cvt_pk_f32_fp8_e32 v[6:7], v8
	v_cvt_pk_f32_fp8_sdwa v[28:29], v8 src0_sel:WORD_1
	v_mfma_f32_4x4x4_16b_f16 a[0:3], v[16:17], v[26:27], a[0:3] cbsz:4 abid:2
	v_cvt_pk_f32_fp8_e32 v[26:27], v9
	v_cvt_pkrtz_f16_f32 v6, v6, v7
	v_cvt_pkrtz_f16_f32 v7, v28, v29
	v_cvt_pk_f32_fp8_sdwa v[8:9], v9 src0_sel:WORD_1
	v_cvt_pk_f32_fp8_sdwa v[28:29], v2 src0_sel:WORD_1
	v_mfma_f32_4x4x4_16b_f16 a[0:3], v[14:15], v[6:7], a[0:3] cbsz:4 abid:3
	v_cvt_pk_f32_fp8_e32 v[6:7], v2
	v_cvt_pkrtz_f16_f32 v26, v26, v27
	v_cvt_pkrtz_f16_f32 v27, v8, v9
	v_cvt_pk_f32_fp8_sdwa v[8:9], v3 src0_sel:WORD_1
	v_cvt_pkrtz_f16_f32 v2, v6, v7
	v_cvt_pk_f32_fp8_e32 v[6:7], v3
	v_mfma_f32_4x4x4_16b_f16 a[0:3], v[16:17], v[26:27], a[0:3] cbsz:4 abid:3
	v_cvt_pkrtz_f16_f32 v3, v28, v29
	global_load_dwordx4 v[10:13], v[50:51], off offset:16
	global_load_dwordx4 v[26:29], v[50:51], off
	v_mfma_f32_4x4x4_16b_f16 a[0:3], v[14:15], v[2:3], a[0:3] cbsz:4 abid:4
	v_cvt_pkrtz_f16_f32 v6, v6, v7
	v_cvt_pkrtz_f16_f32 v7, v8, v9
	v_cvt_pk_f32_fp8_e32 v[2:3], v4
	v_cvt_pk_f32_fp8_e32 v[8:9], v5
	v_mfma_f32_4x4x4_16b_f16 a[0:3], v[16:17], v[6:7], a[0:3] cbsz:4 abid:4
	v_cvt_pk_f32_fp8_sdwa v[6:7], v4 src0_sel:WORD_1
	v_cvt_pk_f32_fp8_sdwa v[4:5], v5 src0_sel:WORD_1
	v_cvt_pkrtz_f16_f32 v2, v2, v3
	s_load_dword s0, s[0:1], 0x1c
	v_cvt_pkrtz_f16_f32 v3, v6, v7
	v_cvt_pkrtz_f16_f32 v7, v4, v5
	v_cvt_pk_f32_fp8_sdwa v[4:5], v38 src0_sel:WORD_1
	v_mfma_f32_4x4x4_16b_f16 a[0:3], v[14:15], v[2:3], a[0:3] cbsz:4 abid:5
	v_cvt_pk_f32_fp8_e32 v[2:3], v38
	v_cvt_pkrtz_f16_f32 v6, v8, v9
	v_cvt_pk_f32_fp8_sdwa v[8:9], v39 src0_sel:WORD_1
	s_load_dword s1, s[8:9], 0x0
	v_mfma_f32_4x4x4_16b_f16 a[0:3], v[16:17], v[6:7], a[0:3] cbsz:4 abid:5
	v_cvt_pk_f32_fp8_e32 v[6:7], v39
	v_cvt_pkrtz_f16_f32 v38, v2, v3
	v_cvt_pkrtz_f16_f32 v39, v4, v5
	global_load_dwordx4 v[2:5], v[50:51], off offset:2064
	v_cvt_pkrtz_f16_f32 v6, v6, v7
	v_mfma_f32_4x4x4_16b_f16 a[0:3], v[14:15], v[38:39], a[0:3] cbsz:4 abid:6
	v_cvt_pk_f32_fp8_sdwa v[38:39], v40 src0_sel:WORD_1
	v_cvt_pkrtz_f16_f32 v7, v8, v9
	v_cvt_pk_f32_fp8_e32 v[8:9], v40
	v_cvt_pkrtz_f16_f32 v40, v52, v53
	v_cvt_pkrtz_f16_f32 v55, v38, v39
	v_cvt_pk_f32_fp8_sdwa v[38:39], v41 src0_sel:WORD_1
	v_mfma_f32_4x4x4_16b_f16 a[0:3], v[16:17], v[6:7], a[0:3] cbsz:4 abid:6
	v_cvt_pkrtz_f16_f32 v54, v8, v9
	global_load_dwordx4 v[6:9], v[50:51], off offset:2048
	s_waitcnt vmcnt(7)
	v_cvt_pk_f32_fp8_e32 v[50:51], v18
	v_mfma_f32_4x4x4_16b_f16 a[0:3], v[14:15], v[54:55], a[0:3] cbsz:4 abid:7
	v_cvt_pk_f32_fp8_sdwa v[52:53], v18 src0_sel:WORD_1
	v_cvt_pkrtz_f16_f32 v41, v38, v39
	v_cvt_pk_f32_fp8_e32 v[38:39], v19
	v_cvt_pkrtz_f16_f32 v18, v50, v51
	v_mfma_f32_4x4x4_16b_f16 a[0:3], v[16:17], v[40:41], a[0:3] cbsz:4 abid:7
	v_cvt_pk_f32_fp8_sdwa v[40:41], v19 src0_sel:WORD_1
	v_cvt_pkrtz_f16_f32 v19, v52, v53
	v_cvt_pkrtz_f16_f32 v38, v38, v39
	v_cvt_pk_f32_fp8_e32 v[50:51], v21
	v_mfma_f32_4x4x4_16b_f16 a[0:3], v[14:15], v[18:19], a[0:3] cbsz:4 abid:8
	v_cvt_pkrtz_f16_f32 v39, v40, v41
	v_cvt_pk_f32_fp8_sdwa v[40:41], v20 src0_sel:WORD_1
	v_cvt_pk_f32_fp8_sdwa v[52:53], v21 src0_sel:WORD_1
	v_mfma_f32_4x4x4_16b_f16 a[0:3], v[16:17], v[38:39], a[0:3] cbsz:4 abid:8
	v_cvt_pk_f32_fp8_e32 v[38:39], v20
	v_cmp_eq_u32_e32 vcc, 0, v47
	global_load_dwordx4 v[18:21], v[44:45], off offset:16
	v_cvt_pkrtz_f16_f32 v38, v38, v39
	v_cvt_pkrtz_f16_f32 v39, v40, v41
	;; [unrolled: 1-line block ×4, first 2 shown]
	v_mfma_f32_4x4x4_16b_f16 a[0:3], v[14:15], v[38:39], a[0:3] cbsz:4 abid:9
	s_waitcnt vmcnt(7)
	v_cvt_pk_f32_fp8_e32 v[38:39], v30
	v_cvt_pk_f32_fp8_e32 v[50:51], v31
	v_mfma_f32_4x4x4_16b_f16 a[0:3], v[16:17], v[40:41], a[0:3] cbsz:4 abid:9
	v_cvt_pk_f32_fp8_sdwa v[40:41], v30 src0_sel:WORD_1
	v_cvt_pkrtz_f16_f32 v30, v38, v39
	v_cvt_pk_f32_fp8_sdwa v[38:39], v31 src0_sel:WORD_1
	v_cvt_pk_f32_fp8_sdwa v[52:53], v33 src0_sel:WORD_1
	v_cvt_pkrtz_f16_f32 v31, v40, v41
	v_cvt_pkrtz_f16_f32 v40, v50, v51
	;; [unrolled: 1-line block ×3, first 2 shown]
	v_mfma_f32_4x4x4_16b_f16 a[0:3], v[14:15], v[30:31], a[0:3] cbsz:4 abid:10
	v_cvt_pk_f32_fp8_e32 v[38:39], v32
	v_cvt_pk_f32_fp8_e32 v[50:51], v33
	v_mfma_f32_4x4x4_16b_f16 a[0:3], v[16:17], v[40:41], a[0:3] cbsz:4 abid:10
	v_cvt_pk_f32_fp8_sdwa v[40:41], v32 src0_sel:WORD_1
	global_load_dwordx4 v[30:33], v[44:45], off
	v_cvt_pkrtz_f16_f32 v38, v38, v39
	v_cvt_pkrtz_f16_f32 v39, v40, v41
	;; [unrolled: 1-line block ×3, first 2 shown]
	s_nop 0
	v_mfma_f32_4x4x4_16b_f16 a[0:3], v[14:15], v[38:39], a[0:3] cbsz:4 abid:11
	s_waitcnt vmcnt(7)
	v_cvt_pk_f32_fp8_e32 v[38:39], v34
	v_cvt_pkrtz_f16_f32 v41, v52, v53
	v_cvt_pk_f32_fp8_e32 v[50:51], v35
	s_nop 0
	v_mfma_f32_4x4x4_16b_f16 a[0:3], v[16:17], v[40:41], a[0:3] cbsz:4 abid:11
	v_cvt_pk_f32_fp8_sdwa v[40:41], v34 src0_sel:WORD_1
	v_cvt_pkrtz_f16_f32 v34, v38, v39
	v_cvt_pk_f32_fp8_sdwa v[38:39], v35 src0_sel:WORD_1
	v_cvt_pkrtz_f16_f32 v35, v40, v41
	v_cvt_pkrtz_f16_f32 v40, v50, v51
	s_nop 0
	v_mfma_f32_4x4x4_16b_f16 a[0:3], v[14:15], v[34:35], a[0:3] cbsz:4 abid:12
	v_cvt_pkrtz_f16_f32 v41, v38, v39
	v_cvt_pk_f32_fp8_e32 v[34:35], v36
	v_cvt_pk_f32_fp8_sdwa v[38:39], v36 src0_sel:WORD_1
	v_mfma_f32_4x4x4_16b_f16 a[0:3], v[16:17], v[40:41], a[0:3] cbsz:4 abid:12
	v_cvt_pk_f32_fp8_e32 v[40:41], v37
	v_cvt_pk_f32_fp8_sdwa v[36:37], v37 src0_sel:WORD_1
	v_cvt_pkrtz_f16_f32 v34, v34, v35
	v_cvt_pkrtz_f16_f32 v35, v38, v39
	;; [unrolled: 1-line block ×4, first 2 shown]
	v_mfma_f32_4x4x4_16b_f16 a[0:3], v[14:15], v[34:35], a[0:3] cbsz:4 abid:13
	s_waitcnt vmcnt(6)
	v_cvt_pk_f32_fp8_e32 v[34:35], v22
	v_cvt_pk_f32_fp8_sdwa v[36:37], v22 src0_sel:WORD_1
	v_mfma_f32_4x4x4_16b_f16 a[0:3], v[16:17], v[38:39], a[0:3] cbsz:4 abid:13
	v_cvt_pk_f32_fp8_e32 v[38:39], v23
	v_cvt_pkrtz_f16_f32 v22, v34, v35
	v_cvt_pk_f32_fp8_sdwa v[34:35], v23 src0_sel:WORD_1
	v_cvt_pkrtz_f16_f32 v23, v36, v37
	v_cvt_pkrtz_f16_f32 v36, v38, v39
	v_mov_b32_e32 v41, 0xff7fffff
	v_mfma_f32_4x4x4_16b_f16 a[0:3], v[14:15], v[22:23], a[0:3] cbsz:4 abid:14
	v_cvt_pkrtz_f16_f32 v37, v34, v35
	v_cvt_pk_f32_fp8_e32 v[22:23], v24
	v_cvt_pk_f32_fp8_sdwa v[34:35], v24 src0_sel:WORD_1
	v_mfma_f32_4x4x4_16b_f16 a[0:3], v[16:17], v[36:37], a[0:3] cbsz:4 abid:14
	v_cvt_pk_f32_fp8_e32 v[36:37], v25
	v_cvt_pk_f32_fp8_sdwa v[24:25], v25 src0_sel:WORD_1
	v_cvt_pkrtz_f16_f32 v22, v22, v23
	v_cvt_pkrtz_f16_f32 v23, v34, v35
	;; [unrolled: 1-line block ×4, first 2 shown]
	v_mfma_f32_4x4x4_16b_f16 a[0:3], v[14:15], v[22:23], a[0:3] cbsz:4 abid:15
	s_waitcnt lgkmcnt(0)
	v_mov_b32_e32 v14, s0
	v_mfma_f32_4x4x4_16b_f16 a[0:3], v[16:17], v[34:35], a[0:3] cbsz:4 abid:15
	v_mul_f32_e32 v16, s1, v14
	s_nop 3
	v_accvgpr_read_b32 v23, a1
	v_accvgpr_read_b32 v22, a0
	v_pk_mul_f32 v[22:23], v[22:23], v[16:17] op_sel_hi:[1,0]
	v_accvgpr_read_b32 v15, a3
	v_accvgpr_read_b32 v14, a2
	v_pk_mul_f32 v[34:35], v[14:15], v[16:17] op_sel_hi:[1,0]
	v_cndmask_b32_e64 v14, 0, 1.0, vcc
	v_cmp_eq_u32_e32 vcc, 1, v47
	s_nop 0
	v_mfma_f32_4x4x1_16b_f32 a[0:3], v22, v14, 0
	v_cndmask_b32_e64 v14, 0, 1.0, vcc
	v_cmp_eq_u32_e32 vcc, 2, v47
	s_nop 0
	v_mfma_f32_4x4x1_16b_f32 a[0:3], v23, v14, a[0:3]
	v_cndmask_b32_e64 v14, 0, 1.0, vcc
	s_nop 1
	v_mfma_f32_4x4x1_16b_f32 a[0:3], v34, v14, a[0:3]
	global_load_dwordx4 v[14:17], v[44:45], off offset:2064
	global_load_dwordx4 v[22:25], v[44:45], off offset:2048
	v_and_b32_e32 v34, -4, v48
	v_mfma_f32_4x4x1_16b_f32 a[0:3], v35, v43, a[0:3]
	v_subrev_u32_e32 v35, s3, v34
	v_add_u32_e32 v36, 1, v35
	v_cvt_f32_i32_e32 v36, v36
	v_add_u32_e32 v37, 2, v35
	v_cvt_f32_i32_e32 v37, v37
	v_accvgpr_read_b32 v38, a0
	v_fma_f32 v36, v42, v36, v38
	v_accvgpr_read_b32 v38, a1
	v_fma_f32 v37, v42, v37, v38
	v_add_u32_e32 v38, 3, v35
	v_cvt_f32_i32_e32 v38, v38
	v_add_u32_e32 v35, 4, v35
	v_cvt_f32_i32_e32 v35, v35
	v_accvgpr_read_b32 v39, a2
	v_fma_f32 v38, v42, v38, v39
	v_max_f32_e32 v39, 0xff7fffff, v36
	v_cmp_gt_i32_e32 vcc, s3, v34
	v_accvgpr_read_b32 v40, a3
	v_fmac_f32_e32 v40, v42, v35
	v_cndmask_b32_e32 v39, v41, v39, vcc
	v_or_b32_e32 v41, 1, v34
	v_max_f32_e32 v42, v39, v37
	v_cmp_gt_i32_e64 s[0:1], s3, v41
	v_or_b32_e32 v34, 2, v34
	v_cmp_gt_i32_e64 s[4:5], s3, v34
	v_cndmask_b32_e64 v39, v39, v42, s[0:1]
	v_max_f32_e32 v41, v39, v38
	v_cndmask_b32_e64 v34, v39, v41, s[4:5]
	v_or_b32_e32 v39, 3, v48
	v_max_f32_e32 v41, v34, v40
	v_cmp_gt_i32_e64 s[8:9], s3, v39
	v_lshlrev_b32_e32 v35, 2, v0
	v_and_or_b32 v35, v35, 48, v47
	v_cndmask_b32_e64 v34, v34, v41, s[8:9]
	;;#ASMSTART
	v_nop
 v_nop
 v_max_f32_dpp v34, v34, v34 row_ror:4
	;;#ASMEND
	v_lshlrev_b32_e32 v41, 2, v35
	;;#ASMSTART
	v_nop
 v_nop
 v_max_f32_dpp v34, v34, v34 row_ror:8
	;;#ASMEND
	ds_bpermute_b32 v34, v41, v34
	s_waitcnt lgkmcnt(0)
	;;#ASMSTART
	v_nop
 v_nop
 v_max_f32_dpp v34, v34, v34 row_ror:4
	;;#ASMEND
	s_nop 0
	;;#ASMSTART
	v_nop
 v_nop
 v_max_f32_dpp v39, v34, v34 row_ror:8
	;;#ASMEND
	s_nop 0
	v_sub_f32_e32 v34, v36, v39
	v_mul_f32_e32 v34, 0x3fb8aa3b, v34
	v_sub_f32_e32 v35, v37, v39
	v_exp_f32_e32 v34, v34
	v_mul_f32_e32 v35, 0x3fb8aa3b, v35
	v_sub_f32_e32 v37, v38, v39
	v_exp_f32_e32 v35, v35
	v_mul_f32_e32 v37, 0x3fb8aa3b, v37
	v_sub_f32_e32 v38, v40, v39
	v_exp_f32_e32 v37, v37
	v_mul_f32_e32 v38, 0x3fb8aa3b, v38
	v_exp_f32_e32 v38, v38
	v_cndmask_b32_e32 v34, 0, v34, vcc
	v_add_f32_e32 v36, 0, v34
	v_cndmask_b32_e64 v35, 0, v35, s[0:1]
	v_add_f32_e32 v40, v36, v35
	v_cndmask_b32_e64 v36, 0, v37, s[4:5]
	;; [unrolled: 2-line block ×3, first 2 shown]
	v_add_f32_e32 v38, v40, v37
	;;#ASMSTART
	v_nop
 v_nop
 v_add_f32_dpp v38, v38, v38 row_ror:4
	;;#ASMEND
	v_cmp_gt_u32_e32 vcc, 4, v1
	;;#ASMSTART
	v_nop
 v_nop
 v_add_f32_dpp v38, v38, v38 row_ror:8
	;;#ASMEND
	ds_bpermute_b32 v38, v41, v38
	s_waitcnt lgkmcnt(0)
	;;#ASMSTART
	v_nop
 v_nop
 v_add_f32_dpp v38, v38, v38 row_ror:4
	;;#ASMEND
	s_nop 0
	;;#ASMSTART
	v_nop
 v_nop
 v_add_f32_dpp v38, v38, v38 row_ror:8
	;;#ASMEND
	s_and_saveexec_b64 s[0:1], vcc
	s_cbranch_execz .LBB1050_18
; %bb.17:
	v_mul_u32_u24_e32 v40, 20, v46
	v_lshl_add_u32 v40, v47, 2, v40
	v_add_u32_e32 v40, 0x1400, v40
	ds_write2_b32 v40, v39, v38 offset1:20
.LBB1050_18:
	s_or_b64 exec, exec, s[0:1]
.LBB1050_19:
	s_or_b64 exec, exec, s[26:27]
	s_waitcnt lgkmcnt(0)
	s_barrier
	s_load_dword s0, s[24:25], 0x8
	v_lshlrev_b32_e32 v38, 2, v47
	v_add_u32_e32 v38, 0x1400, v38
	ds_read2_b32 v[42:43], v38 offset1:5
	ds_read2_b32 v[44:45], v38 offset0:10 offset1:15
	s_mul_i32 s1, s2, s33
	s_waitcnt lgkmcnt(0)
	s_mul_i32 s0, s1, s0
	s_mov_b32 s1, 0xff7fffff
	v_max3_f32 v40, v42, s1, v43
	v_max3_f32 v40, v40, v44, v45
	v_sub_f32_e32 v41, v42, v40
	v_sub_f32_e32 v42, v43, v40
	ds_read2_b32 v[48:49], v38 offset0:20 offset1:25
	v_mul_f32_e32 v41, 0x3fb8aa3b, v41
	v_mul_f32_e32 v42, 0x3fb8aa3b, v42
	v_exp_f32_e32 v41, v41
	v_exp_f32_e32 v50, v42
	ds_read2_b32 v[42:43], v38 offset0:30 offset1:35
	v_sub_f32_e32 v38, v44, v40
	v_mul_f32_e32 v38, 0x3fb8aa3b, v38
	v_sub_f32_e32 v44, v45, v40
	v_exp_f32_e32 v38, v38
	v_mul_f32_e32 v44, 0x3fb8aa3b, v44
	v_exp_f32_e32 v44, v44
	s_waitcnt lgkmcnt(1)
	v_fma_f32 v41, v41, v48, 0
	v_fmac_f32_e32 v41, v50, v49
	s_waitcnt lgkmcnt(0)
	v_fmac_f32_e32 v41, v38, v42
	s_mul_i32 s0, s0, 3
	v_fmac_f32_e32 v41, v44, v43
	v_cmp_ne_u32_e32 vcc, 3, v47
	s_and_saveexec_b64 s[2:3], vcc
	s_cbranch_execz .LBB1050_21
; %bb.20:
	s_mov_b32 s1, 0
	s_lshl_b64 s[4:5], s[0:1], 2
	s_add_u32 s12, s12, s4
	s_mov_b32 s21, s1
	s_addc_u32 s13, s13, s5
	s_lshl_b64 s[8:9], s[20:21], 2
	s_add_u32 s12, s12, s8
	s_addc_u32 s13, s13, s9
	s_add_u32 s1, s14, s4
	s_addc_u32 s5, s15, s5
	v_add_u32_e32 v38, s38, v47
	s_add_u32 s4, s1, s8
	v_mul_lo_u32 v42, s33, v38
	v_mov_b32_e32 v43, 0
	s_addc_u32 s5, s5, s9
	v_lshlrev_b64 v[42:43], 2, v[42:43]
	v_lshl_add_u64 v[44:45], s[12:13], 0, v[42:43]
	v_lshl_add_u64 v[42:43], s[4:5], 0, v[42:43]
	global_store_dword v[42:43], v40, off
	global_store_dword v[44:45], v41, off
.LBB1050_21:
	s_or_b64 exec, exec, s[2:3]
	v_lshlrev_b32_e32 v38, 3, v46
	s_and_saveexec_b64 s[2:3], s[6:7]
	s_xor_b64 s[2:3], exec, s[2:3]
	s_cbranch_execz .LBB1050_23
; %bb.22:
	s_mov_b32 s4, 0
	s_mov_b32 s5, s4
	s_waitcnt vmcnt(5)
	v_mad_u32_u24 v4, v1, 40, v38
	v_mov_b64_e32 v[2:3], s[4:5]
	ds_write2st64_b64 v4, v[2:3], v[2:3] offset1:5
                                        ; implicit-def: $vgpr37
                                        ; implicit-def: $vgpr35
                                        ; implicit-def: $vgpr39
                                        ; implicit-def: $vgpr26_vgpr27
                                        ; implicit-def: $vgpr10_vgpr11
                                        ; implicit-def: $vgpr30_vgpr31
                                        ; implicit-def: $vgpr18_vgpr19
                                        ; implicit-def: $vgpr6_vgpr7
                                        ; implicit-def: $vgpr2_vgpr3
                                        ; implicit-def: $vgpr22_vgpr23
                                        ; implicit-def: $vgpr14_vgpr15
                                        ; implicit-def: $vgpr40
                                        ; implicit-def: $vgpr41
                                        ; implicit-def: $vgpr38
.LBB1050_23:
	s_andn2_saveexec_b64 s[2:3], s[2:3]
	s_cbranch_execz .LBB1050_25
; %bb.24:
	v_add_f32_e32 v41, 0x358637bd, v41
	v_div_scale_f32 v42, s[4:5], v41, v41, 1.0
	v_rcp_f32_e32 v43, v42
	v_sub_f32_e32 v39, v39, v40
	v_mul_f32_e32 v39, 0x3fb8aa3b, v39
	v_exp_f32_e32 v39, v39
	v_fma_f32 v40, -v42, v43, 1.0
	v_fmac_f32_e32 v43, v40, v43
	v_div_scale_f32 v40, vcc, 1.0, v41, 1.0
	v_mul_f32_e32 v44, v40, v43
	v_fma_f32 v45, -v42, v44, v40
	v_fmac_f32_e32 v44, v45, v43
	v_fma_f32 v40, -v42, v44, v40
	v_div_fmas_f32 v40, v40, v43, v44
	v_div_fixup_f32 v40, v40, v41, 1.0
	v_mul_f32_e32 v40, v39, v40
	v_pk_mul_f32 v[36:37], v[36:37], v[40:41] op_sel_hi:[1,0]
	v_pk_mul_f32 v[34:35], v[34:35], v[40:41] op_sel_hi:[1,0]
	v_cvt_f16_f32_e32 v36, v36
	v_cvt_f16_f32_e32 v34, v34
	;; [unrolled: 1-line block ×4, first 2 shown]
	s_waitcnt vmcnt(6)
	v_cvt_pk_f32_fp8_sdwa v[40:41], v26 src0_sel:WORD_1
	v_cvt_pk_f32_fp8_e32 v[42:43], v27
	v_pack_b32_f16 v34, v34, v35
	v_pack_b32_f16 v35, v36, v37
	v_cvt_pk_f32_fp8_e32 v[36:37], v26
	v_cvt_pk_f32_fp8_sdwa v[26:27], v27 src0_sel:WORD_1
	s_load_dword s4, s[10:11], 0x0
	v_cvt_pkrtz_f16_f32 v36, v36, v37
	v_cvt_pkrtz_f16_f32 v37, v40, v41
	;; [unrolled: 1-line block ×4, first 2 shown]
	v_mfma_f32_4x4x4_16b_f16 a[0:3], v[34:35], v[36:37], 0 cbsz:4
	v_cvt_pk_f32_fp8_e32 v[26:27], v28
	v_cvt_pk_f32_fp8_sdwa v[36:37], v28 src0_sel:WORD_1
	v_mfma_f32_4x4x4_16b_f16 a[0:3], v[34:35], v[40:41], a[0:3] cbsz:4 abid:1
	v_cvt_pk_f32_fp8_e32 v[40:41], v29
	v_cvt_pk_f32_fp8_sdwa v[28:29], v29 src0_sel:WORD_1
	v_cvt_pkrtz_f16_f32 v26, v26, v27
	v_cvt_pkrtz_f16_f32 v27, v36, v37
	v_cvt_pkrtz_f16_f32 v36, v40, v41
	v_cvt_pkrtz_f16_f32 v37, v28, v29
	v_mfma_f32_4x4x4_16b_f16 a[0:3], v[34:35], v[26:27], a[0:3] cbsz:4 abid:2
	v_cvt_pk_f32_fp8_e32 v[26:27], v10
	v_cvt_pk_f32_fp8_sdwa v[28:29], v10 src0_sel:WORD_1
	v_mfma_f32_4x4x4_16b_f16 a[0:3], v[34:35], v[36:37], a[0:3] cbsz:4 abid:3
	v_cvt_pk_f32_fp8_e32 v[36:37], v11
	v_cvt_pk_f32_fp8_sdwa v[10:11], v11 src0_sel:WORD_1
	v_cvt_pkrtz_f16_f32 v26, v26, v27
	v_cvt_pkrtz_f16_f32 v27, v28, v29
	v_cvt_pkrtz_f16_f32 v28, v36, v37
	v_cvt_pkrtz_f16_f32 v29, v10, v11
	v_mfma_f32_4x4x4_16b_f16 a[0:3], v[34:35], v[26:27], a[0:3] cbsz:4 abid:4
	;; [unrolled: 10-line block ×3, first 2 shown]
	s_waitcnt vmcnt(2)
	v_cvt_pk_f32_fp8_e32 v[10:11], v30
	v_cvt_pk_f32_fp8_sdwa v[12:13], v30 src0_sel:WORD_1
	v_mfma_f32_4x4x4_16b_f16 a[0:3], v[34:35], v[26:27], a[0:3] cbsz:4 abid:7
	v_cvt_pk_f32_fp8_e32 v[26:27], v31
	v_cvt_pk_f32_fp8_sdwa v[28:29], v31 src0_sel:WORD_1
	v_cvt_pkrtz_f16_f32 v10, v10, v11
	v_cvt_pkrtz_f16_f32 v11, v12, v13
	;; [unrolled: 1-line block ×4, first 2 shown]
	v_mfma_f32_4x4x4_16b_f16 a[0:3], v[34:35], v[10:11], a[0:3] cbsz:4 abid:8
	v_cvt_pk_f32_fp8_e32 v[10:11], v32
	v_cvt_pk_f32_fp8_e32 v[26:27], v33
	v_mfma_f32_4x4x4_16b_f16 a[0:3], v[34:35], v[12:13], a[0:3] cbsz:4 abid:9
	v_cvt_pk_f32_fp8_sdwa v[12:13], v32 src0_sel:WORD_1
	v_cvt_pk_f32_fp8_sdwa v[28:29], v33 src0_sel:WORD_1
	v_cvt_pkrtz_f16_f32 v10, v10, v11
	v_cvt_pkrtz_f16_f32 v11, v12, v13
	v_cvt_pkrtz_f16_f32 v12, v26, v27
	s_nop 0
	v_mfma_f32_4x4x4_16b_f16 a[0:3], v[34:35], v[10:11], a[0:3] cbsz:4 abid:10
	v_cvt_pkrtz_f16_f32 v13, v28, v29
	v_cvt_pk_f32_fp8_e32 v[10:11], v18
	v_cvt_pk_f32_fp8_e32 v[26:27], v19
	v_mfma_f32_4x4x4_16b_f16 a[0:3], v[34:35], v[12:13], a[0:3] cbsz:4 abid:11
	v_cvt_pk_f32_fp8_sdwa v[12:13], v18 src0_sel:WORD_1
	v_cvt_pk_f32_fp8_sdwa v[18:19], v19 src0_sel:WORD_1
	v_cvt_pkrtz_f16_f32 v10, v10, v11
	v_cvt_pkrtz_f16_f32 v11, v12, v13
	v_cvt_pkrtz_f16_f32 v12, v26, v27
	s_nop 0
	v_mfma_f32_4x4x4_16b_f16 a[0:3], v[34:35], v[10:11], a[0:3] cbsz:4 abid:12
	v_cvt_pkrtz_f16_f32 v13, v18, v19
	;; [unrolled: 11-line block ×3, first 2 shown]
	v_cvt_pk_f32_fp8_sdwa v[18:19], v6 src0_sel:WORD_1
	v_cvt_pk_f32_fp8_e32 v[20:21], v7
	v_mfma_f32_4x4x4_16b_f16 a[0:3], v[34:35], v[12:13], a[0:3] cbsz:4 abid:15
	s_nop 4
	v_accvgpr_read_b32 v11, a1
	v_accvgpr_read_b32 v10, a0
	s_waitcnt lgkmcnt(0)
	v_pk_mul_f32 v[10:11], v[10:11], s[4:5] op_sel_hi:[1,0]
	s_nop 0
	v_cvt_f16_f32_e32 v12, v10
	v_cvt_f16_f32_e32 v13, v11
	v_accvgpr_read_b32 v11, a3
	v_accvgpr_read_b32 v10, a2
	v_pk_mul_f32 v[10:11], v[10:11], s[4:5] op_sel_hi:[1,0]
	v_pack_b32_f16 v12, v12, v13
	v_cvt_f16_f32_e32 v13, v10
	v_cvt_f16_f32_e32 v26, v11
	v_cvt_pk_f32_fp8_e32 v[10:11], v6
	v_cvt_pk_f32_fp8_sdwa v[6:7], v7 src0_sel:WORD_1
	v_pack_b32_f16 v13, v13, v26
	v_cvt_pkrtz_f16_f32 v10, v10, v11
	v_cvt_pkrtz_f16_f32 v11, v18, v19
	;; [unrolled: 1-line block ×4, first 2 shown]
	v_mfma_f32_4x4x4_16b_f16 a[0:3], v[34:35], v[10:11], 0 cbsz:4
	v_cvt_pk_f32_fp8_e32 v[6:7], v8
	v_cvt_pk_f32_fp8_sdwa v[10:11], v8 src0_sel:WORD_1
	v_mfma_f32_4x4x4_16b_f16 a[0:3], v[34:35], v[18:19], a[0:3] cbsz:4 abid:1
	v_cvt_pk_f32_fp8_e32 v[18:19], v9
	v_cvt_pk_f32_fp8_sdwa v[8:9], v9 src0_sel:WORD_1
	v_cvt_pkrtz_f16_f32 v6, v6, v7
	v_cvt_pkrtz_f16_f32 v7, v10, v11
	v_cvt_pkrtz_f16_f32 v10, v18, v19
	v_cvt_pkrtz_f16_f32 v11, v8, v9
	v_mfma_f32_4x4x4_16b_f16 a[0:3], v[34:35], v[6:7], a[0:3] cbsz:4 abid:2
	v_cvt_pk_f32_fp8_e32 v[6:7], v2
	v_cvt_pk_f32_fp8_sdwa v[8:9], v2 src0_sel:WORD_1
	v_mfma_f32_4x4x4_16b_f16 a[0:3], v[34:35], v[10:11], a[0:3] cbsz:4 abid:3
	v_cvt_pk_f32_fp8_e32 v[10:11], v3
	v_cvt_pk_f32_fp8_sdwa v[2:3], v3 src0_sel:WORD_1
	v_cvt_pkrtz_f16_f32 v6, v6, v7
	v_cvt_pkrtz_f16_f32 v7, v8, v9
	v_cvt_pkrtz_f16_f32 v8, v10, v11
	v_cvt_pkrtz_f16_f32 v9, v2, v3
	v_mfma_f32_4x4x4_16b_f16 a[0:3], v[34:35], v[6:7], a[0:3] cbsz:4 abid:4
	;; [unrolled: 10-line block ×3, first 2 shown]
	s_waitcnt vmcnt(0)
	v_cvt_pk_f32_fp8_e32 v[2:3], v22
	v_cvt_pk_f32_fp8_sdwa v[4:5], v22 src0_sel:WORD_1
	v_mfma_f32_4x4x4_16b_f16 a[0:3], v[34:35], v[6:7], a[0:3] cbsz:4 abid:7
	v_cvt_pk_f32_fp8_e32 v[6:7], v23
	v_cvt_pk_f32_fp8_sdwa v[8:9], v23 src0_sel:WORD_1
	v_cvt_pkrtz_f16_f32 v2, v2, v3
	v_cvt_pkrtz_f16_f32 v3, v4, v5
	v_cvt_pkrtz_f16_f32 v4, v6, v7
	v_cvt_pkrtz_f16_f32 v5, v8, v9
	v_mfma_f32_4x4x4_16b_f16 a[0:3], v[34:35], v[2:3], a[0:3] cbsz:4 abid:8
	v_cvt_pk_f32_fp8_e32 v[2:3], v24
	v_cvt_pk_f32_fp8_e32 v[6:7], v25
	v_mfma_f32_4x4x4_16b_f16 a[0:3], v[34:35], v[4:5], a[0:3] cbsz:4 abid:9
	v_cvt_pk_f32_fp8_sdwa v[4:5], v24 src0_sel:WORD_1
	v_cvt_pk_f32_fp8_sdwa v[8:9], v25 src0_sel:WORD_1
	v_cvt_pkrtz_f16_f32 v2, v2, v3
	v_cvt_pkrtz_f16_f32 v3, v4, v5
	v_cvt_pkrtz_f16_f32 v4, v6, v7
	s_nop 0
	v_mfma_f32_4x4x4_16b_f16 a[0:3], v[34:35], v[2:3], a[0:3] cbsz:4 abid:10
	v_cvt_pkrtz_f16_f32 v5, v8, v9
	v_cvt_pk_f32_fp8_e32 v[2:3], v14
	v_cvt_pk_f32_fp8_e32 v[6:7], v15
	v_mfma_f32_4x4x4_16b_f16 a[0:3], v[34:35], v[4:5], a[0:3] cbsz:4 abid:11
	v_cvt_pk_f32_fp8_sdwa v[4:5], v14 src0_sel:WORD_1
	v_cvt_pk_f32_fp8_sdwa v[8:9], v15 src0_sel:WORD_1
	v_cvt_pkrtz_f16_f32 v2, v2, v3
	v_cvt_pkrtz_f16_f32 v3, v4, v5
	v_cvt_pkrtz_f16_f32 v4, v6, v7
	s_nop 0
	v_mfma_f32_4x4x4_16b_f16 a[0:3], v[34:35], v[2:3], a[0:3] cbsz:4 abid:12
	v_cvt_pkrtz_f16_f32 v5, v8, v9
	v_cvt_pk_f32_fp8_e32 v[2:3], v16
	v_cvt_pk_f32_fp8_e32 v[6:7], v17
	v_mfma_f32_4x4x4_16b_f16 a[0:3], v[34:35], v[4:5], a[0:3] cbsz:4 abid:13
	v_cvt_pk_f32_fp8_sdwa v[4:5], v16 src0_sel:WORD_1
	v_cvt_pk_f32_fp8_sdwa v[8:9], v17 src0_sel:WORD_1
	v_cvt_pkrtz_f16_f32 v2, v2, v3
	v_cvt_pkrtz_f16_f32 v3, v4, v5
	v_cvt_pkrtz_f16_f32 v4, v6, v7
	s_nop 0
	v_mfma_f32_4x4x4_16b_f16 a[0:3], v[34:35], v[2:3], a[0:3] cbsz:4 abid:14
	v_cvt_pkrtz_f16_f32 v5, v8, v9
	v_mad_u32_u24 v7, v1, 40, v38
	s_nop 0
	v_mfma_f32_4x4x4_16b_f16 a[0:3], v[34:35], v[4:5], a[0:3] cbsz:4 abid:15
	s_nop 4
	v_accvgpr_read_b32 v5, a1
	v_accvgpr_read_b32 v3, a3
	;; [unrolled: 1-line block ×4, first 2 shown]
	v_pk_mul_f32 v[2:3], v[2:3], s[4:5] op_sel_hi:[1,0]
	v_pk_mul_f32 v[4:5], v[4:5], s[4:5] op_sel_hi:[1,0]
	v_cvt_f16_f32_e32 v6, v2
	v_cvt_f16_f32_e32 v4, v4
	;; [unrolled: 1-line block ×4, first 2 shown]
	v_pack_b32_f16 v2, v4, v5
	v_pack_b32_f16 v3, v6, v3
	ds_write2st64_b64 v7, v[12:13], v[2:3] offset1:5
.LBB1050_25:
	s_or_b64 exec, exec, s[2:3]
	v_cmp_gt_u32_e32 vcc, 64, v0
	s_waitcnt lgkmcnt(0)
	s_barrier
	s_and_saveexec_b64 s[2:3], vcc
	s_cbranch_execz .LBB1050_27
; %bb.26:
	s_waitcnt vmcnt(4)
	v_mul_u32_u24_e32 v6, 40, v1
	ds_read2_b64 v[2:5], v6 offset1:1
	ds_read2_b64 v[6:9], v6 offset0:2 offset1:3
	s_mov_b32 s1, 0
	s_lshl_b32 s0, s0, 7
	s_lshl_b64 s[2:3], s[0:1], 1
	s_waitcnt lgkmcnt(1)
	v_pk_add_f16 v2, v2, 0
	v_pk_add_f16 v3, v3, 0
	;; [unrolled: 1-line block ×4, first 2 shown]
	s_waitcnt lgkmcnt(0)
	v_pk_add_f16 v2, v2, v6
	v_pk_add_f16 v6, v3, v7
	;; [unrolled: 1-line block ×3, first 2 shown]
	v_mov_b32_e32 v2, 0xa00
	v_mad_u32_u24 v2, v1, 40, v2
	ds_read2_b64 v[2:5], v2 offset1:1
	v_pk_add_f16 v11, v6, v9
	v_mov_b32_e32 v6, 0xa10
	v_mad_u32_u24 v1, v1, 40, v6
	ds_read2_b64 v[6:9], v1 offset1:1
	s_add_u32 s2, s22, s2
	s_addc_u32 s3, s23, s3
	s_lshl_b32 s0, s20, 7
	s_lshl_b64 s[0:1], s[0:1], 1
	s_waitcnt lgkmcnt(1)
	v_pk_add_f16 v1, v2, 0
	v_pk_add_f16 v2, v3, 0
	s_add_u32 s0, s2, s0
	v_pk_add_f16 v2, v2, v5
	s_addc_u32 s1, s3, s1
	s_lshl_b32 s2, s33, 7
	s_waitcnt lgkmcnt(0)
	v_pk_add_f16 v2, v2, v7
	s_mul_i32 s3, s2, s38
	v_pk_add_f16 v9, v2, v9
	v_or_b32_e32 v2, s3, v0
	v_mov_b32_e32 v3, 0
	s_add_i32 s3, s3, s2
	v_pk_add_f16 v1, v1, v4
	v_lshl_add_u64 v[4:5], v[2:3], 1, s[0:1]
	v_or_b32_e32 v2, s3, v0
	s_add_i32 s3, s3, s2
	v_pk_add_f16 v1, v1, v6
	v_lshl_add_u64 v[6:7], v[2:3], 1, s[0:1]
	v_or_b32_e32 v2, s3, v0
	v_pk_add_f16 v8, v1, v8
	v_lshl_add_u64 v[0:1], v[2:3], 1, s[0:1]
	global_store_short v[4:5], v10, off
	global_store_short_d16_hi v[6:7], v10, off
	global_store_short v[0:1], v11, off
	global_store_short v[4:5], v8, off offset:128
	global_store_short_d16_hi v[6:7], v8, off offset:128
	global_store_short v[0:1], v9, off offset:128
.LBB1050_27:
	s_endpgm
	.section	.rodata,"a",@progbits
	.p2align	6, 0x0
	.amdhsa_kernel _Z38paged_attention_ll4mi_QKV_mfma4_kernelIDF16_hLN4vllm18Fp8KVCacheDataTypeE1EDF16_Li32ELi128ELi256ELb1ELi3EEvPKT_PKT0_S7_ifPKiS9_S9_iPKfiiiPfSC_PS2_PT2_iSB_SB_
		.amdhsa_group_segment_fixed_size 5280
		.amdhsa_private_segment_fixed_size 0
		.amdhsa_kernarg_size 400
		.amdhsa_user_sgpr_count 2
		.amdhsa_user_sgpr_dispatch_ptr 0
		.amdhsa_user_sgpr_queue_ptr 0
		.amdhsa_user_sgpr_kernarg_segment_ptr 1
		.amdhsa_user_sgpr_dispatch_id 0
		.amdhsa_user_sgpr_kernarg_preload_length 0
		.amdhsa_user_sgpr_kernarg_preload_offset 0
		.amdhsa_user_sgpr_private_segment_size 0
		.amdhsa_uses_dynamic_stack 0
		.amdhsa_enable_private_segment 0
		.amdhsa_system_sgpr_workgroup_id_x 1
		.amdhsa_system_sgpr_workgroup_id_y 1
		.amdhsa_system_sgpr_workgroup_id_z 1
		.amdhsa_system_sgpr_workgroup_info 0
		.amdhsa_system_vgpr_workitem_id 0
		.amdhsa_next_free_vgpr 60
		.amdhsa_next_free_sgpr 44
		.amdhsa_accum_offset 56
		.amdhsa_reserve_vcc 1
		.amdhsa_float_round_mode_32 0
		.amdhsa_float_round_mode_16_64 0
		.amdhsa_float_denorm_mode_32 3
		.amdhsa_float_denorm_mode_16_64 3
		.amdhsa_dx10_clamp 1
		.amdhsa_ieee_mode 1
		.amdhsa_fp16_overflow 0
		.amdhsa_tg_split 0
		.amdhsa_exception_fp_ieee_invalid_op 0
		.amdhsa_exception_fp_denorm_src 0
		.amdhsa_exception_fp_ieee_div_zero 0
		.amdhsa_exception_fp_ieee_overflow 0
		.amdhsa_exception_fp_ieee_underflow 0
		.amdhsa_exception_fp_ieee_inexact 0
		.amdhsa_exception_int_div_zero 0
	.end_amdhsa_kernel
	.section	.text._Z38paged_attention_ll4mi_QKV_mfma4_kernelIDF16_hLN4vllm18Fp8KVCacheDataTypeE1EDF16_Li32ELi128ELi256ELb1ELi3EEvPKT_PKT0_S7_ifPKiS9_S9_iPKfiiiPfSC_PS2_PT2_iSB_SB_,"axG",@progbits,_Z38paged_attention_ll4mi_QKV_mfma4_kernelIDF16_hLN4vllm18Fp8KVCacheDataTypeE1EDF16_Li32ELi128ELi256ELb1ELi3EEvPKT_PKT0_S7_ifPKiS9_S9_iPKfiiiPfSC_PS2_PT2_iSB_SB_,comdat
.Lfunc_end1050:
	.size	_Z38paged_attention_ll4mi_QKV_mfma4_kernelIDF16_hLN4vllm18Fp8KVCacheDataTypeE1EDF16_Li32ELi128ELi256ELb1ELi3EEvPKT_PKT0_S7_ifPKiS9_S9_iPKfiiiPfSC_PS2_PT2_iSB_SB_, .Lfunc_end1050-_Z38paged_attention_ll4mi_QKV_mfma4_kernelIDF16_hLN4vllm18Fp8KVCacheDataTypeE1EDF16_Li32ELi128ELi256ELb1ELi3EEvPKT_PKT0_S7_ifPKiS9_S9_iPKfiiiPfSC_PS2_PT2_iSB_SB_
                                        ; -- End function
	.section	.AMDGPU.csdata,"",@progbits
; Kernel info:
; codeLenInByte = 5396
; NumSgprs: 50
; NumVgprs: 56
; NumAgprs: 4
; TotalNumVgprs: 60
; ScratchSize: 0
; MemoryBound: 0
; FloatMode: 240
; IeeeMode: 1
; LDSByteSize: 5280 bytes/workgroup (compile time only)
; SGPRBlocks: 6
; VGPRBlocks: 7
; NumSGPRsForWavesPerEU: 50
; NumVGPRsForWavesPerEU: 60
; AccumOffset: 56
; Occupancy: 8
; WaveLimiterHint : 1
; COMPUTE_PGM_RSRC2:SCRATCH_EN: 0
; COMPUTE_PGM_RSRC2:USER_SGPR: 2
; COMPUTE_PGM_RSRC2:TRAP_HANDLER: 0
; COMPUTE_PGM_RSRC2:TGID_X_EN: 1
; COMPUTE_PGM_RSRC2:TGID_Y_EN: 1
; COMPUTE_PGM_RSRC2:TGID_Z_EN: 1
; COMPUTE_PGM_RSRC2:TIDIG_COMP_CNT: 0
; COMPUTE_PGM_RSRC3_GFX90A:ACCUM_OFFSET: 13
; COMPUTE_PGM_RSRC3_GFX90A:TG_SPLIT: 0
	.section	.text._Z38paged_attention_ll4mi_QKV_mfma4_kernelIDF16_hLN4vllm18Fp8KVCacheDataTypeE1EDF16_Li32ELi128ELi256ELb1ELi4EEvPKT_PKT0_S7_ifPKiS9_S9_iPKfiiiPfSC_PS2_PT2_iSB_SB_,"axG",@progbits,_Z38paged_attention_ll4mi_QKV_mfma4_kernelIDF16_hLN4vllm18Fp8KVCacheDataTypeE1EDF16_Li32ELi128ELi256ELb1ELi4EEvPKT_PKT0_S7_ifPKiS9_S9_iPKfiiiPfSC_PS2_PT2_iSB_SB_,comdat
	.protected	_Z38paged_attention_ll4mi_QKV_mfma4_kernelIDF16_hLN4vllm18Fp8KVCacheDataTypeE1EDF16_Li32ELi128ELi256ELb1ELi4EEvPKT_PKT0_S7_ifPKiS9_S9_iPKfiiiPfSC_PS2_PT2_iSB_SB_ ; -- Begin function _Z38paged_attention_ll4mi_QKV_mfma4_kernelIDF16_hLN4vllm18Fp8KVCacheDataTypeE1EDF16_Li32ELi128ELi256ELb1ELi4EEvPKT_PKT0_S7_ifPKiS9_S9_iPKfiiiPfSC_PS2_PT2_iSB_SB_
	.globl	_Z38paged_attention_ll4mi_QKV_mfma4_kernelIDF16_hLN4vllm18Fp8KVCacheDataTypeE1EDF16_Li32ELi128ELi256ELb1ELi4EEvPKT_PKT0_S7_ifPKiS9_S9_iPKfiiiPfSC_PS2_PT2_iSB_SB_
	.p2align	8
	.type	_Z38paged_attention_ll4mi_QKV_mfma4_kernelIDF16_hLN4vllm18Fp8KVCacheDataTypeE1EDF16_Li32ELi128ELi256ELb1ELi4EEvPKT_PKT0_S7_ifPKiS9_S9_iPKfiiiPfSC_PS2_PT2_iSB_SB_,@function
_Z38paged_attention_ll4mi_QKV_mfma4_kernelIDF16_hLN4vllm18Fp8KVCacheDataTypeE1EDF16_Li32ELi128ELi256ELb1ELi4EEvPKT_PKT0_S7_ifPKiS9_S9_iPKfiiiPfSC_PS2_PT2_iSB_SB_: ; @_Z38paged_attention_ll4mi_QKV_mfma4_kernelIDF16_hLN4vllm18Fp8KVCacheDataTypeE1EDF16_Li32ELi128ELi256ELb1ELi4EEvPKT_PKT0_S7_ifPKiS9_S9_iPKfiiiPfSC_PS2_PT2_iSB_SB_
; %bb.0:
	s_load_dwordx2 s[16:17], s[0:1], 0x30
	s_mov_b32 s24, s3
	s_mov_b64 s[6:7], 0
	s_waitcnt lgkmcnt(0)
	s_cmp_lg_u64 s[16:17], 0
	s_cselect_b64 s[18:19], -1, 0
	s_and_b64 vcc, exec, s[18:19]
	s_cbranch_vccz .LBB1051_20
; %bb.1:
	s_add_i32 s8, s2, 1
	s_mov_b32 s9, 0
	s_lshl_b64 s[10:11], s[8:9], 2
	s_add_u32 s10, s16, s10
	s_mov_b32 s3, s9
	s_addc_u32 s11, s17, s11
	s_lshl_b64 s[8:9], s[2:3], 2
	s_add_u32 s8, s16, s8
	s_addc_u32 s9, s17, s9
	s_load_dword s5, s[10:11], 0x0
	s_load_dword s12, s[8:9], 0x0
	s_mov_b64 s[34:35], s[2:3]
	s_waitcnt lgkmcnt(0)
	s_sub_i32 s5, s5, s12
	s_cmp_eq_u32 s5, 1
	s_cselect_b64 s[8:9], -1, 0
	s_andn2_b64 vcc, exec, s[6:7]
	s_cbranch_vccnz .LBB1051_3
.LBB1051_2:
	s_mov_b32 s3, 0
	s_mov_b64 s[8:9], -1
	s_mov_b64 s[34:35], s[2:3]
.LBB1051_3:
	s_andn2_b64 vcc, exec, s[8:9]
	s_cbranch_vccnz .LBB1051_19
; %bb.4:
	s_load_dword s3, s[0:1], 0x9c
	s_load_dwordx2 s[6:7], s[0:1], 0x28
	s_add_u32 s28, s0, 0x90
	s_addc_u32 s29, s1, 0
	s_lshl_b64 s[42:43], s[34:35], 2
	s_waitcnt lgkmcnt(0)
	s_and_b32 s5, s3, 0xffff
	s_add_u32 s6, s6, s42
	s_addc_u32 s7, s7, s43
	s_load_dword s3, s[6:7], 0x0
	s_mul_i32 s5, s24, s5
	s_waitcnt lgkmcnt(0)
	s_cmp_ge_i32 s5, s3
	s_cbranch_scc1 .LBB1051_19
; %bb.5:
	v_and_b32_e32 v1, 0xc0, v0
	v_and_b32_e32 v41, 3, v0
	s_lshl_b32 s33, s4, 2
	v_add_u32_e32 v4, s5, v1
	v_lshrrev_b32_e32 v40, 6, v0
	v_cmp_le_i32_e64 s[6:7], s3, v4
	v_or_b32_e32 v34, s33, v41
                                        ; implicit-def: $sgpr21
                                        ; implicit-def: $sgpr20
	s_and_saveexec_b64 s[8:9], s[6:7]
	s_xor_b64 s[8:9], exec, s[8:9]
	s_cbranch_execz .LBB1051_7
; %bb.6:
	v_mul_u32_u24_e32 v1, 20, v40
	v_or_b32_e32 v1, 0x1400, v1
	v_mov_b32_e32 v2, 0x1450
	v_mov_b32_e32 v3, 0xff7fffff
	v_mad_u32_u24 v2, v40, 20, v2
	ds_write2_b32 v1, v3, v3 offset1:1
	v_mov_b32_e32 v1, 0
	ds_write2_b32 v2, v1, v1 offset1:1
	v_mov_b32_e32 v2, 0x1408
	v_mov_b32_e32 v4, 0x1458
	s_mov_b32 s20, 0xff7fffff
	s_mov_b32 s21, 0
	v_mad_u32_u24 v2, v40, 20, v2
	v_mad_u32_u24 v4, v40, 20, v4
	v_or_b32_e32 v34, s33, v41
	ds_write2_b32 v2, v3, v3 offset1:1
	ds_write2_b32 v4, v1, v1 offset1:1
                                        ; implicit-def: $vgpr4
.LBB1051_7:
	s_or_saveexec_b64 s[30:31], s[8:9]
	s_load_dwordx2 s[26:27], s[0:1], 0x68
	s_load_dwordx4 s[12:15], s[0:1], 0x58
	s_load_dword s44, s[28:29], 0x4
	s_load_dwordx4 s[8:11], s[0:1], 0x80
	v_and_b32_e32 v1, 63, v0
	v_mov_b32_e32 v39, s21
	v_mov_b32_e32 v35, s20
	;; [unrolled: 1-line block ×5, first 2 shown]
                                        ; implicit-def: $vgpr30_vgpr31
                                        ; implicit-def: $vgpr22_vgpr23
                                        ; implicit-def: $vgpr26_vgpr27
                                        ; implicit-def: $vgpr18_vgpr19
                                        ; implicit-def: $vgpr10_vgpr11
                                        ; implicit-def: $vgpr2_vgpr3
                                        ; implicit-def: $vgpr14_vgpr15
                                        ; implicit-def: $vgpr6_vgpr7
	s_xor_b64 exec, exec, s[30:31]
	s_cbranch_execz .LBB1051_13
; %bb.8:
	s_load_dwordx2 s[20:21], s[0:1], 0x20
	s_load_dword s22, s[0:1], 0x38
	s_add_i32 s23, s3, 31
	s_ashr_i32 s25, s23, 31
	s_lshr_b32 s25, s25, 27
	v_add_u32_e32 v36, s5, v0
	s_add_i32 s23, s23, s25
	v_ashrrev_i32_e32 v2, 31, v36
	s_ashr_i32 s23, s23, 5
	v_lshrrev_b32_e32 v2, 27, v2
	s_add_i32 s25, s23, -1
	s_waitcnt lgkmcnt(0)
	s_mul_i32 s36, s2, s22
	s_mov_b32 s37, 0
	v_add_u32_e32 v2, v36, v2
	s_lshl_b64 s[22:23], s[36:37], 2
	v_ashrrev_i32_e32 v2, 5, v2
	v_mov_b32_e32 v3, s25
	v_cmp_gt_i32_e32 vcc, s3, v36
	s_add_u32 s20, s20, s22
	s_addc_u32 s21, s21, s23
	v_cndmask_b32_e32 v2, v3, v2, vcc
	v_ashrrev_i32_e32 v3, 31, v2
	v_lshl_add_u64 v[6:7], v[2:3], 2, s[20:21]
	v_ashrrev_i32_e32 v2, 31, v4
	v_lshrrev_b32_e32 v2, 27, v2
	v_add_u32_e32 v2, v4, v2
	v_ashrrev_i32_e32 v4, 5, v2
	v_min_i32_e32 v2, s25, v4
	v_ashrrev_i32_e32 v3, 31, v2
	v_lshl_add_u64 v[8:9], v[2:3], 2, s[20:21]
	v_add_u32_e32 v2, 1, v4
	v_min_i32_e32 v2, s25, v2
	v_ashrrev_i32_e32 v3, 31, v2
	v_lshl_add_u64 v[10:11], v[2:3], 2, s[20:21]
	global_load_dword v4, v[6:7], off
	global_load_dword v2, v[8:9], off
	;; [unrolled: 1-line block ×3, first 2 shown]
	s_load_dwordx2 s[40:41], s[0:1], 0x40
	s_load_dwordx4 s[20:23], s[0:1], 0x0
	s_load_dwordx2 s[38:39], s[0:1], 0x10
	s_andn2_b64 vcc, exec, s[18:19]
	s_cbranch_vccnz .LBB1051_10
; %bb.9:
	s_add_u32 s16, s16, s42
	s_addc_u32 s17, s17, s43
	s_load_dword s36, s[16:17], 0x0
	s_waitcnt lgkmcnt(0)
	s_mov_b64 s[34:35], s[36:37]
.LBB1051_10:
	s_load_dwordx4 s[16:19], s[0:1], 0x48
	s_load_dword s5, s[0:1], 0x1c
	v_mov_b32_e32 v17, 0
	v_mov_b32_e32 v35, v17
	s_waitcnt lgkmcnt(0)
	v_lshl_add_u64 v[22:23], v[34:35], 2, s[40:41]
	s_ashr_i32 s1, s16, 31
	s_mul_hi_u32 s19, s34, s16
	s_mul_i32 s1, s34, s1
	s_mul_i32 s25, s35, s16
	s_add_i32 s1, s19, s1
	s_mul_i32 s0, s34, s16
	s_add_i32 s1, s1, s25
	s_lshl_b64 s[0:1], s[0:1], 1
	s_add_u32 s16, s20, s0
	s_addc_u32 s19, s21, s1
	s_lshl_b32 s36, s4, 9
	s_lshl_b64 s[0:1], s[36:37], 1
	s_add_u32 s0, s16, s0
	s_addc_u32 s1, s19, s1
	s_mul_i32 s4, s4, s18
	s_add_u32 s18, s4, s22
	s_addc_u32 s19, 0, s23
	v_mov_b64_e32 v[6:7], s[18:19]
	s_waitcnt vmcnt(2)
	v_mad_i64_i32 v[4:5], s[18:19], v4, s17, v[6:7]
	v_lshlrev_b32_e32 v6, 4, v0
	v_and_b32_e32 v16, 0x1f0, v6
	v_lshl_add_u64 v[18:19], v[4:5], 0, v[16:17]
	global_load_dwordx4 v[4:7], v[18:19], off
	global_load_dwordx4 v[8:11], v[18:19], off offset:512
	global_load_dwordx4 v[12:15], v[18:19], off offset:1024
	v_lshlrev_b32_e32 v16, 2, v1
	v_and_b32_e32 v16, 0xf0, v16
	v_lshl_or_b32 v16, v41, 8, v16
	global_load_dwordx4 v[42:45], v16, s[0:1]
	global_load_dwordx4 v[46:49], v[18:19], off offset:1536
	global_load_dword v35, v[22:23], off
	global_load_dwordx4 v[50:53], v[18:19], off offset:2048
	global_load_dwordx4 v[54:57], v[18:19], off offset:2560
	;; [unrolled: 1-line block ×4, first 2 shown]
	s_waitcnt vmcnt(10)
	v_mul_hi_i32 v20, v3, s17
	v_mul_hi_i32 v16, v2, s17
	v_ashrrev_i32_e32 v20, 31, v20
	v_mov_b32_e32 v21, v17
	v_ashrrev_i32_e32 v16, 31, v16
	v_lshrrev_b32_e32 v20, 29, v20
	v_mad_i64_i32 v[20:21], s[0:1], v3, s17, v[20:21]
	v_lshrrev_b32_e32 v16, 29, v16
	s_add_u32 s0, s38, s4
	v_mad_i64_i32 v[2:3], s[16:17], v2, s17, v[16:17]
	v_and_b32_e32 v20, -8, v20
	s_addc_u32 s1, s39, 0
	v_and_b32_e32 v2, -8, v2
	v_lshl_add_u64 v[20:21], s[0:1], 0, v[20:21]
	v_lshlrev_b32_e32 v16, 5, v1
	v_lshl_add_u64 v[2:3], s[0:1], 0, v[2:3]
	v_lshl_add_u64 v[38:39], v[20:21], 0, v[16:17]
	;; [unrolled: 1-line block ×3, first 2 shown]
	v_mov_b32_e32 v37, s5
	v_cmp_eq_u32_e32 vcc, 0, v41
	s_waitcnt vmcnt(9)
	v_cvt_pk_f32_fp8_e32 v[2:3], v4
	v_cvt_pk_f32_fp8_sdwa v[20:21], v4 src0_sel:WORD_1
	v_cvt_pk_f32_fp8_e32 v[22:23], v5
	v_cvt_pk_f32_fp8_sdwa v[4:5], v5 src0_sel:WORD_1
	;; [unrolled: 2-line block ×3, first 2 shown]
	v_cvt_pkrtz_f16_f32 v2, v2, v3
	v_cvt_pkrtz_f16_f32 v3, v20, v21
	v_cvt_pk_f32_fp8_e32 v[28:29], v7
	v_cvt_pk_f32_fp8_sdwa v[6:7], v7 src0_sel:WORD_1
	s_waitcnt vmcnt(6)
	v_mfma_f32_4x4x4_16b_f16 a[0:3], v[42:43], v[2:3], 0 cbsz:4
	v_cvt_pkrtz_f16_f32 v20, v22, v23
	v_cvt_pkrtz_f16_f32 v21, v4, v5
	v_cvt_pk_f32_fp8_e32 v[30:31], v8
	v_cvt_pk_f32_fp8_sdwa v[32:33], v8 src0_sel:WORD_1
	v_mfma_f32_4x4x4_16b_f16 a[0:3], v[44:45], v[20:21], a[0:3] cbsz:4
	v_cvt_pkrtz_f16_f32 v18, v24, v25
	v_cvt_pkrtz_f16_f32 v19, v26, v27
	v_cvt_pk_f32_fp8_e32 v[66:67], v9
	v_cvt_pk_f32_fp8_sdwa v[8:9], v9 src0_sel:WORD_1
	v_mfma_f32_4x4x4_16b_f16 a[0:3], v[42:43], v[18:19], a[0:3] cbsz:4 abid:1
	v_cvt_pkrtz_f16_f32 v26, v28, v29
	v_cvt_pkrtz_f16_f32 v27, v6, v7
	v_cvt_pk_f32_fp8_e32 v[68:69], v10
	v_cvt_pk_f32_fp8_sdwa v[70:71], v10 src0_sel:WORD_1
	v_mfma_f32_4x4x4_16b_f16 a[0:3], v[44:45], v[26:27], a[0:3] cbsz:4 abid:1
	;; [unrolled: 5-line block ×7, first 2 shown]
	v_cvt_pkrtz_f16_f32 v6, v78, v79
	v_cvt_pkrtz_f16_f32 v7, v80, v81
	global_load_dwordx4 v[22:25], v[16:17], off offset:16
	global_load_dwordx4 v[30:33], v[16:17], off
	v_mfma_f32_4x4x4_16b_f16 a[0:3], v[44:45], v[6:7], a[0:3] cbsz:4 abid:4
	global_load_dwordx4 v[2:5], v[16:17], off offset:2064
	global_load_dwordx4 v[10:13], v[16:17], off offset:2048
	s_waitcnt vmcnt(9)
	v_cvt_pk_f32_fp8_e32 v[16:17], v46
	v_cvt_pk_f32_fp8_sdwa v[18:19], v46 src0_sel:WORD_1
	v_cvt_pkrtz_f16_f32 v8, v82, v83
	v_cvt_pkrtz_f16_f32 v9, v84, v85
	;; [unrolled: 1-line block ×4, first 2 shown]
	v_mfma_f32_4x4x4_16b_f16 a[0:3], v[42:43], v[8:9], a[0:3] cbsz:4 abid:5
	v_cvt_pk_f32_fp8_e32 v[8:9], v47
	v_cvt_pk_f32_fp8_sdwa v[14:15], v47 src0_sel:WORD_1
	v_mfma_f32_4x4x4_16b_f16 a[0:3], v[44:45], v[20:21], a[0:3] cbsz:4 abid:5
	v_cvt_pkrtz_f16_f32 v6, v16, v17
	v_cvt_pkrtz_f16_f32 v7, v18, v19
	v_cvt_pkrtz_f16_f32 v8, v8, v9
	v_cvt_pkrtz_f16_f32 v9, v14, v15
	v_mfma_f32_4x4x4_16b_f16 a[0:3], v[42:43], v[6:7], a[0:3] cbsz:4 abid:6
	v_cvt_pk_f32_fp8_e32 v[6:7], v48
	v_cvt_pk_f32_fp8_e32 v[14:15], v49
	v_mfma_f32_4x4x4_16b_f16 a[0:3], v[44:45], v[8:9], a[0:3] cbsz:4 abid:6
	v_cvt_pk_f32_fp8_sdwa v[8:9], v48 src0_sel:WORD_1
	v_cvt_pk_f32_fp8_sdwa v[16:17], v49 src0_sel:WORD_1
	v_cvt_pkrtz_f16_f32 v6, v6, v7
	s_waitcnt vmcnt(7)
	v_cvt_pk_f32_fp8_e32 v[46:47], v52
	v_cvt_pkrtz_f16_f32 v7, v8, v9
	v_cvt_pkrtz_f16_f32 v8, v14, v15
	;; [unrolled: 1-line block ×3, first 2 shown]
	v_mfma_f32_4x4x4_16b_f16 a[0:3], v[42:43], v[6:7], a[0:3] cbsz:4 abid:7
	v_cvt_pk_f32_fp8_e32 v[6:7], v50
	v_cvt_pk_f32_fp8_e32 v[14:15], v51
	v_mfma_f32_4x4x4_16b_f16 a[0:3], v[44:45], v[8:9], a[0:3] cbsz:4 abid:7
	v_cvt_pk_f32_fp8_sdwa v[8:9], v50 src0_sel:WORD_1
	v_cvt_pk_f32_fp8_sdwa v[16:17], v51 src0_sel:WORD_1
	v_cvt_pkrtz_f16_f32 v6, v6, v7
	v_cvt_pk_f32_fp8_sdwa v[48:49], v52 src0_sel:WORD_1
	v_cvt_pkrtz_f16_f32 v7, v8, v9
	v_cvt_pkrtz_f16_f32 v8, v14, v15
	;; [unrolled: 1-line block ×3, first 2 shown]
	v_mfma_f32_4x4x4_16b_f16 a[0:3], v[42:43], v[6:7], a[0:3] cbsz:4 abid:8
	v_cvt_pk_f32_fp8_e32 v[50:51], v53
	v_cvt_pk_f32_fp8_sdwa v[52:53], v53 src0_sel:WORD_1
	v_mfma_f32_4x4x4_16b_f16 a[0:3], v[44:45], v[8:9], a[0:3] cbsz:4 abid:8
	global_load_dwordx4 v[18:21], v[38:39], off offset:16
	global_load_dwordx4 v[26:29], v[38:39], off
	global_load_dwordx4 v[6:9], v[38:39], off offset:2064
	global_load_dwordx4 v[14:17], v[38:39], off offset:2048
	v_cvt_pkrtz_f16_f32 v38, v46, v47
	v_cvt_pkrtz_f16_f32 v39, v48, v49
	;; [unrolled: 1-line block ×4, first 2 shown]
	v_mfma_f32_4x4x4_16b_f16 a[0:3], v[42:43], v[38:39], a[0:3] cbsz:4 abid:9
	s_waitcnt vmcnt(10)
	v_cvt_pk_f32_fp8_e32 v[38:39], v54
	v_cvt_pk_f32_fp8_e32 v[48:49], v55
	v_mfma_f32_4x4x4_16b_f16 a[0:3], v[44:45], v[46:47], a[0:3] cbsz:4 abid:9
	v_cvt_pk_f32_fp8_sdwa v[46:47], v54 src0_sel:WORD_1
	v_cvt_pk_f32_fp8_sdwa v[50:51], v55 src0_sel:WORD_1
	v_cvt_pkrtz_f16_f32 v38, v38, v39
	s_load_dword s0, s[8:9], 0x0
	v_cvt_pkrtz_f16_f32 v39, v46, v47
	v_cvt_pkrtz_f16_f32 v46, v48, v49
	;; [unrolled: 1-line block ×3, first 2 shown]
	v_mfma_f32_4x4x4_16b_f16 a[0:3], v[42:43], v[38:39], a[0:3] cbsz:4 abid:10
	v_cvt_pk_f32_fp8_e32 v[38:39], v56
	v_cvt_pk_f32_fp8_e32 v[48:49], v57
	v_mfma_f32_4x4x4_16b_f16 a[0:3], v[44:45], v[46:47], a[0:3] cbsz:4 abid:10
	v_cvt_pk_f32_fp8_sdwa v[46:47], v56 src0_sel:WORD_1
	v_cvt_pk_f32_fp8_sdwa v[50:51], v57 src0_sel:WORD_1
	v_cvt_pkrtz_f16_f32 v38, v38, v39
	v_cvt_pkrtz_f16_f32 v39, v46, v47
	;; [unrolled: 1-line block ×3, first 2 shown]
	s_nop 0
	v_mfma_f32_4x4x4_16b_f16 a[0:3], v[42:43], v[38:39], a[0:3] cbsz:4 abid:11
	v_cvt_pkrtz_f16_f32 v47, v50, v51
	s_waitcnt vmcnt(9)
	v_cvt_pk_f32_fp8_e32 v[38:39], v58
	v_cvt_pk_f32_fp8_e32 v[48:49], v59
	v_mfma_f32_4x4x4_16b_f16 a[0:3], v[44:45], v[46:47], a[0:3] cbsz:4 abid:11
	v_cvt_pk_f32_fp8_sdwa v[46:47], v58 src0_sel:WORD_1
	v_cvt_pk_f32_fp8_sdwa v[50:51], v59 src0_sel:WORD_1
	v_cvt_pkrtz_f16_f32 v38, v38, v39
	v_cvt_pkrtz_f16_f32 v39, v46, v47
	;; [unrolled: 1-line block ×3, first 2 shown]
	s_nop 0
	v_mfma_f32_4x4x4_16b_f16 a[0:3], v[42:43], v[38:39], a[0:3] cbsz:4 abid:12
	v_cvt_pkrtz_f16_f32 v47, v50, v51
	v_cvt_pk_f32_fp8_e32 v[38:39], v60
	v_cvt_pk_f32_fp8_e32 v[48:49], v61
	v_mfma_f32_4x4x4_16b_f16 a[0:3], v[44:45], v[46:47], a[0:3] cbsz:4 abid:12
	v_cvt_pk_f32_fp8_sdwa v[46:47], v60 src0_sel:WORD_1
	v_cvt_pk_f32_fp8_sdwa v[50:51], v61 src0_sel:WORD_1
	v_cvt_pkrtz_f16_f32 v38, v38, v39
	v_cvt_pkrtz_f16_f32 v39, v46, v47
	;; [unrolled: 1-line block ×3, first 2 shown]
	s_nop 0
	v_mfma_f32_4x4x4_16b_f16 a[0:3], v[42:43], v[38:39], a[0:3] cbsz:4 abid:13
	v_cvt_pkrtz_f16_f32 v47, v50, v51
	s_waitcnt vmcnt(8)
	v_cvt_pk_f32_fp8_e32 v[38:39], v62
	v_cvt_pk_f32_fp8_e32 v[48:49], v63
	v_mfma_f32_4x4x4_16b_f16 a[0:3], v[44:45], v[46:47], a[0:3] cbsz:4 abid:13
	v_cvt_pk_f32_fp8_sdwa v[46:47], v62 src0_sel:WORD_1
	v_cvt_pk_f32_fp8_sdwa v[50:51], v63 src0_sel:WORD_1
	v_cvt_pkrtz_f16_f32 v38, v38, v39
	v_cvt_pkrtz_f16_f32 v39, v46, v47
	;; [unrolled: 1-line block ×3, first 2 shown]
	s_nop 0
	v_mfma_f32_4x4x4_16b_f16 a[0:3], v[42:43], v[38:39], a[0:3] cbsz:4 abid:14
	v_cvt_pkrtz_f16_f32 v47, v50, v51
	v_cvt_pk_f32_fp8_e32 v[38:39], v64
	v_cvt_pk_f32_fp8_e32 v[48:49], v65
	v_mfma_f32_4x4x4_16b_f16 a[0:3], v[44:45], v[46:47], a[0:3] cbsz:4 abid:14
	v_cvt_pk_f32_fp8_sdwa v[46:47], v64 src0_sel:WORD_1
	v_cvt_pk_f32_fp8_sdwa v[50:51], v65 src0_sel:WORD_1
	v_cvt_pkrtz_f16_f32 v38, v38, v39
	v_cvt_pkrtz_f16_f32 v39, v46, v47
	;; [unrolled: 1-line block ×3, first 2 shown]
	s_nop 0
	v_mfma_f32_4x4x4_16b_f16 a[0:3], v[42:43], v[38:39], a[0:3] cbsz:4 abid:15
	v_cvt_pkrtz_f16_f32 v47, v50, v51
	s_waitcnt lgkmcnt(0)
	v_mul_f32_e32 v42, s0, v37
	v_cndmask_b32_e64 v37, 0, 1.0, vcc
	v_mfma_f32_4x4x4_16b_f16 a[0:3], v[44:45], v[46:47], a[0:3] cbsz:4 abid:15
	v_cmp_eq_u32_e32 vcc, 1, v41
	s_nop 3
	v_accvgpr_read_b32 v45, a1
	v_accvgpr_read_b32 v44, a0
	v_pk_mul_f32 v[44:45], v[44:45], v[42:43] op_sel_hi:[1,0]
	v_accvgpr_read_b32 v39, a3
	v_accvgpr_read_b32 v38, a2
	v_pk_mul_f32 v[38:39], v[38:39], v[42:43] op_sel_hi:[1,0]
	v_mfma_f32_4x4x1_16b_f32 a[0:3], v44, v37, 0
	v_cndmask_b32_e64 v37, 0, 1.0, vcc
	v_cmp_eq_u32_e32 vcc, 2, v41
	s_nop 0
	v_mfma_f32_4x4x1_16b_f32 a[0:3], v45, v37, a[0:3]
	v_cndmask_b32_e64 v37, 0, 1.0, vcc
	v_cmp_eq_u32_e32 vcc, 3, v41
	v_mov_b32_e32 v45, 0xff7fffff
	v_mfma_f32_4x4x1_16b_f32 a[0:3], v38, v37, a[0:3]
	v_cndmask_b32_e64 v37, 0, 1.0, vcc
	s_nop 1
	v_mfma_f32_4x4x1_16b_f32 a[0:3], v39, v37, a[0:3]
	v_and_b32_e32 v37, -4, v36
	v_subrev_u32_e32 v38, s3, v37
	v_add_u32_e32 v39, 1, v38
	v_cvt_f32_i32_e32 v39, v39
	v_add_u32_e32 v42, 2, v38
	v_cvt_f32_i32_e32 v42, v42
	v_accvgpr_read_b32 v43, a0
	v_fma_f32 v39, v35, v39, v43
	v_accvgpr_read_b32 v43, a1
	v_fma_f32 v42, v35, v42, v43
	v_add_u32_e32 v43, 3, v38
	v_cvt_f32_i32_e32 v43, v43
	v_add_u32_e32 v38, 4, v38
	v_cvt_f32_i32_e32 v38, v38
	v_accvgpr_read_b32 v44, a2
	v_fma_f32 v43, v35, v43, v44
	v_accvgpr_read_b32 v44, a3
	v_fmac_f32_e32 v44, v35, v38
	v_max_f32_e32 v38, 0xff7fffff, v39
	v_cmp_gt_i32_e32 vcc, s3, v37
	v_lshlrev_b32_e32 v35, 2, v0
	v_or_b32_e32 v36, 3, v36
	v_cndmask_b32_e32 v38, v45, v38, vcc
	v_or_b32_e32 v45, 1, v37
	v_max_f32_e32 v46, v38, v42
	v_cmp_gt_i32_e64 s[0:1], s3, v45
	v_or_b32_e32 v37, 2, v37
	v_cmp_gt_i32_e64 s[4:5], s3, v37
	v_cndmask_b32_e64 v38, v38, v46, s[0:1]
	v_max_f32_e32 v45, v38, v43
	v_cndmask_b32_e64 v37, v38, v45, s[4:5]
	v_and_or_b32 v35, v35, 48, v41
	v_max_f32_e32 v38, v37, v44
	v_cmp_gt_i32_e64 s[8:9], s3, v36
	v_lshlrev_b32_e32 v45, 2, v35
	s_nop 0
	v_cndmask_b32_e64 v36, v37, v38, s[8:9]
	;;#ASMSTART
	v_nop
 v_nop
 v_max_f32_dpp v35, v36, v36 row_ror:4
	;;#ASMEND
	s_nop 0
	;;#ASMSTART
	v_nop
 v_nop
 v_max_f32_dpp v35, v35, v35 row_ror:8
	;;#ASMEND
	ds_bpermute_b32 v35, v45, v35
	s_waitcnt lgkmcnt(0)
	;;#ASMSTART
	v_nop
 v_nop
 v_max_f32_dpp v35, v35, v35 row_ror:4
	;;#ASMEND
	s_nop 0
	;;#ASMSTART
	v_nop
 v_nop
 v_max_f32_dpp v35, v35, v35 row_ror:8
	;;#ASMEND
	s_nop 0
	v_sub_f32_e32 v36, v39, v35
	v_mul_f32_e32 v36, 0x3fb8aa3b, v36
	v_sub_f32_e32 v37, v42, v35
	v_exp_f32_e32 v36, v36
	v_mul_f32_e32 v37, 0x3fb8aa3b, v37
	v_sub_f32_e32 v39, v43, v35
	v_exp_f32_e32 v37, v37
	;; [unrolled: 3-line block ×3, first 2 shown]
	v_mul_f32_e32 v42, 0x3fb8aa3b, v42
	v_exp_f32_e32 v42, v42
	v_cndmask_b32_e32 v36, 0, v36, vcc
	v_add_f32_e32 v38, 0, v36
	v_cndmask_b32_e64 v37, 0, v37, s[0:1]
	v_add_f32_e32 v43, v38, v37
	v_cndmask_b32_e64 v38, 0, v39, s[4:5]
	;; [unrolled: 2-line block ×3, first 2 shown]
	v_add_f32_e32 v42, v43, v39
	;;#ASMSTART
	v_nop
 v_nop
 v_add_f32_dpp v42, v42, v42 row_ror:4
	;;#ASMEND
	v_cmp_gt_u32_e32 vcc, 4, v1
	;;#ASMSTART
	v_nop
 v_nop
 v_add_f32_dpp v42, v42, v42 row_ror:8
	;;#ASMEND
	ds_bpermute_b32 v42, v45, v42
	s_waitcnt lgkmcnt(0)
	;;#ASMSTART
	v_nop
 v_nop
 v_add_f32_dpp v42, v42, v42 row_ror:4
	;;#ASMEND
	s_nop 0
	;;#ASMSTART
	v_nop
 v_nop
 v_add_f32_dpp v42, v42, v42 row_ror:8
	;;#ASMEND
	s_and_saveexec_b64 s[0:1], vcc
	s_cbranch_execz .LBB1051_12
; %bb.11:
	v_mul_u32_u24_e32 v43, 20, v40
	v_lshl_add_u32 v43, v41, 2, v43
	v_add_u32_e32 v43, 0x1400, v43
	ds_write2_b32 v43, v35, v42 offset1:20
.LBB1051_12:
	s_or_b64 exec, exec, s[0:1]
.LBB1051_13:
	s_or_b64 exec, exec, s[30:31]
	v_lshlrev_b32_e32 v41, 2, v41
	v_add_u32_e32 v48, 0x1400, v41
	s_waitcnt lgkmcnt(0)
	s_barrier
	s_load_dword s0, s[28:29], 0x8
	ds_read2_b32 v[42:43], v48 offset1:5
	ds_read2_b32 v[44:45], v48 offset0:10 offset1:15
	s_mov_b32 s4, 0xff7fffff
	s_mul_i32 s1, s2, s44
	ds_read2_b32 v[46:47], v48 offset0:20 offset1:25
	s_waitcnt lgkmcnt(0)
	v_max3_f32 v41, v42, s4, v43
	v_max3_f32 v41, v41, v44, v45
	s_mul_i32 s1, s1, s0
	v_sub_f32_e32 v42, v42, v41
	s_lshl_b32 s0, s1, 2
	s_mov_b32 s1, 0
	v_mul_f32_e32 v42, 0x3fb8aa3b, v42
	v_sub_f32_e32 v43, v43, v41
	s_lshl_b64 s[2:3], s[0:1], 2
	v_exp_f32_e32 v42, v42
	v_mul_f32_e32 v43, 0x3fb8aa3b, v43
	v_sub_f32_e32 v44, v44, v41
	s_add_u32 s8, s12, s2
	v_exp_f32_e32 v43, v43
	ds_read2_b32 v[48:49], v48 offset0:30 offset1:35
	v_mul_f32_e32 v44, 0x3fb8aa3b, v44
	v_sub_f32_e32 v45, v45, v41
	s_addc_u32 s9, s13, s3
	v_exp_f32_e32 v44, v44
	v_mul_f32_e32 v45, 0x3fb8aa3b, v45
	s_mov_b32 s25, s1
	s_add_u32 s4, s14, s2
	v_exp_f32_e32 v45, v45
	s_addc_u32 s5, s15, s3
	s_lshl_b64 s[2:3], s[24:25], 2
	v_fma_f32 v42, v42, v46, 0
	s_add_u32 s4, s4, s2
	v_fmac_f32_e32 v42, v43, v47
	s_addc_u32 s5, s5, s3
	s_waitcnt lgkmcnt(0)
	v_fmac_f32_e32 v42, v44, v48
	v_fmac_f32_e32 v42, v45, v49
	s_add_u32 s2, s8, s2
	v_mul_lo_u32 v44, s44, v34
	v_mov_b32_e32 v45, 0
	s_addc_u32 s3, s9, s3
	v_lshlrev_b64 v[44:45], 2, v[44:45]
	v_lshl_add_u64 v[46:47], s[4:5], 0, v[44:45]
	v_lshl_add_u64 v[44:45], s[2:3], 0, v[44:45]
	v_lshlrev_b32_e32 v40, 3, v40
	global_store_dword v[46:47], v41, off
	global_store_dword v[44:45], v42, off
	s_and_saveexec_b64 s[2:3], s[6:7]
	s_xor_b64 s[2:3], exec, s[2:3]
	s_cbranch_execz .LBB1051_15
; %bb.14:
	s_mov_b32 s4, s1
	s_mov_b32 s5, s1
	s_waitcnt vmcnt(7)
	v_mad_u32_u24 v4, v1, 40, v40
	v_mov_b64_e32 v[2:3], s[4:5]
	ds_write2st64_b64 v4, v[2:3], v[2:3] offset1:5
                                        ; implicit-def: $vgpr39
                                        ; implicit-def: $vgpr37
                                        ; implicit-def: $vgpr35
                                        ; implicit-def: $vgpr30_vgpr31
                                        ; implicit-def: $vgpr22_vgpr23
                                        ; implicit-def: $vgpr26_vgpr27
                                        ; implicit-def: $vgpr18_vgpr19
                                        ; implicit-def: $vgpr10_vgpr11
                                        ; implicit-def: $vgpr2_vgpr3
                                        ; implicit-def: $vgpr14_vgpr15
                                        ; implicit-def: $vgpr6_vgpr7
                                        ; implicit-def: $vgpr41
                                        ; implicit-def: $vgpr42
                                        ; implicit-def: $vgpr40
.LBB1051_15:
	s_andn2_saveexec_b64 s[2:3], s[2:3]
	s_cbranch_execz .LBB1051_17
; %bb.16:
	v_add_f32_e32 v34, 0x358637bd, v42
	v_div_scale_f32 v42, s[4:5], v34, v34, 1.0
	v_rcp_f32_e32 v43, v42
	v_sub_f32_e32 v35, v35, v41
	v_mul_f32_e32 v35, 0x3fb8aa3b, v35
	v_exp_f32_e32 v35, v35
	v_fma_f32 v41, -v42, v43, 1.0
	v_fmac_f32_e32 v43, v41, v43
	v_div_scale_f32 v41, vcc, 1.0, v34, 1.0
	v_mul_f32_e32 v44, v41, v43
	v_fma_f32 v45, -v42, v44, v41
	v_fmac_f32_e32 v44, v45, v43
	v_fma_f32 v41, -v42, v44, v41
	v_div_fmas_f32 v41, v41, v43, v44
	v_div_fixup_f32 v34, v41, v34, 1.0
	v_mul_f32_e32 v34, v35, v34
	v_pk_mul_f32 v[38:39], v[38:39], v[34:35] op_sel_hi:[1,0]
	v_pk_mul_f32 v[34:35], v[36:37], v[34:35] op_sel_hi:[1,0]
	v_cvt_f16_f32_e32 v36, v38
	v_cvt_f16_f32_e32 v34, v34
	;; [unrolled: 1-line block ×4, first 2 shown]
	s_waitcnt vmcnt(8)
	v_cvt_pk_f32_fp8_sdwa v[38:39], v30 src0_sel:WORD_1
	v_cvt_pk_f32_fp8_e32 v[42:43], v31
	v_pack_b32_f16 v34, v34, v35
	v_pack_b32_f16 v35, v36, v37
	v_cvt_pk_f32_fp8_e32 v[36:37], v30
	v_cvt_pk_f32_fp8_sdwa v[30:31], v31 src0_sel:WORD_1
	s_load_dword s4, s[10:11], 0x0
	v_cvt_pkrtz_f16_f32 v36, v36, v37
	v_cvt_pkrtz_f16_f32 v37, v38, v39
	;; [unrolled: 1-line block ×4, first 2 shown]
	v_mfma_f32_4x4x4_16b_f16 a[0:3], v[34:35], v[36:37], 0 cbsz:4
	v_cvt_pk_f32_fp8_e32 v[30:31], v32
	v_cvt_pk_f32_fp8_sdwa v[36:37], v32 src0_sel:WORD_1
	v_mfma_f32_4x4x4_16b_f16 a[0:3], v[34:35], v[38:39], a[0:3] cbsz:4 abid:1
	v_cvt_pk_f32_fp8_e32 v[38:39], v33
	v_cvt_pk_f32_fp8_sdwa v[32:33], v33 src0_sel:WORD_1
	v_cvt_pkrtz_f16_f32 v30, v30, v31
	v_cvt_pkrtz_f16_f32 v31, v36, v37
	v_cvt_pkrtz_f16_f32 v36, v38, v39
	v_cvt_pkrtz_f16_f32 v37, v32, v33
	v_mfma_f32_4x4x4_16b_f16 a[0:3], v[34:35], v[30:31], a[0:3] cbsz:4 abid:2
	v_cvt_pk_f32_fp8_e32 v[30:31], v22
	v_cvt_pk_f32_fp8_sdwa v[32:33], v22 src0_sel:WORD_1
	v_mfma_f32_4x4x4_16b_f16 a[0:3], v[34:35], v[36:37], a[0:3] cbsz:4 abid:3
	v_cvt_pk_f32_fp8_e32 v[36:37], v23
	v_cvt_pk_f32_fp8_sdwa v[22:23], v23 src0_sel:WORD_1
	v_cvt_pkrtz_f16_f32 v30, v30, v31
	v_cvt_pkrtz_f16_f32 v31, v32, v33
	v_cvt_pkrtz_f16_f32 v32, v36, v37
	v_cvt_pkrtz_f16_f32 v33, v22, v23
	v_mfma_f32_4x4x4_16b_f16 a[0:3], v[34:35], v[30:31], a[0:3] cbsz:4 abid:4
	v_cvt_pk_f32_fp8_e32 v[22:23], v24
	v_cvt_pk_f32_fp8_sdwa v[30:31], v24 src0_sel:WORD_1
	v_mfma_f32_4x4x4_16b_f16 a[0:3], v[34:35], v[32:33], a[0:3] cbsz:4 abid:5
	v_cvt_pk_f32_fp8_e32 v[32:33], v25
	v_cvt_pk_f32_fp8_sdwa v[24:25], v25 src0_sel:WORD_1
	v_cvt_pkrtz_f16_f32 v22, v22, v23
	v_cvt_pkrtz_f16_f32 v23, v30, v31
	v_cvt_pkrtz_f16_f32 v30, v32, v33
	v_cvt_pkrtz_f16_f32 v31, v24, v25
	v_mfma_f32_4x4x4_16b_f16 a[0:3], v[34:35], v[22:23], a[0:3] cbsz:4 abid:6
	s_waitcnt vmcnt(4)
	v_cvt_pk_f32_fp8_e32 v[22:23], v26
	v_cvt_pk_f32_fp8_sdwa v[24:25], v26 src0_sel:WORD_1
	v_mfma_f32_4x4x4_16b_f16 a[0:3], v[34:35], v[30:31], a[0:3] cbsz:4 abid:7
	v_cvt_pk_f32_fp8_e32 v[30:31], v27
	v_cvt_pk_f32_fp8_sdwa v[26:27], v27 src0_sel:WORD_1
	v_cvt_pkrtz_f16_f32 v22, v22, v23
	v_cvt_pkrtz_f16_f32 v23, v24, v25
	;; [unrolled: 1-line block ×4, first 2 shown]
	v_mfma_f32_4x4x4_16b_f16 a[0:3], v[34:35], v[22:23], a[0:3] cbsz:4 abid:8
	v_cvt_pk_f32_fp8_e32 v[22:23], v28
	v_cvt_pk_f32_fp8_e32 v[26:27], v29
	v_mfma_f32_4x4x4_16b_f16 a[0:3], v[34:35], v[24:25], a[0:3] cbsz:4 abid:9
	v_cvt_pk_f32_fp8_sdwa v[24:25], v28 src0_sel:WORD_1
	v_cvt_pk_f32_fp8_sdwa v[28:29], v29 src0_sel:WORD_1
	v_cvt_pkrtz_f16_f32 v22, v22, v23
	v_cvt_pkrtz_f16_f32 v23, v24, v25
	;; [unrolled: 1-line block ×3, first 2 shown]
	s_nop 0
	v_mfma_f32_4x4x4_16b_f16 a[0:3], v[34:35], v[22:23], a[0:3] cbsz:4 abid:10
	v_cvt_pkrtz_f16_f32 v25, v28, v29
	v_cvt_pk_f32_fp8_e32 v[22:23], v18
	v_cvt_pk_f32_fp8_e32 v[26:27], v19
	v_mfma_f32_4x4x4_16b_f16 a[0:3], v[34:35], v[24:25], a[0:3] cbsz:4 abid:11
	v_cvt_pk_f32_fp8_sdwa v[24:25], v18 src0_sel:WORD_1
	v_cvt_pk_f32_fp8_sdwa v[18:19], v19 src0_sel:WORD_1
	v_cvt_pkrtz_f16_f32 v22, v22, v23
	v_cvt_pkrtz_f16_f32 v23, v24, v25
	;; [unrolled: 1-line block ×3, first 2 shown]
	s_nop 0
	v_mfma_f32_4x4x4_16b_f16 a[0:3], v[34:35], v[22:23], a[0:3] cbsz:4 abid:12
	v_cvt_pk_f32_fp8_e32 v[18:19], v20
	v_cvt_pk_f32_fp8_sdwa v[22:23], v20 src0_sel:WORD_1
	v_cvt_pkrtz_f16_f32 v24, v26, v27
	v_cvt_pkrtz_f16_f32 v18, v18, v19
	s_nop 0
	v_mfma_f32_4x4x4_16b_f16 a[0:3], v[34:35], v[24:25], a[0:3] cbsz:4 abid:13
	v_cvt_pk_f32_fp8_e32 v[24:25], v21
	v_cvt_pk_f32_fp8_sdwa v[20:21], v21 src0_sel:WORD_1
	v_cvt_pkrtz_f16_f32 v19, v22, v23
	v_cvt_pkrtz_f16_f32 v22, v24, v25
	s_nop 0
	v_mfma_f32_4x4x4_16b_f16 a[0:3], v[34:35], v[18:19], a[0:3] cbsz:4 abid:14
	v_cvt_pkrtz_f16_f32 v23, v20, v21
	v_cvt_pk_f32_fp8_e32 v[24:25], v11
	s_nop 0
	v_mfma_f32_4x4x4_16b_f16 a[0:3], v[34:35], v[22:23], a[0:3] cbsz:4 abid:15
	v_cvt_pk_f32_fp8_sdwa v[22:23], v10 src0_sel:WORD_1
	s_nop 3
	v_accvgpr_read_b32 v19, a1
	v_accvgpr_read_b32 v18, a0
	s_waitcnt lgkmcnt(0)
	v_pk_mul_f32 v[18:19], v[18:19], s[4:5] op_sel_hi:[1,0]
	s_nop 0
	v_cvt_f16_f32_e32 v20, v18
	v_cvt_f16_f32_e32 v21, v19
	v_accvgpr_read_b32 v19, a3
	v_accvgpr_read_b32 v18, a2
	v_pk_mul_f32 v[18:19], v[18:19], s[4:5] op_sel_hi:[1,0]
	v_pack_b32_f16 v20, v20, v21
	v_cvt_f16_f32_e32 v21, v18
	v_cvt_f16_f32_e32 v26, v19
	v_cvt_pk_f32_fp8_e32 v[18:19], v10
	v_cvt_pk_f32_fp8_sdwa v[10:11], v11 src0_sel:WORD_1
	v_pack_b32_f16 v21, v21, v26
	v_cvt_pkrtz_f16_f32 v18, v18, v19
	v_cvt_pkrtz_f16_f32 v19, v22, v23
	;; [unrolled: 1-line block ×4, first 2 shown]
	v_mfma_f32_4x4x4_16b_f16 a[0:3], v[34:35], v[18:19], 0 cbsz:4
	v_cvt_pk_f32_fp8_e32 v[10:11], v12
	v_cvt_pk_f32_fp8_sdwa v[18:19], v12 src0_sel:WORD_1
	v_mfma_f32_4x4x4_16b_f16 a[0:3], v[34:35], v[22:23], a[0:3] cbsz:4 abid:1
	v_cvt_pk_f32_fp8_e32 v[22:23], v13
	v_cvt_pk_f32_fp8_sdwa v[12:13], v13 src0_sel:WORD_1
	v_cvt_pkrtz_f16_f32 v10, v10, v11
	v_cvt_pkrtz_f16_f32 v11, v18, v19
	v_cvt_pkrtz_f16_f32 v18, v22, v23
	v_cvt_pkrtz_f16_f32 v19, v12, v13
	v_mfma_f32_4x4x4_16b_f16 a[0:3], v[34:35], v[10:11], a[0:3] cbsz:4 abid:2
	v_cvt_pk_f32_fp8_e32 v[10:11], v2
	v_cvt_pk_f32_fp8_sdwa v[12:13], v2 src0_sel:WORD_1
	v_mfma_f32_4x4x4_16b_f16 a[0:3], v[34:35], v[18:19], a[0:3] cbsz:4 abid:3
	v_cvt_pk_f32_fp8_e32 v[18:19], v3
	v_cvt_pk_f32_fp8_sdwa v[2:3], v3 src0_sel:WORD_1
	v_cvt_pkrtz_f16_f32 v10, v10, v11
	v_cvt_pkrtz_f16_f32 v11, v12, v13
	v_cvt_pkrtz_f16_f32 v12, v18, v19
	v_cvt_pkrtz_f16_f32 v13, v2, v3
	v_mfma_f32_4x4x4_16b_f16 a[0:3], v[34:35], v[10:11], a[0:3] cbsz:4 abid:4
	;; [unrolled: 10-line block ×3, first 2 shown]
	s_waitcnt vmcnt(2)
	v_cvt_pk_f32_fp8_e32 v[2:3], v14
	v_cvt_pk_f32_fp8_sdwa v[4:5], v14 src0_sel:WORD_1
	v_mfma_f32_4x4x4_16b_f16 a[0:3], v[34:35], v[10:11], a[0:3] cbsz:4 abid:7
	v_cvt_pk_f32_fp8_e32 v[10:11], v15
	v_cvt_pk_f32_fp8_sdwa v[12:13], v15 src0_sel:WORD_1
	v_cvt_pkrtz_f16_f32 v2, v2, v3
	v_cvt_pkrtz_f16_f32 v3, v4, v5
	;; [unrolled: 1-line block ×4, first 2 shown]
	v_mfma_f32_4x4x4_16b_f16 a[0:3], v[34:35], v[2:3], a[0:3] cbsz:4 abid:8
	v_cvt_pk_f32_fp8_e32 v[2:3], v16
	v_cvt_pk_f32_fp8_e32 v[10:11], v17
	v_mfma_f32_4x4x4_16b_f16 a[0:3], v[34:35], v[4:5], a[0:3] cbsz:4 abid:9
	v_cvt_pk_f32_fp8_sdwa v[4:5], v16 src0_sel:WORD_1
	v_cvt_pk_f32_fp8_sdwa v[12:13], v17 src0_sel:WORD_1
	v_cvt_pkrtz_f16_f32 v2, v2, v3
	v_cvt_pkrtz_f16_f32 v3, v4, v5
	v_cvt_pkrtz_f16_f32 v4, v10, v11
	s_nop 0
	v_mfma_f32_4x4x4_16b_f16 a[0:3], v[34:35], v[2:3], a[0:3] cbsz:4 abid:10
	v_cvt_pkrtz_f16_f32 v5, v12, v13
	v_cvt_pk_f32_fp8_e32 v[2:3], v6
	v_cvt_pk_f32_fp8_e32 v[10:11], v7
	v_mfma_f32_4x4x4_16b_f16 a[0:3], v[34:35], v[4:5], a[0:3] cbsz:4 abid:11
	v_cvt_pk_f32_fp8_sdwa v[4:5], v6 src0_sel:WORD_1
	v_cvt_pk_f32_fp8_sdwa v[6:7], v7 src0_sel:WORD_1
	v_cvt_pkrtz_f16_f32 v2, v2, v3
	v_cvt_pkrtz_f16_f32 v3, v4, v5
	v_cvt_pkrtz_f16_f32 v4, v10, v11
	s_nop 0
	v_mfma_f32_4x4x4_16b_f16 a[0:3], v[34:35], v[2:3], a[0:3] cbsz:4 abid:12
	v_cvt_pkrtz_f16_f32 v5, v6, v7
	v_cvt_pk_f32_fp8_e32 v[2:3], v8
	v_cvt_pk_f32_fp8_e32 v[6:7], v9
	v_mfma_f32_4x4x4_16b_f16 a[0:3], v[34:35], v[4:5], a[0:3] cbsz:4 abid:13
	v_cvt_pk_f32_fp8_sdwa v[4:5], v8 src0_sel:WORD_1
	v_cvt_pk_f32_fp8_sdwa v[8:9], v9 src0_sel:WORD_1
	v_cvt_pkrtz_f16_f32 v2, v2, v3
	v_cvt_pkrtz_f16_f32 v3, v4, v5
	v_cvt_pkrtz_f16_f32 v4, v6, v7
	s_nop 0
	v_mfma_f32_4x4x4_16b_f16 a[0:3], v[34:35], v[2:3], a[0:3] cbsz:4 abid:14
	v_cvt_pkrtz_f16_f32 v5, v8, v9
	v_mad_u32_u24 v7, v1, 40, v40
	s_nop 0
	v_mfma_f32_4x4x4_16b_f16 a[0:3], v[34:35], v[4:5], a[0:3] cbsz:4 abid:15
	s_nop 4
	v_accvgpr_read_b32 v5, a1
	v_accvgpr_read_b32 v3, a3
	;; [unrolled: 1-line block ×4, first 2 shown]
	v_pk_mul_f32 v[2:3], v[2:3], s[4:5] op_sel_hi:[1,0]
	v_pk_mul_f32 v[4:5], v[4:5], s[4:5] op_sel_hi:[1,0]
	v_cvt_f16_f32_e32 v6, v2
	v_cvt_f16_f32_e32 v4, v4
	;; [unrolled: 1-line block ×4, first 2 shown]
	v_pack_b32_f16 v2, v4, v5
	v_pack_b32_f16 v3, v6, v3
	ds_write2st64_b64 v7, v[20:21], v[2:3] offset1:5
.LBB1051_17:
	s_or_b64 exec, exec, s[2:3]
	v_cmp_gt_u32_e32 vcc, 64, v0
	s_waitcnt lgkmcnt(0)
	s_barrier
	s_and_saveexec_b64 s[2:3], vcc
	s_cbranch_execz .LBB1051_19
; %bb.18:
	s_waitcnt vmcnt(3)
	v_mul_u32_u24_e32 v6, 40, v1
	ds_read2_b64 v[2:5], v6 offset1:1
	ds_read2_b64 v[6:9], v6 offset0:2 offset1:3
	s_lshl_b32 s0, s0, 7
	s_lshl_b64 s[2:3], s[0:1], 1
	s_add_u32 s2, s26, s2
	s_waitcnt lgkmcnt(1)
	v_pk_add_f16 v2, v2, 0
	v_pk_add_f16 v3, v3, 0
	;; [unrolled: 1-line block ×4, first 2 shown]
	s_waitcnt lgkmcnt(0)
	v_pk_add_f16 v2, v2, v6
	v_pk_add_f16 v6, v3, v7
	;; [unrolled: 1-line block ×3, first 2 shown]
	v_mov_b32_e32 v2, 0xa00
	v_mad_u32_u24 v2, v1, 40, v2
	ds_read2_b64 v[2:5], v2 offset1:1
	v_pk_add_f16 v11, v6, v9
	v_mov_b32_e32 v6, 0xa10
	v_mad_u32_u24 v1, v1, 40, v6
	ds_read2_b64 v[6:9], v1 offset1:1
	s_addc_u32 s3, s27, s3
	s_lshl_b32 s0, s24, 7
	s_lshl_b64 s[0:1], s[0:1], 1
	s_waitcnt lgkmcnt(1)
	v_pk_add_f16 v1, v2, 0
	v_pk_add_f16 v2, v3, 0
	s_add_u32 s0, s2, s0
	v_pk_add_f16 v2, v2, v5
	s_addc_u32 s1, s3, s1
	s_lshl_b32 s2, s44, 7
	s_waitcnt lgkmcnt(0)
	v_pk_add_f16 v2, v2, v7
	s_mul_i32 s3, s2, s33
	v_pk_add_f16 v13, v2, v9
	v_or_b32_e32 v2, s3, v0
	v_mov_b32_e32 v3, 0
	s_add_i32 s3, s3, s2
	v_pk_add_f16 v1, v1, v4
	v_lshl_add_u64 v[4:5], v[2:3], 1, s[0:1]
	v_or_b32_e32 v2, s3, v0
	s_add_i32 s3, s3, s2
	v_pk_add_f16 v1, v1, v6
	v_lshl_add_u64 v[6:7], v[2:3], 1, s[0:1]
	v_or_b32_e32 v2, s3, v0
	;; [unrolled: 4-line block ×3, first 2 shown]
	v_lshl_add_u64 v[0:1], v[2:3], 1, s[0:1]
	global_store_short v[4:5], v10, off
	global_store_short_d16_hi v[6:7], v10, off
	global_store_short v[8:9], v11, off
	global_store_short_d16_hi v[0:1], v11, off
	global_store_short v[4:5], v12, off offset:128
	global_store_short_d16_hi v[6:7], v12, off offset:128
	global_store_short v[8:9], v13, off offset:128
	global_store_short_d16_hi v[0:1], v13, off offset:128
.LBB1051_19:
	s_endpgm
.LBB1051_20:
	s_mov_b64 s[8:9], 0
                                        ; implicit-def: $sgpr34_sgpr35
	s_branch .LBB1051_2
	.section	.rodata,"a",@progbits
	.p2align	6, 0x0
	.amdhsa_kernel _Z38paged_attention_ll4mi_QKV_mfma4_kernelIDF16_hLN4vllm18Fp8KVCacheDataTypeE1EDF16_Li32ELi128ELi256ELb1ELi4EEvPKT_PKT0_S7_ifPKiS9_S9_iPKfiiiPfSC_PS2_PT2_iSB_SB_
		.amdhsa_group_segment_fixed_size 5280
		.amdhsa_private_segment_fixed_size 0
		.amdhsa_kernarg_size 400
		.amdhsa_user_sgpr_count 2
		.amdhsa_user_sgpr_dispatch_ptr 0
		.amdhsa_user_sgpr_queue_ptr 0
		.amdhsa_user_sgpr_kernarg_segment_ptr 1
		.amdhsa_user_sgpr_dispatch_id 0
		.amdhsa_user_sgpr_kernarg_preload_length 0
		.amdhsa_user_sgpr_kernarg_preload_offset 0
		.amdhsa_user_sgpr_private_segment_size 0
		.amdhsa_uses_dynamic_stack 0
		.amdhsa_enable_private_segment 0
		.amdhsa_system_sgpr_workgroup_id_x 1
		.amdhsa_system_sgpr_workgroup_id_y 1
		.amdhsa_system_sgpr_workgroup_id_z 1
		.amdhsa_system_sgpr_workgroup_info 0
		.amdhsa_system_vgpr_workitem_id 0
		.amdhsa_next_free_vgpr 92
		.amdhsa_next_free_sgpr 45
		.amdhsa_accum_offset 88
		.amdhsa_reserve_vcc 1
		.amdhsa_float_round_mode_32 0
		.amdhsa_float_round_mode_16_64 0
		.amdhsa_float_denorm_mode_32 3
		.amdhsa_float_denorm_mode_16_64 3
		.amdhsa_dx10_clamp 1
		.amdhsa_ieee_mode 1
		.amdhsa_fp16_overflow 0
		.amdhsa_tg_split 0
		.amdhsa_exception_fp_ieee_invalid_op 0
		.amdhsa_exception_fp_denorm_src 0
		.amdhsa_exception_fp_ieee_div_zero 0
		.amdhsa_exception_fp_ieee_overflow 0
		.amdhsa_exception_fp_ieee_underflow 0
		.amdhsa_exception_fp_ieee_inexact 0
		.amdhsa_exception_int_div_zero 0
	.end_amdhsa_kernel
	.section	.text._Z38paged_attention_ll4mi_QKV_mfma4_kernelIDF16_hLN4vllm18Fp8KVCacheDataTypeE1EDF16_Li32ELi128ELi256ELb1ELi4EEvPKT_PKT0_S7_ifPKiS9_S9_iPKfiiiPfSC_PS2_PT2_iSB_SB_,"axG",@progbits,_Z38paged_attention_ll4mi_QKV_mfma4_kernelIDF16_hLN4vllm18Fp8KVCacheDataTypeE1EDF16_Li32ELi128ELi256ELb1ELi4EEvPKT_PKT0_S7_ifPKiS9_S9_iPKfiiiPfSC_PS2_PT2_iSB_SB_,comdat
.Lfunc_end1051:
	.size	_Z38paged_attention_ll4mi_QKV_mfma4_kernelIDF16_hLN4vllm18Fp8KVCacheDataTypeE1EDF16_Li32ELi128ELi256ELb1ELi4EEvPKT_PKT0_S7_ifPKiS9_S9_iPKfiiiPfSC_PS2_PT2_iSB_SB_, .Lfunc_end1051-_Z38paged_attention_ll4mi_QKV_mfma4_kernelIDF16_hLN4vllm18Fp8KVCacheDataTypeE1EDF16_Li32ELi128ELi256ELb1ELi4EEvPKT_PKT0_S7_ifPKiS9_S9_iPKfiiiPfSC_PS2_PT2_iSB_SB_
                                        ; -- End function
	.section	.AMDGPU.csdata,"",@progbits
; Kernel info:
; codeLenInByte = 5376
; NumSgprs: 51
; NumVgprs: 88
; NumAgprs: 4
; TotalNumVgprs: 92
; ScratchSize: 0
; MemoryBound: 0
; FloatMode: 240
; IeeeMode: 1
; LDSByteSize: 5280 bytes/workgroup (compile time only)
; SGPRBlocks: 6
; VGPRBlocks: 11
; NumSGPRsForWavesPerEU: 51
; NumVGPRsForWavesPerEU: 92
; AccumOffset: 88
; Occupancy: 5
; WaveLimiterHint : 1
; COMPUTE_PGM_RSRC2:SCRATCH_EN: 0
; COMPUTE_PGM_RSRC2:USER_SGPR: 2
; COMPUTE_PGM_RSRC2:TRAP_HANDLER: 0
; COMPUTE_PGM_RSRC2:TGID_X_EN: 1
; COMPUTE_PGM_RSRC2:TGID_Y_EN: 1
; COMPUTE_PGM_RSRC2:TGID_Z_EN: 1
; COMPUTE_PGM_RSRC2:TIDIG_COMP_CNT: 0
; COMPUTE_PGM_RSRC3_GFX90A:ACCUM_OFFSET: 21
; COMPUTE_PGM_RSRC3_GFX90A:TG_SPLIT: 0
	.section	.text._Z39paged_attention_ll4mi_QKV_mfma16_kernelIDF16_hLN4vllm18Fp8KVCacheDataTypeE1EDF16_Li32ELi128ELi256ELb1ELi5EEvPKT_PKT0_S7_ifPKiS9_S9_iPKfiiiPfSC_PS2_PT2_iSB_SB_,"axG",@progbits,_Z39paged_attention_ll4mi_QKV_mfma16_kernelIDF16_hLN4vllm18Fp8KVCacheDataTypeE1EDF16_Li32ELi128ELi256ELb1ELi5EEvPKT_PKT0_S7_ifPKiS9_S9_iPKfiiiPfSC_PS2_PT2_iSB_SB_,comdat
	.protected	_Z39paged_attention_ll4mi_QKV_mfma16_kernelIDF16_hLN4vllm18Fp8KVCacheDataTypeE1EDF16_Li32ELi128ELi256ELb1ELi5EEvPKT_PKT0_S7_ifPKiS9_S9_iPKfiiiPfSC_PS2_PT2_iSB_SB_ ; -- Begin function _Z39paged_attention_ll4mi_QKV_mfma16_kernelIDF16_hLN4vllm18Fp8KVCacheDataTypeE1EDF16_Li32ELi128ELi256ELb1ELi5EEvPKT_PKT0_S7_ifPKiS9_S9_iPKfiiiPfSC_PS2_PT2_iSB_SB_
	.globl	_Z39paged_attention_ll4mi_QKV_mfma16_kernelIDF16_hLN4vllm18Fp8KVCacheDataTypeE1EDF16_Li32ELi128ELi256ELb1ELi5EEvPKT_PKT0_S7_ifPKiS9_S9_iPKfiiiPfSC_PS2_PT2_iSB_SB_
	.p2align	8
	.type	_Z39paged_attention_ll4mi_QKV_mfma16_kernelIDF16_hLN4vllm18Fp8KVCacheDataTypeE1EDF16_Li32ELi128ELi256ELb1ELi5EEvPKT_PKT0_S7_ifPKiS9_S9_iPKfiiiPfSC_PS2_PT2_iSB_SB_,@function
_Z39paged_attention_ll4mi_QKV_mfma16_kernelIDF16_hLN4vllm18Fp8KVCacheDataTypeE1EDF16_Li32ELi128ELi256ELb1ELi5EEvPKT_PKT0_S7_ifPKiS9_S9_iPKfiiiPfSC_PS2_PT2_iSB_SB_: ; @_Z39paged_attention_ll4mi_QKV_mfma16_kernelIDF16_hLN4vllm18Fp8KVCacheDataTypeE1EDF16_Li32ELi128ELi256ELb1ELi5EEvPKT_PKT0_S7_ifPKiS9_S9_iPKfiiiPfSC_PS2_PT2_iSB_SB_
; %bb.0:
	s_load_dwordx2 s[10:11], s[0:1], 0x30
	s_mov_b32 s6, s3
	s_mov_b64 s[8:9], 0
	s_waitcnt lgkmcnt(0)
	s_cmp_lg_u64 s[10:11], 0
	s_cselect_b64 s[12:13], -1, 0
	s_and_b64 vcc, exec, s[12:13]
	s_cbranch_vccz .LBB1052_7
; %bb.1:
	s_add_i32 s14, s2, 1
	s_mov_b32 s15, 0
	s_lshl_b64 s[16:17], s[14:15], 2
	s_add_u32 s16, s10, s16
	s_mov_b32 s3, s15
	s_addc_u32 s17, s11, s17
	s_lshl_b64 s[14:15], s[2:3], 2
	s_add_u32 s14, s10, s14
	s_addc_u32 s15, s11, s15
	s_load_dword s5, s[16:17], 0x0
	s_load_dword s7, s[14:15], 0x0
	s_waitcnt lgkmcnt(0)
	s_sub_i32 s5, s5, s7
	s_cmp_eq_u32 s5, 1
	s_cselect_b64 s[14:15], -1, 0
	s_andn2_b64 vcc, exec, s[8:9]
	s_cbranch_vccnz .LBB1052_3
.LBB1052_2:
	s_mov_b32 s3, 0
	s_mov_b64 s[14:15], -1
.LBB1052_3:
	s_andn2_b64 vcc, exec, s[14:15]
	s_cbranch_vccnz .LBB1052_20
; %bb.4:
	s_load_dwordx2 s[8:9], s[0:1], 0x28
	s_lshl_b64 s[14:15], s[2:3], 2
	s_waitcnt lgkmcnt(0)
	s_add_u32 s8, s8, s14
	s_addc_u32 s9, s9, s15
	s_load_dword s7, s[8:9], 0x0
	s_lshl_b32 s18, s6, 8
	s_waitcnt lgkmcnt(0)
	s_cmp_ge_i32 s18, s7
	s_cbranch_scc1 .LBB1052_20
; %bb.5:
	s_load_dwordx2 s[8:9], s[0:1], 0x20
	s_load_dword s5, s[0:1], 0x38
	s_add_i32 s16, s7, 31
	s_ashr_i32 s17, s16, 31
	v_and_b32_e32 v1, 0xcf, v0
	s_lshr_b32 s17, s17, 27
	v_add_u32_e32 v1, s18, v1
	s_add_i32 s16, s16, s17
	v_ashrrev_i32_e32 v2, 31, v1
	s_ashr_i32 s19, s16, 5
	v_lshrrev_b32_e32 v4, 27, v2
	s_add_i32 s19, s19, -1
	s_waitcnt lgkmcnt(0)
	s_mul_i32 s16, s2, s5
	s_mov_b32 s17, 0
	v_add_u32_e32 v2, v1, v4
	s_lshl_b64 s[16:17], s[16:17], 2
	v_ashrrev_i32_e32 v2, 5, v2
	v_mov_b32_e32 v5, s19
	v_cmp_gt_i32_e32 vcc, s7, v1
	s_add_u32 s8, s8, s16
	s_addc_u32 s9, s9, s17
	v_cndmask_b32_e32 v2, v5, v2, vcc
	v_ashrrev_i32_e32 v3, 31, v2
	v_lshl_add_u64 v[6:7], v[2:3], 2, s[8:9]
	v_or_b32_e32 v2, 16, v1
	v_add_u32_e32 v3, v2, v4
	v_ashrrev_i32_e32 v3, 5, v3
	v_cmp_gt_i32_e32 vcc, s7, v2
	s_load_dwordx2 s[16:17], s[0:1], 0x8
	s_nop 0
	v_cndmask_b32_e32 v2, v5, v3, vcc
	v_ashrrev_i32_e32 v3, 31, v2
	v_lshl_add_u64 v[8:9], v[2:3], 2, s[8:9]
	v_or_b32_e32 v2, 32, v1
	v_add_u32_e32 v3, v2, v4
	v_ashrrev_i32_e32 v3, 5, v3
	v_cmp_gt_i32_e32 vcc, s7, v2
	v_or_b32_e32 v1, 48, v1
	s_nop 0
	v_cndmask_b32_e32 v2, v5, v3, vcc
	v_ashrrev_i32_e32 v3, 31, v2
	v_lshl_add_u64 v[12:13], v[2:3], 2, s[8:9]
	v_add_u32_e32 v2, v1, v4
	v_ashrrev_i32_e32 v2, 5, v2
	v_cmp_gt_i32_e32 vcc, s7, v1
	s_nop 1
	v_cndmask_b32_e32 v2, v5, v2, vcc
	v_ashrrev_i32_e32 v3, 31, v2
	v_lshl_add_u64 v[14:15], v[2:3], 2, s[8:9]
	global_load_dword v4, v[6:7], off
	global_load_dword v3, v[8:9], off
	;; [unrolled: 1-line block ×4, first 2 shown]
	s_andn2_b64 vcc, exec, s[12:13]
	s_cbranch_vccnz .LBB1052_8
; %bb.6:
	s_add_u32 s10, s10, s14
	s_addc_u32 s11, s11, s15
	s_load_dword s5, s[10:11], 0x0
	s_branch .LBB1052_9
.LBB1052_7:
	s_mov_b64 s[14:15], 0
	s_branch .LBB1052_2
.LBB1052_8:
	s_mov_b32 s5, s2
.LBB1052_9:
	s_load_dwordx2 s[10:11], s[0:1], 0x10
	s_load_dwordx4 s[44:47], s[0:1], 0x48
	v_lshrrev_b32_e32 v57, 6, v0
	v_bfe_u32 v62, v0, 4, 2
	v_and_b32_e32 v56, 15, v0
	v_lshl_or_b32 v5, v57, 2, v62
	v_lshlrev_b32_e32 v1, 3, v56
	s_mul_i32 s48, s4, 5
	v_cmp_gt_u32_e32 vcc, 5, v5
	v_lshlrev_b32_e32 v54, 1, v1
	v_lshlrev_b32_e32 v1, 4, v0
	s_and_saveexec_b64 s[12:13], vcc
	s_cbranch_execz .LBB1052_11
; %bb.10:
	s_load_dwordx2 s[14:15], s[0:1], 0x0
	s_waitcnt lgkmcnt(0)
	s_ashr_i32 s20, s44, 31
	s_mul_hi_u32 s21, s5, s44
	s_mul_i32 s20, s5, s20
	s_add_i32 s21, s21, s20
	s_mul_i32 s20, s5, s44
	s_lshl_b64 s[20:21], s[20:21], 1
	s_add_u32 s14, s14, s20
	v_add_lshl_u32 v6, v5, s48, 7
	s_addc_u32 s15, s15, s21
	v_ashrrev_i32_e32 v7, 31, v6
	v_lshl_add_u64 v[6:7], v[6:7], 1, s[14:15]
	v_mov_b32_e32 v55, 0
	v_lshl_add_u64 v[6:7], v[6:7], 0, v[54:55]
	global_load_dwordx4 v[6:9], v[6:7], off
	v_lshlrev_b32_e32 v12, 8, v0
	v_lshlrev_b32_e32 v11, 8, v56
	v_and_b32_e32 v12, 0x600, v12
	s_movk_i32 s5, 0x800
	v_and_or_b32 v11, v11, s5, v12
	v_lshlrev_b32_e32 v5, 5, v5
	v_and_b32_e32 v12, 16, v1
	v_or3_b32 v5, v11, v5, v12
	s_waitcnt vmcnt(0)
	ds_write_b128 v5, v[6:9]
.LBB1052_11:
	s_or_b64 exec, exec, s[12:13]
	s_waitcnt lgkmcnt(0)
	s_mul_i32 s12, s4, s46
	s_add_u32 s4, s16, s12
	s_addc_u32 s5, s17, 0
	v_mov_b32_e32 v59, 0
	v_mov_b64_e32 v[12:13], s[4:5]
	v_and_b32_e32 v34, 48, v0
	s_waitcnt vmcnt(3)
	v_mad_i64_i32 v[4:5], s[4:5], v4, s45, v[12:13]
	v_lshlrev_b32_e32 v14, 4, v56
	v_mov_b32_e32 v15, v59
	v_lshlrev_b32_e32 v58, 5, v34
	v_lshl_add_u64 v[4:5], v[4:5], 0, v[14:15]
	v_lshl_add_u64 v[4:5], v[4:5], 0, v[58:59]
	s_barrier
	global_load_dwordx4 v[50:53], v[4:5], off
	global_load_dwordx4 v[46:49], v[4:5], off offset:2048
	s_waitcnt vmcnt(4)
	v_mad_i64_i32 v[4:5], s[4:5], v3, s45, v[12:13]
	v_or_b32_e32 v16, 0x100, v14
	v_mov_b32_e32 v17, v59
	s_waitcnt vmcnt(3)
	v_mad_i64_i32 v[2:3], s[4:5], v2, s45, v[12:13]
	v_lshl_add_u64 v[4:5], v[4:5], 0, v[16:17]
	v_lshl_add_u64 v[2:3], v[2:3], 0, v[14:15]
	s_waitcnt vmcnt(2)
	v_mad_i64_i32 v[10:11], s[4:5], v10, s45, v[12:13]
	v_lshl_add_u64 v[4:5], v[4:5], 0, v[58:59]
	v_lshl_add_u64 v[14:15], v[2:3], 0, v[58:59]
	;; [unrolled: 1-line block ×3, first 2 shown]
	global_load_dwordx4 v[36:39], v[4:5], off
	global_load_dwordx4 v[6:9], v[4:5], off offset:2048
	s_nop 0
	global_load_dwordx4 v[2:5], v[14:15], off
	global_load_dwordx4 v[42:45], v[14:15], off offset:2048
	v_lshl_add_u64 v[14:15], v[10:11], 0, v[58:59]
	global_load_dwordx4 v[26:29], v[14:15], off
	global_load_dwordx4 v[10:13], v[14:15], off offset:2048
	v_mul_lo_u16_e32 v14, 52, v56
	v_mov_b32_e32 v15, 5
	v_mul_lo_u16_sdwa v14, v14, v15 dst_sel:DWORD dst_unused:UNUSED_PAD src0_sel:BYTE_1 src1_sel:DWORD
	v_sub_u16_e32 v14, v56, v14
	v_lshlrev_b32_sdwa v14, v15, v14 dst_sel:DWORD dst_unused:UNUSED_PAD src0_sel:DWORD src1_sel:BYTE_0
	v_lshl_add_u32 v14, v62, 9, v14
	ds_read_b128 v[30:33], v14
	ds_read_b128 v[22:25], v14 offset:16
	ds_read_b128 v[18:21], v14 offset:2048
	;; [unrolled: 1-line block ×3, first 2 shown]
	v_and_b32_e32 v55, 63, v0
	v_cmp_gt_u32_e32 vcc, 5, v56
	v_mov_b32_e32 v63, 0
	s_and_saveexec_b64 s[4:5], vcc
	s_cbranch_execz .LBB1052_13
; %bb.12:
	s_load_dwordx2 s[14:15], s[0:1], 0x40
	v_add_u32_e32 v40, s48, v56
	v_ashrrev_i32_e32 v41, 31, v40
	s_waitcnt lgkmcnt(0)
	v_lshl_add_u64 v[40:41], v[40:41], 2, s[14:15]
	global_load_dword v63, v[40:41], off
.LBB1052_13:
	s_or_b64 exec, exec, s[4:5]
	s_ashr_i32 s4, s18, 31
	v_or_b32_e32 v58, s18, v34
	s_lshr_b32 s4, s4, 27
	v_add_u32_e32 v34, s4, v58
	v_cmp_gt_i32_e32 vcc, s7, v58
	v_or_b32_e32 v40, 64, v58
	v_or_b32_e32 v60, 0x80, v58
	;; [unrolled: 1-line block ×3, first 2 shown]
	v_add_u32_e32 v64, s4, v58
	v_ashrrev_i32_e32 v69, 5, v64
	s_waitcnt vmcnt(7)
	v_cvt_pk_f32_fp8_e32 v[64:65], v50
	v_cvt_pk_f32_fp8_sdwa v[66:67], v50 src0_sel:WORD_1
	v_cvt_pk_f32_fp8_e32 v[70:71], v51
	v_cvt_pk_f32_fp8_sdwa v[50:51], v51 src0_sel:WORD_1
	v_cvt_pkrtz_f16_f32 v64, v64, v65
	v_cvt_pkrtz_f16_f32 v65, v66, v67
	;; [unrolled: 1-line block ×3, first 2 shown]
	v_cvt_pk_f32_fp8_e32 v[72:73], v52
	v_cvt_pk_f32_fp8_sdwa v[74:75], v52 src0_sel:WORD_1
	v_cvt_pkrtz_f16_f32 v71, v50, v51
	s_waitcnt lgkmcnt(3)
	v_mfma_f32_16x16x16_f16 v[64:67], v[64:65], v[30:31], 0
	v_cvt_pkrtz_f16_f32 v72, v72, v73
	v_cvt_pkrtz_f16_f32 v73, v74, v75
	v_cvt_pk_f32_fp8_e32 v[74:75], v53
	v_cvt_pk_f32_fp8_sdwa v[76:77], v53 src0_sel:WORD_1
	v_mfma_f32_16x16x16_f16 v[50:53], v[70:71], v[32:33], v[64:67]
	v_ashrrev_i32_e32 v34, 5, v34
	v_mov_b32_e32 v68, s19
	v_add_u32_e32 v41, s4, v40
	v_cndmask_b32_e32 v34, v68, v34, vcc
	v_ashrrev_i32_e32 v41, 5, v41
	v_cmp_gt_i32_e32 vcc, s7, v40
	v_add_u32_e32 v61, s4, v60
	v_cvt_pkrtz_f16_f32 v64, v74, v75
	v_cvt_pkrtz_f16_f32 v65, v76, v77
	v_cndmask_b32_e32 v40, v68, v41, vcc
	v_ashrrev_i32_e32 v61, 5, v61
	v_cmp_gt_i32_e32 vcc, s7, v60
	s_waitcnt lgkmcnt(2)
	v_mfma_f32_16x16x16_f16 v[50:53], v[72:73], v[22:23], v[50:53]
	s_waitcnt vmcnt(6)
	v_cvt_pk_f32_fp8_e32 v[66:67], v46
	v_cndmask_b32_e32 v60, v68, v61, vcc
	v_cmp_gt_i32_e32 vcc, s7, v58
	v_ashrrev_i32_e32 v35, 31, v34
	v_lshl_add_u64 v[34:35], v[34:35], 2, s[8:9]
	v_cndmask_b32_e32 v68, v68, v69, vcc
	v_ashrrev_i32_e32 v41, 31, v40
	v_ashrrev_i32_e32 v61, 31, v60
	;; [unrolled: 1-line block ×3, first 2 shown]
	v_lshl_add_u64 v[40:41], v[40:41], 2, s[8:9]
	v_lshl_add_u64 v[60:61], v[60:61], 2, s[8:9]
	;; [unrolled: 1-line block ×3, first 2 shown]
	v_mfma_f32_16x16x16_f16 v[50:53], v[64:65], v[24:25], v[50:53]
	v_cvt_pkrtz_f16_f32 v74, v66, v67
	global_load_dword v68, v[34:35], off
	global_load_dword v66, v[40:41], off
	;; [unrolled: 1-line block ×4, first 2 shown]
	v_cvt_pk_f32_fp8_sdwa v[70:71], v46 src0_sel:WORD_1
	v_cvt_pk_f32_fp8_e32 v[40:41], v48
	s_waitcnt vmcnt(9)
	v_cvt_pk_f32_fp8_e32 v[60:61], v36
	s_add_u32 s4, s10, s12
	v_cvt_pkrtz_f16_f32 v75, v70, v71
	v_cvt_pk_f32_fp8_e32 v[70:71], v47
	v_cvt_pk_f32_fp8_sdwa v[46:47], v47 src0_sel:WORD_1
	s_waitcnt lgkmcnt(1)
	v_mfma_f32_16x16x16_f16 v[50:53], v[74:75], v[18:19], v[50:53]
	v_cvt_pkrtz_f16_f32 v34, v70, v71
	v_cvt_pkrtz_f16_f32 v35, v46, v47
	v_cvt_pk_f32_fp8_sdwa v[46:47], v48 src0_sel:WORD_1
	v_cvt_pkrtz_f16_f32 v40, v40, v41
	v_mfma_f32_16x16x16_f16 v[50:53], v[34:35], v[20:21], v[50:53]
	v_cvt_pkrtz_f16_f32 v41, v46, v47
	v_cvt_pk_f32_fp8_e32 v[34:35], v49
	v_cvt_pk_f32_fp8_sdwa v[46:47], v49 src0_sel:WORD_1
	v_cvt_pk_f32_fp8_sdwa v[70:71], v36 src0_sel:WORD_1
	s_addc_u32 s5, s11, 0
	v_cvt_pkrtz_f16_f32 v34, v34, v35
	v_cvt_pkrtz_f16_f32 v35, v46, v47
	s_waitcnt lgkmcnt(0)
	v_mfma_f32_16x16x16_f16 v[46:49], v[40:41], v[14:15], v[50:53]
	v_cvt_pkrtz_f16_f32 v40, v60, v61
	v_cvt_pkrtz_f16_f32 v41, v70, v71
	s_waitcnt vmcnt(8)
	v_cvt_pk_f32_fp8_sdwa v[60:61], v6 src0_sel:WORD_1
	v_cvt_pk_f32_fp8_e32 v[50:51], v37
	v_cvt_pk_f32_fp8_sdwa v[52:53], v37 src0_sel:WORD_1
	v_mfma_f32_16x16x16_f16 v[34:37], v[34:35], v[16:17], v[46:49]
	v_and_b32_e32 v58, 16, v0
	v_cvt_pkrtz_f16_f32 v50, v50, v51
	v_cvt_pkrtz_f16_f32 v51, v52, v53
	v_mfma_f32_16x16x16_f16 v[46:49], v[40:41], v[30:31], 0
	v_cvt_pk_f32_fp8_e32 v[40:41], v38
	v_cvt_pk_f32_fp8_sdwa v[52:53], v38 src0_sel:WORD_1
	v_lshl_or_b32 v64, v57, 4, v56
	v_mfma_f32_16x16x16_f16 v[46:49], v[50:51], v[32:33], v[46:49]
	v_cvt_pk_f32_fp8_e32 v[50:51], v39
	v_cvt_pkrtz_f16_f32 v40, v40, v41
	v_cvt_pkrtz_f16_f32 v41, v52, v53
	v_cvt_pk_f32_fp8_sdwa v[38:39], v39 src0_sel:WORD_1
	v_cvt_pkrtz_f16_f32 v50, v50, v51
	v_cvt_pk_f32_fp8_e32 v[52:53], v6
	s_waitcnt vmcnt(6)
	v_cvt_pk_f32_fp8_e32 v[74:75], v43
	v_cvt_pkrtz_f16_f32 v51, v38, v39
	v_mfma_f32_16x16x16_f16 v[38:41], v[40:41], v[22:23], v[46:49]
	s_nop 2
	v_cvt_pkrtz_f16_f32 v48, v52, v53
	v_cvt_pkrtz_f16_f32 v49, v60, v61
	v_cvt_pk_f32_fp8_e32 v[52:53], v7
	v_cvt_pk_f32_fp8_sdwa v[6:7], v7 src0_sel:WORD_1
	v_mfma_f32_16x16x16_f16 v[38:41], v[50:51], v[24:25], v[38:41]
	v_lshl_add_u64 v[46:47], s[4:5], 0, v[58:59]
	v_cvt_pkrtz_f16_f32 v50, v52, v53
	v_cvt_pkrtz_f16_f32 v51, v6, v7
	v_mfma_f32_16x16x16_f16 v[38:41], v[48:49], v[18:19], v[38:41]
	v_cvt_pk_f32_fp8_e32 v[6:7], v8
	v_cvt_pk_f32_fp8_sdwa v[48:49], v8 src0_sel:WORD_1
	v_cvt_pk_f32_fp8_sdwa v[52:53], v2 src0_sel:WORD_1
	v_mfma_f32_16x16x16_f16 v[38:41], v[50:51], v[20:21], v[38:41]
	v_cvt_pk_f32_fp8_e32 v[50:51], v9
	v_cvt_pkrtz_f16_f32 v6, v6, v7
	v_cvt_pkrtz_f16_f32 v7, v48, v49
	v_cvt_pk_f32_fp8_sdwa v[8:9], v9 src0_sel:WORD_1
	v_cvt_pkrtz_f16_f32 v48, v50, v51
	v_cvt_pk_f32_fp8_e32 v[50:51], v2
	v_lshlrev_b32_e32 v58, 5, v64
	v_cvt_pkrtz_f16_f32 v49, v8, v9
	v_mfma_f32_16x16x16_f16 v[6:9], v[6:7], v[14:15], v[38:41]
	v_cvt_pkrtz_f16_f32 v50, v50, v51
	v_cvt_pkrtz_f16_f32 v51, v52, v53
	v_cvt_pk_f32_fp8_e32 v[52:53], v3
	v_cvt_pk_f32_fp8_sdwa v[2:3], v3 src0_sel:WORD_1
	v_mfma_f32_16x16x16_f16 v[38:41], v[48:49], v[16:17], v[6:9]
	v_lshl_add_u64 v[48:49], v[46:47], 0, v[58:59]
	v_cvt_pkrtz_f16_f32 v52, v52, v53
	v_cvt_pkrtz_f16_f32 v53, v2, v3
	v_mfma_f32_16x16x16_f16 v[6:9], v[50:51], v[30:31], 0
	v_cvt_pk_f32_fp8_e32 v[2:3], v4
	v_cvt_pk_f32_fp8_sdwa v[50:51], v4 src0_sel:WORD_1
	s_waitcnt vmcnt(3)
	v_mad_i64_i32 v[60:61], s[4:5], v68, s45, v[48:49]
	v_cvt_pkrtz_f16_f32 v2, v2, v3
	v_cvt_pkrtz_f16_f32 v3, v50, v51
	v_mfma_f32_16x16x16_f16 v[6:9], v[52:53], v[32:33], v[6:9]
	v_cvt_pk_f32_fp8_e32 v[50:51], v5
	v_cvt_pk_f32_fp8_sdwa v[4:5], v5 src0_sel:WORD_1
	s_waitcnt vmcnt(2)
	v_mad_i64_i32 v[70:71], s[4:5], v66, s45, v[48:49]
	v_cvt_pkrtz_f16_f32 v50, v50, v51
	v_cvt_pkrtz_f16_f32 v51, v4, v5
	v_mfma_f32_16x16x16_f16 v[2:5], v[2:3], v[22:23], v[6:9]
	v_or_b32_e32 v58, 0x800, v58
	s_nop 1
	v_cvt_pk_f32_fp8_e32 v[6:7], v42
	v_cvt_pk_f32_fp8_sdwa v[8:9], v42 src0_sel:WORD_1
	v_cvt_pk_f32_fp8_sdwa v[42:43], v43 src0_sel:WORD_1
	v_mfma_f32_16x16x16_f16 v[50:53], v[50:51], v[24:25], v[2:5]
	v_cvt_pkrtz_f16_f32 v72, v6, v7
	v_cvt_pkrtz_f16_f32 v73, v8, v9
	global_load_dwordx4 v[6:9], v[60:61], off
	global_load_dwordx4 v[2:5], v[70:71], off
	v_cvt_pkrtz_f16_f32 v60, v74, v75
	v_cvt_pkrtz_f16_f32 v61, v42, v43
	v_mfma_f32_16x16x16_f16 v[70:73], v[72:73], v[18:19], v[50:53]
	v_cvt_pk_f32_fp8_e32 v[42:43], v44
	v_cvt_pkrtz_f16_f32 v42, v42, v43
	s_nop 0
	v_cvt_pk_f32_fp8_sdwa v[52:53], v44 src0_sel:WORD_1
	v_mfma_f32_16x16x16_f16 v[70:73], v[60:61], v[20:21], v[70:73]
	v_cvt_pk_f32_fp8_e32 v[60:61], v45
	s_waitcnt vmcnt(3)
	v_mad_i64_i32 v[50:51], s[4:5], v67, s45, v[48:49]
	s_load_dword s4, s[0:1], 0x1c
	s_load_dwordx4 s[40:43], s[0:1], 0x80
	v_cvt_pkrtz_f16_f32 v43, v52, v53
	v_cvt_pkrtz_f16_f32 v74, v60, v61
	v_cvt_pk_f32_fp8_e32 v[52:53], v26
	v_cvt_pk_f32_fp8_sdwa v[60:61], v26 src0_sel:WORD_1
	s_load_dword s33, s[0:1], 0x98
	s_waitcnt lgkmcnt(0)
	s_load_dword s5, s[40:41], 0x0
	v_cvt_pk_f32_fp8_sdwa v[44:45], v45 src0_sel:WORD_1
	v_cvt_pkrtz_f16_f32 v52, v52, v53
	v_cvt_pkrtz_f16_f32 v53, v60, v61
	v_cvt_pk_f32_fp8_e32 v[60:61], v27
	v_cvt_pk_f32_fp8_sdwa v[26:27], v27 src0_sel:WORD_1
	v_cvt_pkrtz_f16_f32 v75, v44, v45
	v_mfma_f32_16x16x16_f16 v[42:45], v[42:43], v[14:15], v[70:73]
	v_cvt_pkrtz_f16_f32 v60, v60, v61
	v_cvt_pkrtz_f16_f32 v61, v26, v27
	v_mov_b32_e32 v26, s4
	v_mfma_f32_16x16x16_f16 v[70:73], v[52:53], v[30:31], 0
	s_waitcnt lgkmcnt(0)
	v_mul_f32_e32 v52, s5, v26
	v_cvt_pk_f32_fp8_e32 v[26:27], v28
	v_cvt_pk_f32_fp8_sdwa v[30:31], v28 src0_sel:WORD_1
	v_mfma_f32_16x16x16_f16 v[70:73], v[60:61], v[32:33], v[70:73]
	v_cvt_pk_f32_fp8_e32 v[32:33], v29
	v_cvt_pk_f32_fp8_sdwa v[28:29], v29 src0_sel:WORD_1
	v_cvt_pkrtz_f16_f32 v26, v26, v27
	v_cvt_pkrtz_f16_f32 v27, v30, v31
	v_mfma_f32_16x16x16_f16 v[42:45], v[74:75], v[16:17], v[42:45]
	v_cvt_pkrtz_f16_f32 v32, v32, v33
	v_cvt_pkrtz_f16_f32 v33, v28, v29
	v_cvt_pk_f32_fp8_e32 v[60:61], v10
	v_cvt_pk_f32_fp8_sdwa v[74:75], v10 src0_sel:WORD_1
	v_mfma_f32_16x16x16_f16 v[26:29], v[26:27], v[22:23], v[70:73]
	v_pk_mul_f32 v[30:31], v[52:53], v[36:37] op_sel_hi:[0,1]
	v_cvt_pkrtz_f16_f32 v36, v60, v61
	v_cvt_pkrtz_f16_f32 v37, v74, v75
	v_cvt_pk_f32_fp8_e32 v[60:61], v11
	v_cvt_pk_f32_fp8_sdwa v[70:71], v11 src0_sel:WORD_1
	v_mfma_f32_16x16x16_f16 v[22:25], v[32:33], v[24:25], v[26:29]
	v_pk_mul_f32 v[10:11], v[52:53], v[34:35] op_sel_hi:[0,1]
	v_cvt_pkrtz_f16_f32 v60, v60, v61
	v_cvt_pkrtz_f16_f32 v61, v70, v71
	v_mfma_f32_16x16x16_f16 v[32:35], v[36:37], v[18:19], v[22:25]
	v_cvt_pk_f32_fp8_e32 v[18:19], v12
	v_cvt_pk_f32_fp8_sdwa v[36:37], v12 src0_sel:WORD_1
	s_waitcnt vmcnt(2)
	v_mad_i64_i32 v[48:49], s[8:9], v65, s45, v[48:49]
	global_load_dwordx4 v[26:29], v[50:51], off
	global_load_dwordx4 v[22:25], v[48:49], off
	v_cvt_pkrtz_f16_f32 v48, v18, v19
	v_cvt_pkrtz_f16_f32 v49, v36, v37
	v_cvt_pk_f32_fp8_e32 v[36:37], v13
	v_cvt_pk_f32_fp8_sdwa v[12:13], v13 src0_sel:WORD_1
	v_mfma_f32_16x16x16_f16 v[18:21], v[60:61], v[20:21], v[32:35]
	v_pk_mul_f32 v[40:41], v[52:53], v[40:41] op_sel_hi:[0,1]
	v_pk_mul_f32 v[42:43], v[52:53], v[42:43] op_sel_hi:[0,1]
	s_mov_b32 s40, 0xff7fffff
	v_cvt_pkrtz_f16_f32 v32, v36, v37
	v_cvt_pkrtz_f16_f32 v33, v12, v13
	v_mfma_f32_16x16x16_f16 v[12:15], v[48:49], v[14:15], v[18:21]
	v_pk_mul_f32 v[48:49], v[52:53], v[38:39] op_sel_hi:[0,1]
	v_pk_mul_f32 v[38:39], v[52:53], v[44:45] op_sel_hi:[0,1]
	v_mfma_f32_16x16x16_f16 v[12:15], v[32:33], v[16:17], v[12:15]
	s_nop 6
	v_pk_mul_f32 v[36:37], v[52:53], v[12:13] op_sel_hi:[0,1]
	v_and_b32_e32 v12, 0xc0, v0
	v_add_u32_e32 v12, s18, v12
	v_lshl_or_b32 v12, v62, 2, v12
	v_or_b32_e32 v13, 1, v12
	v_pk_mul_f32 v[34:35], v[52:53], v[14:15] op_sel_hi:[0,1]
	v_subrev_u32_e32 v14, s7, v13
	v_add_u32_e32 v16, 1, v14
	v_add_u32_e32 v17, 2, v14
	v_cvt_f32_i32_e32 v15, v14
	v_cvt_f32_i32_e32 v16, v16
	;; [unrolled: 1-line block ×3, first 2 shown]
	v_add_u32_e32 v18, 3, v14
	v_fma_f32 v10, v63, v15, v10
	v_fmac_f32_e32 v11, v63, v16
	v_fma_f32 v51, v63, v17, v30
	v_add_u32_e32 v15, 16, v14
	v_add_u32_e32 v16, 17, v14
	;; [unrolled: 1-line block ×3, first 2 shown]
	v_cvt_f32_i32_e32 v18, v18
	v_cvt_f32_i32_e32 v15, v15
	;; [unrolled: 1-line block ×4, first 2 shown]
	v_fmac_f32_e32 v31, v63, v18
	v_add_u32_e32 v18, 19, v14
	v_fma_f32 v48, v63, v15, v48
	v_fmac_f32_e32 v49, v63, v16
	v_fma_f32 v40, v63, v17, v40
	v_add_u32_e32 v15, 32, v14
	v_add_u32_e32 v16, 33, v14
	;; [unrolled: 1-line block ×3, first 2 shown]
	v_cvt_f32_i32_e32 v18, v18
	v_cvt_f32_i32_e32 v15, v15
	;; [unrolled: 1-line block ×4, first 2 shown]
	v_fmac_f32_e32 v41, v63, v18
	v_add_u32_e32 v18, 35, v14
	v_fma_f32 v42, v63, v15, v42
	v_fmac_f32_e32 v43, v63, v16
	v_fma_f32 v38, v63, v17, v38
	v_add_u32_e32 v15, 48, v14
	v_add_u32_e32 v16, 49, v14
	;; [unrolled: 1-line block ×4, first 2 shown]
	v_cvt_f32_i32_e32 v14, v14
	v_cvt_f32_i32_e32 v15, v15
	;; [unrolled: 1-line block ×3, first 2 shown]
	v_cmp_gt_i32_e64 s[8:9], s7, v12
	v_fmac_f32_e32 v35, v63, v14
	v_mov_b32_e32 v14, 0xff7fffff
	v_cmp_gt_i32_e64 s[10:11], s7, v13
	v_fma_f32 v36, v63, v15, v36
	v_cndmask_b32_e64 v15, v14, v10, s[8:9]
	v_cndmask_b32_e64 v13, v14, v11, s[10:11]
	v_fmac_f32_e32 v37, v63, v16
	v_max3_f32 v13, v15, s40, v13
	v_or_b32_e32 v15, 2, v12
	v_or_b32_e32 v16, 3, v12
	v_cmp_gt_i32_e64 s[12:13], s7, v15
	v_cmp_gt_i32_e64 s[14:15], s7, v16
	v_cvt_f32_i32_e32 v18, v18
	v_cndmask_b32_e64 v15, v14, v51, s[12:13]
	v_cndmask_b32_e64 v16, v14, v31, s[14:15]
	v_max3_f32 v13, v13, v15, v16
	v_or_b32_e32 v15, 16, v12
	v_or_b32_e32 v16, 17, v12
	v_cmp_gt_i32_e64 s[16:17], s7, v15
	v_cmp_gt_i32_e64 s[18:19], s7, v16
	v_fmac_f32_e32 v39, v63, v18
	v_cndmask_b32_e64 v15, v14, v48, s[16:17]
	v_cndmask_b32_e64 v16, v14, v49, s[18:19]
	v_max3_f32 v13, v13, v15, v16
	v_or_b32_e32 v15, 18, v12
	v_or_b32_e32 v16, 19, v12
	v_cmp_gt_i32_e64 s[20:21], s7, v15
	v_cmp_gt_i32_e64 s[22:23], s7, v16
	v_cvt_f32_i32_e32 v17, v17
	v_cndmask_b32_e64 v15, v14, v40, s[20:21]
	v_cndmask_b32_e64 v16, v14, v41, s[22:23]
	v_max3_f32 v13, v13, v15, v16
	v_or_b32_e32 v15, 32, v12
	v_or_b32_e32 v16, 33, v12
	v_cmp_gt_i32_e64 s[24:25], s7, v15
	v_cmp_gt_i32_e64 s[26:27], s7, v16
	v_fma_f32 v34, v63, v17, v34
	v_cndmask_b32_e64 v15, v14, v42, s[24:25]
	v_cndmask_b32_e64 v16, v14, v43, s[26:27]
	v_max3_f32 v13, v13, v15, v16
	v_or_b32_e32 v15, 34, v12
	v_or_b32_e32 v16, 35, v12
	v_cmp_gt_i32_e64 s[28:29], s7, v15
	v_cmp_gt_i32_e64 s[30:31], s7, v16
	s_nop 0
	v_cndmask_b32_e64 v15, v14, v38, s[28:29]
	v_cndmask_b32_e64 v16, v14, v39, s[30:31]
	v_max3_f32 v13, v13, v15, v16
	v_or_b32_e32 v15, 48, v12
	v_or_b32_e32 v16, 49, v12
	v_cmp_gt_i32_e64 s[34:35], s7, v15
	v_cmp_gt_i32_e64 s[36:37], s7, v16
	s_nop 0
	v_cndmask_b32_e64 v15, v14, v36, s[34:35]
	v_cndmask_b32_e64 v16, v14, v37, s[36:37]
	v_max3_f32 v13, v13, v15, v16
	v_or_b32_e32 v15, 50, v12
	v_or_b32_e32 v12, 51, v12
	v_cmp_gt_i32_e32 vcc, s7, v15
	v_cmp_gt_i32_e64 s[4:5], s7, v12
	s_nop 0
	v_cndmask_b32_e32 v15, v14, v34, vcc
	v_cndmask_b32_e64 v12, v14, v35, s[4:5]
	v_max3_f32 v16, v13, v15, v12
	v_mbcnt_lo_u32_b32 v12, -1, 0
	v_mbcnt_hi_u32_b32 v17, -1, v12
	v_and_b32_e32 v12, 64, v17
	v_add_u32_e32 v18, 64, v12
	v_xor_b32_e32 v12, 32, v17
	v_cmp_lt_i32_e64 s[38:39], v12, v18
	s_nop 1
	v_cndmask_b32_e64 v12, v17, v12, s[38:39]
	v_lshlrev_b32_e32 v52, 2, v12
	ds_bpermute_b32 v19, v52, v16
	v_lshl_add_u64 v[12:13], v[46:47], 0, v[58:59]
	v_mad_i64_i32 v[14:15], s[38:39], v68, s45, v[12:13]
	s_waitcnt lgkmcnt(0)
	v_max_f32_e32 v19, v19, v19
	v_max_f32_e32 v19, v16, v19
	v_xor_b32_e32 v16, 16, v17
	v_cmp_lt_i32_e64 s[38:39], v16, v18
	s_nop 1
	v_cndmask_b32_e64 v16, v17, v16, s[38:39]
	v_lshlrev_b32_e32 v53, 2, v16
	ds_bpermute_b32 v18, v53, v19
	v_mad_i64_i32 v[16:17], s[38:39], v66, s45, v[12:13]
	v_mad_i64_i32 v[44:45], s[38:39], v67, s45, v[12:13]
	s_waitcnt lgkmcnt(0)
	v_max_f32_e32 v18, v18, v18
	v_max_f32_e32 v50, v19, v18
	v_sub_f32_e32 v10, v10, v50
	v_mul_f32_e32 v10, 0x3fb8aa3b, v10
	v_exp_f32_e32 v18, v10
	v_sub_f32_e32 v10, v11, v50
	v_mul_f32_e32 v10, 0x3fb8aa3b, v10
	v_exp_f32_e32 v19, v10
	v_mad_i64_i32 v[10:11], s[38:39], v65, s45, v[12:13]
	v_sub_f32_e32 v12, v51, v50
	v_mul_f32_e32 v12, 0x3fb8aa3b, v12
	v_cndmask_b32_e64 v46, 0, v18, s[8:9]
	v_cndmask_b32_e64 v47, 0, v19, s[10:11]
	v_sub_f32_e32 v58, v31, v50
	global_load_dwordx4 v[30:33], v[14:15], off
	global_load_dwordx4 v[18:21], v[16:17], off
	v_exp_f32_e32 v51, v12
	global_load_dwordx4 v[14:17], v[44:45], off
	s_nop 0
	global_load_dwordx4 v[10:13], v[10:11], off
	v_sub_f32_e32 v45, v48, v50
	v_sub_f32_e32 v48, v49, v50
	;; [unrolled: 1-line block ×4, first 2 shown]
	v_mul_f32_e32 v44, 0x3fb8aa3b, v58
	v_mul_f32_e32 v45, 0x3fb8aa3b, v45
	v_mul_f32_e32 v48, 0x3fb8aa3b, v48
	v_mul_f32_e32 v40, 0x3fb8aa3b, v40
	v_mul_f32_e32 v42, 0x3fb8aa3b, v42
	v_exp_f32_e32 v44, v44
	v_exp_f32_e32 v45, v45
	;; [unrolled: 1-line block ×3, first 2 shown]
	v_cndmask_b32_e64 v48, 0, v51, s[12:13]
	v_exp_f32_e32 v40, v40
	v_exp_f32_e32 v51, v42
	v_sub_f32_e32 v42, v43, v50
	v_mul_f32_e32 v42, 0x3fb8aa3b, v42
	v_cndmask_b32_e64 v49, 0, v44, s[14:15]
	v_cndmask_b32_e64 v44, 0, v45, s[16:17]
	;; [unrolled: 1-line block ×3, first 2 shown]
	v_sub_f32_e32 v41, v41, v50
	v_exp_f32_e32 v58, v42
	v_cndmask_b32_e64 v42, 0, v40, s[20:21]
	v_cndmask_b32_e64 v40, 0, v51, s[24:25]
	v_add_f32_e32 v51, 0, v46
	v_mul_f32_e32 v41, 0x3fb8aa3b, v41
	v_add_f32_e32 v51, v51, v47
	v_exp_f32_e32 v41, v41
	v_add_f32_e32 v51, v51, v48
	v_sub_f32_e32 v38, v38, v50
	v_add_f32_e32 v51, v51, v49
	v_sub_f32_e32 v39, v39, v50
	v_mul_f32_e32 v38, 0x3fb8aa3b, v38
	v_add_f32_e32 v51, v51, v44
	v_exp_f32_e32 v38, v38
	v_mul_f32_e32 v39, 0x3fb8aa3b, v39
	v_sub_f32_e32 v36, v36, v50
	v_add_f32_e32 v51, v51, v45
	v_cndmask_b32_e64 v43, 0, v41, s[22:23]
	v_exp_f32_e32 v39, v39
	v_mul_f32_e32 v36, 0x3fb8aa3b, v36
	v_sub_f32_e32 v37, v37, v50
	v_add_f32_e32 v51, v51, v42
	v_exp_f32_e32 v36, v36
	v_mul_f32_e32 v37, 0x3fb8aa3b, v37
	v_add_f32_e32 v51, v51, v43
	v_sub_f32_e32 v34, v34, v50
	v_cndmask_b32_e64 v41, 0, v58, s[26:27]
	v_exp_f32_e32 v37, v37
	v_add_f32_e32 v51, v51, v40
	v_mul_f32_e32 v34, 0x3fb8aa3b, v34
	v_sub_f32_e32 v35, v35, v50
	v_cndmask_b32_e64 v38, 0, v38, s[28:29]
	v_add_f32_e32 v51, v51, v41
	v_exp_f32_e32 v34, v34
	v_mul_f32_e32 v35, 0x3fb8aa3b, v35
	v_cndmask_b32_e64 v39, 0, v39, s[30:31]
	v_add_f32_e32 v51, v51, v38
	v_exp_f32_e32 v35, v35
	v_cndmask_b32_e64 v36, 0, v36, s[34:35]
	v_add_f32_e32 v51, v51, v39
	v_cndmask_b32_e64 v37, 0, v37, s[36:37]
	v_add_f32_e32 v51, v51, v36
	v_add_f32_e32 v51, v51, v37
	v_cndmask_b32_e32 v34, 0, v34, vcc
	v_add_f32_e32 v51, v51, v34
	v_cndmask_b32_e64 v35, 0, v35, s[4:5]
	v_add_f32_e32 v51, v51, v35
	ds_bpermute_b32 v52, v52, v51
	v_cmp_gt_u32_e64 s[4:5], 16, v55
	s_waitcnt lgkmcnt(0)
	s_barrier
	v_add_f32_e32 v51, v51, v52
	ds_bpermute_b32 v52, v53, v51
	s_and_saveexec_b64 s[8:9], s[4:5]
	s_cbranch_execz .LBB1052_15
; %bb.14:
	s_waitcnt lgkmcnt(0)
	v_add_f32_e32 v51, v51, v52
	v_lshlrev_b32_e32 v52, 2, v64
	ds_write2st64_b32 v52, v50, v51 offset1:1
.LBB1052_15:
	s_or_b64 exec, exec, s[8:9]
	v_lshlrev_b32_e32 v51, 2, v56
	s_load_dword s7, s[0:1], 0x94
	s_waitcnt lgkmcnt(0)
	s_barrier
	ds_read2_b32 v[52:53], v51 offset1:16
	ds_read2_b32 v[58:59], v51 offset0:32 offset1:48
	ds_read2_b32 v[60:61], v51 offset0:64 offset1:80
	s_mul_i32 s10, s33, 5
	s_waitcnt lgkmcnt(2)
	v_max3_f32 v50, v52, s40, v53
	s_waitcnt lgkmcnt(1)
	v_max3_f32 v50, v50, v58, v59
	v_sub_f32_e32 v52, v52, v50
	v_mul_f32_e32 v52, 0x3fb8aa3b, v52
	v_exp_f32_e32 v55, v52
	v_sub_f32_e32 v52, v53, v50
	v_mul_f32_e32 v52, 0x3fb8aa3b, v52
	v_exp_f32_e32 v63, v52
	;; [unrolled: 3-line block ×3, first 2 shown]
	ds_read2_b32 v[52:53], v51 offset0:96 offset1:112
	v_sub_f32_e32 v51, v59, v50
	v_mul_f32_e32 v51, 0x3fb8aa3b, v51
	v_exp_f32_e32 v59, v51
	s_waitcnt lgkmcnt(1)
	v_fma_f32 v51, v55, v60, 0
	v_fmac_f32_e32 v51, v63, v61
	s_waitcnt lgkmcnt(0)
	v_fmac_f32_e32 v51, v58, v52
	v_fmac_f32_e32 v51, v59, v53
	v_add_f32_e32 v52, 0x358637bd, v51
	v_div_scale_f32 v53, s[8:9], v52, v52, 1.0
	v_rcp_f32_e32 v60, v53
	s_barrier
	v_fma_f32 v61, -v53, v60, 1.0
	v_fmac_f32_e32 v60, v61, v60
	v_div_scale_f32 v61, vcc, 1.0, v52, 1.0
	v_mul_f32_e32 v64, v61, v60
	v_fma_f32 v65, -v53, v64, v61
	v_fmac_f32_e32 v64, v65, v60
	v_fma_f32 v53, -v53, v64, v61
	v_div_fmas_f32 v53, v53, v60, v64
	v_cmp_eq_u32_e32 vcc, 1, v57
	v_div_fixup_f32 v52, v53, v52, 1.0
	s_nop 0
	v_cndmask_b32_e32 v53, v55, v63, vcc
	v_cmp_eq_u32_e32 vcc, 2, v57
	s_nop 1
	v_cndmask_b32_e32 v53, v53, v58, vcc
	v_cmp_eq_u32_e32 vcc, 3, v57
	s_nop 1
	v_cndmask_b32_e32 v53, v53, v59, vcc
	v_mul_f32_e32 v52, v53, v52
	v_pk_mul_f32 v[48:49], v[52:53], v[48:49] op_sel_hi:[0,1]
	v_pk_mul_f32 v[46:47], v[52:53], v[46:47] op_sel_hi:[0,1]
	v_cvt_f16_f32_e32 v53, v48
	v_cvt_f16_f32_e32 v49, v49
	;; [unrolled: 1-line block ×4, first 2 shown]
	v_pk_mul_f32 v[42:43], v[52:53], v[42:43] op_sel_hi:[0,1]
	v_pk_mul_f32 v[44:45], v[52:53], v[44:45] op_sel_hi:[0,1]
	v_pack_b32_f16 v49, v53, v49
	v_cvt_f16_f32_e32 v44, v44
	v_cvt_f16_f32_e32 v45, v45
	;; [unrolled: 1-line block ×4, first 2 shown]
	v_pack_b32_f16 v48, v46, v47
	v_lshlrev_b32_e32 v47, 3, v62
	v_lshlrev_b32_e32 v46, 5, v56
	;; [unrolled: 1-line block ×3, first 2 shown]
	v_or3_b32 v55, v42, v46, v47
	v_pack_b32_f16 v42, v44, v45
	v_pack_b32_f16 v43, v53, v43
	v_pk_mul_f32 v[38:39], v[52:53], v[38:39] op_sel_hi:[0,1]
	v_pk_mul_f32 v[40:41], v[52:53], v[40:41] op_sel_hi:[0,1]
	;; [unrolled: 1-line block ×4, first 2 shown]
	ds_write2st64_b64 v55, v[48:49], v[42:43] offset1:1
	v_cvt_f16_f32_e32 v40, v40
	v_cvt_f16_f32_e32 v41, v41
	v_cvt_f16_f32_e32 v38, v38
	v_cvt_f16_f32_e32 v39, v39
	v_cvt_f16_f32_e32 v36, v36
	v_cvt_f16_f32_e32 v37, v37
	v_cvt_f16_f32_e32 v42, v34
	v_cvt_f16_f32_e32 v43, v35
	v_pack_b32_f16 v34, v40, v41
	v_pack_b32_f16 v35, v38, v39
	;; [unrolled: 1-line block ×4, first 2 shown]
	v_cmp_gt_u32_e32 vcc, 5, v0
	ds_write2st64_b64 v55, v[34:35], v[36:37] offset0:2 offset1:3
	s_and_saveexec_b64 s[8:9], vcc
	s_cbranch_execz .LBB1052_17
; %bb.16:
	s_mov_b32 s49, 0
	v_mov_b32_e32 v57, 0
	v_lshl_add_u64 v[34:35], s[48:49], 0, v[56:57]
	v_mov_b32_e32 v36, s10
	v_mad_u64_u32 v[34:35], s[16:17], s2, v36, v[34:35]
	s_mul_i32 s3, s3, s10
	v_mov_b32_e32 v36, s6
	v_mov_b32_e32 v37, v57
	s_load_dwordx4 s[12:15], s[0:1], 0x58
	v_add_u32_e32 v38, s3, v35
	v_mad_u64_u32 v[34:35], s[16:17], v34, s7, v[36:37]
	v_mov_b32_e32 v36, v35
	v_mad_u64_u32 v[36:37], s[16:17], v38, s7, v[36:37]
	v_mov_b32_e32 v35, v36
	v_lshlrev_b64 v[34:35], 2, v[34:35]
	s_waitcnt lgkmcnt(0)
	v_lshl_add_u64 v[36:37], s[14:15], 0, v[34:35]
	v_lshl_add_u64 v[34:35], s[12:13], 0, v[34:35]
	global_store_dword v[36:37], v50, off
	global_store_dword v[34:35], v51, off
.LBB1052_17:
	s_or_b64 exec, exec, s[8:9]
	s_waitcnt vmcnt(7)
	v_cvt_pk_f32_fp8_e32 v[34:35], v6
	v_cvt_pk_f32_fp8_sdwa v[36:37], v6 src0_sel:WORD_1
	v_lshl_or_b32 v50, v62, 9, v46
	s_waitcnt lgkmcnt(0)
	s_barrier
	v_cvt_pk_f32_fp8_e32 v[38:39], v7
	v_cvt_pkrtz_f16_f32 v6, v34, v35
	v_cvt_pk_f32_fp8_sdwa v[40:41], v7 src0_sel:WORD_1
	v_cvt_pkrtz_f16_f32 v7, v36, v37
	ds_read_b128 v[34:37], v50
	v_cvt_pkrtz_f16_f32 v46, v38, v39
	v_cvt_pkrtz_f16_f32 v47, v40, v41
	ds_read_b128 v[38:41], v50 offset:16
	v_cvt_pk_f32_fp8_e32 v[48:49], v8
	v_cvt_pk_f32_fp8_sdwa v[52:53], v8 src0_sel:WORD_1
	s_waitcnt lgkmcnt(1)
	v_mfma_f32_16x16x16_f16 v[42:45], v[6:7], v[34:35], 0
	s_waitcnt vmcnt(6)
	v_cvt_pk_f32_fp8_e32 v[58:59], v4
	v_cvt_pkrtz_f16_f32 v6, v48, v49
	v_cvt_pkrtz_f16_f32 v7, v52, v53
	v_cvt_pk_f32_fp8_e32 v[48:49], v9
	v_mfma_f32_16x16x16_f16 v[42:45], v[46:47], v[36:37], v[42:45]
	v_cvt_pk_f32_fp8_sdwa v[46:47], v9 src0_sel:WORD_1
	v_cvt_pk_f32_fp8_sdwa v[60:61], v4 src0_sel:WORD_1
	v_cvt_pkrtz_f16_f32 v48, v48, v49
	s_waitcnt lgkmcnt(0)
	v_mfma_f32_16x16x16_f16 v[6:9], v[6:7], v[38:39], v[42:45]
	v_cvt_pkrtz_f16_f32 v49, v46, v47
	s_waitcnt vmcnt(5)
	v_cvt_pk_f32_fp8_e32 v[64:65], v28
	v_cvt_pk_f32_fp8_sdwa v[66:67], v28 src0_sel:WORD_1
	v_cvt_pk_f32_fp8_e32 v[42:43], v2
	v_mfma_f32_16x16x16_f16 v[46:49], v[48:49], v[40:41], v[6:9]
	s_waitcnt vmcnt(4)
	v_cvt_pk_f32_fp8_sdwa v[68:69], v24 src0_sel:WORD_1
	s_load_dword s8, s[42:43], 0x0
	v_cvt_pk_f32_fp8_sdwa v[6:7], v2 src0_sel:WORD_1
	v_cvt_pk_f32_fp8_e32 v[8:9], v3
	v_cvt_pkrtz_f16_f32 v2, v42, v43
	v_cvt_pk_f32_fp8_sdwa v[42:43], v3 src0_sel:WORD_1
	v_cvt_pkrtz_f16_f32 v3, v6, v7
	v_cvt_pkrtz_f16_f32 v52, v8, v9
	ds_read_b128 v[6:9], v50 offset:2048
	v_cvt_pkrtz_f16_f32 v53, v42, v43
	ds_read_b128 v[42:45], v50 offset:2064
	s_waitcnt lgkmcnt(0)
	v_mfma_f32_16x16x16_f16 v[46:49], v[2:3], v[6:7], v[46:49]
	v_cvt_pkrtz_f16_f32 v2, v58, v59
	v_cvt_pkrtz_f16_f32 v3, v60, v61
	v_cvt_pk_f32_fp8_e32 v[58:59], v5
	v_mfma_f32_16x16x16_f16 v[46:49], v[52:53], v[8:9], v[46:49]
	v_cvt_pk_f32_fp8_sdwa v[52:53], v5 src0_sel:WORD_1
	s_mov_b32 s3, 0
	v_cvt_pkrtz_f16_f32 v58, v58, v59
	v_mfma_f32_16x16x16_f16 v[2:5], v[2:3], v[42:43], v[46:49]
	v_cvt_pkrtz_f16_f32 v59, v52, v53
	v_cmp_gt_u32_e32 vcc, 64, v0
	s_nop 0
	v_cvt_pk_f32_fp8_e32 v[46:47], v26
	v_mfma_f32_16x16x16_f16 v[58:61], v[58:59], v[44:45], v[2:5]
	s_nop 2
	v_cvt_pk_f32_fp8_sdwa v[2:3], v26 src0_sel:WORD_1
	v_cvt_pk_f32_fp8_e32 v[4:5], v27
	v_cvt_pkrtz_f16_f32 v26, v46, v47
	v_cvt_pk_f32_fp8_sdwa v[46:47], v27 src0_sel:WORD_1
	v_cvt_pkrtz_f16_f32 v27, v2, v3
	v_cvt_pkrtz_f16_f32 v52, v4, v5
	ds_read_b128 v[2:5], v50 offset:4096
	v_cvt_pkrtz_f16_f32 v53, v46, v47
	ds_read_b128 v[46:49], v50 offset:4112
	s_waitcnt lgkmcnt(1)
	v_mfma_f32_16x16x16_f16 v[58:61], v[26:27], v[2:3], v[58:61]
	v_cvt_pkrtz_f16_f32 v26, v64, v65
	v_cvt_pkrtz_f16_f32 v27, v66, v67
	v_cvt_pk_f32_fp8_e32 v[64:65], v29
	v_mfma_f32_16x16x16_f16 v[58:61], v[52:53], v[4:5], v[58:61]
	v_cvt_pk_f32_fp8_sdwa v[52:53], v29 src0_sel:WORD_1
	v_cvt_pk_f32_fp8_e32 v[66:67], v24
	v_cvt_pkrtz_f16_f32 v64, v64, v65
	s_waitcnt lgkmcnt(0)
	v_mfma_f32_16x16x16_f16 v[26:29], v[26:27], v[46:47], v[58:61]
	v_cvt_pkrtz_f16_f32 v65, v52, v53
	v_cvt_pk_f32_fp8_e32 v[52:53], v22
	s_nop 0
	v_mfma_f32_16x16x16_f16 v[58:61], v[64:65], v[48:49], v[26:29]
	s_nop 2
	v_cvt_pk_f32_fp8_sdwa v[26:27], v22 src0_sel:WORD_1
	v_cvt_pk_f32_fp8_e32 v[28:29], v23
	v_cvt_pkrtz_f16_f32 v22, v52, v53
	v_cvt_pk_f32_fp8_sdwa v[52:53], v23 src0_sel:WORD_1
	v_cvt_pkrtz_f16_f32 v23, v26, v27
	v_cvt_pkrtz_f16_f32 v64, v28, v29
	ds_read_b128 v[26:29], v50 offset:6144
	v_cvt_pkrtz_f16_f32 v65, v52, v53
	s_waitcnt lgkmcnt(0)
	v_mfma_f32_16x16x16_f16 v[58:61], v[22:23], v[26:27], v[58:61]
	ds_read_b128 v[50:53], v50 offset:6160
	v_cvt_pkrtz_f16_f32 v22, v66, v67
	v_cvt_pkrtz_f16_f32 v23, v68, v69
	v_mfma_f32_16x16x16_f16 v[58:61], v[64:65], v[28:29], v[58:61]
	v_cvt_pk_f32_fp8_e32 v[66:67], v25
	v_cvt_pk_f32_fp8_sdwa v[64:65], v25 src0_sel:WORD_1
	s_waitcnt vmcnt(3)
	v_cvt_pk_f32_fp8_sdwa v[68:69], v32 src0_sel:WORD_1
	s_waitcnt lgkmcnt(0)
	v_mfma_f32_16x16x16_f16 v[22:25], v[22:23], v[50:51], v[58:61]
	v_cvt_pkrtz_f16_f32 v66, v66, v67
	v_cvt_pkrtz_f16_f32 v67, v64, v65
	v_cvt_pk_f32_fp8_e32 v[64:65], v31
	v_cvt_pk_f32_fp8_e32 v[58:59], v30
	v_cvt_pk_f32_fp8_sdwa v[60:61], v30 src0_sel:WORD_1
	v_cvt_pk_f32_fp8_sdwa v[30:31], v31 src0_sel:WORD_1
	v_mfma_f32_16x16x16_f16 v[22:25], v[66:67], v[52:53], v[22:25]
	v_cvt_pkrtz_f16_f32 v58, v58, v59
	v_cvt_pkrtz_f16_f32 v59, v60, v61
	;; [unrolled: 1-line block ×3, first 2 shown]
	v_cvt_pk_f32_fp8_e32 v[66:67], v32
	v_cvt_pkrtz_f16_f32 v65, v30, v31
	v_mfma_f32_16x16x16_f16 v[58:61], v[58:59], v[34:35], 0
	v_cvt_pkrtz_f16_f32 v30, v66, v67
	v_cvt_pkrtz_f16_f32 v31, v68, v69
	v_cvt_pk_f32_fp8_e32 v[66:67], v33
	v_mfma_f32_16x16x16_f16 v[34:37], v[64:65], v[36:37], v[58:61]
	s_barrier
	s_nop 1
	v_cvt_pk_f32_fp8_sdwa v[58:59], v33 src0_sel:WORD_1
	v_cvt_pkrtz_f16_f32 v60, v66, v67
	v_mfma_f32_16x16x16_f16 v[30:33], v[30:31], v[38:39], v[34:37]
	s_waitcnt vmcnt(2)
	v_cvt_pk_f32_fp8_e32 v[38:39], v19
	v_cvt_pkrtz_f16_f32 v61, v58, v59
	v_cvt_pk_f32_fp8_e32 v[34:35], v18
	v_cvt_pk_f32_fp8_sdwa v[36:37], v18 src0_sel:WORD_1
	v_cvt_pk_f32_fp8_sdwa v[18:19], v19 src0_sel:WORD_1
	v_mfma_f32_16x16x16_f16 v[30:33], v[60:61], v[40:41], v[30:33]
	v_cvt_pkrtz_f16_f32 v34, v34, v35
	v_cvt_pkrtz_f16_f32 v35, v36, v37
	;; [unrolled: 1-line block ×3, first 2 shown]
	v_cvt_pk_f32_fp8_e32 v[38:39], v20
	v_cvt_pk_f32_fp8_sdwa v[40:41], v20 src0_sel:WORD_1
	v_cvt_pkrtz_f16_f32 v37, v18, v19
	v_mfma_f32_16x16x16_f16 v[30:33], v[34:35], v[6:7], v[30:33]
	v_cvt_pkrtz_f16_f32 v18, v38, v39
	v_cvt_pkrtz_f16_f32 v19, v40, v41
	v_cvt_pk_f32_fp8_e32 v[34:35], v21
	v_cvt_pk_f32_fp8_sdwa v[20:21], v21 src0_sel:WORD_1
	v_mfma_f32_16x16x16_f16 v[6:9], v[36:37], v[8:9], v[30:33]
	s_nop 2
	v_cvt_pkrtz_f16_f32 v30, v34, v35
	v_cvt_pkrtz_f16_f32 v31, v20, v21
	v_mfma_f32_16x16x16_f16 v[6:9], v[18:19], v[42:43], v[6:9]
	s_waitcnt vmcnt(1)
	v_cvt_pk_f32_fp8_e32 v[18:19], v14
	v_cvt_pk_f32_fp8_sdwa v[20:21], v14 src0_sel:WORD_1
	v_cvt_pk_f32_fp8_sdwa v[32:33], v16 src0_sel:WORD_1
	v_mfma_f32_16x16x16_f16 v[6:9], v[30:31], v[44:45], v[6:9]
	v_cvt_pk_f32_fp8_e32 v[30:31], v15
	v_cvt_pkrtz_f16_f32 v18, v18, v19
	v_cvt_pkrtz_f16_f32 v19, v20, v21
	v_cvt_pk_f32_fp8_sdwa v[14:15], v15 src0_sel:WORD_1
	v_cvt_pkrtz_f16_f32 v20, v30, v31
	v_cvt_pk_f32_fp8_e32 v[30:31], v16
	v_mfma_f32_16x16x16_f16 v[6:9], v[18:19], v[2:3], v[6:9]
	v_cvt_pkrtz_f16_f32 v21, v14, v15
	v_cvt_pkrtz_f16_f32 v14, v30, v31
	;; [unrolled: 1-line block ×3, first 2 shown]
	v_cvt_pk_f32_fp8_e32 v[18:19], v17
	v_cvt_pk_f32_fp8_sdwa v[16:17], v17 src0_sel:WORD_1
	v_mfma_f32_16x16x16_f16 v[2:5], v[20:21], v[4:5], v[6:9]
	s_waitcnt vmcnt(0)
	v_cvt_pk_f32_fp8_sdwa v[20:21], v12 src0_sel:WORD_1
	s_nop 0
	v_cvt_pkrtz_f16_f32 v8, v18, v19
	v_cvt_pkrtz_f16_f32 v9, v16, v17
	v_mfma_f32_16x16x16_f16 v[2:5], v[14:15], v[46:47], v[2:5]
	v_cvt_pk_f32_fp8_e32 v[16:17], v10
	v_cvt_pk_f32_fp8_sdwa v[18:19], v10 src0_sel:WORD_1
	v_pk_mul_f32 v[6:7], v[24:25], s[8:9] op_sel_hi:[1,0]
	v_mfma_f32_16x16x16_f16 v[2:5], v[8:9], v[48:49], v[2:5]
	v_cvt_pk_f32_fp8_e32 v[8:9], v11
	v_cvt_pkrtz_f16_f32 v16, v16, v17
	v_cvt_pkrtz_f16_f32 v17, v18, v19
	v_cvt_pk_f32_fp8_sdwa v[10:11], v11 src0_sel:WORD_1
	v_cvt_pkrtz_f16_f32 v8, v8, v9
	v_cvt_pk_f32_fp8_e32 v[18:19], v12
	v_mfma_f32_16x16x16_f16 v[2:5], v[16:17], v[26:27], v[2:5]
	v_cvt_pkrtz_f16_f32 v9, v10, v11
	v_cvt_pkrtz_f16_f32 v10, v18, v19
	;; [unrolled: 1-line block ×3, first 2 shown]
	v_cvt_pk_f32_fp8_e32 v[16:17], v13
	v_cvt_pk_f32_fp8_sdwa v[12:13], v13 src0_sel:WORD_1
	v_mfma_f32_16x16x16_f16 v[2:5], v[8:9], v[28:29], v[2:5]
	v_pk_mul_f32 v[14:15], v[22:23], s[8:9] op_sel_hi:[1,0]
	v_cvt_pkrtz_f16_f32 v8, v16, v17
	v_cvt_pkrtz_f16_f32 v9, v12, v13
	v_mfma_f32_16x16x16_f16 v[2:5], v[10:11], v[50:51], v[2:5]
	v_cvt_f16_f32_e32 v14, v14
	v_cvt_f16_f32_e32 v10, v15
	;; [unrolled: 1-line block ×3, first 2 shown]
	v_mfma_f32_16x16x16_f16 v[2:5], v[8:9], v[52:53], v[2:5]
	v_cvt_f16_f32_e32 v7, v7
	s_nop 5
	v_pk_mul_f32 v[4:5], v[4:5], s[8:9] op_sel_hi:[1,0]
	v_pk_mul_f32 v[2:3], v[2:3], s[8:9] op_sel_hi:[1,0]
	v_cvt_f16_f32_e32 v11, v4
	v_cvt_f16_f32_e32 v8, v2
	;; [unrolled: 1-line block ×4, first 2 shown]
	v_pack_b32_f16 v2, v14, v10
	v_pack_b32_f16 v3, v6, v7
	;; [unrolled: 1-line block ×4, first 2 shown]
	ds_write2st64_b64 v55, v[2:3], v[4:5] offset1:1
	s_waitcnt lgkmcnt(0)
	s_barrier
	s_and_saveexec_b64 s[8:9], vcc
	s_cbranch_execz .LBB1052_20
; %bb.18:
	s_load_dwordx2 s[8:9], s[0:1], 0x68
	s_lshl_b32 s0, s7, 7
	s_mul_i32 s1, s10, s2
	v_lshlrev_b32_e32 v3, 6, v56
	s_mul_hi_u32 s11, s1, s0
	s_mul_i32 s10, s1, s0
	v_lshl_or_b32 v0, v0, 10, v3
	s_lshl_b64 s[10:11], s[10:11], 1
	v_lshlrev_b32_e32 v2, 5, v62
	v_and_b32_e32 v1, 16, v1
	v_and_b32_e32 v0, 0x1a00, v0
	s_waitcnt lgkmcnt(0)
	s_add_u32 s1, s8, s10
	v_or3_b32 v2, v0, v2, v1
	s_addc_u32 s7, s9, s11
	s_lshl_b32 s2, s6, 7
	s_lshl_b64 s[2:3], s[2:3], 1
	ds_read_b128 v[4:7], v2
	s_add_u32 s2, s1, s2
	s_addc_u32 s3, s7, s3
	v_mov_b32_e32 v55, 0
	v_add_u32_e32 v3, s48, v62
	v_lshl_add_u64 v[0:1], s[2:3], 0, v[54:55]
	v_mad_u64_u32 v[8:9], s[2:3], v3, s0, 0
	v_lshl_add_u64 v[8:9], v[8:9], 1, v[0:1]
	s_waitcnt lgkmcnt(0)
	global_store_dwordx4 v[8:9], v[4:7], off
	s_and_b64 exec, exec, s[4:5]
	s_cbranch_execz .LBB1052_20
; %bb.19:
	ds_read_b128 v[2:5], v2 offset:128
	v_add3_u32 v6, s48, v62, 4
	v_mad_u64_u32 v[6:7], s[0:1], v6, s0, 0
	v_lshl_add_u64 v[0:1], v[6:7], 1, v[0:1]
	s_waitcnt lgkmcnt(0)
	global_store_dwordx4 v[0:1], v[2:5], off
.LBB1052_20:
	s_endpgm
	.section	.rodata,"a",@progbits
	.p2align	6, 0x0
	.amdhsa_kernel _Z39paged_attention_ll4mi_QKV_mfma16_kernelIDF16_hLN4vllm18Fp8KVCacheDataTypeE1EDF16_Li32ELi128ELi256ELb1ELi5EEvPKT_PKT0_S7_ifPKiS9_S9_iPKfiiiPfSC_PS2_PT2_iSB_SB_
		.amdhsa_group_segment_fixed_size 8192
		.amdhsa_private_segment_fixed_size 0
		.amdhsa_kernarg_size 400
		.amdhsa_user_sgpr_count 2
		.amdhsa_user_sgpr_dispatch_ptr 0
		.amdhsa_user_sgpr_queue_ptr 0
		.amdhsa_user_sgpr_kernarg_segment_ptr 1
		.amdhsa_user_sgpr_dispatch_id 0
		.amdhsa_user_sgpr_kernarg_preload_length 0
		.amdhsa_user_sgpr_kernarg_preload_offset 0
		.amdhsa_user_sgpr_private_segment_size 0
		.amdhsa_uses_dynamic_stack 0
		.amdhsa_enable_private_segment 0
		.amdhsa_system_sgpr_workgroup_id_x 1
		.amdhsa_system_sgpr_workgroup_id_y 1
		.amdhsa_system_sgpr_workgroup_id_z 1
		.amdhsa_system_sgpr_workgroup_info 0
		.amdhsa_system_vgpr_workitem_id 0
		.amdhsa_next_free_vgpr 78
		.amdhsa_next_free_sgpr 50
		.amdhsa_accum_offset 80
		.amdhsa_reserve_vcc 1
		.amdhsa_float_round_mode_32 0
		.amdhsa_float_round_mode_16_64 0
		.amdhsa_float_denorm_mode_32 3
		.amdhsa_float_denorm_mode_16_64 3
		.amdhsa_dx10_clamp 1
		.amdhsa_ieee_mode 1
		.amdhsa_fp16_overflow 0
		.amdhsa_tg_split 0
		.amdhsa_exception_fp_ieee_invalid_op 0
		.amdhsa_exception_fp_denorm_src 0
		.amdhsa_exception_fp_ieee_div_zero 0
		.amdhsa_exception_fp_ieee_overflow 0
		.amdhsa_exception_fp_ieee_underflow 0
		.amdhsa_exception_fp_ieee_inexact 0
		.amdhsa_exception_int_div_zero 0
	.end_amdhsa_kernel
	.section	.text._Z39paged_attention_ll4mi_QKV_mfma16_kernelIDF16_hLN4vllm18Fp8KVCacheDataTypeE1EDF16_Li32ELi128ELi256ELb1ELi5EEvPKT_PKT0_S7_ifPKiS9_S9_iPKfiiiPfSC_PS2_PT2_iSB_SB_,"axG",@progbits,_Z39paged_attention_ll4mi_QKV_mfma16_kernelIDF16_hLN4vllm18Fp8KVCacheDataTypeE1EDF16_Li32ELi128ELi256ELb1ELi5EEvPKT_PKT0_S7_ifPKiS9_S9_iPKfiiiPfSC_PS2_PT2_iSB_SB_,comdat
.Lfunc_end1052:
	.size	_Z39paged_attention_ll4mi_QKV_mfma16_kernelIDF16_hLN4vllm18Fp8KVCacheDataTypeE1EDF16_Li32ELi128ELi256ELb1ELi5EEvPKT_PKT0_S7_ifPKiS9_S9_iPKfiiiPfSC_PS2_PT2_iSB_SB_, .Lfunc_end1052-_Z39paged_attention_ll4mi_QKV_mfma16_kernelIDF16_hLN4vllm18Fp8KVCacheDataTypeE1EDF16_Li32ELi128ELi256ELb1ELi5EEvPKT_PKT0_S7_ifPKiS9_S9_iPKfiiiPfSC_PS2_PT2_iSB_SB_
                                        ; -- End function
	.section	.AMDGPU.csdata,"",@progbits
; Kernel info:
; codeLenInByte = 6356
; NumSgprs: 56
; NumVgprs: 78
; NumAgprs: 0
; TotalNumVgprs: 78
; ScratchSize: 0
; MemoryBound: 0
; FloatMode: 240
; IeeeMode: 1
; LDSByteSize: 8192 bytes/workgroup (compile time only)
; SGPRBlocks: 6
; VGPRBlocks: 9
; NumSGPRsForWavesPerEU: 56
; NumVGPRsForWavesPerEU: 78
; AccumOffset: 80
; Occupancy: 6
; WaveLimiterHint : 1
; COMPUTE_PGM_RSRC2:SCRATCH_EN: 0
; COMPUTE_PGM_RSRC2:USER_SGPR: 2
; COMPUTE_PGM_RSRC2:TRAP_HANDLER: 0
; COMPUTE_PGM_RSRC2:TGID_X_EN: 1
; COMPUTE_PGM_RSRC2:TGID_Y_EN: 1
; COMPUTE_PGM_RSRC2:TGID_Z_EN: 1
; COMPUTE_PGM_RSRC2:TIDIG_COMP_CNT: 0
; COMPUTE_PGM_RSRC3_GFX90A:ACCUM_OFFSET: 19
; COMPUTE_PGM_RSRC3_GFX90A:TG_SPLIT: 0
	.section	.text._Z39paged_attention_ll4mi_QKV_mfma16_kernelIDF16_hLN4vllm18Fp8KVCacheDataTypeE1EDF16_Li32ELi128ELi256ELb1ELi6EEvPKT_PKT0_S7_ifPKiS9_S9_iPKfiiiPfSC_PS2_PT2_iSB_SB_,"axG",@progbits,_Z39paged_attention_ll4mi_QKV_mfma16_kernelIDF16_hLN4vllm18Fp8KVCacheDataTypeE1EDF16_Li32ELi128ELi256ELb1ELi6EEvPKT_PKT0_S7_ifPKiS9_S9_iPKfiiiPfSC_PS2_PT2_iSB_SB_,comdat
	.protected	_Z39paged_attention_ll4mi_QKV_mfma16_kernelIDF16_hLN4vllm18Fp8KVCacheDataTypeE1EDF16_Li32ELi128ELi256ELb1ELi6EEvPKT_PKT0_S7_ifPKiS9_S9_iPKfiiiPfSC_PS2_PT2_iSB_SB_ ; -- Begin function _Z39paged_attention_ll4mi_QKV_mfma16_kernelIDF16_hLN4vllm18Fp8KVCacheDataTypeE1EDF16_Li32ELi128ELi256ELb1ELi6EEvPKT_PKT0_S7_ifPKiS9_S9_iPKfiiiPfSC_PS2_PT2_iSB_SB_
	.globl	_Z39paged_attention_ll4mi_QKV_mfma16_kernelIDF16_hLN4vllm18Fp8KVCacheDataTypeE1EDF16_Li32ELi128ELi256ELb1ELi6EEvPKT_PKT0_S7_ifPKiS9_S9_iPKfiiiPfSC_PS2_PT2_iSB_SB_
	.p2align	8
	.type	_Z39paged_attention_ll4mi_QKV_mfma16_kernelIDF16_hLN4vllm18Fp8KVCacheDataTypeE1EDF16_Li32ELi128ELi256ELb1ELi6EEvPKT_PKT0_S7_ifPKiS9_S9_iPKfiiiPfSC_PS2_PT2_iSB_SB_,@function
_Z39paged_attention_ll4mi_QKV_mfma16_kernelIDF16_hLN4vllm18Fp8KVCacheDataTypeE1EDF16_Li32ELi128ELi256ELb1ELi6EEvPKT_PKT0_S7_ifPKiS9_S9_iPKfiiiPfSC_PS2_PT2_iSB_SB_: ; @_Z39paged_attention_ll4mi_QKV_mfma16_kernelIDF16_hLN4vllm18Fp8KVCacheDataTypeE1EDF16_Li32ELi128ELi256ELb1ELi6EEvPKT_PKT0_S7_ifPKiS9_S9_iPKfiiiPfSC_PS2_PT2_iSB_SB_
; %bb.0:
	s_load_dwordx2 s[10:11], s[0:1], 0x30
	s_mov_b32 s6, s3
	s_mov_b64 s[8:9], 0
	s_waitcnt lgkmcnt(0)
	s_cmp_lg_u64 s[10:11], 0
	s_cselect_b64 s[12:13], -1, 0
	s_and_b64 vcc, exec, s[12:13]
	s_cbranch_vccz .LBB1053_7
; %bb.1:
	s_add_i32 s14, s2, 1
	s_mov_b32 s15, 0
	s_lshl_b64 s[16:17], s[14:15], 2
	s_add_u32 s16, s10, s16
	s_mov_b32 s3, s15
	s_addc_u32 s17, s11, s17
	s_lshl_b64 s[14:15], s[2:3], 2
	s_add_u32 s14, s10, s14
	s_addc_u32 s15, s11, s15
	s_load_dword s5, s[16:17], 0x0
	s_load_dword s7, s[14:15], 0x0
	s_waitcnt lgkmcnt(0)
	s_sub_i32 s5, s5, s7
	s_cmp_eq_u32 s5, 1
	s_cselect_b64 s[14:15], -1, 0
	s_andn2_b64 vcc, exec, s[8:9]
	s_cbranch_vccnz .LBB1053_3
.LBB1053_2:
	s_mov_b32 s3, 0
	s_mov_b64 s[14:15], -1
.LBB1053_3:
	s_andn2_b64 vcc, exec, s[14:15]
	s_cbranch_vccnz .LBB1053_20
; %bb.4:
	s_load_dwordx2 s[8:9], s[0:1], 0x28
	s_lshl_b64 s[16:17], s[2:3], 2
	s_waitcnt lgkmcnt(0)
	s_add_u32 s8, s8, s16
	s_addc_u32 s9, s9, s17
	s_load_dword s7, s[8:9], 0x0
	s_lshl_b32 s18, s6, 8
	s_waitcnt lgkmcnt(0)
	s_cmp_ge_i32 s18, s7
	s_cbranch_scc1 .LBB1053_20
; %bb.5:
	s_load_dwordx2 s[8:9], s[0:1], 0x20
	s_load_dword s5, s[0:1], 0x38
	s_add_i32 s14, s7, 31
	s_ashr_i32 s15, s14, 31
	v_and_b32_e32 v1, 0xcf, v0
	s_lshr_b32 s15, s15, 27
	v_add_u32_e32 v1, s18, v1
	s_add_i32 s14, s14, s15
	v_ashrrev_i32_e32 v2, 31, v1
	s_ashr_i32 s19, s14, 5
	v_lshrrev_b32_e32 v4, 27, v2
	s_add_i32 s19, s19, -1
	s_waitcnt lgkmcnt(0)
	s_mul_i32 s14, s2, s5
	s_mov_b32 s15, 0
	v_add_u32_e32 v2, v1, v4
	s_lshl_b64 s[14:15], s[14:15], 2
	v_ashrrev_i32_e32 v2, 5, v2
	v_mov_b32_e32 v5, s19
	v_cmp_gt_i32_e32 vcc, s7, v1
	s_add_u32 s8, s8, s14
	s_addc_u32 s9, s9, s15
	v_cndmask_b32_e32 v2, v5, v2, vcc
	v_ashrrev_i32_e32 v3, 31, v2
	v_lshl_add_u64 v[6:7], v[2:3], 2, s[8:9]
	v_or_b32_e32 v2, 16, v1
	v_add_u32_e32 v3, v2, v4
	v_ashrrev_i32_e32 v3, 5, v3
	v_cmp_gt_i32_e32 vcc, s7, v2
	s_load_dwordx2 s[14:15], s[0:1], 0x8
	s_nop 0
	v_cndmask_b32_e32 v2, v5, v3, vcc
	v_ashrrev_i32_e32 v3, 31, v2
	v_lshl_add_u64 v[8:9], v[2:3], 2, s[8:9]
	v_or_b32_e32 v2, 32, v1
	v_add_u32_e32 v3, v2, v4
	v_ashrrev_i32_e32 v3, 5, v3
	v_cmp_gt_i32_e32 vcc, s7, v2
	v_or_b32_e32 v1, 48, v1
	s_nop 0
	v_cndmask_b32_e32 v2, v5, v3, vcc
	v_ashrrev_i32_e32 v3, 31, v2
	v_lshl_add_u64 v[12:13], v[2:3], 2, s[8:9]
	v_add_u32_e32 v2, v1, v4
	v_ashrrev_i32_e32 v2, 5, v2
	v_cmp_gt_i32_e32 vcc, s7, v1
	s_nop 1
	v_cndmask_b32_e32 v2, v5, v2, vcc
	v_ashrrev_i32_e32 v3, 31, v2
	v_lshl_add_u64 v[14:15], v[2:3], 2, s[8:9]
	global_load_dword v4, v[6:7], off
	global_load_dword v3, v[8:9], off
	;; [unrolled: 1-line block ×4, first 2 shown]
	s_andn2_b64 vcc, exec, s[12:13]
	s_cbranch_vccnz .LBB1053_8
; %bb.6:
	s_add_u32 s10, s10, s16
	s_addc_u32 s11, s11, s17
	s_load_dword s5, s[10:11], 0x0
	s_branch .LBB1053_9
.LBB1053_7:
	s_mov_b64 s[14:15], 0
	s_branch .LBB1053_2
.LBB1053_8:
	s_mov_b32 s5, s2
.LBB1053_9:
	s_load_dwordx2 s[10:11], s[0:1], 0x10
	s_load_dwordx4 s[44:47], s[0:1], 0x48
	v_lshrrev_b32_e32 v57, 6, v0
	v_bfe_u32 v62, v0, 4, 2
	v_and_b32_e32 v56, 15, v0
	v_lshl_or_b32 v5, v57, 2, v62
	v_lshlrev_b32_e32 v1, 3, v56
	s_mul_i32 s48, s4, 6
	v_cmp_gt_u32_e32 vcc, 6, v5
	v_lshlrev_b32_e32 v54, 1, v1
	v_lshlrev_b32_e32 v1, 4, v0
	s_and_saveexec_b64 s[12:13], vcc
	s_cbranch_execz .LBB1053_11
; %bb.10:
	s_load_dwordx2 s[16:17], s[0:1], 0x0
	s_waitcnt lgkmcnt(0)
	s_ashr_i32 s20, s44, 31
	s_mul_hi_u32 s21, s5, s44
	s_mul_i32 s20, s5, s20
	s_add_i32 s21, s21, s20
	s_mul_i32 s20, s5, s44
	s_lshl_b64 s[20:21], s[20:21], 1
	s_add_u32 s16, s16, s20
	v_add_lshl_u32 v6, v5, s48, 7
	s_addc_u32 s17, s17, s21
	v_ashrrev_i32_e32 v7, 31, v6
	v_lshl_add_u64 v[6:7], v[6:7], 1, s[16:17]
	v_mov_b32_e32 v55, 0
	v_lshl_add_u64 v[6:7], v[6:7], 0, v[54:55]
	global_load_dwordx4 v[6:9], v[6:7], off
	v_lshlrev_b32_e32 v12, 8, v0
	v_lshlrev_b32_e32 v11, 8, v56
	v_and_b32_e32 v12, 0x600, v12
	s_movk_i32 s5, 0x800
	v_and_or_b32 v11, v11, s5, v12
	v_lshlrev_b32_e32 v5, 5, v5
	v_and_b32_e32 v12, 16, v1
	v_or3_b32 v5, v11, v5, v12
	s_waitcnt vmcnt(0)
	ds_write_b128 v5, v[6:9]
.LBB1053_11:
	s_or_b64 exec, exec, s[12:13]
	s_waitcnt lgkmcnt(0)
	s_mul_i32 s12, s4, s46
	s_add_u32 s4, s14, s12
	s_addc_u32 s5, s15, 0
	v_mov_b32_e32 v59, 0
	v_mov_b64_e32 v[12:13], s[4:5]
	v_and_b32_e32 v34, 48, v0
	s_waitcnt vmcnt(3)
	v_mad_i64_i32 v[4:5], s[4:5], v4, s45, v[12:13]
	v_lshlrev_b32_e32 v14, 4, v56
	v_mov_b32_e32 v15, v59
	v_lshlrev_b32_e32 v58, 5, v34
	v_lshl_add_u64 v[4:5], v[4:5], 0, v[14:15]
	v_lshl_add_u64 v[4:5], v[4:5], 0, v[58:59]
	s_barrier
	global_load_dwordx4 v[50:53], v[4:5], off
	global_load_dwordx4 v[46:49], v[4:5], off offset:2048
	s_waitcnt vmcnt(4)
	v_mad_i64_i32 v[4:5], s[4:5], v3, s45, v[12:13]
	v_or_b32_e32 v16, 0x100, v14
	v_mov_b32_e32 v17, v59
	s_waitcnt vmcnt(3)
	v_mad_i64_i32 v[2:3], s[4:5], v2, s45, v[12:13]
	v_lshl_add_u64 v[4:5], v[4:5], 0, v[16:17]
	v_lshl_add_u64 v[2:3], v[2:3], 0, v[14:15]
	s_waitcnt vmcnt(2)
	v_mad_i64_i32 v[10:11], s[4:5], v10, s45, v[12:13]
	v_lshl_add_u64 v[4:5], v[4:5], 0, v[58:59]
	v_lshl_add_u64 v[14:15], v[2:3], 0, v[58:59]
	;; [unrolled: 1-line block ×3, first 2 shown]
	global_load_dwordx4 v[36:39], v[4:5], off
	global_load_dwordx4 v[6:9], v[4:5], off offset:2048
	s_nop 0
	global_load_dwordx4 v[2:5], v[14:15], off
	global_load_dwordx4 v[42:45], v[14:15], off offset:2048
	v_lshl_add_u64 v[14:15], v[10:11], 0, v[58:59]
	global_load_dwordx4 v[26:29], v[14:15], off
	global_load_dwordx4 v[10:13], v[14:15], off offset:2048
	v_mul_lo_u16_e32 v14, 43, v56
	v_mov_b32_e32 v15, 6
	v_mul_lo_u16_sdwa v14, v14, v15 dst_sel:DWORD dst_unused:UNUSED_PAD src0_sel:BYTE_1 src1_sel:DWORD
	v_sub_u16_e32 v14, v56, v14
	v_mov_b32_e32 v15, 5
	v_lshlrev_b32_sdwa v14, v15, v14 dst_sel:DWORD dst_unused:UNUSED_PAD src0_sel:DWORD src1_sel:BYTE_0
	v_lshl_add_u32 v14, v62, 9, v14
	ds_read_b128 v[30:33], v14
	ds_read_b128 v[22:25], v14 offset:16
	ds_read_b128 v[18:21], v14 offset:2048
	;; [unrolled: 1-line block ×3, first 2 shown]
	v_and_b32_e32 v55, 63, v0
	v_cmp_gt_u32_e32 vcc, 6, v56
	v_mov_b32_e32 v63, 0
	s_and_saveexec_b64 s[4:5], vcc
	s_cbranch_execz .LBB1053_13
; %bb.12:
	s_load_dwordx2 s[14:15], s[0:1], 0x40
	v_add_u32_e32 v40, s48, v56
	v_ashrrev_i32_e32 v41, 31, v40
	s_waitcnt lgkmcnt(0)
	v_lshl_add_u64 v[40:41], v[40:41], 2, s[14:15]
	global_load_dword v63, v[40:41], off
.LBB1053_13:
	s_or_b64 exec, exec, s[4:5]
	s_ashr_i32 s4, s18, 31
	v_or_b32_e32 v58, s18, v34
	s_lshr_b32 s4, s4, 27
	v_add_u32_e32 v34, s4, v58
	v_cmp_gt_i32_e32 vcc, s7, v58
	v_or_b32_e32 v40, 64, v58
	v_or_b32_e32 v60, 0x80, v58
	;; [unrolled: 1-line block ×3, first 2 shown]
	v_add_u32_e32 v64, s4, v58
	v_ashrrev_i32_e32 v69, 5, v64
	s_waitcnt vmcnt(7)
	v_cvt_pk_f32_fp8_e32 v[64:65], v50
	v_cvt_pk_f32_fp8_sdwa v[66:67], v50 src0_sel:WORD_1
	v_cvt_pk_f32_fp8_e32 v[70:71], v51
	v_cvt_pk_f32_fp8_sdwa v[50:51], v51 src0_sel:WORD_1
	v_cvt_pkrtz_f16_f32 v64, v64, v65
	v_cvt_pkrtz_f16_f32 v65, v66, v67
	v_cvt_pkrtz_f16_f32 v70, v70, v71
	v_cvt_pk_f32_fp8_e32 v[72:73], v52
	v_cvt_pk_f32_fp8_sdwa v[74:75], v52 src0_sel:WORD_1
	v_cvt_pkrtz_f16_f32 v71, v50, v51
	s_waitcnt lgkmcnt(3)
	v_mfma_f32_16x16x16_f16 v[64:67], v[64:65], v[30:31], 0
	v_cvt_pkrtz_f16_f32 v72, v72, v73
	v_cvt_pkrtz_f16_f32 v73, v74, v75
	v_cvt_pk_f32_fp8_e32 v[74:75], v53
	v_cvt_pk_f32_fp8_sdwa v[76:77], v53 src0_sel:WORD_1
	v_mfma_f32_16x16x16_f16 v[50:53], v[70:71], v[32:33], v[64:67]
	v_ashrrev_i32_e32 v34, 5, v34
	v_mov_b32_e32 v68, s19
	v_add_u32_e32 v41, s4, v40
	v_cndmask_b32_e32 v34, v68, v34, vcc
	v_ashrrev_i32_e32 v41, 5, v41
	v_cmp_gt_i32_e32 vcc, s7, v40
	v_add_u32_e32 v61, s4, v60
	v_cvt_pkrtz_f16_f32 v64, v74, v75
	v_cvt_pkrtz_f16_f32 v65, v76, v77
	v_cndmask_b32_e32 v40, v68, v41, vcc
	v_ashrrev_i32_e32 v61, 5, v61
	v_cmp_gt_i32_e32 vcc, s7, v60
	s_waitcnt lgkmcnt(2)
	v_mfma_f32_16x16x16_f16 v[50:53], v[72:73], v[22:23], v[50:53]
	s_waitcnt vmcnt(6)
	v_cvt_pk_f32_fp8_e32 v[66:67], v46
	v_cndmask_b32_e32 v60, v68, v61, vcc
	v_cmp_gt_i32_e32 vcc, s7, v58
	v_ashrrev_i32_e32 v35, 31, v34
	v_lshl_add_u64 v[34:35], v[34:35], 2, s[8:9]
	v_cndmask_b32_e32 v68, v68, v69, vcc
	v_ashrrev_i32_e32 v41, 31, v40
	v_ashrrev_i32_e32 v61, 31, v60
	;; [unrolled: 1-line block ×3, first 2 shown]
	v_lshl_add_u64 v[40:41], v[40:41], 2, s[8:9]
	v_lshl_add_u64 v[60:61], v[60:61], 2, s[8:9]
	;; [unrolled: 1-line block ×3, first 2 shown]
	v_mfma_f32_16x16x16_f16 v[50:53], v[64:65], v[24:25], v[50:53]
	v_cvt_pkrtz_f16_f32 v74, v66, v67
	global_load_dword v68, v[34:35], off
	global_load_dword v66, v[40:41], off
	;; [unrolled: 1-line block ×4, first 2 shown]
	v_cvt_pk_f32_fp8_sdwa v[70:71], v46 src0_sel:WORD_1
	v_cvt_pk_f32_fp8_e32 v[40:41], v48
	s_waitcnt vmcnt(9)
	v_cvt_pk_f32_fp8_e32 v[60:61], v36
	s_add_u32 s4, s10, s12
	v_cvt_pkrtz_f16_f32 v75, v70, v71
	v_cvt_pk_f32_fp8_e32 v[70:71], v47
	v_cvt_pk_f32_fp8_sdwa v[46:47], v47 src0_sel:WORD_1
	s_waitcnt lgkmcnt(1)
	v_mfma_f32_16x16x16_f16 v[50:53], v[74:75], v[18:19], v[50:53]
	v_cvt_pkrtz_f16_f32 v34, v70, v71
	v_cvt_pkrtz_f16_f32 v35, v46, v47
	v_cvt_pk_f32_fp8_sdwa v[46:47], v48 src0_sel:WORD_1
	v_cvt_pkrtz_f16_f32 v40, v40, v41
	v_mfma_f32_16x16x16_f16 v[50:53], v[34:35], v[20:21], v[50:53]
	v_cvt_pkrtz_f16_f32 v41, v46, v47
	v_cvt_pk_f32_fp8_e32 v[34:35], v49
	v_cvt_pk_f32_fp8_sdwa v[46:47], v49 src0_sel:WORD_1
	v_cvt_pk_f32_fp8_sdwa v[70:71], v36 src0_sel:WORD_1
	s_addc_u32 s5, s11, 0
	v_cvt_pkrtz_f16_f32 v34, v34, v35
	v_cvt_pkrtz_f16_f32 v35, v46, v47
	s_waitcnt lgkmcnt(0)
	v_mfma_f32_16x16x16_f16 v[46:49], v[40:41], v[14:15], v[50:53]
	v_cvt_pkrtz_f16_f32 v40, v60, v61
	v_cvt_pkrtz_f16_f32 v41, v70, v71
	s_waitcnt vmcnt(8)
	v_cvt_pk_f32_fp8_sdwa v[60:61], v6 src0_sel:WORD_1
	v_cvt_pk_f32_fp8_e32 v[50:51], v37
	v_cvt_pk_f32_fp8_sdwa v[52:53], v37 src0_sel:WORD_1
	v_mfma_f32_16x16x16_f16 v[34:37], v[34:35], v[16:17], v[46:49]
	v_and_b32_e32 v58, 16, v0
	v_cvt_pkrtz_f16_f32 v50, v50, v51
	v_cvt_pkrtz_f16_f32 v51, v52, v53
	v_mfma_f32_16x16x16_f16 v[46:49], v[40:41], v[30:31], 0
	v_cvt_pk_f32_fp8_e32 v[40:41], v38
	v_cvt_pk_f32_fp8_sdwa v[52:53], v38 src0_sel:WORD_1
	v_lshl_or_b32 v64, v57, 4, v56
	v_mfma_f32_16x16x16_f16 v[46:49], v[50:51], v[32:33], v[46:49]
	v_cvt_pk_f32_fp8_e32 v[50:51], v39
	v_cvt_pkrtz_f16_f32 v40, v40, v41
	v_cvt_pkrtz_f16_f32 v41, v52, v53
	v_cvt_pk_f32_fp8_sdwa v[38:39], v39 src0_sel:WORD_1
	v_cvt_pkrtz_f16_f32 v50, v50, v51
	v_cvt_pk_f32_fp8_e32 v[52:53], v6
	s_waitcnt vmcnt(6)
	v_cvt_pk_f32_fp8_e32 v[74:75], v43
	v_cvt_pkrtz_f16_f32 v51, v38, v39
	v_mfma_f32_16x16x16_f16 v[38:41], v[40:41], v[22:23], v[46:49]
	s_nop 2
	v_cvt_pkrtz_f16_f32 v48, v52, v53
	v_cvt_pkrtz_f16_f32 v49, v60, v61
	v_cvt_pk_f32_fp8_e32 v[52:53], v7
	v_cvt_pk_f32_fp8_sdwa v[6:7], v7 src0_sel:WORD_1
	v_mfma_f32_16x16x16_f16 v[38:41], v[50:51], v[24:25], v[38:41]
	v_lshl_add_u64 v[46:47], s[4:5], 0, v[58:59]
	v_cvt_pkrtz_f16_f32 v50, v52, v53
	v_cvt_pkrtz_f16_f32 v51, v6, v7
	v_mfma_f32_16x16x16_f16 v[38:41], v[48:49], v[18:19], v[38:41]
	v_cvt_pk_f32_fp8_e32 v[6:7], v8
	v_cvt_pk_f32_fp8_sdwa v[48:49], v8 src0_sel:WORD_1
	v_cvt_pk_f32_fp8_sdwa v[52:53], v2 src0_sel:WORD_1
	v_mfma_f32_16x16x16_f16 v[38:41], v[50:51], v[20:21], v[38:41]
	v_cvt_pk_f32_fp8_e32 v[50:51], v9
	v_cvt_pkrtz_f16_f32 v6, v6, v7
	v_cvt_pkrtz_f16_f32 v7, v48, v49
	v_cvt_pk_f32_fp8_sdwa v[8:9], v9 src0_sel:WORD_1
	v_cvt_pkrtz_f16_f32 v48, v50, v51
	v_cvt_pk_f32_fp8_e32 v[50:51], v2
	v_lshlrev_b32_e32 v58, 5, v64
	v_cvt_pkrtz_f16_f32 v49, v8, v9
	v_mfma_f32_16x16x16_f16 v[6:9], v[6:7], v[14:15], v[38:41]
	v_cvt_pkrtz_f16_f32 v50, v50, v51
	v_cvt_pkrtz_f16_f32 v51, v52, v53
	v_cvt_pk_f32_fp8_e32 v[52:53], v3
	v_cvt_pk_f32_fp8_sdwa v[2:3], v3 src0_sel:WORD_1
	v_mfma_f32_16x16x16_f16 v[38:41], v[48:49], v[16:17], v[6:9]
	v_lshl_add_u64 v[48:49], v[46:47], 0, v[58:59]
	v_cvt_pkrtz_f16_f32 v52, v52, v53
	v_cvt_pkrtz_f16_f32 v53, v2, v3
	v_mfma_f32_16x16x16_f16 v[6:9], v[50:51], v[30:31], 0
	v_cvt_pk_f32_fp8_e32 v[2:3], v4
	v_cvt_pk_f32_fp8_sdwa v[50:51], v4 src0_sel:WORD_1
	s_waitcnt vmcnt(3)
	v_mad_i64_i32 v[60:61], s[4:5], v68, s45, v[48:49]
	v_cvt_pkrtz_f16_f32 v2, v2, v3
	v_cvt_pkrtz_f16_f32 v3, v50, v51
	v_mfma_f32_16x16x16_f16 v[6:9], v[52:53], v[32:33], v[6:9]
	v_cvt_pk_f32_fp8_e32 v[50:51], v5
	v_cvt_pk_f32_fp8_sdwa v[4:5], v5 src0_sel:WORD_1
	s_waitcnt vmcnt(2)
	v_mad_i64_i32 v[70:71], s[4:5], v66, s45, v[48:49]
	v_cvt_pkrtz_f16_f32 v50, v50, v51
	v_cvt_pkrtz_f16_f32 v51, v4, v5
	v_mfma_f32_16x16x16_f16 v[2:5], v[2:3], v[22:23], v[6:9]
	v_or_b32_e32 v58, 0x800, v58
	s_nop 1
	v_cvt_pk_f32_fp8_e32 v[6:7], v42
	v_cvt_pk_f32_fp8_sdwa v[8:9], v42 src0_sel:WORD_1
	v_cvt_pk_f32_fp8_sdwa v[42:43], v43 src0_sel:WORD_1
	v_mfma_f32_16x16x16_f16 v[50:53], v[50:51], v[24:25], v[2:5]
	v_cvt_pkrtz_f16_f32 v72, v6, v7
	v_cvt_pkrtz_f16_f32 v73, v8, v9
	global_load_dwordx4 v[6:9], v[60:61], off
	global_load_dwordx4 v[2:5], v[70:71], off
	v_cvt_pkrtz_f16_f32 v60, v74, v75
	v_cvt_pkrtz_f16_f32 v61, v42, v43
	v_mfma_f32_16x16x16_f16 v[70:73], v[72:73], v[18:19], v[50:53]
	v_cvt_pk_f32_fp8_e32 v[42:43], v44
	v_cvt_pkrtz_f16_f32 v42, v42, v43
	s_nop 0
	v_cvt_pk_f32_fp8_sdwa v[52:53], v44 src0_sel:WORD_1
	v_mfma_f32_16x16x16_f16 v[70:73], v[60:61], v[20:21], v[70:73]
	v_cvt_pk_f32_fp8_e32 v[60:61], v45
	s_waitcnt vmcnt(3)
	v_mad_i64_i32 v[50:51], s[4:5], v67, s45, v[48:49]
	s_load_dword s4, s[0:1], 0x1c
	s_load_dwordx4 s[40:43], s[0:1], 0x80
	v_cvt_pkrtz_f16_f32 v43, v52, v53
	v_cvt_pkrtz_f16_f32 v74, v60, v61
	v_cvt_pk_f32_fp8_e32 v[52:53], v26
	v_cvt_pk_f32_fp8_sdwa v[60:61], v26 src0_sel:WORD_1
	s_load_dword s33, s[0:1], 0x98
	s_waitcnt lgkmcnt(0)
	s_load_dword s5, s[40:41], 0x0
	v_cvt_pk_f32_fp8_sdwa v[44:45], v45 src0_sel:WORD_1
	v_cvt_pkrtz_f16_f32 v52, v52, v53
	v_cvt_pkrtz_f16_f32 v53, v60, v61
	v_cvt_pk_f32_fp8_e32 v[60:61], v27
	v_cvt_pk_f32_fp8_sdwa v[26:27], v27 src0_sel:WORD_1
	v_cvt_pkrtz_f16_f32 v75, v44, v45
	v_mfma_f32_16x16x16_f16 v[42:45], v[42:43], v[14:15], v[70:73]
	v_cvt_pkrtz_f16_f32 v60, v60, v61
	v_cvt_pkrtz_f16_f32 v61, v26, v27
	v_mov_b32_e32 v26, s4
	v_mfma_f32_16x16x16_f16 v[70:73], v[52:53], v[30:31], 0
	s_waitcnt lgkmcnt(0)
	v_mul_f32_e32 v52, s5, v26
	v_cvt_pk_f32_fp8_e32 v[26:27], v28
	v_cvt_pk_f32_fp8_sdwa v[30:31], v28 src0_sel:WORD_1
	v_mfma_f32_16x16x16_f16 v[70:73], v[60:61], v[32:33], v[70:73]
	v_cvt_pk_f32_fp8_e32 v[32:33], v29
	v_cvt_pk_f32_fp8_sdwa v[28:29], v29 src0_sel:WORD_1
	v_cvt_pkrtz_f16_f32 v26, v26, v27
	v_cvt_pkrtz_f16_f32 v27, v30, v31
	v_mfma_f32_16x16x16_f16 v[42:45], v[74:75], v[16:17], v[42:45]
	v_cvt_pkrtz_f16_f32 v32, v32, v33
	v_cvt_pkrtz_f16_f32 v33, v28, v29
	v_cvt_pk_f32_fp8_e32 v[60:61], v10
	v_cvt_pk_f32_fp8_sdwa v[74:75], v10 src0_sel:WORD_1
	v_mfma_f32_16x16x16_f16 v[26:29], v[26:27], v[22:23], v[70:73]
	v_pk_mul_f32 v[30:31], v[52:53], v[36:37] op_sel_hi:[0,1]
	v_cvt_pkrtz_f16_f32 v36, v60, v61
	v_cvt_pkrtz_f16_f32 v37, v74, v75
	v_cvt_pk_f32_fp8_e32 v[60:61], v11
	v_cvt_pk_f32_fp8_sdwa v[70:71], v11 src0_sel:WORD_1
	v_mfma_f32_16x16x16_f16 v[22:25], v[32:33], v[24:25], v[26:29]
	v_pk_mul_f32 v[10:11], v[52:53], v[34:35] op_sel_hi:[0,1]
	v_cvt_pkrtz_f16_f32 v60, v60, v61
	v_cvt_pkrtz_f16_f32 v61, v70, v71
	v_mfma_f32_16x16x16_f16 v[32:35], v[36:37], v[18:19], v[22:25]
	v_cvt_pk_f32_fp8_e32 v[18:19], v12
	v_cvt_pk_f32_fp8_sdwa v[36:37], v12 src0_sel:WORD_1
	s_waitcnt vmcnt(2)
	v_mad_i64_i32 v[48:49], s[8:9], v65, s45, v[48:49]
	global_load_dwordx4 v[26:29], v[50:51], off
	global_load_dwordx4 v[22:25], v[48:49], off
	v_cvt_pkrtz_f16_f32 v48, v18, v19
	v_cvt_pkrtz_f16_f32 v49, v36, v37
	v_cvt_pk_f32_fp8_e32 v[36:37], v13
	v_cvt_pk_f32_fp8_sdwa v[12:13], v13 src0_sel:WORD_1
	v_mfma_f32_16x16x16_f16 v[18:21], v[60:61], v[20:21], v[32:35]
	v_pk_mul_f32 v[40:41], v[52:53], v[40:41] op_sel_hi:[0,1]
	v_pk_mul_f32 v[42:43], v[52:53], v[42:43] op_sel_hi:[0,1]
	s_mov_b32 s40, 0xff7fffff
	v_cvt_pkrtz_f16_f32 v32, v36, v37
	v_cvt_pkrtz_f16_f32 v33, v12, v13
	v_mfma_f32_16x16x16_f16 v[12:15], v[48:49], v[14:15], v[18:21]
	v_pk_mul_f32 v[48:49], v[52:53], v[38:39] op_sel_hi:[0,1]
	v_pk_mul_f32 v[38:39], v[52:53], v[44:45] op_sel_hi:[0,1]
	v_mfma_f32_16x16x16_f16 v[12:15], v[32:33], v[16:17], v[12:15]
	s_nop 6
	v_pk_mul_f32 v[36:37], v[52:53], v[12:13] op_sel_hi:[0,1]
	v_and_b32_e32 v12, 0xc0, v0
	v_add_u32_e32 v12, s18, v12
	v_lshl_or_b32 v12, v62, 2, v12
	v_or_b32_e32 v13, 1, v12
	v_pk_mul_f32 v[34:35], v[52:53], v[14:15] op_sel_hi:[0,1]
	v_subrev_u32_e32 v14, s7, v13
	v_add_u32_e32 v16, 1, v14
	v_add_u32_e32 v17, 2, v14
	v_cvt_f32_i32_e32 v15, v14
	v_cvt_f32_i32_e32 v16, v16
	;; [unrolled: 1-line block ×3, first 2 shown]
	v_add_u32_e32 v18, 3, v14
	v_fma_f32 v10, v63, v15, v10
	v_fmac_f32_e32 v11, v63, v16
	v_fma_f32 v51, v63, v17, v30
	v_add_u32_e32 v15, 16, v14
	v_add_u32_e32 v16, 17, v14
	;; [unrolled: 1-line block ×3, first 2 shown]
	v_cvt_f32_i32_e32 v18, v18
	v_cvt_f32_i32_e32 v15, v15
	;; [unrolled: 1-line block ×4, first 2 shown]
	v_fmac_f32_e32 v31, v63, v18
	v_add_u32_e32 v18, 19, v14
	v_fma_f32 v48, v63, v15, v48
	v_fmac_f32_e32 v49, v63, v16
	v_fma_f32 v40, v63, v17, v40
	v_add_u32_e32 v15, 32, v14
	v_add_u32_e32 v16, 33, v14
	;; [unrolled: 1-line block ×3, first 2 shown]
	v_cvt_f32_i32_e32 v18, v18
	v_cvt_f32_i32_e32 v15, v15
	;; [unrolled: 1-line block ×4, first 2 shown]
	v_fmac_f32_e32 v41, v63, v18
	v_add_u32_e32 v18, 35, v14
	v_fma_f32 v42, v63, v15, v42
	v_fmac_f32_e32 v43, v63, v16
	v_fma_f32 v38, v63, v17, v38
	v_add_u32_e32 v15, 48, v14
	v_add_u32_e32 v16, 49, v14
	;; [unrolled: 1-line block ×4, first 2 shown]
	v_cvt_f32_i32_e32 v14, v14
	v_cvt_f32_i32_e32 v15, v15
	;; [unrolled: 1-line block ×3, first 2 shown]
	v_cmp_gt_i32_e64 s[8:9], s7, v12
	v_fmac_f32_e32 v35, v63, v14
	v_mov_b32_e32 v14, 0xff7fffff
	v_cmp_gt_i32_e64 s[10:11], s7, v13
	v_fma_f32 v36, v63, v15, v36
	v_cndmask_b32_e64 v15, v14, v10, s[8:9]
	v_cndmask_b32_e64 v13, v14, v11, s[10:11]
	v_fmac_f32_e32 v37, v63, v16
	v_max3_f32 v13, v15, s40, v13
	v_or_b32_e32 v15, 2, v12
	v_or_b32_e32 v16, 3, v12
	v_cmp_gt_i32_e64 s[12:13], s7, v15
	v_cmp_gt_i32_e64 s[14:15], s7, v16
	v_cvt_f32_i32_e32 v18, v18
	v_cndmask_b32_e64 v15, v14, v51, s[12:13]
	v_cndmask_b32_e64 v16, v14, v31, s[14:15]
	v_max3_f32 v13, v13, v15, v16
	v_or_b32_e32 v15, 16, v12
	v_or_b32_e32 v16, 17, v12
	v_cmp_gt_i32_e64 s[16:17], s7, v15
	v_cmp_gt_i32_e64 s[18:19], s7, v16
	v_fmac_f32_e32 v39, v63, v18
	v_cndmask_b32_e64 v15, v14, v48, s[16:17]
	v_cndmask_b32_e64 v16, v14, v49, s[18:19]
	v_max3_f32 v13, v13, v15, v16
	v_or_b32_e32 v15, 18, v12
	v_or_b32_e32 v16, 19, v12
	v_cmp_gt_i32_e64 s[20:21], s7, v15
	v_cmp_gt_i32_e64 s[22:23], s7, v16
	v_cvt_f32_i32_e32 v17, v17
	v_cndmask_b32_e64 v15, v14, v40, s[20:21]
	v_cndmask_b32_e64 v16, v14, v41, s[22:23]
	v_max3_f32 v13, v13, v15, v16
	v_or_b32_e32 v15, 32, v12
	v_or_b32_e32 v16, 33, v12
	v_cmp_gt_i32_e64 s[24:25], s7, v15
	v_cmp_gt_i32_e64 s[26:27], s7, v16
	v_fma_f32 v34, v63, v17, v34
	v_cndmask_b32_e64 v15, v14, v42, s[24:25]
	v_cndmask_b32_e64 v16, v14, v43, s[26:27]
	v_max3_f32 v13, v13, v15, v16
	v_or_b32_e32 v15, 34, v12
	v_or_b32_e32 v16, 35, v12
	v_cmp_gt_i32_e64 s[28:29], s7, v15
	v_cmp_gt_i32_e64 s[30:31], s7, v16
	s_nop 0
	v_cndmask_b32_e64 v15, v14, v38, s[28:29]
	v_cndmask_b32_e64 v16, v14, v39, s[30:31]
	v_max3_f32 v13, v13, v15, v16
	v_or_b32_e32 v15, 48, v12
	v_or_b32_e32 v16, 49, v12
	v_cmp_gt_i32_e64 s[34:35], s7, v15
	v_cmp_gt_i32_e64 s[36:37], s7, v16
	s_nop 0
	v_cndmask_b32_e64 v15, v14, v36, s[34:35]
	v_cndmask_b32_e64 v16, v14, v37, s[36:37]
	v_max3_f32 v13, v13, v15, v16
	v_or_b32_e32 v15, 50, v12
	v_or_b32_e32 v12, 51, v12
	v_cmp_gt_i32_e32 vcc, s7, v15
	v_cmp_gt_i32_e64 s[4:5], s7, v12
	s_nop 0
	v_cndmask_b32_e32 v15, v14, v34, vcc
	v_cndmask_b32_e64 v12, v14, v35, s[4:5]
	v_max3_f32 v16, v13, v15, v12
	v_mbcnt_lo_u32_b32 v12, -1, 0
	v_mbcnt_hi_u32_b32 v17, -1, v12
	v_and_b32_e32 v12, 64, v17
	v_add_u32_e32 v18, 64, v12
	v_xor_b32_e32 v12, 32, v17
	v_cmp_lt_i32_e64 s[38:39], v12, v18
	s_nop 1
	v_cndmask_b32_e64 v12, v17, v12, s[38:39]
	v_lshlrev_b32_e32 v52, 2, v12
	ds_bpermute_b32 v19, v52, v16
	v_lshl_add_u64 v[12:13], v[46:47], 0, v[58:59]
	v_mad_i64_i32 v[14:15], s[38:39], v68, s45, v[12:13]
	s_waitcnt lgkmcnt(0)
	v_max_f32_e32 v19, v19, v19
	v_max_f32_e32 v19, v16, v19
	v_xor_b32_e32 v16, 16, v17
	v_cmp_lt_i32_e64 s[38:39], v16, v18
	s_nop 1
	v_cndmask_b32_e64 v16, v17, v16, s[38:39]
	v_lshlrev_b32_e32 v53, 2, v16
	ds_bpermute_b32 v18, v53, v19
	v_mad_i64_i32 v[16:17], s[38:39], v66, s45, v[12:13]
	v_mad_i64_i32 v[44:45], s[38:39], v67, s45, v[12:13]
	s_waitcnt lgkmcnt(0)
	v_max_f32_e32 v18, v18, v18
	v_max_f32_e32 v50, v19, v18
	v_sub_f32_e32 v10, v10, v50
	v_mul_f32_e32 v10, 0x3fb8aa3b, v10
	v_exp_f32_e32 v18, v10
	v_sub_f32_e32 v10, v11, v50
	v_mul_f32_e32 v10, 0x3fb8aa3b, v10
	v_exp_f32_e32 v19, v10
	v_mad_i64_i32 v[10:11], s[38:39], v65, s45, v[12:13]
	v_sub_f32_e32 v12, v51, v50
	v_mul_f32_e32 v12, 0x3fb8aa3b, v12
	v_cndmask_b32_e64 v46, 0, v18, s[8:9]
	v_cndmask_b32_e64 v47, 0, v19, s[10:11]
	v_sub_f32_e32 v58, v31, v50
	global_load_dwordx4 v[30:33], v[14:15], off
	global_load_dwordx4 v[18:21], v[16:17], off
	v_exp_f32_e32 v51, v12
	global_load_dwordx4 v[14:17], v[44:45], off
	s_nop 0
	global_load_dwordx4 v[10:13], v[10:11], off
	v_sub_f32_e32 v45, v48, v50
	v_sub_f32_e32 v48, v49, v50
	;; [unrolled: 1-line block ×4, first 2 shown]
	v_mul_f32_e32 v44, 0x3fb8aa3b, v58
	v_mul_f32_e32 v45, 0x3fb8aa3b, v45
	v_mul_f32_e32 v48, 0x3fb8aa3b, v48
	v_mul_f32_e32 v40, 0x3fb8aa3b, v40
	v_mul_f32_e32 v42, 0x3fb8aa3b, v42
	v_exp_f32_e32 v44, v44
	v_exp_f32_e32 v45, v45
	;; [unrolled: 1-line block ×3, first 2 shown]
	v_cndmask_b32_e64 v48, 0, v51, s[12:13]
	v_exp_f32_e32 v40, v40
	v_exp_f32_e32 v51, v42
	v_sub_f32_e32 v42, v43, v50
	v_mul_f32_e32 v42, 0x3fb8aa3b, v42
	v_cndmask_b32_e64 v49, 0, v44, s[14:15]
	v_cndmask_b32_e64 v44, 0, v45, s[16:17]
	;; [unrolled: 1-line block ×3, first 2 shown]
	v_sub_f32_e32 v41, v41, v50
	v_exp_f32_e32 v58, v42
	v_cndmask_b32_e64 v42, 0, v40, s[20:21]
	v_cndmask_b32_e64 v40, 0, v51, s[24:25]
	v_add_f32_e32 v51, 0, v46
	v_mul_f32_e32 v41, 0x3fb8aa3b, v41
	v_add_f32_e32 v51, v51, v47
	v_exp_f32_e32 v41, v41
	v_add_f32_e32 v51, v51, v48
	v_sub_f32_e32 v38, v38, v50
	v_add_f32_e32 v51, v51, v49
	v_sub_f32_e32 v39, v39, v50
	v_mul_f32_e32 v38, 0x3fb8aa3b, v38
	v_add_f32_e32 v51, v51, v44
	v_exp_f32_e32 v38, v38
	v_mul_f32_e32 v39, 0x3fb8aa3b, v39
	v_sub_f32_e32 v36, v36, v50
	v_add_f32_e32 v51, v51, v45
	v_cndmask_b32_e64 v43, 0, v41, s[22:23]
	v_exp_f32_e32 v39, v39
	v_mul_f32_e32 v36, 0x3fb8aa3b, v36
	v_sub_f32_e32 v37, v37, v50
	v_add_f32_e32 v51, v51, v42
	v_exp_f32_e32 v36, v36
	v_mul_f32_e32 v37, 0x3fb8aa3b, v37
	v_add_f32_e32 v51, v51, v43
	v_sub_f32_e32 v34, v34, v50
	v_cndmask_b32_e64 v41, 0, v58, s[26:27]
	v_exp_f32_e32 v37, v37
	v_add_f32_e32 v51, v51, v40
	v_mul_f32_e32 v34, 0x3fb8aa3b, v34
	v_sub_f32_e32 v35, v35, v50
	v_cndmask_b32_e64 v38, 0, v38, s[28:29]
	v_add_f32_e32 v51, v51, v41
	v_exp_f32_e32 v34, v34
	v_mul_f32_e32 v35, 0x3fb8aa3b, v35
	v_cndmask_b32_e64 v39, 0, v39, s[30:31]
	v_add_f32_e32 v51, v51, v38
	v_exp_f32_e32 v35, v35
	v_cndmask_b32_e64 v36, 0, v36, s[34:35]
	v_add_f32_e32 v51, v51, v39
	v_cndmask_b32_e64 v37, 0, v37, s[36:37]
	v_add_f32_e32 v51, v51, v36
	v_add_f32_e32 v51, v51, v37
	v_cndmask_b32_e32 v34, 0, v34, vcc
	v_add_f32_e32 v51, v51, v34
	v_cndmask_b32_e64 v35, 0, v35, s[4:5]
	v_add_f32_e32 v51, v51, v35
	ds_bpermute_b32 v52, v52, v51
	v_cmp_gt_u32_e32 vcc, 16, v55
	s_waitcnt lgkmcnt(0)
	s_barrier
	v_add_f32_e32 v51, v51, v52
	ds_bpermute_b32 v52, v53, v51
	s_and_saveexec_b64 s[4:5], vcc
	s_cbranch_execz .LBB1053_15
; %bb.14:
	s_waitcnt lgkmcnt(0)
	v_add_f32_e32 v51, v51, v52
	v_lshlrev_b32_e32 v52, 2, v64
	ds_write2st64_b32 v52, v50, v51 offset1:1
.LBB1053_15:
	s_or_b64 exec, exec, s[4:5]
	v_lshlrev_b32_e32 v51, 2, v56
	s_load_dword s7, s[0:1], 0x94
	s_waitcnt lgkmcnt(0)
	s_barrier
	ds_read2_b32 v[52:53], v51 offset1:16
	ds_read2_b32 v[58:59], v51 offset0:32 offset1:48
	ds_read2_b32 v[60:61], v51 offset0:64 offset1:80
	s_mul_i32 s8, s33, 6
	s_waitcnt lgkmcnt(2)
	v_max3_f32 v50, v52, s40, v53
	s_waitcnt lgkmcnt(1)
	v_max3_f32 v50, v50, v58, v59
	v_sub_f32_e32 v52, v52, v50
	v_mul_f32_e32 v52, 0x3fb8aa3b, v52
	v_exp_f32_e32 v55, v52
	v_sub_f32_e32 v52, v53, v50
	v_mul_f32_e32 v52, 0x3fb8aa3b, v52
	v_exp_f32_e32 v63, v52
	;; [unrolled: 3-line block ×3, first 2 shown]
	ds_read2_b32 v[52:53], v51 offset0:96 offset1:112
	v_sub_f32_e32 v51, v59, v50
	v_mul_f32_e32 v51, 0x3fb8aa3b, v51
	v_exp_f32_e32 v59, v51
	s_waitcnt lgkmcnt(1)
	v_fma_f32 v51, v55, v60, 0
	v_fmac_f32_e32 v51, v63, v61
	s_waitcnt lgkmcnt(0)
	v_fmac_f32_e32 v51, v58, v52
	v_fmac_f32_e32 v51, v59, v53
	v_add_f32_e32 v52, 0x358637bd, v51
	v_div_scale_f32 v53, s[4:5], v52, v52, 1.0
	v_rcp_f32_e32 v60, v53
	s_barrier
	v_fma_f32 v61, -v53, v60, 1.0
	v_fmac_f32_e32 v60, v61, v60
	v_div_scale_f32 v61, vcc, 1.0, v52, 1.0
	v_mul_f32_e32 v64, v61, v60
	v_fma_f32 v65, -v53, v64, v61
	v_fmac_f32_e32 v64, v65, v60
	v_fma_f32 v53, -v53, v64, v61
	v_div_fmas_f32 v53, v53, v60, v64
	v_cmp_eq_u32_e32 vcc, 1, v57
	v_div_fixup_f32 v52, v53, v52, 1.0
	s_nop 0
	v_cndmask_b32_e32 v53, v55, v63, vcc
	v_cmp_eq_u32_e32 vcc, 2, v57
	s_nop 1
	v_cndmask_b32_e32 v53, v53, v58, vcc
	v_cmp_eq_u32_e32 vcc, 3, v57
	s_nop 1
	v_cndmask_b32_e32 v53, v53, v59, vcc
	v_mul_f32_e32 v52, v53, v52
	v_pk_mul_f32 v[48:49], v[52:53], v[48:49] op_sel_hi:[0,1]
	v_pk_mul_f32 v[46:47], v[52:53], v[46:47] op_sel_hi:[0,1]
	v_cvt_f16_f32_e32 v53, v48
	v_cvt_f16_f32_e32 v49, v49
	;; [unrolled: 1-line block ×4, first 2 shown]
	v_pk_mul_f32 v[42:43], v[52:53], v[42:43] op_sel_hi:[0,1]
	v_pk_mul_f32 v[44:45], v[52:53], v[44:45] op_sel_hi:[0,1]
	v_pack_b32_f16 v49, v53, v49
	v_cvt_f16_f32_e32 v44, v44
	v_cvt_f16_f32_e32 v45, v45
	;; [unrolled: 1-line block ×4, first 2 shown]
	v_pack_b32_f16 v48, v46, v47
	v_lshlrev_b32_e32 v47, 3, v62
	v_lshlrev_b32_e32 v46, 5, v56
	;; [unrolled: 1-line block ×3, first 2 shown]
	v_or3_b32 v55, v42, v46, v47
	v_pack_b32_f16 v42, v44, v45
	v_pack_b32_f16 v43, v53, v43
	v_pk_mul_f32 v[38:39], v[52:53], v[38:39] op_sel_hi:[0,1]
	v_pk_mul_f32 v[40:41], v[52:53], v[40:41] op_sel_hi:[0,1]
	;; [unrolled: 1-line block ×4, first 2 shown]
	ds_write2st64_b64 v55, v[48:49], v[42:43] offset1:1
	v_cvt_f16_f32_e32 v40, v40
	v_cvt_f16_f32_e32 v41, v41
	;; [unrolled: 1-line block ×8, first 2 shown]
	v_pack_b32_f16 v34, v40, v41
	v_pack_b32_f16 v35, v38, v39
	;; [unrolled: 1-line block ×4, first 2 shown]
	v_cmp_gt_u32_e32 vcc, 6, v0
	ds_write2st64_b64 v55, v[34:35], v[36:37] offset0:2 offset1:3
	s_and_saveexec_b64 s[4:5], vcc
	s_cbranch_execz .LBB1053_17
; %bb.16:
	s_mov_b32 s49, 0
	v_mov_b32_e32 v57, 0
	v_lshl_add_u64 v[34:35], s[48:49], 0, v[56:57]
	v_mov_b32_e32 v36, s8
	v_mad_u64_u32 v[34:35], s[10:11], s2, v36, v[34:35]
	s_mul_i32 s3, s3, s8
	v_mov_b32_e32 v36, s6
	v_mov_b32_e32 v37, v57
	s_load_dwordx4 s[12:15], s[0:1], 0x58
	v_add_u32_e32 v38, s3, v35
	v_mad_u64_u32 v[34:35], s[10:11], v34, s7, v[36:37]
	v_mov_b32_e32 v36, v35
	v_mad_u64_u32 v[36:37], s[10:11], v38, s7, v[36:37]
	v_mov_b32_e32 v35, v36
	v_lshlrev_b64 v[34:35], 2, v[34:35]
	s_waitcnt lgkmcnt(0)
	v_lshl_add_u64 v[36:37], s[14:15], 0, v[34:35]
	v_lshl_add_u64 v[34:35], s[12:13], 0, v[34:35]
	global_store_dword v[36:37], v50, off
	global_store_dword v[34:35], v51, off
.LBB1053_17:
	s_or_b64 exec, exec, s[4:5]
	s_waitcnt vmcnt(7)
	v_cvt_pk_f32_fp8_e32 v[34:35], v6
	v_cvt_pk_f32_fp8_sdwa v[36:37], v6 src0_sel:WORD_1
	v_lshl_or_b32 v50, v62, 9, v46
	s_waitcnt lgkmcnt(0)
	s_barrier
	v_cvt_pk_f32_fp8_e32 v[38:39], v7
	v_cvt_pkrtz_f16_f32 v6, v34, v35
	v_cvt_pk_f32_fp8_sdwa v[40:41], v7 src0_sel:WORD_1
	v_cvt_pkrtz_f16_f32 v7, v36, v37
	ds_read_b128 v[34:37], v50
	v_cvt_pkrtz_f16_f32 v46, v38, v39
	v_cvt_pkrtz_f16_f32 v47, v40, v41
	ds_read_b128 v[38:41], v50 offset:16
	v_cvt_pk_f32_fp8_e32 v[48:49], v8
	v_cvt_pk_f32_fp8_sdwa v[52:53], v8 src0_sel:WORD_1
	s_waitcnt lgkmcnt(1)
	v_mfma_f32_16x16x16_f16 v[42:45], v[6:7], v[34:35], 0
	s_waitcnt vmcnt(6)
	v_cvt_pk_f32_fp8_e32 v[58:59], v4
	v_cvt_pkrtz_f16_f32 v6, v48, v49
	v_cvt_pkrtz_f16_f32 v7, v52, v53
	v_cvt_pk_f32_fp8_e32 v[48:49], v9
	v_mfma_f32_16x16x16_f16 v[42:45], v[46:47], v[36:37], v[42:45]
	v_cvt_pk_f32_fp8_sdwa v[46:47], v9 src0_sel:WORD_1
	v_cvt_pk_f32_fp8_sdwa v[60:61], v4 src0_sel:WORD_1
	v_cvt_pkrtz_f16_f32 v48, v48, v49
	s_waitcnt lgkmcnt(0)
	v_mfma_f32_16x16x16_f16 v[6:9], v[6:7], v[38:39], v[42:45]
	v_cvt_pkrtz_f16_f32 v49, v46, v47
	s_waitcnt vmcnt(5)
	v_cvt_pk_f32_fp8_e32 v[64:65], v28
	v_cvt_pk_f32_fp8_sdwa v[66:67], v28 src0_sel:WORD_1
	v_cvt_pk_f32_fp8_e32 v[42:43], v2
	v_mfma_f32_16x16x16_f16 v[46:49], v[48:49], v[40:41], v[6:9]
	s_waitcnt vmcnt(4)
	v_cvt_pk_f32_fp8_sdwa v[68:69], v24 src0_sel:WORD_1
	s_load_dword s4, s[42:43], 0x0
	v_cvt_pk_f32_fp8_sdwa v[6:7], v2 src0_sel:WORD_1
	v_cvt_pk_f32_fp8_e32 v[8:9], v3
	v_cvt_pkrtz_f16_f32 v2, v42, v43
	v_cvt_pk_f32_fp8_sdwa v[42:43], v3 src0_sel:WORD_1
	v_cvt_pkrtz_f16_f32 v3, v6, v7
	v_cvt_pkrtz_f16_f32 v52, v8, v9
	ds_read_b128 v[6:9], v50 offset:2048
	v_cvt_pkrtz_f16_f32 v53, v42, v43
	ds_read_b128 v[42:45], v50 offset:2064
	s_waitcnt lgkmcnt(0)
	v_mfma_f32_16x16x16_f16 v[46:49], v[2:3], v[6:7], v[46:49]
	v_cvt_pkrtz_f16_f32 v2, v58, v59
	v_cvt_pkrtz_f16_f32 v3, v60, v61
	v_cvt_pk_f32_fp8_e32 v[58:59], v5
	v_mfma_f32_16x16x16_f16 v[46:49], v[52:53], v[8:9], v[46:49]
	v_cvt_pk_f32_fp8_sdwa v[52:53], v5 src0_sel:WORD_1
	s_mov_b32 s3, 0
	v_cvt_pkrtz_f16_f32 v58, v58, v59
	v_mfma_f32_16x16x16_f16 v[2:5], v[2:3], v[42:43], v[46:49]
	v_cvt_pkrtz_f16_f32 v59, v52, v53
	v_cmp_gt_u32_e32 vcc, 64, v0
	s_nop 0
	v_cvt_pk_f32_fp8_e32 v[46:47], v26
	v_mfma_f32_16x16x16_f16 v[58:61], v[58:59], v[44:45], v[2:5]
	s_nop 2
	v_cvt_pk_f32_fp8_sdwa v[2:3], v26 src0_sel:WORD_1
	v_cvt_pk_f32_fp8_e32 v[4:5], v27
	v_cvt_pkrtz_f16_f32 v26, v46, v47
	v_cvt_pk_f32_fp8_sdwa v[46:47], v27 src0_sel:WORD_1
	v_cvt_pkrtz_f16_f32 v27, v2, v3
	v_cvt_pkrtz_f16_f32 v52, v4, v5
	ds_read_b128 v[2:5], v50 offset:4096
	v_cvt_pkrtz_f16_f32 v53, v46, v47
	ds_read_b128 v[46:49], v50 offset:4112
	s_waitcnt lgkmcnt(1)
	v_mfma_f32_16x16x16_f16 v[58:61], v[26:27], v[2:3], v[58:61]
	v_cvt_pkrtz_f16_f32 v26, v64, v65
	v_cvt_pkrtz_f16_f32 v27, v66, v67
	v_cvt_pk_f32_fp8_e32 v[64:65], v29
	v_mfma_f32_16x16x16_f16 v[58:61], v[52:53], v[4:5], v[58:61]
	v_cvt_pk_f32_fp8_sdwa v[52:53], v29 src0_sel:WORD_1
	v_cvt_pk_f32_fp8_e32 v[66:67], v24
	v_cvt_pkrtz_f16_f32 v64, v64, v65
	s_waitcnt lgkmcnt(0)
	v_mfma_f32_16x16x16_f16 v[26:29], v[26:27], v[46:47], v[58:61]
	v_cvt_pkrtz_f16_f32 v65, v52, v53
	v_cvt_pk_f32_fp8_e32 v[52:53], v22
	s_nop 0
	v_mfma_f32_16x16x16_f16 v[58:61], v[64:65], v[48:49], v[26:29]
	s_nop 2
	v_cvt_pk_f32_fp8_sdwa v[26:27], v22 src0_sel:WORD_1
	v_cvt_pk_f32_fp8_e32 v[28:29], v23
	v_cvt_pkrtz_f16_f32 v22, v52, v53
	v_cvt_pk_f32_fp8_sdwa v[52:53], v23 src0_sel:WORD_1
	v_cvt_pkrtz_f16_f32 v23, v26, v27
	v_cvt_pkrtz_f16_f32 v64, v28, v29
	ds_read_b128 v[26:29], v50 offset:6144
	v_cvt_pkrtz_f16_f32 v65, v52, v53
	s_waitcnt lgkmcnt(0)
	v_mfma_f32_16x16x16_f16 v[58:61], v[22:23], v[26:27], v[58:61]
	ds_read_b128 v[50:53], v50 offset:6160
	v_cvt_pkrtz_f16_f32 v22, v66, v67
	v_cvt_pkrtz_f16_f32 v23, v68, v69
	v_mfma_f32_16x16x16_f16 v[58:61], v[64:65], v[28:29], v[58:61]
	v_cvt_pk_f32_fp8_e32 v[66:67], v25
	v_cvt_pk_f32_fp8_sdwa v[64:65], v25 src0_sel:WORD_1
	s_waitcnt vmcnt(3)
	v_cvt_pk_f32_fp8_sdwa v[68:69], v32 src0_sel:WORD_1
	s_waitcnt lgkmcnt(0)
	v_mfma_f32_16x16x16_f16 v[22:25], v[22:23], v[50:51], v[58:61]
	v_cvt_pkrtz_f16_f32 v66, v66, v67
	v_cvt_pkrtz_f16_f32 v67, v64, v65
	v_cvt_pk_f32_fp8_e32 v[64:65], v31
	v_cvt_pk_f32_fp8_e32 v[58:59], v30
	v_cvt_pk_f32_fp8_sdwa v[60:61], v30 src0_sel:WORD_1
	v_cvt_pk_f32_fp8_sdwa v[30:31], v31 src0_sel:WORD_1
	v_mfma_f32_16x16x16_f16 v[22:25], v[66:67], v[52:53], v[22:25]
	v_cvt_pkrtz_f16_f32 v58, v58, v59
	v_cvt_pkrtz_f16_f32 v59, v60, v61
	;; [unrolled: 1-line block ×3, first 2 shown]
	v_cvt_pk_f32_fp8_e32 v[66:67], v32
	v_cvt_pkrtz_f16_f32 v65, v30, v31
	v_mfma_f32_16x16x16_f16 v[58:61], v[58:59], v[34:35], 0
	v_cvt_pkrtz_f16_f32 v30, v66, v67
	v_cvt_pkrtz_f16_f32 v31, v68, v69
	v_cvt_pk_f32_fp8_e32 v[66:67], v33
	v_mfma_f32_16x16x16_f16 v[34:37], v[64:65], v[36:37], v[58:61]
	s_barrier
	s_nop 1
	v_cvt_pk_f32_fp8_sdwa v[58:59], v33 src0_sel:WORD_1
	v_cvt_pkrtz_f16_f32 v60, v66, v67
	v_mfma_f32_16x16x16_f16 v[30:33], v[30:31], v[38:39], v[34:37]
	s_waitcnt vmcnt(2)
	v_cvt_pk_f32_fp8_e32 v[38:39], v19
	v_cvt_pkrtz_f16_f32 v61, v58, v59
	v_cvt_pk_f32_fp8_e32 v[34:35], v18
	v_cvt_pk_f32_fp8_sdwa v[36:37], v18 src0_sel:WORD_1
	v_cvt_pk_f32_fp8_sdwa v[18:19], v19 src0_sel:WORD_1
	v_mfma_f32_16x16x16_f16 v[30:33], v[60:61], v[40:41], v[30:33]
	v_cvt_pkrtz_f16_f32 v34, v34, v35
	v_cvt_pkrtz_f16_f32 v35, v36, v37
	;; [unrolled: 1-line block ×3, first 2 shown]
	v_cvt_pk_f32_fp8_e32 v[38:39], v20
	v_cvt_pk_f32_fp8_sdwa v[40:41], v20 src0_sel:WORD_1
	v_cvt_pkrtz_f16_f32 v37, v18, v19
	v_mfma_f32_16x16x16_f16 v[30:33], v[34:35], v[6:7], v[30:33]
	v_cvt_pkrtz_f16_f32 v18, v38, v39
	v_cvt_pkrtz_f16_f32 v19, v40, v41
	v_cvt_pk_f32_fp8_e32 v[34:35], v21
	v_cvt_pk_f32_fp8_sdwa v[20:21], v21 src0_sel:WORD_1
	v_mfma_f32_16x16x16_f16 v[6:9], v[36:37], v[8:9], v[30:33]
	s_nop 2
	v_cvt_pkrtz_f16_f32 v30, v34, v35
	v_cvt_pkrtz_f16_f32 v31, v20, v21
	v_mfma_f32_16x16x16_f16 v[6:9], v[18:19], v[42:43], v[6:9]
	s_waitcnt vmcnt(1)
	v_cvt_pk_f32_fp8_e32 v[18:19], v14
	v_cvt_pk_f32_fp8_sdwa v[20:21], v14 src0_sel:WORD_1
	v_cvt_pk_f32_fp8_sdwa v[32:33], v16 src0_sel:WORD_1
	v_mfma_f32_16x16x16_f16 v[6:9], v[30:31], v[44:45], v[6:9]
	v_cvt_pk_f32_fp8_e32 v[30:31], v15
	v_cvt_pkrtz_f16_f32 v18, v18, v19
	v_cvt_pkrtz_f16_f32 v19, v20, v21
	v_cvt_pk_f32_fp8_sdwa v[14:15], v15 src0_sel:WORD_1
	v_cvt_pkrtz_f16_f32 v20, v30, v31
	v_cvt_pk_f32_fp8_e32 v[30:31], v16
	v_mfma_f32_16x16x16_f16 v[6:9], v[18:19], v[2:3], v[6:9]
	v_cvt_pkrtz_f16_f32 v21, v14, v15
	v_cvt_pkrtz_f16_f32 v14, v30, v31
	;; [unrolled: 1-line block ×3, first 2 shown]
	v_cvt_pk_f32_fp8_e32 v[18:19], v17
	v_cvt_pk_f32_fp8_sdwa v[16:17], v17 src0_sel:WORD_1
	v_mfma_f32_16x16x16_f16 v[2:5], v[20:21], v[4:5], v[6:9]
	s_waitcnt vmcnt(0)
	v_cvt_pk_f32_fp8_sdwa v[20:21], v12 src0_sel:WORD_1
	s_nop 0
	v_cvt_pkrtz_f16_f32 v8, v18, v19
	v_cvt_pkrtz_f16_f32 v9, v16, v17
	v_mfma_f32_16x16x16_f16 v[2:5], v[14:15], v[46:47], v[2:5]
	v_cvt_pk_f32_fp8_e32 v[16:17], v10
	v_cvt_pk_f32_fp8_sdwa v[18:19], v10 src0_sel:WORD_1
	v_pk_mul_f32 v[6:7], v[24:25], s[4:5] op_sel_hi:[1,0]
	v_mfma_f32_16x16x16_f16 v[2:5], v[8:9], v[48:49], v[2:5]
	v_cvt_pk_f32_fp8_e32 v[8:9], v11
	v_cvt_pkrtz_f16_f32 v16, v16, v17
	v_cvt_pkrtz_f16_f32 v17, v18, v19
	v_cvt_pk_f32_fp8_sdwa v[10:11], v11 src0_sel:WORD_1
	v_cvt_pkrtz_f16_f32 v8, v8, v9
	v_cvt_pk_f32_fp8_e32 v[18:19], v12
	v_mfma_f32_16x16x16_f16 v[2:5], v[16:17], v[26:27], v[2:5]
	v_cvt_pkrtz_f16_f32 v9, v10, v11
	v_cvt_pkrtz_f16_f32 v10, v18, v19
	;; [unrolled: 1-line block ×3, first 2 shown]
	v_cvt_pk_f32_fp8_e32 v[16:17], v13
	v_cvt_pk_f32_fp8_sdwa v[12:13], v13 src0_sel:WORD_1
	v_mfma_f32_16x16x16_f16 v[2:5], v[8:9], v[28:29], v[2:5]
	v_pk_mul_f32 v[14:15], v[22:23], s[4:5] op_sel_hi:[1,0]
	v_cvt_pkrtz_f16_f32 v8, v16, v17
	v_cvt_pkrtz_f16_f32 v9, v12, v13
	v_mfma_f32_16x16x16_f16 v[2:5], v[10:11], v[50:51], v[2:5]
	v_cvt_f16_f32_e32 v14, v14
	v_cvt_f16_f32_e32 v10, v15
	;; [unrolled: 1-line block ×3, first 2 shown]
	v_mfma_f32_16x16x16_f16 v[2:5], v[8:9], v[52:53], v[2:5]
	v_cvt_f16_f32_e32 v7, v7
	s_nop 5
	v_pk_mul_f32 v[4:5], v[4:5], s[4:5] op_sel_hi:[1,0]
	v_pk_mul_f32 v[2:3], v[2:3], s[4:5] op_sel_hi:[1,0]
	v_cvt_f16_f32_e32 v11, v4
	v_cvt_f16_f32_e32 v8, v2
	;; [unrolled: 1-line block ×4, first 2 shown]
	v_pack_b32_f16 v2, v14, v10
	v_pack_b32_f16 v3, v6, v7
	;; [unrolled: 1-line block ×4, first 2 shown]
	ds_write2st64_b64 v55, v[2:3], v[4:5] offset1:1
	s_waitcnt lgkmcnt(0)
	s_barrier
	s_and_saveexec_b64 s[4:5], vcc
	s_cbranch_execz .LBB1053_20
; %bb.18:
	s_load_dwordx2 s[4:5], s[0:1], 0x68
	s_lshl_b32 s0, s7, 7
	s_mul_i32 s1, s8, s2
	v_lshlrev_b32_e32 v4, 6, v56
	s_mul_hi_u32 s9, s1, s0
	s_mul_i32 s8, s1, s0
	v_lshl_or_b32 v0, v0, 10, v4
	s_lshl_b64 s[8:9], s[8:9], 1
	v_lshlrev_b32_e32 v3, 5, v62
	v_and_b32_e32 v1, 16, v1
	v_and_b32_e32 v0, 0x1a00, v0
	s_waitcnt lgkmcnt(0)
	s_add_u32 s1, s4, s8
	v_or3_b32 v3, v0, v3, v1
	s_addc_u32 s4, s5, s9
	s_lshl_b32 s2, s6, 7
	s_lshl_b64 s[2:3], s[2:3], 1
	ds_read_b128 v[4:7], v3
	s_add_u32 s2, s1, s2
	s_addc_u32 s3, s4, s3
	v_mov_b32_e32 v55, 0
	v_add_u32_e32 v8, s48, v62
	v_or_b32_e32 v2, 4, v62
	v_lshl_add_u64 v[0:1], s[2:3], 0, v[54:55]
	v_mad_u64_u32 v[8:9], s[2:3], v8, s0, 0
	v_lshl_add_u64 v[8:9], v[8:9], 1, v[0:1]
	v_cmp_gt_u32_e32 vcc, 6, v2
	s_waitcnt lgkmcnt(0)
	global_store_dwordx4 v[8:9], v[4:7], off
	s_and_b64 exec, exec, vcc
	s_cbranch_execz .LBB1053_20
; %bb.19:
	ds_read_b128 v[4:7], v3 offset:128
	v_add_u32_e32 v2, s48, v2
	v_mad_u64_u32 v[2:3], s[0:1], v2, s0, 0
	v_lshl_add_u64 v[0:1], v[2:3], 1, v[0:1]
	s_waitcnt lgkmcnt(0)
	global_store_dwordx4 v[0:1], v[4:7], off
.LBB1053_20:
	s_endpgm
	.section	.rodata,"a",@progbits
	.p2align	6, 0x0
	.amdhsa_kernel _Z39paged_attention_ll4mi_QKV_mfma16_kernelIDF16_hLN4vllm18Fp8KVCacheDataTypeE1EDF16_Li32ELi128ELi256ELb1ELi6EEvPKT_PKT0_S7_ifPKiS9_S9_iPKfiiiPfSC_PS2_PT2_iSB_SB_
		.amdhsa_group_segment_fixed_size 8192
		.amdhsa_private_segment_fixed_size 0
		.amdhsa_kernarg_size 400
		.amdhsa_user_sgpr_count 2
		.amdhsa_user_sgpr_dispatch_ptr 0
		.amdhsa_user_sgpr_queue_ptr 0
		.amdhsa_user_sgpr_kernarg_segment_ptr 1
		.amdhsa_user_sgpr_dispatch_id 0
		.amdhsa_user_sgpr_kernarg_preload_length 0
		.amdhsa_user_sgpr_kernarg_preload_offset 0
		.amdhsa_user_sgpr_private_segment_size 0
		.amdhsa_uses_dynamic_stack 0
		.amdhsa_enable_private_segment 0
		.amdhsa_system_sgpr_workgroup_id_x 1
		.amdhsa_system_sgpr_workgroup_id_y 1
		.amdhsa_system_sgpr_workgroup_id_z 1
		.amdhsa_system_sgpr_workgroup_info 0
		.amdhsa_system_vgpr_workitem_id 0
		.amdhsa_next_free_vgpr 78
		.amdhsa_next_free_sgpr 50
		.amdhsa_accum_offset 80
		.amdhsa_reserve_vcc 1
		.amdhsa_float_round_mode_32 0
		.amdhsa_float_round_mode_16_64 0
		.amdhsa_float_denorm_mode_32 3
		.amdhsa_float_denorm_mode_16_64 3
		.amdhsa_dx10_clamp 1
		.amdhsa_ieee_mode 1
		.amdhsa_fp16_overflow 0
		.amdhsa_tg_split 0
		.amdhsa_exception_fp_ieee_invalid_op 0
		.amdhsa_exception_fp_denorm_src 0
		.amdhsa_exception_fp_ieee_div_zero 0
		.amdhsa_exception_fp_ieee_overflow 0
		.amdhsa_exception_fp_ieee_underflow 0
		.amdhsa_exception_fp_ieee_inexact 0
		.amdhsa_exception_int_div_zero 0
	.end_amdhsa_kernel
	.section	.text._Z39paged_attention_ll4mi_QKV_mfma16_kernelIDF16_hLN4vllm18Fp8KVCacheDataTypeE1EDF16_Li32ELi128ELi256ELb1ELi6EEvPKT_PKT0_S7_ifPKiS9_S9_iPKfiiiPfSC_PS2_PT2_iSB_SB_,"axG",@progbits,_Z39paged_attention_ll4mi_QKV_mfma16_kernelIDF16_hLN4vllm18Fp8KVCacheDataTypeE1EDF16_Li32ELi128ELi256ELb1ELi6EEvPKT_PKT0_S7_ifPKiS9_S9_iPKfiiiPfSC_PS2_PT2_iSB_SB_,comdat
.Lfunc_end1053:
	.size	_Z39paged_attention_ll4mi_QKV_mfma16_kernelIDF16_hLN4vllm18Fp8KVCacheDataTypeE1EDF16_Li32ELi128ELi256ELb1ELi6EEvPKT_PKT0_S7_ifPKiS9_S9_iPKfiiiPfSC_PS2_PT2_iSB_SB_, .Lfunc_end1053-_Z39paged_attention_ll4mi_QKV_mfma16_kernelIDF16_hLN4vllm18Fp8KVCacheDataTypeE1EDF16_Li32ELi128ELi256ELb1ELi6EEvPKT_PKT0_S7_ifPKiS9_S9_iPKfiiiPfSC_PS2_PT2_iSB_SB_
                                        ; -- End function
	.section	.AMDGPU.csdata,"",@progbits
; Kernel info:
; codeLenInByte = 6360
; NumSgprs: 56
; NumVgprs: 78
; NumAgprs: 0
; TotalNumVgprs: 78
; ScratchSize: 0
; MemoryBound: 0
; FloatMode: 240
; IeeeMode: 1
; LDSByteSize: 8192 bytes/workgroup (compile time only)
; SGPRBlocks: 6
; VGPRBlocks: 9
; NumSGPRsForWavesPerEU: 56
; NumVGPRsForWavesPerEU: 78
; AccumOffset: 80
; Occupancy: 6
; WaveLimiterHint : 1
; COMPUTE_PGM_RSRC2:SCRATCH_EN: 0
; COMPUTE_PGM_RSRC2:USER_SGPR: 2
; COMPUTE_PGM_RSRC2:TRAP_HANDLER: 0
; COMPUTE_PGM_RSRC2:TGID_X_EN: 1
; COMPUTE_PGM_RSRC2:TGID_Y_EN: 1
; COMPUTE_PGM_RSRC2:TGID_Z_EN: 1
; COMPUTE_PGM_RSRC2:TIDIG_COMP_CNT: 0
; COMPUTE_PGM_RSRC3_GFX90A:ACCUM_OFFSET: 19
; COMPUTE_PGM_RSRC3_GFX90A:TG_SPLIT: 0
	.section	.text._Z39paged_attention_ll4mi_QKV_mfma16_kernelIDF16_hLN4vllm18Fp8KVCacheDataTypeE1EDF16_Li32ELi128ELi256ELb1ELi7EEvPKT_PKT0_S7_ifPKiS9_S9_iPKfiiiPfSC_PS2_PT2_iSB_SB_,"axG",@progbits,_Z39paged_attention_ll4mi_QKV_mfma16_kernelIDF16_hLN4vllm18Fp8KVCacheDataTypeE1EDF16_Li32ELi128ELi256ELb1ELi7EEvPKT_PKT0_S7_ifPKiS9_S9_iPKfiiiPfSC_PS2_PT2_iSB_SB_,comdat
	.protected	_Z39paged_attention_ll4mi_QKV_mfma16_kernelIDF16_hLN4vllm18Fp8KVCacheDataTypeE1EDF16_Li32ELi128ELi256ELb1ELi7EEvPKT_PKT0_S7_ifPKiS9_S9_iPKfiiiPfSC_PS2_PT2_iSB_SB_ ; -- Begin function _Z39paged_attention_ll4mi_QKV_mfma16_kernelIDF16_hLN4vllm18Fp8KVCacheDataTypeE1EDF16_Li32ELi128ELi256ELb1ELi7EEvPKT_PKT0_S7_ifPKiS9_S9_iPKfiiiPfSC_PS2_PT2_iSB_SB_
	.globl	_Z39paged_attention_ll4mi_QKV_mfma16_kernelIDF16_hLN4vllm18Fp8KVCacheDataTypeE1EDF16_Li32ELi128ELi256ELb1ELi7EEvPKT_PKT0_S7_ifPKiS9_S9_iPKfiiiPfSC_PS2_PT2_iSB_SB_
	.p2align	8
	.type	_Z39paged_attention_ll4mi_QKV_mfma16_kernelIDF16_hLN4vllm18Fp8KVCacheDataTypeE1EDF16_Li32ELi128ELi256ELb1ELi7EEvPKT_PKT0_S7_ifPKiS9_S9_iPKfiiiPfSC_PS2_PT2_iSB_SB_,@function
_Z39paged_attention_ll4mi_QKV_mfma16_kernelIDF16_hLN4vllm18Fp8KVCacheDataTypeE1EDF16_Li32ELi128ELi256ELb1ELi7EEvPKT_PKT0_S7_ifPKiS9_S9_iPKfiiiPfSC_PS2_PT2_iSB_SB_: ; @_Z39paged_attention_ll4mi_QKV_mfma16_kernelIDF16_hLN4vllm18Fp8KVCacheDataTypeE1EDF16_Li32ELi128ELi256ELb1ELi7EEvPKT_PKT0_S7_ifPKiS9_S9_iPKfiiiPfSC_PS2_PT2_iSB_SB_
; %bb.0:
	s_load_dwordx2 s[10:11], s[0:1], 0x30
	s_mov_b32 s6, s3
	s_mov_b64 s[8:9], 0
	s_waitcnt lgkmcnt(0)
	s_cmp_lg_u64 s[10:11], 0
	s_cselect_b64 s[12:13], -1, 0
	s_and_b64 vcc, exec, s[12:13]
	s_cbranch_vccz .LBB1054_7
; %bb.1:
	s_add_i32 s14, s2, 1
	s_mov_b32 s15, 0
	s_lshl_b64 s[16:17], s[14:15], 2
	s_add_u32 s16, s10, s16
	s_mov_b32 s3, s15
	s_addc_u32 s17, s11, s17
	s_lshl_b64 s[14:15], s[2:3], 2
	s_add_u32 s14, s10, s14
	s_addc_u32 s15, s11, s15
	s_load_dword s5, s[16:17], 0x0
	s_load_dword s7, s[14:15], 0x0
	s_waitcnt lgkmcnt(0)
	s_sub_i32 s5, s5, s7
	s_cmp_eq_u32 s5, 1
	s_cselect_b64 s[14:15], -1, 0
	s_andn2_b64 vcc, exec, s[8:9]
	s_cbranch_vccnz .LBB1054_3
.LBB1054_2:
	s_mov_b32 s3, 0
	s_mov_b64 s[14:15], -1
.LBB1054_3:
	s_andn2_b64 vcc, exec, s[14:15]
	s_cbranch_vccnz .LBB1054_20
; %bb.4:
	s_load_dwordx2 s[8:9], s[0:1], 0x28
	s_lshl_b64 s[16:17], s[2:3], 2
	s_waitcnt lgkmcnt(0)
	s_add_u32 s8, s8, s16
	s_addc_u32 s9, s9, s17
	s_load_dword s7, s[8:9], 0x0
	s_lshl_b32 s18, s6, 8
	s_waitcnt lgkmcnt(0)
	s_cmp_ge_i32 s18, s7
	s_cbranch_scc1 .LBB1054_20
; %bb.5:
	s_load_dwordx2 s[8:9], s[0:1], 0x20
	s_load_dword s5, s[0:1], 0x38
	s_add_i32 s14, s7, 31
	s_ashr_i32 s15, s14, 31
	v_and_b32_e32 v1, 0xcf, v0
	s_lshr_b32 s15, s15, 27
	v_add_u32_e32 v1, s18, v1
	s_add_i32 s14, s14, s15
	v_ashrrev_i32_e32 v2, 31, v1
	s_ashr_i32 s19, s14, 5
	v_lshrrev_b32_e32 v4, 27, v2
	s_add_i32 s19, s19, -1
	s_waitcnt lgkmcnt(0)
	s_mul_i32 s14, s2, s5
	s_mov_b32 s15, 0
	v_add_u32_e32 v2, v1, v4
	s_lshl_b64 s[14:15], s[14:15], 2
	v_ashrrev_i32_e32 v2, 5, v2
	v_mov_b32_e32 v5, s19
	v_cmp_gt_i32_e32 vcc, s7, v1
	s_add_u32 s8, s8, s14
	s_addc_u32 s9, s9, s15
	v_cndmask_b32_e32 v2, v5, v2, vcc
	v_ashrrev_i32_e32 v3, 31, v2
	v_lshl_add_u64 v[6:7], v[2:3], 2, s[8:9]
	v_or_b32_e32 v2, 16, v1
	v_add_u32_e32 v3, v2, v4
	v_ashrrev_i32_e32 v3, 5, v3
	v_cmp_gt_i32_e32 vcc, s7, v2
	s_load_dwordx2 s[14:15], s[0:1], 0x8
	s_nop 0
	v_cndmask_b32_e32 v2, v5, v3, vcc
	v_ashrrev_i32_e32 v3, 31, v2
	v_lshl_add_u64 v[8:9], v[2:3], 2, s[8:9]
	v_or_b32_e32 v2, 32, v1
	v_add_u32_e32 v3, v2, v4
	v_ashrrev_i32_e32 v3, 5, v3
	v_cmp_gt_i32_e32 vcc, s7, v2
	v_or_b32_e32 v1, 48, v1
	s_nop 0
	v_cndmask_b32_e32 v2, v5, v3, vcc
	v_ashrrev_i32_e32 v3, 31, v2
	v_lshl_add_u64 v[12:13], v[2:3], 2, s[8:9]
	v_add_u32_e32 v2, v1, v4
	v_ashrrev_i32_e32 v2, 5, v2
	v_cmp_gt_i32_e32 vcc, s7, v1
	s_nop 1
	v_cndmask_b32_e32 v2, v5, v2, vcc
	v_ashrrev_i32_e32 v3, 31, v2
	v_lshl_add_u64 v[14:15], v[2:3], 2, s[8:9]
	global_load_dword v4, v[6:7], off
	global_load_dword v3, v[8:9], off
	;; [unrolled: 1-line block ×4, first 2 shown]
	s_andn2_b64 vcc, exec, s[12:13]
	s_cbranch_vccnz .LBB1054_8
; %bb.6:
	s_add_u32 s10, s10, s16
	s_addc_u32 s11, s11, s17
	s_load_dword s5, s[10:11], 0x0
	s_branch .LBB1054_9
.LBB1054_7:
	s_mov_b64 s[14:15], 0
	s_branch .LBB1054_2
.LBB1054_8:
	s_mov_b32 s5, s2
.LBB1054_9:
	s_load_dwordx2 s[10:11], s[0:1], 0x10
	s_load_dwordx4 s[44:47], s[0:1], 0x48
	v_lshrrev_b32_e32 v57, 6, v0
	v_bfe_u32 v62, v0, 4, 2
	v_and_b32_e32 v56, 15, v0
	v_lshl_or_b32 v5, v57, 2, v62
	v_lshlrev_b32_e32 v1, 3, v56
	s_mul_i32 s48, s4, 7
	v_cmp_gt_u32_e32 vcc, 7, v5
	v_lshlrev_b32_e32 v54, 1, v1
	v_lshlrev_b32_e32 v1, 4, v0
	s_and_saveexec_b64 s[12:13], vcc
	s_cbranch_execz .LBB1054_11
; %bb.10:
	s_load_dwordx2 s[16:17], s[0:1], 0x0
	s_waitcnt lgkmcnt(0)
	s_ashr_i32 s20, s44, 31
	s_mul_hi_u32 s21, s5, s44
	s_mul_i32 s20, s5, s20
	s_add_i32 s21, s21, s20
	s_mul_i32 s20, s5, s44
	s_lshl_b64 s[20:21], s[20:21], 1
	s_add_u32 s16, s16, s20
	v_add_lshl_u32 v6, v5, s48, 7
	s_addc_u32 s17, s17, s21
	v_ashrrev_i32_e32 v7, 31, v6
	v_lshl_add_u64 v[6:7], v[6:7], 1, s[16:17]
	v_mov_b32_e32 v55, 0
	v_lshl_add_u64 v[6:7], v[6:7], 0, v[54:55]
	global_load_dwordx4 v[6:9], v[6:7], off
	v_lshlrev_b32_e32 v12, 8, v0
	v_lshlrev_b32_e32 v11, 8, v56
	v_and_b32_e32 v12, 0x600, v12
	s_movk_i32 s5, 0x800
	v_and_or_b32 v11, v11, s5, v12
	v_lshlrev_b32_e32 v5, 5, v5
	v_and_b32_e32 v12, 16, v1
	v_or3_b32 v5, v11, v5, v12
	s_waitcnt vmcnt(0)
	ds_write_b128 v5, v[6:9]
.LBB1054_11:
	s_or_b64 exec, exec, s[12:13]
	s_waitcnt lgkmcnt(0)
	s_mul_i32 s12, s4, s46
	s_add_u32 s4, s14, s12
	s_addc_u32 s5, s15, 0
	v_mov_b32_e32 v59, 0
	v_mov_b64_e32 v[12:13], s[4:5]
	v_and_b32_e32 v34, 48, v0
	s_waitcnt vmcnt(3)
	v_mad_i64_i32 v[4:5], s[4:5], v4, s45, v[12:13]
	v_lshlrev_b32_e32 v14, 4, v56
	v_mov_b32_e32 v15, v59
	v_lshlrev_b32_e32 v58, 5, v34
	v_lshl_add_u64 v[4:5], v[4:5], 0, v[14:15]
	v_lshl_add_u64 v[4:5], v[4:5], 0, v[58:59]
	s_barrier
	global_load_dwordx4 v[50:53], v[4:5], off
	global_load_dwordx4 v[46:49], v[4:5], off offset:2048
	s_waitcnt vmcnt(4)
	v_mad_i64_i32 v[4:5], s[4:5], v3, s45, v[12:13]
	v_or_b32_e32 v16, 0x100, v14
	v_mov_b32_e32 v17, v59
	s_waitcnt vmcnt(3)
	v_mad_i64_i32 v[2:3], s[4:5], v2, s45, v[12:13]
	v_lshl_add_u64 v[4:5], v[4:5], 0, v[16:17]
	v_lshl_add_u64 v[2:3], v[2:3], 0, v[14:15]
	s_waitcnt vmcnt(2)
	v_mad_i64_i32 v[10:11], s[4:5], v10, s45, v[12:13]
	v_lshl_add_u64 v[4:5], v[4:5], 0, v[58:59]
	v_lshl_add_u64 v[14:15], v[2:3], 0, v[58:59]
	;; [unrolled: 1-line block ×3, first 2 shown]
	global_load_dwordx4 v[36:39], v[4:5], off
	global_load_dwordx4 v[6:9], v[4:5], off offset:2048
	s_nop 0
	global_load_dwordx4 v[2:5], v[14:15], off
	global_load_dwordx4 v[42:45], v[14:15], off offset:2048
	v_lshl_add_u64 v[14:15], v[10:11], 0, v[58:59]
	global_load_dwordx4 v[26:29], v[14:15], off
	global_load_dwordx4 v[10:13], v[14:15], off offset:2048
	v_mul_lo_u16_e32 v14, 37, v56
	v_mov_b32_e32 v15, 7
	v_mul_lo_u16_sdwa v14, v14, v15 dst_sel:DWORD dst_unused:UNUSED_PAD src0_sel:BYTE_1 src1_sel:DWORD
	v_sub_u16_e32 v14, v56, v14
	v_mov_b32_e32 v15, 5
	v_lshlrev_b32_sdwa v14, v15, v14 dst_sel:DWORD dst_unused:UNUSED_PAD src0_sel:DWORD src1_sel:BYTE_0
	v_lshl_add_u32 v14, v62, 9, v14
	ds_read_b128 v[30:33], v14
	ds_read_b128 v[22:25], v14 offset:16
	ds_read_b128 v[18:21], v14 offset:2048
	;; [unrolled: 1-line block ×3, first 2 shown]
	v_and_b32_e32 v55, 63, v0
	v_cmp_gt_u32_e32 vcc, 7, v56
	v_mov_b32_e32 v63, 0
	s_and_saveexec_b64 s[4:5], vcc
	s_cbranch_execz .LBB1054_13
; %bb.12:
	s_load_dwordx2 s[14:15], s[0:1], 0x40
	v_add_u32_e32 v40, s48, v56
	v_ashrrev_i32_e32 v41, 31, v40
	s_waitcnt lgkmcnt(0)
	v_lshl_add_u64 v[40:41], v[40:41], 2, s[14:15]
	global_load_dword v63, v[40:41], off
.LBB1054_13:
	s_or_b64 exec, exec, s[4:5]
	s_ashr_i32 s4, s18, 31
	v_or_b32_e32 v58, s18, v34
	s_lshr_b32 s4, s4, 27
	v_add_u32_e32 v34, s4, v58
	v_cmp_gt_i32_e32 vcc, s7, v58
	v_or_b32_e32 v40, 64, v58
	v_or_b32_e32 v60, 0x80, v58
	;; [unrolled: 1-line block ×3, first 2 shown]
	v_add_u32_e32 v64, s4, v58
	v_ashrrev_i32_e32 v69, 5, v64
	s_waitcnt vmcnt(7)
	v_cvt_pk_f32_fp8_e32 v[64:65], v50
	v_cvt_pk_f32_fp8_sdwa v[66:67], v50 src0_sel:WORD_1
	v_cvt_pk_f32_fp8_e32 v[70:71], v51
	v_cvt_pk_f32_fp8_sdwa v[50:51], v51 src0_sel:WORD_1
	v_cvt_pkrtz_f16_f32 v64, v64, v65
	v_cvt_pkrtz_f16_f32 v65, v66, v67
	;; [unrolled: 1-line block ×3, first 2 shown]
	v_cvt_pk_f32_fp8_e32 v[72:73], v52
	v_cvt_pk_f32_fp8_sdwa v[74:75], v52 src0_sel:WORD_1
	v_cvt_pkrtz_f16_f32 v71, v50, v51
	s_waitcnt lgkmcnt(3)
	v_mfma_f32_16x16x16_f16 v[64:67], v[64:65], v[30:31], 0
	v_cvt_pkrtz_f16_f32 v72, v72, v73
	v_cvt_pkrtz_f16_f32 v73, v74, v75
	v_cvt_pk_f32_fp8_e32 v[74:75], v53
	v_cvt_pk_f32_fp8_sdwa v[76:77], v53 src0_sel:WORD_1
	v_mfma_f32_16x16x16_f16 v[50:53], v[70:71], v[32:33], v[64:67]
	v_ashrrev_i32_e32 v34, 5, v34
	v_mov_b32_e32 v68, s19
	v_add_u32_e32 v41, s4, v40
	v_cndmask_b32_e32 v34, v68, v34, vcc
	v_ashrrev_i32_e32 v41, 5, v41
	v_cmp_gt_i32_e32 vcc, s7, v40
	v_add_u32_e32 v61, s4, v60
	v_cvt_pkrtz_f16_f32 v64, v74, v75
	v_cvt_pkrtz_f16_f32 v65, v76, v77
	v_cndmask_b32_e32 v40, v68, v41, vcc
	v_ashrrev_i32_e32 v61, 5, v61
	v_cmp_gt_i32_e32 vcc, s7, v60
	s_waitcnt lgkmcnt(2)
	v_mfma_f32_16x16x16_f16 v[50:53], v[72:73], v[22:23], v[50:53]
	s_waitcnt vmcnt(6)
	v_cvt_pk_f32_fp8_e32 v[66:67], v46
	v_cndmask_b32_e32 v60, v68, v61, vcc
	v_cmp_gt_i32_e32 vcc, s7, v58
	v_ashrrev_i32_e32 v35, 31, v34
	v_lshl_add_u64 v[34:35], v[34:35], 2, s[8:9]
	v_cndmask_b32_e32 v68, v68, v69, vcc
	v_ashrrev_i32_e32 v41, 31, v40
	v_ashrrev_i32_e32 v61, 31, v60
	;; [unrolled: 1-line block ×3, first 2 shown]
	v_lshl_add_u64 v[40:41], v[40:41], 2, s[8:9]
	v_lshl_add_u64 v[60:61], v[60:61], 2, s[8:9]
	;; [unrolled: 1-line block ×3, first 2 shown]
	v_mfma_f32_16x16x16_f16 v[50:53], v[64:65], v[24:25], v[50:53]
	v_cvt_pkrtz_f16_f32 v74, v66, v67
	global_load_dword v68, v[34:35], off
	global_load_dword v66, v[40:41], off
	;; [unrolled: 1-line block ×4, first 2 shown]
	v_cvt_pk_f32_fp8_sdwa v[70:71], v46 src0_sel:WORD_1
	v_cvt_pk_f32_fp8_e32 v[40:41], v48
	s_waitcnt vmcnt(9)
	v_cvt_pk_f32_fp8_e32 v[60:61], v36
	s_add_u32 s4, s10, s12
	v_cvt_pkrtz_f16_f32 v75, v70, v71
	v_cvt_pk_f32_fp8_e32 v[70:71], v47
	v_cvt_pk_f32_fp8_sdwa v[46:47], v47 src0_sel:WORD_1
	s_waitcnt lgkmcnt(1)
	v_mfma_f32_16x16x16_f16 v[50:53], v[74:75], v[18:19], v[50:53]
	v_cvt_pkrtz_f16_f32 v34, v70, v71
	v_cvt_pkrtz_f16_f32 v35, v46, v47
	v_cvt_pk_f32_fp8_sdwa v[46:47], v48 src0_sel:WORD_1
	v_cvt_pkrtz_f16_f32 v40, v40, v41
	v_mfma_f32_16x16x16_f16 v[50:53], v[34:35], v[20:21], v[50:53]
	v_cvt_pkrtz_f16_f32 v41, v46, v47
	v_cvt_pk_f32_fp8_e32 v[34:35], v49
	v_cvt_pk_f32_fp8_sdwa v[46:47], v49 src0_sel:WORD_1
	v_cvt_pk_f32_fp8_sdwa v[70:71], v36 src0_sel:WORD_1
	s_addc_u32 s5, s11, 0
	v_cvt_pkrtz_f16_f32 v34, v34, v35
	v_cvt_pkrtz_f16_f32 v35, v46, v47
	s_waitcnt lgkmcnt(0)
	v_mfma_f32_16x16x16_f16 v[46:49], v[40:41], v[14:15], v[50:53]
	v_cvt_pkrtz_f16_f32 v40, v60, v61
	v_cvt_pkrtz_f16_f32 v41, v70, v71
	s_waitcnt vmcnt(8)
	v_cvt_pk_f32_fp8_sdwa v[60:61], v6 src0_sel:WORD_1
	v_cvt_pk_f32_fp8_e32 v[50:51], v37
	v_cvt_pk_f32_fp8_sdwa v[52:53], v37 src0_sel:WORD_1
	v_mfma_f32_16x16x16_f16 v[34:37], v[34:35], v[16:17], v[46:49]
	v_and_b32_e32 v58, 16, v0
	v_cvt_pkrtz_f16_f32 v50, v50, v51
	v_cvt_pkrtz_f16_f32 v51, v52, v53
	v_mfma_f32_16x16x16_f16 v[46:49], v[40:41], v[30:31], 0
	v_cvt_pk_f32_fp8_e32 v[40:41], v38
	v_cvt_pk_f32_fp8_sdwa v[52:53], v38 src0_sel:WORD_1
	v_lshl_or_b32 v64, v57, 4, v56
	v_mfma_f32_16x16x16_f16 v[46:49], v[50:51], v[32:33], v[46:49]
	v_cvt_pk_f32_fp8_e32 v[50:51], v39
	v_cvt_pkrtz_f16_f32 v40, v40, v41
	v_cvt_pkrtz_f16_f32 v41, v52, v53
	v_cvt_pk_f32_fp8_sdwa v[38:39], v39 src0_sel:WORD_1
	v_cvt_pkrtz_f16_f32 v50, v50, v51
	v_cvt_pk_f32_fp8_e32 v[52:53], v6
	s_waitcnt vmcnt(6)
	v_cvt_pk_f32_fp8_e32 v[74:75], v43
	v_cvt_pkrtz_f16_f32 v51, v38, v39
	v_mfma_f32_16x16x16_f16 v[38:41], v[40:41], v[22:23], v[46:49]
	s_nop 2
	v_cvt_pkrtz_f16_f32 v48, v52, v53
	v_cvt_pkrtz_f16_f32 v49, v60, v61
	v_cvt_pk_f32_fp8_e32 v[52:53], v7
	v_cvt_pk_f32_fp8_sdwa v[6:7], v7 src0_sel:WORD_1
	v_mfma_f32_16x16x16_f16 v[38:41], v[50:51], v[24:25], v[38:41]
	v_lshl_add_u64 v[46:47], s[4:5], 0, v[58:59]
	v_cvt_pkrtz_f16_f32 v50, v52, v53
	v_cvt_pkrtz_f16_f32 v51, v6, v7
	v_mfma_f32_16x16x16_f16 v[38:41], v[48:49], v[18:19], v[38:41]
	v_cvt_pk_f32_fp8_e32 v[6:7], v8
	v_cvt_pk_f32_fp8_sdwa v[48:49], v8 src0_sel:WORD_1
	v_cvt_pk_f32_fp8_sdwa v[52:53], v2 src0_sel:WORD_1
	v_mfma_f32_16x16x16_f16 v[38:41], v[50:51], v[20:21], v[38:41]
	v_cvt_pk_f32_fp8_e32 v[50:51], v9
	v_cvt_pkrtz_f16_f32 v6, v6, v7
	v_cvt_pkrtz_f16_f32 v7, v48, v49
	v_cvt_pk_f32_fp8_sdwa v[8:9], v9 src0_sel:WORD_1
	v_cvt_pkrtz_f16_f32 v48, v50, v51
	v_cvt_pk_f32_fp8_e32 v[50:51], v2
	v_lshlrev_b32_e32 v58, 5, v64
	v_cvt_pkrtz_f16_f32 v49, v8, v9
	v_mfma_f32_16x16x16_f16 v[6:9], v[6:7], v[14:15], v[38:41]
	v_cvt_pkrtz_f16_f32 v50, v50, v51
	v_cvt_pkrtz_f16_f32 v51, v52, v53
	v_cvt_pk_f32_fp8_e32 v[52:53], v3
	v_cvt_pk_f32_fp8_sdwa v[2:3], v3 src0_sel:WORD_1
	v_mfma_f32_16x16x16_f16 v[38:41], v[48:49], v[16:17], v[6:9]
	v_lshl_add_u64 v[48:49], v[46:47], 0, v[58:59]
	v_cvt_pkrtz_f16_f32 v52, v52, v53
	v_cvt_pkrtz_f16_f32 v53, v2, v3
	v_mfma_f32_16x16x16_f16 v[6:9], v[50:51], v[30:31], 0
	v_cvt_pk_f32_fp8_e32 v[2:3], v4
	v_cvt_pk_f32_fp8_sdwa v[50:51], v4 src0_sel:WORD_1
	s_waitcnt vmcnt(3)
	v_mad_i64_i32 v[60:61], s[4:5], v68, s45, v[48:49]
	v_cvt_pkrtz_f16_f32 v2, v2, v3
	v_cvt_pkrtz_f16_f32 v3, v50, v51
	v_mfma_f32_16x16x16_f16 v[6:9], v[52:53], v[32:33], v[6:9]
	v_cvt_pk_f32_fp8_e32 v[50:51], v5
	v_cvt_pk_f32_fp8_sdwa v[4:5], v5 src0_sel:WORD_1
	s_waitcnt vmcnt(2)
	v_mad_i64_i32 v[70:71], s[4:5], v66, s45, v[48:49]
	v_cvt_pkrtz_f16_f32 v50, v50, v51
	v_cvt_pkrtz_f16_f32 v51, v4, v5
	v_mfma_f32_16x16x16_f16 v[2:5], v[2:3], v[22:23], v[6:9]
	v_or_b32_e32 v58, 0x800, v58
	s_nop 1
	v_cvt_pk_f32_fp8_e32 v[6:7], v42
	v_cvt_pk_f32_fp8_sdwa v[8:9], v42 src0_sel:WORD_1
	v_cvt_pk_f32_fp8_sdwa v[42:43], v43 src0_sel:WORD_1
	v_mfma_f32_16x16x16_f16 v[50:53], v[50:51], v[24:25], v[2:5]
	v_cvt_pkrtz_f16_f32 v72, v6, v7
	v_cvt_pkrtz_f16_f32 v73, v8, v9
	global_load_dwordx4 v[6:9], v[60:61], off
	global_load_dwordx4 v[2:5], v[70:71], off
	v_cvt_pkrtz_f16_f32 v60, v74, v75
	v_cvt_pkrtz_f16_f32 v61, v42, v43
	v_mfma_f32_16x16x16_f16 v[70:73], v[72:73], v[18:19], v[50:53]
	v_cvt_pk_f32_fp8_e32 v[42:43], v44
	v_cvt_pkrtz_f16_f32 v42, v42, v43
	s_nop 0
	v_cvt_pk_f32_fp8_sdwa v[52:53], v44 src0_sel:WORD_1
	v_mfma_f32_16x16x16_f16 v[70:73], v[60:61], v[20:21], v[70:73]
	v_cvt_pk_f32_fp8_e32 v[60:61], v45
	s_waitcnt vmcnt(3)
	v_mad_i64_i32 v[50:51], s[4:5], v67, s45, v[48:49]
	s_load_dword s4, s[0:1], 0x1c
	s_load_dwordx4 s[40:43], s[0:1], 0x80
	v_cvt_pkrtz_f16_f32 v43, v52, v53
	v_cvt_pkrtz_f16_f32 v74, v60, v61
	v_cvt_pk_f32_fp8_e32 v[52:53], v26
	v_cvt_pk_f32_fp8_sdwa v[60:61], v26 src0_sel:WORD_1
	s_load_dword s33, s[0:1], 0x98
	s_waitcnt lgkmcnt(0)
	s_load_dword s5, s[40:41], 0x0
	v_cvt_pk_f32_fp8_sdwa v[44:45], v45 src0_sel:WORD_1
	v_cvt_pkrtz_f16_f32 v52, v52, v53
	v_cvt_pkrtz_f16_f32 v53, v60, v61
	v_cvt_pk_f32_fp8_e32 v[60:61], v27
	v_cvt_pk_f32_fp8_sdwa v[26:27], v27 src0_sel:WORD_1
	v_cvt_pkrtz_f16_f32 v75, v44, v45
	v_mfma_f32_16x16x16_f16 v[42:45], v[42:43], v[14:15], v[70:73]
	v_cvt_pkrtz_f16_f32 v60, v60, v61
	v_cvt_pkrtz_f16_f32 v61, v26, v27
	v_mov_b32_e32 v26, s4
	v_mfma_f32_16x16x16_f16 v[70:73], v[52:53], v[30:31], 0
	s_waitcnt lgkmcnt(0)
	v_mul_f32_e32 v52, s5, v26
	v_cvt_pk_f32_fp8_e32 v[26:27], v28
	v_cvt_pk_f32_fp8_sdwa v[30:31], v28 src0_sel:WORD_1
	v_mfma_f32_16x16x16_f16 v[70:73], v[60:61], v[32:33], v[70:73]
	v_cvt_pk_f32_fp8_e32 v[32:33], v29
	v_cvt_pk_f32_fp8_sdwa v[28:29], v29 src0_sel:WORD_1
	v_cvt_pkrtz_f16_f32 v26, v26, v27
	v_cvt_pkrtz_f16_f32 v27, v30, v31
	v_mfma_f32_16x16x16_f16 v[42:45], v[74:75], v[16:17], v[42:45]
	v_cvt_pkrtz_f16_f32 v32, v32, v33
	v_cvt_pkrtz_f16_f32 v33, v28, v29
	v_cvt_pk_f32_fp8_e32 v[60:61], v10
	v_cvt_pk_f32_fp8_sdwa v[74:75], v10 src0_sel:WORD_1
	v_mfma_f32_16x16x16_f16 v[26:29], v[26:27], v[22:23], v[70:73]
	v_pk_mul_f32 v[30:31], v[52:53], v[36:37] op_sel_hi:[0,1]
	v_cvt_pkrtz_f16_f32 v36, v60, v61
	v_cvt_pkrtz_f16_f32 v37, v74, v75
	v_cvt_pk_f32_fp8_e32 v[60:61], v11
	v_cvt_pk_f32_fp8_sdwa v[70:71], v11 src0_sel:WORD_1
	v_mfma_f32_16x16x16_f16 v[22:25], v[32:33], v[24:25], v[26:29]
	v_pk_mul_f32 v[10:11], v[52:53], v[34:35] op_sel_hi:[0,1]
	v_cvt_pkrtz_f16_f32 v60, v60, v61
	v_cvt_pkrtz_f16_f32 v61, v70, v71
	v_mfma_f32_16x16x16_f16 v[32:35], v[36:37], v[18:19], v[22:25]
	v_cvt_pk_f32_fp8_e32 v[18:19], v12
	v_cvt_pk_f32_fp8_sdwa v[36:37], v12 src0_sel:WORD_1
	s_waitcnt vmcnt(2)
	v_mad_i64_i32 v[48:49], s[8:9], v65, s45, v[48:49]
	global_load_dwordx4 v[26:29], v[50:51], off
	global_load_dwordx4 v[22:25], v[48:49], off
	v_cvt_pkrtz_f16_f32 v48, v18, v19
	v_cvt_pkrtz_f16_f32 v49, v36, v37
	v_cvt_pk_f32_fp8_e32 v[36:37], v13
	v_cvt_pk_f32_fp8_sdwa v[12:13], v13 src0_sel:WORD_1
	v_mfma_f32_16x16x16_f16 v[18:21], v[60:61], v[20:21], v[32:35]
	v_pk_mul_f32 v[40:41], v[52:53], v[40:41] op_sel_hi:[0,1]
	v_pk_mul_f32 v[42:43], v[52:53], v[42:43] op_sel_hi:[0,1]
	s_mov_b32 s40, 0xff7fffff
	v_cvt_pkrtz_f16_f32 v32, v36, v37
	v_cvt_pkrtz_f16_f32 v33, v12, v13
	v_mfma_f32_16x16x16_f16 v[12:15], v[48:49], v[14:15], v[18:21]
	v_pk_mul_f32 v[48:49], v[52:53], v[38:39] op_sel_hi:[0,1]
	v_pk_mul_f32 v[38:39], v[52:53], v[44:45] op_sel_hi:[0,1]
	v_mfma_f32_16x16x16_f16 v[12:15], v[32:33], v[16:17], v[12:15]
	s_nop 6
	v_pk_mul_f32 v[36:37], v[52:53], v[12:13] op_sel_hi:[0,1]
	v_and_b32_e32 v12, 0xc0, v0
	v_add_u32_e32 v12, s18, v12
	v_lshl_or_b32 v12, v62, 2, v12
	v_or_b32_e32 v13, 1, v12
	v_pk_mul_f32 v[34:35], v[52:53], v[14:15] op_sel_hi:[0,1]
	v_subrev_u32_e32 v14, s7, v13
	v_add_u32_e32 v16, 1, v14
	v_add_u32_e32 v17, 2, v14
	v_cvt_f32_i32_e32 v15, v14
	v_cvt_f32_i32_e32 v16, v16
	;; [unrolled: 1-line block ×3, first 2 shown]
	v_add_u32_e32 v18, 3, v14
	v_fma_f32 v10, v63, v15, v10
	v_fmac_f32_e32 v11, v63, v16
	v_fma_f32 v51, v63, v17, v30
	v_add_u32_e32 v15, 16, v14
	v_add_u32_e32 v16, 17, v14
	;; [unrolled: 1-line block ×3, first 2 shown]
	v_cvt_f32_i32_e32 v18, v18
	v_cvt_f32_i32_e32 v15, v15
	;; [unrolled: 1-line block ×4, first 2 shown]
	v_fmac_f32_e32 v31, v63, v18
	v_add_u32_e32 v18, 19, v14
	v_fma_f32 v48, v63, v15, v48
	v_fmac_f32_e32 v49, v63, v16
	v_fma_f32 v40, v63, v17, v40
	v_add_u32_e32 v15, 32, v14
	v_add_u32_e32 v16, 33, v14
	;; [unrolled: 1-line block ×3, first 2 shown]
	v_cvt_f32_i32_e32 v18, v18
	v_cvt_f32_i32_e32 v15, v15
	;; [unrolled: 1-line block ×4, first 2 shown]
	v_fmac_f32_e32 v41, v63, v18
	v_add_u32_e32 v18, 35, v14
	v_fma_f32 v42, v63, v15, v42
	v_fmac_f32_e32 v43, v63, v16
	v_fma_f32 v38, v63, v17, v38
	v_add_u32_e32 v15, 48, v14
	v_add_u32_e32 v16, 49, v14
	;; [unrolled: 1-line block ×4, first 2 shown]
	v_cvt_f32_i32_e32 v14, v14
	v_cvt_f32_i32_e32 v15, v15
	;; [unrolled: 1-line block ×3, first 2 shown]
	v_cmp_gt_i32_e64 s[8:9], s7, v12
	v_fmac_f32_e32 v35, v63, v14
	v_mov_b32_e32 v14, 0xff7fffff
	v_cmp_gt_i32_e64 s[10:11], s7, v13
	v_fma_f32 v36, v63, v15, v36
	v_cndmask_b32_e64 v15, v14, v10, s[8:9]
	v_cndmask_b32_e64 v13, v14, v11, s[10:11]
	v_fmac_f32_e32 v37, v63, v16
	v_max3_f32 v13, v15, s40, v13
	v_or_b32_e32 v15, 2, v12
	v_or_b32_e32 v16, 3, v12
	v_cmp_gt_i32_e64 s[12:13], s7, v15
	v_cmp_gt_i32_e64 s[14:15], s7, v16
	v_cvt_f32_i32_e32 v18, v18
	v_cndmask_b32_e64 v15, v14, v51, s[12:13]
	v_cndmask_b32_e64 v16, v14, v31, s[14:15]
	v_max3_f32 v13, v13, v15, v16
	v_or_b32_e32 v15, 16, v12
	v_or_b32_e32 v16, 17, v12
	v_cmp_gt_i32_e64 s[16:17], s7, v15
	v_cmp_gt_i32_e64 s[18:19], s7, v16
	v_fmac_f32_e32 v39, v63, v18
	v_cndmask_b32_e64 v15, v14, v48, s[16:17]
	v_cndmask_b32_e64 v16, v14, v49, s[18:19]
	v_max3_f32 v13, v13, v15, v16
	v_or_b32_e32 v15, 18, v12
	v_or_b32_e32 v16, 19, v12
	v_cmp_gt_i32_e64 s[20:21], s7, v15
	v_cmp_gt_i32_e64 s[22:23], s7, v16
	v_cvt_f32_i32_e32 v17, v17
	v_cndmask_b32_e64 v15, v14, v40, s[20:21]
	v_cndmask_b32_e64 v16, v14, v41, s[22:23]
	v_max3_f32 v13, v13, v15, v16
	v_or_b32_e32 v15, 32, v12
	v_or_b32_e32 v16, 33, v12
	v_cmp_gt_i32_e64 s[24:25], s7, v15
	v_cmp_gt_i32_e64 s[26:27], s7, v16
	v_fma_f32 v34, v63, v17, v34
	v_cndmask_b32_e64 v15, v14, v42, s[24:25]
	v_cndmask_b32_e64 v16, v14, v43, s[26:27]
	v_max3_f32 v13, v13, v15, v16
	v_or_b32_e32 v15, 34, v12
	v_or_b32_e32 v16, 35, v12
	v_cmp_gt_i32_e64 s[28:29], s7, v15
	v_cmp_gt_i32_e64 s[30:31], s7, v16
	s_nop 0
	v_cndmask_b32_e64 v15, v14, v38, s[28:29]
	v_cndmask_b32_e64 v16, v14, v39, s[30:31]
	v_max3_f32 v13, v13, v15, v16
	v_or_b32_e32 v15, 48, v12
	v_or_b32_e32 v16, 49, v12
	v_cmp_gt_i32_e64 s[34:35], s7, v15
	v_cmp_gt_i32_e64 s[36:37], s7, v16
	s_nop 0
	v_cndmask_b32_e64 v15, v14, v36, s[34:35]
	v_cndmask_b32_e64 v16, v14, v37, s[36:37]
	v_max3_f32 v13, v13, v15, v16
	v_or_b32_e32 v15, 50, v12
	v_or_b32_e32 v12, 51, v12
	v_cmp_gt_i32_e32 vcc, s7, v15
	v_cmp_gt_i32_e64 s[4:5], s7, v12
	s_nop 0
	v_cndmask_b32_e32 v15, v14, v34, vcc
	v_cndmask_b32_e64 v12, v14, v35, s[4:5]
	v_max3_f32 v16, v13, v15, v12
	v_mbcnt_lo_u32_b32 v12, -1, 0
	v_mbcnt_hi_u32_b32 v17, -1, v12
	v_and_b32_e32 v12, 64, v17
	v_add_u32_e32 v18, 64, v12
	v_xor_b32_e32 v12, 32, v17
	v_cmp_lt_i32_e64 s[38:39], v12, v18
	s_nop 1
	v_cndmask_b32_e64 v12, v17, v12, s[38:39]
	v_lshlrev_b32_e32 v52, 2, v12
	ds_bpermute_b32 v19, v52, v16
	v_lshl_add_u64 v[12:13], v[46:47], 0, v[58:59]
	v_mad_i64_i32 v[14:15], s[38:39], v68, s45, v[12:13]
	s_waitcnt lgkmcnt(0)
	v_max_f32_e32 v19, v19, v19
	v_max_f32_e32 v19, v16, v19
	v_xor_b32_e32 v16, 16, v17
	v_cmp_lt_i32_e64 s[38:39], v16, v18
	s_nop 1
	v_cndmask_b32_e64 v16, v17, v16, s[38:39]
	v_lshlrev_b32_e32 v53, 2, v16
	ds_bpermute_b32 v18, v53, v19
	v_mad_i64_i32 v[16:17], s[38:39], v66, s45, v[12:13]
	v_mad_i64_i32 v[44:45], s[38:39], v67, s45, v[12:13]
	s_waitcnt lgkmcnt(0)
	v_max_f32_e32 v18, v18, v18
	v_max_f32_e32 v50, v19, v18
	v_sub_f32_e32 v10, v10, v50
	v_mul_f32_e32 v10, 0x3fb8aa3b, v10
	v_exp_f32_e32 v18, v10
	v_sub_f32_e32 v10, v11, v50
	v_mul_f32_e32 v10, 0x3fb8aa3b, v10
	v_exp_f32_e32 v19, v10
	v_mad_i64_i32 v[10:11], s[38:39], v65, s45, v[12:13]
	v_sub_f32_e32 v12, v51, v50
	v_mul_f32_e32 v12, 0x3fb8aa3b, v12
	v_cndmask_b32_e64 v46, 0, v18, s[8:9]
	v_cndmask_b32_e64 v47, 0, v19, s[10:11]
	v_sub_f32_e32 v58, v31, v50
	global_load_dwordx4 v[30:33], v[14:15], off
	global_load_dwordx4 v[18:21], v[16:17], off
	v_exp_f32_e32 v51, v12
	global_load_dwordx4 v[14:17], v[44:45], off
	s_nop 0
	global_load_dwordx4 v[10:13], v[10:11], off
	v_sub_f32_e32 v45, v48, v50
	v_sub_f32_e32 v48, v49, v50
	;; [unrolled: 1-line block ×4, first 2 shown]
	v_mul_f32_e32 v44, 0x3fb8aa3b, v58
	v_mul_f32_e32 v45, 0x3fb8aa3b, v45
	;; [unrolled: 1-line block ×5, first 2 shown]
	v_exp_f32_e32 v44, v44
	v_exp_f32_e32 v45, v45
	;; [unrolled: 1-line block ×3, first 2 shown]
	v_cndmask_b32_e64 v48, 0, v51, s[12:13]
	v_exp_f32_e32 v40, v40
	v_exp_f32_e32 v51, v42
	v_sub_f32_e32 v42, v43, v50
	v_mul_f32_e32 v42, 0x3fb8aa3b, v42
	v_cndmask_b32_e64 v49, 0, v44, s[14:15]
	v_cndmask_b32_e64 v44, 0, v45, s[16:17]
	;; [unrolled: 1-line block ×3, first 2 shown]
	v_sub_f32_e32 v41, v41, v50
	v_exp_f32_e32 v58, v42
	v_cndmask_b32_e64 v42, 0, v40, s[20:21]
	v_cndmask_b32_e64 v40, 0, v51, s[24:25]
	v_add_f32_e32 v51, 0, v46
	v_mul_f32_e32 v41, 0x3fb8aa3b, v41
	v_add_f32_e32 v51, v51, v47
	v_exp_f32_e32 v41, v41
	v_add_f32_e32 v51, v51, v48
	v_sub_f32_e32 v38, v38, v50
	v_add_f32_e32 v51, v51, v49
	v_sub_f32_e32 v39, v39, v50
	v_mul_f32_e32 v38, 0x3fb8aa3b, v38
	v_add_f32_e32 v51, v51, v44
	v_exp_f32_e32 v38, v38
	v_mul_f32_e32 v39, 0x3fb8aa3b, v39
	v_sub_f32_e32 v36, v36, v50
	v_add_f32_e32 v51, v51, v45
	v_cndmask_b32_e64 v43, 0, v41, s[22:23]
	v_exp_f32_e32 v39, v39
	v_mul_f32_e32 v36, 0x3fb8aa3b, v36
	v_sub_f32_e32 v37, v37, v50
	v_add_f32_e32 v51, v51, v42
	v_exp_f32_e32 v36, v36
	v_mul_f32_e32 v37, 0x3fb8aa3b, v37
	v_add_f32_e32 v51, v51, v43
	v_sub_f32_e32 v34, v34, v50
	v_cndmask_b32_e64 v41, 0, v58, s[26:27]
	v_exp_f32_e32 v37, v37
	v_add_f32_e32 v51, v51, v40
	v_mul_f32_e32 v34, 0x3fb8aa3b, v34
	v_sub_f32_e32 v35, v35, v50
	v_cndmask_b32_e64 v38, 0, v38, s[28:29]
	v_add_f32_e32 v51, v51, v41
	v_exp_f32_e32 v34, v34
	v_mul_f32_e32 v35, 0x3fb8aa3b, v35
	v_cndmask_b32_e64 v39, 0, v39, s[30:31]
	v_add_f32_e32 v51, v51, v38
	v_exp_f32_e32 v35, v35
	v_cndmask_b32_e64 v36, 0, v36, s[34:35]
	v_add_f32_e32 v51, v51, v39
	v_cndmask_b32_e64 v37, 0, v37, s[36:37]
	v_add_f32_e32 v51, v51, v36
	v_add_f32_e32 v51, v51, v37
	v_cndmask_b32_e32 v34, 0, v34, vcc
	v_add_f32_e32 v51, v51, v34
	v_cndmask_b32_e64 v35, 0, v35, s[4:5]
	v_add_f32_e32 v51, v51, v35
	ds_bpermute_b32 v52, v52, v51
	v_cmp_gt_u32_e32 vcc, 16, v55
	s_waitcnt lgkmcnt(0)
	s_barrier
	v_add_f32_e32 v51, v51, v52
	ds_bpermute_b32 v52, v53, v51
	s_and_saveexec_b64 s[4:5], vcc
	s_cbranch_execz .LBB1054_15
; %bb.14:
	s_waitcnt lgkmcnt(0)
	v_add_f32_e32 v51, v51, v52
	v_lshlrev_b32_e32 v52, 2, v64
	ds_write2st64_b32 v52, v50, v51 offset1:1
.LBB1054_15:
	s_or_b64 exec, exec, s[4:5]
	v_lshlrev_b32_e32 v51, 2, v56
	s_load_dword s7, s[0:1], 0x94
	s_waitcnt lgkmcnt(0)
	s_barrier
	ds_read2_b32 v[52:53], v51 offset1:16
	ds_read2_b32 v[58:59], v51 offset0:32 offset1:48
	ds_read2_b32 v[60:61], v51 offset0:64 offset1:80
	s_mul_i32 s8, s33, 7
	s_waitcnt lgkmcnt(2)
	v_max3_f32 v50, v52, s40, v53
	s_waitcnt lgkmcnt(1)
	v_max3_f32 v50, v50, v58, v59
	v_sub_f32_e32 v52, v52, v50
	v_mul_f32_e32 v52, 0x3fb8aa3b, v52
	v_exp_f32_e32 v55, v52
	v_sub_f32_e32 v52, v53, v50
	v_mul_f32_e32 v52, 0x3fb8aa3b, v52
	v_exp_f32_e32 v63, v52
	;; [unrolled: 3-line block ×3, first 2 shown]
	ds_read2_b32 v[52:53], v51 offset0:96 offset1:112
	v_sub_f32_e32 v51, v59, v50
	v_mul_f32_e32 v51, 0x3fb8aa3b, v51
	v_exp_f32_e32 v59, v51
	s_waitcnt lgkmcnt(1)
	v_fma_f32 v51, v55, v60, 0
	v_fmac_f32_e32 v51, v63, v61
	s_waitcnt lgkmcnt(0)
	v_fmac_f32_e32 v51, v58, v52
	v_fmac_f32_e32 v51, v59, v53
	v_add_f32_e32 v52, 0x358637bd, v51
	v_div_scale_f32 v53, s[4:5], v52, v52, 1.0
	v_rcp_f32_e32 v60, v53
	s_barrier
	v_fma_f32 v61, -v53, v60, 1.0
	v_fmac_f32_e32 v60, v61, v60
	v_div_scale_f32 v61, vcc, 1.0, v52, 1.0
	v_mul_f32_e32 v64, v61, v60
	v_fma_f32 v65, -v53, v64, v61
	v_fmac_f32_e32 v64, v65, v60
	v_fma_f32 v53, -v53, v64, v61
	v_div_fmas_f32 v53, v53, v60, v64
	v_cmp_eq_u32_e32 vcc, 1, v57
	v_div_fixup_f32 v52, v53, v52, 1.0
	s_nop 0
	v_cndmask_b32_e32 v53, v55, v63, vcc
	v_cmp_eq_u32_e32 vcc, 2, v57
	s_nop 1
	v_cndmask_b32_e32 v53, v53, v58, vcc
	v_cmp_eq_u32_e32 vcc, 3, v57
	s_nop 1
	v_cndmask_b32_e32 v53, v53, v59, vcc
	v_mul_f32_e32 v52, v53, v52
	v_pk_mul_f32 v[48:49], v[52:53], v[48:49] op_sel_hi:[0,1]
	v_pk_mul_f32 v[46:47], v[52:53], v[46:47] op_sel_hi:[0,1]
	v_cvt_f16_f32_e32 v53, v48
	v_cvt_f16_f32_e32 v49, v49
	;; [unrolled: 1-line block ×4, first 2 shown]
	v_pk_mul_f32 v[42:43], v[52:53], v[42:43] op_sel_hi:[0,1]
	v_pk_mul_f32 v[44:45], v[52:53], v[44:45] op_sel_hi:[0,1]
	v_pack_b32_f16 v49, v53, v49
	v_cvt_f16_f32_e32 v44, v44
	v_cvt_f16_f32_e32 v45, v45
	v_cvt_f16_f32_e32 v53, v42
	v_cvt_f16_f32_e32 v43, v43
	v_pack_b32_f16 v48, v46, v47
	v_lshlrev_b32_e32 v47, 3, v62
	v_lshlrev_b32_e32 v46, 5, v56
	;; [unrolled: 1-line block ×3, first 2 shown]
	v_or3_b32 v55, v42, v46, v47
	v_pack_b32_f16 v42, v44, v45
	v_pack_b32_f16 v43, v53, v43
	v_pk_mul_f32 v[38:39], v[52:53], v[38:39] op_sel_hi:[0,1]
	v_pk_mul_f32 v[40:41], v[52:53], v[40:41] op_sel_hi:[0,1]
	;; [unrolled: 1-line block ×4, first 2 shown]
	ds_write2st64_b64 v55, v[48:49], v[42:43] offset1:1
	v_cvt_f16_f32_e32 v40, v40
	v_cvt_f16_f32_e32 v41, v41
	;; [unrolled: 1-line block ×8, first 2 shown]
	v_pack_b32_f16 v34, v40, v41
	v_pack_b32_f16 v35, v38, v39
	;; [unrolled: 1-line block ×4, first 2 shown]
	v_cmp_gt_u32_e32 vcc, 7, v0
	ds_write2st64_b64 v55, v[34:35], v[36:37] offset0:2 offset1:3
	s_and_saveexec_b64 s[4:5], vcc
	s_cbranch_execz .LBB1054_17
; %bb.16:
	s_mov_b32 s49, 0
	v_mov_b32_e32 v57, 0
	v_lshl_add_u64 v[34:35], s[48:49], 0, v[56:57]
	v_mov_b32_e32 v36, s8
	v_mad_u64_u32 v[34:35], s[10:11], s2, v36, v[34:35]
	s_mul_i32 s3, s3, s8
	v_mov_b32_e32 v36, s6
	v_mov_b32_e32 v37, v57
	s_load_dwordx4 s[12:15], s[0:1], 0x58
	v_add_u32_e32 v38, s3, v35
	v_mad_u64_u32 v[34:35], s[10:11], v34, s7, v[36:37]
	v_mov_b32_e32 v36, v35
	v_mad_u64_u32 v[36:37], s[10:11], v38, s7, v[36:37]
	v_mov_b32_e32 v35, v36
	v_lshlrev_b64 v[34:35], 2, v[34:35]
	s_waitcnt lgkmcnt(0)
	v_lshl_add_u64 v[36:37], s[14:15], 0, v[34:35]
	v_lshl_add_u64 v[34:35], s[12:13], 0, v[34:35]
	global_store_dword v[36:37], v50, off
	global_store_dword v[34:35], v51, off
.LBB1054_17:
	s_or_b64 exec, exec, s[4:5]
	s_waitcnt vmcnt(7)
	v_cvt_pk_f32_fp8_e32 v[34:35], v6
	v_cvt_pk_f32_fp8_sdwa v[36:37], v6 src0_sel:WORD_1
	v_lshl_or_b32 v50, v62, 9, v46
	s_waitcnt lgkmcnt(0)
	s_barrier
	v_cvt_pk_f32_fp8_e32 v[38:39], v7
	v_cvt_pkrtz_f16_f32 v6, v34, v35
	v_cvt_pk_f32_fp8_sdwa v[40:41], v7 src0_sel:WORD_1
	v_cvt_pkrtz_f16_f32 v7, v36, v37
	ds_read_b128 v[34:37], v50
	v_cvt_pkrtz_f16_f32 v46, v38, v39
	v_cvt_pkrtz_f16_f32 v47, v40, v41
	ds_read_b128 v[38:41], v50 offset:16
	v_cvt_pk_f32_fp8_e32 v[48:49], v8
	v_cvt_pk_f32_fp8_sdwa v[52:53], v8 src0_sel:WORD_1
	s_waitcnt lgkmcnt(1)
	v_mfma_f32_16x16x16_f16 v[42:45], v[6:7], v[34:35], 0
	s_waitcnt vmcnt(6)
	v_cvt_pk_f32_fp8_e32 v[58:59], v4
	v_cvt_pkrtz_f16_f32 v6, v48, v49
	v_cvt_pkrtz_f16_f32 v7, v52, v53
	v_cvt_pk_f32_fp8_e32 v[48:49], v9
	v_mfma_f32_16x16x16_f16 v[42:45], v[46:47], v[36:37], v[42:45]
	v_cvt_pk_f32_fp8_sdwa v[46:47], v9 src0_sel:WORD_1
	v_cvt_pk_f32_fp8_sdwa v[60:61], v4 src0_sel:WORD_1
	v_cvt_pkrtz_f16_f32 v48, v48, v49
	s_waitcnt lgkmcnt(0)
	v_mfma_f32_16x16x16_f16 v[6:9], v[6:7], v[38:39], v[42:45]
	v_cvt_pkrtz_f16_f32 v49, v46, v47
	s_waitcnt vmcnt(5)
	v_cvt_pk_f32_fp8_e32 v[64:65], v28
	v_cvt_pk_f32_fp8_sdwa v[66:67], v28 src0_sel:WORD_1
	v_cvt_pk_f32_fp8_e32 v[42:43], v2
	v_mfma_f32_16x16x16_f16 v[46:49], v[48:49], v[40:41], v[6:9]
	s_waitcnt vmcnt(4)
	v_cvt_pk_f32_fp8_sdwa v[68:69], v24 src0_sel:WORD_1
	s_load_dword s4, s[42:43], 0x0
	v_cvt_pk_f32_fp8_sdwa v[6:7], v2 src0_sel:WORD_1
	v_cvt_pk_f32_fp8_e32 v[8:9], v3
	v_cvt_pkrtz_f16_f32 v2, v42, v43
	v_cvt_pk_f32_fp8_sdwa v[42:43], v3 src0_sel:WORD_1
	v_cvt_pkrtz_f16_f32 v3, v6, v7
	v_cvt_pkrtz_f16_f32 v52, v8, v9
	ds_read_b128 v[6:9], v50 offset:2048
	v_cvt_pkrtz_f16_f32 v53, v42, v43
	ds_read_b128 v[42:45], v50 offset:2064
	s_waitcnt lgkmcnt(0)
	v_mfma_f32_16x16x16_f16 v[46:49], v[2:3], v[6:7], v[46:49]
	v_cvt_pkrtz_f16_f32 v2, v58, v59
	v_cvt_pkrtz_f16_f32 v3, v60, v61
	v_cvt_pk_f32_fp8_e32 v[58:59], v5
	v_mfma_f32_16x16x16_f16 v[46:49], v[52:53], v[8:9], v[46:49]
	v_cvt_pk_f32_fp8_sdwa v[52:53], v5 src0_sel:WORD_1
	s_mov_b32 s3, 0
	v_cvt_pkrtz_f16_f32 v58, v58, v59
	v_mfma_f32_16x16x16_f16 v[2:5], v[2:3], v[42:43], v[46:49]
	v_cvt_pkrtz_f16_f32 v59, v52, v53
	v_cmp_gt_u32_e32 vcc, 64, v0
	s_nop 0
	v_cvt_pk_f32_fp8_e32 v[46:47], v26
	v_mfma_f32_16x16x16_f16 v[58:61], v[58:59], v[44:45], v[2:5]
	s_nop 2
	v_cvt_pk_f32_fp8_sdwa v[2:3], v26 src0_sel:WORD_1
	v_cvt_pk_f32_fp8_e32 v[4:5], v27
	v_cvt_pkrtz_f16_f32 v26, v46, v47
	v_cvt_pk_f32_fp8_sdwa v[46:47], v27 src0_sel:WORD_1
	v_cvt_pkrtz_f16_f32 v27, v2, v3
	v_cvt_pkrtz_f16_f32 v52, v4, v5
	ds_read_b128 v[2:5], v50 offset:4096
	v_cvt_pkrtz_f16_f32 v53, v46, v47
	ds_read_b128 v[46:49], v50 offset:4112
	s_waitcnt lgkmcnt(1)
	v_mfma_f32_16x16x16_f16 v[58:61], v[26:27], v[2:3], v[58:61]
	v_cvt_pkrtz_f16_f32 v26, v64, v65
	v_cvt_pkrtz_f16_f32 v27, v66, v67
	v_cvt_pk_f32_fp8_e32 v[64:65], v29
	v_mfma_f32_16x16x16_f16 v[58:61], v[52:53], v[4:5], v[58:61]
	v_cvt_pk_f32_fp8_sdwa v[52:53], v29 src0_sel:WORD_1
	v_cvt_pk_f32_fp8_e32 v[66:67], v24
	v_cvt_pkrtz_f16_f32 v64, v64, v65
	s_waitcnt lgkmcnt(0)
	v_mfma_f32_16x16x16_f16 v[26:29], v[26:27], v[46:47], v[58:61]
	v_cvt_pkrtz_f16_f32 v65, v52, v53
	v_cvt_pk_f32_fp8_e32 v[52:53], v22
	s_nop 0
	v_mfma_f32_16x16x16_f16 v[58:61], v[64:65], v[48:49], v[26:29]
	s_nop 2
	v_cvt_pk_f32_fp8_sdwa v[26:27], v22 src0_sel:WORD_1
	v_cvt_pk_f32_fp8_e32 v[28:29], v23
	v_cvt_pkrtz_f16_f32 v22, v52, v53
	v_cvt_pk_f32_fp8_sdwa v[52:53], v23 src0_sel:WORD_1
	v_cvt_pkrtz_f16_f32 v23, v26, v27
	v_cvt_pkrtz_f16_f32 v64, v28, v29
	ds_read_b128 v[26:29], v50 offset:6144
	v_cvt_pkrtz_f16_f32 v65, v52, v53
	s_waitcnt lgkmcnt(0)
	v_mfma_f32_16x16x16_f16 v[58:61], v[22:23], v[26:27], v[58:61]
	ds_read_b128 v[50:53], v50 offset:6160
	v_cvt_pkrtz_f16_f32 v22, v66, v67
	v_cvt_pkrtz_f16_f32 v23, v68, v69
	v_mfma_f32_16x16x16_f16 v[58:61], v[64:65], v[28:29], v[58:61]
	v_cvt_pk_f32_fp8_e32 v[66:67], v25
	v_cvt_pk_f32_fp8_sdwa v[64:65], v25 src0_sel:WORD_1
	s_waitcnt vmcnt(3)
	v_cvt_pk_f32_fp8_sdwa v[68:69], v32 src0_sel:WORD_1
	s_waitcnt lgkmcnt(0)
	v_mfma_f32_16x16x16_f16 v[22:25], v[22:23], v[50:51], v[58:61]
	v_cvt_pkrtz_f16_f32 v66, v66, v67
	v_cvt_pkrtz_f16_f32 v67, v64, v65
	v_cvt_pk_f32_fp8_e32 v[64:65], v31
	v_cvt_pk_f32_fp8_e32 v[58:59], v30
	v_cvt_pk_f32_fp8_sdwa v[60:61], v30 src0_sel:WORD_1
	v_cvt_pk_f32_fp8_sdwa v[30:31], v31 src0_sel:WORD_1
	v_mfma_f32_16x16x16_f16 v[22:25], v[66:67], v[52:53], v[22:25]
	v_cvt_pkrtz_f16_f32 v58, v58, v59
	v_cvt_pkrtz_f16_f32 v59, v60, v61
	;; [unrolled: 1-line block ×3, first 2 shown]
	v_cvt_pk_f32_fp8_e32 v[66:67], v32
	v_cvt_pkrtz_f16_f32 v65, v30, v31
	v_mfma_f32_16x16x16_f16 v[58:61], v[58:59], v[34:35], 0
	v_cvt_pkrtz_f16_f32 v30, v66, v67
	v_cvt_pkrtz_f16_f32 v31, v68, v69
	v_cvt_pk_f32_fp8_e32 v[66:67], v33
	v_mfma_f32_16x16x16_f16 v[34:37], v[64:65], v[36:37], v[58:61]
	s_barrier
	s_nop 1
	v_cvt_pk_f32_fp8_sdwa v[58:59], v33 src0_sel:WORD_1
	v_cvt_pkrtz_f16_f32 v60, v66, v67
	v_mfma_f32_16x16x16_f16 v[30:33], v[30:31], v[38:39], v[34:37]
	s_waitcnt vmcnt(2)
	v_cvt_pk_f32_fp8_e32 v[38:39], v19
	v_cvt_pkrtz_f16_f32 v61, v58, v59
	v_cvt_pk_f32_fp8_e32 v[34:35], v18
	v_cvt_pk_f32_fp8_sdwa v[36:37], v18 src0_sel:WORD_1
	v_cvt_pk_f32_fp8_sdwa v[18:19], v19 src0_sel:WORD_1
	v_mfma_f32_16x16x16_f16 v[30:33], v[60:61], v[40:41], v[30:33]
	v_cvt_pkrtz_f16_f32 v34, v34, v35
	v_cvt_pkrtz_f16_f32 v35, v36, v37
	;; [unrolled: 1-line block ×3, first 2 shown]
	v_cvt_pk_f32_fp8_e32 v[38:39], v20
	v_cvt_pk_f32_fp8_sdwa v[40:41], v20 src0_sel:WORD_1
	v_cvt_pkrtz_f16_f32 v37, v18, v19
	v_mfma_f32_16x16x16_f16 v[30:33], v[34:35], v[6:7], v[30:33]
	v_cvt_pkrtz_f16_f32 v18, v38, v39
	v_cvt_pkrtz_f16_f32 v19, v40, v41
	v_cvt_pk_f32_fp8_e32 v[34:35], v21
	v_cvt_pk_f32_fp8_sdwa v[20:21], v21 src0_sel:WORD_1
	v_mfma_f32_16x16x16_f16 v[6:9], v[36:37], v[8:9], v[30:33]
	s_nop 2
	v_cvt_pkrtz_f16_f32 v30, v34, v35
	v_cvt_pkrtz_f16_f32 v31, v20, v21
	v_mfma_f32_16x16x16_f16 v[6:9], v[18:19], v[42:43], v[6:9]
	s_waitcnt vmcnt(1)
	v_cvt_pk_f32_fp8_e32 v[18:19], v14
	v_cvt_pk_f32_fp8_sdwa v[20:21], v14 src0_sel:WORD_1
	v_cvt_pk_f32_fp8_sdwa v[32:33], v16 src0_sel:WORD_1
	v_mfma_f32_16x16x16_f16 v[6:9], v[30:31], v[44:45], v[6:9]
	v_cvt_pk_f32_fp8_e32 v[30:31], v15
	v_cvt_pkrtz_f16_f32 v18, v18, v19
	v_cvt_pkrtz_f16_f32 v19, v20, v21
	v_cvt_pk_f32_fp8_sdwa v[14:15], v15 src0_sel:WORD_1
	v_cvt_pkrtz_f16_f32 v20, v30, v31
	v_cvt_pk_f32_fp8_e32 v[30:31], v16
	v_mfma_f32_16x16x16_f16 v[6:9], v[18:19], v[2:3], v[6:9]
	v_cvt_pkrtz_f16_f32 v21, v14, v15
	v_cvt_pkrtz_f16_f32 v14, v30, v31
	;; [unrolled: 1-line block ×3, first 2 shown]
	v_cvt_pk_f32_fp8_e32 v[18:19], v17
	v_cvt_pk_f32_fp8_sdwa v[16:17], v17 src0_sel:WORD_1
	v_mfma_f32_16x16x16_f16 v[2:5], v[20:21], v[4:5], v[6:9]
	s_waitcnt vmcnt(0)
	v_cvt_pk_f32_fp8_sdwa v[20:21], v12 src0_sel:WORD_1
	s_nop 0
	v_cvt_pkrtz_f16_f32 v8, v18, v19
	v_cvt_pkrtz_f16_f32 v9, v16, v17
	v_mfma_f32_16x16x16_f16 v[2:5], v[14:15], v[46:47], v[2:5]
	v_cvt_pk_f32_fp8_e32 v[16:17], v10
	v_cvt_pk_f32_fp8_sdwa v[18:19], v10 src0_sel:WORD_1
	v_pk_mul_f32 v[6:7], v[24:25], s[4:5] op_sel_hi:[1,0]
	v_mfma_f32_16x16x16_f16 v[2:5], v[8:9], v[48:49], v[2:5]
	v_cvt_pk_f32_fp8_e32 v[8:9], v11
	v_cvt_pkrtz_f16_f32 v16, v16, v17
	v_cvt_pkrtz_f16_f32 v17, v18, v19
	v_cvt_pk_f32_fp8_sdwa v[10:11], v11 src0_sel:WORD_1
	v_cvt_pkrtz_f16_f32 v8, v8, v9
	v_cvt_pk_f32_fp8_e32 v[18:19], v12
	v_mfma_f32_16x16x16_f16 v[2:5], v[16:17], v[26:27], v[2:5]
	v_cvt_pkrtz_f16_f32 v9, v10, v11
	v_cvt_pkrtz_f16_f32 v10, v18, v19
	;; [unrolled: 1-line block ×3, first 2 shown]
	v_cvt_pk_f32_fp8_e32 v[16:17], v13
	v_cvt_pk_f32_fp8_sdwa v[12:13], v13 src0_sel:WORD_1
	v_mfma_f32_16x16x16_f16 v[2:5], v[8:9], v[28:29], v[2:5]
	v_pk_mul_f32 v[14:15], v[22:23], s[4:5] op_sel_hi:[1,0]
	v_cvt_pkrtz_f16_f32 v8, v16, v17
	v_cvt_pkrtz_f16_f32 v9, v12, v13
	v_mfma_f32_16x16x16_f16 v[2:5], v[10:11], v[50:51], v[2:5]
	v_cvt_f16_f32_e32 v14, v14
	v_cvt_f16_f32_e32 v10, v15
	;; [unrolled: 1-line block ×3, first 2 shown]
	v_mfma_f32_16x16x16_f16 v[2:5], v[8:9], v[52:53], v[2:5]
	v_cvt_f16_f32_e32 v7, v7
	s_nop 5
	v_pk_mul_f32 v[4:5], v[4:5], s[4:5] op_sel_hi:[1,0]
	v_pk_mul_f32 v[2:3], v[2:3], s[4:5] op_sel_hi:[1,0]
	v_cvt_f16_f32_e32 v11, v4
	v_cvt_f16_f32_e32 v8, v2
	;; [unrolled: 1-line block ×4, first 2 shown]
	v_pack_b32_f16 v2, v14, v10
	v_pack_b32_f16 v3, v6, v7
	;; [unrolled: 1-line block ×4, first 2 shown]
	ds_write2st64_b64 v55, v[2:3], v[4:5] offset1:1
	s_waitcnt lgkmcnt(0)
	s_barrier
	s_and_saveexec_b64 s[4:5], vcc
	s_cbranch_execz .LBB1054_20
; %bb.18:
	s_load_dwordx2 s[4:5], s[0:1], 0x68
	s_lshl_b32 s0, s7, 7
	s_mul_i32 s1, s8, s2
	v_lshlrev_b32_e32 v3, 6, v56
	s_mul_hi_u32 s9, s1, s0
	s_mul_i32 s8, s1, s0
	v_lshl_or_b32 v0, v0, 10, v3
	s_lshl_b64 s[8:9], s[8:9], 1
	v_lshlrev_b32_e32 v2, 5, v62
	v_and_b32_e32 v1, 16, v1
	v_and_b32_e32 v0, 0x1a00, v0
	s_waitcnt lgkmcnt(0)
	s_add_u32 s1, s4, s8
	v_or3_b32 v2, v0, v2, v1
	s_addc_u32 s4, s5, s9
	s_lshl_b32 s2, s6, 7
	s_lshl_b64 s[2:3], s[2:3], 1
	ds_read_b128 v[4:7], v2
	s_add_u32 s2, s1, s2
	s_addc_u32 s3, s4, s3
	v_mov_b32_e32 v55, 0
	v_add_u32_e32 v3, s48, v62
	v_lshl_add_u64 v[0:1], s[2:3], 0, v[54:55]
	v_mad_u64_u32 v[8:9], s[2:3], v3, s0, 0
	v_lshl_add_u64 v[8:9], v[8:9], 1, v[0:1]
	v_cmp_ne_u32_e32 vcc, 3, v62
	s_waitcnt lgkmcnt(0)
	global_store_dwordx4 v[8:9], v[4:7], off
	s_and_b64 exec, exec, vcc
	s_cbranch_execz .LBB1054_20
; %bb.19:
	ds_read_b128 v[2:5], v2 offset:128
	v_add3_u32 v6, s48, v62, 4
	v_mad_u64_u32 v[6:7], s[0:1], v6, s0, 0
	v_lshl_add_u64 v[0:1], v[6:7], 1, v[0:1]
	s_waitcnt lgkmcnt(0)
	global_store_dwordx4 v[0:1], v[2:5], off
.LBB1054_20:
	s_endpgm
	.section	.rodata,"a",@progbits
	.p2align	6, 0x0
	.amdhsa_kernel _Z39paged_attention_ll4mi_QKV_mfma16_kernelIDF16_hLN4vllm18Fp8KVCacheDataTypeE1EDF16_Li32ELi128ELi256ELb1ELi7EEvPKT_PKT0_S7_ifPKiS9_S9_iPKfiiiPfSC_PS2_PT2_iSB_SB_
		.amdhsa_group_segment_fixed_size 8192
		.amdhsa_private_segment_fixed_size 0
		.amdhsa_kernarg_size 400
		.amdhsa_user_sgpr_count 2
		.amdhsa_user_sgpr_dispatch_ptr 0
		.amdhsa_user_sgpr_queue_ptr 0
		.amdhsa_user_sgpr_kernarg_segment_ptr 1
		.amdhsa_user_sgpr_dispatch_id 0
		.amdhsa_user_sgpr_kernarg_preload_length 0
		.amdhsa_user_sgpr_kernarg_preload_offset 0
		.amdhsa_user_sgpr_private_segment_size 0
		.amdhsa_uses_dynamic_stack 0
		.amdhsa_enable_private_segment 0
		.amdhsa_system_sgpr_workgroup_id_x 1
		.amdhsa_system_sgpr_workgroup_id_y 1
		.amdhsa_system_sgpr_workgroup_id_z 1
		.amdhsa_system_sgpr_workgroup_info 0
		.amdhsa_system_vgpr_workitem_id 0
		.amdhsa_next_free_vgpr 78
		.amdhsa_next_free_sgpr 50
		.amdhsa_accum_offset 80
		.amdhsa_reserve_vcc 1
		.amdhsa_float_round_mode_32 0
		.amdhsa_float_round_mode_16_64 0
		.amdhsa_float_denorm_mode_32 3
		.amdhsa_float_denorm_mode_16_64 3
		.amdhsa_dx10_clamp 1
		.amdhsa_ieee_mode 1
		.amdhsa_fp16_overflow 0
		.amdhsa_tg_split 0
		.amdhsa_exception_fp_ieee_invalid_op 0
		.amdhsa_exception_fp_denorm_src 0
		.amdhsa_exception_fp_ieee_div_zero 0
		.amdhsa_exception_fp_ieee_overflow 0
		.amdhsa_exception_fp_ieee_underflow 0
		.amdhsa_exception_fp_ieee_inexact 0
		.amdhsa_exception_int_div_zero 0
	.end_amdhsa_kernel
	.section	.text._Z39paged_attention_ll4mi_QKV_mfma16_kernelIDF16_hLN4vllm18Fp8KVCacheDataTypeE1EDF16_Li32ELi128ELi256ELb1ELi7EEvPKT_PKT0_S7_ifPKiS9_S9_iPKfiiiPfSC_PS2_PT2_iSB_SB_,"axG",@progbits,_Z39paged_attention_ll4mi_QKV_mfma16_kernelIDF16_hLN4vllm18Fp8KVCacheDataTypeE1EDF16_Li32ELi128ELi256ELb1ELi7EEvPKT_PKT0_S7_ifPKiS9_S9_iPKfiiiPfSC_PS2_PT2_iSB_SB_,comdat
.Lfunc_end1054:
	.size	_Z39paged_attention_ll4mi_QKV_mfma16_kernelIDF16_hLN4vllm18Fp8KVCacheDataTypeE1EDF16_Li32ELi128ELi256ELb1ELi7EEvPKT_PKT0_S7_ifPKiS9_S9_iPKfiiiPfSC_PS2_PT2_iSB_SB_, .Lfunc_end1054-_Z39paged_attention_ll4mi_QKV_mfma16_kernelIDF16_hLN4vllm18Fp8KVCacheDataTypeE1EDF16_Li32ELi128ELi256ELb1ELi7EEvPKT_PKT0_S7_ifPKiS9_S9_iPKfiiiPfSC_PS2_PT2_iSB_SB_
                                        ; -- End function
	.section	.AMDGPU.csdata,"",@progbits
; Kernel info:
; codeLenInByte = 6360
; NumSgprs: 56
; NumVgprs: 78
; NumAgprs: 0
; TotalNumVgprs: 78
; ScratchSize: 0
; MemoryBound: 0
; FloatMode: 240
; IeeeMode: 1
; LDSByteSize: 8192 bytes/workgroup (compile time only)
; SGPRBlocks: 6
; VGPRBlocks: 9
; NumSGPRsForWavesPerEU: 56
; NumVGPRsForWavesPerEU: 78
; AccumOffset: 80
; Occupancy: 6
; WaveLimiterHint : 1
; COMPUTE_PGM_RSRC2:SCRATCH_EN: 0
; COMPUTE_PGM_RSRC2:USER_SGPR: 2
; COMPUTE_PGM_RSRC2:TRAP_HANDLER: 0
; COMPUTE_PGM_RSRC2:TGID_X_EN: 1
; COMPUTE_PGM_RSRC2:TGID_Y_EN: 1
; COMPUTE_PGM_RSRC2:TGID_Z_EN: 1
; COMPUTE_PGM_RSRC2:TIDIG_COMP_CNT: 0
; COMPUTE_PGM_RSRC3_GFX90A:ACCUM_OFFSET: 19
; COMPUTE_PGM_RSRC3_GFX90A:TG_SPLIT: 0
	.section	.text._Z39paged_attention_ll4mi_QKV_mfma16_kernelIDF16_hLN4vllm18Fp8KVCacheDataTypeE1EDF16_Li32ELi128ELi256ELb1ELi8EEvPKT_PKT0_S7_ifPKiS9_S9_iPKfiiiPfSC_PS2_PT2_iSB_SB_,"axG",@progbits,_Z39paged_attention_ll4mi_QKV_mfma16_kernelIDF16_hLN4vllm18Fp8KVCacheDataTypeE1EDF16_Li32ELi128ELi256ELb1ELi8EEvPKT_PKT0_S7_ifPKiS9_S9_iPKfiiiPfSC_PS2_PT2_iSB_SB_,comdat
	.protected	_Z39paged_attention_ll4mi_QKV_mfma16_kernelIDF16_hLN4vllm18Fp8KVCacheDataTypeE1EDF16_Li32ELi128ELi256ELb1ELi8EEvPKT_PKT0_S7_ifPKiS9_S9_iPKfiiiPfSC_PS2_PT2_iSB_SB_ ; -- Begin function _Z39paged_attention_ll4mi_QKV_mfma16_kernelIDF16_hLN4vllm18Fp8KVCacheDataTypeE1EDF16_Li32ELi128ELi256ELb1ELi8EEvPKT_PKT0_S7_ifPKiS9_S9_iPKfiiiPfSC_PS2_PT2_iSB_SB_
	.globl	_Z39paged_attention_ll4mi_QKV_mfma16_kernelIDF16_hLN4vllm18Fp8KVCacheDataTypeE1EDF16_Li32ELi128ELi256ELb1ELi8EEvPKT_PKT0_S7_ifPKiS9_S9_iPKfiiiPfSC_PS2_PT2_iSB_SB_
	.p2align	8
	.type	_Z39paged_attention_ll4mi_QKV_mfma16_kernelIDF16_hLN4vllm18Fp8KVCacheDataTypeE1EDF16_Li32ELi128ELi256ELb1ELi8EEvPKT_PKT0_S7_ifPKiS9_S9_iPKfiiiPfSC_PS2_PT2_iSB_SB_,@function
_Z39paged_attention_ll4mi_QKV_mfma16_kernelIDF16_hLN4vllm18Fp8KVCacheDataTypeE1EDF16_Li32ELi128ELi256ELb1ELi8EEvPKT_PKT0_S7_ifPKiS9_S9_iPKfiiiPfSC_PS2_PT2_iSB_SB_: ; @_Z39paged_attention_ll4mi_QKV_mfma16_kernelIDF16_hLN4vllm18Fp8KVCacheDataTypeE1EDF16_Li32ELi128ELi256ELb1ELi8EEvPKT_PKT0_S7_ifPKiS9_S9_iPKfiiiPfSC_PS2_PT2_iSB_SB_
; %bb.0:
	s_load_dwordx2 s[8:9], s[0:1], 0x30
	s_mov_b32 s10, s3
	s_mov_b64 s[6:7], 0
	s_waitcnt lgkmcnt(0)
	s_cmp_lg_u64 s[8:9], 0
	s_cselect_b64 s[12:13], -1, 0
	s_and_b64 vcc, exec, s[12:13]
	s_cbranch_vccz .LBB1055_7
; %bb.1:
	s_add_i32 s14, s2, 1
	s_mov_b32 s15, 0
	s_lshl_b64 s[16:17], s[14:15], 2
	s_add_u32 s16, s8, s16
	s_mov_b32 s3, s15
	s_addc_u32 s17, s9, s17
	s_lshl_b64 s[14:15], s[2:3], 2
	s_add_u32 s14, s8, s14
	s_addc_u32 s15, s9, s15
	s_load_dword s5, s[16:17], 0x0
	s_load_dword s11, s[14:15], 0x0
	s_waitcnt lgkmcnt(0)
	s_sub_i32 s5, s5, s11
	s_cmp_eq_u32 s5, 1
	s_cselect_b64 s[14:15], -1, 0
	s_andn2_b64 vcc, exec, s[6:7]
	s_cbranch_vccnz .LBB1055_3
.LBB1055_2:
	s_mov_b32 s3, 0
	s_mov_b64 s[14:15], -1
.LBB1055_3:
	s_andn2_b64 vcc, exec, s[14:15]
	s_cbranch_vccnz .LBB1055_19
; %bb.4:
	s_load_dwordx2 s[6:7], s[0:1], 0x28
	s_lshl_b64 s[14:15], s[2:3], 2
	s_waitcnt lgkmcnt(0)
	s_add_u32 s6, s6, s14
	s_addc_u32 s7, s7, s15
	s_load_dword s33, s[6:7], 0x0
	s_lshl_b32 s18, s10, 8
	s_waitcnt lgkmcnt(0)
	s_cmp_ge_i32 s18, s33
	s_cbranch_scc1 .LBB1055_19
; %bb.5:
	s_load_dwordx2 s[6:7], s[0:1], 0x20
	s_load_dword s5, s[0:1], 0x38
	s_add_i32 s11, s33, 31
	s_ashr_i32 s16, s11, 31
	v_and_b32_e32 v1, 0xcf, v0
	s_lshr_b32 s16, s16, 27
	v_add_u32_e32 v1, s18, v1
	s_add_i32 s11, s11, s16
	v_ashrrev_i32_e32 v2, 31, v1
	s_ashr_i32 s19, s11, 5
	v_lshrrev_b32_e32 v4, 27, v2
	s_add_i32 s19, s19, -1
	s_waitcnt lgkmcnt(0)
	s_mul_i32 s16, s2, s5
	s_mov_b32 s17, 0
	v_add_u32_e32 v2, v1, v4
	s_lshl_b64 s[16:17], s[16:17], 2
	v_ashrrev_i32_e32 v2, 5, v2
	v_mov_b32_e32 v5, s19
	v_cmp_gt_i32_e32 vcc, s33, v1
	s_add_u32 s6, s6, s16
	s_addc_u32 s7, s7, s17
	v_cndmask_b32_e32 v2, v5, v2, vcc
	v_ashrrev_i32_e32 v3, 31, v2
	v_lshl_add_u64 v[6:7], v[2:3], 2, s[6:7]
	v_or_b32_e32 v2, 16, v1
	v_add_u32_e32 v3, v2, v4
	v_ashrrev_i32_e32 v3, 5, v3
	v_cmp_gt_i32_e32 vcc, s33, v2
	s_load_dwordx2 s[16:17], s[0:1], 0x8
	s_nop 0
	v_cndmask_b32_e32 v2, v5, v3, vcc
	v_ashrrev_i32_e32 v3, 31, v2
	v_lshl_add_u64 v[8:9], v[2:3], 2, s[6:7]
	v_or_b32_e32 v2, 32, v1
	v_add_u32_e32 v3, v2, v4
	v_ashrrev_i32_e32 v3, 5, v3
	v_cmp_gt_i32_e32 vcc, s33, v2
	v_or_b32_e32 v1, 48, v1
	s_nop 0
	v_cndmask_b32_e32 v2, v5, v3, vcc
	v_ashrrev_i32_e32 v3, 31, v2
	v_lshl_add_u64 v[12:13], v[2:3], 2, s[6:7]
	v_add_u32_e32 v2, v1, v4
	v_ashrrev_i32_e32 v2, 5, v2
	v_cmp_gt_i32_e32 vcc, s33, v1
	s_nop 1
	v_cndmask_b32_e32 v2, v5, v2, vcc
	v_ashrrev_i32_e32 v3, 31, v2
	v_lshl_add_u64 v[14:15], v[2:3], 2, s[6:7]
	global_load_dword v4, v[6:7], off
	global_load_dword v3, v[8:9], off
	;; [unrolled: 1-line block ×4, first 2 shown]
	s_andn2_b64 vcc, exec, s[12:13]
	s_cbranch_vccnz .LBB1055_8
; %bb.6:
	s_add_u32 s8, s8, s14
	s_addc_u32 s9, s9, s15
	s_load_dword s5, s[8:9], 0x0
	s_branch .LBB1055_9
.LBB1055_7:
	s_mov_b64 s[14:15], 0
	s_branch .LBB1055_2
.LBB1055_8:
	s_mov_b32 s5, s2
.LBB1055_9:
	s_load_dwordx2 s[8:9], s[0:1], 0x10
	s_load_dwordx4 s[44:47], s[0:1], 0x48
	v_and_b32_e32 v56, 15, v0
	v_lshlrev_b32_e32 v5, 3, v56
	s_movk_i32 s12, 0x80
	v_lshrrev_b32_e32 v58, 6, v0
	v_bfe_u32 v1, v0, 4, 2
	s_lshl_b32 s11, s4, 3
	v_cmp_gt_u32_e32 vcc, s12, v0
	v_lshlrev_b32_e32 v54, 1, v5
	v_lshlrev_b32_e32 v57, 4, v0
	s_and_saveexec_b64 s[12:13], vcc
	s_cbranch_execz .LBB1055_11
; %bb.10:
	s_load_dwordx2 s[14:15], s[0:1], 0x0
	s_waitcnt lgkmcnt(0)
	s_ashr_i32 s20, s44, 31
	s_mul_hi_u32 s21, s5, s44
	s_mul_i32 s20, s5, s20
	s_add_i32 s21, s21, s20
	s_mul_i32 s20, s5, s44
	v_lshl_or_b32 v5, v58, 2, v1
	s_lshl_b64 s[20:21], s[20:21], 1
	s_add_u32 s14, s14, s20
	v_add_lshl_u32 v6, v5, s11, 7
	s_addc_u32 s15, s15, s21
	v_ashrrev_i32_e32 v7, 31, v6
	v_lshl_add_u64 v[6:7], v[6:7], 1, s[14:15]
	v_mov_b32_e32 v55, 0
	v_lshl_add_u64 v[6:7], v[6:7], 0, v[54:55]
	global_load_dwordx4 v[6:9], v[6:7], off
	v_lshlrev_b32_e32 v12, 8, v0
	v_lshlrev_b32_e32 v11, 8, v56
	v_and_b32_e32 v12, 0x600, v12
	s_movk_i32 s5, 0x800
	v_and_or_b32 v11, v11, s5, v12
	v_lshlrev_b32_e32 v5, 5, v5
	v_and_b32_e32 v12, 16, v57
	v_or3_b32 v5, v11, v5, v12
	s_waitcnt vmcnt(0)
	ds_write_b128 v5, v[6:9]
.LBB1055_11:
	s_or_b64 exec, exec, s[12:13]
	s_waitcnt lgkmcnt(0)
	s_mul_i32 s12, s4, s46
	s_add_u32 s4, s16, s12
	s_addc_u32 s5, s17, 0
	v_mov_b32_e32 v51, 0
	v_mov_b64_e32 v[12:13], s[4:5]
	v_and_b32_e32 v52, 48, v0
	s_waitcnt vmcnt(3)
	v_mad_i64_i32 v[4:5], s[4:5], v4, s45, v[12:13]
	v_lshlrev_b32_e32 v14, 4, v56
	v_mov_b32_e32 v15, v51
	v_lshlrev_b32_e32 v50, 5, v52
	v_lshl_add_u64 v[4:5], v[4:5], 0, v[14:15]
	v_lshl_add_u64 v[4:5], v[4:5], 0, v[50:51]
	s_barrier
	global_load_dwordx4 v[46:49], v[4:5], off
	global_load_dwordx4 v[34:37], v[4:5], off offset:2048
	s_waitcnt vmcnt(4)
	v_mad_i64_i32 v[4:5], s[4:5], v3, s45, v[12:13]
	v_or_b32_e32 v16, 0x100, v14
	v_mov_b32_e32 v17, v51
	s_waitcnt vmcnt(3)
	v_mad_i64_i32 v[2:3], s[4:5], v2, s45, v[12:13]
	s_waitcnt vmcnt(2)
	v_mad_i64_i32 v[10:11], s[4:5], v10, s45, v[12:13]
	v_lshl_add_u64 v[4:5], v[4:5], 0, v[16:17]
	v_lshl_add_u64 v[2:3], v[2:3], 0, v[14:15]
	;; [unrolled: 1-line block ×6, first 2 shown]
	global_load_dwordx4 v[38:41], v[4:5], off
	global_load_dwordx4 v[6:9], v[4:5], off offset:2048
	s_nop 0
	global_load_dwordx4 v[2:5], v[14:15], off
	global_load_dwordx4 v[42:45], v[14:15], off offset:2048
	global_load_dwordx4 v[26:29], v[10:11], off
	s_nop 0
	global_load_dwordx4 v[14:17], v[10:11], off offset:2048
	v_and_b32_e32 v10, 7, v0
	v_lshlrev_b32_e32 v10, 5, v10
	v_lshl_or_b32 v10, v1, 9, v10
	ds_read_b128 v[30:33], v10
	ds_read_b128 v[22:25], v10 offset:16
	ds_read_b128 v[18:21], v10 offset:2048
	;; [unrolled: 1-line block ×3, first 2 shown]
	v_and_b32_e32 v55, 63, v0
	v_cmp_gt_u32_e32 vcc, 8, v56
	v_mov_b32_e32 v59, 0
	s_and_saveexec_b64 s[4:5], vcc
	s_cbranch_execz .LBB1055_13
; %bb.12:
	s_load_dwordx2 s[14:15], s[0:1], 0x40
	v_or_b32_e32 v60, s11, v56
	v_ashrrev_i32_e32 v61, 31, v60
	s_waitcnt lgkmcnt(0)
	v_lshl_add_u64 v[60:61], v[60:61], 2, s[14:15]
	global_load_dword v59, v[60:61], off
.LBB1055_13:
	s_or_b64 exec, exec, s[4:5]
	s_ashr_i32 s4, s18, 31
	v_or_b32_e32 v50, s18, v52
	s_lshr_b32 s4, s4, 27
	v_add_u32_e32 v52, s4, v50
	v_or_b32_e32 v60, 64, v50
	v_ashrrev_i32_e32 v52, 5, v52
	v_mov_b32_e32 v66, s19
	v_cmp_gt_i32_e32 vcc, s33, v50
	v_add_u32_e32 v61, s4, v60
	v_ashrrev_i32_e32 v61, 5, v61
	v_cndmask_b32_e32 v52, v66, v52, vcc
	v_cmp_gt_i32_e32 vcc, s33, v60
	s_waitcnt vmcnt(7)
	v_cvt_pk_f32_fp8_sdwa v[62:63], v46 src0_sel:WORD_1
	v_ashrrev_i32_e32 v53, 31, v52
	v_cndmask_b32_e32 v60, v66, v61, vcc
	v_ashrrev_i32_e32 v61, 31, v60
	v_lshl_add_u64 v[64:65], v[60:61], 2, s[6:7]
	v_or_b32_e32 v60, 0x80, v50
	v_add_u32_e32 v61, s4, v60
	v_ashrrev_i32_e32 v61, 5, v61
	v_cmp_gt_i32_e32 vcc, s33, v60
	v_or_b32_e32 v50, 0xc0, v50
	v_cvt_pk_f32_fp8_sdwa v[72:73], v48 src0_sel:WORD_1
	v_cndmask_b32_e32 v60, v66, v61, vcc
	v_ashrrev_i32_e32 v61, 31, v60
	v_lshl_add_u64 v[70:71], v[60:61], 2, s[6:7]
	v_cvt_pk_f32_fp8_e32 v[60:61], v46
	v_add_u32_e32 v46, s4, v50
	v_ashrrev_i32_e32 v67, 5, v46
	v_cmp_gt_i32_e32 vcc, s33, v50
	v_cvt_pkrtz_f16_f32 v60, v60, v61
	v_cvt_pkrtz_f16_f32 v61, v62, v63
	v_cvt_pk_f32_fp8_e32 v[62:63], v47
	v_cvt_pk_f32_fp8_sdwa v[46:47], v47 src0_sel:WORD_1
	v_cndmask_b32_e32 v66, v66, v67, vcc
	v_lshl_add_u64 v[52:53], v[52:53], 2, s[6:7]
	v_cvt_pkrtz_f16_f32 v68, v62, v63
	v_cvt_pkrtz_f16_f32 v69, v46, v47
	s_waitcnt lgkmcnt(3)
	v_mfma_f32_16x16x16_f16 v[60:63], v[60:61], v[30:31], 0
	v_cvt_pk_f32_fp8_e32 v[46:47], v48
	v_ashrrev_i32_e32 v67, 31, v66
	v_lshl_add_u64 v[74:75], v[66:67], 2, s[6:7]
	v_mfma_f32_16x16x16_f16 v[66:69], v[68:69], v[32:33], v[60:63]
	s_nop 2
	global_load_dword v63, v[52:53], off
	s_nop 0
	global_load_dword v64, v[64:65], off
	;; [unrolled: 2-line block ×3, first 2 shown]
	global_load_dword v62, v[74:75], off
	v_cvt_pkrtz_f16_f32 v46, v46, v47
	v_cvt_pkrtz_f16_f32 v47, v72, v73
	v_cvt_pk_f32_fp8_e32 v[72:73], v49
	v_cvt_pk_f32_fp8_sdwa v[48:49], v49 src0_sel:WORD_1
	s_waitcnt vmcnt(10)
	v_cvt_pk_f32_fp8_sdwa v[70:71], v36 src0_sel:WORD_1
	s_waitcnt vmcnt(7)
	v_cvt_pk_f32_fp8_sdwa v[76:77], v5 src0_sel:WORD_1
	v_cvt_pkrtz_f16_f32 v52, v72, v73
	v_cvt_pkrtz_f16_f32 v53, v48, v49
	s_waitcnt lgkmcnt(2)
	v_mfma_f32_16x16x16_f16 v[46:49], v[46:47], v[22:23], v[66:69]
	v_cvt_pk_f32_fp8_sdwa v[72:73], v4 src0_sel:WORD_1
	s_add_u32 s4, s8, s12
	s_addc_u32 s5, s9, 0
	v_cvt_pk_f32_fp8_e32 v[66:67], v34
	v_cvt_pk_f32_fp8_sdwa v[68:69], v34 src0_sel:WORD_1
	v_mfma_f32_16x16x16_f16 v[46:49], v[52:53], v[24:25], v[46:49]
	v_cvt_pk_f32_fp8_e32 v[52:53], v35
	v_cvt_pkrtz_f16_f32 v66, v66, v67
	v_cvt_pkrtz_f16_f32 v67, v68, v69
	v_cvt_pk_f32_fp8_sdwa v[34:35], v35 src0_sel:WORD_1
	v_cvt_pkrtz_f16_f32 v52, v52, v53
	v_cvt_pk_f32_fp8_e32 v[68:69], v36
	s_waitcnt lgkmcnt(1)
	v_mfma_f32_16x16x16_f16 v[46:49], v[66:67], v[18:19], v[46:49]
	v_cvt_pkrtz_f16_f32 v53, v34, v35
	v_cvt_pkrtz_f16_f32 v66, v68, v69
	;; [unrolled: 1-line block ×3, first 2 shown]
	v_cvt_pk_f32_fp8_e32 v[68:69], v37
	v_cvt_pk_f32_fp8_sdwa v[70:71], v37 src0_sel:WORD_1
	v_mfma_f32_16x16x16_f16 v[34:37], v[52:53], v[20:21], v[46:49]
	v_cvt_pk_f32_fp8_sdwa v[52:53], v38 src0_sel:WORD_1
	v_and_b32_e32 v50, 16, v0
	v_lshl_or_b32 v60, v58, 4, v56
	v_cvt_pkrtz_f16_f32 v46, v68, v69
	v_cvt_pkrtz_f16_f32 v47, v70, v71
	s_waitcnt lgkmcnt(0)
	v_mfma_f32_16x16x16_f16 v[34:37], v[66:67], v[10:11], v[34:37]
	v_cvt_pk_f32_fp8_e32 v[48:49], v38
	v_cvt_pk_f32_fp8_e32 v[66:67], v40
	v_cvt_pk_f32_fp8_sdwa v[68:69], v40 src0_sel:WORD_1
	v_mfma_f32_16x16x16_f16 v[34:37], v[46:47], v[12:13], v[34:37]
	v_cvt_pk_f32_fp8_e32 v[46:47], v39
	v_cvt_pkrtz_f16_f32 v48, v48, v49
	v_cvt_pkrtz_f16_f32 v49, v52, v53
	v_cvt_pk_f32_fp8_sdwa v[38:39], v39 src0_sel:WORD_1
	v_cvt_pkrtz_f16_f32 v52, v46, v47
	v_mfma_f32_16x16x16_f16 v[46:49], v[48:49], v[30:31], 0
	v_cvt_pkrtz_f16_f32 v53, v38, v39
	v_cvt_pkrtz_f16_f32 v66, v66, v67
	;; [unrolled: 1-line block ×3, first 2 shown]
	v_cvt_pk_f32_fp8_e32 v[68:69], v41
	v_cvt_pk_f32_fp8_sdwa v[70:71], v41 src0_sel:WORD_1
	v_mfma_f32_16x16x16_f16 v[38:41], v[52:53], v[32:33], v[46:49]
	v_cvt_pk_f32_fp8_e32 v[52:53], v6
	v_cvt_pkrtz_f16_f32 v52, v52, v53
	s_nop 0
	v_cvt_pkrtz_f16_f32 v48, v68, v69
	v_cvt_pkrtz_f16_f32 v49, v70, v71
	v_mfma_f32_16x16x16_f16 v[38:41], v[66:67], v[22:23], v[38:41]
	v_cvt_pk_f32_fp8_sdwa v[66:67], v6 src0_sel:WORD_1
	v_cvt_pk_f32_fp8_sdwa v[68:69], v8 src0_sel:WORD_1
	v_lshl_add_u64 v[46:47], s[4:5], 0, v[50:51]
	v_mfma_f32_16x16x16_f16 v[38:41], v[48:49], v[24:25], v[38:41]
	v_cvt_pk_f32_fp8_e32 v[48:49], v7
	v_cvt_pkrtz_f16_f32 v53, v66, v67
	v_cvt_pk_f32_fp8_sdwa v[6:7], v7 src0_sel:WORD_1
	v_cvt_pk_f32_fp8_e32 v[66:67], v8
	v_cvt_pkrtz_f16_f32 v48, v48, v49
	v_mfma_f32_16x16x16_f16 v[38:41], v[52:53], v[18:19], v[38:41]
	v_cvt_pkrtz_f16_f32 v49, v6, v7
	v_cvt_pkrtz_f16_f32 v52, v66, v67
	;; [unrolled: 1-line block ×3, first 2 shown]
	v_cvt_pk_f32_fp8_e32 v[66:67], v9
	v_cvt_pk_f32_fp8_sdwa v[68:69], v9 src0_sel:WORD_1
	v_mfma_f32_16x16x16_f16 v[6:9], v[48:49], v[20:21], v[38:41]
	v_cvt_pk_f32_fp8_e32 v[48:49], v2
	v_lshlrev_b32_e32 v50, 5, v60
	v_lshl_add_u64 v[70:71], v[46:47], 0, v[50:51]
	v_cvt_pkrtz_f16_f32 v38, v66, v67
	v_cvt_pkrtz_f16_f32 v39, v68, v69
	v_mfma_f32_16x16x16_f16 v[6:9], v[52:53], v[10:11], v[6:9]
	v_cvt_pk_f32_fp8_sdwa v[52:53], v2 src0_sel:WORD_1
	s_waitcnt vmcnt(2)
	v_mad_i64_i32 v[74:75], s[4:5], v64, s45, v[70:71]
	v_mfma_f32_16x16x16_f16 v[38:41], v[38:39], v[12:13], v[6:9]
	v_or_b32_e32 v50, 0x800, v50
	v_lshl_add_u64 v[46:47], v[46:47], 0, v[50:51]
	s_nop 0
	v_cvt_pkrtz_f16_f32 v6, v48, v49
	v_cvt_pkrtz_f16_f32 v7, v52, v53
	v_cvt_pk_f32_fp8_e32 v[8:9], v3
	v_cvt_pk_f32_fp8_sdwa v[2:3], v3 src0_sel:WORD_1
	v_mad_i64_i32 v[48:49], s[4:5], v63, s45, v[70:71]
	v_cvt_pkrtz_f16_f32 v52, v8, v9
	v_cvt_pkrtz_f16_f32 v53, v2, v3
	v_mfma_f32_16x16x16_f16 v[6:9], v[6:7], v[30:31], 0
	v_cvt_pk_f32_fp8_e32 v[2:3], v4
	v_mfma_f32_16x16x16_f16 v[66:69], v[52:53], v[32:33], v[6:9]
	v_cvt_pkrtz_f16_f32 v52, v2, v3
	v_cvt_pkrtz_f16_f32 v53, v72, v73
	v_cvt_pk_f32_fp8_e32 v[72:73], v5
	s_nop 1
	global_load_dwordx4 v[6:9], v[48:49], off
	global_load_dwordx4 v[2:5], v[74:75], off
	v_mfma_f32_16x16x16_f16 v[66:69], v[52:53], v[22:23], v[66:69]
	v_cvt_pkrtz_f16_f32 v72, v72, v73
	v_cvt_pkrtz_f16_f32 v73, v76, v77
	s_waitcnt vmcnt(3)
	v_mad_i64_i32 v[48:49], s[4:5], v61, s45, v[70:71]
	s_waitcnt vmcnt(2)
	v_mad_i64_i32 v[52:53], s[4:5], v62, s45, v[70:71]
	v_mfma_f32_16x16x16_f16 v[66:69], v[72:73], v[24:25], v[66:69]
	v_cvt_pk_f32_fp8_e32 v[70:71], v42
	v_cvt_pk_f32_fp8_sdwa v[72:73], v42 src0_sel:WORD_1
	v_cvt_pk_f32_fp8_e32 v[74:75], v43
	v_cvt_pk_f32_fp8_sdwa v[42:43], v43 src0_sel:WORD_1
	v_cvt_pkrtz_f16_f32 v70, v70, v71
	v_cvt_pkrtz_f16_f32 v71, v72, v73
	;; [unrolled: 1-line block ×4, first 2 shown]
	v_cvt_pk_f32_fp8_e32 v[42:43], v44
	v_cvt_pk_f32_fp8_sdwa v[74:75], v44 src0_sel:WORD_1
	v_mfma_f32_16x16x16_f16 v[66:69], v[70:71], v[18:19], v[66:69]
	v_cvt_pk_f32_fp8_sdwa v[76:77], v45 src0_sel:WORD_1
	v_cvt_pkrtz_f16_f32 v70, v42, v43
	v_cvt_pkrtz_f16_f32 v71, v74, v75
	v_cvt_pk_f32_fp8_e32 v[74:75], v45
	v_mfma_f32_16x16x16_f16 v[42:45], v[72:73], v[20:21], v[66:69]
	v_cvt_pkrtz_f16_f32 v51, v76, v77
	v_cvt_pk_f32_fp8_sdwa v[72:73], v26 src0_sel:WORD_1
	v_cvt_pkrtz_f16_f32 v50, v74, v75
	v_mfma_f32_16x16x16_f16 v[42:45], v[70:71], v[10:11], v[42:45]
	v_cvt_pk_f32_fp8_e32 v[70:71], v26
	s_load_dword s4, s[0:1], 0x1c
	s_load_dwordx4 s[40:43], s[0:1], 0x80
	s_load_dword s44, s[0:1], 0x98
	s_waitcnt lgkmcnt(0)
	s_load_dword s5, s[40:41], 0x0
	v_mfma_f32_16x16x16_f16 v[66:69], v[50:51], v[12:13], v[42:45]
	s_mov_b32 s40, 0xff7fffff
	s_nop 1
	v_cvt_pk_f32_fp8_e32 v[42:43], v27
	v_cvt_pkrtz_f16_f32 v44, v70, v71
	v_cvt_pkrtz_f16_f32 v45, v72, v73
	v_cvt_pk_f32_fp8_sdwa v[26:27], v27 src0_sel:WORD_1
	v_cvt_pkrtz_f16_f32 v50, v42, v43
	v_cvt_pk_f32_fp8_e32 v[70:71], v28
	v_cvt_pk_f32_fp8_sdwa v[72:73], v28 src0_sel:WORD_1
	v_cvt_pkrtz_f16_f32 v51, v26, v27
	v_mfma_f32_16x16x16_f16 v[42:45], v[44:45], v[30:31], 0
	v_cvt_pkrtz_f16_f32 v30, v70, v71
	v_cvt_pkrtz_f16_f32 v31, v72, v73
	v_cvt_pk_f32_fp8_e32 v[70:71], v29
	v_cvt_pk_f32_fp8_sdwa v[72:73], v29 src0_sel:WORD_1
	v_mfma_f32_16x16x16_f16 v[26:29], v[50:51], v[32:33], v[42:45]
	v_cvt_pkrtz_f16_f32 v32, v70, v71
	v_cvt_pkrtz_f16_f32 v33, v72, v73
	v_mfma_f32_16x16x16_f16 v[26:29], v[30:31], v[22:23], v[26:29]
	v_mov_b32_e32 v42, s4
	s_waitcnt lgkmcnt(0)
	v_mul_f32_e32 v50, s5, v42
	v_pk_mul_f32 v[30:31], v[50:51], v[34:35] op_sel_hi:[0,1]
	v_mfma_f32_16x16x16_f16 v[32:35], v[32:33], v[24:25], v[26:29]
	v_cvt_pk_f32_fp8_e32 v[22:23], v14
	v_cvt_pk_f32_fp8_sdwa v[24:25], v14 src0_sel:WORD_1
	v_pk_mul_f32 v[42:43], v[50:51], v[36:37] op_sel_hi:[0,1]
	v_cvt_pk_f32_fp8_e32 v[26:27], v15
	v_cvt_pk_f32_fp8_sdwa v[14:15], v15 src0_sel:WORD_1
	v_cvt_pkrtz_f16_f32 v36, v22, v23
	v_cvt_pkrtz_f16_f32 v37, v24, v25
	v_cvt_pkrtz_f16_f32 v44, v26, v27
	v_cvt_pkrtz_f16_f32 v45, v14, v15
	v_cvt_pk_f32_fp8_e32 v[14:15], v16
	v_cvt_pk_f32_fp8_sdwa v[70:71], v16 src0_sel:WORD_1
	v_mfma_f32_16x16x16_f16 v[32:35], v[36:37], v[18:19], v[32:35]
	global_load_dwordx4 v[26:29], v[48:49], off
	global_load_dwordx4 v[22:25], v[52:53], off
	v_cvt_pkrtz_f16_f32 v18, v14, v15
	v_cvt_pkrtz_f16_f32 v19, v70, v71
	v_cvt_pk_f32_fp8_e32 v[36:37], v17
	v_cvt_pk_f32_fp8_sdwa v[48:49], v17 src0_sel:WORD_1
	v_mfma_f32_16x16x16_f16 v[14:17], v[44:45], v[20:21], v[32:35]
	v_pk_mul_f32 v[44:45], v[50:51], v[40:41] op_sel_hi:[0,1]
	v_cvt_pkrtz_f16_f32 v20, v36, v37
	v_cvt_pkrtz_f16_f32 v21, v48, v49
	v_mfma_f32_16x16x16_f16 v[14:17], v[18:19], v[10:11], v[14:17]
	v_pk_mul_f32 v[48:49], v[50:51], v[38:39] op_sel_hi:[0,1]
	v_pk_mul_f32 v[38:39], v[50:51], v[68:69] op_sel_hi:[0,1]
	;; [unrolled: 1-line block ×3, first 2 shown]
	v_mfma_f32_16x16x16_f16 v[10:13], v[20:21], v[12:13], v[14:17]
	s_nop 6
	v_pk_mul_f32 v[36:37], v[50:51], v[10:11] op_sel_hi:[0,1]
	v_and_b32_e32 v10, 0xc0, v0
	v_add_u32_e32 v10, s18, v10
	v_lshl_or_b32 v10, v1, 2, v10
	v_or_b32_e32 v11, 1, v10
	v_pk_mul_f32 v[34:35], v[50:51], v[12:13] op_sel_hi:[0,1]
	v_subrev_u32_e32 v12, s33, v11
	v_add_u32_e32 v14, 1, v12
	v_add_u32_e32 v15, 2, v12
	v_cvt_f32_i32_e32 v13, v12
	v_cvt_f32_i32_e32 v14, v14
	;; [unrolled: 1-line block ×3, first 2 shown]
	v_add_u32_e32 v16, 3, v12
	v_fma_f32 v17, v59, v13, v30
	v_fmac_f32_e32 v31, v59, v14
	v_fma_f32 v42, v59, v15, v42
	v_add_u32_e32 v13, 16, v12
	v_add_u32_e32 v14, 17, v12
	;; [unrolled: 1-line block ×3, first 2 shown]
	v_cvt_f32_i32_e32 v16, v16
	v_cvt_f32_i32_e32 v13, v13
	;; [unrolled: 1-line block ×4, first 2 shown]
	v_fmac_f32_e32 v43, v59, v16
	v_add_u32_e32 v16, 19, v12
	v_fma_f32 v52, v59, v13, v48
	v_fmac_f32_e32 v49, v59, v14
	v_fma_f32 v44, v59, v15, v44
	v_add_u32_e32 v13, 32, v12
	v_add_u32_e32 v14, 33, v12
	;; [unrolled: 1-line block ×3, first 2 shown]
	v_cvt_f32_i32_e32 v16, v16
	v_cvt_f32_i32_e32 v13, v13
	;; [unrolled: 1-line block ×4, first 2 shown]
	v_fmac_f32_e32 v45, v59, v16
	v_add_u32_e32 v16, 35, v12
	v_fma_f32 v40, v59, v13, v40
	v_fmac_f32_e32 v41, v59, v14
	v_fma_f32 v38, v59, v15, v38
	v_add_u32_e32 v13, 48, v12
	v_add_u32_e32 v14, 49, v12
	;; [unrolled: 1-line block ×4, first 2 shown]
	v_cvt_f32_i32_e32 v12, v12
	v_cvt_f32_i32_e32 v13, v13
	;; [unrolled: 1-line block ×3, first 2 shown]
	v_cmp_gt_i32_e64 s[12:13], s33, v10
	v_fmac_f32_e32 v35, v59, v12
	v_mov_b32_e32 v12, 0xff7fffff
	v_cmp_gt_i32_e64 s[14:15], s33, v11
	v_fma_f32 v36, v59, v13, v36
	v_cndmask_b32_e64 v13, v12, v17, s[12:13]
	v_cndmask_b32_e64 v11, v12, v31, s[14:15]
	v_fmac_f32_e32 v37, v59, v14
	v_max3_f32 v11, v13, s40, v11
	v_or_b32_e32 v13, 2, v10
	v_or_b32_e32 v14, 3, v10
	v_cmp_gt_i32_e64 s[16:17], s33, v13
	v_cmp_gt_i32_e64 s[18:19], s33, v14
	v_cvt_f32_i32_e32 v16, v16
	v_cndmask_b32_e64 v13, v12, v42, s[16:17]
	v_cndmask_b32_e64 v14, v12, v43, s[18:19]
	v_max3_f32 v11, v11, v13, v14
	v_or_b32_e32 v13, 16, v10
	v_or_b32_e32 v14, 17, v10
	v_cmp_gt_i32_e64 s[20:21], s33, v13
	v_cmp_gt_i32_e64 s[22:23], s33, v14
	v_fmac_f32_e32 v39, v59, v16
	v_cndmask_b32_e64 v13, v12, v52, s[20:21]
	v_cndmask_b32_e64 v14, v12, v49, s[22:23]
	v_max3_f32 v11, v11, v13, v14
	v_or_b32_e32 v13, 18, v10
	v_or_b32_e32 v14, 19, v10
	v_cmp_gt_i32_e64 s[24:25], s33, v13
	v_cmp_gt_i32_e64 s[26:27], s33, v14
	v_cvt_f32_i32_e32 v15, v15
	v_cndmask_b32_e64 v13, v12, v44, s[24:25]
	v_cndmask_b32_e64 v14, v12, v45, s[26:27]
	v_max3_f32 v11, v11, v13, v14
	v_or_b32_e32 v13, 32, v10
	v_or_b32_e32 v14, 33, v10
	v_cmp_gt_i32_e64 s[28:29], s33, v13
	v_cmp_gt_i32_e64 s[30:31], s33, v14
	v_fma_f32 v34, v59, v15, v34
	v_cndmask_b32_e64 v13, v12, v40, s[28:29]
	v_cndmask_b32_e64 v14, v12, v41, s[30:31]
	v_max3_f32 v11, v11, v13, v14
	v_or_b32_e32 v13, 34, v10
	v_or_b32_e32 v14, 35, v10
	v_cmp_gt_i32_e64 s[34:35], s33, v13
	v_cmp_gt_i32_e64 s[36:37], s33, v14
	s_nop 0
	v_cndmask_b32_e64 v13, v12, v38, s[34:35]
	v_cndmask_b32_e64 v14, v12, v39, s[36:37]
	v_max3_f32 v11, v11, v13, v14
	v_or_b32_e32 v13, 48, v10
	v_or_b32_e32 v14, 49, v10
	v_cmp_gt_i32_e64 s[6:7], s33, v13
	v_cmp_gt_i32_e64 s[8:9], s33, v14
	s_nop 0
	v_cndmask_b32_e64 v13, v12, v36, s[6:7]
	v_cndmask_b32_e64 v14, v12, v37, s[8:9]
	v_max3_f32 v11, v11, v13, v14
	v_or_b32_e32 v13, 50, v10
	v_or_b32_e32 v10, 51, v10
	v_cmp_gt_i32_e32 vcc, s33, v13
	v_cmp_gt_i32_e64 s[4:5], s33, v10
	s_nop 0
	v_cndmask_b32_e32 v13, v12, v34, vcc
	v_cndmask_b32_e64 v10, v12, v35, s[4:5]
	v_max3_f32 v14, v11, v13, v10
	v_mbcnt_lo_u32_b32 v10, -1, 0
	v_mbcnt_hi_u32_b32 v15, -1, v10
	v_and_b32_e32 v10, 64, v15
	v_add_u32_e32 v16, 64, v10
	v_xor_b32_e32 v10, 32, v15
	v_cmp_lt_i32_e64 s[38:39], v10, v16
	s_nop 1
	v_cndmask_b32_e64 v10, v15, v10, s[38:39]
	v_lshlrev_b32_e32 v53, 2, v10
	ds_bpermute_b32 v18, v53, v14
	v_mad_i64_i32 v[10:11], s[38:39], v63, s45, v[46:47]
	v_mad_i64_i32 v[12:13], s[38:39], v64, s45, v[46:47]
	s_waitcnt lgkmcnt(0)
	v_max_f32_e32 v18, v18, v18
	v_max_f32_e32 v18, v14, v18
	v_xor_b32_e32 v14, 16, v15
	v_cmp_lt_i32_e64 s[38:39], v14, v16
	s_nop 1
	v_cndmask_b32_e64 v14, v15, v14, s[38:39]
	v_lshlrev_b32_e32 v59, 2, v14
	ds_bpermute_b32 v16, v59, v18
	v_mad_i64_i32 v[14:15], s[38:39], v61, s45, v[46:47]
	v_mad_i64_i32 v[46:47], s[38:39], v62, s45, v[46:47]
	s_waitcnt lgkmcnt(0)
	v_max_f32_e32 v16, v16, v16
	v_max_f32_e32 v48, v18, v16
	v_sub_f32_e32 v16, v31, v48
	global_load_dwordx4 v[30:33], v[10:11], off
	global_load_dwordx4 v[18:21], v[12:13], off
	v_sub_f32_e32 v10, v17, v48
	v_mul_f32_e32 v10, 0x3fb8aa3b, v10
	v_exp_f32_e32 v50, v10
	v_mul_f32_e32 v10, 0x3fb8aa3b, v16
	v_exp_f32_e32 v51, v10
	v_sub_f32_e32 v10, v42, v48
	v_mul_f32_e32 v10, 0x3fb8aa3b, v10
	v_exp_f32_e32 v42, v10
	v_sub_f32_e32 v10, v43, v48
	v_mul_f32_e32 v10, 0x3fb8aa3b, v10
	v_exp_f32_e32 v43, v10
	global_load_dwordx4 v[14:17], v[14:15], off
	s_nop 0
	global_load_dwordx4 v[10:13], v[46:47], off
	v_sub_f32_e32 v40, v40, v48
	v_sub_f32_e32 v38, v38, v48
	v_mul_f32_e32 v40, 0x3fb8aa3b, v40
	v_mul_f32_e32 v38, 0x3fb8aa3b, v38
	v_cndmask_b32_e64 v47, 0, v51, s[14:15]
	v_cndmask_b32_e64 v51, 0, v43, s[18:19]
	v_sub_f32_e32 v43, v49, v48
	v_exp_f32_e32 v40, v40
	v_exp_f32_e32 v49, v38
	v_cndmask_b32_e64 v46, 0, v50, s[12:13]
	v_cndmask_b32_e64 v50, 0, v42, s[16:17]
	v_sub_f32_e32 v42, v52, v48
	v_mul_f32_e32 v42, 0x3fb8aa3b, v42
	v_sub_f32_e32 v38, v39, v48
	v_exp_f32_e32 v42, v42
	v_mul_f32_e32 v43, 0x3fb8aa3b, v43
	v_sub_f32_e32 v44, v44, v48
	v_mul_f32_e32 v38, 0x3fb8aa3b, v38
	v_exp_f32_e32 v43, v43
	v_mul_f32_e32 v44, 0x3fb8aa3b, v44
	v_sub_f32_e32 v45, v45, v48
	v_exp_f32_e32 v52, v38
	v_cndmask_b32_e64 v38, 0, v40, s[28:29]
	v_cndmask_b32_e64 v40, 0, v49, s[34:35]
	v_add_f32_e32 v49, 0, v46
	v_exp_f32_e32 v44, v44
	v_mul_f32_e32 v45, 0x3fb8aa3b, v45
	v_add_f32_e32 v49, v49, v47
	v_exp_f32_e32 v45, v45
	v_sub_f32_e32 v41, v41, v48
	v_add_f32_e32 v49, v49, v50
	v_cndmask_b32_e64 v42, 0, v42, s[20:21]
	v_mul_f32_e32 v41, 0x3fb8aa3b, v41
	v_add_f32_e32 v49, v49, v51
	v_cndmask_b32_e64 v43, 0, v43, s[22:23]
	v_exp_f32_e32 v41, v41
	v_add_f32_e32 v49, v49, v42
	v_cndmask_b32_e64 v44, 0, v44, s[24:25]
	v_add_f32_e32 v49, v49, v43
	v_sub_f32_e32 v36, v36, v48
	v_cndmask_b32_e64 v45, 0, v45, s[26:27]
	v_add_f32_e32 v49, v49, v44
	v_mul_f32_e32 v36, 0x3fb8aa3b, v36
	v_sub_f32_e32 v37, v37, v48
	v_add_f32_e32 v49, v49, v45
	v_exp_f32_e32 v36, v36
	v_mul_f32_e32 v37, 0x3fb8aa3b, v37
	v_sub_f32_e32 v34, v34, v48
	v_cndmask_b32_e64 v39, 0, v41, s[30:31]
	v_add_f32_e32 v49, v49, v38
	v_exp_f32_e32 v37, v37
	v_mul_f32_e32 v34, 0x3fb8aa3b, v34
	v_sub_f32_e32 v35, v35, v48
	v_add_f32_e32 v49, v49, v39
	v_exp_f32_e32 v34, v34
	v_mul_f32_e32 v35, 0x3fb8aa3b, v35
	v_cndmask_b32_e64 v41, 0, v52, s[36:37]
	v_add_f32_e32 v49, v49, v40
	v_exp_f32_e32 v35, v35
	v_add_f32_e32 v49, v49, v41
	v_cndmask_b32_e64 v36, 0, v36, s[6:7]
	v_add_f32_e32 v49, v49, v36
	v_cndmask_b32_e64 v37, 0, v37, s[8:9]
	v_add_f32_e32 v49, v49, v37
	v_cndmask_b32_e32 v34, 0, v34, vcc
	v_add_f32_e32 v49, v49, v34
	v_cndmask_b32_e64 v35, 0, v35, s[4:5]
	v_add_f32_e32 v49, v49, v35
	ds_bpermute_b32 v52, v53, v49
	v_cmp_gt_u32_e32 vcc, 16, v55
	s_waitcnt lgkmcnt(0)
	s_barrier
	v_add_f32_e32 v49, v49, v52
	ds_bpermute_b32 v52, v59, v49
	s_and_saveexec_b64 s[4:5], vcc
	s_cbranch_execz .LBB1055_15
; %bb.14:
	s_waitcnt lgkmcnt(0)
	v_add_f32_e32 v49, v49, v52
	v_lshlrev_b32_e32 v52, 2, v60
	ds_write2st64_b32 v52, v48, v49 offset1:1
.LBB1055_15:
	s_or_b64 exec, exec, s[4:5]
	v_lshlrev_b32_e32 v49, 2, v56
	s_load_dword s6, s[0:1], 0x94
	s_waitcnt lgkmcnt(0)
	s_barrier
	ds_read2_b32 v[52:53], v49 offset1:16
	ds_read2_b32 v[60:61], v49 offset0:32 offset1:48
	ds_read2_b32 v[62:63], v49 offset0:64 offset1:80
	s_lshl_b32 s7, s44, 3
	s_waitcnt lgkmcnt(2)
	v_max3_f32 v48, v52, s40, v53
	s_waitcnt lgkmcnt(1)
	v_max3_f32 v48, v48, v60, v61
	v_sub_f32_e32 v52, v52, v48
	v_mul_f32_e32 v52, 0x3fb8aa3b, v52
	v_exp_f32_e32 v55, v52
	v_sub_f32_e32 v52, v53, v48
	v_mul_f32_e32 v52, 0x3fb8aa3b, v52
	v_exp_f32_e32 v59, v52
	v_sub_f32_e32 v52, v60, v48
	v_mul_f32_e32 v52, 0x3fb8aa3b, v52
	v_exp_f32_e32 v60, v52
	ds_read2_b32 v[52:53], v49 offset0:96 offset1:112
	v_sub_f32_e32 v49, v61, v48
	v_mul_f32_e32 v49, 0x3fb8aa3b, v49
	v_exp_f32_e32 v61, v49
	s_waitcnt lgkmcnt(1)
	v_fma_f32 v49, v55, v62, 0
	v_fmac_f32_e32 v49, v59, v63
	s_waitcnt lgkmcnt(0)
	v_fmac_f32_e32 v49, v60, v52
	v_fmac_f32_e32 v49, v61, v53
	v_add_f32_e32 v52, 0x358637bd, v49
	v_div_scale_f32 v53, s[4:5], v52, v52, 1.0
	v_rcp_f32_e32 v62, v53
	s_barrier
	v_fma_f32 v63, -v53, v62, 1.0
	v_fmac_f32_e32 v62, v63, v62
	v_div_scale_f32 v63, vcc, 1.0, v52, 1.0
	v_mul_f32_e32 v64, v63, v62
	v_fma_f32 v65, -v53, v64, v63
	v_fmac_f32_e32 v64, v65, v62
	v_fma_f32 v53, -v53, v64, v63
	v_div_fmas_f32 v53, v53, v62, v64
	v_cmp_eq_u32_e32 vcc, 1, v58
	v_div_fixup_f32 v52, v53, v52, 1.0
	s_nop 0
	v_cndmask_b32_e32 v53, v55, v59, vcc
	v_cmp_eq_u32_e32 vcc, 2, v58
	s_nop 1
	v_cndmask_b32_e32 v53, v53, v60, vcc
	v_cmp_eq_u32_e32 vcc, 3, v58
	s_nop 1
	v_cndmask_b32_e32 v53, v53, v61, vcc
	v_mul_f32_e32 v52, v53, v52
	v_pk_mul_f32 v[50:51], v[52:53], v[50:51] op_sel_hi:[0,1]
	v_pk_mul_f32 v[46:47], v[52:53], v[46:47] op_sel_hi:[0,1]
	v_cvt_f16_f32_e32 v53, v50
	v_cvt_f16_f32_e32 v46, v46
	;; [unrolled: 1-line block ×4, first 2 shown]
	v_pk_mul_f32 v[44:45], v[52:53], v[44:45] op_sel_hi:[0,1]
	v_pk_mul_f32 v[42:43], v[52:53], v[42:43] op_sel_hi:[0,1]
	v_cvt_f16_f32_e32 v42, v42
	v_cvt_f16_f32_e32 v43, v43
	;; [unrolled: 1-line block ×4, first 2 shown]
	v_pack_b32_f16 v50, v46, v47
	v_pack_b32_f16 v51, v53, v51
	v_lshlrev_b32_e32 v47, 3, v1
	v_lshlrev_b32_e32 v46, 5, v56
	;; [unrolled: 1-line block ×3, first 2 shown]
	v_or3_b32 v55, v53, v46, v47
	v_pack_b32_f16 v42, v42, v43
	v_pack_b32_f16 v43, v44, v45
	v_pk_mul_f32 v[40:41], v[52:53], v[40:41] op_sel_hi:[0,1]
	v_pk_mul_f32 v[38:39], v[52:53], v[38:39] op_sel_hi:[0,1]
	v_pk_mul_f32 v[34:35], v[52:53], v[34:35] op_sel_hi:[0,1]
	v_pk_mul_f32 v[36:37], v[52:53], v[36:37] op_sel_hi:[0,1]
	ds_write2st64_b64 v55, v[50:51], v[42:43] offset1:1
	v_cvt_f16_f32_e32 v38, v38
	v_cvt_f16_f32_e32 v39, v39
	;; [unrolled: 1-line block ×8, first 2 shown]
	v_pack_b32_f16 v34, v38, v39
	v_pack_b32_f16 v35, v40, v41
	;; [unrolled: 1-line block ×4, first 2 shown]
	v_cmp_gt_u32_e32 vcc, 8, v0
	ds_write2st64_b64 v55, v[34:35], v[36:37] offset0:2 offset1:3
	s_and_saveexec_b64 s[4:5], vcc
	s_cbranch_execz .LBB1055_17
; %bb.16:
	v_or_b32_e32 v34, s11, v0
	v_mov_b32_e32 v35, 0
	v_mov_b32_e32 v36, s7
	v_mad_u64_u32 v[36:37], s[8:9], s2, v36, v[34:35]
	v_mov_b32_e32 v34, s10
	s_load_dwordx4 s[12:15], s[0:1], 0x58
	s_mul_i32 s3, s3, s7
	v_mad_u64_u32 v[34:35], s[8:9], v36, s6, v[34:35]
	v_add_u32_e32 v37, s3, v37
	v_mov_b32_e32 v36, v35
	v_mad_u64_u32 v[36:37], s[8:9], v37, s6, v[36:37]
	v_mov_b32_e32 v35, v36
	v_lshlrev_b64 v[34:35], 2, v[34:35]
	s_waitcnt lgkmcnt(0)
	v_lshl_add_u64 v[36:37], s[14:15], 0, v[34:35]
	v_lshl_add_u64 v[34:35], s[12:13], 0, v[34:35]
	global_store_dword v[36:37], v48, off
	global_store_dword v[34:35], v49, off
.LBB1055_17:
	s_or_b64 exec, exec, s[4:5]
	s_waitcnt vmcnt(7)
	v_cvt_pk_f32_fp8_e32 v[34:35], v6
	v_cvt_pk_f32_fp8_sdwa v[36:37], v6 src0_sel:WORD_1
	v_lshl_or_b32 v50, v1, 9, v46
	s_waitcnt lgkmcnt(0)
	s_barrier
	v_cvt_pk_f32_fp8_e32 v[38:39], v7
	v_cvt_pkrtz_f16_f32 v6, v34, v35
	v_cvt_pk_f32_fp8_sdwa v[40:41], v7 src0_sel:WORD_1
	v_cvt_pkrtz_f16_f32 v7, v36, v37
	ds_read_b128 v[34:37], v50
	v_cvt_pkrtz_f16_f32 v46, v38, v39
	v_cvt_pkrtz_f16_f32 v47, v40, v41
	ds_read_b128 v[38:41], v50 offset:16
	v_cvt_pk_f32_fp8_e32 v[48:49], v8
	v_cvt_pk_f32_fp8_sdwa v[52:53], v8 src0_sel:WORD_1
	s_waitcnt lgkmcnt(1)
	v_mfma_f32_16x16x16_f16 v[42:45], v[6:7], v[34:35], 0
	s_waitcnt vmcnt(6)
	v_cvt_pk_f32_fp8_e32 v[58:59], v4
	v_cvt_pkrtz_f16_f32 v6, v48, v49
	v_cvt_pkrtz_f16_f32 v7, v52, v53
	v_cvt_pk_f32_fp8_e32 v[48:49], v9
	v_mfma_f32_16x16x16_f16 v[42:45], v[46:47], v[36:37], v[42:45]
	v_cvt_pk_f32_fp8_sdwa v[46:47], v9 src0_sel:WORD_1
	v_cvt_pk_f32_fp8_sdwa v[60:61], v4 src0_sel:WORD_1
	v_cvt_pkrtz_f16_f32 v48, v48, v49
	s_waitcnt lgkmcnt(0)
	v_mfma_f32_16x16x16_f16 v[6:9], v[6:7], v[38:39], v[42:45]
	v_cvt_pkrtz_f16_f32 v49, v46, v47
	s_waitcnt vmcnt(5)
	v_cvt_pk_f32_fp8_e32 v[62:63], v28
	v_cvt_pk_f32_fp8_sdwa v[64:65], v28 src0_sel:WORD_1
	v_cvt_pk_f32_fp8_e32 v[42:43], v2
	v_mfma_f32_16x16x16_f16 v[46:49], v[48:49], v[40:41], v[6:9]
	s_waitcnt vmcnt(4)
	v_cvt_pk_f32_fp8_sdwa v[66:67], v24 src0_sel:WORD_1
	s_load_dword s4, s[42:43], 0x0
	v_cvt_pk_f32_fp8_sdwa v[6:7], v2 src0_sel:WORD_1
	v_cvt_pk_f32_fp8_e32 v[8:9], v3
	v_cvt_pkrtz_f16_f32 v2, v42, v43
	v_cvt_pk_f32_fp8_sdwa v[42:43], v3 src0_sel:WORD_1
	v_cvt_pkrtz_f16_f32 v3, v6, v7
	v_cvt_pkrtz_f16_f32 v52, v8, v9
	ds_read_b128 v[6:9], v50 offset:2048
	v_cvt_pkrtz_f16_f32 v53, v42, v43
	ds_read_b128 v[42:45], v50 offset:2064
	s_waitcnt lgkmcnt(0)
	v_mfma_f32_16x16x16_f16 v[46:49], v[2:3], v[6:7], v[46:49]
	v_cvt_pkrtz_f16_f32 v2, v58, v59
	v_cvt_pkrtz_f16_f32 v3, v60, v61
	v_cvt_pk_f32_fp8_e32 v[58:59], v5
	v_mfma_f32_16x16x16_f16 v[46:49], v[52:53], v[8:9], v[46:49]
	v_cvt_pk_f32_fp8_sdwa v[52:53], v5 src0_sel:WORD_1
	s_mov_b32 s3, 0
	v_cvt_pkrtz_f16_f32 v58, v58, v59
	v_mfma_f32_16x16x16_f16 v[2:5], v[2:3], v[42:43], v[46:49]
	v_cvt_pkrtz_f16_f32 v59, v52, v53
	v_cmp_gt_u32_e32 vcc, 64, v0
	s_nop 0
	v_cvt_pk_f32_fp8_e32 v[46:47], v26
	v_mfma_f32_16x16x16_f16 v[58:61], v[58:59], v[44:45], v[2:5]
	s_nop 2
	v_cvt_pk_f32_fp8_sdwa v[2:3], v26 src0_sel:WORD_1
	v_cvt_pk_f32_fp8_e32 v[4:5], v27
	v_cvt_pkrtz_f16_f32 v26, v46, v47
	v_cvt_pk_f32_fp8_sdwa v[46:47], v27 src0_sel:WORD_1
	v_cvt_pkrtz_f16_f32 v27, v2, v3
	v_cvt_pkrtz_f16_f32 v52, v4, v5
	ds_read_b128 v[2:5], v50 offset:4096
	v_cvt_pkrtz_f16_f32 v53, v46, v47
	ds_read_b128 v[46:49], v50 offset:4112
	s_waitcnt lgkmcnt(1)
	v_mfma_f32_16x16x16_f16 v[58:61], v[26:27], v[2:3], v[58:61]
	v_cvt_pkrtz_f16_f32 v26, v62, v63
	v_cvt_pkrtz_f16_f32 v27, v64, v65
	v_cvt_pk_f32_fp8_e32 v[62:63], v29
	v_mfma_f32_16x16x16_f16 v[58:61], v[52:53], v[4:5], v[58:61]
	v_cvt_pk_f32_fp8_sdwa v[52:53], v29 src0_sel:WORD_1
	v_cvt_pk_f32_fp8_e32 v[64:65], v24
	v_cvt_pkrtz_f16_f32 v62, v62, v63
	s_waitcnt lgkmcnt(0)
	v_mfma_f32_16x16x16_f16 v[26:29], v[26:27], v[46:47], v[58:61]
	v_cvt_pkrtz_f16_f32 v63, v52, v53
	v_cvt_pk_f32_fp8_e32 v[52:53], v22
	s_nop 0
	v_mfma_f32_16x16x16_f16 v[58:61], v[62:63], v[48:49], v[26:29]
	s_nop 2
	v_cvt_pk_f32_fp8_sdwa v[26:27], v22 src0_sel:WORD_1
	v_cvt_pk_f32_fp8_e32 v[28:29], v23
	v_cvt_pkrtz_f16_f32 v22, v52, v53
	v_cvt_pk_f32_fp8_sdwa v[52:53], v23 src0_sel:WORD_1
	v_cvt_pkrtz_f16_f32 v23, v26, v27
	v_cvt_pkrtz_f16_f32 v62, v28, v29
	ds_read_b128 v[26:29], v50 offset:6144
	v_cvt_pkrtz_f16_f32 v63, v52, v53
	s_waitcnt lgkmcnt(0)
	v_mfma_f32_16x16x16_f16 v[58:61], v[22:23], v[26:27], v[58:61]
	ds_read_b128 v[50:53], v50 offset:6160
	v_cvt_pkrtz_f16_f32 v22, v64, v65
	v_cvt_pkrtz_f16_f32 v23, v66, v67
	v_mfma_f32_16x16x16_f16 v[58:61], v[62:63], v[28:29], v[58:61]
	v_cvt_pk_f32_fp8_e32 v[64:65], v25
	v_cvt_pk_f32_fp8_sdwa v[62:63], v25 src0_sel:WORD_1
	s_waitcnt vmcnt(3)
	v_cvt_pk_f32_fp8_sdwa v[66:67], v32 src0_sel:WORD_1
	s_waitcnt lgkmcnt(0)
	v_mfma_f32_16x16x16_f16 v[22:25], v[22:23], v[50:51], v[58:61]
	v_cvt_pkrtz_f16_f32 v64, v64, v65
	v_cvt_pkrtz_f16_f32 v65, v62, v63
	v_cvt_pk_f32_fp8_e32 v[62:63], v31
	v_cvt_pk_f32_fp8_e32 v[58:59], v30
	v_cvt_pk_f32_fp8_sdwa v[60:61], v30 src0_sel:WORD_1
	v_cvt_pk_f32_fp8_sdwa v[30:31], v31 src0_sel:WORD_1
	v_mfma_f32_16x16x16_f16 v[22:25], v[64:65], v[52:53], v[22:25]
	v_cvt_pkrtz_f16_f32 v58, v58, v59
	v_cvt_pkrtz_f16_f32 v59, v60, v61
	;; [unrolled: 1-line block ×3, first 2 shown]
	v_cvt_pk_f32_fp8_e32 v[64:65], v32
	v_cvt_pkrtz_f16_f32 v63, v30, v31
	v_mfma_f32_16x16x16_f16 v[58:61], v[58:59], v[34:35], 0
	v_cvt_pkrtz_f16_f32 v30, v64, v65
	v_cvt_pkrtz_f16_f32 v31, v66, v67
	v_cvt_pk_f32_fp8_e32 v[64:65], v33
	v_mfma_f32_16x16x16_f16 v[34:37], v[62:63], v[36:37], v[58:61]
	s_barrier
	s_nop 1
	v_cvt_pk_f32_fp8_sdwa v[58:59], v33 src0_sel:WORD_1
	v_cvt_pkrtz_f16_f32 v60, v64, v65
	v_mfma_f32_16x16x16_f16 v[30:33], v[30:31], v[38:39], v[34:37]
	s_waitcnt vmcnt(2)
	v_cvt_pk_f32_fp8_e32 v[38:39], v19
	v_cvt_pkrtz_f16_f32 v61, v58, v59
	v_cvt_pk_f32_fp8_e32 v[34:35], v18
	v_cvt_pk_f32_fp8_sdwa v[36:37], v18 src0_sel:WORD_1
	v_cvt_pk_f32_fp8_sdwa v[18:19], v19 src0_sel:WORD_1
	v_mfma_f32_16x16x16_f16 v[30:33], v[60:61], v[40:41], v[30:33]
	v_cvt_pkrtz_f16_f32 v34, v34, v35
	v_cvt_pkrtz_f16_f32 v35, v36, v37
	;; [unrolled: 1-line block ×3, first 2 shown]
	v_cvt_pk_f32_fp8_e32 v[38:39], v20
	v_cvt_pk_f32_fp8_sdwa v[40:41], v20 src0_sel:WORD_1
	v_cvt_pkrtz_f16_f32 v37, v18, v19
	v_mfma_f32_16x16x16_f16 v[30:33], v[34:35], v[6:7], v[30:33]
	v_cvt_pkrtz_f16_f32 v18, v38, v39
	v_cvt_pkrtz_f16_f32 v19, v40, v41
	v_cvt_pk_f32_fp8_e32 v[34:35], v21
	v_cvt_pk_f32_fp8_sdwa v[20:21], v21 src0_sel:WORD_1
	v_mfma_f32_16x16x16_f16 v[6:9], v[36:37], v[8:9], v[30:33]
	s_nop 2
	v_cvt_pkrtz_f16_f32 v30, v34, v35
	v_cvt_pkrtz_f16_f32 v31, v20, v21
	v_mfma_f32_16x16x16_f16 v[6:9], v[18:19], v[42:43], v[6:9]
	s_waitcnt vmcnt(1)
	v_cvt_pk_f32_fp8_e32 v[18:19], v14
	v_cvt_pk_f32_fp8_sdwa v[20:21], v14 src0_sel:WORD_1
	v_cvt_pk_f32_fp8_sdwa v[32:33], v16 src0_sel:WORD_1
	v_mfma_f32_16x16x16_f16 v[6:9], v[30:31], v[44:45], v[6:9]
	v_cvt_pk_f32_fp8_e32 v[30:31], v15
	v_cvt_pkrtz_f16_f32 v18, v18, v19
	v_cvt_pkrtz_f16_f32 v19, v20, v21
	v_cvt_pk_f32_fp8_sdwa v[14:15], v15 src0_sel:WORD_1
	v_cvt_pkrtz_f16_f32 v20, v30, v31
	v_cvt_pk_f32_fp8_e32 v[30:31], v16
	v_mfma_f32_16x16x16_f16 v[6:9], v[18:19], v[2:3], v[6:9]
	v_cvt_pkrtz_f16_f32 v21, v14, v15
	v_cvt_pkrtz_f16_f32 v14, v30, v31
	;; [unrolled: 1-line block ×3, first 2 shown]
	v_cvt_pk_f32_fp8_e32 v[18:19], v17
	v_cvt_pk_f32_fp8_sdwa v[16:17], v17 src0_sel:WORD_1
	v_mfma_f32_16x16x16_f16 v[2:5], v[20:21], v[4:5], v[6:9]
	s_waitcnt vmcnt(0)
	v_cvt_pk_f32_fp8_sdwa v[20:21], v12 src0_sel:WORD_1
	s_nop 0
	v_cvt_pkrtz_f16_f32 v8, v18, v19
	v_cvt_pkrtz_f16_f32 v9, v16, v17
	v_mfma_f32_16x16x16_f16 v[2:5], v[14:15], v[46:47], v[2:5]
	v_cvt_pk_f32_fp8_e32 v[16:17], v10
	v_cvt_pk_f32_fp8_sdwa v[18:19], v10 src0_sel:WORD_1
	v_pk_mul_f32 v[6:7], v[24:25], s[4:5] op_sel_hi:[1,0]
	v_mfma_f32_16x16x16_f16 v[2:5], v[8:9], v[48:49], v[2:5]
	v_cvt_pk_f32_fp8_e32 v[8:9], v11
	v_cvt_pkrtz_f16_f32 v16, v16, v17
	v_cvt_pkrtz_f16_f32 v17, v18, v19
	v_cvt_pk_f32_fp8_sdwa v[10:11], v11 src0_sel:WORD_1
	v_cvt_pkrtz_f16_f32 v8, v8, v9
	v_cvt_pk_f32_fp8_e32 v[18:19], v12
	v_mfma_f32_16x16x16_f16 v[2:5], v[16:17], v[26:27], v[2:5]
	v_cvt_pkrtz_f16_f32 v9, v10, v11
	v_cvt_pkrtz_f16_f32 v10, v18, v19
	;; [unrolled: 1-line block ×3, first 2 shown]
	v_cvt_pk_f32_fp8_e32 v[16:17], v13
	v_cvt_pk_f32_fp8_sdwa v[12:13], v13 src0_sel:WORD_1
	v_mfma_f32_16x16x16_f16 v[2:5], v[8:9], v[28:29], v[2:5]
	v_pk_mul_f32 v[14:15], v[22:23], s[4:5] op_sel_hi:[1,0]
	v_cvt_pkrtz_f16_f32 v8, v16, v17
	v_cvt_pkrtz_f16_f32 v9, v12, v13
	v_mfma_f32_16x16x16_f16 v[2:5], v[10:11], v[50:51], v[2:5]
	v_cvt_f16_f32_e32 v14, v14
	v_cvt_f16_f32_e32 v10, v15
	;; [unrolled: 1-line block ×3, first 2 shown]
	v_mfma_f32_16x16x16_f16 v[2:5], v[8:9], v[52:53], v[2:5]
	v_cvt_f16_f32_e32 v7, v7
	s_nop 5
	v_pk_mul_f32 v[4:5], v[4:5], s[4:5] op_sel_hi:[1,0]
	v_pk_mul_f32 v[2:3], v[2:3], s[4:5] op_sel_hi:[1,0]
	v_cvt_f16_f32_e32 v11, v4
	v_cvt_f16_f32_e32 v8, v2
	;; [unrolled: 1-line block ×4, first 2 shown]
	v_pack_b32_f16 v2, v14, v10
	v_pack_b32_f16 v3, v6, v7
	;; [unrolled: 1-line block ×4, first 2 shown]
	ds_write2st64_b64 v55, v[2:3], v[4:5] offset1:1
	s_waitcnt lgkmcnt(0)
	s_barrier
	s_and_saveexec_b64 s[4:5], vcc
	s_cbranch_execz .LBB1055_19
; %bb.18:
	s_load_dwordx2 s[0:1], s[0:1], 0x68
	s_lshl_b32 s6, s6, 7
	s_mul_i32 s2, s7, s2
	s_mul_hi_u32 s5, s2, s6
	s_mul_i32 s4, s2, s6
	v_lshlrev_b32_e32 v4, 6, v56
	s_lshl_b64 s[4:5], s[4:5], 1
	v_lshl_or_b32 v0, v0, 10, v4
	s_waitcnt lgkmcnt(0)
	s_add_u32 s4, s0, s4
	v_lshlrev_b32_e32 v2, 5, v1
	v_and_b32_e32 v3, 16, v57
	v_and_b32_e32 v0, 0x1a00, v0
	s_addc_u32 s5, s1, s5
	s_lshl_b32 s2, s10, 7
	v_or3_b32 v0, v0, v2, v3
	s_lshl_b64 s[0:1], s[2:3], 1
	ds_read_b128 v[2:5], v0
	ds_read_b128 v[6:9], v0 offset:128
	s_add_u32 s0, s4, s0
	s_addc_u32 s1, s5, s1
	v_mov_b32_e32 v55, 0
	v_or_b32_e32 v12, s11, v1
	v_lshl_add_u64 v[10:11], s[0:1], 0, v[54:55]
	v_mad_u64_u32 v[0:1], s[0:1], v12, s6, 0
	v_lshl_add_u64 v[0:1], v[0:1], 1, v[10:11]
	s_waitcnt lgkmcnt(1)
	global_store_dwordx4 v[0:1], v[2:5], off
	v_or_b32_e32 v0, 4, v12
	v_mad_u64_u32 v[0:1], s[0:1], v0, s6, 0
	v_lshl_add_u64 v[0:1], v[0:1], 1, v[10:11]
	s_waitcnt lgkmcnt(0)
	global_store_dwordx4 v[0:1], v[6:9], off
.LBB1055_19:
	s_endpgm
	.section	.rodata,"a",@progbits
	.p2align	6, 0x0
	.amdhsa_kernel _Z39paged_attention_ll4mi_QKV_mfma16_kernelIDF16_hLN4vllm18Fp8KVCacheDataTypeE1EDF16_Li32ELi128ELi256ELb1ELi8EEvPKT_PKT0_S7_ifPKiS9_S9_iPKfiiiPfSC_PS2_PT2_iSB_SB_
		.amdhsa_group_segment_fixed_size 8192
		.amdhsa_private_segment_fixed_size 0
		.amdhsa_kernarg_size 400
		.amdhsa_user_sgpr_count 2
		.amdhsa_user_sgpr_dispatch_ptr 0
		.amdhsa_user_sgpr_queue_ptr 0
		.amdhsa_user_sgpr_kernarg_segment_ptr 1
		.amdhsa_user_sgpr_dispatch_id 0
		.amdhsa_user_sgpr_kernarg_preload_length 0
		.amdhsa_user_sgpr_kernarg_preload_offset 0
		.amdhsa_user_sgpr_private_segment_size 0
		.amdhsa_uses_dynamic_stack 0
		.amdhsa_enable_private_segment 0
		.amdhsa_system_sgpr_workgroup_id_x 1
		.amdhsa_system_sgpr_workgroup_id_y 1
		.amdhsa_system_sgpr_workgroup_id_z 1
		.amdhsa_system_sgpr_workgroup_info 0
		.amdhsa_system_vgpr_workitem_id 0
		.amdhsa_next_free_vgpr 78
		.amdhsa_next_free_sgpr 48
		.amdhsa_accum_offset 80
		.amdhsa_reserve_vcc 1
		.amdhsa_float_round_mode_32 0
		.amdhsa_float_round_mode_16_64 0
		.amdhsa_float_denorm_mode_32 3
		.amdhsa_float_denorm_mode_16_64 3
		.amdhsa_dx10_clamp 1
		.amdhsa_ieee_mode 1
		.amdhsa_fp16_overflow 0
		.amdhsa_tg_split 0
		.amdhsa_exception_fp_ieee_invalid_op 0
		.amdhsa_exception_fp_denorm_src 0
		.amdhsa_exception_fp_ieee_div_zero 0
		.amdhsa_exception_fp_ieee_overflow 0
		.amdhsa_exception_fp_ieee_underflow 0
		.amdhsa_exception_fp_ieee_inexact 0
		.amdhsa_exception_int_div_zero 0
	.end_amdhsa_kernel
	.section	.text._Z39paged_attention_ll4mi_QKV_mfma16_kernelIDF16_hLN4vllm18Fp8KVCacheDataTypeE1EDF16_Li32ELi128ELi256ELb1ELi8EEvPKT_PKT0_S7_ifPKiS9_S9_iPKfiiiPfSC_PS2_PT2_iSB_SB_,"axG",@progbits,_Z39paged_attention_ll4mi_QKV_mfma16_kernelIDF16_hLN4vllm18Fp8KVCacheDataTypeE1EDF16_Li32ELi128ELi256ELb1ELi8EEvPKT_PKT0_S7_ifPKiS9_S9_iPKfiiiPfSC_PS2_PT2_iSB_SB_,comdat
.Lfunc_end1055:
	.size	_Z39paged_attention_ll4mi_QKV_mfma16_kernelIDF16_hLN4vllm18Fp8KVCacheDataTypeE1EDF16_Li32ELi128ELi256ELb1ELi8EEvPKT_PKT0_S7_ifPKiS9_S9_iPKfiiiPfSC_PS2_PT2_iSB_SB_, .Lfunc_end1055-_Z39paged_attention_ll4mi_QKV_mfma16_kernelIDF16_hLN4vllm18Fp8KVCacheDataTypeE1EDF16_Li32ELi128ELi256ELb1ELi8EEvPKT_PKT0_S7_ifPKiS9_S9_iPKfiiiPfSC_PS2_PT2_iSB_SB_
                                        ; -- End function
	.section	.AMDGPU.csdata,"",@progbits
; Kernel info:
; codeLenInByte = 6320
; NumSgprs: 54
; NumVgprs: 78
; NumAgprs: 0
; TotalNumVgprs: 78
; ScratchSize: 0
; MemoryBound: 0
; FloatMode: 240
; IeeeMode: 1
; LDSByteSize: 8192 bytes/workgroup (compile time only)
; SGPRBlocks: 6
; VGPRBlocks: 9
; NumSGPRsForWavesPerEU: 54
; NumVGPRsForWavesPerEU: 78
; AccumOffset: 80
; Occupancy: 6
; WaveLimiterHint : 1
; COMPUTE_PGM_RSRC2:SCRATCH_EN: 0
; COMPUTE_PGM_RSRC2:USER_SGPR: 2
; COMPUTE_PGM_RSRC2:TRAP_HANDLER: 0
; COMPUTE_PGM_RSRC2:TGID_X_EN: 1
; COMPUTE_PGM_RSRC2:TGID_Y_EN: 1
; COMPUTE_PGM_RSRC2:TGID_Z_EN: 1
; COMPUTE_PGM_RSRC2:TIDIG_COMP_CNT: 0
; COMPUTE_PGM_RSRC3_GFX90A:ACCUM_OFFSET: 19
; COMPUTE_PGM_RSRC3_GFX90A:TG_SPLIT: 0
	.section	.text._Z39paged_attention_ll4mi_QKV_mfma16_kernelIDF16_hLN4vllm18Fp8KVCacheDataTypeE1EDF16_Li32ELi128ELi256ELb1ELi9EEvPKT_PKT0_S7_ifPKiS9_S9_iPKfiiiPfSC_PS2_PT2_iSB_SB_,"axG",@progbits,_Z39paged_attention_ll4mi_QKV_mfma16_kernelIDF16_hLN4vllm18Fp8KVCacheDataTypeE1EDF16_Li32ELi128ELi256ELb1ELi9EEvPKT_PKT0_S7_ifPKiS9_S9_iPKfiiiPfSC_PS2_PT2_iSB_SB_,comdat
	.protected	_Z39paged_attention_ll4mi_QKV_mfma16_kernelIDF16_hLN4vllm18Fp8KVCacheDataTypeE1EDF16_Li32ELi128ELi256ELb1ELi9EEvPKT_PKT0_S7_ifPKiS9_S9_iPKfiiiPfSC_PS2_PT2_iSB_SB_ ; -- Begin function _Z39paged_attention_ll4mi_QKV_mfma16_kernelIDF16_hLN4vllm18Fp8KVCacheDataTypeE1EDF16_Li32ELi128ELi256ELb1ELi9EEvPKT_PKT0_S7_ifPKiS9_S9_iPKfiiiPfSC_PS2_PT2_iSB_SB_
	.globl	_Z39paged_attention_ll4mi_QKV_mfma16_kernelIDF16_hLN4vllm18Fp8KVCacheDataTypeE1EDF16_Li32ELi128ELi256ELb1ELi9EEvPKT_PKT0_S7_ifPKiS9_S9_iPKfiiiPfSC_PS2_PT2_iSB_SB_
	.p2align	8
	.type	_Z39paged_attention_ll4mi_QKV_mfma16_kernelIDF16_hLN4vllm18Fp8KVCacheDataTypeE1EDF16_Li32ELi128ELi256ELb1ELi9EEvPKT_PKT0_S7_ifPKiS9_S9_iPKfiiiPfSC_PS2_PT2_iSB_SB_,@function
_Z39paged_attention_ll4mi_QKV_mfma16_kernelIDF16_hLN4vllm18Fp8KVCacheDataTypeE1EDF16_Li32ELi128ELi256ELb1ELi9EEvPKT_PKT0_S7_ifPKiS9_S9_iPKfiiiPfSC_PS2_PT2_iSB_SB_: ; @_Z39paged_attention_ll4mi_QKV_mfma16_kernelIDF16_hLN4vllm18Fp8KVCacheDataTypeE1EDF16_Li32ELi128ELi256ELb1ELi9EEvPKT_PKT0_S7_ifPKiS9_S9_iPKfiiiPfSC_PS2_PT2_iSB_SB_
; %bb.0:
	s_load_dwordx2 s[10:11], s[0:1], 0x30
	s_mov_b32 s6, s3
	s_mov_b64 s[8:9], 0
	s_waitcnt lgkmcnt(0)
	s_cmp_lg_u64 s[10:11], 0
	s_cselect_b64 s[12:13], -1, 0
	s_and_b64 vcc, exec, s[12:13]
	s_cbranch_vccz .LBB1056_7
; %bb.1:
	s_add_i32 s14, s2, 1
	s_mov_b32 s15, 0
	s_lshl_b64 s[16:17], s[14:15], 2
	s_add_u32 s16, s10, s16
	s_mov_b32 s3, s15
	s_addc_u32 s17, s11, s17
	s_lshl_b64 s[14:15], s[2:3], 2
	s_add_u32 s14, s10, s14
	s_addc_u32 s15, s11, s15
	s_load_dword s5, s[16:17], 0x0
	s_load_dword s7, s[14:15], 0x0
	s_waitcnt lgkmcnt(0)
	s_sub_i32 s5, s5, s7
	s_cmp_eq_u32 s5, 1
	s_cselect_b64 s[14:15], -1, 0
	s_andn2_b64 vcc, exec, s[8:9]
	s_cbranch_vccnz .LBB1056_3
.LBB1056_2:
	s_mov_b32 s3, 0
	s_mov_b64 s[14:15], -1
.LBB1056_3:
	s_andn2_b64 vcc, exec, s[14:15]
	s_cbranch_vccnz .LBB1056_20
; %bb.4:
	s_load_dwordx2 s[8:9], s[0:1], 0x28
	s_lshl_b64 s[14:15], s[2:3], 2
	s_waitcnt lgkmcnt(0)
	s_add_u32 s8, s8, s14
	s_addc_u32 s9, s9, s15
	s_load_dword s7, s[8:9], 0x0
	s_lshl_b32 s18, s6, 8
	s_waitcnt lgkmcnt(0)
	s_cmp_ge_i32 s18, s7
	s_cbranch_scc1 .LBB1056_20
; %bb.5:
	s_load_dwordx2 s[8:9], s[0:1], 0x20
	s_load_dword s5, s[0:1], 0x38
	s_add_i32 s16, s7, 31
	s_ashr_i32 s17, s16, 31
	v_and_b32_e32 v1, 0xcf, v0
	s_lshr_b32 s17, s17, 27
	v_add_u32_e32 v1, s18, v1
	s_add_i32 s16, s16, s17
	v_ashrrev_i32_e32 v2, 31, v1
	s_ashr_i32 s19, s16, 5
	v_lshrrev_b32_e32 v4, 27, v2
	s_add_i32 s19, s19, -1
	s_waitcnt lgkmcnt(0)
	s_mul_i32 s16, s2, s5
	s_mov_b32 s17, 0
	v_add_u32_e32 v2, v1, v4
	s_lshl_b64 s[16:17], s[16:17], 2
	v_ashrrev_i32_e32 v2, 5, v2
	v_mov_b32_e32 v5, s19
	v_cmp_gt_i32_e32 vcc, s7, v1
	s_add_u32 s8, s8, s16
	s_addc_u32 s9, s9, s17
	v_cndmask_b32_e32 v2, v5, v2, vcc
	v_ashrrev_i32_e32 v3, 31, v2
	v_lshl_add_u64 v[6:7], v[2:3], 2, s[8:9]
	v_or_b32_e32 v2, 16, v1
	v_add_u32_e32 v3, v2, v4
	v_ashrrev_i32_e32 v3, 5, v3
	v_cmp_gt_i32_e32 vcc, s7, v2
	s_load_dwordx2 s[16:17], s[0:1], 0x8
	s_nop 0
	v_cndmask_b32_e32 v2, v5, v3, vcc
	v_ashrrev_i32_e32 v3, 31, v2
	v_lshl_add_u64 v[8:9], v[2:3], 2, s[8:9]
	v_or_b32_e32 v2, 32, v1
	v_add_u32_e32 v3, v2, v4
	v_ashrrev_i32_e32 v3, 5, v3
	v_cmp_gt_i32_e32 vcc, s7, v2
	v_or_b32_e32 v1, 48, v1
	s_nop 0
	v_cndmask_b32_e32 v2, v5, v3, vcc
	v_ashrrev_i32_e32 v3, 31, v2
	v_lshl_add_u64 v[12:13], v[2:3], 2, s[8:9]
	v_add_u32_e32 v2, v1, v4
	v_ashrrev_i32_e32 v2, 5, v2
	v_cmp_gt_i32_e32 vcc, s7, v1
	s_nop 1
	v_cndmask_b32_e32 v2, v5, v2, vcc
	v_ashrrev_i32_e32 v3, 31, v2
	v_lshl_add_u64 v[14:15], v[2:3], 2, s[8:9]
	global_load_dword v4, v[6:7], off
	global_load_dword v3, v[8:9], off
	;; [unrolled: 1-line block ×4, first 2 shown]
	s_andn2_b64 vcc, exec, s[12:13]
	s_cbranch_vccnz .LBB1056_8
; %bb.6:
	s_add_u32 s10, s10, s14
	s_addc_u32 s11, s11, s15
	s_load_dword s5, s[10:11], 0x0
	s_branch .LBB1056_9
.LBB1056_7:
	s_mov_b64 s[14:15], 0
	s_branch .LBB1056_2
.LBB1056_8:
	s_mov_b32 s5, s2
.LBB1056_9:
	s_load_dwordx2 s[10:11], s[0:1], 0x10
	s_load_dwordx4 s[44:47], s[0:1], 0x48
	v_lshrrev_b32_e32 v57, 6, v0
	v_bfe_u32 v62, v0, 4, 2
	v_and_b32_e32 v56, 15, v0
	v_lshl_or_b32 v5, v57, 2, v62
	v_lshlrev_b32_e32 v1, 3, v56
	s_mul_i32 s48, s4, 9
	v_cmp_gt_u32_e32 vcc, 9, v5
	v_lshlrev_b32_e32 v54, 1, v1
	v_lshlrev_b32_e32 v1, 4, v0
	s_and_saveexec_b64 s[12:13], vcc
	s_cbranch_execz .LBB1056_11
; %bb.10:
	s_load_dwordx2 s[14:15], s[0:1], 0x0
	s_waitcnt lgkmcnt(0)
	s_ashr_i32 s20, s44, 31
	s_mul_hi_u32 s21, s5, s44
	s_mul_i32 s20, s5, s20
	s_add_i32 s21, s21, s20
	s_mul_i32 s20, s5, s44
	s_lshl_b64 s[20:21], s[20:21], 1
	s_add_u32 s14, s14, s20
	v_add_lshl_u32 v6, v5, s48, 7
	s_addc_u32 s15, s15, s21
	v_ashrrev_i32_e32 v7, 31, v6
	v_lshl_add_u64 v[6:7], v[6:7], 1, s[14:15]
	v_mov_b32_e32 v55, 0
	v_lshl_add_u64 v[6:7], v[6:7], 0, v[54:55]
	global_load_dwordx4 v[6:9], v[6:7], off
	v_lshlrev_b32_e32 v12, 8, v0
	v_lshlrev_b32_e32 v11, 8, v56
	v_and_b32_e32 v12, 0x600, v12
	s_movk_i32 s5, 0x800
	v_and_or_b32 v11, v11, s5, v12
	v_lshlrev_b32_e32 v5, 5, v5
	v_and_b32_e32 v12, 16, v1
	v_or3_b32 v5, v11, v5, v12
	s_waitcnt vmcnt(0)
	ds_write_b128 v5, v[6:9]
.LBB1056_11:
	s_or_b64 exec, exec, s[12:13]
	s_waitcnt lgkmcnt(0)
	s_mul_i32 s12, s4, s46
	s_add_u32 s4, s16, s12
	s_addc_u32 s5, s17, 0
	v_mov_b32_e32 v59, 0
	v_mov_b64_e32 v[12:13], s[4:5]
	v_and_b32_e32 v34, 48, v0
	s_waitcnt vmcnt(3)
	v_mad_i64_i32 v[4:5], s[4:5], v4, s45, v[12:13]
	v_lshlrev_b32_e32 v14, 4, v56
	v_mov_b32_e32 v15, v59
	v_lshlrev_b32_e32 v58, 5, v34
	v_lshl_add_u64 v[4:5], v[4:5], 0, v[14:15]
	v_lshl_add_u64 v[4:5], v[4:5], 0, v[58:59]
	s_barrier
	global_load_dwordx4 v[50:53], v[4:5], off
	global_load_dwordx4 v[46:49], v[4:5], off offset:2048
	s_waitcnt vmcnt(4)
	v_mad_i64_i32 v[4:5], s[4:5], v3, s45, v[12:13]
	v_or_b32_e32 v16, 0x100, v14
	v_mov_b32_e32 v17, v59
	s_waitcnt vmcnt(3)
	v_mad_i64_i32 v[2:3], s[4:5], v2, s45, v[12:13]
	v_lshl_add_u64 v[4:5], v[4:5], 0, v[16:17]
	v_lshl_add_u64 v[2:3], v[2:3], 0, v[14:15]
	s_waitcnt vmcnt(2)
	v_mad_i64_i32 v[10:11], s[4:5], v10, s45, v[12:13]
	v_lshl_add_u64 v[4:5], v[4:5], 0, v[58:59]
	v_lshl_add_u64 v[14:15], v[2:3], 0, v[58:59]
	v_lshl_add_u64 v[10:11], v[10:11], 0, v[16:17]
	global_load_dwordx4 v[36:39], v[4:5], off
	global_load_dwordx4 v[6:9], v[4:5], off offset:2048
	s_nop 0
	global_load_dwordx4 v[2:5], v[14:15], off
	global_load_dwordx4 v[42:45], v[14:15], off offset:2048
	v_lshl_add_u64 v[14:15], v[10:11], 0, v[58:59]
	global_load_dwordx4 v[26:29], v[14:15], off
	global_load_dwordx4 v[10:13], v[14:15], off offset:2048
	v_add_u32_e32 v14, -9, v56
	v_cmp_gt_u32_e32 vcc, 9, v56
	v_and_b32_e32 v55, 63, v0
	v_mov_b32_e32 v63, 0
	v_cndmask_b32_e32 v14, v14, v56, vcc
	v_lshlrev_b32_e32 v14, 5, v14
	v_lshl_add_u32 v14, v62, 9, v14
	ds_read_b128 v[30:33], v14
	ds_read_b128 v[22:25], v14 offset:16
	ds_read_b128 v[18:21], v14 offset:2048
	;; [unrolled: 1-line block ×3, first 2 shown]
	s_and_saveexec_b64 s[4:5], vcc
	s_cbranch_execz .LBB1056_13
; %bb.12:
	s_load_dwordx2 s[14:15], s[0:1], 0x40
	v_add_u32_e32 v40, s48, v56
	v_ashrrev_i32_e32 v41, 31, v40
	s_waitcnt lgkmcnt(0)
	v_lshl_add_u64 v[40:41], v[40:41], 2, s[14:15]
	global_load_dword v63, v[40:41], off
.LBB1056_13:
	s_or_b64 exec, exec, s[4:5]
	s_ashr_i32 s4, s18, 31
	v_or_b32_e32 v58, s18, v34
	s_lshr_b32 s4, s4, 27
	v_add_u32_e32 v34, s4, v58
	v_cmp_gt_i32_e32 vcc, s7, v58
	v_or_b32_e32 v40, 64, v58
	v_or_b32_e32 v60, 0x80, v58
	;; [unrolled: 1-line block ×3, first 2 shown]
	v_add_u32_e32 v64, s4, v58
	v_ashrrev_i32_e32 v69, 5, v64
	s_waitcnt vmcnt(7)
	v_cvt_pk_f32_fp8_e32 v[64:65], v50
	v_cvt_pk_f32_fp8_sdwa v[66:67], v50 src0_sel:WORD_1
	v_cvt_pk_f32_fp8_e32 v[70:71], v51
	v_cvt_pk_f32_fp8_sdwa v[50:51], v51 src0_sel:WORD_1
	v_cvt_pkrtz_f16_f32 v64, v64, v65
	v_cvt_pkrtz_f16_f32 v65, v66, v67
	;; [unrolled: 1-line block ×3, first 2 shown]
	v_cvt_pk_f32_fp8_e32 v[72:73], v52
	v_cvt_pk_f32_fp8_sdwa v[74:75], v52 src0_sel:WORD_1
	v_cvt_pkrtz_f16_f32 v71, v50, v51
	s_waitcnt lgkmcnt(3)
	v_mfma_f32_16x16x16_f16 v[64:67], v[64:65], v[30:31], 0
	v_cvt_pkrtz_f16_f32 v72, v72, v73
	v_cvt_pkrtz_f16_f32 v73, v74, v75
	v_cvt_pk_f32_fp8_e32 v[74:75], v53
	v_cvt_pk_f32_fp8_sdwa v[76:77], v53 src0_sel:WORD_1
	v_mfma_f32_16x16x16_f16 v[50:53], v[70:71], v[32:33], v[64:67]
	v_ashrrev_i32_e32 v34, 5, v34
	v_mov_b32_e32 v68, s19
	v_add_u32_e32 v41, s4, v40
	v_cndmask_b32_e32 v34, v68, v34, vcc
	v_ashrrev_i32_e32 v41, 5, v41
	v_cmp_gt_i32_e32 vcc, s7, v40
	v_add_u32_e32 v61, s4, v60
	v_cvt_pkrtz_f16_f32 v64, v74, v75
	v_cvt_pkrtz_f16_f32 v65, v76, v77
	v_cndmask_b32_e32 v40, v68, v41, vcc
	v_ashrrev_i32_e32 v61, 5, v61
	v_cmp_gt_i32_e32 vcc, s7, v60
	s_waitcnt lgkmcnt(2)
	v_mfma_f32_16x16x16_f16 v[50:53], v[72:73], v[22:23], v[50:53]
	s_waitcnt vmcnt(6)
	v_cvt_pk_f32_fp8_e32 v[66:67], v46
	v_cndmask_b32_e32 v60, v68, v61, vcc
	v_cmp_gt_i32_e32 vcc, s7, v58
	v_ashrrev_i32_e32 v35, 31, v34
	v_lshl_add_u64 v[34:35], v[34:35], 2, s[8:9]
	v_cndmask_b32_e32 v68, v68, v69, vcc
	v_ashrrev_i32_e32 v41, 31, v40
	v_ashrrev_i32_e32 v61, 31, v60
	;; [unrolled: 1-line block ×3, first 2 shown]
	v_lshl_add_u64 v[40:41], v[40:41], 2, s[8:9]
	v_lshl_add_u64 v[60:61], v[60:61], 2, s[8:9]
	;; [unrolled: 1-line block ×3, first 2 shown]
	v_mfma_f32_16x16x16_f16 v[50:53], v[64:65], v[24:25], v[50:53]
	v_cvt_pkrtz_f16_f32 v74, v66, v67
	global_load_dword v68, v[34:35], off
	global_load_dword v66, v[40:41], off
	;; [unrolled: 1-line block ×4, first 2 shown]
	v_cvt_pk_f32_fp8_sdwa v[70:71], v46 src0_sel:WORD_1
	v_cvt_pk_f32_fp8_e32 v[40:41], v48
	s_waitcnt vmcnt(9)
	v_cvt_pk_f32_fp8_e32 v[60:61], v36
	s_add_u32 s4, s10, s12
	v_cvt_pkrtz_f16_f32 v75, v70, v71
	v_cvt_pk_f32_fp8_e32 v[70:71], v47
	v_cvt_pk_f32_fp8_sdwa v[46:47], v47 src0_sel:WORD_1
	s_waitcnt lgkmcnt(1)
	v_mfma_f32_16x16x16_f16 v[50:53], v[74:75], v[18:19], v[50:53]
	v_cvt_pkrtz_f16_f32 v34, v70, v71
	v_cvt_pkrtz_f16_f32 v35, v46, v47
	v_cvt_pk_f32_fp8_sdwa v[46:47], v48 src0_sel:WORD_1
	v_cvt_pkrtz_f16_f32 v40, v40, v41
	v_mfma_f32_16x16x16_f16 v[50:53], v[34:35], v[20:21], v[50:53]
	v_cvt_pkrtz_f16_f32 v41, v46, v47
	v_cvt_pk_f32_fp8_e32 v[34:35], v49
	v_cvt_pk_f32_fp8_sdwa v[46:47], v49 src0_sel:WORD_1
	v_cvt_pk_f32_fp8_sdwa v[70:71], v36 src0_sel:WORD_1
	s_addc_u32 s5, s11, 0
	v_cvt_pkrtz_f16_f32 v34, v34, v35
	v_cvt_pkrtz_f16_f32 v35, v46, v47
	s_waitcnt lgkmcnt(0)
	v_mfma_f32_16x16x16_f16 v[46:49], v[40:41], v[14:15], v[50:53]
	v_cvt_pkrtz_f16_f32 v40, v60, v61
	v_cvt_pkrtz_f16_f32 v41, v70, v71
	s_waitcnt vmcnt(8)
	v_cvt_pk_f32_fp8_sdwa v[60:61], v6 src0_sel:WORD_1
	v_cvt_pk_f32_fp8_e32 v[50:51], v37
	v_cvt_pk_f32_fp8_sdwa v[52:53], v37 src0_sel:WORD_1
	v_mfma_f32_16x16x16_f16 v[34:37], v[34:35], v[16:17], v[46:49]
	v_and_b32_e32 v58, 16, v0
	v_cvt_pkrtz_f16_f32 v50, v50, v51
	v_cvt_pkrtz_f16_f32 v51, v52, v53
	v_mfma_f32_16x16x16_f16 v[46:49], v[40:41], v[30:31], 0
	v_cvt_pk_f32_fp8_e32 v[40:41], v38
	v_cvt_pk_f32_fp8_sdwa v[52:53], v38 src0_sel:WORD_1
	v_lshl_or_b32 v64, v57, 4, v56
	v_mfma_f32_16x16x16_f16 v[46:49], v[50:51], v[32:33], v[46:49]
	v_cvt_pk_f32_fp8_e32 v[50:51], v39
	v_cvt_pkrtz_f16_f32 v40, v40, v41
	v_cvt_pkrtz_f16_f32 v41, v52, v53
	v_cvt_pk_f32_fp8_sdwa v[38:39], v39 src0_sel:WORD_1
	v_cvt_pkrtz_f16_f32 v50, v50, v51
	v_cvt_pk_f32_fp8_e32 v[52:53], v6
	s_waitcnt vmcnt(6)
	v_cvt_pk_f32_fp8_e32 v[74:75], v43
	v_cvt_pkrtz_f16_f32 v51, v38, v39
	v_mfma_f32_16x16x16_f16 v[38:41], v[40:41], v[22:23], v[46:49]
	s_nop 2
	v_cvt_pkrtz_f16_f32 v48, v52, v53
	v_cvt_pkrtz_f16_f32 v49, v60, v61
	v_cvt_pk_f32_fp8_e32 v[52:53], v7
	v_cvt_pk_f32_fp8_sdwa v[6:7], v7 src0_sel:WORD_1
	v_mfma_f32_16x16x16_f16 v[38:41], v[50:51], v[24:25], v[38:41]
	v_lshl_add_u64 v[46:47], s[4:5], 0, v[58:59]
	v_cvt_pkrtz_f16_f32 v50, v52, v53
	v_cvt_pkrtz_f16_f32 v51, v6, v7
	v_mfma_f32_16x16x16_f16 v[38:41], v[48:49], v[18:19], v[38:41]
	v_cvt_pk_f32_fp8_e32 v[6:7], v8
	v_cvt_pk_f32_fp8_sdwa v[48:49], v8 src0_sel:WORD_1
	v_cvt_pk_f32_fp8_sdwa v[52:53], v2 src0_sel:WORD_1
	v_mfma_f32_16x16x16_f16 v[38:41], v[50:51], v[20:21], v[38:41]
	v_cvt_pk_f32_fp8_e32 v[50:51], v9
	v_cvt_pkrtz_f16_f32 v6, v6, v7
	v_cvt_pkrtz_f16_f32 v7, v48, v49
	v_cvt_pk_f32_fp8_sdwa v[8:9], v9 src0_sel:WORD_1
	v_cvt_pkrtz_f16_f32 v48, v50, v51
	v_cvt_pk_f32_fp8_e32 v[50:51], v2
	v_lshlrev_b32_e32 v58, 5, v64
	v_cvt_pkrtz_f16_f32 v49, v8, v9
	v_mfma_f32_16x16x16_f16 v[6:9], v[6:7], v[14:15], v[38:41]
	v_cvt_pkrtz_f16_f32 v50, v50, v51
	v_cvt_pkrtz_f16_f32 v51, v52, v53
	v_cvt_pk_f32_fp8_e32 v[52:53], v3
	v_cvt_pk_f32_fp8_sdwa v[2:3], v3 src0_sel:WORD_1
	v_mfma_f32_16x16x16_f16 v[38:41], v[48:49], v[16:17], v[6:9]
	v_lshl_add_u64 v[48:49], v[46:47], 0, v[58:59]
	v_cvt_pkrtz_f16_f32 v52, v52, v53
	v_cvt_pkrtz_f16_f32 v53, v2, v3
	v_mfma_f32_16x16x16_f16 v[6:9], v[50:51], v[30:31], 0
	v_cvt_pk_f32_fp8_e32 v[2:3], v4
	v_cvt_pk_f32_fp8_sdwa v[50:51], v4 src0_sel:WORD_1
	s_waitcnt vmcnt(3)
	v_mad_i64_i32 v[60:61], s[4:5], v68, s45, v[48:49]
	v_cvt_pkrtz_f16_f32 v2, v2, v3
	v_cvt_pkrtz_f16_f32 v3, v50, v51
	v_mfma_f32_16x16x16_f16 v[6:9], v[52:53], v[32:33], v[6:9]
	v_cvt_pk_f32_fp8_e32 v[50:51], v5
	v_cvt_pk_f32_fp8_sdwa v[4:5], v5 src0_sel:WORD_1
	s_waitcnt vmcnt(2)
	v_mad_i64_i32 v[70:71], s[4:5], v66, s45, v[48:49]
	v_cvt_pkrtz_f16_f32 v50, v50, v51
	v_cvt_pkrtz_f16_f32 v51, v4, v5
	v_mfma_f32_16x16x16_f16 v[2:5], v[2:3], v[22:23], v[6:9]
	v_or_b32_e32 v58, 0x800, v58
	s_nop 1
	v_cvt_pk_f32_fp8_e32 v[6:7], v42
	v_cvt_pk_f32_fp8_sdwa v[8:9], v42 src0_sel:WORD_1
	v_cvt_pk_f32_fp8_sdwa v[42:43], v43 src0_sel:WORD_1
	v_mfma_f32_16x16x16_f16 v[50:53], v[50:51], v[24:25], v[2:5]
	v_cvt_pkrtz_f16_f32 v72, v6, v7
	v_cvt_pkrtz_f16_f32 v73, v8, v9
	global_load_dwordx4 v[6:9], v[60:61], off
	global_load_dwordx4 v[2:5], v[70:71], off
	v_cvt_pkrtz_f16_f32 v60, v74, v75
	v_cvt_pkrtz_f16_f32 v61, v42, v43
	v_mfma_f32_16x16x16_f16 v[70:73], v[72:73], v[18:19], v[50:53]
	v_cvt_pk_f32_fp8_e32 v[42:43], v44
	v_cvt_pkrtz_f16_f32 v42, v42, v43
	s_nop 0
	v_cvt_pk_f32_fp8_sdwa v[52:53], v44 src0_sel:WORD_1
	v_mfma_f32_16x16x16_f16 v[70:73], v[60:61], v[20:21], v[70:73]
	v_cvt_pk_f32_fp8_e32 v[60:61], v45
	s_waitcnt vmcnt(3)
	v_mad_i64_i32 v[50:51], s[4:5], v67, s45, v[48:49]
	s_load_dword s4, s[0:1], 0x1c
	s_load_dwordx4 s[40:43], s[0:1], 0x80
	v_cvt_pkrtz_f16_f32 v43, v52, v53
	v_cvt_pkrtz_f16_f32 v74, v60, v61
	v_cvt_pk_f32_fp8_e32 v[52:53], v26
	v_cvt_pk_f32_fp8_sdwa v[60:61], v26 src0_sel:WORD_1
	s_load_dword s33, s[0:1], 0x98
	s_waitcnt lgkmcnt(0)
	s_load_dword s5, s[40:41], 0x0
	v_cvt_pk_f32_fp8_sdwa v[44:45], v45 src0_sel:WORD_1
	v_cvt_pkrtz_f16_f32 v52, v52, v53
	v_cvt_pkrtz_f16_f32 v53, v60, v61
	v_cvt_pk_f32_fp8_e32 v[60:61], v27
	v_cvt_pk_f32_fp8_sdwa v[26:27], v27 src0_sel:WORD_1
	v_cvt_pkrtz_f16_f32 v75, v44, v45
	v_mfma_f32_16x16x16_f16 v[42:45], v[42:43], v[14:15], v[70:73]
	v_cvt_pkrtz_f16_f32 v60, v60, v61
	v_cvt_pkrtz_f16_f32 v61, v26, v27
	v_mov_b32_e32 v26, s4
	v_mfma_f32_16x16x16_f16 v[70:73], v[52:53], v[30:31], 0
	s_waitcnt lgkmcnt(0)
	v_mul_f32_e32 v52, s5, v26
	v_cvt_pk_f32_fp8_e32 v[26:27], v28
	v_cvt_pk_f32_fp8_sdwa v[30:31], v28 src0_sel:WORD_1
	v_mfma_f32_16x16x16_f16 v[70:73], v[60:61], v[32:33], v[70:73]
	v_cvt_pk_f32_fp8_e32 v[32:33], v29
	v_cvt_pk_f32_fp8_sdwa v[28:29], v29 src0_sel:WORD_1
	v_cvt_pkrtz_f16_f32 v26, v26, v27
	v_cvt_pkrtz_f16_f32 v27, v30, v31
	v_mfma_f32_16x16x16_f16 v[42:45], v[74:75], v[16:17], v[42:45]
	v_cvt_pkrtz_f16_f32 v32, v32, v33
	v_cvt_pkrtz_f16_f32 v33, v28, v29
	v_cvt_pk_f32_fp8_e32 v[60:61], v10
	v_cvt_pk_f32_fp8_sdwa v[74:75], v10 src0_sel:WORD_1
	v_mfma_f32_16x16x16_f16 v[26:29], v[26:27], v[22:23], v[70:73]
	v_pk_mul_f32 v[30:31], v[52:53], v[36:37] op_sel_hi:[0,1]
	v_cvt_pkrtz_f16_f32 v36, v60, v61
	v_cvt_pkrtz_f16_f32 v37, v74, v75
	v_cvt_pk_f32_fp8_e32 v[60:61], v11
	v_cvt_pk_f32_fp8_sdwa v[70:71], v11 src0_sel:WORD_1
	v_mfma_f32_16x16x16_f16 v[22:25], v[32:33], v[24:25], v[26:29]
	v_pk_mul_f32 v[10:11], v[52:53], v[34:35] op_sel_hi:[0,1]
	v_cvt_pkrtz_f16_f32 v60, v60, v61
	v_cvt_pkrtz_f16_f32 v61, v70, v71
	v_mfma_f32_16x16x16_f16 v[32:35], v[36:37], v[18:19], v[22:25]
	v_cvt_pk_f32_fp8_e32 v[18:19], v12
	v_cvt_pk_f32_fp8_sdwa v[36:37], v12 src0_sel:WORD_1
	s_waitcnt vmcnt(2)
	v_mad_i64_i32 v[48:49], s[8:9], v65, s45, v[48:49]
	global_load_dwordx4 v[26:29], v[50:51], off
	global_load_dwordx4 v[22:25], v[48:49], off
	v_cvt_pkrtz_f16_f32 v48, v18, v19
	v_cvt_pkrtz_f16_f32 v49, v36, v37
	v_cvt_pk_f32_fp8_e32 v[36:37], v13
	v_cvt_pk_f32_fp8_sdwa v[12:13], v13 src0_sel:WORD_1
	v_mfma_f32_16x16x16_f16 v[18:21], v[60:61], v[20:21], v[32:35]
	v_pk_mul_f32 v[40:41], v[52:53], v[40:41] op_sel_hi:[0,1]
	v_pk_mul_f32 v[42:43], v[52:53], v[42:43] op_sel_hi:[0,1]
	s_mov_b32 s40, 0xff7fffff
	v_cvt_pkrtz_f16_f32 v32, v36, v37
	v_cvt_pkrtz_f16_f32 v33, v12, v13
	v_mfma_f32_16x16x16_f16 v[12:15], v[48:49], v[14:15], v[18:21]
	v_pk_mul_f32 v[48:49], v[52:53], v[38:39] op_sel_hi:[0,1]
	v_pk_mul_f32 v[38:39], v[52:53], v[44:45] op_sel_hi:[0,1]
	v_mfma_f32_16x16x16_f16 v[12:15], v[32:33], v[16:17], v[12:15]
	s_nop 6
	v_pk_mul_f32 v[36:37], v[52:53], v[12:13] op_sel_hi:[0,1]
	v_and_b32_e32 v12, 0xc0, v0
	v_add_u32_e32 v12, s18, v12
	v_lshl_or_b32 v12, v62, 2, v12
	v_or_b32_e32 v13, 1, v12
	v_pk_mul_f32 v[34:35], v[52:53], v[14:15] op_sel_hi:[0,1]
	v_subrev_u32_e32 v14, s7, v13
	v_add_u32_e32 v16, 1, v14
	v_add_u32_e32 v17, 2, v14
	v_cvt_f32_i32_e32 v15, v14
	v_cvt_f32_i32_e32 v16, v16
	;; [unrolled: 1-line block ×3, first 2 shown]
	v_add_u32_e32 v18, 3, v14
	v_fma_f32 v10, v63, v15, v10
	v_fmac_f32_e32 v11, v63, v16
	v_fma_f32 v51, v63, v17, v30
	v_add_u32_e32 v15, 16, v14
	v_add_u32_e32 v16, 17, v14
	;; [unrolled: 1-line block ×3, first 2 shown]
	v_cvt_f32_i32_e32 v18, v18
	v_cvt_f32_i32_e32 v15, v15
	;; [unrolled: 1-line block ×4, first 2 shown]
	v_fmac_f32_e32 v31, v63, v18
	v_add_u32_e32 v18, 19, v14
	v_fma_f32 v48, v63, v15, v48
	v_fmac_f32_e32 v49, v63, v16
	v_fma_f32 v40, v63, v17, v40
	v_add_u32_e32 v15, 32, v14
	v_add_u32_e32 v16, 33, v14
	;; [unrolled: 1-line block ×3, first 2 shown]
	v_cvt_f32_i32_e32 v18, v18
	v_cvt_f32_i32_e32 v15, v15
	;; [unrolled: 1-line block ×4, first 2 shown]
	v_fmac_f32_e32 v41, v63, v18
	v_add_u32_e32 v18, 35, v14
	v_fma_f32 v42, v63, v15, v42
	v_fmac_f32_e32 v43, v63, v16
	v_fma_f32 v38, v63, v17, v38
	v_add_u32_e32 v15, 48, v14
	v_add_u32_e32 v16, 49, v14
	;; [unrolled: 1-line block ×4, first 2 shown]
	v_cvt_f32_i32_e32 v14, v14
	v_cvt_f32_i32_e32 v15, v15
	v_cvt_f32_i32_e32 v16, v16
	v_cmp_gt_i32_e64 s[8:9], s7, v12
	v_fmac_f32_e32 v35, v63, v14
	v_mov_b32_e32 v14, 0xff7fffff
	v_cmp_gt_i32_e64 s[10:11], s7, v13
	v_fma_f32 v36, v63, v15, v36
	v_cndmask_b32_e64 v15, v14, v10, s[8:9]
	v_cndmask_b32_e64 v13, v14, v11, s[10:11]
	v_fmac_f32_e32 v37, v63, v16
	v_max3_f32 v13, v15, s40, v13
	v_or_b32_e32 v15, 2, v12
	v_or_b32_e32 v16, 3, v12
	v_cmp_gt_i32_e64 s[12:13], s7, v15
	v_cmp_gt_i32_e64 s[14:15], s7, v16
	v_cvt_f32_i32_e32 v18, v18
	v_cndmask_b32_e64 v15, v14, v51, s[12:13]
	v_cndmask_b32_e64 v16, v14, v31, s[14:15]
	v_max3_f32 v13, v13, v15, v16
	v_or_b32_e32 v15, 16, v12
	v_or_b32_e32 v16, 17, v12
	v_cmp_gt_i32_e64 s[16:17], s7, v15
	v_cmp_gt_i32_e64 s[18:19], s7, v16
	v_fmac_f32_e32 v39, v63, v18
	v_cndmask_b32_e64 v15, v14, v48, s[16:17]
	v_cndmask_b32_e64 v16, v14, v49, s[18:19]
	v_max3_f32 v13, v13, v15, v16
	v_or_b32_e32 v15, 18, v12
	v_or_b32_e32 v16, 19, v12
	v_cmp_gt_i32_e64 s[20:21], s7, v15
	v_cmp_gt_i32_e64 s[22:23], s7, v16
	v_cvt_f32_i32_e32 v17, v17
	v_cndmask_b32_e64 v15, v14, v40, s[20:21]
	v_cndmask_b32_e64 v16, v14, v41, s[22:23]
	v_max3_f32 v13, v13, v15, v16
	v_or_b32_e32 v15, 32, v12
	v_or_b32_e32 v16, 33, v12
	v_cmp_gt_i32_e64 s[24:25], s7, v15
	v_cmp_gt_i32_e64 s[26:27], s7, v16
	v_fma_f32 v34, v63, v17, v34
	v_cndmask_b32_e64 v15, v14, v42, s[24:25]
	v_cndmask_b32_e64 v16, v14, v43, s[26:27]
	v_max3_f32 v13, v13, v15, v16
	v_or_b32_e32 v15, 34, v12
	v_or_b32_e32 v16, 35, v12
	v_cmp_gt_i32_e64 s[28:29], s7, v15
	v_cmp_gt_i32_e64 s[30:31], s7, v16
	s_nop 0
	v_cndmask_b32_e64 v15, v14, v38, s[28:29]
	v_cndmask_b32_e64 v16, v14, v39, s[30:31]
	v_max3_f32 v13, v13, v15, v16
	v_or_b32_e32 v15, 48, v12
	v_or_b32_e32 v16, 49, v12
	v_cmp_gt_i32_e64 s[34:35], s7, v15
	v_cmp_gt_i32_e64 s[36:37], s7, v16
	s_nop 0
	v_cndmask_b32_e64 v15, v14, v36, s[34:35]
	v_cndmask_b32_e64 v16, v14, v37, s[36:37]
	v_max3_f32 v13, v13, v15, v16
	v_or_b32_e32 v15, 50, v12
	v_or_b32_e32 v12, 51, v12
	v_cmp_gt_i32_e32 vcc, s7, v15
	v_cmp_gt_i32_e64 s[4:5], s7, v12
	s_nop 0
	v_cndmask_b32_e32 v15, v14, v34, vcc
	v_cndmask_b32_e64 v12, v14, v35, s[4:5]
	v_max3_f32 v16, v13, v15, v12
	v_mbcnt_lo_u32_b32 v12, -1, 0
	v_mbcnt_hi_u32_b32 v17, -1, v12
	v_and_b32_e32 v12, 64, v17
	v_add_u32_e32 v18, 64, v12
	v_xor_b32_e32 v12, 32, v17
	v_cmp_lt_i32_e64 s[38:39], v12, v18
	s_nop 1
	v_cndmask_b32_e64 v12, v17, v12, s[38:39]
	v_lshlrev_b32_e32 v52, 2, v12
	ds_bpermute_b32 v19, v52, v16
	v_lshl_add_u64 v[12:13], v[46:47], 0, v[58:59]
	v_mad_i64_i32 v[14:15], s[38:39], v68, s45, v[12:13]
	s_waitcnt lgkmcnt(0)
	v_max_f32_e32 v19, v19, v19
	v_max_f32_e32 v19, v16, v19
	v_xor_b32_e32 v16, 16, v17
	v_cmp_lt_i32_e64 s[38:39], v16, v18
	s_nop 1
	v_cndmask_b32_e64 v16, v17, v16, s[38:39]
	v_lshlrev_b32_e32 v53, 2, v16
	ds_bpermute_b32 v18, v53, v19
	v_mad_i64_i32 v[16:17], s[38:39], v66, s45, v[12:13]
	v_mad_i64_i32 v[44:45], s[38:39], v67, s45, v[12:13]
	s_waitcnt lgkmcnt(0)
	v_max_f32_e32 v18, v18, v18
	v_max_f32_e32 v50, v19, v18
	v_sub_f32_e32 v10, v10, v50
	v_mul_f32_e32 v10, 0x3fb8aa3b, v10
	v_exp_f32_e32 v18, v10
	v_sub_f32_e32 v10, v11, v50
	v_mul_f32_e32 v10, 0x3fb8aa3b, v10
	v_exp_f32_e32 v19, v10
	v_mad_i64_i32 v[10:11], s[38:39], v65, s45, v[12:13]
	v_sub_f32_e32 v12, v51, v50
	v_mul_f32_e32 v12, 0x3fb8aa3b, v12
	v_cndmask_b32_e64 v46, 0, v18, s[8:9]
	v_cndmask_b32_e64 v47, 0, v19, s[10:11]
	v_sub_f32_e32 v58, v31, v50
	global_load_dwordx4 v[30:33], v[14:15], off
	global_load_dwordx4 v[18:21], v[16:17], off
	v_exp_f32_e32 v51, v12
	global_load_dwordx4 v[14:17], v[44:45], off
	s_nop 0
	global_load_dwordx4 v[10:13], v[10:11], off
	v_sub_f32_e32 v45, v48, v50
	v_sub_f32_e32 v48, v49, v50
	;; [unrolled: 1-line block ×4, first 2 shown]
	v_mul_f32_e32 v44, 0x3fb8aa3b, v58
	v_mul_f32_e32 v45, 0x3fb8aa3b, v45
	;; [unrolled: 1-line block ×5, first 2 shown]
	v_exp_f32_e32 v44, v44
	v_exp_f32_e32 v45, v45
	;; [unrolled: 1-line block ×3, first 2 shown]
	v_cndmask_b32_e64 v48, 0, v51, s[12:13]
	v_exp_f32_e32 v40, v40
	v_exp_f32_e32 v51, v42
	v_sub_f32_e32 v42, v43, v50
	v_mul_f32_e32 v42, 0x3fb8aa3b, v42
	v_cndmask_b32_e64 v49, 0, v44, s[14:15]
	v_cndmask_b32_e64 v44, 0, v45, s[16:17]
	;; [unrolled: 1-line block ×3, first 2 shown]
	v_sub_f32_e32 v41, v41, v50
	v_exp_f32_e32 v58, v42
	v_cndmask_b32_e64 v42, 0, v40, s[20:21]
	v_cndmask_b32_e64 v40, 0, v51, s[24:25]
	v_add_f32_e32 v51, 0, v46
	v_mul_f32_e32 v41, 0x3fb8aa3b, v41
	v_add_f32_e32 v51, v51, v47
	v_exp_f32_e32 v41, v41
	v_add_f32_e32 v51, v51, v48
	v_sub_f32_e32 v38, v38, v50
	v_add_f32_e32 v51, v51, v49
	v_sub_f32_e32 v39, v39, v50
	v_mul_f32_e32 v38, 0x3fb8aa3b, v38
	v_add_f32_e32 v51, v51, v44
	v_exp_f32_e32 v38, v38
	v_mul_f32_e32 v39, 0x3fb8aa3b, v39
	v_sub_f32_e32 v36, v36, v50
	v_add_f32_e32 v51, v51, v45
	v_cndmask_b32_e64 v43, 0, v41, s[22:23]
	v_exp_f32_e32 v39, v39
	v_mul_f32_e32 v36, 0x3fb8aa3b, v36
	v_sub_f32_e32 v37, v37, v50
	v_add_f32_e32 v51, v51, v42
	v_exp_f32_e32 v36, v36
	v_mul_f32_e32 v37, 0x3fb8aa3b, v37
	v_add_f32_e32 v51, v51, v43
	v_sub_f32_e32 v34, v34, v50
	v_cndmask_b32_e64 v41, 0, v58, s[26:27]
	v_exp_f32_e32 v37, v37
	v_add_f32_e32 v51, v51, v40
	v_mul_f32_e32 v34, 0x3fb8aa3b, v34
	v_sub_f32_e32 v35, v35, v50
	v_cndmask_b32_e64 v38, 0, v38, s[28:29]
	v_add_f32_e32 v51, v51, v41
	v_exp_f32_e32 v34, v34
	v_mul_f32_e32 v35, 0x3fb8aa3b, v35
	v_cndmask_b32_e64 v39, 0, v39, s[30:31]
	v_add_f32_e32 v51, v51, v38
	v_exp_f32_e32 v35, v35
	v_cndmask_b32_e64 v36, 0, v36, s[34:35]
	v_add_f32_e32 v51, v51, v39
	v_cndmask_b32_e64 v37, 0, v37, s[36:37]
	v_add_f32_e32 v51, v51, v36
	v_add_f32_e32 v51, v51, v37
	v_cndmask_b32_e32 v34, 0, v34, vcc
	v_add_f32_e32 v51, v51, v34
	v_cndmask_b32_e64 v35, 0, v35, s[4:5]
	v_add_f32_e32 v51, v51, v35
	ds_bpermute_b32 v52, v52, v51
	v_cmp_gt_u32_e64 s[4:5], 16, v55
	s_waitcnt lgkmcnt(0)
	s_barrier
	v_add_f32_e32 v51, v51, v52
	ds_bpermute_b32 v52, v53, v51
	s_and_saveexec_b64 s[8:9], s[4:5]
	s_cbranch_execz .LBB1056_15
; %bb.14:
	s_waitcnt lgkmcnt(0)
	v_add_f32_e32 v51, v51, v52
	v_lshlrev_b32_e32 v52, 2, v64
	ds_write2st64_b32 v52, v50, v51 offset1:1
.LBB1056_15:
	s_or_b64 exec, exec, s[8:9]
	v_lshlrev_b32_e32 v51, 2, v56
	s_load_dword s7, s[0:1], 0x94
	s_waitcnt lgkmcnt(0)
	s_barrier
	ds_read2_b32 v[52:53], v51 offset1:16
	ds_read2_b32 v[58:59], v51 offset0:32 offset1:48
	ds_read2_b32 v[60:61], v51 offset0:64 offset1:80
	s_mul_i32 s10, s33, 9
	s_waitcnt lgkmcnt(2)
	v_max3_f32 v50, v52, s40, v53
	s_waitcnt lgkmcnt(1)
	v_max3_f32 v50, v50, v58, v59
	v_sub_f32_e32 v52, v52, v50
	v_mul_f32_e32 v52, 0x3fb8aa3b, v52
	v_exp_f32_e32 v55, v52
	v_sub_f32_e32 v52, v53, v50
	v_mul_f32_e32 v52, 0x3fb8aa3b, v52
	v_exp_f32_e32 v63, v52
	;; [unrolled: 3-line block ×3, first 2 shown]
	ds_read2_b32 v[52:53], v51 offset0:96 offset1:112
	v_sub_f32_e32 v51, v59, v50
	v_mul_f32_e32 v51, 0x3fb8aa3b, v51
	v_exp_f32_e32 v59, v51
	s_waitcnt lgkmcnt(1)
	v_fma_f32 v51, v55, v60, 0
	v_fmac_f32_e32 v51, v63, v61
	s_waitcnt lgkmcnt(0)
	v_fmac_f32_e32 v51, v58, v52
	v_fmac_f32_e32 v51, v59, v53
	v_add_f32_e32 v52, 0x358637bd, v51
	v_div_scale_f32 v53, s[8:9], v52, v52, 1.0
	v_rcp_f32_e32 v60, v53
	s_barrier
	v_fma_f32 v61, -v53, v60, 1.0
	v_fmac_f32_e32 v60, v61, v60
	v_div_scale_f32 v61, vcc, 1.0, v52, 1.0
	v_mul_f32_e32 v64, v61, v60
	v_fma_f32 v65, -v53, v64, v61
	v_fmac_f32_e32 v64, v65, v60
	v_fma_f32 v53, -v53, v64, v61
	v_div_fmas_f32 v53, v53, v60, v64
	v_cmp_eq_u32_e32 vcc, 1, v57
	v_div_fixup_f32 v52, v53, v52, 1.0
	s_nop 0
	v_cndmask_b32_e32 v53, v55, v63, vcc
	v_cmp_eq_u32_e32 vcc, 2, v57
	s_nop 1
	v_cndmask_b32_e32 v53, v53, v58, vcc
	v_cmp_eq_u32_e32 vcc, 3, v57
	s_nop 1
	v_cndmask_b32_e32 v53, v53, v59, vcc
	v_mul_f32_e32 v52, v53, v52
	v_pk_mul_f32 v[48:49], v[52:53], v[48:49] op_sel_hi:[0,1]
	v_pk_mul_f32 v[46:47], v[52:53], v[46:47] op_sel_hi:[0,1]
	v_cvt_f16_f32_e32 v53, v48
	v_cvt_f16_f32_e32 v49, v49
	;; [unrolled: 1-line block ×4, first 2 shown]
	v_pk_mul_f32 v[42:43], v[52:53], v[42:43] op_sel_hi:[0,1]
	v_pk_mul_f32 v[44:45], v[52:53], v[44:45] op_sel_hi:[0,1]
	v_pack_b32_f16 v49, v53, v49
	v_cvt_f16_f32_e32 v44, v44
	v_cvt_f16_f32_e32 v45, v45
	;; [unrolled: 1-line block ×4, first 2 shown]
	v_pack_b32_f16 v48, v46, v47
	v_lshlrev_b32_e32 v47, 3, v62
	v_lshlrev_b32_e32 v46, 5, v56
	;; [unrolled: 1-line block ×3, first 2 shown]
	v_or3_b32 v55, v42, v46, v47
	v_pack_b32_f16 v42, v44, v45
	v_pack_b32_f16 v43, v53, v43
	v_pk_mul_f32 v[38:39], v[52:53], v[38:39] op_sel_hi:[0,1]
	v_pk_mul_f32 v[40:41], v[52:53], v[40:41] op_sel_hi:[0,1]
	;; [unrolled: 1-line block ×4, first 2 shown]
	ds_write2st64_b64 v55, v[48:49], v[42:43] offset1:1
	v_cvt_f16_f32_e32 v40, v40
	v_cvt_f16_f32_e32 v41, v41
	;; [unrolled: 1-line block ×8, first 2 shown]
	v_pack_b32_f16 v34, v40, v41
	v_pack_b32_f16 v35, v38, v39
	v_pack_b32_f16 v36, v36, v37
	v_pack_b32_f16 v37, v42, v43
	v_cmp_gt_u32_e32 vcc, 9, v0
	ds_write2st64_b64 v55, v[34:35], v[36:37] offset0:2 offset1:3
	s_and_saveexec_b64 s[8:9], vcc
	s_cbranch_execz .LBB1056_17
; %bb.16:
	s_mov_b32 s49, 0
	v_mov_b32_e32 v57, 0
	v_lshl_add_u64 v[34:35], s[48:49], 0, v[56:57]
	v_mov_b32_e32 v36, s10
	v_mad_u64_u32 v[34:35], s[16:17], s2, v36, v[34:35]
	s_mul_i32 s3, s3, s10
	v_mov_b32_e32 v36, s6
	v_mov_b32_e32 v37, v57
	s_load_dwordx4 s[12:15], s[0:1], 0x58
	v_add_u32_e32 v38, s3, v35
	v_mad_u64_u32 v[34:35], s[16:17], v34, s7, v[36:37]
	v_mov_b32_e32 v36, v35
	v_mad_u64_u32 v[36:37], s[16:17], v38, s7, v[36:37]
	v_mov_b32_e32 v35, v36
	v_lshlrev_b64 v[34:35], 2, v[34:35]
	s_waitcnt lgkmcnt(0)
	v_lshl_add_u64 v[36:37], s[14:15], 0, v[34:35]
	v_lshl_add_u64 v[34:35], s[12:13], 0, v[34:35]
	global_store_dword v[36:37], v50, off
	global_store_dword v[34:35], v51, off
.LBB1056_17:
	s_or_b64 exec, exec, s[8:9]
	s_waitcnt vmcnt(7)
	v_cvt_pk_f32_fp8_e32 v[34:35], v6
	v_cvt_pk_f32_fp8_sdwa v[36:37], v6 src0_sel:WORD_1
	v_lshl_or_b32 v50, v62, 9, v46
	s_waitcnt lgkmcnt(0)
	s_barrier
	v_cvt_pk_f32_fp8_e32 v[38:39], v7
	v_cvt_pkrtz_f16_f32 v6, v34, v35
	v_cvt_pk_f32_fp8_sdwa v[40:41], v7 src0_sel:WORD_1
	v_cvt_pkrtz_f16_f32 v7, v36, v37
	ds_read_b128 v[34:37], v50
	v_cvt_pkrtz_f16_f32 v46, v38, v39
	v_cvt_pkrtz_f16_f32 v47, v40, v41
	ds_read_b128 v[38:41], v50 offset:16
	v_cvt_pk_f32_fp8_e32 v[48:49], v8
	v_cvt_pk_f32_fp8_sdwa v[52:53], v8 src0_sel:WORD_1
	s_waitcnt lgkmcnt(1)
	v_mfma_f32_16x16x16_f16 v[42:45], v[6:7], v[34:35], 0
	s_waitcnt vmcnt(6)
	v_cvt_pk_f32_fp8_e32 v[58:59], v4
	v_cvt_pkrtz_f16_f32 v6, v48, v49
	v_cvt_pkrtz_f16_f32 v7, v52, v53
	v_cvt_pk_f32_fp8_e32 v[48:49], v9
	v_mfma_f32_16x16x16_f16 v[42:45], v[46:47], v[36:37], v[42:45]
	v_cvt_pk_f32_fp8_sdwa v[46:47], v9 src0_sel:WORD_1
	v_cvt_pk_f32_fp8_sdwa v[60:61], v4 src0_sel:WORD_1
	v_cvt_pkrtz_f16_f32 v48, v48, v49
	s_waitcnt lgkmcnt(0)
	v_mfma_f32_16x16x16_f16 v[6:9], v[6:7], v[38:39], v[42:45]
	v_cvt_pkrtz_f16_f32 v49, v46, v47
	s_waitcnt vmcnt(5)
	v_cvt_pk_f32_fp8_e32 v[64:65], v28
	v_cvt_pk_f32_fp8_sdwa v[66:67], v28 src0_sel:WORD_1
	v_cvt_pk_f32_fp8_e32 v[42:43], v2
	v_mfma_f32_16x16x16_f16 v[46:49], v[48:49], v[40:41], v[6:9]
	s_waitcnt vmcnt(4)
	v_cvt_pk_f32_fp8_sdwa v[68:69], v24 src0_sel:WORD_1
	s_load_dword s8, s[42:43], 0x0
	v_cvt_pk_f32_fp8_sdwa v[6:7], v2 src0_sel:WORD_1
	v_cvt_pk_f32_fp8_e32 v[8:9], v3
	v_cvt_pkrtz_f16_f32 v2, v42, v43
	v_cvt_pk_f32_fp8_sdwa v[42:43], v3 src0_sel:WORD_1
	v_cvt_pkrtz_f16_f32 v3, v6, v7
	v_cvt_pkrtz_f16_f32 v52, v8, v9
	ds_read_b128 v[6:9], v50 offset:2048
	v_cvt_pkrtz_f16_f32 v53, v42, v43
	ds_read_b128 v[42:45], v50 offset:2064
	s_waitcnt lgkmcnt(0)
	v_mfma_f32_16x16x16_f16 v[46:49], v[2:3], v[6:7], v[46:49]
	v_cvt_pkrtz_f16_f32 v2, v58, v59
	v_cvt_pkrtz_f16_f32 v3, v60, v61
	v_cvt_pk_f32_fp8_e32 v[58:59], v5
	v_mfma_f32_16x16x16_f16 v[46:49], v[52:53], v[8:9], v[46:49]
	v_cvt_pk_f32_fp8_sdwa v[52:53], v5 src0_sel:WORD_1
	s_mov_b32 s3, 0
	v_cvt_pkrtz_f16_f32 v58, v58, v59
	v_mfma_f32_16x16x16_f16 v[2:5], v[2:3], v[42:43], v[46:49]
	v_cvt_pkrtz_f16_f32 v59, v52, v53
	v_cmp_gt_u32_e32 vcc, 64, v0
	s_nop 0
	v_cvt_pk_f32_fp8_e32 v[46:47], v26
	v_mfma_f32_16x16x16_f16 v[58:61], v[58:59], v[44:45], v[2:5]
	s_nop 2
	v_cvt_pk_f32_fp8_sdwa v[2:3], v26 src0_sel:WORD_1
	v_cvt_pk_f32_fp8_e32 v[4:5], v27
	v_cvt_pkrtz_f16_f32 v26, v46, v47
	v_cvt_pk_f32_fp8_sdwa v[46:47], v27 src0_sel:WORD_1
	v_cvt_pkrtz_f16_f32 v27, v2, v3
	v_cvt_pkrtz_f16_f32 v52, v4, v5
	ds_read_b128 v[2:5], v50 offset:4096
	v_cvt_pkrtz_f16_f32 v53, v46, v47
	ds_read_b128 v[46:49], v50 offset:4112
	s_waitcnt lgkmcnt(1)
	v_mfma_f32_16x16x16_f16 v[58:61], v[26:27], v[2:3], v[58:61]
	v_cvt_pkrtz_f16_f32 v26, v64, v65
	v_cvt_pkrtz_f16_f32 v27, v66, v67
	v_cvt_pk_f32_fp8_e32 v[64:65], v29
	v_mfma_f32_16x16x16_f16 v[58:61], v[52:53], v[4:5], v[58:61]
	v_cvt_pk_f32_fp8_sdwa v[52:53], v29 src0_sel:WORD_1
	v_cvt_pk_f32_fp8_e32 v[66:67], v24
	v_cvt_pkrtz_f16_f32 v64, v64, v65
	s_waitcnt lgkmcnt(0)
	v_mfma_f32_16x16x16_f16 v[26:29], v[26:27], v[46:47], v[58:61]
	v_cvt_pkrtz_f16_f32 v65, v52, v53
	v_cvt_pk_f32_fp8_e32 v[52:53], v22
	s_nop 0
	v_mfma_f32_16x16x16_f16 v[58:61], v[64:65], v[48:49], v[26:29]
	s_nop 2
	v_cvt_pk_f32_fp8_sdwa v[26:27], v22 src0_sel:WORD_1
	v_cvt_pk_f32_fp8_e32 v[28:29], v23
	v_cvt_pkrtz_f16_f32 v22, v52, v53
	v_cvt_pk_f32_fp8_sdwa v[52:53], v23 src0_sel:WORD_1
	v_cvt_pkrtz_f16_f32 v23, v26, v27
	v_cvt_pkrtz_f16_f32 v64, v28, v29
	ds_read_b128 v[26:29], v50 offset:6144
	v_cvt_pkrtz_f16_f32 v65, v52, v53
	s_waitcnt lgkmcnt(0)
	v_mfma_f32_16x16x16_f16 v[58:61], v[22:23], v[26:27], v[58:61]
	ds_read_b128 v[50:53], v50 offset:6160
	v_cvt_pkrtz_f16_f32 v22, v66, v67
	v_cvt_pkrtz_f16_f32 v23, v68, v69
	v_mfma_f32_16x16x16_f16 v[58:61], v[64:65], v[28:29], v[58:61]
	v_cvt_pk_f32_fp8_e32 v[66:67], v25
	v_cvt_pk_f32_fp8_sdwa v[64:65], v25 src0_sel:WORD_1
	s_waitcnt vmcnt(3)
	v_cvt_pk_f32_fp8_sdwa v[68:69], v32 src0_sel:WORD_1
	s_waitcnt lgkmcnt(0)
	v_mfma_f32_16x16x16_f16 v[22:25], v[22:23], v[50:51], v[58:61]
	v_cvt_pkrtz_f16_f32 v66, v66, v67
	v_cvt_pkrtz_f16_f32 v67, v64, v65
	v_cvt_pk_f32_fp8_e32 v[64:65], v31
	v_cvt_pk_f32_fp8_e32 v[58:59], v30
	v_cvt_pk_f32_fp8_sdwa v[60:61], v30 src0_sel:WORD_1
	v_cvt_pk_f32_fp8_sdwa v[30:31], v31 src0_sel:WORD_1
	v_mfma_f32_16x16x16_f16 v[22:25], v[66:67], v[52:53], v[22:25]
	v_cvt_pkrtz_f16_f32 v58, v58, v59
	v_cvt_pkrtz_f16_f32 v59, v60, v61
	;; [unrolled: 1-line block ×3, first 2 shown]
	v_cvt_pk_f32_fp8_e32 v[66:67], v32
	v_cvt_pkrtz_f16_f32 v65, v30, v31
	v_mfma_f32_16x16x16_f16 v[58:61], v[58:59], v[34:35], 0
	v_cvt_pkrtz_f16_f32 v30, v66, v67
	v_cvt_pkrtz_f16_f32 v31, v68, v69
	v_cvt_pk_f32_fp8_e32 v[66:67], v33
	v_mfma_f32_16x16x16_f16 v[34:37], v[64:65], v[36:37], v[58:61]
	s_barrier
	s_nop 1
	v_cvt_pk_f32_fp8_sdwa v[58:59], v33 src0_sel:WORD_1
	v_cvt_pkrtz_f16_f32 v60, v66, v67
	v_mfma_f32_16x16x16_f16 v[30:33], v[30:31], v[38:39], v[34:37]
	s_waitcnt vmcnt(2)
	v_cvt_pk_f32_fp8_e32 v[38:39], v19
	v_cvt_pkrtz_f16_f32 v61, v58, v59
	v_cvt_pk_f32_fp8_e32 v[34:35], v18
	v_cvt_pk_f32_fp8_sdwa v[36:37], v18 src0_sel:WORD_1
	v_cvt_pk_f32_fp8_sdwa v[18:19], v19 src0_sel:WORD_1
	v_mfma_f32_16x16x16_f16 v[30:33], v[60:61], v[40:41], v[30:33]
	v_cvt_pkrtz_f16_f32 v34, v34, v35
	v_cvt_pkrtz_f16_f32 v35, v36, v37
	;; [unrolled: 1-line block ×3, first 2 shown]
	v_cvt_pk_f32_fp8_e32 v[38:39], v20
	v_cvt_pk_f32_fp8_sdwa v[40:41], v20 src0_sel:WORD_1
	v_cvt_pkrtz_f16_f32 v37, v18, v19
	v_mfma_f32_16x16x16_f16 v[30:33], v[34:35], v[6:7], v[30:33]
	v_cvt_pkrtz_f16_f32 v18, v38, v39
	v_cvt_pkrtz_f16_f32 v19, v40, v41
	v_cvt_pk_f32_fp8_e32 v[34:35], v21
	v_cvt_pk_f32_fp8_sdwa v[20:21], v21 src0_sel:WORD_1
	v_mfma_f32_16x16x16_f16 v[6:9], v[36:37], v[8:9], v[30:33]
	s_nop 2
	v_cvt_pkrtz_f16_f32 v30, v34, v35
	v_cvt_pkrtz_f16_f32 v31, v20, v21
	v_mfma_f32_16x16x16_f16 v[6:9], v[18:19], v[42:43], v[6:9]
	s_waitcnt vmcnt(1)
	v_cvt_pk_f32_fp8_e32 v[18:19], v14
	v_cvt_pk_f32_fp8_sdwa v[20:21], v14 src0_sel:WORD_1
	v_cvt_pk_f32_fp8_sdwa v[32:33], v16 src0_sel:WORD_1
	v_mfma_f32_16x16x16_f16 v[6:9], v[30:31], v[44:45], v[6:9]
	v_cvt_pk_f32_fp8_e32 v[30:31], v15
	v_cvt_pkrtz_f16_f32 v18, v18, v19
	v_cvt_pkrtz_f16_f32 v19, v20, v21
	v_cvt_pk_f32_fp8_sdwa v[14:15], v15 src0_sel:WORD_1
	v_cvt_pkrtz_f16_f32 v20, v30, v31
	v_cvt_pk_f32_fp8_e32 v[30:31], v16
	v_mfma_f32_16x16x16_f16 v[6:9], v[18:19], v[2:3], v[6:9]
	v_cvt_pkrtz_f16_f32 v21, v14, v15
	v_cvt_pkrtz_f16_f32 v14, v30, v31
	;; [unrolled: 1-line block ×3, first 2 shown]
	v_cvt_pk_f32_fp8_e32 v[18:19], v17
	v_cvt_pk_f32_fp8_sdwa v[16:17], v17 src0_sel:WORD_1
	v_mfma_f32_16x16x16_f16 v[2:5], v[20:21], v[4:5], v[6:9]
	s_waitcnt vmcnt(0)
	v_cvt_pk_f32_fp8_sdwa v[20:21], v12 src0_sel:WORD_1
	s_nop 0
	v_cvt_pkrtz_f16_f32 v8, v18, v19
	v_cvt_pkrtz_f16_f32 v9, v16, v17
	v_mfma_f32_16x16x16_f16 v[2:5], v[14:15], v[46:47], v[2:5]
	v_cvt_pk_f32_fp8_e32 v[16:17], v10
	v_cvt_pk_f32_fp8_sdwa v[18:19], v10 src0_sel:WORD_1
	v_pk_mul_f32 v[6:7], v[24:25], s[8:9] op_sel_hi:[1,0]
	v_mfma_f32_16x16x16_f16 v[2:5], v[8:9], v[48:49], v[2:5]
	v_cvt_pk_f32_fp8_e32 v[8:9], v11
	v_cvt_pkrtz_f16_f32 v16, v16, v17
	v_cvt_pkrtz_f16_f32 v17, v18, v19
	v_cvt_pk_f32_fp8_sdwa v[10:11], v11 src0_sel:WORD_1
	v_cvt_pkrtz_f16_f32 v8, v8, v9
	v_cvt_pk_f32_fp8_e32 v[18:19], v12
	v_mfma_f32_16x16x16_f16 v[2:5], v[16:17], v[26:27], v[2:5]
	v_cvt_pkrtz_f16_f32 v9, v10, v11
	v_cvt_pkrtz_f16_f32 v10, v18, v19
	;; [unrolled: 1-line block ×3, first 2 shown]
	v_cvt_pk_f32_fp8_e32 v[16:17], v13
	v_cvt_pk_f32_fp8_sdwa v[12:13], v13 src0_sel:WORD_1
	v_mfma_f32_16x16x16_f16 v[2:5], v[8:9], v[28:29], v[2:5]
	v_pk_mul_f32 v[14:15], v[22:23], s[8:9] op_sel_hi:[1,0]
	v_cvt_pkrtz_f16_f32 v8, v16, v17
	v_cvt_pkrtz_f16_f32 v9, v12, v13
	v_mfma_f32_16x16x16_f16 v[2:5], v[10:11], v[50:51], v[2:5]
	v_cvt_f16_f32_e32 v14, v14
	v_cvt_f16_f32_e32 v10, v15
	;; [unrolled: 1-line block ×3, first 2 shown]
	v_mfma_f32_16x16x16_f16 v[2:5], v[8:9], v[52:53], v[2:5]
	v_cvt_f16_f32_e32 v7, v7
	s_nop 5
	v_pk_mul_f32 v[4:5], v[4:5], s[8:9] op_sel_hi:[1,0]
	v_pk_mul_f32 v[2:3], v[2:3], s[8:9] op_sel_hi:[1,0]
	v_cvt_f16_f32_e32 v11, v4
	v_cvt_f16_f32_e32 v8, v2
	;; [unrolled: 1-line block ×4, first 2 shown]
	v_pack_b32_f16 v2, v14, v10
	v_pack_b32_f16 v3, v6, v7
	;; [unrolled: 1-line block ×4, first 2 shown]
	ds_write2st64_b64 v55, v[2:3], v[4:5] offset1:1
	s_waitcnt lgkmcnt(0)
	s_barrier
	s_and_saveexec_b64 s[8:9], vcc
	s_cbranch_execz .LBB1056_20
; %bb.18:
	s_load_dwordx2 s[8:9], s[0:1], 0x68
	s_lshl_b32 s0, s7, 7
	s_mul_i32 s1, s10, s2
	v_lshlrev_b32_e32 v3, 6, v56
	s_mul_hi_u32 s11, s1, s0
	s_mul_i32 s10, s1, s0
	v_lshl_or_b32 v0, v0, 10, v3
	s_lshl_b64 s[10:11], s[10:11], 1
	v_lshlrev_b32_e32 v2, 5, v62
	v_and_b32_e32 v1, 16, v1
	v_and_b32_e32 v0, 0x1a00, v0
	s_waitcnt lgkmcnt(0)
	s_add_u32 s1, s8, s10
	v_or3_b32 v2, v0, v2, v1
	s_addc_u32 s7, s9, s11
	s_lshl_b32 s2, s6, 7
	s_lshl_b64 s[2:3], s[2:3], 1
	ds_read_b128 v[4:7], v2 offset:128
	ds_read_b128 v[8:11], v2
	s_add_u32 s2, s1, s2
	s_addc_u32 s3, s7, s3
	v_mov_b32_e32 v55, 0
	v_add_u32_e32 v3, s48, v62
	v_lshl_add_u64 v[0:1], s[2:3], 0, v[54:55]
	v_mad_u64_u32 v[12:13], s[2:3], v3, s0, 0
	v_lshl_add_u64 v[12:13], v[12:13], 1, v[0:1]
	v_add_u32_e32 v3, 4, v3
	s_waitcnt lgkmcnt(0)
	global_store_dwordx4 v[12:13], v[8:11], off
	s_nop 1
	v_mad_u64_u32 v[8:9], s[2:3], v3, s0, 0
	v_lshl_add_u64 v[8:9], v[8:9], 1, v[0:1]
	global_store_dwordx4 v[8:9], v[4:7], off
	s_and_b64 exec, exec, s[4:5]
	s_cbranch_execz .LBB1056_20
; %bb.19:
	ds_read_b128 v[2:5], v2 offset:256
	v_add3_u32 v6, s48, v62, 8
	v_mad_u64_u32 v[6:7], s[0:1], v6, s0, 0
	v_lshl_add_u64 v[0:1], v[6:7], 1, v[0:1]
	s_waitcnt lgkmcnt(0)
	global_store_dwordx4 v[0:1], v[2:5], off
.LBB1056_20:
	s_endpgm
	.section	.rodata,"a",@progbits
	.p2align	6, 0x0
	.amdhsa_kernel _Z39paged_attention_ll4mi_QKV_mfma16_kernelIDF16_hLN4vllm18Fp8KVCacheDataTypeE1EDF16_Li32ELi128ELi256ELb1ELi9EEvPKT_PKT0_S7_ifPKiS9_S9_iPKfiiiPfSC_PS2_PT2_iSB_SB_
		.amdhsa_group_segment_fixed_size 8192
		.amdhsa_private_segment_fixed_size 0
		.amdhsa_kernarg_size 400
		.amdhsa_user_sgpr_count 2
		.amdhsa_user_sgpr_dispatch_ptr 0
		.amdhsa_user_sgpr_queue_ptr 0
		.amdhsa_user_sgpr_kernarg_segment_ptr 1
		.amdhsa_user_sgpr_dispatch_id 0
		.amdhsa_user_sgpr_kernarg_preload_length 0
		.amdhsa_user_sgpr_kernarg_preload_offset 0
		.amdhsa_user_sgpr_private_segment_size 0
		.amdhsa_uses_dynamic_stack 0
		.amdhsa_enable_private_segment 0
		.amdhsa_system_sgpr_workgroup_id_x 1
		.amdhsa_system_sgpr_workgroup_id_y 1
		.amdhsa_system_sgpr_workgroup_id_z 1
		.amdhsa_system_sgpr_workgroup_info 0
		.amdhsa_system_vgpr_workitem_id 0
		.amdhsa_next_free_vgpr 78
		.amdhsa_next_free_sgpr 50
		.amdhsa_accum_offset 80
		.amdhsa_reserve_vcc 1
		.amdhsa_float_round_mode_32 0
		.amdhsa_float_round_mode_16_64 0
		.amdhsa_float_denorm_mode_32 3
		.amdhsa_float_denorm_mode_16_64 3
		.amdhsa_dx10_clamp 1
		.amdhsa_ieee_mode 1
		.amdhsa_fp16_overflow 0
		.amdhsa_tg_split 0
		.amdhsa_exception_fp_ieee_invalid_op 0
		.amdhsa_exception_fp_denorm_src 0
		.amdhsa_exception_fp_ieee_div_zero 0
		.amdhsa_exception_fp_ieee_overflow 0
		.amdhsa_exception_fp_ieee_underflow 0
		.amdhsa_exception_fp_ieee_inexact 0
		.amdhsa_exception_int_div_zero 0
	.end_amdhsa_kernel
	.section	.text._Z39paged_attention_ll4mi_QKV_mfma16_kernelIDF16_hLN4vllm18Fp8KVCacheDataTypeE1EDF16_Li32ELi128ELi256ELb1ELi9EEvPKT_PKT0_S7_ifPKiS9_S9_iPKfiiiPfSC_PS2_PT2_iSB_SB_,"axG",@progbits,_Z39paged_attention_ll4mi_QKV_mfma16_kernelIDF16_hLN4vllm18Fp8KVCacheDataTypeE1EDF16_Li32ELi128ELi256ELb1ELi9EEvPKT_PKT0_S7_ifPKiS9_S9_iPKfiiiPfSC_PS2_PT2_iSB_SB_,comdat
.Lfunc_end1056:
	.size	_Z39paged_attention_ll4mi_QKV_mfma16_kernelIDF16_hLN4vllm18Fp8KVCacheDataTypeE1EDF16_Li32ELi128ELi256ELb1ELi9EEvPKT_PKT0_S7_ifPKiS9_S9_iPKfiiiPfSC_PS2_PT2_iSB_SB_, .Lfunc_end1056-_Z39paged_attention_ll4mi_QKV_mfma16_kernelIDF16_hLN4vllm18Fp8KVCacheDataTypeE1EDF16_Li32ELi128ELi256ELb1ELi9EEvPKT_PKT0_S7_ifPKiS9_S9_iPKfiiiPfSC_PS2_PT2_iSB_SB_
                                        ; -- End function
	.section	.AMDGPU.csdata,"",@progbits
; Kernel info:
; codeLenInByte = 6380
; NumSgprs: 56
; NumVgprs: 78
; NumAgprs: 0
; TotalNumVgprs: 78
; ScratchSize: 0
; MemoryBound: 0
; FloatMode: 240
; IeeeMode: 1
; LDSByteSize: 8192 bytes/workgroup (compile time only)
; SGPRBlocks: 6
; VGPRBlocks: 9
; NumSGPRsForWavesPerEU: 56
; NumVGPRsForWavesPerEU: 78
; AccumOffset: 80
; Occupancy: 6
; WaveLimiterHint : 1
; COMPUTE_PGM_RSRC2:SCRATCH_EN: 0
; COMPUTE_PGM_RSRC2:USER_SGPR: 2
; COMPUTE_PGM_RSRC2:TRAP_HANDLER: 0
; COMPUTE_PGM_RSRC2:TGID_X_EN: 1
; COMPUTE_PGM_RSRC2:TGID_Y_EN: 1
; COMPUTE_PGM_RSRC2:TGID_Z_EN: 1
; COMPUTE_PGM_RSRC2:TIDIG_COMP_CNT: 0
; COMPUTE_PGM_RSRC3_GFX90A:ACCUM_OFFSET: 19
; COMPUTE_PGM_RSRC3_GFX90A:TG_SPLIT: 0
	.section	.text._Z39paged_attention_ll4mi_QKV_mfma16_kernelIDF16_hLN4vllm18Fp8KVCacheDataTypeE1EDF16_Li32ELi128ELi256ELb1ELi10EEvPKT_PKT0_S7_ifPKiS9_S9_iPKfiiiPfSC_PS2_PT2_iSB_SB_,"axG",@progbits,_Z39paged_attention_ll4mi_QKV_mfma16_kernelIDF16_hLN4vllm18Fp8KVCacheDataTypeE1EDF16_Li32ELi128ELi256ELb1ELi10EEvPKT_PKT0_S7_ifPKiS9_S9_iPKfiiiPfSC_PS2_PT2_iSB_SB_,comdat
	.protected	_Z39paged_attention_ll4mi_QKV_mfma16_kernelIDF16_hLN4vllm18Fp8KVCacheDataTypeE1EDF16_Li32ELi128ELi256ELb1ELi10EEvPKT_PKT0_S7_ifPKiS9_S9_iPKfiiiPfSC_PS2_PT2_iSB_SB_ ; -- Begin function _Z39paged_attention_ll4mi_QKV_mfma16_kernelIDF16_hLN4vllm18Fp8KVCacheDataTypeE1EDF16_Li32ELi128ELi256ELb1ELi10EEvPKT_PKT0_S7_ifPKiS9_S9_iPKfiiiPfSC_PS2_PT2_iSB_SB_
	.globl	_Z39paged_attention_ll4mi_QKV_mfma16_kernelIDF16_hLN4vllm18Fp8KVCacheDataTypeE1EDF16_Li32ELi128ELi256ELb1ELi10EEvPKT_PKT0_S7_ifPKiS9_S9_iPKfiiiPfSC_PS2_PT2_iSB_SB_
	.p2align	8
	.type	_Z39paged_attention_ll4mi_QKV_mfma16_kernelIDF16_hLN4vllm18Fp8KVCacheDataTypeE1EDF16_Li32ELi128ELi256ELb1ELi10EEvPKT_PKT0_S7_ifPKiS9_S9_iPKfiiiPfSC_PS2_PT2_iSB_SB_,@function
_Z39paged_attention_ll4mi_QKV_mfma16_kernelIDF16_hLN4vllm18Fp8KVCacheDataTypeE1EDF16_Li32ELi128ELi256ELb1ELi10EEvPKT_PKT0_S7_ifPKiS9_S9_iPKfiiiPfSC_PS2_PT2_iSB_SB_: ; @_Z39paged_attention_ll4mi_QKV_mfma16_kernelIDF16_hLN4vllm18Fp8KVCacheDataTypeE1EDF16_Li32ELi128ELi256ELb1ELi10EEvPKT_PKT0_S7_ifPKiS9_S9_iPKfiiiPfSC_PS2_PT2_iSB_SB_
; %bb.0:
	s_load_dwordx2 s[10:11], s[0:1], 0x30
	s_mov_b32 s6, s3
	s_mov_b64 s[8:9], 0
	s_waitcnt lgkmcnt(0)
	s_cmp_lg_u64 s[10:11], 0
	s_cselect_b64 s[12:13], -1, 0
	s_and_b64 vcc, exec, s[12:13]
	s_cbranch_vccz .LBB1057_7
; %bb.1:
	s_add_i32 s14, s2, 1
	s_mov_b32 s15, 0
	s_lshl_b64 s[16:17], s[14:15], 2
	s_add_u32 s16, s10, s16
	s_mov_b32 s3, s15
	s_addc_u32 s17, s11, s17
	s_lshl_b64 s[14:15], s[2:3], 2
	s_add_u32 s14, s10, s14
	s_addc_u32 s15, s11, s15
	s_load_dword s5, s[16:17], 0x0
	s_load_dword s7, s[14:15], 0x0
	s_waitcnt lgkmcnt(0)
	s_sub_i32 s5, s5, s7
	s_cmp_eq_u32 s5, 1
	s_cselect_b64 s[14:15], -1, 0
	s_andn2_b64 vcc, exec, s[8:9]
	s_cbranch_vccnz .LBB1057_3
.LBB1057_2:
	s_mov_b32 s3, 0
	s_mov_b64 s[14:15], -1
.LBB1057_3:
	s_andn2_b64 vcc, exec, s[14:15]
	s_cbranch_vccnz .LBB1057_20
; %bb.4:
	s_load_dwordx2 s[8:9], s[0:1], 0x28
	s_lshl_b64 s[14:15], s[2:3], 2
	s_waitcnt lgkmcnt(0)
	s_add_u32 s8, s8, s14
	s_addc_u32 s9, s9, s15
	s_load_dword s7, s[8:9], 0x0
	s_lshl_b32 s18, s6, 8
	s_waitcnt lgkmcnt(0)
	s_cmp_ge_i32 s18, s7
	s_cbranch_scc1 .LBB1057_20
; %bb.5:
	s_load_dwordx2 s[8:9], s[0:1], 0x20
	s_load_dword s5, s[0:1], 0x38
	s_add_i32 s16, s7, 31
	s_ashr_i32 s17, s16, 31
	v_and_b32_e32 v1, 0xcf, v0
	s_lshr_b32 s17, s17, 27
	v_add_u32_e32 v1, s18, v1
	s_add_i32 s16, s16, s17
	v_ashrrev_i32_e32 v2, 31, v1
	s_ashr_i32 s19, s16, 5
	v_lshrrev_b32_e32 v4, 27, v2
	s_add_i32 s19, s19, -1
	s_waitcnt lgkmcnt(0)
	s_mul_i32 s16, s2, s5
	s_mov_b32 s17, 0
	v_add_u32_e32 v2, v1, v4
	s_lshl_b64 s[16:17], s[16:17], 2
	v_ashrrev_i32_e32 v2, 5, v2
	v_mov_b32_e32 v5, s19
	v_cmp_gt_i32_e32 vcc, s7, v1
	s_add_u32 s8, s8, s16
	s_addc_u32 s9, s9, s17
	v_cndmask_b32_e32 v2, v5, v2, vcc
	v_ashrrev_i32_e32 v3, 31, v2
	v_lshl_add_u64 v[6:7], v[2:3], 2, s[8:9]
	v_or_b32_e32 v2, 16, v1
	v_add_u32_e32 v3, v2, v4
	v_ashrrev_i32_e32 v3, 5, v3
	v_cmp_gt_i32_e32 vcc, s7, v2
	s_load_dwordx2 s[16:17], s[0:1], 0x8
	s_nop 0
	v_cndmask_b32_e32 v2, v5, v3, vcc
	v_ashrrev_i32_e32 v3, 31, v2
	v_lshl_add_u64 v[8:9], v[2:3], 2, s[8:9]
	v_or_b32_e32 v2, 32, v1
	v_add_u32_e32 v3, v2, v4
	v_ashrrev_i32_e32 v3, 5, v3
	v_cmp_gt_i32_e32 vcc, s7, v2
	v_or_b32_e32 v1, 48, v1
	s_nop 0
	v_cndmask_b32_e32 v2, v5, v3, vcc
	v_ashrrev_i32_e32 v3, 31, v2
	v_lshl_add_u64 v[12:13], v[2:3], 2, s[8:9]
	v_add_u32_e32 v2, v1, v4
	v_ashrrev_i32_e32 v2, 5, v2
	v_cmp_gt_i32_e32 vcc, s7, v1
	s_nop 1
	v_cndmask_b32_e32 v2, v5, v2, vcc
	v_ashrrev_i32_e32 v3, 31, v2
	v_lshl_add_u64 v[14:15], v[2:3], 2, s[8:9]
	global_load_dword v4, v[6:7], off
	global_load_dword v3, v[8:9], off
	;; [unrolled: 1-line block ×4, first 2 shown]
	s_andn2_b64 vcc, exec, s[12:13]
	s_cbranch_vccnz .LBB1057_8
; %bb.6:
	s_add_u32 s10, s10, s14
	s_addc_u32 s11, s11, s15
	s_load_dword s5, s[10:11], 0x0
	s_branch .LBB1057_9
.LBB1057_7:
	s_mov_b64 s[14:15], 0
	s_branch .LBB1057_2
.LBB1057_8:
	s_mov_b32 s5, s2
.LBB1057_9:
	s_load_dwordx2 s[10:11], s[0:1], 0x10
	s_load_dwordx4 s[44:47], s[0:1], 0x48
	v_lshrrev_b32_e32 v57, 6, v0
	v_bfe_u32 v62, v0, 4, 2
	v_and_b32_e32 v56, 15, v0
	v_lshl_or_b32 v5, v57, 2, v62
	v_lshlrev_b32_e32 v1, 3, v56
	s_mul_i32 s48, s4, 10
	v_cmp_gt_u32_e32 vcc, 10, v5
	v_lshlrev_b32_e32 v54, 1, v1
	v_lshlrev_b32_e32 v1, 4, v0
	s_and_saveexec_b64 s[12:13], vcc
	s_cbranch_execz .LBB1057_11
; %bb.10:
	s_load_dwordx2 s[14:15], s[0:1], 0x0
	s_waitcnt lgkmcnt(0)
	s_ashr_i32 s20, s44, 31
	s_mul_hi_u32 s21, s5, s44
	s_mul_i32 s20, s5, s20
	s_add_i32 s21, s21, s20
	s_mul_i32 s20, s5, s44
	s_lshl_b64 s[20:21], s[20:21], 1
	s_add_u32 s14, s14, s20
	v_add_lshl_u32 v6, v5, s48, 7
	s_addc_u32 s15, s15, s21
	v_ashrrev_i32_e32 v7, 31, v6
	v_lshl_add_u64 v[6:7], v[6:7], 1, s[14:15]
	v_mov_b32_e32 v55, 0
	v_lshl_add_u64 v[6:7], v[6:7], 0, v[54:55]
	global_load_dwordx4 v[6:9], v[6:7], off
	v_lshlrev_b32_e32 v12, 8, v0
	v_lshlrev_b32_e32 v11, 8, v56
	v_and_b32_e32 v12, 0x600, v12
	s_movk_i32 s5, 0x800
	v_and_or_b32 v11, v11, s5, v12
	v_lshlrev_b32_e32 v5, 5, v5
	v_and_b32_e32 v12, 16, v1
	v_or3_b32 v5, v11, v5, v12
	s_waitcnt vmcnt(0)
	ds_write_b128 v5, v[6:9]
.LBB1057_11:
	s_or_b64 exec, exec, s[12:13]
	s_waitcnt lgkmcnt(0)
	s_mul_i32 s12, s4, s46
	s_add_u32 s4, s16, s12
	s_addc_u32 s5, s17, 0
	v_mov_b32_e32 v59, 0
	v_mov_b64_e32 v[12:13], s[4:5]
	v_and_b32_e32 v34, 48, v0
	s_waitcnt vmcnt(3)
	v_mad_i64_i32 v[4:5], s[4:5], v4, s45, v[12:13]
	v_lshlrev_b32_e32 v14, 4, v56
	v_mov_b32_e32 v15, v59
	v_lshlrev_b32_e32 v58, 5, v34
	v_lshl_add_u64 v[4:5], v[4:5], 0, v[14:15]
	v_lshl_add_u64 v[4:5], v[4:5], 0, v[58:59]
	s_barrier
	global_load_dwordx4 v[50:53], v[4:5], off
	global_load_dwordx4 v[46:49], v[4:5], off offset:2048
	s_waitcnt vmcnt(4)
	v_mad_i64_i32 v[4:5], s[4:5], v3, s45, v[12:13]
	v_or_b32_e32 v16, 0x100, v14
	v_mov_b32_e32 v17, v59
	s_waitcnt vmcnt(3)
	v_mad_i64_i32 v[2:3], s[4:5], v2, s45, v[12:13]
	v_lshl_add_u64 v[4:5], v[4:5], 0, v[16:17]
	v_lshl_add_u64 v[2:3], v[2:3], 0, v[14:15]
	s_waitcnt vmcnt(2)
	v_mad_i64_i32 v[10:11], s[4:5], v10, s45, v[12:13]
	v_lshl_add_u64 v[4:5], v[4:5], 0, v[58:59]
	v_lshl_add_u64 v[14:15], v[2:3], 0, v[58:59]
	;; [unrolled: 1-line block ×3, first 2 shown]
	global_load_dwordx4 v[36:39], v[4:5], off
	global_load_dwordx4 v[6:9], v[4:5], off offset:2048
	s_nop 0
	global_load_dwordx4 v[2:5], v[14:15], off
	global_load_dwordx4 v[42:45], v[14:15], off offset:2048
	v_lshl_add_u64 v[14:15], v[10:11], 0, v[58:59]
	global_load_dwordx4 v[26:29], v[14:15], off
	global_load_dwordx4 v[10:13], v[14:15], off offset:2048
	v_add_u32_e32 v14, -10, v56
	v_cmp_gt_u32_e32 vcc, 10, v56
	v_and_b32_e32 v55, 63, v0
	v_mov_b32_e32 v63, 0
	v_cndmask_b32_e32 v14, v14, v56, vcc
	v_lshlrev_b32_e32 v14, 5, v14
	v_lshl_add_u32 v14, v62, 9, v14
	ds_read_b128 v[30:33], v14
	ds_read_b128 v[22:25], v14 offset:16
	ds_read_b128 v[18:21], v14 offset:2048
	;; [unrolled: 1-line block ×3, first 2 shown]
	s_and_saveexec_b64 s[4:5], vcc
	s_cbranch_execz .LBB1057_13
; %bb.12:
	s_load_dwordx2 s[14:15], s[0:1], 0x40
	v_add_u32_e32 v40, s48, v56
	v_ashrrev_i32_e32 v41, 31, v40
	s_waitcnt lgkmcnt(0)
	v_lshl_add_u64 v[40:41], v[40:41], 2, s[14:15]
	global_load_dword v63, v[40:41], off
.LBB1057_13:
	s_or_b64 exec, exec, s[4:5]
	s_ashr_i32 s4, s18, 31
	v_or_b32_e32 v58, s18, v34
	s_lshr_b32 s4, s4, 27
	v_add_u32_e32 v34, s4, v58
	v_cmp_gt_i32_e32 vcc, s7, v58
	v_or_b32_e32 v40, 64, v58
	v_or_b32_e32 v60, 0x80, v58
	;; [unrolled: 1-line block ×3, first 2 shown]
	v_add_u32_e32 v64, s4, v58
	v_ashrrev_i32_e32 v69, 5, v64
	s_waitcnt vmcnt(7)
	v_cvt_pk_f32_fp8_e32 v[64:65], v50
	v_cvt_pk_f32_fp8_sdwa v[66:67], v50 src0_sel:WORD_1
	v_cvt_pk_f32_fp8_e32 v[70:71], v51
	v_cvt_pk_f32_fp8_sdwa v[50:51], v51 src0_sel:WORD_1
	v_cvt_pkrtz_f16_f32 v64, v64, v65
	v_cvt_pkrtz_f16_f32 v65, v66, v67
	;; [unrolled: 1-line block ×3, first 2 shown]
	v_cvt_pk_f32_fp8_e32 v[72:73], v52
	v_cvt_pk_f32_fp8_sdwa v[74:75], v52 src0_sel:WORD_1
	v_cvt_pkrtz_f16_f32 v71, v50, v51
	s_waitcnt lgkmcnt(3)
	v_mfma_f32_16x16x16_f16 v[64:67], v[64:65], v[30:31], 0
	v_cvt_pkrtz_f16_f32 v72, v72, v73
	v_cvt_pkrtz_f16_f32 v73, v74, v75
	v_cvt_pk_f32_fp8_e32 v[74:75], v53
	v_cvt_pk_f32_fp8_sdwa v[76:77], v53 src0_sel:WORD_1
	v_mfma_f32_16x16x16_f16 v[50:53], v[70:71], v[32:33], v[64:67]
	v_ashrrev_i32_e32 v34, 5, v34
	v_mov_b32_e32 v68, s19
	v_add_u32_e32 v41, s4, v40
	v_cndmask_b32_e32 v34, v68, v34, vcc
	v_ashrrev_i32_e32 v41, 5, v41
	v_cmp_gt_i32_e32 vcc, s7, v40
	v_add_u32_e32 v61, s4, v60
	v_cvt_pkrtz_f16_f32 v64, v74, v75
	v_cvt_pkrtz_f16_f32 v65, v76, v77
	v_cndmask_b32_e32 v40, v68, v41, vcc
	v_ashrrev_i32_e32 v61, 5, v61
	v_cmp_gt_i32_e32 vcc, s7, v60
	s_waitcnt lgkmcnt(2)
	v_mfma_f32_16x16x16_f16 v[50:53], v[72:73], v[22:23], v[50:53]
	s_waitcnt vmcnt(6)
	v_cvt_pk_f32_fp8_e32 v[66:67], v46
	v_cndmask_b32_e32 v60, v68, v61, vcc
	v_cmp_gt_i32_e32 vcc, s7, v58
	v_ashrrev_i32_e32 v35, 31, v34
	v_lshl_add_u64 v[34:35], v[34:35], 2, s[8:9]
	v_cndmask_b32_e32 v68, v68, v69, vcc
	v_ashrrev_i32_e32 v41, 31, v40
	v_ashrrev_i32_e32 v61, 31, v60
	;; [unrolled: 1-line block ×3, first 2 shown]
	v_lshl_add_u64 v[40:41], v[40:41], 2, s[8:9]
	v_lshl_add_u64 v[60:61], v[60:61], 2, s[8:9]
	;; [unrolled: 1-line block ×3, first 2 shown]
	v_mfma_f32_16x16x16_f16 v[50:53], v[64:65], v[24:25], v[50:53]
	v_cvt_pkrtz_f16_f32 v74, v66, v67
	global_load_dword v68, v[34:35], off
	global_load_dword v66, v[40:41], off
	;; [unrolled: 1-line block ×4, first 2 shown]
	v_cvt_pk_f32_fp8_sdwa v[70:71], v46 src0_sel:WORD_1
	v_cvt_pk_f32_fp8_e32 v[40:41], v48
	s_waitcnt vmcnt(9)
	v_cvt_pk_f32_fp8_e32 v[60:61], v36
	s_add_u32 s4, s10, s12
	v_cvt_pkrtz_f16_f32 v75, v70, v71
	v_cvt_pk_f32_fp8_e32 v[70:71], v47
	v_cvt_pk_f32_fp8_sdwa v[46:47], v47 src0_sel:WORD_1
	s_waitcnt lgkmcnt(1)
	v_mfma_f32_16x16x16_f16 v[50:53], v[74:75], v[18:19], v[50:53]
	v_cvt_pkrtz_f16_f32 v34, v70, v71
	v_cvt_pkrtz_f16_f32 v35, v46, v47
	v_cvt_pk_f32_fp8_sdwa v[46:47], v48 src0_sel:WORD_1
	v_cvt_pkrtz_f16_f32 v40, v40, v41
	v_mfma_f32_16x16x16_f16 v[50:53], v[34:35], v[20:21], v[50:53]
	v_cvt_pkrtz_f16_f32 v41, v46, v47
	v_cvt_pk_f32_fp8_e32 v[34:35], v49
	v_cvt_pk_f32_fp8_sdwa v[46:47], v49 src0_sel:WORD_1
	v_cvt_pk_f32_fp8_sdwa v[70:71], v36 src0_sel:WORD_1
	s_addc_u32 s5, s11, 0
	v_cvt_pkrtz_f16_f32 v34, v34, v35
	v_cvt_pkrtz_f16_f32 v35, v46, v47
	s_waitcnt lgkmcnt(0)
	v_mfma_f32_16x16x16_f16 v[46:49], v[40:41], v[14:15], v[50:53]
	v_cvt_pkrtz_f16_f32 v40, v60, v61
	v_cvt_pkrtz_f16_f32 v41, v70, v71
	s_waitcnt vmcnt(8)
	v_cvt_pk_f32_fp8_sdwa v[60:61], v6 src0_sel:WORD_1
	v_cvt_pk_f32_fp8_e32 v[50:51], v37
	v_cvt_pk_f32_fp8_sdwa v[52:53], v37 src0_sel:WORD_1
	v_mfma_f32_16x16x16_f16 v[34:37], v[34:35], v[16:17], v[46:49]
	v_and_b32_e32 v58, 16, v0
	v_cvt_pkrtz_f16_f32 v50, v50, v51
	v_cvt_pkrtz_f16_f32 v51, v52, v53
	v_mfma_f32_16x16x16_f16 v[46:49], v[40:41], v[30:31], 0
	v_cvt_pk_f32_fp8_e32 v[40:41], v38
	v_cvt_pk_f32_fp8_sdwa v[52:53], v38 src0_sel:WORD_1
	v_lshl_or_b32 v64, v57, 4, v56
	v_mfma_f32_16x16x16_f16 v[46:49], v[50:51], v[32:33], v[46:49]
	v_cvt_pk_f32_fp8_e32 v[50:51], v39
	v_cvt_pkrtz_f16_f32 v40, v40, v41
	v_cvt_pkrtz_f16_f32 v41, v52, v53
	v_cvt_pk_f32_fp8_sdwa v[38:39], v39 src0_sel:WORD_1
	v_cvt_pkrtz_f16_f32 v50, v50, v51
	v_cvt_pk_f32_fp8_e32 v[52:53], v6
	s_waitcnt vmcnt(6)
	v_cvt_pk_f32_fp8_e32 v[74:75], v43
	v_cvt_pkrtz_f16_f32 v51, v38, v39
	v_mfma_f32_16x16x16_f16 v[38:41], v[40:41], v[22:23], v[46:49]
	s_nop 2
	v_cvt_pkrtz_f16_f32 v48, v52, v53
	v_cvt_pkrtz_f16_f32 v49, v60, v61
	v_cvt_pk_f32_fp8_e32 v[52:53], v7
	v_cvt_pk_f32_fp8_sdwa v[6:7], v7 src0_sel:WORD_1
	v_mfma_f32_16x16x16_f16 v[38:41], v[50:51], v[24:25], v[38:41]
	v_lshl_add_u64 v[46:47], s[4:5], 0, v[58:59]
	v_cvt_pkrtz_f16_f32 v50, v52, v53
	v_cvt_pkrtz_f16_f32 v51, v6, v7
	v_mfma_f32_16x16x16_f16 v[38:41], v[48:49], v[18:19], v[38:41]
	v_cvt_pk_f32_fp8_e32 v[6:7], v8
	v_cvt_pk_f32_fp8_sdwa v[48:49], v8 src0_sel:WORD_1
	v_cvt_pk_f32_fp8_sdwa v[52:53], v2 src0_sel:WORD_1
	v_mfma_f32_16x16x16_f16 v[38:41], v[50:51], v[20:21], v[38:41]
	v_cvt_pk_f32_fp8_e32 v[50:51], v9
	v_cvt_pkrtz_f16_f32 v6, v6, v7
	v_cvt_pkrtz_f16_f32 v7, v48, v49
	v_cvt_pk_f32_fp8_sdwa v[8:9], v9 src0_sel:WORD_1
	v_cvt_pkrtz_f16_f32 v48, v50, v51
	v_cvt_pk_f32_fp8_e32 v[50:51], v2
	v_lshlrev_b32_e32 v58, 5, v64
	v_cvt_pkrtz_f16_f32 v49, v8, v9
	v_mfma_f32_16x16x16_f16 v[6:9], v[6:7], v[14:15], v[38:41]
	v_cvt_pkrtz_f16_f32 v50, v50, v51
	v_cvt_pkrtz_f16_f32 v51, v52, v53
	v_cvt_pk_f32_fp8_e32 v[52:53], v3
	v_cvt_pk_f32_fp8_sdwa v[2:3], v3 src0_sel:WORD_1
	v_mfma_f32_16x16x16_f16 v[38:41], v[48:49], v[16:17], v[6:9]
	v_lshl_add_u64 v[48:49], v[46:47], 0, v[58:59]
	v_cvt_pkrtz_f16_f32 v52, v52, v53
	v_cvt_pkrtz_f16_f32 v53, v2, v3
	v_mfma_f32_16x16x16_f16 v[6:9], v[50:51], v[30:31], 0
	v_cvt_pk_f32_fp8_e32 v[2:3], v4
	v_cvt_pk_f32_fp8_sdwa v[50:51], v4 src0_sel:WORD_1
	s_waitcnt vmcnt(3)
	v_mad_i64_i32 v[60:61], s[4:5], v68, s45, v[48:49]
	v_cvt_pkrtz_f16_f32 v2, v2, v3
	v_cvt_pkrtz_f16_f32 v3, v50, v51
	v_mfma_f32_16x16x16_f16 v[6:9], v[52:53], v[32:33], v[6:9]
	v_cvt_pk_f32_fp8_e32 v[50:51], v5
	v_cvt_pk_f32_fp8_sdwa v[4:5], v5 src0_sel:WORD_1
	s_waitcnt vmcnt(2)
	v_mad_i64_i32 v[70:71], s[4:5], v66, s45, v[48:49]
	v_cvt_pkrtz_f16_f32 v50, v50, v51
	v_cvt_pkrtz_f16_f32 v51, v4, v5
	v_mfma_f32_16x16x16_f16 v[2:5], v[2:3], v[22:23], v[6:9]
	v_or_b32_e32 v58, 0x800, v58
	s_nop 1
	v_cvt_pk_f32_fp8_e32 v[6:7], v42
	v_cvt_pk_f32_fp8_sdwa v[8:9], v42 src0_sel:WORD_1
	v_cvt_pk_f32_fp8_sdwa v[42:43], v43 src0_sel:WORD_1
	v_mfma_f32_16x16x16_f16 v[50:53], v[50:51], v[24:25], v[2:5]
	v_cvt_pkrtz_f16_f32 v72, v6, v7
	v_cvt_pkrtz_f16_f32 v73, v8, v9
	global_load_dwordx4 v[6:9], v[60:61], off
	global_load_dwordx4 v[2:5], v[70:71], off
	v_cvt_pkrtz_f16_f32 v60, v74, v75
	v_cvt_pkrtz_f16_f32 v61, v42, v43
	v_mfma_f32_16x16x16_f16 v[70:73], v[72:73], v[18:19], v[50:53]
	v_cvt_pk_f32_fp8_e32 v[42:43], v44
	v_cvt_pkrtz_f16_f32 v42, v42, v43
	s_nop 0
	v_cvt_pk_f32_fp8_sdwa v[52:53], v44 src0_sel:WORD_1
	v_mfma_f32_16x16x16_f16 v[70:73], v[60:61], v[20:21], v[70:73]
	v_cvt_pk_f32_fp8_e32 v[60:61], v45
	s_waitcnt vmcnt(3)
	v_mad_i64_i32 v[50:51], s[4:5], v67, s45, v[48:49]
	s_load_dword s4, s[0:1], 0x1c
	s_load_dwordx4 s[40:43], s[0:1], 0x80
	v_cvt_pkrtz_f16_f32 v43, v52, v53
	v_cvt_pkrtz_f16_f32 v74, v60, v61
	v_cvt_pk_f32_fp8_e32 v[52:53], v26
	v_cvt_pk_f32_fp8_sdwa v[60:61], v26 src0_sel:WORD_1
	s_load_dword s33, s[0:1], 0x98
	s_waitcnt lgkmcnt(0)
	s_load_dword s5, s[40:41], 0x0
	v_cvt_pk_f32_fp8_sdwa v[44:45], v45 src0_sel:WORD_1
	v_cvt_pkrtz_f16_f32 v52, v52, v53
	v_cvt_pkrtz_f16_f32 v53, v60, v61
	v_cvt_pk_f32_fp8_e32 v[60:61], v27
	v_cvt_pk_f32_fp8_sdwa v[26:27], v27 src0_sel:WORD_1
	v_cvt_pkrtz_f16_f32 v75, v44, v45
	v_mfma_f32_16x16x16_f16 v[42:45], v[42:43], v[14:15], v[70:73]
	v_cvt_pkrtz_f16_f32 v60, v60, v61
	v_cvt_pkrtz_f16_f32 v61, v26, v27
	v_mov_b32_e32 v26, s4
	v_mfma_f32_16x16x16_f16 v[70:73], v[52:53], v[30:31], 0
	s_waitcnt lgkmcnt(0)
	v_mul_f32_e32 v52, s5, v26
	v_cvt_pk_f32_fp8_e32 v[26:27], v28
	v_cvt_pk_f32_fp8_sdwa v[30:31], v28 src0_sel:WORD_1
	v_mfma_f32_16x16x16_f16 v[70:73], v[60:61], v[32:33], v[70:73]
	v_cvt_pk_f32_fp8_e32 v[32:33], v29
	v_cvt_pk_f32_fp8_sdwa v[28:29], v29 src0_sel:WORD_1
	v_cvt_pkrtz_f16_f32 v26, v26, v27
	v_cvt_pkrtz_f16_f32 v27, v30, v31
	v_mfma_f32_16x16x16_f16 v[42:45], v[74:75], v[16:17], v[42:45]
	v_cvt_pkrtz_f16_f32 v32, v32, v33
	v_cvt_pkrtz_f16_f32 v33, v28, v29
	v_cvt_pk_f32_fp8_e32 v[60:61], v10
	v_cvt_pk_f32_fp8_sdwa v[74:75], v10 src0_sel:WORD_1
	v_mfma_f32_16x16x16_f16 v[26:29], v[26:27], v[22:23], v[70:73]
	v_pk_mul_f32 v[30:31], v[52:53], v[36:37] op_sel_hi:[0,1]
	v_cvt_pkrtz_f16_f32 v36, v60, v61
	v_cvt_pkrtz_f16_f32 v37, v74, v75
	v_cvt_pk_f32_fp8_e32 v[60:61], v11
	v_cvt_pk_f32_fp8_sdwa v[70:71], v11 src0_sel:WORD_1
	v_mfma_f32_16x16x16_f16 v[22:25], v[32:33], v[24:25], v[26:29]
	v_pk_mul_f32 v[10:11], v[52:53], v[34:35] op_sel_hi:[0,1]
	v_cvt_pkrtz_f16_f32 v60, v60, v61
	v_cvt_pkrtz_f16_f32 v61, v70, v71
	v_mfma_f32_16x16x16_f16 v[32:35], v[36:37], v[18:19], v[22:25]
	v_cvt_pk_f32_fp8_e32 v[18:19], v12
	v_cvt_pk_f32_fp8_sdwa v[36:37], v12 src0_sel:WORD_1
	s_waitcnt vmcnt(2)
	v_mad_i64_i32 v[48:49], s[8:9], v65, s45, v[48:49]
	global_load_dwordx4 v[26:29], v[50:51], off
	global_load_dwordx4 v[22:25], v[48:49], off
	v_cvt_pkrtz_f16_f32 v48, v18, v19
	v_cvt_pkrtz_f16_f32 v49, v36, v37
	v_cvt_pk_f32_fp8_e32 v[36:37], v13
	v_cvt_pk_f32_fp8_sdwa v[12:13], v13 src0_sel:WORD_1
	v_mfma_f32_16x16x16_f16 v[18:21], v[60:61], v[20:21], v[32:35]
	v_pk_mul_f32 v[40:41], v[52:53], v[40:41] op_sel_hi:[0,1]
	v_pk_mul_f32 v[42:43], v[52:53], v[42:43] op_sel_hi:[0,1]
	s_mov_b32 s40, 0xff7fffff
	v_cvt_pkrtz_f16_f32 v32, v36, v37
	v_cvt_pkrtz_f16_f32 v33, v12, v13
	v_mfma_f32_16x16x16_f16 v[12:15], v[48:49], v[14:15], v[18:21]
	v_pk_mul_f32 v[48:49], v[52:53], v[38:39] op_sel_hi:[0,1]
	v_pk_mul_f32 v[38:39], v[52:53], v[44:45] op_sel_hi:[0,1]
	v_mfma_f32_16x16x16_f16 v[12:15], v[32:33], v[16:17], v[12:15]
	s_nop 6
	v_pk_mul_f32 v[36:37], v[52:53], v[12:13] op_sel_hi:[0,1]
	v_and_b32_e32 v12, 0xc0, v0
	v_add_u32_e32 v12, s18, v12
	v_lshl_or_b32 v12, v62, 2, v12
	v_or_b32_e32 v13, 1, v12
	v_pk_mul_f32 v[34:35], v[52:53], v[14:15] op_sel_hi:[0,1]
	v_subrev_u32_e32 v14, s7, v13
	v_add_u32_e32 v16, 1, v14
	v_add_u32_e32 v17, 2, v14
	v_cvt_f32_i32_e32 v15, v14
	v_cvt_f32_i32_e32 v16, v16
	;; [unrolled: 1-line block ×3, first 2 shown]
	v_add_u32_e32 v18, 3, v14
	v_fma_f32 v10, v63, v15, v10
	v_fmac_f32_e32 v11, v63, v16
	v_fma_f32 v51, v63, v17, v30
	v_add_u32_e32 v15, 16, v14
	v_add_u32_e32 v16, 17, v14
	;; [unrolled: 1-line block ×3, first 2 shown]
	v_cvt_f32_i32_e32 v18, v18
	v_cvt_f32_i32_e32 v15, v15
	;; [unrolled: 1-line block ×4, first 2 shown]
	v_fmac_f32_e32 v31, v63, v18
	v_add_u32_e32 v18, 19, v14
	v_fma_f32 v48, v63, v15, v48
	v_fmac_f32_e32 v49, v63, v16
	v_fma_f32 v40, v63, v17, v40
	v_add_u32_e32 v15, 32, v14
	v_add_u32_e32 v16, 33, v14
	;; [unrolled: 1-line block ×3, first 2 shown]
	v_cvt_f32_i32_e32 v18, v18
	v_cvt_f32_i32_e32 v15, v15
	;; [unrolled: 1-line block ×4, first 2 shown]
	v_fmac_f32_e32 v41, v63, v18
	v_add_u32_e32 v18, 35, v14
	v_fma_f32 v42, v63, v15, v42
	v_fmac_f32_e32 v43, v63, v16
	v_fma_f32 v38, v63, v17, v38
	v_add_u32_e32 v15, 48, v14
	v_add_u32_e32 v16, 49, v14
	;; [unrolled: 1-line block ×4, first 2 shown]
	v_cvt_f32_i32_e32 v14, v14
	v_cvt_f32_i32_e32 v15, v15
	v_cvt_f32_i32_e32 v16, v16
	v_cmp_gt_i32_e64 s[8:9], s7, v12
	v_fmac_f32_e32 v35, v63, v14
	v_mov_b32_e32 v14, 0xff7fffff
	v_cmp_gt_i32_e64 s[10:11], s7, v13
	v_fma_f32 v36, v63, v15, v36
	v_cndmask_b32_e64 v15, v14, v10, s[8:9]
	v_cndmask_b32_e64 v13, v14, v11, s[10:11]
	v_fmac_f32_e32 v37, v63, v16
	v_max3_f32 v13, v15, s40, v13
	v_or_b32_e32 v15, 2, v12
	v_or_b32_e32 v16, 3, v12
	v_cmp_gt_i32_e64 s[12:13], s7, v15
	v_cmp_gt_i32_e64 s[14:15], s7, v16
	v_cvt_f32_i32_e32 v18, v18
	v_cndmask_b32_e64 v15, v14, v51, s[12:13]
	v_cndmask_b32_e64 v16, v14, v31, s[14:15]
	v_max3_f32 v13, v13, v15, v16
	v_or_b32_e32 v15, 16, v12
	v_or_b32_e32 v16, 17, v12
	v_cmp_gt_i32_e64 s[16:17], s7, v15
	v_cmp_gt_i32_e64 s[18:19], s7, v16
	v_fmac_f32_e32 v39, v63, v18
	v_cndmask_b32_e64 v15, v14, v48, s[16:17]
	v_cndmask_b32_e64 v16, v14, v49, s[18:19]
	v_max3_f32 v13, v13, v15, v16
	v_or_b32_e32 v15, 18, v12
	v_or_b32_e32 v16, 19, v12
	v_cmp_gt_i32_e64 s[20:21], s7, v15
	v_cmp_gt_i32_e64 s[22:23], s7, v16
	v_cvt_f32_i32_e32 v17, v17
	v_cndmask_b32_e64 v15, v14, v40, s[20:21]
	v_cndmask_b32_e64 v16, v14, v41, s[22:23]
	v_max3_f32 v13, v13, v15, v16
	v_or_b32_e32 v15, 32, v12
	v_or_b32_e32 v16, 33, v12
	v_cmp_gt_i32_e64 s[24:25], s7, v15
	v_cmp_gt_i32_e64 s[26:27], s7, v16
	v_fma_f32 v34, v63, v17, v34
	v_cndmask_b32_e64 v15, v14, v42, s[24:25]
	v_cndmask_b32_e64 v16, v14, v43, s[26:27]
	v_max3_f32 v13, v13, v15, v16
	v_or_b32_e32 v15, 34, v12
	v_or_b32_e32 v16, 35, v12
	v_cmp_gt_i32_e64 s[28:29], s7, v15
	v_cmp_gt_i32_e64 s[30:31], s7, v16
	s_nop 0
	v_cndmask_b32_e64 v15, v14, v38, s[28:29]
	v_cndmask_b32_e64 v16, v14, v39, s[30:31]
	v_max3_f32 v13, v13, v15, v16
	v_or_b32_e32 v15, 48, v12
	v_or_b32_e32 v16, 49, v12
	v_cmp_gt_i32_e64 s[34:35], s7, v15
	v_cmp_gt_i32_e64 s[36:37], s7, v16
	s_nop 0
	v_cndmask_b32_e64 v15, v14, v36, s[34:35]
	v_cndmask_b32_e64 v16, v14, v37, s[36:37]
	v_max3_f32 v13, v13, v15, v16
	v_or_b32_e32 v15, 50, v12
	v_or_b32_e32 v12, 51, v12
	v_cmp_gt_i32_e32 vcc, s7, v15
	v_cmp_gt_i32_e64 s[4:5], s7, v12
	s_nop 0
	v_cndmask_b32_e32 v15, v14, v34, vcc
	v_cndmask_b32_e64 v12, v14, v35, s[4:5]
	v_max3_f32 v16, v13, v15, v12
	v_mbcnt_lo_u32_b32 v12, -1, 0
	v_mbcnt_hi_u32_b32 v17, -1, v12
	v_and_b32_e32 v12, 64, v17
	v_add_u32_e32 v18, 64, v12
	v_xor_b32_e32 v12, 32, v17
	v_cmp_lt_i32_e64 s[38:39], v12, v18
	s_nop 1
	v_cndmask_b32_e64 v12, v17, v12, s[38:39]
	v_lshlrev_b32_e32 v52, 2, v12
	ds_bpermute_b32 v19, v52, v16
	v_lshl_add_u64 v[12:13], v[46:47], 0, v[58:59]
	v_mad_i64_i32 v[14:15], s[38:39], v68, s45, v[12:13]
	s_waitcnt lgkmcnt(0)
	v_max_f32_e32 v19, v19, v19
	v_max_f32_e32 v19, v16, v19
	v_xor_b32_e32 v16, 16, v17
	v_cmp_lt_i32_e64 s[38:39], v16, v18
	s_nop 1
	v_cndmask_b32_e64 v16, v17, v16, s[38:39]
	v_lshlrev_b32_e32 v53, 2, v16
	ds_bpermute_b32 v18, v53, v19
	v_mad_i64_i32 v[16:17], s[38:39], v66, s45, v[12:13]
	v_mad_i64_i32 v[44:45], s[38:39], v67, s45, v[12:13]
	s_waitcnt lgkmcnt(0)
	v_max_f32_e32 v18, v18, v18
	v_max_f32_e32 v50, v19, v18
	v_sub_f32_e32 v10, v10, v50
	v_mul_f32_e32 v10, 0x3fb8aa3b, v10
	v_exp_f32_e32 v18, v10
	v_sub_f32_e32 v10, v11, v50
	v_mul_f32_e32 v10, 0x3fb8aa3b, v10
	v_exp_f32_e32 v19, v10
	v_mad_i64_i32 v[10:11], s[38:39], v65, s45, v[12:13]
	v_sub_f32_e32 v12, v51, v50
	v_mul_f32_e32 v12, 0x3fb8aa3b, v12
	v_cndmask_b32_e64 v46, 0, v18, s[8:9]
	v_cndmask_b32_e64 v47, 0, v19, s[10:11]
	v_sub_f32_e32 v58, v31, v50
	global_load_dwordx4 v[30:33], v[14:15], off
	global_load_dwordx4 v[18:21], v[16:17], off
	v_exp_f32_e32 v51, v12
	global_load_dwordx4 v[14:17], v[44:45], off
	s_nop 0
	global_load_dwordx4 v[10:13], v[10:11], off
	v_sub_f32_e32 v45, v48, v50
	v_sub_f32_e32 v48, v49, v50
	;; [unrolled: 1-line block ×4, first 2 shown]
	v_mul_f32_e32 v44, 0x3fb8aa3b, v58
	v_mul_f32_e32 v45, 0x3fb8aa3b, v45
	;; [unrolled: 1-line block ×5, first 2 shown]
	v_exp_f32_e32 v44, v44
	v_exp_f32_e32 v45, v45
	;; [unrolled: 1-line block ×3, first 2 shown]
	v_cndmask_b32_e64 v48, 0, v51, s[12:13]
	v_exp_f32_e32 v40, v40
	v_exp_f32_e32 v51, v42
	v_sub_f32_e32 v42, v43, v50
	v_mul_f32_e32 v42, 0x3fb8aa3b, v42
	v_cndmask_b32_e64 v49, 0, v44, s[14:15]
	v_cndmask_b32_e64 v44, 0, v45, s[16:17]
	;; [unrolled: 1-line block ×3, first 2 shown]
	v_sub_f32_e32 v41, v41, v50
	v_exp_f32_e32 v58, v42
	v_cndmask_b32_e64 v42, 0, v40, s[20:21]
	v_cndmask_b32_e64 v40, 0, v51, s[24:25]
	v_add_f32_e32 v51, 0, v46
	v_mul_f32_e32 v41, 0x3fb8aa3b, v41
	v_add_f32_e32 v51, v51, v47
	v_exp_f32_e32 v41, v41
	v_add_f32_e32 v51, v51, v48
	v_sub_f32_e32 v38, v38, v50
	v_add_f32_e32 v51, v51, v49
	v_sub_f32_e32 v39, v39, v50
	v_mul_f32_e32 v38, 0x3fb8aa3b, v38
	v_add_f32_e32 v51, v51, v44
	v_exp_f32_e32 v38, v38
	v_mul_f32_e32 v39, 0x3fb8aa3b, v39
	v_sub_f32_e32 v36, v36, v50
	v_add_f32_e32 v51, v51, v45
	v_cndmask_b32_e64 v43, 0, v41, s[22:23]
	v_exp_f32_e32 v39, v39
	v_mul_f32_e32 v36, 0x3fb8aa3b, v36
	v_sub_f32_e32 v37, v37, v50
	v_add_f32_e32 v51, v51, v42
	v_exp_f32_e32 v36, v36
	v_mul_f32_e32 v37, 0x3fb8aa3b, v37
	v_add_f32_e32 v51, v51, v43
	v_sub_f32_e32 v34, v34, v50
	v_cndmask_b32_e64 v41, 0, v58, s[26:27]
	v_exp_f32_e32 v37, v37
	v_add_f32_e32 v51, v51, v40
	v_mul_f32_e32 v34, 0x3fb8aa3b, v34
	v_sub_f32_e32 v35, v35, v50
	v_cndmask_b32_e64 v38, 0, v38, s[28:29]
	v_add_f32_e32 v51, v51, v41
	v_exp_f32_e32 v34, v34
	v_mul_f32_e32 v35, 0x3fb8aa3b, v35
	v_cndmask_b32_e64 v39, 0, v39, s[30:31]
	v_add_f32_e32 v51, v51, v38
	v_exp_f32_e32 v35, v35
	v_cndmask_b32_e64 v36, 0, v36, s[34:35]
	v_add_f32_e32 v51, v51, v39
	v_cndmask_b32_e64 v37, 0, v37, s[36:37]
	v_add_f32_e32 v51, v51, v36
	v_add_f32_e32 v51, v51, v37
	v_cndmask_b32_e32 v34, 0, v34, vcc
	v_add_f32_e32 v51, v51, v34
	v_cndmask_b32_e64 v35, 0, v35, s[4:5]
	v_add_f32_e32 v51, v51, v35
	ds_bpermute_b32 v52, v52, v51
	v_cmp_gt_u32_e32 vcc, 16, v55
	s_waitcnt lgkmcnt(0)
	s_barrier
	v_add_f32_e32 v51, v51, v52
	ds_bpermute_b32 v52, v53, v51
	s_and_saveexec_b64 s[4:5], vcc
	s_cbranch_execz .LBB1057_15
; %bb.14:
	s_waitcnt lgkmcnt(0)
	v_add_f32_e32 v51, v51, v52
	v_lshlrev_b32_e32 v52, 2, v64
	ds_write2st64_b32 v52, v50, v51 offset1:1
.LBB1057_15:
	s_or_b64 exec, exec, s[4:5]
	v_lshlrev_b32_e32 v51, 2, v56
	s_load_dword s7, s[0:1], 0x94
	s_waitcnt lgkmcnt(0)
	s_barrier
	ds_read2_b32 v[52:53], v51 offset1:16
	ds_read2_b32 v[58:59], v51 offset0:32 offset1:48
	ds_read2_b32 v[60:61], v51 offset0:64 offset1:80
	s_mul_i32 s8, s33, 10
	s_waitcnt lgkmcnt(2)
	v_max3_f32 v50, v52, s40, v53
	s_waitcnt lgkmcnt(1)
	v_max3_f32 v50, v50, v58, v59
	v_sub_f32_e32 v52, v52, v50
	v_mul_f32_e32 v52, 0x3fb8aa3b, v52
	v_exp_f32_e32 v55, v52
	v_sub_f32_e32 v52, v53, v50
	v_mul_f32_e32 v52, 0x3fb8aa3b, v52
	v_exp_f32_e32 v63, v52
	;; [unrolled: 3-line block ×3, first 2 shown]
	ds_read2_b32 v[52:53], v51 offset0:96 offset1:112
	v_sub_f32_e32 v51, v59, v50
	v_mul_f32_e32 v51, 0x3fb8aa3b, v51
	v_exp_f32_e32 v59, v51
	s_waitcnt lgkmcnt(1)
	v_fma_f32 v51, v55, v60, 0
	v_fmac_f32_e32 v51, v63, v61
	s_waitcnt lgkmcnt(0)
	v_fmac_f32_e32 v51, v58, v52
	v_fmac_f32_e32 v51, v59, v53
	v_add_f32_e32 v52, 0x358637bd, v51
	v_div_scale_f32 v53, s[4:5], v52, v52, 1.0
	v_rcp_f32_e32 v60, v53
	s_barrier
	v_fma_f32 v61, -v53, v60, 1.0
	v_fmac_f32_e32 v60, v61, v60
	v_div_scale_f32 v61, vcc, 1.0, v52, 1.0
	v_mul_f32_e32 v64, v61, v60
	v_fma_f32 v65, -v53, v64, v61
	v_fmac_f32_e32 v64, v65, v60
	v_fma_f32 v53, -v53, v64, v61
	v_div_fmas_f32 v53, v53, v60, v64
	v_cmp_eq_u32_e32 vcc, 1, v57
	v_div_fixup_f32 v52, v53, v52, 1.0
	s_nop 0
	v_cndmask_b32_e32 v53, v55, v63, vcc
	v_cmp_eq_u32_e32 vcc, 2, v57
	s_nop 1
	v_cndmask_b32_e32 v53, v53, v58, vcc
	v_cmp_eq_u32_e32 vcc, 3, v57
	s_nop 1
	v_cndmask_b32_e32 v53, v53, v59, vcc
	v_mul_f32_e32 v52, v53, v52
	v_pk_mul_f32 v[48:49], v[52:53], v[48:49] op_sel_hi:[0,1]
	v_pk_mul_f32 v[46:47], v[52:53], v[46:47] op_sel_hi:[0,1]
	v_cvt_f16_f32_e32 v53, v48
	v_cvt_f16_f32_e32 v49, v49
	;; [unrolled: 1-line block ×4, first 2 shown]
	v_pk_mul_f32 v[42:43], v[52:53], v[42:43] op_sel_hi:[0,1]
	v_pk_mul_f32 v[44:45], v[52:53], v[44:45] op_sel_hi:[0,1]
	v_pack_b32_f16 v49, v53, v49
	v_cvt_f16_f32_e32 v44, v44
	v_cvt_f16_f32_e32 v45, v45
	;; [unrolled: 1-line block ×4, first 2 shown]
	v_pack_b32_f16 v48, v46, v47
	v_lshlrev_b32_e32 v47, 3, v62
	v_lshlrev_b32_e32 v46, 5, v56
	;; [unrolled: 1-line block ×3, first 2 shown]
	v_or3_b32 v55, v42, v46, v47
	v_pack_b32_f16 v42, v44, v45
	v_pack_b32_f16 v43, v53, v43
	v_pk_mul_f32 v[38:39], v[52:53], v[38:39] op_sel_hi:[0,1]
	v_pk_mul_f32 v[40:41], v[52:53], v[40:41] op_sel_hi:[0,1]
	;; [unrolled: 1-line block ×4, first 2 shown]
	ds_write2st64_b64 v55, v[48:49], v[42:43] offset1:1
	v_cvt_f16_f32_e32 v40, v40
	v_cvt_f16_f32_e32 v41, v41
	;; [unrolled: 1-line block ×8, first 2 shown]
	v_pack_b32_f16 v34, v40, v41
	v_pack_b32_f16 v35, v38, v39
	;; [unrolled: 1-line block ×4, first 2 shown]
	v_cmp_gt_u32_e32 vcc, 10, v0
	ds_write2st64_b64 v55, v[34:35], v[36:37] offset0:2 offset1:3
	s_and_saveexec_b64 s[4:5], vcc
	s_cbranch_execz .LBB1057_17
; %bb.16:
	s_mov_b32 s49, 0
	v_mov_b32_e32 v57, 0
	v_lshl_add_u64 v[34:35], s[48:49], 0, v[56:57]
	v_mov_b32_e32 v36, s8
	v_mad_u64_u32 v[34:35], s[10:11], s2, v36, v[34:35]
	s_mul_i32 s3, s3, s8
	v_mov_b32_e32 v36, s6
	v_mov_b32_e32 v37, v57
	s_load_dwordx4 s[12:15], s[0:1], 0x58
	v_add_u32_e32 v38, s3, v35
	v_mad_u64_u32 v[34:35], s[10:11], v34, s7, v[36:37]
	v_mov_b32_e32 v36, v35
	v_mad_u64_u32 v[36:37], s[10:11], v38, s7, v[36:37]
	v_mov_b32_e32 v35, v36
	v_lshlrev_b64 v[34:35], 2, v[34:35]
	s_waitcnt lgkmcnt(0)
	v_lshl_add_u64 v[36:37], s[14:15], 0, v[34:35]
	v_lshl_add_u64 v[34:35], s[12:13], 0, v[34:35]
	global_store_dword v[36:37], v50, off
	global_store_dword v[34:35], v51, off
.LBB1057_17:
	s_or_b64 exec, exec, s[4:5]
	s_waitcnt vmcnt(7)
	v_cvt_pk_f32_fp8_e32 v[34:35], v6
	v_cvt_pk_f32_fp8_sdwa v[36:37], v6 src0_sel:WORD_1
	v_lshl_or_b32 v50, v62, 9, v46
	s_waitcnt lgkmcnt(0)
	s_barrier
	v_cvt_pk_f32_fp8_e32 v[38:39], v7
	v_cvt_pkrtz_f16_f32 v6, v34, v35
	v_cvt_pk_f32_fp8_sdwa v[40:41], v7 src0_sel:WORD_1
	v_cvt_pkrtz_f16_f32 v7, v36, v37
	ds_read_b128 v[34:37], v50
	v_cvt_pkrtz_f16_f32 v46, v38, v39
	v_cvt_pkrtz_f16_f32 v47, v40, v41
	ds_read_b128 v[38:41], v50 offset:16
	v_cvt_pk_f32_fp8_e32 v[48:49], v8
	v_cvt_pk_f32_fp8_sdwa v[52:53], v8 src0_sel:WORD_1
	s_waitcnt lgkmcnt(1)
	v_mfma_f32_16x16x16_f16 v[42:45], v[6:7], v[34:35], 0
	s_waitcnt vmcnt(6)
	v_cvt_pk_f32_fp8_e32 v[58:59], v4
	v_cvt_pkrtz_f16_f32 v6, v48, v49
	v_cvt_pkrtz_f16_f32 v7, v52, v53
	v_cvt_pk_f32_fp8_e32 v[48:49], v9
	v_mfma_f32_16x16x16_f16 v[42:45], v[46:47], v[36:37], v[42:45]
	v_cvt_pk_f32_fp8_sdwa v[46:47], v9 src0_sel:WORD_1
	v_cvt_pk_f32_fp8_sdwa v[60:61], v4 src0_sel:WORD_1
	v_cvt_pkrtz_f16_f32 v48, v48, v49
	s_waitcnt lgkmcnt(0)
	v_mfma_f32_16x16x16_f16 v[6:9], v[6:7], v[38:39], v[42:45]
	v_cvt_pkrtz_f16_f32 v49, v46, v47
	s_waitcnt vmcnt(5)
	v_cvt_pk_f32_fp8_e32 v[64:65], v28
	v_cvt_pk_f32_fp8_sdwa v[66:67], v28 src0_sel:WORD_1
	v_cvt_pk_f32_fp8_e32 v[42:43], v2
	v_mfma_f32_16x16x16_f16 v[46:49], v[48:49], v[40:41], v[6:9]
	s_waitcnt vmcnt(4)
	v_cvt_pk_f32_fp8_sdwa v[68:69], v24 src0_sel:WORD_1
	s_load_dword s4, s[42:43], 0x0
	v_cvt_pk_f32_fp8_sdwa v[6:7], v2 src0_sel:WORD_1
	v_cvt_pk_f32_fp8_e32 v[8:9], v3
	v_cvt_pkrtz_f16_f32 v2, v42, v43
	v_cvt_pk_f32_fp8_sdwa v[42:43], v3 src0_sel:WORD_1
	v_cvt_pkrtz_f16_f32 v3, v6, v7
	v_cvt_pkrtz_f16_f32 v52, v8, v9
	ds_read_b128 v[6:9], v50 offset:2048
	v_cvt_pkrtz_f16_f32 v53, v42, v43
	ds_read_b128 v[42:45], v50 offset:2064
	s_waitcnt lgkmcnt(0)
	v_mfma_f32_16x16x16_f16 v[46:49], v[2:3], v[6:7], v[46:49]
	v_cvt_pkrtz_f16_f32 v2, v58, v59
	v_cvt_pkrtz_f16_f32 v3, v60, v61
	v_cvt_pk_f32_fp8_e32 v[58:59], v5
	v_mfma_f32_16x16x16_f16 v[46:49], v[52:53], v[8:9], v[46:49]
	v_cvt_pk_f32_fp8_sdwa v[52:53], v5 src0_sel:WORD_1
	s_mov_b32 s3, 0
	v_cvt_pkrtz_f16_f32 v58, v58, v59
	v_mfma_f32_16x16x16_f16 v[2:5], v[2:3], v[42:43], v[46:49]
	v_cvt_pkrtz_f16_f32 v59, v52, v53
	v_cmp_gt_u32_e32 vcc, 64, v0
	s_nop 0
	v_cvt_pk_f32_fp8_e32 v[46:47], v26
	v_mfma_f32_16x16x16_f16 v[58:61], v[58:59], v[44:45], v[2:5]
	s_nop 2
	v_cvt_pk_f32_fp8_sdwa v[2:3], v26 src0_sel:WORD_1
	v_cvt_pk_f32_fp8_e32 v[4:5], v27
	v_cvt_pkrtz_f16_f32 v26, v46, v47
	v_cvt_pk_f32_fp8_sdwa v[46:47], v27 src0_sel:WORD_1
	v_cvt_pkrtz_f16_f32 v27, v2, v3
	v_cvt_pkrtz_f16_f32 v52, v4, v5
	ds_read_b128 v[2:5], v50 offset:4096
	v_cvt_pkrtz_f16_f32 v53, v46, v47
	ds_read_b128 v[46:49], v50 offset:4112
	s_waitcnt lgkmcnt(1)
	v_mfma_f32_16x16x16_f16 v[58:61], v[26:27], v[2:3], v[58:61]
	v_cvt_pkrtz_f16_f32 v26, v64, v65
	v_cvt_pkrtz_f16_f32 v27, v66, v67
	v_cvt_pk_f32_fp8_e32 v[64:65], v29
	v_mfma_f32_16x16x16_f16 v[58:61], v[52:53], v[4:5], v[58:61]
	v_cvt_pk_f32_fp8_sdwa v[52:53], v29 src0_sel:WORD_1
	v_cvt_pk_f32_fp8_e32 v[66:67], v24
	v_cvt_pkrtz_f16_f32 v64, v64, v65
	s_waitcnt lgkmcnt(0)
	v_mfma_f32_16x16x16_f16 v[26:29], v[26:27], v[46:47], v[58:61]
	v_cvt_pkrtz_f16_f32 v65, v52, v53
	v_cvt_pk_f32_fp8_e32 v[52:53], v22
	s_nop 0
	v_mfma_f32_16x16x16_f16 v[58:61], v[64:65], v[48:49], v[26:29]
	s_nop 2
	v_cvt_pk_f32_fp8_sdwa v[26:27], v22 src0_sel:WORD_1
	v_cvt_pk_f32_fp8_e32 v[28:29], v23
	v_cvt_pkrtz_f16_f32 v22, v52, v53
	v_cvt_pk_f32_fp8_sdwa v[52:53], v23 src0_sel:WORD_1
	v_cvt_pkrtz_f16_f32 v23, v26, v27
	v_cvt_pkrtz_f16_f32 v64, v28, v29
	ds_read_b128 v[26:29], v50 offset:6144
	v_cvt_pkrtz_f16_f32 v65, v52, v53
	s_waitcnt lgkmcnt(0)
	v_mfma_f32_16x16x16_f16 v[58:61], v[22:23], v[26:27], v[58:61]
	ds_read_b128 v[50:53], v50 offset:6160
	v_cvt_pkrtz_f16_f32 v22, v66, v67
	v_cvt_pkrtz_f16_f32 v23, v68, v69
	v_mfma_f32_16x16x16_f16 v[58:61], v[64:65], v[28:29], v[58:61]
	v_cvt_pk_f32_fp8_e32 v[66:67], v25
	v_cvt_pk_f32_fp8_sdwa v[64:65], v25 src0_sel:WORD_1
	s_waitcnt vmcnt(3)
	v_cvt_pk_f32_fp8_sdwa v[68:69], v32 src0_sel:WORD_1
	s_waitcnt lgkmcnt(0)
	v_mfma_f32_16x16x16_f16 v[22:25], v[22:23], v[50:51], v[58:61]
	v_cvt_pkrtz_f16_f32 v66, v66, v67
	v_cvt_pkrtz_f16_f32 v67, v64, v65
	v_cvt_pk_f32_fp8_e32 v[64:65], v31
	v_cvt_pk_f32_fp8_e32 v[58:59], v30
	v_cvt_pk_f32_fp8_sdwa v[60:61], v30 src0_sel:WORD_1
	v_cvt_pk_f32_fp8_sdwa v[30:31], v31 src0_sel:WORD_1
	v_mfma_f32_16x16x16_f16 v[22:25], v[66:67], v[52:53], v[22:25]
	v_cvt_pkrtz_f16_f32 v58, v58, v59
	v_cvt_pkrtz_f16_f32 v59, v60, v61
	;; [unrolled: 1-line block ×3, first 2 shown]
	v_cvt_pk_f32_fp8_e32 v[66:67], v32
	v_cvt_pkrtz_f16_f32 v65, v30, v31
	v_mfma_f32_16x16x16_f16 v[58:61], v[58:59], v[34:35], 0
	v_cvt_pkrtz_f16_f32 v30, v66, v67
	v_cvt_pkrtz_f16_f32 v31, v68, v69
	v_cvt_pk_f32_fp8_e32 v[66:67], v33
	v_mfma_f32_16x16x16_f16 v[34:37], v[64:65], v[36:37], v[58:61]
	s_barrier
	s_nop 1
	v_cvt_pk_f32_fp8_sdwa v[58:59], v33 src0_sel:WORD_1
	v_cvt_pkrtz_f16_f32 v60, v66, v67
	v_mfma_f32_16x16x16_f16 v[30:33], v[30:31], v[38:39], v[34:37]
	s_waitcnt vmcnt(2)
	v_cvt_pk_f32_fp8_e32 v[38:39], v19
	v_cvt_pkrtz_f16_f32 v61, v58, v59
	v_cvt_pk_f32_fp8_e32 v[34:35], v18
	v_cvt_pk_f32_fp8_sdwa v[36:37], v18 src0_sel:WORD_1
	v_cvt_pk_f32_fp8_sdwa v[18:19], v19 src0_sel:WORD_1
	v_mfma_f32_16x16x16_f16 v[30:33], v[60:61], v[40:41], v[30:33]
	v_cvt_pkrtz_f16_f32 v34, v34, v35
	v_cvt_pkrtz_f16_f32 v35, v36, v37
	;; [unrolled: 1-line block ×3, first 2 shown]
	v_cvt_pk_f32_fp8_e32 v[38:39], v20
	v_cvt_pk_f32_fp8_sdwa v[40:41], v20 src0_sel:WORD_1
	v_cvt_pkrtz_f16_f32 v37, v18, v19
	v_mfma_f32_16x16x16_f16 v[30:33], v[34:35], v[6:7], v[30:33]
	v_cvt_pkrtz_f16_f32 v18, v38, v39
	v_cvt_pkrtz_f16_f32 v19, v40, v41
	v_cvt_pk_f32_fp8_e32 v[34:35], v21
	v_cvt_pk_f32_fp8_sdwa v[20:21], v21 src0_sel:WORD_1
	v_mfma_f32_16x16x16_f16 v[6:9], v[36:37], v[8:9], v[30:33]
	s_nop 2
	v_cvt_pkrtz_f16_f32 v30, v34, v35
	v_cvt_pkrtz_f16_f32 v31, v20, v21
	v_mfma_f32_16x16x16_f16 v[6:9], v[18:19], v[42:43], v[6:9]
	s_waitcnt vmcnt(1)
	v_cvt_pk_f32_fp8_e32 v[18:19], v14
	v_cvt_pk_f32_fp8_sdwa v[20:21], v14 src0_sel:WORD_1
	v_cvt_pk_f32_fp8_sdwa v[32:33], v16 src0_sel:WORD_1
	v_mfma_f32_16x16x16_f16 v[6:9], v[30:31], v[44:45], v[6:9]
	v_cvt_pk_f32_fp8_e32 v[30:31], v15
	v_cvt_pkrtz_f16_f32 v18, v18, v19
	v_cvt_pkrtz_f16_f32 v19, v20, v21
	v_cvt_pk_f32_fp8_sdwa v[14:15], v15 src0_sel:WORD_1
	v_cvt_pkrtz_f16_f32 v20, v30, v31
	v_cvt_pk_f32_fp8_e32 v[30:31], v16
	v_mfma_f32_16x16x16_f16 v[6:9], v[18:19], v[2:3], v[6:9]
	v_cvt_pkrtz_f16_f32 v21, v14, v15
	v_cvt_pkrtz_f16_f32 v14, v30, v31
	;; [unrolled: 1-line block ×3, first 2 shown]
	v_cvt_pk_f32_fp8_e32 v[18:19], v17
	v_cvt_pk_f32_fp8_sdwa v[16:17], v17 src0_sel:WORD_1
	v_mfma_f32_16x16x16_f16 v[2:5], v[20:21], v[4:5], v[6:9]
	s_waitcnt vmcnt(0)
	v_cvt_pk_f32_fp8_sdwa v[20:21], v12 src0_sel:WORD_1
	s_nop 0
	v_cvt_pkrtz_f16_f32 v8, v18, v19
	v_cvt_pkrtz_f16_f32 v9, v16, v17
	v_mfma_f32_16x16x16_f16 v[2:5], v[14:15], v[46:47], v[2:5]
	v_cvt_pk_f32_fp8_e32 v[16:17], v10
	v_cvt_pk_f32_fp8_sdwa v[18:19], v10 src0_sel:WORD_1
	v_pk_mul_f32 v[6:7], v[24:25], s[4:5] op_sel_hi:[1,0]
	v_mfma_f32_16x16x16_f16 v[2:5], v[8:9], v[48:49], v[2:5]
	v_cvt_pk_f32_fp8_e32 v[8:9], v11
	v_cvt_pkrtz_f16_f32 v16, v16, v17
	v_cvt_pkrtz_f16_f32 v17, v18, v19
	v_cvt_pk_f32_fp8_sdwa v[10:11], v11 src0_sel:WORD_1
	v_cvt_pkrtz_f16_f32 v8, v8, v9
	v_cvt_pk_f32_fp8_e32 v[18:19], v12
	v_mfma_f32_16x16x16_f16 v[2:5], v[16:17], v[26:27], v[2:5]
	v_cvt_pkrtz_f16_f32 v9, v10, v11
	v_cvt_pkrtz_f16_f32 v10, v18, v19
	;; [unrolled: 1-line block ×3, first 2 shown]
	v_cvt_pk_f32_fp8_e32 v[16:17], v13
	v_cvt_pk_f32_fp8_sdwa v[12:13], v13 src0_sel:WORD_1
	v_mfma_f32_16x16x16_f16 v[2:5], v[8:9], v[28:29], v[2:5]
	v_pk_mul_f32 v[14:15], v[22:23], s[4:5] op_sel_hi:[1,0]
	v_cvt_pkrtz_f16_f32 v8, v16, v17
	v_cvt_pkrtz_f16_f32 v9, v12, v13
	v_mfma_f32_16x16x16_f16 v[2:5], v[10:11], v[50:51], v[2:5]
	v_cvt_f16_f32_e32 v14, v14
	v_cvt_f16_f32_e32 v10, v15
	;; [unrolled: 1-line block ×3, first 2 shown]
	v_mfma_f32_16x16x16_f16 v[2:5], v[8:9], v[52:53], v[2:5]
	v_cvt_f16_f32_e32 v7, v7
	s_nop 5
	v_pk_mul_f32 v[4:5], v[4:5], s[4:5] op_sel_hi:[1,0]
	v_pk_mul_f32 v[2:3], v[2:3], s[4:5] op_sel_hi:[1,0]
	v_cvt_f16_f32_e32 v11, v4
	v_cvt_f16_f32_e32 v8, v2
	;; [unrolled: 1-line block ×4, first 2 shown]
	v_pack_b32_f16 v2, v14, v10
	v_pack_b32_f16 v3, v6, v7
	;; [unrolled: 1-line block ×4, first 2 shown]
	ds_write2st64_b64 v55, v[2:3], v[4:5] offset1:1
	s_waitcnt lgkmcnt(0)
	s_barrier
	s_and_saveexec_b64 s[4:5], vcc
	s_cbranch_execz .LBB1057_20
; %bb.18:
	s_load_dwordx2 s[4:5], s[0:1], 0x68
	s_lshl_b32 s0, s7, 7
	s_mul_i32 s1, s8, s2
	v_lshlrev_b32_e32 v3, 6, v56
	s_mul_hi_u32 s9, s1, s0
	s_mul_i32 s8, s1, s0
	v_lshl_or_b32 v0, v0, 10, v3
	s_lshl_b64 s[8:9], s[8:9], 1
	v_lshlrev_b32_e32 v2, 5, v62
	v_and_b32_e32 v1, 16, v1
	v_and_b32_e32 v0, 0x1a00, v0
	s_waitcnt lgkmcnt(0)
	s_add_u32 s1, s4, s8
	v_or3_b32 v2, v0, v2, v1
	s_addc_u32 s4, s5, s9
	s_lshl_b32 s2, s6, 7
	s_lshl_b64 s[2:3], s[2:3], 1
	ds_read_b128 v[4:7], v2 offset:128
	ds_read_b128 v[8:11], v2
	s_add_u32 s2, s1, s2
	s_addc_u32 s3, s4, s3
	v_mov_b32_e32 v55, 0
	v_add_u32_e32 v14, s48, v62
	v_lshl_add_u64 v[0:1], s[2:3], 0, v[54:55]
	v_mad_u64_u32 v[12:13], s[2:3], v14, s0, 0
	v_lshl_add_u64 v[12:13], v[12:13], 1, v[0:1]
	s_waitcnt lgkmcnt(0)
	global_store_dwordx4 v[12:13], v[8:11], off
	v_or_b32_e32 v3, 8, v62
	v_cmp_gt_u32_e32 vcc, 10, v3
	v_add_u32_e32 v8, 4, v14
	v_mad_u64_u32 v[8:9], s[2:3], v8, s0, 0
	v_lshl_add_u64 v[8:9], v[8:9], 1, v[0:1]
	global_store_dwordx4 v[8:9], v[4:7], off
	s_and_b64 exec, exec, vcc
	s_cbranch_execz .LBB1057_20
; %bb.19:
	ds_read_b128 v[4:7], v2 offset:256
	v_add_u32_e32 v2, s48, v3
	v_mad_u64_u32 v[2:3], s[0:1], v2, s0, 0
	v_lshl_add_u64 v[0:1], v[2:3], 1, v[0:1]
	s_waitcnt lgkmcnt(0)
	global_store_dwordx4 v[0:1], v[4:7], off
.LBB1057_20:
	s_endpgm
	.section	.rodata,"a",@progbits
	.p2align	6, 0x0
	.amdhsa_kernel _Z39paged_attention_ll4mi_QKV_mfma16_kernelIDF16_hLN4vllm18Fp8KVCacheDataTypeE1EDF16_Li32ELi128ELi256ELb1ELi10EEvPKT_PKT0_S7_ifPKiS9_S9_iPKfiiiPfSC_PS2_PT2_iSB_SB_
		.amdhsa_group_segment_fixed_size 8192
		.amdhsa_private_segment_fixed_size 0
		.amdhsa_kernarg_size 400
		.amdhsa_user_sgpr_count 2
		.amdhsa_user_sgpr_dispatch_ptr 0
		.amdhsa_user_sgpr_queue_ptr 0
		.amdhsa_user_sgpr_kernarg_segment_ptr 1
		.amdhsa_user_sgpr_dispatch_id 0
		.amdhsa_user_sgpr_kernarg_preload_length 0
		.amdhsa_user_sgpr_kernarg_preload_offset 0
		.amdhsa_user_sgpr_private_segment_size 0
		.amdhsa_uses_dynamic_stack 0
		.amdhsa_enable_private_segment 0
		.amdhsa_system_sgpr_workgroup_id_x 1
		.amdhsa_system_sgpr_workgroup_id_y 1
		.amdhsa_system_sgpr_workgroup_id_z 1
		.amdhsa_system_sgpr_workgroup_info 0
		.amdhsa_system_vgpr_workitem_id 0
		.amdhsa_next_free_vgpr 78
		.amdhsa_next_free_sgpr 50
		.amdhsa_accum_offset 80
		.amdhsa_reserve_vcc 1
		.amdhsa_float_round_mode_32 0
		.amdhsa_float_round_mode_16_64 0
		.amdhsa_float_denorm_mode_32 3
		.amdhsa_float_denorm_mode_16_64 3
		.amdhsa_dx10_clamp 1
		.amdhsa_ieee_mode 1
		.amdhsa_fp16_overflow 0
		.amdhsa_tg_split 0
		.amdhsa_exception_fp_ieee_invalid_op 0
		.amdhsa_exception_fp_denorm_src 0
		.amdhsa_exception_fp_ieee_div_zero 0
		.amdhsa_exception_fp_ieee_overflow 0
		.amdhsa_exception_fp_ieee_underflow 0
		.amdhsa_exception_fp_ieee_inexact 0
		.amdhsa_exception_int_div_zero 0
	.end_amdhsa_kernel
	.section	.text._Z39paged_attention_ll4mi_QKV_mfma16_kernelIDF16_hLN4vllm18Fp8KVCacheDataTypeE1EDF16_Li32ELi128ELi256ELb1ELi10EEvPKT_PKT0_S7_ifPKiS9_S9_iPKfiiiPfSC_PS2_PT2_iSB_SB_,"axG",@progbits,_Z39paged_attention_ll4mi_QKV_mfma16_kernelIDF16_hLN4vllm18Fp8KVCacheDataTypeE1EDF16_Li32ELi128ELi256ELb1ELi10EEvPKT_PKT0_S7_ifPKiS9_S9_iPKfiiiPfSC_PS2_PT2_iSB_SB_,comdat
.Lfunc_end1057:
	.size	_Z39paged_attention_ll4mi_QKV_mfma16_kernelIDF16_hLN4vllm18Fp8KVCacheDataTypeE1EDF16_Li32ELi128ELi256ELb1ELi10EEvPKT_PKT0_S7_ifPKiS9_S9_iPKfiiiPfSC_PS2_PT2_iSB_SB_, .Lfunc_end1057-_Z39paged_attention_ll4mi_QKV_mfma16_kernelIDF16_hLN4vllm18Fp8KVCacheDataTypeE1EDF16_Li32ELi128ELi256ELb1ELi10EEvPKT_PKT0_S7_ifPKiS9_S9_iPKfiiiPfSC_PS2_PT2_iSB_SB_
                                        ; -- End function
	.section	.AMDGPU.csdata,"",@progbits
; Kernel info:
; codeLenInByte = 6376
; NumSgprs: 56
; NumVgprs: 78
; NumAgprs: 0
; TotalNumVgprs: 78
; ScratchSize: 0
; MemoryBound: 0
; FloatMode: 240
; IeeeMode: 1
; LDSByteSize: 8192 bytes/workgroup (compile time only)
; SGPRBlocks: 6
; VGPRBlocks: 9
; NumSGPRsForWavesPerEU: 56
; NumVGPRsForWavesPerEU: 78
; AccumOffset: 80
; Occupancy: 6
; WaveLimiterHint : 1
; COMPUTE_PGM_RSRC2:SCRATCH_EN: 0
; COMPUTE_PGM_RSRC2:USER_SGPR: 2
; COMPUTE_PGM_RSRC2:TRAP_HANDLER: 0
; COMPUTE_PGM_RSRC2:TGID_X_EN: 1
; COMPUTE_PGM_RSRC2:TGID_Y_EN: 1
; COMPUTE_PGM_RSRC2:TGID_Z_EN: 1
; COMPUTE_PGM_RSRC2:TIDIG_COMP_CNT: 0
; COMPUTE_PGM_RSRC3_GFX90A:ACCUM_OFFSET: 19
; COMPUTE_PGM_RSRC3_GFX90A:TG_SPLIT: 0
	.section	.text._Z39paged_attention_ll4mi_QKV_mfma16_kernelIDF16_hLN4vllm18Fp8KVCacheDataTypeE1EDF16_Li32ELi128ELi256ELb1ELi11EEvPKT_PKT0_S7_ifPKiS9_S9_iPKfiiiPfSC_PS2_PT2_iSB_SB_,"axG",@progbits,_Z39paged_attention_ll4mi_QKV_mfma16_kernelIDF16_hLN4vllm18Fp8KVCacheDataTypeE1EDF16_Li32ELi128ELi256ELb1ELi11EEvPKT_PKT0_S7_ifPKiS9_S9_iPKfiiiPfSC_PS2_PT2_iSB_SB_,comdat
	.protected	_Z39paged_attention_ll4mi_QKV_mfma16_kernelIDF16_hLN4vllm18Fp8KVCacheDataTypeE1EDF16_Li32ELi128ELi256ELb1ELi11EEvPKT_PKT0_S7_ifPKiS9_S9_iPKfiiiPfSC_PS2_PT2_iSB_SB_ ; -- Begin function _Z39paged_attention_ll4mi_QKV_mfma16_kernelIDF16_hLN4vllm18Fp8KVCacheDataTypeE1EDF16_Li32ELi128ELi256ELb1ELi11EEvPKT_PKT0_S7_ifPKiS9_S9_iPKfiiiPfSC_PS2_PT2_iSB_SB_
	.globl	_Z39paged_attention_ll4mi_QKV_mfma16_kernelIDF16_hLN4vllm18Fp8KVCacheDataTypeE1EDF16_Li32ELi128ELi256ELb1ELi11EEvPKT_PKT0_S7_ifPKiS9_S9_iPKfiiiPfSC_PS2_PT2_iSB_SB_
	.p2align	8
	.type	_Z39paged_attention_ll4mi_QKV_mfma16_kernelIDF16_hLN4vllm18Fp8KVCacheDataTypeE1EDF16_Li32ELi128ELi256ELb1ELi11EEvPKT_PKT0_S7_ifPKiS9_S9_iPKfiiiPfSC_PS2_PT2_iSB_SB_,@function
_Z39paged_attention_ll4mi_QKV_mfma16_kernelIDF16_hLN4vllm18Fp8KVCacheDataTypeE1EDF16_Li32ELi128ELi256ELb1ELi11EEvPKT_PKT0_S7_ifPKiS9_S9_iPKfiiiPfSC_PS2_PT2_iSB_SB_: ; @_Z39paged_attention_ll4mi_QKV_mfma16_kernelIDF16_hLN4vllm18Fp8KVCacheDataTypeE1EDF16_Li32ELi128ELi256ELb1ELi11EEvPKT_PKT0_S7_ifPKiS9_S9_iPKfiiiPfSC_PS2_PT2_iSB_SB_
; %bb.0:
	s_load_dwordx2 s[10:11], s[0:1], 0x30
	s_mov_b32 s6, s3
	s_mov_b64 s[8:9], 0
	s_waitcnt lgkmcnt(0)
	s_cmp_lg_u64 s[10:11], 0
	s_cselect_b64 s[12:13], -1, 0
	s_and_b64 vcc, exec, s[12:13]
	s_cbranch_vccz .LBB1058_7
; %bb.1:
	s_add_i32 s14, s2, 1
	s_mov_b32 s15, 0
	s_lshl_b64 s[16:17], s[14:15], 2
	s_add_u32 s16, s10, s16
	s_mov_b32 s3, s15
	s_addc_u32 s17, s11, s17
	s_lshl_b64 s[14:15], s[2:3], 2
	s_add_u32 s14, s10, s14
	s_addc_u32 s15, s11, s15
	s_load_dword s5, s[16:17], 0x0
	s_load_dword s7, s[14:15], 0x0
	s_waitcnt lgkmcnt(0)
	s_sub_i32 s5, s5, s7
	s_cmp_eq_u32 s5, 1
	s_cselect_b64 s[14:15], -1, 0
	s_andn2_b64 vcc, exec, s[8:9]
	s_cbranch_vccnz .LBB1058_3
.LBB1058_2:
	s_mov_b32 s3, 0
	s_mov_b64 s[14:15], -1
.LBB1058_3:
	s_andn2_b64 vcc, exec, s[14:15]
	s_cbranch_vccnz .LBB1058_20
; %bb.4:
	s_load_dwordx2 s[8:9], s[0:1], 0x28
	s_lshl_b64 s[14:15], s[2:3], 2
	s_waitcnt lgkmcnt(0)
	s_add_u32 s8, s8, s14
	s_addc_u32 s9, s9, s15
	s_load_dword s7, s[8:9], 0x0
	s_lshl_b32 s18, s6, 8
	s_waitcnt lgkmcnt(0)
	s_cmp_ge_i32 s18, s7
	s_cbranch_scc1 .LBB1058_20
; %bb.5:
	s_load_dwordx2 s[8:9], s[0:1], 0x20
	s_load_dword s5, s[0:1], 0x38
	s_add_i32 s16, s7, 31
	s_ashr_i32 s17, s16, 31
	v_and_b32_e32 v1, 0xcf, v0
	s_lshr_b32 s17, s17, 27
	v_add_u32_e32 v1, s18, v1
	s_add_i32 s16, s16, s17
	v_ashrrev_i32_e32 v2, 31, v1
	s_ashr_i32 s19, s16, 5
	v_lshrrev_b32_e32 v4, 27, v2
	s_add_i32 s19, s19, -1
	s_waitcnt lgkmcnt(0)
	s_mul_i32 s16, s2, s5
	s_mov_b32 s17, 0
	v_add_u32_e32 v2, v1, v4
	s_lshl_b64 s[16:17], s[16:17], 2
	v_ashrrev_i32_e32 v2, 5, v2
	v_mov_b32_e32 v5, s19
	v_cmp_gt_i32_e32 vcc, s7, v1
	s_add_u32 s8, s8, s16
	s_addc_u32 s9, s9, s17
	v_cndmask_b32_e32 v2, v5, v2, vcc
	v_ashrrev_i32_e32 v3, 31, v2
	v_lshl_add_u64 v[6:7], v[2:3], 2, s[8:9]
	v_or_b32_e32 v2, 16, v1
	v_add_u32_e32 v3, v2, v4
	v_ashrrev_i32_e32 v3, 5, v3
	v_cmp_gt_i32_e32 vcc, s7, v2
	s_load_dwordx2 s[16:17], s[0:1], 0x8
	s_nop 0
	v_cndmask_b32_e32 v2, v5, v3, vcc
	v_ashrrev_i32_e32 v3, 31, v2
	v_lshl_add_u64 v[8:9], v[2:3], 2, s[8:9]
	v_or_b32_e32 v2, 32, v1
	v_add_u32_e32 v3, v2, v4
	v_ashrrev_i32_e32 v3, 5, v3
	v_cmp_gt_i32_e32 vcc, s7, v2
	v_or_b32_e32 v1, 48, v1
	s_nop 0
	v_cndmask_b32_e32 v2, v5, v3, vcc
	v_ashrrev_i32_e32 v3, 31, v2
	v_lshl_add_u64 v[12:13], v[2:3], 2, s[8:9]
	v_add_u32_e32 v2, v1, v4
	v_ashrrev_i32_e32 v2, 5, v2
	v_cmp_gt_i32_e32 vcc, s7, v1
	s_nop 1
	v_cndmask_b32_e32 v2, v5, v2, vcc
	v_ashrrev_i32_e32 v3, 31, v2
	v_lshl_add_u64 v[14:15], v[2:3], 2, s[8:9]
	global_load_dword v4, v[6:7], off
	global_load_dword v3, v[8:9], off
	;; [unrolled: 1-line block ×4, first 2 shown]
	s_andn2_b64 vcc, exec, s[12:13]
	s_cbranch_vccnz .LBB1058_8
; %bb.6:
	s_add_u32 s10, s10, s14
	s_addc_u32 s11, s11, s15
	s_load_dword s5, s[10:11], 0x0
	s_branch .LBB1058_9
.LBB1058_7:
	s_mov_b64 s[14:15], 0
	s_branch .LBB1058_2
.LBB1058_8:
	s_mov_b32 s5, s2
.LBB1058_9:
	s_load_dwordx2 s[10:11], s[0:1], 0x10
	s_load_dwordx4 s[44:47], s[0:1], 0x48
	v_lshrrev_b32_e32 v57, 6, v0
	v_bfe_u32 v62, v0, 4, 2
	v_and_b32_e32 v56, 15, v0
	v_lshl_or_b32 v5, v57, 2, v62
	v_lshlrev_b32_e32 v1, 3, v56
	s_mul_i32 s48, s4, 11
	v_cmp_gt_u32_e32 vcc, 11, v5
	v_lshlrev_b32_e32 v54, 1, v1
	v_lshlrev_b32_e32 v1, 4, v0
	s_and_saveexec_b64 s[12:13], vcc
	s_cbranch_execz .LBB1058_11
; %bb.10:
	s_load_dwordx2 s[14:15], s[0:1], 0x0
	s_waitcnt lgkmcnt(0)
	s_ashr_i32 s20, s44, 31
	s_mul_hi_u32 s21, s5, s44
	s_mul_i32 s20, s5, s20
	s_add_i32 s21, s21, s20
	s_mul_i32 s20, s5, s44
	s_lshl_b64 s[20:21], s[20:21], 1
	s_add_u32 s14, s14, s20
	v_add_lshl_u32 v6, v5, s48, 7
	s_addc_u32 s15, s15, s21
	v_ashrrev_i32_e32 v7, 31, v6
	v_lshl_add_u64 v[6:7], v[6:7], 1, s[14:15]
	v_mov_b32_e32 v55, 0
	v_lshl_add_u64 v[6:7], v[6:7], 0, v[54:55]
	global_load_dwordx4 v[6:9], v[6:7], off
	v_lshlrev_b32_e32 v12, 8, v0
	v_lshlrev_b32_e32 v11, 8, v56
	v_and_b32_e32 v12, 0x600, v12
	s_movk_i32 s5, 0x800
	v_and_or_b32 v11, v11, s5, v12
	v_lshlrev_b32_e32 v5, 5, v5
	v_and_b32_e32 v12, 16, v1
	v_or3_b32 v5, v11, v5, v12
	s_waitcnt vmcnt(0)
	ds_write_b128 v5, v[6:9]
.LBB1058_11:
	s_or_b64 exec, exec, s[12:13]
	s_waitcnt lgkmcnt(0)
	s_mul_i32 s12, s4, s46
	s_add_u32 s4, s16, s12
	s_addc_u32 s5, s17, 0
	v_mov_b32_e32 v59, 0
	v_mov_b64_e32 v[12:13], s[4:5]
	v_and_b32_e32 v34, 48, v0
	s_waitcnt vmcnt(3)
	v_mad_i64_i32 v[4:5], s[4:5], v4, s45, v[12:13]
	v_lshlrev_b32_e32 v14, 4, v56
	v_mov_b32_e32 v15, v59
	v_lshlrev_b32_e32 v58, 5, v34
	v_lshl_add_u64 v[4:5], v[4:5], 0, v[14:15]
	v_lshl_add_u64 v[4:5], v[4:5], 0, v[58:59]
	s_barrier
	global_load_dwordx4 v[50:53], v[4:5], off
	global_load_dwordx4 v[46:49], v[4:5], off offset:2048
	s_waitcnt vmcnt(4)
	v_mad_i64_i32 v[4:5], s[4:5], v3, s45, v[12:13]
	v_or_b32_e32 v16, 0x100, v14
	v_mov_b32_e32 v17, v59
	s_waitcnt vmcnt(3)
	v_mad_i64_i32 v[2:3], s[4:5], v2, s45, v[12:13]
	v_lshl_add_u64 v[4:5], v[4:5], 0, v[16:17]
	v_lshl_add_u64 v[2:3], v[2:3], 0, v[14:15]
	s_waitcnt vmcnt(2)
	v_mad_i64_i32 v[10:11], s[4:5], v10, s45, v[12:13]
	v_lshl_add_u64 v[4:5], v[4:5], 0, v[58:59]
	v_lshl_add_u64 v[14:15], v[2:3], 0, v[58:59]
	;; [unrolled: 1-line block ×3, first 2 shown]
	global_load_dwordx4 v[36:39], v[4:5], off
	global_load_dwordx4 v[6:9], v[4:5], off offset:2048
	s_nop 0
	global_load_dwordx4 v[2:5], v[14:15], off
	global_load_dwordx4 v[42:45], v[14:15], off offset:2048
	v_lshl_add_u64 v[14:15], v[10:11], 0, v[58:59]
	global_load_dwordx4 v[26:29], v[14:15], off
	global_load_dwordx4 v[10:13], v[14:15], off offset:2048
	v_add_u32_e32 v14, -11, v56
	v_cmp_gt_u32_e32 vcc, 11, v56
	v_and_b32_e32 v55, 63, v0
	v_mov_b32_e32 v63, 0
	v_cndmask_b32_e32 v14, v14, v56, vcc
	v_lshlrev_b32_e32 v14, 5, v14
	v_lshl_add_u32 v14, v62, 9, v14
	ds_read_b128 v[30:33], v14
	ds_read_b128 v[22:25], v14 offset:16
	ds_read_b128 v[18:21], v14 offset:2048
	;; [unrolled: 1-line block ×3, first 2 shown]
	s_and_saveexec_b64 s[4:5], vcc
	s_cbranch_execz .LBB1058_13
; %bb.12:
	s_load_dwordx2 s[14:15], s[0:1], 0x40
	v_add_u32_e32 v40, s48, v56
	v_ashrrev_i32_e32 v41, 31, v40
	s_waitcnt lgkmcnt(0)
	v_lshl_add_u64 v[40:41], v[40:41], 2, s[14:15]
	global_load_dword v63, v[40:41], off
.LBB1058_13:
	s_or_b64 exec, exec, s[4:5]
	s_ashr_i32 s4, s18, 31
	v_or_b32_e32 v58, s18, v34
	s_lshr_b32 s4, s4, 27
	v_add_u32_e32 v34, s4, v58
	v_cmp_gt_i32_e32 vcc, s7, v58
	v_or_b32_e32 v40, 64, v58
	v_or_b32_e32 v60, 0x80, v58
	;; [unrolled: 1-line block ×3, first 2 shown]
	v_add_u32_e32 v64, s4, v58
	v_ashrrev_i32_e32 v69, 5, v64
	s_waitcnt vmcnt(7)
	v_cvt_pk_f32_fp8_e32 v[64:65], v50
	v_cvt_pk_f32_fp8_sdwa v[66:67], v50 src0_sel:WORD_1
	v_cvt_pk_f32_fp8_e32 v[70:71], v51
	v_cvt_pk_f32_fp8_sdwa v[50:51], v51 src0_sel:WORD_1
	v_cvt_pkrtz_f16_f32 v64, v64, v65
	v_cvt_pkrtz_f16_f32 v65, v66, v67
	;; [unrolled: 1-line block ×3, first 2 shown]
	v_cvt_pk_f32_fp8_e32 v[72:73], v52
	v_cvt_pk_f32_fp8_sdwa v[74:75], v52 src0_sel:WORD_1
	v_cvt_pkrtz_f16_f32 v71, v50, v51
	s_waitcnt lgkmcnt(3)
	v_mfma_f32_16x16x16_f16 v[64:67], v[64:65], v[30:31], 0
	v_cvt_pkrtz_f16_f32 v72, v72, v73
	v_cvt_pkrtz_f16_f32 v73, v74, v75
	v_cvt_pk_f32_fp8_e32 v[74:75], v53
	v_cvt_pk_f32_fp8_sdwa v[76:77], v53 src0_sel:WORD_1
	v_mfma_f32_16x16x16_f16 v[50:53], v[70:71], v[32:33], v[64:67]
	v_ashrrev_i32_e32 v34, 5, v34
	v_mov_b32_e32 v68, s19
	v_add_u32_e32 v41, s4, v40
	v_cndmask_b32_e32 v34, v68, v34, vcc
	v_ashrrev_i32_e32 v41, 5, v41
	v_cmp_gt_i32_e32 vcc, s7, v40
	v_add_u32_e32 v61, s4, v60
	v_cvt_pkrtz_f16_f32 v64, v74, v75
	v_cvt_pkrtz_f16_f32 v65, v76, v77
	v_cndmask_b32_e32 v40, v68, v41, vcc
	v_ashrrev_i32_e32 v61, 5, v61
	v_cmp_gt_i32_e32 vcc, s7, v60
	s_waitcnt lgkmcnt(2)
	v_mfma_f32_16x16x16_f16 v[50:53], v[72:73], v[22:23], v[50:53]
	s_waitcnt vmcnt(6)
	v_cvt_pk_f32_fp8_e32 v[66:67], v46
	v_cndmask_b32_e32 v60, v68, v61, vcc
	v_cmp_gt_i32_e32 vcc, s7, v58
	v_ashrrev_i32_e32 v35, 31, v34
	v_lshl_add_u64 v[34:35], v[34:35], 2, s[8:9]
	v_cndmask_b32_e32 v68, v68, v69, vcc
	v_ashrrev_i32_e32 v41, 31, v40
	v_ashrrev_i32_e32 v61, 31, v60
	;; [unrolled: 1-line block ×3, first 2 shown]
	v_lshl_add_u64 v[40:41], v[40:41], 2, s[8:9]
	v_lshl_add_u64 v[60:61], v[60:61], 2, s[8:9]
	;; [unrolled: 1-line block ×3, first 2 shown]
	v_mfma_f32_16x16x16_f16 v[50:53], v[64:65], v[24:25], v[50:53]
	v_cvt_pkrtz_f16_f32 v74, v66, v67
	global_load_dword v68, v[34:35], off
	global_load_dword v66, v[40:41], off
	;; [unrolled: 1-line block ×4, first 2 shown]
	v_cvt_pk_f32_fp8_sdwa v[70:71], v46 src0_sel:WORD_1
	v_cvt_pk_f32_fp8_e32 v[40:41], v48
	s_waitcnt vmcnt(9)
	v_cvt_pk_f32_fp8_e32 v[60:61], v36
	s_add_u32 s4, s10, s12
	v_cvt_pkrtz_f16_f32 v75, v70, v71
	v_cvt_pk_f32_fp8_e32 v[70:71], v47
	v_cvt_pk_f32_fp8_sdwa v[46:47], v47 src0_sel:WORD_1
	s_waitcnt lgkmcnt(1)
	v_mfma_f32_16x16x16_f16 v[50:53], v[74:75], v[18:19], v[50:53]
	v_cvt_pkrtz_f16_f32 v34, v70, v71
	v_cvt_pkrtz_f16_f32 v35, v46, v47
	v_cvt_pk_f32_fp8_sdwa v[46:47], v48 src0_sel:WORD_1
	v_cvt_pkrtz_f16_f32 v40, v40, v41
	v_mfma_f32_16x16x16_f16 v[50:53], v[34:35], v[20:21], v[50:53]
	v_cvt_pkrtz_f16_f32 v41, v46, v47
	v_cvt_pk_f32_fp8_e32 v[34:35], v49
	v_cvt_pk_f32_fp8_sdwa v[46:47], v49 src0_sel:WORD_1
	v_cvt_pk_f32_fp8_sdwa v[70:71], v36 src0_sel:WORD_1
	s_addc_u32 s5, s11, 0
	v_cvt_pkrtz_f16_f32 v34, v34, v35
	v_cvt_pkrtz_f16_f32 v35, v46, v47
	s_waitcnt lgkmcnt(0)
	v_mfma_f32_16x16x16_f16 v[46:49], v[40:41], v[14:15], v[50:53]
	v_cvt_pkrtz_f16_f32 v40, v60, v61
	v_cvt_pkrtz_f16_f32 v41, v70, v71
	s_waitcnt vmcnt(8)
	v_cvt_pk_f32_fp8_sdwa v[60:61], v6 src0_sel:WORD_1
	v_cvt_pk_f32_fp8_e32 v[50:51], v37
	v_cvt_pk_f32_fp8_sdwa v[52:53], v37 src0_sel:WORD_1
	v_mfma_f32_16x16x16_f16 v[34:37], v[34:35], v[16:17], v[46:49]
	v_and_b32_e32 v58, 16, v0
	v_cvt_pkrtz_f16_f32 v50, v50, v51
	v_cvt_pkrtz_f16_f32 v51, v52, v53
	v_mfma_f32_16x16x16_f16 v[46:49], v[40:41], v[30:31], 0
	v_cvt_pk_f32_fp8_e32 v[40:41], v38
	v_cvt_pk_f32_fp8_sdwa v[52:53], v38 src0_sel:WORD_1
	v_lshl_or_b32 v64, v57, 4, v56
	v_mfma_f32_16x16x16_f16 v[46:49], v[50:51], v[32:33], v[46:49]
	v_cvt_pk_f32_fp8_e32 v[50:51], v39
	v_cvt_pkrtz_f16_f32 v40, v40, v41
	v_cvt_pkrtz_f16_f32 v41, v52, v53
	v_cvt_pk_f32_fp8_sdwa v[38:39], v39 src0_sel:WORD_1
	v_cvt_pkrtz_f16_f32 v50, v50, v51
	v_cvt_pk_f32_fp8_e32 v[52:53], v6
	s_waitcnt vmcnt(6)
	v_cvt_pk_f32_fp8_e32 v[74:75], v43
	v_cvt_pkrtz_f16_f32 v51, v38, v39
	v_mfma_f32_16x16x16_f16 v[38:41], v[40:41], v[22:23], v[46:49]
	s_nop 2
	v_cvt_pkrtz_f16_f32 v48, v52, v53
	v_cvt_pkrtz_f16_f32 v49, v60, v61
	v_cvt_pk_f32_fp8_e32 v[52:53], v7
	v_cvt_pk_f32_fp8_sdwa v[6:7], v7 src0_sel:WORD_1
	v_mfma_f32_16x16x16_f16 v[38:41], v[50:51], v[24:25], v[38:41]
	v_lshl_add_u64 v[46:47], s[4:5], 0, v[58:59]
	v_cvt_pkrtz_f16_f32 v50, v52, v53
	v_cvt_pkrtz_f16_f32 v51, v6, v7
	v_mfma_f32_16x16x16_f16 v[38:41], v[48:49], v[18:19], v[38:41]
	v_cvt_pk_f32_fp8_e32 v[6:7], v8
	v_cvt_pk_f32_fp8_sdwa v[48:49], v8 src0_sel:WORD_1
	v_cvt_pk_f32_fp8_sdwa v[52:53], v2 src0_sel:WORD_1
	v_mfma_f32_16x16x16_f16 v[38:41], v[50:51], v[20:21], v[38:41]
	v_cvt_pk_f32_fp8_e32 v[50:51], v9
	v_cvt_pkrtz_f16_f32 v6, v6, v7
	v_cvt_pkrtz_f16_f32 v7, v48, v49
	v_cvt_pk_f32_fp8_sdwa v[8:9], v9 src0_sel:WORD_1
	v_cvt_pkrtz_f16_f32 v48, v50, v51
	v_cvt_pk_f32_fp8_e32 v[50:51], v2
	v_lshlrev_b32_e32 v58, 5, v64
	v_cvt_pkrtz_f16_f32 v49, v8, v9
	v_mfma_f32_16x16x16_f16 v[6:9], v[6:7], v[14:15], v[38:41]
	v_cvt_pkrtz_f16_f32 v50, v50, v51
	v_cvt_pkrtz_f16_f32 v51, v52, v53
	v_cvt_pk_f32_fp8_e32 v[52:53], v3
	v_cvt_pk_f32_fp8_sdwa v[2:3], v3 src0_sel:WORD_1
	v_mfma_f32_16x16x16_f16 v[38:41], v[48:49], v[16:17], v[6:9]
	v_lshl_add_u64 v[48:49], v[46:47], 0, v[58:59]
	v_cvt_pkrtz_f16_f32 v52, v52, v53
	v_cvt_pkrtz_f16_f32 v53, v2, v3
	v_mfma_f32_16x16x16_f16 v[6:9], v[50:51], v[30:31], 0
	v_cvt_pk_f32_fp8_e32 v[2:3], v4
	v_cvt_pk_f32_fp8_sdwa v[50:51], v4 src0_sel:WORD_1
	s_waitcnt vmcnt(3)
	v_mad_i64_i32 v[60:61], s[4:5], v68, s45, v[48:49]
	v_cvt_pkrtz_f16_f32 v2, v2, v3
	v_cvt_pkrtz_f16_f32 v3, v50, v51
	v_mfma_f32_16x16x16_f16 v[6:9], v[52:53], v[32:33], v[6:9]
	v_cvt_pk_f32_fp8_e32 v[50:51], v5
	v_cvt_pk_f32_fp8_sdwa v[4:5], v5 src0_sel:WORD_1
	s_waitcnt vmcnt(2)
	v_mad_i64_i32 v[70:71], s[4:5], v66, s45, v[48:49]
	v_cvt_pkrtz_f16_f32 v50, v50, v51
	v_cvt_pkrtz_f16_f32 v51, v4, v5
	v_mfma_f32_16x16x16_f16 v[2:5], v[2:3], v[22:23], v[6:9]
	v_or_b32_e32 v58, 0x800, v58
	s_nop 1
	v_cvt_pk_f32_fp8_e32 v[6:7], v42
	v_cvt_pk_f32_fp8_sdwa v[8:9], v42 src0_sel:WORD_1
	v_cvt_pk_f32_fp8_sdwa v[42:43], v43 src0_sel:WORD_1
	v_mfma_f32_16x16x16_f16 v[50:53], v[50:51], v[24:25], v[2:5]
	v_cvt_pkrtz_f16_f32 v72, v6, v7
	v_cvt_pkrtz_f16_f32 v73, v8, v9
	global_load_dwordx4 v[6:9], v[60:61], off
	global_load_dwordx4 v[2:5], v[70:71], off
	v_cvt_pkrtz_f16_f32 v60, v74, v75
	v_cvt_pkrtz_f16_f32 v61, v42, v43
	v_mfma_f32_16x16x16_f16 v[70:73], v[72:73], v[18:19], v[50:53]
	v_cvt_pk_f32_fp8_e32 v[42:43], v44
	v_cvt_pkrtz_f16_f32 v42, v42, v43
	s_nop 0
	v_cvt_pk_f32_fp8_sdwa v[52:53], v44 src0_sel:WORD_1
	v_mfma_f32_16x16x16_f16 v[70:73], v[60:61], v[20:21], v[70:73]
	v_cvt_pk_f32_fp8_e32 v[60:61], v45
	s_waitcnt vmcnt(3)
	v_mad_i64_i32 v[50:51], s[4:5], v67, s45, v[48:49]
	s_load_dword s4, s[0:1], 0x1c
	s_load_dwordx4 s[40:43], s[0:1], 0x80
	v_cvt_pkrtz_f16_f32 v43, v52, v53
	v_cvt_pkrtz_f16_f32 v74, v60, v61
	v_cvt_pk_f32_fp8_e32 v[52:53], v26
	v_cvt_pk_f32_fp8_sdwa v[60:61], v26 src0_sel:WORD_1
	s_load_dword s33, s[0:1], 0x98
	s_waitcnt lgkmcnt(0)
	s_load_dword s5, s[40:41], 0x0
	v_cvt_pk_f32_fp8_sdwa v[44:45], v45 src0_sel:WORD_1
	v_cvt_pkrtz_f16_f32 v52, v52, v53
	v_cvt_pkrtz_f16_f32 v53, v60, v61
	v_cvt_pk_f32_fp8_e32 v[60:61], v27
	v_cvt_pk_f32_fp8_sdwa v[26:27], v27 src0_sel:WORD_1
	v_cvt_pkrtz_f16_f32 v75, v44, v45
	v_mfma_f32_16x16x16_f16 v[42:45], v[42:43], v[14:15], v[70:73]
	v_cvt_pkrtz_f16_f32 v60, v60, v61
	v_cvt_pkrtz_f16_f32 v61, v26, v27
	v_mov_b32_e32 v26, s4
	v_mfma_f32_16x16x16_f16 v[70:73], v[52:53], v[30:31], 0
	s_waitcnt lgkmcnt(0)
	v_mul_f32_e32 v52, s5, v26
	v_cvt_pk_f32_fp8_e32 v[26:27], v28
	v_cvt_pk_f32_fp8_sdwa v[30:31], v28 src0_sel:WORD_1
	v_mfma_f32_16x16x16_f16 v[70:73], v[60:61], v[32:33], v[70:73]
	v_cvt_pk_f32_fp8_e32 v[32:33], v29
	v_cvt_pk_f32_fp8_sdwa v[28:29], v29 src0_sel:WORD_1
	v_cvt_pkrtz_f16_f32 v26, v26, v27
	v_cvt_pkrtz_f16_f32 v27, v30, v31
	v_mfma_f32_16x16x16_f16 v[42:45], v[74:75], v[16:17], v[42:45]
	v_cvt_pkrtz_f16_f32 v32, v32, v33
	v_cvt_pkrtz_f16_f32 v33, v28, v29
	v_cvt_pk_f32_fp8_e32 v[60:61], v10
	v_cvt_pk_f32_fp8_sdwa v[74:75], v10 src0_sel:WORD_1
	v_mfma_f32_16x16x16_f16 v[26:29], v[26:27], v[22:23], v[70:73]
	v_pk_mul_f32 v[30:31], v[52:53], v[36:37] op_sel_hi:[0,1]
	v_cvt_pkrtz_f16_f32 v36, v60, v61
	v_cvt_pkrtz_f16_f32 v37, v74, v75
	v_cvt_pk_f32_fp8_e32 v[60:61], v11
	v_cvt_pk_f32_fp8_sdwa v[70:71], v11 src0_sel:WORD_1
	v_mfma_f32_16x16x16_f16 v[22:25], v[32:33], v[24:25], v[26:29]
	v_pk_mul_f32 v[10:11], v[52:53], v[34:35] op_sel_hi:[0,1]
	v_cvt_pkrtz_f16_f32 v60, v60, v61
	v_cvt_pkrtz_f16_f32 v61, v70, v71
	v_mfma_f32_16x16x16_f16 v[32:35], v[36:37], v[18:19], v[22:25]
	v_cvt_pk_f32_fp8_e32 v[18:19], v12
	v_cvt_pk_f32_fp8_sdwa v[36:37], v12 src0_sel:WORD_1
	s_waitcnt vmcnt(2)
	v_mad_i64_i32 v[48:49], s[8:9], v65, s45, v[48:49]
	global_load_dwordx4 v[26:29], v[50:51], off
	global_load_dwordx4 v[22:25], v[48:49], off
	v_cvt_pkrtz_f16_f32 v48, v18, v19
	v_cvt_pkrtz_f16_f32 v49, v36, v37
	v_cvt_pk_f32_fp8_e32 v[36:37], v13
	v_cvt_pk_f32_fp8_sdwa v[12:13], v13 src0_sel:WORD_1
	v_mfma_f32_16x16x16_f16 v[18:21], v[60:61], v[20:21], v[32:35]
	v_pk_mul_f32 v[40:41], v[52:53], v[40:41] op_sel_hi:[0,1]
	v_pk_mul_f32 v[42:43], v[52:53], v[42:43] op_sel_hi:[0,1]
	s_mov_b32 s40, 0xff7fffff
	v_cvt_pkrtz_f16_f32 v32, v36, v37
	v_cvt_pkrtz_f16_f32 v33, v12, v13
	v_mfma_f32_16x16x16_f16 v[12:15], v[48:49], v[14:15], v[18:21]
	v_pk_mul_f32 v[48:49], v[52:53], v[38:39] op_sel_hi:[0,1]
	v_pk_mul_f32 v[38:39], v[52:53], v[44:45] op_sel_hi:[0,1]
	v_mfma_f32_16x16x16_f16 v[12:15], v[32:33], v[16:17], v[12:15]
	s_nop 6
	v_pk_mul_f32 v[36:37], v[52:53], v[12:13] op_sel_hi:[0,1]
	v_and_b32_e32 v12, 0xc0, v0
	v_add_u32_e32 v12, s18, v12
	v_lshl_or_b32 v12, v62, 2, v12
	v_or_b32_e32 v13, 1, v12
	v_pk_mul_f32 v[34:35], v[52:53], v[14:15] op_sel_hi:[0,1]
	v_subrev_u32_e32 v14, s7, v13
	v_add_u32_e32 v16, 1, v14
	v_add_u32_e32 v17, 2, v14
	v_cvt_f32_i32_e32 v15, v14
	v_cvt_f32_i32_e32 v16, v16
	;; [unrolled: 1-line block ×3, first 2 shown]
	v_add_u32_e32 v18, 3, v14
	v_fma_f32 v10, v63, v15, v10
	v_fmac_f32_e32 v11, v63, v16
	v_fma_f32 v51, v63, v17, v30
	v_add_u32_e32 v15, 16, v14
	v_add_u32_e32 v16, 17, v14
	;; [unrolled: 1-line block ×3, first 2 shown]
	v_cvt_f32_i32_e32 v18, v18
	v_cvt_f32_i32_e32 v15, v15
	;; [unrolled: 1-line block ×4, first 2 shown]
	v_fmac_f32_e32 v31, v63, v18
	v_add_u32_e32 v18, 19, v14
	v_fma_f32 v48, v63, v15, v48
	v_fmac_f32_e32 v49, v63, v16
	v_fma_f32 v40, v63, v17, v40
	v_add_u32_e32 v15, 32, v14
	v_add_u32_e32 v16, 33, v14
	;; [unrolled: 1-line block ×3, first 2 shown]
	v_cvt_f32_i32_e32 v18, v18
	v_cvt_f32_i32_e32 v15, v15
	;; [unrolled: 1-line block ×4, first 2 shown]
	v_fmac_f32_e32 v41, v63, v18
	v_add_u32_e32 v18, 35, v14
	v_fma_f32 v42, v63, v15, v42
	v_fmac_f32_e32 v43, v63, v16
	v_fma_f32 v38, v63, v17, v38
	v_add_u32_e32 v15, 48, v14
	v_add_u32_e32 v16, 49, v14
	;; [unrolled: 1-line block ×4, first 2 shown]
	v_cvt_f32_i32_e32 v14, v14
	v_cvt_f32_i32_e32 v15, v15
	;; [unrolled: 1-line block ×3, first 2 shown]
	v_cmp_gt_i32_e64 s[8:9], s7, v12
	v_fmac_f32_e32 v35, v63, v14
	v_mov_b32_e32 v14, 0xff7fffff
	v_cmp_gt_i32_e64 s[10:11], s7, v13
	v_fma_f32 v36, v63, v15, v36
	v_cndmask_b32_e64 v15, v14, v10, s[8:9]
	v_cndmask_b32_e64 v13, v14, v11, s[10:11]
	v_fmac_f32_e32 v37, v63, v16
	v_max3_f32 v13, v15, s40, v13
	v_or_b32_e32 v15, 2, v12
	v_or_b32_e32 v16, 3, v12
	v_cmp_gt_i32_e64 s[12:13], s7, v15
	v_cmp_gt_i32_e64 s[14:15], s7, v16
	v_cvt_f32_i32_e32 v18, v18
	v_cndmask_b32_e64 v15, v14, v51, s[12:13]
	v_cndmask_b32_e64 v16, v14, v31, s[14:15]
	v_max3_f32 v13, v13, v15, v16
	v_or_b32_e32 v15, 16, v12
	v_or_b32_e32 v16, 17, v12
	v_cmp_gt_i32_e64 s[16:17], s7, v15
	v_cmp_gt_i32_e64 s[18:19], s7, v16
	v_fmac_f32_e32 v39, v63, v18
	v_cndmask_b32_e64 v15, v14, v48, s[16:17]
	v_cndmask_b32_e64 v16, v14, v49, s[18:19]
	v_max3_f32 v13, v13, v15, v16
	v_or_b32_e32 v15, 18, v12
	v_or_b32_e32 v16, 19, v12
	v_cmp_gt_i32_e64 s[20:21], s7, v15
	v_cmp_gt_i32_e64 s[22:23], s7, v16
	v_cvt_f32_i32_e32 v17, v17
	v_cndmask_b32_e64 v15, v14, v40, s[20:21]
	v_cndmask_b32_e64 v16, v14, v41, s[22:23]
	v_max3_f32 v13, v13, v15, v16
	v_or_b32_e32 v15, 32, v12
	v_or_b32_e32 v16, 33, v12
	v_cmp_gt_i32_e64 s[24:25], s7, v15
	v_cmp_gt_i32_e64 s[26:27], s7, v16
	v_fma_f32 v34, v63, v17, v34
	v_cndmask_b32_e64 v15, v14, v42, s[24:25]
	v_cndmask_b32_e64 v16, v14, v43, s[26:27]
	v_max3_f32 v13, v13, v15, v16
	v_or_b32_e32 v15, 34, v12
	v_or_b32_e32 v16, 35, v12
	v_cmp_gt_i32_e64 s[28:29], s7, v15
	v_cmp_gt_i32_e64 s[30:31], s7, v16
	s_nop 0
	v_cndmask_b32_e64 v15, v14, v38, s[28:29]
	v_cndmask_b32_e64 v16, v14, v39, s[30:31]
	v_max3_f32 v13, v13, v15, v16
	v_or_b32_e32 v15, 48, v12
	v_or_b32_e32 v16, 49, v12
	v_cmp_gt_i32_e64 s[34:35], s7, v15
	v_cmp_gt_i32_e64 s[36:37], s7, v16
	s_nop 0
	v_cndmask_b32_e64 v15, v14, v36, s[34:35]
	v_cndmask_b32_e64 v16, v14, v37, s[36:37]
	v_max3_f32 v13, v13, v15, v16
	v_or_b32_e32 v15, 50, v12
	v_or_b32_e32 v12, 51, v12
	v_cmp_gt_i32_e32 vcc, s7, v15
	v_cmp_gt_i32_e64 s[4:5], s7, v12
	s_nop 0
	v_cndmask_b32_e32 v15, v14, v34, vcc
	v_cndmask_b32_e64 v12, v14, v35, s[4:5]
	v_max3_f32 v16, v13, v15, v12
	v_mbcnt_lo_u32_b32 v12, -1, 0
	v_mbcnt_hi_u32_b32 v17, -1, v12
	v_and_b32_e32 v12, 64, v17
	v_add_u32_e32 v18, 64, v12
	v_xor_b32_e32 v12, 32, v17
	v_cmp_lt_i32_e64 s[38:39], v12, v18
	s_nop 1
	v_cndmask_b32_e64 v12, v17, v12, s[38:39]
	v_lshlrev_b32_e32 v52, 2, v12
	ds_bpermute_b32 v19, v52, v16
	v_lshl_add_u64 v[12:13], v[46:47], 0, v[58:59]
	v_mad_i64_i32 v[14:15], s[38:39], v68, s45, v[12:13]
	s_waitcnt lgkmcnt(0)
	v_max_f32_e32 v19, v19, v19
	v_max_f32_e32 v19, v16, v19
	v_xor_b32_e32 v16, 16, v17
	v_cmp_lt_i32_e64 s[38:39], v16, v18
	s_nop 1
	v_cndmask_b32_e64 v16, v17, v16, s[38:39]
	v_lshlrev_b32_e32 v53, 2, v16
	ds_bpermute_b32 v18, v53, v19
	v_mad_i64_i32 v[16:17], s[38:39], v66, s45, v[12:13]
	v_mad_i64_i32 v[44:45], s[38:39], v67, s45, v[12:13]
	s_waitcnt lgkmcnt(0)
	v_max_f32_e32 v18, v18, v18
	v_max_f32_e32 v50, v19, v18
	v_sub_f32_e32 v10, v10, v50
	v_mul_f32_e32 v10, 0x3fb8aa3b, v10
	v_exp_f32_e32 v18, v10
	v_sub_f32_e32 v10, v11, v50
	v_mul_f32_e32 v10, 0x3fb8aa3b, v10
	v_exp_f32_e32 v19, v10
	v_mad_i64_i32 v[10:11], s[38:39], v65, s45, v[12:13]
	v_sub_f32_e32 v12, v51, v50
	v_mul_f32_e32 v12, 0x3fb8aa3b, v12
	v_cndmask_b32_e64 v46, 0, v18, s[8:9]
	v_cndmask_b32_e64 v47, 0, v19, s[10:11]
	v_sub_f32_e32 v58, v31, v50
	global_load_dwordx4 v[30:33], v[14:15], off
	global_load_dwordx4 v[18:21], v[16:17], off
	v_exp_f32_e32 v51, v12
	global_load_dwordx4 v[14:17], v[44:45], off
	s_nop 0
	global_load_dwordx4 v[10:13], v[10:11], off
	v_sub_f32_e32 v45, v48, v50
	v_sub_f32_e32 v48, v49, v50
	;; [unrolled: 1-line block ×4, first 2 shown]
	v_mul_f32_e32 v44, 0x3fb8aa3b, v58
	v_mul_f32_e32 v45, 0x3fb8aa3b, v45
	;; [unrolled: 1-line block ×5, first 2 shown]
	v_exp_f32_e32 v44, v44
	v_exp_f32_e32 v45, v45
	;; [unrolled: 1-line block ×3, first 2 shown]
	v_cndmask_b32_e64 v48, 0, v51, s[12:13]
	v_exp_f32_e32 v40, v40
	v_exp_f32_e32 v51, v42
	v_sub_f32_e32 v42, v43, v50
	v_mul_f32_e32 v42, 0x3fb8aa3b, v42
	v_cndmask_b32_e64 v49, 0, v44, s[14:15]
	v_cndmask_b32_e64 v44, 0, v45, s[16:17]
	;; [unrolled: 1-line block ×3, first 2 shown]
	v_sub_f32_e32 v41, v41, v50
	v_exp_f32_e32 v58, v42
	v_cndmask_b32_e64 v42, 0, v40, s[20:21]
	v_cndmask_b32_e64 v40, 0, v51, s[24:25]
	v_add_f32_e32 v51, 0, v46
	v_mul_f32_e32 v41, 0x3fb8aa3b, v41
	v_add_f32_e32 v51, v51, v47
	v_exp_f32_e32 v41, v41
	v_add_f32_e32 v51, v51, v48
	v_sub_f32_e32 v38, v38, v50
	v_add_f32_e32 v51, v51, v49
	v_sub_f32_e32 v39, v39, v50
	v_mul_f32_e32 v38, 0x3fb8aa3b, v38
	v_add_f32_e32 v51, v51, v44
	v_exp_f32_e32 v38, v38
	v_mul_f32_e32 v39, 0x3fb8aa3b, v39
	v_sub_f32_e32 v36, v36, v50
	v_add_f32_e32 v51, v51, v45
	v_cndmask_b32_e64 v43, 0, v41, s[22:23]
	v_exp_f32_e32 v39, v39
	v_mul_f32_e32 v36, 0x3fb8aa3b, v36
	v_sub_f32_e32 v37, v37, v50
	v_add_f32_e32 v51, v51, v42
	v_exp_f32_e32 v36, v36
	v_mul_f32_e32 v37, 0x3fb8aa3b, v37
	v_add_f32_e32 v51, v51, v43
	v_sub_f32_e32 v34, v34, v50
	v_cndmask_b32_e64 v41, 0, v58, s[26:27]
	v_exp_f32_e32 v37, v37
	v_add_f32_e32 v51, v51, v40
	v_mul_f32_e32 v34, 0x3fb8aa3b, v34
	v_sub_f32_e32 v35, v35, v50
	v_cndmask_b32_e64 v38, 0, v38, s[28:29]
	v_add_f32_e32 v51, v51, v41
	v_exp_f32_e32 v34, v34
	v_mul_f32_e32 v35, 0x3fb8aa3b, v35
	v_cndmask_b32_e64 v39, 0, v39, s[30:31]
	v_add_f32_e32 v51, v51, v38
	v_exp_f32_e32 v35, v35
	v_cndmask_b32_e64 v36, 0, v36, s[34:35]
	v_add_f32_e32 v51, v51, v39
	v_cndmask_b32_e64 v37, 0, v37, s[36:37]
	v_add_f32_e32 v51, v51, v36
	v_add_f32_e32 v51, v51, v37
	v_cndmask_b32_e32 v34, 0, v34, vcc
	v_add_f32_e32 v51, v51, v34
	v_cndmask_b32_e64 v35, 0, v35, s[4:5]
	v_add_f32_e32 v51, v51, v35
	ds_bpermute_b32 v52, v52, v51
	v_cmp_gt_u32_e32 vcc, 16, v55
	s_waitcnt lgkmcnt(0)
	s_barrier
	v_add_f32_e32 v51, v51, v52
	ds_bpermute_b32 v52, v53, v51
	s_and_saveexec_b64 s[4:5], vcc
	s_cbranch_execz .LBB1058_15
; %bb.14:
	s_waitcnt lgkmcnt(0)
	v_add_f32_e32 v51, v51, v52
	v_lshlrev_b32_e32 v52, 2, v64
	ds_write2st64_b32 v52, v50, v51 offset1:1
.LBB1058_15:
	s_or_b64 exec, exec, s[4:5]
	v_lshlrev_b32_e32 v51, 2, v56
	s_load_dword s7, s[0:1], 0x94
	s_waitcnt lgkmcnt(0)
	s_barrier
	ds_read2_b32 v[52:53], v51 offset1:16
	ds_read2_b32 v[58:59], v51 offset0:32 offset1:48
	ds_read2_b32 v[60:61], v51 offset0:64 offset1:80
	s_mul_i32 s8, s33, 11
	s_waitcnt lgkmcnt(2)
	v_max3_f32 v50, v52, s40, v53
	s_waitcnt lgkmcnt(1)
	v_max3_f32 v50, v50, v58, v59
	v_sub_f32_e32 v52, v52, v50
	v_mul_f32_e32 v52, 0x3fb8aa3b, v52
	v_exp_f32_e32 v55, v52
	v_sub_f32_e32 v52, v53, v50
	v_mul_f32_e32 v52, 0x3fb8aa3b, v52
	v_exp_f32_e32 v63, v52
	;; [unrolled: 3-line block ×3, first 2 shown]
	ds_read2_b32 v[52:53], v51 offset0:96 offset1:112
	v_sub_f32_e32 v51, v59, v50
	v_mul_f32_e32 v51, 0x3fb8aa3b, v51
	v_exp_f32_e32 v59, v51
	s_waitcnt lgkmcnt(1)
	v_fma_f32 v51, v55, v60, 0
	v_fmac_f32_e32 v51, v63, v61
	s_waitcnt lgkmcnt(0)
	v_fmac_f32_e32 v51, v58, v52
	v_fmac_f32_e32 v51, v59, v53
	v_add_f32_e32 v52, 0x358637bd, v51
	v_div_scale_f32 v53, s[4:5], v52, v52, 1.0
	v_rcp_f32_e32 v60, v53
	s_barrier
	v_fma_f32 v61, -v53, v60, 1.0
	v_fmac_f32_e32 v60, v61, v60
	v_div_scale_f32 v61, vcc, 1.0, v52, 1.0
	v_mul_f32_e32 v64, v61, v60
	v_fma_f32 v65, -v53, v64, v61
	v_fmac_f32_e32 v64, v65, v60
	v_fma_f32 v53, -v53, v64, v61
	v_div_fmas_f32 v53, v53, v60, v64
	v_cmp_eq_u32_e32 vcc, 1, v57
	v_div_fixup_f32 v52, v53, v52, 1.0
	s_nop 0
	v_cndmask_b32_e32 v53, v55, v63, vcc
	v_cmp_eq_u32_e32 vcc, 2, v57
	s_nop 1
	v_cndmask_b32_e32 v53, v53, v58, vcc
	v_cmp_eq_u32_e32 vcc, 3, v57
	s_nop 1
	v_cndmask_b32_e32 v53, v53, v59, vcc
	v_mul_f32_e32 v52, v53, v52
	v_pk_mul_f32 v[48:49], v[52:53], v[48:49] op_sel_hi:[0,1]
	v_pk_mul_f32 v[46:47], v[52:53], v[46:47] op_sel_hi:[0,1]
	v_cvt_f16_f32_e32 v53, v48
	v_cvt_f16_f32_e32 v49, v49
	;; [unrolled: 1-line block ×4, first 2 shown]
	v_pk_mul_f32 v[42:43], v[52:53], v[42:43] op_sel_hi:[0,1]
	v_pk_mul_f32 v[44:45], v[52:53], v[44:45] op_sel_hi:[0,1]
	v_pack_b32_f16 v49, v53, v49
	v_cvt_f16_f32_e32 v44, v44
	v_cvt_f16_f32_e32 v45, v45
	;; [unrolled: 1-line block ×4, first 2 shown]
	v_pack_b32_f16 v48, v46, v47
	v_lshlrev_b32_e32 v47, 3, v62
	v_lshlrev_b32_e32 v46, 5, v56
	;; [unrolled: 1-line block ×3, first 2 shown]
	v_or3_b32 v55, v42, v46, v47
	v_pack_b32_f16 v42, v44, v45
	v_pack_b32_f16 v43, v53, v43
	v_pk_mul_f32 v[38:39], v[52:53], v[38:39] op_sel_hi:[0,1]
	v_pk_mul_f32 v[40:41], v[52:53], v[40:41] op_sel_hi:[0,1]
	;; [unrolled: 1-line block ×4, first 2 shown]
	ds_write2st64_b64 v55, v[48:49], v[42:43] offset1:1
	v_cvt_f16_f32_e32 v40, v40
	v_cvt_f16_f32_e32 v41, v41
	v_cvt_f16_f32_e32 v38, v38
	v_cvt_f16_f32_e32 v39, v39
	v_cvt_f16_f32_e32 v36, v36
	v_cvt_f16_f32_e32 v37, v37
	v_cvt_f16_f32_e32 v42, v34
	v_cvt_f16_f32_e32 v43, v35
	v_pack_b32_f16 v34, v40, v41
	v_pack_b32_f16 v35, v38, v39
	;; [unrolled: 1-line block ×4, first 2 shown]
	v_cmp_gt_u32_e32 vcc, 11, v0
	ds_write2st64_b64 v55, v[34:35], v[36:37] offset0:2 offset1:3
	s_and_saveexec_b64 s[4:5], vcc
	s_cbranch_execz .LBB1058_17
; %bb.16:
	s_mov_b32 s49, 0
	v_mov_b32_e32 v57, 0
	v_lshl_add_u64 v[34:35], s[48:49], 0, v[56:57]
	v_mov_b32_e32 v36, s8
	v_mad_u64_u32 v[34:35], s[10:11], s2, v36, v[34:35]
	s_mul_i32 s3, s3, s8
	v_mov_b32_e32 v36, s6
	v_mov_b32_e32 v37, v57
	s_load_dwordx4 s[12:15], s[0:1], 0x58
	v_add_u32_e32 v38, s3, v35
	v_mad_u64_u32 v[34:35], s[10:11], v34, s7, v[36:37]
	v_mov_b32_e32 v36, v35
	v_mad_u64_u32 v[36:37], s[10:11], v38, s7, v[36:37]
	v_mov_b32_e32 v35, v36
	v_lshlrev_b64 v[34:35], 2, v[34:35]
	s_waitcnt lgkmcnt(0)
	v_lshl_add_u64 v[36:37], s[14:15], 0, v[34:35]
	v_lshl_add_u64 v[34:35], s[12:13], 0, v[34:35]
	global_store_dword v[36:37], v50, off
	global_store_dword v[34:35], v51, off
.LBB1058_17:
	s_or_b64 exec, exec, s[4:5]
	s_waitcnt vmcnt(7)
	v_cvt_pk_f32_fp8_e32 v[34:35], v6
	v_cvt_pk_f32_fp8_sdwa v[36:37], v6 src0_sel:WORD_1
	v_lshl_or_b32 v50, v62, 9, v46
	s_waitcnt lgkmcnt(0)
	s_barrier
	v_cvt_pk_f32_fp8_e32 v[38:39], v7
	v_cvt_pkrtz_f16_f32 v6, v34, v35
	v_cvt_pk_f32_fp8_sdwa v[40:41], v7 src0_sel:WORD_1
	v_cvt_pkrtz_f16_f32 v7, v36, v37
	ds_read_b128 v[34:37], v50
	v_cvt_pkrtz_f16_f32 v46, v38, v39
	v_cvt_pkrtz_f16_f32 v47, v40, v41
	ds_read_b128 v[38:41], v50 offset:16
	v_cvt_pk_f32_fp8_e32 v[48:49], v8
	v_cvt_pk_f32_fp8_sdwa v[52:53], v8 src0_sel:WORD_1
	s_waitcnt lgkmcnt(1)
	v_mfma_f32_16x16x16_f16 v[42:45], v[6:7], v[34:35], 0
	s_waitcnt vmcnt(6)
	v_cvt_pk_f32_fp8_e32 v[58:59], v4
	v_cvt_pkrtz_f16_f32 v6, v48, v49
	v_cvt_pkrtz_f16_f32 v7, v52, v53
	v_cvt_pk_f32_fp8_e32 v[48:49], v9
	v_mfma_f32_16x16x16_f16 v[42:45], v[46:47], v[36:37], v[42:45]
	v_cvt_pk_f32_fp8_sdwa v[46:47], v9 src0_sel:WORD_1
	v_cvt_pk_f32_fp8_sdwa v[60:61], v4 src0_sel:WORD_1
	v_cvt_pkrtz_f16_f32 v48, v48, v49
	s_waitcnt lgkmcnt(0)
	v_mfma_f32_16x16x16_f16 v[6:9], v[6:7], v[38:39], v[42:45]
	v_cvt_pkrtz_f16_f32 v49, v46, v47
	s_waitcnt vmcnt(5)
	v_cvt_pk_f32_fp8_e32 v[64:65], v28
	v_cvt_pk_f32_fp8_sdwa v[66:67], v28 src0_sel:WORD_1
	v_cvt_pk_f32_fp8_e32 v[42:43], v2
	v_mfma_f32_16x16x16_f16 v[46:49], v[48:49], v[40:41], v[6:9]
	s_waitcnt vmcnt(4)
	v_cvt_pk_f32_fp8_sdwa v[68:69], v24 src0_sel:WORD_1
	s_load_dword s4, s[42:43], 0x0
	v_cvt_pk_f32_fp8_sdwa v[6:7], v2 src0_sel:WORD_1
	v_cvt_pk_f32_fp8_e32 v[8:9], v3
	v_cvt_pkrtz_f16_f32 v2, v42, v43
	v_cvt_pk_f32_fp8_sdwa v[42:43], v3 src0_sel:WORD_1
	v_cvt_pkrtz_f16_f32 v3, v6, v7
	v_cvt_pkrtz_f16_f32 v52, v8, v9
	ds_read_b128 v[6:9], v50 offset:2048
	v_cvt_pkrtz_f16_f32 v53, v42, v43
	ds_read_b128 v[42:45], v50 offset:2064
	s_waitcnt lgkmcnt(0)
	v_mfma_f32_16x16x16_f16 v[46:49], v[2:3], v[6:7], v[46:49]
	v_cvt_pkrtz_f16_f32 v2, v58, v59
	v_cvt_pkrtz_f16_f32 v3, v60, v61
	v_cvt_pk_f32_fp8_e32 v[58:59], v5
	v_mfma_f32_16x16x16_f16 v[46:49], v[52:53], v[8:9], v[46:49]
	v_cvt_pk_f32_fp8_sdwa v[52:53], v5 src0_sel:WORD_1
	s_mov_b32 s3, 0
	v_cvt_pkrtz_f16_f32 v58, v58, v59
	v_mfma_f32_16x16x16_f16 v[2:5], v[2:3], v[42:43], v[46:49]
	v_cvt_pkrtz_f16_f32 v59, v52, v53
	v_cmp_gt_u32_e32 vcc, 64, v0
	s_nop 0
	v_cvt_pk_f32_fp8_e32 v[46:47], v26
	v_mfma_f32_16x16x16_f16 v[58:61], v[58:59], v[44:45], v[2:5]
	s_nop 2
	v_cvt_pk_f32_fp8_sdwa v[2:3], v26 src0_sel:WORD_1
	v_cvt_pk_f32_fp8_e32 v[4:5], v27
	v_cvt_pkrtz_f16_f32 v26, v46, v47
	v_cvt_pk_f32_fp8_sdwa v[46:47], v27 src0_sel:WORD_1
	v_cvt_pkrtz_f16_f32 v27, v2, v3
	v_cvt_pkrtz_f16_f32 v52, v4, v5
	ds_read_b128 v[2:5], v50 offset:4096
	v_cvt_pkrtz_f16_f32 v53, v46, v47
	ds_read_b128 v[46:49], v50 offset:4112
	s_waitcnt lgkmcnt(1)
	v_mfma_f32_16x16x16_f16 v[58:61], v[26:27], v[2:3], v[58:61]
	v_cvt_pkrtz_f16_f32 v26, v64, v65
	v_cvt_pkrtz_f16_f32 v27, v66, v67
	v_cvt_pk_f32_fp8_e32 v[64:65], v29
	v_mfma_f32_16x16x16_f16 v[58:61], v[52:53], v[4:5], v[58:61]
	v_cvt_pk_f32_fp8_sdwa v[52:53], v29 src0_sel:WORD_1
	v_cvt_pk_f32_fp8_e32 v[66:67], v24
	v_cvt_pkrtz_f16_f32 v64, v64, v65
	s_waitcnt lgkmcnt(0)
	v_mfma_f32_16x16x16_f16 v[26:29], v[26:27], v[46:47], v[58:61]
	v_cvt_pkrtz_f16_f32 v65, v52, v53
	v_cvt_pk_f32_fp8_e32 v[52:53], v22
	s_nop 0
	v_mfma_f32_16x16x16_f16 v[58:61], v[64:65], v[48:49], v[26:29]
	s_nop 2
	v_cvt_pk_f32_fp8_sdwa v[26:27], v22 src0_sel:WORD_1
	v_cvt_pk_f32_fp8_e32 v[28:29], v23
	v_cvt_pkrtz_f16_f32 v22, v52, v53
	v_cvt_pk_f32_fp8_sdwa v[52:53], v23 src0_sel:WORD_1
	v_cvt_pkrtz_f16_f32 v23, v26, v27
	v_cvt_pkrtz_f16_f32 v64, v28, v29
	ds_read_b128 v[26:29], v50 offset:6144
	v_cvt_pkrtz_f16_f32 v65, v52, v53
	s_waitcnt lgkmcnt(0)
	v_mfma_f32_16x16x16_f16 v[58:61], v[22:23], v[26:27], v[58:61]
	ds_read_b128 v[50:53], v50 offset:6160
	v_cvt_pkrtz_f16_f32 v22, v66, v67
	v_cvt_pkrtz_f16_f32 v23, v68, v69
	v_mfma_f32_16x16x16_f16 v[58:61], v[64:65], v[28:29], v[58:61]
	v_cvt_pk_f32_fp8_e32 v[66:67], v25
	v_cvt_pk_f32_fp8_sdwa v[64:65], v25 src0_sel:WORD_1
	s_waitcnt vmcnt(3)
	v_cvt_pk_f32_fp8_sdwa v[68:69], v32 src0_sel:WORD_1
	s_waitcnt lgkmcnt(0)
	v_mfma_f32_16x16x16_f16 v[22:25], v[22:23], v[50:51], v[58:61]
	v_cvt_pkrtz_f16_f32 v66, v66, v67
	v_cvt_pkrtz_f16_f32 v67, v64, v65
	v_cvt_pk_f32_fp8_e32 v[64:65], v31
	v_cvt_pk_f32_fp8_e32 v[58:59], v30
	v_cvt_pk_f32_fp8_sdwa v[60:61], v30 src0_sel:WORD_1
	v_cvt_pk_f32_fp8_sdwa v[30:31], v31 src0_sel:WORD_1
	v_mfma_f32_16x16x16_f16 v[22:25], v[66:67], v[52:53], v[22:25]
	v_cvt_pkrtz_f16_f32 v58, v58, v59
	v_cvt_pkrtz_f16_f32 v59, v60, v61
	;; [unrolled: 1-line block ×3, first 2 shown]
	v_cvt_pk_f32_fp8_e32 v[66:67], v32
	v_cvt_pkrtz_f16_f32 v65, v30, v31
	v_mfma_f32_16x16x16_f16 v[58:61], v[58:59], v[34:35], 0
	v_cvt_pkrtz_f16_f32 v30, v66, v67
	v_cvt_pkrtz_f16_f32 v31, v68, v69
	v_cvt_pk_f32_fp8_e32 v[66:67], v33
	v_mfma_f32_16x16x16_f16 v[34:37], v[64:65], v[36:37], v[58:61]
	s_barrier
	s_nop 1
	v_cvt_pk_f32_fp8_sdwa v[58:59], v33 src0_sel:WORD_1
	v_cvt_pkrtz_f16_f32 v60, v66, v67
	v_mfma_f32_16x16x16_f16 v[30:33], v[30:31], v[38:39], v[34:37]
	s_waitcnt vmcnt(2)
	v_cvt_pk_f32_fp8_e32 v[38:39], v19
	v_cvt_pkrtz_f16_f32 v61, v58, v59
	v_cvt_pk_f32_fp8_e32 v[34:35], v18
	v_cvt_pk_f32_fp8_sdwa v[36:37], v18 src0_sel:WORD_1
	v_cvt_pk_f32_fp8_sdwa v[18:19], v19 src0_sel:WORD_1
	v_mfma_f32_16x16x16_f16 v[30:33], v[60:61], v[40:41], v[30:33]
	v_cvt_pkrtz_f16_f32 v34, v34, v35
	v_cvt_pkrtz_f16_f32 v35, v36, v37
	;; [unrolled: 1-line block ×3, first 2 shown]
	v_cvt_pk_f32_fp8_e32 v[38:39], v20
	v_cvt_pk_f32_fp8_sdwa v[40:41], v20 src0_sel:WORD_1
	v_cvt_pkrtz_f16_f32 v37, v18, v19
	v_mfma_f32_16x16x16_f16 v[30:33], v[34:35], v[6:7], v[30:33]
	v_cvt_pkrtz_f16_f32 v18, v38, v39
	v_cvt_pkrtz_f16_f32 v19, v40, v41
	v_cvt_pk_f32_fp8_e32 v[34:35], v21
	v_cvt_pk_f32_fp8_sdwa v[20:21], v21 src0_sel:WORD_1
	v_mfma_f32_16x16x16_f16 v[6:9], v[36:37], v[8:9], v[30:33]
	s_nop 2
	v_cvt_pkrtz_f16_f32 v30, v34, v35
	v_cvt_pkrtz_f16_f32 v31, v20, v21
	v_mfma_f32_16x16x16_f16 v[6:9], v[18:19], v[42:43], v[6:9]
	s_waitcnt vmcnt(1)
	v_cvt_pk_f32_fp8_e32 v[18:19], v14
	v_cvt_pk_f32_fp8_sdwa v[20:21], v14 src0_sel:WORD_1
	v_cvt_pk_f32_fp8_sdwa v[32:33], v16 src0_sel:WORD_1
	v_mfma_f32_16x16x16_f16 v[6:9], v[30:31], v[44:45], v[6:9]
	v_cvt_pk_f32_fp8_e32 v[30:31], v15
	v_cvt_pkrtz_f16_f32 v18, v18, v19
	v_cvt_pkrtz_f16_f32 v19, v20, v21
	v_cvt_pk_f32_fp8_sdwa v[14:15], v15 src0_sel:WORD_1
	v_cvt_pkrtz_f16_f32 v20, v30, v31
	v_cvt_pk_f32_fp8_e32 v[30:31], v16
	v_mfma_f32_16x16x16_f16 v[6:9], v[18:19], v[2:3], v[6:9]
	v_cvt_pkrtz_f16_f32 v21, v14, v15
	v_cvt_pkrtz_f16_f32 v14, v30, v31
	;; [unrolled: 1-line block ×3, first 2 shown]
	v_cvt_pk_f32_fp8_e32 v[18:19], v17
	v_cvt_pk_f32_fp8_sdwa v[16:17], v17 src0_sel:WORD_1
	v_mfma_f32_16x16x16_f16 v[2:5], v[20:21], v[4:5], v[6:9]
	s_waitcnt vmcnt(0)
	v_cvt_pk_f32_fp8_sdwa v[20:21], v12 src0_sel:WORD_1
	s_nop 0
	v_cvt_pkrtz_f16_f32 v8, v18, v19
	v_cvt_pkrtz_f16_f32 v9, v16, v17
	v_mfma_f32_16x16x16_f16 v[2:5], v[14:15], v[46:47], v[2:5]
	v_cvt_pk_f32_fp8_e32 v[16:17], v10
	v_cvt_pk_f32_fp8_sdwa v[18:19], v10 src0_sel:WORD_1
	v_pk_mul_f32 v[6:7], v[24:25], s[4:5] op_sel_hi:[1,0]
	v_mfma_f32_16x16x16_f16 v[2:5], v[8:9], v[48:49], v[2:5]
	v_cvt_pk_f32_fp8_e32 v[8:9], v11
	v_cvt_pkrtz_f16_f32 v16, v16, v17
	v_cvt_pkrtz_f16_f32 v17, v18, v19
	v_cvt_pk_f32_fp8_sdwa v[10:11], v11 src0_sel:WORD_1
	v_cvt_pkrtz_f16_f32 v8, v8, v9
	v_cvt_pk_f32_fp8_e32 v[18:19], v12
	v_mfma_f32_16x16x16_f16 v[2:5], v[16:17], v[26:27], v[2:5]
	v_cvt_pkrtz_f16_f32 v9, v10, v11
	v_cvt_pkrtz_f16_f32 v10, v18, v19
	;; [unrolled: 1-line block ×3, first 2 shown]
	v_cvt_pk_f32_fp8_e32 v[16:17], v13
	v_cvt_pk_f32_fp8_sdwa v[12:13], v13 src0_sel:WORD_1
	v_mfma_f32_16x16x16_f16 v[2:5], v[8:9], v[28:29], v[2:5]
	v_pk_mul_f32 v[14:15], v[22:23], s[4:5] op_sel_hi:[1,0]
	v_cvt_pkrtz_f16_f32 v8, v16, v17
	v_cvt_pkrtz_f16_f32 v9, v12, v13
	v_mfma_f32_16x16x16_f16 v[2:5], v[10:11], v[50:51], v[2:5]
	v_cvt_f16_f32_e32 v14, v14
	v_cvt_f16_f32_e32 v10, v15
	;; [unrolled: 1-line block ×3, first 2 shown]
	v_mfma_f32_16x16x16_f16 v[2:5], v[8:9], v[52:53], v[2:5]
	v_cvt_f16_f32_e32 v7, v7
	s_nop 5
	v_pk_mul_f32 v[4:5], v[4:5], s[4:5] op_sel_hi:[1,0]
	v_pk_mul_f32 v[2:3], v[2:3], s[4:5] op_sel_hi:[1,0]
	v_cvt_f16_f32_e32 v11, v4
	v_cvt_f16_f32_e32 v8, v2
	;; [unrolled: 1-line block ×4, first 2 shown]
	v_pack_b32_f16 v2, v14, v10
	v_pack_b32_f16 v3, v6, v7
	;; [unrolled: 1-line block ×4, first 2 shown]
	ds_write2st64_b64 v55, v[2:3], v[4:5] offset1:1
	s_waitcnt lgkmcnt(0)
	s_barrier
	s_and_saveexec_b64 s[4:5], vcc
	s_cbranch_execz .LBB1058_20
; %bb.18:
	s_load_dwordx2 s[4:5], s[0:1], 0x68
	s_lshl_b32 s0, s7, 7
	s_mul_i32 s1, s8, s2
	v_lshlrev_b32_e32 v3, 6, v56
	s_mul_hi_u32 s9, s1, s0
	s_mul_i32 s8, s1, s0
	v_lshl_or_b32 v0, v0, 10, v3
	s_lshl_b64 s[8:9], s[8:9], 1
	v_lshlrev_b32_e32 v2, 5, v62
	v_and_b32_e32 v1, 16, v1
	v_and_b32_e32 v0, 0x1a00, v0
	s_waitcnt lgkmcnt(0)
	s_add_u32 s1, s4, s8
	v_or3_b32 v2, v0, v2, v1
	s_addc_u32 s4, s5, s9
	s_lshl_b32 s2, s6, 7
	s_lshl_b64 s[2:3], s[2:3], 1
	ds_read_b128 v[4:7], v2 offset:128
	ds_read_b128 v[8:11], v2
	s_add_u32 s2, s1, s2
	s_addc_u32 s3, s4, s3
	v_mov_b32_e32 v55, 0
	v_add_u32_e32 v3, s48, v62
	v_lshl_add_u64 v[0:1], s[2:3], 0, v[54:55]
	v_mad_u64_u32 v[12:13], s[2:3], v3, s0, 0
	v_lshl_add_u64 v[12:13], v[12:13], 1, v[0:1]
	v_add_u32_e32 v3, 4, v3
	s_waitcnt lgkmcnt(0)
	global_store_dwordx4 v[12:13], v[8:11], off
	v_cmp_ne_u32_e32 vcc, 3, v62
	s_nop 0
	v_mad_u64_u32 v[8:9], s[2:3], v3, s0, 0
	v_lshl_add_u64 v[8:9], v[8:9], 1, v[0:1]
	global_store_dwordx4 v[8:9], v[4:7], off
	s_and_b64 exec, exec, vcc
	s_cbranch_execz .LBB1058_20
; %bb.19:
	ds_read_b128 v[2:5], v2 offset:256
	v_add3_u32 v6, s48, v62, 8
	v_mad_u64_u32 v[6:7], s[0:1], v6, s0, 0
	v_lshl_add_u64 v[0:1], v[6:7], 1, v[0:1]
	s_waitcnt lgkmcnt(0)
	global_store_dwordx4 v[0:1], v[2:5], off
.LBB1058_20:
	s_endpgm
	.section	.rodata,"a",@progbits
	.p2align	6, 0x0
	.amdhsa_kernel _Z39paged_attention_ll4mi_QKV_mfma16_kernelIDF16_hLN4vllm18Fp8KVCacheDataTypeE1EDF16_Li32ELi128ELi256ELb1ELi11EEvPKT_PKT0_S7_ifPKiS9_S9_iPKfiiiPfSC_PS2_PT2_iSB_SB_
		.amdhsa_group_segment_fixed_size 8192
		.amdhsa_private_segment_fixed_size 0
		.amdhsa_kernarg_size 400
		.amdhsa_user_sgpr_count 2
		.amdhsa_user_sgpr_dispatch_ptr 0
		.amdhsa_user_sgpr_queue_ptr 0
		.amdhsa_user_sgpr_kernarg_segment_ptr 1
		.amdhsa_user_sgpr_dispatch_id 0
		.amdhsa_user_sgpr_kernarg_preload_length 0
		.amdhsa_user_sgpr_kernarg_preload_offset 0
		.amdhsa_user_sgpr_private_segment_size 0
		.amdhsa_uses_dynamic_stack 0
		.amdhsa_enable_private_segment 0
		.amdhsa_system_sgpr_workgroup_id_x 1
		.amdhsa_system_sgpr_workgroup_id_y 1
		.amdhsa_system_sgpr_workgroup_id_z 1
		.amdhsa_system_sgpr_workgroup_info 0
		.amdhsa_system_vgpr_workitem_id 0
		.amdhsa_next_free_vgpr 78
		.amdhsa_next_free_sgpr 50
		.amdhsa_accum_offset 80
		.amdhsa_reserve_vcc 1
		.amdhsa_float_round_mode_32 0
		.amdhsa_float_round_mode_16_64 0
		.amdhsa_float_denorm_mode_32 3
		.amdhsa_float_denorm_mode_16_64 3
		.amdhsa_dx10_clamp 1
		.amdhsa_ieee_mode 1
		.amdhsa_fp16_overflow 0
		.amdhsa_tg_split 0
		.amdhsa_exception_fp_ieee_invalid_op 0
		.amdhsa_exception_fp_denorm_src 0
		.amdhsa_exception_fp_ieee_div_zero 0
		.amdhsa_exception_fp_ieee_overflow 0
		.amdhsa_exception_fp_ieee_underflow 0
		.amdhsa_exception_fp_ieee_inexact 0
		.amdhsa_exception_int_div_zero 0
	.end_amdhsa_kernel
	.section	.text._Z39paged_attention_ll4mi_QKV_mfma16_kernelIDF16_hLN4vllm18Fp8KVCacheDataTypeE1EDF16_Li32ELi128ELi256ELb1ELi11EEvPKT_PKT0_S7_ifPKiS9_S9_iPKfiiiPfSC_PS2_PT2_iSB_SB_,"axG",@progbits,_Z39paged_attention_ll4mi_QKV_mfma16_kernelIDF16_hLN4vllm18Fp8KVCacheDataTypeE1EDF16_Li32ELi128ELi256ELb1ELi11EEvPKT_PKT0_S7_ifPKiS9_S9_iPKfiiiPfSC_PS2_PT2_iSB_SB_,comdat
.Lfunc_end1058:
	.size	_Z39paged_attention_ll4mi_QKV_mfma16_kernelIDF16_hLN4vllm18Fp8KVCacheDataTypeE1EDF16_Li32ELi128ELi256ELb1ELi11EEvPKT_PKT0_S7_ifPKiS9_S9_iPKfiiiPfSC_PS2_PT2_iSB_SB_, .Lfunc_end1058-_Z39paged_attention_ll4mi_QKV_mfma16_kernelIDF16_hLN4vllm18Fp8KVCacheDataTypeE1EDF16_Li32ELi128ELi256ELb1ELi11EEvPKT_PKT0_S7_ifPKiS9_S9_iPKfiiiPfSC_PS2_PT2_iSB_SB_
                                        ; -- End function
	.section	.AMDGPU.csdata,"",@progbits
; Kernel info:
; codeLenInByte = 6380
; NumSgprs: 56
; NumVgprs: 78
; NumAgprs: 0
; TotalNumVgprs: 78
; ScratchSize: 0
; MemoryBound: 0
; FloatMode: 240
; IeeeMode: 1
; LDSByteSize: 8192 bytes/workgroup (compile time only)
; SGPRBlocks: 6
; VGPRBlocks: 9
; NumSGPRsForWavesPerEU: 56
; NumVGPRsForWavesPerEU: 78
; AccumOffset: 80
; Occupancy: 6
; WaveLimiterHint : 1
; COMPUTE_PGM_RSRC2:SCRATCH_EN: 0
; COMPUTE_PGM_RSRC2:USER_SGPR: 2
; COMPUTE_PGM_RSRC2:TRAP_HANDLER: 0
; COMPUTE_PGM_RSRC2:TGID_X_EN: 1
; COMPUTE_PGM_RSRC2:TGID_Y_EN: 1
; COMPUTE_PGM_RSRC2:TGID_Z_EN: 1
; COMPUTE_PGM_RSRC2:TIDIG_COMP_CNT: 0
; COMPUTE_PGM_RSRC3_GFX90A:ACCUM_OFFSET: 19
; COMPUTE_PGM_RSRC3_GFX90A:TG_SPLIT: 0
	.section	.text._Z39paged_attention_ll4mi_QKV_mfma16_kernelIDF16_hLN4vllm18Fp8KVCacheDataTypeE1EDF16_Li32ELi128ELi256ELb1ELi12EEvPKT_PKT0_S7_ifPKiS9_S9_iPKfiiiPfSC_PS2_PT2_iSB_SB_,"axG",@progbits,_Z39paged_attention_ll4mi_QKV_mfma16_kernelIDF16_hLN4vllm18Fp8KVCacheDataTypeE1EDF16_Li32ELi128ELi256ELb1ELi12EEvPKT_PKT0_S7_ifPKiS9_S9_iPKfiiiPfSC_PS2_PT2_iSB_SB_,comdat
	.protected	_Z39paged_attention_ll4mi_QKV_mfma16_kernelIDF16_hLN4vllm18Fp8KVCacheDataTypeE1EDF16_Li32ELi128ELi256ELb1ELi12EEvPKT_PKT0_S7_ifPKiS9_S9_iPKfiiiPfSC_PS2_PT2_iSB_SB_ ; -- Begin function _Z39paged_attention_ll4mi_QKV_mfma16_kernelIDF16_hLN4vllm18Fp8KVCacheDataTypeE1EDF16_Li32ELi128ELi256ELb1ELi12EEvPKT_PKT0_S7_ifPKiS9_S9_iPKfiiiPfSC_PS2_PT2_iSB_SB_
	.globl	_Z39paged_attention_ll4mi_QKV_mfma16_kernelIDF16_hLN4vllm18Fp8KVCacheDataTypeE1EDF16_Li32ELi128ELi256ELb1ELi12EEvPKT_PKT0_S7_ifPKiS9_S9_iPKfiiiPfSC_PS2_PT2_iSB_SB_
	.p2align	8
	.type	_Z39paged_attention_ll4mi_QKV_mfma16_kernelIDF16_hLN4vllm18Fp8KVCacheDataTypeE1EDF16_Li32ELi128ELi256ELb1ELi12EEvPKT_PKT0_S7_ifPKiS9_S9_iPKfiiiPfSC_PS2_PT2_iSB_SB_,@function
_Z39paged_attention_ll4mi_QKV_mfma16_kernelIDF16_hLN4vllm18Fp8KVCacheDataTypeE1EDF16_Li32ELi128ELi256ELb1ELi12EEvPKT_PKT0_S7_ifPKiS9_S9_iPKfiiiPfSC_PS2_PT2_iSB_SB_: ; @_Z39paged_attention_ll4mi_QKV_mfma16_kernelIDF16_hLN4vllm18Fp8KVCacheDataTypeE1EDF16_Li32ELi128ELi256ELb1ELi12EEvPKT_PKT0_S7_ifPKiS9_S9_iPKfiiiPfSC_PS2_PT2_iSB_SB_
; %bb.0:
	s_load_dwordx2 s[10:11], s[0:1], 0x30
	s_mov_b32 s6, s3
	s_mov_b64 s[8:9], 0
	s_waitcnt lgkmcnt(0)
	s_cmp_lg_u64 s[10:11], 0
	s_cselect_b64 s[12:13], -1, 0
	s_and_b64 vcc, exec, s[12:13]
	s_cbranch_vccz .LBB1059_7
; %bb.1:
	s_add_i32 s14, s2, 1
	s_mov_b32 s15, 0
	s_lshl_b64 s[16:17], s[14:15], 2
	s_add_u32 s16, s10, s16
	s_mov_b32 s3, s15
	s_addc_u32 s17, s11, s17
	s_lshl_b64 s[14:15], s[2:3], 2
	s_add_u32 s14, s10, s14
	s_addc_u32 s15, s11, s15
	s_load_dword s5, s[16:17], 0x0
	s_load_dword s7, s[14:15], 0x0
	s_waitcnt lgkmcnt(0)
	s_sub_i32 s5, s5, s7
	s_cmp_eq_u32 s5, 1
	s_cselect_b64 s[14:15], -1, 0
	s_andn2_b64 vcc, exec, s[8:9]
	s_cbranch_vccnz .LBB1059_3
.LBB1059_2:
	s_mov_b32 s3, 0
	s_mov_b64 s[14:15], -1
.LBB1059_3:
	s_andn2_b64 vcc, exec, s[14:15]
	s_cbranch_vccnz .LBB1059_19
; %bb.4:
	s_load_dwordx2 s[8:9], s[0:1], 0x28
	s_lshl_b64 s[14:15], s[2:3], 2
	s_waitcnt lgkmcnt(0)
	s_add_u32 s8, s8, s14
	s_addc_u32 s9, s9, s15
	s_load_dword s7, s[8:9], 0x0
	s_lshl_b32 s18, s6, 8
	s_waitcnt lgkmcnt(0)
	s_cmp_ge_i32 s18, s7
	s_cbranch_scc1 .LBB1059_19
; %bb.5:
	s_load_dwordx2 s[8:9], s[0:1], 0x20
	s_load_dword s5, s[0:1], 0x38
	s_add_i32 s16, s7, 31
	s_ashr_i32 s17, s16, 31
	v_and_b32_e32 v1, 0xcf, v0
	s_lshr_b32 s17, s17, 27
	v_add_u32_e32 v1, s18, v1
	s_add_i32 s16, s16, s17
	v_ashrrev_i32_e32 v2, 31, v1
	s_ashr_i32 s19, s16, 5
	v_lshrrev_b32_e32 v4, 27, v2
	s_add_i32 s19, s19, -1
	s_waitcnt lgkmcnt(0)
	s_mul_i32 s16, s2, s5
	s_mov_b32 s17, 0
	v_add_u32_e32 v2, v1, v4
	s_lshl_b64 s[16:17], s[16:17], 2
	v_ashrrev_i32_e32 v2, 5, v2
	v_mov_b32_e32 v5, s19
	v_cmp_gt_i32_e32 vcc, s7, v1
	s_add_u32 s8, s8, s16
	s_addc_u32 s9, s9, s17
	v_cndmask_b32_e32 v2, v5, v2, vcc
	v_ashrrev_i32_e32 v3, 31, v2
	v_lshl_add_u64 v[6:7], v[2:3], 2, s[8:9]
	v_or_b32_e32 v2, 16, v1
	v_add_u32_e32 v3, v2, v4
	v_ashrrev_i32_e32 v3, 5, v3
	v_cmp_gt_i32_e32 vcc, s7, v2
	s_load_dwordx2 s[16:17], s[0:1], 0x8
	s_nop 0
	v_cndmask_b32_e32 v2, v5, v3, vcc
	v_ashrrev_i32_e32 v3, 31, v2
	v_lshl_add_u64 v[8:9], v[2:3], 2, s[8:9]
	v_or_b32_e32 v2, 32, v1
	v_add_u32_e32 v3, v2, v4
	v_ashrrev_i32_e32 v3, 5, v3
	v_cmp_gt_i32_e32 vcc, s7, v2
	v_or_b32_e32 v1, 48, v1
	s_nop 0
	v_cndmask_b32_e32 v2, v5, v3, vcc
	v_ashrrev_i32_e32 v3, 31, v2
	v_lshl_add_u64 v[12:13], v[2:3], 2, s[8:9]
	v_add_u32_e32 v2, v1, v4
	v_ashrrev_i32_e32 v2, 5, v2
	v_cmp_gt_i32_e32 vcc, s7, v1
	s_nop 1
	v_cndmask_b32_e32 v2, v5, v2, vcc
	v_ashrrev_i32_e32 v3, 31, v2
	v_lshl_add_u64 v[14:15], v[2:3], 2, s[8:9]
	global_load_dword v4, v[6:7], off
	global_load_dword v3, v[8:9], off
	;; [unrolled: 1-line block ×4, first 2 shown]
	s_andn2_b64 vcc, exec, s[12:13]
	s_cbranch_vccnz .LBB1059_8
; %bb.6:
	s_add_u32 s10, s10, s14
	s_addc_u32 s11, s11, s15
	s_load_dword s5, s[10:11], 0x0
	s_branch .LBB1059_9
.LBB1059_7:
	s_mov_b64 s[14:15], 0
	s_branch .LBB1059_2
.LBB1059_8:
	s_mov_b32 s5, s2
.LBB1059_9:
	s_load_dwordx2 s[10:11], s[0:1], 0x10
	s_load_dwordx4 s[44:47], s[0:1], 0x48
	v_and_b32_e32 v56, 15, v0
	v_lshlrev_b32_e32 v5, 3, v56
	s_movk_i32 s12, 0xc0
	v_lshrrev_b32_e32 v57, 6, v0
	v_bfe_u32 v1, v0, 4, 2
	s_mul_i32 s48, s4, 12
	v_cmp_gt_u32_e32 vcc, s12, v0
	v_lshlrev_b32_e32 v54, 1, v5
	v_lshlrev_b32_e32 v62, 4, v0
	s_and_saveexec_b64 s[12:13], vcc
	s_cbranch_execz .LBB1059_11
; %bb.10:
	s_load_dwordx2 s[14:15], s[0:1], 0x0
	s_waitcnt lgkmcnt(0)
	s_ashr_i32 s20, s44, 31
	s_mul_hi_u32 s21, s5, s44
	s_mul_i32 s20, s5, s20
	s_add_i32 s21, s21, s20
	s_mul_i32 s20, s5, s44
	v_lshl_or_b32 v5, v57, 2, v1
	s_lshl_b64 s[20:21], s[20:21], 1
	s_add_u32 s14, s14, s20
	v_add_lshl_u32 v6, v5, s48, 7
	s_addc_u32 s15, s15, s21
	v_ashrrev_i32_e32 v7, 31, v6
	v_lshl_add_u64 v[6:7], v[6:7], 1, s[14:15]
	v_mov_b32_e32 v55, 0
	v_lshl_add_u64 v[6:7], v[6:7], 0, v[54:55]
	global_load_dwordx4 v[6:9], v[6:7], off
	v_lshlrev_b32_e32 v12, 8, v0
	v_lshlrev_b32_e32 v11, 8, v56
	v_and_b32_e32 v12, 0x600, v12
	s_movk_i32 s5, 0x800
	v_and_or_b32 v11, v11, s5, v12
	v_lshlrev_b32_e32 v5, 5, v5
	v_and_b32_e32 v12, 16, v62
	v_or3_b32 v5, v11, v5, v12
	s_waitcnt vmcnt(0)
	ds_write_b128 v5, v[6:9]
.LBB1059_11:
	s_or_b64 exec, exec, s[12:13]
	s_waitcnt lgkmcnt(0)
	s_mul_i32 s12, s4, s46
	s_add_u32 s4, s16, s12
	s_addc_u32 s5, s17, 0
	v_mov_b32_e32 v59, 0
	v_mov_b64_e32 v[12:13], s[4:5]
	v_and_b32_e32 v34, 48, v0
	s_waitcnt vmcnt(3)
	v_mad_i64_i32 v[4:5], s[4:5], v4, s45, v[12:13]
	v_lshlrev_b32_e32 v14, 4, v56
	v_mov_b32_e32 v15, v59
	v_lshlrev_b32_e32 v58, 5, v34
	v_lshl_add_u64 v[4:5], v[4:5], 0, v[14:15]
	v_lshl_add_u64 v[4:5], v[4:5], 0, v[58:59]
	s_barrier
	global_load_dwordx4 v[50:53], v[4:5], off
	global_load_dwordx4 v[46:49], v[4:5], off offset:2048
	s_waitcnt vmcnt(4)
	v_mad_i64_i32 v[4:5], s[4:5], v3, s45, v[12:13]
	v_or_b32_e32 v16, 0x100, v14
	v_mov_b32_e32 v17, v59
	s_waitcnt vmcnt(3)
	v_mad_i64_i32 v[2:3], s[4:5], v2, s45, v[12:13]
	v_lshl_add_u64 v[4:5], v[4:5], 0, v[16:17]
	v_lshl_add_u64 v[2:3], v[2:3], 0, v[14:15]
	s_waitcnt vmcnt(2)
	v_mad_i64_i32 v[10:11], s[4:5], v10, s45, v[12:13]
	v_lshl_add_u64 v[4:5], v[4:5], 0, v[58:59]
	v_lshl_add_u64 v[14:15], v[2:3], 0, v[58:59]
	;; [unrolled: 1-line block ×3, first 2 shown]
	global_load_dwordx4 v[36:39], v[4:5], off
	global_load_dwordx4 v[6:9], v[4:5], off offset:2048
	s_nop 0
	global_load_dwordx4 v[2:5], v[14:15], off
	global_load_dwordx4 v[42:45], v[14:15], off offset:2048
	v_lshl_add_u64 v[14:15], v[10:11], 0, v[58:59]
	global_load_dwordx4 v[26:29], v[14:15], off
	global_load_dwordx4 v[10:13], v[14:15], off offset:2048
	v_add_u32_e32 v14, -12, v56
	v_cmp_gt_u32_e32 vcc, 12, v56
	v_and_b32_e32 v55, 63, v0
	v_mov_b32_e32 v63, 0
	v_cndmask_b32_e32 v14, v14, v56, vcc
	v_lshlrev_b32_e32 v14, 5, v14
	v_lshl_add_u32 v14, v1, 9, v14
	ds_read_b128 v[30:33], v14
	ds_read_b128 v[22:25], v14 offset:16
	ds_read_b128 v[18:21], v14 offset:2048
	;; [unrolled: 1-line block ×3, first 2 shown]
	s_and_saveexec_b64 s[4:5], vcc
	s_cbranch_execz .LBB1059_13
; %bb.12:
	s_load_dwordx2 s[14:15], s[0:1], 0x40
	v_add_u32_e32 v40, s48, v56
	v_ashrrev_i32_e32 v41, 31, v40
	s_waitcnt lgkmcnt(0)
	v_lshl_add_u64 v[40:41], v[40:41], 2, s[14:15]
	global_load_dword v63, v[40:41], off
.LBB1059_13:
	s_or_b64 exec, exec, s[4:5]
	s_ashr_i32 s4, s18, 31
	v_or_b32_e32 v58, s18, v34
	s_lshr_b32 s4, s4, 27
	v_add_u32_e32 v34, s4, v58
	v_cmp_gt_i32_e32 vcc, s7, v58
	v_or_b32_e32 v40, 64, v58
	v_or_b32_e32 v60, 0x80, v58
	;; [unrolled: 1-line block ×3, first 2 shown]
	v_add_u32_e32 v64, s4, v58
	v_ashrrev_i32_e32 v69, 5, v64
	s_waitcnt vmcnt(7)
	v_cvt_pk_f32_fp8_e32 v[64:65], v50
	v_cvt_pk_f32_fp8_sdwa v[66:67], v50 src0_sel:WORD_1
	v_cvt_pk_f32_fp8_e32 v[70:71], v51
	v_cvt_pk_f32_fp8_sdwa v[50:51], v51 src0_sel:WORD_1
	v_cvt_pkrtz_f16_f32 v64, v64, v65
	v_cvt_pkrtz_f16_f32 v65, v66, v67
	;; [unrolled: 1-line block ×3, first 2 shown]
	v_cvt_pk_f32_fp8_e32 v[72:73], v52
	v_cvt_pk_f32_fp8_sdwa v[74:75], v52 src0_sel:WORD_1
	v_cvt_pkrtz_f16_f32 v71, v50, v51
	s_waitcnt lgkmcnt(3)
	v_mfma_f32_16x16x16_f16 v[64:67], v[64:65], v[30:31], 0
	v_cvt_pkrtz_f16_f32 v72, v72, v73
	v_cvt_pkrtz_f16_f32 v73, v74, v75
	v_cvt_pk_f32_fp8_e32 v[74:75], v53
	v_cvt_pk_f32_fp8_sdwa v[76:77], v53 src0_sel:WORD_1
	v_mfma_f32_16x16x16_f16 v[50:53], v[70:71], v[32:33], v[64:67]
	v_ashrrev_i32_e32 v34, 5, v34
	v_mov_b32_e32 v68, s19
	v_add_u32_e32 v41, s4, v40
	v_cndmask_b32_e32 v34, v68, v34, vcc
	v_ashrrev_i32_e32 v41, 5, v41
	v_cmp_gt_i32_e32 vcc, s7, v40
	v_add_u32_e32 v61, s4, v60
	v_cvt_pkrtz_f16_f32 v64, v74, v75
	v_cvt_pkrtz_f16_f32 v65, v76, v77
	v_cndmask_b32_e32 v40, v68, v41, vcc
	v_ashrrev_i32_e32 v61, 5, v61
	v_cmp_gt_i32_e32 vcc, s7, v60
	s_waitcnt lgkmcnt(2)
	v_mfma_f32_16x16x16_f16 v[50:53], v[72:73], v[22:23], v[50:53]
	s_waitcnt vmcnt(6)
	v_cvt_pk_f32_fp8_e32 v[66:67], v46
	v_cndmask_b32_e32 v60, v68, v61, vcc
	v_cmp_gt_i32_e32 vcc, s7, v58
	v_ashrrev_i32_e32 v35, 31, v34
	v_lshl_add_u64 v[34:35], v[34:35], 2, s[8:9]
	v_cndmask_b32_e32 v68, v68, v69, vcc
	v_ashrrev_i32_e32 v41, 31, v40
	v_ashrrev_i32_e32 v61, 31, v60
	;; [unrolled: 1-line block ×3, first 2 shown]
	v_lshl_add_u64 v[40:41], v[40:41], 2, s[8:9]
	v_lshl_add_u64 v[60:61], v[60:61], 2, s[8:9]
	;; [unrolled: 1-line block ×3, first 2 shown]
	v_mfma_f32_16x16x16_f16 v[50:53], v[64:65], v[24:25], v[50:53]
	v_cvt_pkrtz_f16_f32 v74, v66, v67
	global_load_dword v68, v[34:35], off
	global_load_dword v66, v[40:41], off
	;; [unrolled: 1-line block ×4, first 2 shown]
	v_cvt_pk_f32_fp8_sdwa v[70:71], v46 src0_sel:WORD_1
	v_cvt_pk_f32_fp8_e32 v[40:41], v48
	s_waitcnt vmcnt(9)
	v_cvt_pk_f32_fp8_e32 v[60:61], v36
	s_add_u32 s4, s10, s12
	v_cvt_pkrtz_f16_f32 v75, v70, v71
	v_cvt_pk_f32_fp8_e32 v[70:71], v47
	v_cvt_pk_f32_fp8_sdwa v[46:47], v47 src0_sel:WORD_1
	s_waitcnt lgkmcnt(1)
	v_mfma_f32_16x16x16_f16 v[50:53], v[74:75], v[18:19], v[50:53]
	v_cvt_pkrtz_f16_f32 v34, v70, v71
	v_cvt_pkrtz_f16_f32 v35, v46, v47
	v_cvt_pk_f32_fp8_sdwa v[46:47], v48 src0_sel:WORD_1
	v_cvt_pkrtz_f16_f32 v40, v40, v41
	v_mfma_f32_16x16x16_f16 v[50:53], v[34:35], v[20:21], v[50:53]
	v_cvt_pkrtz_f16_f32 v41, v46, v47
	v_cvt_pk_f32_fp8_e32 v[34:35], v49
	v_cvt_pk_f32_fp8_sdwa v[46:47], v49 src0_sel:WORD_1
	v_cvt_pk_f32_fp8_sdwa v[70:71], v36 src0_sel:WORD_1
	s_addc_u32 s5, s11, 0
	v_cvt_pkrtz_f16_f32 v34, v34, v35
	v_cvt_pkrtz_f16_f32 v35, v46, v47
	s_waitcnt lgkmcnt(0)
	v_mfma_f32_16x16x16_f16 v[46:49], v[40:41], v[14:15], v[50:53]
	v_cvt_pkrtz_f16_f32 v40, v60, v61
	v_cvt_pkrtz_f16_f32 v41, v70, v71
	s_waitcnt vmcnt(8)
	v_cvt_pk_f32_fp8_sdwa v[60:61], v6 src0_sel:WORD_1
	v_cvt_pk_f32_fp8_e32 v[50:51], v37
	v_cvt_pk_f32_fp8_sdwa v[52:53], v37 src0_sel:WORD_1
	v_mfma_f32_16x16x16_f16 v[34:37], v[34:35], v[16:17], v[46:49]
	v_and_b32_e32 v58, 16, v0
	v_cvt_pkrtz_f16_f32 v50, v50, v51
	v_cvt_pkrtz_f16_f32 v51, v52, v53
	v_mfma_f32_16x16x16_f16 v[46:49], v[40:41], v[30:31], 0
	v_cvt_pk_f32_fp8_e32 v[40:41], v38
	v_cvt_pk_f32_fp8_sdwa v[52:53], v38 src0_sel:WORD_1
	v_lshl_or_b32 v64, v57, 4, v56
	v_mfma_f32_16x16x16_f16 v[46:49], v[50:51], v[32:33], v[46:49]
	v_cvt_pk_f32_fp8_e32 v[50:51], v39
	v_cvt_pkrtz_f16_f32 v40, v40, v41
	v_cvt_pkrtz_f16_f32 v41, v52, v53
	v_cvt_pk_f32_fp8_sdwa v[38:39], v39 src0_sel:WORD_1
	v_cvt_pkrtz_f16_f32 v50, v50, v51
	v_cvt_pk_f32_fp8_e32 v[52:53], v6
	s_waitcnt vmcnt(6)
	v_cvt_pk_f32_fp8_e32 v[74:75], v43
	v_cvt_pkrtz_f16_f32 v51, v38, v39
	v_mfma_f32_16x16x16_f16 v[38:41], v[40:41], v[22:23], v[46:49]
	s_nop 2
	v_cvt_pkrtz_f16_f32 v48, v52, v53
	v_cvt_pkrtz_f16_f32 v49, v60, v61
	v_cvt_pk_f32_fp8_e32 v[52:53], v7
	v_cvt_pk_f32_fp8_sdwa v[6:7], v7 src0_sel:WORD_1
	v_mfma_f32_16x16x16_f16 v[38:41], v[50:51], v[24:25], v[38:41]
	v_lshl_add_u64 v[46:47], s[4:5], 0, v[58:59]
	v_cvt_pkrtz_f16_f32 v50, v52, v53
	v_cvt_pkrtz_f16_f32 v51, v6, v7
	v_mfma_f32_16x16x16_f16 v[38:41], v[48:49], v[18:19], v[38:41]
	v_cvt_pk_f32_fp8_e32 v[6:7], v8
	v_cvt_pk_f32_fp8_sdwa v[48:49], v8 src0_sel:WORD_1
	v_cvt_pk_f32_fp8_sdwa v[52:53], v2 src0_sel:WORD_1
	v_mfma_f32_16x16x16_f16 v[38:41], v[50:51], v[20:21], v[38:41]
	v_cvt_pk_f32_fp8_e32 v[50:51], v9
	v_cvt_pkrtz_f16_f32 v6, v6, v7
	v_cvt_pkrtz_f16_f32 v7, v48, v49
	v_cvt_pk_f32_fp8_sdwa v[8:9], v9 src0_sel:WORD_1
	v_cvt_pkrtz_f16_f32 v48, v50, v51
	v_cvt_pk_f32_fp8_e32 v[50:51], v2
	v_lshlrev_b32_e32 v58, 5, v64
	v_cvt_pkrtz_f16_f32 v49, v8, v9
	v_mfma_f32_16x16x16_f16 v[6:9], v[6:7], v[14:15], v[38:41]
	v_cvt_pkrtz_f16_f32 v50, v50, v51
	v_cvt_pkrtz_f16_f32 v51, v52, v53
	v_cvt_pk_f32_fp8_e32 v[52:53], v3
	v_cvt_pk_f32_fp8_sdwa v[2:3], v3 src0_sel:WORD_1
	v_mfma_f32_16x16x16_f16 v[38:41], v[48:49], v[16:17], v[6:9]
	v_lshl_add_u64 v[48:49], v[46:47], 0, v[58:59]
	v_cvt_pkrtz_f16_f32 v52, v52, v53
	v_cvt_pkrtz_f16_f32 v53, v2, v3
	v_mfma_f32_16x16x16_f16 v[6:9], v[50:51], v[30:31], 0
	v_cvt_pk_f32_fp8_e32 v[2:3], v4
	v_cvt_pk_f32_fp8_sdwa v[50:51], v4 src0_sel:WORD_1
	s_waitcnt vmcnt(3)
	v_mad_i64_i32 v[60:61], s[4:5], v68, s45, v[48:49]
	v_cvt_pkrtz_f16_f32 v2, v2, v3
	v_cvt_pkrtz_f16_f32 v3, v50, v51
	v_mfma_f32_16x16x16_f16 v[6:9], v[52:53], v[32:33], v[6:9]
	v_cvt_pk_f32_fp8_e32 v[50:51], v5
	v_cvt_pk_f32_fp8_sdwa v[4:5], v5 src0_sel:WORD_1
	s_waitcnt vmcnt(2)
	v_mad_i64_i32 v[70:71], s[4:5], v66, s45, v[48:49]
	v_cvt_pkrtz_f16_f32 v50, v50, v51
	v_cvt_pkrtz_f16_f32 v51, v4, v5
	v_mfma_f32_16x16x16_f16 v[2:5], v[2:3], v[22:23], v[6:9]
	v_or_b32_e32 v58, 0x800, v58
	s_nop 1
	v_cvt_pk_f32_fp8_e32 v[6:7], v42
	v_cvt_pk_f32_fp8_sdwa v[8:9], v42 src0_sel:WORD_1
	v_cvt_pk_f32_fp8_sdwa v[42:43], v43 src0_sel:WORD_1
	v_mfma_f32_16x16x16_f16 v[50:53], v[50:51], v[24:25], v[2:5]
	v_cvt_pkrtz_f16_f32 v72, v6, v7
	v_cvt_pkrtz_f16_f32 v73, v8, v9
	global_load_dwordx4 v[6:9], v[60:61], off
	global_load_dwordx4 v[2:5], v[70:71], off
	v_cvt_pkrtz_f16_f32 v60, v74, v75
	v_cvt_pkrtz_f16_f32 v61, v42, v43
	v_mfma_f32_16x16x16_f16 v[70:73], v[72:73], v[18:19], v[50:53]
	v_cvt_pk_f32_fp8_e32 v[42:43], v44
	v_cvt_pkrtz_f16_f32 v42, v42, v43
	s_nop 0
	v_cvt_pk_f32_fp8_sdwa v[52:53], v44 src0_sel:WORD_1
	v_mfma_f32_16x16x16_f16 v[70:73], v[60:61], v[20:21], v[70:73]
	v_cvt_pk_f32_fp8_e32 v[60:61], v45
	s_waitcnt vmcnt(3)
	v_mad_i64_i32 v[50:51], s[4:5], v67, s45, v[48:49]
	s_load_dword s4, s[0:1], 0x1c
	s_load_dwordx4 s[40:43], s[0:1], 0x80
	v_cvt_pkrtz_f16_f32 v43, v52, v53
	v_cvt_pkrtz_f16_f32 v74, v60, v61
	v_cvt_pk_f32_fp8_e32 v[52:53], v26
	v_cvt_pk_f32_fp8_sdwa v[60:61], v26 src0_sel:WORD_1
	s_load_dword s33, s[0:1], 0x98
	s_waitcnt lgkmcnt(0)
	s_load_dword s5, s[40:41], 0x0
	v_cvt_pk_f32_fp8_sdwa v[44:45], v45 src0_sel:WORD_1
	v_cvt_pkrtz_f16_f32 v52, v52, v53
	v_cvt_pkrtz_f16_f32 v53, v60, v61
	v_cvt_pk_f32_fp8_e32 v[60:61], v27
	v_cvt_pk_f32_fp8_sdwa v[26:27], v27 src0_sel:WORD_1
	v_cvt_pkrtz_f16_f32 v75, v44, v45
	v_mfma_f32_16x16x16_f16 v[42:45], v[42:43], v[14:15], v[70:73]
	v_cvt_pkrtz_f16_f32 v60, v60, v61
	v_cvt_pkrtz_f16_f32 v61, v26, v27
	v_mov_b32_e32 v26, s4
	v_mfma_f32_16x16x16_f16 v[70:73], v[52:53], v[30:31], 0
	s_waitcnt lgkmcnt(0)
	v_mul_f32_e32 v52, s5, v26
	v_cvt_pk_f32_fp8_e32 v[26:27], v28
	v_cvt_pk_f32_fp8_sdwa v[30:31], v28 src0_sel:WORD_1
	v_mfma_f32_16x16x16_f16 v[70:73], v[60:61], v[32:33], v[70:73]
	v_cvt_pk_f32_fp8_e32 v[32:33], v29
	v_cvt_pk_f32_fp8_sdwa v[28:29], v29 src0_sel:WORD_1
	v_cvt_pkrtz_f16_f32 v26, v26, v27
	v_cvt_pkrtz_f16_f32 v27, v30, v31
	v_mfma_f32_16x16x16_f16 v[42:45], v[74:75], v[16:17], v[42:45]
	v_cvt_pkrtz_f16_f32 v32, v32, v33
	v_cvt_pkrtz_f16_f32 v33, v28, v29
	v_cvt_pk_f32_fp8_e32 v[60:61], v10
	v_cvt_pk_f32_fp8_sdwa v[74:75], v10 src0_sel:WORD_1
	v_mfma_f32_16x16x16_f16 v[26:29], v[26:27], v[22:23], v[70:73]
	v_pk_mul_f32 v[30:31], v[52:53], v[36:37] op_sel_hi:[0,1]
	v_cvt_pkrtz_f16_f32 v36, v60, v61
	v_cvt_pkrtz_f16_f32 v37, v74, v75
	v_cvt_pk_f32_fp8_e32 v[60:61], v11
	v_cvt_pk_f32_fp8_sdwa v[70:71], v11 src0_sel:WORD_1
	v_mfma_f32_16x16x16_f16 v[22:25], v[32:33], v[24:25], v[26:29]
	v_pk_mul_f32 v[10:11], v[52:53], v[34:35] op_sel_hi:[0,1]
	v_cvt_pkrtz_f16_f32 v60, v60, v61
	v_cvt_pkrtz_f16_f32 v61, v70, v71
	v_mfma_f32_16x16x16_f16 v[32:35], v[36:37], v[18:19], v[22:25]
	v_cvt_pk_f32_fp8_e32 v[18:19], v12
	v_cvt_pk_f32_fp8_sdwa v[36:37], v12 src0_sel:WORD_1
	s_waitcnt vmcnt(2)
	v_mad_i64_i32 v[48:49], s[8:9], v65, s45, v[48:49]
	global_load_dwordx4 v[26:29], v[50:51], off
	global_load_dwordx4 v[22:25], v[48:49], off
	v_cvt_pkrtz_f16_f32 v48, v18, v19
	v_cvt_pkrtz_f16_f32 v49, v36, v37
	v_cvt_pk_f32_fp8_e32 v[36:37], v13
	v_cvt_pk_f32_fp8_sdwa v[12:13], v13 src0_sel:WORD_1
	v_mfma_f32_16x16x16_f16 v[18:21], v[60:61], v[20:21], v[32:35]
	v_pk_mul_f32 v[40:41], v[52:53], v[40:41] op_sel_hi:[0,1]
	v_pk_mul_f32 v[42:43], v[52:53], v[42:43] op_sel_hi:[0,1]
	s_mov_b32 s40, 0xff7fffff
	v_cvt_pkrtz_f16_f32 v32, v36, v37
	v_cvt_pkrtz_f16_f32 v33, v12, v13
	v_mfma_f32_16x16x16_f16 v[12:15], v[48:49], v[14:15], v[18:21]
	v_pk_mul_f32 v[48:49], v[52:53], v[38:39] op_sel_hi:[0,1]
	v_pk_mul_f32 v[38:39], v[52:53], v[44:45] op_sel_hi:[0,1]
	v_mfma_f32_16x16x16_f16 v[12:15], v[32:33], v[16:17], v[12:15]
	s_nop 6
	v_pk_mul_f32 v[36:37], v[52:53], v[12:13] op_sel_hi:[0,1]
	v_and_b32_e32 v12, 0xc0, v0
	v_add_u32_e32 v12, s18, v12
	v_lshl_or_b32 v12, v1, 2, v12
	v_or_b32_e32 v13, 1, v12
	v_pk_mul_f32 v[34:35], v[52:53], v[14:15] op_sel_hi:[0,1]
	v_subrev_u32_e32 v14, s7, v13
	v_add_u32_e32 v16, 1, v14
	v_add_u32_e32 v17, 2, v14
	v_cvt_f32_i32_e32 v15, v14
	v_cvt_f32_i32_e32 v16, v16
	;; [unrolled: 1-line block ×3, first 2 shown]
	v_add_u32_e32 v18, 3, v14
	v_fma_f32 v10, v63, v15, v10
	v_fmac_f32_e32 v11, v63, v16
	v_fma_f32 v51, v63, v17, v30
	v_add_u32_e32 v15, 16, v14
	v_add_u32_e32 v16, 17, v14
	;; [unrolled: 1-line block ×3, first 2 shown]
	v_cvt_f32_i32_e32 v18, v18
	v_cvt_f32_i32_e32 v15, v15
	;; [unrolled: 1-line block ×4, first 2 shown]
	v_fmac_f32_e32 v31, v63, v18
	v_add_u32_e32 v18, 19, v14
	v_fma_f32 v48, v63, v15, v48
	v_fmac_f32_e32 v49, v63, v16
	v_fma_f32 v40, v63, v17, v40
	v_add_u32_e32 v15, 32, v14
	v_add_u32_e32 v16, 33, v14
	;; [unrolled: 1-line block ×3, first 2 shown]
	v_cvt_f32_i32_e32 v18, v18
	v_cvt_f32_i32_e32 v15, v15
	;; [unrolled: 1-line block ×4, first 2 shown]
	v_fmac_f32_e32 v41, v63, v18
	v_add_u32_e32 v18, 35, v14
	v_fma_f32 v42, v63, v15, v42
	v_fmac_f32_e32 v43, v63, v16
	v_fma_f32 v38, v63, v17, v38
	v_add_u32_e32 v15, 48, v14
	v_add_u32_e32 v16, 49, v14
	v_add_u32_e32 v17, 50, v14
	v_add_u32_e32 v14, 51, v14
	v_cvt_f32_i32_e32 v14, v14
	v_cvt_f32_i32_e32 v15, v15
	;; [unrolled: 1-line block ×3, first 2 shown]
	v_cmp_gt_i32_e64 s[8:9], s7, v12
	v_fmac_f32_e32 v35, v63, v14
	v_mov_b32_e32 v14, 0xff7fffff
	v_cmp_gt_i32_e64 s[10:11], s7, v13
	v_fma_f32 v36, v63, v15, v36
	v_cndmask_b32_e64 v15, v14, v10, s[8:9]
	v_cndmask_b32_e64 v13, v14, v11, s[10:11]
	v_fmac_f32_e32 v37, v63, v16
	v_max3_f32 v13, v15, s40, v13
	v_or_b32_e32 v15, 2, v12
	v_or_b32_e32 v16, 3, v12
	v_cmp_gt_i32_e64 s[12:13], s7, v15
	v_cmp_gt_i32_e64 s[14:15], s7, v16
	v_cvt_f32_i32_e32 v18, v18
	v_cndmask_b32_e64 v15, v14, v51, s[12:13]
	v_cndmask_b32_e64 v16, v14, v31, s[14:15]
	v_max3_f32 v13, v13, v15, v16
	v_or_b32_e32 v15, 16, v12
	v_or_b32_e32 v16, 17, v12
	v_cmp_gt_i32_e64 s[16:17], s7, v15
	v_cmp_gt_i32_e64 s[18:19], s7, v16
	v_fmac_f32_e32 v39, v63, v18
	v_cndmask_b32_e64 v15, v14, v48, s[16:17]
	v_cndmask_b32_e64 v16, v14, v49, s[18:19]
	v_max3_f32 v13, v13, v15, v16
	v_or_b32_e32 v15, 18, v12
	v_or_b32_e32 v16, 19, v12
	v_cmp_gt_i32_e64 s[20:21], s7, v15
	v_cmp_gt_i32_e64 s[22:23], s7, v16
	v_cvt_f32_i32_e32 v17, v17
	v_cndmask_b32_e64 v15, v14, v40, s[20:21]
	v_cndmask_b32_e64 v16, v14, v41, s[22:23]
	v_max3_f32 v13, v13, v15, v16
	v_or_b32_e32 v15, 32, v12
	v_or_b32_e32 v16, 33, v12
	v_cmp_gt_i32_e64 s[24:25], s7, v15
	v_cmp_gt_i32_e64 s[26:27], s7, v16
	v_fma_f32 v34, v63, v17, v34
	v_cndmask_b32_e64 v15, v14, v42, s[24:25]
	v_cndmask_b32_e64 v16, v14, v43, s[26:27]
	v_max3_f32 v13, v13, v15, v16
	v_or_b32_e32 v15, 34, v12
	v_or_b32_e32 v16, 35, v12
	v_cmp_gt_i32_e64 s[28:29], s7, v15
	v_cmp_gt_i32_e64 s[30:31], s7, v16
	s_nop 0
	v_cndmask_b32_e64 v15, v14, v38, s[28:29]
	v_cndmask_b32_e64 v16, v14, v39, s[30:31]
	v_max3_f32 v13, v13, v15, v16
	v_or_b32_e32 v15, 48, v12
	v_or_b32_e32 v16, 49, v12
	v_cmp_gt_i32_e64 s[34:35], s7, v15
	v_cmp_gt_i32_e64 s[36:37], s7, v16
	s_nop 0
	v_cndmask_b32_e64 v15, v14, v36, s[34:35]
	v_cndmask_b32_e64 v16, v14, v37, s[36:37]
	v_max3_f32 v13, v13, v15, v16
	v_or_b32_e32 v15, 50, v12
	v_or_b32_e32 v12, 51, v12
	v_cmp_gt_i32_e32 vcc, s7, v15
	v_cmp_gt_i32_e64 s[4:5], s7, v12
	s_nop 0
	v_cndmask_b32_e32 v15, v14, v34, vcc
	v_cndmask_b32_e64 v12, v14, v35, s[4:5]
	v_max3_f32 v16, v13, v15, v12
	v_mbcnt_lo_u32_b32 v12, -1, 0
	v_mbcnt_hi_u32_b32 v17, -1, v12
	v_and_b32_e32 v12, 64, v17
	v_add_u32_e32 v18, 64, v12
	v_xor_b32_e32 v12, 32, v17
	v_cmp_lt_i32_e64 s[38:39], v12, v18
	s_nop 1
	v_cndmask_b32_e64 v12, v17, v12, s[38:39]
	v_lshlrev_b32_e32 v52, 2, v12
	ds_bpermute_b32 v19, v52, v16
	v_lshl_add_u64 v[12:13], v[46:47], 0, v[58:59]
	v_mad_i64_i32 v[14:15], s[38:39], v68, s45, v[12:13]
	s_waitcnt lgkmcnt(0)
	v_max_f32_e32 v19, v19, v19
	v_max_f32_e32 v19, v16, v19
	v_xor_b32_e32 v16, 16, v17
	v_cmp_lt_i32_e64 s[38:39], v16, v18
	s_nop 1
	v_cndmask_b32_e64 v16, v17, v16, s[38:39]
	v_lshlrev_b32_e32 v53, 2, v16
	ds_bpermute_b32 v18, v53, v19
	v_mad_i64_i32 v[16:17], s[38:39], v66, s45, v[12:13]
	v_mad_i64_i32 v[44:45], s[38:39], v67, s45, v[12:13]
	s_waitcnt lgkmcnt(0)
	v_max_f32_e32 v18, v18, v18
	v_max_f32_e32 v50, v19, v18
	v_sub_f32_e32 v10, v10, v50
	v_mul_f32_e32 v10, 0x3fb8aa3b, v10
	v_exp_f32_e32 v18, v10
	v_sub_f32_e32 v10, v11, v50
	v_mul_f32_e32 v10, 0x3fb8aa3b, v10
	v_exp_f32_e32 v19, v10
	v_mad_i64_i32 v[10:11], s[38:39], v65, s45, v[12:13]
	v_sub_f32_e32 v12, v51, v50
	v_mul_f32_e32 v12, 0x3fb8aa3b, v12
	v_cndmask_b32_e64 v46, 0, v18, s[8:9]
	v_cndmask_b32_e64 v47, 0, v19, s[10:11]
	v_sub_f32_e32 v58, v31, v50
	global_load_dwordx4 v[30:33], v[14:15], off
	global_load_dwordx4 v[18:21], v[16:17], off
	v_exp_f32_e32 v51, v12
	global_load_dwordx4 v[14:17], v[44:45], off
	s_nop 0
	global_load_dwordx4 v[10:13], v[10:11], off
	v_sub_f32_e32 v45, v48, v50
	v_sub_f32_e32 v48, v49, v50
	;; [unrolled: 1-line block ×4, first 2 shown]
	v_mul_f32_e32 v44, 0x3fb8aa3b, v58
	v_mul_f32_e32 v45, 0x3fb8aa3b, v45
	;; [unrolled: 1-line block ×5, first 2 shown]
	v_exp_f32_e32 v44, v44
	v_exp_f32_e32 v45, v45
	;; [unrolled: 1-line block ×3, first 2 shown]
	v_cndmask_b32_e64 v48, 0, v51, s[12:13]
	v_exp_f32_e32 v40, v40
	v_exp_f32_e32 v51, v42
	v_sub_f32_e32 v42, v43, v50
	v_mul_f32_e32 v42, 0x3fb8aa3b, v42
	v_cndmask_b32_e64 v49, 0, v44, s[14:15]
	v_cndmask_b32_e64 v44, 0, v45, s[16:17]
	;; [unrolled: 1-line block ×3, first 2 shown]
	v_sub_f32_e32 v41, v41, v50
	v_exp_f32_e32 v58, v42
	v_cndmask_b32_e64 v42, 0, v40, s[20:21]
	v_cndmask_b32_e64 v40, 0, v51, s[24:25]
	v_add_f32_e32 v51, 0, v46
	v_mul_f32_e32 v41, 0x3fb8aa3b, v41
	v_add_f32_e32 v51, v51, v47
	v_exp_f32_e32 v41, v41
	v_add_f32_e32 v51, v51, v48
	v_sub_f32_e32 v38, v38, v50
	v_add_f32_e32 v51, v51, v49
	v_sub_f32_e32 v39, v39, v50
	v_mul_f32_e32 v38, 0x3fb8aa3b, v38
	v_add_f32_e32 v51, v51, v44
	v_exp_f32_e32 v38, v38
	v_mul_f32_e32 v39, 0x3fb8aa3b, v39
	v_sub_f32_e32 v36, v36, v50
	v_add_f32_e32 v51, v51, v45
	v_cndmask_b32_e64 v43, 0, v41, s[22:23]
	v_exp_f32_e32 v39, v39
	v_mul_f32_e32 v36, 0x3fb8aa3b, v36
	v_sub_f32_e32 v37, v37, v50
	v_add_f32_e32 v51, v51, v42
	v_exp_f32_e32 v36, v36
	v_mul_f32_e32 v37, 0x3fb8aa3b, v37
	v_add_f32_e32 v51, v51, v43
	v_sub_f32_e32 v34, v34, v50
	v_cndmask_b32_e64 v41, 0, v58, s[26:27]
	v_exp_f32_e32 v37, v37
	v_add_f32_e32 v51, v51, v40
	v_mul_f32_e32 v34, 0x3fb8aa3b, v34
	v_sub_f32_e32 v35, v35, v50
	v_cndmask_b32_e64 v38, 0, v38, s[28:29]
	v_add_f32_e32 v51, v51, v41
	v_exp_f32_e32 v34, v34
	v_mul_f32_e32 v35, 0x3fb8aa3b, v35
	v_cndmask_b32_e64 v39, 0, v39, s[30:31]
	v_add_f32_e32 v51, v51, v38
	v_exp_f32_e32 v35, v35
	v_cndmask_b32_e64 v36, 0, v36, s[34:35]
	v_add_f32_e32 v51, v51, v39
	v_cndmask_b32_e64 v37, 0, v37, s[36:37]
	v_add_f32_e32 v51, v51, v36
	v_add_f32_e32 v51, v51, v37
	v_cndmask_b32_e32 v34, 0, v34, vcc
	v_add_f32_e32 v51, v51, v34
	v_cndmask_b32_e64 v35, 0, v35, s[4:5]
	v_add_f32_e32 v51, v51, v35
	ds_bpermute_b32 v52, v52, v51
	v_cmp_gt_u32_e32 vcc, 16, v55
	s_waitcnt lgkmcnt(0)
	s_barrier
	v_add_f32_e32 v51, v51, v52
	ds_bpermute_b32 v52, v53, v51
	s_and_saveexec_b64 s[4:5], vcc
	s_cbranch_execz .LBB1059_15
; %bb.14:
	s_waitcnt lgkmcnt(0)
	v_add_f32_e32 v51, v51, v52
	v_lshlrev_b32_e32 v52, 2, v64
	ds_write2st64_b32 v52, v50, v51 offset1:1
.LBB1059_15:
	s_or_b64 exec, exec, s[4:5]
	v_lshlrev_b32_e32 v51, 2, v56
	s_load_dword s7, s[0:1], 0x94
	s_waitcnt lgkmcnt(0)
	s_barrier
	ds_read2_b32 v[52:53], v51 offset1:16
	ds_read2_b32 v[58:59], v51 offset0:32 offset1:48
	ds_read2_b32 v[60:61], v51 offset0:64 offset1:80
	s_mul_i32 s8, s33, 12
	s_waitcnt lgkmcnt(2)
	v_max3_f32 v50, v52, s40, v53
	s_waitcnt lgkmcnt(1)
	v_max3_f32 v50, v50, v58, v59
	v_sub_f32_e32 v52, v52, v50
	v_mul_f32_e32 v52, 0x3fb8aa3b, v52
	v_exp_f32_e32 v55, v52
	v_sub_f32_e32 v52, v53, v50
	v_mul_f32_e32 v52, 0x3fb8aa3b, v52
	v_exp_f32_e32 v63, v52
	;; [unrolled: 3-line block ×3, first 2 shown]
	ds_read2_b32 v[52:53], v51 offset0:96 offset1:112
	v_sub_f32_e32 v51, v59, v50
	v_mul_f32_e32 v51, 0x3fb8aa3b, v51
	v_exp_f32_e32 v59, v51
	s_waitcnt lgkmcnt(1)
	v_fma_f32 v51, v55, v60, 0
	v_fmac_f32_e32 v51, v63, v61
	s_waitcnt lgkmcnt(0)
	v_fmac_f32_e32 v51, v58, v52
	v_fmac_f32_e32 v51, v59, v53
	v_add_f32_e32 v52, 0x358637bd, v51
	v_div_scale_f32 v53, s[4:5], v52, v52, 1.0
	v_rcp_f32_e32 v60, v53
	s_barrier
	v_fma_f32 v61, -v53, v60, 1.0
	v_fmac_f32_e32 v60, v61, v60
	v_div_scale_f32 v61, vcc, 1.0, v52, 1.0
	v_mul_f32_e32 v64, v61, v60
	v_fma_f32 v65, -v53, v64, v61
	v_fmac_f32_e32 v64, v65, v60
	v_fma_f32 v53, -v53, v64, v61
	v_div_fmas_f32 v53, v53, v60, v64
	v_cmp_eq_u32_e32 vcc, 1, v57
	v_div_fixup_f32 v52, v53, v52, 1.0
	s_nop 0
	v_cndmask_b32_e32 v53, v55, v63, vcc
	v_cmp_eq_u32_e32 vcc, 2, v57
	s_nop 1
	v_cndmask_b32_e32 v53, v53, v58, vcc
	v_cmp_eq_u32_e32 vcc, 3, v57
	s_nop 1
	v_cndmask_b32_e32 v53, v53, v59, vcc
	v_mul_f32_e32 v52, v53, v52
	v_pk_mul_f32 v[48:49], v[52:53], v[48:49] op_sel_hi:[0,1]
	v_pk_mul_f32 v[46:47], v[52:53], v[46:47] op_sel_hi:[0,1]
	v_cvt_f16_f32_e32 v53, v48
	v_cvt_f16_f32_e32 v49, v49
	;; [unrolled: 1-line block ×4, first 2 shown]
	v_pk_mul_f32 v[42:43], v[52:53], v[42:43] op_sel_hi:[0,1]
	v_pk_mul_f32 v[44:45], v[52:53], v[44:45] op_sel_hi:[0,1]
	v_pack_b32_f16 v49, v53, v49
	v_cvt_f16_f32_e32 v44, v44
	v_cvt_f16_f32_e32 v45, v45
	;; [unrolled: 1-line block ×4, first 2 shown]
	v_pack_b32_f16 v48, v46, v47
	v_lshlrev_b32_e32 v47, 3, v1
	v_lshlrev_b32_e32 v46, 5, v56
	;; [unrolled: 1-line block ×3, first 2 shown]
	v_or3_b32 v55, v42, v46, v47
	v_pack_b32_f16 v42, v44, v45
	v_pack_b32_f16 v43, v53, v43
	v_pk_mul_f32 v[38:39], v[52:53], v[38:39] op_sel_hi:[0,1]
	v_pk_mul_f32 v[40:41], v[52:53], v[40:41] op_sel_hi:[0,1]
	;; [unrolled: 1-line block ×4, first 2 shown]
	ds_write2st64_b64 v55, v[48:49], v[42:43] offset1:1
	v_cvt_f16_f32_e32 v40, v40
	v_cvt_f16_f32_e32 v41, v41
	;; [unrolled: 1-line block ×8, first 2 shown]
	v_pack_b32_f16 v34, v40, v41
	v_pack_b32_f16 v35, v38, v39
	;; [unrolled: 1-line block ×4, first 2 shown]
	v_cmp_gt_u32_e32 vcc, 12, v0
	ds_write2st64_b64 v55, v[34:35], v[36:37] offset0:2 offset1:3
	s_and_saveexec_b64 s[4:5], vcc
	s_cbranch_execz .LBB1059_17
; %bb.16:
	s_mov_b32 s49, 0
	v_mov_b32_e32 v57, 0
	v_lshl_add_u64 v[34:35], s[48:49], 0, v[56:57]
	v_mov_b32_e32 v36, s8
	v_mad_u64_u32 v[34:35], s[10:11], s2, v36, v[34:35]
	s_mul_i32 s3, s3, s8
	v_mov_b32_e32 v36, s6
	v_mov_b32_e32 v37, v57
	s_load_dwordx4 s[12:15], s[0:1], 0x58
	v_add_u32_e32 v38, s3, v35
	v_mad_u64_u32 v[34:35], s[10:11], v34, s7, v[36:37]
	v_mov_b32_e32 v36, v35
	v_mad_u64_u32 v[36:37], s[10:11], v38, s7, v[36:37]
	v_mov_b32_e32 v35, v36
	v_lshlrev_b64 v[34:35], 2, v[34:35]
	s_waitcnt lgkmcnt(0)
	v_lshl_add_u64 v[36:37], s[14:15], 0, v[34:35]
	v_lshl_add_u64 v[34:35], s[12:13], 0, v[34:35]
	global_store_dword v[36:37], v50, off
	global_store_dword v[34:35], v51, off
.LBB1059_17:
	s_or_b64 exec, exec, s[4:5]
	s_waitcnt vmcnt(7)
	v_cvt_pk_f32_fp8_e32 v[34:35], v6
	v_cvt_pk_f32_fp8_sdwa v[36:37], v6 src0_sel:WORD_1
	v_lshl_or_b32 v50, v1, 9, v46
	s_waitcnt lgkmcnt(0)
	s_barrier
	v_cvt_pk_f32_fp8_e32 v[38:39], v7
	v_cvt_pkrtz_f16_f32 v6, v34, v35
	v_cvt_pk_f32_fp8_sdwa v[40:41], v7 src0_sel:WORD_1
	v_cvt_pkrtz_f16_f32 v7, v36, v37
	ds_read_b128 v[34:37], v50
	v_cvt_pkrtz_f16_f32 v46, v38, v39
	v_cvt_pkrtz_f16_f32 v47, v40, v41
	ds_read_b128 v[38:41], v50 offset:16
	v_cvt_pk_f32_fp8_e32 v[48:49], v8
	v_cvt_pk_f32_fp8_sdwa v[52:53], v8 src0_sel:WORD_1
	s_waitcnt lgkmcnt(1)
	v_mfma_f32_16x16x16_f16 v[42:45], v[6:7], v[34:35], 0
	s_waitcnt vmcnt(6)
	v_cvt_pk_f32_fp8_e32 v[58:59], v4
	v_cvt_pkrtz_f16_f32 v6, v48, v49
	v_cvt_pkrtz_f16_f32 v7, v52, v53
	v_cvt_pk_f32_fp8_e32 v[48:49], v9
	v_mfma_f32_16x16x16_f16 v[42:45], v[46:47], v[36:37], v[42:45]
	v_cvt_pk_f32_fp8_sdwa v[46:47], v9 src0_sel:WORD_1
	v_cvt_pk_f32_fp8_sdwa v[60:61], v4 src0_sel:WORD_1
	v_cvt_pkrtz_f16_f32 v48, v48, v49
	s_waitcnt lgkmcnt(0)
	v_mfma_f32_16x16x16_f16 v[6:9], v[6:7], v[38:39], v[42:45]
	v_cvt_pkrtz_f16_f32 v49, v46, v47
	s_waitcnt vmcnt(5)
	v_cvt_pk_f32_fp8_e32 v[64:65], v28
	v_cvt_pk_f32_fp8_sdwa v[66:67], v28 src0_sel:WORD_1
	v_cvt_pk_f32_fp8_e32 v[42:43], v2
	v_mfma_f32_16x16x16_f16 v[46:49], v[48:49], v[40:41], v[6:9]
	s_waitcnt vmcnt(4)
	v_cvt_pk_f32_fp8_sdwa v[68:69], v24 src0_sel:WORD_1
	s_load_dword s4, s[42:43], 0x0
	v_cvt_pk_f32_fp8_sdwa v[6:7], v2 src0_sel:WORD_1
	v_cvt_pk_f32_fp8_e32 v[8:9], v3
	v_cvt_pkrtz_f16_f32 v2, v42, v43
	v_cvt_pk_f32_fp8_sdwa v[42:43], v3 src0_sel:WORD_1
	v_cvt_pkrtz_f16_f32 v3, v6, v7
	v_cvt_pkrtz_f16_f32 v52, v8, v9
	ds_read_b128 v[6:9], v50 offset:2048
	v_cvt_pkrtz_f16_f32 v53, v42, v43
	ds_read_b128 v[42:45], v50 offset:2064
	s_waitcnt lgkmcnt(0)
	v_mfma_f32_16x16x16_f16 v[46:49], v[2:3], v[6:7], v[46:49]
	v_cvt_pkrtz_f16_f32 v2, v58, v59
	v_cvt_pkrtz_f16_f32 v3, v60, v61
	v_cvt_pk_f32_fp8_e32 v[58:59], v5
	v_mfma_f32_16x16x16_f16 v[46:49], v[52:53], v[8:9], v[46:49]
	v_cvt_pk_f32_fp8_sdwa v[52:53], v5 src0_sel:WORD_1
	s_mov_b32 s3, 0
	v_cvt_pkrtz_f16_f32 v58, v58, v59
	v_mfma_f32_16x16x16_f16 v[2:5], v[2:3], v[42:43], v[46:49]
	v_cvt_pkrtz_f16_f32 v59, v52, v53
	v_cmp_gt_u32_e32 vcc, 64, v0
	s_nop 0
	v_cvt_pk_f32_fp8_e32 v[46:47], v26
	v_mfma_f32_16x16x16_f16 v[58:61], v[58:59], v[44:45], v[2:5]
	s_nop 2
	v_cvt_pk_f32_fp8_sdwa v[2:3], v26 src0_sel:WORD_1
	v_cvt_pk_f32_fp8_e32 v[4:5], v27
	v_cvt_pkrtz_f16_f32 v26, v46, v47
	v_cvt_pk_f32_fp8_sdwa v[46:47], v27 src0_sel:WORD_1
	v_cvt_pkrtz_f16_f32 v27, v2, v3
	v_cvt_pkrtz_f16_f32 v52, v4, v5
	ds_read_b128 v[2:5], v50 offset:4096
	v_cvt_pkrtz_f16_f32 v53, v46, v47
	ds_read_b128 v[46:49], v50 offset:4112
	s_waitcnt lgkmcnt(1)
	v_mfma_f32_16x16x16_f16 v[58:61], v[26:27], v[2:3], v[58:61]
	v_cvt_pkrtz_f16_f32 v26, v64, v65
	v_cvt_pkrtz_f16_f32 v27, v66, v67
	v_cvt_pk_f32_fp8_e32 v[64:65], v29
	v_mfma_f32_16x16x16_f16 v[58:61], v[52:53], v[4:5], v[58:61]
	v_cvt_pk_f32_fp8_sdwa v[52:53], v29 src0_sel:WORD_1
	v_cvt_pk_f32_fp8_e32 v[66:67], v24
	v_cvt_pkrtz_f16_f32 v64, v64, v65
	s_waitcnt lgkmcnt(0)
	v_mfma_f32_16x16x16_f16 v[26:29], v[26:27], v[46:47], v[58:61]
	v_cvt_pkrtz_f16_f32 v65, v52, v53
	v_cvt_pk_f32_fp8_e32 v[52:53], v22
	s_nop 0
	v_mfma_f32_16x16x16_f16 v[58:61], v[64:65], v[48:49], v[26:29]
	s_nop 2
	v_cvt_pk_f32_fp8_sdwa v[26:27], v22 src0_sel:WORD_1
	v_cvt_pk_f32_fp8_e32 v[28:29], v23
	v_cvt_pkrtz_f16_f32 v22, v52, v53
	v_cvt_pk_f32_fp8_sdwa v[52:53], v23 src0_sel:WORD_1
	v_cvt_pkrtz_f16_f32 v23, v26, v27
	v_cvt_pkrtz_f16_f32 v64, v28, v29
	ds_read_b128 v[26:29], v50 offset:6144
	v_cvt_pkrtz_f16_f32 v65, v52, v53
	s_waitcnt lgkmcnt(0)
	v_mfma_f32_16x16x16_f16 v[58:61], v[22:23], v[26:27], v[58:61]
	ds_read_b128 v[50:53], v50 offset:6160
	v_cvt_pkrtz_f16_f32 v22, v66, v67
	v_cvt_pkrtz_f16_f32 v23, v68, v69
	v_mfma_f32_16x16x16_f16 v[58:61], v[64:65], v[28:29], v[58:61]
	v_cvt_pk_f32_fp8_e32 v[66:67], v25
	v_cvt_pk_f32_fp8_sdwa v[64:65], v25 src0_sel:WORD_1
	s_waitcnt vmcnt(3)
	v_cvt_pk_f32_fp8_sdwa v[68:69], v32 src0_sel:WORD_1
	s_waitcnt lgkmcnt(0)
	v_mfma_f32_16x16x16_f16 v[22:25], v[22:23], v[50:51], v[58:61]
	v_cvt_pkrtz_f16_f32 v66, v66, v67
	v_cvt_pkrtz_f16_f32 v67, v64, v65
	v_cvt_pk_f32_fp8_e32 v[64:65], v31
	v_cvt_pk_f32_fp8_e32 v[58:59], v30
	v_cvt_pk_f32_fp8_sdwa v[60:61], v30 src0_sel:WORD_1
	v_cvt_pk_f32_fp8_sdwa v[30:31], v31 src0_sel:WORD_1
	v_mfma_f32_16x16x16_f16 v[22:25], v[66:67], v[52:53], v[22:25]
	v_cvt_pkrtz_f16_f32 v58, v58, v59
	v_cvt_pkrtz_f16_f32 v59, v60, v61
	;; [unrolled: 1-line block ×3, first 2 shown]
	v_cvt_pk_f32_fp8_e32 v[66:67], v32
	v_cvt_pkrtz_f16_f32 v65, v30, v31
	v_mfma_f32_16x16x16_f16 v[58:61], v[58:59], v[34:35], 0
	v_cvt_pkrtz_f16_f32 v30, v66, v67
	v_cvt_pkrtz_f16_f32 v31, v68, v69
	v_cvt_pk_f32_fp8_e32 v[66:67], v33
	v_mfma_f32_16x16x16_f16 v[34:37], v[64:65], v[36:37], v[58:61]
	s_barrier
	s_nop 1
	v_cvt_pk_f32_fp8_sdwa v[58:59], v33 src0_sel:WORD_1
	v_cvt_pkrtz_f16_f32 v60, v66, v67
	v_mfma_f32_16x16x16_f16 v[30:33], v[30:31], v[38:39], v[34:37]
	s_waitcnt vmcnt(2)
	v_cvt_pk_f32_fp8_e32 v[38:39], v19
	v_cvt_pkrtz_f16_f32 v61, v58, v59
	v_cvt_pk_f32_fp8_e32 v[34:35], v18
	v_cvt_pk_f32_fp8_sdwa v[36:37], v18 src0_sel:WORD_1
	v_cvt_pk_f32_fp8_sdwa v[18:19], v19 src0_sel:WORD_1
	v_mfma_f32_16x16x16_f16 v[30:33], v[60:61], v[40:41], v[30:33]
	v_cvt_pkrtz_f16_f32 v34, v34, v35
	v_cvt_pkrtz_f16_f32 v35, v36, v37
	;; [unrolled: 1-line block ×3, first 2 shown]
	v_cvt_pk_f32_fp8_e32 v[38:39], v20
	v_cvt_pk_f32_fp8_sdwa v[40:41], v20 src0_sel:WORD_1
	v_cvt_pkrtz_f16_f32 v37, v18, v19
	v_mfma_f32_16x16x16_f16 v[30:33], v[34:35], v[6:7], v[30:33]
	v_cvt_pkrtz_f16_f32 v18, v38, v39
	v_cvt_pkrtz_f16_f32 v19, v40, v41
	v_cvt_pk_f32_fp8_e32 v[34:35], v21
	v_cvt_pk_f32_fp8_sdwa v[20:21], v21 src0_sel:WORD_1
	v_mfma_f32_16x16x16_f16 v[6:9], v[36:37], v[8:9], v[30:33]
	s_nop 2
	v_cvt_pkrtz_f16_f32 v30, v34, v35
	v_cvt_pkrtz_f16_f32 v31, v20, v21
	v_mfma_f32_16x16x16_f16 v[6:9], v[18:19], v[42:43], v[6:9]
	s_waitcnt vmcnt(1)
	v_cvt_pk_f32_fp8_e32 v[18:19], v14
	v_cvt_pk_f32_fp8_sdwa v[20:21], v14 src0_sel:WORD_1
	v_cvt_pk_f32_fp8_sdwa v[32:33], v16 src0_sel:WORD_1
	v_mfma_f32_16x16x16_f16 v[6:9], v[30:31], v[44:45], v[6:9]
	v_cvt_pk_f32_fp8_e32 v[30:31], v15
	v_cvt_pkrtz_f16_f32 v18, v18, v19
	v_cvt_pkrtz_f16_f32 v19, v20, v21
	v_cvt_pk_f32_fp8_sdwa v[14:15], v15 src0_sel:WORD_1
	v_cvt_pkrtz_f16_f32 v20, v30, v31
	v_cvt_pk_f32_fp8_e32 v[30:31], v16
	v_mfma_f32_16x16x16_f16 v[6:9], v[18:19], v[2:3], v[6:9]
	v_cvt_pkrtz_f16_f32 v21, v14, v15
	v_cvt_pkrtz_f16_f32 v14, v30, v31
	;; [unrolled: 1-line block ×3, first 2 shown]
	v_cvt_pk_f32_fp8_e32 v[18:19], v17
	v_cvt_pk_f32_fp8_sdwa v[16:17], v17 src0_sel:WORD_1
	v_mfma_f32_16x16x16_f16 v[2:5], v[20:21], v[4:5], v[6:9]
	s_waitcnt vmcnt(0)
	v_cvt_pk_f32_fp8_sdwa v[20:21], v12 src0_sel:WORD_1
	s_nop 0
	v_cvt_pkrtz_f16_f32 v8, v18, v19
	v_cvt_pkrtz_f16_f32 v9, v16, v17
	v_mfma_f32_16x16x16_f16 v[2:5], v[14:15], v[46:47], v[2:5]
	v_cvt_pk_f32_fp8_e32 v[16:17], v10
	v_cvt_pk_f32_fp8_sdwa v[18:19], v10 src0_sel:WORD_1
	v_pk_mul_f32 v[6:7], v[24:25], s[4:5] op_sel_hi:[1,0]
	v_mfma_f32_16x16x16_f16 v[2:5], v[8:9], v[48:49], v[2:5]
	v_cvt_pk_f32_fp8_e32 v[8:9], v11
	v_cvt_pkrtz_f16_f32 v16, v16, v17
	v_cvt_pkrtz_f16_f32 v17, v18, v19
	v_cvt_pk_f32_fp8_sdwa v[10:11], v11 src0_sel:WORD_1
	v_cvt_pkrtz_f16_f32 v8, v8, v9
	v_cvt_pk_f32_fp8_e32 v[18:19], v12
	v_mfma_f32_16x16x16_f16 v[2:5], v[16:17], v[26:27], v[2:5]
	v_cvt_pkrtz_f16_f32 v9, v10, v11
	v_cvt_pkrtz_f16_f32 v10, v18, v19
	;; [unrolled: 1-line block ×3, first 2 shown]
	v_cvt_pk_f32_fp8_e32 v[16:17], v13
	v_cvt_pk_f32_fp8_sdwa v[12:13], v13 src0_sel:WORD_1
	v_mfma_f32_16x16x16_f16 v[2:5], v[8:9], v[28:29], v[2:5]
	v_pk_mul_f32 v[14:15], v[22:23], s[4:5] op_sel_hi:[1,0]
	v_cvt_pkrtz_f16_f32 v8, v16, v17
	v_cvt_pkrtz_f16_f32 v9, v12, v13
	v_mfma_f32_16x16x16_f16 v[2:5], v[10:11], v[50:51], v[2:5]
	v_cvt_f16_f32_e32 v14, v14
	v_cvt_f16_f32_e32 v10, v15
	;; [unrolled: 1-line block ×3, first 2 shown]
	v_mfma_f32_16x16x16_f16 v[2:5], v[8:9], v[52:53], v[2:5]
	v_cvt_f16_f32_e32 v7, v7
	s_nop 5
	v_pk_mul_f32 v[4:5], v[4:5], s[4:5] op_sel_hi:[1,0]
	v_pk_mul_f32 v[2:3], v[2:3], s[4:5] op_sel_hi:[1,0]
	v_cvt_f16_f32_e32 v11, v4
	v_cvt_f16_f32_e32 v8, v2
	;; [unrolled: 1-line block ×4, first 2 shown]
	v_pack_b32_f16 v2, v14, v10
	v_pack_b32_f16 v3, v6, v7
	;; [unrolled: 1-line block ×4, first 2 shown]
	ds_write2st64_b64 v55, v[2:3], v[4:5] offset1:1
	s_waitcnt lgkmcnt(0)
	s_barrier
	s_and_saveexec_b64 s[4:5], vcc
	s_cbranch_execz .LBB1059_19
; %bb.18:
	s_load_dwordx2 s[0:1], s[0:1], 0x68
	s_lshl_b32 s7, s7, 7
	s_mul_i32 s2, s8, s2
	s_mul_hi_u32 s5, s2, s7
	s_mul_i32 s4, s2, s7
	s_lshl_b64 s[4:5], s[4:5], 1
	v_lshlrev_b32_e32 v4, 6, v56
	s_waitcnt lgkmcnt(0)
	s_add_u32 s4, s0, s4
	v_lshl_or_b32 v0, v0, 10, v4
	s_addc_u32 s5, s1, s5
	s_lshl_b32 s2, s6, 7
	v_lshlrev_b32_e32 v2, 5, v1
	v_and_b32_e32 v3, 16, v62
	v_and_b32_e32 v0, 0x1a00, v0
	s_lshl_b64 s[0:1], s[2:3], 1
	v_or3_b32 v0, v0, v2, v3
	s_add_u32 s0, s4, s0
	ds_read_b128 v[2:5], v0
	ds_read_b128 v[6:9], v0 offset:128
	ds_read_b128 v[10:13], v0 offset:256
	s_addc_u32 s1, s5, s1
	v_or_b32_e32 v16, s48, v1
	v_mov_b32_e32 v55, 0
	v_lshl_add_u64 v[0:1], s[0:1], 0, v[54:55]
	v_mad_u64_u32 v[14:15], s[0:1], v16, s7, 0
	v_lshl_add_u64 v[14:15], v[14:15], 1, v[0:1]
	s_waitcnt lgkmcnt(2)
	global_store_dwordx4 v[14:15], v[2:5], off
	s_nop 1
	v_add_u32_e32 v2, 4, v16
	v_mad_u64_u32 v[2:3], s[0:1], v2, s7, 0
	v_lshl_add_u64 v[2:3], v[2:3], 1, v[0:1]
	s_waitcnt lgkmcnt(1)
	global_store_dwordx4 v[2:3], v[6:9], off
	v_add_u32_e32 v2, 8, v16
	v_mad_u64_u32 v[2:3], s[0:1], v2, s7, 0
	v_lshl_add_u64 v[0:1], v[2:3], 1, v[0:1]
	s_waitcnt lgkmcnt(0)
	global_store_dwordx4 v[0:1], v[10:13], off
.LBB1059_19:
	s_endpgm
	.section	.rodata,"a",@progbits
	.p2align	6, 0x0
	.amdhsa_kernel _Z39paged_attention_ll4mi_QKV_mfma16_kernelIDF16_hLN4vllm18Fp8KVCacheDataTypeE1EDF16_Li32ELi128ELi256ELb1ELi12EEvPKT_PKT0_S7_ifPKiS9_S9_iPKfiiiPfSC_PS2_PT2_iSB_SB_
		.amdhsa_group_segment_fixed_size 8192
		.amdhsa_private_segment_fixed_size 0
		.amdhsa_kernarg_size 400
		.amdhsa_user_sgpr_count 2
		.amdhsa_user_sgpr_dispatch_ptr 0
		.amdhsa_user_sgpr_queue_ptr 0
		.amdhsa_user_sgpr_kernarg_segment_ptr 1
		.amdhsa_user_sgpr_dispatch_id 0
		.amdhsa_user_sgpr_kernarg_preload_length 0
		.amdhsa_user_sgpr_kernarg_preload_offset 0
		.amdhsa_user_sgpr_private_segment_size 0
		.amdhsa_uses_dynamic_stack 0
		.amdhsa_enable_private_segment 0
		.amdhsa_system_sgpr_workgroup_id_x 1
		.amdhsa_system_sgpr_workgroup_id_y 1
		.amdhsa_system_sgpr_workgroup_id_z 1
		.amdhsa_system_sgpr_workgroup_info 0
		.amdhsa_system_vgpr_workitem_id 0
		.amdhsa_next_free_vgpr 78
		.amdhsa_next_free_sgpr 50
		.amdhsa_accum_offset 80
		.amdhsa_reserve_vcc 1
		.amdhsa_float_round_mode_32 0
		.amdhsa_float_round_mode_16_64 0
		.amdhsa_float_denorm_mode_32 3
		.amdhsa_float_denorm_mode_16_64 3
		.amdhsa_dx10_clamp 1
		.amdhsa_ieee_mode 1
		.amdhsa_fp16_overflow 0
		.amdhsa_tg_split 0
		.amdhsa_exception_fp_ieee_invalid_op 0
		.amdhsa_exception_fp_denorm_src 0
		.amdhsa_exception_fp_ieee_div_zero 0
		.amdhsa_exception_fp_ieee_overflow 0
		.amdhsa_exception_fp_ieee_underflow 0
		.amdhsa_exception_fp_ieee_inexact 0
		.amdhsa_exception_int_div_zero 0
	.end_amdhsa_kernel
	.section	.text._Z39paged_attention_ll4mi_QKV_mfma16_kernelIDF16_hLN4vllm18Fp8KVCacheDataTypeE1EDF16_Li32ELi128ELi256ELb1ELi12EEvPKT_PKT0_S7_ifPKiS9_S9_iPKfiiiPfSC_PS2_PT2_iSB_SB_,"axG",@progbits,_Z39paged_attention_ll4mi_QKV_mfma16_kernelIDF16_hLN4vllm18Fp8KVCacheDataTypeE1EDF16_Li32ELi128ELi256ELb1ELi12EEvPKT_PKT0_S7_ifPKiS9_S9_iPKfiiiPfSC_PS2_PT2_iSB_SB_,comdat
.Lfunc_end1059:
	.size	_Z39paged_attention_ll4mi_QKV_mfma16_kernelIDF16_hLN4vllm18Fp8KVCacheDataTypeE1EDF16_Li32ELi128ELi256ELb1ELi12EEvPKT_PKT0_S7_ifPKiS9_S9_iPKfiiiPfSC_PS2_PT2_iSB_SB_, .Lfunc_end1059-_Z39paged_attention_ll4mi_QKV_mfma16_kernelIDF16_hLN4vllm18Fp8KVCacheDataTypeE1EDF16_Li32ELi128ELi256ELb1ELi12EEvPKT_PKT0_S7_ifPKiS9_S9_iPKfiiiPfSC_PS2_PT2_iSB_SB_
                                        ; -- End function
	.section	.AMDGPU.csdata,"",@progbits
; Kernel info:
; codeLenInByte = 6372
; NumSgprs: 56
; NumVgprs: 78
; NumAgprs: 0
; TotalNumVgprs: 78
; ScratchSize: 0
; MemoryBound: 0
; FloatMode: 240
; IeeeMode: 1
; LDSByteSize: 8192 bytes/workgroup (compile time only)
; SGPRBlocks: 6
; VGPRBlocks: 9
; NumSGPRsForWavesPerEU: 56
; NumVGPRsForWavesPerEU: 78
; AccumOffset: 80
; Occupancy: 6
; WaveLimiterHint : 1
; COMPUTE_PGM_RSRC2:SCRATCH_EN: 0
; COMPUTE_PGM_RSRC2:USER_SGPR: 2
; COMPUTE_PGM_RSRC2:TRAP_HANDLER: 0
; COMPUTE_PGM_RSRC2:TGID_X_EN: 1
; COMPUTE_PGM_RSRC2:TGID_Y_EN: 1
; COMPUTE_PGM_RSRC2:TGID_Z_EN: 1
; COMPUTE_PGM_RSRC2:TIDIG_COMP_CNT: 0
; COMPUTE_PGM_RSRC3_GFX90A:ACCUM_OFFSET: 19
; COMPUTE_PGM_RSRC3_GFX90A:TG_SPLIT: 0
	.section	.text._Z39paged_attention_ll4mi_QKV_mfma16_kernelIDF16_hLN4vllm18Fp8KVCacheDataTypeE1EDF16_Li32ELi128ELi256ELb1ELi13EEvPKT_PKT0_S7_ifPKiS9_S9_iPKfiiiPfSC_PS2_PT2_iSB_SB_,"axG",@progbits,_Z39paged_attention_ll4mi_QKV_mfma16_kernelIDF16_hLN4vllm18Fp8KVCacheDataTypeE1EDF16_Li32ELi128ELi256ELb1ELi13EEvPKT_PKT0_S7_ifPKiS9_S9_iPKfiiiPfSC_PS2_PT2_iSB_SB_,comdat
	.protected	_Z39paged_attention_ll4mi_QKV_mfma16_kernelIDF16_hLN4vllm18Fp8KVCacheDataTypeE1EDF16_Li32ELi128ELi256ELb1ELi13EEvPKT_PKT0_S7_ifPKiS9_S9_iPKfiiiPfSC_PS2_PT2_iSB_SB_ ; -- Begin function _Z39paged_attention_ll4mi_QKV_mfma16_kernelIDF16_hLN4vllm18Fp8KVCacheDataTypeE1EDF16_Li32ELi128ELi256ELb1ELi13EEvPKT_PKT0_S7_ifPKiS9_S9_iPKfiiiPfSC_PS2_PT2_iSB_SB_
	.globl	_Z39paged_attention_ll4mi_QKV_mfma16_kernelIDF16_hLN4vllm18Fp8KVCacheDataTypeE1EDF16_Li32ELi128ELi256ELb1ELi13EEvPKT_PKT0_S7_ifPKiS9_S9_iPKfiiiPfSC_PS2_PT2_iSB_SB_
	.p2align	8
	.type	_Z39paged_attention_ll4mi_QKV_mfma16_kernelIDF16_hLN4vllm18Fp8KVCacheDataTypeE1EDF16_Li32ELi128ELi256ELb1ELi13EEvPKT_PKT0_S7_ifPKiS9_S9_iPKfiiiPfSC_PS2_PT2_iSB_SB_,@function
_Z39paged_attention_ll4mi_QKV_mfma16_kernelIDF16_hLN4vllm18Fp8KVCacheDataTypeE1EDF16_Li32ELi128ELi256ELb1ELi13EEvPKT_PKT0_S7_ifPKiS9_S9_iPKfiiiPfSC_PS2_PT2_iSB_SB_: ; @_Z39paged_attention_ll4mi_QKV_mfma16_kernelIDF16_hLN4vllm18Fp8KVCacheDataTypeE1EDF16_Li32ELi128ELi256ELb1ELi13EEvPKT_PKT0_S7_ifPKiS9_S9_iPKfiiiPfSC_PS2_PT2_iSB_SB_
; %bb.0:
	s_load_dwordx2 s[10:11], s[0:1], 0x30
	s_mov_b32 s6, s3
	s_mov_b64 s[8:9], 0
	s_waitcnt lgkmcnt(0)
	s_cmp_lg_u64 s[10:11], 0
	s_cselect_b64 s[12:13], -1, 0
	s_and_b64 vcc, exec, s[12:13]
	s_cbranch_vccz .LBB1060_7
; %bb.1:
	s_add_i32 s14, s2, 1
	s_mov_b32 s15, 0
	s_lshl_b64 s[16:17], s[14:15], 2
	s_add_u32 s16, s10, s16
	s_mov_b32 s3, s15
	s_addc_u32 s17, s11, s17
	s_lshl_b64 s[14:15], s[2:3], 2
	s_add_u32 s14, s10, s14
	s_addc_u32 s15, s11, s15
	s_load_dword s5, s[16:17], 0x0
	s_load_dword s7, s[14:15], 0x0
	s_waitcnt lgkmcnt(0)
	s_sub_i32 s5, s5, s7
	s_cmp_eq_u32 s5, 1
	s_cselect_b64 s[14:15], -1, 0
	s_andn2_b64 vcc, exec, s[8:9]
	s_cbranch_vccnz .LBB1060_3
.LBB1060_2:
	s_mov_b32 s3, 0
	s_mov_b64 s[14:15], -1
.LBB1060_3:
	s_andn2_b64 vcc, exec, s[14:15]
	s_cbranch_vccnz .LBB1060_20
; %bb.4:
	s_load_dwordx2 s[8:9], s[0:1], 0x28
	s_lshl_b64 s[14:15], s[2:3], 2
	s_waitcnt lgkmcnt(0)
	s_add_u32 s8, s8, s14
	s_addc_u32 s9, s9, s15
	s_load_dword s7, s[8:9], 0x0
	s_lshl_b32 s18, s6, 8
	s_waitcnt lgkmcnt(0)
	s_cmp_ge_i32 s18, s7
	s_cbranch_scc1 .LBB1060_20
; %bb.5:
	s_load_dwordx2 s[8:9], s[0:1], 0x20
	s_load_dword s5, s[0:1], 0x38
	s_add_i32 s16, s7, 31
	s_ashr_i32 s17, s16, 31
	v_and_b32_e32 v1, 0xcf, v0
	s_lshr_b32 s17, s17, 27
	v_add_u32_e32 v1, s18, v1
	s_add_i32 s16, s16, s17
	v_ashrrev_i32_e32 v2, 31, v1
	s_ashr_i32 s19, s16, 5
	v_lshrrev_b32_e32 v4, 27, v2
	s_add_i32 s19, s19, -1
	s_waitcnt lgkmcnt(0)
	s_mul_i32 s16, s2, s5
	s_mov_b32 s17, 0
	v_add_u32_e32 v2, v1, v4
	s_lshl_b64 s[16:17], s[16:17], 2
	v_ashrrev_i32_e32 v2, 5, v2
	v_mov_b32_e32 v5, s19
	v_cmp_gt_i32_e32 vcc, s7, v1
	s_add_u32 s8, s8, s16
	s_addc_u32 s9, s9, s17
	v_cndmask_b32_e32 v2, v5, v2, vcc
	v_ashrrev_i32_e32 v3, 31, v2
	v_lshl_add_u64 v[6:7], v[2:3], 2, s[8:9]
	v_or_b32_e32 v2, 16, v1
	v_add_u32_e32 v3, v2, v4
	v_ashrrev_i32_e32 v3, 5, v3
	v_cmp_gt_i32_e32 vcc, s7, v2
	s_load_dwordx2 s[16:17], s[0:1], 0x8
	s_nop 0
	v_cndmask_b32_e32 v2, v5, v3, vcc
	v_ashrrev_i32_e32 v3, 31, v2
	v_lshl_add_u64 v[8:9], v[2:3], 2, s[8:9]
	v_or_b32_e32 v2, 32, v1
	v_add_u32_e32 v3, v2, v4
	v_ashrrev_i32_e32 v3, 5, v3
	v_cmp_gt_i32_e32 vcc, s7, v2
	v_or_b32_e32 v1, 48, v1
	s_nop 0
	v_cndmask_b32_e32 v2, v5, v3, vcc
	v_ashrrev_i32_e32 v3, 31, v2
	v_lshl_add_u64 v[12:13], v[2:3], 2, s[8:9]
	v_add_u32_e32 v2, v1, v4
	v_ashrrev_i32_e32 v2, 5, v2
	v_cmp_gt_i32_e32 vcc, s7, v1
	s_nop 1
	v_cndmask_b32_e32 v2, v5, v2, vcc
	v_ashrrev_i32_e32 v3, 31, v2
	v_lshl_add_u64 v[14:15], v[2:3], 2, s[8:9]
	global_load_dword v4, v[6:7], off
	global_load_dword v3, v[8:9], off
	;; [unrolled: 1-line block ×4, first 2 shown]
	s_andn2_b64 vcc, exec, s[12:13]
	s_cbranch_vccnz .LBB1060_8
; %bb.6:
	s_add_u32 s10, s10, s14
	s_addc_u32 s11, s11, s15
	s_load_dword s5, s[10:11], 0x0
	s_branch .LBB1060_9
.LBB1060_7:
	s_mov_b64 s[14:15], 0
	s_branch .LBB1060_2
.LBB1060_8:
	s_mov_b32 s5, s2
.LBB1060_9:
	s_load_dwordx2 s[10:11], s[0:1], 0x10
	s_load_dwordx4 s[44:47], s[0:1], 0x48
	v_lshrrev_b32_e32 v57, 6, v0
	v_bfe_u32 v62, v0, 4, 2
	v_and_b32_e32 v56, 15, v0
	v_lshl_or_b32 v5, v57, 2, v62
	v_lshlrev_b32_e32 v1, 3, v56
	s_mul_i32 s48, s4, 13
	v_cmp_gt_u32_e32 vcc, 13, v5
	v_lshlrev_b32_e32 v54, 1, v1
	v_lshlrev_b32_e32 v1, 4, v0
	s_and_saveexec_b64 s[12:13], vcc
	s_cbranch_execz .LBB1060_11
; %bb.10:
	s_load_dwordx2 s[14:15], s[0:1], 0x0
	s_waitcnt lgkmcnt(0)
	s_ashr_i32 s20, s44, 31
	s_mul_hi_u32 s21, s5, s44
	s_mul_i32 s20, s5, s20
	s_add_i32 s21, s21, s20
	s_mul_i32 s20, s5, s44
	s_lshl_b64 s[20:21], s[20:21], 1
	s_add_u32 s14, s14, s20
	v_add_lshl_u32 v6, v5, s48, 7
	s_addc_u32 s15, s15, s21
	v_ashrrev_i32_e32 v7, 31, v6
	v_lshl_add_u64 v[6:7], v[6:7], 1, s[14:15]
	v_mov_b32_e32 v55, 0
	v_lshl_add_u64 v[6:7], v[6:7], 0, v[54:55]
	global_load_dwordx4 v[6:9], v[6:7], off
	v_lshlrev_b32_e32 v12, 8, v0
	v_lshlrev_b32_e32 v11, 8, v56
	v_and_b32_e32 v12, 0x600, v12
	s_movk_i32 s5, 0x800
	v_and_or_b32 v11, v11, s5, v12
	v_lshlrev_b32_e32 v5, 5, v5
	v_and_b32_e32 v12, 16, v1
	v_or3_b32 v5, v11, v5, v12
	s_waitcnt vmcnt(0)
	ds_write_b128 v5, v[6:9]
.LBB1060_11:
	s_or_b64 exec, exec, s[12:13]
	s_waitcnt lgkmcnt(0)
	s_mul_i32 s12, s4, s46
	s_add_u32 s4, s16, s12
	s_addc_u32 s5, s17, 0
	v_mov_b32_e32 v59, 0
	v_mov_b64_e32 v[12:13], s[4:5]
	v_and_b32_e32 v34, 48, v0
	s_waitcnt vmcnt(3)
	v_mad_i64_i32 v[4:5], s[4:5], v4, s45, v[12:13]
	v_lshlrev_b32_e32 v14, 4, v56
	v_mov_b32_e32 v15, v59
	v_lshlrev_b32_e32 v58, 5, v34
	v_lshl_add_u64 v[4:5], v[4:5], 0, v[14:15]
	v_lshl_add_u64 v[4:5], v[4:5], 0, v[58:59]
	s_barrier
	global_load_dwordx4 v[50:53], v[4:5], off
	global_load_dwordx4 v[46:49], v[4:5], off offset:2048
	s_waitcnt vmcnt(4)
	v_mad_i64_i32 v[4:5], s[4:5], v3, s45, v[12:13]
	v_or_b32_e32 v16, 0x100, v14
	v_mov_b32_e32 v17, v59
	s_waitcnt vmcnt(3)
	v_mad_i64_i32 v[2:3], s[4:5], v2, s45, v[12:13]
	v_lshl_add_u64 v[4:5], v[4:5], 0, v[16:17]
	v_lshl_add_u64 v[2:3], v[2:3], 0, v[14:15]
	s_waitcnt vmcnt(2)
	v_mad_i64_i32 v[10:11], s[4:5], v10, s45, v[12:13]
	v_lshl_add_u64 v[4:5], v[4:5], 0, v[58:59]
	v_lshl_add_u64 v[14:15], v[2:3], 0, v[58:59]
	;; [unrolled: 1-line block ×3, first 2 shown]
	global_load_dwordx4 v[36:39], v[4:5], off
	global_load_dwordx4 v[6:9], v[4:5], off offset:2048
	s_nop 0
	global_load_dwordx4 v[2:5], v[14:15], off
	global_load_dwordx4 v[42:45], v[14:15], off offset:2048
	v_lshl_add_u64 v[14:15], v[10:11], 0, v[58:59]
	global_load_dwordx4 v[26:29], v[14:15], off
	global_load_dwordx4 v[10:13], v[14:15], off offset:2048
	v_add_u32_e32 v14, -13, v56
	v_cmp_gt_u32_e32 vcc, 13, v56
	v_and_b32_e32 v55, 63, v0
	v_mov_b32_e32 v63, 0
	v_cndmask_b32_e32 v14, v14, v56, vcc
	v_lshlrev_b32_e32 v14, 5, v14
	v_lshl_add_u32 v14, v62, 9, v14
	ds_read_b128 v[30:33], v14
	ds_read_b128 v[22:25], v14 offset:16
	ds_read_b128 v[18:21], v14 offset:2048
	;; [unrolled: 1-line block ×3, first 2 shown]
	s_and_saveexec_b64 s[4:5], vcc
	s_cbranch_execz .LBB1060_13
; %bb.12:
	s_load_dwordx2 s[14:15], s[0:1], 0x40
	v_add_u32_e32 v40, s48, v56
	v_ashrrev_i32_e32 v41, 31, v40
	s_waitcnt lgkmcnt(0)
	v_lshl_add_u64 v[40:41], v[40:41], 2, s[14:15]
	global_load_dword v63, v[40:41], off
.LBB1060_13:
	s_or_b64 exec, exec, s[4:5]
	s_ashr_i32 s4, s18, 31
	v_or_b32_e32 v58, s18, v34
	s_lshr_b32 s4, s4, 27
	v_add_u32_e32 v34, s4, v58
	v_cmp_gt_i32_e32 vcc, s7, v58
	v_or_b32_e32 v40, 64, v58
	v_or_b32_e32 v60, 0x80, v58
	;; [unrolled: 1-line block ×3, first 2 shown]
	v_add_u32_e32 v64, s4, v58
	v_ashrrev_i32_e32 v69, 5, v64
	s_waitcnt vmcnt(7)
	v_cvt_pk_f32_fp8_e32 v[64:65], v50
	v_cvt_pk_f32_fp8_sdwa v[66:67], v50 src0_sel:WORD_1
	v_cvt_pk_f32_fp8_e32 v[70:71], v51
	v_cvt_pk_f32_fp8_sdwa v[50:51], v51 src0_sel:WORD_1
	v_cvt_pkrtz_f16_f32 v64, v64, v65
	v_cvt_pkrtz_f16_f32 v65, v66, v67
	;; [unrolled: 1-line block ×3, first 2 shown]
	v_cvt_pk_f32_fp8_e32 v[72:73], v52
	v_cvt_pk_f32_fp8_sdwa v[74:75], v52 src0_sel:WORD_1
	v_cvt_pkrtz_f16_f32 v71, v50, v51
	s_waitcnt lgkmcnt(3)
	v_mfma_f32_16x16x16_f16 v[64:67], v[64:65], v[30:31], 0
	v_cvt_pkrtz_f16_f32 v72, v72, v73
	v_cvt_pkrtz_f16_f32 v73, v74, v75
	v_cvt_pk_f32_fp8_e32 v[74:75], v53
	v_cvt_pk_f32_fp8_sdwa v[76:77], v53 src0_sel:WORD_1
	v_mfma_f32_16x16x16_f16 v[50:53], v[70:71], v[32:33], v[64:67]
	v_ashrrev_i32_e32 v34, 5, v34
	v_mov_b32_e32 v68, s19
	v_add_u32_e32 v41, s4, v40
	v_cndmask_b32_e32 v34, v68, v34, vcc
	v_ashrrev_i32_e32 v41, 5, v41
	v_cmp_gt_i32_e32 vcc, s7, v40
	v_add_u32_e32 v61, s4, v60
	v_cvt_pkrtz_f16_f32 v64, v74, v75
	v_cvt_pkrtz_f16_f32 v65, v76, v77
	v_cndmask_b32_e32 v40, v68, v41, vcc
	v_ashrrev_i32_e32 v61, 5, v61
	v_cmp_gt_i32_e32 vcc, s7, v60
	s_waitcnt lgkmcnt(2)
	v_mfma_f32_16x16x16_f16 v[50:53], v[72:73], v[22:23], v[50:53]
	s_waitcnt vmcnt(6)
	v_cvt_pk_f32_fp8_e32 v[66:67], v46
	v_cndmask_b32_e32 v60, v68, v61, vcc
	v_cmp_gt_i32_e32 vcc, s7, v58
	v_ashrrev_i32_e32 v35, 31, v34
	v_lshl_add_u64 v[34:35], v[34:35], 2, s[8:9]
	v_cndmask_b32_e32 v68, v68, v69, vcc
	v_ashrrev_i32_e32 v41, 31, v40
	v_ashrrev_i32_e32 v61, 31, v60
	;; [unrolled: 1-line block ×3, first 2 shown]
	v_lshl_add_u64 v[40:41], v[40:41], 2, s[8:9]
	v_lshl_add_u64 v[60:61], v[60:61], 2, s[8:9]
	;; [unrolled: 1-line block ×3, first 2 shown]
	v_mfma_f32_16x16x16_f16 v[50:53], v[64:65], v[24:25], v[50:53]
	v_cvt_pkrtz_f16_f32 v74, v66, v67
	global_load_dword v68, v[34:35], off
	global_load_dword v66, v[40:41], off
	;; [unrolled: 1-line block ×4, first 2 shown]
	v_cvt_pk_f32_fp8_sdwa v[70:71], v46 src0_sel:WORD_1
	v_cvt_pk_f32_fp8_e32 v[40:41], v48
	s_waitcnt vmcnt(9)
	v_cvt_pk_f32_fp8_e32 v[60:61], v36
	s_add_u32 s4, s10, s12
	v_cvt_pkrtz_f16_f32 v75, v70, v71
	v_cvt_pk_f32_fp8_e32 v[70:71], v47
	v_cvt_pk_f32_fp8_sdwa v[46:47], v47 src0_sel:WORD_1
	s_waitcnt lgkmcnt(1)
	v_mfma_f32_16x16x16_f16 v[50:53], v[74:75], v[18:19], v[50:53]
	v_cvt_pkrtz_f16_f32 v34, v70, v71
	v_cvt_pkrtz_f16_f32 v35, v46, v47
	v_cvt_pk_f32_fp8_sdwa v[46:47], v48 src0_sel:WORD_1
	v_cvt_pkrtz_f16_f32 v40, v40, v41
	v_mfma_f32_16x16x16_f16 v[50:53], v[34:35], v[20:21], v[50:53]
	v_cvt_pkrtz_f16_f32 v41, v46, v47
	v_cvt_pk_f32_fp8_e32 v[34:35], v49
	v_cvt_pk_f32_fp8_sdwa v[46:47], v49 src0_sel:WORD_1
	v_cvt_pk_f32_fp8_sdwa v[70:71], v36 src0_sel:WORD_1
	s_addc_u32 s5, s11, 0
	v_cvt_pkrtz_f16_f32 v34, v34, v35
	v_cvt_pkrtz_f16_f32 v35, v46, v47
	s_waitcnt lgkmcnt(0)
	v_mfma_f32_16x16x16_f16 v[46:49], v[40:41], v[14:15], v[50:53]
	v_cvt_pkrtz_f16_f32 v40, v60, v61
	v_cvt_pkrtz_f16_f32 v41, v70, v71
	s_waitcnt vmcnt(8)
	v_cvt_pk_f32_fp8_sdwa v[60:61], v6 src0_sel:WORD_1
	v_cvt_pk_f32_fp8_e32 v[50:51], v37
	v_cvt_pk_f32_fp8_sdwa v[52:53], v37 src0_sel:WORD_1
	v_mfma_f32_16x16x16_f16 v[34:37], v[34:35], v[16:17], v[46:49]
	v_and_b32_e32 v58, 16, v0
	v_cvt_pkrtz_f16_f32 v50, v50, v51
	v_cvt_pkrtz_f16_f32 v51, v52, v53
	v_mfma_f32_16x16x16_f16 v[46:49], v[40:41], v[30:31], 0
	v_cvt_pk_f32_fp8_e32 v[40:41], v38
	v_cvt_pk_f32_fp8_sdwa v[52:53], v38 src0_sel:WORD_1
	v_lshl_or_b32 v64, v57, 4, v56
	v_mfma_f32_16x16x16_f16 v[46:49], v[50:51], v[32:33], v[46:49]
	v_cvt_pk_f32_fp8_e32 v[50:51], v39
	v_cvt_pkrtz_f16_f32 v40, v40, v41
	v_cvt_pkrtz_f16_f32 v41, v52, v53
	v_cvt_pk_f32_fp8_sdwa v[38:39], v39 src0_sel:WORD_1
	v_cvt_pkrtz_f16_f32 v50, v50, v51
	v_cvt_pk_f32_fp8_e32 v[52:53], v6
	s_waitcnt vmcnt(6)
	v_cvt_pk_f32_fp8_e32 v[74:75], v43
	v_cvt_pkrtz_f16_f32 v51, v38, v39
	v_mfma_f32_16x16x16_f16 v[38:41], v[40:41], v[22:23], v[46:49]
	s_nop 2
	v_cvt_pkrtz_f16_f32 v48, v52, v53
	v_cvt_pkrtz_f16_f32 v49, v60, v61
	v_cvt_pk_f32_fp8_e32 v[52:53], v7
	v_cvt_pk_f32_fp8_sdwa v[6:7], v7 src0_sel:WORD_1
	v_mfma_f32_16x16x16_f16 v[38:41], v[50:51], v[24:25], v[38:41]
	v_lshl_add_u64 v[46:47], s[4:5], 0, v[58:59]
	v_cvt_pkrtz_f16_f32 v50, v52, v53
	v_cvt_pkrtz_f16_f32 v51, v6, v7
	v_mfma_f32_16x16x16_f16 v[38:41], v[48:49], v[18:19], v[38:41]
	v_cvt_pk_f32_fp8_e32 v[6:7], v8
	v_cvt_pk_f32_fp8_sdwa v[48:49], v8 src0_sel:WORD_1
	v_cvt_pk_f32_fp8_sdwa v[52:53], v2 src0_sel:WORD_1
	v_mfma_f32_16x16x16_f16 v[38:41], v[50:51], v[20:21], v[38:41]
	v_cvt_pk_f32_fp8_e32 v[50:51], v9
	v_cvt_pkrtz_f16_f32 v6, v6, v7
	v_cvt_pkrtz_f16_f32 v7, v48, v49
	v_cvt_pk_f32_fp8_sdwa v[8:9], v9 src0_sel:WORD_1
	v_cvt_pkrtz_f16_f32 v48, v50, v51
	v_cvt_pk_f32_fp8_e32 v[50:51], v2
	v_lshlrev_b32_e32 v58, 5, v64
	v_cvt_pkrtz_f16_f32 v49, v8, v9
	v_mfma_f32_16x16x16_f16 v[6:9], v[6:7], v[14:15], v[38:41]
	v_cvt_pkrtz_f16_f32 v50, v50, v51
	v_cvt_pkrtz_f16_f32 v51, v52, v53
	v_cvt_pk_f32_fp8_e32 v[52:53], v3
	v_cvt_pk_f32_fp8_sdwa v[2:3], v3 src0_sel:WORD_1
	v_mfma_f32_16x16x16_f16 v[38:41], v[48:49], v[16:17], v[6:9]
	v_lshl_add_u64 v[48:49], v[46:47], 0, v[58:59]
	v_cvt_pkrtz_f16_f32 v52, v52, v53
	v_cvt_pkrtz_f16_f32 v53, v2, v3
	v_mfma_f32_16x16x16_f16 v[6:9], v[50:51], v[30:31], 0
	v_cvt_pk_f32_fp8_e32 v[2:3], v4
	v_cvt_pk_f32_fp8_sdwa v[50:51], v4 src0_sel:WORD_1
	s_waitcnt vmcnt(3)
	v_mad_i64_i32 v[60:61], s[4:5], v68, s45, v[48:49]
	v_cvt_pkrtz_f16_f32 v2, v2, v3
	v_cvt_pkrtz_f16_f32 v3, v50, v51
	v_mfma_f32_16x16x16_f16 v[6:9], v[52:53], v[32:33], v[6:9]
	v_cvt_pk_f32_fp8_e32 v[50:51], v5
	v_cvt_pk_f32_fp8_sdwa v[4:5], v5 src0_sel:WORD_1
	s_waitcnt vmcnt(2)
	v_mad_i64_i32 v[70:71], s[4:5], v66, s45, v[48:49]
	v_cvt_pkrtz_f16_f32 v50, v50, v51
	v_cvt_pkrtz_f16_f32 v51, v4, v5
	v_mfma_f32_16x16x16_f16 v[2:5], v[2:3], v[22:23], v[6:9]
	v_or_b32_e32 v58, 0x800, v58
	s_nop 1
	v_cvt_pk_f32_fp8_e32 v[6:7], v42
	v_cvt_pk_f32_fp8_sdwa v[8:9], v42 src0_sel:WORD_1
	v_cvt_pk_f32_fp8_sdwa v[42:43], v43 src0_sel:WORD_1
	v_mfma_f32_16x16x16_f16 v[50:53], v[50:51], v[24:25], v[2:5]
	v_cvt_pkrtz_f16_f32 v72, v6, v7
	v_cvt_pkrtz_f16_f32 v73, v8, v9
	global_load_dwordx4 v[6:9], v[60:61], off
	global_load_dwordx4 v[2:5], v[70:71], off
	v_cvt_pkrtz_f16_f32 v60, v74, v75
	v_cvt_pkrtz_f16_f32 v61, v42, v43
	v_mfma_f32_16x16x16_f16 v[70:73], v[72:73], v[18:19], v[50:53]
	v_cvt_pk_f32_fp8_e32 v[42:43], v44
	v_cvt_pkrtz_f16_f32 v42, v42, v43
	s_nop 0
	v_cvt_pk_f32_fp8_sdwa v[52:53], v44 src0_sel:WORD_1
	v_mfma_f32_16x16x16_f16 v[70:73], v[60:61], v[20:21], v[70:73]
	v_cvt_pk_f32_fp8_e32 v[60:61], v45
	s_waitcnt vmcnt(3)
	v_mad_i64_i32 v[50:51], s[4:5], v67, s45, v[48:49]
	s_load_dword s4, s[0:1], 0x1c
	s_load_dwordx4 s[40:43], s[0:1], 0x80
	v_cvt_pkrtz_f16_f32 v43, v52, v53
	v_cvt_pkrtz_f16_f32 v74, v60, v61
	v_cvt_pk_f32_fp8_e32 v[52:53], v26
	v_cvt_pk_f32_fp8_sdwa v[60:61], v26 src0_sel:WORD_1
	s_load_dword s33, s[0:1], 0x98
	s_waitcnt lgkmcnt(0)
	s_load_dword s5, s[40:41], 0x0
	v_cvt_pk_f32_fp8_sdwa v[44:45], v45 src0_sel:WORD_1
	v_cvt_pkrtz_f16_f32 v52, v52, v53
	v_cvt_pkrtz_f16_f32 v53, v60, v61
	v_cvt_pk_f32_fp8_e32 v[60:61], v27
	v_cvt_pk_f32_fp8_sdwa v[26:27], v27 src0_sel:WORD_1
	v_cvt_pkrtz_f16_f32 v75, v44, v45
	v_mfma_f32_16x16x16_f16 v[42:45], v[42:43], v[14:15], v[70:73]
	v_cvt_pkrtz_f16_f32 v60, v60, v61
	v_cvt_pkrtz_f16_f32 v61, v26, v27
	v_mov_b32_e32 v26, s4
	v_mfma_f32_16x16x16_f16 v[70:73], v[52:53], v[30:31], 0
	s_waitcnt lgkmcnt(0)
	v_mul_f32_e32 v52, s5, v26
	v_cvt_pk_f32_fp8_e32 v[26:27], v28
	v_cvt_pk_f32_fp8_sdwa v[30:31], v28 src0_sel:WORD_1
	v_mfma_f32_16x16x16_f16 v[70:73], v[60:61], v[32:33], v[70:73]
	v_cvt_pk_f32_fp8_e32 v[32:33], v29
	v_cvt_pk_f32_fp8_sdwa v[28:29], v29 src0_sel:WORD_1
	v_cvt_pkrtz_f16_f32 v26, v26, v27
	v_cvt_pkrtz_f16_f32 v27, v30, v31
	v_mfma_f32_16x16x16_f16 v[42:45], v[74:75], v[16:17], v[42:45]
	v_cvt_pkrtz_f16_f32 v32, v32, v33
	v_cvt_pkrtz_f16_f32 v33, v28, v29
	v_cvt_pk_f32_fp8_e32 v[60:61], v10
	v_cvt_pk_f32_fp8_sdwa v[74:75], v10 src0_sel:WORD_1
	v_mfma_f32_16x16x16_f16 v[26:29], v[26:27], v[22:23], v[70:73]
	v_pk_mul_f32 v[30:31], v[52:53], v[36:37] op_sel_hi:[0,1]
	v_cvt_pkrtz_f16_f32 v36, v60, v61
	v_cvt_pkrtz_f16_f32 v37, v74, v75
	v_cvt_pk_f32_fp8_e32 v[60:61], v11
	v_cvt_pk_f32_fp8_sdwa v[70:71], v11 src0_sel:WORD_1
	v_mfma_f32_16x16x16_f16 v[22:25], v[32:33], v[24:25], v[26:29]
	v_pk_mul_f32 v[10:11], v[52:53], v[34:35] op_sel_hi:[0,1]
	v_cvt_pkrtz_f16_f32 v60, v60, v61
	v_cvt_pkrtz_f16_f32 v61, v70, v71
	v_mfma_f32_16x16x16_f16 v[32:35], v[36:37], v[18:19], v[22:25]
	v_cvt_pk_f32_fp8_e32 v[18:19], v12
	v_cvt_pk_f32_fp8_sdwa v[36:37], v12 src0_sel:WORD_1
	s_waitcnt vmcnt(2)
	v_mad_i64_i32 v[48:49], s[8:9], v65, s45, v[48:49]
	global_load_dwordx4 v[26:29], v[50:51], off
	global_load_dwordx4 v[22:25], v[48:49], off
	v_cvt_pkrtz_f16_f32 v48, v18, v19
	v_cvt_pkrtz_f16_f32 v49, v36, v37
	v_cvt_pk_f32_fp8_e32 v[36:37], v13
	v_cvt_pk_f32_fp8_sdwa v[12:13], v13 src0_sel:WORD_1
	v_mfma_f32_16x16x16_f16 v[18:21], v[60:61], v[20:21], v[32:35]
	v_pk_mul_f32 v[40:41], v[52:53], v[40:41] op_sel_hi:[0,1]
	v_pk_mul_f32 v[42:43], v[52:53], v[42:43] op_sel_hi:[0,1]
	s_mov_b32 s40, 0xff7fffff
	v_cvt_pkrtz_f16_f32 v32, v36, v37
	v_cvt_pkrtz_f16_f32 v33, v12, v13
	v_mfma_f32_16x16x16_f16 v[12:15], v[48:49], v[14:15], v[18:21]
	v_pk_mul_f32 v[48:49], v[52:53], v[38:39] op_sel_hi:[0,1]
	v_pk_mul_f32 v[38:39], v[52:53], v[44:45] op_sel_hi:[0,1]
	v_mfma_f32_16x16x16_f16 v[12:15], v[32:33], v[16:17], v[12:15]
	s_nop 6
	v_pk_mul_f32 v[36:37], v[52:53], v[12:13] op_sel_hi:[0,1]
	v_and_b32_e32 v12, 0xc0, v0
	v_add_u32_e32 v12, s18, v12
	v_lshl_or_b32 v12, v62, 2, v12
	v_or_b32_e32 v13, 1, v12
	v_pk_mul_f32 v[34:35], v[52:53], v[14:15] op_sel_hi:[0,1]
	v_subrev_u32_e32 v14, s7, v13
	v_add_u32_e32 v16, 1, v14
	v_add_u32_e32 v17, 2, v14
	v_cvt_f32_i32_e32 v15, v14
	v_cvt_f32_i32_e32 v16, v16
	;; [unrolled: 1-line block ×3, first 2 shown]
	v_add_u32_e32 v18, 3, v14
	v_fma_f32 v10, v63, v15, v10
	v_fmac_f32_e32 v11, v63, v16
	v_fma_f32 v51, v63, v17, v30
	v_add_u32_e32 v15, 16, v14
	v_add_u32_e32 v16, 17, v14
	v_add_u32_e32 v17, 18, v14
	v_cvt_f32_i32_e32 v18, v18
	v_cvt_f32_i32_e32 v15, v15
	;; [unrolled: 1-line block ×4, first 2 shown]
	v_fmac_f32_e32 v31, v63, v18
	v_add_u32_e32 v18, 19, v14
	v_fma_f32 v48, v63, v15, v48
	v_fmac_f32_e32 v49, v63, v16
	v_fma_f32 v40, v63, v17, v40
	v_add_u32_e32 v15, 32, v14
	v_add_u32_e32 v16, 33, v14
	;; [unrolled: 1-line block ×3, first 2 shown]
	v_cvt_f32_i32_e32 v18, v18
	v_cvt_f32_i32_e32 v15, v15
	;; [unrolled: 1-line block ×4, first 2 shown]
	v_fmac_f32_e32 v41, v63, v18
	v_add_u32_e32 v18, 35, v14
	v_fma_f32 v42, v63, v15, v42
	v_fmac_f32_e32 v43, v63, v16
	v_fma_f32 v38, v63, v17, v38
	v_add_u32_e32 v15, 48, v14
	v_add_u32_e32 v16, 49, v14
	;; [unrolled: 1-line block ×4, first 2 shown]
	v_cvt_f32_i32_e32 v14, v14
	v_cvt_f32_i32_e32 v15, v15
	;; [unrolled: 1-line block ×3, first 2 shown]
	v_cmp_gt_i32_e64 s[8:9], s7, v12
	v_fmac_f32_e32 v35, v63, v14
	v_mov_b32_e32 v14, 0xff7fffff
	v_cmp_gt_i32_e64 s[10:11], s7, v13
	v_fma_f32 v36, v63, v15, v36
	v_cndmask_b32_e64 v15, v14, v10, s[8:9]
	v_cndmask_b32_e64 v13, v14, v11, s[10:11]
	v_fmac_f32_e32 v37, v63, v16
	v_max3_f32 v13, v15, s40, v13
	v_or_b32_e32 v15, 2, v12
	v_or_b32_e32 v16, 3, v12
	v_cmp_gt_i32_e64 s[12:13], s7, v15
	v_cmp_gt_i32_e64 s[14:15], s7, v16
	v_cvt_f32_i32_e32 v18, v18
	v_cndmask_b32_e64 v15, v14, v51, s[12:13]
	v_cndmask_b32_e64 v16, v14, v31, s[14:15]
	v_max3_f32 v13, v13, v15, v16
	v_or_b32_e32 v15, 16, v12
	v_or_b32_e32 v16, 17, v12
	v_cmp_gt_i32_e64 s[16:17], s7, v15
	v_cmp_gt_i32_e64 s[18:19], s7, v16
	v_fmac_f32_e32 v39, v63, v18
	v_cndmask_b32_e64 v15, v14, v48, s[16:17]
	v_cndmask_b32_e64 v16, v14, v49, s[18:19]
	v_max3_f32 v13, v13, v15, v16
	v_or_b32_e32 v15, 18, v12
	v_or_b32_e32 v16, 19, v12
	v_cmp_gt_i32_e64 s[20:21], s7, v15
	v_cmp_gt_i32_e64 s[22:23], s7, v16
	v_cvt_f32_i32_e32 v17, v17
	v_cndmask_b32_e64 v15, v14, v40, s[20:21]
	v_cndmask_b32_e64 v16, v14, v41, s[22:23]
	v_max3_f32 v13, v13, v15, v16
	v_or_b32_e32 v15, 32, v12
	v_or_b32_e32 v16, 33, v12
	v_cmp_gt_i32_e64 s[24:25], s7, v15
	v_cmp_gt_i32_e64 s[26:27], s7, v16
	v_fma_f32 v34, v63, v17, v34
	v_cndmask_b32_e64 v15, v14, v42, s[24:25]
	v_cndmask_b32_e64 v16, v14, v43, s[26:27]
	v_max3_f32 v13, v13, v15, v16
	v_or_b32_e32 v15, 34, v12
	v_or_b32_e32 v16, 35, v12
	v_cmp_gt_i32_e64 s[28:29], s7, v15
	v_cmp_gt_i32_e64 s[30:31], s7, v16
	s_nop 0
	v_cndmask_b32_e64 v15, v14, v38, s[28:29]
	v_cndmask_b32_e64 v16, v14, v39, s[30:31]
	v_max3_f32 v13, v13, v15, v16
	v_or_b32_e32 v15, 48, v12
	v_or_b32_e32 v16, 49, v12
	v_cmp_gt_i32_e64 s[34:35], s7, v15
	v_cmp_gt_i32_e64 s[36:37], s7, v16
	s_nop 0
	v_cndmask_b32_e64 v15, v14, v36, s[34:35]
	v_cndmask_b32_e64 v16, v14, v37, s[36:37]
	v_max3_f32 v13, v13, v15, v16
	v_or_b32_e32 v15, 50, v12
	v_or_b32_e32 v12, 51, v12
	v_cmp_gt_i32_e32 vcc, s7, v15
	v_cmp_gt_i32_e64 s[4:5], s7, v12
	s_nop 0
	v_cndmask_b32_e32 v15, v14, v34, vcc
	v_cndmask_b32_e64 v12, v14, v35, s[4:5]
	v_max3_f32 v16, v13, v15, v12
	v_mbcnt_lo_u32_b32 v12, -1, 0
	v_mbcnt_hi_u32_b32 v17, -1, v12
	v_and_b32_e32 v12, 64, v17
	v_add_u32_e32 v18, 64, v12
	v_xor_b32_e32 v12, 32, v17
	v_cmp_lt_i32_e64 s[38:39], v12, v18
	s_nop 1
	v_cndmask_b32_e64 v12, v17, v12, s[38:39]
	v_lshlrev_b32_e32 v52, 2, v12
	ds_bpermute_b32 v19, v52, v16
	v_lshl_add_u64 v[12:13], v[46:47], 0, v[58:59]
	v_mad_i64_i32 v[14:15], s[38:39], v68, s45, v[12:13]
	s_waitcnt lgkmcnt(0)
	v_max_f32_e32 v19, v19, v19
	v_max_f32_e32 v19, v16, v19
	v_xor_b32_e32 v16, 16, v17
	v_cmp_lt_i32_e64 s[38:39], v16, v18
	s_nop 1
	v_cndmask_b32_e64 v16, v17, v16, s[38:39]
	v_lshlrev_b32_e32 v53, 2, v16
	ds_bpermute_b32 v18, v53, v19
	v_mad_i64_i32 v[16:17], s[38:39], v66, s45, v[12:13]
	v_mad_i64_i32 v[44:45], s[38:39], v67, s45, v[12:13]
	s_waitcnt lgkmcnt(0)
	v_max_f32_e32 v18, v18, v18
	v_max_f32_e32 v50, v19, v18
	v_sub_f32_e32 v10, v10, v50
	v_mul_f32_e32 v10, 0x3fb8aa3b, v10
	v_exp_f32_e32 v18, v10
	v_sub_f32_e32 v10, v11, v50
	v_mul_f32_e32 v10, 0x3fb8aa3b, v10
	v_exp_f32_e32 v19, v10
	v_mad_i64_i32 v[10:11], s[38:39], v65, s45, v[12:13]
	v_sub_f32_e32 v12, v51, v50
	v_mul_f32_e32 v12, 0x3fb8aa3b, v12
	v_cndmask_b32_e64 v46, 0, v18, s[8:9]
	v_cndmask_b32_e64 v47, 0, v19, s[10:11]
	v_sub_f32_e32 v58, v31, v50
	global_load_dwordx4 v[30:33], v[14:15], off
	global_load_dwordx4 v[18:21], v[16:17], off
	v_exp_f32_e32 v51, v12
	global_load_dwordx4 v[14:17], v[44:45], off
	s_nop 0
	global_load_dwordx4 v[10:13], v[10:11], off
	v_sub_f32_e32 v45, v48, v50
	v_sub_f32_e32 v48, v49, v50
	;; [unrolled: 1-line block ×4, first 2 shown]
	v_mul_f32_e32 v44, 0x3fb8aa3b, v58
	v_mul_f32_e32 v45, 0x3fb8aa3b, v45
	;; [unrolled: 1-line block ×5, first 2 shown]
	v_exp_f32_e32 v44, v44
	v_exp_f32_e32 v45, v45
	;; [unrolled: 1-line block ×3, first 2 shown]
	v_cndmask_b32_e64 v48, 0, v51, s[12:13]
	v_exp_f32_e32 v40, v40
	v_exp_f32_e32 v51, v42
	v_sub_f32_e32 v42, v43, v50
	v_mul_f32_e32 v42, 0x3fb8aa3b, v42
	v_cndmask_b32_e64 v49, 0, v44, s[14:15]
	v_cndmask_b32_e64 v44, 0, v45, s[16:17]
	;; [unrolled: 1-line block ×3, first 2 shown]
	v_sub_f32_e32 v41, v41, v50
	v_exp_f32_e32 v58, v42
	v_cndmask_b32_e64 v42, 0, v40, s[20:21]
	v_cndmask_b32_e64 v40, 0, v51, s[24:25]
	v_add_f32_e32 v51, 0, v46
	v_mul_f32_e32 v41, 0x3fb8aa3b, v41
	v_add_f32_e32 v51, v51, v47
	v_exp_f32_e32 v41, v41
	v_add_f32_e32 v51, v51, v48
	v_sub_f32_e32 v38, v38, v50
	v_add_f32_e32 v51, v51, v49
	v_sub_f32_e32 v39, v39, v50
	v_mul_f32_e32 v38, 0x3fb8aa3b, v38
	v_add_f32_e32 v51, v51, v44
	v_exp_f32_e32 v38, v38
	v_mul_f32_e32 v39, 0x3fb8aa3b, v39
	v_sub_f32_e32 v36, v36, v50
	v_add_f32_e32 v51, v51, v45
	v_cndmask_b32_e64 v43, 0, v41, s[22:23]
	v_exp_f32_e32 v39, v39
	v_mul_f32_e32 v36, 0x3fb8aa3b, v36
	v_sub_f32_e32 v37, v37, v50
	v_add_f32_e32 v51, v51, v42
	v_exp_f32_e32 v36, v36
	v_mul_f32_e32 v37, 0x3fb8aa3b, v37
	v_add_f32_e32 v51, v51, v43
	v_sub_f32_e32 v34, v34, v50
	v_cndmask_b32_e64 v41, 0, v58, s[26:27]
	v_exp_f32_e32 v37, v37
	v_add_f32_e32 v51, v51, v40
	v_mul_f32_e32 v34, 0x3fb8aa3b, v34
	v_sub_f32_e32 v35, v35, v50
	v_cndmask_b32_e64 v38, 0, v38, s[28:29]
	v_add_f32_e32 v51, v51, v41
	v_exp_f32_e32 v34, v34
	v_mul_f32_e32 v35, 0x3fb8aa3b, v35
	v_cndmask_b32_e64 v39, 0, v39, s[30:31]
	v_add_f32_e32 v51, v51, v38
	v_exp_f32_e32 v35, v35
	v_cndmask_b32_e64 v36, 0, v36, s[34:35]
	v_add_f32_e32 v51, v51, v39
	v_cndmask_b32_e64 v37, 0, v37, s[36:37]
	v_add_f32_e32 v51, v51, v36
	v_add_f32_e32 v51, v51, v37
	v_cndmask_b32_e32 v34, 0, v34, vcc
	v_add_f32_e32 v51, v51, v34
	v_cndmask_b32_e64 v35, 0, v35, s[4:5]
	v_add_f32_e32 v51, v51, v35
	ds_bpermute_b32 v52, v52, v51
	v_cmp_gt_u32_e64 s[4:5], 16, v55
	s_waitcnt lgkmcnt(0)
	s_barrier
	v_add_f32_e32 v51, v51, v52
	ds_bpermute_b32 v52, v53, v51
	s_and_saveexec_b64 s[8:9], s[4:5]
	s_cbranch_execz .LBB1060_15
; %bb.14:
	s_waitcnt lgkmcnt(0)
	v_add_f32_e32 v51, v51, v52
	v_lshlrev_b32_e32 v52, 2, v64
	ds_write2st64_b32 v52, v50, v51 offset1:1
.LBB1060_15:
	s_or_b64 exec, exec, s[8:9]
	v_lshlrev_b32_e32 v51, 2, v56
	s_load_dword s7, s[0:1], 0x94
	s_waitcnt lgkmcnt(0)
	s_barrier
	ds_read2_b32 v[52:53], v51 offset1:16
	ds_read2_b32 v[58:59], v51 offset0:32 offset1:48
	ds_read2_b32 v[60:61], v51 offset0:64 offset1:80
	s_mul_i32 s10, s33, 13
	s_waitcnt lgkmcnt(2)
	v_max3_f32 v50, v52, s40, v53
	s_waitcnt lgkmcnt(1)
	v_max3_f32 v50, v50, v58, v59
	v_sub_f32_e32 v52, v52, v50
	v_mul_f32_e32 v52, 0x3fb8aa3b, v52
	v_exp_f32_e32 v55, v52
	v_sub_f32_e32 v52, v53, v50
	v_mul_f32_e32 v52, 0x3fb8aa3b, v52
	v_exp_f32_e32 v63, v52
	;; [unrolled: 3-line block ×3, first 2 shown]
	ds_read2_b32 v[52:53], v51 offset0:96 offset1:112
	v_sub_f32_e32 v51, v59, v50
	v_mul_f32_e32 v51, 0x3fb8aa3b, v51
	v_exp_f32_e32 v59, v51
	s_waitcnt lgkmcnt(1)
	v_fma_f32 v51, v55, v60, 0
	v_fmac_f32_e32 v51, v63, v61
	s_waitcnt lgkmcnt(0)
	v_fmac_f32_e32 v51, v58, v52
	v_fmac_f32_e32 v51, v59, v53
	v_add_f32_e32 v52, 0x358637bd, v51
	v_div_scale_f32 v53, s[8:9], v52, v52, 1.0
	v_rcp_f32_e32 v60, v53
	s_barrier
	v_fma_f32 v61, -v53, v60, 1.0
	v_fmac_f32_e32 v60, v61, v60
	v_div_scale_f32 v61, vcc, 1.0, v52, 1.0
	v_mul_f32_e32 v64, v61, v60
	v_fma_f32 v65, -v53, v64, v61
	v_fmac_f32_e32 v64, v65, v60
	v_fma_f32 v53, -v53, v64, v61
	v_div_fmas_f32 v53, v53, v60, v64
	v_cmp_eq_u32_e32 vcc, 1, v57
	v_div_fixup_f32 v52, v53, v52, 1.0
	s_nop 0
	v_cndmask_b32_e32 v53, v55, v63, vcc
	v_cmp_eq_u32_e32 vcc, 2, v57
	s_nop 1
	v_cndmask_b32_e32 v53, v53, v58, vcc
	v_cmp_eq_u32_e32 vcc, 3, v57
	s_nop 1
	v_cndmask_b32_e32 v53, v53, v59, vcc
	v_mul_f32_e32 v52, v53, v52
	v_pk_mul_f32 v[48:49], v[52:53], v[48:49] op_sel_hi:[0,1]
	v_pk_mul_f32 v[46:47], v[52:53], v[46:47] op_sel_hi:[0,1]
	v_cvt_f16_f32_e32 v53, v48
	v_cvt_f16_f32_e32 v49, v49
	;; [unrolled: 1-line block ×4, first 2 shown]
	v_pk_mul_f32 v[42:43], v[52:53], v[42:43] op_sel_hi:[0,1]
	v_pk_mul_f32 v[44:45], v[52:53], v[44:45] op_sel_hi:[0,1]
	v_pack_b32_f16 v49, v53, v49
	v_cvt_f16_f32_e32 v44, v44
	v_cvt_f16_f32_e32 v45, v45
	;; [unrolled: 1-line block ×4, first 2 shown]
	v_pack_b32_f16 v48, v46, v47
	v_lshlrev_b32_e32 v47, 3, v62
	v_lshlrev_b32_e32 v46, 5, v56
	;; [unrolled: 1-line block ×3, first 2 shown]
	v_or3_b32 v55, v42, v46, v47
	v_pack_b32_f16 v42, v44, v45
	v_pack_b32_f16 v43, v53, v43
	v_pk_mul_f32 v[38:39], v[52:53], v[38:39] op_sel_hi:[0,1]
	v_pk_mul_f32 v[40:41], v[52:53], v[40:41] op_sel_hi:[0,1]
	;; [unrolled: 1-line block ×4, first 2 shown]
	ds_write2st64_b64 v55, v[48:49], v[42:43] offset1:1
	v_cvt_f16_f32_e32 v40, v40
	v_cvt_f16_f32_e32 v41, v41
	;; [unrolled: 1-line block ×8, first 2 shown]
	v_pack_b32_f16 v34, v40, v41
	v_pack_b32_f16 v35, v38, v39
	;; [unrolled: 1-line block ×4, first 2 shown]
	v_cmp_gt_u32_e32 vcc, 13, v0
	ds_write2st64_b64 v55, v[34:35], v[36:37] offset0:2 offset1:3
	s_and_saveexec_b64 s[8:9], vcc
	s_cbranch_execz .LBB1060_17
; %bb.16:
	s_mov_b32 s49, 0
	v_mov_b32_e32 v57, 0
	v_lshl_add_u64 v[34:35], s[48:49], 0, v[56:57]
	v_mov_b32_e32 v36, s10
	v_mad_u64_u32 v[34:35], s[16:17], s2, v36, v[34:35]
	s_mul_i32 s3, s3, s10
	v_mov_b32_e32 v36, s6
	v_mov_b32_e32 v37, v57
	s_load_dwordx4 s[12:15], s[0:1], 0x58
	v_add_u32_e32 v38, s3, v35
	v_mad_u64_u32 v[34:35], s[16:17], v34, s7, v[36:37]
	v_mov_b32_e32 v36, v35
	v_mad_u64_u32 v[36:37], s[16:17], v38, s7, v[36:37]
	v_mov_b32_e32 v35, v36
	v_lshlrev_b64 v[34:35], 2, v[34:35]
	s_waitcnt lgkmcnt(0)
	v_lshl_add_u64 v[36:37], s[14:15], 0, v[34:35]
	v_lshl_add_u64 v[34:35], s[12:13], 0, v[34:35]
	global_store_dword v[36:37], v50, off
	global_store_dword v[34:35], v51, off
.LBB1060_17:
	s_or_b64 exec, exec, s[8:9]
	s_waitcnt vmcnt(7)
	v_cvt_pk_f32_fp8_e32 v[34:35], v6
	v_cvt_pk_f32_fp8_sdwa v[36:37], v6 src0_sel:WORD_1
	v_lshl_or_b32 v50, v62, 9, v46
	s_waitcnt lgkmcnt(0)
	s_barrier
	v_cvt_pk_f32_fp8_e32 v[38:39], v7
	v_cvt_pkrtz_f16_f32 v6, v34, v35
	v_cvt_pk_f32_fp8_sdwa v[40:41], v7 src0_sel:WORD_1
	v_cvt_pkrtz_f16_f32 v7, v36, v37
	ds_read_b128 v[34:37], v50
	v_cvt_pkrtz_f16_f32 v46, v38, v39
	v_cvt_pkrtz_f16_f32 v47, v40, v41
	ds_read_b128 v[38:41], v50 offset:16
	v_cvt_pk_f32_fp8_e32 v[48:49], v8
	v_cvt_pk_f32_fp8_sdwa v[52:53], v8 src0_sel:WORD_1
	s_waitcnt lgkmcnt(1)
	v_mfma_f32_16x16x16_f16 v[42:45], v[6:7], v[34:35], 0
	s_waitcnt vmcnt(6)
	v_cvt_pk_f32_fp8_e32 v[58:59], v4
	v_cvt_pkrtz_f16_f32 v6, v48, v49
	v_cvt_pkrtz_f16_f32 v7, v52, v53
	v_cvt_pk_f32_fp8_e32 v[48:49], v9
	v_mfma_f32_16x16x16_f16 v[42:45], v[46:47], v[36:37], v[42:45]
	v_cvt_pk_f32_fp8_sdwa v[46:47], v9 src0_sel:WORD_1
	v_cvt_pk_f32_fp8_sdwa v[60:61], v4 src0_sel:WORD_1
	v_cvt_pkrtz_f16_f32 v48, v48, v49
	s_waitcnt lgkmcnt(0)
	v_mfma_f32_16x16x16_f16 v[6:9], v[6:7], v[38:39], v[42:45]
	v_cvt_pkrtz_f16_f32 v49, v46, v47
	s_waitcnt vmcnt(5)
	v_cvt_pk_f32_fp8_e32 v[64:65], v28
	v_cvt_pk_f32_fp8_sdwa v[66:67], v28 src0_sel:WORD_1
	v_cvt_pk_f32_fp8_e32 v[42:43], v2
	v_mfma_f32_16x16x16_f16 v[46:49], v[48:49], v[40:41], v[6:9]
	s_waitcnt vmcnt(4)
	v_cvt_pk_f32_fp8_sdwa v[68:69], v24 src0_sel:WORD_1
	s_load_dword s8, s[42:43], 0x0
	v_cvt_pk_f32_fp8_sdwa v[6:7], v2 src0_sel:WORD_1
	v_cvt_pk_f32_fp8_e32 v[8:9], v3
	v_cvt_pkrtz_f16_f32 v2, v42, v43
	v_cvt_pk_f32_fp8_sdwa v[42:43], v3 src0_sel:WORD_1
	v_cvt_pkrtz_f16_f32 v3, v6, v7
	v_cvt_pkrtz_f16_f32 v52, v8, v9
	ds_read_b128 v[6:9], v50 offset:2048
	v_cvt_pkrtz_f16_f32 v53, v42, v43
	ds_read_b128 v[42:45], v50 offset:2064
	s_waitcnt lgkmcnt(0)
	v_mfma_f32_16x16x16_f16 v[46:49], v[2:3], v[6:7], v[46:49]
	v_cvt_pkrtz_f16_f32 v2, v58, v59
	v_cvt_pkrtz_f16_f32 v3, v60, v61
	v_cvt_pk_f32_fp8_e32 v[58:59], v5
	v_mfma_f32_16x16x16_f16 v[46:49], v[52:53], v[8:9], v[46:49]
	v_cvt_pk_f32_fp8_sdwa v[52:53], v5 src0_sel:WORD_1
	s_mov_b32 s3, 0
	v_cvt_pkrtz_f16_f32 v58, v58, v59
	v_mfma_f32_16x16x16_f16 v[2:5], v[2:3], v[42:43], v[46:49]
	v_cvt_pkrtz_f16_f32 v59, v52, v53
	v_cmp_gt_u32_e32 vcc, 64, v0
	s_nop 0
	v_cvt_pk_f32_fp8_e32 v[46:47], v26
	v_mfma_f32_16x16x16_f16 v[58:61], v[58:59], v[44:45], v[2:5]
	s_nop 2
	v_cvt_pk_f32_fp8_sdwa v[2:3], v26 src0_sel:WORD_1
	v_cvt_pk_f32_fp8_e32 v[4:5], v27
	v_cvt_pkrtz_f16_f32 v26, v46, v47
	v_cvt_pk_f32_fp8_sdwa v[46:47], v27 src0_sel:WORD_1
	v_cvt_pkrtz_f16_f32 v27, v2, v3
	v_cvt_pkrtz_f16_f32 v52, v4, v5
	ds_read_b128 v[2:5], v50 offset:4096
	v_cvt_pkrtz_f16_f32 v53, v46, v47
	ds_read_b128 v[46:49], v50 offset:4112
	s_waitcnt lgkmcnt(1)
	v_mfma_f32_16x16x16_f16 v[58:61], v[26:27], v[2:3], v[58:61]
	v_cvt_pkrtz_f16_f32 v26, v64, v65
	v_cvt_pkrtz_f16_f32 v27, v66, v67
	v_cvt_pk_f32_fp8_e32 v[64:65], v29
	v_mfma_f32_16x16x16_f16 v[58:61], v[52:53], v[4:5], v[58:61]
	v_cvt_pk_f32_fp8_sdwa v[52:53], v29 src0_sel:WORD_1
	v_cvt_pk_f32_fp8_e32 v[66:67], v24
	v_cvt_pkrtz_f16_f32 v64, v64, v65
	s_waitcnt lgkmcnt(0)
	v_mfma_f32_16x16x16_f16 v[26:29], v[26:27], v[46:47], v[58:61]
	v_cvt_pkrtz_f16_f32 v65, v52, v53
	v_cvt_pk_f32_fp8_e32 v[52:53], v22
	s_nop 0
	v_mfma_f32_16x16x16_f16 v[58:61], v[64:65], v[48:49], v[26:29]
	s_nop 2
	v_cvt_pk_f32_fp8_sdwa v[26:27], v22 src0_sel:WORD_1
	v_cvt_pk_f32_fp8_e32 v[28:29], v23
	v_cvt_pkrtz_f16_f32 v22, v52, v53
	v_cvt_pk_f32_fp8_sdwa v[52:53], v23 src0_sel:WORD_1
	v_cvt_pkrtz_f16_f32 v23, v26, v27
	v_cvt_pkrtz_f16_f32 v64, v28, v29
	ds_read_b128 v[26:29], v50 offset:6144
	v_cvt_pkrtz_f16_f32 v65, v52, v53
	s_waitcnt lgkmcnt(0)
	v_mfma_f32_16x16x16_f16 v[58:61], v[22:23], v[26:27], v[58:61]
	ds_read_b128 v[50:53], v50 offset:6160
	v_cvt_pkrtz_f16_f32 v22, v66, v67
	v_cvt_pkrtz_f16_f32 v23, v68, v69
	v_mfma_f32_16x16x16_f16 v[58:61], v[64:65], v[28:29], v[58:61]
	v_cvt_pk_f32_fp8_e32 v[66:67], v25
	v_cvt_pk_f32_fp8_sdwa v[64:65], v25 src0_sel:WORD_1
	s_waitcnt vmcnt(3)
	v_cvt_pk_f32_fp8_sdwa v[68:69], v32 src0_sel:WORD_1
	s_waitcnt lgkmcnt(0)
	v_mfma_f32_16x16x16_f16 v[22:25], v[22:23], v[50:51], v[58:61]
	v_cvt_pkrtz_f16_f32 v66, v66, v67
	v_cvt_pkrtz_f16_f32 v67, v64, v65
	v_cvt_pk_f32_fp8_e32 v[64:65], v31
	v_cvt_pk_f32_fp8_e32 v[58:59], v30
	v_cvt_pk_f32_fp8_sdwa v[60:61], v30 src0_sel:WORD_1
	v_cvt_pk_f32_fp8_sdwa v[30:31], v31 src0_sel:WORD_1
	v_mfma_f32_16x16x16_f16 v[22:25], v[66:67], v[52:53], v[22:25]
	v_cvt_pkrtz_f16_f32 v58, v58, v59
	v_cvt_pkrtz_f16_f32 v59, v60, v61
	;; [unrolled: 1-line block ×3, first 2 shown]
	v_cvt_pk_f32_fp8_e32 v[66:67], v32
	v_cvt_pkrtz_f16_f32 v65, v30, v31
	v_mfma_f32_16x16x16_f16 v[58:61], v[58:59], v[34:35], 0
	v_cvt_pkrtz_f16_f32 v30, v66, v67
	v_cvt_pkrtz_f16_f32 v31, v68, v69
	v_cvt_pk_f32_fp8_e32 v[66:67], v33
	v_mfma_f32_16x16x16_f16 v[34:37], v[64:65], v[36:37], v[58:61]
	s_barrier
	s_nop 1
	v_cvt_pk_f32_fp8_sdwa v[58:59], v33 src0_sel:WORD_1
	v_cvt_pkrtz_f16_f32 v60, v66, v67
	v_mfma_f32_16x16x16_f16 v[30:33], v[30:31], v[38:39], v[34:37]
	s_waitcnt vmcnt(2)
	v_cvt_pk_f32_fp8_e32 v[38:39], v19
	v_cvt_pkrtz_f16_f32 v61, v58, v59
	v_cvt_pk_f32_fp8_e32 v[34:35], v18
	v_cvt_pk_f32_fp8_sdwa v[36:37], v18 src0_sel:WORD_1
	v_cvt_pk_f32_fp8_sdwa v[18:19], v19 src0_sel:WORD_1
	v_mfma_f32_16x16x16_f16 v[30:33], v[60:61], v[40:41], v[30:33]
	v_cvt_pkrtz_f16_f32 v34, v34, v35
	v_cvt_pkrtz_f16_f32 v35, v36, v37
	;; [unrolled: 1-line block ×3, first 2 shown]
	v_cvt_pk_f32_fp8_e32 v[38:39], v20
	v_cvt_pk_f32_fp8_sdwa v[40:41], v20 src0_sel:WORD_1
	v_cvt_pkrtz_f16_f32 v37, v18, v19
	v_mfma_f32_16x16x16_f16 v[30:33], v[34:35], v[6:7], v[30:33]
	v_cvt_pkrtz_f16_f32 v18, v38, v39
	v_cvt_pkrtz_f16_f32 v19, v40, v41
	v_cvt_pk_f32_fp8_e32 v[34:35], v21
	v_cvt_pk_f32_fp8_sdwa v[20:21], v21 src0_sel:WORD_1
	v_mfma_f32_16x16x16_f16 v[6:9], v[36:37], v[8:9], v[30:33]
	s_nop 2
	v_cvt_pkrtz_f16_f32 v30, v34, v35
	v_cvt_pkrtz_f16_f32 v31, v20, v21
	v_mfma_f32_16x16x16_f16 v[6:9], v[18:19], v[42:43], v[6:9]
	s_waitcnt vmcnt(1)
	v_cvt_pk_f32_fp8_e32 v[18:19], v14
	v_cvt_pk_f32_fp8_sdwa v[20:21], v14 src0_sel:WORD_1
	v_cvt_pk_f32_fp8_sdwa v[32:33], v16 src0_sel:WORD_1
	v_mfma_f32_16x16x16_f16 v[6:9], v[30:31], v[44:45], v[6:9]
	v_cvt_pk_f32_fp8_e32 v[30:31], v15
	v_cvt_pkrtz_f16_f32 v18, v18, v19
	v_cvt_pkrtz_f16_f32 v19, v20, v21
	v_cvt_pk_f32_fp8_sdwa v[14:15], v15 src0_sel:WORD_1
	v_cvt_pkrtz_f16_f32 v20, v30, v31
	v_cvt_pk_f32_fp8_e32 v[30:31], v16
	v_mfma_f32_16x16x16_f16 v[6:9], v[18:19], v[2:3], v[6:9]
	v_cvt_pkrtz_f16_f32 v21, v14, v15
	v_cvt_pkrtz_f16_f32 v14, v30, v31
	;; [unrolled: 1-line block ×3, first 2 shown]
	v_cvt_pk_f32_fp8_e32 v[18:19], v17
	v_cvt_pk_f32_fp8_sdwa v[16:17], v17 src0_sel:WORD_1
	v_mfma_f32_16x16x16_f16 v[2:5], v[20:21], v[4:5], v[6:9]
	s_waitcnt vmcnt(0)
	v_cvt_pk_f32_fp8_sdwa v[20:21], v12 src0_sel:WORD_1
	s_nop 0
	v_cvt_pkrtz_f16_f32 v8, v18, v19
	v_cvt_pkrtz_f16_f32 v9, v16, v17
	v_mfma_f32_16x16x16_f16 v[2:5], v[14:15], v[46:47], v[2:5]
	v_cvt_pk_f32_fp8_e32 v[16:17], v10
	v_cvt_pk_f32_fp8_sdwa v[18:19], v10 src0_sel:WORD_1
	v_pk_mul_f32 v[6:7], v[24:25], s[8:9] op_sel_hi:[1,0]
	v_mfma_f32_16x16x16_f16 v[2:5], v[8:9], v[48:49], v[2:5]
	v_cvt_pk_f32_fp8_e32 v[8:9], v11
	v_cvt_pkrtz_f16_f32 v16, v16, v17
	v_cvt_pkrtz_f16_f32 v17, v18, v19
	v_cvt_pk_f32_fp8_sdwa v[10:11], v11 src0_sel:WORD_1
	v_cvt_pkrtz_f16_f32 v8, v8, v9
	v_cvt_pk_f32_fp8_e32 v[18:19], v12
	v_mfma_f32_16x16x16_f16 v[2:5], v[16:17], v[26:27], v[2:5]
	v_cvt_pkrtz_f16_f32 v9, v10, v11
	v_cvt_pkrtz_f16_f32 v10, v18, v19
	;; [unrolled: 1-line block ×3, first 2 shown]
	v_cvt_pk_f32_fp8_e32 v[16:17], v13
	v_cvt_pk_f32_fp8_sdwa v[12:13], v13 src0_sel:WORD_1
	v_mfma_f32_16x16x16_f16 v[2:5], v[8:9], v[28:29], v[2:5]
	v_pk_mul_f32 v[14:15], v[22:23], s[8:9] op_sel_hi:[1,0]
	v_cvt_pkrtz_f16_f32 v8, v16, v17
	v_cvt_pkrtz_f16_f32 v9, v12, v13
	v_mfma_f32_16x16x16_f16 v[2:5], v[10:11], v[50:51], v[2:5]
	v_cvt_f16_f32_e32 v14, v14
	v_cvt_f16_f32_e32 v10, v15
	;; [unrolled: 1-line block ×3, first 2 shown]
	v_mfma_f32_16x16x16_f16 v[2:5], v[8:9], v[52:53], v[2:5]
	v_cvt_f16_f32_e32 v7, v7
	s_nop 5
	v_pk_mul_f32 v[4:5], v[4:5], s[8:9] op_sel_hi:[1,0]
	v_pk_mul_f32 v[2:3], v[2:3], s[8:9] op_sel_hi:[1,0]
	v_cvt_f16_f32_e32 v11, v4
	v_cvt_f16_f32_e32 v8, v2
	;; [unrolled: 1-line block ×4, first 2 shown]
	v_pack_b32_f16 v2, v14, v10
	v_pack_b32_f16 v3, v6, v7
	;; [unrolled: 1-line block ×4, first 2 shown]
	ds_write2st64_b64 v55, v[2:3], v[4:5] offset1:1
	s_waitcnt lgkmcnt(0)
	s_barrier
	s_and_saveexec_b64 s[8:9], vcc
	s_cbranch_execz .LBB1060_20
; %bb.18:
	s_load_dwordx2 s[8:9], s[0:1], 0x68
	s_lshl_b32 s0, s7, 7
	s_mul_i32 s1, s10, s2
	v_lshlrev_b32_e32 v3, 6, v56
	s_mul_hi_u32 s11, s1, s0
	s_mul_i32 s10, s1, s0
	v_lshl_or_b32 v0, v0, 10, v3
	s_lshl_b64 s[10:11], s[10:11], 1
	v_lshlrev_b32_e32 v2, 5, v62
	v_and_b32_e32 v1, 16, v1
	v_and_b32_e32 v0, 0x1a00, v0
	s_waitcnt lgkmcnt(0)
	s_add_u32 s1, s8, s10
	v_or3_b32 v2, v0, v2, v1
	s_addc_u32 s7, s9, s11
	s_lshl_b32 s2, s6, 7
	ds_read_b128 v[4:7], v2 offset:256
	s_lshl_b64 s[2:3], s[2:3], 1
	ds_read_b128 v[8:11], v2 offset:128
	ds_read_b128 v[12:15], v2
	s_add_u32 s2, s1, s2
	s_addc_u32 s3, s7, s3
	v_mov_b32_e32 v55, 0
	v_add_u32_e32 v3, s48, v62
	v_lshl_add_u64 v[0:1], s[2:3], 0, v[54:55]
	v_mad_u64_u32 v[16:17], s[2:3], v3, s0, 0
	v_lshl_add_u64 v[16:17], v[16:17], 1, v[0:1]
	s_waitcnt lgkmcnt(0)
	global_store_dwordx4 v[16:17], v[12:15], off
	s_nop 1
	v_add_u32_e32 v12, 4, v3
	v_mad_u64_u32 v[12:13], s[2:3], v12, s0, 0
	v_lshl_add_u64 v[12:13], v[12:13], 1, v[0:1]
	v_add_u32_e32 v3, 8, v3
	global_store_dwordx4 v[12:13], v[8:11], off
	s_nop 1
	v_mad_u64_u32 v[8:9], s[2:3], v3, s0, 0
	v_lshl_add_u64 v[8:9], v[8:9], 1, v[0:1]
	global_store_dwordx4 v[8:9], v[4:7], off
	s_and_b64 exec, exec, s[4:5]
	s_cbranch_execz .LBB1060_20
; %bb.19:
	ds_read_b128 v[2:5], v2 offset:384
	v_add3_u32 v6, s48, v62, 12
	v_mad_u64_u32 v[6:7], s[0:1], v6, s0, 0
	v_lshl_add_u64 v[0:1], v[6:7], 1, v[0:1]
	s_waitcnt lgkmcnt(0)
	global_store_dwordx4 v[0:1], v[2:5], off
.LBB1060_20:
	s_endpgm
	.section	.rodata,"a",@progbits
	.p2align	6, 0x0
	.amdhsa_kernel _Z39paged_attention_ll4mi_QKV_mfma16_kernelIDF16_hLN4vllm18Fp8KVCacheDataTypeE1EDF16_Li32ELi128ELi256ELb1ELi13EEvPKT_PKT0_S7_ifPKiS9_S9_iPKfiiiPfSC_PS2_PT2_iSB_SB_
		.amdhsa_group_segment_fixed_size 8192
		.amdhsa_private_segment_fixed_size 0
		.amdhsa_kernarg_size 400
		.amdhsa_user_sgpr_count 2
		.amdhsa_user_sgpr_dispatch_ptr 0
		.amdhsa_user_sgpr_queue_ptr 0
		.amdhsa_user_sgpr_kernarg_segment_ptr 1
		.amdhsa_user_sgpr_dispatch_id 0
		.amdhsa_user_sgpr_kernarg_preload_length 0
		.amdhsa_user_sgpr_kernarg_preload_offset 0
		.amdhsa_user_sgpr_private_segment_size 0
		.amdhsa_uses_dynamic_stack 0
		.amdhsa_enable_private_segment 0
		.amdhsa_system_sgpr_workgroup_id_x 1
		.amdhsa_system_sgpr_workgroup_id_y 1
		.amdhsa_system_sgpr_workgroup_id_z 1
		.amdhsa_system_sgpr_workgroup_info 0
		.amdhsa_system_vgpr_workitem_id 0
		.amdhsa_next_free_vgpr 78
		.amdhsa_next_free_sgpr 50
		.amdhsa_accum_offset 80
		.amdhsa_reserve_vcc 1
		.amdhsa_float_round_mode_32 0
		.amdhsa_float_round_mode_16_64 0
		.amdhsa_float_denorm_mode_32 3
		.amdhsa_float_denorm_mode_16_64 3
		.amdhsa_dx10_clamp 1
		.amdhsa_ieee_mode 1
		.amdhsa_fp16_overflow 0
		.amdhsa_tg_split 0
		.amdhsa_exception_fp_ieee_invalid_op 0
		.amdhsa_exception_fp_denorm_src 0
		.amdhsa_exception_fp_ieee_div_zero 0
		.amdhsa_exception_fp_ieee_overflow 0
		.amdhsa_exception_fp_ieee_underflow 0
		.amdhsa_exception_fp_ieee_inexact 0
		.amdhsa_exception_int_div_zero 0
	.end_amdhsa_kernel
	.section	.text._Z39paged_attention_ll4mi_QKV_mfma16_kernelIDF16_hLN4vllm18Fp8KVCacheDataTypeE1EDF16_Li32ELi128ELi256ELb1ELi13EEvPKT_PKT0_S7_ifPKiS9_S9_iPKfiiiPfSC_PS2_PT2_iSB_SB_,"axG",@progbits,_Z39paged_attention_ll4mi_QKV_mfma16_kernelIDF16_hLN4vllm18Fp8KVCacheDataTypeE1EDF16_Li32ELi128ELi256ELb1ELi13EEvPKT_PKT0_S7_ifPKiS9_S9_iPKfiiiPfSC_PS2_PT2_iSB_SB_,comdat
.Lfunc_end1060:
	.size	_Z39paged_attention_ll4mi_QKV_mfma16_kernelIDF16_hLN4vllm18Fp8KVCacheDataTypeE1EDF16_Li32ELi128ELi256ELb1ELi13EEvPKT_PKT0_S7_ifPKiS9_S9_iPKfiiiPfSC_PS2_PT2_iSB_SB_, .Lfunc_end1060-_Z39paged_attention_ll4mi_QKV_mfma16_kernelIDF16_hLN4vllm18Fp8KVCacheDataTypeE1EDF16_Li32ELi128ELi256ELb1ELi13EEvPKT_PKT0_S7_ifPKiS9_S9_iPKfiiiPfSC_PS2_PT2_iSB_SB_
                                        ; -- End function
	.section	.AMDGPU.csdata,"",@progbits
; Kernel info:
; codeLenInByte = 6420
; NumSgprs: 56
; NumVgprs: 78
; NumAgprs: 0
; TotalNumVgprs: 78
; ScratchSize: 0
; MemoryBound: 0
; FloatMode: 240
; IeeeMode: 1
; LDSByteSize: 8192 bytes/workgroup (compile time only)
; SGPRBlocks: 6
; VGPRBlocks: 9
; NumSGPRsForWavesPerEU: 56
; NumVGPRsForWavesPerEU: 78
; AccumOffset: 80
; Occupancy: 6
; WaveLimiterHint : 1
; COMPUTE_PGM_RSRC2:SCRATCH_EN: 0
; COMPUTE_PGM_RSRC2:USER_SGPR: 2
; COMPUTE_PGM_RSRC2:TRAP_HANDLER: 0
; COMPUTE_PGM_RSRC2:TGID_X_EN: 1
; COMPUTE_PGM_RSRC2:TGID_Y_EN: 1
; COMPUTE_PGM_RSRC2:TGID_Z_EN: 1
; COMPUTE_PGM_RSRC2:TIDIG_COMP_CNT: 0
; COMPUTE_PGM_RSRC3_GFX90A:ACCUM_OFFSET: 19
; COMPUTE_PGM_RSRC3_GFX90A:TG_SPLIT: 0
	.section	.text._Z39paged_attention_ll4mi_QKV_mfma16_kernelIDF16_hLN4vllm18Fp8KVCacheDataTypeE1EDF16_Li32ELi128ELi256ELb1ELi14EEvPKT_PKT0_S7_ifPKiS9_S9_iPKfiiiPfSC_PS2_PT2_iSB_SB_,"axG",@progbits,_Z39paged_attention_ll4mi_QKV_mfma16_kernelIDF16_hLN4vllm18Fp8KVCacheDataTypeE1EDF16_Li32ELi128ELi256ELb1ELi14EEvPKT_PKT0_S7_ifPKiS9_S9_iPKfiiiPfSC_PS2_PT2_iSB_SB_,comdat
	.protected	_Z39paged_attention_ll4mi_QKV_mfma16_kernelIDF16_hLN4vllm18Fp8KVCacheDataTypeE1EDF16_Li32ELi128ELi256ELb1ELi14EEvPKT_PKT0_S7_ifPKiS9_S9_iPKfiiiPfSC_PS2_PT2_iSB_SB_ ; -- Begin function _Z39paged_attention_ll4mi_QKV_mfma16_kernelIDF16_hLN4vllm18Fp8KVCacheDataTypeE1EDF16_Li32ELi128ELi256ELb1ELi14EEvPKT_PKT0_S7_ifPKiS9_S9_iPKfiiiPfSC_PS2_PT2_iSB_SB_
	.globl	_Z39paged_attention_ll4mi_QKV_mfma16_kernelIDF16_hLN4vllm18Fp8KVCacheDataTypeE1EDF16_Li32ELi128ELi256ELb1ELi14EEvPKT_PKT0_S7_ifPKiS9_S9_iPKfiiiPfSC_PS2_PT2_iSB_SB_
	.p2align	8
	.type	_Z39paged_attention_ll4mi_QKV_mfma16_kernelIDF16_hLN4vllm18Fp8KVCacheDataTypeE1EDF16_Li32ELi128ELi256ELb1ELi14EEvPKT_PKT0_S7_ifPKiS9_S9_iPKfiiiPfSC_PS2_PT2_iSB_SB_,@function
_Z39paged_attention_ll4mi_QKV_mfma16_kernelIDF16_hLN4vllm18Fp8KVCacheDataTypeE1EDF16_Li32ELi128ELi256ELb1ELi14EEvPKT_PKT0_S7_ifPKiS9_S9_iPKfiiiPfSC_PS2_PT2_iSB_SB_: ; @_Z39paged_attention_ll4mi_QKV_mfma16_kernelIDF16_hLN4vllm18Fp8KVCacheDataTypeE1EDF16_Li32ELi128ELi256ELb1ELi14EEvPKT_PKT0_S7_ifPKiS9_S9_iPKfiiiPfSC_PS2_PT2_iSB_SB_
; %bb.0:
	s_load_dwordx2 s[10:11], s[0:1], 0x30
	s_mov_b32 s6, s3
	s_mov_b64 s[8:9], 0
	s_waitcnt lgkmcnt(0)
	s_cmp_lg_u64 s[10:11], 0
	s_cselect_b64 s[12:13], -1, 0
	s_and_b64 vcc, exec, s[12:13]
	s_cbranch_vccz .LBB1061_7
; %bb.1:
	s_add_i32 s14, s2, 1
	s_mov_b32 s15, 0
	s_lshl_b64 s[16:17], s[14:15], 2
	s_add_u32 s16, s10, s16
	s_mov_b32 s3, s15
	s_addc_u32 s17, s11, s17
	s_lshl_b64 s[14:15], s[2:3], 2
	s_add_u32 s14, s10, s14
	s_addc_u32 s15, s11, s15
	s_load_dword s5, s[16:17], 0x0
	s_load_dword s7, s[14:15], 0x0
	s_waitcnt lgkmcnt(0)
	s_sub_i32 s5, s5, s7
	s_cmp_eq_u32 s5, 1
	s_cselect_b64 s[14:15], -1, 0
	s_andn2_b64 vcc, exec, s[8:9]
	s_cbranch_vccnz .LBB1061_3
.LBB1061_2:
	s_mov_b32 s3, 0
	s_mov_b64 s[14:15], -1
.LBB1061_3:
	s_andn2_b64 vcc, exec, s[14:15]
	s_cbranch_vccnz .LBB1061_20
; %bb.4:
	s_load_dwordx2 s[8:9], s[0:1], 0x28
	s_lshl_b64 s[14:15], s[2:3], 2
	s_waitcnt lgkmcnt(0)
	s_add_u32 s8, s8, s14
	s_addc_u32 s9, s9, s15
	s_load_dword s7, s[8:9], 0x0
	s_lshl_b32 s18, s6, 8
	s_waitcnt lgkmcnt(0)
	s_cmp_ge_i32 s18, s7
	s_cbranch_scc1 .LBB1061_20
; %bb.5:
	s_load_dwordx2 s[8:9], s[0:1], 0x20
	s_load_dword s5, s[0:1], 0x38
	s_add_i32 s16, s7, 31
	s_ashr_i32 s17, s16, 31
	v_and_b32_e32 v1, 0xcf, v0
	s_lshr_b32 s17, s17, 27
	v_add_u32_e32 v1, s18, v1
	s_add_i32 s16, s16, s17
	v_ashrrev_i32_e32 v2, 31, v1
	s_ashr_i32 s19, s16, 5
	v_lshrrev_b32_e32 v4, 27, v2
	s_add_i32 s19, s19, -1
	s_waitcnt lgkmcnt(0)
	s_mul_i32 s16, s2, s5
	s_mov_b32 s17, 0
	v_add_u32_e32 v2, v1, v4
	s_lshl_b64 s[16:17], s[16:17], 2
	v_ashrrev_i32_e32 v2, 5, v2
	v_mov_b32_e32 v5, s19
	v_cmp_gt_i32_e32 vcc, s7, v1
	s_add_u32 s8, s8, s16
	s_addc_u32 s9, s9, s17
	v_cndmask_b32_e32 v2, v5, v2, vcc
	v_ashrrev_i32_e32 v3, 31, v2
	v_lshl_add_u64 v[6:7], v[2:3], 2, s[8:9]
	v_or_b32_e32 v2, 16, v1
	v_add_u32_e32 v3, v2, v4
	v_ashrrev_i32_e32 v3, 5, v3
	v_cmp_gt_i32_e32 vcc, s7, v2
	s_load_dwordx2 s[16:17], s[0:1], 0x8
	s_nop 0
	v_cndmask_b32_e32 v2, v5, v3, vcc
	v_ashrrev_i32_e32 v3, 31, v2
	v_lshl_add_u64 v[8:9], v[2:3], 2, s[8:9]
	v_or_b32_e32 v2, 32, v1
	v_add_u32_e32 v3, v2, v4
	v_ashrrev_i32_e32 v3, 5, v3
	v_cmp_gt_i32_e32 vcc, s7, v2
	v_or_b32_e32 v1, 48, v1
	s_nop 0
	v_cndmask_b32_e32 v2, v5, v3, vcc
	v_ashrrev_i32_e32 v3, 31, v2
	v_lshl_add_u64 v[12:13], v[2:3], 2, s[8:9]
	v_add_u32_e32 v2, v1, v4
	v_ashrrev_i32_e32 v2, 5, v2
	v_cmp_gt_i32_e32 vcc, s7, v1
	s_nop 1
	v_cndmask_b32_e32 v2, v5, v2, vcc
	v_ashrrev_i32_e32 v3, 31, v2
	v_lshl_add_u64 v[14:15], v[2:3], 2, s[8:9]
	global_load_dword v4, v[6:7], off
	global_load_dword v3, v[8:9], off
	;; [unrolled: 1-line block ×4, first 2 shown]
	s_andn2_b64 vcc, exec, s[12:13]
	s_cbranch_vccnz .LBB1061_8
; %bb.6:
	s_add_u32 s10, s10, s14
	s_addc_u32 s11, s11, s15
	s_load_dword s5, s[10:11], 0x0
	s_branch .LBB1061_9
.LBB1061_7:
	s_mov_b64 s[14:15], 0
	s_branch .LBB1061_2
.LBB1061_8:
	s_mov_b32 s5, s2
.LBB1061_9:
	s_load_dwordx2 s[10:11], s[0:1], 0x10
	s_load_dwordx4 s[44:47], s[0:1], 0x48
	v_lshrrev_b32_e32 v57, 6, v0
	v_bfe_u32 v62, v0, 4, 2
	v_and_b32_e32 v56, 15, v0
	v_lshl_or_b32 v5, v57, 2, v62
	v_lshlrev_b32_e32 v1, 3, v56
	s_mul_i32 s48, s4, 14
	v_cmp_gt_u32_e32 vcc, 14, v5
	v_lshlrev_b32_e32 v54, 1, v1
	v_lshlrev_b32_e32 v1, 4, v0
	s_and_saveexec_b64 s[12:13], vcc
	s_cbranch_execz .LBB1061_11
; %bb.10:
	s_load_dwordx2 s[14:15], s[0:1], 0x0
	s_waitcnt lgkmcnt(0)
	s_ashr_i32 s20, s44, 31
	s_mul_hi_u32 s21, s5, s44
	s_mul_i32 s20, s5, s20
	s_add_i32 s21, s21, s20
	s_mul_i32 s20, s5, s44
	s_lshl_b64 s[20:21], s[20:21], 1
	s_add_u32 s14, s14, s20
	v_add_lshl_u32 v6, v5, s48, 7
	s_addc_u32 s15, s15, s21
	v_ashrrev_i32_e32 v7, 31, v6
	v_lshl_add_u64 v[6:7], v[6:7], 1, s[14:15]
	v_mov_b32_e32 v55, 0
	v_lshl_add_u64 v[6:7], v[6:7], 0, v[54:55]
	global_load_dwordx4 v[6:9], v[6:7], off
	v_lshlrev_b32_e32 v12, 8, v0
	v_lshlrev_b32_e32 v11, 8, v56
	v_and_b32_e32 v12, 0x600, v12
	s_movk_i32 s5, 0x800
	v_and_or_b32 v11, v11, s5, v12
	v_lshlrev_b32_e32 v5, 5, v5
	v_and_b32_e32 v12, 16, v1
	v_or3_b32 v5, v11, v5, v12
	s_waitcnt vmcnt(0)
	ds_write_b128 v5, v[6:9]
.LBB1061_11:
	s_or_b64 exec, exec, s[12:13]
	s_waitcnt lgkmcnt(0)
	s_mul_i32 s12, s4, s46
	s_add_u32 s4, s16, s12
	s_addc_u32 s5, s17, 0
	v_mov_b32_e32 v59, 0
	v_mov_b64_e32 v[12:13], s[4:5]
	v_and_b32_e32 v34, 48, v0
	s_waitcnt vmcnt(3)
	v_mad_i64_i32 v[4:5], s[4:5], v4, s45, v[12:13]
	v_lshlrev_b32_e32 v14, 4, v56
	v_mov_b32_e32 v15, v59
	v_lshlrev_b32_e32 v58, 5, v34
	v_lshl_add_u64 v[4:5], v[4:5], 0, v[14:15]
	v_lshl_add_u64 v[4:5], v[4:5], 0, v[58:59]
	s_barrier
	global_load_dwordx4 v[50:53], v[4:5], off
	global_load_dwordx4 v[46:49], v[4:5], off offset:2048
	s_waitcnt vmcnt(4)
	v_mad_i64_i32 v[4:5], s[4:5], v3, s45, v[12:13]
	v_or_b32_e32 v16, 0x100, v14
	v_mov_b32_e32 v17, v59
	s_waitcnt vmcnt(3)
	v_mad_i64_i32 v[2:3], s[4:5], v2, s45, v[12:13]
	v_lshl_add_u64 v[4:5], v[4:5], 0, v[16:17]
	v_lshl_add_u64 v[2:3], v[2:3], 0, v[14:15]
	s_waitcnt vmcnt(2)
	v_mad_i64_i32 v[10:11], s[4:5], v10, s45, v[12:13]
	v_lshl_add_u64 v[4:5], v[4:5], 0, v[58:59]
	v_lshl_add_u64 v[14:15], v[2:3], 0, v[58:59]
	;; [unrolled: 1-line block ×3, first 2 shown]
	global_load_dwordx4 v[36:39], v[4:5], off
	global_load_dwordx4 v[6:9], v[4:5], off offset:2048
	s_nop 0
	global_load_dwordx4 v[2:5], v[14:15], off
	global_load_dwordx4 v[42:45], v[14:15], off offset:2048
	v_lshl_add_u64 v[14:15], v[10:11], 0, v[58:59]
	global_load_dwordx4 v[26:29], v[14:15], off
	global_load_dwordx4 v[10:13], v[14:15], off offset:2048
	v_add_u32_e32 v14, -14, v56
	v_cmp_gt_u32_e32 vcc, 14, v56
	v_and_b32_e32 v55, 63, v0
	v_mov_b32_e32 v63, 0
	v_cndmask_b32_e32 v14, v14, v56, vcc
	v_lshlrev_b32_e32 v14, 5, v14
	v_lshl_add_u32 v14, v62, 9, v14
	ds_read_b128 v[30:33], v14
	ds_read_b128 v[22:25], v14 offset:16
	ds_read_b128 v[18:21], v14 offset:2048
	;; [unrolled: 1-line block ×3, first 2 shown]
	s_and_saveexec_b64 s[4:5], vcc
	s_cbranch_execz .LBB1061_13
; %bb.12:
	s_load_dwordx2 s[14:15], s[0:1], 0x40
	v_add_u32_e32 v40, s48, v56
	v_ashrrev_i32_e32 v41, 31, v40
	s_waitcnt lgkmcnt(0)
	v_lshl_add_u64 v[40:41], v[40:41], 2, s[14:15]
	global_load_dword v63, v[40:41], off
.LBB1061_13:
	s_or_b64 exec, exec, s[4:5]
	s_ashr_i32 s4, s18, 31
	v_or_b32_e32 v58, s18, v34
	s_lshr_b32 s4, s4, 27
	v_add_u32_e32 v34, s4, v58
	v_cmp_gt_i32_e32 vcc, s7, v58
	v_or_b32_e32 v40, 64, v58
	v_or_b32_e32 v60, 0x80, v58
	v_or_b32_e32 v58, 0xc0, v58
	v_add_u32_e32 v64, s4, v58
	v_ashrrev_i32_e32 v69, 5, v64
	s_waitcnt vmcnt(7)
	v_cvt_pk_f32_fp8_e32 v[64:65], v50
	v_cvt_pk_f32_fp8_sdwa v[66:67], v50 src0_sel:WORD_1
	v_cvt_pk_f32_fp8_e32 v[70:71], v51
	v_cvt_pk_f32_fp8_sdwa v[50:51], v51 src0_sel:WORD_1
	v_cvt_pkrtz_f16_f32 v64, v64, v65
	v_cvt_pkrtz_f16_f32 v65, v66, v67
	;; [unrolled: 1-line block ×3, first 2 shown]
	v_cvt_pk_f32_fp8_e32 v[72:73], v52
	v_cvt_pk_f32_fp8_sdwa v[74:75], v52 src0_sel:WORD_1
	v_cvt_pkrtz_f16_f32 v71, v50, v51
	s_waitcnt lgkmcnt(3)
	v_mfma_f32_16x16x16_f16 v[64:67], v[64:65], v[30:31], 0
	v_cvt_pkrtz_f16_f32 v72, v72, v73
	v_cvt_pkrtz_f16_f32 v73, v74, v75
	v_cvt_pk_f32_fp8_e32 v[74:75], v53
	v_cvt_pk_f32_fp8_sdwa v[76:77], v53 src0_sel:WORD_1
	v_mfma_f32_16x16x16_f16 v[50:53], v[70:71], v[32:33], v[64:67]
	v_ashrrev_i32_e32 v34, 5, v34
	v_mov_b32_e32 v68, s19
	v_add_u32_e32 v41, s4, v40
	v_cndmask_b32_e32 v34, v68, v34, vcc
	v_ashrrev_i32_e32 v41, 5, v41
	v_cmp_gt_i32_e32 vcc, s7, v40
	v_add_u32_e32 v61, s4, v60
	v_cvt_pkrtz_f16_f32 v64, v74, v75
	v_cvt_pkrtz_f16_f32 v65, v76, v77
	v_cndmask_b32_e32 v40, v68, v41, vcc
	v_ashrrev_i32_e32 v61, 5, v61
	v_cmp_gt_i32_e32 vcc, s7, v60
	s_waitcnt lgkmcnt(2)
	v_mfma_f32_16x16x16_f16 v[50:53], v[72:73], v[22:23], v[50:53]
	s_waitcnt vmcnt(6)
	v_cvt_pk_f32_fp8_e32 v[66:67], v46
	v_cndmask_b32_e32 v60, v68, v61, vcc
	v_cmp_gt_i32_e32 vcc, s7, v58
	v_ashrrev_i32_e32 v35, 31, v34
	v_lshl_add_u64 v[34:35], v[34:35], 2, s[8:9]
	v_cndmask_b32_e32 v68, v68, v69, vcc
	v_ashrrev_i32_e32 v41, 31, v40
	v_ashrrev_i32_e32 v61, 31, v60
	v_ashrrev_i32_e32 v69, 31, v68
	v_lshl_add_u64 v[40:41], v[40:41], 2, s[8:9]
	v_lshl_add_u64 v[60:61], v[60:61], 2, s[8:9]
	;; [unrolled: 1-line block ×3, first 2 shown]
	v_mfma_f32_16x16x16_f16 v[50:53], v[64:65], v[24:25], v[50:53]
	v_cvt_pkrtz_f16_f32 v74, v66, v67
	global_load_dword v68, v[34:35], off
	global_load_dword v66, v[40:41], off
	;; [unrolled: 1-line block ×4, first 2 shown]
	v_cvt_pk_f32_fp8_sdwa v[70:71], v46 src0_sel:WORD_1
	v_cvt_pk_f32_fp8_e32 v[40:41], v48
	s_waitcnt vmcnt(9)
	v_cvt_pk_f32_fp8_e32 v[60:61], v36
	s_add_u32 s4, s10, s12
	v_cvt_pkrtz_f16_f32 v75, v70, v71
	v_cvt_pk_f32_fp8_e32 v[70:71], v47
	v_cvt_pk_f32_fp8_sdwa v[46:47], v47 src0_sel:WORD_1
	s_waitcnt lgkmcnt(1)
	v_mfma_f32_16x16x16_f16 v[50:53], v[74:75], v[18:19], v[50:53]
	v_cvt_pkrtz_f16_f32 v34, v70, v71
	v_cvt_pkrtz_f16_f32 v35, v46, v47
	v_cvt_pk_f32_fp8_sdwa v[46:47], v48 src0_sel:WORD_1
	v_cvt_pkrtz_f16_f32 v40, v40, v41
	v_mfma_f32_16x16x16_f16 v[50:53], v[34:35], v[20:21], v[50:53]
	v_cvt_pkrtz_f16_f32 v41, v46, v47
	v_cvt_pk_f32_fp8_e32 v[34:35], v49
	v_cvt_pk_f32_fp8_sdwa v[46:47], v49 src0_sel:WORD_1
	v_cvt_pk_f32_fp8_sdwa v[70:71], v36 src0_sel:WORD_1
	s_addc_u32 s5, s11, 0
	v_cvt_pkrtz_f16_f32 v34, v34, v35
	v_cvt_pkrtz_f16_f32 v35, v46, v47
	s_waitcnt lgkmcnt(0)
	v_mfma_f32_16x16x16_f16 v[46:49], v[40:41], v[14:15], v[50:53]
	v_cvt_pkrtz_f16_f32 v40, v60, v61
	v_cvt_pkrtz_f16_f32 v41, v70, v71
	s_waitcnt vmcnt(8)
	v_cvt_pk_f32_fp8_sdwa v[60:61], v6 src0_sel:WORD_1
	v_cvt_pk_f32_fp8_e32 v[50:51], v37
	v_cvt_pk_f32_fp8_sdwa v[52:53], v37 src0_sel:WORD_1
	v_mfma_f32_16x16x16_f16 v[34:37], v[34:35], v[16:17], v[46:49]
	v_and_b32_e32 v58, 16, v0
	v_cvt_pkrtz_f16_f32 v50, v50, v51
	v_cvt_pkrtz_f16_f32 v51, v52, v53
	v_mfma_f32_16x16x16_f16 v[46:49], v[40:41], v[30:31], 0
	v_cvt_pk_f32_fp8_e32 v[40:41], v38
	v_cvt_pk_f32_fp8_sdwa v[52:53], v38 src0_sel:WORD_1
	v_lshl_or_b32 v64, v57, 4, v56
	v_mfma_f32_16x16x16_f16 v[46:49], v[50:51], v[32:33], v[46:49]
	v_cvt_pk_f32_fp8_e32 v[50:51], v39
	v_cvt_pkrtz_f16_f32 v40, v40, v41
	v_cvt_pkrtz_f16_f32 v41, v52, v53
	v_cvt_pk_f32_fp8_sdwa v[38:39], v39 src0_sel:WORD_1
	v_cvt_pkrtz_f16_f32 v50, v50, v51
	v_cvt_pk_f32_fp8_e32 v[52:53], v6
	s_waitcnt vmcnt(6)
	v_cvt_pk_f32_fp8_e32 v[74:75], v43
	v_cvt_pkrtz_f16_f32 v51, v38, v39
	v_mfma_f32_16x16x16_f16 v[38:41], v[40:41], v[22:23], v[46:49]
	s_nop 2
	v_cvt_pkrtz_f16_f32 v48, v52, v53
	v_cvt_pkrtz_f16_f32 v49, v60, v61
	v_cvt_pk_f32_fp8_e32 v[52:53], v7
	v_cvt_pk_f32_fp8_sdwa v[6:7], v7 src0_sel:WORD_1
	v_mfma_f32_16x16x16_f16 v[38:41], v[50:51], v[24:25], v[38:41]
	v_lshl_add_u64 v[46:47], s[4:5], 0, v[58:59]
	v_cvt_pkrtz_f16_f32 v50, v52, v53
	v_cvt_pkrtz_f16_f32 v51, v6, v7
	v_mfma_f32_16x16x16_f16 v[38:41], v[48:49], v[18:19], v[38:41]
	v_cvt_pk_f32_fp8_e32 v[6:7], v8
	v_cvt_pk_f32_fp8_sdwa v[48:49], v8 src0_sel:WORD_1
	v_cvt_pk_f32_fp8_sdwa v[52:53], v2 src0_sel:WORD_1
	v_mfma_f32_16x16x16_f16 v[38:41], v[50:51], v[20:21], v[38:41]
	v_cvt_pk_f32_fp8_e32 v[50:51], v9
	v_cvt_pkrtz_f16_f32 v6, v6, v7
	v_cvt_pkrtz_f16_f32 v7, v48, v49
	v_cvt_pk_f32_fp8_sdwa v[8:9], v9 src0_sel:WORD_1
	v_cvt_pkrtz_f16_f32 v48, v50, v51
	v_cvt_pk_f32_fp8_e32 v[50:51], v2
	v_lshlrev_b32_e32 v58, 5, v64
	v_cvt_pkrtz_f16_f32 v49, v8, v9
	v_mfma_f32_16x16x16_f16 v[6:9], v[6:7], v[14:15], v[38:41]
	v_cvt_pkrtz_f16_f32 v50, v50, v51
	v_cvt_pkrtz_f16_f32 v51, v52, v53
	v_cvt_pk_f32_fp8_e32 v[52:53], v3
	v_cvt_pk_f32_fp8_sdwa v[2:3], v3 src0_sel:WORD_1
	v_mfma_f32_16x16x16_f16 v[38:41], v[48:49], v[16:17], v[6:9]
	v_lshl_add_u64 v[48:49], v[46:47], 0, v[58:59]
	v_cvt_pkrtz_f16_f32 v52, v52, v53
	v_cvt_pkrtz_f16_f32 v53, v2, v3
	v_mfma_f32_16x16x16_f16 v[6:9], v[50:51], v[30:31], 0
	v_cvt_pk_f32_fp8_e32 v[2:3], v4
	v_cvt_pk_f32_fp8_sdwa v[50:51], v4 src0_sel:WORD_1
	s_waitcnt vmcnt(3)
	v_mad_i64_i32 v[60:61], s[4:5], v68, s45, v[48:49]
	v_cvt_pkrtz_f16_f32 v2, v2, v3
	v_cvt_pkrtz_f16_f32 v3, v50, v51
	v_mfma_f32_16x16x16_f16 v[6:9], v[52:53], v[32:33], v[6:9]
	v_cvt_pk_f32_fp8_e32 v[50:51], v5
	v_cvt_pk_f32_fp8_sdwa v[4:5], v5 src0_sel:WORD_1
	s_waitcnt vmcnt(2)
	v_mad_i64_i32 v[70:71], s[4:5], v66, s45, v[48:49]
	v_cvt_pkrtz_f16_f32 v50, v50, v51
	v_cvt_pkrtz_f16_f32 v51, v4, v5
	v_mfma_f32_16x16x16_f16 v[2:5], v[2:3], v[22:23], v[6:9]
	v_or_b32_e32 v58, 0x800, v58
	s_nop 1
	v_cvt_pk_f32_fp8_e32 v[6:7], v42
	v_cvt_pk_f32_fp8_sdwa v[8:9], v42 src0_sel:WORD_1
	v_cvt_pk_f32_fp8_sdwa v[42:43], v43 src0_sel:WORD_1
	v_mfma_f32_16x16x16_f16 v[50:53], v[50:51], v[24:25], v[2:5]
	v_cvt_pkrtz_f16_f32 v72, v6, v7
	v_cvt_pkrtz_f16_f32 v73, v8, v9
	global_load_dwordx4 v[6:9], v[60:61], off
	global_load_dwordx4 v[2:5], v[70:71], off
	v_cvt_pkrtz_f16_f32 v60, v74, v75
	v_cvt_pkrtz_f16_f32 v61, v42, v43
	v_mfma_f32_16x16x16_f16 v[70:73], v[72:73], v[18:19], v[50:53]
	v_cvt_pk_f32_fp8_e32 v[42:43], v44
	v_cvt_pkrtz_f16_f32 v42, v42, v43
	s_nop 0
	v_cvt_pk_f32_fp8_sdwa v[52:53], v44 src0_sel:WORD_1
	v_mfma_f32_16x16x16_f16 v[70:73], v[60:61], v[20:21], v[70:73]
	v_cvt_pk_f32_fp8_e32 v[60:61], v45
	s_waitcnt vmcnt(3)
	v_mad_i64_i32 v[50:51], s[4:5], v67, s45, v[48:49]
	s_load_dword s4, s[0:1], 0x1c
	s_load_dwordx4 s[40:43], s[0:1], 0x80
	v_cvt_pkrtz_f16_f32 v43, v52, v53
	v_cvt_pkrtz_f16_f32 v74, v60, v61
	v_cvt_pk_f32_fp8_e32 v[52:53], v26
	v_cvt_pk_f32_fp8_sdwa v[60:61], v26 src0_sel:WORD_1
	s_load_dword s33, s[0:1], 0x98
	s_waitcnt lgkmcnt(0)
	s_load_dword s5, s[40:41], 0x0
	v_cvt_pk_f32_fp8_sdwa v[44:45], v45 src0_sel:WORD_1
	v_cvt_pkrtz_f16_f32 v52, v52, v53
	v_cvt_pkrtz_f16_f32 v53, v60, v61
	v_cvt_pk_f32_fp8_e32 v[60:61], v27
	v_cvt_pk_f32_fp8_sdwa v[26:27], v27 src0_sel:WORD_1
	v_cvt_pkrtz_f16_f32 v75, v44, v45
	v_mfma_f32_16x16x16_f16 v[42:45], v[42:43], v[14:15], v[70:73]
	v_cvt_pkrtz_f16_f32 v60, v60, v61
	v_cvt_pkrtz_f16_f32 v61, v26, v27
	v_mov_b32_e32 v26, s4
	v_mfma_f32_16x16x16_f16 v[70:73], v[52:53], v[30:31], 0
	s_waitcnt lgkmcnt(0)
	v_mul_f32_e32 v52, s5, v26
	v_cvt_pk_f32_fp8_e32 v[26:27], v28
	v_cvt_pk_f32_fp8_sdwa v[30:31], v28 src0_sel:WORD_1
	v_mfma_f32_16x16x16_f16 v[70:73], v[60:61], v[32:33], v[70:73]
	v_cvt_pk_f32_fp8_e32 v[32:33], v29
	v_cvt_pk_f32_fp8_sdwa v[28:29], v29 src0_sel:WORD_1
	v_cvt_pkrtz_f16_f32 v26, v26, v27
	v_cvt_pkrtz_f16_f32 v27, v30, v31
	v_mfma_f32_16x16x16_f16 v[42:45], v[74:75], v[16:17], v[42:45]
	v_cvt_pkrtz_f16_f32 v32, v32, v33
	v_cvt_pkrtz_f16_f32 v33, v28, v29
	v_cvt_pk_f32_fp8_e32 v[60:61], v10
	v_cvt_pk_f32_fp8_sdwa v[74:75], v10 src0_sel:WORD_1
	v_mfma_f32_16x16x16_f16 v[26:29], v[26:27], v[22:23], v[70:73]
	v_pk_mul_f32 v[30:31], v[52:53], v[36:37] op_sel_hi:[0,1]
	v_cvt_pkrtz_f16_f32 v36, v60, v61
	v_cvt_pkrtz_f16_f32 v37, v74, v75
	v_cvt_pk_f32_fp8_e32 v[60:61], v11
	v_cvt_pk_f32_fp8_sdwa v[70:71], v11 src0_sel:WORD_1
	v_mfma_f32_16x16x16_f16 v[22:25], v[32:33], v[24:25], v[26:29]
	v_pk_mul_f32 v[10:11], v[52:53], v[34:35] op_sel_hi:[0,1]
	v_cvt_pkrtz_f16_f32 v60, v60, v61
	v_cvt_pkrtz_f16_f32 v61, v70, v71
	v_mfma_f32_16x16x16_f16 v[32:35], v[36:37], v[18:19], v[22:25]
	v_cvt_pk_f32_fp8_e32 v[18:19], v12
	v_cvt_pk_f32_fp8_sdwa v[36:37], v12 src0_sel:WORD_1
	s_waitcnt vmcnt(2)
	v_mad_i64_i32 v[48:49], s[8:9], v65, s45, v[48:49]
	global_load_dwordx4 v[26:29], v[50:51], off
	global_load_dwordx4 v[22:25], v[48:49], off
	v_cvt_pkrtz_f16_f32 v48, v18, v19
	v_cvt_pkrtz_f16_f32 v49, v36, v37
	v_cvt_pk_f32_fp8_e32 v[36:37], v13
	v_cvt_pk_f32_fp8_sdwa v[12:13], v13 src0_sel:WORD_1
	v_mfma_f32_16x16x16_f16 v[18:21], v[60:61], v[20:21], v[32:35]
	v_pk_mul_f32 v[40:41], v[52:53], v[40:41] op_sel_hi:[0,1]
	v_pk_mul_f32 v[42:43], v[52:53], v[42:43] op_sel_hi:[0,1]
	s_mov_b32 s40, 0xff7fffff
	v_cvt_pkrtz_f16_f32 v32, v36, v37
	v_cvt_pkrtz_f16_f32 v33, v12, v13
	v_mfma_f32_16x16x16_f16 v[12:15], v[48:49], v[14:15], v[18:21]
	v_pk_mul_f32 v[48:49], v[52:53], v[38:39] op_sel_hi:[0,1]
	v_pk_mul_f32 v[38:39], v[52:53], v[44:45] op_sel_hi:[0,1]
	v_mfma_f32_16x16x16_f16 v[12:15], v[32:33], v[16:17], v[12:15]
	s_nop 6
	v_pk_mul_f32 v[36:37], v[52:53], v[12:13] op_sel_hi:[0,1]
	v_and_b32_e32 v12, 0xc0, v0
	v_add_u32_e32 v12, s18, v12
	v_lshl_or_b32 v12, v62, 2, v12
	v_or_b32_e32 v13, 1, v12
	v_pk_mul_f32 v[34:35], v[52:53], v[14:15] op_sel_hi:[0,1]
	v_subrev_u32_e32 v14, s7, v13
	v_add_u32_e32 v16, 1, v14
	v_add_u32_e32 v17, 2, v14
	v_cvt_f32_i32_e32 v15, v14
	v_cvt_f32_i32_e32 v16, v16
	;; [unrolled: 1-line block ×3, first 2 shown]
	v_add_u32_e32 v18, 3, v14
	v_fma_f32 v10, v63, v15, v10
	v_fmac_f32_e32 v11, v63, v16
	v_fma_f32 v51, v63, v17, v30
	v_add_u32_e32 v15, 16, v14
	v_add_u32_e32 v16, 17, v14
	;; [unrolled: 1-line block ×3, first 2 shown]
	v_cvt_f32_i32_e32 v18, v18
	v_cvt_f32_i32_e32 v15, v15
	;; [unrolled: 1-line block ×4, first 2 shown]
	v_fmac_f32_e32 v31, v63, v18
	v_add_u32_e32 v18, 19, v14
	v_fma_f32 v48, v63, v15, v48
	v_fmac_f32_e32 v49, v63, v16
	v_fma_f32 v40, v63, v17, v40
	v_add_u32_e32 v15, 32, v14
	v_add_u32_e32 v16, 33, v14
	;; [unrolled: 1-line block ×3, first 2 shown]
	v_cvt_f32_i32_e32 v18, v18
	v_cvt_f32_i32_e32 v15, v15
	;; [unrolled: 1-line block ×4, first 2 shown]
	v_fmac_f32_e32 v41, v63, v18
	v_add_u32_e32 v18, 35, v14
	v_fma_f32 v42, v63, v15, v42
	v_fmac_f32_e32 v43, v63, v16
	v_fma_f32 v38, v63, v17, v38
	v_add_u32_e32 v15, 48, v14
	v_add_u32_e32 v16, 49, v14
	v_add_u32_e32 v17, 50, v14
	v_add_u32_e32 v14, 51, v14
	v_cvt_f32_i32_e32 v14, v14
	v_cvt_f32_i32_e32 v15, v15
	;; [unrolled: 1-line block ×3, first 2 shown]
	v_cmp_gt_i32_e64 s[8:9], s7, v12
	v_fmac_f32_e32 v35, v63, v14
	v_mov_b32_e32 v14, 0xff7fffff
	v_cmp_gt_i32_e64 s[10:11], s7, v13
	v_fma_f32 v36, v63, v15, v36
	v_cndmask_b32_e64 v15, v14, v10, s[8:9]
	v_cndmask_b32_e64 v13, v14, v11, s[10:11]
	v_fmac_f32_e32 v37, v63, v16
	v_max3_f32 v13, v15, s40, v13
	v_or_b32_e32 v15, 2, v12
	v_or_b32_e32 v16, 3, v12
	v_cmp_gt_i32_e64 s[12:13], s7, v15
	v_cmp_gt_i32_e64 s[14:15], s7, v16
	v_cvt_f32_i32_e32 v18, v18
	v_cndmask_b32_e64 v15, v14, v51, s[12:13]
	v_cndmask_b32_e64 v16, v14, v31, s[14:15]
	v_max3_f32 v13, v13, v15, v16
	v_or_b32_e32 v15, 16, v12
	v_or_b32_e32 v16, 17, v12
	v_cmp_gt_i32_e64 s[16:17], s7, v15
	v_cmp_gt_i32_e64 s[18:19], s7, v16
	v_fmac_f32_e32 v39, v63, v18
	v_cndmask_b32_e64 v15, v14, v48, s[16:17]
	v_cndmask_b32_e64 v16, v14, v49, s[18:19]
	v_max3_f32 v13, v13, v15, v16
	v_or_b32_e32 v15, 18, v12
	v_or_b32_e32 v16, 19, v12
	v_cmp_gt_i32_e64 s[20:21], s7, v15
	v_cmp_gt_i32_e64 s[22:23], s7, v16
	v_cvt_f32_i32_e32 v17, v17
	v_cndmask_b32_e64 v15, v14, v40, s[20:21]
	v_cndmask_b32_e64 v16, v14, v41, s[22:23]
	v_max3_f32 v13, v13, v15, v16
	v_or_b32_e32 v15, 32, v12
	v_or_b32_e32 v16, 33, v12
	v_cmp_gt_i32_e64 s[24:25], s7, v15
	v_cmp_gt_i32_e64 s[26:27], s7, v16
	v_fma_f32 v34, v63, v17, v34
	v_cndmask_b32_e64 v15, v14, v42, s[24:25]
	v_cndmask_b32_e64 v16, v14, v43, s[26:27]
	v_max3_f32 v13, v13, v15, v16
	v_or_b32_e32 v15, 34, v12
	v_or_b32_e32 v16, 35, v12
	v_cmp_gt_i32_e64 s[28:29], s7, v15
	v_cmp_gt_i32_e64 s[30:31], s7, v16
	s_nop 0
	v_cndmask_b32_e64 v15, v14, v38, s[28:29]
	v_cndmask_b32_e64 v16, v14, v39, s[30:31]
	v_max3_f32 v13, v13, v15, v16
	v_or_b32_e32 v15, 48, v12
	v_or_b32_e32 v16, 49, v12
	v_cmp_gt_i32_e64 s[34:35], s7, v15
	v_cmp_gt_i32_e64 s[36:37], s7, v16
	s_nop 0
	v_cndmask_b32_e64 v15, v14, v36, s[34:35]
	v_cndmask_b32_e64 v16, v14, v37, s[36:37]
	v_max3_f32 v13, v13, v15, v16
	v_or_b32_e32 v15, 50, v12
	v_or_b32_e32 v12, 51, v12
	v_cmp_gt_i32_e32 vcc, s7, v15
	v_cmp_gt_i32_e64 s[4:5], s7, v12
	s_nop 0
	v_cndmask_b32_e32 v15, v14, v34, vcc
	v_cndmask_b32_e64 v12, v14, v35, s[4:5]
	v_max3_f32 v16, v13, v15, v12
	v_mbcnt_lo_u32_b32 v12, -1, 0
	v_mbcnt_hi_u32_b32 v17, -1, v12
	v_and_b32_e32 v12, 64, v17
	v_add_u32_e32 v18, 64, v12
	v_xor_b32_e32 v12, 32, v17
	v_cmp_lt_i32_e64 s[38:39], v12, v18
	s_nop 1
	v_cndmask_b32_e64 v12, v17, v12, s[38:39]
	v_lshlrev_b32_e32 v52, 2, v12
	ds_bpermute_b32 v19, v52, v16
	v_lshl_add_u64 v[12:13], v[46:47], 0, v[58:59]
	v_mad_i64_i32 v[14:15], s[38:39], v68, s45, v[12:13]
	s_waitcnt lgkmcnt(0)
	v_max_f32_e32 v19, v19, v19
	v_max_f32_e32 v19, v16, v19
	v_xor_b32_e32 v16, 16, v17
	v_cmp_lt_i32_e64 s[38:39], v16, v18
	s_nop 1
	v_cndmask_b32_e64 v16, v17, v16, s[38:39]
	v_lshlrev_b32_e32 v53, 2, v16
	ds_bpermute_b32 v18, v53, v19
	v_mad_i64_i32 v[16:17], s[38:39], v66, s45, v[12:13]
	v_mad_i64_i32 v[44:45], s[38:39], v67, s45, v[12:13]
	s_waitcnt lgkmcnt(0)
	v_max_f32_e32 v18, v18, v18
	v_max_f32_e32 v50, v19, v18
	v_sub_f32_e32 v10, v10, v50
	v_mul_f32_e32 v10, 0x3fb8aa3b, v10
	v_exp_f32_e32 v18, v10
	v_sub_f32_e32 v10, v11, v50
	v_mul_f32_e32 v10, 0x3fb8aa3b, v10
	v_exp_f32_e32 v19, v10
	v_mad_i64_i32 v[10:11], s[38:39], v65, s45, v[12:13]
	v_sub_f32_e32 v12, v51, v50
	v_mul_f32_e32 v12, 0x3fb8aa3b, v12
	v_cndmask_b32_e64 v46, 0, v18, s[8:9]
	v_cndmask_b32_e64 v47, 0, v19, s[10:11]
	v_sub_f32_e32 v58, v31, v50
	global_load_dwordx4 v[30:33], v[14:15], off
	global_load_dwordx4 v[18:21], v[16:17], off
	v_exp_f32_e32 v51, v12
	global_load_dwordx4 v[14:17], v[44:45], off
	s_nop 0
	global_load_dwordx4 v[10:13], v[10:11], off
	v_sub_f32_e32 v45, v48, v50
	v_sub_f32_e32 v48, v49, v50
	v_sub_f32_e32 v40, v40, v50
	v_sub_f32_e32 v42, v42, v50
	v_mul_f32_e32 v44, 0x3fb8aa3b, v58
	v_mul_f32_e32 v45, 0x3fb8aa3b, v45
	v_mul_f32_e32 v48, 0x3fb8aa3b, v48
	v_mul_f32_e32 v40, 0x3fb8aa3b, v40
	v_mul_f32_e32 v42, 0x3fb8aa3b, v42
	v_exp_f32_e32 v44, v44
	v_exp_f32_e32 v45, v45
	;; [unrolled: 1-line block ×3, first 2 shown]
	v_cndmask_b32_e64 v48, 0, v51, s[12:13]
	v_exp_f32_e32 v40, v40
	v_exp_f32_e32 v51, v42
	v_sub_f32_e32 v42, v43, v50
	v_mul_f32_e32 v42, 0x3fb8aa3b, v42
	v_cndmask_b32_e64 v49, 0, v44, s[14:15]
	v_cndmask_b32_e64 v44, 0, v45, s[16:17]
	;; [unrolled: 1-line block ×3, first 2 shown]
	v_sub_f32_e32 v41, v41, v50
	v_exp_f32_e32 v58, v42
	v_cndmask_b32_e64 v42, 0, v40, s[20:21]
	v_cndmask_b32_e64 v40, 0, v51, s[24:25]
	v_add_f32_e32 v51, 0, v46
	v_mul_f32_e32 v41, 0x3fb8aa3b, v41
	v_add_f32_e32 v51, v51, v47
	v_exp_f32_e32 v41, v41
	v_add_f32_e32 v51, v51, v48
	v_sub_f32_e32 v38, v38, v50
	v_add_f32_e32 v51, v51, v49
	v_sub_f32_e32 v39, v39, v50
	v_mul_f32_e32 v38, 0x3fb8aa3b, v38
	v_add_f32_e32 v51, v51, v44
	v_exp_f32_e32 v38, v38
	v_mul_f32_e32 v39, 0x3fb8aa3b, v39
	v_sub_f32_e32 v36, v36, v50
	v_add_f32_e32 v51, v51, v45
	v_cndmask_b32_e64 v43, 0, v41, s[22:23]
	v_exp_f32_e32 v39, v39
	v_mul_f32_e32 v36, 0x3fb8aa3b, v36
	v_sub_f32_e32 v37, v37, v50
	v_add_f32_e32 v51, v51, v42
	v_exp_f32_e32 v36, v36
	v_mul_f32_e32 v37, 0x3fb8aa3b, v37
	v_add_f32_e32 v51, v51, v43
	v_sub_f32_e32 v34, v34, v50
	v_cndmask_b32_e64 v41, 0, v58, s[26:27]
	v_exp_f32_e32 v37, v37
	v_add_f32_e32 v51, v51, v40
	v_mul_f32_e32 v34, 0x3fb8aa3b, v34
	v_sub_f32_e32 v35, v35, v50
	v_cndmask_b32_e64 v38, 0, v38, s[28:29]
	v_add_f32_e32 v51, v51, v41
	v_exp_f32_e32 v34, v34
	v_mul_f32_e32 v35, 0x3fb8aa3b, v35
	v_cndmask_b32_e64 v39, 0, v39, s[30:31]
	v_add_f32_e32 v51, v51, v38
	v_exp_f32_e32 v35, v35
	v_cndmask_b32_e64 v36, 0, v36, s[34:35]
	v_add_f32_e32 v51, v51, v39
	v_cndmask_b32_e64 v37, 0, v37, s[36:37]
	v_add_f32_e32 v51, v51, v36
	v_add_f32_e32 v51, v51, v37
	v_cndmask_b32_e32 v34, 0, v34, vcc
	v_add_f32_e32 v51, v51, v34
	v_cndmask_b32_e64 v35, 0, v35, s[4:5]
	v_add_f32_e32 v51, v51, v35
	ds_bpermute_b32 v52, v52, v51
	v_cmp_gt_u32_e32 vcc, 16, v55
	s_waitcnt lgkmcnt(0)
	s_barrier
	v_add_f32_e32 v51, v51, v52
	ds_bpermute_b32 v52, v53, v51
	s_and_saveexec_b64 s[4:5], vcc
	s_cbranch_execz .LBB1061_15
; %bb.14:
	s_waitcnt lgkmcnt(0)
	v_add_f32_e32 v51, v51, v52
	v_lshlrev_b32_e32 v52, 2, v64
	ds_write2st64_b32 v52, v50, v51 offset1:1
.LBB1061_15:
	s_or_b64 exec, exec, s[4:5]
	v_lshlrev_b32_e32 v51, 2, v56
	s_load_dword s7, s[0:1], 0x94
	s_waitcnt lgkmcnt(0)
	s_barrier
	ds_read2_b32 v[52:53], v51 offset1:16
	ds_read2_b32 v[58:59], v51 offset0:32 offset1:48
	ds_read2_b32 v[60:61], v51 offset0:64 offset1:80
	s_mul_i32 s8, s33, 14
	s_waitcnt lgkmcnt(2)
	v_max3_f32 v50, v52, s40, v53
	s_waitcnt lgkmcnt(1)
	v_max3_f32 v50, v50, v58, v59
	v_sub_f32_e32 v52, v52, v50
	v_mul_f32_e32 v52, 0x3fb8aa3b, v52
	v_exp_f32_e32 v55, v52
	v_sub_f32_e32 v52, v53, v50
	v_mul_f32_e32 v52, 0x3fb8aa3b, v52
	v_exp_f32_e32 v63, v52
	;; [unrolled: 3-line block ×3, first 2 shown]
	ds_read2_b32 v[52:53], v51 offset0:96 offset1:112
	v_sub_f32_e32 v51, v59, v50
	v_mul_f32_e32 v51, 0x3fb8aa3b, v51
	v_exp_f32_e32 v59, v51
	s_waitcnt lgkmcnt(1)
	v_fma_f32 v51, v55, v60, 0
	v_fmac_f32_e32 v51, v63, v61
	s_waitcnt lgkmcnt(0)
	v_fmac_f32_e32 v51, v58, v52
	v_fmac_f32_e32 v51, v59, v53
	v_add_f32_e32 v52, 0x358637bd, v51
	v_div_scale_f32 v53, s[4:5], v52, v52, 1.0
	v_rcp_f32_e32 v60, v53
	s_barrier
	v_fma_f32 v61, -v53, v60, 1.0
	v_fmac_f32_e32 v60, v61, v60
	v_div_scale_f32 v61, vcc, 1.0, v52, 1.0
	v_mul_f32_e32 v64, v61, v60
	v_fma_f32 v65, -v53, v64, v61
	v_fmac_f32_e32 v64, v65, v60
	v_fma_f32 v53, -v53, v64, v61
	v_div_fmas_f32 v53, v53, v60, v64
	v_cmp_eq_u32_e32 vcc, 1, v57
	v_div_fixup_f32 v52, v53, v52, 1.0
	s_nop 0
	v_cndmask_b32_e32 v53, v55, v63, vcc
	v_cmp_eq_u32_e32 vcc, 2, v57
	s_nop 1
	v_cndmask_b32_e32 v53, v53, v58, vcc
	v_cmp_eq_u32_e32 vcc, 3, v57
	s_nop 1
	v_cndmask_b32_e32 v53, v53, v59, vcc
	v_mul_f32_e32 v52, v53, v52
	v_pk_mul_f32 v[48:49], v[52:53], v[48:49] op_sel_hi:[0,1]
	v_pk_mul_f32 v[46:47], v[52:53], v[46:47] op_sel_hi:[0,1]
	v_cvt_f16_f32_e32 v53, v48
	v_cvt_f16_f32_e32 v49, v49
	;; [unrolled: 1-line block ×4, first 2 shown]
	v_pk_mul_f32 v[42:43], v[52:53], v[42:43] op_sel_hi:[0,1]
	v_pk_mul_f32 v[44:45], v[52:53], v[44:45] op_sel_hi:[0,1]
	v_pack_b32_f16 v49, v53, v49
	v_cvt_f16_f32_e32 v44, v44
	v_cvt_f16_f32_e32 v45, v45
	;; [unrolled: 1-line block ×4, first 2 shown]
	v_pack_b32_f16 v48, v46, v47
	v_lshlrev_b32_e32 v47, 3, v62
	v_lshlrev_b32_e32 v46, 5, v56
	;; [unrolled: 1-line block ×3, first 2 shown]
	v_or3_b32 v55, v42, v46, v47
	v_pack_b32_f16 v42, v44, v45
	v_pack_b32_f16 v43, v53, v43
	v_pk_mul_f32 v[38:39], v[52:53], v[38:39] op_sel_hi:[0,1]
	v_pk_mul_f32 v[40:41], v[52:53], v[40:41] op_sel_hi:[0,1]
	v_pk_mul_f32 v[34:35], v[52:53], v[34:35] op_sel_hi:[0,1]
	v_pk_mul_f32 v[36:37], v[52:53], v[36:37] op_sel_hi:[0,1]
	ds_write2st64_b64 v55, v[48:49], v[42:43] offset1:1
	v_cvt_f16_f32_e32 v40, v40
	v_cvt_f16_f32_e32 v41, v41
	;; [unrolled: 1-line block ×8, first 2 shown]
	v_pack_b32_f16 v34, v40, v41
	v_pack_b32_f16 v35, v38, v39
	;; [unrolled: 1-line block ×4, first 2 shown]
	v_cmp_gt_u32_e32 vcc, 14, v0
	ds_write2st64_b64 v55, v[34:35], v[36:37] offset0:2 offset1:3
	s_and_saveexec_b64 s[4:5], vcc
	s_cbranch_execz .LBB1061_17
; %bb.16:
	s_mov_b32 s49, 0
	v_mov_b32_e32 v57, 0
	v_lshl_add_u64 v[34:35], s[48:49], 0, v[56:57]
	v_mov_b32_e32 v36, s8
	v_mad_u64_u32 v[34:35], s[10:11], s2, v36, v[34:35]
	s_mul_i32 s3, s3, s8
	v_mov_b32_e32 v36, s6
	v_mov_b32_e32 v37, v57
	s_load_dwordx4 s[12:15], s[0:1], 0x58
	v_add_u32_e32 v38, s3, v35
	v_mad_u64_u32 v[34:35], s[10:11], v34, s7, v[36:37]
	v_mov_b32_e32 v36, v35
	v_mad_u64_u32 v[36:37], s[10:11], v38, s7, v[36:37]
	v_mov_b32_e32 v35, v36
	v_lshlrev_b64 v[34:35], 2, v[34:35]
	s_waitcnt lgkmcnt(0)
	v_lshl_add_u64 v[36:37], s[14:15], 0, v[34:35]
	v_lshl_add_u64 v[34:35], s[12:13], 0, v[34:35]
	global_store_dword v[36:37], v50, off
	global_store_dword v[34:35], v51, off
.LBB1061_17:
	s_or_b64 exec, exec, s[4:5]
	s_waitcnt vmcnt(7)
	v_cvt_pk_f32_fp8_e32 v[34:35], v6
	v_cvt_pk_f32_fp8_sdwa v[36:37], v6 src0_sel:WORD_1
	v_lshl_or_b32 v50, v62, 9, v46
	s_waitcnt lgkmcnt(0)
	s_barrier
	v_cvt_pk_f32_fp8_e32 v[38:39], v7
	v_cvt_pkrtz_f16_f32 v6, v34, v35
	v_cvt_pk_f32_fp8_sdwa v[40:41], v7 src0_sel:WORD_1
	v_cvt_pkrtz_f16_f32 v7, v36, v37
	ds_read_b128 v[34:37], v50
	v_cvt_pkrtz_f16_f32 v46, v38, v39
	v_cvt_pkrtz_f16_f32 v47, v40, v41
	ds_read_b128 v[38:41], v50 offset:16
	v_cvt_pk_f32_fp8_e32 v[48:49], v8
	v_cvt_pk_f32_fp8_sdwa v[52:53], v8 src0_sel:WORD_1
	s_waitcnt lgkmcnt(1)
	v_mfma_f32_16x16x16_f16 v[42:45], v[6:7], v[34:35], 0
	s_waitcnt vmcnt(6)
	v_cvt_pk_f32_fp8_e32 v[58:59], v4
	v_cvt_pkrtz_f16_f32 v6, v48, v49
	v_cvt_pkrtz_f16_f32 v7, v52, v53
	v_cvt_pk_f32_fp8_e32 v[48:49], v9
	v_mfma_f32_16x16x16_f16 v[42:45], v[46:47], v[36:37], v[42:45]
	v_cvt_pk_f32_fp8_sdwa v[46:47], v9 src0_sel:WORD_1
	v_cvt_pk_f32_fp8_sdwa v[60:61], v4 src0_sel:WORD_1
	v_cvt_pkrtz_f16_f32 v48, v48, v49
	s_waitcnt lgkmcnt(0)
	v_mfma_f32_16x16x16_f16 v[6:9], v[6:7], v[38:39], v[42:45]
	v_cvt_pkrtz_f16_f32 v49, v46, v47
	s_waitcnt vmcnt(5)
	v_cvt_pk_f32_fp8_e32 v[64:65], v28
	v_cvt_pk_f32_fp8_sdwa v[66:67], v28 src0_sel:WORD_1
	v_cvt_pk_f32_fp8_e32 v[42:43], v2
	v_mfma_f32_16x16x16_f16 v[46:49], v[48:49], v[40:41], v[6:9]
	s_waitcnt vmcnt(4)
	v_cvt_pk_f32_fp8_sdwa v[68:69], v24 src0_sel:WORD_1
	s_load_dword s4, s[42:43], 0x0
	v_cvt_pk_f32_fp8_sdwa v[6:7], v2 src0_sel:WORD_1
	v_cvt_pk_f32_fp8_e32 v[8:9], v3
	v_cvt_pkrtz_f16_f32 v2, v42, v43
	v_cvt_pk_f32_fp8_sdwa v[42:43], v3 src0_sel:WORD_1
	v_cvt_pkrtz_f16_f32 v3, v6, v7
	v_cvt_pkrtz_f16_f32 v52, v8, v9
	ds_read_b128 v[6:9], v50 offset:2048
	v_cvt_pkrtz_f16_f32 v53, v42, v43
	ds_read_b128 v[42:45], v50 offset:2064
	s_waitcnt lgkmcnt(0)
	v_mfma_f32_16x16x16_f16 v[46:49], v[2:3], v[6:7], v[46:49]
	v_cvt_pkrtz_f16_f32 v2, v58, v59
	v_cvt_pkrtz_f16_f32 v3, v60, v61
	v_cvt_pk_f32_fp8_e32 v[58:59], v5
	v_mfma_f32_16x16x16_f16 v[46:49], v[52:53], v[8:9], v[46:49]
	v_cvt_pk_f32_fp8_sdwa v[52:53], v5 src0_sel:WORD_1
	s_mov_b32 s3, 0
	v_cvt_pkrtz_f16_f32 v58, v58, v59
	v_mfma_f32_16x16x16_f16 v[2:5], v[2:3], v[42:43], v[46:49]
	v_cvt_pkrtz_f16_f32 v59, v52, v53
	v_cmp_gt_u32_e32 vcc, 64, v0
	s_nop 0
	v_cvt_pk_f32_fp8_e32 v[46:47], v26
	v_mfma_f32_16x16x16_f16 v[58:61], v[58:59], v[44:45], v[2:5]
	s_nop 2
	v_cvt_pk_f32_fp8_sdwa v[2:3], v26 src0_sel:WORD_1
	v_cvt_pk_f32_fp8_e32 v[4:5], v27
	v_cvt_pkrtz_f16_f32 v26, v46, v47
	v_cvt_pk_f32_fp8_sdwa v[46:47], v27 src0_sel:WORD_1
	v_cvt_pkrtz_f16_f32 v27, v2, v3
	v_cvt_pkrtz_f16_f32 v52, v4, v5
	ds_read_b128 v[2:5], v50 offset:4096
	v_cvt_pkrtz_f16_f32 v53, v46, v47
	ds_read_b128 v[46:49], v50 offset:4112
	s_waitcnt lgkmcnt(1)
	v_mfma_f32_16x16x16_f16 v[58:61], v[26:27], v[2:3], v[58:61]
	v_cvt_pkrtz_f16_f32 v26, v64, v65
	v_cvt_pkrtz_f16_f32 v27, v66, v67
	v_cvt_pk_f32_fp8_e32 v[64:65], v29
	v_mfma_f32_16x16x16_f16 v[58:61], v[52:53], v[4:5], v[58:61]
	v_cvt_pk_f32_fp8_sdwa v[52:53], v29 src0_sel:WORD_1
	v_cvt_pk_f32_fp8_e32 v[66:67], v24
	v_cvt_pkrtz_f16_f32 v64, v64, v65
	s_waitcnt lgkmcnt(0)
	v_mfma_f32_16x16x16_f16 v[26:29], v[26:27], v[46:47], v[58:61]
	v_cvt_pkrtz_f16_f32 v65, v52, v53
	v_cvt_pk_f32_fp8_e32 v[52:53], v22
	s_nop 0
	v_mfma_f32_16x16x16_f16 v[58:61], v[64:65], v[48:49], v[26:29]
	s_nop 2
	v_cvt_pk_f32_fp8_sdwa v[26:27], v22 src0_sel:WORD_1
	v_cvt_pk_f32_fp8_e32 v[28:29], v23
	v_cvt_pkrtz_f16_f32 v22, v52, v53
	v_cvt_pk_f32_fp8_sdwa v[52:53], v23 src0_sel:WORD_1
	v_cvt_pkrtz_f16_f32 v23, v26, v27
	v_cvt_pkrtz_f16_f32 v64, v28, v29
	ds_read_b128 v[26:29], v50 offset:6144
	v_cvt_pkrtz_f16_f32 v65, v52, v53
	s_waitcnt lgkmcnt(0)
	v_mfma_f32_16x16x16_f16 v[58:61], v[22:23], v[26:27], v[58:61]
	ds_read_b128 v[50:53], v50 offset:6160
	v_cvt_pkrtz_f16_f32 v22, v66, v67
	v_cvt_pkrtz_f16_f32 v23, v68, v69
	v_mfma_f32_16x16x16_f16 v[58:61], v[64:65], v[28:29], v[58:61]
	v_cvt_pk_f32_fp8_e32 v[66:67], v25
	v_cvt_pk_f32_fp8_sdwa v[64:65], v25 src0_sel:WORD_1
	s_waitcnt vmcnt(3)
	v_cvt_pk_f32_fp8_sdwa v[68:69], v32 src0_sel:WORD_1
	s_waitcnt lgkmcnt(0)
	v_mfma_f32_16x16x16_f16 v[22:25], v[22:23], v[50:51], v[58:61]
	v_cvt_pkrtz_f16_f32 v66, v66, v67
	v_cvt_pkrtz_f16_f32 v67, v64, v65
	v_cvt_pk_f32_fp8_e32 v[64:65], v31
	v_cvt_pk_f32_fp8_e32 v[58:59], v30
	v_cvt_pk_f32_fp8_sdwa v[60:61], v30 src0_sel:WORD_1
	v_cvt_pk_f32_fp8_sdwa v[30:31], v31 src0_sel:WORD_1
	v_mfma_f32_16x16x16_f16 v[22:25], v[66:67], v[52:53], v[22:25]
	v_cvt_pkrtz_f16_f32 v58, v58, v59
	v_cvt_pkrtz_f16_f32 v59, v60, v61
	v_cvt_pkrtz_f16_f32 v64, v64, v65
	v_cvt_pk_f32_fp8_e32 v[66:67], v32
	v_cvt_pkrtz_f16_f32 v65, v30, v31
	v_mfma_f32_16x16x16_f16 v[58:61], v[58:59], v[34:35], 0
	v_cvt_pkrtz_f16_f32 v30, v66, v67
	v_cvt_pkrtz_f16_f32 v31, v68, v69
	v_cvt_pk_f32_fp8_e32 v[66:67], v33
	v_mfma_f32_16x16x16_f16 v[34:37], v[64:65], v[36:37], v[58:61]
	s_barrier
	s_nop 1
	v_cvt_pk_f32_fp8_sdwa v[58:59], v33 src0_sel:WORD_1
	v_cvt_pkrtz_f16_f32 v60, v66, v67
	v_mfma_f32_16x16x16_f16 v[30:33], v[30:31], v[38:39], v[34:37]
	s_waitcnt vmcnt(2)
	v_cvt_pk_f32_fp8_e32 v[38:39], v19
	v_cvt_pkrtz_f16_f32 v61, v58, v59
	v_cvt_pk_f32_fp8_e32 v[34:35], v18
	v_cvt_pk_f32_fp8_sdwa v[36:37], v18 src0_sel:WORD_1
	v_cvt_pk_f32_fp8_sdwa v[18:19], v19 src0_sel:WORD_1
	v_mfma_f32_16x16x16_f16 v[30:33], v[60:61], v[40:41], v[30:33]
	v_cvt_pkrtz_f16_f32 v34, v34, v35
	v_cvt_pkrtz_f16_f32 v35, v36, v37
	;; [unrolled: 1-line block ×3, first 2 shown]
	v_cvt_pk_f32_fp8_e32 v[38:39], v20
	v_cvt_pk_f32_fp8_sdwa v[40:41], v20 src0_sel:WORD_1
	v_cvt_pkrtz_f16_f32 v37, v18, v19
	v_mfma_f32_16x16x16_f16 v[30:33], v[34:35], v[6:7], v[30:33]
	v_cvt_pkrtz_f16_f32 v18, v38, v39
	v_cvt_pkrtz_f16_f32 v19, v40, v41
	v_cvt_pk_f32_fp8_e32 v[34:35], v21
	v_cvt_pk_f32_fp8_sdwa v[20:21], v21 src0_sel:WORD_1
	v_mfma_f32_16x16x16_f16 v[6:9], v[36:37], v[8:9], v[30:33]
	s_nop 2
	v_cvt_pkrtz_f16_f32 v30, v34, v35
	v_cvt_pkrtz_f16_f32 v31, v20, v21
	v_mfma_f32_16x16x16_f16 v[6:9], v[18:19], v[42:43], v[6:9]
	s_waitcnt vmcnt(1)
	v_cvt_pk_f32_fp8_e32 v[18:19], v14
	v_cvt_pk_f32_fp8_sdwa v[20:21], v14 src0_sel:WORD_1
	v_cvt_pk_f32_fp8_sdwa v[32:33], v16 src0_sel:WORD_1
	v_mfma_f32_16x16x16_f16 v[6:9], v[30:31], v[44:45], v[6:9]
	v_cvt_pk_f32_fp8_e32 v[30:31], v15
	v_cvt_pkrtz_f16_f32 v18, v18, v19
	v_cvt_pkrtz_f16_f32 v19, v20, v21
	v_cvt_pk_f32_fp8_sdwa v[14:15], v15 src0_sel:WORD_1
	v_cvt_pkrtz_f16_f32 v20, v30, v31
	v_cvt_pk_f32_fp8_e32 v[30:31], v16
	v_mfma_f32_16x16x16_f16 v[6:9], v[18:19], v[2:3], v[6:9]
	v_cvt_pkrtz_f16_f32 v21, v14, v15
	v_cvt_pkrtz_f16_f32 v14, v30, v31
	;; [unrolled: 1-line block ×3, first 2 shown]
	v_cvt_pk_f32_fp8_e32 v[18:19], v17
	v_cvt_pk_f32_fp8_sdwa v[16:17], v17 src0_sel:WORD_1
	v_mfma_f32_16x16x16_f16 v[2:5], v[20:21], v[4:5], v[6:9]
	s_waitcnt vmcnt(0)
	v_cvt_pk_f32_fp8_sdwa v[20:21], v12 src0_sel:WORD_1
	s_nop 0
	v_cvt_pkrtz_f16_f32 v8, v18, v19
	v_cvt_pkrtz_f16_f32 v9, v16, v17
	v_mfma_f32_16x16x16_f16 v[2:5], v[14:15], v[46:47], v[2:5]
	v_cvt_pk_f32_fp8_e32 v[16:17], v10
	v_cvt_pk_f32_fp8_sdwa v[18:19], v10 src0_sel:WORD_1
	v_pk_mul_f32 v[6:7], v[24:25], s[4:5] op_sel_hi:[1,0]
	v_mfma_f32_16x16x16_f16 v[2:5], v[8:9], v[48:49], v[2:5]
	v_cvt_pk_f32_fp8_e32 v[8:9], v11
	v_cvt_pkrtz_f16_f32 v16, v16, v17
	v_cvt_pkrtz_f16_f32 v17, v18, v19
	v_cvt_pk_f32_fp8_sdwa v[10:11], v11 src0_sel:WORD_1
	v_cvt_pkrtz_f16_f32 v8, v8, v9
	v_cvt_pk_f32_fp8_e32 v[18:19], v12
	v_mfma_f32_16x16x16_f16 v[2:5], v[16:17], v[26:27], v[2:5]
	v_cvt_pkrtz_f16_f32 v9, v10, v11
	v_cvt_pkrtz_f16_f32 v10, v18, v19
	;; [unrolled: 1-line block ×3, first 2 shown]
	v_cvt_pk_f32_fp8_e32 v[16:17], v13
	v_cvt_pk_f32_fp8_sdwa v[12:13], v13 src0_sel:WORD_1
	v_mfma_f32_16x16x16_f16 v[2:5], v[8:9], v[28:29], v[2:5]
	v_pk_mul_f32 v[14:15], v[22:23], s[4:5] op_sel_hi:[1,0]
	v_cvt_pkrtz_f16_f32 v8, v16, v17
	v_cvt_pkrtz_f16_f32 v9, v12, v13
	v_mfma_f32_16x16x16_f16 v[2:5], v[10:11], v[50:51], v[2:5]
	v_cvt_f16_f32_e32 v14, v14
	v_cvt_f16_f32_e32 v10, v15
	v_cvt_f16_f32_e32 v6, v6
	v_mfma_f32_16x16x16_f16 v[2:5], v[8:9], v[52:53], v[2:5]
	v_cvt_f16_f32_e32 v7, v7
	s_nop 5
	v_pk_mul_f32 v[4:5], v[4:5], s[4:5] op_sel_hi:[1,0]
	v_pk_mul_f32 v[2:3], v[2:3], s[4:5] op_sel_hi:[1,0]
	v_cvt_f16_f32_e32 v11, v4
	v_cvt_f16_f32_e32 v8, v2
	;; [unrolled: 1-line block ×4, first 2 shown]
	v_pack_b32_f16 v2, v14, v10
	v_pack_b32_f16 v3, v6, v7
	;; [unrolled: 1-line block ×4, first 2 shown]
	ds_write2st64_b64 v55, v[2:3], v[4:5] offset1:1
	s_waitcnt lgkmcnt(0)
	s_barrier
	s_and_saveexec_b64 s[4:5], vcc
	s_cbranch_execz .LBB1061_20
; %bb.18:
	s_load_dwordx2 s[4:5], s[0:1], 0x68
	s_lshl_b32 s0, s7, 7
	s_mul_i32 s1, s8, s2
	v_lshlrev_b32_e32 v3, 6, v56
	s_mul_hi_u32 s9, s1, s0
	s_mul_i32 s8, s1, s0
	v_lshl_or_b32 v0, v0, 10, v3
	s_lshl_b64 s[8:9], s[8:9], 1
	v_lshlrev_b32_e32 v2, 5, v62
	v_and_b32_e32 v1, 16, v1
	v_and_b32_e32 v0, 0x1a00, v0
	s_waitcnt lgkmcnt(0)
	s_add_u32 s1, s4, s8
	v_or3_b32 v2, v0, v2, v1
	s_addc_u32 s4, s5, s9
	s_lshl_b32 s2, s6, 7
	ds_read_b128 v[4:7], v2 offset:256
	s_lshl_b64 s[2:3], s[2:3], 1
	ds_read_b128 v[8:11], v2 offset:128
	ds_read_b128 v[12:15], v2
	s_add_u32 s2, s1, s2
	s_addc_u32 s3, s4, s3
	v_mov_b32_e32 v55, 0
	v_add_u32_e32 v18, s48, v62
	v_lshl_add_u64 v[0:1], s[2:3], 0, v[54:55]
	v_mad_u64_u32 v[16:17], s[2:3], v18, s0, 0
	v_lshl_add_u64 v[16:17], v[16:17], 1, v[0:1]
	s_waitcnt lgkmcnt(0)
	global_store_dwordx4 v[16:17], v[12:15], off
	v_or_b32_e32 v3, 12, v62
	v_cmp_gt_u32_e32 vcc, 14, v3
	v_add_u32_e32 v12, 4, v18
	v_mad_u64_u32 v[12:13], s[2:3], v12, s0, 0
	v_lshl_add_u64 v[12:13], v[12:13], 1, v[0:1]
	global_store_dwordx4 v[12:13], v[8:11], off
	s_nop 1
	v_add_u32_e32 v8, 8, v18
	v_mad_u64_u32 v[8:9], s[2:3], v8, s0, 0
	v_lshl_add_u64 v[8:9], v[8:9], 1, v[0:1]
	global_store_dwordx4 v[8:9], v[4:7], off
	s_and_b64 exec, exec, vcc
	s_cbranch_execz .LBB1061_20
; %bb.19:
	ds_read_b128 v[4:7], v2 offset:384
	v_add_u32_e32 v2, s48, v3
	v_mad_u64_u32 v[2:3], s[0:1], v2, s0, 0
	v_lshl_add_u64 v[0:1], v[2:3], 1, v[0:1]
	s_waitcnt lgkmcnt(0)
	global_store_dwordx4 v[0:1], v[4:7], off
.LBB1061_20:
	s_endpgm
	.section	.rodata,"a",@progbits
	.p2align	6, 0x0
	.amdhsa_kernel _Z39paged_attention_ll4mi_QKV_mfma16_kernelIDF16_hLN4vllm18Fp8KVCacheDataTypeE1EDF16_Li32ELi128ELi256ELb1ELi14EEvPKT_PKT0_S7_ifPKiS9_S9_iPKfiiiPfSC_PS2_PT2_iSB_SB_
		.amdhsa_group_segment_fixed_size 8192
		.amdhsa_private_segment_fixed_size 0
		.amdhsa_kernarg_size 400
		.amdhsa_user_sgpr_count 2
		.amdhsa_user_sgpr_dispatch_ptr 0
		.amdhsa_user_sgpr_queue_ptr 0
		.amdhsa_user_sgpr_kernarg_segment_ptr 1
		.amdhsa_user_sgpr_dispatch_id 0
		.amdhsa_user_sgpr_kernarg_preload_length 0
		.amdhsa_user_sgpr_kernarg_preload_offset 0
		.amdhsa_user_sgpr_private_segment_size 0
		.amdhsa_uses_dynamic_stack 0
		.amdhsa_enable_private_segment 0
		.amdhsa_system_sgpr_workgroup_id_x 1
		.amdhsa_system_sgpr_workgroup_id_y 1
		.amdhsa_system_sgpr_workgroup_id_z 1
		.amdhsa_system_sgpr_workgroup_info 0
		.amdhsa_system_vgpr_workitem_id 0
		.amdhsa_next_free_vgpr 78
		.amdhsa_next_free_sgpr 50
		.amdhsa_accum_offset 80
		.amdhsa_reserve_vcc 1
		.amdhsa_float_round_mode_32 0
		.amdhsa_float_round_mode_16_64 0
		.amdhsa_float_denorm_mode_32 3
		.amdhsa_float_denorm_mode_16_64 3
		.amdhsa_dx10_clamp 1
		.amdhsa_ieee_mode 1
		.amdhsa_fp16_overflow 0
		.amdhsa_tg_split 0
		.amdhsa_exception_fp_ieee_invalid_op 0
		.amdhsa_exception_fp_denorm_src 0
		.amdhsa_exception_fp_ieee_div_zero 0
		.amdhsa_exception_fp_ieee_overflow 0
		.amdhsa_exception_fp_ieee_underflow 0
		.amdhsa_exception_fp_ieee_inexact 0
		.amdhsa_exception_int_div_zero 0
	.end_amdhsa_kernel
	.section	.text._Z39paged_attention_ll4mi_QKV_mfma16_kernelIDF16_hLN4vllm18Fp8KVCacheDataTypeE1EDF16_Li32ELi128ELi256ELb1ELi14EEvPKT_PKT0_S7_ifPKiS9_S9_iPKfiiiPfSC_PS2_PT2_iSB_SB_,"axG",@progbits,_Z39paged_attention_ll4mi_QKV_mfma16_kernelIDF16_hLN4vllm18Fp8KVCacheDataTypeE1EDF16_Li32ELi128ELi256ELb1ELi14EEvPKT_PKT0_S7_ifPKiS9_S9_iPKfiiiPfSC_PS2_PT2_iSB_SB_,comdat
.Lfunc_end1061:
	.size	_Z39paged_attention_ll4mi_QKV_mfma16_kernelIDF16_hLN4vllm18Fp8KVCacheDataTypeE1EDF16_Li32ELi128ELi256ELb1ELi14EEvPKT_PKT0_S7_ifPKiS9_S9_iPKfiiiPfSC_PS2_PT2_iSB_SB_, .Lfunc_end1061-_Z39paged_attention_ll4mi_QKV_mfma16_kernelIDF16_hLN4vllm18Fp8KVCacheDataTypeE1EDF16_Li32ELi128ELi256ELb1ELi14EEvPKT_PKT0_S7_ifPKiS9_S9_iPKfiiiPfSC_PS2_PT2_iSB_SB_
                                        ; -- End function
	.section	.AMDGPU.csdata,"",@progbits
; Kernel info:
; codeLenInByte = 6416
; NumSgprs: 56
; NumVgprs: 78
; NumAgprs: 0
; TotalNumVgprs: 78
; ScratchSize: 0
; MemoryBound: 0
; FloatMode: 240
; IeeeMode: 1
; LDSByteSize: 8192 bytes/workgroup (compile time only)
; SGPRBlocks: 6
; VGPRBlocks: 9
; NumSGPRsForWavesPerEU: 56
; NumVGPRsForWavesPerEU: 78
; AccumOffset: 80
; Occupancy: 6
; WaveLimiterHint : 1
; COMPUTE_PGM_RSRC2:SCRATCH_EN: 0
; COMPUTE_PGM_RSRC2:USER_SGPR: 2
; COMPUTE_PGM_RSRC2:TRAP_HANDLER: 0
; COMPUTE_PGM_RSRC2:TGID_X_EN: 1
; COMPUTE_PGM_RSRC2:TGID_Y_EN: 1
; COMPUTE_PGM_RSRC2:TGID_Z_EN: 1
; COMPUTE_PGM_RSRC2:TIDIG_COMP_CNT: 0
; COMPUTE_PGM_RSRC3_GFX90A:ACCUM_OFFSET: 19
; COMPUTE_PGM_RSRC3_GFX90A:TG_SPLIT: 0
	.section	.text._Z39paged_attention_ll4mi_QKV_mfma16_kernelIDF16_hLN4vllm18Fp8KVCacheDataTypeE1EDF16_Li32ELi128ELi256ELb1ELi15EEvPKT_PKT0_S7_ifPKiS9_S9_iPKfiiiPfSC_PS2_PT2_iSB_SB_,"axG",@progbits,_Z39paged_attention_ll4mi_QKV_mfma16_kernelIDF16_hLN4vllm18Fp8KVCacheDataTypeE1EDF16_Li32ELi128ELi256ELb1ELi15EEvPKT_PKT0_S7_ifPKiS9_S9_iPKfiiiPfSC_PS2_PT2_iSB_SB_,comdat
	.protected	_Z39paged_attention_ll4mi_QKV_mfma16_kernelIDF16_hLN4vllm18Fp8KVCacheDataTypeE1EDF16_Li32ELi128ELi256ELb1ELi15EEvPKT_PKT0_S7_ifPKiS9_S9_iPKfiiiPfSC_PS2_PT2_iSB_SB_ ; -- Begin function _Z39paged_attention_ll4mi_QKV_mfma16_kernelIDF16_hLN4vllm18Fp8KVCacheDataTypeE1EDF16_Li32ELi128ELi256ELb1ELi15EEvPKT_PKT0_S7_ifPKiS9_S9_iPKfiiiPfSC_PS2_PT2_iSB_SB_
	.globl	_Z39paged_attention_ll4mi_QKV_mfma16_kernelIDF16_hLN4vllm18Fp8KVCacheDataTypeE1EDF16_Li32ELi128ELi256ELb1ELi15EEvPKT_PKT0_S7_ifPKiS9_S9_iPKfiiiPfSC_PS2_PT2_iSB_SB_
	.p2align	8
	.type	_Z39paged_attention_ll4mi_QKV_mfma16_kernelIDF16_hLN4vllm18Fp8KVCacheDataTypeE1EDF16_Li32ELi128ELi256ELb1ELi15EEvPKT_PKT0_S7_ifPKiS9_S9_iPKfiiiPfSC_PS2_PT2_iSB_SB_,@function
_Z39paged_attention_ll4mi_QKV_mfma16_kernelIDF16_hLN4vllm18Fp8KVCacheDataTypeE1EDF16_Li32ELi128ELi256ELb1ELi15EEvPKT_PKT0_S7_ifPKiS9_S9_iPKfiiiPfSC_PS2_PT2_iSB_SB_: ; @_Z39paged_attention_ll4mi_QKV_mfma16_kernelIDF16_hLN4vllm18Fp8KVCacheDataTypeE1EDF16_Li32ELi128ELi256ELb1ELi15EEvPKT_PKT0_S7_ifPKiS9_S9_iPKfiiiPfSC_PS2_PT2_iSB_SB_
; %bb.0:
	s_load_dwordx2 s[10:11], s[0:1], 0x30
	s_mov_b32 s6, s3
	s_mov_b64 s[8:9], 0
	s_waitcnt lgkmcnt(0)
	s_cmp_lg_u64 s[10:11], 0
	s_cselect_b64 s[12:13], -1, 0
	s_and_b64 vcc, exec, s[12:13]
	s_cbranch_vccz .LBB1062_7
; %bb.1:
	s_add_i32 s14, s2, 1
	s_mov_b32 s15, 0
	s_lshl_b64 s[16:17], s[14:15], 2
	s_add_u32 s16, s10, s16
	s_mov_b32 s3, s15
	s_addc_u32 s17, s11, s17
	s_lshl_b64 s[14:15], s[2:3], 2
	s_add_u32 s14, s10, s14
	s_addc_u32 s15, s11, s15
	s_load_dword s5, s[16:17], 0x0
	s_load_dword s7, s[14:15], 0x0
	s_waitcnt lgkmcnt(0)
	s_sub_i32 s5, s5, s7
	s_cmp_eq_u32 s5, 1
	s_cselect_b64 s[14:15], -1, 0
	s_andn2_b64 vcc, exec, s[8:9]
	s_cbranch_vccnz .LBB1062_3
.LBB1062_2:
	s_mov_b32 s3, 0
	s_mov_b64 s[14:15], -1
.LBB1062_3:
	s_andn2_b64 vcc, exec, s[14:15]
	s_cbranch_vccnz .LBB1062_20
; %bb.4:
	s_load_dwordx2 s[8:9], s[0:1], 0x28
	s_lshl_b64 s[14:15], s[2:3], 2
	s_waitcnt lgkmcnt(0)
	s_add_u32 s8, s8, s14
	s_addc_u32 s9, s9, s15
	s_load_dword s7, s[8:9], 0x0
	s_lshl_b32 s18, s6, 8
	s_waitcnt lgkmcnt(0)
	s_cmp_ge_i32 s18, s7
	s_cbranch_scc1 .LBB1062_20
; %bb.5:
	s_load_dwordx2 s[8:9], s[0:1], 0x20
	s_load_dword s5, s[0:1], 0x38
	s_add_i32 s16, s7, 31
	s_ashr_i32 s17, s16, 31
	v_and_b32_e32 v1, 0xcf, v0
	s_lshr_b32 s17, s17, 27
	v_add_u32_e32 v1, s18, v1
	s_add_i32 s16, s16, s17
	v_ashrrev_i32_e32 v2, 31, v1
	s_ashr_i32 s19, s16, 5
	v_lshrrev_b32_e32 v4, 27, v2
	s_add_i32 s19, s19, -1
	s_waitcnt lgkmcnt(0)
	s_mul_i32 s16, s2, s5
	s_mov_b32 s17, 0
	v_add_u32_e32 v2, v1, v4
	s_lshl_b64 s[16:17], s[16:17], 2
	v_ashrrev_i32_e32 v2, 5, v2
	v_mov_b32_e32 v5, s19
	v_cmp_gt_i32_e32 vcc, s7, v1
	s_add_u32 s8, s8, s16
	s_addc_u32 s9, s9, s17
	v_cndmask_b32_e32 v2, v5, v2, vcc
	v_ashrrev_i32_e32 v3, 31, v2
	v_lshl_add_u64 v[6:7], v[2:3], 2, s[8:9]
	v_or_b32_e32 v2, 16, v1
	v_add_u32_e32 v3, v2, v4
	v_ashrrev_i32_e32 v3, 5, v3
	v_cmp_gt_i32_e32 vcc, s7, v2
	s_load_dwordx2 s[16:17], s[0:1], 0x8
	s_nop 0
	v_cndmask_b32_e32 v2, v5, v3, vcc
	v_ashrrev_i32_e32 v3, 31, v2
	v_lshl_add_u64 v[8:9], v[2:3], 2, s[8:9]
	v_or_b32_e32 v2, 32, v1
	v_add_u32_e32 v3, v2, v4
	v_ashrrev_i32_e32 v3, 5, v3
	v_cmp_gt_i32_e32 vcc, s7, v2
	v_or_b32_e32 v1, 48, v1
	s_nop 0
	v_cndmask_b32_e32 v2, v5, v3, vcc
	v_ashrrev_i32_e32 v3, 31, v2
	v_lshl_add_u64 v[12:13], v[2:3], 2, s[8:9]
	v_add_u32_e32 v2, v1, v4
	v_ashrrev_i32_e32 v2, 5, v2
	v_cmp_gt_i32_e32 vcc, s7, v1
	s_nop 1
	v_cndmask_b32_e32 v2, v5, v2, vcc
	v_ashrrev_i32_e32 v3, 31, v2
	v_lshl_add_u64 v[14:15], v[2:3], 2, s[8:9]
	global_load_dword v4, v[6:7], off
	global_load_dword v3, v[8:9], off
	;; [unrolled: 1-line block ×4, first 2 shown]
	s_andn2_b64 vcc, exec, s[12:13]
	s_cbranch_vccnz .LBB1062_8
; %bb.6:
	s_add_u32 s10, s10, s14
	s_addc_u32 s11, s11, s15
	s_load_dword s5, s[10:11], 0x0
	s_branch .LBB1062_9
.LBB1062_7:
	s_mov_b64 s[14:15], 0
	s_branch .LBB1062_2
.LBB1062_8:
	s_mov_b32 s5, s2
.LBB1062_9:
	s_load_dwordx2 s[10:11], s[0:1], 0x10
	s_load_dwordx4 s[44:47], s[0:1], 0x48
	v_lshrrev_b32_e32 v57, 6, v0
	v_bfe_u32 v62, v0, 4, 2
	v_and_b32_e32 v56, 15, v0
	v_lshl_or_b32 v5, v57, 2, v62
	v_lshlrev_b32_e32 v1, 3, v56
	s_mul_i32 s48, s4, 15
	v_cmp_gt_u32_e32 vcc, 15, v5
	v_lshlrev_b32_e32 v54, 1, v1
	v_lshlrev_b32_e32 v1, 4, v0
	s_and_saveexec_b64 s[12:13], vcc
	s_cbranch_execz .LBB1062_11
; %bb.10:
	s_load_dwordx2 s[14:15], s[0:1], 0x0
	s_waitcnt lgkmcnt(0)
	s_ashr_i32 s20, s44, 31
	s_mul_hi_u32 s21, s5, s44
	s_mul_i32 s20, s5, s20
	s_add_i32 s21, s21, s20
	s_mul_i32 s20, s5, s44
	s_lshl_b64 s[20:21], s[20:21], 1
	s_add_u32 s14, s14, s20
	v_add_lshl_u32 v6, v5, s48, 7
	s_addc_u32 s15, s15, s21
	v_ashrrev_i32_e32 v7, 31, v6
	v_lshl_add_u64 v[6:7], v[6:7], 1, s[14:15]
	v_mov_b32_e32 v55, 0
	v_lshl_add_u64 v[6:7], v[6:7], 0, v[54:55]
	global_load_dwordx4 v[6:9], v[6:7], off
	v_lshlrev_b32_e32 v12, 8, v0
	v_lshlrev_b32_e32 v11, 8, v56
	v_and_b32_e32 v12, 0x600, v12
	s_movk_i32 s5, 0x800
	v_and_or_b32 v11, v11, s5, v12
	v_lshlrev_b32_e32 v5, 5, v5
	v_and_b32_e32 v12, 16, v1
	v_or3_b32 v5, v11, v5, v12
	s_waitcnt vmcnt(0)
	ds_write_b128 v5, v[6:9]
.LBB1062_11:
	s_or_b64 exec, exec, s[12:13]
	s_waitcnt lgkmcnt(0)
	s_mul_i32 s12, s4, s46
	s_add_u32 s4, s16, s12
	s_addc_u32 s5, s17, 0
	v_mov_b32_e32 v59, 0
	v_mov_b64_e32 v[12:13], s[4:5]
	v_and_b32_e32 v34, 48, v0
	s_waitcnt vmcnt(3)
	v_mad_i64_i32 v[4:5], s[4:5], v4, s45, v[12:13]
	v_lshlrev_b32_e32 v14, 4, v56
	v_mov_b32_e32 v15, v59
	v_lshlrev_b32_e32 v58, 5, v34
	v_lshl_add_u64 v[4:5], v[4:5], 0, v[14:15]
	v_lshl_add_u64 v[4:5], v[4:5], 0, v[58:59]
	s_barrier
	global_load_dwordx4 v[50:53], v[4:5], off
	global_load_dwordx4 v[46:49], v[4:5], off offset:2048
	s_waitcnt vmcnt(4)
	v_mad_i64_i32 v[4:5], s[4:5], v3, s45, v[12:13]
	v_or_b32_e32 v16, 0x100, v14
	v_mov_b32_e32 v17, v59
	s_waitcnt vmcnt(3)
	v_mad_i64_i32 v[2:3], s[4:5], v2, s45, v[12:13]
	s_waitcnt vmcnt(2)
	v_mad_i64_i32 v[10:11], s[4:5], v10, s45, v[12:13]
	v_lshl_add_u64 v[4:5], v[4:5], 0, v[16:17]
	v_lshl_add_u64 v[2:3], v[2:3], 0, v[14:15]
	;; [unrolled: 1-line block ×6, first 2 shown]
	global_load_dwordx4 v[36:39], v[4:5], off
	global_load_dwordx4 v[6:9], v[4:5], off offset:2048
	s_nop 0
	global_load_dwordx4 v[2:5], v[14:15], off
	global_load_dwordx4 v[42:45], v[14:15], off offset:2048
	global_load_dwordx4 v[26:29], v[10:11], off
	s_nop 0
	global_load_dwordx4 v[14:17], v[10:11], off offset:2048
	v_cmp_ne_u32_e32 vcc, 15, v56
	v_and_b32_e32 v55, 63, v0
	v_mov_b32_e32 v63, 0
	v_cndmask_b32_e32 v10, 0, v56, vcc
	v_lshlrev_b32_e32 v10, 5, v10
	v_lshl_or_b32 v10, v62, 9, v10
	ds_read_b128 v[30:33], v10
	ds_read_b128 v[22:25], v10 offset:16
	ds_read_b128 v[18:21], v10 offset:2048
	;; [unrolled: 1-line block ×3, first 2 shown]
	s_and_saveexec_b64 s[4:5], vcc
	s_cbranch_execz .LBB1062_13
; %bb.12:
	s_load_dwordx2 s[14:15], s[0:1], 0x40
	v_add_u32_e32 v40, s48, v56
	v_ashrrev_i32_e32 v41, 31, v40
	s_waitcnt lgkmcnt(0)
	v_lshl_add_u64 v[40:41], v[40:41], 2, s[14:15]
	global_load_dword v63, v[40:41], off
.LBB1062_13:
	s_or_b64 exec, exec, s[4:5]
	s_ashr_i32 s4, s18, 31
	v_or_b32_e32 v58, s18, v34
	s_lshr_b32 s4, s4, 27
	v_add_u32_e32 v34, s4, v58
	v_cmp_gt_i32_e32 vcc, s7, v58
	v_or_b32_e32 v40, 64, v58
	v_or_b32_e32 v60, 0x80, v58
	;; [unrolled: 1-line block ×3, first 2 shown]
	v_add_u32_e32 v64, s4, v58
	v_ashrrev_i32_e32 v69, 5, v64
	s_waitcnt vmcnt(7)
	v_cvt_pk_f32_fp8_e32 v[64:65], v50
	v_cvt_pk_f32_fp8_sdwa v[66:67], v50 src0_sel:WORD_1
	v_cvt_pk_f32_fp8_e32 v[70:71], v51
	v_cvt_pk_f32_fp8_sdwa v[50:51], v51 src0_sel:WORD_1
	v_cvt_pkrtz_f16_f32 v64, v64, v65
	v_cvt_pkrtz_f16_f32 v65, v66, v67
	v_cvt_pkrtz_f16_f32 v70, v70, v71
	v_cvt_pk_f32_fp8_e32 v[72:73], v52
	v_cvt_pk_f32_fp8_sdwa v[74:75], v52 src0_sel:WORD_1
	v_cvt_pkrtz_f16_f32 v71, v50, v51
	s_waitcnt lgkmcnt(3)
	v_mfma_f32_16x16x16_f16 v[64:67], v[64:65], v[30:31], 0
	v_cvt_pkrtz_f16_f32 v72, v72, v73
	v_cvt_pkrtz_f16_f32 v73, v74, v75
	v_cvt_pk_f32_fp8_e32 v[74:75], v53
	v_cvt_pk_f32_fp8_sdwa v[76:77], v53 src0_sel:WORD_1
	v_mfma_f32_16x16x16_f16 v[50:53], v[70:71], v[32:33], v[64:67]
	v_ashrrev_i32_e32 v34, 5, v34
	v_mov_b32_e32 v68, s19
	v_add_u32_e32 v41, s4, v40
	v_cndmask_b32_e32 v34, v68, v34, vcc
	v_ashrrev_i32_e32 v41, 5, v41
	v_cmp_gt_i32_e32 vcc, s7, v40
	v_add_u32_e32 v61, s4, v60
	v_cvt_pkrtz_f16_f32 v64, v74, v75
	v_cvt_pkrtz_f16_f32 v65, v76, v77
	v_cndmask_b32_e32 v40, v68, v41, vcc
	v_ashrrev_i32_e32 v61, 5, v61
	v_cmp_gt_i32_e32 vcc, s7, v60
	s_waitcnt lgkmcnt(2)
	v_mfma_f32_16x16x16_f16 v[50:53], v[72:73], v[22:23], v[50:53]
	s_waitcnt vmcnt(6)
	v_cvt_pk_f32_fp8_e32 v[66:67], v46
	v_cndmask_b32_e32 v60, v68, v61, vcc
	v_cmp_gt_i32_e32 vcc, s7, v58
	v_ashrrev_i32_e32 v35, 31, v34
	v_lshl_add_u64 v[34:35], v[34:35], 2, s[8:9]
	v_cndmask_b32_e32 v68, v68, v69, vcc
	v_ashrrev_i32_e32 v41, 31, v40
	v_ashrrev_i32_e32 v61, 31, v60
	;; [unrolled: 1-line block ×3, first 2 shown]
	v_lshl_add_u64 v[40:41], v[40:41], 2, s[8:9]
	v_lshl_add_u64 v[60:61], v[60:61], 2, s[8:9]
	;; [unrolled: 1-line block ×3, first 2 shown]
	v_mfma_f32_16x16x16_f16 v[50:53], v[64:65], v[24:25], v[50:53]
	v_cvt_pkrtz_f16_f32 v74, v66, v67
	global_load_dword v68, v[34:35], off
	global_load_dword v66, v[40:41], off
	;; [unrolled: 1-line block ×4, first 2 shown]
	v_cvt_pk_f32_fp8_sdwa v[70:71], v46 src0_sel:WORD_1
	v_cvt_pk_f32_fp8_e32 v[40:41], v48
	s_waitcnt vmcnt(9)
	v_cvt_pk_f32_fp8_e32 v[60:61], v36
	s_add_u32 s4, s10, s12
	v_cvt_pkrtz_f16_f32 v75, v70, v71
	v_cvt_pk_f32_fp8_e32 v[70:71], v47
	v_cvt_pk_f32_fp8_sdwa v[46:47], v47 src0_sel:WORD_1
	s_waitcnt lgkmcnt(1)
	v_mfma_f32_16x16x16_f16 v[50:53], v[74:75], v[18:19], v[50:53]
	v_cvt_pkrtz_f16_f32 v34, v70, v71
	v_cvt_pkrtz_f16_f32 v35, v46, v47
	v_cvt_pk_f32_fp8_sdwa v[46:47], v48 src0_sel:WORD_1
	v_cvt_pkrtz_f16_f32 v40, v40, v41
	v_mfma_f32_16x16x16_f16 v[50:53], v[34:35], v[20:21], v[50:53]
	v_cvt_pkrtz_f16_f32 v41, v46, v47
	v_cvt_pk_f32_fp8_e32 v[34:35], v49
	v_cvt_pk_f32_fp8_sdwa v[46:47], v49 src0_sel:WORD_1
	v_cvt_pk_f32_fp8_sdwa v[70:71], v36 src0_sel:WORD_1
	s_addc_u32 s5, s11, 0
	v_cvt_pkrtz_f16_f32 v34, v34, v35
	v_cvt_pkrtz_f16_f32 v35, v46, v47
	s_waitcnt lgkmcnt(0)
	v_mfma_f32_16x16x16_f16 v[46:49], v[40:41], v[10:11], v[50:53]
	v_cvt_pkrtz_f16_f32 v40, v60, v61
	v_cvt_pkrtz_f16_f32 v41, v70, v71
	s_waitcnt vmcnt(8)
	v_cvt_pk_f32_fp8_sdwa v[60:61], v6 src0_sel:WORD_1
	v_cvt_pk_f32_fp8_e32 v[50:51], v37
	v_cvt_pk_f32_fp8_sdwa v[52:53], v37 src0_sel:WORD_1
	v_mfma_f32_16x16x16_f16 v[34:37], v[34:35], v[12:13], v[46:49]
	v_and_b32_e32 v58, 16, v0
	v_cvt_pkrtz_f16_f32 v50, v50, v51
	v_cvt_pkrtz_f16_f32 v51, v52, v53
	v_mfma_f32_16x16x16_f16 v[46:49], v[40:41], v[30:31], 0
	v_cvt_pk_f32_fp8_e32 v[40:41], v38
	v_cvt_pk_f32_fp8_sdwa v[52:53], v38 src0_sel:WORD_1
	v_lshl_or_b32 v64, v57, 4, v56
	v_mfma_f32_16x16x16_f16 v[46:49], v[50:51], v[32:33], v[46:49]
	v_cvt_pk_f32_fp8_e32 v[50:51], v39
	v_cvt_pkrtz_f16_f32 v40, v40, v41
	v_cvt_pkrtz_f16_f32 v41, v52, v53
	v_cvt_pk_f32_fp8_sdwa v[38:39], v39 src0_sel:WORD_1
	v_cvt_pkrtz_f16_f32 v50, v50, v51
	v_cvt_pk_f32_fp8_e32 v[52:53], v6
	s_waitcnt vmcnt(6)
	v_cvt_pk_f32_fp8_e32 v[74:75], v43
	v_cvt_pkrtz_f16_f32 v51, v38, v39
	v_mfma_f32_16x16x16_f16 v[38:41], v[40:41], v[22:23], v[46:49]
	s_nop 2
	v_cvt_pkrtz_f16_f32 v48, v52, v53
	v_cvt_pkrtz_f16_f32 v49, v60, v61
	v_cvt_pk_f32_fp8_e32 v[52:53], v7
	v_cvt_pk_f32_fp8_sdwa v[6:7], v7 src0_sel:WORD_1
	v_mfma_f32_16x16x16_f16 v[38:41], v[50:51], v[24:25], v[38:41]
	v_lshl_add_u64 v[46:47], s[4:5], 0, v[58:59]
	v_cvt_pkrtz_f16_f32 v50, v52, v53
	v_cvt_pkrtz_f16_f32 v51, v6, v7
	v_mfma_f32_16x16x16_f16 v[38:41], v[48:49], v[18:19], v[38:41]
	v_cvt_pk_f32_fp8_e32 v[6:7], v8
	v_cvt_pk_f32_fp8_sdwa v[48:49], v8 src0_sel:WORD_1
	v_cvt_pk_f32_fp8_sdwa v[52:53], v2 src0_sel:WORD_1
	v_mfma_f32_16x16x16_f16 v[38:41], v[50:51], v[20:21], v[38:41]
	v_cvt_pk_f32_fp8_e32 v[50:51], v9
	v_cvt_pkrtz_f16_f32 v6, v6, v7
	v_cvt_pkrtz_f16_f32 v7, v48, v49
	v_cvt_pk_f32_fp8_sdwa v[8:9], v9 src0_sel:WORD_1
	v_cvt_pkrtz_f16_f32 v48, v50, v51
	v_cvt_pk_f32_fp8_e32 v[50:51], v2
	v_lshlrev_b32_e32 v58, 5, v64
	v_cvt_pkrtz_f16_f32 v49, v8, v9
	v_mfma_f32_16x16x16_f16 v[6:9], v[6:7], v[10:11], v[38:41]
	v_cvt_pkrtz_f16_f32 v50, v50, v51
	v_cvt_pkrtz_f16_f32 v51, v52, v53
	v_cvt_pk_f32_fp8_e32 v[52:53], v3
	v_cvt_pk_f32_fp8_sdwa v[2:3], v3 src0_sel:WORD_1
	v_mfma_f32_16x16x16_f16 v[38:41], v[48:49], v[12:13], v[6:9]
	v_lshl_add_u64 v[48:49], v[46:47], 0, v[58:59]
	v_cvt_pkrtz_f16_f32 v52, v52, v53
	v_cvt_pkrtz_f16_f32 v53, v2, v3
	v_mfma_f32_16x16x16_f16 v[6:9], v[50:51], v[30:31], 0
	v_cvt_pk_f32_fp8_e32 v[2:3], v4
	v_cvt_pk_f32_fp8_sdwa v[50:51], v4 src0_sel:WORD_1
	s_waitcnt vmcnt(3)
	v_mad_i64_i32 v[60:61], s[4:5], v68, s45, v[48:49]
	v_cvt_pkrtz_f16_f32 v2, v2, v3
	v_cvt_pkrtz_f16_f32 v3, v50, v51
	v_mfma_f32_16x16x16_f16 v[6:9], v[52:53], v[32:33], v[6:9]
	v_cvt_pk_f32_fp8_e32 v[50:51], v5
	v_cvt_pk_f32_fp8_sdwa v[4:5], v5 src0_sel:WORD_1
	s_waitcnt vmcnt(2)
	v_mad_i64_i32 v[70:71], s[4:5], v66, s45, v[48:49]
	v_cvt_pkrtz_f16_f32 v50, v50, v51
	v_cvt_pkrtz_f16_f32 v51, v4, v5
	v_mfma_f32_16x16x16_f16 v[2:5], v[2:3], v[22:23], v[6:9]
	v_or_b32_e32 v58, 0x800, v58
	s_nop 1
	v_cvt_pk_f32_fp8_e32 v[6:7], v42
	v_cvt_pk_f32_fp8_sdwa v[8:9], v42 src0_sel:WORD_1
	v_cvt_pk_f32_fp8_sdwa v[42:43], v43 src0_sel:WORD_1
	v_mfma_f32_16x16x16_f16 v[50:53], v[50:51], v[24:25], v[2:5]
	v_cvt_pkrtz_f16_f32 v72, v6, v7
	v_cvt_pkrtz_f16_f32 v73, v8, v9
	global_load_dwordx4 v[6:9], v[60:61], off
	global_load_dwordx4 v[2:5], v[70:71], off
	v_cvt_pkrtz_f16_f32 v60, v74, v75
	v_cvt_pkrtz_f16_f32 v61, v42, v43
	v_mfma_f32_16x16x16_f16 v[70:73], v[72:73], v[18:19], v[50:53]
	v_cvt_pk_f32_fp8_e32 v[42:43], v44
	v_cvt_pkrtz_f16_f32 v42, v42, v43
	s_nop 0
	v_cvt_pk_f32_fp8_sdwa v[52:53], v44 src0_sel:WORD_1
	v_mfma_f32_16x16x16_f16 v[70:73], v[60:61], v[20:21], v[70:73]
	v_cvt_pk_f32_fp8_e32 v[60:61], v45
	s_waitcnt vmcnt(3)
	v_mad_i64_i32 v[50:51], s[4:5], v67, s45, v[48:49]
	s_load_dword s4, s[0:1], 0x1c
	s_load_dwordx4 s[40:43], s[0:1], 0x80
	v_cvt_pkrtz_f16_f32 v43, v52, v53
	v_cvt_pkrtz_f16_f32 v74, v60, v61
	v_cvt_pk_f32_fp8_e32 v[52:53], v26
	v_cvt_pk_f32_fp8_sdwa v[60:61], v26 src0_sel:WORD_1
	s_load_dword s33, s[0:1], 0x98
	s_waitcnt lgkmcnt(0)
	s_load_dword s5, s[40:41], 0x0
	v_cvt_pk_f32_fp8_sdwa v[44:45], v45 src0_sel:WORD_1
	v_cvt_pkrtz_f16_f32 v52, v52, v53
	v_cvt_pkrtz_f16_f32 v53, v60, v61
	v_cvt_pk_f32_fp8_e32 v[60:61], v27
	v_cvt_pk_f32_fp8_sdwa v[26:27], v27 src0_sel:WORD_1
	v_cvt_pkrtz_f16_f32 v75, v44, v45
	v_mfma_f32_16x16x16_f16 v[42:45], v[42:43], v[10:11], v[70:73]
	v_cvt_pkrtz_f16_f32 v60, v60, v61
	v_cvt_pkrtz_f16_f32 v61, v26, v27
	v_mov_b32_e32 v26, s4
	v_mfma_f32_16x16x16_f16 v[70:73], v[52:53], v[30:31], 0
	s_waitcnt lgkmcnt(0)
	v_mul_f32_e32 v52, s5, v26
	v_cvt_pk_f32_fp8_e32 v[26:27], v28
	v_cvt_pk_f32_fp8_sdwa v[30:31], v28 src0_sel:WORD_1
	v_mfma_f32_16x16x16_f16 v[70:73], v[60:61], v[32:33], v[70:73]
	v_cvt_pk_f32_fp8_e32 v[32:33], v29
	v_cvt_pk_f32_fp8_sdwa v[28:29], v29 src0_sel:WORD_1
	v_cvt_pkrtz_f16_f32 v26, v26, v27
	v_cvt_pkrtz_f16_f32 v27, v30, v31
	v_mfma_f32_16x16x16_f16 v[42:45], v[74:75], v[12:13], v[42:45]
	v_cvt_pkrtz_f16_f32 v32, v32, v33
	v_cvt_pkrtz_f16_f32 v33, v28, v29
	v_cvt_pk_f32_fp8_e32 v[60:61], v14
	v_cvt_pk_f32_fp8_sdwa v[74:75], v14 src0_sel:WORD_1
	v_mfma_f32_16x16x16_f16 v[26:29], v[26:27], v[22:23], v[70:73]
	v_pk_mul_f32 v[30:31], v[52:53], v[36:37] op_sel_hi:[0,1]
	v_cvt_pkrtz_f16_f32 v36, v60, v61
	v_cvt_pkrtz_f16_f32 v37, v74, v75
	v_cvt_pk_f32_fp8_e32 v[60:61], v15
	v_cvt_pk_f32_fp8_sdwa v[70:71], v15 src0_sel:WORD_1
	v_mfma_f32_16x16x16_f16 v[22:25], v[32:33], v[24:25], v[26:29]
	v_pk_mul_f32 v[14:15], v[52:53], v[34:35] op_sel_hi:[0,1]
	v_cvt_pkrtz_f16_f32 v60, v60, v61
	v_cvt_pkrtz_f16_f32 v61, v70, v71
	v_mfma_f32_16x16x16_f16 v[32:35], v[36:37], v[18:19], v[22:25]
	v_cvt_pk_f32_fp8_e32 v[18:19], v16
	v_cvt_pk_f32_fp8_sdwa v[36:37], v16 src0_sel:WORD_1
	s_waitcnt vmcnt(2)
	v_mad_i64_i32 v[48:49], s[8:9], v65, s45, v[48:49]
	global_load_dwordx4 v[26:29], v[50:51], off
	global_load_dwordx4 v[22:25], v[48:49], off
	v_cvt_pkrtz_f16_f32 v48, v18, v19
	v_cvt_pkrtz_f16_f32 v49, v36, v37
	v_cvt_pk_f32_fp8_e32 v[36:37], v17
	v_cvt_pk_f32_fp8_sdwa v[50:51], v17 src0_sel:WORD_1
	v_mfma_f32_16x16x16_f16 v[16:19], v[60:61], v[20:21], v[32:35]
	v_pk_mul_f32 v[40:41], v[52:53], v[40:41] op_sel_hi:[0,1]
	v_cvt_pkrtz_f16_f32 v20, v36, v37
	v_cvt_pkrtz_f16_f32 v21, v50, v51
	v_mfma_f32_16x16x16_f16 v[16:19], v[48:49], v[10:11], v[16:19]
	v_pk_mul_f32 v[48:49], v[52:53], v[38:39] op_sel_hi:[0,1]
	v_pk_mul_f32 v[38:39], v[52:53], v[44:45] op_sel_hi:[0,1]
	;; [unrolled: 1-line block ×3, first 2 shown]
	v_mfma_f32_16x16x16_f16 v[10:13], v[20:21], v[12:13], v[16:19]
	s_mov_b32 s40, 0xff7fffff
	s_nop 5
	v_pk_mul_f32 v[36:37], v[52:53], v[10:11] op_sel_hi:[0,1]
	v_and_b32_e32 v10, 0xc0, v0
	v_add_u32_e32 v10, s18, v10
	v_lshl_or_b32 v10, v62, 2, v10
	v_or_b32_e32 v11, 1, v10
	v_pk_mul_f32 v[34:35], v[52:53], v[12:13] op_sel_hi:[0,1]
	v_subrev_u32_e32 v12, s7, v11
	v_add_u32_e32 v16, 1, v12
	v_add_u32_e32 v17, 2, v12
	v_cvt_f32_i32_e32 v13, v12
	v_cvt_f32_i32_e32 v16, v16
	;; [unrolled: 1-line block ×3, first 2 shown]
	v_add_u32_e32 v18, 3, v12
	v_fma_f32 v14, v63, v13, v14
	v_fmac_f32_e32 v15, v63, v16
	v_fma_f32 v51, v63, v17, v30
	v_add_u32_e32 v13, 16, v12
	v_add_u32_e32 v16, 17, v12
	;; [unrolled: 1-line block ×3, first 2 shown]
	v_cvt_f32_i32_e32 v18, v18
	v_cvt_f32_i32_e32 v13, v13
	;; [unrolled: 1-line block ×4, first 2 shown]
	v_fmac_f32_e32 v31, v63, v18
	v_add_u32_e32 v18, 19, v12
	v_fma_f32 v48, v63, v13, v48
	v_fmac_f32_e32 v49, v63, v16
	v_fma_f32 v40, v63, v17, v40
	v_add_u32_e32 v13, 32, v12
	v_add_u32_e32 v16, 33, v12
	;; [unrolled: 1-line block ×3, first 2 shown]
	v_cvt_f32_i32_e32 v18, v18
	v_cvt_f32_i32_e32 v13, v13
	;; [unrolled: 1-line block ×4, first 2 shown]
	v_fmac_f32_e32 v41, v63, v18
	v_add_u32_e32 v18, 35, v12
	v_fma_f32 v42, v63, v13, v42
	v_fmac_f32_e32 v43, v63, v16
	v_fma_f32 v38, v63, v17, v38
	v_add_u32_e32 v13, 48, v12
	v_add_u32_e32 v16, 49, v12
	;; [unrolled: 1-line block ×4, first 2 shown]
	v_cvt_f32_i32_e32 v12, v12
	v_cvt_f32_i32_e32 v13, v13
	;; [unrolled: 1-line block ×3, first 2 shown]
	v_cmp_gt_i32_e64 s[8:9], s7, v10
	v_fmac_f32_e32 v35, v63, v12
	v_mov_b32_e32 v12, 0xff7fffff
	v_cmp_gt_i32_e64 s[10:11], s7, v11
	v_fma_f32 v36, v63, v13, v36
	v_cndmask_b32_e64 v13, v12, v14, s[8:9]
	v_cndmask_b32_e64 v11, v12, v15, s[10:11]
	v_fmac_f32_e32 v37, v63, v16
	v_max3_f32 v11, v13, s40, v11
	v_or_b32_e32 v13, 2, v10
	v_or_b32_e32 v16, 3, v10
	v_cmp_gt_i32_e64 s[12:13], s7, v13
	v_cmp_gt_i32_e64 s[14:15], s7, v16
	v_cvt_f32_i32_e32 v18, v18
	v_cndmask_b32_e64 v13, v12, v51, s[12:13]
	v_cndmask_b32_e64 v16, v12, v31, s[14:15]
	v_max3_f32 v11, v11, v13, v16
	v_or_b32_e32 v13, 16, v10
	v_or_b32_e32 v16, 17, v10
	v_cmp_gt_i32_e64 s[16:17], s7, v13
	v_cmp_gt_i32_e64 s[18:19], s7, v16
	v_fmac_f32_e32 v39, v63, v18
	v_cndmask_b32_e64 v13, v12, v48, s[16:17]
	v_cndmask_b32_e64 v16, v12, v49, s[18:19]
	v_max3_f32 v11, v11, v13, v16
	v_or_b32_e32 v13, 18, v10
	v_or_b32_e32 v16, 19, v10
	v_cmp_gt_i32_e64 s[20:21], s7, v13
	v_cmp_gt_i32_e64 s[22:23], s7, v16
	v_cvt_f32_i32_e32 v17, v17
	v_cndmask_b32_e64 v13, v12, v40, s[20:21]
	v_cndmask_b32_e64 v16, v12, v41, s[22:23]
	v_max3_f32 v11, v11, v13, v16
	v_or_b32_e32 v13, 32, v10
	v_or_b32_e32 v16, 33, v10
	v_cmp_gt_i32_e64 s[24:25], s7, v13
	v_cmp_gt_i32_e64 s[26:27], s7, v16
	v_fma_f32 v34, v63, v17, v34
	v_cndmask_b32_e64 v13, v12, v42, s[24:25]
	v_cndmask_b32_e64 v16, v12, v43, s[26:27]
	v_max3_f32 v11, v11, v13, v16
	v_or_b32_e32 v13, 34, v10
	v_or_b32_e32 v16, 35, v10
	v_cmp_gt_i32_e64 s[28:29], s7, v13
	v_cmp_gt_i32_e64 s[30:31], s7, v16
	s_nop 0
	v_cndmask_b32_e64 v13, v12, v38, s[28:29]
	v_cndmask_b32_e64 v16, v12, v39, s[30:31]
	v_max3_f32 v11, v11, v13, v16
	v_or_b32_e32 v13, 48, v10
	v_or_b32_e32 v16, 49, v10
	v_cmp_gt_i32_e64 s[34:35], s7, v13
	v_cmp_gt_i32_e64 s[36:37], s7, v16
	s_nop 0
	v_cndmask_b32_e64 v13, v12, v36, s[34:35]
	v_cndmask_b32_e64 v16, v12, v37, s[36:37]
	v_max3_f32 v11, v11, v13, v16
	v_or_b32_e32 v13, 50, v10
	v_or_b32_e32 v10, 51, v10
	v_cmp_gt_i32_e32 vcc, s7, v13
	v_cmp_gt_i32_e64 s[4:5], s7, v10
	s_nop 0
	v_cndmask_b32_e32 v13, v12, v34, vcc
	v_cndmask_b32_e64 v10, v12, v35, s[4:5]
	v_max3_f32 v16, v11, v13, v10
	v_mbcnt_lo_u32_b32 v10, -1, 0
	v_mbcnt_hi_u32_b32 v17, -1, v10
	v_and_b32_e32 v10, 64, v17
	v_add_u32_e32 v18, 64, v10
	v_xor_b32_e32 v10, 32, v17
	v_cmp_lt_i32_e64 s[38:39], v10, v18
	s_nop 1
	v_cndmask_b32_e64 v10, v17, v10, s[38:39]
	v_lshlrev_b32_e32 v52, 2, v10
	ds_bpermute_b32 v19, v52, v16
	v_lshl_add_u64 v[10:11], v[46:47], 0, v[58:59]
	v_mad_i64_i32 v[12:13], s[38:39], v68, s45, v[10:11]
	s_waitcnt lgkmcnt(0)
	v_max_f32_e32 v19, v19, v19
	v_max_f32_e32 v19, v16, v19
	v_xor_b32_e32 v16, 16, v17
	v_cmp_lt_i32_e64 s[38:39], v16, v18
	s_nop 1
	v_cndmask_b32_e64 v16, v17, v16, s[38:39]
	v_lshlrev_b32_e32 v53, 2, v16
	ds_bpermute_b32 v18, v53, v19
	v_mad_i64_i32 v[16:17], s[38:39], v66, s45, v[10:11]
	v_mad_i64_i32 v[44:45], s[38:39], v67, s45, v[10:11]
	s_waitcnt lgkmcnt(0)
	v_max_f32_e32 v18, v18, v18
	v_max_f32_e32 v50, v19, v18
	v_sub_f32_e32 v14, v14, v50
	v_sub_f32_e32 v15, v15, v50
	v_mul_f32_e32 v14, 0x3fb8aa3b, v14
	v_mul_f32_e32 v15, 0x3fb8aa3b, v15
	v_exp_f32_e32 v14, v14
	v_exp_f32_e32 v15, v15
	v_sub_f32_e32 v58, v31, v50
	global_load_dwordx4 v[30:33], v[12:13], off
	global_load_dwordx4 v[18:21], v[16:17], off
	v_sub_f32_e32 v12, v51, v50
	v_mad_i64_i32 v[10:11], s[38:39], v65, s45, v[10:11]
	v_mul_f32_e32 v12, 0x3fb8aa3b, v12
	v_cndmask_b32_e64 v46, 0, v14, s[8:9]
	v_cndmask_b32_e64 v47, 0, v15, s[10:11]
	v_exp_f32_e32 v51, v12
	global_load_dwordx4 v[14:17], v[44:45], off
	s_nop 0
	global_load_dwordx4 v[10:13], v[10:11], off
	v_sub_f32_e32 v45, v48, v50
	v_sub_f32_e32 v48, v49, v50
	;; [unrolled: 1-line block ×4, first 2 shown]
	v_mul_f32_e32 v44, 0x3fb8aa3b, v58
	v_mul_f32_e32 v45, 0x3fb8aa3b, v45
	;; [unrolled: 1-line block ×5, first 2 shown]
	v_exp_f32_e32 v44, v44
	v_exp_f32_e32 v45, v45
	;; [unrolled: 1-line block ×3, first 2 shown]
	v_cndmask_b32_e64 v48, 0, v51, s[12:13]
	v_exp_f32_e32 v40, v40
	v_exp_f32_e32 v51, v42
	v_sub_f32_e32 v42, v43, v50
	v_mul_f32_e32 v42, 0x3fb8aa3b, v42
	v_cndmask_b32_e64 v49, 0, v44, s[14:15]
	v_cndmask_b32_e64 v44, 0, v45, s[16:17]
	;; [unrolled: 1-line block ×3, first 2 shown]
	v_sub_f32_e32 v41, v41, v50
	v_exp_f32_e32 v58, v42
	v_cndmask_b32_e64 v42, 0, v40, s[20:21]
	v_cndmask_b32_e64 v40, 0, v51, s[24:25]
	v_add_f32_e32 v51, 0, v46
	v_mul_f32_e32 v41, 0x3fb8aa3b, v41
	v_add_f32_e32 v51, v51, v47
	v_exp_f32_e32 v41, v41
	v_add_f32_e32 v51, v51, v48
	v_sub_f32_e32 v38, v38, v50
	v_add_f32_e32 v51, v51, v49
	v_sub_f32_e32 v39, v39, v50
	v_mul_f32_e32 v38, 0x3fb8aa3b, v38
	v_add_f32_e32 v51, v51, v44
	v_exp_f32_e32 v38, v38
	v_mul_f32_e32 v39, 0x3fb8aa3b, v39
	v_sub_f32_e32 v36, v36, v50
	v_add_f32_e32 v51, v51, v45
	v_cndmask_b32_e64 v43, 0, v41, s[22:23]
	v_exp_f32_e32 v39, v39
	v_mul_f32_e32 v36, 0x3fb8aa3b, v36
	v_sub_f32_e32 v37, v37, v50
	v_add_f32_e32 v51, v51, v42
	v_exp_f32_e32 v36, v36
	v_mul_f32_e32 v37, 0x3fb8aa3b, v37
	v_add_f32_e32 v51, v51, v43
	v_sub_f32_e32 v34, v34, v50
	v_cndmask_b32_e64 v41, 0, v58, s[26:27]
	v_exp_f32_e32 v37, v37
	v_add_f32_e32 v51, v51, v40
	v_mul_f32_e32 v34, 0x3fb8aa3b, v34
	v_sub_f32_e32 v35, v35, v50
	v_cndmask_b32_e64 v38, 0, v38, s[28:29]
	v_add_f32_e32 v51, v51, v41
	v_exp_f32_e32 v34, v34
	v_mul_f32_e32 v35, 0x3fb8aa3b, v35
	v_cndmask_b32_e64 v39, 0, v39, s[30:31]
	v_add_f32_e32 v51, v51, v38
	v_exp_f32_e32 v35, v35
	v_cndmask_b32_e64 v36, 0, v36, s[34:35]
	v_add_f32_e32 v51, v51, v39
	v_cndmask_b32_e64 v37, 0, v37, s[36:37]
	v_add_f32_e32 v51, v51, v36
	v_add_f32_e32 v51, v51, v37
	v_cndmask_b32_e32 v34, 0, v34, vcc
	v_add_f32_e32 v51, v51, v34
	v_cndmask_b32_e64 v35, 0, v35, s[4:5]
	v_add_f32_e32 v51, v51, v35
	ds_bpermute_b32 v52, v52, v51
	v_cmp_gt_u32_e32 vcc, 16, v55
	s_waitcnt lgkmcnt(0)
	s_barrier
	v_add_f32_e32 v51, v51, v52
	ds_bpermute_b32 v52, v53, v51
	s_and_saveexec_b64 s[4:5], vcc
	s_cbranch_execz .LBB1062_15
; %bb.14:
	s_waitcnt lgkmcnt(0)
	v_add_f32_e32 v51, v51, v52
	v_lshlrev_b32_e32 v52, 2, v64
	ds_write2st64_b32 v52, v50, v51 offset1:1
.LBB1062_15:
	s_or_b64 exec, exec, s[4:5]
	v_lshlrev_b32_e32 v51, 2, v56
	s_load_dword s7, s[0:1], 0x94
	s_waitcnt lgkmcnt(0)
	s_barrier
	ds_read2_b32 v[52:53], v51 offset1:16
	ds_read2_b32 v[58:59], v51 offset0:32 offset1:48
	ds_read2_b32 v[60:61], v51 offset0:64 offset1:80
	s_mul_i32 s8, s33, 15
	s_waitcnt lgkmcnt(2)
	v_max3_f32 v50, v52, s40, v53
	s_waitcnt lgkmcnt(1)
	v_max3_f32 v50, v50, v58, v59
	v_sub_f32_e32 v52, v52, v50
	v_mul_f32_e32 v52, 0x3fb8aa3b, v52
	v_exp_f32_e32 v55, v52
	v_sub_f32_e32 v52, v53, v50
	v_mul_f32_e32 v52, 0x3fb8aa3b, v52
	v_exp_f32_e32 v63, v52
	;; [unrolled: 3-line block ×3, first 2 shown]
	ds_read2_b32 v[52:53], v51 offset0:96 offset1:112
	v_sub_f32_e32 v51, v59, v50
	v_mul_f32_e32 v51, 0x3fb8aa3b, v51
	v_exp_f32_e32 v59, v51
	s_waitcnt lgkmcnt(1)
	v_fma_f32 v51, v55, v60, 0
	v_fmac_f32_e32 v51, v63, v61
	s_waitcnt lgkmcnt(0)
	v_fmac_f32_e32 v51, v58, v52
	v_fmac_f32_e32 v51, v59, v53
	v_add_f32_e32 v52, 0x358637bd, v51
	v_div_scale_f32 v53, s[4:5], v52, v52, 1.0
	v_rcp_f32_e32 v60, v53
	s_barrier
	v_fma_f32 v61, -v53, v60, 1.0
	v_fmac_f32_e32 v60, v61, v60
	v_div_scale_f32 v61, vcc, 1.0, v52, 1.0
	v_mul_f32_e32 v64, v61, v60
	v_fma_f32 v65, -v53, v64, v61
	v_fmac_f32_e32 v64, v65, v60
	v_fma_f32 v53, -v53, v64, v61
	v_div_fmas_f32 v53, v53, v60, v64
	v_cmp_eq_u32_e32 vcc, 1, v57
	v_div_fixup_f32 v52, v53, v52, 1.0
	s_nop 0
	v_cndmask_b32_e32 v53, v55, v63, vcc
	v_cmp_eq_u32_e32 vcc, 2, v57
	s_nop 1
	v_cndmask_b32_e32 v53, v53, v58, vcc
	v_cmp_eq_u32_e32 vcc, 3, v57
	s_nop 1
	v_cndmask_b32_e32 v53, v53, v59, vcc
	v_mul_f32_e32 v52, v53, v52
	v_pk_mul_f32 v[48:49], v[52:53], v[48:49] op_sel_hi:[0,1]
	v_pk_mul_f32 v[46:47], v[52:53], v[46:47] op_sel_hi:[0,1]
	v_cvt_f16_f32_e32 v53, v48
	v_cvt_f16_f32_e32 v49, v49
	;; [unrolled: 1-line block ×4, first 2 shown]
	v_pk_mul_f32 v[42:43], v[52:53], v[42:43] op_sel_hi:[0,1]
	v_pk_mul_f32 v[44:45], v[52:53], v[44:45] op_sel_hi:[0,1]
	v_pack_b32_f16 v49, v53, v49
	v_cvt_f16_f32_e32 v44, v44
	v_cvt_f16_f32_e32 v45, v45
	;; [unrolled: 1-line block ×4, first 2 shown]
	v_pack_b32_f16 v48, v46, v47
	v_lshlrev_b32_e32 v47, 3, v62
	v_lshlrev_b32_e32 v46, 5, v56
	;; [unrolled: 1-line block ×3, first 2 shown]
	v_or3_b32 v55, v42, v46, v47
	v_pack_b32_f16 v42, v44, v45
	v_pack_b32_f16 v43, v53, v43
	v_pk_mul_f32 v[38:39], v[52:53], v[38:39] op_sel_hi:[0,1]
	v_pk_mul_f32 v[40:41], v[52:53], v[40:41] op_sel_hi:[0,1]
	;; [unrolled: 1-line block ×4, first 2 shown]
	ds_write2st64_b64 v55, v[48:49], v[42:43] offset1:1
	v_cvt_f16_f32_e32 v40, v40
	v_cvt_f16_f32_e32 v41, v41
	;; [unrolled: 1-line block ×8, first 2 shown]
	v_pack_b32_f16 v34, v40, v41
	v_pack_b32_f16 v35, v38, v39
	;; [unrolled: 1-line block ×4, first 2 shown]
	v_cmp_gt_u32_e32 vcc, 15, v0
	ds_write2st64_b64 v55, v[34:35], v[36:37] offset0:2 offset1:3
	s_and_saveexec_b64 s[4:5], vcc
	s_cbranch_execz .LBB1062_17
; %bb.16:
	s_mov_b32 s49, 0
	v_mov_b32_e32 v57, 0
	v_lshl_add_u64 v[34:35], s[48:49], 0, v[56:57]
	v_mov_b32_e32 v36, s8
	v_mad_u64_u32 v[34:35], s[10:11], s2, v36, v[34:35]
	s_mul_i32 s3, s3, s8
	v_mov_b32_e32 v36, s6
	v_mov_b32_e32 v37, v57
	s_load_dwordx4 s[12:15], s[0:1], 0x58
	v_add_u32_e32 v38, s3, v35
	v_mad_u64_u32 v[34:35], s[10:11], v34, s7, v[36:37]
	v_mov_b32_e32 v36, v35
	v_mad_u64_u32 v[36:37], s[10:11], v38, s7, v[36:37]
	v_mov_b32_e32 v35, v36
	v_lshlrev_b64 v[34:35], 2, v[34:35]
	s_waitcnt lgkmcnt(0)
	v_lshl_add_u64 v[36:37], s[14:15], 0, v[34:35]
	v_lshl_add_u64 v[34:35], s[12:13], 0, v[34:35]
	global_store_dword v[36:37], v50, off
	global_store_dword v[34:35], v51, off
.LBB1062_17:
	s_or_b64 exec, exec, s[4:5]
	s_waitcnt vmcnt(7)
	v_cvt_pk_f32_fp8_e32 v[34:35], v6
	v_cvt_pk_f32_fp8_sdwa v[36:37], v6 src0_sel:WORD_1
	v_lshl_or_b32 v50, v62, 9, v46
	s_waitcnt lgkmcnt(0)
	s_barrier
	v_cvt_pk_f32_fp8_e32 v[38:39], v7
	v_cvt_pkrtz_f16_f32 v6, v34, v35
	v_cvt_pk_f32_fp8_sdwa v[40:41], v7 src0_sel:WORD_1
	v_cvt_pkrtz_f16_f32 v7, v36, v37
	ds_read_b128 v[34:37], v50
	v_cvt_pkrtz_f16_f32 v46, v38, v39
	v_cvt_pkrtz_f16_f32 v47, v40, v41
	ds_read_b128 v[38:41], v50 offset:16
	v_cvt_pk_f32_fp8_e32 v[48:49], v8
	v_cvt_pk_f32_fp8_sdwa v[52:53], v8 src0_sel:WORD_1
	s_waitcnt lgkmcnt(1)
	v_mfma_f32_16x16x16_f16 v[42:45], v[6:7], v[34:35], 0
	s_waitcnt vmcnt(6)
	v_cvt_pk_f32_fp8_e32 v[58:59], v4
	v_cvt_pkrtz_f16_f32 v6, v48, v49
	v_cvt_pkrtz_f16_f32 v7, v52, v53
	v_cvt_pk_f32_fp8_e32 v[48:49], v9
	v_mfma_f32_16x16x16_f16 v[42:45], v[46:47], v[36:37], v[42:45]
	v_cvt_pk_f32_fp8_sdwa v[46:47], v9 src0_sel:WORD_1
	v_cvt_pk_f32_fp8_sdwa v[60:61], v4 src0_sel:WORD_1
	v_cvt_pkrtz_f16_f32 v48, v48, v49
	s_waitcnt lgkmcnt(0)
	v_mfma_f32_16x16x16_f16 v[6:9], v[6:7], v[38:39], v[42:45]
	v_cvt_pkrtz_f16_f32 v49, v46, v47
	s_waitcnt vmcnt(5)
	v_cvt_pk_f32_fp8_e32 v[64:65], v28
	v_cvt_pk_f32_fp8_sdwa v[66:67], v28 src0_sel:WORD_1
	v_cvt_pk_f32_fp8_e32 v[42:43], v2
	v_mfma_f32_16x16x16_f16 v[46:49], v[48:49], v[40:41], v[6:9]
	s_waitcnt vmcnt(4)
	v_cvt_pk_f32_fp8_sdwa v[68:69], v24 src0_sel:WORD_1
	s_load_dword s4, s[42:43], 0x0
	v_cvt_pk_f32_fp8_sdwa v[6:7], v2 src0_sel:WORD_1
	v_cvt_pk_f32_fp8_e32 v[8:9], v3
	v_cvt_pkrtz_f16_f32 v2, v42, v43
	v_cvt_pk_f32_fp8_sdwa v[42:43], v3 src0_sel:WORD_1
	v_cvt_pkrtz_f16_f32 v3, v6, v7
	v_cvt_pkrtz_f16_f32 v52, v8, v9
	ds_read_b128 v[6:9], v50 offset:2048
	v_cvt_pkrtz_f16_f32 v53, v42, v43
	ds_read_b128 v[42:45], v50 offset:2064
	s_waitcnt lgkmcnt(0)
	v_mfma_f32_16x16x16_f16 v[46:49], v[2:3], v[6:7], v[46:49]
	v_cvt_pkrtz_f16_f32 v2, v58, v59
	v_cvt_pkrtz_f16_f32 v3, v60, v61
	v_cvt_pk_f32_fp8_e32 v[58:59], v5
	v_mfma_f32_16x16x16_f16 v[46:49], v[52:53], v[8:9], v[46:49]
	v_cvt_pk_f32_fp8_sdwa v[52:53], v5 src0_sel:WORD_1
	s_mov_b32 s3, 0
	v_cvt_pkrtz_f16_f32 v58, v58, v59
	v_mfma_f32_16x16x16_f16 v[2:5], v[2:3], v[42:43], v[46:49]
	v_cvt_pkrtz_f16_f32 v59, v52, v53
	v_cmp_gt_u32_e32 vcc, 64, v0
	s_nop 0
	v_cvt_pk_f32_fp8_e32 v[46:47], v26
	v_mfma_f32_16x16x16_f16 v[58:61], v[58:59], v[44:45], v[2:5]
	s_nop 2
	v_cvt_pk_f32_fp8_sdwa v[2:3], v26 src0_sel:WORD_1
	v_cvt_pk_f32_fp8_e32 v[4:5], v27
	v_cvt_pkrtz_f16_f32 v26, v46, v47
	v_cvt_pk_f32_fp8_sdwa v[46:47], v27 src0_sel:WORD_1
	v_cvt_pkrtz_f16_f32 v27, v2, v3
	v_cvt_pkrtz_f16_f32 v52, v4, v5
	ds_read_b128 v[2:5], v50 offset:4096
	v_cvt_pkrtz_f16_f32 v53, v46, v47
	ds_read_b128 v[46:49], v50 offset:4112
	s_waitcnt lgkmcnt(1)
	v_mfma_f32_16x16x16_f16 v[58:61], v[26:27], v[2:3], v[58:61]
	v_cvt_pkrtz_f16_f32 v26, v64, v65
	v_cvt_pkrtz_f16_f32 v27, v66, v67
	v_cvt_pk_f32_fp8_e32 v[64:65], v29
	v_mfma_f32_16x16x16_f16 v[58:61], v[52:53], v[4:5], v[58:61]
	v_cvt_pk_f32_fp8_sdwa v[52:53], v29 src0_sel:WORD_1
	v_cvt_pk_f32_fp8_e32 v[66:67], v24
	v_cvt_pkrtz_f16_f32 v64, v64, v65
	s_waitcnt lgkmcnt(0)
	v_mfma_f32_16x16x16_f16 v[26:29], v[26:27], v[46:47], v[58:61]
	v_cvt_pkrtz_f16_f32 v65, v52, v53
	v_cvt_pk_f32_fp8_e32 v[52:53], v22
	s_nop 0
	v_mfma_f32_16x16x16_f16 v[58:61], v[64:65], v[48:49], v[26:29]
	s_nop 2
	v_cvt_pk_f32_fp8_sdwa v[26:27], v22 src0_sel:WORD_1
	v_cvt_pk_f32_fp8_e32 v[28:29], v23
	v_cvt_pkrtz_f16_f32 v22, v52, v53
	v_cvt_pk_f32_fp8_sdwa v[52:53], v23 src0_sel:WORD_1
	v_cvt_pkrtz_f16_f32 v23, v26, v27
	v_cvt_pkrtz_f16_f32 v64, v28, v29
	ds_read_b128 v[26:29], v50 offset:6144
	v_cvt_pkrtz_f16_f32 v65, v52, v53
	s_waitcnt lgkmcnt(0)
	v_mfma_f32_16x16x16_f16 v[58:61], v[22:23], v[26:27], v[58:61]
	ds_read_b128 v[50:53], v50 offset:6160
	v_cvt_pkrtz_f16_f32 v22, v66, v67
	v_cvt_pkrtz_f16_f32 v23, v68, v69
	v_mfma_f32_16x16x16_f16 v[58:61], v[64:65], v[28:29], v[58:61]
	v_cvt_pk_f32_fp8_e32 v[66:67], v25
	v_cvt_pk_f32_fp8_sdwa v[64:65], v25 src0_sel:WORD_1
	s_waitcnt vmcnt(3)
	v_cvt_pk_f32_fp8_sdwa v[68:69], v32 src0_sel:WORD_1
	s_waitcnt lgkmcnt(0)
	v_mfma_f32_16x16x16_f16 v[22:25], v[22:23], v[50:51], v[58:61]
	v_cvt_pkrtz_f16_f32 v66, v66, v67
	v_cvt_pkrtz_f16_f32 v67, v64, v65
	v_cvt_pk_f32_fp8_e32 v[64:65], v31
	v_cvt_pk_f32_fp8_e32 v[58:59], v30
	v_cvt_pk_f32_fp8_sdwa v[60:61], v30 src0_sel:WORD_1
	v_cvt_pk_f32_fp8_sdwa v[30:31], v31 src0_sel:WORD_1
	v_mfma_f32_16x16x16_f16 v[22:25], v[66:67], v[52:53], v[22:25]
	v_cvt_pkrtz_f16_f32 v58, v58, v59
	v_cvt_pkrtz_f16_f32 v59, v60, v61
	;; [unrolled: 1-line block ×3, first 2 shown]
	v_cvt_pk_f32_fp8_e32 v[66:67], v32
	v_cvt_pkrtz_f16_f32 v65, v30, v31
	v_mfma_f32_16x16x16_f16 v[58:61], v[58:59], v[34:35], 0
	v_cvt_pkrtz_f16_f32 v30, v66, v67
	v_cvt_pkrtz_f16_f32 v31, v68, v69
	v_cvt_pk_f32_fp8_e32 v[66:67], v33
	v_mfma_f32_16x16x16_f16 v[34:37], v[64:65], v[36:37], v[58:61]
	s_barrier
	s_nop 1
	v_cvt_pk_f32_fp8_sdwa v[58:59], v33 src0_sel:WORD_1
	v_cvt_pkrtz_f16_f32 v60, v66, v67
	v_mfma_f32_16x16x16_f16 v[30:33], v[30:31], v[38:39], v[34:37]
	s_waitcnt vmcnt(2)
	v_cvt_pk_f32_fp8_e32 v[38:39], v19
	v_cvt_pkrtz_f16_f32 v61, v58, v59
	v_cvt_pk_f32_fp8_e32 v[34:35], v18
	v_cvt_pk_f32_fp8_sdwa v[36:37], v18 src0_sel:WORD_1
	v_cvt_pk_f32_fp8_sdwa v[18:19], v19 src0_sel:WORD_1
	v_mfma_f32_16x16x16_f16 v[30:33], v[60:61], v[40:41], v[30:33]
	v_cvt_pkrtz_f16_f32 v34, v34, v35
	v_cvt_pkrtz_f16_f32 v35, v36, v37
	;; [unrolled: 1-line block ×3, first 2 shown]
	v_cvt_pk_f32_fp8_e32 v[38:39], v20
	v_cvt_pk_f32_fp8_sdwa v[40:41], v20 src0_sel:WORD_1
	v_cvt_pkrtz_f16_f32 v37, v18, v19
	v_mfma_f32_16x16x16_f16 v[30:33], v[34:35], v[6:7], v[30:33]
	v_cvt_pkrtz_f16_f32 v18, v38, v39
	v_cvt_pkrtz_f16_f32 v19, v40, v41
	v_cvt_pk_f32_fp8_e32 v[34:35], v21
	v_cvt_pk_f32_fp8_sdwa v[20:21], v21 src0_sel:WORD_1
	v_mfma_f32_16x16x16_f16 v[6:9], v[36:37], v[8:9], v[30:33]
	s_nop 2
	v_cvt_pkrtz_f16_f32 v30, v34, v35
	v_cvt_pkrtz_f16_f32 v31, v20, v21
	v_mfma_f32_16x16x16_f16 v[6:9], v[18:19], v[42:43], v[6:9]
	s_waitcnt vmcnt(1)
	v_cvt_pk_f32_fp8_e32 v[18:19], v14
	v_cvt_pk_f32_fp8_sdwa v[20:21], v14 src0_sel:WORD_1
	v_cvt_pk_f32_fp8_sdwa v[32:33], v16 src0_sel:WORD_1
	v_mfma_f32_16x16x16_f16 v[6:9], v[30:31], v[44:45], v[6:9]
	v_cvt_pk_f32_fp8_e32 v[30:31], v15
	v_cvt_pkrtz_f16_f32 v18, v18, v19
	v_cvt_pkrtz_f16_f32 v19, v20, v21
	v_cvt_pk_f32_fp8_sdwa v[14:15], v15 src0_sel:WORD_1
	v_cvt_pkrtz_f16_f32 v20, v30, v31
	v_cvt_pk_f32_fp8_e32 v[30:31], v16
	v_mfma_f32_16x16x16_f16 v[6:9], v[18:19], v[2:3], v[6:9]
	v_cvt_pkrtz_f16_f32 v21, v14, v15
	v_cvt_pkrtz_f16_f32 v14, v30, v31
	;; [unrolled: 1-line block ×3, first 2 shown]
	v_cvt_pk_f32_fp8_e32 v[18:19], v17
	v_cvt_pk_f32_fp8_sdwa v[16:17], v17 src0_sel:WORD_1
	v_mfma_f32_16x16x16_f16 v[2:5], v[20:21], v[4:5], v[6:9]
	s_waitcnt vmcnt(0)
	v_cvt_pk_f32_fp8_sdwa v[20:21], v12 src0_sel:WORD_1
	s_nop 0
	v_cvt_pkrtz_f16_f32 v8, v18, v19
	v_cvt_pkrtz_f16_f32 v9, v16, v17
	v_mfma_f32_16x16x16_f16 v[2:5], v[14:15], v[46:47], v[2:5]
	v_cvt_pk_f32_fp8_e32 v[16:17], v10
	v_cvt_pk_f32_fp8_sdwa v[18:19], v10 src0_sel:WORD_1
	v_pk_mul_f32 v[6:7], v[24:25], s[4:5] op_sel_hi:[1,0]
	v_mfma_f32_16x16x16_f16 v[2:5], v[8:9], v[48:49], v[2:5]
	v_cvt_pk_f32_fp8_e32 v[8:9], v11
	v_cvt_pkrtz_f16_f32 v16, v16, v17
	v_cvt_pkrtz_f16_f32 v17, v18, v19
	v_cvt_pk_f32_fp8_sdwa v[10:11], v11 src0_sel:WORD_1
	v_cvt_pkrtz_f16_f32 v8, v8, v9
	v_cvt_pk_f32_fp8_e32 v[18:19], v12
	v_mfma_f32_16x16x16_f16 v[2:5], v[16:17], v[26:27], v[2:5]
	v_cvt_pkrtz_f16_f32 v9, v10, v11
	v_cvt_pkrtz_f16_f32 v10, v18, v19
	;; [unrolled: 1-line block ×3, first 2 shown]
	v_cvt_pk_f32_fp8_e32 v[16:17], v13
	v_cvt_pk_f32_fp8_sdwa v[12:13], v13 src0_sel:WORD_1
	v_mfma_f32_16x16x16_f16 v[2:5], v[8:9], v[28:29], v[2:5]
	v_pk_mul_f32 v[14:15], v[22:23], s[4:5] op_sel_hi:[1,0]
	v_cvt_pkrtz_f16_f32 v8, v16, v17
	v_cvt_pkrtz_f16_f32 v9, v12, v13
	v_mfma_f32_16x16x16_f16 v[2:5], v[10:11], v[50:51], v[2:5]
	v_cvt_f16_f32_e32 v14, v14
	v_cvt_f16_f32_e32 v10, v15
	;; [unrolled: 1-line block ×3, first 2 shown]
	v_mfma_f32_16x16x16_f16 v[2:5], v[8:9], v[52:53], v[2:5]
	v_cvt_f16_f32_e32 v7, v7
	s_nop 5
	v_pk_mul_f32 v[4:5], v[4:5], s[4:5] op_sel_hi:[1,0]
	v_pk_mul_f32 v[2:3], v[2:3], s[4:5] op_sel_hi:[1,0]
	v_cvt_f16_f32_e32 v11, v4
	v_cvt_f16_f32_e32 v8, v2
	;; [unrolled: 1-line block ×4, first 2 shown]
	v_pack_b32_f16 v2, v14, v10
	v_pack_b32_f16 v3, v6, v7
	;; [unrolled: 1-line block ×4, first 2 shown]
	ds_write2st64_b64 v55, v[2:3], v[4:5] offset1:1
	s_waitcnt lgkmcnt(0)
	s_barrier
	s_and_saveexec_b64 s[4:5], vcc
	s_cbranch_execz .LBB1062_20
; %bb.18:
	s_load_dwordx2 s[4:5], s[0:1], 0x68
	s_lshl_b32 s0, s7, 7
	s_mul_i32 s1, s8, s2
	v_lshlrev_b32_e32 v3, 6, v56
	s_mul_hi_u32 s9, s1, s0
	s_mul_i32 s8, s1, s0
	v_lshl_or_b32 v0, v0, 10, v3
	s_lshl_b64 s[8:9], s[8:9], 1
	v_lshlrev_b32_e32 v2, 5, v62
	v_and_b32_e32 v1, 16, v1
	v_and_b32_e32 v0, 0x1a00, v0
	s_waitcnt lgkmcnt(0)
	s_add_u32 s1, s4, s8
	v_or3_b32 v2, v0, v2, v1
	s_addc_u32 s4, s5, s9
	s_lshl_b32 s2, s6, 7
	ds_read_b128 v[4:7], v2 offset:256
	s_lshl_b64 s[2:3], s[2:3], 1
	ds_read_b128 v[8:11], v2 offset:128
	ds_read_b128 v[12:15], v2
	s_add_u32 s2, s1, s2
	s_addc_u32 s3, s4, s3
	v_mov_b32_e32 v55, 0
	v_add_u32_e32 v3, s48, v62
	v_lshl_add_u64 v[0:1], s[2:3], 0, v[54:55]
	v_mad_u64_u32 v[16:17], s[2:3], v3, s0, 0
	v_lshl_add_u64 v[16:17], v[16:17], 1, v[0:1]
	s_waitcnt lgkmcnt(0)
	global_store_dwordx4 v[16:17], v[12:15], off
	v_cmp_ne_u32_e32 vcc, 3, v62
	s_nop 0
	v_add_u32_e32 v12, 4, v3
	v_mad_u64_u32 v[12:13], s[2:3], v12, s0, 0
	v_lshl_add_u64 v[12:13], v[12:13], 1, v[0:1]
	v_add_u32_e32 v3, 8, v3
	global_store_dwordx4 v[12:13], v[8:11], off
	s_nop 1
	v_mad_u64_u32 v[8:9], s[2:3], v3, s0, 0
	v_lshl_add_u64 v[8:9], v[8:9], 1, v[0:1]
	global_store_dwordx4 v[8:9], v[4:7], off
	s_and_b64 exec, exec, vcc
	s_cbranch_execz .LBB1062_20
; %bb.19:
	ds_read_b128 v[2:5], v2 offset:384
	v_add3_u32 v6, s48, v62, 12
	v_mad_u64_u32 v[6:7], s[0:1], v6, s0, 0
	v_lshl_add_u64 v[0:1], v[6:7], 1, v[0:1]
	s_waitcnt lgkmcnt(0)
	global_store_dwordx4 v[0:1], v[2:5], off
.LBB1062_20:
	s_endpgm
	.section	.rodata,"a",@progbits
	.p2align	6, 0x0
	.amdhsa_kernel _Z39paged_attention_ll4mi_QKV_mfma16_kernelIDF16_hLN4vllm18Fp8KVCacheDataTypeE1EDF16_Li32ELi128ELi256ELb1ELi15EEvPKT_PKT0_S7_ifPKiS9_S9_iPKfiiiPfSC_PS2_PT2_iSB_SB_
		.amdhsa_group_segment_fixed_size 8192
		.amdhsa_private_segment_fixed_size 0
		.amdhsa_kernarg_size 400
		.amdhsa_user_sgpr_count 2
		.amdhsa_user_sgpr_dispatch_ptr 0
		.amdhsa_user_sgpr_queue_ptr 0
		.amdhsa_user_sgpr_kernarg_segment_ptr 1
		.amdhsa_user_sgpr_dispatch_id 0
		.amdhsa_user_sgpr_kernarg_preload_length 0
		.amdhsa_user_sgpr_kernarg_preload_offset 0
		.amdhsa_user_sgpr_private_segment_size 0
		.amdhsa_uses_dynamic_stack 0
		.amdhsa_enable_private_segment 0
		.amdhsa_system_sgpr_workgroup_id_x 1
		.amdhsa_system_sgpr_workgroup_id_y 1
		.amdhsa_system_sgpr_workgroup_id_z 1
		.amdhsa_system_sgpr_workgroup_info 0
		.amdhsa_system_vgpr_workitem_id 0
		.amdhsa_next_free_vgpr 78
		.amdhsa_next_free_sgpr 50
		.amdhsa_accum_offset 80
		.amdhsa_reserve_vcc 1
		.amdhsa_float_round_mode_32 0
		.amdhsa_float_round_mode_16_64 0
		.amdhsa_float_denorm_mode_32 3
		.amdhsa_float_denorm_mode_16_64 3
		.amdhsa_dx10_clamp 1
		.amdhsa_ieee_mode 1
		.amdhsa_fp16_overflow 0
		.amdhsa_tg_split 0
		.amdhsa_exception_fp_ieee_invalid_op 0
		.amdhsa_exception_fp_denorm_src 0
		.amdhsa_exception_fp_ieee_div_zero 0
		.amdhsa_exception_fp_ieee_overflow 0
		.amdhsa_exception_fp_ieee_underflow 0
		.amdhsa_exception_fp_ieee_inexact 0
		.amdhsa_exception_int_div_zero 0
	.end_amdhsa_kernel
	.section	.text._Z39paged_attention_ll4mi_QKV_mfma16_kernelIDF16_hLN4vllm18Fp8KVCacheDataTypeE1EDF16_Li32ELi128ELi256ELb1ELi15EEvPKT_PKT0_S7_ifPKiS9_S9_iPKfiiiPfSC_PS2_PT2_iSB_SB_,"axG",@progbits,_Z39paged_attention_ll4mi_QKV_mfma16_kernelIDF16_hLN4vllm18Fp8KVCacheDataTypeE1EDF16_Li32ELi128ELi256ELb1ELi15EEvPKT_PKT0_S7_ifPKiS9_S9_iPKfiiiPfSC_PS2_PT2_iSB_SB_,comdat
.Lfunc_end1062:
	.size	_Z39paged_attention_ll4mi_QKV_mfma16_kernelIDF16_hLN4vllm18Fp8KVCacheDataTypeE1EDF16_Li32ELi128ELi256ELb1ELi15EEvPKT_PKT0_S7_ifPKiS9_S9_iPKfiiiPfSC_PS2_PT2_iSB_SB_, .Lfunc_end1062-_Z39paged_attention_ll4mi_QKV_mfma16_kernelIDF16_hLN4vllm18Fp8KVCacheDataTypeE1EDF16_Li32ELi128ELi256ELb1ELi15EEvPKT_PKT0_S7_ifPKiS9_S9_iPKfiiiPfSC_PS2_PT2_iSB_SB_
                                        ; -- End function
	.section	.AMDGPU.csdata,"",@progbits
; Kernel info:
; codeLenInByte = 6420
; NumSgprs: 56
; NumVgprs: 78
; NumAgprs: 0
; TotalNumVgprs: 78
; ScratchSize: 0
; MemoryBound: 0
; FloatMode: 240
; IeeeMode: 1
; LDSByteSize: 8192 bytes/workgroup (compile time only)
; SGPRBlocks: 6
; VGPRBlocks: 9
; NumSGPRsForWavesPerEU: 56
; NumVGPRsForWavesPerEU: 78
; AccumOffset: 80
; Occupancy: 6
; WaveLimiterHint : 1
; COMPUTE_PGM_RSRC2:SCRATCH_EN: 0
; COMPUTE_PGM_RSRC2:USER_SGPR: 2
; COMPUTE_PGM_RSRC2:TRAP_HANDLER: 0
; COMPUTE_PGM_RSRC2:TGID_X_EN: 1
; COMPUTE_PGM_RSRC2:TGID_Y_EN: 1
; COMPUTE_PGM_RSRC2:TGID_Z_EN: 1
; COMPUTE_PGM_RSRC2:TIDIG_COMP_CNT: 0
; COMPUTE_PGM_RSRC3_GFX90A:ACCUM_OFFSET: 19
; COMPUTE_PGM_RSRC3_GFX90A:TG_SPLIT: 0
	.section	.text._Z39paged_attention_ll4mi_QKV_mfma16_kernelIDF16_hLN4vllm18Fp8KVCacheDataTypeE1EDF16_Li32ELi128ELi256ELb1ELi16EEvPKT_PKT0_S7_ifPKiS9_S9_iPKfiiiPfSC_PS2_PT2_iSB_SB_,"axG",@progbits,_Z39paged_attention_ll4mi_QKV_mfma16_kernelIDF16_hLN4vllm18Fp8KVCacheDataTypeE1EDF16_Li32ELi128ELi256ELb1ELi16EEvPKT_PKT0_S7_ifPKiS9_S9_iPKfiiiPfSC_PS2_PT2_iSB_SB_,comdat
	.protected	_Z39paged_attention_ll4mi_QKV_mfma16_kernelIDF16_hLN4vllm18Fp8KVCacheDataTypeE1EDF16_Li32ELi128ELi256ELb1ELi16EEvPKT_PKT0_S7_ifPKiS9_S9_iPKfiiiPfSC_PS2_PT2_iSB_SB_ ; -- Begin function _Z39paged_attention_ll4mi_QKV_mfma16_kernelIDF16_hLN4vllm18Fp8KVCacheDataTypeE1EDF16_Li32ELi128ELi256ELb1ELi16EEvPKT_PKT0_S7_ifPKiS9_S9_iPKfiiiPfSC_PS2_PT2_iSB_SB_
	.globl	_Z39paged_attention_ll4mi_QKV_mfma16_kernelIDF16_hLN4vllm18Fp8KVCacheDataTypeE1EDF16_Li32ELi128ELi256ELb1ELi16EEvPKT_PKT0_S7_ifPKiS9_S9_iPKfiiiPfSC_PS2_PT2_iSB_SB_
	.p2align	8
	.type	_Z39paged_attention_ll4mi_QKV_mfma16_kernelIDF16_hLN4vllm18Fp8KVCacheDataTypeE1EDF16_Li32ELi128ELi256ELb1ELi16EEvPKT_PKT0_S7_ifPKiS9_S9_iPKfiiiPfSC_PS2_PT2_iSB_SB_,@function
_Z39paged_attention_ll4mi_QKV_mfma16_kernelIDF16_hLN4vllm18Fp8KVCacheDataTypeE1EDF16_Li32ELi128ELi256ELb1ELi16EEvPKT_PKT0_S7_ifPKiS9_S9_iPKfiiiPfSC_PS2_PT2_iSB_SB_: ; @_Z39paged_attention_ll4mi_QKV_mfma16_kernelIDF16_hLN4vllm18Fp8KVCacheDataTypeE1EDF16_Li32ELi128ELi256ELb1ELi16EEvPKT_PKT0_S7_ifPKiS9_S9_iPKfiiiPfSC_PS2_PT2_iSB_SB_
; %bb.0:
	s_load_dwordx2 s[14:15], s[0:1], 0x30
	s_mov_b32 s33, s3
	s_mov_b64 s[6:7], 0
	s_waitcnt lgkmcnt(0)
	s_cmp_lg_u64 s[14:15], 0
	s_cselect_b64 s[16:17], -1, 0
	s_and_b64 vcc, exec, s[16:17]
	s_cbranch_vccz .LBB1063_7
; %bb.1:
	s_add_i32 s8, s2, 1
	s_mov_b32 s9, 0
	s_lshl_b64 s[10:11], s[8:9], 2
	s_add_u32 s10, s14, s10
	s_mov_b32 s3, s9
	s_addc_u32 s11, s15, s11
	s_lshl_b64 s[8:9], s[2:3], 2
	s_add_u32 s8, s14, s8
	s_addc_u32 s9, s15, s9
	s_load_dword s5, s[10:11], 0x0
	s_load_dword s12, s[8:9], 0x0
	s_waitcnt lgkmcnt(0)
	s_sub_i32 s5, s5, s12
	s_cmp_eq_u32 s5, 1
	s_cselect_b64 s[8:9], -1, 0
	s_andn2_b64 vcc, exec, s[6:7]
	s_cbranch_vccnz .LBB1063_3
.LBB1063_2:
	s_mov_b32 s3, 0
	s_mov_b64 s[8:9], -1
.LBB1063_3:
	s_andn2_b64 vcc, exec, s[8:9]
	s_cbranch_vccnz .LBB1063_17
; %bb.4:
	s_load_dwordx2 s[6:7], s[0:1], 0x28
	s_lshl_b64 s[18:19], s[2:3], 2
	s_waitcnt lgkmcnt(0)
	s_add_u32 s6, s6, s18
	s_addc_u32 s7, s7, s19
	s_load_dword s5, s[6:7], 0x0
	s_lshl_b32 s20, s33, 8
	s_waitcnt lgkmcnt(0)
	s_cmp_ge_i32 s20, s5
	s_cbranch_scc1 .LBB1063_17
; %bb.5:
	s_load_dwordx2 s[6:7], s[0:1], 0x20
	s_load_dword s8, s[0:1], 0x38
	s_add_i32 s9, s5, 31
	s_ashr_i32 s10, s9, 31
	v_and_b32_e32 v1, 0xcf, v0
	s_lshr_b32 s10, s10, 27
	v_add_u32_e32 v1, s20, v1
	s_add_i32 s9, s9, s10
	v_ashrrev_i32_e32 v2, 31, v1
	s_ashr_i32 s21, s9, 5
	v_lshrrev_b32_e32 v10, 27, v2
	s_add_i32 s21, s21, -1
	s_waitcnt lgkmcnt(0)
	s_mul_i32 s8, s2, s8
	s_mov_b32 s9, 0
	v_add_u32_e32 v2, v1, v10
	s_lshl_b64 s[8:9], s[8:9], 2
	v_ashrrev_i32_e32 v2, 5, v2
	v_mov_b32_e32 v11, s21
	v_cmp_gt_i32_e32 vcc, s5, v1
	s_add_u32 s6, s6, s8
	s_addc_u32 s7, s7, s9
	v_cndmask_b32_e32 v2, v11, v2, vcc
	v_ashrrev_i32_e32 v3, 31, v2
	v_lshl_add_u64 v[4:5], v[2:3], 2, s[6:7]
	v_or_b32_e32 v2, 16, v1
	v_add_u32_e32 v3, v2, v10
	v_ashrrev_i32_e32 v3, 5, v3
	v_cmp_gt_i32_e32 vcc, s5, v2
	s_nop 1
	v_cndmask_b32_e32 v2, v11, v3, vcc
	v_ashrrev_i32_e32 v3, 31, v2
	v_lshl_add_u64 v[6:7], v[2:3], 2, s[6:7]
	v_or_b32_e32 v2, 32, v1
	v_add_u32_e32 v3, v2, v10
	v_ashrrev_i32_e32 v3, 5, v3
	v_cmp_gt_i32_e32 vcc, s5, v2
	v_or_b32_e32 v1, 48, v1
	s_nop 0
	v_cndmask_b32_e32 v2, v11, v3, vcc
	v_ashrrev_i32_e32 v3, 31, v2
	v_lshl_add_u64 v[8:9], v[2:3], 2, s[6:7]
	v_add_u32_e32 v2, v1, v10
	v_ashrrev_i32_e32 v2, 5, v2
	v_cmp_gt_i32_e32 vcc, s5, v1
	s_nop 1
	v_cndmask_b32_e32 v2, v11, v2, vcc
	v_ashrrev_i32_e32 v3, 31, v2
	v_lshl_add_u64 v[10:11], v[2:3], 2, s[6:7]
	global_load_dword v2, v[4:5], off
	global_load_dword v28, v[6:7], off
	;; [unrolled: 1-line block ×4, first 2 shown]
	s_load_dwordx2 s[12:13], s[0:1], 0x40
	s_load_dwordx4 s[8:11], s[0:1], 0x8
	s_andn2_b64 vcc, exec, s[16:17]
	s_cbranch_vccnz .LBB1063_8
; %bb.6:
	s_add_u32 s14, s14, s18
	s_addc_u32 s15, s15, s19
	s_load_dword s16, s[14:15], 0x0
	s_branch .LBB1063_9
.LBB1063_7:
	s_mov_b64 s[8:9], 0
	s_branch .LBB1063_2
.LBB1063_8:
	s_mov_b32 s16, s2
.LBB1063_9:
	s_load_dwordx4 s[40:43], s[0:1], 0x48
	v_and_b32_e32 v64, 15, v0
	v_lshlrev_b32_e32 v3, 3, v64
	s_movk_i32 s14, 0x100
	v_lshrrev_b32_e32 v66, 6, v0
	v_and_b32_e32 v67, 63, v0
	v_bfe_u32 v1, v0, 4, 2
	s_lshl_b32 s44, s4, 4
	v_cmp_gt_u32_e32 vcc, s14, v0
	v_lshlrev_b32_e32 v54, 1, v3
	v_lshlrev_b32_e32 v65, 4, v0
	s_and_saveexec_b64 s[14:15], vcc
	s_cbranch_execz .LBB1063_11
; %bb.10:
	s_load_dwordx2 s[18:19], s[0:1], 0x0
	s_waitcnt lgkmcnt(0)
	s_ashr_i32 s17, s40, 31
	s_mul_hi_u32 s22, s16, s40
	s_mul_i32 s17, s16, s17
	s_add_i32 s17, s22, s17
	s_mul_i32 s16, s16, s40
	v_lshl_or_b32 v3, v66, 2, v1
	s_lshl_b64 s[16:17], s[16:17], 1
	s_add_u32 s16, s18, s16
	v_add_lshl_u32 v4, v3, s44, 7
	s_addc_u32 s17, s19, s17
	v_ashrrev_i32_e32 v5, 31, v4
	v_lshl_add_u64 v[4:5], v[4:5], 1, s[16:17]
	v_mov_b32_e32 v55, 0
	v_lshl_add_u64 v[4:5], v[4:5], 0, v[54:55]
	global_load_dwordx4 v[4:7], v[4:5], off
	v_lshlrev_b32_e32 v9, 8, v0
	v_lshlrev_b32_e32 v8, 8, v64
	v_and_b32_e32 v9, 0x600, v9
	s_movk_i32 s16, 0x800
	v_and_or_b32 v8, v8, s16, v9
	v_lshlrev_b32_e32 v3, 5, v3
	v_and_b32_e32 v9, 16, v65
	v_or3_b32 v3, v8, v3, v9
	s_waitcnt vmcnt(0)
	ds_write_b128 v3, v[4:7]
.LBB1063_11:
	s_or_b64 exec, exec, s[14:15]
	s_waitcnt lgkmcnt(0)
	s_mul_i32 s14, s4, s42
	s_add_u32 s8, s8, s14
	s_addc_u32 s9, s9, 0
	v_mov_b32_e32 v53, 0
	v_mov_b64_e32 v[24:25], s[8:9]
	v_and_b32_e32 v4, 48, v0
	s_waitcnt vmcnt(3)
	v_mad_i64_i32 v[2:3], s[8:9], v2, s41, v[24:25]
	v_lshlrev_b32_e32 v22, 4, v64
	v_mov_b32_e32 v23, v53
	v_lshlrev_b32_e32 v52, 5, v4
	v_lshl_add_u64 v[2:3], v[2:3], 0, v[22:23]
	v_lshl_add_u64 v[2:3], v[2:3], 0, v[52:53]
	s_load_dword s40, s[0:1], 0x98
	s_load_dwordx4 s[36:39], s[0:1], 0x80
	s_waitcnt lgkmcnt(0)
	s_barrier
	global_load_dwordx4 v[30:33], v[2:3], off
	global_load_dwordx4 v[18:21], v[2:3], off offset:2048
	v_or_b32_e32 v34, 0x100, v22
	v_mov_b32_e32 v35, v53
	s_waitcnt vmcnt(4)
	v_mad_i64_i32 v[28:29], s[8:9], v28, s41, v[24:25]
	v_lshlrev_b32_e32 v68, 5, v64
	v_lshl_add_u64 v[28:29], v[28:29], 0, v[34:35]
	v_lshl_or_b32 v55, v1, 9, v68
	v_lshl_add_u64 v[28:29], v[28:29], 0, v[52:53]
	v_or_b32_e32 v38, s20, v4
	ds_read_b128 v[14:17], v55
	ds_read_b128 v[2:5], v55 offset:16
	ds_read_b128 v[10:13], v55 offset:2048
	ds_read_b128 v[6:9], v55 offset:2064
	global_load_dwordx4 v[46:49], v[28:29], off
	v_or_b32_e32 v50, s44, v64
	v_ashrrev_i32_e32 v51, 31, v50
	v_lshl_add_u64 v[36:37], v[50:51], 2, s[12:13]
	s_ashr_i32 s12, s20, 31
	s_lshr_b32 s12, s12, 27
	v_or_b32_e32 v43, 0x80, v38
	v_or_b32_e32 v44, 0xc0, v38
	global_load_dword v51, v[36:37], off
	s_waitcnt vmcnt(5)
	v_mad_i64_i32 v[36:37], s[8:9], v26, s41, v[24:25]
	v_add_u32_e32 v26, s12, v38
	v_mov_b32_e32 v42, s21
	v_or_b32_e32 v39, 64, v38
	v_add_u32_e32 v40, s12, v43
	v_add_u32_e32 v41, s12, v44
	v_ashrrev_i32_e32 v26, 5, v26
	v_cmp_gt_i32_e32 vcc, s5, v38
	s_waitcnt vmcnt(4)
	v_mad_i64_i32 v[24:25], s[8:9], v27, s41, v[24:25]
	v_add_u32_e32 v27, s12, v39
	v_lshl_add_u64 v[22:23], v[36:37], 0, v[22:23]
	v_ashrrev_i32_e32 v36, 5, v40
	v_ashrrev_i32_e32 v37, 5, v41
	v_cndmask_b32_e32 v58, v42, v26, vcc
	v_cmp_gt_i32_e32 vcc, s5, v39
	global_load_dwordx4 v[38:41], v[28:29], off offset:2048
	v_lshl_add_u64 v[24:25], v[24:25], 0, v[34:35]
	v_ashrrev_i32_e32 v27, 5, v27
	v_lshl_add_u64 v[22:23], v[22:23], 0, v[52:53]
	v_lshl_add_u64 v[34:35], v[24:25], 0, v[52:53]
	v_cndmask_b32_e32 v60, v42, v27, vcc
	global_load_dwordx4 v[26:29], v[22:23], off
	s_nop 0
	global_load_dwordx4 v[22:25], v[22:23], off offset:2048
	v_ashrrev_i32_e32 v61, 31, v60
	v_lshl_add_u64 v[70:71], v[60:61], 2, s[6:7]
	v_cmp_gt_i32_e32 vcc, s5, v43
	v_ashrrev_i32_e32 v59, 31, v58
	v_lshl_add_u64 v[58:59], v[58:59], 2, s[6:7]
	v_cndmask_b32_e32 v62, v42, v36, vcc
	v_cmp_gt_i32_e32 vcc, s5, v44
	v_ashrrev_i32_e32 v63, 31, v62
	v_lshl_add_u64 v[62:63], v[62:63], 2, s[6:7]
	v_cndmask_b32_e32 v56, v42, v37, vcc
	global_load_dwordx4 v[42:45], v[34:35], off
	s_nop 0
	global_load_dwordx4 v[34:37], v[34:35], off offset:2048
	v_ashrrev_i32_e32 v57, 31, v56
	v_and_b32_e32 v52, 16, v0
	s_load_dword s4, s[0:1], 0x1c
	s_mov_b32 s42, 0xff7fffff
	s_waitcnt vmcnt(8)
	v_cvt_pk_f32_fp8_e32 v[60:61], v30
	v_cvt_pk_f32_fp8_sdwa v[72:73], v30 src0_sel:WORD_1
	v_cvt_pk_f32_fp8_e32 v[74:75], v31
	v_cvt_pk_f32_fp8_sdwa v[30:31], v31 src0_sel:WORD_1
	v_cvt_pkrtz_f16_f32 v60, v60, v61
	v_cvt_pkrtz_f16_f32 v61, v72, v73
	v_cvt_pk_f32_fp8_e32 v[76:77], v32
	v_cvt_pk_f32_fp8_sdwa v[78:79], v32 src0_sel:WORD_1
	v_cvt_pkrtz_f16_f32 v74, v74, v75
	v_cvt_pkrtz_f16_f32 v75, v30, v31
	v_cvt_pk_f32_fp8_e32 v[80:81], v33
	v_cvt_pk_f32_fp8_sdwa v[72:73], v33 src0_sel:WORD_1
	s_waitcnt lgkmcnt(0)
	v_mfma_f32_16x16x16_f16 v[30:33], v[60:61], v[14:15], 0
	v_cvt_pkrtz_f16_f32 v76, v76, v77
	v_cvt_pkrtz_f16_f32 v77, v78, v79
	s_waitcnt vmcnt(7)
	v_cvt_pk_f32_fp8_e32 v[82:83], v18
	v_mfma_f32_16x16x16_f16 v[30:33], v[74:75], v[16:17], v[30:33]
	v_cvt_pk_f32_fp8_sdwa v[60:61], v18 src0_sel:WORD_1
	v_cvt_pkrtz_f16_f32 v78, v80, v81
	v_cvt_pkrtz_f16_f32 v79, v72, v73
	v_mfma_f32_16x16x16_f16 v[30:33], v[76:77], v[2:3], v[30:33]
	v_cvt_pk_f32_fp8_e32 v[74:75], v19
	v_cvt_pk_f32_fp8_sdwa v[18:19], v19 src0_sel:WORD_1
	v_cvt_pkrtz_f16_f32 v72, v82, v83
	v_cvt_pkrtz_f16_f32 v73, v60, v61
	v_mfma_f32_16x16x16_f16 v[30:33], v[78:79], v[4:5], v[30:33]
	v_lshl_add_u64 v[76:77], v[56:57], 2, s[6:7]
	v_cvt_pkrtz_f16_f32 v74, v74, v75
	v_cvt_pkrtz_f16_f32 v75, v18, v19
	global_load_dword v60, v[58:59], off
	s_nop 0
	global_load_dword v59, v[70:71], off
	global_load_dword v56, v[62:63], off
	;; [unrolled: 1-line block ×3, first 2 shown]
	v_cvt_pk_f32_fp8_e32 v[18:19], v20
	v_cvt_pk_f32_fp8_sdwa v[62:63], v20 src0_sel:WORD_1
	v_mfma_f32_16x16x16_f16 v[30:33], v[72:73], v[10:11], v[30:33]
	v_cvt_pk_f32_fp8_e32 v[70:71], v21
	v_cvt_pkrtz_f16_f32 v18, v18, v19
	v_cvt_pkrtz_f16_f32 v19, v62, v63
	v_cvt_pk_f32_fp8_sdwa v[20:21], v21 src0_sel:WORD_1
	v_mfma_f32_16x16x16_f16 v[30:33], v[74:75], v[12:13], v[30:33]
	v_cvt_pkrtz_f16_f32 v62, v70, v71
	s_waitcnt vmcnt(10)
	v_cvt_pk_f32_fp8_e32 v[70:71], v46
	v_cvt_pk_f32_fp8_sdwa v[72:73], v46 src0_sel:WORD_1
	v_cvt_pkrtz_f16_f32 v63, v20, v21
	v_mfma_f32_16x16x16_f16 v[18:21], v[18:19], v[6:7], v[30:33]
	s_add_u32 s6, s10, s14
	s_addc_u32 s7, s11, 0
	v_lshl_or_b32 v58, v66, 4, v64
	v_cvt_pkrtz_f16_f32 v30, v70, v71
	v_cvt_pkrtz_f16_f32 v31, v72, v73
	v_cvt_pk_f32_fp8_e32 v[32:33], v47
	v_cvt_pk_f32_fp8_sdwa v[46:47], v47 src0_sel:WORD_1
	v_mfma_f32_16x16x16_f16 v[18:21], v[62:63], v[8:9], v[18:21]
	v_cvt_pk_f32_fp8_sdwa v[70:71], v48 src0_sel:WORD_1
	v_cvt_pkrtz_f16_f32 v62, v32, v33
	v_cvt_pkrtz_f16_f32 v63, v46, v47
	v_mfma_f32_16x16x16_f16 v[30:33], v[30:31], v[14:15], 0
	v_cvt_pk_f32_fp8_e32 v[46:47], v48
	s_waitcnt vmcnt(8)
	v_cvt_pk_f32_fp8_sdwa v[72:73], v38 src0_sel:WORD_1
	v_cvt_pkrtz_f16_f32 v46, v46, v47
	v_mfma_f32_16x16x16_f16 v[30:33], v[62:63], v[16:17], v[30:33]
	v_cvt_pk_f32_fp8_e32 v[62:63], v49
	v_cvt_pkrtz_f16_f32 v47, v70, v71
	v_cvt_pk_f32_fp8_sdwa v[48:49], v49 src0_sel:WORD_1
	v_cvt_pk_f32_fp8_e32 v[70:71], v38
	v_cvt_pkrtz_f16_f32 v62, v62, v63
	v_mfma_f32_16x16x16_f16 v[30:33], v[46:47], v[2:3], v[30:33]
	v_cvt_pkrtz_f16_f32 v63, v48, v49
	v_cvt_pkrtz_f16_f32 v46, v70, v71
	;; [unrolled: 1-line block ×3, first 2 shown]
	v_cvt_pk_f32_fp8_e32 v[48:49], v39
	v_cvt_pk_f32_fp8_sdwa v[38:39], v39 src0_sel:WORD_1
	v_mfma_f32_16x16x16_f16 v[30:33], v[62:63], v[4:5], v[30:33]
	v_cvt_pk_f32_fp8_sdwa v[62:63], v40 src0_sel:WORD_1
	v_cvt_pkrtz_f16_f32 v48, v48, v49
	v_cvt_pkrtz_f16_f32 v49, v38, v39
	v_mfma_f32_16x16x16_f16 v[30:33], v[46:47], v[10:11], v[30:33]
	v_cvt_pk_f32_fp8_e32 v[46:47], v40
	s_waitcnt vmcnt(7)
	v_cvt_pk_f32_fp8_sdwa v[70:71], v26 src0_sel:WORD_1
	v_lshl_add_u64 v[38:39], s[6:7], 0, v[52:53]
	v_mfma_f32_16x16x16_f16 v[30:33], v[48:49], v[12:13], v[30:33]
	v_cvt_pkrtz_f16_f32 v46, v46, v47
	v_cvt_pkrtz_f16_f32 v47, v62, v63
	v_cvt_pk_f32_fp8_e32 v[48:49], v41
	v_cvt_pk_f32_fp8_sdwa v[40:41], v41 src0_sel:WORD_1
	v_cvt_pk_f32_fp8_e32 v[62:63], v26
	v_mfma_f32_16x16x16_f16 v[30:33], v[46:47], v[6:7], v[30:33]
	v_cvt_pkrtz_f16_f32 v48, v48, v49
	v_cvt_pkrtz_f16_f32 v49, v40, v41
	;; [unrolled: 1-line block ×4, first 2 shown]
	v_cvt_pk_f32_fp8_e32 v[46:47], v27
	v_cvt_pk_f32_fp8_sdwa v[26:27], v27 src0_sel:WORD_1
	v_mfma_f32_16x16x16_f16 v[30:33], v[48:49], v[8:9], v[30:33]
	s_waitcnt vmcnt(6)
	v_cvt_pk_f32_fp8_sdwa v[70:71], v22 src0_sel:WORD_1
	v_cvt_pkrtz_f16_f32 v62, v46, v47
	v_cvt_pkrtz_f16_f32 v63, v26, v27
	v_mfma_f32_16x16x16_f16 v[46:49], v[40:41], v[14:15], 0
	v_cvt_pk_f32_fp8_e32 v[26:27], v28
	v_cvt_pk_f32_fp8_sdwa v[40:41], v28 src0_sel:WORD_1
	v_lshlrev_b32_e32 v52, 5, v58
	v_mfma_f32_16x16x16_f16 v[46:49], v[62:63], v[16:17], v[46:49]
	v_cvt_pk_f32_fp8_e32 v[62:63], v29
	v_cvt_pkrtz_f16_f32 v26, v26, v27
	v_cvt_pkrtz_f16_f32 v27, v40, v41
	v_cvt_pk_f32_fp8_sdwa v[28:29], v29 src0_sel:WORD_1
	v_cvt_pkrtz_f16_f32 v40, v62, v63
	v_cvt_pk_f32_fp8_e32 v[62:63], v22
	v_cvt_pkrtz_f16_f32 v41, v28, v29
	v_mfma_f32_16x16x16_f16 v[26:29], v[26:27], v[2:3], v[46:49]
	s_nop 2
	v_cvt_pkrtz_f16_f32 v46, v62, v63
	v_cvt_pkrtz_f16_f32 v47, v70, v71
	v_cvt_pk_f32_fp8_e32 v[48:49], v23
	v_cvt_pk_f32_fp8_sdwa v[62:63], v23 src0_sel:WORD_1
	v_mfma_f32_16x16x16_f16 v[26:29], v[40:41], v[4:5], v[26:29]
	v_lshl_add_u64 v[22:23], v[38:39], 0, v[52:53]
	v_cvt_pkrtz_f16_f32 v40, v48, v49
	v_cvt_pkrtz_f16_f32 v41, v62, v63
	v_mfma_f32_16x16x16_f16 v[26:29], v[46:47], v[10:11], v[26:29]
	v_cvt_pk_f32_fp8_e32 v[46:47], v24
	v_cvt_pk_f32_fp8_sdwa v[48:49], v24 src0_sel:WORD_1
	s_waitcnt vmcnt(3)
	v_mad_i64_i32 v[62:63], s[6:7], v60, s41, v[22:23]
	v_mfma_f32_16x16x16_f16 v[26:29], v[40:41], v[12:13], v[26:29]
	v_cvt_pkrtz_f16_f32 v40, v46, v47
	v_cvt_pkrtz_f16_f32 v41, v48, v49
	v_cvt_pk_f32_fp8_e32 v[46:47], v25
	v_cvt_pk_f32_fp8_sdwa v[24:25], v25 src0_sel:WORD_1
	s_waitcnt vmcnt(2)
	v_mad_i64_i32 v[48:49], s[6:7], v59, s41, v[22:23]
	v_cvt_pkrtz_f16_f32 v46, v46, v47
	v_cvt_pkrtz_f16_f32 v47, v24, v25
	v_mfma_f32_16x16x16_f16 v[24:27], v[40:41], v[6:7], v[26:29]
	v_cvt_pk_f32_fp8_sdwa v[40:41], v42 src0_sel:WORD_1
	s_load_dword s6, s[36:37], 0x0
	v_or_b32_e32 v52, 0x800, v52
	v_cvt_pk_f32_fp8_e32 v[28:29], v42
	v_mfma_f32_16x16x16_f16 v[70:73], v[46:47], v[8:9], v[24:27]
	v_cvt_pk_f32_fp8_sdwa v[46:47], v44 src0_sel:WORD_1
	s_nop 1
	v_cvt_pk_f32_fp8_e32 v[24:25], v43
	v_cvt_pkrtz_f16_f32 v26, v28, v29
	v_cvt_pkrtz_f16_f32 v27, v40, v41
	v_cvt_pk_f32_fp8_sdwa v[28:29], v43 src0_sel:WORD_1
	v_cvt_pkrtz_f16_f32 v40, v24, v25
	v_cvt_pk_f32_fp8_e32 v[42:43], v44
	v_mfma_f32_16x16x16_f16 v[24:27], v[26:27], v[14:15], 0
	v_cvt_pkrtz_f16_f32 v41, v28, v29
	v_cvt_pkrtz_f16_f32 v28, v42, v43
	;; [unrolled: 1-line block ×3, first 2 shown]
	v_cvt_pk_f32_fp8_e32 v[42:43], v45
	v_cvt_pk_f32_fp8_sdwa v[44:45], v45 src0_sel:WORD_1
	v_mfma_f32_16x16x16_f16 v[14:17], v[40:41], v[16:17], v[24:27]
	v_cvt_pkrtz_f16_f32 v40, v42, v43
	v_cvt_pkrtz_f16_f32 v41, v44, v45
	v_mfma_f32_16x16x16_f16 v[14:17], v[28:29], v[2:3], v[14:17]
	v_cvt_pk_f32_fp8_e32 v[2:3], v34
	v_mov_b32_e32 v24, s4
	s_waitcnt lgkmcnt(0)
	v_mul_f32_e32 v28, s6, v24
	v_mfma_f32_16x16x16_f16 v[14:17], v[40:41], v[4:5], v[14:17]
	v_cvt_pk_f32_fp8_sdwa v[4:5], v34 src0_sel:WORD_1
	v_pk_mul_f32 v[24:25], v[28:29], v[20:21] op_sel_hi:[0,1]
	v_pk_mul_f32 v[26:27], v[28:29], v[18:19] op_sel_hi:[0,1]
	v_cvt_pk_f32_fp8_e32 v[18:19], v35
	v_cvt_pk_f32_fp8_sdwa v[20:21], v35 src0_sel:WORD_1
	v_cvt_pkrtz_f16_f32 v34, v2, v3
	v_cvt_pkrtz_f16_f32 v35, v4, v5
	;; [unrolled: 1-line block ×4, first 2 shown]
	v_cvt_pk_f32_fp8_e32 v[42:43], v36
	v_cvt_pk_f32_fp8_sdwa v[44:45], v36 src0_sel:WORD_1
	v_mfma_f32_16x16x16_f16 v[14:17], v[34:35], v[10:11], v[14:17]
	v_pk_mul_f32 v[46:47], v[28:29], v[30:31] op_sel_hi:[0,1]
	v_cvt_pkrtz_f16_f32 v34, v42, v43
	v_cvt_pkrtz_f16_f32 v35, v44, v45
	v_cvt_pk_f32_fp8_e32 v[44:45], v37
	v_cvt_pk_f32_fp8_sdwa v[36:37], v37 src0_sel:WORD_1
	v_mfma_f32_16x16x16_f16 v[10:13], v[40:41], v[12:13], v[14:17]
	v_pk_mul_f32 v[42:43], v[28:29], v[32:33] op_sel_hi:[0,1]
	v_pk_mul_f32 v[40:41], v[28:29], v[72:73] op_sel_hi:[0,1]
	global_load_dwordx4 v[18:21], v[62:63], off
	global_load_dwordx4 v[2:5], v[48:49], off
	v_cvt_pkrtz_f16_f32 v14, v44, v45
	v_cvt_pkrtz_f16_f32 v15, v36, v37
	v_mfma_f32_16x16x16_f16 v[10:13], v[34:35], v[6:7], v[10:13]
	v_pk_mul_f32 v[44:45], v[28:29], v[70:71] op_sel_hi:[0,1]
	v_mfma_f32_16x16x16_f16 v[6:9], v[14:15], v[8:9], v[10:13]
	s_nop 6
	v_pk_mul_f32 v[36:37], v[28:29], v[6:7] op_sel_hi:[0,1]
	v_and_b32_e32 v6, 0xc0, v0
	v_add_u32_e32 v6, s20, v6
	v_lshl_or_b32 v6, v1, 2, v6
	v_or_b32_e32 v7, 1, v6
	v_pk_mul_f32 v[34:35], v[28:29], v[8:9] op_sel_hi:[0,1]
	v_subrev_u32_e32 v8, s5, v7
	v_add_u32_e32 v10, 1, v8
	v_add_u32_e32 v11, 2, v8
	v_cvt_f32_i32_e32 v9, v8
	v_cvt_f32_i32_e32 v10, v10
	;; [unrolled: 1-line block ×3, first 2 shown]
	v_add_u32_e32 v12, 3, v8
	v_fma_f32 v13, v51, v9, v26
	v_fmac_f32_e32 v27, v51, v10
	v_fma_f32 v24, v51, v11, v24
	v_add_u32_e32 v9, 16, v8
	v_add_u32_e32 v10, 17, v8
	;; [unrolled: 1-line block ×3, first 2 shown]
	v_cvt_f32_i32_e32 v12, v12
	v_cvt_f32_i32_e32 v9, v9
	;; [unrolled: 1-line block ×4, first 2 shown]
	v_fmac_f32_e32 v25, v51, v12
	v_add_u32_e32 v12, 19, v8
	v_fma_f32 v46, v51, v9, v46
	v_fmac_f32_e32 v47, v51, v10
	v_fma_f32 v42, v51, v11, v42
	v_add_u32_e32 v9, 32, v8
	v_add_u32_e32 v10, 33, v8
	;; [unrolled: 1-line block ×3, first 2 shown]
	v_cvt_f32_i32_e32 v12, v12
	v_cvt_f32_i32_e32 v9, v9
	;; [unrolled: 1-line block ×4, first 2 shown]
	v_fmac_f32_e32 v43, v51, v12
	v_add_u32_e32 v12, 35, v8
	v_fma_f32 v44, v51, v9, v44
	v_fmac_f32_e32 v45, v51, v10
	v_fma_f32 v40, v51, v11, v40
	v_add_u32_e32 v9, 48, v8
	v_add_u32_e32 v10, 49, v8
	v_add_u32_e32 v11, 50, v8
	v_add_u32_e32 v8, 51, v8
	v_cvt_f32_i32_e32 v8, v8
	v_cvt_f32_i32_e32 v9, v9
	;; [unrolled: 1-line block ×3, first 2 shown]
	v_cmp_gt_i32_e64 s[18:19], s5, v6
	v_fmac_f32_e32 v35, v51, v8
	v_mov_b32_e32 v8, 0xff7fffff
	v_cmp_gt_i32_e64 s[22:23], s5, v7
	v_fma_f32 v36, v51, v9, v36
	v_cndmask_b32_e64 v9, v8, v13, s[18:19]
	v_cndmask_b32_e64 v7, v8, v27, s[22:23]
	v_fmac_f32_e32 v37, v51, v10
	v_max3_f32 v7, v9, s42, v7
	v_or_b32_e32 v9, 2, v6
	v_or_b32_e32 v10, 3, v6
	v_cmp_gt_i32_e64 s[28:29], s5, v9
	v_cmp_gt_i32_e64 s[34:35], s5, v10
	v_cvt_f32_i32_e32 v12, v12
	v_cndmask_b32_e64 v9, v8, v24, s[28:29]
	v_cndmask_b32_e64 v10, v8, v25, s[34:35]
	v_max3_f32 v7, v7, v9, v10
	v_or_b32_e32 v9, 16, v6
	v_or_b32_e32 v10, 17, v6
	v_cmp_gt_i32_e64 s[12:13], s5, v9
	v_cmp_gt_i32_e64 s[16:17], s5, v10
	v_fmac_f32_e32 v41, v51, v12
	v_cndmask_b32_e64 v9, v8, v46, s[12:13]
	v_cndmask_b32_e64 v10, v8, v47, s[16:17]
	v_max3_f32 v7, v7, v9, v10
	v_or_b32_e32 v9, 18, v6
	v_or_b32_e32 v10, 19, v6
	v_cmp_gt_i32_e64 s[24:25], s5, v9
	v_cmp_gt_i32_e64 s[30:31], s5, v10
	v_cvt_f32_i32_e32 v11, v11
	v_cndmask_b32_e64 v9, v8, v42, s[24:25]
	v_cndmask_b32_e64 v10, v8, v43, s[30:31]
	v_max3_f32 v7, v7, v9, v10
	v_or_b32_e32 v9, 32, v6
	v_or_b32_e32 v10, 33, v6
	v_cmp_gt_i32_e64 s[10:11], s5, v9
	v_cmp_gt_i32_e64 s[14:15], s5, v10
	v_fma_f32 v34, v51, v11, v34
	v_cndmask_b32_e64 v9, v8, v44, s[10:11]
	v_cndmask_b32_e64 v10, v8, v45, s[14:15]
	v_max3_f32 v7, v7, v9, v10
	v_or_b32_e32 v9, 34, v6
	v_or_b32_e32 v10, 35, v6
	v_cmp_gt_i32_e64 s[20:21], s5, v9
	v_cmp_gt_i32_e64 s[26:27], s5, v10
	s_nop 0
	v_cndmask_b32_e64 v9, v8, v40, s[20:21]
	v_cndmask_b32_e64 v10, v8, v41, s[26:27]
	v_max3_f32 v7, v7, v9, v10
	v_or_b32_e32 v9, 48, v6
	v_or_b32_e32 v10, 49, v6
	v_cmp_gt_i32_e64 s[6:7], s5, v9
	v_cmp_gt_i32_e64 s[8:9], s5, v10
	s_nop 0
	v_cndmask_b32_e64 v9, v8, v36, s[6:7]
	v_cndmask_b32_e64 v10, v8, v37, s[8:9]
	v_max3_f32 v7, v7, v9, v10
	v_or_b32_e32 v9, 50, v6
	v_or_b32_e32 v6, 51, v6
	v_cmp_gt_i32_e32 vcc, s5, v9
	v_cmp_gt_i32_e64 s[4:5], s5, v6
	s_nop 0
	v_cndmask_b32_e32 v9, v8, v34, vcc
	v_cndmask_b32_e64 v6, v8, v35, s[4:5]
	v_max3_f32 v6, v7, v9, v6
	v_mbcnt_lo_u32_b32 v7, -1, 0
	v_mbcnt_hi_u32_b32 v7, -1, v7
	v_and_b32_e32 v8, 64, v7
	v_add_u32_e32 v12, 64, v8
	v_xor_b32_e32 v8, 32, v7
	v_cmp_lt_i32_e64 s[36:37], v8, v12
	s_nop 1
	v_cndmask_b32_e64 v8, v7, v8, s[36:37]
	v_lshlrev_b32_e32 v51, 2, v8
	ds_bpermute_b32 v14, v51, v6
	s_waitcnt vmcnt(3)
	v_mad_i64_i32 v[8:9], s[36:37], v56, s41, v[22:23]
	s_waitcnt vmcnt(2)
	v_mad_i64_i32 v[10:11], s[36:37], v57, s41, v[22:23]
	s_waitcnt lgkmcnt(0)
	v_max_f32_e32 v14, v14, v14
	v_max_f32_e32 v22, v6, v14
	v_xor_b32_e32 v6, 16, v7
	v_cmp_lt_i32_e64 s[36:37], v6, v12
	global_load_dwordx4 v[30:33], v[8:9], off
	global_load_dwordx4 v[14:17], v[10:11], off
	v_cndmask_b32_e64 v6, v7, v6, s[36:37]
	v_lshlrev_b32_e32 v62, 2, v6
	ds_bpermute_b32 v12, v62, v22
	v_lshl_add_u64 v[6:7], v[38:39], 0, v[52:53]
	v_mad_i64_i32 v[10:11], s[36:37], v59, s41, v[6:7]
	s_waitcnt lgkmcnt(0)
	v_max_f32_e32 v8, v12, v12
	v_max_f32_e32 v61, v22, v8
	v_sub_f32_e32 v12, v27, v61
	v_mul_f32_e32 v12, 0x3fb8aa3b, v12
	v_exp_f32_e32 v39, v12
	v_sub_f32_e32 v12, v24, v61
	v_mul_f32_e32 v12, 0x3fb8aa3b, v12
	v_sub_f32_e32 v13, v13, v61
	v_exp_f32_e32 v52, v12
	v_sub_f32_e32 v12, v25, v61
	v_mad_i64_i32 v[8:9], s[36:37], v60, s41, v[6:7]
	v_mul_f32_e32 v13, 0x3fb8aa3b, v13
	v_mul_f32_e32 v12, 0x3fb8aa3b, v12
	v_exp_f32_e32 v38, v13
	v_exp_f32_e32 v53, v12
	global_load_dwordx4 v[26:29], v[8:9], off
	s_nop 0
	global_load_dwordx4 v[10:13], v[10:11], off
	v_mad_i64_i32 v[8:9], s[36:37], v56, s41, v[6:7]
	v_mad_i64_i32 v[6:7], s[36:37], v57, s41, v[6:7]
	global_load_dwordx4 v[22:25], v[8:9], off
	s_nop 0
	global_load_dwordx4 v[6:9], v[6:7], off
	v_cndmask_b32_e64 v48, 0, v38, s[18:19]
	v_cndmask_b32_e64 v49, 0, v39, s[22:23]
	v_sub_f32_e32 v38, v46, v61
	v_sub_f32_e32 v39, v47, v61
	v_mul_f32_e32 v38, 0x3fb8aa3b, v38
	v_mul_f32_e32 v39, 0x3fb8aa3b, v39
	v_exp_f32_e32 v38, v38
	v_exp_f32_e32 v39, v39
	v_sub_f32_e32 v42, v42, v61
	v_mul_f32_e32 v42, 0x3fb8aa3b, v42
	v_exp_f32_e32 v46, v42
	v_sub_f32_e32 v42, v43, v61
	v_mul_f32_e32 v42, 0x3fb8aa3b, v42
	v_exp_f32_e32 v47, v42
	v_cndmask_b32_e64 v42, 0, v38, s[12:13]
	v_cndmask_b32_e64 v43, 0, v39, s[16:17]
	v_sub_f32_e32 v38, v45, v61
	v_sub_f32_e32 v39, v44, v61
	v_mul_f32_e32 v39, 0x3fb8aa3b, v39
	v_mul_f32_e32 v38, 0x3fb8aa3b, v38
	v_exp_f32_e32 v39, v39
	v_exp_f32_e32 v44, v38
	v_sub_f32_e32 v38, v40, v61
	v_mul_f32_e32 v38, 0x3fb8aa3b, v38
	v_exp_f32_e32 v40, v38
	v_sub_f32_e32 v38, v41, v61
	v_mul_f32_e32 v38, 0x3fb8aa3b, v38
	v_exp_f32_e32 v41, v38
	v_cndmask_b32_e64 v38, 0, v39, s[10:11]
	v_cndmask_b32_e64 v39, 0, v44, s[14:15]
	v_add_f32_e32 v44, 0, v48
	v_cndmask_b32_e64 v52, 0, v52, s[28:29]
	v_add_f32_e32 v44, v44, v49
	;; [unrolled: 2-line block ×3, first 2 shown]
	v_add_f32_e32 v44, v44, v53
	v_add_f32_e32 v44, v44, v42
	v_cndmask_b32_e64 v46, 0, v46, s[24:25]
	v_add_f32_e32 v44, v44, v43
	v_sub_f32_e32 v36, v36, v61
	v_cndmask_b32_e64 v47, 0, v47, s[30:31]
	v_add_f32_e32 v44, v44, v46
	v_mul_f32_e32 v36, 0x3fb8aa3b, v36
	v_sub_f32_e32 v37, v37, v61
	v_add_f32_e32 v44, v44, v47
	v_exp_f32_e32 v36, v36
	v_mul_f32_e32 v37, 0x3fb8aa3b, v37
	v_sub_f32_e32 v34, v34, v61
	v_add_f32_e32 v44, v44, v38
	v_exp_f32_e32 v37, v37
	v_mul_f32_e32 v34, 0x3fb8aa3b, v34
	v_sub_f32_e32 v35, v35, v61
	v_cndmask_b32_e64 v40, 0, v40, s[20:21]
	v_add_f32_e32 v44, v44, v39
	v_exp_f32_e32 v34, v34
	v_mul_f32_e32 v35, 0x3fb8aa3b, v35
	v_cndmask_b32_e64 v41, 0, v41, s[26:27]
	v_add_f32_e32 v44, v44, v40
	v_exp_f32_e32 v35, v35
	v_add_f32_e32 v44, v44, v41
	v_cndmask_b32_e64 v36, 0, v36, s[6:7]
	v_add_f32_e32 v44, v44, v36
	v_cndmask_b32_e64 v37, 0, v37, s[8:9]
	v_add_f32_e32 v44, v44, v37
	v_cndmask_b32_e32 v34, 0, v34, vcc
	v_add_f32_e32 v44, v44, v34
	v_cndmask_b32_e64 v35, 0, v35, s[4:5]
	v_add_f32_e32 v44, v44, v35
	ds_bpermute_b32 v45, v51, v44
	v_cmp_gt_u32_e32 vcc, 16, v67
	s_waitcnt lgkmcnt(0)
	s_barrier
	v_add_f32_e32 v44, v44, v45
	ds_bpermute_b32 v45, v62, v44
	s_and_saveexec_b64 s[4:5], vcc
	s_cbranch_execz .LBB1063_13
; %bb.12:
	s_waitcnt lgkmcnt(0)
	v_add_f32_e32 v44, v44, v45
	v_lshlrev_b32_e32 v45, 2, v58
	ds_write2st64_b32 v45, v61, v44 offset1:1
.LBB1063_13:
	s_or_b64 exec, exec, s[4:5]
	s_waitcnt lgkmcnt(0)
	v_lshlrev_b32_e32 v45, 2, v64
	s_load_dword s6, s[0:1], 0x94
	s_waitcnt lgkmcnt(0)
	s_barrier
	ds_read2_b32 v[56:57], v45 offset1:16
	ds_read2_b32 v[58:59], v45 offset0:32 offset1:48
	ds_read2_b32 v[60:61], v45 offset0:64 offset1:80
	s_lshl_b32 s7, s40, 4
	s_waitcnt lgkmcnt(2)
	v_max3_f32 v44, v56, s42, v57
	s_waitcnt lgkmcnt(1)
	v_max3_f32 v44, v44, v58, v59
	v_sub_f32_e32 v51, v56, v44
	v_sub_f32_e32 v56, v57, v44
	v_mul_f32_e32 v56, 0x3fb8aa3b, v56
	v_mul_f32_e32 v51, 0x3fb8aa3b, v51
	v_exp_f32_e32 v62, v56
	v_sub_f32_e32 v56, v58, v44
	v_exp_f32_e32 v51, v51
	v_mul_f32_e32 v56, 0x3fb8aa3b, v56
	v_exp_f32_e32 v58, v56
	ds_read2_b32 v[56:57], v45 offset0:96 offset1:112
	v_sub_f32_e32 v45, v59, v44
	v_mul_f32_e32 v45, 0x3fb8aa3b, v45
	v_exp_f32_e32 v59, v45
	s_waitcnt lgkmcnt(1)
	v_fma_f32 v45, v51, v60, 0
	v_fmac_f32_e32 v45, v62, v61
	s_waitcnt lgkmcnt(0)
	v_fmac_f32_e32 v45, v58, v56
	v_fmac_f32_e32 v45, v59, v57
	v_add_f32_e32 v56, 0x358637bd, v45
	v_div_scale_f32 v57, s[4:5], v56, v56, 1.0
	v_rcp_f32_e32 v60, v57
	s_barrier
	v_fma_f32 v61, -v57, v60, 1.0
	v_fmac_f32_e32 v60, v61, v60
	v_div_scale_f32 v61, vcc, 1.0, v56, 1.0
	v_mul_f32_e32 v63, v61, v60
	v_fma_f32 v67, -v57, v63, v61
	v_fmac_f32_e32 v63, v67, v60
	v_fma_f32 v57, -v57, v63, v61
	v_div_fmas_f32 v57, v57, v60, v63
	v_cmp_eq_u32_e32 vcc, 1, v66
	v_div_fixup_f32 v56, v57, v56, 1.0
	s_nop 0
	v_cndmask_b32_e32 v51, v51, v62, vcc
	v_cmp_eq_u32_e32 vcc, 2, v66
	s_nop 1
	v_cndmask_b32_e32 v51, v51, v58, vcc
	v_cmp_eq_u32_e32 vcc, 3, v66
	s_nop 1
	v_cndmask_b32_e32 v51, v51, v59, vcc
	v_mul_f32_e32 v58, v51, v56
	v_pk_mul_f32 v[52:53], v[58:59], v[52:53] op_sel_hi:[0,1]
	v_pk_mul_f32 v[48:49], v[58:59], v[48:49] op_sel_hi:[0,1]
	v_cvt_f16_f32_e32 v48, v48
	v_cvt_f16_f32_e32 v49, v49
	;; [unrolled: 1-line block ×4, first 2 shown]
	v_pk_mul_f32 v[46:47], v[58:59], v[46:47] op_sel_hi:[0,1]
	v_pk_mul_f32 v[42:43], v[58:59], v[42:43] op_sel_hi:[0,1]
	v_cvt_f16_f32_e32 v42, v42
	v_cvt_f16_f32_e32 v43, v43
	;; [unrolled: 1-line block ×4, first 2 shown]
	v_pack_b32_f16 v48, v48, v49
	v_pack_b32_f16 v49, v51, v52
	v_lshlrev_b32_e32 v51, 3, v1
	v_lshlrev_b32_e32 v52, 11, v66
	v_or3_b32 v56, v52, v68, v51
	v_pack_b32_f16 v42, v42, v43
	v_pack_b32_f16 v43, v46, v47
	v_pk_mul_f32 v[40:41], v[58:59], v[40:41] op_sel_hi:[0,1]
	v_pk_mul_f32 v[38:39], v[58:59], v[38:39] op_sel_hi:[0,1]
	;; [unrolled: 1-line block ×4, first 2 shown]
	ds_write2st64_b64 v56, v[48:49], v[42:43] offset1:1
	v_cvt_f16_f32_e32 v38, v38
	v_cvt_f16_f32_e32 v39, v39
	;; [unrolled: 1-line block ×8, first 2 shown]
	v_pack_b32_f16 v34, v38, v39
	v_pack_b32_f16 v35, v40, v41
	;; [unrolled: 1-line block ×4, first 2 shown]
	v_cmp_gt_u32_e32 vcc, 16, v0
	ds_write2st64_b64 v56, v[34:35], v[36:37] offset0:2 offset1:3
	s_and_saveexec_b64 s[4:5], vcc
	s_cbranch_execz .LBB1063_15
; %bb.14:
	v_mov_b32_e32 v51, 0
	v_mov_b32_e32 v34, s7
	s_mul_i32 s3, s3, s7
	v_mad_u64_u32 v[34:35], s[12:13], s2, v34, v[50:51]
	v_mov_b32_e32 v50, s33
	s_load_dwordx4 s[8:11], s[0:1], 0x58
	v_add_u32_e32 v37, s3, v35
	v_mad_u64_u32 v[34:35], s[12:13], v34, s6, v[50:51]
	v_mov_b32_e32 v36, v35
	v_mad_u64_u32 v[36:37], s[12:13], v37, s6, v[36:37]
	v_mov_b32_e32 v35, v36
	v_lshlrev_b64 v[34:35], 2, v[34:35]
	s_waitcnt lgkmcnt(0)
	v_lshl_add_u64 v[36:37], s[10:11], 0, v[34:35]
	v_lshl_add_u64 v[34:35], s[8:9], 0, v[34:35]
	global_store_dword v[36:37], v44, off
	global_store_dword v[34:35], v45, off
.LBB1063_15:
	s_or_b64 exec, exec, s[4:5]
	s_waitcnt vmcnt(7)
	v_cvt_pk_f32_fp8_e32 v[34:35], v18
	v_cvt_pk_f32_fp8_sdwa v[36:37], v18 src0_sel:WORD_1
	s_waitcnt lgkmcnt(0)
	s_barrier
	v_cvt_pk_f32_fp8_e32 v[38:39], v19
	v_cvt_pkrtz_f16_f32 v18, v34, v35
	v_cvt_pk_f32_fp8_sdwa v[40:41], v19 src0_sel:WORD_1
	v_cvt_pkrtz_f16_f32 v19, v36, v37
	ds_read_b128 v[34:37], v55
	v_cvt_pkrtz_f16_f32 v46, v38, v39
	v_cvt_pkrtz_f16_f32 v47, v40, v41
	ds_read_b128 v[38:41], v55 offset:16
	v_cvt_pk_f32_fp8_e32 v[48:49], v20
	v_cvt_pk_f32_fp8_sdwa v[50:51], v20 src0_sel:WORD_1
	s_waitcnt lgkmcnt(1)
	v_mfma_f32_16x16x16_f16 v[42:45], v[18:19], v[34:35], 0
	s_waitcnt vmcnt(6)
	v_cvt_pk_f32_fp8_e32 v[52:53], v4
	v_cvt_pkrtz_f16_f32 v18, v48, v49
	v_cvt_pkrtz_f16_f32 v19, v50, v51
	v_cvt_pk_f32_fp8_e32 v[48:49], v21
	v_mfma_f32_16x16x16_f16 v[42:45], v[46:47], v[36:37], v[42:45]
	v_cvt_pk_f32_fp8_sdwa v[46:47], v21 src0_sel:WORD_1
	v_cvt_pk_f32_fp8_sdwa v[58:59], v4 src0_sel:WORD_1
	v_cvt_pkrtz_f16_f32 v48, v48, v49
	s_waitcnt lgkmcnt(0)
	v_mfma_f32_16x16x16_f16 v[18:21], v[18:19], v[38:39], v[42:45]
	v_cvt_pkrtz_f16_f32 v49, v46, v47
	s_waitcnt vmcnt(5)
	v_cvt_pk_f32_fp8_e32 v[60:61], v32
	v_cvt_pk_f32_fp8_sdwa v[62:63], v32 src0_sel:WORD_1
	v_cvt_pk_f32_fp8_e32 v[42:43], v2
	v_mfma_f32_16x16x16_f16 v[46:49], v[48:49], v[40:41], v[18:21]
	s_waitcnt vmcnt(4)
	v_cvt_pk_f32_fp8_e32 v[66:67], v16
	v_cvt_pk_f32_fp8_sdwa v[68:69], v16 src0_sel:WORD_1
	v_cvt_pk_f32_fp8_sdwa v[18:19], v2 src0_sel:WORD_1
	v_cvt_pk_f32_fp8_e32 v[20:21], v3
	v_cvt_pkrtz_f16_f32 v2, v42, v43
	v_cvt_pk_f32_fp8_sdwa v[42:43], v3 src0_sel:WORD_1
	v_cvt_pkrtz_f16_f32 v3, v18, v19
	v_cvt_pkrtz_f16_f32 v50, v20, v21
	ds_read_b128 v[18:21], v55 offset:2048
	v_cvt_pkrtz_f16_f32 v51, v42, v43
	ds_read_b128 v[42:45], v55 offset:2064
	s_waitcnt lgkmcnt(1)
	v_mfma_f32_16x16x16_f16 v[46:49], v[2:3], v[18:19], v[46:49]
	v_cvt_pkrtz_f16_f32 v2, v52, v53
	v_cvt_pkrtz_f16_f32 v3, v58, v59
	v_cvt_pk_f32_fp8_e32 v[52:53], v5
	v_mfma_f32_16x16x16_f16 v[46:49], v[50:51], v[20:21], v[46:49]
	v_cvt_pk_f32_fp8_sdwa v[50:51], v5 src0_sel:WORD_1
	s_load_dword s4, s[38:39], 0x0
	v_cvt_pkrtz_f16_f32 v52, v52, v53
	s_waitcnt lgkmcnt(0)
	v_mfma_f32_16x16x16_f16 v[2:5], v[2:3], v[42:43], v[46:49]
	v_cvt_pkrtz_f16_f32 v53, v50, v51
	s_mov_b32 s3, 0
	v_cmp_gt_u32_e32 vcc, 64, v0
	v_cvt_pk_f32_fp8_e32 v[46:47], v30
	v_mfma_f32_16x16x16_f16 v[50:53], v[52:53], v[44:45], v[2:5]
	s_nop 2
	v_cvt_pk_f32_fp8_sdwa v[2:3], v30 src0_sel:WORD_1
	v_cvt_pk_f32_fp8_e32 v[4:5], v31
	v_cvt_pkrtz_f16_f32 v30, v46, v47
	v_cvt_pk_f32_fp8_sdwa v[46:47], v31 src0_sel:WORD_1
	v_cvt_pkrtz_f16_f32 v31, v2, v3
	v_cvt_pkrtz_f16_f32 v58, v4, v5
	ds_read_b128 v[2:5], v55 offset:4096
	v_cvt_pkrtz_f16_f32 v59, v46, v47
	ds_read_b128 v[46:49], v55 offset:4112
	s_waitcnt lgkmcnt(1)
	v_mfma_f32_16x16x16_f16 v[50:53], v[30:31], v[2:3], v[50:53]
	v_cvt_pkrtz_f16_f32 v30, v60, v61
	v_cvt_pkrtz_f16_f32 v31, v62, v63
	v_cvt_pk_f32_fp8_e32 v[60:61], v33
	v_mfma_f32_16x16x16_f16 v[50:53], v[58:59], v[4:5], v[50:53]
	v_cvt_pk_f32_fp8_sdwa v[58:59], v33 src0_sel:WORD_1
	v_cvt_pkrtz_f16_f32 v60, v60, v61
	s_waitcnt lgkmcnt(0)
	v_mfma_f32_16x16x16_f16 v[30:33], v[30:31], v[46:47], v[50:53]
	v_cvt_pkrtz_f16_f32 v61, v58, v59
	s_nop 1
	v_cvt_pk_f32_fp8_e32 v[50:51], v14
	v_mfma_f32_16x16x16_f16 v[58:61], v[60:61], v[48:49], v[30:33]
	s_nop 2
	v_cvt_pk_f32_fp8_sdwa v[30:31], v14 src0_sel:WORD_1
	v_cvt_pk_f32_fp8_e32 v[32:33], v15
	v_cvt_pkrtz_f16_f32 v14, v50, v51
	v_cvt_pk_f32_fp8_sdwa v[50:51], v15 src0_sel:WORD_1
	v_cvt_pkrtz_f16_f32 v15, v30, v31
	v_cvt_pkrtz_f16_f32 v62, v32, v33
	ds_read_b128 v[30:33], v55 offset:6144
	v_cvt_pkrtz_f16_f32 v63, v50, v51
	ds_read_b128 v[50:53], v55 offset:6160
	s_waitcnt lgkmcnt(1)
	v_mfma_f32_16x16x16_f16 v[58:61], v[14:15], v[30:31], v[58:61]
	v_cvt_pkrtz_f16_f32 v14, v66, v67
	v_cvt_pkrtz_f16_f32 v15, v68, v69
	v_cvt_pk_f32_fp8_e32 v[66:67], v17
	v_mfma_f32_16x16x16_f16 v[58:61], v[62:63], v[32:33], v[58:61]
	v_cvt_pk_f32_fp8_sdwa v[62:63], v17 src0_sel:WORD_1
	s_waitcnt vmcnt(3)
	v_cvt_pk_f32_fp8_sdwa v[68:69], v28 src0_sel:WORD_1
	v_cvt_pkrtz_f16_f32 v66, v66, v67
	s_waitcnt lgkmcnt(0)
	v_mfma_f32_16x16x16_f16 v[14:17], v[14:15], v[50:51], v[58:61]
	v_cvt_pkrtz_f16_f32 v67, v62, v63
	v_cvt_pk_f32_fp8_e32 v[62:63], v27
	s_nop 0
	v_cvt_pk_f32_fp8_e32 v[58:59], v26
	v_cvt_pk_f32_fp8_sdwa v[60:61], v26 src0_sel:WORD_1
	v_cvt_pk_f32_fp8_sdwa v[26:27], v27 src0_sel:WORD_1
	v_mfma_f32_16x16x16_f16 v[14:17], v[66:67], v[52:53], v[14:17]
	v_cvt_pkrtz_f16_f32 v58, v58, v59
	v_cvt_pkrtz_f16_f32 v59, v60, v61
	;; [unrolled: 1-line block ×3, first 2 shown]
	v_cvt_pk_f32_fp8_e32 v[66:67], v28
	v_cvt_pkrtz_f16_f32 v63, v26, v27
	v_mfma_f32_16x16x16_f16 v[58:61], v[58:59], v[34:35], 0
	v_cvt_pkrtz_f16_f32 v26, v66, v67
	v_cvt_pkrtz_f16_f32 v27, v68, v69
	v_cvt_pk_f32_fp8_e32 v[66:67], v29
	v_mfma_f32_16x16x16_f16 v[34:37], v[62:63], v[36:37], v[58:61]
	v_pk_mul_f32 v[14:15], v[14:15], s[4:5] op_sel_hi:[1,0]
	s_barrier
	v_cvt_f16_f32_e32 v14, v14
	v_cvt_pk_f32_fp8_sdwa v[58:59], v29 src0_sel:WORD_1
	v_cvt_pkrtz_f16_f32 v60, v66, v67
	v_mfma_f32_16x16x16_f16 v[26:29], v[26:27], v[38:39], v[34:37]
	s_waitcnt vmcnt(2)
	v_cvt_pk_f32_fp8_e32 v[38:39], v11
	v_cvt_pkrtz_f16_f32 v61, v58, v59
	v_cvt_pk_f32_fp8_e32 v[34:35], v10
	v_cvt_pk_f32_fp8_sdwa v[36:37], v10 src0_sel:WORD_1
	v_cvt_pk_f32_fp8_sdwa v[10:11], v11 src0_sel:WORD_1
	v_mfma_f32_16x16x16_f16 v[26:29], v[60:61], v[40:41], v[26:29]
	v_cvt_pkrtz_f16_f32 v34, v34, v35
	v_cvt_pkrtz_f16_f32 v35, v36, v37
	;; [unrolled: 1-line block ×3, first 2 shown]
	v_cvt_pk_f32_fp8_e32 v[38:39], v12
	v_cvt_pk_f32_fp8_sdwa v[40:41], v12 src0_sel:WORD_1
	v_cvt_pkrtz_f16_f32 v37, v10, v11
	v_mfma_f32_16x16x16_f16 v[26:29], v[34:35], v[18:19], v[26:29]
	v_cvt_pkrtz_f16_f32 v18, v38, v39
	v_cvt_pkrtz_f16_f32 v19, v40, v41
	v_cvt_pk_f32_fp8_e32 v[34:35], v13
	v_cvt_pk_f32_fp8_sdwa v[38:39], v13 src0_sel:WORD_1
	v_mfma_f32_16x16x16_f16 v[10:13], v[36:37], v[20:21], v[26:29]
	v_cvt_pkrtz_f16_f32 v20, v34, v35
	v_cvt_pkrtz_f16_f32 v21, v38, v39
	v_mfma_f32_16x16x16_f16 v[10:13], v[18:19], v[42:43], v[10:13]
	s_waitcnt vmcnt(1)
	v_cvt_pk_f32_fp8_e32 v[18:19], v22
	v_cvt_pk_f32_fp8_sdwa v[26:27], v22 src0_sel:WORD_1
	v_cvt_pk_f32_fp8_sdwa v[28:29], v24 src0_sel:WORD_1
	v_mfma_f32_16x16x16_f16 v[10:13], v[20:21], v[44:45], v[10:13]
	v_cvt_pk_f32_fp8_e32 v[20:21], v23
	v_cvt_pkrtz_f16_f32 v18, v18, v19
	v_cvt_pkrtz_f16_f32 v19, v26, v27
	v_cvt_pk_f32_fp8_sdwa v[22:23], v23 src0_sel:WORD_1
	v_cvt_pkrtz_f16_f32 v20, v20, v21
	v_cvt_pk_f32_fp8_e32 v[26:27], v24
	v_mfma_f32_16x16x16_f16 v[10:13], v[18:19], v[2:3], v[10:13]
	v_cvt_pkrtz_f16_f32 v21, v22, v23
	v_cvt_pkrtz_f16_f32 v18, v26, v27
	;; [unrolled: 1-line block ×3, first 2 shown]
	v_cvt_pk_f32_fp8_e32 v[22:23], v25
	v_cvt_pk_f32_fp8_sdwa v[24:25], v25 src0_sel:WORD_1
	v_mfma_f32_16x16x16_f16 v[2:5], v[20:21], v[4:5], v[10:13]
	s_waitcnt vmcnt(0)
	v_cvt_pk_f32_fp8_sdwa v[20:21], v8 src0_sel:WORD_1
	s_nop 0
	v_cvt_pkrtz_f16_f32 v12, v22, v23
	v_cvt_pkrtz_f16_f32 v13, v24, v25
	v_pk_mul_f32 v[10:11], v[16:17], s[4:5] op_sel_hi:[1,0]
	v_mfma_f32_16x16x16_f16 v[2:5], v[18:19], v[46:47], v[2:5]
	v_cvt_pk_f32_fp8_e32 v[16:17], v6
	v_cvt_pk_f32_fp8_sdwa v[18:19], v6 src0_sel:WORD_1
	v_cvt_pkrtz_f16_f32 v16, v16, v17
	v_mfma_f32_16x16x16_f16 v[2:5], v[12:13], v[48:49], v[2:5]
	v_cvt_pk_f32_fp8_e32 v[12:13], v7
	v_cvt_pkrtz_f16_f32 v17, v18, v19
	v_cvt_pk_f32_fp8_sdwa v[6:7], v7 src0_sel:WORD_1
	v_cvt_pk_f32_fp8_e32 v[18:19], v8
	v_cvt_pkrtz_f16_f32 v12, v12, v13
	v_mfma_f32_16x16x16_f16 v[2:5], v[16:17], v[30:31], v[2:5]
	v_cvt_pkrtz_f16_f32 v13, v6, v7
	v_cvt_pkrtz_f16_f32 v6, v18, v19
	;; [unrolled: 1-line block ×3, first 2 shown]
	v_cvt_pk_f32_fp8_e32 v[16:17], v9
	v_cvt_pk_f32_fp8_sdwa v[8:9], v9 src0_sel:WORD_1
	v_mfma_f32_16x16x16_f16 v[2:5], v[12:13], v[32:33], v[2:5]
	v_cvt_pkrtz_f16_f32 v12, v16, v17
	v_cvt_pkrtz_f16_f32 v13, v8, v9
	v_mfma_f32_16x16x16_f16 v[2:5], v[6:7], v[50:51], v[2:5]
	v_cvt_f16_f32_e32 v6, v15
	v_cvt_f16_f32_e32 v7, v10
	;; [unrolled: 1-line block ×3, first 2 shown]
	v_mfma_f32_16x16x16_f16 v[2:5], v[12:13], v[52:53], v[2:5]
	s_nop 6
	v_pk_mul_f32 v[4:5], v[4:5], s[4:5] op_sel_hi:[1,0]
	v_pk_mul_f32 v[2:3], v[2:3], s[4:5] op_sel_hi:[1,0]
	v_cvt_f16_f32_e32 v11, v4
	v_cvt_f16_f32_e32 v9, v2
	;; [unrolled: 1-line block ×4, first 2 shown]
	v_pack_b32_f16 v2, v14, v6
	v_pack_b32_f16 v3, v7, v8
	;; [unrolled: 1-line block ×4, first 2 shown]
	ds_write2st64_b64 v56, v[2:3], v[4:5] offset1:1
	s_waitcnt lgkmcnt(0)
	s_barrier
	s_and_saveexec_b64 s[4:5], vcc
	s_cbranch_execz .LBB1063_17
; %bb.16:
	s_load_dwordx2 s[0:1], s[0:1], 0x68
	s_lshl_b32 s6, s6, 7
	s_mul_i32 s2, s7, s2
	s_mul_hi_u32 s5, s2, s6
	s_mul_i32 s4, s2, s6
	s_lshl_b64 s[4:5], s[4:5], 1
	s_waitcnt lgkmcnt(0)
	s_add_u32 s4, s0, s4
	v_lshlrev_b32_e32 v4, 6, v64
	s_addc_u32 s5, s1, s5
	s_lshl_b32 s2, s33, 7
	v_lshl_or_b32 v0, v0, 10, v4
	s_lshl_b64 s[0:1], s[2:3], 1
	v_lshlrev_b32_e32 v2, 5, v1
	v_and_b32_e32 v3, 16, v65
	v_and_b32_e32 v0, 0x1a00, v0
	s_add_u32 s0, s4, s0
	v_or3_b32 v0, v0, v2, v3
	s_addc_u32 s1, s5, s1
	v_mov_b32_e32 v55, 0
	v_or_b32_e32 v20, s44, v1
	ds_read_b128 v[2:5], v0
	ds_read_b128 v[6:9], v0 offset:128
	ds_read_b128 v[10:13], v0 offset:256
	;; [unrolled: 1-line block ×3, first 2 shown]
	v_lshl_add_u64 v[18:19], s[0:1], 0, v[54:55]
	v_mad_u64_u32 v[0:1], s[0:1], v20, s6, 0
	v_lshl_add_u64 v[0:1], v[0:1], 1, v[18:19]
	s_waitcnt lgkmcnt(3)
	global_store_dwordx4 v[0:1], v[2:5], off
	v_or_b32_e32 v0, 4, v20
	v_mad_u64_u32 v[0:1], s[0:1], v0, s6, 0
	v_lshl_add_u64 v[0:1], v[0:1], 1, v[18:19]
	s_waitcnt lgkmcnt(2)
	global_store_dwordx4 v[0:1], v[6:9], off
	v_or_b32_e32 v0, 8, v20
	;; [unrolled: 5-line block ×3, first 2 shown]
	v_mad_u64_u32 v[0:1], s[0:1], v0, s6, 0
	v_lshl_add_u64 v[0:1], v[0:1], 1, v[18:19]
	s_waitcnt lgkmcnt(0)
	global_store_dwordx4 v[0:1], v[14:17], off
.LBB1063_17:
	s_endpgm
	.section	.rodata,"a",@progbits
	.p2align	6, 0x0
	.amdhsa_kernel _Z39paged_attention_ll4mi_QKV_mfma16_kernelIDF16_hLN4vllm18Fp8KVCacheDataTypeE1EDF16_Li32ELi128ELi256ELb1ELi16EEvPKT_PKT0_S7_ifPKiS9_S9_iPKfiiiPfSC_PS2_PT2_iSB_SB_
		.amdhsa_group_segment_fixed_size 8192
		.amdhsa_private_segment_fixed_size 0
		.amdhsa_kernarg_size 400
		.amdhsa_user_sgpr_count 2
		.amdhsa_user_sgpr_dispatch_ptr 0
		.amdhsa_user_sgpr_queue_ptr 0
		.amdhsa_user_sgpr_kernarg_segment_ptr 1
		.amdhsa_user_sgpr_dispatch_id 0
		.amdhsa_user_sgpr_kernarg_preload_length 0
		.amdhsa_user_sgpr_kernarg_preload_offset 0
		.amdhsa_user_sgpr_private_segment_size 0
		.amdhsa_uses_dynamic_stack 0
		.amdhsa_enable_private_segment 0
		.amdhsa_system_sgpr_workgroup_id_x 1
		.amdhsa_system_sgpr_workgroup_id_y 1
		.amdhsa_system_sgpr_workgroup_id_z 1
		.amdhsa_system_sgpr_workgroup_info 0
		.amdhsa_system_vgpr_workitem_id 0
		.amdhsa_next_free_vgpr 84
		.amdhsa_next_free_sgpr 45
		.amdhsa_accum_offset 84
		.amdhsa_reserve_vcc 1
		.amdhsa_float_round_mode_32 0
		.amdhsa_float_round_mode_16_64 0
		.amdhsa_float_denorm_mode_32 3
		.amdhsa_float_denorm_mode_16_64 3
		.amdhsa_dx10_clamp 1
		.amdhsa_ieee_mode 1
		.amdhsa_fp16_overflow 0
		.amdhsa_tg_split 0
		.amdhsa_exception_fp_ieee_invalid_op 0
		.amdhsa_exception_fp_denorm_src 0
		.amdhsa_exception_fp_ieee_div_zero 0
		.amdhsa_exception_fp_ieee_overflow 0
		.amdhsa_exception_fp_ieee_underflow 0
		.amdhsa_exception_fp_ieee_inexact 0
		.amdhsa_exception_int_div_zero 0
	.end_amdhsa_kernel
	.section	.text._Z39paged_attention_ll4mi_QKV_mfma16_kernelIDF16_hLN4vllm18Fp8KVCacheDataTypeE1EDF16_Li32ELi128ELi256ELb1ELi16EEvPKT_PKT0_S7_ifPKiS9_S9_iPKfiiiPfSC_PS2_PT2_iSB_SB_,"axG",@progbits,_Z39paged_attention_ll4mi_QKV_mfma16_kernelIDF16_hLN4vllm18Fp8KVCacheDataTypeE1EDF16_Li32ELi128ELi256ELb1ELi16EEvPKT_PKT0_S7_ifPKiS9_S9_iPKfiiiPfSC_PS2_PT2_iSB_SB_,comdat
.Lfunc_end1063:
	.size	_Z39paged_attention_ll4mi_QKV_mfma16_kernelIDF16_hLN4vllm18Fp8KVCacheDataTypeE1EDF16_Li32ELi128ELi256ELb1ELi16EEvPKT_PKT0_S7_ifPKiS9_S9_iPKfiiiPfSC_PS2_PT2_iSB_SB_, .Lfunc_end1063-_Z39paged_attention_ll4mi_QKV_mfma16_kernelIDF16_hLN4vllm18Fp8KVCacheDataTypeE1EDF16_Li32ELi128ELi256ELb1ELi16EEvPKT_PKT0_S7_ifPKiS9_S9_iPKfiiiPfSC_PS2_PT2_iSB_SB_
                                        ; -- End function
	.section	.AMDGPU.csdata,"",@progbits
; Kernel info:
; codeLenInByte = 6336
; NumSgprs: 51
; NumVgprs: 84
; NumAgprs: 0
; TotalNumVgprs: 84
; ScratchSize: 0
; MemoryBound: 0
; FloatMode: 240
; IeeeMode: 1
; LDSByteSize: 8192 bytes/workgroup (compile time only)
; SGPRBlocks: 6
; VGPRBlocks: 10
; NumSGPRsForWavesPerEU: 51
; NumVGPRsForWavesPerEU: 84
; AccumOffset: 84
; Occupancy: 5
; WaveLimiterHint : 1
; COMPUTE_PGM_RSRC2:SCRATCH_EN: 0
; COMPUTE_PGM_RSRC2:USER_SGPR: 2
; COMPUTE_PGM_RSRC2:TRAP_HANDLER: 0
; COMPUTE_PGM_RSRC2:TGID_X_EN: 1
; COMPUTE_PGM_RSRC2:TGID_Y_EN: 1
; COMPUTE_PGM_RSRC2:TGID_Z_EN: 1
; COMPUTE_PGM_RSRC2:TIDIG_COMP_CNT: 0
; COMPUTE_PGM_RSRC3_GFX90A:ACCUM_OFFSET: 20
; COMPUTE_PGM_RSRC3_GFX90A:TG_SPLIT: 0
	.section	.text._Z39paged_attention_ll4mi_QKV_mfma16_kernelIDF16_hLN4vllm18Fp8KVCacheDataTypeE1EDF16_Li32ELi128ELi256ELb1ELi1EEvPKT_PKT0_S7_ifPKiS9_S9_iPKfiiiPfSC_PS2_PT2_iSB_SB_,"axG",@progbits,_Z39paged_attention_ll4mi_QKV_mfma16_kernelIDF16_hLN4vllm18Fp8KVCacheDataTypeE1EDF16_Li32ELi128ELi256ELb1ELi1EEvPKT_PKT0_S7_ifPKiS9_S9_iPKfiiiPfSC_PS2_PT2_iSB_SB_,comdat
	.protected	_Z39paged_attention_ll4mi_QKV_mfma16_kernelIDF16_hLN4vllm18Fp8KVCacheDataTypeE1EDF16_Li32ELi128ELi256ELb1ELi1EEvPKT_PKT0_S7_ifPKiS9_S9_iPKfiiiPfSC_PS2_PT2_iSB_SB_ ; -- Begin function _Z39paged_attention_ll4mi_QKV_mfma16_kernelIDF16_hLN4vllm18Fp8KVCacheDataTypeE1EDF16_Li32ELi128ELi256ELb1ELi1EEvPKT_PKT0_S7_ifPKiS9_S9_iPKfiiiPfSC_PS2_PT2_iSB_SB_
	.globl	_Z39paged_attention_ll4mi_QKV_mfma16_kernelIDF16_hLN4vllm18Fp8KVCacheDataTypeE1EDF16_Li32ELi128ELi256ELb1ELi1EEvPKT_PKT0_S7_ifPKiS9_S9_iPKfiiiPfSC_PS2_PT2_iSB_SB_
	.p2align	8
	.type	_Z39paged_attention_ll4mi_QKV_mfma16_kernelIDF16_hLN4vllm18Fp8KVCacheDataTypeE1EDF16_Li32ELi128ELi256ELb1ELi1EEvPKT_PKT0_S7_ifPKiS9_S9_iPKfiiiPfSC_PS2_PT2_iSB_SB_,@function
_Z39paged_attention_ll4mi_QKV_mfma16_kernelIDF16_hLN4vllm18Fp8KVCacheDataTypeE1EDF16_Li32ELi128ELi256ELb1ELi1EEvPKT_PKT0_S7_ifPKiS9_S9_iPKfiiiPfSC_PS2_PT2_iSB_SB_: ; @_Z39paged_attention_ll4mi_QKV_mfma16_kernelIDF16_hLN4vllm18Fp8KVCacheDataTypeE1EDF16_Li32ELi128ELi256ELb1ELi1EEvPKT_PKT0_S7_ifPKiS9_S9_iPKfiiiPfSC_PS2_PT2_iSB_SB_
; %bb.0:
	s_load_dwordx2 s[8:9], s[0:1], 0x30
	s_mov_b32 s33, s3
	s_mov_b64 s[6:7], 0
	s_waitcnt lgkmcnt(0)
	s_cmp_lg_u64 s[8:9], 0
	s_cselect_b64 s[10:11], -1, 0
	s_and_b64 vcc, exec, s[10:11]
	s_cbranch_vccz .LBB1064_7
; %bb.1:
	s_add_i32 s12, s2, 1
	s_mov_b32 s13, 0
	s_lshl_b64 s[14:15], s[12:13], 2
	s_add_u32 s14, s8, s14
	s_mov_b32 s3, s13
	s_addc_u32 s15, s9, s15
	s_lshl_b64 s[12:13], s[2:3], 2
	s_add_u32 s12, s8, s12
	s_addc_u32 s13, s9, s13
	s_load_dword s5, s[14:15], 0x0
	s_load_dword s16, s[12:13], 0x0
	s_waitcnt lgkmcnt(0)
	s_sub_i32 s5, s5, s16
	s_cmp_eq_u32 s5, 1
	s_cselect_b64 s[12:13], -1, 0
	s_andn2_b64 vcc, exec, s[6:7]
	s_cbranch_vccnz .LBB1064_3
.LBB1064_2:
	s_mov_b32 s3, 0
	s_mov_b64 s[12:13], -1
.LBB1064_3:
	s_andn2_b64 vcc, exec, s[12:13]
	s_cbranch_vccnz .LBB1064_19
; %bb.4:
	s_load_dwordx2 s[6:7], s[0:1], 0x28
	s_lshl_b64 s[12:13], s[2:3], 2
	s_waitcnt lgkmcnt(0)
	s_add_u32 s6, s6, s12
	s_addc_u32 s7, s7, s13
	s_load_dword s38, s[6:7], 0x0
	s_lshl_b32 s16, s33, 8
	s_waitcnt lgkmcnt(0)
	s_cmp_ge_i32 s16, s38
	s_cbranch_scc1 .LBB1064_19
; %bb.5:
	s_load_dwordx2 s[6:7], s[0:1], 0x20
	s_load_dword s5, s[0:1], 0x38
	s_add_i32 s14, s38, 31
	s_ashr_i32 s15, s14, 31
	v_and_b32_e32 v1, 0xcf, v0
	s_lshr_b32 s15, s15, 27
	v_add_u32_e32 v1, s16, v1
	s_add_i32 s14, s14, s15
	v_ashrrev_i32_e32 v2, 31, v1
	s_ashr_i32 s17, s14, 5
	v_lshrrev_b32_e32 v4, 27, v2
	s_add_i32 s17, s17, -1
	s_waitcnt lgkmcnt(0)
	s_mul_i32 s14, s2, s5
	s_mov_b32 s15, 0
	v_add_u32_e32 v2, v1, v4
	s_lshl_b64 s[14:15], s[14:15], 2
	v_ashrrev_i32_e32 v2, 5, v2
	v_mov_b32_e32 v5, s17
	v_cmp_gt_i32_e32 vcc, s38, v1
	s_add_u32 s6, s6, s14
	s_addc_u32 s7, s7, s15
	v_cndmask_b32_e32 v2, v5, v2, vcc
	v_ashrrev_i32_e32 v3, 31, v2
	v_lshl_add_u64 v[6:7], v[2:3], 2, s[6:7]
	v_or_b32_e32 v2, 16, v1
	v_add_u32_e32 v3, v2, v4
	v_ashrrev_i32_e32 v3, 5, v3
	v_cmp_gt_i32_e32 vcc, s38, v2
	s_load_dwordx2 s[14:15], s[0:1], 0x8
	s_nop 0
	v_cndmask_b32_e32 v2, v5, v3, vcc
	v_ashrrev_i32_e32 v3, 31, v2
	v_lshl_add_u64 v[8:9], v[2:3], 2, s[6:7]
	v_or_b32_e32 v2, 32, v1
	v_add_u32_e32 v3, v2, v4
	v_ashrrev_i32_e32 v3, 5, v3
	v_cmp_gt_i32_e32 vcc, s38, v2
	v_or_b32_e32 v1, 48, v1
	s_nop 0
	v_cndmask_b32_e32 v2, v5, v3, vcc
	v_ashrrev_i32_e32 v3, 31, v2
	v_lshl_add_u64 v[10:11], v[2:3], 2, s[6:7]
	v_add_u32_e32 v2, v1, v4
	v_ashrrev_i32_e32 v2, 5, v2
	v_cmp_gt_i32_e32 vcc, s38, v1
	s_nop 1
	v_cndmask_b32_e32 v2, v5, v2, vcc
	v_ashrrev_i32_e32 v3, 31, v2
	v_lshl_add_u64 v[12:13], v[2:3], 2, s[6:7]
	global_load_dword v5, v[6:7], off
	global_load_dword v4, v[8:9], off
	;; [unrolled: 1-line block ×4, first 2 shown]
	s_andn2_b64 vcc, exec, s[10:11]
	s_cbranch_vccnz .LBB1064_8
; %bb.6:
	s_add_u32 s8, s8, s12
	s_addc_u32 s9, s9, s13
	s_load_dword s5, s[8:9], 0x0
	s_branch .LBB1064_9
.LBB1064_7:
	s_mov_b64 s[12:13], 0
	s_branch .LBB1064_2
.LBB1064_8:
	s_mov_b32 s5, s2
.LBB1064_9:
	s_load_dwordx2 s[8:9], s[0:1], 0x10
	s_load_dwordx4 s[44:47], s[0:1], 0x48
	v_lshrrev_b32_e32 v59, 6, v0
	v_bfe_u32 v56, v0, 4, 2
	v_and_b32_e32 v57, 15, v0
	v_lshl_or_b32 v1, v59, 2, v56
	v_lshlrev_b32_e32 v6, 3, v57
	v_cmp_eq_u32_e32 vcc, 0, v1
	v_lshlrev_b32_e32 v1, 1, v6
	v_lshlrev_b32_e32 v58, 4, v0
	s_and_saveexec_b64 s[10:11], vcc
	s_cbranch_execz .LBB1064_11
; %bb.10:
	s_load_dwordx2 s[12:13], s[0:1], 0x0
	s_waitcnt lgkmcnt(0)
	s_ashr_i32 s18, s44, 31
	s_mul_hi_u32 s19, s5, s44
	s_mul_i32 s18, s5, s18
	s_add_i32 s19, s19, s18
	s_mul_i32 s18, s5, s44
	s_lshl_b64 s[18:19], s[18:19], 1
	s_add_u32 s5, s12, s18
	s_addc_u32 s18, s13, s19
	s_lshl_b32 s12, s4, 7
	s_ashr_i32 s13, s12, 31
	s_lshl_b64 s[12:13], s[12:13], 1
	s_add_u32 s12, s5, s12
	s_addc_u32 s13, s18, s13
	global_load_dwordx4 v[6:9], v1, s[12:13]
	v_lshlrev_b32_e32 v10, 8, v0
	v_lshlrev_b32_e32 v11, 8, v57
	v_and_b32_e32 v10, 0x600, v10
	v_and_b32_e32 v11, 0x800, v11
	;; [unrolled: 1-line block ×3, first 2 shown]
	v_or3_b32 v10, v11, v10, v12
	s_waitcnt vmcnt(0)
	ds_write_b128 v10, v[6:9]
.LBB1064_11:
	s_or_b64 exec, exec, s[10:11]
	s_waitcnt lgkmcnt(0)
	s_mul_i32 s12, s4, s46
	s_add_u32 s10, s14, s12
	s_addc_u32 s11, s15, 0
	v_mov_b32_e32 v51, 0
	v_mov_b64_e32 v[10:11], s[10:11]
	v_lshlrev_b32_e32 v8, 4, v57
	v_and_b32_e32 v52, 48, v0
	s_waitcnt vmcnt(3)
	v_mad_i64_i32 v[6:7], s[10:11], v5, s45, v[10:11]
	v_mov_b32_e32 v9, v51
	s_waitcnt vmcnt(2)
	v_mad_i64_i32 v[4:5], s[10:11], v4, s45, v[10:11]
	v_or_b32_e32 v12, 0x100, v8
	v_mov_b32_e32 v13, v51
	v_lshlrev_b32_e32 v50, 5, v52
	v_lshl_add_u64 v[6:7], v[6:7], 0, v[8:9]
	v_lshl_add_u64 v[4:5], v[4:5], 0, v[12:13]
	;; [unrolled: 1-line block ×4, first 2 shown]
	s_barrier
	global_load_dwordx4 v[46:49], v[6:7], off
	global_load_dwordx4 v[42:45], v[6:7], off offset:2048
	global_load_dwordx4 v[38:41], v[4:5], off
	global_load_dwordx4 v[14:17], v[4:5], off offset:2048
	s_waitcnt vmcnt(5)
	v_mad_i64_i32 v[4:5], s[10:11], v3, s45, v[10:11]
	s_waitcnt vmcnt(4)
	v_mad_i64_i32 v[2:3], s[10:11], v2, s45, v[10:11]
	v_lshl_add_u64 v[4:5], v[4:5], 0, v[8:9]
	v_lshl_add_u64 v[2:3], v[2:3], 0, v[12:13]
	;; [unrolled: 1-line block ×4, first 2 shown]
	global_load_dwordx4 v[6:9], v[4:5], off
	global_load_dwordx4 v[34:37], v[4:5], off offset:2048
	global_load_dwordx4 v[10:13], v[2:3], off
	global_load_dwordx4 v[22:25], v[2:3], off offset:2048
	v_lshlrev_b32_e32 v18, 9, v56
	ds_read_b128 v[30:33], v18
	ds_read_b128 v[2:5], v18 offset:16
	ds_read_b128 v[26:29], v18 offset:2048
	;; [unrolled: 1-line block ×3, first 2 shown]
	v_and_b32_e32 v60, 63, v0
	v_cmp_eq_u32_e32 vcc, 0, v57
	v_mov_b32_e32 v61, 0
	s_and_saveexec_b64 s[10:11], vcc
	s_cbranch_execz .LBB1064_13
; %bb.12:
	s_load_dwordx2 s[14:15], s[0:1], 0x40
	s_ashr_i32 s5, s4, 31
	s_lshl_b64 s[18:19], s[4:5], 2
	s_waitcnt lgkmcnt(0)
	s_add_u32 s14, s14, s18
	s_addc_u32 s15, s15, s19
	s_load_dword s5, s[14:15], 0x0
	s_waitcnt lgkmcnt(0)
	v_mov_b32_e32 v61, s5
.LBB1064_13:
	s_or_b64 exec, exec, s[10:11]
	s_ashr_i32 s10, s16, 31
	v_or_b32_e32 v50, s16, v52
	s_lshr_b32 s10, s10, 27
	v_add_u32_e32 v52, s10, v50
	v_or_b32_e32 v54, 64, v50
	v_ashrrev_i32_e32 v52, 5, v52
	v_mov_b32_e32 v66, s17
	v_cmp_gt_i32_e32 vcc, s38, v50
	v_add_u32_e32 v55, s10, v54
	v_or_b32_e32 v62, 0x80, v50
	v_cndmask_b32_e32 v52, v66, v52, vcc
	v_ashrrev_i32_e32 v55, 5, v55
	v_cmp_gt_i32_e32 vcc, s38, v54
	v_add_u32_e32 v63, s10, v62
	v_ashrrev_i32_e32 v63, 5, v63
	v_cndmask_b32_e32 v54, v66, v55, vcc
	v_cmp_gt_i32_e32 vcc, s38, v62
	s_waitcnt vmcnt(7)
	v_cvt_pk_f32_fp8_sdwa v[64:65], v46 src0_sel:WORD_1
	v_or_b32_e32 v50, 0xc0, v50
	v_cndmask_b32_e32 v62, v66, v63, vcc
	v_ashrrev_i32_e32 v63, 31, v62
	v_lshl_add_u64 v[72:73], v[62:63], 2, s[6:7]
	v_cvt_pk_f32_fp8_e32 v[62:63], v46
	v_add_u32_e32 v46, s10, v50
	v_ashrrev_i32_e32 v67, 5, v46
	v_cmp_gt_i32_e32 vcc, s38, v50
	v_cvt_pkrtz_f16_f32 v62, v62, v63
	v_cvt_pkrtz_f16_f32 v63, v64, v65
	v_cvt_pk_f32_fp8_e32 v[64:65], v47
	v_cvt_pk_f32_fp8_sdwa v[46:47], v47 src0_sel:WORD_1
	v_ashrrev_i32_e32 v53, 31, v52
	v_cndmask_b32_e32 v66, v66, v67, vcc
	v_cvt_pkrtz_f16_f32 v68, v64, v65
	v_cvt_pkrtz_f16_f32 v69, v46, v47
	s_waitcnt lgkmcnt(3)
	v_mfma_f32_16x16x16_f16 v[62:65], v[62:63], v[30:31], 0
	v_lshl_add_u64 v[52:53], v[52:53], 2, s[6:7]
	v_ashrrev_i32_e32 v55, 31, v54
	v_ashrrev_i32_e32 v67, 31, v66
	s_load_dword s5, s[0:1], 0x1c
	s_load_dwordx4 s[40:43], s[0:1], 0x80
	v_lshl_add_u64 v[54:55], v[54:55], 2, s[6:7]
	v_lshl_add_u64 v[76:77], v[66:67], 2, s[6:7]
	v_mfma_f32_16x16x16_f16 v[68:71], v[68:69], v[32:33], v[62:65]
	s_nop 2
	global_load_dword v65, v[52:53], off
	global_load_dword v66, v[54:55], off
	;; [unrolled: 1-line block ×4, first 2 shown]
	v_cvt_pk_f32_fp8_e32 v[46:47], v48
	v_cvt_pk_f32_fp8_sdwa v[74:75], v48 src0_sel:WORD_1
	s_waitcnt vmcnt(10)
	v_cvt_pk_f32_fp8_e32 v[54:55], v42
	s_add_u32 s6, s8, s12
	v_cvt_pkrtz_f16_f32 v46, v46, v47
	v_cvt_pkrtz_f16_f32 v47, v74, v75
	v_cvt_pk_f32_fp8_e32 v[74:75], v49
	v_cvt_pk_f32_fp8_sdwa v[48:49], v49 src0_sel:WORD_1
	v_cvt_pkrtz_f16_f32 v54, v54, v55
	s_addc_u32 s7, s9, 0
	v_cvt_pkrtz_f16_f32 v52, v74, v75
	v_cvt_pkrtz_f16_f32 v53, v48, v49
	s_waitcnt lgkmcnt(0)
	v_mfma_f32_16x16x16_f16 v[46:49], v[46:47], v[2:3], v[68:71]
	v_and_b32_e32 v50, 16, v0
	v_lshl_or_b32 v62, v59, 4, v57
	s_waitcnt vmcnt(7)
	v_cvt_pk_f32_fp8_sdwa v[76:77], v9 src0_sel:WORD_1
	v_cvt_pk_f32_fp8_sdwa v[68:69], v42 src0_sel:WORD_1
	v_mfma_f32_16x16x16_f16 v[46:49], v[52:53], v[4:5], v[46:49]
	v_cvt_pk_f32_fp8_e32 v[52:53], v43
	v_cvt_pk_f32_fp8_sdwa v[42:43], v43 src0_sel:WORD_1
	v_cvt_pkrtz_f16_f32 v55, v68, v69
	v_cvt_pk_f32_fp8_e32 v[68:69], v44
	v_cvt_pkrtz_f16_f32 v52, v52, v53
	v_cvt_pk_f32_fp8_sdwa v[70:71], v44 src0_sel:WORD_1
	v_cvt_pkrtz_f16_f32 v53, v42, v43
	v_mfma_f32_16x16x16_f16 v[46:49], v[54:55], v[26:27], v[46:49]
	v_cvt_pkrtz_f16_f32 v54, v68, v69
	v_cvt_pkrtz_f16_f32 v55, v70, v71
	v_cvt_pk_f32_fp8_e32 v[68:69], v45
	v_cvt_pk_f32_fp8_sdwa v[70:71], v45 src0_sel:WORD_1
	v_mfma_f32_16x16x16_f16 v[42:45], v[52:53], v[28:29], v[46:49]
	v_cvt_pk_f32_fp8_sdwa v[52:53], v38 src0_sel:WORD_1
	s_nop 1
	v_cvt_pkrtz_f16_f32 v46, v68, v69
	v_cvt_pkrtz_f16_f32 v47, v70, v71
	v_mfma_f32_16x16x16_f16 v[42:45], v[54:55], v[18:19], v[42:45]
	v_cvt_pk_f32_fp8_e32 v[48:49], v38
	v_cvt_pk_f32_fp8_e32 v[54:55], v40
	v_cvt_pk_f32_fp8_sdwa v[68:69], v40 src0_sel:WORD_1
	v_mfma_f32_16x16x16_f16 v[42:45], v[46:47], v[20:21], v[42:45]
	v_cvt_pk_f32_fp8_e32 v[46:47], v39
	v_cvt_pkrtz_f16_f32 v48, v48, v49
	v_cvt_pkrtz_f16_f32 v49, v52, v53
	v_cvt_pk_f32_fp8_sdwa v[38:39], v39 src0_sel:WORD_1
	v_cvt_pkrtz_f16_f32 v52, v46, v47
	v_mfma_f32_16x16x16_f16 v[46:49], v[48:49], v[30:31], 0
	v_cvt_pkrtz_f16_f32 v53, v38, v39
	v_cvt_pkrtz_f16_f32 v54, v54, v55
	;; [unrolled: 1-line block ×3, first 2 shown]
	v_cvt_pk_f32_fp8_e32 v[68:69], v41
	v_cvt_pk_f32_fp8_sdwa v[70:71], v41 src0_sel:WORD_1
	v_mfma_f32_16x16x16_f16 v[38:41], v[52:53], v[32:33], v[46:49]
	v_cvt_pk_f32_fp8_e32 v[52:53], v14
	v_cvt_pkrtz_f16_f32 v52, v52, v53
	s_nop 0
	v_cvt_pkrtz_f16_f32 v48, v68, v69
	v_cvt_pkrtz_f16_f32 v49, v70, v71
	v_mfma_f32_16x16x16_f16 v[38:41], v[54:55], v[2:3], v[38:41]
	v_cvt_pk_f32_fp8_sdwa v[54:55], v14 src0_sel:WORD_1
	v_cvt_pk_f32_fp8_sdwa v[68:69], v16 src0_sel:WORD_1
	v_lshl_add_u64 v[46:47], s[6:7], 0, v[50:51]
	v_mfma_f32_16x16x16_f16 v[38:41], v[48:49], v[4:5], v[38:41]
	v_cvt_pk_f32_fp8_e32 v[48:49], v15
	v_cvt_pkrtz_f16_f32 v53, v54, v55
	v_cvt_pk_f32_fp8_sdwa v[14:15], v15 src0_sel:WORD_1
	v_cvt_pk_f32_fp8_e32 v[54:55], v16
	v_cvt_pkrtz_f16_f32 v48, v48, v49
	v_mfma_f32_16x16x16_f16 v[38:41], v[52:53], v[26:27], v[38:41]
	v_cvt_pkrtz_f16_f32 v49, v14, v15
	v_cvt_pkrtz_f16_f32 v52, v54, v55
	;; [unrolled: 1-line block ×3, first 2 shown]
	v_cvt_pk_f32_fp8_e32 v[54:55], v17
	v_cvt_pk_f32_fp8_sdwa v[68:69], v17 src0_sel:WORD_1
	v_mfma_f32_16x16x16_f16 v[14:17], v[48:49], v[28:29], v[38:41]
	v_cvt_pk_f32_fp8_e32 v[48:49], v6
	v_lshlrev_b32_e32 v50, 5, v62
	v_lshl_add_u64 v[72:73], v[46:47], 0, v[50:51]
	v_cvt_pkrtz_f16_f32 v38, v54, v55
	v_cvt_pkrtz_f16_f32 v39, v68, v69
	v_mfma_f32_16x16x16_f16 v[14:17], v[52:53], v[18:19], v[14:17]
	v_cvt_pk_f32_fp8_sdwa v[52:53], v6 src0_sel:WORD_1
	v_cvt_pk_f32_fp8_sdwa v[68:69], v8 src0_sel:WORD_1
	s_waitcnt vmcnt(2)
	v_mad_i64_i32 v[70:71], s[6:7], v66, s45, v[72:73]
	v_mfma_f32_16x16x16_f16 v[38:41], v[38:39], v[20:21], v[14:17]
	v_cvt_pkrtz_f16_f32 v75, v68, v69
	v_cvt_pk_f32_fp8_e32 v[68:69], v9
	v_or_b32_e32 v50, 0x800, v50
	v_cvt_pkrtz_f16_f32 v14, v48, v49
	v_cvt_pkrtz_f16_f32 v15, v52, v53
	v_cvt_pk_f32_fp8_e32 v[16:17], v7
	v_cvt_pk_f32_fp8_sdwa v[6:7], v7 src0_sel:WORD_1
	v_mad_i64_i32 v[48:49], s[6:7], v65, s45, v[72:73]
	v_cvt_pkrtz_f16_f32 v52, v16, v17
	v_cvt_pkrtz_f16_f32 v53, v6, v7
	v_cvt_pk_f32_fp8_e32 v[6:7], v8
	v_mfma_f32_16x16x16_f16 v[14:17], v[14:15], v[30:31], 0
	v_lshl_add_u64 v[46:47], v[46:47], 0, v[50:51]
	v_cvt_pkrtz_f16_f32 v74, v6, v7
	v_mfma_f32_16x16x16_f16 v[52:55], v[52:53], v[32:33], v[14:17]
	s_nop 3
	global_load_dwordx4 v[14:17], v[48:49], off
	global_load_dwordx4 v[6:9], v[70:71], off
	v_cvt_pkrtz_f16_f32 v48, v68, v69
	v_cvt_pkrtz_f16_f32 v49, v76, v77
	v_mfma_f32_16x16x16_f16 v[68:71], v[74:75], v[2:3], v[52:55]
	v_cvt_pk_f32_fp8_e32 v[74:75], v35
	v_cvt_pk_f32_fp8_sdwa v[76:77], v37 src0_sel:WORD_1
	s_waitcnt vmcnt(3)
	v_mad_i64_i32 v[52:53], s[6:7], v63, s45, v[72:73]
	s_waitcnt vmcnt(2)
	v_mad_i64_i32 v[54:55], s[6:7], v64, s45, v[72:73]
	v_mfma_f32_16x16x16_f16 v[68:71], v[48:49], v[4:5], v[68:71]
	v_cvt_pk_f32_fp8_e32 v[48:49], v34
	v_cvt_pk_f32_fp8_sdwa v[72:73], v34 src0_sel:WORD_1
	v_cvt_pk_f32_fp8_sdwa v[34:35], v35 src0_sel:WORD_1
	v_cvt_pkrtz_f16_f32 v51, v76, v77
	v_cvt_pkrtz_f16_f32 v48, v48, v49
	;; [unrolled: 1-line block ×5, first 2 shown]
	v_cvt_pk_f32_fp8_e32 v[34:35], v36
	v_cvt_pk_f32_fp8_sdwa v[74:75], v36 src0_sel:WORD_1
	v_mfma_f32_16x16x16_f16 v[68:71], v[48:49], v[26:27], v[68:71]
	s_load_dword s6, s[40:41], 0x0
	v_cvt_pkrtz_f16_f32 v48, v34, v35
	v_cvt_pkrtz_f16_f32 v49, v74, v75
	v_cvt_pk_f32_fp8_e32 v[74:75], v37
	v_mfma_f32_16x16x16_f16 v[34:37], v[72:73], v[28:29], v[68:71]
	v_cvt_pk_f32_fp8_sdwa v[72:73], v12 src0_sel:WORD_1
	v_cvt_pkrtz_f16_f32 v50, v74, v75
	v_mfma_f32_16x16x16_f16 v[34:37], v[48:49], v[18:19], v[34:37]
	v_cvt_pk_f32_fp8_e32 v[48:49], v10
	v_cvt_pk_f32_fp8_sdwa v[68:69], v10 src0_sel:WORD_1
	v_cvt_pk_f32_fp8_e32 v[70:71], v12
	v_mfma_f32_16x16x16_f16 v[34:37], v[50:51], v[20:21], v[34:37]
	v_cvt_pk_f32_fp8_e32 v[50:51], v11
	v_cvt_pkrtz_f16_f32 v48, v48, v49
	v_cvt_pkrtz_f16_f32 v49, v68, v69
	v_cvt_pk_f32_fp8_sdwa v[10:11], v11 src0_sel:WORD_1
	v_cvt_pkrtz_f16_f32 v68, v50, v51
	v_mfma_f32_16x16x16_f16 v[48:51], v[48:49], v[30:31], 0
	v_cvt_pkrtz_f16_f32 v69, v10, v11
	v_cvt_pkrtz_f16_f32 v30, v70, v71
	;; [unrolled: 1-line block ×3, first 2 shown]
	v_cvt_pk_f32_fp8_e32 v[70:71], v13
	v_cvt_pk_f32_fp8_sdwa v[72:73], v13 src0_sel:WORD_1
	v_mfma_f32_16x16x16_f16 v[10:13], v[68:69], v[32:33], v[48:51]
	v_cvt_pk_f32_fp8_e32 v[68:69], v24
	v_cvt_pkrtz_f16_f32 v32, v70, v71
	v_cvt_pkrtz_f16_f32 v33, v72, v73
	v_mfma_f32_16x16x16_f16 v[10:13], v[30:31], v[2:3], v[10:13]
	v_mov_b32_e32 v48, s5
	s_waitcnt lgkmcnt(0)
	v_mul_f32_e32 v50, s6, v48
	v_pk_mul_f32 v[48:49], v[50:51], v[44:45] op_sel_hi:[0,1]
	v_pk_mul_f32 v[30:31], v[50:51], v[42:43] op_sel_hi:[0,1]
	v_mfma_f32_16x16x16_f16 v[42:45], v[32:33], v[4:5], v[10:13]
	v_cvt_pk_f32_fp8_e32 v[2:3], v22
	v_cvt_pk_f32_fp8_sdwa v[4:5], v22 src0_sel:WORD_1
	v_cvt_pk_f32_fp8_sdwa v[70:71], v24 src0_sel:WORD_1
	v_cvt_pk_f32_fp8_e32 v[10:11], v23
	v_cvt_pk_f32_fp8_sdwa v[12:13], v23 src0_sel:WORD_1
	v_cvt_pkrtz_f16_f32 v22, v2, v3
	v_cvt_pkrtz_f16_f32 v23, v4, v5
	;; [unrolled: 1-line block ×4, first 2 shown]
	v_mfma_f32_16x16x16_f16 v[42:45], v[22:23], v[26:27], v[42:45]
	global_load_dwordx4 v[10:13], v[52:53], off
	global_load_dwordx4 v[2:5], v[54:55], off
	v_cvt_pkrtz_f16_f32 v26, v68, v69
	v_cvt_pkrtz_f16_f32 v27, v70, v71
	v_cvt_pk_f32_fp8_e32 v[52:53], v25
	v_cvt_pk_f32_fp8_sdwa v[54:55], v25 src0_sel:WORD_1
	v_mfma_f32_16x16x16_f16 v[22:25], v[32:33], v[28:29], v[42:45]
	v_pk_mul_f32 v[40:41], v[50:51], v[40:41] op_sel_hi:[0,1]
	v_cvt_pkrtz_f16_f32 v28, v52, v53
	v_cvt_pkrtz_f16_f32 v29, v54, v55
	v_mfma_f32_16x16x16_f16 v[22:25], v[26:27], v[18:19], v[22:25]
	v_pk_mul_f32 v[44:45], v[50:51], v[38:39] op_sel_hi:[0,1]
	v_pk_mul_f32 v[38:39], v[50:51], v[36:37] op_sel_hi:[0,1]
	;; [unrolled: 1-line block ×3, first 2 shown]
	v_mfma_f32_16x16x16_f16 v[18:21], v[28:29], v[20:21], v[22:25]
	s_mov_b32 s5, 0xff7fffff
	s_nop 5
	v_pk_mul_f32 v[36:37], v[50:51], v[18:19] op_sel_hi:[0,1]
	v_and_b32_e32 v18, 0xc0, v0
	v_add_u32_e32 v18, s16, v18
	v_lshl_or_b32 v18, v56, 2, v18
	v_or_b32_e32 v19, 1, v18
	v_pk_mul_f32 v[34:35], v[50:51], v[20:21] op_sel_hi:[0,1]
	v_subrev_u32_e32 v20, s38, v19
	v_add_u32_e32 v22, 1, v20
	v_add_u32_e32 v23, 2, v20
	v_cvt_f32_i32_e32 v21, v20
	v_cvt_f32_i32_e32 v22, v22
	;; [unrolled: 1-line block ×3, first 2 shown]
	v_add_u32_e32 v24, 3, v20
	v_fma_f32 v28, v61, v21, v30
	v_fmac_f32_e32 v31, v61, v22
	v_fma_f32 v29, v61, v23, v48
	v_add_u32_e32 v21, 16, v20
	v_add_u32_e32 v22, 17, v20
	;; [unrolled: 1-line block ×3, first 2 shown]
	v_cvt_f32_i32_e32 v24, v24
	v_cvt_f32_i32_e32 v21, v21
	;; [unrolled: 1-line block ×4, first 2 shown]
	v_fmac_f32_e32 v49, v61, v24
	v_add_u32_e32 v24, 19, v20
	v_fma_f32 v44, v61, v21, v44
	v_fmac_f32_e32 v45, v61, v22
	v_fma_f32 v40, v61, v23, v40
	v_add_u32_e32 v21, 32, v20
	v_add_u32_e32 v22, 33, v20
	;; [unrolled: 1-line block ×3, first 2 shown]
	v_cvt_f32_i32_e32 v24, v24
	v_cvt_f32_i32_e32 v21, v21
	;; [unrolled: 1-line block ×4, first 2 shown]
	v_fmac_f32_e32 v41, v61, v24
	v_add_u32_e32 v24, 35, v20
	v_fma_f32 v42, v61, v21, v42
	v_fmac_f32_e32 v43, v61, v22
	v_fma_f32 v38, v61, v23, v38
	v_add_u32_e32 v21, 48, v20
	v_add_u32_e32 v22, 49, v20
	;; [unrolled: 1-line block ×4, first 2 shown]
	v_cvt_f32_i32_e32 v20, v20
	v_cvt_f32_i32_e32 v21, v21
	;; [unrolled: 1-line block ×3, first 2 shown]
	v_cmp_gt_i32_e64 s[36:37], s38, v18
	v_fmac_f32_e32 v35, v61, v20
	v_mov_b32_e32 v20, 0xff7fffff
	v_cmp_gt_i32_e64 s[24:25], s38, v19
	v_fma_f32 v36, v61, v21, v36
	v_cndmask_b32_e64 v21, v20, v28, s[36:37]
	v_cndmask_b32_e64 v19, v20, v31, s[24:25]
	v_fmac_f32_e32 v37, v61, v22
	v_max3_f32 v19, v21, s5, v19
	v_or_b32_e32 v21, 2, v18
	v_or_b32_e32 v22, 3, v18
	v_cmp_gt_i32_e64 s[28:29], s38, v21
	v_cmp_gt_i32_e64 s[34:35], s38, v22
	v_cvt_f32_i32_e32 v24, v24
	v_cndmask_b32_e64 v21, v20, v29, s[28:29]
	v_cndmask_b32_e64 v22, v20, v49, s[34:35]
	v_max3_f32 v19, v19, v21, v22
	v_or_b32_e32 v21, 16, v18
	v_or_b32_e32 v22, 17, v18
	v_cmp_gt_i32_e64 s[18:19], s38, v21
	v_cmp_gt_i32_e64 s[22:23], s38, v22
	v_fmac_f32_e32 v39, v61, v24
	v_cndmask_b32_e64 v21, v20, v44, s[18:19]
	v_cndmask_b32_e64 v22, v20, v45, s[22:23]
	v_max3_f32 v19, v19, v21, v22
	v_or_b32_e32 v21, 18, v18
	v_or_b32_e32 v22, 19, v18
	v_cmp_gt_i32_e64 s[26:27], s38, v21
	v_cmp_gt_i32_e64 s[30:31], s38, v22
	v_cvt_f32_i32_e32 v23, v23
	v_cndmask_b32_e64 v21, v20, v40, s[26:27]
	v_cndmask_b32_e64 v22, v20, v41, s[30:31]
	v_max3_f32 v19, v19, v21, v22
	v_or_b32_e32 v21, 32, v18
	v_or_b32_e32 v22, 33, v18
	v_cmp_gt_i32_e64 s[12:13], s38, v21
	v_cmp_gt_i32_e64 s[14:15], s38, v22
	v_fma_f32 v34, v61, v23, v34
	v_cndmask_b32_e64 v21, v20, v42, s[12:13]
	v_cndmask_b32_e64 v22, v20, v43, s[14:15]
	v_max3_f32 v19, v19, v21, v22
	v_or_b32_e32 v21, 34, v18
	v_or_b32_e32 v22, 35, v18
	v_cmp_gt_i32_e64 s[16:17], s38, v21
	v_cmp_gt_i32_e64 s[20:21], s38, v22
	s_nop 0
	v_cndmask_b32_e64 v21, v20, v38, s[16:17]
	v_cndmask_b32_e64 v22, v20, v39, s[20:21]
	v_max3_f32 v19, v19, v21, v22
	v_or_b32_e32 v21, 48, v18
	v_or_b32_e32 v22, 49, v18
	v_cmp_gt_i32_e64 s[8:9], s38, v21
	v_cmp_gt_i32_e64 s[10:11], s38, v22
	s_nop 0
	v_cndmask_b32_e64 v21, v20, v36, s[8:9]
	v_cndmask_b32_e64 v22, v20, v37, s[10:11]
	v_max3_f32 v19, v19, v21, v22
	v_or_b32_e32 v21, 50, v18
	v_or_b32_e32 v18, 51, v18
	v_cmp_gt_i32_e32 vcc, s38, v21
	v_cmp_gt_i32_e64 s[6:7], s38, v18
	s_nop 0
	v_cndmask_b32_e32 v21, v20, v34, vcc
	v_cndmask_b32_e64 v18, v20, v35, s[6:7]
	v_max3_f32 v22, v19, v21, v18
	v_mbcnt_lo_u32_b32 v18, -1, 0
	v_mbcnt_hi_u32_b32 v23, -1, v18
	v_and_b32_e32 v18, 64, v23
	v_add_u32_e32 v24, 64, v18
	v_xor_b32_e32 v18, 32, v23
	v_cmp_lt_i32_e64 s[38:39], v18, v24
	s_nop 1
	v_cndmask_b32_e64 v18, v23, v18, s[38:39]
	v_lshlrev_b32_e32 v51, 2, v18
	ds_bpermute_b32 v25, v51, v22
	v_mad_i64_i32 v[18:19], s[38:39], v65, s45, v[46:47]
	v_mad_i64_i32 v[20:21], s[38:39], v66, s45, v[46:47]
	s_waitcnt lgkmcnt(0)
	v_max_f32_e32 v25, v25, v25
	v_max_f32_e32 v22, v22, v25
	v_xor_b32_e32 v25, 16, v23
	v_cmp_lt_i32_e64 s[38:39], v25, v24
	s_nop 1
	v_cndmask_b32_e64 v23, v23, v25, s[38:39]
	v_lshlrev_b32_e32 v54, 2, v23
	ds_bpermute_b32 v23, v54, v22
	v_mad_i64_i32 v[26:27], s[38:39], v63, s45, v[46:47]
	v_mad_i64_i32 v[52:53], s[38:39], v64, s45, v[46:47]
	s_waitcnt lgkmcnt(0)
	v_max_f32_e32 v23, v23, v23
	v_max_f32_e32 v50, v22, v23
	v_sub_f32_e32 v46, v31, v50
	global_load_dwordx4 v[30:33], v[18:19], off
	global_load_dwordx4 v[22:25], v[20:21], off
	v_sub_f32_e32 v18, v28, v50
	v_mul_f32_e32 v18, 0x3fb8aa3b, v18
	v_mul_f32_e32 v19, 0x3fb8aa3b, v46
	v_exp_f32_e32 v18, v18
	v_exp_f32_e32 v47, v19
	v_sub_f32_e32 v19, v29, v50
	v_mul_f32_e32 v19, 0x3fb8aa3b, v19
	v_exp_f32_e32 v48, v19
	v_sub_f32_e32 v19, v49, v50
	v_mul_f32_e32 v19, 0x3fb8aa3b, v19
	v_exp_f32_e32 v49, v19
	v_cndmask_b32_e64 v46, 0, v18, s[36:37]
	global_load_dwordx4 v[26:29], v[26:27], off
	s_nop 0
	global_load_dwordx4 v[18:21], v[52:53], off
	v_sub_f32_e32 v44, v44, v50
	v_sub_f32_e32 v40, v40, v50
	v_mul_f32_e32 v44, 0x3fb8aa3b, v44
	v_mul_f32_e32 v40, 0x3fb8aa3b, v40
	v_exp_f32_e32 v44, v44
	v_exp_f32_e32 v52, v40
	v_sub_f32_e32 v45, v45, v50
	v_sub_f32_e32 v40, v41, v50
	;; [unrolled: 1-line block ×4, first 2 shown]
	v_mul_f32_e32 v45, 0x3fb8aa3b, v45
	v_mul_f32_e32 v40, 0x3fb8aa3b, v40
	;; [unrolled: 1-line block ×4, first 2 shown]
	v_exp_f32_e32 v45, v45
	v_exp_f32_e32 v53, v40
	v_cndmask_b32_e64 v40, 0, v44, s[18:19]
	v_cndmask_b32_e64 v44, 0, v52, s[26:27]
	v_exp_f32_e32 v42, v42
	v_exp_f32_e32 v52, v38
	v_sub_f32_e32 v38, v39, v50
	v_mul_f32_e32 v38, 0x3fb8aa3b, v38
	v_cndmask_b32_e64 v47, 0, v47, s[24:25]
	v_cndmask_b32_e64 v41, 0, v45, s[22:23]
	;; [unrolled: 1-line block ×3, first 2 shown]
	v_exp_f32_e32 v53, v38
	v_cndmask_b32_e64 v38, 0, v42, s[12:13]
	v_cndmask_b32_e64 v42, 0, v52, s[16:17]
	v_add_f32_e32 v52, 0, v46
	v_cndmask_b32_e64 v48, 0, v48, s[28:29]
	v_add_f32_e32 v52, v52, v47
	v_cndmask_b32_e64 v49, 0, v49, s[34:35]
	v_sub_f32_e32 v43, v43, v50
	v_add_f32_e32 v52, v52, v48
	v_mul_f32_e32 v43, 0x3fb8aa3b, v43
	v_add_f32_e32 v52, v52, v49
	v_exp_f32_e32 v43, v43
	v_add_f32_e32 v52, v52, v40
	v_add_f32_e32 v52, v52, v41
	v_sub_f32_e32 v36, v36, v50
	v_add_f32_e32 v52, v52, v44
	v_mul_f32_e32 v36, 0x3fb8aa3b, v36
	v_sub_f32_e32 v37, v37, v50
	v_add_f32_e32 v52, v52, v45
	v_exp_f32_e32 v36, v36
	v_mul_f32_e32 v37, 0x3fb8aa3b, v37
	v_sub_f32_e32 v34, v34, v50
	v_cndmask_b32_e64 v39, 0, v43, s[14:15]
	v_add_f32_e32 v52, v52, v38
	v_exp_f32_e32 v37, v37
	v_mul_f32_e32 v34, 0x3fb8aa3b, v34
	v_sub_f32_e32 v35, v35, v50
	v_add_f32_e32 v52, v52, v39
	v_exp_f32_e32 v34, v34
	v_mul_f32_e32 v35, 0x3fb8aa3b, v35
	v_cndmask_b32_e64 v43, 0, v53, s[20:21]
	v_add_f32_e32 v52, v52, v42
	v_exp_f32_e32 v35, v35
	v_add_f32_e32 v52, v52, v43
	v_cndmask_b32_e64 v36, 0, v36, s[8:9]
	v_add_f32_e32 v52, v52, v36
	v_cndmask_b32_e64 v37, 0, v37, s[10:11]
	v_add_f32_e32 v52, v52, v37
	v_cndmask_b32_e32 v34, 0, v34, vcc
	v_add_f32_e32 v52, v52, v34
	v_cndmask_b32_e64 v35, 0, v35, s[6:7]
	v_add_f32_e32 v52, v52, v35
	ds_bpermute_b32 v51, v51, v52
	v_cmp_lt_u32_e64 s[6:7], 15, v60
	v_cmp_gt_u32_e32 vcc, 16, v60
	s_waitcnt lgkmcnt(0)
	s_barrier
	v_add_f32_e32 v51, v52, v51
	ds_bpermute_b32 v52, v54, v51
	s_waitcnt lgkmcnt(0)
	s_and_saveexec_b64 s[8:9], vcc
	s_cbranch_execz .LBB1064_15
; %bb.14:
	v_add_f32_e32 v51, v51, v52
	v_lshlrev_b32_e32 v52, 2, v62
	ds_write2st64_b32 v52, v50, v51 offset1:1
.LBB1064_15:
	s_or_b64 exec, exec, s[8:9]
	v_lshlrev_b32_e32 v51, 2, v57
	s_load_dwordx2 s[8:9], s[0:1], 0x94
	s_waitcnt lgkmcnt(0)
	s_barrier
	ds_read2_b32 v[52:53], v51 offset1:16
	ds_read2_b32 v[54:55], v51 offset0:32 offset1:48
	ds_read2_b32 v[60:61], v51 offset0:64 offset1:80
	s_waitcnt lgkmcnt(2)
	v_max3_f32 v50, v52, s5, v53
	s_waitcnt lgkmcnt(1)
	v_max3_f32 v50, v50, v54, v55
	v_sub_f32_e32 v52, v52, v50
	v_mul_f32_e32 v52, 0x3fb8aa3b, v52
	v_exp_f32_e32 v62, v52
	v_sub_f32_e32 v52, v53, v50
	v_mul_f32_e32 v52, 0x3fb8aa3b, v52
	v_exp_f32_e32 v63, v52
	;; [unrolled: 3-line block ×3, first 2 shown]
	ds_read2_b32 v[52:53], v51 offset0:96 offset1:112
	v_sub_f32_e32 v51, v55, v50
	v_mul_f32_e32 v51, 0x3fb8aa3b, v51
	v_exp_f32_e32 v55, v51
	s_waitcnt lgkmcnt(1)
	v_fma_f32 v51, v62, v60, 0
	v_fmac_f32_e32 v51, v63, v61
	s_waitcnt lgkmcnt(0)
	v_fmac_f32_e32 v51, v54, v52
	v_fmac_f32_e32 v51, v55, v53
	v_add_f32_e32 v53, 0x358637bd, v51
	v_div_scale_f32 v60, s[10:11], v53, v53, 1.0
	v_rcp_f32_e32 v61, v60
	s_barrier
	v_fma_f32 v64, -v60, v61, 1.0
	v_fmac_f32_e32 v61, v64, v61
	v_div_scale_f32 v64, vcc, 1.0, v53, 1.0
	v_mul_f32_e32 v65, v64, v61
	v_fma_f32 v66, -v60, v65, v64
	v_fmac_f32_e32 v65, v66, v61
	v_fma_f32 v60, -v60, v65, v64
	v_div_fmas_f32 v60, v60, v61, v65
	v_cmp_eq_u32_e32 vcc, 1, v59
	v_div_fixup_f32 v53, v60, v53, 1.0
	v_mov_b32_e32 v52, 0
	v_cndmask_b32_e32 v60, v62, v63, vcc
	v_cmp_eq_u32_e32 vcc, 2, v59
	s_nop 1
	v_cndmask_b32_e32 v54, v60, v54, vcc
	v_cmp_eq_u32_e32 vcc, 3, v59
	s_nop 1
	v_cndmask_b32_e32 v54, v54, v55, vcc
	v_mul_f32_e32 v60, v54, v53
	v_pk_mul_f32 v[48:49], v[60:61], v[48:49] op_sel_hi:[0,1]
	v_pk_mul_f32 v[46:47], v[60:61], v[46:47] op_sel_hi:[0,1]
	v_cvt_f16_f32_e32 v46, v46
	v_cvt_f16_f32_e32 v47, v47
	;; [unrolled: 1-line block ×4, first 2 shown]
	v_pk_mul_f32 v[44:45], v[60:61], v[44:45] op_sel_hi:[0,1]
	v_pk_mul_f32 v[40:41], v[60:61], v[40:41] op_sel_hi:[0,1]
	v_cvt_f16_f32_e32 v40, v40
	v_cvt_f16_f32_e32 v41, v41
	;; [unrolled: 1-line block ×4, first 2 shown]
	v_pack_b32_f16 v48, v46, v47
	v_pack_b32_f16 v49, v53, v49
	v_lshlrev_b32_e32 v47, 3, v56
	v_lshlrev_b32_e32 v46, 5, v57
	;; [unrolled: 1-line block ×3, first 2 shown]
	v_or3_b32 v54, v53, v46, v47
	v_pack_b32_f16 v40, v40, v41
	v_pack_b32_f16 v41, v44, v45
	ds_write2st64_b64 v54, v[48:49], v[40:41] offset1:1
	v_pk_mul_f32 v[40:41], v[60:61], v[42:43] op_sel_hi:[0,1]
	v_pk_mul_f32 v[38:39], v[60:61], v[38:39] op_sel_hi:[0,1]
	;; [unrolled: 1-line block ×4, first 2 shown]
	v_cvt_f16_f32_e32 v38, v38
	v_cvt_f16_f32_e32 v39, v39
	;; [unrolled: 1-line block ×8, first 2 shown]
	v_pack_b32_f16 v34, v38, v39
	v_pack_b32_f16 v35, v40, v41
	;; [unrolled: 1-line block ×4, first 2 shown]
	v_cmp_eq_u32_e32 vcc, 0, v0
	ds_write2st64_b64 v54, v[34:35], v[36:37] offset0:2 offset1:3
	s_and_saveexec_b64 s[10:11], vcc
	s_cbranch_execz .LBB1064_17
; %bb.16:
	s_mul_i32 s3, s3, s9
	s_mul_hi_u32 s5, s2, s9
	s_add_i32 s5, s5, s3
	s_mul_i32 s3, s2, s9
	s_add_u32 s3, s3, s4
	s_addc_u32 s5, s5, 0
	s_load_dwordx4 s[12:15], s[0:1], 0x58
	s_mul_i32 s5, s5, s8
	s_mul_hi_u32 s16, s3, s8
	s_add_i32 s5, s16, s5
	s_mul_i32 s3, s3, s8
	s_add_u32 s16, s3, s33
	s_addc_u32 s17, s5, 0
	s_lshl_b64 s[16:17], s[16:17], 2
	s_waitcnt lgkmcnt(0)
	s_add_u32 s14, s14, s16
	s_addc_u32 s15, s15, s17
	s_add_u32 s12, s12, s16
	s_addc_u32 s13, s13, s17
	global_store_dword v52, v50, s[14:15]
	global_store_dword v52, v51, s[12:13]
.LBB1064_17:
	s_or_b64 exec, exec, s[10:11]
	s_waitcnt vmcnt(7)
	v_cvt_pk_f32_fp8_e32 v[34:35], v14
	v_cvt_pk_f32_fp8_sdwa v[36:37], v14 src0_sel:WORD_1
	v_lshl_or_b32 v50, v56, 9, v46
	s_waitcnt lgkmcnt(0)
	s_barrier
	v_cvt_pk_f32_fp8_e32 v[38:39], v15
	v_cvt_pkrtz_f16_f32 v14, v34, v35
	v_cvt_pk_f32_fp8_sdwa v[40:41], v15 src0_sel:WORD_1
	v_cvt_pkrtz_f16_f32 v15, v36, v37
	ds_read_b128 v[34:37], v50
	v_cvt_pkrtz_f16_f32 v46, v38, v39
	v_cvt_pkrtz_f16_f32 v47, v40, v41
	ds_read_b128 v[38:41], v50 offset:16
	v_cvt_pk_f32_fp8_e32 v[48:49], v16
	v_cvt_pk_f32_fp8_sdwa v[52:53], v16 src0_sel:WORD_1
	s_waitcnt lgkmcnt(1)
	v_mfma_f32_16x16x16_f16 v[42:45], v[14:15], v[34:35], 0
	s_waitcnt vmcnt(6)
	v_cvt_pk_f32_fp8_e32 v[60:61], v8
	v_cvt_pkrtz_f16_f32 v14, v48, v49
	v_cvt_pkrtz_f16_f32 v15, v52, v53
	v_cvt_pk_f32_fp8_e32 v[48:49], v17
	v_mfma_f32_16x16x16_f16 v[42:45], v[46:47], v[36:37], v[42:45]
	v_cvt_pk_f32_fp8_sdwa v[46:47], v17 src0_sel:WORD_1
	v_cvt_pk_f32_fp8_sdwa v[62:63], v8 src0_sel:WORD_1
	v_cvt_pkrtz_f16_f32 v48, v48, v49
	s_waitcnt lgkmcnt(0)
	v_mfma_f32_16x16x16_f16 v[14:17], v[14:15], v[38:39], v[42:45]
	v_cvt_pkrtz_f16_f32 v49, v46, v47
	s_waitcnt vmcnt(5)
	v_cvt_pk_f32_fp8_e32 v[64:65], v12
	v_cvt_pk_f32_fp8_sdwa v[66:67], v12 src0_sel:WORD_1
	v_cvt_pk_f32_fp8_e32 v[42:43], v6
	v_mfma_f32_16x16x16_f16 v[46:49], v[48:49], v[40:41], v[14:17]
	s_waitcnt vmcnt(4)
	v_cvt_pk_f32_fp8_sdwa v[68:69], v4 src0_sel:WORD_1
	s_load_dword s10, s[42:43], 0x0
	v_cvt_pk_f32_fp8_sdwa v[14:15], v6 src0_sel:WORD_1
	v_cvt_pk_f32_fp8_e32 v[16:17], v7
	v_cvt_pkrtz_f16_f32 v6, v42, v43
	v_cvt_pk_f32_fp8_sdwa v[42:43], v7 src0_sel:WORD_1
	v_cvt_pkrtz_f16_f32 v7, v14, v15
	v_cvt_pkrtz_f16_f32 v52, v16, v17
	ds_read_b128 v[14:17], v50 offset:2048
	v_cvt_pkrtz_f16_f32 v53, v42, v43
	ds_read_b128 v[42:45], v50 offset:2064
	s_waitcnt lgkmcnt(0)
	v_mfma_f32_16x16x16_f16 v[46:49], v[6:7], v[14:15], v[46:49]
	v_cvt_pkrtz_f16_f32 v6, v60, v61
	v_cvt_pkrtz_f16_f32 v7, v62, v63
	v_cvt_pk_f32_fp8_e32 v[60:61], v9
	v_mfma_f32_16x16x16_f16 v[46:49], v[52:53], v[16:17], v[46:49]
	v_cvt_pk_f32_fp8_sdwa v[52:53], v9 src0_sel:WORD_1
	v_cmp_gt_u32_e32 vcc, 64, v0
	v_cvt_pkrtz_f16_f32 v60, v60, v61
	v_mfma_f32_16x16x16_f16 v[6:9], v[6:7], v[42:43], v[46:49]
	v_cvt_pkrtz_f16_f32 v61, v52, v53
	s_xor_b64 s[6:7], s[6:7], -1
	s_mov_b32 s3, 0
	v_cvt_pk_f32_fp8_e32 v[46:47], v10
	v_mfma_f32_16x16x16_f16 v[60:63], v[60:61], v[44:45], v[6:9]
	s_and_b64 s[6:7], vcc, s[6:7]
	s_nop 1
	v_cvt_pk_f32_fp8_sdwa v[6:7], v10 src0_sel:WORD_1
	v_cvt_pk_f32_fp8_e32 v[8:9], v11
	v_cvt_pkrtz_f16_f32 v10, v46, v47
	v_cvt_pk_f32_fp8_sdwa v[46:47], v11 src0_sel:WORD_1
	v_cvt_pkrtz_f16_f32 v11, v6, v7
	v_cvt_pkrtz_f16_f32 v52, v8, v9
	ds_read_b128 v[6:9], v50 offset:4096
	v_cvt_pkrtz_f16_f32 v53, v46, v47
	ds_read_b128 v[46:49], v50 offset:4112
	s_waitcnt lgkmcnt(1)
	v_mfma_f32_16x16x16_f16 v[60:63], v[10:11], v[6:7], v[60:63]
	v_cvt_pkrtz_f16_f32 v10, v64, v65
	v_cvt_pkrtz_f16_f32 v11, v66, v67
	v_cvt_pk_f32_fp8_e32 v[64:65], v13
	v_mfma_f32_16x16x16_f16 v[60:63], v[52:53], v[8:9], v[60:63]
	v_cvt_pk_f32_fp8_sdwa v[52:53], v13 src0_sel:WORD_1
	v_cvt_pk_f32_fp8_e32 v[66:67], v4
	v_cvt_pkrtz_f16_f32 v64, v64, v65
	s_waitcnt lgkmcnt(0)
	v_mfma_f32_16x16x16_f16 v[10:13], v[10:11], v[46:47], v[60:63]
	v_cvt_pkrtz_f16_f32 v65, v52, v53
	v_cvt_pk_f32_fp8_e32 v[52:53], v2
	s_nop 0
	v_mfma_f32_16x16x16_f16 v[60:63], v[64:65], v[48:49], v[10:13]
	s_nop 2
	v_cvt_pk_f32_fp8_sdwa v[10:11], v2 src0_sel:WORD_1
	v_cvt_pk_f32_fp8_e32 v[12:13], v3
	v_cvt_pkrtz_f16_f32 v2, v52, v53
	v_cvt_pk_f32_fp8_sdwa v[52:53], v3 src0_sel:WORD_1
	v_cvt_pkrtz_f16_f32 v3, v10, v11
	v_cvt_pkrtz_f16_f32 v64, v12, v13
	ds_read_b128 v[10:13], v50 offset:6144
	v_cvt_pkrtz_f16_f32 v65, v52, v53
	s_waitcnt lgkmcnt(0)
	v_mfma_f32_16x16x16_f16 v[60:63], v[2:3], v[10:11], v[60:63]
	ds_read_b128 v[50:53], v50 offset:6160
	v_cvt_pkrtz_f16_f32 v2, v66, v67
	v_cvt_pkrtz_f16_f32 v3, v68, v69
	v_mfma_f32_16x16x16_f16 v[60:63], v[64:65], v[12:13], v[60:63]
	v_cvt_pk_f32_fp8_e32 v[66:67], v5
	v_cvt_pk_f32_fp8_sdwa v[64:65], v5 src0_sel:WORD_1
	s_waitcnt vmcnt(3)
	v_cvt_pk_f32_fp8_sdwa v[68:69], v32 src0_sel:WORD_1
	s_waitcnt lgkmcnt(0)
	v_mfma_f32_16x16x16_f16 v[2:5], v[2:3], v[50:51], v[60:63]
	v_cvt_pkrtz_f16_f32 v66, v66, v67
	v_cvt_pkrtz_f16_f32 v67, v64, v65
	v_cvt_pk_f32_fp8_e32 v[64:65], v31
	v_cvt_pk_f32_fp8_e32 v[60:61], v30
	v_cvt_pk_f32_fp8_sdwa v[62:63], v30 src0_sel:WORD_1
	v_cvt_pk_f32_fp8_sdwa v[30:31], v31 src0_sel:WORD_1
	v_mfma_f32_16x16x16_f16 v[2:5], v[66:67], v[52:53], v[2:5]
	v_cvt_pkrtz_f16_f32 v60, v60, v61
	v_cvt_pkrtz_f16_f32 v61, v62, v63
	;; [unrolled: 1-line block ×3, first 2 shown]
	v_cvt_pk_f32_fp8_e32 v[66:67], v32
	v_cvt_pkrtz_f16_f32 v65, v30, v31
	v_mfma_f32_16x16x16_f16 v[60:63], v[60:61], v[34:35], 0
	v_cvt_pkrtz_f16_f32 v30, v66, v67
	v_cvt_pkrtz_f16_f32 v31, v68, v69
	v_cvt_pk_f32_fp8_e32 v[66:67], v33
	v_mfma_f32_16x16x16_f16 v[34:37], v[64:65], v[36:37], v[60:63]
	s_barrier
	s_nop 1
	v_cvt_pk_f32_fp8_sdwa v[60:61], v33 src0_sel:WORD_1
	v_cvt_pkrtz_f16_f32 v62, v66, v67
	v_mfma_f32_16x16x16_f16 v[30:33], v[30:31], v[38:39], v[34:37]
	s_waitcnt vmcnt(2)
	v_cvt_pk_f32_fp8_e32 v[38:39], v23
	v_cvt_pkrtz_f16_f32 v63, v60, v61
	v_cvt_pk_f32_fp8_e32 v[34:35], v22
	v_cvt_pk_f32_fp8_sdwa v[36:37], v22 src0_sel:WORD_1
	v_cvt_pk_f32_fp8_sdwa v[22:23], v23 src0_sel:WORD_1
	v_mfma_f32_16x16x16_f16 v[30:33], v[62:63], v[40:41], v[30:33]
	v_cvt_pkrtz_f16_f32 v34, v34, v35
	v_cvt_pkrtz_f16_f32 v35, v36, v37
	;; [unrolled: 1-line block ×3, first 2 shown]
	v_cvt_pk_f32_fp8_e32 v[38:39], v24
	v_cvt_pk_f32_fp8_sdwa v[40:41], v24 src0_sel:WORD_1
	v_cvt_pkrtz_f16_f32 v37, v22, v23
	v_mfma_f32_16x16x16_f16 v[30:33], v[34:35], v[14:15], v[30:33]
	v_cvt_pkrtz_f16_f32 v22, v38, v39
	v_cvt_pkrtz_f16_f32 v23, v40, v41
	v_cvt_pk_f32_fp8_e32 v[34:35], v25
	v_cvt_pk_f32_fp8_sdwa v[24:25], v25 src0_sel:WORD_1
	v_mfma_f32_16x16x16_f16 v[14:17], v[36:37], v[16:17], v[30:33]
	s_nop 2
	v_cvt_pkrtz_f16_f32 v30, v34, v35
	v_cvt_pkrtz_f16_f32 v31, v24, v25
	v_mfma_f32_16x16x16_f16 v[14:17], v[22:23], v[42:43], v[14:17]
	s_waitcnt vmcnt(1)
	v_cvt_pk_f32_fp8_e32 v[22:23], v26
	v_cvt_pk_f32_fp8_sdwa v[24:25], v26 src0_sel:WORD_1
	v_cvt_pk_f32_fp8_sdwa v[32:33], v28 src0_sel:WORD_1
	v_mfma_f32_16x16x16_f16 v[14:17], v[30:31], v[44:45], v[14:17]
	v_cvt_pk_f32_fp8_e32 v[30:31], v27
	v_cvt_pkrtz_f16_f32 v22, v22, v23
	v_cvt_pkrtz_f16_f32 v23, v24, v25
	v_cvt_pk_f32_fp8_sdwa v[24:25], v27 src0_sel:WORD_1
	v_cvt_pkrtz_f16_f32 v26, v30, v31
	v_cvt_pk_f32_fp8_e32 v[30:31], v28
	v_mfma_f32_16x16x16_f16 v[14:17], v[22:23], v[6:7], v[14:17]
	v_cvt_pkrtz_f16_f32 v27, v24, v25
	v_cvt_pkrtz_f16_f32 v22, v30, v31
	;; [unrolled: 1-line block ×3, first 2 shown]
	v_cvt_pk_f32_fp8_e32 v[24:25], v29
	v_cvt_pk_f32_fp8_sdwa v[28:29], v29 src0_sel:WORD_1
	v_mfma_f32_16x16x16_f16 v[6:9], v[26:27], v[8:9], v[14:17]
	s_nop 2
	v_cvt_pkrtz_f16_f32 v16, v24, v25
	v_cvt_pkrtz_f16_f32 v17, v28, v29
	v_pk_mul_f32 v[14:15], v[4:5], s[10:11] op_sel_hi:[1,0]
	v_mfma_f32_16x16x16_f16 v[4:7], v[22:23], v[46:47], v[6:9]
	s_waitcnt vmcnt(0)
	v_cvt_pk_f32_fp8_e32 v[22:23], v18
	v_cvt_pk_f32_fp8_sdwa v[24:25], v18 src0_sel:WORD_1
	v_pk_mul_f32 v[8:9], v[2:3], s[10:11] op_sel_hi:[1,0]
	v_mfma_f32_16x16x16_f16 v[2:5], v[16:17], v[48:49], v[4:7]
	v_cvt_pkrtz_f16_f32 v16, v22, v23
	v_cvt_pkrtz_f16_f32 v17, v24, v25
	v_cvt_pk_f32_fp8_e32 v[22:23], v20
	v_cvt_pk_f32_fp8_e32 v[6:7], v19
	v_cvt_pk_f32_fp8_sdwa v[18:19], v19 src0_sel:WORD_1
	v_cvt_pk_f32_fp8_sdwa v[24:25], v20 src0_sel:WORD_1
	v_mfma_f32_16x16x16_f16 v[2:5], v[16:17], v[10:11], v[2:5]
	v_cvt_pkrtz_f16_f32 v6, v6, v7
	v_cvt_pkrtz_f16_f32 v7, v18, v19
	;; [unrolled: 1-line block ×4, first 2 shown]
	v_cvt_pk_f32_fp8_e32 v[16:17], v21
	v_cvt_pk_f32_fp8_sdwa v[18:19], v21 src0_sel:WORD_1
	v_mfma_f32_16x16x16_f16 v[2:5], v[6:7], v[12:13], v[2:5]
	v_cvt_f16_f32_e32 v8, v8
	v_cvt_pkrtz_f16_f32 v6, v16, v17
	v_cvt_pkrtz_f16_f32 v7, v18, v19
	v_mfma_f32_16x16x16_f16 v[2:5], v[10:11], v[50:51], v[2:5]
	v_cvt_f16_f32_e32 v9, v9
	v_cvt_f16_f32_e32 v10, v14
	;; [unrolled: 1-line block ×3, first 2 shown]
	v_mfma_f32_16x16x16_f16 v[2:5], v[6:7], v[52:53], v[2:5]
	s_nop 6
	v_pk_mul_f32 v[4:5], v[4:5], s[10:11] op_sel_hi:[1,0]
	v_pk_mul_f32 v[2:3], v[2:3], s[10:11] op_sel_hi:[1,0]
	v_cvt_f16_f32_e32 v12, v4
	v_cvt_f16_f32_e32 v6, v2
	;; [unrolled: 1-line block ×4, first 2 shown]
	v_pack_b32_f16 v2, v8, v9
	v_pack_b32_f16 v3, v10, v11
	;; [unrolled: 1-line block ×4, first 2 shown]
	ds_write2st64_b64 v54, v[2:3], v[4:5] offset1:1
	s_waitcnt lgkmcnt(0)
	s_barrier
	s_and_saveexec_b64 s[10:11], s[6:7]
	s_cbranch_execz .LBB1064_19
; %bb.18:
	s_load_dwordx2 s[0:1], s[0:1], 0x68
	s_mul_i32 s2, s9, s2
	s_lshl_b32 s5, s8, 7
	s_mul_hi_u32 s7, s2, s5
	s_mul_i32 s6, s2, s5
	v_lshlrev_b32_e32 v4, 6, v57
	s_lshl_b64 s[6:7], s[6:7], 1
	v_lshl_or_b32 v0, v0, 10, v4
	s_waitcnt lgkmcnt(0)
	s_add_u32 s6, s0, s6
	v_lshlrev_b32_e32 v2, 5, v56
	v_and_b32_e32 v3, 16, v58
	v_and_b32_e32 v0, 0x1a00, v0
	s_addc_u32 s7, s1, s7
	s_lshl_b32 s2, s33, 7
	v_or3_b32 v0, v0, v2, v3
	s_lshl_b64 s[0:1], s[2:3], 1
	ds_read_b128 v[2:5], v0
	s_add_u32 s2, s6, s0
	s_addc_u32 s3, s7, s1
	s_mul_hi_u32 s1, s5, s4
	s_mul_i32 s0, s5, s4
	s_lshl_b64 s[0:1], s[0:1], 1
	s_add_u32 s0, s2, s0
	s_addc_u32 s1, s3, s1
	s_waitcnt lgkmcnt(0)
	global_store_dwordx4 v1, v[2:5], s[0:1]
.LBB1064_19:
	s_endpgm
	.section	.rodata,"a",@progbits
	.p2align	6, 0x0
	.amdhsa_kernel _Z39paged_attention_ll4mi_QKV_mfma16_kernelIDF16_hLN4vllm18Fp8KVCacheDataTypeE1EDF16_Li32ELi128ELi256ELb1ELi1EEvPKT_PKT0_S7_ifPKiS9_S9_iPKfiiiPfSC_PS2_PT2_iSB_SB_
		.amdhsa_group_segment_fixed_size 8192
		.amdhsa_private_segment_fixed_size 0
		.amdhsa_kernarg_size 400
		.amdhsa_user_sgpr_count 2
		.amdhsa_user_sgpr_dispatch_ptr 0
		.amdhsa_user_sgpr_queue_ptr 0
		.amdhsa_user_sgpr_kernarg_segment_ptr 1
		.amdhsa_user_sgpr_dispatch_id 0
		.amdhsa_user_sgpr_kernarg_preload_length 0
		.amdhsa_user_sgpr_kernarg_preload_offset 0
		.amdhsa_user_sgpr_private_segment_size 0
		.amdhsa_uses_dynamic_stack 0
		.amdhsa_enable_private_segment 0
		.amdhsa_system_sgpr_workgroup_id_x 1
		.amdhsa_system_sgpr_workgroup_id_y 1
		.amdhsa_system_sgpr_workgroup_id_z 1
		.amdhsa_system_sgpr_workgroup_info 0
		.amdhsa_system_vgpr_workitem_id 0
		.amdhsa_next_free_vgpr 78
		.amdhsa_next_free_sgpr 48
		.amdhsa_accum_offset 80
		.amdhsa_reserve_vcc 1
		.amdhsa_float_round_mode_32 0
		.amdhsa_float_round_mode_16_64 0
		.amdhsa_float_denorm_mode_32 3
		.amdhsa_float_denorm_mode_16_64 3
		.amdhsa_dx10_clamp 1
		.amdhsa_ieee_mode 1
		.amdhsa_fp16_overflow 0
		.amdhsa_tg_split 0
		.amdhsa_exception_fp_ieee_invalid_op 0
		.amdhsa_exception_fp_denorm_src 0
		.amdhsa_exception_fp_ieee_div_zero 0
		.amdhsa_exception_fp_ieee_overflow 0
		.amdhsa_exception_fp_ieee_underflow 0
		.amdhsa_exception_fp_ieee_inexact 0
		.amdhsa_exception_int_div_zero 0
	.end_amdhsa_kernel
	.section	.text._Z39paged_attention_ll4mi_QKV_mfma16_kernelIDF16_hLN4vllm18Fp8KVCacheDataTypeE1EDF16_Li32ELi128ELi256ELb1ELi1EEvPKT_PKT0_S7_ifPKiS9_S9_iPKfiiiPfSC_PS2_PT2_iSB_SB_,"axG",@progbits,_Z39paged_attention_ll4mi_QKV_mfma16_kernelIDF16_hLN4vllm18Fp8KVCacheDataTypeE1EDF16_Li32ELi128ELi256ELb1ELi1EEvPKT_PKT0_S7_ifPKiS9_S9_iPKfiiiPfSC_PS2_PT2_iSB_SB_,comdat
.Lfunc_end1064:
	.size	_Z39paged_attention_ll4mi_QKV_mfma16_kernelIDF16_hLN4vllm18Fp8KVCacheDataTypeE1EDF16_Li32ELi128ELi256ELb1ELi1EEvPKT_PKT0_S7_ifPKiS9_S9_iPKfiiiPfSC_PS2_PT2_iSB_SB_, .Lfunc_end1064-_Z39paged_attention_ll4mi_QKV_mfma16_kernelIDF16_hLN4vllm18Fp8KVCacheDataTypeE1EDF16_Li32ELi128ELi256ELb1ELi1EEvPKT_PKT0_S7_ifPKiS9_S9_iPKfiiiPfSC_PS2_PT2_iSB_SB_
                                        ; -- End function
	.section	.AMDGPU.csdata,"",@progbits
; Kernel info:
; codeLenInByte = 6192
; NumSgprs: 54
; NumVgprs: 78
; NumAgprs: 0
; TotalNumVgprs: 78
; ScratchSize: 0
; MemoryBound: 0
; FloatMode: 240
; IeeeMode: 1
; LDSByteSize: 8192 bytes/workgroup (compile time only)
; SGPRBlocks: 6
; VGPRBlocks: 9
; NumSGPRsForWavesPerEU: 54
; NumVGPRsForWavesPerEU: 78
; AccumOffset: 80
; Occupancy: 6
; WaveLimiterHint : 1
; COMPUTE_PGM_RSRC2:SCRATCH_EN: 0
; COMPUTE_PGM_RSRC2:USER_SGPR: 2
; COMPUTE_PGM_RSRC2:TRAP_HANDLER: 0
; COMPUTE_PGM_RSRC2:TGID_X_EN: 1
; COMPUTE_PGM_RSRC2:TGID_Y_EN: 1
; COMPUTE_PGM_RSRC2:TGID_Z_EN: 1
; COMPUTE_PGM_RSRC2:TIDIG_COMP_CNT: 0
; COMPUTE_PGM_RSRC3_GFX90A:ACCUM_OFFSET: 19
; COMPUTE_PGM_RSRC3_GFX90A:TG_SPLIT: 0
	.section	.text._Z39paged_attention_ll4mi_QKV_mfma16_kernelIDF16_hLN4vllm18Fp8KVCacheDataTypeE1EDF16_Li32ELi128ELi256ELb1ELi2EEvPKT_PKT0_S7_ifPKiS9_S9_iPKfiiiPfSC_PS2_PT2_iSB_SB_,"axG",@progbits,_Z39paged_attention_ll4mi_QKV_mfma16_kernelIDF16_hLN4vllm18Fp8KVCacheDataTypeE1EDF16_Li32ELi128ELi256ELb1ELi2EEvPKT_PKT0_S7_ifPKiS9_S9_iPKfiiiPfSC_PS2_PT2_iSB_SB_,comdat
	.protected	_Z39paged_attention_ll4mi_QKV_mfma16_kernelIDF16_hLN4vllm18Fp8KVCacheDataTypeE1EDF16_Li32ELi128ELi256ELb1ELi2EEvPKT_PKT0_S7_ifPKiS9_S9_iPKfiiiPfSC_PS2_PT2_iSB_SB_ ; -- Begin function _Z39paged_attention_ll4mi_QKV_mfma16_kernelIDF16_hLN4vllm18Fp8KVCacheDataTypeE1EDF16_Li32ELi128ELi256ELb1ELi2EEvPKT_PKT0_S7_ifPKiS9_S9_iPKfiiiPfSC_PS2_PT2_iSB_SB_
	.globl	_Z39paged_attention_ll4mi_QKV_mfma16_kernelIDF16_hLN4vllm18Fp8KVCacheDataTypeE1EDF16_Li32ELi128ELi256ELb1ELi2EEvPKT_PKT0_S7_ifPKiS9_S9_iPKfiiiPfSC_PS2_PT2_iSB_SB_
	.p2align	8
	.type	_Z39paged_attention_ll4mi_QKV_mfma16_kernelIDF16_hLN4vllm18Fp8KVCacheDataTypeE1EDF16_Li32ELi128ELi256ELb1ELi2EEvPKT_PKT0_S7_ifPKiS9_S9_iPKfiiiPfSC_PS2_PT2_iSB_SB_,@function
_Z39paged_attention_ll4mi_QKV_mfma16_kernelIDF16_hLN4vllm18Fp8KVCacheDataTypeE1EDF16_Li32ELi128ELi256ELb1ELi2EEvPKT_PKT0_S7_ifPKiS9_S9_iPKfiiiPfSC_PS2_PT2_iSB_SB_: ; @_Z39paged_attention_ll4mi_QKV_mfma16_kernelIDF16_hLN4vllm18Fp8KVCacheDataTypeE1EDF16_Li32ELi128ELi256ELb1ELi2EEvPKT_PKT0_S7_ifPKiS9_S9_iPKfiiiPfSC_PS2_PT2_iSB_SB_
; %bb.0:
	s_load_dwordx2 s[8:9], s[0:1], 0x30
	s_mov_b32 s10, s3
	s_mov_b64 s[6:7], 0
	s_waitcnt lgkmcnt(0)
	s_cmp_lg_u64 s[8:9], 0
	s_cselect_b64 s[12:13], -1, 0
	s_and_b64 vcc, exec, s[12:13]
	s_cbranch_vccz .LBB1065_7
; %bb.1:
	s_add_i32 s14, s2, 1
	s_mov_b32 s15, 0
	s_lshl_b64 s[16:17], s[14:15], 2
	s_add_u32 s16, s8, s16
	s_mov_b32 s3, s15
	s_addc_u32 s17, s9, s17
	s_lshl_b64 s[14:15], s[2:3], 2
	s_add_u32 s14, s8, s14
	s_addc_u32 s15, s9, s15
	s_load_dword s5, s[16:17], 0x0
	s_load_dword s11, s[14:15], 0x0
	s_waitcnt lgkmcnt(0)
	s_sub_i32 s5, s5, s11
	s_cmp_eq_u32 s5, 1
	s_cselect_b64 s[14:15], -1, 0
	s_andn2_b64 vcc, exec, s[6:7]
	s_cbranch_vccnz .LBB1065_3
.LBB1065_2:
	s_mov_b32 s3, 0
	s_mov_b64 s[14:15], -1
.LBB1065_3:
	s_andn2_b64 vcc, exec, s[14:15]
	s_cbranch_vccnz .LBB1065_19
; %bb.4:
	s_load_dwordx2 s[6:7], s[0:1], 0x28
	s_lshl_b64 s[14:15], s[2:3], 2
	s_waitcnt lgkmcnt(0)
	s_add_u32 s6, s6, s14
	s_addc_u32 s7, s7, s15
	s_load_dword s33, s[6:7], 0x0
	s_lshl_b32 s18, s10, 8
	s_waitcnt lgkmcnt(0)
	s_cmp_ge_i32 s18, s33
	s_cbranch_scc1 .LBB1065_19
; %bb.5:
	s_load_dwordx2 s[6:7], s[0:1], 0x20
	s_load_dword s5, s[0:1], 0x38
	s_add_i32 s11, s33, 31
	s_ashr_i32 s16, s11, 31
	v_and_b32_e32 v1, 0xcf, v0
	s_lshr_b32 s16, s16, 27
	v_add_u32_e32 v1, s18, v1
	s_add_i32 s11, s11, s16
	v_ashrrev_i32_e32 v2, 31, v1
	s_ashr_i32 s19, s11, 5
	v_lshrrev_b32_e32 v4, 27, v2
	s_add_i32 s19, s19, -1
	s_waitcnt lgkmcnt(0)
	s_mul_i32 s16, s2, s5
	s_mov_b32 s17, 0
	v_add_u32_e32 v2, v1, v4
	s_lshl_b64 s[16:17], s[16:17], 2
	v_ashrrev_i32_e32 v2, 5, v2
	v_mov_b32_e32 v5, s19
	v_cmp_gt_i32_e32 vcc, s33, v1
	s_add_u32 s6, s6, s16
	s_addc_u32 s7, s7, s17
	v_cndmask_b32_e32 v2, v5, v2, vcc
	v_ashrrev_i32_e32 v3, 31, v2
	v_lshl_add_u64 v[6:7], v[2:3], 2, s[6:7]
	v_or_b32_e32 v2, 16, v1
	v_add_u32_e32 v3, v2, v4
	v_ashrrev_i32_e32 v3, 5, v3
	v_cmp_gt_i32_e32 vcc, s33, v2
	s_load_dwordx2 s[16:17], s[0:1], 0x8
	s_nop 0
	v_cndmask_b32_e32 v2, v5, v3, vcc
	v_ashrrev_i32_e32 v3, 31, v2
	v_lshl_add_u64 v[8:9], v[2:3], 2, s[6:7]
	v_or_b32_e32 v2, 32, v1
	v_add_u32_e32 v3, v2, v4
	v_ashrrev_i32_e32 v3, 5, v3
	v_cmp_gt_i32_e32 vcc, s33, v2
	v_or_b32_e32 v1, 48, v1
	s_nop 0
	v_cndmask_b32_e32 v2, v5, v3, vcc
	v_ashrrev_i32_e32 v3, 31, v2
	v_lshl_add_u64 v[12:13], v[2:3], 2, s[6:7]
	v_add_u32_e32 v2, v1, v4
	v_ashrrev_i32_e32 v2, 5, v2
	v_cmp_gt_i32_e32 vcc, s33, v1
	s_nop 1
	v_cndmask_b32_e32 v2, v5, v2, vcc
	v_ashrrev_i32_e32 v3, 31, v2
	v_lshl_add_u64 v[14:15], v[2:3], 2, s[6:7]
	global_load_dword v4, v[6:7], off
	global_load_dword v3, v[8:9], off
	;; [unrolled: 1-line block ×4, first 2 shown]
	s_andn2_b64 vcc, exec, s[12:13]
	s_cbranch_vccnz .LBB1065_8
; %bb.6:
	s_add_u32 s8, s8, s14
	s_addc_u32 s9, s9, s15
	s_load_dword s5, s[8:9], 0x0
	s_branch .LBB1065_9
.LBB1065_7:
	s_mov_b64 s[14:15], 0
	s_branch .LBB1065_2
.LBB1065_8:
	s_mov_b32 s5, s2
.LBB1065_9:
	s_load_dwordx2 s[8:9], s[0:1], 0x10
	s_load_dwordx4 s[44:47], s[0:1], 0x48
	v_lshrrev_b32_e32 v58, 6, v0
	v_bfe_u32 v1, v0, 4, 2
	v_and_b32_e32 v56, 15, v0
	v_lshl_or_b32 v5, v58, 2, v1
	v_lshlrev_b32_e32 v6, 3, v56
	s_lshl_b32 s11, s4, 1
	v_cmp_gt_u32_e32 vcc, 2, v5
	v_lshlrev_b32_e32 v54, 1, v6
	v_lshlrev_b32_e32 v57, 4, v0
	s_and_saveexec_b64 s[12:13], vcc
	s_cbranch_execz .LBB1065_11
; %bb.10:
	s_load_dwordx2 s[14:15], s[0:1], 0x0
	s_waitcnt lgkmcnt(0)
	s_ashr_i32 s20, s44, 31
	s_mul_hi_u32 s21, s5, s44
	s_mul_i32 s20, s5, s20
	s_add_i32 s21, s21, s20
	s_mul_i32 s20, s5, s44
	s_lshl_b64 s[20:21], s[20:21], 1
	s_add_u32 s14, s14, s20
	v_add_lshl_u32 v6, v1, s11, 7
	s_addc_u32 s15, s15, s21
	v_ashrrev_i32_e32 v7, 31, v6
	v_lshl_add_u64 v[6:7], v[6:7], 1, s[14:15]
	v_mov_b32_e32 v55, 0
	v_lshl_add_u64 v[6:7], v[6:7], 0, v[54:55]
	global_load_dwordx4 v[6:9], v[6:7], off
	v_lshlrev_b32_e32 v12, 8, v0
	v_lshlrev_b32_e32 v11, 8, v56
	v_and_b32_e32 v12, 0x600, v12
	s_movk_i32 s5, 0x800
	v_and_or_b32 v11, v11, s5, v12
	v_lshlrev_b32_e32 v5, 5, v5
	v_and_b32_e32 v12, 16, v57
	v_or3_b32 v5, v11, v5, v12
	s_waitcnt vmcnt(0)
	ds_write_b128 v5, v[6:9]
.LBB1065_11:
	s_or_b64 exec, exec, s[12:13]
	s_waitcnt lgkmcnt(0)
	s_mul_i32 s12, s4, s46
	s_add_u32 s4, s16, s12
	s_addc_u32 s5, s17, 0
	v_mov_b32_e32 v51, 0
	v_mov_b64_e32 v[12:13], s[4:5]
	v_and_b32_e32 v52, 48, v0
	s_waitcnt vmcnt(3)
	v_mad_i64_i32 v[4:5], s[4:5], v4, s45, v[12:13]
	v_lshlrev_b32_e32 v14, 4, v56
	v_mov_b32_e32 v15, v51
	v_lshlrev_b32_e32 v50, 5, v52
	v_lshl_add_u64 v[4:5], v[4:5], 0, v[14:15]
	v_lshl_add_u64 v[4:5], v[4:5], 0, v[50:51]
	s_barrier
	global_load_dwordx4 v[46:49], v[4:5], off
	global_load_dwordx4 v[34:37], v[4:5], off offset:2048
	s_waitcnt vmcnt(4)
	v_mad_i64_i32 v[4:5], s[4:5], v3, s45, v[12:13]
	v_or_b32_e32 v16, 0x100, v14
	v_mov_b32_e32 v17, v51
	s_waitcnt vmcnt(3)
	v_mad_i64_i32 v[2:3], s[4:5], v2, s45, v[12:13]
	s_waitcnt vmcnt(2)
	v_mad_i64_i32 v[10:11], s[4:5], v10, s45, v[12:13]
	v_lshl_add_u64 v[4:5], v[4:5], 0, v[16:17]
	v_lshl_add_u64 v[2:3], v[2:3], 0, v[14:15]
	;; [unrolled: 1-line block ×6, first 2 shown]
	global_load_dwordx4 v[38:41], v[4:5], off
	global_load_dwordx4 v[6:9], v[4:5], off offset:2048
	s_nop 0
	global_load_dwordx4 v[2:5], v[14:15], off
	global_load_dwordx4 v[42:45], v[14:15], off offset:2048
	global_load_dwordx4 v[26:29], v[10:11], off
	s_nop 0
	global_load_dwordx4 v[14:17], v[10:11], off offset:2048
	v_and_b32_e32 v10, 1, v0
	v_lshlrev_b32_e32 v10, 5, v10
	v_lshl_or_b32 v10, v1, 9, v10
	ds_read_b128 v[30:33], v10
	ds_read_b128 v[22:25], v10 offset:16
	ds_read_b128 v[18:21], v10 offset:2048
	;; [unrolled: 1-line block ×3, first 2 shown]
	v_and_b32_e32 v55, 63, v0
	v_cmp_gt_u32_e32 vcc, 2, v56
	v_mov_b32_e32 v59, 0
	s_and_saveexec_b64 s[4:5], vcc
	s_cbranch_execz .LBB1065_13
; %bb.12:
	s_load_dwordx2 s[14:15], s[0:1], 0x40
	v_or_b32_e32 v60, s11, v56
	v_ashrrev_i32_e32 v61, 31, v60
	s_waitcnt lgkmcnt(0)
	v_lshl_add_u64 v[60:61], v[60:61], 2, s[14:15]
	global_load_dword v59, v[60:61], off
.LBB1065_13:
	s_or_b64 exec, exec, s[4:5]
	s_ashr_i32 s4, s18, 31
	v_or_b32_e32 v50, s18, v52
	s_lshr_b32 s4, s4, 27
	v_add_u32_e32 v52, s4, v50
	v_or_b32_e32 v60, 64, v50
	v_ashrrev_i32_e32 v52, 5, v52
	v_mov_b32_e32 v66, s19
	v_cmp_gt_i32_e32 vcc, s33, v50
	v_add_u32_e32 v61, s4, v60
	v_ashrrev_i32_e32 v61, 5, v61
	v_cndmask_b32_e32 v52, v66, v52, vcc
	v_cmp_gt_i32_e32 vcc, s33, v60
	s_waitcnt vmcnt(7)
	v_cvt_pk_f32_fp8_sdwa v[62:63], v46 src0_sel:WORD_1
	v_ashrrev_i32_e32 v53, 31, v52
	v_cndmask_b32_e32 v60, v66, v61, vcc
	v_ashrrev_i32_e32 v61, 31, v60
	v_lshl_add_u64 v[64:65], v[60:61], 2, s[6:7]
	v_or_b32_e32 v60, 0x80, v50
	v_add_u32_e32 v61, s4, v60
	v_ashrrev_i32_e32 v61, 5, v61
	v_cmp_gt_i32_e32 vcc, s33, v60
	v_or_b32_e32 v50, 0xc0, v50
	v_cvt_pk_f32_fp8_sdwa v[72:73], v48 src0_sel:WORD_1
	v_cndmask_b32_e32 v60, v66, v61, vcc
	v_ashrrev_i32_e32 v61, 31, v60
	v_lshl_add_u64 v[70:71], v[60:61], 2, s[6:7]
	v_cvt_pk_f32_fp8_e32 v[60:61], v46
	v_add_u32_e32 v46, s4, v50
	v_ashrrev_i32_e32 v67, 5, v46
	v_cmp_gt_i32_e32 vcc, s33, v50
	v_cvt_pkrtz_f16_f32 v60, v60, v61
	v_cvt_pkrtz_f16_f32 v61, v62, v63
	v_cvt_pk_f32_fp8_e32 v[62:63], v47
	v_cvt_pk_f32_fp8_sdwa v[46:47], v47 src0_sel:WORD_1
	v_cndmask_b32_e32 v66, v66, v67, vcc
	v_lshl_add_u64 v[52:53], v[52:53], 2, s[6:7]
	v_cvt_pkrtz_f16_f32 v68, v62, v63
	v_cvt_pkrtz_f16_f32 v69, v46, v47
	s_waitcnt lgkmcnt(3)
	v_mfma_f32_16x16x16_f16 v[60:63], v[60:61], v[30:31], 0
	v_cvt_pk_f32_fp8_e32 v[46:47], v48
	v_ashrrev_i32_e32 v67, 31, v66
	v_lshl_add_u64 v[74:75], v[66:67], 2, s[6:7]
	v_mfma_f32_16x16x16_f16 v[66:69], v[68:69], v[32:33], v[60:63]
	s_nop 2
	global_load_dword v63, v[52:53], off
	s_nop 0
	global_load_dword v64, v[64:65], off
	;; [unrolled: 2-line block ×3, first 2 shown]
	global_load_dword v62, v[74:75], off
	v_cvt_pkrtz_f16_f32 v46, v46, v47
	v_cvt_pkrtz_f16_f32 v47, v72, v73
	v_cvt_pk_f32_fp8_e32 v[72:73], v49
	v_cvt_pk_f32_fp8_sdwa v[48:49], v49 src0_sel:WORD_1
	s_waitcnt vmcnt(10)
	v_cvt_pk_f32_fp8_sdwa v[70:71], v36 src0_sel:WORD_1
	s_waitcnt vmcnt(7)
	v_cvt_pk_f32_fp8_sdwa v[76:77], v5 src0_sel:WORD_1
	v_cvt_pkrtz_f16_f32 v52, v72, v73
	v_cvt_pkrtz_f16_f32 v53, v48, v49
	s_waitcnt lgkmcnt(2)
	v_mfma_f32_16x16x16_f16 v[46:49], v[46:47], v[22:23], v[66:69]
	v_cvt_pk_f32_fp8_sdwa v[72:73], v4 src0_sel:WORD_1
	s_add_u32 s4, s8, s12
	s_addc_u32 s5, s9, 0
	v_cvt_pk_f32_fp8_e32 v[66:67], v34
	v_cvt_pk_f32_fp8_sdwa v[68:69], v34 src0_sel:WORD_1
	v_mfma_f32_16x16x16_f16 v[46:49], v[52:53], v[24:25], v[46:49]
	v_cvt_pk_f32_fp8_e32 v[52:53], v35
	v_cvt_pkrtz_f16_f32 v66, v66, v67
	v_cvt_pkrtz_f16_f32 v67, v68, v69
	v_cvt_pk_f32_fp8_sdwa v[34:35], v35 src0_sel:WORD_1
	v_cvt_pkrtz_f16_f32 v52, v52, v53
	v_cvt_pk_f32_fp8_e32 v[68:69], v36
	s_waitcnt lgkmcnt(1)
	v_mfma_f32_16x16x16_f16 v[46:49], v[66:67], v[18:19], v[46:49]
	v_cvt_pkrtz_f16_f32 v53, v34, v35
	v_cvt_pkrtz_f16_f32 v66, v68, v69
	;; [unrolled: 1-line block ×3, first 2 shown]
	v_cvt_pk_f32_fp8_e32 v[68:69], v37
	v_cvt_pk_f32_fp8_sdwa v[70:71], v37 src0_sel:WORD_1
	v_mfma_f32_16x16x16_f16 v[34:37], v[52:53], v[20:21], v[46:49]
	v_cvt_pk_f32_fp8_sdwa v[52:53], v38 src0_sel:WORD_1
	v_and_b32_e32 v50, 16, v0
	v_lshl_or_b32 v60, v58, 4, v56
	v_cvt_pkrtz_f16_f32 v46, v68, v69
	v_cvt_pkrtz_f16_f32 v47, v70, v71
	s_waitcnt lgkmcnt(0)
	v_mfma_f32_16x16x16_f16 v[34:37], v[66:67], v[10:11], v[34:37]
	v_cvt_pk_f32_fp8_e32 v[48:49], v38
	v_cvt_pk_f32_fp8_e32 v[66:67], v40
	v_cvt_pk_f32_fp8_sdwa v[68:69], v40 src0_sel:WORD_1
	v_mfma_f32_16x16x16_f16 v[34:37], v[46:47], v[12:13], v[34:37]
	v_cvt_pk_f32_fp8_e32 v[46:47], v39
	v_cvt_pkrtz_f16_f32 v48, v48, v49
	v_cvt_pkrtz_f16_f32 v49, v52, v53
	v_cvt_pk_f32_fp8_sdwa v[38:39], v39 src0_sel:WORD_1
	v_cvt_pkrtz_f16_f32 v52, v46, v47
	v_mfma_f32_16x16x16_f16 v[46:49], v[48:49], v[30:31], 0
	v_cvt_pkrtz_f16_f32 v53, v38, v39
	v_cvt_pkrtz_f16_f32 v66, v66, v67
	;; [unrolled: 1-line block ×3, first 2 shown]
	v_cvt_pk_f32_fp8_e32 v[68:69], v41
	v_cvt_pk_f32_fp8_sdwa v[70:71], v41 src0_sel:WORD_1
	v_mfma_f32_16x16x16_f16 v[38:41], v[52:53], v[32:33], v[46:49]
	v_cvt_pk_f32_fp8_e32 v[52:53], v6
	v_cvt_pkrtz_f16_f32 v52, v52, v53
	s_nop 0
	v_cvt_pkrtz_f16_f32 v48, v68, v69
	v_cvt_pkrtz_f16_f32 v49, v70, v71
	v_mfma_f32_16x16x16_f16 v[38:41], v[66:67], v[22:23], v[38:41]
	v_cvt_pk_f32_fp8_sdwa v[66:67], v6 src0_sel:WORD_1
	v_cvt_pk_f32_fp8_sdwa v[68:69], v8 src0_sel:WORD_1
	v_lshl_add_u64 v[46:47], s[4:5], 0, v[50:51]
	v_mfma_f32_16x16x16_f16 v[38:41], v[48:49], v[24:25], v[38:41]
	v_cvt_pk_f32_fp8_e32 v[48:49], v7
	v_cvt_pkrtz_f16_f32 v53, v66, v67
	v_cvt_pk_f32_fp8_sdwa v[6:7], v7 src0_sel:WORD_1
	v_cvt_pk_f32_fp8_e32 v[66:67], v8
	v_cvt_pkrtz_f16_f32 v48, v48, v49
	v_mfma_f32_16x16x16_f16 v[38:41], v[52:53], v[18:19], v[38:41]
	v_cvt_pkrtz_f16_f32 v49, v6, v7
	v_cvt_pkrtz_f16_f32 v52, v66, v67
	;; [unrolled: 1-line block ×3, first 2 shown]
	v_cvt_pk_f32_fp8_e32 v[66:67], v9
	v_cvt_pk_f32_fp8_sdwa v[68:69], v9 src0_sel:WORD_1
	v_mfma_f32_16x16x16_f16 v[6:9], v[48:49], v[20:21], v[38:41]
	v_cvt_pk_f32_fp8_e32 v[48:49], v2
	v_lshlrev_b32_e32 v50, 5, v60
	v_lshl_add_u64 v[70:71], v[46:47], 0, v[50:51]
	v_cvt_pkrtz_f16_f32 v38, v66, v67
	v_cvt_pkrtz_f16_f32 v39, v68, v69
	v_mfma_f32_16x16x16_f16 v[6:9], v[52:53], v[10:11], v[6:9]
	v_cvt_pk_f32_fp8_sdwa v[52:53], v2 src0_sel:WORD_1
	s_waitcnt vmcnt(2)
	v_mad_i64_i32 v[74:75], s[4:5], v64, s45, v[70:71]
	v_mfma_f32_16x16x16_f16 v[38:41], v[38:39], v[12:13], v[6:9]
	v_or_b32_e32 v50, 0x800, v50
	v_lshl_add_u64 v[46:47], v[46:47], 0, v[50:51]
	s_nop 0
	v_cvt_pkrtz_f16_f32 v6, v48, v49
	v_cvt_pkrtz_f16_f32 v7, v52, v53
	v_cvt_pk_f32_fp8_e32 v[8:9], v3
	v_cvt_pk_f32_fp8_sdwa v[2:3], v3 src0_sel:WORD_1
	v_mad_i64_i32 v[48:49], s[4:5], v63, s45, v[70:71]
	v_cvt_pkrtz_f16_f32 v52, v8, v9
	v_cvt_pkrtz_f16_f32 v53, v2, v3
	v_mfma_f32_16x16x16_f16 v[6:9], v[6:7], v[30:31], 0
	v_cvt_pk_f32_fp8_e32 v[2:3], v4
	v_mfma_f32_16x16x16_f16 v[66:69], v[52:53], v[32:33], v[6:9]
	v_cvt_pkrtz_f16_f32 v52, v2, v3
	v_cvt_pkrtz_f16_f32 v53, v72, v73
	v_cvt_pk_f32_fp8_e32 v[72:73], v5
	s_nop 1
	global_load_dwordx4 v[6:9], v[48:49], off
	global_load_dwordx4 v[2:5], v[74:75], off
	v_mfma_f32_16x16x16_f16 v[66:69], v[52:53], v[22:23], v[66:69]
	v_cvt_pkrtz_f16_f32 v72, v72, v73
	v_cvt_pkrtz_f16_f32 v73, v76, v77
	s_waitcnt vmcnt(3)
	v_mad_i64_i32 v[48:49], s[4:5], v61, s45, v[70:71]
	s_waitcnt vmcnt(2)
	v_mad_i64_i32 v[52:53], s[4:5], v62, s45, v[70:71]
	v_mfma_f32_16x16x16_f16 v[66:69], v[72:73], v[24:25], v[66:69]
	v_cvt_pk_f32_fp8_e32 v[70:71], v42
	v_cvt_pk_f32_fp8_sdwa v[72:73], v42 src0_sel:WORD_1
	v_cvt_pk_f32_fp8_e32 v[74:75], v43
	v_cvt_pk_f32_fp8_sdwa v[42:43], v43 src0_sel:WORD_1
	v_cvt_pkrtz_f16_f32 v70, v70, v71
	v_cvt_pkrtz_f16_f32 v71, v72, v73
	;; [unrolled: 1-line block ×4, first 2 shown]
	v_cvt_pk_f32_fp8_e32 v[42:43], v44
	v_cvt_pk_f32_fp8_sdwa v[74:75], v44 src0_sel:WORD_1
	v_mfma_f32_16x16x16_f16 v[66:69], v[70:71], v[18:19], v[66:69]
	v_cvt_pk_f32_fp8_sdwa v[76:77], v45 src0_sel:WORD_1
	v_cvt_pkrtz_f16_f32 v70, v42, v43
	v_cvt_pkrtz_f16_f32 v71, v74, v75
	v_cvt_pk_f32_fp8_e32 v[74:75], v45
	v_mfma_f32_16x16x16_f16 v[42:45], v[72:73], v[20:21], v[66:69]
	v_cvt_pkrtz_f16_f32 v51, v76, v77
	v_cvt_pk_f32_fp8_sdwa v[72:73], v26 src0_sel:WORD_1
	v_cvt_pkrtz_f16_f32 v50, v74, v75
	v_mfma_f32_16x16x16_f16 v[42:45], v[70:71], v[10:11], v[42:45]
	v_cvt_pk_f32_fp8_e32 v[70:71], v26
	s_load_dword s4, s[0:1], 0x1c
	s_load_dwordx4 s[40:43], s[0:1], 0x80
	s_load_dword s44, s[0:1], 0x98
	s_waitcnt lgkmcnt(0)
	s_load_dword s5, s[40:41], 0x0
	v_mfma_f32_16x16x16_f16 v[66:69], v[50:51], v[12:13], v[42:45]
	s_mov_b32 s40, 0xff7fffff
	s_nop 1
	v_cvt_pk_f32_fp8_e32 v[42:43], v27
	v_cvt_pkrtz_f16_f32 v44, v70, v71
	v_cvt_pkrtz_f16_f32 v45, v72, v73
	v_cvt_pk_f32_fp8_sdwa v[26:27], v27 src0_sel:WORD_1
	v_cvt_pkrtz_f16_f32 v50, v42, v43
	v_cvt_pk_f32_fp8_e32 v[70:71], v28
	v_cvt_pk_f32_fp8_sdwa v[72:73], v28 src0_sel:WORD_1
	v_cvt_pkrtz_f16_f32 v51, v26, v27
	v_mfma_f32_16x16x16_f16 v[42:45], v[44:45], v[30:31], 0
	v_cvt_pkrtz_f16_f32 v30, v70, v71
	v_cvt_pkrtz_f16_f32 v31, v72, v73
	v_cvt_pk_f32_fp8_e32 v[70:71], v29
	v_cvt_pk_f32_fp8_sdwa v[72:73], v29 src0_sel:WORD_1
	v_mfma_f32_16x16x16_f16 v[26:29], v[50:51], v[32:33], v[42:45]
	v_cvt_pkrtz_f16_f32 v32, v70, v71
	v_cvt_pkrtz_f16_f32 v33, v72, v73
	v_mfma_f32_16x16x16_f16 v[26:29], v[30:31], v[22:23], v[26:29]
	v_mov_b32_e32 v42, s4
	s_waitcnt lgkmcnt(0)
	v_mul_f32_e32 v50, s5, v42
	v_pk_mul_f32 v[30:31], v[50:51], v[34:35] op_sel_hi:[0,1]
	v_mfma_f32_16x16x16_f16 v[32:35], v[32:33], v[24:25], v[26:29]
	v_cvt_pk_f32_fp8_e32 v[22:23], v14
	v_cvt_pk_f32_fp8_sdwa v[24:25], v14 src0_sel:WORD_1
	v_pk_mul_f32 v[42:43], v[50:51], v[36:37] op_sel_hi:[0,1]
	v_cvt_pk_f32_fp8_e32 v[26:27], v15
	v_cvt_pk_f32_fp8_sdwa v[14:15], v15 src0_sel:WORD_1
	v_cvt_pkrtz_f16_f32 v36, v22, v23
	v_cvt_pkrtz_f16_f32 v37, v24, v25
	;; [unrolled: 1-line block ×4, first 2 shown]
	v_cvt_pk_f32_fp8_e32 v[14:15], v16
	v_cvt_pk_f32_fp8_sdwa v[70:71], v16 src0_sel:WORD_1
	v_mfma_f32_16x16x16_f16 v[32:35], v[36:37], v[18:19], v[32:35]
	global_load_dwordx4 v[26:29], v[48:49], off
	global_load_dwordx4 v[22:25], v[52:53], off
	v_cvt_pkrtz_f16_f32 v18, v14, v15
	v_cvt_pkrtz_f16_f32 v19, v70, v71
	v_cvt_pk_f32_fp8_e32 v[36:37], v17
	v_cvt_pk_f32_fp8_sdwa v[48:49], v17 src0_sel:WORD_1
	v_mfma_f32_16x16x16_f16 v[14:17], v[44:45], v[20:21], v[32:35]
	v_pk_mul_f32 v[44:45], v[50:51], v[40:41] op_sel_hi:[0,1]
	v_cvt_pkrtz_f16_f32 v20, v36, v37
	v_cvt_pkrtz_f16_f32 v21, v48, v49
	v_mfma_f32_16x16x16_f16 v[14:17], v[18:19], v[10:11], v[14:17]
	v_pk_mul_f32 v[48:49], v[50:51], v[38:39] op_sel_hi:[0,1]
	v_pk_mul_f32 v[38:39], v[50:51], v[68:69] op_sel_hi:[0,1]
	;; [unrolled: 1-line block ×3, first 2 shown]
	v_mfma_f32_16x16x16_f16 v[10:13], v[20:21], v[12:13], v[14:17]
	s_nop 6
	v_pk_mul_f32 v[36:37], v[50:51], v[10:11] op_sel_hi:[0,1]
	v_and_b32_e32 v10, 0xc0, v0
	v_add_u32_e32 v10, s18, v10
	v_lshl_or_b32 v10, v1, 2, v10
	v_or_b32_e32 v11, 1, v10
	v_pk_mul_f32 v[34:35], v[50:51], v[12:13] op_sel_hi:[0,1]
	v_subrev_u32_e32 v12, s33, v11
	v_add_u32_e32 v14, 1, v12
	v_add_u32_e32 v15, 2, v12
	v_cvt_f32_i32_e32 v13, v12
	v_cvt_f32_i32_e32 v14, v14
	;; [unrolled: 1-line block ×3, first 2 shown]
	v_add_u32_e32 v16, 3, v12
	v_fma_f32 v17, v59, v13, v30
	v_fmac_f32_e32 v31, v59, v14
	v_fma_f32 v42, v59, v15, v42
	v_add_u32_e32 v13, 16, v12
	v_add_u32_e32 v14, 17, v12
	;; [unrolled: 1-line block ×3, first 2 shown]
	v_cvt_f32_i32_e32 v16, v16
	v_cvt_f32_i32_e32 v13, v13
	;; [unrolled: 1-line block ×4, first 2 shown]
	v_fmac_f32_e32 v43, v59, v16
	v_add_u32_e32 v16, 19, v12
	v_fma_f32 v52, v59, v13, v48
	v_fmac_f32_e32 v49, v59, v14
	v_fma_f32 v44, v59, v15, v44
	v_add_u32_e32 v13, 32, v12
	v_add_u32_e32 v14, 33, v12
	;; [unrolled: 1-line block ×3, first 2 shown]
	v_cvt_f32_i32_e32 v16, v16
	v_cvt_f32_i32_e32 v13, v13
	v_cvt_f32_i32_e32 v14, v14
	v_cvt_f32_i32_e32 v15, v15
	v_fmac_f32_e32 v45, v59, v16
	v_add_u32_e32 v16, 35, v12
	v_fma_f32 v40, v59, v13, v40
	v_fmac_f32_e32 v41, v59, v14
	v_fma_f32 v38, v59, v15, v38
	v_add_u32_e32 v13, 48, v12
	v_add_u32_e32 v14, 49, v12
	v_add_u32_e32 v15, 50, v12
	v_add_u32_e32 v12, 51, v12
	v_cvt_f32_i32_e32 v12, v12
	v_cvt_f32_i32_e32 v13, v13
	;; [unrolled: 1-line block ×3, first 2 shown]
	v_cmp_gt_i32_e64 s[12:13], s33, v10
	v_fmac_f32_e32 v35, v59, v12
	v_mov_b32_e32 v12, 0xff7fffff
	v_cmp_gt_i32_e64 s[14:15], s33, v11
	v_fma_f32 v36, v59, v13, v36
	v_cndmask_b32_e64 v13, v12, v17, s[12:13]
	v_cndmask_b32_e64 v11, v12, v31, s[14:15]
	v_fmac_f32_e32 v37, v59, v14
	v_max3_f32 v11, v13, s40, v11
	v_or_b32_e32 v13, 2, v10
	v_or_b32_e32 v14, 3, v10
	v_cmp_gt_i32_e64 s[16:17], s33, v13
	v_cmp_gt_i32_e64 s[18:19], s33, v14
	v_cvt_f32_i32_e32 v16, v16
	v_cndmask_b32_e64 v13, v12, v42, s[16:17]
	v_cndmask_b32_e64 v14, v12, v43, s[18:19]
	v_max3_f32 v11, v11, v13, v14
	v_or_b32_e32 v13, 16, v10
	v_or_b32_e32 v14, 17, v10
	v_cmp_gt_i32_e64 s[20:21], s33, v13
	v_cmp_gt_i32_e64 s[22:23], s33, v14
	v_fmac_f32_e32 v39, v59, v16
	v_cndmask_b32_e64 v13, v12, v52, s[20:21]
	v_cndmask_b32_e64 v14, v12, v49, s[22:23]
	v_max3_f32 v11, v11, v13, v14
	v_or_b32_e32 v13, 18, v10
	v_or_b32_e32 v14, 19, v10
	v_cmp_gt_i32_e64 s[24:25], s33, v13
	v_cmp_gt_i32_e64 s[26:27], s33, v14
	v_cvt_f32_i32_e32 v15, v15
	v_cndmask_b32_e64 v13, v12, v44, s[24:25]
	v_cndmask_b32_e64 v14, v12, v45, s[26:27]
	v_max3_f32 v11, v11, v13, v14
	v_or_b32_e32 v13, 32, v10
	v_or_b32_e32 v14, 33, v10
	v_cmp_gt_i32_e64 s[28:29], s33, v13
	v_cmp_gt_i32_e64 s[30:31], s33, v14
	v_fma_f32 v34, v59, v15, v34
	v_cndmask_b32_e64 v13, v12, v40, s[28:29]
	v_cndmask_b32_e64 v14, v12, v41, s[30:31]
	v_max3_f32 v11, v11, v13, v14
	v_or_b32_e32 v13, 34, v10
	v_or_b32_e32 v14, 35, v10
	v_cmp_gt_i32_e64 s[34:35], s33, v13
	v_cmp_gt_i32_e64 s[36:37], s33, v14
	s_nop 0
	v_cndmask_b32_e64 v13, v12, v38, s[34:35]
	v_cndmask_b32_e64 v14, v12, v39, s[36:37]
	v_max3_f32 v11, v11, v13, v14
	v_or_b32_e32 v13, 48, v10
	v_or_b32_e32 v14, 49, v10
	v_cmp_gt_i32_e64 s[6:7], s33, v13
	v_cmp_gt_i32_e64 s[8:9], s33, v14
	s_nop 0
	v_cndmask_b32_e64 v13, v12, v36, s[6:7]
	v_cndmask_b32_e64 v14, v12, v37, s[8:9]
	v_max3_f32 v11, v11, v13, v14
	v_or_b32_e32 v13, 50, v10
	v_or_b32_e32 v10, 51, v10
	v_cmp_gt_i32_e32 vcc, s33, v13
	v_cmp_gt_i32_e64 s[4:5], s33, v10
	s_nop 0
	v_cndmask_b32_e32 v13, v12, v34, vcc
	v_cndmask_b32_e64 v10, v12, v35, s[4:5]
	v_max3_f32 v14, v11, v13, v10
	v_mbcnt_lo_u32_b32 v10, -1, 0
	v_mbcnt_hi_u32_b32 v15, -1, v10
	v_and_b32_e32 v10, 64, v15
	v_add_u32_e32 v16, 64, v10
	v_xor_b32_e32 v10, 32, v15
	v_cmp_lt_i32_e64 s[38:39], v10, v16
	s_nop 1
	v_cndmask_b32_e64 v10, v15, v10, s[38:39]
	v_lshlrev_b32_e32 v53, 2, v10
	ds_bpermute_b32 v18, v53, v14
	v_mad_i64_i32 v[10:11], s[38:39], v63, s45, v[46:47]
	v_mad_i64_i32 v[12:13], s[38:39], v64, s45, v[46:47]
	s_waitcnt lgkmcnt(0)
	v_max_f32_e32 v18, v18, v18
	v_max_f32_e32 v18, v14, v18
	v_xor_b32_e32 v14, 16, v15
	v_cmp_lt_i32_e64 s[38:39], v14, v16
	s_nop 1
	v_cndmask_b32_e64 v14, v15, v14, s[38:39]
	v_lshlrev_b32_e32 v59, 2, v14
	ds_bpermute_b32 v16, v59, v18
	v_mad_i64_i32 v[14:15], s[38:39], v61, s45, v[46:47]
	v_mad_i64_i32 v[46:47], s[38:39], v62, s45, v[46:47]
	s_waitcnt lgkmcnt(0)
	v_max_f32_e32 v16, v16, v16
	v_max_f32_e32 v48, v18, v16
	v_sub_f32_e32 v16, v31, v48
	global_load_dwordx4 v[30:33], v[10:11], off
	global_load_dwordx4 v[18:21], v[12:13], off
	v_sub_f32_e32 v10, v17, v48
	v_mul_f32_e32 v10, 0x3fb8aa3b, v10
	v_exp_f32_e32 v50, v10
	v_mul_f32_e32 v10, 0x3fb8aa3b, v16
	v_exp_f32_e32 v51, v10
	v_sub_f32_e32 v10, v42, v48
	v_mul_f32_e32 v10, 0x3fb8aa3b, v10
	v_exp_f32_e32 v42, v10
	v_sub_f32_e32 v10, v43, v48
	v_mul_f32_e32 v10, 0x3fb8aa3b, v10
	v_exp_f32_e32 v43, v10
	global_load_dwordx4 v[14:17], v[14:15], off
	s_nop 0
	global_load_dwordx4 v[10:13], v[46:47], off
	v_sub_f32_e32 v40, v40, v48
	v_sub_f32_e32 v38, v38, v48
	v_mul_f32_e32 v40, 0x3fb8aa3b, v40
	v_mul_f32_e32 v38, 0x3fb8aa3b, v38
	v_cndmask_b32_e64 v47, 0, v51, s[14:15]
	v_cndmask_b32_e64 v51, 0, v43, s[18:19]
	v_sub_f32_e32 v43, v49, v48
	v_exp_f32_e32 v40, v40
	v_exp_f32_e32 v49, v38
	v_cndmask_b32_e64 v46, 0, v50, s[12:13]
	v_cndmask_b32_e64 v50, 0, v42, s[16:17]
	v_sub_f32_e32 v42, v52, v48
	v_mul_f32_e32 v42, 0x3fb8aa3b, v42
	v_sub_f32_e32 v38, v39, v48
	v_exp_f32_e32 v42, v42
	v_mul_f32_e32 v43, 0x3fb8aa3b, v43
	v_sub_f32_e32 v44, v44, v48
	v_mul_f32_e32 v38, 0x3fb8aa3b, v38
	v_exp_f32_e32 v43, v43
	v_mul_f32_e32 v44, 0x3fb8aa3b, v44
	v_sub_f32_e32 v45, v45, v48
	v_exp_f32_e32 v52, v38
	v_cndmask_b32_e64 v38, 0, v40, s[28:29]
	v_cndmask_b32_e64 v40, 0, v49, s[34:35]
	v_add_f32_e32 v49, 0, v46
	v_exp_f32_e32 v44, v44
	v_mul_f32_e32 v45, 0x3fb8aa3b, v45
	v_add_f32_e32 v49, v49, v47
	v_exp_f32_e32 v45, v45
	v_sub_f32_e32 v41, v41, v48
	v_add_f32_e32 v49, v49, v50
	v_cndmask_b32_e64 v42, 0, v42, s[20:21]
	v_mul_f32_e32 v41, 0x3fb8aa3b, v41
	v_add_f32_e32 v49, v49, v51
	v_cndmask_b32_e64 v43, 0, v43, s[22:23]
	v_exp_f32_e32 v41, v41
	v_add_f32_e32 v49, v49, v42
	v_cndmask_b32_e64 v44, 0, v44, s[24:25]
	v_add_f32_e32 v49, v49, v43
	v_sub_f32_e32 v36, v36, v48
	v_cndmask_b32_e64 v45, 0, v45, s[26:27]
	v_add_f32_e32 v49, v49, v44
	v_mul_f32_e32 v36, 0x3fb8aa3b, v36
	v_sub_f32_e32 v37, v37, v48
	v_add_f32_e32 v49, v49, v45
	v_exp_f32_e32 v36, v36
	v_mul_f32_e32 v37, 0x3fb8aa3b, v37
	v_sub_f32_e32 v34, v34, v48
	v_cndmask_b32_e64 v39, 0, v41, s[30:31]
	v_add_f32_e32 v49, v49, v38
	v_exp_f32_e32 v37, v37
	v_mul_f32_e32 v34, 0x3fb8aa3b, v34
	v_sub_f32_e32 v35, v35, v48
	v_add_f32_e32 v49, v49, v39
	v_exp_f32_e32 v34, v34
	v_mul_f32_e32 v35, 0x3fb8aa3b, v35
	v_cndmask_b32_e64 v41, 0, v52, s[36:37]
	v_add_f32_e32 v49, v49, v40
	v_exp_f32_e32 v35, v35
	v_add_f32_e32 v49, v49, v41
	v_cndmask_b32_e64 v36, 0, v36, s[6:7]
	v_add_f32_e32 v49, v49, v36
	v_cndmask_b32_e64 v37, 0, v37, s[8:9]
	v_add_f32_e32 v49, v49, v37
	v_cndmask_b32_e32 v34, 0, v34, vcc
	v_add_f32_e32 v49, v49, v34
	v_cndmask_b32_e64 v35, 0, v35, s[4:5]
	v_add_f32_e32 v49, v49, v35
	ds_bpermute_b32 v52, v53, v49
	v_cmp_gt_u32_e32 vcc, 16, v55
	s_waitcnt lgkmcnt(0)
	s_barrier
	v_add_f32_e32 v49, v49, v52
	ds_bpermute_b32 v52, v59, v49
	s_and_saveexec_b64 s[4:5], vcc
	s_cbranch_execz .LBB1065_15
; %bb.14:
	s_waitcnt lgkmcnt(0)
	v_add_f32_e32 v49, v49, v52
	v_lshlrev_b32_e32 v52, 2, v60
	ds_write2st64_b32 v52, v48, v49 offset1:1
.LBB1065_15:
	s_or_b64 exec, exec, s[4:5]
	v_lshlrev_b32_e32 v49, 2, v56
	s_load_dword s6, s[0:1], 0x94
	s_waitcnt lgkmcnt(0)
	s_barrier
	ds_read2_b32 v[52:53], v49 offset1:16
	ds_read2_b32 v[60:61], v49 offset0:32 offset1:48
	ds_read2_b32 v[62:63], v49 offset0:64 offset1:80
	s_lshl_b32 s7, s44, 1
	s_waitcnt lgkmcnt(2)
	v_max3_f32 v48, v52, s40, v53
	s_waitcnt lgkmcnt(1)
	v_max3_f32 v48, v48, v60, v61
	v_sub_f32_e32 v52, v52, v48
	v_mul_f32_e32 v52, 0x3fb8aa3b, v52
	v_exp_f32_e32 v59, v52
	v_sub_f32_e32 v52, v53, v48
	v_mul_f32_e32 v52, 0x3fb8aa3b, v52
	v_exp_f32_e32 v64, v52
	;; [unrolled: 3-line block ×3, first 2 shown]
	ds_read2_b32 v[52:53], v49 offset0:96 offset1:112
	v_sub_f32_e32 v49, v61, v48
	v_mul_f32_e32 v49, 0x3fb8aa3b, v49
	v_exp_f32_e32 v61, v49
	s_waitcnt lgkmcnt(1)
	v_fma_f32 v49, v59, v62, 0
	v_fmac_f32_e32 v49, v64, v63
	s_waitcnt lgkmcnt(0)
	v_fmac_f32_e32 v49, v60, v52
	v_fmac_f32_e32 v49, v61, v53
	v_add_f32_e32 v52, 0x358637bd, v49
	v_div_scale_f32 v53, s[4:5], v52, v52, 1.0
	v_rcp_f32_e32 v62, v53
	s_barrier
	v_fma_f32 v63, -v53, v62, 1.0
	v_fmac_f32_e32 v62, v63, v62
	v_div_scale_f32 v63, vcc, 1.0, v52, 1.0
	v_mul_f32_e32 v65, v63, v62
	v_fma_f32 v66, -v53, v65, v63
	v_fmac_f32_e32 v65, v66, v62
	v_fma_f32 v53, -v53, v65, v63
	v_div_fmas_f32 v53, v53, v62, v65
	v_cmp_eq_u32_e32 vcc, 1, v58
	v_div_fixup_f32 v52, v53, v52, 1.0
	s_nop 0
	v_cndmask_b32_e32 v53, v59, v64, vcc
	v_cmp_eq_u32_e32 vcc, 2, v58
	s_nop 1
	v_cndmask_b32_e32 v53, v53, v60, vcc
	v_cmp_eq_u32_e32 vcc, 3, v58
	s_nop 1
	v_cndmask_b32_e32 v53, v53, v61, vcc
	v_mul_f32_e32 v52, v53, v52
	v_pk_mul_f32 v[50:51], v[52:53], v[50:51] op_sel_hi:[0,1]
	v_pk_mul_f32 v[46:47], v[52:53], v[46:47] op_sel_hi:[0,1]
	v_cvt_f16_f32_e32 v53, v50
	v_cvt_f16_f32_e32 v46, v46
	;; [unrolled: 1-line block ×4, first 2 shown]
	v_pk_mul_f32 v[44:45], v[52:53], v[44:45] op_sel_hi:[0,1]
	v_pk_mul_f32 v[42:43], v[52:53], v[42:43] op_sel_hi:[0,1]
	v_cvt_f16_f32_e32 v42, v42
	v_cvt_f16_f32_e32 v43, v43
	;; [unrolled: 1-line block ×4, first 2 shown]
	v_pack_b32_f16 v50, v46, v47
	v_pack_b32_f16 v51, v53, v51
	v_lshlrev_b32_e32 v47, 3, v1
	v_lshlrev_b32_e32 v46, 5, v56
	;; [unrolled: 1-line block ×3, first 2 shown]
	v_or3_b32 v58, v53, v46, v47
	v_pack_b32_f16 v42, v42, v43
	v_pack_b32_f16 v43, v44, v45
	v_pk_mul_f32 v[40:41], v[52:53], v[40:41] op_sel_hi:[0,1]
	v_pk_mul_f32 v[38:39], v[52:53], v[38:39] op_sel_hi:[0,1]
	;; [unrolled: 1-line block ×4, first 2 shown]
	ds_write2st64_b64 v58, v[50:51], v[42:43] offset1:1
	v_cvt_f16_f32_e32 v38, v38
	v_cvt_f16_f32_e32 v39, v39
	;; [unrolled: 1-line block ×8, first 2 shown]
	v_pack_b32_f16 v34, v38, v39
	v_pack_b32_f16 v35, v40, v41
	;; [unrolled: 1-line block ×4, first 2 shown]
	v_cmp_gt_u32_e32 vcc, 2, v0
	ds_write2st64_b64 v58, v[34:35], v[36:37] offset0:2 offset1:3
	s_and_saveexec_b64 s[4:5], vcc
	s_cbranch_execz .LBB1065_17
; %bb.16:
	v_or_b32_e32 v34, s11, v0
	v_mov_b32_e32 v35, 0
	v_mov_b32_e32 v36, s7
	v_mad_u64_u32 v[36:37], s[8:9], s2, v36, v[34:35]
	v_mov_b32_e32 v34, s10
	s_load_dwordx4 s[12:15], s[0:1], 0x58
	s_mul_i32 s3, s3, s7
	v_mad_u64_u32 v[34:35], s[8:9], v36, s6, v[34:35]
	v_add_u32_e32 v37, s3, v37
	v_mov_b32_e32 v36, v35
	v_mad_u64_u32 v[36:37], s[8:9], v37, s6, v[36:37]
	v_mov_b32_e32 v35, v36
	v_lshlrev_b64 v[34:35], 2, v[34:35]
	s_waitcnt lgkmcnt(0)
	v_lshl_add_u64 v[36:37], s[14:15], 0, v[34:35]
	v_lshl_add_u64 v[34:35], s[12:13], 0, v[34:35]
	global_store_dword v[36:37], v48, off
	global_store_dword v[34:35], v49, off
.LBB1065_17:
	s_or_b64 exec, exec, s[4:5]
	s_waitcnt vmcnt(7)
	v_cvt_pk_f32_fp8_e32 v[34:35], v6
	v_cvt_pk_f32_fp8_sdwa v[36:37], v6 src0_sel:WORD_1
	v_lshl_or_b32 v50, v1, 9, v46
	s_waitcnt lgkmcnt(0)
	s_barrier
	v_cvt_pk_f32_fp8_e32 v[38:39], v7
	v_cvt_pkrtz_f16_f32 v6, v34, v35
	v_cvt_pk_f32_fp8_sdwa v[40:41], v7 src0_sel:WORD_1
	v_cvt_pkrtz_f16_f32 v7, v36, v37
	ds_read_b128 v[34:37], v50
	v_cvt_pkrtz_f16_f32 v46, v38, v39
	v_cvt_pkrtz_f16_f32 v47, v40, v41
	ds_read_b128 v[38:41], v50 offset:16
	v_cvt_pk_f32_fp8_e32 v[48:49], v8
	v_cvt_pk_f32_fp8_sdwa v[52:53], v8 src0_sel:WORD_1
	s_waitcnt lgkmcnt(1)
	v_mfma_f32_16x16x16_f16 v[42:45], v[6:7], v[34:35], 0
	s_waitcnt vmcnt(6)
	v_cvt_pk_f32_fp8_e32 v[60:61], v4
	v_cvt_pkrtz_f16_f32 v6, v48, v49
	v_cvt_pkrtz_f16_f32 v7, v52, v53
	v_cvt_pk_f32_fp8_e32 v[48:49], v9
	v_mfma_f32_16x16x16_f16 v[42:45], v[46:47], v[36:37], v[42:45]
	v_cvt_pk_f32_fp8_sdwa v[46:47], v9 src0_sel:WORD_1
	v_cvt_pk_f32_fp8_sdwa v[62:63], v4 src0_sel:WORD_1
	v_cvt_pkrtz_f16_f32 v48, v48, v49
	s_waitcnt lgkmcnt(0)
	v_mfma_f32_16x16x16_f16 v[6:9], v[6:7], v[38:39], v[42:45]
	v_cvt_pkrtz_f16_f32 v49, v46, v47
	s_waitcnt vmcnt(5)
	v_cvt_pk_f32_fp8_e32 v[64:65], v28
	v_cvt_pk_f32_fp8_sdwa v[66:67], v28 src0_sel:WORD_1
	v_cvt_pk_f32_fp8_e32 v[42:43], v2
	v_mfma_f32_16x16x16_f16 v[46:49], v[48:49], v[40:41], v[6:9]
	s_waitcnt vmcnt(4)
	v_cvt_pk_f32_fp8_sdwa v[68:69], v24 src0_sel:WORD_1
	s_load_dword s4, s[42:43], 0x0
	v_cvt_pk_f32_fp8_sdwa v[6:7], v2 src0_sel:WORD_1
	v_cvt_pk_f32_fp8_e32 v[8:9], v3
	v_cvt_pkrtz_f16_f32 v2, v42, v43
	v_cvt_pk_f32_fp8_sdwa v[42:43], v3 src0_sel:WORD_1
	v_cvt_pkrtz_f16_f32 v3, v6, v7
	v_cvt_pkrtz_f16_f32 v52, v8, v9
	ds_read_b128 v[6:9], v50 offset:2048
	v_cvt_pkrtz_f16_f32 v53, v42, v43
	ds_read_b128 v[42:45], v50 offset:2064
	s_waitcnt lgkmcnt(0)
	v_mfma_f32_16x16x16_f16 v[46:49], v[2:3], v[6:7], v[46:49]
	v_cvt_pkrtz_f16_f32 v2, v60, v61
	v_cvt_pkrtz_f16_f32 v3, v62, v63
	v_cvt_pk_f32_fp8_e32 v[60:61], v5
	v_mfma_f32_16x16x16_f16 v[46:49], v[52:53], v[8:9], v[46:49]
	v_cvt_pk_f32_fp8_sdwa v[52:53], v5 src0_sel:WORD_1
	v_cmp_gt_u32_e32 vcc, 64, v0
	v_cvt_pkrtz_f16_f32 v60, v60, v61
	v_mfma_f32_16x16x16_f16 v[2:5], v[2:3], v[42:43], v[46:49]
	v_cvt_pkrtz_f16_f32 v61, v52, v53
	s_mov_b32 s3, 0
	s_nop 0
	v_cvt_pk_f32_fp8_e32 v[46:47], v26
	v_mfma_f32_16x16x16_f16 v[60:63], v[60:61], v[44:45], v[2:5]
	s_nop 2
	v_cvt_pk_f32_fp8_sdwa v[2:3], v26 src0_sel:WORD_1
	v_cvt_pk_f32_fp8_e32 v[4:5], v27
	v_cvt_pkrtz_f16_f32 v26, v46, v47
	v_cvt_pk_f32_fp8_sdwa v[46:47], v27 src0_sel:WORD_1
	v_cvt_pkrtz_f16_f32 v27, v2, v3
	v_cvt_pkrtz_f16_f32 v52, v4, v5
	ds_read_b128 v[2:5], v50 offset:4096
	v_cvt_pkrtz_f16_f32 v53, v46, v47
	ds_read_b128 v[46:49], v50 offset:4112
	s_waitcnt lgkmcnt(1)
	v_mfma_f32_16x16x16_f16 v[60:63], v[26:27], v[2:3], v[60:63]
	v_cvt_pkrtz_f16_f32 v26, v64, v65
	v_cvt_pkrtz_f16_f32 v27, v66, v67
	v_cvt_pk_f32_fp8_e32 v[64:65], v29
	v_mfma_f32_16x16x16_f16 v[60:63], v[52:53], v[4:5], v[60:63]
	v_cvt_pk_f32_fp8_sdwa v[52:53], v29 src0_sel:WORD_1
	v_cvt_pk_f32_fp8_e32 v[66:67], v24
	v_cvt_pkrtz_f16_f32 v64, v64, v65
	s_waitcnt lgkmcnt(0)
	v_mfma_f32_16x16x16_f16 v[26:29], v[26:27], v[46:47], v[60:63]
	v_cvt_pkrtz_f16_f32 v65, v52, v53
	v_cvt_pk_f32_fp8_e32 v[52:53], v22
	s_nop 0
	v_mfma_f32_16x16x16_f16 v[60:63], v[64:65], v[48:49], v[26:29]
	s_nop 2
	v_cvt_pk_f32_fp8_sdwa v[26:27], v22 src0_sel:WORD_1
	v_cvt_pk_f32_fp8_e32 v[28:29], v23
	v_cvt_pkrtz_f16_f32 v22, v52, v53
	v_cvt_pk_f32_fp8_sdwa v[52:53], v23 src0_sel:WORD_1
	v_cvt_pkrtz_f16_f32 v23, v26, v27
	v_cvt_pkrtz_f16_f32 v64, v28, v29
	ds_read_b128 v[26:29], v50 offset:6144
	v_cvt_pkrtz_f16_f32 v65, v52, v53
	s_waitcnt lgkmcnt(0)
	v_mfma_f32_16x16x16_f16 v[60:63], v[22:23], v[26:27], v[60:63]
	ds_read_b128 v[50:53], v50 offset:6160
	v_cvt_pkrtz_f16_f32 v22, v66, v67
	v_cvt_pkrtz_f16_f32 v23, v68, v69
	v_mfma_f32_16x16x16_f16 v[60:63], v[64:65], v[28:29], v[60:63]
	v_cvt_pk_f32_fp8_e32 v[66:67], v25
	v_cvt_pk_f32_fp8_sdwa v[64:65], v25 src0_sel:WORD_1
	s_waitcnt vmcnt(3)
	v_cvt_pk_f32_fp8_sdwa v[68:69], v32 src0_sel:WORD_1
	s_waitcnt lgkmcnt(0)
	v_mfma_f32_16x16x16_f16 v[22:25], v[22:23], v[50:51], v[60:63]
	v_cvt_pkrtz_f16_f32 v66, v66, v67
	v_cvt_pkrtz_f16_f32 v67, v64, v65
	v_cvt_pk_f32_fp8_e32 v[64:65], v31
	v_cvt_pk_f32_fp8_e32 v[60:61], v30
	v_cvt_pk_f32_fp8_sdwa v[62:63], v30 src0_sel:WORD_1
	v_cvt_pk_f32_fp8_sdwa v[30:31], v31 src0_sel:WORD_1
	v_mfma_f32_16x16x16_f16 v[22:25], v[66:67], v[52:53], v[22:25]
	v_cvt_pkrtz_f16_f32 v60, v60, v61
	v_cvt_pkrtz_f16_f32 v61, v62, v63
	;; [unrolled: 1-line block ×3, first 2 shown]
	v_cvt_pk_f32_fp8_e32 v[66:67], v32
	v_cvt_pkrtz_f16_f32 v65, v30, v31
	v_mfma_f32_16x16x16_f16 v[60:63], v[60:61], v[34:35], 0
	v_cvt_pkrtz_f16_f32 v30, v66, v67
	v_cvt_pkrtz_f16_f32 v31, v68, v69
	v_cvt_pk_f32_fp8_e32 v[66:67], v33
	v_mfma_f32_16x16x16_f16 v[34:37], v[64:65], v[36:37], v[60:63]
	s_barrier
	s_nop 1
	v_cvt_pk_f32_fp8_sdwa v[60:61], v33 src0_sel:WORD_1
	v_cvt_pkrtz_f16_f32 v62, v66, v67
	v_mfma_f32_16x16x16_f16 v[30:33], v[30:31], v[38:39], v[34:37]
	s_waitcnt vmcnt(2)
	v_cvt_pk_f32_fp8_e32 v[38:39], v19
	v_cvt_pkrtz_f16_f32 v63, v60, v61
	v_cvt_pk_f32_fp8_e32 v[34:35], v18
	v_cvt_pk_f32_fp8_sdwa v[36:37], v18 src0_sel:WORD_1
	v_cvt_pk_f32_fp8_sdwa v[18:19], v19 src0_sel:WORD_1
	v_mfma_f32_16x16x16_f16 v[30:33], v[62:63], v[40:41], v[30:33]
	v_cvt_pkrtz_f16_f32 v34, v34, v35
	v_cvt_pkrtz_f16_f32 v35, v36, v37
	;; [unrolled: 1-line block ×3, first 2 shown]
	v_cvt_pk_f32_fp8_e32 v[38:39], v20
	v_cvt_pk_f32_fp8_sdwa v[40:41], v20 src0_sel:WORD_1
	v_cvt_pkrtz_f16_f32 v37, v18, v19
	v_mfma_f32_16x16x16_f16 v[30:33], v[34:35], v[6:7], v[30:33]
	v_cvt_pkrtz_f16_f32 v18, v38, v39
	v_cvt_pkrtz_f16_f32 v19, v40, v41
	v_cvt_pk_f32_fp8_e32 v[34:35], v21
	v_cvt_pk_f32_fp8_sdwa v[20:21], v21 src0_sel:WORD_1
	v_mfma_f32_16x16x16_f16 v[6:9], v[36:37], v[8:9], v[30:33]
	s_nop 2
	v_cvt_pkrtz_f16_f32 v30, v34, v35
	v_cvt_pkrtz_f16_f32 v31, v20, v21
	v_mfma_f32_16x16x16_f16 v[6:9], v[18:19], v[42:43], v[6:9]
	s_waitcnt vmcnt(1)
	v_cvt_pk_f32_fp8_e32 v[18:19], v14
	v_cvt_pk_f32_fp8_sdwa v[20:21], v14 src0_sel:WORD_1
	v_cvt_pk_f32_fp8_sdwa v[32:33], v16 src0_sel:WORD_1
	v_mfma_f32_16x16x16_f16 v[6:9], v[30:31], v[44:45], v[6:9]
	v_cvt_pk_f32_fp8_e32 v[30:31], v15
	v_cvt_pkrtz_f16_f32 v18, v18, v19
	v_cvt_pkrtz_f16_f32 v19, v20, v21
	v_cvt_pk_f32_fp8_sdwa v[14:15], v15 src0_sel:WORD_1
	v_cvt_pkrtz_f16_f32 v20, v30, v31
	v_cvt_pk_f32_fp8_e32 v[30:31], v16
	v_mfma_f32_16x16x16_f16 v[6:9], v[18:19], v[2:3], v[6:9]
	v_cvt_pkrtz_f16_f32 v21, v14, v15
	v_cvt_pkrtz_f16_f32 v14, v30, v31
	;; [unrolled: 1-line block ×3, first 2 shown]
	v_cvt_pk_f32_fp8_e32 v[18:19], v17
	v_cvt_pk_f32_fp8_sdwa v[16:17], v17 src0_sel:WORD_1
	v_mfma_f32_16x16x16_f16 v[2:5], v[20:21], v[4:5], v[6:9]
	s_waitcnt vmcnt(0)
	v_cvt_pk_f32_fp8_sdwa v[20:21], v12 src0_sel:WORD_1
	s_nop 0
	v_cvt_pkrtz_f16_f32 v8, v18, v19
	v_cvt_pkrtz_f16_f32 v9, v16, v17
	v_mfma_f32_16x16x16_f16 v[2:5], v[14:15], v[46:47], v[2:5]
	v_cvt_pk_f32_fp8_e32 v[16:17], v10
	v_cvt_pk_f32_fp8_sdwa v[18:19], v10 src0_sel:WORD_1
	v_pk_mul_f32 v[6:7], v[24:25], s[4:5] op_sel_hi:[1,0]
	v_mfma_f32_16x16x16_f16 v[2:5], v[8:9], v[48:49], v[2:5]
	v_cvt_pk_f32_fp8_e32 v[8:9], v11
	v_cvt_pkrtz_f16_f32 v16, v16, v17
	v_cvt_pkrtz_f16_f32 v17, v18, v19
	v_cvt_pk_f32_fp8_sdwa v[10:11], v11 src0_sel:WORD_1
	v_cvt_pkrtz_f16_f32 v8, v8, v9
	v_cvt_pk_f32_fp8_e32 v[18:19], v12
	v_mfma_f32_16x16x16_f16 v[2:5], v[16:17], v[26:27], v[2:5]
	v_cvt_pkrtz_f16_f32 v9, v10, v11
	v_cvt_pkrtz_f16_f32 v10, v18, v19
	;; [unrolled: 1-line block ×3, first 2 shown]
	v_cvt_pk_f32_fp8_e32 v[16:17], v13
	v_cvt_pk_f32_fp8_sdwa v[12:13], v13 src0_sel:WORD_1
	v_mfma_f32_16x16x16_f16 v[2:5], v[8:9], v[28:29], v[2:5]
	v_pk_mul_f32 v[14:15], v[22:23], s[4:5] op_sel_hi:[1,0]
	v_cvt_pkrtz_f16_f32 v8, v16, v17
	v_cvt_pkrtz_f16_f32 v9, v12, v13
	v_mfma_f32_16x16x16_f16 v[2:5], v[10:11], v[50:51], v[2:5]
	v_cvt_f16_f32_e32 v14, v14
	v_cvt_f16_f32_e32 v10, v15
	;; [unrolled: 1-line block ×3, first 2 shown]
	v_mfma_f32_16x16x16_f16 v[2:5], v[8:9], v[52:53], v[2:5]
	v_cvt_f16_f32_e32 v7, v7
	s_nop 5
	v_pk_mul_f32 v[4:5], v[4:5], s[4:5] op_sel_hi:[1,0]
	v_pk_mul_f32 v[2:3], v[2:3], s[4:5] op_sel_hi:[1,0]
	v_cvt_f16_f32_e32 v11, v4
	v_cvt_f16_f32_e32 v8, v2
	;; [unrolled: 1-line block ×4, first 2 shown]
	v_cmp_gt_u32_e64 s[4:5], 32, v55
	v_pack_b32_f16 v2, v14, v10
	v_pack_b32_f16 v3, v6, v7
	;; [unrolled: 1-line block ×4, first 2 shown]
	s_and_b64 s[4:5], vcc, s[4:5]
	ds_write2st64_b64 v58, v[2:3], v[4:5] offset1:1
	s_waitcnt lgkmcnt(0)
	s_barrier
	s_and_saveexec_b64 s[8:9], s[4:5]
	s_cbranch_execz .LBB1065_19
; %bb.18:
	s_load_dwordx2 s[0:1], s[0:1], 0x68
	s_mul_i32 s2, s7, s2
	s_lshl_b32 s6, s6, 7
	v_lshlrev_b32_e32 v4, 6, v56
	s_mul_hi_u32 s5, s2, s6
	s_mul_i32 s4, s2, s6
	v_lshl_or_b32 v0, v0, 10, v4
	s_lshl_b64 s[4:5], s[4:5], 1
	v_lshlrev_b32_e32 v2, 5, v1
	v_and_b32_e32 v3, 16, v57
	v_and_b32_e32 v0, 0x1a00, v0
	s_waitcnt lgkmcnt(0)
	s_add_u32 s4, s0, s4
	v_or3_b32 v0, v0, v2, v3
	s_addc_u32 s5, s1, s5
	s_lshl_b32 s2, s10, 7
	ds_read_b128 v[2:5], v0
	s_lshl_b64 s[0:1], s[2:3], 1
	s_add_u32 s0, s4, s0
	v_or_b32_e32 v0, s11, v1
	s_addc_u32 s1, s5, s1
	v_mad_u64_u32 v[0:1], s[2:3], s6, v0, 0
	v_lshl_add_u64 v[0:1], v[0:1], 1, s[0:1]
	v_mov_b32_e32 v55, 0
	v_lshl_add_u64 v[0:1], v[0:1], 0, v[54:55]
	s_waitcnt lgkmcnt(0)
	global_store_dwordx4 v[0:1], v[2:5], off
.LBB1065_19:
	s_endpgm
	.section	.rodata,"a",@progbits
	.p2align	6, 0x0
	.amdhsa_kernel _Z39paged_attention_ll4mi_QKV_mfma16_kernelIDF16_hLN4vllm18Fp8KVCacheDataTypeE1EDF16_Li32ELi128ELi256ELb1ELi2EEvPKT_PKT0_S7_ifPKiS9_S9_iPKfiiiPfSC_PS2_PT2_iSB_SB_
		.amdhsa_group_segment_fixed_size 8192
		.amdhsa_private_segment_fixed_size 0
		.amdhsa_kernarg_size 400
		.amdhsa_user_sgpr_count 2
		.amdhsa_user_sgpr_dispatch_ptr 0
		.amdhsa_user_sgpr_queue_ptr 0
		.amdhsa_user_sgpr_kernarg_segment_ptr 1
		.amdhsa_user_sgpr_dispatch_id 0
		.amdhsa_user_sgpr_kernarg_preload_length 0
		.amdhsa_user_sgpr_kernarg_preload_offset 0
		.amdhsa_user_sgpr_private_segment_size 0
		.amdhsa_uses_dynamic_stack 0
		.amdhsa_enable_private_segment 0
		.amdhsa_system_sgpr_workgroup_id_x 1
		.amdhsa_system_sgpr_workgroup_id_y 1
		.amdhsa_system_sgpr_workgroup_id_z 1
		.amdhsa_system_sgpr_workgroup_info 0
		.amdhsa_system_vgpr_workitem_id 0
		.amdhsa_next_free_vgpr 78
		.amdhsa_next_free_sgpr 48
		.amdhsa_accum_offset 80
		.amdhsa_reserve_vcc 1
		.amdhsa_float_round_mode_32 0
		.amdhsa_float_round_mode_16_64 0
		.amdhsa_float_denorm_mode_32 3
		.amdhsa_float_denorm_mode_16_64 3
		.amdhsa_dx10_clamp 1
		.amdhsa_ieee_mode 1
		.amdhsa_fp16_overflow 0
		.amdhsa_tg_split 0
		.amdhsa_exception_fp_ieee_invalid_op 0
		.amdhsa_exception_fp_denorm_src 0
		.amdhsa_exception_fp_ieee_div_zero 0
		.amdhsa_exception_fp_ieee_overflow 0
		.amdhsa_exception_fp_ieee_underflow 0
		.amdhsa_exception_fp_ieee_inexact 0
		.amdhsa_exception_int_div_zero 0
	.end_amdhsa_kernel
	.section	.text._Z39paged_attention_ll4mi_QKV_mfma16_kernelIDF16_hLN4vllm18Fp8KVCacheDataTypeE1EDF16_Li32ELi128ELi256ELb1ELi2EEvPKT_PKT0_S7_ifPKiS9_S9_iPKfiiiPfSC_PS2_PT2_iSB_SB_,"axG",@progbits,_Z39paged_attention_ll4mi_QKV_mfma16_kernelIDF16_hLN4vllm18Fp8KVCacheDataTypeE1EDF16_Li32ELi128ELi256ELb1ELi2EEvPKT_PKT0_S7_ifPKiS9_S9_iPKfiiiPfSC_PS2_PT2_iSB_SB_,comdat
.Lfunc_end1065:
	.size	_Z39paged_attention_ll4mi_QKV_mfma16_kernelIDF16_hLN4vllm18Fp8KVCacheDataTypeE1EDF16_Li32ELi128ELi256ELb1ELi2EEvPKT_PKT0_S7_ifPKiS9_S9_iPKfiiiPfSC_PS2_PT2_iSB_SB_, .Lfunc_end1065-_Z39paged_attention_ll4mi_QKV_mfma16_kernelIDF16_hLN4vllm18Fp8KVCacheDataTypeE1EDF16_Li32ELi128ELi256ELb1ELi2EEvPKT_PKT0_S7_ifPKiS9_S9_iPKfiiiPfSC_PS2_PT2_iSB_SB_
                                        ; -- End function
	.section	.AMDGPU.csdata,"",@progbits
; Kernel info:
; codeLenInByte = 6288
; NumSgprs: 54
; NumVgprs: 78
; NumAgprs: 0
; TotalNumVgprs: 78
; ScratchSize: 0
; MemoryBound: 0
; FloatMode: 240
; IeeeMode: 1
; LDSByteSize: 8192 bytes/workgroup (compile time only)
; SGPRBlocks: 6
; VGPRBlocks: 9
; NumSGPRsForWavesPerEU: 54
; NumVGPRsForWavesPerEU: 78
; AccumOffset: 80
; Occupancy: 6
; WaveLimiterHint : 1
; COMPUTE_PGM_RSRC2:SCRATCH_EN: 0
; COMPUTE_PGM_RSRC2:USER_SGPR: 2
; COMPUTE_PGM_RSRC2:TRAP_HANDLER: 0
; COMPUTE_PGM_RSRC2:TGID_X_EN: 1
; COMPUTE_PGM_RSRC2:TGID_Y_EN: 1
; COMPUTE_PGM_RSRC2:TGID_Z_EN: 1
; COMPUTE_PGM_RSRC2:TIDIG_COMP_CNT: 0
; COMPUTE_PGM_RSRC3_GFX90A:ACCUM_OFFSET: 19
; COMPUTE_PGM_RSRC3_GFX90A:TG_SPLIT: 0
	.section	.text._Z39paged_attention_ll4mi_QKV_mfma16_kernelIDF16_hLN4vllm18Fp8KVCacheDataTypeE1EDF16_Li32ELi128ELi256ELb1ELi3EEvPKT_PKT0_S7_ifPKiS9_S9_iPKfiiiPfSC_PS2_PT2_iSB_SB_,"axG",@progbits,_Z39paged_attention_ll4mi_QKV_mfma16_kernelIDF16_hLN4vllm18Fp8KVCacheDataTypeE1EDF16_Li32ELi128ELi256ELb1ELi3EEvPKT_PKT0_S7_ifPKiS9_S9_iPKfiiiPfSC_PS2_PT2_iSB_SB_,comdat
	.protected	_Z39paged_attention_ll4mi_QKV_mfma16_kernelIDF16_hLN4vllm18Fp8KVCacheDataTypeE1EDF16_Li32ELi128ELi256ELb1ELi3EEvPKT_PKT0_S7_ifPKiS9_S9_iPKfiiiPfSC_PS2_PT2_iSB_SB_ ; -- Begin function _Z39paged_attention_ll4mi_QKV_mfma16_kernelIDF16_hLN4vllm18Fp8KVCacheDataTypeE1EDF16_Li32ELi128ELi256ELb1ELi3EEvPKT_PKT0_S7_ifPKiS9_S9_iPKfiiiPfSC_PS2_PT2_iSB_SB_
	.globl	_Z39paged_attention_ll4mi_QKV_mfma16_kernelIDF16_hLN4vllm18Fp8KVCacheDataTypeE1EDF16_Li32ELi128ELi256ELb1ELi3EEvPKT_PKT0_S7_ifPKiS9_S9_iPKfiiiPfSC_PS2_PT2_iSB_SB_
	.p2align	8
	.type	_Z39paged_attention_ll4mi_QKV_mfma16_kernelIDF16_hLN4vllm18Fp8KVCacheDataTypeE1EDF16_Li32ELi128ELi256ELb1ELi3EEvPKT_PKT0_S7_ifPKiS9_S9_iPKfiiiPfSC_PS2_PT2_iSB_SB_,@function
_Z39paged_attention_ll4mi_QKV_mfma16_kernelIDF16_hLN4vllm18Fp8KVCacheDataTypeE1EDF16_Li32ELi128ELi256ELb1ELi3EEvPKT_PKT0_S7_ifPKiS9_S9_iPKfiiiPfSC_PS2_PT2_iSB_SB_: ; @_Z39paged_attention_ll4mi_QKV_mfma16_kernelIDF16_hLN4vllm18Fp8KVCacheDataTypeE1EDF16_Li32ELi128ELi256ELb1ELi3EEvPKT_PKT0_S7_ifPKiS9_S9_iPKfiiiPfSC_PS2_PT2_iSB_SB_
; %bb.0:
	s_load_dwordx2 s[10:11], s[0:1], 0x30
	s_mov_b32 s6, s3
	s_mov_b64 s[8:9], 0
	s_waitcnt lgkmcnt(0)
	s_cmp_lg_u64 s[10:11], 0
	s_cselect_b64 s[12:13], -1, 0
	s_and_b64 vcc, exec, s[12:13]
	s_cbranch_vccz .LBB1066_7
; %bb.1:
	s_add_i32 s14, s2, 1
	s_mov_b32 s15, 0
	s_lshl_b64 s[16:17], s[14:15], 2
	s_add_u32 s16, s10, s16
	s_mov_b32 s3, s15
	s_addc_u32 s17, s11, s17
	s_lshl_b64 s[14:15], s[2:3], 2
	s_add_u32 s14, s10, s14
	s_addc_u32 s15, s11, s15
	s_load_dword s5, s[16:17], 0x0
	s_load_dword s7, s[14:15], 0x0
	s_waitcnt lgkmcnt(0)
	s_sub_i32 s5, s5, s7
	s_cmp_eq_u32 s5, 1
	s_cselect_b64 s[14:15], -1, 0
	s_andn2_b64 vcc, exec, s[8:9]
	s_cbranch_vccnz .LBB1066_3
.LBB1066_2:
	s_mov_b32 s3, 0
	s_mov_b64 s[14:15], -1
.LBB1066_3:
	s_andn2_b64 vcc, exec, s[14:15]
	s_cbranch_vccnz .LBB1066_19
; %bb.4:
	s_load_dwordx2 s[8:9], s[0:1], 0x28
	s_lshl_b64 s[16:17], s[2:3], 2
	s_waitcnt lgkmcnt(0)
	s_add_u32 s8, s8, s16
	s_addc_u32 s9, s9, s17
	s_load_dword s7, s[8:9], 0x0
	s_lshl_b32 s18, s6, 8
	s_waitcnt lgkmcnt(0)
	s_cmp_ge_i32 s18, s7
	s_cbranch_scc1 .LBB1066_19
; %bb.5:
	s_load_dwordx2 s[8:9], s[0:1], 0x20
	s_load_dword s5, s[0:1], 0x38
	s_add_i32 s14, s7, 31
	s_ashr_i32 s15, s14, 31
	v_and_b32_e32 v1, 0xcf, v0
	s_lshr_b32 s15, s15, 27
	v_add_u32_e32 v1, s18, v1
	s_add_i32 s14, s14, s15
	v_ashrrev_i32_e32 v2, 31, v1
	s_ashr_i32 s19, s14, 5
	v_lshrrev_b32_e32 v4, 27, v2
	s_add_i32 s19, s19, -1
	s_waitcnt lgkmcnt(0)
	s_mul_i32 s14, s2, s5
	s_mov_b32 s15, 0
	v_add_u32_e32 v2, v1, v4
	s_lshl_b64 s[14:15], s[14:15], 2
	v_ashrrev_i32_e32 v2, 5, v2
	v_mov_b32_e32 v5, s19
	v_cmp_gt_i32_e32 vcc, s7, v1
	s_add_u32 s8, s8, s14
	s_addc_u32 s9, s9, s15
	v_cndmask_b32_e32 v2, v5, v2, vcc
	v_ashrrev_i32_e32 v3, 31, v2
	v_lshl_add_u64 v[6:7], v[2:3], 2, s[8:9]
	v_or_b32_e32 v2, 16, v1
	v_add_u32_e32 v3, v2, v4
	v_ashrrev_i32_e32 v3, 5, v3
	v_cmp_gt_i32_e32 vcc, s7, v2
	s_load_dwordx2 s[14:15], s[0:1], 0x8
	s_nop 0
	v_cndmask_b32_e32 v2, v5, v3, vcc
	v_ashrrev_i32_e32 v3, 31, v2
	v_lshl_add_u64 v[8:9], v[2:3], 2, s[8:9]
	v_or_b32_e32 v2, 32, v1
	v_add_u32_e32 v3, v2, v4
	v_ashrrev_i32_e32 v3, 5, v3
	v_cmp_gt_i32_e32 vcc, s7, v2
	v_or_b32_e32 v1, 48, v1
	s_nop 0
	v_cndmask_b32_e32 v2, v5, v3, vcc
	v_ashrrev_i32_e32 v3, 31, v2
	v_lshl_add_u64 v[12:13], v[2:3], 2, s[8:9]
	v_add_u32_e32 v2, v1, v4
	v_ashrrev_i32_e32 v2, 5, v2
	v_cmp_gt_i32_e32 vcc, s7, v1
	s_nop 1
	v_cndmask_b32_e32 v2, v5, v2, vcc
	v_ashrrev_i32_e32 v3, 31, v2
	v_lshl_add_u64 v[14:15], v[2:3], 2, s[8:9]
	global_load_dword v4, v[6:7], off
	global_load_dword v3, v[8:9], off
	;; [unrolled: 1-line block ×4, first 2 shown]
	s_andn2_b64 vcc, exec, s[12:13]
	s_cbranch_vccnz .LBB1066_8
; %bb.6:
	s_add_u32 s10, s10, s16
	s_addc_u32 s11, s11, s17
	s_load_dword s5, s[10:11], 0x0
	s_branch .LBB1066_9
.LBB1066_7:
	s_mov_b64 s[14:15], 0
	s_branch .LBB1066_2
.LBB1066_8:
	s_mov_b32 s5, s2
.LBB1066_9:
	s_load_dwordx2 s[10:11], s[0:1], 0x10
	s_load_dwordx4 s[44:47], s[0:1], 0x48
	v_lshrrev_b32_e32 v57, 6, v0
	v_bfe_u32 v62, v0, 4, 2
	v_and_b32_e32 v56, 15, v0
	s_mul_i32 s48, s4, 3
	v_lshl_or_b32 v5, v57, 2, v62
	v_lshlrev_b32_e32 v6, 3, v56
	v_add_u32_e32 v1, s48, v62
	v_cmp_gt_u32_e32 vcc, 3, v5
	v_lshlrev_b32_e32 v54, 1, v6
	v_lshlrev_b32_e32 v63, 4, v0
	s_and_saveexec_b64 s[12:13], vcc
	s_cbranch_execz .LBB1066_11
; %bb.10:
	s_load_dwordx2 s[16:17], s[0:1], 0x0
	s_waitcnt lgkmcnt(0)
	s_ashr_i32 s20, s44, 31
	s_mul_hi_u32 s21, s5, s44
	s_mul_i32 s20, s5, s20
	s_add_i32 s21, s21, s20
	s_mul_i32 s20, s5, s44
	s_lshl_b64 s[20:21], s[20:21], 1
	s_add_u32 s16, s16, s20
	v_lshlrev_b32_e32 v6, 7, v1
	s_addc_u32 s17, s17, s21
	v_ashrrev_i32_e32 v7, 31, v6
	v_lshl_add_u64 v[6:7], v[6:7], 1, s[16:17]
	v_mov_b32_e32 v55, 0
	v_lshl_add_u64 v[6:7], v[6:7], 0, v[54:55]
	global_load_dwordx4 v[6:9], v[6:7], off
	v_lshlrev_b32_e32 v12, 8, v0
	v_lshlrev_b32_e32 v11, 8, v56
	v_and_b32_e32 v12, 0x600, v12
	s_movk_i32 s5, 0x800
	v_and_or_b32 v11, v11, s5, v12
	v_lshlrev_b32_e32 v5, 5, v5
	v_and_b32_e32 v12, 16, v63
	v_or3_b32 v5, v11, v5, v12
	s_waitcnt vmcnt(0)
	ds_write_b128 v5, v[6:9]
.LBB1066_11:
	s_or_b64 exec, exec, s[12:13]
	s_waitcnt lgkmcnt(0)
	s_mul_i32 s12, s4, s46
	s_add_u32 s4, s14, s12
	s_addc_u32 s5, s15, 0
	v_mov_b32_e32 v59, 0
	v_mov_b64_e32 v[12:13], s[4:5]
	v_and_b32_e32 v34, 48, v0
	s_waitcnt vmcnt(3)
	v_mad_i64_i32 v[4:5], s[4:5], v4, s45, v[12:13]
	v_lshlrev_b32_e32 v14, 4, v56
	v_mov_b32_e32 v15, v59
	v_lshlrev_b32_e32 v58, 5, v34
	v_lshl_add_u64 v[4:5], v[4:5], 0, v[14:15]
	v_lshl_add_u64 v[4:5], v[4:5], 0, v[58:59]
	s_barrier
	global_load_dwordx4 v[50:53], v[4:5], off
	global_load_dwordx4 v[46:49], v[4:5], off offset:2048
	s_waitcnt vmcnt(4)
	v_mad_i64_i32 v[4:5], s[4:5], v3, s45, v[12:13]
	v_or_b32_e32 v16, 0x100, v14
	v_mov_b32_e32 v17, v59
	s_waitcnt vmcnt(3)
	v_mad_i64_i32 v[2:3], s[4:5], v2, s45, v[12:13]
	v_lshl_add_u64 v[4:5], v[4:5], 0, v[16:17]
	v_lshl_add_u64 v[2:3], v[2:3], 0, v[14:15]
	s_waitcnt vmcnt(2)
	v_mad_i64_i32 v[10:11], s[4:5], v10, s45, v[12:13]
	v_lshl_add_u64 v[4:5], v[4:5], 0, v[58:59]
	v_lshl_add_u64 v[14:15], v[2:3], 0, v[58:59]
	;; [unrolled: 1-line block ×3, first 2 shown]
	global_load_dwordx4 v[36:39], v[4:5], off
	global_load_dwordx4 v[6:9], v[4:5], off offset:2048
	s_nop 0
	global_load_dwordx4 v[2:5], v[14:15], off
	global_load_dwordx4 v[42:45], v[14:15], off offset:2048
	v_lshl_add_u64 v[14:15], v[10:11], 0, v[58:59]
	global_load_dwordx4 v[26:29], v[14:15], off
	global_load_dwordx4 v[10:13], v[14:15], off offset:2048
	v_mul_lo_u16_e32 v14, 0x56, v56
	v_mov_b32_e32 v15, 3
	v_mul_lo_u16_sdwa v14, v14, v15 dst_sel:DWORD dst_unused:UNUSED_PAD src0_sel:BYTE_1 src1_sel:DWORD
	v_sub_u16_e32 v14, v56, v14
	v_mov_b32_e32 v15, 5
	v_lshlrev_b32_sdwa v14, v15, v14 dst_sel:DWORD dst_unused:UNUSED_PAD src0_sel:DWORD src1_sel:BYTE_0
	v_lshl_add_u32 v14, v62, 9, v14
	ds_read_b128 v[30:33], v14
	ds_read_b128 v[22:25], v14 offset:16
	ds_read_b128 v[18:21], v14 offset:2048
	;; [unrolled: 1-line block ×3, first 2 shown]
	v_and_b32_e32 v55, 63, v0
	v_cmp_gt_u32_e32 vcc, 3, v56
	v_mov_b32_e32 v64, 0
	s_and_saveexec_b64 s[4:5], vcc
	s_cbranch_execz .LBB1066_13
; %bb.12:
	s_load_dwordx2 s[14:15], s[0:1], 0x40
	v_add_u32_e32 v40, s48, v56
	v_ashrrev_i32_e32 v41, 31, v40
	s_waitcnt lgkmcnt(0)
	v_lshl_add_u64 v[40:41], v[40:41], 2, s[14:15]
	global_load_dword v64, v[40:41], off
.LBB1066_13:
	s_or_b64 exec, exec, s[4:5]
	s_ashr_i32 s4, s18, 31
	v_or_b32_e32 v58, s18, v34
	s_lshr_b32 s4, s4, 27
	v_add_u32_e32 v34, s4, v58
	v_cmp_gt_i32_e32 vcc, s7, v58
	v_or_b32_e32 v40, 64, v58
	v_or_b32_e32 v60, 0x80, v58
	;; [unrolled: 1-line block ×3, first 2 shown]
	v_add_u32_e32 v66, s4, v58
	v_ashrrev_i32_e32 v70, 5, v66
	s_waitcnt vmcnt(7)
	v_cvt_pk_f32_fp8_e32 v[66:67], v50
	v_cvt_pk_f32_fp8_sdwa v[68:69], v50 src0_sel:WORD_1
	v_cvt_pk_f32_fp8_e32 v[72:73], v51
	v_cvt_pk_f32_fp8_sdwa v[50:51], v51 src0_sel:WORD_1
	v_cvt_pkrtz_f16_f32 v66, v66, v67
	v_cvt_pkrtz_f16_f32 v67, v68, v69
	v_cvt_pkrtz_f16_f32 v72, v72, v73
	v_cvt_pk_f32_fp8_e32 v[74:75], v52
	v_cvt_pk_f32_fp8_sdwa v[76:77], v52 src0_sel:WORD_1
	v_cvt_pkrtz_f16_f32 v73, v50, v51
	s_waitcnt lgkmcnt(3)
	v_mfma_f32_16x16x16_f16 v[66:69], v[66:67], v[30:31], 0
	v_cvt_pkrtz_f16_f32 v74, v74, v75
	v_cvt_pkrtz_f16_f32 v75, v76, v77
	v_cvt_pk_f32_fp8_e32 v[76:77], v53
	v_cvt_pk_f32_fp8_sdwa v[78:79], v53 src0_sel:WORD_1
	v_mfma_f32_16x16x16_f16 v[50:53], v[72:73], v[32:33], v[66:69]
	v_ashrrev_i32_e32 v34, 5, v34
	v_mov_b32_e32 v65, s19
	v_add_u32_e32 v41, s4, v40
	v_cndmask_b32_e32 v34, v65, v34, vcc
	v_ashrrev_i32_e32 v41, 5, v41
	v_cmp_gt_i32_e32 vcc, s7, v40
	v_add_u32_e32 v61, s4, v60
	v_cvt_pkrtz_f16_f32 v66, v76, v77
	v_cvt_pkrtz_f16_f32 v67, v78, v79
	v_cndmask_b32_e32 v40, v65, v41, vcc
	v_ashrrev_i32_e32 v61, 5, v61
	v_cmp_gt_i32_e32 vcc, s7, v60
	s_waitcnt lgkmcnt(2)
	v_mfma_f32_16x16x16_f16 v[50:53], v[74:75], v[22:23], v[50:53]
	s_waitcnt vmcnt(6)
	v_cvt_pk_f32_fp8_e32 v[68:69], v46
	v_cndmask_b32_e32 v60, v65, v61, vcc
	v_cmp_gt_i32_e32 vcc, s7, v58
	v_ashrrev_i32_e32 v35, 31, v34
	v_lshl_add_u64 v[34:35], v[34:35], 2, s[8:9]
	v_cndmask_b32_e32 v70, v65, v70, vcc
	v_ashrrev_i32_e32 v41, 31, v40
	v_ashrrev_i32_e32 v61, 31, v60
	;; [unrolled: 1-line block ×3, first 2 shown]
	v_lshl_add_u64 v[40:41], v[40:41], 2, s[8:9]
	v_lshl_add_u64 v[60:61], v[60:61], 2, s[8:9]
	;; [unrolled: 1-line block ×3, first 2 shown]
	v_mfma_f32_16x16x16_f16 v[50:53], v[66:67], v[24:25], v[50:53]
	v_cvt_pkrtz_f16_f32 v74, v68, v69
	global_load_dword v69, v[34:35], off
	global_load_dword v67, v[40:41], off
	;; [unrolled: 1-line block ×4, first 2 shown]
	v_cvt_pk_f32_fp8_sdwa v[72:73], v46 src0_sel:WORD_1
	v_cvt_pk_f32_fp8_e32 v[40:41], v48
	s_waitcnt vmcnt(9)
	v_cvt_pk_f32_fp8_e32 v[60:61], v36
	v_cvt_pk_f32_fp8_sdwa v[70:71], v36 src0_sel:WORD_1
	v_cvt_pkrtz_f16_f32 v75, v72, v73
	v_cvt_pk_f32_fp8_e32 v[72:73], v47
	v_cvt_pk_f32_fp8_sdwa v[46:47], v47 src0_sel:WORD_1
	s_waitcnt lgkmcnt(1)
	v_mfma_f32_16x16x16_f16 v[50:53], v[74:75], v[18:19], v[50:53]
	v_cvt_pkrtz_f16_f32 v34, v72, v73
	v_cvt_pkrtz_f16_f32 v35, v46, v47
	v_cvt_pk_f32_fp8_sdwa v[46:47], v48 src0_sel:WORD_1
	v_cvt_pkrtz_f16_f32 v40, v40, v41
	v_mfma_f32_16x16x16_f16 v[50:53], v[34:35], v[20:21], v[50:53]
	v_cvt_pkrtz_f16_f32 v41, v46, v47
	v_cvt_pk_f32_fp8_e32 v[34:35], v49
	v_cvt_pk_f32_fp8_sdwa v[46:47], v49 src0_sel:WORD_1
	s_add_u32 s4, s10, s12
	s_addc_u32 s5, s11, 0
	v_cvt_pkrtz_f16_f32 v34, v34, v35
	v_cvt_pkrtz_f16_f32 v35, v46, v47
	s_waitcnt lgkmcnt(0)
	v_mfma_f32_16x16x16_f16 v[46:49], v[40:41], v[14:15], v[50:53]
	v_cvt_pkrtz_f16_f32 v40, v60, v61
	v_cvt_pkrtz_f16_f32 v41, v70, v71
	s_waitcnt vmcnt(8)
	v_cvt_pk_f32_fp8_sdwa v[60:61], v6 src0_sel:WORD_1
	v_cvt_pk_f32_fp8_e32 v[50:51], v37
	v_cvt_pk_f32_fp8_sdwa v[52:53], v37 src0_sel:WORD_1
	v_mfma_f32_16x16x16_f16 v[34:37], v[34:35], v[16:17], v[46:49]
	v_and_b32_e32 v58, 16, v0
	v_cvt_pkrtz_f16_f32 v50, v50, v51
	v_cvt_pkrtz_f16_f32 v51, v52, v53
	v_mfma_f32_16x16x16_f16 v[46:49], v[40:41], v[30:31], 0
	v_cvt_pk_f32_fp8_e32 v[40:41], v38
	v_cvt_pk_f32_fp8_sdwa v[52:53], v38 src0_sel:WORD_1
	v_lshl_or_b32 v65, v57, 4, v56
	v_mfma_f32_16x16x16_f16 v[46:49], v[50:51], v[32:33], v[46:49]
	v_cvt_pk_f32_fp8_e32 v[50:51], v39
	v_cvt_pkrtz_f16_f32 v40, v40, v41
	v_cvt_pkrtz_f16_f32 v41, v52, v53
	v_cvt_pk_f32_fp8_sdwa v[38:39], v39 src0_sel:WORD_1
	v_cvt_pkrtz_f16_f32 v50, v50, v51
	v_cvt_pk_f32_fp8_e32 v[52:53], v6
	s_waitcnt vmcnt(6)
	v_cvt_pk_f32_fp8_e32 v[74:75], v43
	v_cvt_pkrtz_f16_f32 v51, v38, v39
	v_mfma_f32_16x16x16_f16 v[38:41], v[40:41], v[22:23], v[46:49]
	s_nop 2
	v_cvt_pkrtz_f16_f32 v48, v52, v53
	v_cvt_pkrtz_f16_f32 v49, v60, v61
	v_cvt_pk_f32_fp8_e32 v[52:53], v7
	v_cvt_pk_f32_fp8_sdwa v[6:7], v7 src0_sel:WORD_1
	v_mfma_f32_16x16x16_f16 v[38:41], v[50:51], v[24:25], v[38:41]
	v_lshl_add_u64 v[46:47], s[4:5], 0, v[58:59]
	v_cvt_pkrtz_f16_f32 v50, v52, v53
	v_cvt_pkrtz_f16_f32 v51, v6, v7
	v_mfma_f32_16x16x16_f16 v[38:41], v[48:49], v[18:19], v[38:41]
	v_cvt_pk_f32_fp8_e32 v[6:7], v8
	v_cvt_pk_f32_fp8_sdwa v[48:49], v8 src0_sel:WORD_1
	v_cvt_pk_f32_fp8_sdwa v[52:53], v2 src0_sel:WORD_1
	v_mfma_f32_16x16x16_f16 v[38:41], v[50:51], v[20:21], v[38:41]
	v_cvt_pk_f32_fp8_e32 v[50:51], v9
	v_cvt_pkrtz_f16_f32 v6, v6, v7
	v_cvt_pkrtz_f16_f32 v7, v48, v49
	v_cvt_pk_f32_fp8_sdwa v[8:9], v9 src0_sel:WORD_1
	v_cvt_pkrtz_f16_f32 v48, v50, v51
	v_cvt_pk_f32_fp8_e32 v[50:51], v2
	v_lshlrev_b32_e32 v58, 5, v65
	v_cvt_pkrtz_f16_f32 v49, v8, v9
	v_mfma_f32_16x16x16_f16 v[6:9], v[6:7], v[14:15], v[38:41]
	v_cvt_pkrtz_f16_f32 v50, v50, v51
	v_cvt_pkrtz_f16_f32 v51, v52, v53
	v_cvt_pk_f32_fp8_e32 v[52:53], v3
	v_cvt_pk_f32_fp8_sdwa v[2:3], v3 src0_sel:WORD_1
	v_mfma_f32_16x16x16_f16 v[38:41], v[48:49], v[16:17], v[6:9]
	v_lshl_add_u64 v[48:49], v[46:47], 0, v[58:59]
	v_cvt_pkrtz_f16_f32 v52, v52, v53
	v_cvt_pkrtz_f16_f32 v53, v2, v3
	v_mfma_f32_16x16x16_f16 v[6:9], v[50:51], v[30:31], 0
	v_cvt_pk_f32_fp8_e32 v[2:3], v4
	v_cvt_pk_f32_fp8_sdwa v[50:51], v4 src0_sel:WORD_1
	s_waitcnt vmcnt(3)
	v_mad_i64_i32 v[60:61], s[4:5], v69, s45, v[48:49]
	v_cvt_pkrtz_f16_f32 v2, v2, v3
	v_cvt_pkrtz_f16_f32 v3, v50, v51
	v_mfma_f32_16x16x16_f16 v[6:9], v[52:53], v[32:33], v[6:9]
	v_cvt_pk_f32_fp8_e32 v[50:51], v5
	v_cvt_pk_f32_fp8_sdwa v[4:5], v5 src0_sel:WORD_1
	s_waitcnt vmcnt(2)
	v_mad_i64_i32 v[70:71], s[4:5], v67, s45, v[48:49]
	v_cvt_pkrtz_f16_f32 v50, v50, v51
	v_cvt_pkrtz_f16_f32 v51, v4, v5
	v_mfma_f32_16x16x16_f16 v[2:5], v[2:3], v[22:23], v[6:9]
	v_or_b32_e32 v58, 0x800, v58
	s_nop 1
	v_cvt_pk_f32_fp8_e32 v[6:7], v42
	v_cvt_pk_f32_fp8_sdwa v[8:9], v42 src0_sel:WORD_1
	v_cvt_pk_f32_fp8_sdwa v[42:43], v43 src0_sel:WORD_1
	v_mfma_f32_16x16x16_f16 v[50:53], v[50:51], v[24:25], v[2:5]
	v_cvt_pkrtz_f16_f32 v72, v6, v7
	v_cvt_pkrtz_f16_f32 v73, v8, v9
	global_load_dwordx4 v[6:9], v[60:61], off
	global_load_dwordx4 v[2:5], v[70:71], off
	v_cvt_pkrtz_f16_f32 v60, v74, v75
	v_cvt_pkrtz_f16_f32 v61, v42, v43
	v_mfma_f32_16x16x16_f16 v[70:73], v[72:73], v[18:19], v[50:53]
	v_cvt_pk_f32_fp8_e32 v[42:43], v44
	v_cvt_pkrtz_f16_f32 v42, v42, v43
	s_nop 0
	v_cvt_pk_f32_fp8_sdwa v[52:53], v44 src0_sel:WORD_1
	v_mfma_f32_16x16x16_f16 v[70:73], v[60:61], v[20:21], v[70:73]
	v_cvt_pk_f32_fp8_e32 v[60:61], v45
	s_waitcnt vmcnt(3)
	v_mad_i64_i32 v[50:51], s[4:5], v68, s45, v[48:49]
	s_load_dword s4, s[0:1], 0x1c
	s_load_dwordx4 s[40:43], s[0:1], 0x80
	v_cvt_pkrtz_f16_f32 v43, v52, v53
	v_cvt_pkrtz_f16_f32 v74, v60, v61
	v_cvt_pk_f32_fp8_e32 v[52:53], v26
	v_cvt_pk_f32_fp8_sdwa v[60:61], v26 src0_sel:WORD_1
	s_load_dword s33, s[0:1], 0x98
	s_waitcnt lgkmcnt(0)
	s_load_dword s5, s[40:41], 0x0
	v_cvt_pk_f32_fp8_sdwa v[44:45], v45 src0_sel:WORD_1
	v_cvt_pkrtz_f16_f32 v52, v52, v53
	v_cvt_pkrtz_f16_f32 v53, v60, v61
	v_cvt_pk_f32_fp8_e32 v[60:61], v27
	v_cvt_pk_f32_fp8_sdwa v[26:27], v27 src0_sel:WORD_1
	v_cvt_pkrtz_f16_f32 v75, v44, v45
	v_mfma_f32_16x16x16_f16 v[42:45], v[42:43], v[14:15], v[70:73]
	v_cvt_pkrtz_f16_f32 v60, v60, v61
	v_cvt_pkrtz_f16_f32 v61, v26, v27
	v_mov_b32_e32 v26, s4
	v_mfma_f32_16x16x16_f16 v[70:73], v[52:53], v[30:31], 0
	s_waitcnt lgkmcnt(0)
	v_mul_f32_e32 v52, s5, v26
	v_cvt_pk_f32_fp8_e32 v[26:27], v28
	v_cvt_pk_f32_fp8_sdwa v[30:31], v28 src0_sel:WORD_1
	v_mfma_f32_16x16x16_f16 v[70:73], v[60:61], v[32:33], v[70:73]
	v_cvt_pk_f32_fp8_e32 v[32:33], v29
	v_cvt_pk_f32_fp8_sdwa v[28:29], v29 src0_sel:WORD_1
	v_cvt_pkrtz_f16_f32 v26, v26, v27
	v_cvt_pkrtz_f16_f32 v27, v30, v31
	v_mfma_f32_16x16x16_f16 v[42:45], v[74:75], v[16:17], v[42:45]
	v_cvt_pkrtz_f16_f32 v32, v32, v33
	v_cvt_pkrtz_f16_f32 v33, v28, v29
	v_cvt_pk_f32_fp8_e32 v[60:61], v10
	v_cvt_pk_f32_fp8_sdwa v[74:75], v10 src0_sel:WORD_1
	v_mfma_f32_16x16x16_f16 v[26:29], v[26:27], v[22:23], v[70:73]
	v_pk_mul_f32 v[30:31], v[52:53], v[36:37] op_sel_hi:[0,1]
	v_cvt_pkrtz_f16_f32 v36, v60, v61
	v_cvt_pkrtz_f16_f32 v37, v74, v75
	v_cvt_pk_f32_fp8_e32 v[60:61], v11
	v_cvt_pk_f32_fp8_sdwa v[70:71], v11 src0_sel:WORD_1
	v_mfma_f32_16x16x16_f16 v[22:25], v[32:33], v[24:25], v[26:29]
	v_pk_mul_f32 v[10:11], v[52:53], v[34:35] op_sel_hi:[0,1]
	v_cvt_pkrtz_f16_f32 v60, v60, v61
	v_cvt_pkrtz_f16_f32 v61, v70, v71
	v_mfma_f32_16x16x16_f16 v[32:35], v[36:37], v[18:19], v[22:25]
	v_cvt_pk_f32_fp8_e32 v[18:19], v12
	v_cvt_pk_f32_fp8_sdwa v[36:37], v12 src0_sel:WORD_1
	s_waitcnt vmcnt(2)
	v_mad_i64_i32 v[48:49], s[8:9], v66, s45, v[48:49]
	global_load_dwordx4 v[26:29], v[50:51], off
	global_load_dwordx4 v[22:25], v[48:49], off
	v_cvt_pkrtz_f16_f32 v48, v18, v19
	v_cvt_pkrtz_f16_f32 v49, v36, v37
	v_cvt_pk_f32_fp8_e32 v[36:37], v13
	v_cvt_pk_f32_fp8_sdwa v[12:13], v13 src0_sel:WORD_1
	v_mfma_f32_16x16x16_f16 v[18:21], v[60:61], v[20:21], v[32:35]
	v_pk_mul_f32 v[40:41], v[52:53], v[40:41] op_sel_hi:[0,1]
	v_pk_mul_f32 v[42:43], v[52:53], v[42:43] op_sel_hi:[0,1]
	s_mov_b32 s40, 0xff7fffff
	v_cvt_pkrtz_f16_f32 v32, v36, v37
	v_cvt_pkrtz_f16_f32 v33, v12, v13
	v_mfma_f32_16x16x16_f16 v[12:15], v[48:49], v[14:15], v[18:21]
	v_pk_mul_f32 v[48:49], v[52:53], v[38:39] op_sel_hi:[0,1]
	v_pk_mul_f32 v[38:39], v[52:53], v[44:45] op_sel_hi:[0,1]
	v_mfma_f32_16x16x16_f16 v[12:15], v[32:33], v[16:17], v[12:15]
	s_nop 6
	v_pk_mul_f32 v[36:37], v[52:53], v[12:13] op_sel_hi:[0,1]
	v_and_b32_e32 v12, 0xc0, v0
	v_add_u32_e32 v12, s18, v12
	v_lshl_or_b32 v12, v62, 2, v12
	v_or_b32_e32 v13, 1, v12
	v_pk_mul_f32 v[34:35], v[52:53], v[14:15] op_sel_hi:[0,1]
	v_subrev_u32_e32 v14, s7, v13
	v_add_u32_e32 v16, 1, v14
	v_add_u32_e32 v17, 2, v14
	v_cvt_f32_i32_e32 v15, v14
	v_cvt_f32_i32_e32 v16, v16
	;; [unrolled: 1-line block ×3, first 2 shown]
	v_add_u32_e32 v18, 3, v14
	v_fma_f32 v10, v64, v15, v10
	v_fmac_f32_e32 v11, v64, v16
	v_fma_f32 v51, v64, v17, v30
	v_add_u32_e32 v15, 16, v14
	v_add_u32_e32 v16, 17, v14
	;; [unrolled: 1-line block ×3, first 2 shown]
	v_cvt_f32_i32_e32 v18, v18
	v_cvt_f32_i32_e32 v15, v15
	;; [unrolled: 1-line block ×4, first 2 shown]
	v_fmac_f32_e32 v31, v64, v18
	v_add_u32_e32 v18, 19, v14
	v_fma_f32 v48, v64, v15, v48
	v_fmac_f32_e32 v49, v64, v16
	v_fma_f32 v40, v64, v17, v40
	v_add_u32_e32 v15, 32, v14
	v_add_u32_e32 v16, 33, v14
	;; [unrolled: 1-line block ×3, first 2 shown]
	v_cvt_f32_i32_e32 v18, v18
	v_cvt_f32_i32_e32 v15, v15
	v_cvt_f32_i32_e32 v16, v16
	v_cvt_f32_i32_e32 v17, v17
	v_fmac_f32_e32 v41, v64, v18
	v_add_u32_e32 v18, 35, v14
	v_fma_f32 v42, v64, v15, v42
	v_fmac_f32_e32 v43, v64, v16
	v_fma_f32 v38, v64, v17, v38
	v_add_u32_e32 v15, 48, v14
	v_add_u32_e32 v16, 49, v14
	;; [unrolled: 1-line block ×4, first 2 shown]
	v_cvt_f32_i32_e32 v14, v14
	v_cvt_f32_i32_e32 v15, v15
	;; [unrolled: 1-line block ×3, first 2 shown]
	v_cmp_gt_i32_e64 s[8:9], s7, v12
	v_fmac_f32_e32 v35, v64, v14
	v_mov_b32_e32 v14, 0xff7fffff
	v_cmp_gt_i32_e64 s[10:11], s7, v13
	v_fma_f32 v36, v64, v15, v36
	v_cndmask_b32_e64 v15, v14, v10, s[8:9]
	v_cndmask_b32_e64 v13, v14, v11, s[10:11]
	v_fmac_f32_e32 v37, v64, v16
	v_max3_f32 v13, v15, s40, v13
	v_or_b32_e32 v15, 2, v12
	v_or_b32_e32 v16, 3, v12
	v_cmp_gt_i32_e64 s[12:13], s7, v15
	v_cmp_gt_i32_e64 s[14:15], s7, v16
	v_cvt_f32_i32_e32 v18, v18
	v_cndmask_b32_e64 v15, v14, v51, s[12:13]
	v_cndmask_b32_e64 v16, v14, v31, s[14:15]
	v_max3_f32 v13, v13, v15, v16
	v_or_b32_e32 v15, 16, v12
	v_or_b32_e32 v16, 17, v12
	v_cmp_gt_i32_e64 s[16:17], s7, v15
	v_cmp_gt_i32_e64 s[18:19], s7, v16
	v_fmac_f32_e32 v39, v64, v18
	v_cndmask_b32_e64 v15, v14, v48, s[16:17]
	v_cndmask_b32_e64 v16, v14, v49, s[18:19]
	v_max3_f32 v13, v13, v15, v16
	v_or_b32_e32 v15, 18, v12
	v_or_b32_e32 v16, 19, v12
	v_cmp_gt_i32_e64 s[20:21], s7, v15
	v_cmp_gt_i32_e64 s[22:23], s7, v16
	v_cvt_f32_i32_e32 v17, v17
	v_cndmask_b32_e64 v15, v14, v40, s[20:21]
	v_cndmask_b32_e64 v16, v14, v41, s[22:23]
	v_max3_f32 v13, v13, v15, v16
	v_or_b32_e32 v15, 32, v12
	v_or_b32_e32 v16, 33, v12
	v_cmp_gt_i32_e64 s[24:25], s7, v15
	v_cmp_gt_i32_e64 s[26:27], s7, v16
	v_fma_f32 v34, v64, v17, v34
	v_cndmask_b32_e64 v15, v14, v42, s[24:25]
	v_cndmask_b32_e64 v16, v14, v43, s[26:27]
	v_max3_f32 v13, v13, v15, v16
	v_or_b32_e32 v15, 34, v12
	v_or_b32_e32 v16, 35, v12
	v_cmp_gt_i32_e64 s[28:29], s7, v15
	v_cmp_gt_i32_e64 s[30:31], s7, v16
	s_nop 0
	v_cndmask_b32_e64 v15, v14, v38, s[28:29]
	v_cndmask_b32_e64 v16, v14, v39, s[30:31]
	v_max3_f32 v13, v13, v15, v16
	v_or_b32_e32 v15, 48, v12
	v_or_b32_e32 v16, 49, v12
	v_cmp_gt_i32_e64 s[34:35], s7, v15
	v_cmp_gt_i32_e64 s[36:37], s7, v16
	s_nop 0
	v_cndmask_b32_e64 v15, v14, v36, s[34:35]
	v_cndmask_b32_e64 v16, v14, v37, s[36:37]
	v_max3_f32 v13, v13, v15, v16
	v_or_b32_e32 v15, 50, v12
	v_or_b32_e32 v12, 51, v12
	v_cmp_gt_i32_e32 vcc, s7, v15
	v_cmp_gt_i32_e64 s[4:5], s7, v12
	s_nop 0
	v_cndmask_b32_e32 v15, v14, v34, vcc
	v_cndmask_b32_e64 v12, v14, v35, s[4:5]
	v_max3_f32 v16, v13, v15, v12
	v_mbcnt_lo_u32_b32 v12, -1, 0
	v_mbcnt_hi_u32_b32 v17, -1, v12
	v_and_b32_e32 v12, 64, v17
	v_add_u32_e32 v18, 64, v12
	v_xor_b32_e32 v12, 32, v17
	v_cmp_lt_i32_e64 s[38:39], v12, v18
	s_nop 1
	v_cndmask_b32_e64 v12, v17, v12, s[38:39]
	v_lshlrev_b32_e32 v52, 2, v12
	ds_bpermute_b32 v19, v52, v16
	v_lshl_add_u64 v[12:13], v[46:47], 0, v[58:59]
	v_mad_i64_i32 v[14:15], s[38:39], v69, s45, v[12:13]
	s_waitcnt lgkmcnt(0)
	v_max_f32_e32 v19, v19, v19
	v_max_f32_e32 v19, v16, v19
	v_xor_b32_e32 v16, 16, v17
	v_cmp_lt_i32_e64 s[38:39], v16, v18
	s_nop 1
	v_cndmask_b32_e64 v16, v17, v16, s[38:39]
	v_lshlrev_b32_e32 v53, 2, v16
	ds_bpermute_b32 v18, v53, v19
	v_mad_i64_i32 v[16:17], s[38:39], v67, s45, v[12:13]
	v_mad_i64_i32 v[44:45], s[38:39], v68, s45, v[12:13]
	s_waitcnt lgkmcnt(0)
	v_max_f32_e32 v18, v18, v18
	v_max_f32_e32 v50, v19, v18
	v_sub_f32_e32 v10, v10, v50
	v_mul_f32_e32 v10, 0x3fb8aa3b, v10
	v_exp_f32_e32 v18, v10
	v_sub_f32_e32 v10, v11, v50
	v_mul_f32_e32 v10, 0x3fb8aa3b, v10
	v_exp_f32_e32 v19, v10
	v_mad_i64_i32 v[10:11], s[38:39], v66, s45, v[12:13]
	v_sub_f32_e32 v12, v51, v50
	v_mul_f32_e32 v12, 0x3fb8aa3b, v12
	v_cndmask_b32_e64 v46, 0, v18, s[8:9]
	v_cndmask_b32_e64 v47, 0, v19, s[10:11]
	v_sub_f32_e32 v58, v31, v50
	global_load_dwordx4 v[30:33], v[14:15], off
	global_load_dwordx4 v[18:21], v[16:17], off
	v_exp_f32_e32 v51, v12
	global_load_dwordx4 v[14:17], v[44:45], off
	s_nop 0
	global_load_dwordx4 v[10:13], v[10:11], off
	v_sub_f32_e32 v45, v48, v50
	v_sub_f32_e32 v48, v49, v50
	;; [unrolled: 1-line block ×4, first 2 shown]
	v_mul_f32_e32 v44, 0x3fb8aa3b, v58
	v_mul_f32_e32 v45, 0x3fb8aa3b, v45
	;; [unrolled: 1-line block ×5, first 2 shown]
	v_exp_f32_e32 v44, v44
	v_exp_f32_e32 v45, v45
	;; [unrolled: 1-line block ×3, first 2 shown]
	v_cndmask_b32_e64 v48, 0, v51, s[12:13]
	v_exp_f32_e32 v40, v40
	v_exp_f32_e32 v51, v42
	v_sub_f32_e32 v42, v43, v50
	v_mul_f32_e32 v42, 0x3fb8aa3b, v42
	v_cndmask_b32_e64 v49, 0, v44, s[14:15]
	v_cndmask_b32_e64 v44, 0, v45, s[16:17]
	;; [unrolled: 1-line block ×3, first 2 shown]
	v_sub_f32_e32 v41, v41, v50
	v_exp_f32_e32 v58, v42
	v_cndmask_b32_e64 v42, 0, v40, s[20:21]
	v_cndmask_b32_e64 v40, 0, v51, s[24:25]
	v_add_f32_e32 v51, 0, v46
	v_mul_f32_e32 v41, 0x3fb8aa3b, v41
	v_add_f32_e32 v51, v51, v47
	v_exp_f32_e32 v41, v41
	v_add_f32_e32 v51, v51, v48
	v_sub_f32_e32 v38, v38, v50
	v_add_f32_e32 v51, v51, v49
	v_sub_f32_e32 v39, v39, v50
	v_mul_f32_e32 v38, 0x3fb8aa3b, v38
	v_add_f32_e32 v51, v51, v44
	v_exp_f32_e32 v38, v38
	v_mul_f32_e32 v39, 0x3fb8aa3b, v39
	v_sub_f32_e32 v36, v36, v50
	v_add_f32_e32 v51, v51, v45
	v_cndmask_b32_e64 v43, 0, v41, s[22:23]
	v_exp_f32_e32 v39, v39
	v_mul_f32_e32 v36, 0x3fb8aa3b, v36
	v_sub_f32_e32 v37, v37, v50
	v_add_f32_e32 v51, v51, v42
	v_exp_f32_e32 v36, v36
	v_mul_f32_e32 v37, 0x3fb8aa3b, v37
	v_add_f32_e32 v51, v51, v43
	v_sub_f32_e32 v34, v34, v50
	v_cndmask_b32_e64 v41, 0, v58, s[26:27]
	v_exp_f32_e32 v37, v37
	v_add_f32_e32 v51, v51, v40
	v_mul_f32_e32 v34, 0x3fb8aa3b, v34
	v_sub_f32_e32 v35, v35, v50
	v_cndmask_b32_e64 v38, 0, v38, s[28:29]
	v_add_f32_e32 v51, v51, v41
	v_exp_f32_e32 v34, v34
	v_mul_f32_e32 v35, 0x3fb8aa3b, v35
	v_cndmask_b32_e64 v39, 0, v39, s[30:31]
	v_add_f32_e32 v51, v51, v38
	v_exp_f32_e32 v35, v35
	v_cndmask_b32_e64 v36, 0, v36, s[34:35]
	v_add_f32_e32 v51, v51, v39
	v_cndmask_b32_e64 v37, 0, v37, s[36:37]
	v_add_f32_e32 v51, v51, v36
	v_add_f32_e32 v51, v51, v37
	v_cndmask_b32_e32 v34, 0, v34, vcc
	v_add_f32_e32 v51, v51, v34
	v_cndmask_b32_e64 v35, 0, v35, s[4:5]
	v_add_f32_e32 v51, v51, v35
	ds_bpermute_b32 v52, v52, v51
	v_cmp_gt_u32_e32 vcc, 16, v55
	s_waitcnt lgkmcnt(0)
	s_barrier
	v_add_f32_e32 v51, v51, v52
	ds_bpermute_b32 v52, v53, v51
	s_and_saveexec_b64 s[4:5], vcc
	s_cbranch_execz .LBB1066_15
; %bb.14:
	s_waitcnt lgkmcnt(0)
	v_add_f32_e32 v51, v51, v52
	v_lshlrev_b32_e32 v52, 2, v65
	ds_write2st64_b32 v52, v50, v51 offset1:1
.LBB1066_15:
	s_or_b64 exec, exec, s[4:5]
	v_lshlrev_b32_e32 v51, 2, v56
	s_load_dword s7, s[0:1], 0x94
	s_waitcnt lgkmcnt(0)
	s_barrier
	ds_read2_b32 v[52:53], v51 offset1:16
	ds_read2_b32 v[58:59], v51 offset0:32 offset1:48
	ds_read2_b32 v[60:61], v51 offset0:64 offset1:80
	s_mul_i32 s8, s33, 3
	s_waitcnt lgkmcnt(2)
	v_max3_f32 v50, v52, s40, v53
	s_waitcnt lgkmcnt(1)
	v_max3_f32 v50, v50, v58, v59
	v_sub_f32_e32 v52, v52, v50
	v_mul_f32_e32 v52, 0x3fb8aa3b, v52
	v_exp_f32_e32 v55, v52
	v_sub_f32_e32 v52, v53, v50
	v_mul_f32_e32 v52, 0x3fb8aa3b, v52
	v_exp_f32_e32 v64, v52
	;; [unrolled: 3-line block ×3, first 2 shown]
	ds_read2_b32 v[52:53], v51 offset0:96 offset1:112
	v_sub_f32_e32 v51, v59, v50
	v_mul_f32_e32 v51, 0x3fb8aa3b, v51
	v_exp_f32_e32 v59, v51
	s_waitcnt lgkmcnt(1)
	v_fma_f32 v51, v55, v60, 0
	v_fmac_f32_e32 v51, v64, v61
	s_waitcnt lgkmcnt(0)
	v_fmac_f32_e32 v51, v58, v52
	v_fmac_f32_e32 v51, v59, v53
	v_add_f32_e32 v52, 0x358637bd, v51
	v_div_scale_f32 v53, s[4:5], v52, v52, 1.0
	v_rcp_f32_e32 v60, v53
	s_barrier
	v_fma_f32 v61, -v53, v60, 1.0
	v_fmac_f32_e32 v60, v61, v60
	v_div_scale_f32 v61, vcc, 1.0, v52, 1.0
	v_mul_f32_e32 v65, v61, v60
	v_fma_f32 v66, -v53, v65, v61
	v_fmac_f32_e32 v65, v66, v60
	v_fma_f32 v53, -v53, v65, v61
	v_div_fmas_f32 v53, v53, v60, v65
	v_cmp_eq_u32_e32 vcc, 1, v57
	v_div_fixup_f32 v52, v53, v52, 1.0
	s_nop 0
	v_cndmask_b32_e32 v53, v55, v64, vcc
	v_cmp_eq_u32_e32 vcc, 2, v57
	s_nop 1
	v_cndmask_b32_e32 v53, v53, v58, vcc
	v_cmp_eq_u32_e32 vcc, 3, v57
	s_nop 1
	v_cndmask_b32_e32 v53, v53, v59, vcc
	v_mul_f32_e32 v52, v53, v52
	v_pk_mul_f32 v[48:49], v[52:53], v[48:49] op_sel_hi:[0,1]
	v_pk_mul_f32 v[46:47], v[52:53], v[46:47] op_sel_hi:[0,1]
	v_cvt_f16_f32_e32 v53, v48
	v_cvt_f16_f32_e32 v49, v49
	;; [unrolled: 1-line block ×4, first 2 shown]
	v_pk_mul_f32 v[42:43], v[52:53], v[42:43] op_sel_hi:[0,1]
	v_pk_mul_f32 v[44:45], v[52:53], v[44:45] op_sel_hi:[0,1]
	v_pack_b32_f16 v49, v53, v49
	v_cvt_f16_f32_e32 v44, v44
	v_cvt_f16_f32_e32 v45, v45
	;; [unrolled: 1-line block ×4, first 2 shown]
	v_pack_b32_f16 v48, v46, v47
	v_lshlrev_b32_e32 v47, 3, v62
	v_lshlrev_b32_e32 v46, 5, v56
	;; [unrolled: 1-line block ×3, first 2 shown]
	v_or3_b32 v55, v42, v46, v47
	v_pack_b32_f16 v42, v44, v45
	v_pack_b32_f16 v43, v53, v43
	v_pk_mul_f32 v[38:39], v[52:53], v[38:39] op_sel_hi:[0,1]
	v_pk_mul_f32 v[40:41], v[52:53], v[40:41] op_sel_hi:[0,1]
	;; [unrolled: 1-line block ×4, first 2 shown]
	ds_write2st64_b64 v55, v[48:49], v[42:43] offset1:1
	v_cvt_f16_f32_e32 v40, v40
	v_cvt_f16_f32_e32 v41, v41
	;; [unrolled: 1-line block ×8, first 2 shown]
	v_pack_b32_f16 v34, v40, v41
	v_pack_b32_f16 v35, v38, v39
	;; [unrolled: 1-line block ×4, first 2 shown]
	v_cmp_gt_u32_e32 vcc, 3, v0
	ds_write2st64_b64 v55, v[34:35], v[36:37] offset0:2 offset1:3
	s_and_saveexec_b64 s[4:5], vcc
	s_cbranch_execz .LBB1066_17
; %bb.16:
	s_mov_b32 s49, 0
	v_mov_b32_e32 v57, 0
	v_lshl_add_u64 v[34:35], s[48:49], 0, v[56:57]
	v_mov_b32_e32 v36, s8
	v_mad_u64_u32 v[34:35], s[10:11], s2, v36, v[34:35]
	s_mul_i32 s3, s3, s8
	v_mov_b32_e32 v36, s6
	v_mov_b32_e32 v37, v57
	s_load_dwordx4 s[12:15], s[0:1], 0x58
	v_add_u32_e32 v38, s3, v35
	v_mad_u64_u32 v[34:35], s[10:11], v34, s7, v[36:37]
	v_mov_b32_e32 v36, v35
	v_mad_u64_u32 v[36:37], s[10:11], v38, s7, v[36:37]
	v_mov_b32_e32 v35, v36
	v_lshlrev_b64 v[34:35], 2, v[34:35]
	s_waitcnt lgkmcnt(0)
	v_lshl_add_u64 v[36:37], s[14:15], 0, v[34:35]
	v_lshl_add_u64 v[34:35], s[12:13], 0, v[34:35]
	global_store_dword v[36:37], v50, off
	global_store_dword v[34:35], v51, off
.LBB1066_17:
	s_or_b64 exec, exec, s[4:5]
	s_waitcnt vmcnt(7)
	v_cvt_pk_f32_fp8_e32 v[34:35], v6
	v_cvt_pk_f32_fp8_sdwa v[36:37], v6 src0_sel:WORD_1
	v_lshl_or_b32 v50, v62, 9, v46
	s_waitcnt lgkmcnt(0)
	s_barrier
	v_cvt_pk_f32_fp8_e32 v[38:39], v7
	v_cvt_pkrtz_f16_f32 v6, v34, v35
	v_cvt_pk_f32_fp8_sdwa v[40:41], v7 src0_sel:WORD_1
	v_cvt_pkrtz_f16_f32 v7, v36, v37
	ds_read_b128 v[34:37], v50
	v_cvt_pkrtz_f16_f32 v46, v38, v39
	v_cvt_pkrtz_f16_f32 v47, v40, v41
	ds_read_b128 v[38:41], v50 offset:16
	v_cvt_pk_f32_fp8_e32 v[48:49], v8
	v_cvt_pk_f32_fp8_sdwa v[52:53], v8 src0_sel:WORD_1
	s_waitcnt lgkmcnt(1)
	v_mfma_f32_16x16x16_f16 v[42:45], v[6:7], v[34:35], 0
	s_waitcnt vmcnt(6)
	v_cvt_pk_f32_fp8_e32 v[58:59], v4
	v_cvt_pkrtz_f16_f32 v6, v48, v49
	v_cvt_pkrtz_f16_f32 v7, v52, v53
	v_cvt_pk_f32_fp8_e32 v[48:49], v9
	v_mfma_f32_16x16x16_f16 v[42:45], v[46:47], v[36:37], v[42:45]
	v_cvt_pk_f32_fp8_sdwa v[46:47], v9 src0_sel:WORD_1
	v_cvt_pk_f32_fp8_sdwa v[60:61], v4 src0_sel:WORD_1
	v_cvt_pkrtz_f16_f32 v48, v48, v49
	s_waitcnt lgkmcnt(0)
	v_mfma_f32_16x16x16_f16 v[6:9], v[6:7], v[38:39], v[42:45]
	v_cvt_pkrtz_f16_f32 v49, v46, v47
	s_waitcnt vmcnt(5)
	v_cvt_pk_f32_fp8_e32 v[64:65], v28
	v_cvt_pk_f32_fp8_sdwa v[66:67], v28 src0_sel:WORD_1
	v_cvt_pk_f32_fp8_e32 v[42:43], v2
	v_mfma_f32_16x16x16_f16 v[46:49], v[48:49], v[40:41], v[6:9]
	s_waitcnt vmcnt(4)
	v_cvt_pk_f32_fp8_sdwa v[68:69], v24 src0_sel:WORD_1
	s_load_dword s4, s[42:43], 0x0
	v_cvt_pk_f32_fp8_sdwa v[6:7], v2 src0_sel:WORD_1
	v_cvt_pk_f32_fp8_e32 v[8:9], v3
	v_cvt_pkrtz_f16_f32 v2, v42, v43
	v_cvt_pk_f32_fp8_sdwa v[42:43], v3 src0_sel:WORD_1
	v_cvt_pkrtz_f16_f32 v3, v6, v7
	v_cvt_pkrtz_f16_f32 v52, v8, v9
	ds_read_b128 v[6:9], v50 offset:2048
	v_cvt_pkrtz_f16_f32 v53, v42, v43
	ds_read_b128 v[42:45], v50 offset:2064
	s_waitcnt lgkmcnt(0)
	v_mfma_f32_16x16x16_f16 v[46:49], v[2:3], v[6:7], v[46:49]
	v_cvt_pkrtz_f16_f32 v2, v58, v59
	v_cvt_pkrtz_f16_f32 v3, v60, v61
	v_cvt_pk_f32_fp8_e32 v[58:59], v5
	v_mfma_f32_16x16x16_f16 v[46:49], v[52:53], v[8:9], v[46:49]
	v_cvt_pk_f32_fp8_sdwa v[52:53], v5 src0_sel:WORD_1
	v_cmp_gt_u32_e32 vcc, 64, v0
	v_cvt_pkrtz_f16_f32 v58, v58, v59
	v_mfma_f32_16x16x16_f16 v[2:5], v[2:3], v[42:43], v[46:49]
	v_cvt_pkrtz_f16_f32 v59, v52, v53
	s_mov_b32 s3, 0
	s_nop 0
	v_cvt_pk_f32_fp8_e32 v[46:47], v26
	v_mfma_f32_16x16x16_f16 v[58:61], v[58:59], v[44:45], v[2:5]
	s_nop 2
	v_cvt_pk_f32_fp8_sdwa v[2:3], v26 src0_sel:WORD_1
	v_cvt_pk_f32_fp8_e32 v[4:5], v27
	v_cvt_pkrtz_f16_f32 v26, v46, v47
	v_cvt_pk_f32_fp8_sdwa v[46:47], v27 src0_sel:WORD_1
	v_cvt_pkrtz_f16_f32 v27, v2, v3
	v_cvt_pkrtz_f16_f32 v52, v4, v5
	ds_read_b128 v[2:5], v50 offset:4096
	v_cvt_pkrtz_f16_f32 v53, v46, v47
	ds_read_b128 v[46:49], v50 offset:4112
	s_waitcnt lgkmcnt(1)
	v_mfma_f32_16x16x16_f16 v[58:61], v[26:27], v[2:3], v[58:61]
	v_cvt_pkrtz_f16_f32 v26, v64, v65
	v_cvt_pkrtz_f16_f32 v27, v66, v67
	v_cvt_pk_f32_fp8_e32 v[64:65], v29
	v_mfma_f32_16x16x16_f16 v[58:61], v[52:53], v[4:5], v[58:61]
	v_cvt_pk_f32_fp8_sdwa v[52:53], v29 src0_sel:WORD_1
	v_cvt_pk_f32_fp8_e32 v[66:67], v24
	v_cvt_pkrtz_f16_f32 v64, v64, v65
	s_waitcnt lgkmcnt(0)
	v_mfma_f32_16x16x16_f16 v[26:29], v[26:27], v[46:47], v[58:61]
	v_cvt_pkrtz_f16_f32 v65, v52, v53
	v_cvt_pk_f32_fp8_e32 v[52:53], v22
	s_nop 0
	v_mfma_f32_16x16x16_f16 v[58:61], v[64:65], v[48:49], v[26:29]
	s_nop 2
	v_cvt_pk_f32_fp8_sdwa v[26:27], v22 src0_sel:WORD_1
	v_cvt_pk_f32_fp8_e32 v[28:29], v23
	v_cvt_pkrtz_f16_f32 v22, v52, v53
	v_cvt_pk_f32_fp8_sdwa v[52:53], v23 src0_sel:WORD_1
	v_cvt_pkrtz_f16_f32 v23, v26, v27
	v_cvt_pkrtz_f16_f32 v64, v28, v29
	ds_read_b128 v[26:29], v50 offset:6144
	v_cvt_pkrtz_f16_f32 v65, v52, v53
	s_waitcnt lgkmcnt(0)
	v_mfma_f32_16x16x16_f16 v[58:61], v[22:23], v[26:27], v[58:61]
	ds_read_b128 v[50:53], v50 offset:6160
	v_cvt_pkrtz_f16_f32 v22, v66, v67
	v_cvt_pkrtz_f16_f32 v23, v68, v69
	v_mfma_f32_16x16x16_f16 v[58:61], v[64:65], v[28:29], v[58:61]
	v_cvt_pk_f32_fp8_e32 v[66:67], v25
	v_cvt_pk_f32_fp8_sdwa v[64:65], v25 src0_sel:WORD_1
	s_waitcnt vmcnt(3)
	v_cvt_pk_f32_fp8_sdwa v[68:69], v32 src0_sel:WORD_1
	s_waitcnt lgkmcnt(0)
	v_mfma_f32_16x16x16_f16 v[22:25], v[22:23], v[50:51], v[58:61]
	v_cvt_pkrtz_f16_f32 v66, v66, v67
	v_cvt_pkrtz_f16_f32 v67, v64, v65
	v_cvt_pk_f32_fp8_e32 v[64:65], v31
	v_cvt_pk_f32_fp8_e32 v[58:59], v30
	v_cvt_pk_f32_fp8_sdwa v[60:61], v30 src0_sel:WORD_1
	v_cvt_pk_f32_fp8_sdwa v[30:31], v31 src0_sel:WORD_1
	v_mfma_f32_16x16x16_f16 v[22:25], v[66:67], v[52:53], v[22:25]
	v_cvt_pkrtz_f16_f32 v58, v58, v59
	v_cvt_pkrtz_f16_f32 v59, v60, v61
	;; [unrolled: 1-line block ×3, first 2 shown]
	v_cvt_pk_f32_fp8_e32 v[66:67], v32
	v_cvt_pkrtz_f16_f32 v65, v30, v31
	v_mfma_f32_16x16x16_f16 v[58:61], v[58:59], v[34:35], 0
	v_cvt_pkrtz_f16_f32 v30, v66, v67
	v_cvt_pkrtz_f16_f32 v31, v68, v69
	v_cvt_pk_f32_fp8_e32 v[66:67], v33
	v_mfma_f32_16x16x16_f16 v[34:37], v[64:65], v[36:37], v[58:61]
	s_barrier
	s_nop 1
	v_cvt_pk_f32_fp8_sdwa v[58:59], v33 src0_sel:WORD_1
	v_cvt_pkrtz_f16_f32 v60, v66, v67
	v_mfma_f32_16x16x16_f16 v[30:33], v[30:31], v[38:39], v[34:37]
	s_waitcnt vmcnt(2)
	v_cvt_pk_f32_fp8_e32 v[38:39], v19
	v_cvt_pkrtz_f16_f32 v61, v58, v59
	v_cvt_pk_f32_fp8_e32 v[34:35], v18
	v_cvt_pk_f32_fp8_sdwa v[36:37], v18 src0_sel:WORD_1
	v_cvt_pk_f32_fp8_sdwa v[18:19], v19 src0_sel:WORD_1
	v_mfma_f32_16x16x16_f16 v[30:33], v[60:61], v[40:41], v[30:33]
	v_cvt_pkrtz_f16_f32 v34, v34, v35
	v_cvt_pkrtz_f16_f32 v35, v36, v37
	;; [unrolled: 1-line block ×3, first 2 shown]
	v_cvt_pk_f32_fp8_e32 v[38:39], v20
	v_cvt_pk_f32_fp8_sdwa v[40:41], v20 src0_sel:WORD_1
	v_cvt_pkrtz_f16_f32 v37, v18, v19
	v_mfma_f32_16x16x16_f16 v[30:33], v[34:35], v[6:7], v[30:33]
	v_cvt_pkrtz_f16_f32 v18, v38, v39
	v_cvt_pkrtz_f16_f32 v19, v40, v41
	v_cvt_pk_f32_fp8_e32 v[34:35], v21
	v_cvt_pk_f32_fp8_sdwa v[20:21], v21 src0_sel:WORD_1
	v_mfma_f32_16x16x16_f16 v[6:9], v[36:37], v[8:9], v[30:33]
	s_nop 2
	v_cvt_pkrtz_f16_f32 v30, v34, v35
	v_cvt_pkrtz_f16_f32 v31, v20, v21
	v_mfma_f32_16x16x16_f16 v[6:9], v[18:19], v[42:43], v[6:9]
	s_waitcnt vmcnt(1)
	v_cvt_pk_f32_fp8_e32 v[18:19], v14
	v_cvt_pk_f32_fp8_sdwa v[20:21], v14 src0_sel:WORD_1
	v_cvt_pk_f32_fp8_sdwa v[32:33], v16 src0_sel:WORD_1
	v_mfma_f32_16x16x16_f16 v[6:9], v[30:31], v[44:45], v[6:9]
	v_cvt_pk_f32_fp8_e32 v[30:31], v15
	v_cvt_pkrtz_f16_f32 v18, v18, v19
	v_cvt_pkrtz_f16_f32 v19, v20, v21
	v_cvt_pk_f32_fp8_sdwa v[14:15], v15 src0_sel:WORD_1
	v_cvt_pkrtz_f16_f32 v20, v30, v31
	v_cvt_pk_f32_fp8_e32 v[30:31], v16
	v_mfma_f32_16x16x16_f16 v[6:9], v[18:19], v[2:3], v[6:9]
	v_cvt_pkrtz_f16_f32 v21, v14, v15
	v_cvt_pkrtz_f16_f32 v14, v30, v31
	;; [unrolled: 1-line block ×3, first 2 shown]
	v_cvt_pk_f32_fp8_e32 v[18:19], v17
	v_cvt_pk_f32_fp8_sdwa v[16:17], v17 src0_sel:WORD_1
	v_mfma_f32_16x16x16_f16 v[2:5], v[20:21], v[4:5], v[6:9]
	s_waitcnt vmcnt(0)
	v_cvt_pk_f32_fp8_sdwa v[20:21], v12 src0_sel:WORD_1
	s_nop 0
	v_cvt_pkrtz_f16_f32 v8, v18, v19
	v_cvt_pkrtz_f16_f32 v9, v16, v17
	v_mfma_f32_16x16x16_f16 v[2:5], v[14:15], v[46:47], v[2:5]
	v_cvt_pk_f32_fp8_e32 v[16:17], v10
	v_cvt_pk_f32_fp8_sdwa v[18:19], v10 src0_sel:WORD_1
	v_pk_mul_f32 v[6:7], v[24:25], s[4:5] op_sel_hi:[1,0]
	v_mfma_f32_16x16x16_f16 v[2:5], v[8:9], v[48:49], v[2:5]
	v_cvt_pk_f32_fp8_e32 v[8:9], v11
	v_cvt_pkrtz_f16_f32 v16, v16, v17
	v_cvt_pkrtz_f16_f32 v17, v18, v19
	v_cvt_pk_f32_fp8_sdwa v[10:11], v11 src0_sel:WORD_1
	v_cvt_pkrtz_f16_f32 v8, v8, v9
	v_cvt_pk_f32_fp8_e32 v[18:19], v12
	v_mfma_f32_16x16x16_f16 v[2:5], v[16:17], v[26:27], v[2:5]
	v_cvt_pkrtz_f16_f32 v9, v10, v11
	v_cvt_pkrtz_f16_f32 v10, v18, v19
	;; [unrolled: 1-line block ×3, first 2 shown]
	v_cvt_pk_f32_fp8_e32 v[16:17], v13
	v_cvt_pk_f32_fp8_sdwa v[12:13], v13 src0_sel:WORD_1
	v_mfma_f32_16x16x16_f16 v[2:5], v[8:9], v[28:29], v[2:5]
	v_pk_mul_f32 v[14:15], v[22:23], s[4:5] op_sel_hi:[1,0]
	v_cvt_pkrtz_f16_f32 v8, v16, v17
	v_cvt_pkrtz_f16_f32 v9, v12, v13
	v_mfma_f32_16x16x16_f16 v[2:5], v[10:11], v[50:51], v[2:5]
	v_cvt_f16_f32_e32 v14, v14
	v_cvt_f16_f32_e32 v10, v15
	;; [unrolled: 1-line block ×3, first 2 shown]
	v_mfma_f32_16x16x16_f16 v[2:5], v[8:9], v[52:53], v[2:5]
	v_cvt_f16_f32_e32 v7, v7
	s_nop 5
	v_pk_mul_f32 v[4:5], v[4:5], s[4:5] op_sel_hi:[1,0]
	v_pk_mul_f32 v[2:3], v[2:3], s[4:5] op_sel_hi:[1,0]
	v_cvt_f16_f32_e32 v11, v4
	v_cvt_f16_f32_e32 v8, v2
	;; [unrolled: 1-line block ×4, first 2 shown]
	v_cmp_ne_u32_e64 s[4:5], 3, v62
	v_pack_b32_f16 v2, v14, v10
	v_pack_b32_f16 v3, v6, v7
	;; [unrolled: 1-line block ×4, first 2 shown]
	s_and_b64 s[4:5], vcc, s[4:5]
	ds_write2st64_b64 v55, v[2:3], v[4:5] offset1:1
	s_waitcnt lgkmcnt(0)
	s_barrier
	s_and_saveexec_b64 s[10:11], s[4:5]
	s_cbranch_execz .LBB1066_19
; %bb.18:
	s_load_dwordx2 s[0:1], s[0:1], 0x68
	s_mul_i32 s2, s8, s2
	s_lshl_b32 s7, s7, 7
	v_lshlrev_b32_e32 v4, 6, v56
	s_mul_hi_u32 s5, s2, s7
	s_mul_i32 s4, s2, s7
	v_lshl_or_b32 v0, v0, 10, v4
	s_lshl_b64 s[4:5], s[4:5], 1
	v_lshlrev_b32_e32 v2, 5, v62
	v_and_b32_e32 v3, 16, v63
	v_and_b32_e32 v0, 0x1a00, v0
	s_waitcnt lgkmcnt(0)
	s_add_u32 s4, s0, s4
	v_or3_b32 v0, v0, v2, v3
	s_addc_u32 s5, s1, s5
	s_lshl_b32 s2, s6, 7
	ds_read_b128 v[2:5], v0
	s_lshl_b64 s[0:1], s[2:3], 1
	s_add_u32 s0, s4, s0
	s_addc_u32 s1, s5, s1
	v_mad_u64_u32 v[0:1], s[2:3], s7, v1, 0
	v_lshl_add_u64 v[0:1], v[0:1], 1, s[0:1]
	v_mov_b32_e32 v55, 0
	v_lshl_add_u64 v[0:1], v[0:1], 0, v[54:55]
	s_waitcnt lgkmcnt(0)
	global_store_dwordx4 v[0:1], v[2:5], off
.LBB1066_19:
	s_endpgm
	.section	.rodata,"a",@progbits
	.p2align	6, 0x0
	.amdhsa_kernel _Z39paged_attention_ll4mi_QKV_mfma16_kernelIDF16_hLN4vllm18Fp8KVCacheDataTypeE1EDF16_Li32ELi128ELi256ELb1ELi3EEvPKT_PKT0_S7_ifPKiS9_S9_iPKfiiiPfSC_PS2_PT2_iSB_SB_
		.amdhsa_group_segment_fixed_size 8192
		.amdhsa_private_segment_fixed_size 0
		.amdhsa_kernarg_size 400
		.amdhsa_user_sgpr_count 2
		.amdhsa_user_sgpr_dispatch_ptr 0
		.amdhsa_user_sgpr_queue_ptr 0
		.amdhsa_user_sgpr_kernarg_segment_ptr 1
		.amdhsa_user_sgpr_dispatch_id 0
		.amdhsa_user_sgpr_kernarg_preload_length 0
		.amdhsa_user_sgpr_kernarg_preload_offset 0
		.amdhsa_user_sgpr_private_segment_size 0
		.amdhsa_uses_dynamic_stack 0
		.amdhsa_enable_private_segment 0
		.amdhsa_system_sgpr_workgroup_id_x 1
		.amdhsa_system_sgpr_workgroup_id_y 1
		.amdhsa_system_sgpr_workgroup_id_z 1
		.amdhsa_system_sgpr_workgroup_info 0
		.amdhsa_system_vgpr_workitem_id 0
		.amdhsa_next_free_vgpr 80
		.amdhsa_next_free_sgpr 50
		.amdhsa_accum_offset 80
		.amdhsa_reserve_vcc 1
		.amdhsa_float_round_mode_32 0
		.amdhsa_float_round_mode_16_64 0
		.amdhsa_float_denorm_mode_32 3
		.amdhsa_float_denorm_mode_16_64 3
		.amdhsa_dx10_clamp 1
		.amdhsa_ieee_mode 1
		.amdhsa_fp16_overflow 0
		.amdhsa_tg_split 0
		.amdhsa_exception_fp_ieee_invalid_op 0
		.amdhsa_exception_fp_denorm_src 0
		.amdhsa_exception_fp_ieee_div_zero 0
		.amdhsa_exception_fp_ieee_overflow 0
		.amdhsa_exception_fp_ieee_underflow 0
		.amdhsa_exception_fp_ieee_inexact 0
		.amdhsa_exception_int_div_zero 0
	.end_amdhsa_kernel
	.section	.text._Z39paged_attention_ll4mi_QKV_mfma16_kernelIDF16_hLN4vllm18Fp8KVCacheDataTypeE1EDF16_Li32ELi128ELi256ELb1ELi3EEvPKT_PKT0_S7_ifPKiS9_S9_iPKfiiiPfSC_PS2_PT2_iSB_SB_,"axG",@progbits,_Z39paged_attention_ll4mi_QKV_mfma16_kernelIDF16_hLN4vllm18Fp8KVCacheDataTypeE1EDF16_Li32ELi128ELi256ELb1ELi3EEvPKT_PKT0_S7_ifPKiS9_S9_iPKfiiiPfSC_PS2_PT2_iSB_SB_,comdat
.Lfunc_end1066:
	.size	_Z39paged_attention_ll4mi_QKV_mfma16_kernelIDF16_hLN4vllm18Fp8KVCacheDataTypeE1EDF16_Li32ELi128ELi256ELb1ELi3EEvPKT_PKT0_S7_ifPKiS9_S9_iPKfiiiPfSC_PS2_PT2_iSB_SB_, .Lfunc_end1066-_Z39paged_attention_ll4mi_QKV_mfma16_kernelIDF16_hLN4vllm18Fp8KVCacheDataTypeE1EDF16_Li32ELi128ELi256ELb1ELi3EEvPKT_PKT0_S7_ifPKiS9_S9_iPKfiiiPfSC_PS2_PT2_iSB_SB_
                                        ; -- End function
	.section	.AMDGPU.csdata,"",@progbits
; Kernel info:
; codeLenInByte = 6316
; NumSgprs: 56
; NumVgprs: 80
; NumAgprs: 0
; TotalNumVgprs: 80
; ScratchSize: 0
; MemoryBound: 0
; FloatMode: 240
; IeeeMode: 1
; LDSByteSize: 8192 bytes/workgroup (compile time only)
; SGPRBlocks: 6
; VGPRBlocks: 9
; NumSGPRsForWavesPerEU: 56
; NumVGPRsForWavesPerEU: 80
; AccumOffset: 80
; Occupancy: 6
; WaveLimiterHint : 1
; COMPUTE_PGM_RSRC2:SCRATCH_EN: 0
; COMPUTE_PGM_RSRC2:USER_SGPR: 2
; COMPUTE_PGM_RSRC2:TRAP_HANDLER: 0
; COMPUTE_PGM_RSRC2:TGID_X_EN: 1
; COMPUTE_PGM_RSRC2:TGID_Y_EN: 1
; COMPUTE_PGM_RSRC2:TGID_Z_EN: 1
; COMPUTE_PGM_RSRC2:TIDIG_COMP_CNT: 0
; COMPUTE_PGM_RSRC3_GFX90A:ACCUM_OFFSET: 19
; COMPUTE_PGM_RSRC3_GFX90A:TG_SPLIT: 0
	.section	.text._Z39paged_attention_ll4mi_QKV_mfma16_kernelIDF16_hLN4vllm18Fp8KVCacheDataTypeE1EDF16_Li32ELi128ELi256ELb1ELi4EEvPKT_PKT0_S7_ifPKiS9_S9_iPKfiiiPfSC_PS2_PT2_iSB_SB_,"axG",@progbits,_Z39paged_attention_ll4mi_QKV_mfma16_kernelIDF16_hLN4vllm18Fp8KVCacheDataTypeE1EDF16_Li32ELi128ELi256ELb1ELi4EEvPKT_PKT0_S7_ifPKiS9_S9_iPKfiiiPfSC_PS2_PT2_iSB_SB_,comdat
	.protected	_Z39paged_attention_ll4mi_QKV_mfma16_kernelIDF16_hLN4vllm18Fp8KVCacheDataTypeE1EDF16_Li32ELi128ELi256ELb1ELi4EEvPKT_PKT0_S7_ifPKiS9_S9_iPKfiiiPfSC_PS2_PT2_iSB_SB_ ; -- Begin function _Z39paged_attention_ll4mi_QKV_mfma16_kernelIDF16_hLN4vllm18Fp8KVCacheDataTypeE1EDF16_Li32ELi128ELi256ELb1ELi4EEvPKT_PKT0_S7_ifPKiS9_S9_iPKfiiiPfSC_PS2_PT2_iSB_SB_
	.globl	_Z39paged_attention_ll4mi_QKV_mfma16_kernelIDF16_hLN4vllm18Fp8KVCacheDataTypeE1EDF16_Li32ELi128ELi256ELb1ELi4EEvPKT_PKT0_S7_ifPKiS9_S9_iPKfiiiPfSC_PS2_PT2_iSB_SB_
	.p2align	8
	.type	_Z39paged_attention_ll4mi_QKV_mfma16_kernelIDF16_hLN4vllm18Fp8KVCacheDataTypeE1EDF16_Li32ELi128ELi256ELb1ELi4EEvPKT_PKT0_S7_ifPKiS9_S9_iPKfiiiPfSC_PS2_PT2_iSB_SB_,@function
_Z39paged_attention_ll4mi_QKV_mfma16_kernelIDF16_hLN4vllm18Fp8KVCacheDataTypeE1EDF16_Li32ELi128ELi256ELb1ELi4EEvPKT_PKT0_S7_ifPKiS9_S9_iPKfiiiPfSC_PS2_PT2_iSB_SB_: ; @_Z39paged_attention_ll4mi_QKV_mfma16_kernelIDF16_hLN4vllm18Fp8KVCacheDataTypeE1EDF16_Li32ELi128ELi256ELb1ELi4EEvPKT_PKT0_S7_ifPKiS9_S9_iPKfiiiPfSC_PS2_PT2_iSB_SB_
; %bb.0:
	s_load_dwordx2 s[8:9], s[0:1], 0x30
	s_mov_b32 s12, s3
	s_mov_b64 s[6:7], 0
	s_waitcnt lgkmcnt(0)
	s_cmp_lg_u64 s[8:9], 0
	s_cselect_b64 s[10:11], -1, 0
	s_and_b64 vcc, exec, s[10:11]
	s_cbranch_vccz .LBB1067_7
; %bb.1:
	s_add_i32 s14, s2, 1
	s_mov_b32 s15, 0
	s_lshl_b64 s[16:17], s[14:15], 2
	s_add_u32 s16, s8, s16
	s_mov_b32 s3, s15
	s_addc_u32 s17, s9, s17
	s_lshl_b64 s[14:15], s[2:3], 2
	s_add_u32 s14, s8, s14
	s_addc_u32 s15, s9, s15
	s_load_dword s5, s[16:17], 0x0
	s_load_dword s13, s[14:15], 0x0
	s_waitcnt lgkmcnt(0)
	s_sub_i32 s5, s5, s13
	s_cmp_eq_u32 s5, 1
	s_cselect_b64 s[14:15], -1, 0
	s_andn2_b64 vcc, exec, s[6:7]
	s_cbranch_vccnz .LBB1067_3
.LBB1067_2:
	s_mov_b32 s3, 0
	s_mov_b64 s[14:15], -1
.LBB1067_3:
	s_andn2_b64 vcc, exec, s[14:15]
	s_cbranch_vccnz .LBB1067_19
; %bb.4:
	s_load_dwordx2 s[6:7], s[0:1], 0x28
	s_lshl_b64 s[14:15], s[2:3], 2
	s_waitcnt lgkmcnt(0)
	s_add_u32 s6, s6, s14
	s_addc_u32 s7, s7, s15
	s_load_dword s33, s[6:7], 0x0
	s_lshl_b32 s18, s12, 8
	s_waitcnt lgkmcnt(0)
	s_cmp_ge_i32 s18, s33
	s_cbranch_scc1 .LBB1067_19
; %bb.5:
	s_load_dwordx2 s[6:7], s[0:1], 0x20
	s_load_dword s5, s[0:1], 0x38
	s_add_i32 s13, s33, 31
	s_ashr_i32 s16, s13, 31
	v_and_b32_e32 v1, 0xcf, v0
	s_lshr_b32 s16, s16, 27
	v_add_u32_e32 v1, s18, v1
	s_add_i32 s13, s13, s16
	v_ashrrev_i32_e32 v2, 31, v1
	s_ashr_i32 s19, s13, 5
	v_lshrrev_b32_e32 v4, 27, v2
	s_add_i32 s19, s19, -1
	s_waitcnt lgkmcnt(0)
	s_mul_i32 s16, s2, s5
	s_mov_b32 s17, 0
	v_add_u32_e32 v2, v1, v4
	s_lshl_b64 s[16:17], s[16:17], 2
	v_ashrrev_i32_e32 v2, 5, v2
	v_mov_b32_e32 v5, s19
	v_cmp_gt_i32_e32 vcc, s33, v1
	s_add_u32 s6, s6, s16
	s_addc_u32 s7, s7, s17
	v_cndmask_b32_e32 v2, v5, v2, vcc
	v_ashrrev_i32_e32 v3, 31, v2
	v_lshl_add_u64 v[6:7], v[2:3], 2, s[6:7]
	v_or_b32_e32 v2, 16, v1
	v_add_u32_e32 v3, v2, v4
	v_ashrrev_i32_e32 v3, 5, v3
	v_cmp_gt_i32_e32 vcc, s33, v2
	s_load_dwordx2 s[16:17], s[0:1], 0x8
	s_nop 0
	v_cndmask_b32_e32 v2, v5, v3, vcc
	v_ashrrev_i32_e32 v3, 31, v2
	v_lshl_add_u64 v[8:9], v[2:3], 2, s[6:7]
	v_or_b32_e32 v2, 32, v1
	v_add_u32_e32 v3, v2, v4
	v_ashrrev_i32_e32 v3, 5, v3
	v_cmp_gt_i32_e32 vcc, s33, v2
	v_or_b32_e32 v1, 48, v1
	s_nop 0
	v_cndmask_b32_e32 v2, v5, v3, vcc
	v_ashrrev_i32_e32 v3, 31, v2
	v_lshl_add_u64 v[12:13], v[2:3], 2, s[6:7]
	v_add_u32_e32 v2, v1, v4
	v_ashrrev_i32_e32 v2, 5, v2
	v_cmp_gt_i32_e32 vcc, s33, v1
	s_nop 1
	v_cndmask_b32_e32 v2, v5, v2, vcc
	v_ashrrev_i32_e32 v3, 31, v2
	v_lshl_add_u64 v[14:15], v[2:3], 2, s[6:7]
	global_load_dword v4, v[6:7], off
	global_load_dword v3, v[8:9], off
	;; [unrolled: 1-line block ×4, first 2 shown]
	s_andn2_b64 vcc, exec, s[10:11]
	s_cbranch_vccnz .LBB1067_8
; %bb.6:
	s_add_u32 s8, s8, s14
	s_addc_u32 s9, s9, s15
	s_load_dword s5, s[8:9], 0x0
	s_branch .LBB1067_9
.LBB1067_7:
	s_mov_b64 s[14:15], 0
	s_branch .LBB1067_2
.LBB1067_8:
	s_mov_b32 s5, s2
.LBB1067_9:
	s_load_dwordx2 s[8:9], s[0:1], 0x10
	s_load_dwordx4 s[44:47], s[0:1], 0x48
	v_and_b32_e32 v56, 15, v0
	v_bfe_u32 v59, v0, 4, 2
	s_lshl_b32 s13, s4, 2
	v_lshlrev_b32_e32 v5, 3, v56
	v_lshrrev_b32_e32 v60, 6, v0
	v_or_b32_e32 v1, s13, v59
	v_cmp_gt_u32_e64 s[14:15], 64, v0
	v_lshlrev_b32_e32 v54, 1, v5
	v_lshlrev_b32_e32 v57, 5, v59
	;; [unrolled: 1-line block ×3, first 2 shown]
	s_and_saveexec_b64 s[10:11], s[14:15]
	s_cbranch_execz .LBB1067_11
; %bb.10:
	s_load_dwordx2 s[20:21], s[0:1], 0x0
	s_waitcnt lgkmcnt(0)
	s_ashr_i32 s22, s44, 31
	s_mul_hi_u32 s23, s5, s44
	s_mul_i32 s22, s5, s22
	s_add_i32 s23, s23, s22
	s_mul_i32 s22, s5, s44
	s_lshl_b64 s[22:23], s[22:23], 1
	s_add_u32 s20, s20, s22
	v_lshlrev_b32_e32 v6, 7, v1
	s_addc_u32 s21, s21, s23
	v_ashrrev_i32_e32 v7, 31, v6
	v_lshl_add_u64 v[6:7], v[6:7], 1, s[20:21]
	v_mov_b32_e32 v55, 0
	v_lshl_add_u64 v[6:7], v[6:7], 0, v[54:55]
	global_load_dwordx4 v[6:9], v[6:7], off
	v_lshlrev_b32_e32 v11, 8, v0
	v_lshlrev_b32_e32 v5, 8, v56
	v_and_b32_e32 v11, 0x600, v11
	s_movk_i32 s5, 0x800
	v_and_or_b32 v5, v5, s5, v11
	v_lshl_or_b32 v11, v60, 7, v57
	v_and_b32_e32 v12, 16, v58
	v_or3_b32 v5, v5, v11, v12
	s_waitcnt vmcnt(0)
	ds_write_b128 v5, v[6:9]
.LBB1067_11:
	s_or_b64 exec, exec, s[10:11]
	s_waitcnt lgkmcnt(0)
	s_mul_i32 s10, s4, s46
	s_add_u32 s4, s16, s10
	s_addc_u32 s5, s17, 0
	v_mov_b32_e32 v51, 0
	v_mov_b64_e32 v[12:13], s[4:5]
	v_and_b32_e32 v52, 48, v0
	s_waitcnt vmcnt(3)
	v_mad_i64_i32 v[4:5], s[4:5], v4, s45, v[12:13]
	v_lshlrev_b32_e32 v14, 4, v56
	v_mov_b32_e32 v15, v51
	v_lshlrev_b32_e32 v50, 5, v52
	v_lshl_add_u64 v[4:5], v[4:5], 0, v[14:15]
	v_lshl_add_u64 v[4:5], v[4:5], 0, v[50:51]
	s_barrier
	global_load_dwordx4 v[46:49], v[4:5], off
	global_load_dwordx4 v[34:37], v[4:5], off offset:2048
	s_waitcnt vmcnt(4)
	v_mad_i64_i32 v[4:5], s[4:5], v3, s45, v[12:13]
	v_or_b32_e32 v16, 0x100, v14
	v_mov_b32_e32 v17, v51
	s_waitcnt vmcnt(3)
	v_mad_i64_i32 v[2:3], s[4:5], v2, s45, v[12:13]
	s_waitcnt vmcnt(2)
	v_mad_i64_i32 v[10:11], s[4:5], v10, s45, v[12:13]
	v_lshl_add_u64 v[4:5], v[4:5], 0, v[16:17]
	v_lshl_add_u64 v[2:3], v[2:3], 0, v[14:15]
	;; [unrolled: 1-line block ×6, first 2 shown]
	global_load_dwordx4 v[38:41], v[4:5], off
	global_load_dwordx4 v[6:9], v[4:5], off offset:2048
	s_nop 0
	global_load_dwordx4 v[2:5], v[14:15], off
	global_load_dwordx4 v[42:45], v[14:15], off offset:2048
	global_load_dwordx4 v[26:29], v[10:11], off
	s_nop 0
	global_load_dwordx4 v[14:17], v[10:11], off offset:2048
	v_and_b32_e32 v10, 3, v0
	v_lshlrev_b32_e32 v10, 5, v10
	v_lshl_or_b32 v10, v59, 9, v10
	ds_read_b128 v[30:33], v10
	ds_read_b128 v[22:25], v10 offset:16
	ds_read_b128 v[18:21], v10 offset:2048
	;; [unrolled: 1-line block ×3, first 2 shown]
	v_and_b32_e32 v55, 63, v0
	v_cmp_gt_u32_e32 vcc, 4, v56
	v_mov_b32_e32 v61, 0
	s_and_saveexec_b64 s[4:5], vcc
	s_cbranch_execz .LBB1067_13
; %bb.12:
	s_load_dwordx2 s[16:17], s[0:1], 0x40
	v_or_b32_e32 v62, s13, v56
	v_ashrrev_i32_e32 v63, 31, v62
	s_waitcnt lgkmcnt(0)
	v_lshl_add_u64 v[62:63], v[62:63], 2, s[16:17]
	global_load_dword v61, v[62:63], off
.LBB1067_13:
	s_or_b64 exec, exec, s[4:5]
	s_ashr_i32 s4, s18, 31
	v_or_b32_e32 v50, s18, v52
	s_lshr_b32 s4, s4, 27
	v_add_u32_e32 v52, s4, v50
	v_or_b32_e32 v62, 64, v50
	v_ashrrev_i32_e32 v52, 5, v52
	v_mov_b32_e32 v68, s19
	v_cmp_gt_i32_e32 vcc, s33, v50
	v_add_u32_e32 v63, s4, v62
	v_ashrrev_i32_e32 v63, 5, v63
	v_cndmask_b32_e32 v52, v68, v52, vcc
	v_cmp_gt_i32_e32 vcc, s33, v62
	s_waitcnt vmcnt(7)
	v_cvt_pk_f32_fp8_sdwa v[64:65], v46 src0_sel:WORD_1
	v_ashrrev_i32_e32 v53, 31, v52
	v_cndmask_b32_e32 v62, v68, v63, vcc
	v_ashrrev_i32_e32 v63, 31, v62
	v_lshl_add_u64 v[66:67], v[62:63], 2, s[6:7]
	v_or_b32_e32 v62, 0x80, v50
	v_add_u32_e32 v63, s4, v62
	v_ashrrev_i32_e32 v63, 5, v63
	v_cmp_gt_i32_e32 vcc, s33, v62
	v_or_b32_e32 v50, 0xc0, v50
	v_cvt_pk_f32_fp8_sdwa v[74:75], v48 src0_sel:WORD_1
	v_cndmask_b32_e32 v62, v68, v63, vcc
	v_ashrrev_i32_e32 v63, 31, v62
	v_lshl_add_u64 v[72:73], v[62:63], 2, s[6:7]
	v_cvt_pk_f32_fp8_e32 v[62:63], v46
	v_add_u32_e32 v46, s4, v50
	v_ashrrev_i32_e32 v69, 5, v46
	v_cmp_gt_i32_e32 vcc, s33, v50
	v_cvt_pkrtz_f16_f32 v62, v62, v63
	v_cvt_pkrtz_f16_f32 v63, v64, v65
	v_cvt_pk_f32_fp8_e32 v[64:65], v47
	v_cvt_pk_f32_fp8_sdwa v[46:47], v47 src0_sel:WORD_1
	v_cndmask_b32_e32 v68, v68, v69, vcc
	v_lshl_add_u64 v[52:53], v[52:53], 2, s[6:7]
	v_cvt_pkrtz_f16_f32 v70, v64, v65
	v_cvt_pkrtz_f16_f32 v71, v46, v47
	s_waitcnt lgkmcnt(3)
	v_mfma_f32_16x16x16_f16 v[62:65], v[62:63], v[30:31], 0
	v_cvt_pk_f32_fp8_e32 v[46:47], v48
	v_ashrrev_i32_e32 v69, 31, v68
	v_lshl_add_u64 v[76:77], v[68:69], 2, s[6:7]
	v_mfma_f32_16x16x16_f16 v[68:71], v[70:71], v[32:33], v[62:65]
	s_nop 2
	global_load_dword v65, v[52:53], off
	s_nop 0
	global_load_dword v66, v[66:67], off
	;; [unrolled: 2-line block ×3, first 2 shown]
	global_load_dword v64, v[76:77], off
	v_cvt_pkrtz_f16_f32 v46, v46, v47
	v_cvt_pkrtz_f16_f32 v47, v74, v75
	v_cvt_pk_f32_fp8_e32 v[74:75], v49
	v_cvt_pk_f32_fp8_sdwa v[48:49], v49 src0_sel:WORD_1
	s_waitcnt vmcnt(10)
	v_cvt_pk_f32_fp8_sdwa v[72:73], v36 src0_sel:WORD_1
	s_waitcnt vmcnt(7)
	v_cvt_pk_f32_fp8_sdwa v[78:79], v5 src0_sel:WORD_1
	v_cvt_pkrtz_f16_f32 v52, v74, v75
	v_cvt_pkrtz_f16_f32 v53, v48, v49
	s_waitcnt lgkmcnt(2)
	v_mfma_f32_16x16x16_f16 v[46:49], v[46:47], v[22:23], v[68:71]
	v_cvt_pk_f32_fp8_sdwa v[74:75], v4 src0_sel:WORD_1
	s_add_u32 s4, s8, s10
	s_addc_u32 s5, s9, 0
	v_cvt_pk_f32_fp8_e32 v[68:69], v34
	v_cvt_pk_f32_fp8_sdwa v[70:71], v34 src0_sel:WORD_1
	v_mfma_f32_16x16x16_f16 v[46:49], v[52:53], v[24:25], v[46:49]
	v_cvt_pk_f32_fp8_e32 v[52:53], v35
	v_cvt_pkrtz_f16_f32 v68, v68, v69
	v_cvt_pkrtz_f16_f32 v69, v70, v71
	v_cvt_pk_f32_fp8_sdwa v[34:35], v35 src0_sel:WORD_1
	v_cvt_pkrtz_f16_f32 v52, v52, v53
	v_cvt_pk_f32_fp8_e32 v[70:71], v36
	s_waitcnt lgkmcnt(1)
	v_mfma_f32_16x16x16_f16 v[46:49], v[68:69], v[18:19], v[46:49]
	v_cvt_pkrtz_f16_f32 v53, v34, v35
	v_cvt_pkrtz_f16_f32 v68, v70, v71
	v_cvt_pkrtz_f16_f32 v69, v72, v73
	v_cvt_pk_f32_fp8_e32 v[70:71], v37
	v_cvt_pk_f32_fp8_sdwa v[72:73], v37 src0_sel:WORD_1
	v_mfma_f32_16x16x16_f16 v[34:37], v[52:53], v[20:21], v[46:49]
	v_cvt_pk_f32_fp8_sdwa v[52:53], v38 src0_sel:WORD_1
	v_and_b32_e32 v50, 16, v0
	v_lshl_or_b32 v62, v60, 4, v56
	v_cvt_pkrtz_f16_f32 v46, v70, v71
	v_cvt_pkrtz_f16_f32 v47, v72, v73
	s_waitcnt lgkmcnt(0)
	v_mfma_f32_16x16x16_f16 v[34:37], v[68:69], v[10:11], v[34:37]
	v_cvt_pk_f32_fp8_e32 v[48:49], v38
	v_cvt_pk_f32_fp8_e32 v[68:69], v40
	v_cvt_pk_f32_fp8_sdwa v[70:71], v40 src0_sel:WORD_1
	v_mfma_f32_16x16x16_f16 v[34:37], v[46:47], v[12:13], v[34:37]
	v_cvt_pk_f32_fp8_e32 v[46:47], v39
	v_cvt_pkrtz_f16_f32 v48, v48, v49
	v_cvt_pkrtz_f16_f32 v49, v52, v53
	v_cvt_pk_f32_fp8_sdwa v[38:39], v39 src0_sel:WORD_1
	v_cvt_pkrtz_f16_f32 v52, v46, v47
	v_mfma_f32_16x16x16_f16 v[46:49], v[48:49], v[30:31], 0
	v_cvt_pkrtz_f16_f32 v53, v38, v39
	v_cvt_pkrtz_f16_f32 v68, v68, v69
	;; [unrolled: 1-line block ×3, first 2 shown]
	v_cvt_pk_f32_fp8_e32 v[70:71], v41
	v_cvt_pk_f32_fp8_sdwa v[72:73], v41 src0_sel:WORD_1
	v_mfma_f32_16x16x16_f16 v[38:41], v[52:53], v[32:33], v[46:49]
	v_cvt_pk_f32_fp8_e32 v[52:53], v6
	s_mov_b32 s46, 0xff7fffff
	v_cvt_pkrtz_f16_f32 v52, v52, v53
	v_cvt_pkrtz_f16_f32 v48, v70, v71
	;; [unrolled: 1-line block ×3, first 2 shown]
	v_mfma_f32_16x16x16_f16 v[38:41], v[68:69], v[22:23], v[38:41]
	v_cvt_pk_f32_fp8_sdwa v[68:69], v6 src0_sel:WORD_1
	v_cvt_pk_f32_fp8_sdwa v[70:71], v8 src0_sel:WORD_1
	v_lshl_add_u64 v[46:47], s[4:5], 0, v[50:51]
	v_mfma_f32_16x16x16_f16 v[38:41], v[48:49], v[24:25], v[38:41]
	v_cvt_pk_f32_fp8_e32 v[48:49], v7
	v_cvt_pkrtz_f16_f32 v53, v68, v69
	v_cvt_pk_f32_fp8_sdwa v[6:7], v7 src0_sel:WORD_1
	v_cvt_pk_f32_fp8_e32 v[68:69], v8
	v_cvt_pkrtz_f16_f32 v48, v48, v49
	v_mfma_f32_16x16x16_f16 v[38:41], v[52:53], v[18:19], v[38:41]
	v_cvt_pkrtz_f16_f32 v49, v6, v7
	v_cvt_pkrtz_f16_f32 v52, v68, v69
	;; [unrolled: 1-line block ×3, first 2 shown]
	v_cvt_pk_f32_fp8_e32 v[68:69], v9
	v_cvt_pk_f32_fp8_sdwa v[70:71], v9 src0_sel:WORD_1
	v_mfma_f32_16x16x16_f16 v[6:9], v[48:49], v[20:21], v[38:41]
	v_cvt_pk_f32_fp8_e32 v[48:49], v2
	v_lshlrev_b32_e32 v50, 5, v62
	v_lshl_add_u64 v[72:73], v[46:47], 0, v[50:51]
	v_cvt_pkrtz_f16_f32 v38, v68, v69
	v_cvt_pkrtz_f16_f32 v39, v70, v71
	v_mfma_f32_16x16x16_f16 v[6:9], v[52:53], v[10:11], v[6:9]
	v_cvt_pk_f32_fp8_sdwa v[52:53], v2 src0_sel:WORD_1
	s_waitcnt vmcnt(2)
	v_mad_i64_i32 v[76:77], s[4:5], v66, s45, v[72:73]
	v_mfma_f32_16x16x16_f16 v[38:41], v[38:39], v[12:13], v[6:9]
	v_or_b32_e32 v50, 0x800, v50
	v_lshl_add_u64 v[46:47], v[46:47], 0, v[50:51]
	s_nop 0
	v_cvt_pkrtz_f16_f32 v6, v48, v49
	v_cvt_pkrtz_f16_f32 v7, v52, v53
	v_cvt_pk_f32_fp8_e32 v[8:9], v3
	v_cvt_pk_f32_fp8_sdwa v[2:3], v3 src0_sel:WORD_1
	v_mad_i64_i32 v[48:49], s[4:5], v65, s45, v[72:73]
	v_cvt_pkrtz_f16_f32 v52, v8, v9
	v_cvt_pkrtz_f16_f32 v53, v2, v3
	v_mfma_f32_16x16x16_f16 v[6:9], v[6:7], v[30:31], 0
	v_cvt_pk_f32_fp8_e32 v[2:3], v4
	v_mfma_f32_16x16x16_f16 v[68:71], v[52:53], v[32:33], v[6:9]
	v_cvt_pkrtz_f16_f32 v52, v2, v3
	v_cvt_pkrtz_f16_f32 v53, v74, v75
	v_cvt_pk_f32_fp8_e32 v[74:75], v5
	s_nop 1
	global_load_dwordx4 v[6:9], v[48:49], off
	global_load_dwordx4 v[2:5], v[76:77], off
	v_mfma_f32_16x16x16_f16 v[68:71], v[52:53], v[22:23], v[68:71]
	v_cvt_pkrtz_f16_f32 v74, v74, v75
	v_cvt_pkrtz_f16_f32 v75, v78, v79
	s_waitcnt vmcnt(3)
	v_mad_i64_i32 v[48:49], s[4:5], v63, s45, v[72:73]
	s_waitcnt vmcnt(2)
	v_mad_i64_i32 v[52:53], s[4:5], v64, s45, v[72:73]
	v_mfma_f32_16x16x16_f16 v[68:71], v[74:75], v[24:25], v[68:71]
	v_cvt_pk_f32_fp8_e32 v[72:73], v42
	v_cvt_pk_f32_fp8_sdwa v[74:75], v42 src0_sel:WORD_1
	v_cvt_pk_f32_fp8_e32 v[76:77], v43
	v_cvt_pk_f32_fp8_sdwa v[42:43], v43 src0_sel:WORD_1
	v_cvt_pkrtz_f16_f32 v72, v72, v73
	v_cvt_pkrtz_f16_f32 v73, v74, v75
	;; [unrolled: 1-line block ×4, first 2 shown]
	v_cvt_pk_f32_fp8_e32 v[42:43], v44
	v_cvt_pk_f32_fp8_sdwa v[76:77], v44 src0_sel:WORD_1
	v_mfma_f32_16x16x16_f16 v[68:71], v[72:73], v[18:19], v[68:71]
	v_cvt_pk_f32_fp8_sdwa v[78:79], v45 src0_sel:WORD_1
	v_cvt_pkrtz_f16_f32 v72, v42, v43
	v_cvt_pkrtz_f16_f32 v73, v76, v77
	v_cvt_pk_f32_fp8_e32 v[76:77], v45
	v_mfma_f32_16x16x16_f16 v[42:45], v[74:75], v[20:21], v[68:71]
	v_cvt_pkrtz_f16_f32 v51, v78, v79
	v_cvt_pk_f32_fp8_sdwa v[74:75], v26 src0_sel:WORD_1
	v_cvt_pkrtz_f16_f32 v50, v76, v77
	v_mfma_f32_16x16x16_f16 v[42:45], v[72:73], v[10:11], v[42:45]
	v_cvt_pk_f32_fp8_e32 v[72:73], v26
	s_load_dword s4, s[0:1], 0x1c
	s_load_dwordx4 s[40:43], s[0:1], 0x80
	s_load_dword s44, s[0:1], 0x98
	s_waitcnt lgkmcnt(0)
	s_load_dword s5, s[40:41], 0x0
	v_mfma_f32_16x16x16_f16 v[68:71], v[50:51], v[12:13], v[42:45]
	s_nop 2
	v_cvt_pk_f32_fp8_e32 v[42:43], v27
	v_cvt_pkrtz_f16_f32 v44, v72, v73
	v_cvt_pkrtz_f16_f32 v45, v74, v75
	v_cvt_pk_f32_fp8_sdwa v[26:27], v27 src0_sel:WORD_1
	v_cvt_pkrtz_f16_f32 v50, v42, v43
	v_cvt_pk_f32_fp8_e32 v[72:73], v28
	v_cvt_pk_f32_fp8_sdwa v[74:75], v28 src0_sel:WORD_1
	v_cvt_pkrtz_f16_f32 v51, v26, v27
	v_mfma_f32_16x16x16_f16 v[42:45], v[44:45], v[30:31], 0
	v_cvt_pkrtz_f16_f32 v30, v72, v73
	v_cvt_pkrtz_f16_f32 v31, v74, v75
	v_cvt_pk_f32_fp8_e32 v[72:73], v29
	v_cvt_pk_f32_fp8_sdwa v[74:75], v29 src0_sel:WORD_1
	v_mfma_f32_16x16x16_f16 v[26:29], v[50:51], v[32:33], v[42:45]
	v_cvt_pkrtz_f16_f32 v32, v72, v73
	v_cvt_pkrtz_f16_f32 v33, v74, v75
	v_mfma_f32_16x16x16_f16 v[26:29], v[30:31], v[22:23], v[26:29]
	v_mov_b32_e32 v42, s4
	s_waitcnt lgkmcnt(0)
	v_mul_f32_e32 v50, s5, v42
	v_pk_mul_f32 v[30:31], v[50:51], v[34:35] op_sel_hi:[0,1]
	v_mfma_f32_16x16x16_f16 v[32:35], v[32:33], v[24:25], v[26:29]
	v_cvt_pk_f32_fp8_e32 v[22:23], v14
	v_cvt_pk_f32_fp8_sdwa v[24:25], v14 src0_sel:WORD_1
	v_pk_mul_f32 v[42:43], v[50:51], v[36:37] op_sel_hi:[0,1]
	v_cvt_pk_f32_fp8_e32 v[26:27], v15
	v_cvt_pk_f32_fp8_sdwa v[14:15], v15 src0_sel:WORD_1
	v_cvt_pkrtz_f16_f32 v36, v22, v23
	v_cvt_pkrtz_f16_f32 v37, v24, v25
	;; [unrolled: 1-line block ×4, first 2 shown]
	v_cvt_pk_f32_fp8_e32 v[14:15], v16
	v_cvt_pk_f32_fp8_sdwa v[72:73], v16 src0_sel:WORD_1
	v_mfma_f32_16x16x16_f16 v[32:35], v[36:37], v[18:19], v[32:35]
	global_load_dwordx4 v[26:29], v[48:49], off
	global_load_dwordx4 v[22:25], v[52:53], off
	v_cvt_pkrtz_f16_f32 v18, v14, v15
	v_cvt_pkrtz_f16_f32 v19, v72, v73
	v_cvt_pk_f32_fp8_e32 v[36:37], v17
	v_cvt_pk_f32_fp8_sdwa v[48:49], v17 src0_sel:WORD_1
	v_mfma_f32_16x16x16_f16 v[14:17], v[44:45], v[20:21], v[32:35]
	v_pk_mul_f32 v[44:45], v[50:51], v[40:41] op_sel_hi:[0,1]
	v_cvt_pkrtz_f16_f32 v20, v36, v37
	v_cvt_pkrtz_f16_f32 v21, v48, v49
	v_mfma_f32_16x16x16_f16 v[14:17], v[18:19], v[10:11], v[14:17]
	v_pk_mul_f32 v[48:49], v[50:51], v[38:39] op_sel_hi:[0,1]
	v_pk_mul_f32 v[38:39], v[50:51], v[70:71] op_sel_hi:[0,1]
	;; [unrolled: 1-line block ×3, first 2 shown]
	v_mfma_f32_16x16x16_f16 v[10:13], v[20:21], v[12:13], v[14:17]
	s_nop 6
	v_pk_mul_f32 v[36:37], v[50:51], v[10:11] op_sel_hi:[0,1]
	v_and_b32_e32 v10, 0xc0, v0
	v_add_u32_e32 v10, s18, v10
	v_lshl_or_b32 v10, v59, 2, v10
	v_or_b32_e32 v11, 1, v10
	v_pk_mul_f32 v[34:35], v[50:51], v[12:13] op_sel_hi:[0,1]
	v_subrev_u32_e32 v12, s33, v11
	v_add_u32_e32 v14, 1, v12
	v_add_u32_e32 v15, 2, v12
	v_cvt_f32_i32_e32 v13, v12
	v_cvt_f32_i32_e32 v14, v14
	;; [unrolled: 1-line block ×3, first 2 shown]
	v_add_u32_e32 v16, 3, v12
	v_fma_f32 v17, v61, v13, v30
	v_fmac_f32_e32 v31, v61, v14
	v_fma_f32 v42, v61, v15, v42
	v_add_u32_e32 v13, 16, v12
	v_add_u32_e32 v14, 17, v12
	;; [unrolled: 1-line block ×3, first 2 shown]
	v_cvt_f32_i32_e32 v16, v16
	v_cvt_f32_i32_e32 v13, v13
	;; [unrolled: 1-line block ×4, first 2 shown]
	v_fmac_f32_e32 v43, v61, v16
	v_add_u32_e32 v16, 19, v12
	v_fma_f32 v52, v61, v13, v48
	v_fmac_f32_e32 v49, v61, v14
	v_fma_f32 v44, v61, v15, v44
	v_add_u32_e32 v13, 32, v12
	v_add_u32_e32 v14, 33, v12
	;; [unrolled: 1-line block ×3, first 2 shown]
	v_cvt_f32_i32_e32 v16, v16
	v_cvt_f32_i32_e32 v13, v13
	;; [unrolled: 1-line block ×4, first 2 shown]
	v_fmac_f32_e32 v45, v61, v16
	v_add_u32_e32 v16, 35, v12
	v_fma_f32 v40, v61, v13, v40
	v_fmac_f32_e32 v41, v61, v14
	v_fma_f32 v38, v61, v15, v38
	v_add_u32_e32 v13, 48, v12
	v_add_u32_e32 v14, 49, v12
	;; [unrolled: 1-line block ×4, first 2 shown]
	v_cvt_f32_i32_e32 v12, v12
	v_cvt_f32_i32_e32 v13, v13
	;; [unrolled: 1-line block ×3, first 2 shown]
	v_cmp_gt_i32_e64 s[4:5], s33, v10
	v_fmac_f32_e32 v35, v61, v12
	v_mov_b32_e32 v12, 0xff7fffff
	v_cmp_gt_i32_e64 s[16:17], s33, v11
	v_fma_f32 v36, v61, v13, v36
	v_cndmask_b32_e64 v13, v12, v17, s[4:5]
	v_cndmask_b32_e64 v11, v12, v31, s[16:17]
	v_fmac_f32_e32 v37, v61, v14
	v_max3_f32 v11, v13, s46, v11
	v_or_b32_e32 v13, 2, v10
	v_or_b32_e32 v14, 3, v10
	v_cmp_gt_i32_e64 s[18:19], s33, v13
	v_cmp_gt_i32_e64 s[20:21], s33, v14
	v_cvt_f32_i32_e32 v16, v16
	v_cndmask_b32_e64 v13, v12, v42, s[18:19]
	v_cndmask_b32_e64 v14, v12, v43, s[20:21]
	v_max3_f32 v11, v11, v13, v14
	v_or_b32_e32 v13, 16, v10
	v_or_b32_e32 v14, 17, v10
	v_cmp_gt_i32_e64 s[22:23], s33, v13
	v_cmp_gt_i32_e64 s[24:25], s33, v14
	v_fmac_f32_e32 v39, v61, v16
	v_cndmask_b32_e64 v13, v12, v52, s[22:23]
	v_cndmask_b32_e64 v14, v12, v49, s[24:25]
	v_max3_f32 v11, v11, v13, v14
	v_or_b32_e32 v13, 18, v10
	v_or_b32_e32 v14, 19, v10
	v_cmp_gt_i32_e64 s[26:27], s33, v13
	v_cmp_gt_i32_e64 s[28:29], s33, v14
	v_cvt_f32_i32_e32 v15, v15
	v_cndmask_b32_e64 v13, v12, v44, s[26:27]
	v_cndmask_b32_e64 v14, v12, v45, s[28:29]
	v_max3_f32 v11, v11, v13, v14
	v_or_b32_e32 v13, 32, v10
	v_or_b32_e32 v14, 33, v10
	v_cmp_gt_i32_e64 s[30:31], s33, v13
	v_cmp_gt_i32_e64 s[34:35], s33, v14
	v_fma_f32 v34, v61, v15, v34
	v_cndmask_b32_e64 v13, v12, v40, s[30:31]
	v_cndmask_b32_e64 v14, v12, v41, s[34:35]
	v_max3_f32 v11, v11, v13, v14
	v_or_b32_e32 v13, 34, v10
	v_or_b32_e32 v14, 35, v10
	v_cmp_gt_i32_e64 s[36:37], s33, v13
	v_cmp_gt_i32_e64 s[38:39], s33, v14
	s_nop 0
	v_cndmask_b32_e64 v13, v12, v38, s[36:37]
	v_cndmask_b32_e64 v14, v12, v39, s[38:39]
	v_max3_f32 v11, v11, v13, v14
	v_or_b32_e32 v13, 48, v10
	v_or_b32_e32 v14, 49, v10
	v_cmp_gt_i32_e64 s[8:9], s33, v13
	v_cmp_gt_i32_e64 s[10:11], s33, v14
	s_nop 0
	v_cndmask_b32_e64 v13, v12, v36, s[8:9]
	v_cndmask_b32_e64 v14, v12, v37, s[10:11]
	v_max3_f32 v11, v11, v13, v14
	v_or_b32_e32 v13, 50, v10
	v_or_b32_e32 v10, 51, v10
	v_cmp_gt_i32_e32 vcc, s33, v13
	v_cmp_gt_i32_e64 s[6:7], s33, v10
	s_nop 0
	v_cndmask_b32_e32 v13, v12, v34, vcc
	v_cndmask_b32_e64 v10, v12, v35, s[6:7]
	v_max3_f32 v14, v11, v13, v10
	v_mbcnt_lo_u32_b32 v10, -1, 0
	v_mbcnt_hi_u32_b32 v15, -1, v10
	v_and_b32_e32 v10, 64, v15
	v_add_u32_e32 v16, 64, v10
	v_xor_b32_e32 v10, 32, v15
	v_cmp_lt_i32_e64 s[40:41], v10, v16
	s_nop 1
	v_cndmask_b32_e64 v10, v15, v10, s[40:41]
	v_lshlrev_b32_e32 v53, 2, v10
	ds_bpermute_b32 v18, v53, v14
	v_mad_i64_i32 v[10:11], s[40:41], v65, s45, v[46:47]
	v_mad_i64_i32 v[12:13], s[40:41], v66, s45, v[46:47]
	s_waitcnt lgkmcnt(0)
	v_max_f32_e32 v18, v18, v18
	v_max_f32_e32 v18, v14, v18
	v_xor_b32_e32 v14, 16, v15
	v_cmp_lt_i32_e64 s[40:41], v14, v16
	s_nop 1
	v_cndmask_b32_e64 v14, v15, v14, s[40:41]
	v_lshlrev_b32_e32 v61, 2, v14
	ds_bpermute_b32 v16, v61, v18
	v_mad_i64_i32 v[14:15], s[40:41], v63, s45, v[46:47]
	v_mad_i64_i32 v[46:47], s[40:41], v64, s45, v[46:47]
	s_waitcnt lgkmcnt(0)
	v_max_f32_e32 v16, v16, v16
	v_max_f32_e32 v48, v18, v16
	v_sub_f32_e32 v16, v31, v48
	global_load_dwordx4 v[30:33], v[10:11], off
	global_load_dwordx4 v[18:21], v[12:13], off
	v_sub_f32_e32 v10, v17, v48
	v_mul_f32_e32 v10, 0x3fb8aa3b, v10
	v_exp_f32_e32 v50, v10
	v_mul_f32_e32 v10, 0x3fb8aa3b, v16
	v_exp_f32_e32 v51, v10
	v_sub_f32_e32 v10, v42, v48
	v_mul_f32_e32 v10, 0x3fb8aa3b, v10
	v_exp_f32_e32 v42, v10
	v_sub_f32_e32 v10, v43, v48
	v_mul_f32_e32 v10, 0x3fb8aa3b, v10
	v_exp_f32_e32 v43, v10
	global_load_dwordx4 v[14:17], v[14:15], off
	s_nop 0
	global_load_dwordx4 v[10:13], v[46:47], off
	v_sub_f32_e32 v40, v40, v48
	v_sub_f32_e32 v38, v38, v48
	v_mul_f32_e32 v40, 0x3fb8aa3b, v40
	v_mul_f32_e32 v38, 0x3fb8aa3b, v38
	v_cndmask_b32_e64 v47, 0, v51, s[16:17]
	v_cndmask_b32_e64 v51, 0, v43, s[20:21]
	v_sub_f32_e32 v43, v49, v48
	v_exp_f32_e32 v40, v40
	v_exp_f32_e32 v49, v38
	v_cndmask_b32_e64 v46, 0, v50, s[4:5]
	v_cndmask_b32_e64 v50, 0, v42, s[18:19]
	v_sub_f32_e32 v42, v52, v48
	v_mul_f32_e32 v42, 0x3fb8aa3b, v42
	v_sub_f32_e32 v38, v39, v48
	v_exp_f32_e32 v42, v42
	v_mul_f32_e32 v43, 0x3fb8aa3b, v43
	v_sub_f32_e32 v44, v44, v48
	v_mul_f32_e32 v38, 0x3fb8aa3b, v38
	v_exp_f32_e32 v43, v43
	v_mul_f32_e32 v44, 0x3fb8aa3b, v44
	v_sub_f32_e32 v45, v45, v48
	v_exp_f32_e32 v52, v38
	v_cndmask_b32_e64 v38, 0, v40, s[30:31]
	v_cndmask_b32_e64 v40, 0, v49, s[36:37]
	v_add_f32_e32 v49, 0, v46
	v_exp_f32_e32 v44, v44
	v_mul_f32_e32 v45, 0x3fb8aa3b, v45
	v_add_f32_e32 v49, v49, v47
	v_exp_f32_e32 v45, v45
	v_sub_f32_e32 v41, v41, v48
	v_add_f32_e32 v49, v49, v50
	v_cndmask_b32_e64 v42, 0, v42, s[22:23]
	v_mul_f32_e32 v41, 0x3fb8aa3b, v41
	v_add_f32_e32 v49, v49, v51
	v_cndmask_b32_e64 v43, 0, v43, s[24:25]
	v_exp_f32_e32 v41, v41
	v_add_f32_e32 v49, v49, v42
	v_cndmask_b32_e64 v44, 0, v44, s[26:27]
	v_add_f32_e32 v49, v49, v43
	v_sub_f32_e32 v36, v36, v48
	v_cndmask_b32_e64 v45, 0, v45, s[28:29]
	v_add_f32_e32 v49, v49, v44
	v_mul_f32_e32 v36, 0x3fb8aa3b, v36
	v_sub_f32_e32 v37, v37, v48
	v_add_f32_e32 v49, v49, v45
	v_exp_f32_e32 v36, v36
	v_mul_f32_e32 v37, 0x3fb8aa3b, v37
	v_sub_f32_e32 v34, v34, v48
	v_cndmask_b32_e64 v39, 0, v41, s[34:35]
	v_add_f32_e32 v49, v49, v38
	v_exp_f32_e32 v37, v37
	v_mul_f32_e32 v34, 0x3fb8aa3b, v34
	v_sub_f32_e32 v35, v35, v48
	v_add_f32_e32 v49, v49, v39
	v_exp_f32_e32 v34, v34
	v_mul_f32_e32 v35, 0x3fb8aa3b, v35
	v_cndmask_b32_e64 v41, 0, v52, s[38:39]
	v_add_f32_e32 v49, v49, v40
	v_exp_f32_e32 v35, v35
	v_add_f32_e32 v49, v49, v41
	v_cndmask_b32_e64 v36, 0, v36, s[8:9]
	v_add_f32_e32 v49, v49, v36
	v_cndmask_b32_e64 v37, 0, v37, s[10:11]
	v_add_f32_e32 v49, v49, v37
	v_cndmask_b32_e32 v34, 0, v34, vcc
	v_add_f32_e32 v49, v49, v34
	v_cndmask_b32_e64 v35, 0, v35, s[6:7]
	v_add_f32_e32 v49, v49, v35
	ds_bpermute_b32 v52, v53, v49
	v_cmp_gt_u32_e32 vcc, 16, v55
	s_waitcnt lgkmcnt(0)
	s_barrier
	v_add_f32_e32 v49, v49, v52
	ds_bpermute_b32 v52, v61, v49
	s_and_saveexec_b64 s[4:5], vcc
	s_cbranch_execz .LBB1067_15
; %bb.14:
	s_waitcnt lgkmcnt(0)
	v_add_f32_e32 v49, v49, v52
	v_lshlrev_b32_e32 v52, 2, v62
	ds_write2st64_b32 v52, v48, v49 offset1:1
.LBB1067_15:
	s_or_b64 exec, exec, s[4:5]
	v_lshlrev_b32_e32 v49, 2, v56
	s_load_dword s6, s[0:1], 0x94
	s_waitcnt lgkmcnt(0)
	s_barrier
	ds_read2_b32 v[52:53], v49 offset1:16
	ds_read2_b32 v[62:63], v49 offset0:32 offset1:48
	ds_read2_b32 v[64:65], v49 offset0:64 offset1:80
	s_lshl_b32 s7, s44, 2
	s_waitcnt lgkmcnt(2)
	v_max3_f32 v48, v52, s46, v53
	s_waitcnt lgkmcnt(1)
	v_max3_f32 v48, v48, v62, v63
	v_sub_f32_e32 v52, v52, v48
	v_mul_f32_e32 v52, 0x3fb8aa3b, v52
	v_exp_f32_e32 v55, v52
	v_sub_f32_e32 v52, v53, v48
	v_mul_f32_e32 v52, 0x3fb8aa3b, v52
	v_exp_f32_e32 v61, v52
	;; [unrolled: 3-line block ×3, first 2 shown]
	ds_read2_b32 v[52:53], v49 offset0:96 offset1:112
	v_sub_f32_e32 v49, v63, v48
	v_mul_f32_e32 v49, 0x3fb8aa3b, v49
	v_exp_f32_e32 v63, v49
	s_waitcnt lgkmcnt(1)
	v_fma_f32 v49, v55, v64, 0
	v_fmac_f32_e32 v49, v61, v65
	s_waitcnt lgkmcnt(0)
	v_fmac_f32_e32 v49, v62, v52
	v_fmac_f32_e32 v49, v63, v53
	v_add_f32_e32 v52, 0x358637bd, v49
	v_div_scale_f32 v53, s[4:5], v52, v52, 1.0
	v_rcp_f32_e32 v64, v53
	s_barrier
	v_fma_f32 v65, -v53, v64, 1.0
	v_fmac_f32_e32 v64, v65, v64
	v_div_scale_f32 v65, vcc, 1.0, v52, 1.0
	v_mul_f32_e32 v66, v65, v64
	v_fma_f32 v67, -v53, v66, v65
	v_fmac_f32_e32 v66, v67, v64
	v_fma_f32 v53, -v53, v66, v65
	v_div_fmas_f32 v53, v53, v64, v66
	v_cmp_eq_u32_e32 vcc, 1, v60
	v_div_fixup_f32 v52, v53, v52, 1.0
	s_nop 0
	v_cndmask_b32_e32 v53, v55, v61, vcc
	v_cmp_eq_u32_e32 vcc, 2, v60
	s_nop 1
	v_cndmask_b32_e32 v53, v53, v62, vcc
	v_cmp_eq_u32_e32 vcc, 3, v60
	s_nop 1
	v_cndmask_b32_e32 v53, v53, v63, vcc
	v_mul_f32_e32 v52, v53, v52
	v_pk_mul_f32 v[50:51], v[52:53], v[50:51] op_sel_hi:[0,1]
	v_pk_mul_f32 v[46:47], v[52:53], v[46:47] op_sel_hi:[0,1]
	v_cvt_f16_f32_e32 v53, v50
	v_cvt_f16_f32_e32 v46, v46
	v_cvt_f16_f32_e32 v47, v47
	v_cvt_f16_f32_e32 v51, v51
	v_pk_mul_f32 v[44:45], v[52:53], v[44:45] op_sel_hi:[0,1]
	v_pk_mul_f32 v[42:43], v[52:53], v[42:43] op_sel_hi:[0,1]
	v_cvt_f16_f32_e32 v42, v42
	v_cvt_f16_f32_e32 v43, v43
	;; [unrolled: 1-line block ×4, first 2 shown]
	v_pack_b32_f16 v50, v46, v47
	v_pack_b32_f16 v51, v53, v51
	v_lshlrev_b32_e32 v47, 3, v59
	v_lshlrev_b32_e32 v46, 5, v56
	;; [unrolled: 1-line block ×3, first 2 shown]
	v_or3_b32 v55, v53, v46, v47
	v_pack_b32_f16 v42, v42, v43
	v_pack_b32_f16 v43, v44, v45
	v_pk_mul_f32 v[40:41], v[52:53], v[40:41] op_sel_hi:[0,1]
	v_pk_mul_f32 v[38:39], v[52:53], v[38:39] op_sel_hi:[0,1]
	;; [unrolled: 1-line block ×4, first 2 shown]
	ds_write2st64_b64 v55, v[50:51], v[42:43] offset1:1
	v_cvt_f16_f32_e32 v38, v38
	v_cvt_f16_f32_e32 v39, v39
	;; [unrolled: 1-line block ×8, first 2 shown]
	v_pack_b32_f16 v34, v38, v39
	v_pack_b32_f16 v35, v40, v41
	;; [unrolled: 1-line block ×4, first 2 shown]
	v_cmp_gt_u32_e32 vcc, 4, v0
	ds_write2st64_b64 v55, v[34:35], v[36:37] offset0:2 offset1:3
	s_and_saveexec_b64 s[4:5], vcc
	s_cbranch_execz .LBB1067_17
; %bb.16:
	v_or_b32_e32 v34, s13, v0
	v_mov_b32_e32 v35, 0
	v_mov_b32_e32 v36, s7
	v_mad_u64_u32 v[36:37], s[16:17], s2, v36, v[34:35]
	v_mov_b32_e32 v34, s12
	s_load_dwordx4 s[8:11], s[0:1], 0x58
	s_mul_i32 s3, s3, s7
	v_mad_u64_u32 v[34:35], s[16:17], v36, s6, v[34:35]
	v_add_u32_e32 v37, s3, v37
	v_mov_b32_e32 v36, v35
	v_mad_u64_u32 v[36:37], s[16:17], v37, s6, v[36:37]
	v_mov_b32_e32 v35, v36
	v_lshlrev_b64 v[34:35], 2, v[34:35]
	s_waitcnt lgkmcnt(0)
	v_lshl_add_u64 v[36:37], s[10:11], 0, v[34:35]
	v_lshl_add_u64 v[34:35], s[8:9], 0, v[34:35]
	global_store_dword v[36:37], v48, off
	global_store_dword v[34:35], v49, off
.LBB1067_17:
	s_or_b64 exec, exec, s[4:5]
	s_waitcnt vmcnt(7)
	v_cvt_pk_f32_fp8_e32 v[34:35], v6
	v_cvt_pk_f32_fp8_sdwa v[36:37], v6 src0_sel:WORD_1
	v_lshl_or_b32 v50, v59, 9, v46
	s_waitcnt lgkmcnt(0)
	s_barrier
	v_cvt_pk_f32_fp8_e32 v[38:39], v7
	v_cvt_pkrtz_f16_f32 v6, v34, v35
	v_cvt_pk_f32_fp8_sdwa v[40:41], v7 src0_sel:WORD_1
	v_cvt_pkrtz_f16_f32 v7, v36, v37
	ds_read_b128 v[34:37], v50
	v_cvt_pkrtz_f16_f32 v46, v38, v39
	v_cvt_pkrtz_f16_f32 v47, v40, v41
	ds_read_b128 v[38:41], v50 offset:16
	v_cvt_pk_f32_fp8_e32 v[48:49], v8
	v_cvt_pk_f32_fp8_sdwa v[52:53], v8 src0_sel:WORD_1
	s_waitcnt lgkmcnt(1)
	v_mfma_f32_16x16x16_f16 v[42:45], v[6:7], v[34:35], 0
	s_waitcnt vmcnt(6)
	v_cvt_pk_f32_fp8_e32 v[60:61], v4
	v_cvt_pkrtz_f16_f32 v6, v48, v49
	v_cvt_pkrtz_f16_f32 v7, v52, v53
	v_cvt_pk_f32_fp8_e32 v[48:49], v9
	v_mfma_f32_16x16x16_f16 v[42:45], v[46:47], v[36:37], v[42:45]
	v_cvt_pk_f32_fp8_sdwa v[46:47], v9 src0_sel:WORD_1
	v_cvt_pk_f32_fp8_sdwa v[62:63], v4 src0_sel:WORD_1
	v_cvt_pkrtz_f16_f32 v48, v48, v49
	s_waitcnt lgkmcnt(0)
	v_mfma_f32_16x16x16_f16 v[6:9], v[6:7], v[38:39], v[42:45]
	v_cvt_pkrtz_f16_f32 v49, v46, v47
	s_waitcnt vmcnt(5)
	v_cvt_pk_f32_fp8_e32 v[64:65], v28
	v_cvt_pk_f32_fp8_sdwa v[66:67], v28 src0_sel:WORD_1
	v_cvt_pk_f32_fp8_e32 v[42:43], v2
	v_mfma_f32_16x16x16_f16 v[46:49], v[48:49], v[40:41], v[6:9]
	s_waitcnt vmcnt(4)
	v_cvt_pk_f32_fp8_sdwa v[68:69], v24 src0_sel:WORD_1
	s_load_dword s4, s[42:43], 0x0
	v_cvt_pk_f32_fp8_sdwa v[6:7], v2 src0_sel:WORD_1
	v_cvt_pk_f32_fp8_e32 v[8:9], v3
	v_cvt_pkrtz_f16_f32 v2, v42, v43
	v_cvt_pk_f32_fp8_sdwa v[42:43], v3 src0_sel:WORD_1
	v_cvt_pkrtz_f16_f32 v3, v6, v7
	v_cvt_pkrtz_f16_f32 v52, v8, v9
	ds_read_b128 v[6:9], v50 offset:2048
	v_cvt_pkrtz_f16_f32 v53, v42, v43
	ds_read_b128 v[42:45], v50 offset:2064
	s_waitcnt lgkmcnt(0)
	v_mfma_f32_16x16x16_f16 v[46:49], v[2:3], v[6:7], v[46:49]
	v_cvt_pkrtz_f16_f32 v2, v60, v61
	v_cvt_pkrtz_f16_f32 v3, v62, v63
	v_cvt_pk_f32_fp8_e32 v[60:61], v5
	v_mfma_f32_16x16x16_f16 v[46:49], v[52:53], v[8:9], v[46:49]
	v_cvt_pk_f32_fp8_sdwa v[52:53], v5 src0_sel:WORD_1
	s_mov_b32 s3, 0
	v_cvt_pkrtz_f16_f32 v60, v60, v61
	v_mfma_f32_16x16x16_f16 v[2:5], v[2:3], v[42:43], v[46:49]
	v_cvt_pkrtz_f16_f32 v61, v52, v53
	s_nop 1
	v_cvt_pk_f32_fp8_e32 v[46:47], v26
	v_mfma_f32_16x16x16_f16 v[60:63], v[60:61], v[44:45], v[2:5]
	s_nop 2
	v_cvt_pk_f32_fp8_sdwa v[2:3], v26 src0_sel:WORD_1
	v_cvt_pk_f32_fp8_e32 v[4:5], v27
	v_cvt_pkrtz_f16_f32 v26, v46, v47
	v_cvt_pk_f32_fp8_sdwa v[46:47], v27 src0_sel:WORD_1
	v_cvt_pkrtz_f16_f32 v27, v2, v3
	v_cvt_pkrtz_f16_f32 v52, v4, v5
	ds_read_b128 v[2:5], v50 offset:4096
	v_cvt_pkrtz_f16_f32 v53, v46, v47
	ds_read_b128 v[46:49], v50 offset:4112
	s_waitcnt lgkmcnt(1)
	v_mfma_f32_16x16x16_f16 v[60:63], v[26:27], v[2:3], v[60:63]
	v_cvt_pkrtz_f16_f32 v26, v64, v65
	v_cvt_pkrtz_f16_f32 v27, v66, v67
	v_cvt_pk_f32_fp8_e32 v[64:65], v29
	v_mfma_f32_16x16x16_f16 v[60:63], v[52:53], v[4:5], v[60:63]
	v_cvt_pk_f32_fp8_sdwa v[52:53], v29 src0_sel:WORD_1
	v_cvt_pk_f32_fp8_e32 v[66:67], v24
	v_cvt_pkrtz_f16_f32 v64, v64, v65
	s_waitcnt lgkmcnt(0)
	v_mfma_f32_16x16x16_f16 v[26:29], v[26:27], v[46:47], v[60:63]
	v_cvt_pkrtz_f16_f32 v65, v52, v53
	v_cvt_pk_f32_fp8_e32 v[52:53], v22
	s_nop 0
	v_mfma_f32_16x16x16_f16 v[60:63], v[64:65], v[48:49], v[26:29]
	s_nop 2
	v_cvt_pk_f32_fp8_sdwa v[26:27], v22 src0_sel:WORD_1
	v_cvt_pk_f32_fp8_e32 v[28:29], v23
	v_cvt_pkrtz_f16_f32 v22, v52, v53
	v_cvt_pk_f32_fp8_sdwa v[52:53], v23 src0_sel:WORD_1
	v_cvt_pkrtz_f16_f32 v23, v26, v27
	v_cvt_pkrtz_f16_f32 v64, v28, v29
	ds_read_b128 v[26:29], v50 offset:6144
	v_cvt_pkrtz_f16_f32 v65, v52, v53
	s_waitcnt lgkmcnt(0)
	v_mfma_f32_16x16x16_f16 v[60:63], v[22:23], v[26:27], v[60:63]
	ds_read_b128 v[50:53], v50 offset:6160
	v_cvt_pkrtz_f16_f32 v22, v66, v67
	v_cvt_pkrtz_f16_f32 v23, v68, v69
	v_mfma_f32_16x16x16_f16 v[60:63], v[64:65], v[28:29], v[60:63]
	v_cvt_pk_f32_fp8_e32 v[66:67], v25
	v_cvt_pk_f32_fp8_sdwa v[64:65], v25 src0_sel:WORD_1
	s_waitcnt vmcnt(3)
	v_cvt_pk_f32_fp8_sdwa v[68:69], v32 src0_sel:WORD_1
	s_waitcnt lgkmcnt(0)
	v_mfma_f32_16x16x16_f16 v[22:25], v[22:23], v[50:51], v[60:63]
	v_cvt_pkrtz_f16_f32 v66, v66, v67
	v_cvt_pkrtz_f16_f32 v67, v64, v65
	v_cvt_pk_f32_fp8_e32 v[64:65], v31
	v_cvt_pk_f32_fp8_e32 v[60:61], v30
	v_cvt_pk_f32_fp8_sdwa v[62:63], v30 src0_sel:WORD_1
	v_cvt_pk_f32_fp8_sdwa v[30:31], v31 src0_sel:WORD_1
	v_mfma_f32_16x16x16_f16 v[22:25], v[66:67], v[52:53], v[22:25]
	v_cvt_pkrtz_f16_f32 v60, v60, v61
	v_cvt_pkrtz_f16_f32 v61, v62, v63
	;; [unrolled: 1-line block ×3, first 2 shown]
	v_cvt_pk_f32_fp8_e32 v[66:67], v32
	v_cvt_pkrtz_f16_f32 v65, v30, v31
	v_mfma_f32_16x16x16_f16 v[60:63], v[60:61], v[34:35], 0
	v_cvt_pkrtz_f16_f32 v30, v66, v67
	v_cvt_pkrtz_f16_f32 v31, v68, v69
	v_cvt_pk_f32_fp8_e32 v[66:67], v33
	v_mfma_f32_16x16x16_f16 v[34:37], v[64:65], v[36:37], v[60:63]
	s_barrier
	s_nop 1
	v_cvt_pk_f32_fp8_sdwa v[60:61], v33 src0_sel:WORD_1
	v_cvt_pkrtz_f16_f32 v62, v66, v67
	v_mfma_f32_16x16x16_f16 v[30:33], v[30:31], v[38:39], v[34:37]
	s_waitcnt vmcnt(2)
	v_cvt_pk_f32_fp8_e32 v[38:39], v19
	v_cvt_pkrtz_f16_f32 v63, v60, v61
	v_cvt_pk_f32_fp8_e32 v[34:35], v18
	v_cvt_pk_f32_fp8_sdwa v[36:37], v18 src0_sel:WORD_1
	v_cvt_pk_f32_fp8_sdwa v[18:19], v19 src0_sel:WORD_1
	v_mfma_f32_16x16x16_f16 v[30:33], v[62:63], v[40:41], v[30:33]
	v_cvt_pkrtz_f16_f32 v34, v34, v35
	v_cvt_pkrtz_f16_f32 v35, v36, v37
	;; [unrolled: 1-line block ×3, first 2 shown]
	v_cvt_pk_f32_fp8_e32 v[38:39], v20
	v_cvt_pk_f32_fp8_sdwa v[40:41], v20 src0_sel:WORD_1
	v_cvt_pkrtz_f16_f32 v37, v18, v19
	v_mfma_f32_16x16x16_f16 v[30:33], v[34:35], v[6:7], v[30:33]
	v_cvt_pkrtz_f16_f32 v18, v38, v39
	v_cvt_pkrtz_f16_f32 v19, v40, v41
	v_cvt_pk_f32_fp8_e32 v[34:35], v21
	v_cvt_pk_f32_fp8_sdwa v[20:21], v21 src0_sel:WORD_1
	v_mfma_f32_16x16x16_f16 v[6:9], v[36:37], v[8:9], v[30:33]
	s_nop 2
	v_cvt_pkrtz_f16_f32 v30, v34, v35
	v_cvt_pkrtz_f16_f32 v31, v20, v21
	v_mfma_f32_16x16x16_f16 v[6:9], v[18:19], v[42:43], v[6:9]
	s_waitcnt vmcnt(1)
	v_cvt_pk_f32_fp8_e32 v[18:19], v14
	v_cvt_pk_f32_fp8_sdwa v[20:21], v14 src0_sel:WORD_1
	v_cvt_pk_f32_fp8_sdwa v[32:33], v16 src0_sel:WORD_1
	v_mfma_f32_16x16x16_f16 v[6:9], v[30:31], v[44:45], v[6:9]
	v_cvt_pk_f32_fp8_e32 v[30:31], v15
	v_cvt_pkrtz_f16_f32 v18, v18, v19
	v_cvt_pkrtz_f16_f32 v19, v20, v21
	v_cvt_pk_f32_fp8_sdwa v[14:15], v15 src0_sel:WORD_1
	v_cvt_pkrtz_f16_f32 v20, v30, v31
	v_cvt_pk_f32_fp8_e32 v[30:31], v16
	v_mfma_f32_16x16x16_f16 v[6:9], v[18:19], v[2:3], v[6:9]
	v_cvt_pkrtz_f16_f32 v21, v14, v15
	v_cvt_pkrtz_f16_f32 v14, v30, v31
	;; [unrolled: 1-line block ×3, first 2 shown]
	v_cvt_pk_f32_fp8_e32 v[18:19], v17
	v_cvt_pk_f32_fp8_sdwa v[16:17], v17 src0_sel:WORD_1
	v_mfma_f32_16x16x16_f16 v[2:5], v[20:21], v[4:5], v[6:9]
	s_waitcnt vmcnt(0)
	v_cvt_pk_f32_fp8_sdwa v[20:21], v12 src0_sel:WORD_1
	s_nop 0
	v_cvt_pkrtz_f16_f32 v8, v18, v19
	v_cvt_pkrtz_f16_f32 v9, v16, v17
	v_mfma_f32_16x16x16_f16 v[2:5], v[14:15], v[46:47], v[2:5]
	v_cvt_pk_f32_fp8_e32 v[16:17], v10
	v_cvt_pk_f32_fp8_sdwa v[18:19], v10 src0_sel:WORD_1
	v_pk_mul_f32 v[6:7], v[24:25], s[4:5] op_sel_hi:[1,0]
	v_mfma_f32_16x16x16_f16 v[2:5], v[8:9], v[48:49], v[2:5]
	v_cvt_pk_f32_fp8_e32 v[8:9], v11
	v_cvt_pkrtz_f16_f32 v16, v16, v17
	v_cvt_pkrtz_f16_f32 v17, v18, v19
	v_cvt_pk_f32_fp8_sdwa v[10:11], v11 src0_sel:WORD_1
	v_cvt_pkrtz_f16_f32 v8, v8, v9
	v_cvt_pk_f32_fp8_e32 v[18:19], v12
	v_mfma_f32_16x16x16_f16 v[2:5], v[16:17], v[26:27], v[2:5]
	v_cvt_pkrtz_f16_f32 v9, v10, v11
	v_cvt_pkrtz_f16_f32 v10, v18, v19
	;; [unrolled: 1-line block ×3, first 2 shown]
	v_cvt_pk_f32_fp8_e32 v[16:17], v13
	v_cvt_pk_f32_fp8_sdwa v[12:13], v13 src0_sel:WORD_1
	v_mfma_f32_16x16x16_f16 v[2:5], v[8:9], v[28:29], v[2:5]
	v_pk_mul_f32 v[14:15], v[22:23], s[4:5] op_sel_hi:[1,0]
	v_cvt_pkrtz_f16_f32 v8, v16, v17
	v_cvt_pkrtz_f16_f32 v9, v12, v13
	v_mfma_f32_16x16x16_f16 v[2:5], v[10:11], v[50:51], v[2:5]
	v_cvt_f16_f32_e32 v14, v14
	v_cvt_f16_f32_e32 v10, v15
	;; [unrolled: 1-line block ×3, first 2 shown]
	v_mfma_f32_16x16x16_f16 v[2:5], v[8:9], v[52:53], v[2:5]
	v_cvt_f16_f32_e32 v7, v7
	s_nop 5
	v_pk_mul_f32 v[4:5], v[4:5], s[4:5] op_sel_hi:[1,0]
	v_pk_mul_f32 v[2:3], v[2:3], s[4:5] op_sel_hi:[1,0]
	v_cvt_f16_f32_e32 v11, v4
	v_cvt_f16_f32_e32 v8, v2
	;; [unrolled: 1-line block ×4, first 2 shown]
	v_pack_b32_f16 v2, v14, v10
	v_pack_b32_f16 v3, v6, v7
	;; [unrolled: 1-line block ×4, first 2 shown]
	ds_write2st64_b64 v55, v[2:3], v[4:5] offset1:1
	s_waitcnt lgkmcnt(0)
	s_barrier
	s_and_saveexec_b64 s[4:5], s[14:15]
	s_cbranch_execz .LBB1067_19
; %bb.18:
	s_load_dwordx2 s[0:1], s[0:1], 0x68
	s_lshl_b32 s6, s6, 7
	s_mul_i32 s2, s7, s2
	v_lshlrev_b32_e32 v3, 6, v56
	s_mul_hi_u32 s5, s2, s6
	s_mul_i32 s4, s2, s6
	v_lshl_or_b32 v0, v0, 10, v3
	s_lshl_b64 s[4:5], s[4:5], 1
	v_and_b32_e32 v2, 16, v58
	v_and_b32_e32 v0, 0x1a00, v0
	s_waitcnt lgkmcnt(0)
	s_add_u32 s4, s0, s4
	v_or3_b32 v0, v0, v57, v2
	s_addc_u32 s5, s1, s5
	s_lshl_b32 s2, s12, 7
	ds_read_b128 v[2:5], v0
	s_lshl_b64 s[0:1], s[2:3], 1
	s_add_u32 s0, s4, s0
	s_addc_u32 s1, s5, s1
	v_mad_u64_u32 v[0:1], s[2:3], s6, v1, 0
	v_lshl_add_u64 v[0:1], v[0:1], 1, s[0:1]
	v_mov_b32_e32 v55, 0
	v_lshl_add_u64 v[0:1], v[0:1], 0, v[54:55]
	s_waitcnt lgkmcnt(0)
	global_store_dwordx4 v[0:1], v[2:5], off
.LBB1067_19:
	s_endpgm
	.section	.rodata,"a",@progbits
	.p2align	6, 0x0
	.amdhsa_kernel _Z39paged_attention_ll4mi_QKV_mfma16_kernelIDF16_hLN4vllm18Fp8KVCacheDataTypeE1EDF16_Li32ELi128ELi256ELb1ELi4EEvPKT_PKT0_S7_ifPKiS9_S9_iPKfiiiPfSC_PS2_PT2_iSB_SB_
		.amdhsa_group_segment_fixed_size 8192
		.amdhsa_private_segment_fixed_size 0
		.amdhsa_kernarg_size 400
		.amdhsa_user_sgpr_count 2
		.amdhsa_user_sgpr_dispatch_ptr 0
		.amdhsa_user_sgpr_queue_ptr 0
		.amdhsa_user_sgpr_kernarg_segment_ptr 1
		.amdhsa_user_sgpr_dispatch_id 0
		.amdhsa_user_sgpr_kernarg_preload_length 0
		.amdhsa_user_sgpr_kernarg_preload_offset 0
		.amdhsa_user_sgpr_private_segment_size 0
		.amdhsa_uses_dynamic_stack 0
		.amdhsa_enable_private_segment 0
		.amdhsa_system_sgpr_workgroup_id_x 1
		.amdhsa_system_sgpr_workgroup_id_y 1
		.amdhsa_system_sgpr_workgroup_id_z 1
		.amdhsa_system_sgpr_workgroup_info 0
		.amdhsa_system_vgpr_workitem_id 0
		.amdhsa_next_free_vgpr 80
		.amdhsa_next_free_sgpr 48
		.amdhsa_accum_offset 80
		.amdhsa_reserve_vcc 1
		.amdhsa_float_round_mode_32 0
		.amdhsa_float_round_mode_16_64 0
		.amdhsa_float_denorm_mode_32 3
		.amdhsa_float_denorm_mode_16_64 3
		.amdhsa_dx10_clamp 1
		.amdhsa_ieee_mode 1
		.amdhsa_fp16_overflow 0
		.amdhsa_tg_split 0
		.amdhsa_exception_fp_ieee_invalid_op 0
		.amdhsa_exception_fp_denorm_src 0
		.amdhsa_exception_fp_ieee_div_zero 0
		.amdhsa_exception_fp_ieee_overflow 0
		.amdhsa_exception_fp_ieee_underflow 0
		.amdhsa_exception_fp_ieee_inexact 0
		.amdhsa_exception_int_div_zero 0
	.end_amdhsa_kernel
	.section	.text._Z39paged_attention_ll4mi_QKV_mfma16_kernelIDF16_hLN4vllm18Fp8KVCacheDataTypeE1EDF16_Li32ELi128ELi256ELb1ELi4EEvPKT_PKT0_S7_ifPKiS9_S9_iPKfiiiPfSC_PS2_PT2_iSB_SB_,"axG",@progbits,_Z39paged_attention_ll4mi_QKV_mfma16_kernelIDF16_hLN4vllm18Fp8KVCacheDataTypeE1EDF16_Li32ELi128ELi256ELb1ELi4EEvPKT_PKT0_S7_ifPKiS9_S9_iPKfiiiPfSC_PS2_PT2_iSB_SB_,comdat
.Lfunc_end1067:
	.size	_Z39paged_attention_ll4mi_QKV_mfma16_kernelIDF16_hLN4vllm18Fp8KVCacheDataTypeE1EDF16_Li32ELi128ELi256ELb1ELi4EEvPKT_PKT0_S7_ifPKiS9_S9_iPKfiiiPfSC_PS2_PT2_iSB_SB_, .Lfunc_end1067-_Z39paged_attention_ll4mi_QKV_mfma16_kernelIDF16_hLN4vllm18Fp8KVCacheDataTypeE1EDF16_Li32ELi128ELi256ELb1ELi4EEvPKT_PKT0_S7_ifPKiS9_S9_iPKfiiiPfSC_PS2_PT2_iSB_SB_
                                        ; -- End function
	.section	.AMDGPU.csdata,"",@progbits
; Kernel info:
; codeLenInByte = 6264
; NumSgprs: 54
; NumVgprs: 80
; NumAgprs: 0
; TotalNumVgprs: 80
; ScratchSize: 0
; MemoryBound: 0
; FloatMode: 240
; IeeeMode: 1
; LDSByteSize: 8192 bytes/workgroup (compile time only)
; SGPRBlocks: 6
; VGPRBlocks: 9
; NumSGPRsForWavesPerEU: 54
; NumVGPRsForWavesPerEU: 80
; AccumOffset: 80
; Occupancy: 6
; WaveLimiterHint : 1
; COMPUTE_PGM_RSRC2:SCRATCH_EN: 0
; COMPUTE_PGM_RSRC2:USER_SGPR: 2
; COMPUTE_PGM_RSRC2:TRAP_HANDLER: 0
; COMPUTE_PGM_RSRC2:TGID_X_EN: 1
; COMPUTE_PGM_RSRC2:TGID_Y_EN: 1
; COMPUTE_PGM_RSRC2:TGID_Z_EN: 1
; COMPUTE_PGM_RSRC2:TIDIG_COMP_CNT: 0
; COMPUTE_PGM_RSRC3_GFX90A:ACCUM_OFFSET: 19
; COMPUTE_PGM_RSRC3_GFX90A:TG_SPLIT: 0
	.section	.text._Z38paged_attention_ll4mi_QKV_mfma4_kernelIDF16_hLN4vllm18Fp8KVCacheDataTypeE1EDF16_Li32ELi128ELi256ELb0ELi1EEvPKT_PKT0_S7_ifPKiS9_S9_iPKfiiiPfSC_PS2_PT2_iSB_SB_,"axG",@progbits,_Z38paged_attention_ll4mi_QKV_mfma4_kernelIDF16_hLN4vllm18Fp8KVCacheDataTypeE1EDF16_Li32ELi128ELi256ELb0ELi1EEvPKT_PKT0_S7_ifPKiS9_S9_iPKfiiiPfSC_PS2_PT2_iSB_SB_,comdat
	.protected	_Z38paged_attention_ll4mi_QKV_mfma4_kernelIDF16_hLN4vllm18Fp8KVCacheDataTypeE1EDF16_Li32ELi128ELi256ELb0ELi1EEvPKT_PKT0_S7_ifPKiS9_S9_iPKfiiiPfSC_PS2_PT2_iSB_SB_ ; -- Begin function _Z38paged_attention_ll4mi_QKV_mfma4_kernelIDF16_hLN4vllm18Fp8KVCacheDataTypeE1EDF16_Li32ELi128ELi256ELb0ELi1EEvPKT_PKT0_S7_ifPKiS9_S9_iPKfiiiPfSC_PS2_PT2_iSB_SB_
	.globl	_Z38paged_attention_ll4mi_QKV_mfma4_kernelIDF16_hLN4vllm18Fp8KVCacheDataTypeE1EDF16_Li32ELi128ELi256ELb0ELi1EEvPKT_PKT0_S7_ifPKiS9_S9_iPKfiiiPfSC_PS2_PT2_iSB_SB_
	.p2align	8
	.type	_Z38paged_attention_ll4mi_QKV_mfma4_kernelIDF16_hLN4vllm18Fp8KVCacheDataTypeE1EDF16_Li32ELi128ELi256ELb0ELi1EEvPKT_PKT0_S7_ifPKiS9_S9_iPKfiiiPfSC_PS2_PT2_iSB_SB_,@function
_Z38paged_attention_ll4mi_QKV_mfma4_kernelIDF16_hLN4vllm18Fp8KVCacheDataTypeE1EDF16_Li32ELi128ELi256ELb0ELi1EEvPKT_PKT0_S7_ifPKiS9_S9_iPKfiiiPfSC_PS2_PT2_iSB_SB_: ; @_Z38paged_attention_ll4mi_QKV_mfma4_kernelIDF16_hLN4vllm18Fp8KVCacheDataTypeE1EDF16_Li32ELi128ELi256ELb0ELi1EEvPKT_PKT0_S7_ifPKiS9_S9_iPKfiiiPfSC_PS2_PT2_iSB_SB_
; %bb.0:
	s_load_dwordx2 s[20:21], s[0:1], 0x30
	s_mov_b32 s24, s3
	s_mov_b64 s[6:7], 0
	s_waitcnt lgkmcnt(0)
	s_cmp_lg_u64 s[20:21], 0
	s_cselect_b64 s[22:23], -1, 0
	s_and_b64 vcc, exec, s[22:23]
	s_cbranch_vccz .LBB1068_10
; %bb.1:
	s_add_i32 s8, s2, 1
	s_mov_b32 s9, 0
	s_lshl_b64 s[10:11], s[8:9], 2
	s_add_u32 s10, s20, s10
	s_mov_b32 s3, s9
	s_addc_u32 s11, s21, s11
	s_lshl_b64 s[8:9], s[2:3], 2
	s_add_u32 s8, s20, s8
	s_addc_u32 s9, s21, s9
	s_load_dword s5, s[10:11], 0x0
	s_load_dword s12, s[8:9], 0x0
	s_waitcnt lgkmcnt(0)
	s_sub_i32 s5, s5, s12
	s_cmp_eq_u32 s5, 1
	s_cselect_b64 s[8:9], -1, 0
	s_andn2_b64 vcc, exec, s[6:7]
	s_cbranch_vccnz .LBB1068_3
.LBB1068_2:
	s_mov_b32 s3, 0
	s_mov_b64 s[8:9], -1
.LBB1068_3:
	s_andn2_b64 vcc, exec, s[8:9]
	s_cbranch_vccnz .LBB1068_25
; %bb.4:
	s_load_dword s5, s[0:1], 0x9c
	s_load_dwordx2 s[6:7], s[0:1], 0x28
	s_add_u32 s28, s0, 0x90
	s_addc_u32 s29, s1, 0
	s_lshl_b64 s[34:35], s[2:3], 2
	s_waitcnt lgkmcnt(0)
	s_and_b32 s5, s5, 0xffff
	s_add_u32 s6, s6, s34
	s_addc_u32 s7, s7, s35
	s_load_dword s3, s[6:7], 0x0
	s_mul_i32 s10, s24, s5
	s_waitcnt lgkmcnt(0)
	s_cmp_ge_i32 s10, s3
	s_cbranch_scc1 .LBB1068_25
; %bb.5:
	v_and_b32_e32 v1, 0xc0, v0
	v_add_u32_e32 v4, s10, v1
	v_lshrrev_b32_e32 v38, 6, v0
	v_cmp_le_i32_e64 s[6:7], s3, v4
                                        ; implicit-def: $sgpr25
                                        ; implicit-def: $sgpr11
	s_and_saveexec_b64 s[8:9], s[6:7]
	s_xor_b64 s[8:9], exec, s[8:9]
	s_cbranch_execz .LBB1068_7
; %bb.6:
	v_mul_u32_u24_e32 v1, 20, v38
	v_or_b32_e32 v1, 0x1400, v1
	v_mov_b32_e32 v2, 0x1450
	v_mov_b32_e32 v3, 0xff7fffff
	v_mad_u32_u24 v2, v38, 20, v2
	ds_write2_b32 v1, v3, v3 offset1:1
	v_mov_b32_e32 v1, 0
	ds_write2_b32 v2, v1, v1 offset1:1
	v_mov_b32_e32 v2, 0x1408
	v_mov_b32_e32 v4, 0x1458
	s_mov_b32 s11, 0xff7fffff
	s_mov_b32 s25, 0
	v_mad_u32_u24 v2, v38, 20, v2
	v_mad_u32_u24 v4, v38, 20, v4
	ds_write2_b32 v2, v3, v3 offset1:1
	ds_write2_b32 v4, v1, v1 offset1:1
                                        ; implicit-def: $vgpr4
.LBB1068_7:
	s_or_saveexec_b64 s[30:31], s[8:9]
	s_load_dwordx2 s[26:27], s[0:1], 0x68
	s_load_dwordx4 s[16:19], s[0:1], 0x58
	s_load_dword s5, s[28:29], 0x4
	s_load_dwordx4 s[12:15], s[0:1], 0x80
	v_and_b32_e32 v1, 63, v0
	v_and_b32_e32 v39, 3, v0
	v_mov_b32_e32 v37, s25
	v_mov_b32_e32 v40, s11
	v_mov_b32_e32 v36, s25
	v_mov_b32_e32 v35, s25
	v_mov_b32_e32 v34, s25
                                        ; implicit-def: $vgpr30_vgpr31
                                        ; implicit-def: $vgpr22_vgpr23
                                        ; implicit-def: $vgpr14_vgpr15
                                        ; implicit-def: $vgpr10_vgpr11
                                        ; implicit-def: $vgpr6_vgpr7
                                        ; implicit-def: $vgpr2_vgpr3
                                        ; implicit-def: $vgpr26_vgpr27
                                        ; implicit-def: $vgpr18_vgpr19
	s_xor_b64 exec, exec, s[30:31]
	s_cbranch_execz .LBB1068_17
; %bb.8:
	s_load_dwordx2 s[8:9], s[0:1], 0x20
	s_load_dword s11, s[0:1], 0x38
	s_add_i32 s25, s3, 31
	s_ashr_i32 s33, s25, 31
	s_lshr_b32 s33, s33, 27
	v_add_u32_e32 v36, s10, v0
	s_add_i32 s25, s25, s33
	v_ashrrev_i32_e32 v2, 31, v36
	s_ashr_i32 s25, s25, 5
	v_lshrrev_b32_e32 v2, 27, v2
	s_add_i32 s25, s25, -1
	s_waitcnt lgkmcnt(0)
	s_mul_i32 s36, s2, s11
	s_mov_b32 s37, 0
	v_add_u32_e32 v2, v36, v2
	s_lshl_b64 s[36:37], s[36:37], 2
	v_ashrrev_i32_e32 v2, 5, v2
	v_mov_b32_e32 v3, s25
	v_cmp_gt_i32_e32 vcc, s3, v36
	s_add_u32 s8, s8, s36
	s_addc_u32 s9, s9, s37
	v_cndmask_b32_e32 v2, v3, v2, vcc
	v_ashrrev_i32_e32 v3, 31, v2
	v_lshl_add_u64 v[6:7], v[2:3], 2, s[8:9]
	v_ashrrev_i32_e32 v2, 31, v4
	v_lshrrev_b32_e32 v2, 27, v2
	v_add_u32_e32 v2, v4, v2
	v_ashrrev_i32_e32 v8, 5, v2
	v_min_i32_e32 v2, s25, v8
	v_ashrrev_i32_e32 v3, 31, v2
	v_lshl_add_u64 v[4:5], v[2:3], 2, s[8:9]
	v_add_u32_e32 v2, 1, v8
	v_min_i32_e32 v2, s25, v2
	v_ashrrev_i32_e32 v3, 31, v2
	v_lshl_add_u64 v[8:9], v[2:3], 2, s[8:9]
	global_load_dword v2, v[6:7], off
	global_load_dword v26, v[4:5], off
	;; [unrolled: 1-line block ×3, first 2 shown]
	s_load_dwordx4 s[8:11], s[0:1], 0x8
	s_andn2_b64 vcc, exec, s[22:23]
	s_cbranch_vccnz .LBB1068_11
; %bb.9:
	s_add_u32 s20, s20, s34
	s_addc_u32 s21, s21, s35
	s_load_dword s25, s[20:21], 0x0
	s_branch .LBB1068_12
.LBB1068_10:
	s_mov_b64 s[8:9], 0
	s_branch .LBB1068_2
.LBB1068_11:
	s_mov_b32 s25, s2
.LBB1068_12:
	s_load_dwordx4 s[20:23], s[0:1], 0x48
	v_cmp_eq_u32_e32 vcc, 0, v39
	s_mov_b32 s37, 0
	v_mov_b32_e32 v37, 0
	v_mov_b32_e32 v23, 0
	;; [unrolled: 1-line block ×6, first 2 shown]
	s_and_saveexec_b64 s[34:35], vcc
	s_cbranch_execz .LBB1068_14
; %bb.13:
	s_load_dwordx2 s[38:39], s[0:1], 0x0
	s_waitcnt lgkmcnt(0)
	s_ashr_i32 s23, s20, 31
	s_mul_hi_u32 s33, s25, s20
	s_mul_i32 s23, s25, s23
	s_add_i32 s41, s33, s23
	s_mul_i32 s40, s25, s20
	s_lshl_b64 s[40:41], s[40:41], 1
	s_add_u32 s20, s38, s40
	s_addc_u32 s23, s39, s41
	s_lshl_b32 s36, s4, 7
	s_lshl_b64 s[36:37], s[36:37], 1
	s_add_u32 s36, s20, s36
	s_addc_u32 s37, s23, s37
	v_lshlrev_b32_e32 v3, 2, v1
	global_load_dwordx4 v[18:21], v3, s[36:37]
	v_mov_b32_e32 v37, 1.0
.LBB1068_14:
	s_or_b64 exec, exec, s[34:35]
	s_waitcnt lgkmcnt(0)
	s_mul_i32 s20, s4, s22
	s_add_u32 s8, s20, s8
	s_addc_u32 s9, 0, s9
	v_mov_b64_e32 v[4:5], s[8:9]
	s_waitcnt vmcnt(2)
	v_mad_i64_i32 v[2:3], s[8:9], v2, s21, v[4:5]
	v_lshlrev_b32_e32 v4, 4, v0
	v_and_b32_e32 v22, 0x1f0, v4
	v_lshl_add_u64 v[24:25], v[2:3], 0, v[22:23]
	global_load_dwordx4 v[14:17], v[24:25], off
	global_load_dwordx4 v[10:13], v[24:25], off offset:512
	global_load_dwordx4 v[6:9], v[24:25], off offset:1024
	;; [unrolled: 1-line block ×3, first 2 shown]
	s_waitcnt vmcnt(4)
	v_mul_hi_i32 v28, v27, s21
	v_ashrrev_i32_e32 v28, 31, v28
	v_mul_hi_i32 v22, v26, s21
	v_mov_b32_e32 v29, v23
	v_lshrrev_b32_e32 v28, 29, v28
	v_ashrrev_i32_e32 v22, 31, v22
	s_add_u32 s8, s10, s20
	v_mad_i64_i32 v[28:29], s[22:23], v27, s21, v[28:29]
	s_addc_u32 s9, s11, 0
	v_and_b32_e32 v28, -8, v28
	v_lshrrev_b32_e32 v22, 29, v22
	v_lshl_add_u64 v[30:31], s[8:9], 0, v[28:29]
	v_mad_i64_i32 v[32:33], s[10:11], v26, s21, v[22:23]
	global_load_dwordx4 v[26:29], v[24:25], off offset:2048
	global_load_dwordx4 v[40:43], v[24:25], off offset:2560
	;; [unrolled: 1-line block ×4, first 2 shown]
	v_lshlrev_b32_e32 v22, 5, v1
	v_and_b32_e32 v32, -8, v32
	v_lshl_add_u64 v[34:35], v[30:31], 0, v[22:23]
	v_lshl_add_u64 v[30:31], s[8:9], 0, v[32:33]
	;; [unrolled: 1-line block ×3, first 2 shown]
	s_load_dword s0, s[0:1], 0x1c
	v_cmp_eq_u32_e32 vcc, 1, v39
	s_waitcnt vmcnt(7)
	v_cvt_pk_f32_fp8_e32 v[22:23], v14
	v_cvt_pk_f32_fp8_sdwa v[30:31], v14 src0_sel:WORD_1
	v_cvt_pk_f32_fp8_e32 v[32:33], v15
	v_cvt_pk_f32_fp8_sdwa v[14:15], v15 src0_sel:WORD_1
	;; [unrolled: 2-line block ×3, first 2 shown]
	s_waitcnt vmcnt(4)
	v_cvt_pk_f32_fp8_e32 v[92:93], v2
	v_cvt_pk_f32_fp8_sdwa v[94:95], v2 src0_sel:WORD_1
	v_cvt_pk_f32_fp8_e32 v[96:97], v3
	v_cvt_pk_f32_fp8_sdwa v[98:99], v3 src0_sel:WORD_1
	v_cvt_pkrtz_f16_f32 v2, v22, v23
	v_cvt_pkrtz_f16_f32 v3, v30, v31
	v_cvt_pk_f32_fp8_e32 v[58:59], v17
	v_cvt_pk_f32_fp8_sdwa v[16:17], v17 src0_sel:WORD_1
	v_mfma_f32_4x4x4_16b_f16 a[0:3], v[18:19], v[2:3], 0 cbsz:4
	v_cvt_pk_f32_fp8_e32 v[100:101], v4
	v_cvt_pk_f32_fp8_sdwa v[102:103], v4 src0_sel:WORD_1
	v_cvt_pk_f32_fp8_e32 v[104:105], v5
	v_cvt_pk_f32_fp8_sdwa v[106:107], v5 src0_sel:WORD_1
	v_cvt_pkrtz_f16_f32 v4, v32, v33
	v_cvt_pkrtz_f16_f32 v5, v14, v15
	v_cvt_pk_f32_fp8_e32 v[60:61], v10
	v_cvt_pk_f32_fp8_sdwa v[62:63], v10 src0_sel:WORD_1
	v_mfma_f32_4x4x4_16b_f16 a[0:3], v[20:21], v[4:5], a[0:3] cbsz:4
	v_cvt_pk_f32_fp8_e32 v[76:77], v6
	v_cvt_pk_f32_fp8_sdwa v[78:79], v6 src0_sel:WORD_1
	v_cvt_pk_f32_fp8_e32 v[80:81], v7
	v_cvt_pk_f32_fp8_sdwa v[82:83], v7 src0_sel:WORD_1
	v_cvt_pkrtz_f16_f32 v6, v54, v55
	v_cvt_pkrtz_f16_f32 v7, v56, v57
	v_cvt_pk_f32_fp8_e32 v[64:65], v11
	v_cvt_pk_f32_fp8_sdwa v[66:67], v11 src0_sel:WORD_1
	v_mfma_f32_4x4x4_16b_f16 a[0:3], v[18:19], v[6:7], a[0:3] cbsz:4 abid:1
	v_cvt_pkrtz_f16_f32 v54, v58, v59
	v_cvt_pkrtz_f16_f32 v55, v16, v17
	v_cvt_pk_f32_fp8_e32 v[68:69], v12
	v_cvt_pk_f32_fp8_sdwa v[70:71], v12 src0_sel:WORD_1
	v_mfma_f32_4x4x4_16b_f16 a[0:3], v[20:21], v[54:55], a[0:3] cbsz:4 abid:1
	;; [unrolled: 5-line block ×3, first 2 shown]
	v_cvt_pkrtz_f16_f32 v58, v64, v65
	v_cvt_pkrtz_f16_f32 v59, v66, v67
	;; [unrolled: 1-line block ×4, first 2 shown]
	v_mfma_f32_4x4x4_16b_f16 a[0:3], v[20:21], v[58:59], a[0:3] cbsz:4 abid:2
	v_cvt_pkrtz_f16_f32 v62, v72, v73
	v_cvt_pkrtz_f16_f32 v63, v74, v75
	v_mfma_f32_4x4x4_16b_f16 a[0:3], v[18:19], v[60:61], a[0:3] cbsz:4 abid:3
	v_cvt_pk_f32_fp8_e32 v[84:85], v8
	v_cvt_pk_f32_fp8_sdwa v[86:87], v8 src0_sel:WORD_1
	v_mfma_f32_4x4x4_16b_f16 a[0:3], v[20:21], v[62:63], a[0:3] cbsz:4 abid:3
	v_cvt_pkrtz_f16_f32 v64, v76, v77
	v_cvt_pkrtz_f16_f32 v65, v78, v79
	v_cvt_pk_f32_fp8_e32 v[88:89], v9
	v_cvt_pk_f32_fp8_sdwa v[90:91], v9 src0_sel:WORD_1
	v_mfma_f32_4x4x4_16b_f16 a[0:3], v[18:19], v[64:65], a[0:3] cbsz:4 abid:4
	global_load_dwordx4 v[10:13], v[34:35], off offset:16
	global_load_dwordx4 v[14:17], v[34:35], off
	global_load_dwordx4 v[22:25], v[52:53], off offset:16
	global_load_dwordx4 v[30:33], v[52:53], off
	global_load_dwordx4 v[2:5], v[52:53], off offset:2064
	global_load_dwordx4 v[6:9], v[52:53], off offset:2048
	v_cvt_pkrtz_f16_f32 v52, v80, v81
	v_cvt_pkrtz_f16_f32 v53, v82, v83
	;; [unrolled: 1-line block ×4, first 2 shown]
	v_mfma_f32_4x4x4_16b_f16 a[0:3], v[20:21], v[52:53], a[0:3] cbsz:4 abid:4
	v_cvt_pkrtz_f16_f32 v56, v88, v89
	v_cvt_pkrtz_f16_f32 v57, v90, v91
	v_mfma_f32_4x4x4_16b_f16 a[0:3], v[18:19], v[54:55], a[0:3] cbsz:4 abid:5
	v_cvt_pkrtz_f16_f32 v52, v92, v93
	v_cvt_pkrtz_f16_f32 v53, v94, v95
	;; [unrolled: 3-line block ×5, first 2 shown]
	v_mfma_f32_4x4x4_16b_f16 a[0:3], v[18:19], v[52:53], a[0:3] cbsz:4 abid:7
	s_waitcnt vmcnt(9)
	v_cvt_pk_f32_fp8_e32 v[52:53], v26
	v_cvt_pk_f32_fp8_e32 v[56:57], v27
	v_mfma_f32_4x4x4_16b_f16 a[0:3], v[20:21], v[54:55], a[0:3] cbsz:4 abid:7
	v_cvt_pk_f32_fp8_sdwa v[54:55], v26 src0_sel:WORD_1
	v_cvt_pk_f32_fp8_sdwa v[26:27], v27 src0_sel:WORD_1
	v_cvt_pkrtz_f16_f32 v52, v52, v53
	s_load_dword s1, s[12:13], 0x0
	v_cvt_pkrtz_f16_f32 v53, v54, v55
	v_cvt_pkrtz_f16_f32 v54, v56, v57
	;; [unrolled: 1-line block ×3, first 2 shown]
	v_mfma_f32_4x4x4_16b_f16 a[0:3], v[18:19], v[52:53], a[0:3] cbsz:4 abid:8
	v_cvt_pk_f32_fp8_e32 v[26:27], v28
	v_cvt_pk_f32_fp8_sdwa v[52:53], v28 src0_sel:WORD_1
	v_mfma_f32_4x4x4_16b_f16 a[0:3], v[20:21], v[54:55], a[0:3] cbsz:4 abid:8
	v_cvt_pk_f32_fp8_e32 v[54:55], v29
	v_cvt_pk_f32_fp8_sdwa v[28:29], v29 src0_sel:WORD_1
	v_cvt_pkrtz_f16_f32 v26, v26, v27
	v_cvt_pkrtz_f16_f32 v27, v52, v53
	;; [unrolled: 1-line block ×4, first 2 shown]
	v_mfma_f32_4x4x4_16b_f16 a[0:3], v[18:19], v[26:27], a[0:3] cbsz:4 abid:9
	s_waitcnt vmcnt(8)
	v_cvt_pk_f32_fp8_e32 v[26:27], v40
	v_cvt_pk_f32_fp8_sdwa v[28:29], v40 src0_sel:WORD_1
	v_mfma_f32_4x4x4_16b_f16 a[0:3], v[20:21], v[52:53], a[0:3] cbsz:4 abid:9
	v_cvt_pk_f32_fp8_e32 v[52:53], v41
	v_cvt_pk_f32_fp8_sdwa v[40:41], v41 src0_sel:WORD_1
	v_cvt_pkrtz_f16_f32 v26, v26, v27
	v_cvt_pkrtz_f16_f32 v27, v28, v29
	;; [unrolled: 1-line block ×4, first 2 shown]
	v_mfma_f32_4x4x4_16b_f16 a[0:3], v[18:19], v[26:27], a[0:3] cbsz:4 abid:10
	v_cvt_pk_f32_fp8_e32 v[26:27], v42
	v_cvt_pk_f32_fp8_e32 v[40:41], v43
	v_mfma_f32_4x4x4_16b_f16 a[0:3], v[20:21], v[28:29], a[0:3] cbsz:4 abid:10
	v_cvt_pk_f32_fp8_sdwa v[28:29], v42 src0_sel:WORD_1
	v_cvt_pk_f32_fp8_sdwa v[42:43], v43 src0_sel:WORD_1
	v_cvt_pkrtz_f16_f32 v26, v26, v27
	v_cvt_pkrtz_f16_f32 v27, v28, v29
	;; [unrolled: 1-line block ×3, first 2 shown]
	s_nop 0
	v_mfma_f32_4x4x4_16b_f16 a[0:3], v[18:19], v[26:27], a[0:3] cbsz:4 abid:11
	v_cvt_pkrtz_f16_f32 v29, v42, v43
	s_waitcnt vmcnt(7)
	v_cvt_pk_f32_fp8_e32 v[26:27], v44
	v_cvt_pk_f32_fp8_e32 v[40:41], v45
	v_mfma_f32_4x4x4_16b_f16 a[0:3], v[20:21], v[28:29], a[0:3] cbsz:4 abid:11
	v_cvt_pk_f32_fp8_sdwa v[28:29], v44 src0_sel:WORD_1
	v_cvt_pk_f32_fp8_sdwa v[42:43], v45 src0_sel:WORD_1
	v_cvt_pkrtz_f16_f32 v26, v26, v27
	v_cvt_pkrtz_f16_f32 v27, v28, v29
	;; [unrolled: 1-line block ×3, first 2 shown]
	s_nop 0
	v_mfma_f32_4x4x4_16b_f16 a[0:3], v[18:19], v[26:27], a[0:3] cbsz:4 abid:12
	v_cvt_pkrtz_f16_f32 v29, v42, v43
	v_cvt_pk_f32_fp8_e32 v[26:27], v46
	v_cvt_pk_f32_fp8_e32 v[40:41], v47
	v_mfma_f32_4x4x4_16b_f16 a[0:3], v[20:21], v[28:29], a[0:3] cbsz:4 abid:12
	v_cvt_pk_f32_fp8_sdwa v[28:29], v46 src0_sel:WORD_1
	v_cvt_pk_f32_fp8_sdwa v[42:43], v47 src0_sel:WORD_1
	v_cvt_pkrtz_f16_f32 v26, v26, v27
	v_cvt_pkrtz_f16_f32 v27, v28, v29
	v_cvt_pkrtz_f16_f32 v28, v40, v41
	s_nop 0
	v_mfma_f32_4x4x4_16b_f16 a[0:3], v[18:19], v[26:27], a[0:3] cbsz:4 abid:13
	v_cvt_pkrtz_f16_f32 v29, v42, v43
	s_waitcnt vmcnt(6)
	v_cvt_pk_f32_fp8_e32 v[26:27], v48
	v_cvt_pk_f32_fp8_e32 v[40:41], v49
	v_mfma_f32_4x4x4_16b_f16 a[0:3], v[20:21], v[28:29], a[0:3] cbsz:4 abid:13
	v_cvt_pk_f32_fp8_sdwa v[28:29], v48 src0_sel:WORD_1
	v_cvt_pk_f32_fp8_sdwa v[42:43], v49 src0_sel:WORD_1
	v_cvt_pkrtz_f16_f32 v26, v26, v27
	v_cvt_pkrtz_f16_f32 v27, v28, v29
	;; [unrolled: 1-line block ×3, first 2 shown]
	s_nop 0
	v_mfma_f32_4x4x4_16b_f16 a[0:3], v[18:19], v[26:27], a[0:3] cbsz:4 abid:14
	v_cvt_pk_f32_fp8_e32 v[26:27], v50
	v_cvt_pk_f32_fp8_sdwa v[40:41], v50 src0_sel:WORD_1
	v_cvt_pkrtz_f16_f32 v29, v42, v43
	v_cvt_pkrtz_f16_f32 v26, v26, v27
	s_nop 0
	v_mfma_f32_4x4x4_16b_f16 a[0:3], v[20:21], v[28:29], a[0:3] cbsz:4 abid:14
	v_cvt_pk_f32_fp8_e32 v[28:29], v51
	v_cvt_pkrtz_f16_f32 v27, v40, v41
	v_cvt_pk_f32_fp8_sdwa v[40:41], v51 src0_sel:WORD_1
	v_cvt_pkrtz_f16_f32 v28, v28, v29
	v_mfma_f32_4x4x4_16b_f16 a[0:3], v[18:19], v[26:27], a[0:3] cbsz:4 abid:15
	v_cvt_pkrtz_f16_f32 v29, v40, v41
	s_waitcnt lgkmcnt(0)
	v_mov_b32_e32 v18, s0
	v_mul_f32_e32 v40, s1, v18
	v_mfma_f32_4x4x4_16b_f16 a[0:3], v[20:21], v[28:29], a[0:3] cbsz:4 abid:15
	s_nop 4
	v_accvgpr_read_b32 v19, a1
	v_accvgpr_read_b32 v18, a0
	v_pk_mul_f32 v[42:43], v[18:19], v[40:41] op_sel_hi:[1,0]
	global_load_dwordx4 v[18:21], v[34:35], off offset:2064
	global_load_dwordx4 v[26:29], v[34:35], off offset:2048
	v_accvgpr_read_b32 v35, a3
	v_accvgpr_read_b32 v34, a2
	v_pk_mul_f32 v[34:35], v[34:35], v[40:41] op_sel_hi:[1,0]
	v_mfma_f32_4x4x1_16b_f32 a[0:3], v42, v37, 0
	v_cndmask_b32_e64 v37, 0, 1.0, vcc
	v_cmp_eq_u32_e32 vcc, 2, v39
	v_mov_b32_e32 v41, 0xff7fffff
	v_mfma_f32_4x4x1_16b_f32 a[0:3], v43, v37, a[0:3]
	v_cndmask_b32_e64 v37, 0, 1.0, vcc
	v_cmp_eq_u32_e32 vcc, 3, v39
	s_nop 0
	v_mfma_f32_4x4x1_16b_f32 a[0:3], v34, v37, a[0:3]
	v_cndmask_b32_e64 v34, 0, 1.0, vcc
	s_nop 1
	v_mfma_f32_4x4x1_16b_f32 a[0:3], v35, v34, a[0:3]
	v_and_b32_e32 v34, -4, v36
	v_cmp_gt_i32_e32 vcc, s3, v34
	v_or_b32_e32 v36, 3, v36
	v_cmp_gt_i32_e64 s[10:11], s3, v36
	v_accvgpr_read_b32 v37, a0
	v_max_f32_e32 v40, v37, v37
	v_max_f32_e32 v40, 0xff7fffff, v40
	v_accvgpr_read_b32 v42, a1
	v_cndmask_b32_e32 v40, v41, v40, vcc
	v_or_b32_e32 v41, 1, v34
	v_max_f32_e32 v43, v42, v42
	v_max_f32_e32 v43, v40, v43
	v_cmp_gt_i32_e64 s[0:1], s3, v41
	v_accvgpr_read_b32 v41, a2
	v_or_b32_e32 v34, 2, v34
	v_cndmask_b32_e64 v40, v40, v43, s[0:1]
	v_max_f32_e32 v43, v41, v41
	v_max_f32_e32 v43, v40, v43
	v_cmp_gt_i32_e64 s[8:9], s3, v34
	v_lshlrev_b32_e32 v35, 2, v0
	v_and_or_b32 v35, v35, 48, v39
	v_cndmask_b32_e64 v34, v40, v43, s[8:9]
	v_accvgpr_read_b32 v43, a3
	v_max_f32_e32 v40, v43, v43
	v_max_f32_e32 v40, v34, v40
	v_cndmask_b32_e64 v34, v34, v40, s[10:11]
	;;#ASMSTART
	v_nop
 v_nop
 v_max_f32_dpp v34, v34, v34 row_ror:4
	;;#ASMEND
	v_lshlrev_b32_e32 v44, 2, v35
	;;#ASMSTART
	v_nop
 v_nop
 v_max_f32_dpp v34, v34, v34 row_ror:8
	;;#ASMEND
	ds_bpermute_b32 v34, v44, v34
	s_waitcnt lgkmcnt(0)
	;;#ASMSTART
	v_nop
 v_nop
 v_max_f32_dpp v34, v34, v34 row_ror:4
	;;#ASMEND
	s_nop 0
	;;#ASMSTART
	v_nop
 v_nop
 v_max_f32_dpp v40, v34, v34 row_ror:8
	;;#ASMEND
	s_nop 0
	v_sub_f32_e32 v34, v37, v40
	v_mul_f32_e32 v34, 0x3fb8aa3b, v34
	v_sub_f32_e32 v35, v42, v40
	v_exp_f32_e32 v34, v34
	v_mul_f32_e32 v35, 0x3fb8aa3b, v35
	v_sub_f32_e32 v37, v41, v40
	v_exp_f32_e32 v35, v35
	;; [unrolled: 3-line block ×3, first 2 shown]
	v_mul_f32_e32 v41, 0x3fb8aa3b, v41
	v_exp_f32_e32 v41, v41
	v_cndmask_b32_e32 v34, 0, v34, vcc
	v_add_f32_e32 v36, 0, v34
	v_cndmask_b32_e64 v35, 0, v35, s[0:1]
	v_add_f32_e32 v42, v36, v35
	v_cndmask_b32_e64 v36, 0, v37, s[8:9]
	;; [unrolled: 2-line block ×3, first 2 shown]
	v_add_f32_e32 v41, v42, v37
	;;#ASMSTART
	v_nop
 v_nop
 v_add_f32_dpp v41, v41, v41 row_ror:4
	;;#ASMEND
	v_cmp_gt_u32_e32 vcc, 4, v1
	;;#ASMSTART
	v_nop
 v_nop
 v_add_f32_dpp v41, v41, v41 row_ror:8
	;;#ASMEND
	ds_bpermute_b32 v41, v44, v41
	s_waitcnt lgkmcnt(0)
	;;#ASMSTART
	v_nop
 v_nop
 v_add_f32_dpp v41, v41, v41 row_ror:4
	;;#ASMEND
	s_nop 0
	;;#ASMSTART
	v_nop
 v_nop
 v_add_f32_dpp v41, v41, v41 row_ror:8
	;;#ASMEND
	s_and_saveexec_b64 s[0:1], vcc
	s_cbranch_execz .LBB1068_16
; %bb.15:
	v_mul_u32_u24_e32 v42, 20, v38
	v_lshl_add_u32 v42, v39, 2, v42
	v_add_u32_e32 v42, 0x1400, v42
	ds_write2_b32 v42, v40, v41 offset1:20
.LBB1068_16:
	s_or_b64 exec, exec, s[0:1]
.LBB1068_17:
	s_or_b64 exec, exec, s[30:31]
	s_waitcnt lgkmcnt(0)
	s_barrier
	s_load_dword s0, s[28:29], 0x8
	v_lshlrev_b32_e32 v41, 2, v39
	v_add_u32_e32 v42, 0x1400, v41
	ds_read2_b32 v[44:45], v42 offset1:5
	ds_read2_b32 v[46:47], v42 offset0:10 offset1:15
	s_mul_i32 s1, s5, s2
	s_waitcnt lgkmcnt(0)
	s_mul_i32 s0, s1, s0
	s_mov_b32 s1, 0xff7fffff
	v_max3_f32 v41, v44, s1, v45
	v_max3_f32 v41, v41, v46, v47
	v_sub_f32_e32 v43, v44, v41
	v_sub_f32_e32 v44, v45, v41
	v_mul_f32_e32 v44, 0x3fb8aa3b, v44
	ds_read2_b32 v[48:49], v42 offset0:20 offset1:25
	v_mul_f32_e32 v43, 0x3fb8aa3b, v43
	v_exp_f32_e32 v51, v44
	ds_read2_b32 v[44:45], v42 offset0:30 offset1:35
	v_sub_f32_e32 v42, v46, v41
	v_exp_f32_e32 v50, v43
	v_mul_f32_e32 v42, 0x3fb8aa3b, v42
	v_exp_f32_e32 v46, v42
	v_sub_f32_e32 v42, v47, v41
	v_mul_f32_e32 v42, 0x3fb8aa3b, v42
	v_exp_f32_e32 v47, v42
	s_waitcnt lgkmcnt(1)
	v_fma_f32 v42, v50, v48, 0
	v_fmac_f32_e32 v42, v51, v49
	s_waitcnt lgkmcnt(0)
	v_fmac_f32_e32 v42, v46, v44
	v_mov_b32_e32 v43, 0
	v_fmac_f32_e32 v42, v47, v45
	s_mov_b32 s1, 0
	v_cmp_eq_u32_e32 vcc, 0, v39
	s_and_saveexec_b64 s[2:3], vcc
	s_cbranch_execz .LBB1068_19
; %bb.18:
	s_lshl_b64 s[8:9], s[0:1], 2
	s_add_u32 s12, s16, s8
	s_mov_b32 s25, s1
	s_addc_u32 s13, s17, s9
	s_lshl_b64 s[10:11], s[24:25], 2
	s_add_u32 s12, s12, s10
	s_addc_u32 s13, s13, s11
	s_add_u32 s8, s18, s8
	s_addc_u32 s9, s19, s9
	;; [unrolled: 2-line block ×3, first 2 shown]
	s_mul_i32 s8, s5, s4
	s_mov_b32 s9, s1
	s_lshl_b64 s[8:9], s[8:9], 2
	s_add_u32 s10, s12, s8
	s_addc_u32 s11, s13, s9
	s_add_u32 s8, s16, s8
	s_addc_u32 s9, s17, s9
	global_store_dword v43, v41, s[8:9]
	global_store_dword v43, v42, s[10:11]
.LBB1068_19:
	s_or_b64 exec, exec, s[2:3]
	v_lshlrev_b32_e32 v38, 3, v38
	s_and_saveexec_b64 s[2:3], s[6:7]
	s_xor_b64 s[2:3], exec, s[2:3]
	s_cbranch_execz .LBB1068_21
; %bb.20:
	s_mov_b32 s6, 0
	s_mov_b32 s7, s6
	s_waitcnt vmcnt(3)
	v_mad_u32_u24 v4, v1, 40, v38
	v_mov_b64_e32 v[2:3], s[6:7]
	ds_write2st64_b64 v4, v[2:3], v[2:3] offset1:5
                                        ; implicit-def: $vgpr37
                                        ; implicit-def: $vgpr35
                                        ; implicit-def: $vgpr40
                                        ; implicit-def: $vgpr30_vgpr31
                                        ; implicit-def: $vgpr22_vgpr23
                                        ; implicit-def: $vgpr14_vgpr15
                                        ; implicit-def: $vgpr10_vgpr11
                                        ; implicit-def: $vgpr6_vgpr7
                                        ; implicit-def: $vgpr2_vgpr3
                                        ; implicit-def: $vgpr26_vgpr27
                                        ; implicit-def: $vgpr18_vgpr19
                                        ; implicit-def: $vgpr41
                                        ; implicit-def: $vgpr42
                                        ; implicit-def: $vgpr38
.LBB1068_21:
	s_andn2_saveexec_b64 s[2:3], s[2:3]
	s_cbranch_execz .LBB1068_23
; %bb.22:
	v_add_f32_e32 v39, 0x358637bd, v42
	v_div_scale_f32 v42, s[6:7], v39, v39, 1.0
	v_rcp_f32_e32 v43, v42
	v_sub_f32_e32 v40, v40, v41
	v_mul_f32_e32 v40, 0x3fb8aa3b, v40
	v_exp_f32_e32 v40, v40
	v_fma_f32 v41, -v42, v43, 1.0
	v_fmac_f32_e32 v43, v41, v43
	v_div_scale_f32 v41, vcc, 1.0, v39, 1.0
	v_mul_f32_e32 v44, v41, v43
	v_fma_f32 v45, -v42, v44, v41
	v_fmac_f32_e32 v44, v45, v43
	v_fma_f32 v41, -v42, v44, v41
	v_div_fmas_f32 v41, v41, v43, v44
	v_div_fixup_f32 v39, v41, v39, 1.0
	v_mul_f32_e32 v40, v40, v39
	v_pk_mul_f32 v[36:37], v[36:37], v[40:41] op_sel_hi:[1,0]
	v_pk_mul_f32 v[34:35], v[34:35], v[40:41] op_sel_hi:[1,0]
	v_cvt_f16_f32_e32 v36, v36
	v_cvt_f16_f32_e32 v34, v34
	;; [unrolled: 1-line block ×4, first 2 shown]
	s_waitcnt vmcnt(4)
	v_cvt_pk_f32_fp8_sdwa v[40:41], v30 src0_sel:WORD_1
	v_cvt_pk_f32_fp8_e32 v[42:43], v31
	v_pack_b32_f16 v34, v34, v35
	v_pack_b32_f16 v35, v36, v37
	v_cvt_pk_f32_fp8_e32 v[36:37], v30
	v_cvt_pk_f32_fp8_sdwa v[30:31], v31 src0_sel:WORD_1
	s_load_dword s6, s[14:15], 0x0
	v_cvt_pkrtz_f16_f32 v36, v36, v37
	v_cvt_pkrtz_f16_f32 v37, v40, v41
	v_cvt_pkrtz_f16_f32 v41, v30, v31
	v_cvt_pk_f32_fp8_e32 v[30:31], v32
	v_mfma_f32_4x4x4_16b_f16 a[0:3], v[34:35], v[36:37], 0 cbsz:4
	v_cvt_pk_f32_fp8_sdwa v[36:37], v32 src0_sel:WORD_1
	v_cvt_pkrtz_f16_f32 v40, v42, v43
	v_cvt_pkrtz_f16_f32 v30, v30, v31
	;; [unrolled: 1-line block ×3, first 2 shown]
	v_mfma_f32_4x4x4_16b_f16 a[0:3], v[34:35], v[40:41], a[0:3] cbsz:4 abid:1
	v_cvt_pk_f32_fp8_e32 v[40:41], v33
	v_cvt_pk_f32_fp8_sdwa v[32:33], v33 src0_sel:WORD_1
	v_mfma_f32_4x4x4_16b_f16 a[0:3], v[34:35], v[30:31], a[0:3] cbsz:4 abid:2
	v_cvt_pk_f32_fp8_e32 v[30:31], v22
	v_cvt_pkrtz_f16_f32 v36, v40, v41
	v_cvt_pkrtz_f16_f32 v37, v32, v33
	v_cvt_pk_f32_fp8_sdwa v[32:33], v22 src0_sel:WORD_1
	v_cvt_pkrtz_f16_f32 v30, v30, v31
	v_mfma_f32_4x4x4_16b_f16 a[0:3], v[34:35], v[36:37], a[0:3] cbsz:4 abid:3
	v_cvt_pk_f32_fp8_e32 v[36:37], v23
	v_cvt_pk_f32_fp8_sdwa v[22:23], v23 src0_sel:WORD_1
	v_cvt_pkrtz_f16_f32 v31, v32, v33
	v_cvt_pkrtz_f16_f32 v32, v36, v37
	v_cvt_pkrtz_f16_f32 v33, v22, v23
	v_mfma_f32_4x4x4_16b_f16 a[0:3], v[34:35], v[30:31], a[0:3] cbsz:4 abid:4
	v_cvt_pk_f32_fp8_e32 v[22:23], v24
	v_cvt_pk_f32_fp8_sdwa v[30:31], v24 src0_sel:WORD_1
	v_mfma_f32_4x4x4_16b_f16 a[0:3], v[34:35], v[32:33], a[0:3] cbsz:4 abid:5
	v_cvt_pk_f32_fp8_e32 v[32:33], v25
	v_cvt_pk_f32_fp8_sdwa v[24:25], v25 src0_sel:WORD_1
	v_cvt_pkrtz_f16_f32 v22, v22, v23
	v_cvt_pkrtz_f16_f32 v23, v30, v31
	v_cvt_pkrtz_f16_f32 v30, v32, v33
	v_cvt_pkrtz_f16_f32 v31, v24, v25
	v_mfma_f32_4x4x4_16b_f16 a[0:3], v[34:35], v[22:23], a[0:3] cbsz:4 abid:6
	v_cvt_pk_f32_fp8_e32 v[22:23], v14
	v_cvt_pk_f32_fp8_sdwa v[24:25], v14 src0_sel:WORD_1
	v_mfma_f32_4x4x4_16b_f16 a[0:3], v[34:35], v[30:31], a[0:3] cbsz:4 abid:7
	v_cvt_pk_f32_fp8_e32 v[30:31], v15
	v_cvt_pk_f32_fp8_sdwa v[14:15], v15 src0_sel:WORD_1
	v_cvt_pkrtz_f16_f32 v22, v22, v23
	;; [unrolled: 10-line block ×5, first 2 shown]
	v_cvt_pkrtz_f16_f32 v11, v14, v15
	v_cvt_pkrtz_f16_f32 v14, v16, v17
	v_cvt_pkrtz_f16_f32 v15, v12, v13
	v_mfma_f32_4x4x4_16b_f16 a[0:3], v[34:35], v[10:11], a[0:3] cbsz:4 abid:14
	s_waitcnt vmcnt(2)
	v_cvt_pk_f32_fp8_e32 v[16:17], v7
	v_mfma_f32_4x4x4_16b_f16 a[0:3], v[34:35], v[14:15], a[0:3] cbsz:4 abid:15
	v_cvt_pk_f32_fp8_sdwa v[14:15], v6 src0_sel:WORD_1
	s_nop 3
	v_accvgpr_read_b32 v11, a1
	v_accvgpr_read_b32 v10, a0
	s_waitcnt lgkmcnt(0)
	v_pk_mul_f32 v[10:11], v[10:11], s[6:7] op_sel_hi:[1,0]
	s_nop 0
	v_cvt_f16_f32_e32 v12, v10
	v_cvt_f16_f32_e32 v13, v11
	v_accvgpr_read_b32 v11, a3
	v_accvgpr_read_b32 v10, a2
	v_pk_mul_f32 v[10:11], v[10:11], s[6:7] op_sel_hi:[1,0]
	v_pack_b32_f16 v12, v12, v13
	v_cvt_f16_f32_e32 v13, v10
	v_cvt_f16_f32_e32 v22, v11
	v_cvt_pk_f32_fp8_e32 v[10:11], v6
	v_cvt_pk_f32_fp8_sdwa v[6:7], v7 src0_sel:WORD_1
	v_pack_b32_f16 v13, v13, v22
	v_cvt_pkrtz_f16_f32 v10, v10, v11
	v_cvt_pkrtz_f16_f32 v11, v14, v15
	;; [unrolled: 1-line block ×4, first 2 shown]
	v_mfma_f32_4x4x4_16b_f16 a[0:3], v[34:35], v[10:11], 0 cbsz:4
	v_cvt_pk_f32_fp8_e32 v[6:7], v8
	v_cvt_pk_f32_fp8_sdwa v[10:11], v8 src0_sel:WORD_1
	v_mfma_f32_4x4x4_16b_f16 a[0:3], v[34:35], v[14:15], a[0:3] cbsz:4 abid:1
	v_cvt_pk_f32_fp8_e32 v[14:15], v9
	v_cvt_pk_f32_fp8_sdwa v[8:9], v9 src0_sel:WORD_1
	v_cvt_pkrtz_f16_f32 v6, v6, v7
	v_cvt_pkrtz_f16_f32 v7, v10, v11
	v_cvt_pkrtz_f16_f32 v10, v14, v15
	v_cvt_pkrtz_f16_f32 v11, v8, v9
	v_mfma_f32_4x4x4_16b_f16 a[0:3], v[34:35], v[6:7], a[0:3] cbsz:4 abid:2
	v_cvt_pk_f32_fp8_e32 v[6:7], v2
	v_cvt_pk_f32_fp8_sdwa v[8:9], v2 src0_sel:WORD_1
	v_mfma_f32_4x4x4_16b_f16 a[0:3], v[34:35], v[10:11], a[0:3] cbsz:4 abid:3
	v_cvt_pk_f32_fp8_e32 v[10:11], v3
	v_cvt_pk_f32_fp8_sdwa v[2:3], v3 src0_sel:WORD_1
	v_cvt_pkrtz_f16_f32 v6, v6, v7
	v_cvt_pkrtz_f16_f32 v7, v8, v9
	v_cvt_pkrtz_f16_f32 v8, v10, v11
	v_cvt_pkrtz_f16_f32 v9, v2, v3
	v_mfma_f32_4x4x4_16b_f16 a[0:3], v[34:35], v[6:7], a[0:3] cbsz:4 abid:4
	;; [unrolled: 10-line block ×3, first 2 shown]
	s_waitcnt vmcnt(0)
	v_cvt_pk_f32_fp8_e32 v[2:3], v26
	v_cvt_pk_f32_fp8_sdwa v[4:5], v26 src0_sel:WORD_1
	v_mfma_f32_4x4x4_16b_f16 a[0:3], v[34:35], v[6:7], a[0:3] cbsz:4 abid:7
	v_cvt_pk_f32_fp8_e32 v[6:7], v27
	v_cvt_pk_f32_fp8_sdwa v[8:9], v27 src0_sel:WORD_1
	v_cvt_pkrtz_f16_f32 v2, v2, v3
	v_cvt_pkrtz_f16_f32 v3, v4, v5
	;; [unrolled: 1-line block ×4, first 2 shown]
	v_mfma_f32_4x4x4_16b_f16 a[0:3], v[34:35], v[2:3], a[0:3] cbsz:4 abid:8
	v_cvt_pk_f32_fp8_e32 v[2:3], v28
	v_cvt_pk_f32_fp8_e32 v[6:7], v29
	v_mfma_f32_4x4x4_16b_f16 a[0:3], v[34:35], v[4:5], a[0:3] cbsz:4 abid:9
	v_cvt_pk_f32_fp8_sdwa v[4:5], v28 src0_sel:WORD_1
	v_cvt_pk_f32_fp8_sdwa v[8:9], v29 src0_sel:WORD_1
	v_cvt_pkrtz_f16_f32 v2, v2, v3
	v_cvt_pkrtz_f16_f32 v3, v4, v5
	v_cvt_pkrtz_f16_f32 v4, v6, v7
	s_nop 0
	v_mfma_f32_4x4x4_16b_f16 a[0:3], v[34:35], v[2:3], a[0:3] cbsz:4 abid:10
	v_cvt_pkrtz_f16_f32 v5, v8, v9
	v_cvt_pk_f32_fp8_e32 v[2:3], v18
	v_cvt_pk_f32_fp8_e32 v[6:7], v19
	v_mfma_f32_4x4x4_16b_f16 a[0:3], v[34:35], v[4:5], a[0:3] cbsz:4 abid:11
	v_cvt_pk_f32_fp8_sdwa v[4:5], v18 src0_sel:WORD_1
	v_cvt_pk_f32_fp8_sdwa v[8:9], v19 src0_sel:WORD_1
	v_cvt_pkrtz_f16_f32 v2, v2, v3
	v_cvt_pkrtz_f16_f32 v3, v4, v5
	v_cvt_pkrtz_f16_f32 v4, v6, v7
	s_nop 0
	v_mfma_f32_4x4x4_16b_f16 a[0:3], v[34:35], v[2:3], a[0:3] cbsz:4 abid:12
	v_cvt_pkrtz_f16_f32 v5, v8, v9
	;; [unrolled: 11-line block ×3, first 2 shown]
	v_mad_u32_u24 v7, v1, 40, v38
	s_nop 0
	v_mfma_f32_4x4x4_16b_f16 a[0:3], v[34:35], v[4:5], a[0:3] cbsz:4 abid:15
	s_nop 4
	v_accvgpr_read_b32 v5, a1
	v_accvgpr_read_b32 v3, a3
	;; [unrolled: 1-line block ×4, first 2 shown]
	v_pk_mul_f32 v[2:3], v[2:3], s[6:7] op_sel_hi:[1,0]
	v_pk_mul_f32 v[4:5], v[4:5], s[6:7] op_sel_hi:[1,0]
	v_cvt_f16_f32_e32 v6, v2
	v_cvt_f16_f32_e32 v4, v4
	;; [unrolled: 1-line block ×4, first 2 shown]
	v_pack_b32_f16 v2, v4, v5
	v_pack_b32_f16 v3, v6, v3
	ds_write2st64_b64 v7, v[12:13], v[2:3] offset1:5
.LBB1068_23:
	s_or_b64 exec, exec, s[2:3]
	v_cmp_gt_u32_e32 vcc, 64, v0
	s_waitcnt lgkmcnt(0)
	s_barrier
	s_and_saveexec_b64 s[2:3], vcc
	s_cbranch_execz .LBB1068_25
; %bb.24:
	s_waitcnt vmcnt(3)
	v_mov_b32_e32 v2, 0xa00
	v_mad_u32_u24 v2, v1, 40, v2
	s_waitcnt vmcnt(2)
	v_mov_b32_e32 v6, 0xa10
	ds_read2_b64 v[2:5], v2 offset1:1
	s_waitcnt lgkmcnt(0)
	v_mad_u32_u24 v3, v1, 40, v6
	ds_read2_b64 v[6:9], v3 offset1:1
	v_mul_u32_u24_e32 v1, 40, v1
	s_lshl_b32 s0, s0, 7
	v_pk_add_f16 v2, v2, 0
	s_lshl_b64 s[2:3], s[0:1], 1
	v_pk_add_f16 v2, v2, v4
	s_add_u32 s2, s26, s2
	s_waitcnt lgkmcnt(0)
	v_pk_add_f16 v2, v2, v6
	s_addc_u32 s3, s27, s3
	v_pk_add_f16 v10, v2, v8
	ds_read2_b64 v[2:5], v1 offset1:1
	ds_read2_b64 v[6:9], v1 offset0:2 offset1:3
	s_lshl_b32 s0, s24, 7
	s_lshl_b64 s[0:1], s[0:1], 1
	s_add_u32 s0, s2, s0
	s_waitcnt lgkmcnt(1)
	v_pk_add_f16 v2, v2, 0
	s_mul_i32 s4, s4, s5
	v_pk_add_f16 v2, v2, v4
	s_addc_u32 s1, s3, s1
	v_lshl_or_b32 v0, s4, 7, v0
	v_mov_b32_e32 v1, 0
	s_waitcnt lgkmcnt(0)
	v_pk_add_f16 v2, v2, v6
	v_lshl_add_u64 v[0:1], v[0:1], 1, s[0:1]
	v_pk_add_f16 v2, v2, v8
	global_store_short v[0:1], v2, off
	global_store_short v[0:1], v10, off offset:128
.LBB1068_25:
	s_endpgm
	.section	.rodata,"a",@progbits
	.p2align	6, 0x0
	.amdhsa_kernel _Z38paged_attention_ll4mi_QKV_mfma4_kernelIDF16_hLN4vllm18Fp8KVCacheDataTypeE1EDF16_Li32ELi128ELi256ELb0ELi1EEvPKT_PKT0_S7_ifPKiS9_S9_iPKfiiiPfSC_PS2_PT2_iSB_SB_
		.amdhsa_group_segment_fixed_size 5280
		.amdhsa_private_segment_fixed_size 0
		.amdhsa_kernarg_size 400
		.amdhsa_user_sgpr_count 2
		.amdhsa_user_sgpr_dispatch_ptr 0
		.amdhsa_user_sgpr_queue_ptr 0
		.amdhsa_user_sgpr_kernarg_segment_ptr 1
		.amdhsa_user_sgpr_dispatch_id 0
		.amdhsa_user_sgpr_kernarg_preload_length 0
		.amdhsa_user_sgpr_kernarg_preload_offset 0
		.amdhsa_user_sgpr_private_segment_size 0
		.amdhsa_uses_dynamic_stack 0
		.amdhsa_enable_private_segment 0
		.amdhsa_system_sgpr_workgroup_id_x 1
		.amdhsa_system_sgpr_workgroup_id_y 1
		.amdhsa_system_sgpr_workgroup_id_z 1
		.amdhsa_system_sgpr_workgroup_info 0
		.amdhsa_system_vgpr_workitem_id 0
		.amdhsa_next_free_vgpr 112
		.amdhsa_next_free_sgpr 42
		.amdhsa_accum_offset 108
		.amdhsa_reserve_vcc 1
		.amdhsa_float_round_mode_32 0
		.amdhsa_float_round_mode_16_64 0
		.amdhsa_float_denorm_mode_32 3
		.amdhsa_float_denorm_mode_16_64 3
		.amdhsa_dx10_clamp 1
		.amdhsa_ieee_mode 1
		.amdhsa_fp16_overflow 0
		.amdhsa_tg_split 0
		.amdhsa_exception_fp_ieee_invalid_op 0
		.amdhsa_exception_fp_denorm_src 0
		.amdhsa_exception_fp_ieee_div_zero 0
		.amdhsa_exception_fp_ieee_overflow 0
		.amdhsa_exception_fp_ieee_underflow 0
		.amdhsa_exception_fp_ieee_inexact 0
		.amdhsa_exception_int_div_zero 0
	.end_amdhsa_kernel
	.section	.text._Z38paged_attention_ll4mi_QKV_mfma4_kernelIDF16_hLN4vllm18Fp8KVCacheDataTypeE1EDF16_Li32ELi128ELi256ELb0ELi1EEvPKT_PKT0_S7_ifPKiS9_S9_iPKfiiiPfSC_PS2_PT2_iSB_SB_,"axG",@progbits,_Z38paged_attention_ll4mi_QKV_mfma4_kernelIDF16_hLN4vllm18Fp8KVCacheDataTypeE1EDF16_Li32ELi128ELi256ELb0ELi1EEvPKT_PKT0_S7_ifPKiS9_S9_iPKfiiiPfSC_PS2_PT2_iSB_SB_,comdat
.Lfunc_end1068:
	.size	_Z38paged_attention_ll4mi_QKV_mfma4_kernelIDF16_hLN4vllm18Fp8KVCacheDataTypeE1EDF16_Li32ELi128ELi256ELb0ELi1EEvPKT_PKT0_S7_ifPKiS9_S9_iPKfiiiPfSC_PS2_PT2_iSB_SB_, .Lfunc_end1068-_Z38paged_attention_ll4mi_QKV_mfma4_kernelIDF16_hLN4vllm18Fp8KVCacheDataTypeE1EDF16_Li32ELi128ELi256ELb0ELi1EEvPKT_PKT0_S7_ifPKiS9_S9_iPKfiiiPfSC_PS2_PT2_iSB_SB_
                                        ; -- End function
	.section	.AMDGPU.csdata,"",@progbits
; Kernel info:
; codeLenInByte = 5116
; NumSgprs: 48
; NumVgprs: 108
; NumAgprs: 4
; TotalNumVgprs: 112
; ScratchSize: 0
; MemoryBound: 0
; FloatMode: 240
; IeeeMode: 1
; LDSByteSize: 5280 bytes/workgroup (compile time only)
; SGPRBlocks: 5
; VGPRBlocks: 13
; NumSGPRsForWavesPerEU: 48
; NumVGPRsForWavesPerEU: 112
; AccumOffset: 108
; Occupancy: 4
; WaveLimiterHint : 1
; COMPUTE_PGM_RSRC2:SCRATCH_EN: 0
; COMPUTE_PGM_RSRC2:USER_SGPR: 2
; COMPUTE_PGM_RSRC2:TRAP_HANDLER: 0
; COMPUTE_PGM_RSRC2:TGID_X_EN: 1
; COMPUTE_PGM_RSRC2:TGID_Y_EN: 1
; COMPUTE_PGM_RSRC2:TGID_Z_EN: 1
; COMPUTE_PGM_RSRC2:TIDIG_COMP_CNT: 0
; COMPUTE_PGM_RSRC3_GFX90A:ACCUM_OFFSET: 26
; COMPUTE_PGM_RSRC3_GFX90A:TG_SPLIT: 0
	.section	.text._Z38paged_attention_ll4mi_QKV_mfma4_kernelIDF16_hLN4vllm18Fp8KVCacheDataTypeE1EDF16_Li32ELi128ELi256ELb0ELi2EEvPKT_PKT0_S7_ifPKiS9_S9_iPKfiiiPfSC_PS2_PT2_iSB_SB_,"axG",@progbits,_Z38paged_attention_ll4mi_QKV_mfma4_kernelIDF16_hLN4vllm18Fp8KVCacheDataTypeE1EDF16_Li32ELi128ELi256ELb0ELi2EEvPKT_PKT0_S7_ifPKiS9_S9_iPKfiiiPfSC_PS2_PT2_iSB_SB_,comdat
	.protected	_Z38paged_attention_ll4mi_QKV_mfma4_kernelIDF16_hLN4vllm18Fp8KVCacheDataTypeE1EDF16_Li32ELi128ELi256ELb0ELi2EEvPKT_PKT0_S7_ifPKiS9_S9_iPKfiiiPfSC_PS2_PT2_iSB_SB_ ; -- Begin function _Z38paged_attention_ll4mi_QKV_mfma4_kernelIDF16_hLN4vllm18Fp8KVCacheDataTypeE1EDF16_Li32ELi128ELi256ELb0ELi2EEvPKT_PKT0_S7_ifPKiS9_S9_iPKfiiiPfSC_PS2_PT2_iSB_SB_
	.globl	_Z38paged_attention_ll4mi_QKV_mfma4_kernelIDF16_hLN4vllm18Fp8KVCacheDataTypeE1EDF16_Li32ELi128ELi256ELb0ELi2EEvPKT_PKT0_S7_ifPKiS9_S9_iPKfiiiPfSC_PS2_PT2_iSB_SB_
	.p2align	8
	.type	_Z38paged_attention_ll4mi_QKV_mfma4_kernelIDF16_hLN4vllm18Fp8KVCacheDataTypeE1EDF16_Li32ELi128ELi256ELb0ELi2EEvPKT_PKT0_S7_ifPKiS9_S9_iPKfiiiPfSC_PS2_PT2_iSB_SB_,@function
_Z38paged_attention_ll4mi_QKV_mfma4_kernelIDF16_hLN4vllm18Fp8KVCacheDataTypeE1EDF16_Li32ELi128ELi256ELb0ELi2EEvPKT_PKT0_S7_ifPKiS9_S9_iPKfiiiPfSC_PS2_PT2_iSB_SB_: ; @_Z38paged_attention_ll4mi_QKV_mfma4_kernelIDF16_hLN4vllm18Fp8KVCacheDataTypeE1EDF16_Li32ELi128ELi256ELb0ELi2EEvPKT_PKT0_S7_ifPKiS9_S9_iPKfiiiPfSC_PS2_PT2_iSB_SB_
; %bb.0:
	s_load_dwordx2 s[20:21], s[0:1], 0x30
	s_mov_b32 s24, s3
	s_mov_b64 s[6:7], 0
	s_waitcnt lgkmcnt(0)
	s_cmp_lg_u64 s[20:21], 0
	s_cselect_b64 s[22:23], -1, 0
	s_and_b64 vcc, exec, s[22:23]
	s_cbranch_vccz .LBB1069_10
; %bb.1:
	s_add_i32 s8, s2, 1
	s_mov_b32 s9, 0
	s_lshl_b64 s[10:11], s[8:9], 2
	s_add_u32 s10, s20, s10
	s_mov_b32 s3, s9
	s_addc_u32 s11, s21, s11
	s_lshl_b64 s[8:9], s[2:3], 2
	s_add_u32 s8, s20, s8
	s_addc_u32 s9, s21, s9
	s_load_dword s5, s[10:11], 0x0
	s_load_dword s12, s[8:9], 0x0
	s_waitcnt lgkmcnt(0)
	s_sub_i32 s5, s5, s12
	s_cmp_eq_u32 s5, 1
	s_cselect_b64 s[8:9], -1, 0
	s_andn2_b64 vcc, exec, s[6:7]
	s_cbranch_vccnz .LBB1069_3
.LBB1069_2:
	s_mov_b32 s3, 0
	s_mov_b64 s[8:9], -1
.LBB1069_3:
	s_andn2_b64 vcc, exec, s[8:9]
	s_cbranch_vccnz .LBB1069_25
; %bb.4:
	s_load_dword s5, s[0:1], 0x9c
	s_load_dwordx2 s[6:7], s[0:1], 0x28
	s_add_u32 s28, s0, 0x90
	s_addc_u32 s29, s1, 0
	s_lshl_b64 s[34:35], s[2:3], 2
	s_waitcnt lgkmcnt(0)
	s_and_b32 s5, s5, 0xffff
	s_add_u32 s6, s6, s34
	s_addc_u32 s7, s7, s35
	s_load_dword s3, s[6:7], 0x0
	s_mul_i32 s10, s24, s5
	s_waitcnt lgkmcnt(0)
	s_cmp_ge_i32 s10, s3
	s_cbranch_scc1 .LBB1069_25
; %bb.5:
	v_and_b32_e32 v1, 0xc0, v0
	v_add_u32_e32 v4, s10, v1
	v_lshrrev_b32_e32 v38, 6, v0
	v_cmp_le_i32_e64 s[6:7], s3, v4
                                        ; implicit-def: $sgpr25
                                        ; implicit-def: $sgpr11
	s_and_saveexec_b64 s[8:9], s[6:7]
	s_xor_b64 s[8:9], exec, s[8:9]
	s_cbranch_execz .LBB1069_7
; %bb.6:
	v_mul_u32_u24_e32 v1, 20, v38
	v_or_b32_e32 v1, 0x1400, v1
	v_mov_b32_e32 v2, 0x1450
	v_mov_b32_e32 v3, 0xff7fffff
	v_mad_u32_u24 v2, v38, 20, v2
	ds_write2_b32 v1, v3, v3 offset1:1
	v_mov_b32_e32 v1, 0
	ds_write2_b32 v2, v1, v1 offset1:1
	v_mov_b32_e32 v2, 0x1408
	v_mov_b32_e32 v4, 0x1458
	s_mov_b32 s11, 0xff7fffff
	s_mov_b32 s25, 0
	v_mad_u32_u24 v2, v38, 20, v2
	v_mad_u32_u24 v4, v38, 20, v4
	ds_write2_b32 v2, v3, v3 offset1:1
	ds_write2_b32 v4, v1, v1 offset1:1
                                        ; implicit-def: $vgpr4
.LBB1069_7:
	s_or_saveexec_b64 s[30:31], s[8:9]
	s_load_dwordx2 s[26:27], s[0:1], 0x68
	s_load_dwordx4 s[16:19], s[0:1], 0x58
	s_load_dword s5, s[28:29], 0x4
	s_load_dwordx4 s[12:15], s[0:1], 0x80
	v_and_b32_e32 v1, 63, v0
	v_and_b32_e32 v39, 3, v0
	v_mov_b32_e32 v37, s25
	v_mov_b32_e32 v40, s11
	;; [unrolled: 1-line block ×5, first 2 shown]
                                        ; implicit-def: $vgpr30_vgpr31
                                        ; implicit-def: $vgpr26_vgpr27
                                        ; implicit-def: $vgpr22_vgpr23
                                        ; implicit-def: $vgpr18_vgpr19
                                        ; implicit-def: $vgpr14_vgpr15
                                        ; implicit-def: $vgpr6_vgpr7
                                        ; implicit-def: $vgpr10_vgpr11
                                        ; implicit-def: $vgpr2_vgpr3
	s_xor_b64 exec, exec, s[30:31]
	s_cbranch_execz .LBB1069_17
; %bb.8:
	s_load_dwordx2 s[8:9], s[0:1], 0x20
	s_load_dword s11, s[0:1], 0x38
	s_add_i32 s25, s3, 31
	s_ashr_i32 s33, s25, 31
	s_lshr_b32 s33, s33, 27
	v_add_u32_e32 v40, s10, v0
	s_add_i32 s25, s25, s33
	v_ashrrev_i32_e32 v2, 31, v40
	s_ashr_i32 s25, s25, 5
	v_lshrrev_b32_e32 v2, 27, v2
	s_add_i32 s25, s25, -1
	s_waitcnt lgkmcnt(0)
	s_mul_i32 s36, s2, s11
	s_mov_b32 s37, 0
	v_add_u32_e32 v2, v40, v2
	s_lshl_b64 s[36:37], s[36:37], 2
	v_ashrrev_i32_e32 v2, 5, v2
	v_mov_b32_e32 v3, s25
	v_cmp_gt_i32_e32 vcc, s3, v40
	s_add_u32 s8, s8, s36
	s_addc_u32 s9, s9, s37
	v_cndmask_b32_e32 v2, v3, v2, vcc
	v_ashrrev_i32_e32 v3, 31, v2
	v_lshl_add_u64 v[6:7], v[2:3], 2, s[8:9]
	v_ashrrev_i32_e32 v2, 31, v4
	v_lshrrev_b32_e32 v2, 27, v2
	v_add_u32_e32 v2, v4, v2
	v_ashrrev_i32_e32 v8, 5, v2
	v_min_i32_e32 v2, s25, v8
	v_ashrrev_i32_e32 v3, 31, v2
	v_lshl_add_u64 v[4:5], v[2:3], 2, s[8:9]
	v_add_u32_e32 v2, 1, v8
	v_min_i32_e32 v2, s25, v2
	v_ashrrev_i32_e32 v3, 31, v2
	v_lshl_add_u64 v[8:9], v[2:3], 2, s[8:9]
	global_load_dword v2, v[6:7], off
	global_load_dword v22, v[4:5], off
	;; [unrolled: 1-line block ×3, first 2 shown]
	s_load_dwordx4 s[8:11], s[0:1], 0x8
	s_andn2_b64 vcc, exec, s[22:23]
	s_cbranch_vccnz .LBB1069_11
; %bb.9:
	s_add_u32 s20, s20, s34
	s_addc_u32 s21, s21, s35
	s_load_dword s25, s[20:21], 0x0
	s_branch .LBB1069_12
.LBB1069_10:
	s_mov_b64 s[8:9], 0
	s_branch .LBB1069_2
.LBB1069_11:
	s_mov_b32 s25, s2
.LBB1069_12:
	s_load_dwordx4 s[20:23], s[0:1], 0x48
	v_cmp_gt_u32_e32 vcc, 2, v39
	s_mov_b32 s37, 0
	v_mov_b32_e32 v19, 0
	v_mov_b32_e32 v34, 0
	;; [unrolled: 1-line block ×5, first 2 shown]
	s_and_saveexec_b64 s[34:35], vcc
	s_cbranch_execz .LBB1069_14
; %bb.13:
	s_load_dwordx2 s[38:39], s[0:1], 0x0
	s_waitcnt lgkmcnt(0)
	s_ashr_i32 s23, s20, 31
	s_mul_hi_u32 s33, s25, s20
	s_mul_i32 s23, s25, s23
	s_add_i32 s41, s33, s23
	s_mul_i32 s40, s25, s20
	s_lshl_b64 s[40:41], s[40:41], 1
	s_add_u32 s20, s38, s40
	s_addc_u32 s23, s39, s41
	s_lshl_b32 s36, s4, 8
	s_lshl_b64 s[36:37], s[36:37], 1
	v_lshlrev_b32_e32 v3, 2, v1
	s_add_u32 s36, s20, s36
	v_and_b32_e32 v3, 0xf0, v3
	s_addc_u32 s37, s23, s37
	v_lshl_or_b32 v3, v39, 8, v3
	global_load_dwordx4 v[34:37], v3, s[36:37]
.LBB1069_14:
	s_or_b64 exec, exec, s[34:35]
	s_waitcnt lgkmcnt(0)
	s_mul_i32 s20, s4, s22
	s_add_u32 s8, s20, s8
	s_addc_u32 s9, 0, s9
	v_mov_b64_e32 v[4:5], s[8:9]
	s_waitcnt vmcnt(2)
	v_mad_i64_i32 v[2:3], s[8:9], v2, s21, v[4:5]
	v_lshlrev_b32_e32 v4, 4, v0
	v_and_b32_e32 v18, 0x1f0, v4
	v_lshl_add_u64 v[20:21], v[2:3], 0, v[18:19]
	global_load_dwordx4 v[14:17], v[20:21], off
	global_load_dwordx4 v[10:13], v[20:21], off offset:512
	global_load_dwordx4 v[6:9], v[20:21], off offset:1024
	;; [unrolled: 1-line block ×7, first 2 shown]
	s_waitcnt vmcnt(9)
	v_mul_hi_i32 v18, v22, s21
	s_waitcnt vmcnt(8)
	v_mul_hi_i32 v24, v23, s21
	v_ashrrev_i32_e32 v18, 31, v18
	v_ashrrev_i32_e32 v24, 31, v24
	v_mov_b32_e32 v25, v19
	v_lshrrev_b32_e32 v24, 29, v24
	s_add_u32 s8, s10, s20
	v_lshrrev_b32_e32 v18, 29, v18
	v_mad_i64_i32 v[24:25], s[22:23], v23, s21, v[24:25]
	s_addc_u32 s9, s11, 0
	v_mad_i64_i32 v[22:23], s[10:11], v22, s21, v[18:19]
	v_and_b32_e32 v24, -8, v24
	v_and_b32_e32 v22, -8, v22
	v_lshl_add_u64 v[24:25], s[8:9], 0, v[24:25]
	v_lshlrev_b32_e32 v18, 5, v1
	v_lshl_add_u64 v[22:23], s[8:9], 0, v[22:23]
	v_lshl_add_u64 v[58:59], v[24:25], 0, v[18:19]
	v_lshl_add_u64 v[60:61], v[22:23], 0, v[18:19]
	s_load_dword s0, s[0:1], 0x1c
	v_cmp_eq_u32_e32 vcc, 0, v39
	v_mov_b32_e32 v41, 0xff7fffff
	s_waitcnt vmcnt(7)
	v_cvt_pk_f32_fp8_e32 v[18:19], v14
	v_cvt_pk_f32_fp8_sdwa v[22:23], v14 src0_sel:WORD_1
	v_cvt_pk_f32_fp8_e32 v[24:25], v15
	v_cvt_pk_f32_fp8_sdwa v[14:15], v15 src0_sel:WORD_1
	;; [unrolled: 2-line block ×3, first 2 shown]
	s_waitcnt vmcnt(5)
	v_cvt_pk_f32_fp8_e32 v[72:73], v6
	v_cvt_pk_f32_fp8_sdwa v[74:75], v6 src0_sel:WORD_1
	v_cvt_pk_f32_fp8_e32 v[76:77], v7
	v_cvt_pk_f32_fp8_sdwa v[78:79], v7 src0_sel:WORD_1
	v_cvt_pkrtz_f16_f32 v6, v18, v19
	v_cvt_pkrtz_f16_f32 v7, v22, v23
	v_cvt_pk_f32_fp8_e32 v[30:31], v17
	v_cvt_pk_f32_fp8_sdwa v[16:17], v17 src0_sel:WORD_1
	v_mfma_f32_4x4x4_16b_f16 a[0:3], v[34:35], v[6:7], 0 cbsz:4
	v_cvt_pk_f32_fp8_e32 v[80:81], v8
	v_cvt_pk_f32_fp8_sdwa v[82:83], v8 src0_sel:WORD_1
	v_cvt_pk_f32_fp8_e32 v[84:85], v9
	v_cvt_pk_f32_fp8_sdwa v[86:87], v9 src0_sel:WORD_1
	v_cvt_pkrtz_f16_f32 v8, v24, v25
	v_cvt_pkrtz_f16_f32 v9, v14, v15
	v_cvt_pk_f32_fp8_e32 v[32:33], v10
	v_cvt_pk_f32_fp8_sdwa v[62:63], v10 src0_sel:WORD_1
	v_mfma_f32_4x4x4_16b_f16 a[0:3], v[36:37], v[8:9], a[0:3] cbsz:4
	v_cvt_pkrtz_f16_f32 v14, v26, v27
	v_cvt_pkrtz_f16_f32 v15, v28, v29
	v_cvt_pk_f32_fp8_e32 v[64:65], v11
	v_cvt_pk_f32_fp8_sdwa v[10:11], v11 src0_sel:WORD_1
	v_mfma_f32_4x4x4_16b_f16 a[0:3], v[34:35], v[14:15], a[0:3] cbsz:4 abid:1
	v_cvt_pkrtz_f16_f32 v100, v30, v31
	v_cvt_pkrtz_f16_f32 v101, v16, v17
	v_cvt_pk_f32_fp8_e32 v[66:67], v12
	v_cvt_pk_f32_fp8_sdwa v[68:69], v12 src0_sel:WORD_1
	v_mfma_f32_4x4x4_16b_f16 a[0:3], v[36:37], v[100:101], a[0:3] cbsz:4 abid:1
	;; [unrolled: 5-line block ×3, first 2 shown]
	v_cvt_pkrtz_f16_f32 v62, v64, v65
	v_cvt_pkrtz_f16_f32 v63, v10, v11
	;; [unrolled: 1-line block ×4, first 2 shown]
	v_mfma_f32_4x4x4_16b_f16 a[0:3], v[36:37], v[62:63], a[0:3] cbsz:4 abid:2
	v_cvt_pkrtz_f16_f32 v64, v70, v71
	v_cvt_pkrtz_f16_f32 v65, v12, v13
	v_mfma_f32_4x4x4_16b_f16 a[0:3], v[34:35], v[10:11], a[0:3] cbsz:4 abid:3
	v_cvt_pkrtz_f16_f32 v12, v72, v73
	v_cvt_pkrtz_f16_f32 v13, v74, v75
	v_mfma_f32_4x4x4_16b_f16 a[0:3], v[36:37], v[64:65], a[0:3] cbsz:4 abid:3
	global_load_dwordx4 v[18:21], v[58:59], off offset:16
	global_load_dwordx4 v[22:25], v[58:59], off
	v_mfma_f32_4x4x4_16b_f16 a[0:3], v[34:35], v[12:13], a[0:3] cbsz:4 abid:4
	global_load_dwordx4 v[26:29], v[60:61], off offset:16
	global_load_dwordx4 v[30:33], v[60:61], off
	global_load_dwordx4 v[6:9], v[60:61], off offset:2064
	global_load_dwordx4 v[14:17], v[60:61], off offset:2048
	v_cvt_pkrtz_f16_f32 v60, v76, v77
	v_cvt_pkrtz_f16_f32 v61, v78, v79
	s_waitcnt vmcnt(10)
	v_cvt_pk_f32_fp8_e32 v[88:89], v2
	v_cvt_pk_f32_fp8_sdwa v[90:91], v2 src0_sel:WORD_1
	v_mfma_f32_4x4x4_16b_f16 a[0:3], v[36:37], v[60:61], a[0:3] cbsz:4 abid:4
	v_cvt_pkrtz_f16_f32 v62, v80, v81
	v_cvt_pkrtz_f16_f32 v63, v82, v83
	v_cvt_pk_f32_fp8_e32 v[92:93], v3
	v_cvt_pk_f32_fp8_sdwa v[2:3], v3 src0_sel:WORD_1
	v_mfma_f32_4x4x4_16b_f16 a[0:3], v[34:35], v[62:63], a[0:3] cbsz:4 abid:5
	v_cvt_pkrtz_f16_f32 v10, v84, v85
	v_cvt_pkrtz_f16_f32 v11, v86, v87
	;; [unrolled: 5-line block ×4, first 2 shown]
	v_cvt_pkrtz_f16_f32 v2, v94, v95
	v_cvt_pkrtz_f16_f32 v3, v96, v97
	v_mfma_f32_4x4x4_16b_f16 a[0:3], v[36:37], v[10:11], a[0:3] cbsz:4 abid:6
	v_cvt_pkrtz_f16_f32 v11, v4, v5
	s_waitcnt vmcnt(9)
	v_cvt_pk_f32_fp8_sdwa v[4:5], v42 src0_sel:WORD_1
	v_mfma_f32_4x4x4_16b_f16 a[0:3], v[34:35], v[2:3], a[0:3] cbsz:4 abid:7
	v_cvt_pk_f32_fp8_e32 v[2:3], v42
	v_cvt_pkrtz_f16_f32 v10, v98, v99
	v_cvt_pk_f32_fp8_sdwa v[12:13], v43 src0_sel:WORD_1
	v_cvt_pk_f32_fp8_sdwa v[60:61], v44 src0_sel:WORD_1
	v_mfma_f32_4x4x4_16b_f16 a[0:3], v[36:37], v[10:11], a[0:3] cbsz:4 abid:7
	v_cvt_pk_f32_fp8_e32 v[10:11], v43
	v_cvt_pkrtz_f16_f32 v2, v2, v3
	v_cvt_pkrtz_f16_f32 v3, v4, v5
	v_cvt_pk_f32_fp8_e32 v[42:43], v44
	v_cvt_pk_f32_fp8_e32 v[62:63], v45
	v_mfma_f32_4x4x4_16b_f16 a[0:3], v[34:35], v[2:3], a[0:3] cbsz:4 abid:8
	v_cvt_pk_f32_fp8_sdwa v[44:45], v45 src0_sel:WORD_1
	v_cvt_pkrtz_f16_f32 v4, v10, v11
	v_cvt_pkrtz_f16_f32 v5, v12, v13
	v_cvt_pkrtz_f16_f32 v42, v42, v43
	v_cvt_pkrtz_f16_f32 v43, v60, v61
	v_mfma_f32_4x4x4_16b_f16 a[0:3], v[36:37], v[4:5], a[0:3] cbsz:4 abid:8
	global_load_dwordx4 v[2:5], v[58:59], off offset:2064
	global_load_dwordx4 v[10:13], v[58:59], off offset:2048
	v_cvt_pkrtz_f16_f32 v59, v44, v45
	v_mfma_f32_4x4x4_16b_f16 a[0:3], v[34:35], v[42:43], a[0:3] cbsz:4 abid:9
	s_waitcnt vmcnt(10)
	v_cvt_pk_f32_fp8_e32 v[42:43], v46
	v_cvt_pk_f32_fp8_sdwa v[44:45], v46 src0_sel:WORD_1
	v_cvt_pkrtz_f16_f32 v58, v62, v63
	s_load_dword s1, s[12:13], 0x0
	v_cvt_pkrtz_f16_f32 v42, v42, v43
	v_mfma_f32_4x4x4_16b_f16 a[0:3], v[36:37], v[58:59], a[0:3] cbsz:4 abid:9
	v_cvt_pk_f32_fp8_e32 v[58:59], v47
	v_cvt_pk_f32_fp8_sdwa v[46:47], v47 src0_sel:WORD_1
	v_cvt_pkrtz_f16_f32 v43, v44, v45
	v_cvt_pkrtz_f16_f32 v44, v58, v59
	s_nop 0
	v_mfma_f32_4x4x4_16b_f16 a[0:3], v[34:35], v[42:43], a[0:3] cbsz:4 abid:10
	v_cvt_pkrtz_f16_f32 v45, v46, v47
	v_cvt_pk_f32_fp8_e32 v[42:43], v48
	v_cvt_pk_f32_fp8_e32 v[46:47], v49
	v_mfma_f32_4x4x4_16b_f16 a[0:3], v[36:37], v[44:45], a[0:3] cbsz:4 abid:10
	v_cvt_pk_f32_fp8_sdwa v[44:45], v48 src0_sel:WORD_1
	v_cvt_pk_f32_fp8_sdwa v[48:49], v49 src0_sel:WORD_1
	v_cvt_pkrtz_f16_f32 v42, v42, v43
	v_cvt_pkrtz_f16_f32 v43, v44, v45
	;; [unrolled: 1-line block ×3, first 2 shown]
	s_nop 0
	v_mfma_f32_4x4x4_16b_f16 a[0:3], v[34:35], v[42:43], a[0:3] cbsz:4 abid:11
	v_cvt_pkrtz_f16_f32 v45, v48, v49
	s_waitcnt vmcnt(9)
	v_cvt_pk_f32_fp8_e32 v[42:43], v50
	v_cvt_pk_f32_fp8_e32 v[46:47], v51
	v_mfma_f32_4x4x4_16b_f16 a[0:3], v[36:37], v[44:45], a[0:3] cbsz:4 abid:11
	v_cvt_pk_f32_fp8_sdwa v[44:45], v50 src0_sel:WORD_1
	v_cvt_pk_f32_fp8_sdwa v[48:49], v51 src0_sel:WORD_1
	v_cvt_pkrtz_f16_f32 v42, v42, v43
	v_cvt_pkrtz_f16_f32 v43, v44, v45
	;; [unrolled: 1-line block ×3, first 2 shown]
	s_nop 0
	v_mfma_f32_4x4x4_16b_f16 a[0:3], v[34:35], v[42:43], a[0:3] cbsz:4 abid:12
	v_cvt_pkrtz_f16_f32 v45, v48, v49
	v_cvt_pk_f32_fp8_e32 v[42:43], v52
	v_cvt_pk_f32_fp8_e32 v[46:47], v53
	v_mfma_f32_4x4x4_16b_f16 a[0:3], v[36:37], v[44:45], a[0:3] cbsz:4 abid:12
	v_cvt_pk_f32_fp8_sdwa v[44:45], v52 src0_sel:WORD_1
	v_cvt_pk_f32_fp8_sdwa v[48:49], v53 src0_sel:WORD_1
	v_cvt_pkrtz_f16_f32 v42, v42, v43
	v_cvt_pkrtz_f16_f32 v43, v44, v45
	;; [unrolled: 1-line block ×3, first 2 shown]
	s_nop 0
	v_mfma_f32_4x4x4_16b_f16 a[0:3], v[34:35], v[42:43], a[0:3] cbsz:4 abid:13
	v_cvt_pkrtz_f16_f32 v45, v48, v49
	s_waitcnt vmcnt(8)
	v_cvt_pk_f32_fp8_e32 v[42:43], v54
	v_cvt_pk_f32_fp8_e32 v[46:47], v55
	v_mfma_f32_4x4x4_16b_f16 a[0:3], v[36:37], v[44:45], a[0:3] cbsz:4 abid:13
	v_cvt_pk_f32_fp8_sdwa v[44:45], v54 src0_sel:WORD_1
	v_cvt_pk_f32_fp8_sdwa v[48:49], v55 src0_sel:WORD_1
	v_cvt_pkrtz_f16_f32 v42, v42, v43
	v_cvt_pkrtz_f16_f32 v43, v44, v45
	;; [unrolled: 1-line block ×3, first 2 shown]
	s_nop 0
	v_mfma_f32_4x4x4_16b_f16 a[0:3], v[34:35], v[42:43], a[0:3] cbsz:4 abid:14
	v_cvt_pkrtz_f16_f32 v45, v48, v49
	v_cvt_pk_f32_fp8_e32 v[42:43], v56
	v_cvt_pk_f32_fp8_e32 v[46:47], v57
	v_mfma_f32_4x4x4_16b_f16 a[0:3], v[36:37], v[44:45], a[0:3] cbsz:4 abid:14
	v_cvt_pk_f32_fp8_sdwa v[44:45], v56 src0_sel:WORD_1
	v_cvt_pk_f32_fp8_sdwa v[48:49], v57 src0_sel:WORD_1
	v_cvt_pkrtz_f16_f32 v42, v42, v43
	v_cvt_pkrtz_f16_f32 v43, v44, v45
	;; [unrolled: 1-line block ×3, first 2 shown]
	s_nop 0
	v_mfma_f32_4x4x4_16b_f16 a[0:3], v[34:35], v[42:43], a[0:3] cbsz:4 abid:15
	v_cvt_pkrtz_f16_f32 v45, v48, v49
	s_waitcnt lgkmcnt(0)
	v_mov_b32_e32 v34, s0
	v_mfma_f32_4x4x4_16b_f16 a[0:3], v[36:37], v[44:45], a[0:3] cbsz:4 abid:15
	v_mul_f32_e32 v36, s1, v34
	s_nop 3
	v_accvgpr_read_b32 v43, a1
	v_accvgpr_read_b32 v42, a0
	v_pk_mul_f32 v[42:43], v[42:43], v[36:37] op_sel_hi:[1,0]
	v_accvgpr_read_b32 v35, a3
	v_accvgpr_read_b32 v34, a2
	v_pk_mul_f32 v[34:35], v[34:35], v[36:37] op_sel_hi:[1,0]
	v_cndmask_b32_e64 v36, 0, 1.0, vcc
	v_cmp_eq_u32_e32 vcc, 1, v39
	s_nop 0
	v_mfma_f32_4x4x1_16b_f32 a[0:3], v42, v36, 0
	v_cndmask_b32_e64 v36, 0, 1.0, vcc
	v_cmp_eq_u32_e32 vcc, 2, v39
	s_nop 0
	v_mfma_f32_4x4x1_16b_f32 a[0:3], v43, v36, a[0:3]
	;; [unrolled: 4-line block ×3, first 2 shown]
	v_cndmask_b32_e64 v34, 0, 1.0, vcc
	s_nop 1
	v_mfma_f32_4x4x1_16b_f32 a[0:3], v35, v34, a[0:3]
	v_and_b32_e32 v34, -4, v40
	v_cmp_gt_i32_e32 vcc, s3, v34
	v_lshlrev_b32_e32 v35, 2, v0
	v_and_or_b32 v35, v35, 48, v39
	v_accvgpr_read_b32 v36, a0
	v_max_f32_e32 v37, v36, v36
	v_max_f32_e32 v37, 0xff7fffff, v37
	v_accvgpr_read_b32 v42, a1
	v_cndmask_b32_e32 v37, v41, v37, vcc
	v_or_b32_e32 v41, 1, v34
	v_max_f32_e32 v43, v42, v42
	v_max_f32_e32 v43, v37, v43
	v_cmp_gt_i32_e64 s[0:1], s3, v41
	v_accvgpr_read_b32 v41, a2
	v_or_b32_e32 v34, 2, v34
	v_cndmask_b32_e64 v37, v37, v43, s[0:1]
	v_max_f32_e32 v43, v41, v41
	v_max_f32_e32 v43, v37, v43
	v_cmp_gt_i32_e64 s[8:9], s3, v34
	v_lshlrev_b32_e32 v44, 2, v35
	s_nop 0
	v_cndmask_b32_e64 v34, v37, v43, s[8:9]
	v_accvgpr_read_b32 v43, a3
	v_or_b32_e32 v37, 3, v40
	v_max_f32_e32 v40, v43, v43
	v_max_f32_e32 v40, v34, v40
	v_cmp_gt_i32_e64 s[10:11], s3, v37
	s_nop 1
	v_cndmask_b32_e64 v34, v34, v40, s[10:11]
	;;#ASMSTART
	v_nop
 v_nop
 v_max_f32_dpp v34, v34, v34 row_ror:4
	;;#ASMEND
	s_nop 0
	;;#ASMSTART
	v_nop
 v_nop
 v_max_f32_dpp v34, v34, v34 row_ror:8
	;;#ASMEND
	ds_bpermute_b32 v34, v44, v34
	s_waitcnt lgkmcnt(0)
	;;#ASMSTART
	v_nop
 v_nop
 v_max_f32_dpp v34, v34, v34 row_ror:4
	;;#ASMEND
	s_nop 0
	;;#ASMSTART
	v_nop
 v_nop
 v_max_f32_dpp v40, v34, v34 row_ror:8
	;;#ASMEND
	s_nop 0
	v_sub_f32_e32 v34, v36, v40
	v_mul_f32_e32 v34, 0x3fb8aa3b, v34
	v_sub_f32_e32 v35, v42, v40
	v_exp_f32_e32 v34, v34
	v_mul_f32_e32 v35, 0x3fb8aa3b, v35
	v_sub_f32_e32 v37, v41, v40
	v_exp_f32_e32 v35, v35
	;; [unrolled: 3-line block ×3, first 2 shown]
	v_mul_f32_e32 v41, 0x3fb8aa3b, v41
	v_exp_f32_e32 v41, v41
	v_cndmask_b32_e32 v34, 0, v34, vcc
	v_add_f32_e32 v36, 0, v34
	v_cndmask_b32_e64 v35, 0, v35, s[0:1]
	v_add_f32_e32 v42, v36, v35
	v_cndmask_b32_e64 v36, 0, v37, s[8:9]
	;; [unrolled: 2-line block ×3, first 2 shown]
	v_add_f32_e32 v41, v42, v37
	;;#ASMSTART
	v_nop
 v_nop
 v_add_f32_dpp v41, v41, v41 row_ror:4
	;;#ASMEND
	v_cmp_gt_u32_e32 vcc, 4, v1
	;;#ASMSTART
	v_nop
 v_nop
 v_add_f32_dpp v41, v41, v41 row_ror:8
	;;#ASMEND
	ds_bpermute_b32 v41, v44, v41
	s_waitcnt lgkmcnt(0)
	;;#ASMSTART
	v_nop
 v_nop
 v_add_f32_dpp v41, v41, v41 row_ror:4
	;;#ASMEND
	s_nop 0
	;;#ASMSTART
	v_nop
 v_nop
 v_add_f32_dpp v41, v41, v41 row_ror:8
	;;#ASMEND
	s_and_saveexec_b64 s[0:1], vcc
	s_cbranch_execz .LBB1069_16
; %bb.15:
	v_mul_u32_u24_e32 v42, 20, v38
	v_lshl_add_u32 v42, v39, 2, v42
	v_add_u32_e32 v42, 0x1400, v42
	ds_write2_b32 v42, v40, v41 offset1:20
.LBB1069_16:
	s_or_b64 exec, exec, s[0:1]
.LBB1069_17:
	s_or_b64 exec, exec, s[30:31]
	s_waitcnt lgkmcnt(0)
	s_barrier
	s_load_dword s0, s[28:29], 0x8
	v_lshlrev_b32_e32 v41, 2, v39
	v_add_u32_e32 v48, 0x1400, v41
	ds_read2_b32 v[42:43], v48 offset1:5
	ds_read2_b32 v[44:45], v48 offset0:10 offset1:15
	s_mul_i32 s1, s2, s5
	s_waitcnt lgkmcnt(0)
	s_mul_i32 s1, s1, s0
	s_lshl_b32 s0, s1, 1
	s_mov_b32 s1, 0xff7fffff
	v_max3_f32 v41, v42, s1, v43
	v_max3_f32 v41, v41, v44, v45
	v_sub_f32_e32 v42, v42, v41
	ds_read2_b32 v[46:47], v48 offset0:20 offset1:25
	v_mul_f32_e32 v42, 0x3fb8aa3b, v42
	v_sub_f32_e32 v43, v43, v41
	v_exp_f32_e32 v42, v42
	v_mul_f32_e32 v43, 0x3fb8aa3b, v43
	v_sub_f32_e32 v44, v44, v41
	v_exp_f32_e32 v43, v43
	ds_read2_b32 v[48:49], v48 offset0:30 offset1:35
	v_mul_f32_e32 v44, 0x3fb8aa3b, v44
	v_sub_f32_e32 v45, v45, v41
	v_exp_f32_e32 v44, v44
	v_mul_f32_e32 v45, 0x3fb8aa3b, v45
	v_exp_f32_e32 v45, v45
	s_waitcnt lgkmcnt(1)
	v_fma_f32 v42, v42, v46, 0
	v_fmac_f32_e32 v42, v43, v47
	s_waitcnt lgkmcnt(0)
	v_fmac_f32_e32 v42, v44, v48
	s_lshl_b32 s8, s4, 1
	v_fmac_f32_e32 v42, v45, v49
	v_cmp_gt_u32_e32 vcc, 2, v39
	s_and_saveexec_b64 s[2:3], vcc
	s_cbranch_execz .LBB1069_19
; %bb.18:
	s_mov_b32 s1, 0
	s_lshl_b64 s[10:11], s[0:1], 2
	s_add_u32 s4, s16, s10
	s_mov_b32 s25, s1
	s_addc_u32 s9, s17, s11
	s_lshl_b64 s[12:13], s[24:25], 2
	s_add_u32 s16, s4, s12
	s_addc_u32 s17, s9, s13
	s_add_u32 s1, s18, s10
	s_addc_u32 s4, s19, s11
	v_or_b32_e32 v39, s8, v39
	s_add_u32 s10, s1, s12
	v_mul_lo_u32 v44, s5, v39
	v_mov_b32_e32 v45, 0
	s_addc_u32 s11, s4, s13
	v_lshlrev_b64 v[44:45], 2, v[44:45]
	v_lshl_add_u64 v[46:47], s[16:17], 0, v[44:45]
	v_lshl_add_u64 v[44:45], s[10:11], 0, v[44:45]
	global_store_dword v[44:45], v41, off
	global_store_dword v[46:47], v42, off
.LBB1069_19:
	s_or_b64 exec, exec, s[2:3]
	v_lshlrev_b32_e32 v38, 3, v38
	s_and_saveexec_b64 s[2:3], s[6:7]
	s_xor_b64 s[2:3], exec, s[2:3]
	s_cbranch_execz .LBB1069_21
; %bb.20:
	s_mov_b32 s6, 0
	s_mov_b32 s7, s6
	s_waitcnt vmcnt(1)
	v_mad_u32_u24 v4, v1, 40, v38
	v_mov_b64_e32 v[2:3], s[6:7]
	ds_write2st64_b64 v4, v[2:3], v[2:3] offset1:5
                                        ; implicit-def: $vgpr37
                                        ; implicit-def: $vgpr35
                                        ; implicit-def: $vgpr40
                                        ; implicit-def: $vgpr30_vgpr31
                                        ; implicit-def: $vgpr26_vgpr27
                                        ; implicit-def: $vgpr22_vgpr23
                                        ; implicit-def: $vgpr18_vgpr19
                                        ; implicit-def: $vgpr14_vgpr15
                                        ; implicit-def: $vgpr6_vgpr7
                                        ; implicit-def: $vgpr10_vgpr11
                                        ; implicit-def: $vgpr2_vgpr3
                                        ; implicit-def: $vgpr41
                                        ; implicit-def: $vgpr42
                                        ; implicit-def: $vgpr38
.LBB1069_21:
	s_andn2_saveexec_b64 s[2:3], s[2:3]
	s_cbranch_execz .LBB1069_23
; %bb.22:
	v_add_f32_e32 v39, 0x358637bd, v42
	v_div_scale_f32 v42, s[6:7], v39, v39, 1.0
	v_rcp_f32_e32 v43, v42
	v_sub_f32_e32 v40, v40, v41
	v_mul_f32_e32 v40, 0x3fb8aa3b, v40
	v_exp_f32_e32 v40, v40
	v_fma_f32 v41, -v42, v43, 1.0
	v_fmac_f32_e32 v43, v41, v43
	v_div_scale_f32 v41, vcc, 1.0, v39, 1.0
	v_mul_f32_e32 v44, v41, v43
	v_fma_f32 v45, -v42, v44, v41
	v_fmac_f32_e32 v44, v45, v43
	v_fma_f32 v41, -v42, v44, v41
	v_div_fmas_f32 v41, v41, v43, v44
	v_div_fixup_f32 v39, v41, v39, 1.0
	v_mul_f32_e32 v40, v40, v39
	v_pk_mul_f32 v[36:37], v[36:37], v[40:41] op_sel_hi:[1,0]
	v_pk_mul_f32 v[34:35], v[34:35], v[40:41] op_sel_hi:[1,0]
	v_cvt_f16_f32_e32 v36, v36
	v_cvt_f16_f32_e32 v34, v34
	v_cvt_f16_f32_e32 v35, v35
	v_cvt_f16_f32_e32 v37, v37
	s_waitcnt vmcnt(4)
	v_cvt_pk_f32_fp8_sdwa v[40:41], v30 src0_sel:WORD_1
	v_cvt_pk_f32_fp8_e32 v[42:43], v31
	v_pack_b32_f16 v34, v34, v35
	v_pack_b32_f16 v35, v36, v37
	v_cvt_pk_f32_fp8_e32 v[36:37], v30
	v_cvt_pk_f32_fp8_sdwa v[30:31], v31 src0_sel:WORD_1
	s_load_dword s4, s[14:15], 0x0
	v_cvt_pkrtz_f16_f32 v36, v36, v37
	v_cvt_pkrtz_f16_f32 v37, v40, v41
	;; [unrolled: 1-line block ×3, first 2 shown]
	v_cvt_pk_f32_fp8_e32 v[30:31], v32
	v_mfma_f32_4x4x4_16b_f16 a[0:3], v[34:35], v[36:37], 0 cbsz:4
	v_cvt_pk_f32_fp8_sdwa v[36:37], v32 src0_sel:WORD_1
	v_cvt_pkrtz_f16_f32 v40, v42, v43
	v_cvt_pkrtz_f16_f32 v30, v30, v31
	v_cvt_pkrtz_f16_f32 v31, v36, v37
	v_mfma_f32_4x4x4_16b_f16 a[0:3], v[34:35], v[40:41], a[0:3] cbsz:4 abid:1
	v_cvt_pk_f32_fp8_e32 v[40:41], v33
	v_cvt_pk_f32_fp8_sdwa v[32:33], v33 src0_sel:WORD_1
	v_mfma_f32_4x4x4_16b_f16 a[0:3], v[34:35], v[30:31], a[0:3] cbsz:4 abid:2
	v_cvt_pk_f32_fp8_e32 v[30:31], v26
	v_cvt_pkrtz_f16_f32 v36, v40, v41
	v_cvt_pkrtz_f16_f32 v37, v32, v33
	v_cvt_pk_f32_fp8_sdwa v[32:33], v26 src0_sel:WORD_1
	v_cvt_pkrtz_f16_f32 v30, v30, v31
	v_mfma_f32_4x4x4_16b_f16 a[0:3], v[34:35], v[36:37], a[0:3] cbsz:4 abid:3
	v_cvt_pk_f32_fp8_e32 v[36:37], v27
	v_cvt_pk_f32_fp8_sdwa v[26:27], v27 src0_sel:WORD_1
	v_cvt_pkrtz_f16_f32 v31, v32, v33
	v_cvt_pkrtz_f16_f32 v32, v36, v37
	v_cvt_pkrtz_f16_f32 v33, v26, v27
	v_mfma_f32_4x4x4_16b_f16 a[0:3], v[34:35], v[30:31], a[0:3] cbsz:4 abid:4
	v_cvt_pk_f32_fp8_e32 v[26:27], v28
	v_cvt_pk_f32_fp8_sdwa v[30:31], v28 src0_sel:WORD_1
	v_mfma_f32_4x4x4_16b_f16 a[0:3], v[34:35], v[32:33], a[0:3] cbsz:4 abid:5
	v_cvt_pk_f32_fp8_e32 v[32:33], v29
	v_cvt_pk_f32_fp8_sdwa v[28:29], v29 src0_sel:WORD_1
	v_cvt_pkrtz_f16_f32 v26, v26, v27
	v_cvt_pkrtz_f16_f32 v27, v30, v31
	v_cvt_pkrtz_f16_f32 v30, v32, v33
	v_cvt_pkrtz_f16_f32 v31, v28, v29
	v_mfma_f32_4x4x4_16b_f16 a[0:3], v[34:35], v[26:27], a[0:3] cbsz:4 abid:6
	v_cvt_pk_f32_fp8_e32 v[26:27], v22
	v_cvt_pk_f32_fp8_sdwa v[28:29], v22 src0_sel:WORD_1
	v_mfma_f32_4x4x4_16b_f16 a[0:3], v[34:35], v[30:31], a[0:3] cbsz:4 abid:7
	v_cvt_pk_f32_fp8_e32 v[30:31], v23
	v_cvt_pk_f32_fp8_sdwa v[22:23], v23 src0_sel:WORD_1
	v_cvt_pkrtz_f16_f32 v26, v26, v27
	;; [unrolled: 10-line block ×5, first 2 shown]
	v_cvt_pkrtz_f16_f32 v19, v22, v23
	v_cvt_pkrtz_f16_f32 v22, v24, v25
	;; [unrolled: 1-line block ×3, first 2 shown]
	v_mfma_f32_4x4x4_16b_f16 a[0:3], v[34:35], v[18:19], a[0:3] cbsz:4 abid:14
	s_waitcnt vmcnt(2)
	v_cvt_pk_f32_fp8_e32 v[24:25], v15
	v_mfma_f32_4x4x4_16b_f16 a[0:3], v[34:35], v[22:23], a[0:3] cbsz:4 abid:15
	v_cvt_pk_f32_fp8_sdwa v[22:23], v14 src0_sel:WORD_1
	s_nop 3
	v_accvgpr_read_b32 v19, a1
	v_accvgpr_read_b32 v18, a0
	s_waitcnt lgkmcnt(0)
	v_pk_mul_f32 v[18:19], v[18:19], s[4:5] op_sel_hi:[1,0]
	s_nop 0
	v_cvt_f16_f32_e32 v20, v18
	v_cvt_f16_f32_e32 v21, v19
	v_accvgpr_read_b32 v19, a3
	v_accvgpr_read_b32 v18, a2
	v_pk_mul_f32 v[18:19], v[18:19], s[4:5] op_sel_hi:[1,0]
	v_pack_b32_f16 v20, v20, v21
	v_cvt_f16_f32_e32 v21, v18
	v_cvt_f16_f32_e32 v26, v19
	v_cvt_pk_f32_fp8_e32 v[18:19], v14
	v_cvt_pk_f32_fp8_sdwa v[14:15], v15 src0_sel:WORD_1
	v_pack_b32_f16 v21, v21, v26
	v_cvt_pkrtz_f16_f32 v18, v18, v19
	v_cvt_pkrtz_f16_f32 v19, v22, v23
	;; [unrolled: 1-line block ×4, first 2 shown]
	v_mfma_f32_4x4x4_16b_f16 a[0:3], v[34:35], v[18:19], 0 cbsz:4
	v_cvt_pk_f32_fp8_e32 v[14:15], v16
	v_cvt_pk_f32_fp8_sdwa v[18:19], v16 src0_sel:WORD_1
	v_mfma_f32_4x4x4_16b_f16 a[0:3], v[34:35], v[22:23], a[0:3] cbsz:4 abid:1
	v_cvt_pk_f32_fp8_e32 v[22:23], v17
	v_cvt_pk_f32_fp8_sdwa v[16:17], v17 src0_sel:WORD_1
	v_cvt_pkrtz_f16_f32 v14, v14, v15
	v_cvt_pkrtz_f16_f32 v15, v18, v19
	v_cvt_pkrtz_f16_f32 v18, v22, v23
	v_cvt_pkrtz_f16_f32 v19, v16, v17
	v_mfma_f32_4x4x4_16b_f16 a[0:3], v[34:35], v[14:15], a[0:3] cbsz:4 abid:2
	v_cvt_pk_f32_fp8_e32 v[14:15], v6
	v_cvt_pk_f32_fp8_sdwa v[16:17], v6 src0_sel:WORD_1
	v_mfma_f32_4x4x4_16b_f16 a[0:3], v[34:35], v[18:19], a[0:3] cbsz:4 abid:3
	v_cvt_pk_f32_fp8_e32 v[18:19], v7
	v_cvt_pk_f32_fp8_sdwa v[6:7], v7 src0_sel:WORD_1
	v_cvt_pkrtz_f16_f32 v14, v14, v15
	v_cvt_pkrtz_f16_f32 v15, v16, v17
	v_cvt_pkrtz_f16_f32 v16, v18, v19
	v_cvt_pkrtz_f16_f32 v17, v6, v7
	v_mfma_f32_4x4x4_16b_f16 a[0:3], v[34:35], v[14:15], a[0:3] cbsz:4 abid:4
	;; [unrolled: 10-line block ×3, first 2 shown]
	s_waitcnt vmcnt(0)
	v_cvt_pk_f32_fp8_e32 v[6:7], v10
	v_cvt_pk_f32_fp8_sdwa v[8:9], v10 src0_sel:WORD_1
	v_mfma_f32_4x4x4_16b_f16 a[0:3], v[34:35], v[14:15], a[0:3] cbsz:4 abid:7
	v_cvt_pk_f32_fp8_e32 v[14:15], v11
	v_cvt_pk_f32_fp8_sdwa v[10:11], v11 src0_sel:WORD_1
	v_cvt_pkrtz_f16_f32 v6, v6, v7
	v_cvt_pkrtz_f16_f32 v7, v8, v9
	;; [unrolled: 1-line block ×4, first 2 shown]
	v_mfma_f32_4x4x4_16b_f16 a[0:3], v[34:35], v[6:7], a[0:3] cbsz:4 abid:8
	v_cvt_pk_f32_fp8_e32 v[6:7], v12
	v_cvt_pk_f32_fp8_e32 v[10:11], v13
	v_mfma_f32_4x4x4_16b_f16 a[0:3], v[34:35], v[8:9], a[0:3] cbsz:4 abid:9
	v_cvt_pk_f32_fp8_sdwa v[8:9], v12 src0_sel:WORD_1
	v_cvt_pk_f32_fp8_sdwa v[12:13], v13 src0_sel:WORD_1
	v_cvt_pkrtz_f16_f32 v6, v6, v7
	v_cvt_pkrtz_f16_f32 v7, v8, v9
	;; [unrolled: 1-line block ×3, first 2 shown]
	s_nop 0
	v_mfma_f32_4x4x4_16b_f16 a[0:3], v[34:35], v[6:7], a[0:3] cbsz:4 abid:10
	v_cvt_pkrtz_f16_f32 v9, v12, v13
	v_cvt_pk_f32_fp8_e32 v[6:7], v2
	v_cvt_pk_f32_fp8_e32 v[10:11], v3
	v_mfma_f32_4x4x4_16b_f16 a[0:3], v[34:35], v[8:9], a[0:3] cbsz:4 abid:11
	v_cvt_pk_f32_fp8_sdwa v[8:9], v2 src0_sel:WORD_1
	v_cvt_pk_f32_fp8_sdwa v[2:3], v3 src0_sel:WORD_1
	v_cvt_pkrtz_f16_f32 v6, v6, v7
	v_cvt_pkrtz_f16_f32 v7, v8, v9
	;; [unrolled: 1-line block ×3, first 2 shown]
	s_nop 0
	v_mfma_f32_4x4x4_16b_f16 a[0:3], v[34:35], v[6:7], a[0:3] cbsz:4 abid:12
	v_cvt_pk_f32_fp8_e32 v[2:3], v4
	v_cvt_pk_f32_fp8_sdwa v[6:7], v4 src0_sel:WORD_1
	v_cvt_pkrtz_f16_f32 v8, v10, v11
	v_cvt_pkrtz_f16_f32 v2, v2, v3
	s_nop 0
	v_mfma_f32_4x4x4_16b_f16 a[0:3], v[34:35], v[8:9], a[0:3] cbsz:4 abid:13
	v_cvt_pk_f32_fp8_e32 v[8:9], v5
	v_cvt_pk_f32_fp8_sdwa v[4:5], v5 src0_sel:WORD_1
	v_cvt_pkrtz_f16_f32 v3, v6, v7
	v_cvt_pkrtz_f16_f32 v6, v8, v9
	s_nop 0
	v_mfma_f32_4x4x4_16b_f16 a[0:3], v[34:35], v[2:3], a[0:3] cbsz:4 abid:14
	v_cvt_pkrtz_f16_f32 v7, v4, v5
	s_nop 1
	v_mfma_f32_4x4x4_16b_f16 a[0:3], v[34:35], v[6:7], a[0:3] cbsz:4 abid:15
	v_mad_u32_u24 v7, v1, 40, v38
	s_nop 3
	v_accvgpr_read_b32 v5, a1
	v_accvgpr_read_b32 v3, a3
	;; [unrolled: 1-line block ×4, first 2 shown]
	v_pk_mul_f32 v[2:3], v[2:3], s[4:5] op_sel_hi:[1,0]
	v_pk_mul_f32 v[4:5], v[4:5], s[4:5] op_sel_hi:[1,0]
	v_cvt_f16_f32_e32 v6, v2
	v_cvt_f16_f32_e32 v4, v4
	;; [unrolled: 1-line block ×4, first 2 shown]
	v_pack_b32_f16 v2, v4, v5
	v_pack_b32_f16 v3, v6, v3
	ds_write2st64_b64 v7, v[20:21], v[2:3] offset1:5
.LBB1069_23:
	s_or_b64 exec, exec, s[2:3]
	v_cmp_gt_u32_e32 vcc, 64, v0
	s_waitcnt lgkmcnt(0)
	s_barrier
	s_and_saveexec_b64 s[2:3], vcc
	s_cbranch_execz .LBB1069_25
; %bb.24:
	s_waitcnt vmcnt(3)
	v_mul_u32_u24_e32 v6, 40, v1
	s_waitcnt vmcnt(1)
	ds_read2_b64 v[2:5], v6 offset1:1
	s_mov_b32 s1, 0
	s_waitcnt lgkmcnt(0)
	v_mov_b32_e32 v3, 0xa00
	s_lshl_b32 s0, s0, 7
	ds_read2_b64 v[6:9], v6 offset0:2 offset1:3
	v_mad_u32_u24 v3, v1, 40, v3
	v_pk_add_f16 v2, v2, 0
	s_lshl_b64 s[2:3], s[0:1], 1
	s_waitcnt lgkmcnt(0)
	v_pk_add_f16 v7, v2, v4
	v_mov_b32_e32 v9, 0xa10
	ds_read2_b64 v[2:5], v3 offset1:1
	s_add_u32 s2, s26, s2
	v_mad_u32_u24 v1, v1, 40, v9
	s_waitcnt vmcnt(0)
	ds_read2_b64 v[10:13], v1 offset1:1
	s_addc_u32 s3, s27, s3
	s_lshl_b32 s0, s24, 7
	s_lshl_b64 s[0:1], s[0:1], 1
	s_add_u32 s0, s2, s0
	v_pk_add_f16 v1, v7, v6
	s_addc_u32 s1, s3, s1
	s_lshl_b32 s2, s5, 7
	v_pk_add_f16 v6, v1, v8
	s_waitcnt lgkmcnt(1)
	v_pk_add_f16 v1, v2, 0
	s_mul_i32 s3, s2, s8
	v_pk_add_f16 v1, v1, v4
	v_or_b32_e32 v2, s3, v0
	v_mov_b32_e32 v3, 0
	s_add_i32 s3, s3, s2
	s_waitcnt lgkmcnt(0)
	v_pk_add_f16 v1, v1, v10
	v_lshl_add_u64 v[4:5], v[2:3], 1, s[0:1]
	v_or_b32_e32 v2, s3, v0
	v_pk_add_f16 v7, v1, v12
	v_lshl_add_u64 v[0:1], v[2:3], 1, s[0:1]
	global_store_short v[4:5], v6, off
	global_store_short_d16_hi v[0:1], v6, off
	global_store_short v[4:5], v7, off offset:128
	global_store_short_d16_hi v[0:1], v7, off offset:128
.LBB1069_25:
	s_endpgm
	.section	.rodata,"a",@progbits
	.p2align	6, 0x0
	.amdhsa_kernel _Z38paged_attention_ll4mi_QKV_mfma4_kernelIDF16_hLN4vllm18Fp8KVCacheDataTypeE1EDF16_Li32ELi128ELi256ELb0ELi2EEvPKT_PKT0_S7_ifPKiS9_S9_iPKfiiiPfSC_PS2_PT2_iSB_SB_
		.amdhsa_group_segment_fixed_size 5280
		.amdhsa_private_segment_fixed_size 0
		.amdhsa_kernarg_size 400
		.amdhsa_user_sgpr_count 2
		.amdhsa_user_sgpr_dispatch_ptr 0
		.amdhsa_user_sgpr_queue_ptr 0
		.amdhsa_user_sgpr_kernarg_segment_ptr 1
		.amdhsa_user_sgpr_dispatch_id 0
		.amdhsa_user_sgpr_kernarg_preload_length 0
		.amdhsa_user_sgpr_kernarg_preload_offset 0
		.amdhsa_user_sgpr_private_segment_size 0
		.amdhsa_uses_dynamic_stack 0
		.amdhsa_enable_private_segment 0
		.amdhsa_system_sgpr_workgroup_id_x 1
		.amdhsa_system_sgpr_workgroup_id_y 1
		.amdhsa_system_sgpr_workgroup_id_z 1
		.amdhsa_system_sgpr_workgroup_info 0
		.amdhsa_system_vgpr_workitem_id 0
		.amdhsa_next_free_vgpr 108
		.amdhsa_next_free_sgpr 42
		.amdhsa_accum_offset 104
		.amdhsa_reserve_vcc 1
		.amdhsa_float_round_mode_32 0
		.amdhsa_float_round_mode_16_64 0
		.amdhsa_float_denorm_mode_32 3
		.amdhsa_float_denorm_mode_16_64 3
		.amdhsa_dx10_clamp 1
		.amdhsa_ieee_mode 1
		.amdhsa_fp16_overflow 0
		.amdhsa_tg_split 0
		.amdhsa_exception_fp_ieee_invalid_op 0
		.amdhsa_exception_fp_denorm_src 0
		.amdhsa_exception_fp_ieee_div_zero 0
		.amdhsa_exception_fp_ieee_overflow 0
		.amdhsa_exception_fp_ieee_underflow 0
		.amdhsa_exception_fp_ieee_inexact 0
		.amdhsa_exception_int_div_zero 0
	.end_amdhsa_kernel
	.section	.text._Z38paged_attention_ll4mi_QKV_mfma4_kernelIDF16_hLN4vllm18Fp8KVCacheDataTypeE1EDF16_Li32ELi128ELi256ELb0ELi2EEvPKT_PKT0_S7_ifPKiS9_S9_iPKfiiiPfSC_PS2_PT2_iSB_SB_,"axG",@progbits,_Z38paged_attention_ll4mi_QKV_mfma4_kernelIDF16_hLN4vllm18Fp8KVCacheDataTypeE1EDF16_Li32ELi128ELi256ELb0ELi2EEvPKT_PKT0_S7_ifPKiS9_S9_iPKfiiiPfSC_PS2_PT2_iSB_SB_,comdat
.Lfunc_end1069:
	.size	_Z38paged_attention_ll4mi_QKV_mfma4_kernelIDF16_hLN4vllm18Fp8KVCacheDataTypeE1EDF16_Li32ELi128ELi256ELb0ELi2EEvPKT_PKT0_S7_ifPKiS9_S9_iPKfiiiPfSC_PS2_PT2_iSB_SB_, .Lfunc_end1069-_Z38paged_attention_ll4mi_QKV_mfma4_kernelIDF16_hLN4vllm18Fp8KVCacheDataTypeE1EDF16_Li32ELi128ELi256ELb0ELi2EEvPKT_PKT0_S7_ifPKiS9_S9_iPKfiiiPfSC_PS2_PT2_iSB_SB_
                                        ; -- End function
	.section	.AMDGPU.csdata,"",@progbits
; Kernel info:
; codeLenInByte = 5228
; NumSgprs: 48
; NumVgprs: 104
; NumAgprs: 4
; TotalNumVgprs: 108
; ScratchSize: 0
; MemoryBound: 0
; FloatMode: 240
; IeeeMode: 1
; LDSByteSize: 5280 bytes/workgroup (compile time only)
; SGPRBlocks: 5
; VGPRBlocks: 13
; NumSGPRsForWavesPerEU: 48
; NumVGPRsForWavesPerEU: 108
; AccumOffset: 104
; Occupancy: 4
; WaveLimiterHint : 1
; COMPUTE_PGM_RSRC2:SCRATCH_EN: 0
; COMPUTE_PGM_RSRC2:USER_SGPR: 2
; COMPUTE_PGM_RSRC2:TRAP_HANDLER: 0
; COMPUTE_PGM_RSRC2:TGID_X_EN: 1
; COMPUTE_PGM_RSRC2:TGID_Y_EN: 1
; COMPUTE_PGM_RSRC2:TGID_Z_EN: 1
; COMPUTE_PGM_RSRC2:TIDIG_COMP_CNT: 0
; COMPUTE_PGM_RSRC3_GFX90A:ACCUM_OFFSET: 25
; COMPUTE_PGM_RSRC3_GFX90A:TG_SPLIT: 0
	.section	.text._Z38paged_attention_ll4mi_QKV_mfma4_kernelIDF16_hLN4vllm18Fp8KVCacheDataTypeE1EDF16_Li32ELi128ELi256ELb0ELi3EEvPKT_PKT0_S7_ifPKiS9_S9_iPKfiiiPfSC_PS2_PT2_iSB_SB_,"axG",@progbits,_Z38paged_attention_ll4mi_QKV_mfma4_kernelIDF16_hLN4vllm18Fp8KVCacheDataTypeE1EDF16_Li32ELi128ELi256ELb0ELi3EEvPKT_PKT0_S7_ifPKiS9_S9_iPKfiiiPfSC_PS2_PT2_iSB_SB_,comdat
	.protected	_Z38paged_attention_ll4mi_QKV_mfma4_kernelIDF16_hLN4vllm18Fp8KVCacheDataTypeE1EDF16_Li32ELi128ELi256ELb0ELi3EEvPKT_PKT0_S7_ifPKiS9_S9_iPKfiiiPfSC_PS2_PT2_iSB_SB_ ; -- Begin function _Z38paged_attention_ll4mi_QKV_mfma4_kernelIDF16_hLN4vllm18Fp8KVCacheDataTypeE1EDF16_Li32ELi128ELi256ELb0ELi3EEvPKT_PKT0_S7_ifPKiS9_S9_iPKfiiiPfSC_PS2_PT2_iSB_SB_
	.globl	_Z38paged_attention_ll4mi_QKV_mfma4_kernelIDF16_hLN4vllm18Fp8KVCacheDataTypeE1EDF16_Li32ELi128ELi256ELb0ELi3EEvPKT_PKT0_S7_ifPKiS9_S9_iPKfiiiPfSC_PS2_PT2_iSB_SB_
	.p2align	8
	.type	_Z38paged_attention_ll4mi_QKV_mfma4_kernelIDF16_hLN4vllm18Fp8KVCacheDataTypeE1EDF16_Li32ELi128ELi256ELb0ELi3EEvPKT_PKT0_S7_ifPKiS9_S9_iPKfiiiPfSC_PS2_PT2_iSB_SB_,@function
_Z38paged_attention_ll4mi_QKV_mfma4_kernelIDF16_hLN4vllm18Fp8KVCacheDataTypeE1EDF16_Li32ELi128ELi256ELb0ELi3EEvPKT_PKT0_S7_ifPKiS9_S9_iPKfiiiPfSC_PS2_PT2_iSB_SB_: ; @_Z38paged_attention_ll4mi_QKV_mfma4_kernelIDF16_hLN4vllm18Fp8KVCacheDataTypeE1EDF16_Li32ELi128ELi256ELb0ELi3EEvPKT_PKT0_S7_ifPKiS9_S9_iPKfiiiPfSC_PS2_PT2_iSB_SB_
; %bb.0:
	s_load_dwordx2 s[20:21], s[0:1], 0x30
	s_mov_b32 s24, s3
	s_mov_b64 s[6:7], 0
	s_waitcnt lgkmcnt(0)
	s_cmp_lg_u64 s[20:21], 0
	s_cselect_b64 s[22:23], -1, 0
	s_and_b64 vcc, exec, s[22:23]
	s_cbranch_vccz .LBB1070_10
; %bb.1:
	s_add_i32 s8, s2, 1
	s_mov_b32 s9, 0
	s_lshl_b64 s[10:11], s[8:9], 2
	s_add_u32 s10, s20, s10
	s_mov_b32 s3, s9
	s_addc_u32 s11, s21, s11
	s_lshl_b64 s[8:9], s[2:3], 2
	s_add_u32 s8, s20, s8
	s_addc_u32 s9, s21, s9
	s_load_dword s5, s[10:11], 0x0
	s_load_dword s12, s[8:9], 0x0
	s_waitcnt lgkmcnt(0)
	s_sub_i32 s5, s5, s12
	s_cmp_eq_u32 s5, 1
	s_cselect_b64 s[8:9], -1, 0
	s_andn2_b64 vcc, exec, s[6:7]
	s_cbranch_vccnz .LBB1070_3
.LBB1070_2:
	s_mov_b32 s3, 0
	s_mov_b64 s[8:9], -1
.LBB1070_3:
	s_andn2_b64 vcc, exec, s[8:9]
	s_cbranch_vccnz .LBB1070_25
; %bb.4:
	s_load_dword s5, s[0:1], 0x9c
	s_load_dwordx2 s[6:7], s[0:1], 0x28
	s_add_u32 s28, s0, 0x90
	s_addc_u32 s29, s1, 0
	s_lshl_b64 s[34:35], s[2:3], 2
	s_waitcnt lgkmcnt(0)
	s_and_b32 s5, s5, 0xffff
	s_add_u32 s6, s6, s34
	s_addc_u32 s7, s7, s35
	s_load_dword s3, s[6:7], 0x0
	s_mul_i32 s10, s24, s5
	s_waitcnt lgkmcnt(0)
	s_cmp_ge_i32 s10, s3
	s_cbranch_scc1 .LBB1070_25
; %bb.5:
	v_and_b32_e32 v1, 0xc0, v0
	v_add_u32_e32 v4, s10, v1
	v_lshrrev_b32_e32 v38, 6, v0
	v_cmp_le_i32_e64 s[6:7], s3, v4
                                        ; implicit-def: $sgpr25
                                        ; implicit-def: $sgpr11
	s_and_saveexec_b64 s[8:9], s[6:7]
	s_xor_b64 s[8:9], exec, s[8:9]
	s_cbranch_execz .LBB1070_7
; %bb.6:
	v_mul_u32_u24_e32 v1, 20, v38
	v_or_b32_e32 v1, 0x1400, v1
	v_mov_b32_e32 v2, 0x1450
	v_mov_b32_e32 v3, 0xff7fffff
	v_mad_u32_u24 v2, v38, 20, v2
	ds_write2_b32 v1, v3, v3 offset1:1
	v_mov_b32_e32 v1, 0
	ds_write2_b32 v2, v1, v1 offset1:1
	v_mov_b32_e32 v2, 0x1408
	v_mov_b32_e32 v4, 0x1458
	s_mov_b32 s11, 0xff7fffff
	s_mov_b32 s25, 0
	v_mad_u32_u24 v2, v38, 20, v2
	v_mad_u32_u24 v4, v38, 20, v4
	ds_write2_b32 v2, v3, v3 offset1:1
	ds_write2_b32 v4, v1, v1 offset1:1
                                        ; implicit-def: $vgpr4
.LBB1070_7:
	s_or_saveexec_b64 s[30:31], s[8:9]
	s_load_dwordx2 s[26:27], s[0:1], 0x68
	s_load_dwordx4 s[16:19], s[0:1], 0x58
	s_load_dword s5, s[28:29], 0x4
	s_load_dwordx4 s[12:15], s[0:1], 0x80
	v_and_b32_e32 v1, 63, v0
	v_and_b32_e32 v39, 3, v0
	v_mov_b32_e32 v37, s25
	v_mov_b32_e32 v40, s11
	;; [unrolled: 1-line block ×5, first 2 shown]
                                        ; implicit-def: $vgpr30_vgpr31
                                        ; implicit-def: $vgpr22_vgpr23
                                        ; implicit-def: $vgpr14_vgpr15
                                        ; implicit-def: $vgpr10_vgpr11
                                        ; implicit-def: $vgpr6_vgpr7
                                        ; implicit-def: $vgpr2_vgpr3
                                        ; implicit-def: $vgpr26_vgpr27
                                        ; implicit-def: $vgpr18_vgpr19
	s_xor_b64 exec, exec, s[30:31]
	s_cbranch_execz .LBB1070_17
; %bb.8:
	s_load_dwordx2 s[8:9], s[0:1], 0x20
	s_load_dword s11, s[0:1], 0x38
	s_add_i32 s25, s3, 31
	s_ashr_i32 s33, s25, 31
	s_lshr_b32 s33, s33, 27
	v_add_u32_e32 v36, s10, v0
	s_add_i32 s25, s25, s33
	v_ashrrev_i32_e32 v2, 31, v36
	s_ashr_i32 s25, s25, 5
	v_lshrrev_b32_e32 v2, 27, v2
	s_add_i32 s25, s25, -1
	s_waitcnt lgkmcnt(0)
	s_mul_i32 s36, s2, s11
	s_mov_b32 s37, 0
	v_add_u32_e32 v2, v36, v2
	s_lshl_b64 s[36:37], s[36:37], 2
	v_ashrrev_i32_e32 v2, 5, v2
	v_mov_b32_e32 v3, s25
	v_cmp_gt_i32_e32 vcc, s3, v36
	s_add_u32 s8, s8, s36
	s_addc_u32 s9, s9, s37
	v_cndmask_b32_e32 v2, v3, v2, vcc
	v_ashrrev_i32_e32 v3, 31, v2
	v_lshl_add_u64 v[6:7], v[2:3], 2, s[8:9]
	v_ashrrev_i32_e32 v2, 31, v4
	v_lshrrev_b32_e32 v2, 27, v2
	v_add_u32_e32 v2, v4, v2
	v_ashrrev_i32_e32 v8, 5, v2
	v_min_i32_e32 v2, s25, v8
	v_ashrrev_i32_e32 v3, 31, v2
	v_lshl_add_u64 v[4:5], v[2:3], 2, s[8:9]
	v_add_u32_e32 v2, 1, v8
	v_min_i32_e32 v2, s25, v2
	v_ashrrev_i32_e32 v3, 31, v2
	v_lshl_add_u64 v[8:9], v[2:3], 2, s[8:9]
	global_load_dword v2, v[6:7], off
	global_load_dword v26, v[4:5], off
	;; [unrolled: 1-line block ×3, first 2 shown]
	s_load_dwordx4 s[8:11], s[0:1], 0x8
	s_andn2_b64 vcc, exec, s[22:23]
	s_cbranch_vccnz .LBB1070_11
; %bb.9:
	s_add_u32 s20, s20, s34
	s_addc_u32 s21, s21, s35
	s_load_dword s25, s[20:21], 0x0
	s_branch .LBB1070_12
.LBB1070_10:
	s_mov_b64 s[8:9], 0
	s_branch .LBB1070_2
.LBB1070_11:
	s_mov_b32 s25, s2
.LBB1070_12:
	s_load_dwordx4 s[20:23], s[0:1], 0x48
	v_cmp_ne_u32_e32 vcc, 3, v39
	s_mov_b32 s37, 0
	v_mov_b32_e32 v37, 1.0
	v_mov_b32_e32 v23, 0
	v_mov_b32_e32 v18, 0
	;; [unrolled: 1-line block ×5, first 2 shown]
	s_and_saveexec_b64 s[34:35], vcc
	s_cbranch_execz .LBB1070_14
; %bb.13:
	s_load_dwordx2 s[38:39], s[0:1], 0x0
	s_waitcnt lgkmcnt(0)
	s_ashr_i32 s23, s20, 31
	s_mul_hi_u32 s33, s25, s20
	s_mul_i32 s23, s25, s23
	s_add_i32 s41, s33, s23
	s_mul_i32 s40, s25, s20
	s_lshl_b64 s[40:41], s[40:41], 1
	s_add_u32 s20, s38, s40
	s_mul_i32 s36, s4, 0x180
	s_addc_u32 s23, s39, s41
	s_lshl_b64 s[36:37], s[36:37], 1
	v_lshlrev_b32_e32 v3, 2, v1
	s_add_u32 s36, s20, s36
	v_and_b32_e32 v3, 0xf0, v3
	s_addc_u32 s37, s23, s37
	v_lshl_or_b32 v3, v39, 8, v3
	global_load_dwordx4 v[18:21], v3, s[36:37]
	v_mov_b32_e32 v37, 0
.LBB1070_14:
	s_or_b64 exec, exec, s[34:35]
	s_waitcnt lgkmcnt(0)
	s_mul_i32 s20, s4, s22
	s_add_u32 s8, s20, s8
	s_addc_u32 s9, 0, s9
	v_mov_b64_e32 v[4:5], s[8:9]
	s_waitcnt vmcnt(2)
	v_mad_i64_i32 v[2:3], s[8:9], v2, s21, v[4:5]
	v_lshlrev_b32_e32 v4, 4, v0
	v_and_b32_e32 v22, 0x1f0, v4
	v_lshl_add_u64 v[24:25], v[2:3], 0, v[22:23]
	global_load_dwordx4 v[14:17], v[24:25], off
	global_load_dwordx4 v[10:13], v[24:25], off offset:512
	global_load_dwordx4 v[6:9], v[24:25], off offset:1024
	;; [unrolled: 1-line block ×3, first 2 shown]
	s_waitcnt vmcnt(4)
	v_mul_hi_i32 v28, v27, s21
	v_ashrrev_i32_e32 v28, 31, v28
	v_mul_hi_i32 v22, v26, s21
	v_mov_b32_e32 v29, v23
	v_lshrrev_b32_e32 v28, 29, v28
	v_ashrrev_i32_e32 v22, 31, v22
	s_add_u32 s8, s10, s20
	v_mad_i64_i32 v[28:29], s[22:23], v27, s21, v[28:29]
	s_addc_u32 s9, s11, 0
	v_and_b32_e32 v28, -8, v28
	v_lshrrev_b32_e32 v22, 29, v22
	v_lshl_add_u64 v[30:31], s[8:9], 0, v[28:29]
	v_mad_i64_i32 v[32:33], s[10:11], v26, s21, v[22:23]
	global_load_dwordx4 v[26:29], v[24:25], off offset:2048
	global_load_dwordx4 v[40:43], v[24:25], off offset:2560
	;; [unrolled: 1-line block ×4, first 2 shown]
	v_lshlrev_b32_e32 v22, 5, v1
	v_and_b32_e32 v32, -8, v32
	v_lshl_add_u64 v[34:35], v[30:31], 0, v[22:23]
	v_lshl_add_u64 v[30:31], s[8:9], 0, v[32:33]
	;; [unrolled: 1-line block ×3, first 2 shown]
	s_load_dword s0, s[0:1], 0x1c
	v_cmp_eq_u32_e32 vcc, 0, v39
	s_waitcnt vmcnt(7)
	v_cvt_pk_f32_fp8_e32 v[22:23], v14
	v_cvt_pk_f32_fp8_sdwa v[30:31], v14 src0_sel:WORD_1
	v_cvt_pk_f32_fp8_e32 v[32:33], v15
	v_cvt_pk_f32_fp8_sdwa v[14:15], v15 src0_sel:WORD_1
	;; [unrolled: 2-line block ×3, first 2 shown]
	s_waitcnt vmcnt(4)
	v_cvt_pk_f32_fp8_e32 v[92:93], v2
	v_cvt_pk_f32_fp8_sdwa v[94:95], v2 src0_sel:WORD_1
	v_cvt_pk_f32_fp8_e32 v[96:97], v3
	v_cvt_pk_f32_fp8_sdwa v[98:99], v3 src0_sel:WORD_1
	v_cvt_pkrtz_f16_f32 v2, v22, v23
	v_cvt_pkrtz_f16_f32 v3, v30, v31
	v_cvt_pk_f32_fp8_e32 v[58:59], v17
	v_cvt_pk_f32_fp8_sdwa v[16:17], v17 src0_sel:WORD_1
	v_mfma_f32_4x4x4_16b_f16 a[0:3], v[18:19], v[2:3], 0 cbsz:4
	v_cvt_pk_f32_fp8_e32 v[100:101], v4
	v_cvt_pk_f32_fp8_sdwa v[102:103], v4 src0_sel:WORD_1
	v_cvt_pk_f32_fp8_e32 v[104:105], v5
	v_cvt_pk_f32_fp8_sdwa v[106:107], v5 src0_sel:WORD_1
	v_cvt_pkrtz_f16_f32 v4, v32, v33
	v_cvt_pkrtz_f16_f32 v5, v14, v15
	v_cvt_pk_f32_fp8_e32 v[60:61], v10
	v_cvt_pk_f32_fp8_sdwa v[62:63], v10 src0_sel:WORD_1
	v_mfma_f32_4x4x4_16b_f16 a[0:3], v[20:21], v[4:5], a[0:3] cbsz:4
	v_cvt_pk_f32_fp8_e32 v[76:77], v6
	v_cvt_pk_f32_fp8_sdwa v[78:79], v6 src0_sel:WORD_1
	v_cvt_pk_f32_fp8_e32 v[80:81], v7
	v_cvt_pk_f32_fp8_sdwa v[82:83], v7 src0_sel:WORD_1
	v_cvt_pkrtz_f16_f32 v6, v54, v55
	v_cvt_pkrtz_f16_f32 v7, v56, v57
	v_cvt_pk_f32_fp8_e32 v[64:65], v11
	v_cvt_pk_f32_fp8_sdwa v[66:67], v11 src0_sel:WORD_1
	v_mfma_f32_4x4x4_16b_f16 a[0:3], v[18:19], v[6:7], a[0:3] cbsz:4 abid:1
	v_cvt_pkrtz_f16_f32 v54, v58, v59
	v_cvt_pkrtz_f16_f32 v55, v16, v17
	v_cvt_pk_f32_fp8_e32 v[68:69], v12
	v_cvt_pk_f32_fp8_sdwa v[70:71], v12 src0_sel:WORD_1
	v_mfma_f32_4x4x4_16b_f16 a[0:3], v[20:21], v[54:55], a[0:3] cbsz:4 abid:1
	;; [unrolled: 5-line block ×3, first 2 shown]
	v_cvt_pkrtz_f16_f32 v58, v64, v65
	v_cvt_pkrtz_f16_f32 v59, v66, v67
	;; [unrolled: 1-line block ×4, first 2 shown]
	v_mfma_f32_4x4x4_16b_f16 a[0:3], v[20:21], v[58:59], a[0:3] cbsz:4 abid:2
	v_cvt_pkrtz_f16_f32 v62, v72, v73
	v_cvt_pkrtz_f16_f32 v63, v74, v75
	v_mfma_f32_4x4x4_16b_f16 a[0:3], v[18:19], v[60:61], a[0:3] cbsz:4 abid:3
	v_cvt_pk_f32_fp8_e32 v[84:85], v8
	v_cvt_pk_f32_fp8_sdwa v[86:87], v8 src0_sel:WORD_1
	v_mfma_f32_4x4x4_16b_f16 a[0:3], v[20:21], v[62:63], a[0:3] cbsz:4 abid:3
	v_cvt_pkrtz_f16_f32 v64, v76, v77
	v_cvt_pkrtz_f16_f32 v65, v78, v79
	v_cvt_pk_f32_fp8_e32 v[88:89], v9
	v_cvt_pk_f32_fp8_sdwa v[90:91], v9 src0_sel:WORD_1
	v_mfma_f32_4x4x4_16b_f16 a[0:3], v[18:19], v[64:65], a[0:3] cbsz:4 abid:4
	global_load_dwordx4 v[10:13], v[34:35], off offset:16
	global_load_dwordx4 v[14:17], v[34:35], off
	global_load_dwordx4 v[22:25], v[52:53], off offset:16
	global_load_dwordx4 v[30:33], v[52:53], off
	global_load_dwordx4 v[2:5], v[52:53], off offset:2064
	global_load_dwordx4 v[6:9], v[52:53], off offset:2048
	v_cvt_pkrtz_f16_f32 v52, v80, v81
	v_cvt_pkrtz_f16_f32 v53, v82, v83
	v_cvt_pkrtz_f16_f32 v54, v84, v85
	v_cvt_pkrtz_f16_f32 v55, v86, v87
	v_mfma_f32_4x4x4_16b_f16 a[0:3], v[20:21], v[52:53], a[0:3] cbsz:4 abid:4
	v_cvt_pkrtz_f16_f32 v56, v88, v89
	v_cvt_pkrtz_f16_f32 v57, v90, v91
	v_mfma_f32_4x4x4_16b_f16 a[0:3], v[18:19], v[54:55], a[0:3] cbsz:4 abid:5
	v_cvt_pkrtz_f16_f32 v52, v92, v93
	v_cvt_pkrtz_f16_f32 v53, v94, v95
	;; [unrolled: 3-line block ×5, first 2 shown]
	v_mfma_f32_4x4x4_16b_f16 a[0:3], v[18:19], v[52:53], a[0:3] cbsz:4 abid:7
	s_waitcnt vmcnt(9)
	v_cvt_pk_f32_fp8_e32 v[52:53], v26
	v_cvt_pk_f32_fp8_e32 v[56:57], v27
	v_mfma_f32_4x4x4_16b_f16 a[0:3], v[20:21], v[54:55], a[0:3] cbsz:4 abid:7
	v_cvt_pk_f32_fp8_sdwa v[54:55], v26 src0_sel:WORD_1
	v_cvt_pkrtz_f16_f32 v26, v52, v53
	v_cvt_pk_f32_fp8_sdwa v[52:53], v27 src0_sel:WORD_1
	s_load_dword s1, s[12:13], 0x0
	v_cvt_pkrtz_f16_f32 v27, v54, v55
	v_cvt_pkrtz_f16_f32 v54, v56, v57
	;; [unrolled: 1-line block ×3, first 2 shown]
	v_mfma_f32_4x4x4_16b_f16 a[0:3], v[18:19], v[26:27], a[0:3] cbsz:4 abid:8
	v_cvt_pk_f32_fp8_e32 v[26:27], v28
	v_cvt_pk_f32_fp8_sdwa v[52:53], v28 src0_sel:WORD_1
	v_mfma_f32_4x4x4_16b_f16 a[0:3], v[20:21], v[54:55], a[0:3] cbsz:4 abid:8
	v_cvt_pk_f32_fp8_e32 v[54:55], v29
	v_cvt_pk_f32_fp8_sdwa v[28:29], v29 src0_sel:WORD_1
	v_cvt_pkrtz_f16_f32 v26, v26, v27
	v_cvt_pkrtz_f16_f32 v27, v52, v53
	;; [unrolled: 1-line block ×4, first 2 shown]
	v_mfma_f32_4x4x4_16b_f16 a[0:3], v[18:19], v[26:27], a[0:3] cbsz:4 abid:9
	s_waitcnt vmcnt(8)
	v_cvt_pk_f32_fp8_e32 v[26:27], v40
	v_cvt_pk_f32_fp8_sdwa v[28:29], v40 src0_sel:WORD_1
	v_mfma_f32_4x4x4_16b_f16 a[0:3], v[20:21], v[52:53], a[0:3] cbsz:4 abid:9
	v_cvt_pk_f32_fp8_e32 v[52:53], v41
	v_cvt_pk_f32_fp8_sdwa v[40:41], v41 src0_sel:WORD_1
	v_cvt_pkrtz_f16_f32 v26, v26, v27
	v_cvt_pkrtz_f16_f32 v27, v28, v29
	;; [unrolled: 1-line block ×4, first 2 shown]
	v_mfma_f32_4x4x4_16b_f16 a[0:3], v[18:19], v[26:27], a[0:3] cbsz:4 abid:10
	v_cvt_pk_f32_fp8_e32 v[26:27], v42
	v_cvt_pk_f32_fp8_e32 v[40:41], v43
	v_mfma_f32_4x4x4_16b_f16 a[0:3], v[20:21], v[28:29], a[0:3] cbsz:4 abid:10
	v_cvt_pk_f32_fp8_sdwa v[28:29], v42 src0_sel:WORD_1
	v_cvt_pk_f32_fp8_sdwa v[42:43], v43 src0_sel:WORD_1
	v_cvt_pkrtz_f16_f32 v26, v26, v27
	v_cvt_pkrtz_f16_f32 v27, v28, v29
	;; [unrolled: 1-line block ×3, first 2 shown]
	s_nop 0
	v_mfma_f32_4x4x4_16b_f16 a[0:3], v[18:19], v[26:27], a[0:3] cbsz:4 abid:11
	v_cvt_pkrtz_f16_f32 v29, v42, v43
	s_waitcnt vmcnt(7)
	v_cvt_pk_f32_fp8_e32 v[26:27], v44
	v_cvt_pk_f32_fp8_e32 v[40:41], v45
	v_mfma_f32_4x4x4_16b_f16 a[0:3], v[20:21], v[28:29], a[0:3] cbsz:4 abid:11
	v_cvt_pk_f32_fp8_sdwa v[28:29], v44 src0_sel:WORD_1
	v_cvt_pk_f32_fp8_sdwa v[42:43], v45 src0_sel:WORD_1
	v_cvt_pkrtz_f16_f32 v26, v26, v27
	v_cvt_pkrtz_f16_f32 v27, v28, v29
	;; [unrolled: 1-line block ×3, first 2 shown]
	s_nop 0
	v_mfma_f32_4x4x4_16b_f16 a[0:3], v[18:19], v[26:27], a[0:3] cbsz:4 abid:12
	v_cvt_pkrtz_f16_f32 v29, v42, v43
	v_cvt_pk_f32_fp8_e32 v[26:27], v46
	v_cvt_pk_f32_fp8_e32 v[40:41], v47
	v_mfma_f32_4x4x4_16b_f16 a[0:3], v[20:21], v[28:29], a[0:3] cbsz:4 abid:12
	v_cvt_pk_f32_fp8_sdwa v[28:29], v46 src0_sel:WORD_1
	v_cvt_pk_f32_fp8_sdwa v[42:43], v47 src0_sel:WORD_1
	v_cvt_pkrtz_f16_f32 v26, v26, v27
	v_cvt_pkrtz_f16_f32 v27, v28, v29
	;; [unrolled: 1-line block ×3, first 2 shown]
	s_nop 0
	v_mfma_f32_4x4x4_16b_f16 a[0:3], v[18:19], v[26:27], a[0:3] cbsz:4 abid:13
	v_cvt_pkrtz_f16_f32 v29, v42, v43
	s_waitcnt vmcnt(6)
	v_cvt_pk_f32_fp8_e32 v[26:27], v48
	v_cvt_pk_f32_fp8_e32 v[40:41], v49
	v_mfma_f32_4x4x4_16b_f16 a[0:3], v[20:21], v[28:29], a[0:3] cbsz:4 abid:13
	v_cvt_pk_f32_fp8_sdwa v[28:29], v48 src0_sel:WORD_1
	v_cvt_pk_f32_fp8_sdwa v[42:43], v49 src0_sel:WORD_1
	v_cvt_pkrtz_f16_f32 v26, v26, v27
	v_cvt_pkrtz_f16_f32 v27, v28, v29
	;; [unrolled: 1-line block ×3, first 2 shown]
	s_nop 0
	v_mfma_f32_4x4x4_16b_f16 a[0:3], v[18:19], v[26:27], a[0:3] cbsz:4 abid:14
	v_cvt_pkrtz_f16_f32 v29, v42, v43
	v_cvt_pk_f32_fp8_e32 v[26:27], v50
	v_cvt_pk_f32_fp8_e32 v[40:41], v51
	v_mfma_f32_4x4x4_16b_f16 a[0:3], v[20:21], v[28:29], a[0:3] cbsz:4 abid:14
	v_cvt_pk_f32_fp8_sdwa v[28:29], v50 src0_sel:WORD_1
	v_cvt_pk_f32_fp8_sdwa v[42:43], v51 src0_sel:WORD_1
	v_cvt_pkrtz_f16_f32 v26, v26, v27
	v_cvt_pkrtz_f16_f32 v27, v28, v29
	;; [unrolled: 1-line block ×3, first 2 shown]
	s_nop 0
	v_mfma_f32_4x4x4_16b_f16 a[0:3], v[18:19], v[26:27], a[0:3] cbsz:4 abid:15
	v_cvt_pkrtz_f16_f32 v29, v42, v43
	s_waitcnt lgkmcnt(0)
	v_mov_b32_e32 v18, s0
	v_mfma_f32_4x4x4_16b_f16 a[0:3], v[20:21], v[28:29], a[0:3] cbsz:4 abid:15
	v_mul_f32_e32 v20, s1, v18
	s_nop 3
	v_accvgpr_read_b32 v27, a1
	v_accvgpr_read_b32 v26, a0
	v_pk_mul_f32 v[26:27], v[26:27], v[20:21] op_sel_hi:[1,0]
	v_accvgpr_read_b32 v19, a3
	v_accvgpr_read_b32 v18, a2
	v_pk_mul_f32 v[40:41], v[18:19], v[20:21] op_sel_hi:[1,0]
	v_cndmask_b32_e64 v18, 0, 1.0, vcc
	v_cmp_eq_u32_e32 vcc, 1, v39
	s_nop 0
	v_mfma_f32_4x4x1_16b_f32 a[0:3], v26, v18, 0
	v_cndmask_b32_e64 v18, 0, 1.0, vcc
	v_cmp_eq_u32_e32 vcc, 2, v39
	s_nop 0
	v_mfma_f32_4x4x1_16b_f32 a[0:3], v27, v18, a[0:3]
	v_cndmask_b32_e64 v18, 0, 1.0, vcc
	s_nop 1
	v_mfma_f32_4x4x1_16b_f32 a[0:3], v40, v18, a[0:3]
	global_load_dwordx4 v[18:21], v[34:35], off offset:2064
	global_load_dwordx4 v[26:29], v[34:35], off offset:2048
	v_mfma_f32_4x4x1_16b_f32 a[0:3], v41, v37, a[0:3]
	v_and_b32_e32 v34, -4, v36
	v_mov_b32_e32 v41, 0xff7fffff
	v_cmp_gt_i32_e32 vcc, s3, v34
	v_or_b32_e32 v36, 3, v36
	v_accvgpr_read_b32 v37, a0
	v_max_f32_e32 v40, v37, v37
	v_max_f32_e32 v40, 0xff7fffff, v40
	v_accvgpr_read_b32 v42, a1
	v_cndmask_b32_e32 v40, v41, v40, vcc
	v_or_b32_e32 v41, 1, v34
	v_max_f32_e32 v43, v42, v42
	v_max_f32_e32 v43, v40, v43
	v_cmp_gt_i32_e64 s[0:1], s3, v41
	v_accvgpr_read_b32 v41, a2
	v_or_b32_e32 v34, 2, v34
	v_cndmask_b32_e64 v40, v40, v43, s[0:1]
	v_max_f32_e32 v43, v41, v41
	v_max_f32_e32 v43, v40, v43
	v_cmp_gt_i32_e64 s[8:9], s3, v34
	v_cmp_gt_i32_e64 s[10:11], s3, v36
	v_lshlrev_b32_e32 v35, 2, v0
	v_cndmask_b32_e64 v34, v40, v43, s[8:9]
	v_accvgpr_read_b32 v43, a3
	v_max_f32_e32 v40, v43, v43
	v_max_f32_e32 v40, v34, v40
	v_cndmask_b32_e64 v34, v34, v40, s[10:11]
	v_and_or_b32 v35, v35, 48, v39
	;;#ASMSTART
	v_nop
 v_nop
 v_max_f32_dpp v34, v34, v34 row_ror:4
	;;#ASMEND
	v_lshlrev_b32_e32 v44, 2, v35
	;;#ASMSTART
	v_nop
 v_nop
 v_max_f32_dpp v34, v34, v34 row_ror:8
	;;#ASMEND
	ds_bpermute_b32 v34, v44, v34
	s_waitcnt lgkmcnt(0)
	;;#ASMSTART
	v_nop
 v_nop
 v_max_f32_dpp v34, v34, v34 row_ror:4
	;;#ASMEND
	s_nop 0
	;;#ASMSTART
	v_nop
 v_nop
 v_max_f32_dpp v40, v34, v34 row_ror:8
	;;#ASMEND
	s_nop 0
	v_sub_f32_e32 v34, v37, v40
	v_mul_f32_e32 v34, 0x3fb8aa3b, v34
	v_sub_f32_e32 v35, v42, v40
	v_exp_f32_e32 v34, v34
	v_mul_f32_e32 v35, 0x3fb8aa3b, v35
	v_sub_f32_e32 v37, v41, v40
	v_exp_f32_e32 v35, v35
	;; [unrolled: 3-line block ×3, first 2 shown]
	v_mul_f32_e32 v41, 0x3fb8aa3b, v41
	v_exp_f32_e32 v41, v41
	v_cndmask_b32_e32 v34, 0, v34, vcc
	v_add_f32_e32 v36, 0, v34
	v_cndmask_b32_e64 v35, 0, v35, s[0:1]
	v_add_f32_e32 v42, v36, v35
	v_cndmask_b32_e64 v36, 0, v37, s[8:9]
	;; [unrolled: 2-line block ×3, first 2 shown]
	v_add_f32_e32 v41, v42, v37
	;;#ASMSTART
	v_nop
 v_nop
 v_add_f32_dpp v41, v41, v41 row_ror:4
	;;#ASMEND
	v_cmp_gt_u32_e32 vcc, 4, v1
	;;#ASMSTART
	v_nop
 v_nop
 v_add_f32_dpp v41, v41, v41 row_ror:8
	;;#ASMEND
	ds_bpermute_b32 v41, v44, v41
	s_waitcnt lgkmcnt(0)
	;;#ASMSTART
	v_nop
 v_nop
 v_add_f32_dpp v41, v41, v41 row_ror:4
	;;#ASMEND
	s_nop 0
	;;#ASMSTART
	v_nop
 v_nop
 v_add_f32_dpp v41, v41, v41 row_ror:8
	;;#ASMEND
	s_and_saveexec_b64 s[0:1], vcc
	s_cbranch_execz .LBB1070_16
; %bb.15:
	v_mul_u32_u24_e32 v42, 20, v38
	v_lshl_add_u32 v42, v39, 2, v42
	v_add_u32_e32 v42, 0x1400, v42
	ds_write2_b32 v42, v40, v41 offset1:20
.LBB1070_16:
	s_or_b64 exec, exec, s[0:1]
.LBB1070_17:
	s_or_b64 exec, exec, s[30:31]
	s_waitcnt lgkmcnt(0)
	s_barrier
	s_load_dword s0, s[28:29], 0x8
	v_lshlrev_b32_e32 v41, 2, v39
	v_add_u32_e32 v48, 0x1400, v41
	ds_read2_b32 v[42:43], v48 offset1:5
	ds_read2_b32 v[44:45], v48 offset0:10 offset1:15
	s_mul_i32 s1, s2, s5
	s_waitcnt lgkmcnt(0)
	s_mul_i32 s0, s1, s0
	s_mov_b32 s1, 0xff7fffff
	v_max3_f32 v41, v42, s1, v43
	v_max3_f32 v41, v41, v44, v45
	v_sub_f32_e32 v42, v42, v41
	ds_read2_b32 v[46:47], v48 offset0:20 offset1:25
	v_mul_f32_e32 v42, 0x3fb8aa3b, v42
	v_sub_f32_e32 v43, v43, v41
	v_exp_f32_e32 v42, v42
	v_mul_f32_e32 v43, 0x3fb8aa3b, v43
	v_sub_f32_e32 v44, v44, v41
	v_exp_f32_e32 v43, v43
	ds_read2_b32 v[48:49], v48 offset0:30 offset1:35
	v_mul_f32_e32 v44, 0x3fb8aa3b, v44
	v_sub_f32_e32 v45, v45, v41
	v_exp_f32_e32 v44, v44
	v_mul_f32_e32 v45, 0x3fb8aa3b, v45
	v_exp_f32_e32 v45, v45
	s_waitcnt lgkmcnt(1)
	v_fma_f32 v42, v42, v46, 0
	v_fmac_f32_e32 v42, v43, v47
	s_waitcnt lgkmcnt(0)
	v_fmac_f32_e32 v42, v44, v48
	s_mul_i32 s8, s4, 3
	s_mul_i32 s0, s0, 3
	v_fmac_f32_e32 v42, v45, v49
	v_cmp_ne_u32_e32 vcc, 3, v39
	s_and_saveexec_b64 s[2:3], vcc
	s_cbranch_execz .LBB1070_19
; %bb.18:
	s_mov_b32 s1, 0
	s_lshl_b64 s[10:11], s[0:1], 2
	s_add_u32 s4, s16, s10
	s_mov_b32 s25, s1
	s_addc_u32 s9, s17, s11
	s_lshl_b64 s[12:13], s[24:25], 2
	s_add_u32 s16, s4, s12
	s_addc_u32 s17, s9, s13
	s_add_u32 s1, s18, s10
	s_addc_u32 s4, s19, s11
	v_add_u32_e32 v39, s8, v39
	s_add_u32 s10, s1, s12
	v_mul_lo_u32 v44, s5, v39
	v_mov_b32_e32 v45, 0
	s_addc_u32 s11, s4, s13
	v_lshlrev_b64 v[44:45], 2, v[44:45]
	v_lshl_add_u64 v[46:47], s[16:17], 0, v[44:45]
	v_lshl_add_u64 v[44:45], s[10:11], 0, v[44:45]
	global_store_dword v[44:45], v41, off
	global_store_dword v[46:47], v42, off
.LBB1070_19:
	s_or_b64 exec, exec, s[2:3]
	v_lshlrev_b32_e32 v38, 3, v38
	s_and_saveexec_b64 s[2:3], s[6:7]
	s_xor_b64 s[2:3], exec, s[2:3]
	s_cbranch_execz .LBB1070_21
; %bb.20:
	s_mov_b32 s6, 0
	s_mov_b32 s7, s6
	s_waitcnt vmcnt(3)
	v_mad_u32_u24 v4, v1, 40, v38
	v_mov_b64_e32 v[2:3], s[6:7]
	ds_write2st64_b64 v4, v[2:3], v[2:3] offset1:5
                                        ; implicit-def: $vgpr37
                                        ; implicit-def: $vgpr35
                                        ; implicit-def: $vgpr40
                                        ; implicit-def: $vgpr30_vgpr31
                                        ; implicit-def: $vgpr22_vgpr23
                                        ; implicit-def: $vgpr14_vgpr15
                                        ; implicit-def: $vgpr10_vgpr11
                                        ; implicit-def: $vgpr6_vgpr7
                                        ; implicit-def: $vgpr2_vgpr3
                                        ; implicit-def: $vgpr26_vgpr27
                                        ; implicit-def: $vgpr18_vgpr19
                                        ; implicit-def: $vgpr41
                                        ; implicit-def: $vgpr42
                                        ; implicit-def: $vgpr38
.LBB1070_21:
	s_andn2_saveexec_b64 s[2:3], s[2:3]
	s_cbranch_execz .LBB1070_23
; %bb.22:
	v_add_f32_e32 v39, 0x358637bd, v42
	v_div_scale_f32 v42, s[6:7], v39, v39, 1.0
	v_rcp_f32_e32 v43, v42
	v_sub_f32_e32 v40, v40, v41
	v_mul_f32_e32 v40, 0x3fb8aa3b, v40
	v_exp_f32_e32 v40, v40
	v_fma_f32 v41, -v42, v43, 1.0
	v_fmac_f32_e32 v43, v41, v43
	v_div_scale_f32 v41, vcc, 1.0, v39, 1.0
	v_mul_f32_e32 v44, v41, v43
	v_fma_f32 v45, -v42, v44, v41
	v_fmac_f32_e32 v44, v45, v43
	v_fma_f32 v41, -v42, v44, v41
	v_div_fmas_f32 v41, v41, v43, v44
	v_div_fixup_f32 v39, v41, v39, 1.0
	v_mul_f32_e32 v40, v40, v39
	v_pk_mul_f32 v[36:37], v[36:37], v[40:41] op_sel_hi:[1,0]
	v_pk_mul_f32 v[34:35], v[34:35], v[40:41] op_sel_hi:[1,0]
	v_cvt_f16_f32_e32 v36, v36
	v_cvt_f16_f32_e32 v34, v34
	;; [unrolled: 1-line block ×4, first 2 shown]
	s_waitcnt vmcnt(4)
	v_cvt_pk_f32_fp8_sdwa v[40:41], v30 src0_sel:WORD_1
	v_cvt_pk_f32_fp8_e32 v[42:43], v31
	v_pack_b32_f16 v34, v34, v35
	v_pack_b32_f16 v35, v36, v37
	v_cvt_pk_f32_fp8_e32 v[36:37], v30
	v_cvt_pk_f32_fp8_sdwa v[30:31], v31 src0_sel:WORD_1
	s_load_dword s4, s[14:15], 0x0
	v_cvt_pkrtz_f16_f32 v36, v36, v37
	v_cvt_pkrtz_f16_f32 v37, v40, v41
	;; [unrolled: 1-line block ×3, first 2 shown]
	v_cvt_pk_f32_fp8_e32 v[30:31], v32
	v_mfma_f32_4x4x4_16b_f16 a[0:3], v[34:35], v[36:37], 0 cbsz:4
	v_cvt_pk_f32_fp8_sdwa v[36:37], v32 src0_sel:WORD_1
	v_cvt_pkrtz_f16_f32 v40, v42, v43
	v_cvt_pkrtz_f16_f32 v30, v30, v31
	;; [unrolled: 1-line block ×3, first 2 shown]
	v_mfma_f32_4x4x4_16b_f16 a[0:3], v[34:35], v[40:41], a[0:3] cbsz:4 abid:1
	v_cvt_pk_f32_fp8_e32 v[40:41], v33
	v_cvt_pk_f32_fp8_sdwa v[32:33], v33 src0_sel:WORD_1
	v_mfma_f32_4x4x4_16b_f16 a[0:3], v[34:35], v[30:31], a[0:3] cbsz:4 abid:2
	v_cvt_pk_f32_fp8_e32 v[30:31], v22
	v_cvt_pkrtz_f16_f32 v36, v40, v41
	v_cvt_pkrtz_f16_f32 v37, v32, v33
	v_cvt_pk_f32_fp8_sdwa v[32:33], v22 src0_sel:WORD_1
	v_cvt_pkrtz_f16_f32 v30, v30, v31
	v_mfma_f32_4x4x4_16b_f16 a[0:3], v[34:35], v[36:37], a[0:3] cbsz:4 abid:3
	v_cvt_pk_f32_fp8_e32 v[36:37], v23
	v_cvt_pk_f32_fp8_sdwa v[22:23], v23 src0_sel:WORD_1
	v_cvt_pkrtz_f16_f32 v31, v32, v33
	v_cvt_pkrtz_f16_f32 v32, v36, v37
	v_cvt_pkrtz_f16_f32 v33, v22, v23
	v_mfma_f32_4x4x4_16b_f16 a[0:3], v[34:35], v[30:31], a[0:3] cbsz:4 abid:4
	v_cvt_pk_f32_fp8_e32 v[22:23], v24
	v_cvt_pk_f32_fp8_sdwa v[30:31], v24 src0_sel:WORD_1
	v_mfma_f32_4x4x4_16b_f16 a[0:3], v[34:35], v[32:33], a[0:3] cbsz:4 abid:5
	v_cvt_pk_f32_fp8_e32 v[32:33], v25
	v_cvt_pk_f32_fp8_sdwa v[24:25], v25 src0_sel:WORD_1
	v_cvt_pkrtz_f16_f32 v22, v22, v23
	v_cvt_pkrtz_f16_f32 v23, v30, v31
	v_cvt_pkrtz_f16_f32 v30, v32, v33
	v_cvt_pkrtz_f16_f32 v31, v24, v25
	v_mfma_f32_4x4x4_16b_f16 a[0:3], v[34:35], v[22:23], a[0:3] cbsz:4 abid:6
	v_cvt_pk_f32_fp8_e32 v[22:23], v14
	v_cvt_pk_f32_fp8_sdwa v[24:25], v14 src0_sel:WORD_1
	v_mfma_f32_4x4x4_16b_f16 a[0:3], v[34:35], v[30:31], a[0:3] cbsz:4 abid:7
	v_cvt_pk_f32_fp8_e32 v[30:31], v15
	v_cvt_pk_f32_fp8_sdwa v[14:15], v15 src0_sel:WORD_1
	v_cvt_pkrtz_f16_f32 v22, v22, v23
	;; [unrolled: 10-line block ×5, first 2 shown]
	v_cvt_pkrtz_f16_f32 v11, v14, v15
	v_cvt_pkrtz_f16_f32 v14, v16, v17
	v_cvt_pkrtz_f16_f32 v15, v12, v13
	v_mfma_f32_4x4x4_16b_f16 a[0:3], v[34:35], v[10:11], a[0:3] cbsz:4 abid:14
	s_waitcnt vmcnt(2)
	v_cvt_pk_f32_fp8_e32 v[16:17], v7
	v_mfma_f32_4x4x4_16b_f16 a[0:3], v[34:35], v[14:15], a[0:3] cbsz:4 abid:15
	v_cvt_pk_f32_fp8_sdwa v[14:15], v6 src0_sel:WORD_1
	s_nop 3
	v_accvgpr_read_b32 v11, a1
	v_accvgpr_read_b32 v10, a0
	s_waitcnt lgkmcnt(0)
	v_pk_mul_f32 v[10:11], v[10:11], s[4:5] op_sel_hi:[1,0]
	s_nop 0
	v_cvt_f16_f32_e32 v12, v10
	v_cvt_f16_f32_e32 v13, v11
	v_accvgpr_read_b32 v11, a3
	v_accvgpr_read_b32 v10, a2
	v_pk_mul_f32 v[10:11], v[10:11], s[4:5] op_sel_hi:[1,0]
	v_pack_b32_f16 v12, v12, v13
	v_cvt_f16_f32_e32 v13, v10
	v_cvt_f16_f32_e32 v22, v11
	v_cvt_pk_f32_fp8_e32 v[10:11], v6
	v_cvt_pk_f32_fp8_sdwa v[6:7], v7 src0_sel:WORD_1
	v_pack_b32_f16 v13, v13, v22
	v_cvt_pkrtz_f16_f32 v10, v10, v11
	v_cvt_pkrtz_f16_f32 v11, v14, v15
	;; [unrolled: 1-line block ×4, first 2 shown]
	v_mfma_f32_4x4x4_16b_f16 a[0:3], v[34:35], v[10:11], 0 cbsz:4
	v_cvt_pk_f32_fp8_e32 v[6:7], v8
	v_cvt_pk_f32_fp8_sdwa v[10:11], v8 src0_sel:WORD_1
	v_mfma_f32_4x4x4_16b_f16 a[0:3], v[34:35], v[14:15], a[0:3] cbsz:4 abid:1
	v_cvt_pk_f32_fp8_e32 v[14:15], v9
	v_cvt_pk_f32_fp8_sdwa v[8:9], v9 src0_sel:WORD_1
	v_cvt_pkrtz_f16_f32 v6, v6, v7
	v_cvt_pkrtz_f16_f32 v7, v10, v11
	v_cvt_pkrtz_f16_f32 v10, v14, v15
	v_cvt_pkrtz_f16_f32 v11, v8, v9
	v_mfma_f32_4x4x4_16b_f16 a[0:3], v[34:35], v[6:7], a[0:3] cbsz:4 abid:2
	v_cvt_pk_f32_fp8_e32 v[6:7], v2
	v_cvt_pk_f32_fp8_sdwa v[8:9], v2 src0_sel:WORD_1
	v_mfma_f32_4x4x4_16b_f16 a[0:3], v[34:35], v[10:11], a[0:3] cbsz:4 abid:3
	v_cvt_pk_f32_fp8_e32 v[10:11], v3
	v_cvt_pk_f32_fp8_sdwa v[2:3], v3 src0_sel:WORD_1
	v_cvt_pkrtz_f16_f32 v6, v6, v7
	v_cvt_pkrtz_f16_f32 v7, v8, v9
	v_cvt_pkrtz_f16_f32 v8, v10, v11
	v_cvt_pkrtz_f16_f32 v9, v2, v3
	v_mfma_f32_4x4x4_16b_f16 a[0:3], v[34:35], v[6:7], a[0:3] cbsz:4 abid:4
	;; [unrolled: 10-line block ×3, first 2 shown]
	s_waitcnt vmcnt(0)
	v_cvt_pk_f32_fp8_e32 v[2:3], v26
	v_cvt_pk_f32_fp8_sdwa v[4:5], v26 src0_sel:WORD_1
	v_mfma_f32_4x4x4_16b_f16 a[0:3], v[34:35], v[6:7], a[0:3] cbsz:4 abid:7
	v_cvt_pk_f32_fp8_e32 v[6:7], v27
	v_cvt_pk_f32_fp8_sdwa v[8:9], v27 src0_sel:WORD_1
	v_cvt_pkrtz_f16_f32 v2, v2, v3
	v_cvt_pkrtz_f16_f32 v3, v4, v5
	;; [unrolled: 1-line block ×4, first 2 shown]
	v_mfma_f32_4x4x4_16b_f16 a[0:3], v[34:35], v[2:3], a[0:3] cbsz:4 abid:8
	v_cvt_pk_f32_fp8_e32 v[2:3], v28
	v_cvt_pk_f32_fp8_e32 v[6:7], v29
	v_mfma_f32_4x4x4_16b_f16 a[0:3], v[34:35], v[4:5], a[0:3] cbsz:4 abid:9
	v_cvt_pk_f32_fp8_sdwa v[4:5], v28 src0_sel:WORD_1
	v_cvt_pk_f32_fp8_sdwa v[8:9], v29 src0_sel:WORD_1
	v_cvt_pkrtz_f16_f32 v2, v2, v3
	v_cvt_pkrtz_f16_f32 v3, v4, v5
	v_cvt_pkrtz_f16_f32 v4, v6, v7
	s_nop 0
	v_mfma_f32_4x4x4_16b_f16 a[0:3], v[34:35], v[2:3], a[0:3] cbsz:4 abid:10
	v_cvt_pkrtz_f16_f32 v5, v8, v9
	v_cvt_pk_f32_fp8_e32 v[2:3], v18
	v_cvt_pk_f32_fp8_e32 v[6:7], v19
	v_mfma_f32_4x4x4_16b_f16 a[0:3], v[34:35], v[4:5], a[0:3] cbsz:4 abid:11
	v_cvt_pk_f32_fp8_sdwa v[4:5], v18 src0_sel:WORD_1
	v_cvt_pk_f32_fp8_sdwa v[8:9], v19 src0_sel:WORD_1
	v_cvt_pkrtz_f16_f32 v2, v2, v3
	v_cvt_pkrtz_f16_f32 v3, v4, v5
	v_cvt_pkrtz_f16_f32 v4, v6, v7
	s_nop 0
	v_mfma_f32_4x4x4_16b_f16 a[0:3], v[34:35], v[2:3], a[0:3] cbsz:4 abid:12
	v_cvt_pkrtz_f16_f32 v5, v8, v9
	;; [unrolled: 11-line block ×3, first 2 shown]
	v_mad_u32_u24 v7, v1, 40, v38
	s_nop 0
	v_mfma_f32_4x4x4_16b_f16 a[0:3], v[34:35], v[4:5], a[0:3] cbsz:4 abid:15
	s_nop 4
	v_accvgpr_read_b32 v5, a1
	v_accvgpr_read_b32 v3, a3
	;; [unrolled: 1-line block ×4, first 2 shown]
	v_pk_mul_f32 v[2:3], v[2:3], s[4:5] op_sel_hi:[1,0]
	v_pk_mul_f32 v[4:5], v[4:5], s[4:5] op_sel_hi:[1,0]
	v_cvt_f16_f32_e32 v6, v2
	v_cvt_f16_f32_e32 v4, v4
	;; [unrolled: 1-line block ×4, first 2 shown]
	v_pack_b32_f16 v2, v4, v5
	v_pack_b32_f16 v3, v6, v3
	ds_write2st64_b64 v7, v[12:13], v[2:3] offset1:5
.LBB1070_23:
	s_or_b64 exec, exec, s[2:3]
	v_cmp_gt_u32_e32 vcc, 64, v0
	s_waitcnt lgkmcnt(0)
	s_barrier
	s_and_saveexec_b64 s[2:3], vcc
	s_cbranch_execz .LBB1070_25
; %bb.24:
	s_waitcnt vmcnt(2)
	v_mul_u32_u24_e32 v6, 40, v1
	ds_read2_b64 v[2:5], v6 offset1:1
	ds_read2_b64 v[6:9], v6 offset0:2 offset1:3
	s_mov_b32 s1, 0
	s_lshl_b32 s0, s0, 7
	s_lshl_b64 s[2:3], s[0:1], 1
	s_waitcnt lgkmcnt(1)
	v_pk_add_f16 v2, v2, 0
	v_pk_add_f16 v3, v3, 0
	v_pk_add_f16 v2, v2, v4
	v_pk_add_f16 v3, v3, v5
	s_waitcnt lgkmcnt(0)
	v_pk_add_f16 v2, v2, v6
	v_pk_add_f16 v6, v3, v7
	;; [unrolled: 1-line block ×3, first 2 shown]
	v_mov_b32_e32 v2, 0xa00
	v_mad_u32_u24 v2, v1, 40, v2
	ds_read2_b64 v[2:5], v2 offset1:1
	v_pk_add_f16 v11, v6, v9
	v_mov_b32_e32 v6, 0xa10
	v_mad_u32_u24 v1, v1, 40, v6
	ds_read2_b64 v[6:9], v1 offset1:1
	s_add_u32 s2, s26, s2
	s_addc_u32 s3, s27, s3
	s_lshl_b32 s0, s24, 7
	s_lshl_b64 s[0:1], s[0:1], 1
	s_waitcnt lgkmcnt(1)
	v_pk_add_f16 v1, v2, 0
	v_pk_add_f16 v2, v3, 0
	s_add_u32 s0, s2, s0
	v_pk_add_f16 v2, v2, v5
	s_addc_u32 s1, s3, s1
	s_lshl_b32 s2, s5, 7
	s_waitcnt lgkmcnt(0)
	v_pk_add_f16 v2, v2, v7
	s_mul_i32 s3, s2, s8
	v_pk_add_f16 v9, v2, v9
	v_or_b32_e32 v2, s3, v0
	v_mov_b32_e32 v3, 0
	s_add_i32 s3, s3, s2
	v_pk_add_f16 v1, v1, v4
	v_lshl_add_u64 v[4:5], v[2:3], 1, s[0:1]
	v_or_b32_e32 v2, s3, v0
	s_add_i32 s3, s3, s2
	v_pk_add_f16 v1, v1, v6
	v_lshl_add_u64 v[6:7], v[2:3], 1, s[0:1]
	v_or_b32_e32 v2, s3, v0
	v_pk_add_f16 v8, v1, v8
	v_lshl_add_u64 v[0:1], v[2:3], 1, s[0:1]
	global_store_short v[4:5], v10, off
	global_store_short_d16_hi v[6:7], v10, off
	global_store_short v[0:1], v11, off
	global_store_short v[4:5], v8, off offset:128
	global_store_short_d16_hi v[6:7], v8, off offset:128
	global_store_short v[0:1], v9, off offset:128
.LBB1070_25:
	s_endpgm
	.section	.rodata,"a",@progbits
	.p2align	6, 0x0
	.amdhsa_kernel _Z38paged_attention_ll4mi_QKV_mfma4_kernelIDF16_hLN4vllm18Fp8KVCacheDataTypeE1EDF16_Li32ELi128ELi256ELb0ELi3EEvPKT_PKT0_S7_ifPKiS9_S9_iPKfiiiPfSC_PS2_PT2_iSB_SB_
		.amdhsa_group_segment_fixed_size 5280
		.amdhsa_private_segment_fixed_size 0
		.amdhsa_kernarg_size 400
		.amdhsa_user_sgpr_count 2
		.amdhsa_user_sgpr_dispatch_ptr 0
		.amdhsa_user_sgpr_queue_ptr 0
		.amdhsa_user_sgpr_kernarg_segment_ptr 1
		.amdhsa_user_sgpr_dispatch_id 0
		.amdhsa_user_sgpr_kernarg_preload_length 0
		.amdhsa_user_sgpr_kernarg_preload_offset 0
		.amdhsa_user_sgpr_private_segment_size 0
		.amdhsa_uses_dynamic_stack 0
		.amdhsa_enable_private_segment 0
		.amdhsa_system_sgpr_workgroup_id_x 1
		.amdhsa_system_sgpr_workgroup_id_y 1
		.amdhsa_system_sgpr_workgroup_id_z 1
		.amdhsa_system_sgpr_workgroup_info 0
		.amdhsa_system_vgpr_workitem_id 0
		.amdhsa_next_free_vgpr 112
		.amdhsa_next_free_sgpr 42
		.amdhsa_accum_offset 108
		.amdhsa_reserve_vcc 1
		.amdhsa_float_round_mode_32 0
		.amdhsa_float_round_mode_16_64 0
		.amdhsa_float_denorm_mode_32 3
		.amdhsa_float_denorm_mode_16_64 3
		.amdhsa_dx10_clamp 1
		.amdhsa_ieee_mode 1
		.amdhsa_fp16_overflow 0
		.amdhsa_tg_split 0
		.amdhsa_exception_fp_ieee_invalid_op 0
		.amdhsa_exception_fp_denorm_src 0
		.amdhsa_exception_fp_ieee_div_zero 0
		.amdhsa_exception_fp_ieee_overflow 0
		.amdhsa_exception_fp_ieee_underflow 0
		.amdhsa_exception_fp_ieee_inexact 0
		.amdhsa_exception_int_div_zero 0
	.end_amdhsa_kernel
	.section	.text._Z38paged_attention_ll4mi_QKV_mfma4_kernelIDF16_hLN4vllm18Fp8KVCacheDataTypeE1EDF16_Li32ELi128ELi256ELb0ELi3EEvPKT_PKT0_S7_ifPKiS9_S9_iPKfiiiPfSC_PS2_PT2_iSB_SB_,"axG",@progbits,_Z38paged_attention_ll4mi_QKV_mfma4_kernelIDF16_hLN4vllm18Fp8KVCacheDataTypeE1EDF16_Li32ELi128ELi256ELb0ELi3EEvPKT_PKT0_S7_ifPKiS9_S9_iPKfiiiPfSC_PS2_PT2_iSB_SB_,comdat
.Lfunc_end1070:
	.size	_Z38paged_attention_ll4mi_QKV_mfma4_kernelIDF16_hLN4vllm18Fp8KVCacheDataTypeE1EDF16_Li32ELi128ELi256ELb0ELi3EEvPKT_PKT0_S7_ifPKiS9_S9_iPKfiiiPfSC_PS2_PT2_iSB_SB_, .Lfunc_end1070-_Z38paged_attention_ll4mi_QKV_mfma4_kernelIDF16_hLN4vllm18Fp8KVCacheDataTypeE1EDF16_Li32ELi128ELi256ELb0ELi3EEvPKT_PKT0_S7_ifPKiS9_S9_iPKfiiiPfSC_PS2_PT2_iSB_SB_
                                        ; -- End function
	.section	.AMDGPU.csdata,"",@progbits
; Kernel info:
; codeLenInByte = 5284
; NumSgprs: 48
; NumVgprs: 108
; NumAgprs: 4
; TotalNumVgprs: 112
; ScratchSize: 0
; MemoryBound: 0
; FloatMode: 240
; IeeeMode: 1
; LDSByteSize: 5280 bytes/workgroup (compile time only)
; SGPRBlocks: 5
; VGPRBlocks: 13
; NumSGPRsForWavesPerEU: 48
; NumVGPRsForWavesPerEU: 112
; AccumOffset: 108
; Occupancy: 4
; WaveLimiterHint : 1
; COMPUTE_PGM_RSRC2:SCRATCH_EN: 0
; COMPUTE_PGM_RSRC2:USER_SGPR: 2
; COMPUTE_PGM_RSRC2:TRAP_HANDLER: 0
; COMPUTE_PGM_RSRC2:TGID_X_EN: 1
; COMPUTE_PGM_RSRC2:TGID_Y_EN: 1
; COMPUTE_PGM_RSRC2:TGID_Z_EN: 1
; COMPUTE_PGM_RSRC2:TIDIG_COMP_CNT: 0
; COMPUTE_PGM_RSRC3_GFX90A:ACCUM_OFFSET: 26
; COMPUTE_PGM_RSRC3_GFX90A:TG_SPLIT: 0
	.section	.text._Z38paged_attention_ll4mi_QKV_mfma4_kernelIDF16_hLN4vllm18Fp8KVCacheDataTypeE1EDF16_Li32ELi128ELi256ELb0ELi4EEvPKT_PKT0_S7_ifPKiS9_S9_iPKfiiiPfSC_PS2_PT2_iSB_SB_,"axG",@progbits,_Z38paged_attention_ll4mi_QKV_mfma4_kernelIDF16_hLN4vllm18Fp8KVCacheDataTypeE1EDF16_Li32ELi128ELi256ELb0ELi4EEvPKT_PKT0_S7_ifPKiS9_S9_iPKfiiiPfSC_PS2_PT2_iSB_SB_,comdat
	.protected	_Z38paged_attention_ll4mi_QKV_mfma4_kernelIDF16_hLN4vllm18Fp8KVCacheDataTypeE1EDF16_Li32ELi128ELi256ELb0ELi4EEvPKT_PKT0_S7_ifPKiS9_S9_iPKfiiiPfSC_PS2_PT2_iSB_SB_ ; -- Begin function _Z38paged_attention_ll4mi_QKV_mfma4_kernelIDF16_hLN4vllm18Fp8KVCacheDataTypeE1EDF16_Li32ELi128ELi256ELb0ELi4EEvPKT_PKT0_S7_ifPKiS9_S9_iPKfiiiPfSC_PS2_PT2_iSB_SB_
	.globl	_Z38paged_attention_ll4mi_QKV_mfma4_kernelIDF16_hLN4vllm18Fp8KVCacheDataTypeE1EDF16_Li32ELi128ELi256ELb0ELi4EEvPKT_PKT0_S7_ifPKiS9_S9_iPKfiiiPfSC_PS2_PT2_iSB_SB_
	.p2align	8
	.type	_Z38paged_attention_ll4mi_QKV_mfma4_kernelIDF16_hLN4vllm18Fp8KVCacheDataTypeE1EDF16_Li32ELi128ELi256ELb0ELi4EEvPKT_PKT0_S7_ifPKiS9_S9_iPKfiiiPfSC_PS2_PT2_iSB_SB_,@function
_Z38paged_attention_ll4mi_QKV_mfma4_kernelIDF16_hLN4vllm18Fp8KVCacheDataTypeE1EDF16_Li32ELi128ELi256ELb0ELi4EEvPKT_PKT0_S7_ifPKiS9_S9_iPKfiiiPfSC_PS2_PT2_iSB_SB_: ; @_Z38paged_attention_ll4mi_QKV_mfma4_kernelIDF16_hLN4vllm18Fp8KVCacheDataTypeE1EDF16_Li32ELi128ELi256ELb0ELi4EEvPKT_PKT0_S7_ifPKiS9_S9_iPKfiiiPfSC_PS2_PT2_iSB_SB_
; %bb.0:
	s_load_dwordx2 s[8:9], s[0:1], 0x30
	s_mov_b32 s24, s3
	s_mov_b64 s[6:7], 0
	s_waitcnt lgkmcnt(0)
	s_cmp_lg_u64 s[8:9], 0
	s_cselect_b64 s[10:11], -1, 0
	s_and_b64 vcc, exec, s[10:11]
	s_cbranch_vccz .LBB1071_20
; %bb.1:
	s_add_i32 s12, s2, 1
	s_mov_b32 s13, 0
	s_lshl_b64 s[14:15], s[12:13], 2
	s_add_u32 s14, s8, s14
	s_mov_b32 s3, s13
	s_addc_u32 s15, s9, s15
	s_lshl_b64 s[12:13], s[2:3], 2
	s_add_u32 s12, s8, s12
	s_addc_u32 s13, s9, s13
	s_load_dword s5, s[14:15], 0x0
	s_load_dword s16, s[12:13], 0x0
	s_mov_b64 s[34:35], s[2:3]
	s_waitcnt lgkmcnt(0)
	s_sub_i32 s5, s5, s16
	s_cmp_eq_u32 s5, 1
	s_cselect_b64 s[12:13], -1, 0
	s_andn2_b64 vcc, exec, s[6:7]
	s_cbranch_vccnz .LBB1071_3
.LBB1071_2:
	s_mov_b32 s3, 0
	s_mov_b64 s[12:13], -1
	s_mov_b64 s[34:35], s[2:3]
.LBB1071_3:
	s_andn2_b64 vcc, exec, s[12:13]
	s_cbranch_vccnz .LBB1071_19
; %bb.4:
	s_load_dword s3, s[0:1], 0x9c
	s_load_dwordx2 s[6:7], s[0:1], 0x28
	s_add_u32 s28, s0, 0x90
	s_addc_u32 s29, s1, 0
	s_lshl_b64 s[40:41], s[34:35], 2
	s_waitcnt lgkmcnt(0)
	s_and_b32 s5, s3, 0xffff
	s_add_u32 s6, s6, s40
	s_addc_u32 s7, s7, s41
	s_load_dword s3, s[6:7], 0x0
	s_mul_i32 s20, s24, s5
	s_waitcnt lgkmcnt(0)
	s_cmp_ge_i32 s20, s3
	s_cbranch_scc1 .LBB1071_19
; %bb.5:
	v_and_b32_e32 v1, 0xc0, v0
	v_add_u32_e32 v4, s20, v1
	v_lshrrev_b32_e32 v38, 6, v0
	v_cmp_le_i32_e64 s[6:7], s3, v4
                                        ; implicit-def: $sgpr22
                                        ; implicit-def: $sgpr21
	s_and_saveexec_b64 s[12:13], s[6:7]
	s_xor_b64 s[12:13], exec, s[12:13]
	s_cbranch_execz .LBB1071_7
; %bb.6:
	v_mul_u32_u24_e32 v1, 20, v38
	v_or_b32_e32 v1, 0x1400, v1
	v_mov_b32_e32 v2, 0x1450
	v_mov_b32_e32 v3, 0xff7fffff
	v_mad_u32_u24 v2, v38, 20, v2
	ds_write2_b32 v1, v3, v3 offset1:1
	v_mov_b32_e32 v1, 0
	ds_write2_b32 v2, v1, v1 offset1:1
	v_mov_b32_e32 v2, 0x1408
	v_mov_b32_e32 v4, 0x1458
	s_mov_b32 s21, 0xff7fffff
	s_mov_b32 s22, 0
	v_mad_u32_u24 v2, v38, 20, v2
	v_mad_u32_u24 v4, v38, 20, v4
	ds_write2_b32 v2, v3, v3 offset1:1
	ds_write2_b32 v4, v1, v1 offset1:1
                                        ; implicit-def: $vgpr4
.LBB1071_7:
	s_or_saveexec_b64 s[30:31], s[12:13]
	s_load_dwordx2 s[26:27], s[0:1], 0x68
	s_load_dwordx4 s[16:19], s[0:1], 0x58
	s_load_dword s5, s[28:29], 0x4
	s_load_dwordx4 s[12:15], s[0:1], 0x80
	v_and_b32_e32 v1, 63, v0
	v_and_b32_e32 v39, 3, v0
	v_mov_b32_e32 v37, s22
	v_mov_b32_e32 v40, s21
	;; [unrolled: 1-line block ×5, first 2 shown]
                                        ; implicit-def: $vgpr30_vgpr31
                                        ; implicit-def: $vgpr26_vgpr27
                                        ; implicit-def: $vgpr22_vgpr23
                                        ; implicit-def: $vgpr18_vgpr19
                                        ; implicit-def: $vgpr14_vgpr15
                                        ; implicit-def: $vgpr6_vgpr7
                                        ; implicit-def: $vgpr10_vgpr11
                                        ; implicit-def: $vgpr2_vgpr3
	s_xor_b64 exec, exec, s[30:31]
	s_cbranch_execz .LBB1071_13
; %bb.8:
	s_load_dwordx2 s[22:23], s[0:1], 0x20
	s_load_dword s21, s[0:1], 0x38
	s_add_i32 s25, s3, 31
	s_ashr_i32 s33, s25, 31
	s_lshr_b32 s33, s33, 27
	v_add_u32_e32 v34, s20, v0
	s_add_i32 s25, s25, s33
	v_ashrrev_i32_e32 v2, 31, v34
	s_ashr_i32 s25, s25, 5
	v_lshrrev_b32_e32 v2, 27, v2
	s_add_i32 s25, s25, -1
	s_waitcnt lgkmcnt(0)
	s_mul_i32 s36, s2, s21
	s_mov_b32 s37, 0
	v_add_u32_e32 v2, v34, v2
	s_lshl_b64 s[38:39], s[36:37], 2
	v_ashrrev_i32_e32 v2, 5, v2
	v_mov_b32_e32 v3, s25
	v_cmp_gt_i32_e32 vcc, s3, v34
	s_add_u32 s22, s22, s38
	s_addc_u32 s23, s23, s39
	v_cndmask_b32_e32 v2, v3, v2, vcc
	v_ashrrev_i32_e32 v3, 31, v2
	v_lshl_add_u64 v[6:7], v[2:3], 2, s[22:23]
	v_ashrrev_i32_e32 v2, 31, v4
	v_lshrrev_b32_e32 v2, 27, v2
	v_add_u32_e32 v2, v4, v2
	v_ashrrev_i32_e32 v4, 5, v2
	v_min_i32_e32 v2, s25, v4
	v_ashrrev_i32_e32 v3, 31, v2
	v_lshl_add_u64 v[8:9], v[2:3], 2, s[22:23]
	v_add_u32_e32 v2, 1, v4
	v_min_i32_e32 v2, s25, v2
	v_ashrrev_i32_e32 v3, 31, v2
	v_lshl_add_u64 v[10:11], v[2:3], 2, s[22:23]
	global_load_dword v4, v[6:7], off
	global_load_dword v2, v[8:9], off
	;; [unrolled: 1-line block ×3, first 2 shown]
	s_load_dwordx4 s[20:23], s[0:1], 0x0
	s_load_dwordx2 s[38:39], s[0:1], 0x10
	s_andn2_b64 vcc, exec, s[10:11]
	s_cbranch_vccnz .LBB1071_10
; %bb.9:
	s_add_u32 s8, s8, s40
	s_addc_u32 s9, s9, s41
	s_load_dword s36, s[8:9], 0x0
	s_waitcnt lgkmcnt(0)
	s_mov_b64 s[34:35], s[36:37]
.LBB1071_10:
	s_load_dwordx4 s[8:11], s[0:1], 0x48
	s_waitcnt lgkmcnt(0)
	s_load_dword s11, s[0:1], 0x1c
                                        ; kill: killed $sgpr0 killed $sgpr1
	v_mov_b32_e32 v17, 0
	v_mov_b32_e32 v21, v17
	v_cmp_eq_u32_e32 vcc, 0, v39
	s_ashr_i32 s1, s8, 31
	s_mul_hi_u32 s25, s34, s8
	s_mul_i32 s1, s34, s1
	s_mul_i32 s33, s35, s8
	s_add_i32 s1, s25, s1
	s_mul_i32 s0, s34, s8
	s_add_i32 s1, s1, s33
	s_lshl_b64 s[0:1], s[0:1], 1
	s_add_u32 s8, s20, s0
	s_addc_u32 s20, s21, s1
	s_lshl_b32 s36, s4, 9
	s_lshl_b64 s[0:1], s[36:37], 1
	s_add_u32 s0, s8, s0
	s_addc_u32 s1, s20, s1
	s_mul_i32 s8, s4, s10
	s_add_u32 s20, s8, s22
	s_addc_u32 s21, 0, s23
	v_mov_b64_e32 v[6:7], s[20:21]
	s_waitcnt vmcnt(2)
	v_mad_i64_i32 v[4:5], s[20:21], v4, s9, v[6:7]
	v_lshlrev_b32_e32 v6, 4, v0
	v_and_b32_e32 v16, 0x1f0, v6
	v_lshl_add_u64 v[18:19], v[4:5], 0, v[16:17]
	global_load_dwordx4 v[4:7], v[18:19], off
	global_load_dwordx4 v[8:11], v[18:19], off offset:512
	global_load_dwordx4 v[12:15], v[18:19], off offset:1024
	v_lshlrev_b32_e32 v16, 2, v1
	v_and_b32_e32 v16, 0xf0, v16
	v_lshl_or_b32 v16, v39, 8, v16
	global_load_dwordx4 v[40:43], v16, s[0:1]
	global_load_dwordx4 v[44:47], v[18:19], off offset:1536
	global_load_dwordx4 v[48:51], v[18:19], off offset:2048
	;; [unrolled: 1-line block ×5, first 2 shown]
	s_waitcnt vmcnt(9)
	v_mul_hi_i32 v20, v3, s9
	v_mul_hi_i32 v16, v2, s9
	v_ashrrev_i32_e32 v20, 31, v20
	v_ashrrev_i32_e32 v16, 31, v16
	v_lshrrev_b32_e32 v20, 29, v20
	v_mad_i64_i32 v[20:21], s[0:1], v3, s9, v[20:21]
	v_lshrrev_b32_e32 v16, 29, v16
	s_add_u32 s0, s38, s8
	v_mad_i64_i32 v[2:3], s[8:9], v2, s9, v[16:17]
	v_and_b32_e32 v20, -8, v20
	s_addc_u32 s1, s39, 0
	v_and_b32_e32 v2, -8, v2
	v_lshl_add_u64 v[20:21], s[0:1], 0, v[20:21]
	v_lshlrev_b32_e32 v16, 5, v1
	v_lshl_add_u64 v[2:3], s[0:1], 0, v[2:3]
	v_lshl_add_u64 v[36:37], v[20:21], 0, v[16:17]
	;; [unrolled: 1-line block ×3, first 2 shown]
	s_waitcnt lgkmcnt(0)
	v_mov_b32_e32 v35, s11
	s_waitcnt vmcnt(8)
	v_cvt_pk_f32_fp8_e32 v[16:17], v4
	v_cvt_pk_f32_fp8_sdwa v[20:21], v4 src0_sel:WORD_1
	v_cvt_pk_f32_fp8_e32 v[22:23], v5
	v_cvt_pk_f32_fp8_sdwa v[4:5], v5 src0_sel:WORD_1
	;; [unrolled: 2-line block ×3, first 2 shown]
	s_waitcnt vmcnt(6)
	v_cvt_pk_f32_fp8_e32 v[78:79], v14
	v_cvt_pk_f32_fp8_sdwa v[80:81], v14 src0_sel:WORD_1
	v_cvt_pk_f32_fp8_e32 v[82:83], v15
	v_cvt_pk_f32_fp8_sdwa v[84:85], v15 src0_sel:WORD_1
	v_cvt_pkrtz_f16_f32 v14, v16, v17
	v_cvt_pkrtz_f16_f32 v15, v20, v21
	v_cvt_pk_f32_fp8_e32 v[28:29], v7
	v_cvt_pk_f32_fp8_sdwa v[6:7], v7 src0_sel:WORD_1
	s_waitcnt vmcnt(5)
	v_mfma_f32_4x4x4_16b_f16 a[0:3], v[40:41], v[14:15], 0 cbsz:4
	v_cvt_pkrtz_f16_f32 v16, v22, v23
	v_cvt_pkrtz_f16_f32 v17, v4, v5
	v_cvt_pk_f32_fp8_e32 v[30:31], v8
	v_cvt_pk_f32_fp8_sdwa v[32:33], v8 src0_sel:WORD_1
	v_mfma_f32_4x4x4_16b_f16 a[0:3], v[42:43], v[16:17], a[0:3] cbsz:4
	v_cvt_pkrtz_f16_f32 v4, v24, v25
	v_cvt_pkrtz_f16_f32 v5, v26, v27
	v_cvt_pk_f32_fp8_e32 v[64:65], v9
	v_cvt_pk_f32_fp8_sdwa v[8:9], v9 src0_sel:WORD_1
	v_mfma_f32_4x4x4_16b_f16 a[0:3], v[40:41], v[4:5], a[0:3] cbsz:4 abid:1
	v_cvt_pkrtz_f16_f32 v86, v28, v29
	v_cvt_pkrtz_f16_f32 v87, v6, v7
	v_cvt_pk_f32_fp8_e32 v[66:67], v10
	v_cvt_pk_f32_fp8_sdwa v[68:69], v10 src0_sel:WORD_1
	v_mfma_f32_4x4x4_16b_f16 a[0:3], v[42:43], v[86:87], a[0:3] cbsz:4 abid:1
	;; [unrolled: 5-line block ×5, first 2 shown]
	v_cvt_pkrtz_f16_f32 v68, v70, v71
	v_cvt_pkrtz_f16_f32 v69, v10, v11
	;; [unrolled: 1-line block ×4, first 2 shown]
	v_mfma_f32_4x4x4_16b_f16 a[0:3], v[42:43], v[68:69], a[0:3] cbsz:4 abid:3
	v_cvt_pkrtz_f16_f32 v72, v76, v77
	v_cvt_pkrtz_f16_f32 v73, v12, v13
	v_mfma_f32_4x4x4_16b_f16 a[0:3], v[40:41], v[10:11], a[0:3] cbsz:4 abid:4
	v_cvt_pkrtz_f16_f32 v12, v78, v79
	v_cvt_pkrtz_f16_f32 v13, v80, v81
	v_mfma_f32_4x4x4_16b_f16 a[0:3], v[42:43], v[72:73], a[0:3] cbsz:4 abid:4
	global_load_dwordx4 v[18:21], v[36:37], off offset:16
	global_load_dwordx4 v[22:25], v[36:37], off
	global_load_dwordx4 v[26:29], v[2:3], off offset:16
	global_load_dwordx4 v[30:33], v[2:3], off
	global_load_dwordx4 v[6:9], v[2:3], off offset:2064
	global_load_dwordx4 v[14:17], v[2:3], off offset:2048
	s_waitcnt vmcnt(10)
	v_cvt_pk_f32_fp8_e32 v[2:3], v44
	v_cvt_pk_f32_fp8_sdwa v[4:5], v44 src0_sel:WORD_1
	v_mfma_f32_4x4x4_16b_f16 a[0:3], v[40:41], v[12:13], a[0:3] cbsz:4 abid:5
	v_cvt_pkrtz_f16_f32 v10, v82, v83
	v_cvt_pkrtz_f16_f32 v11, v84, v85
	v_cvt_pk_f32_fp8_e32 v[70:71], v45
	v_cvt_pkrtz_f16_f32 v2, v2, v3
	v_mfma_f32_4x4x4_16b_f16 a[0:3], v[42:43], v[10:11], a[0:3] cbsz:4 abid:5
	v_cvt_pk_f32_fp8_sdwa v[10:11], v45 src0_sel:WORD_1
	v_cvt_pkrtz_f16_f32 v3, v4, v5
	v_cvt_pk_f32_fp8_e32 v[44:45], v46
	v_cvt_pk_f32_fp8_sdwa v[64:65], v46 src0_sel:WORD_1
	v_mfma_f32_4x4x4_16b_f16 a[0:3], v[40:41], v[2:3], a[0:3] cbsz:4 abid:6
	v_cvt_pkrtz_f16_f32 v4, v70, v71
	v_cvt_pkrtz_f16_f32 v5, v10, v11
	v_cvt_pk_f32_fp8_e32 v[66:67], v47
	v_cvt_pk_f32_fp8_sdwa v[46:47], v47 src0_sel:WORD_1
	v_mfma_f32_4x4x4_16b_f16 a[0:3], v[42:43], v[4:5], a[0:3] cbsz:4 abid:6
	global_load_dwordx4 v[2:5], v[36:37], off offset:2064
	global_load_dwordx4 v[10:13], v[36:37], off offset:2048
	v_cvt_pkrtz_f16_f32 v36, v44, v45
	v_cvt_pkrtz_f16_f32 v37, v64, v65
	;; [unrolled: 1-line block ×4, first 2 shown]
	v_mfma_f32_4x4x4_16b_f16 a[0:3], v[40:41], v[36:37], a[0:3] cbsz:4 abid:7
	s_waitcnt vmcnt(11)
	v_cvt_pk_f32_fp8_e32 v[36:37], v48
	v_cvt_pk_f32_fp8_e32 v[46:47], v49
	v_mfma_f32_4x4x4_16b_f16 a[0:3], v[42:43], v[44:45], a[0:3] cbsz:4 abid:7
	v_cvt_pk_f32_fp8_sdwa v[44:45], v48 src0_sel:WORD_1
	v_cvt_pk_f32_fp8_sdwa v[48:49], v49 src0_sel:WORD_1
	v_cvt_pkrtz_f16_f32 v36, v36, v37
	s_load_dword s0, s[12:13], 0x0
	v_cvt_pkrtz_f16_f32 v37, v44, v45
	v_cvt_pkrtz_f16_f32 v44, v46, v47
	;; [unrolled: 1-line block ×3, first 2 shown]
	v_mfma_f32_4x4x4_16b_f16 a[0:3], v[40:41], v[36:37], a[0:3] cbsz:4 abid:8
	v_cvt_pk_f32_fp8_e32 v[36:37], v50
	v_cvt_pk_f32_fp8_e32 v[46:47], v51
	v_mfma_f32_4x4x4_16b_f16 a[0:3], v[42:43], v[44:45], a[0:3] cbsz:4 abid:8
	v_cvt_pk_f32_fp8_sdwa v[44:45], v50 src0_sel:WORD_1
	v_cvt_pk_f32_fp8_sdwa v[48:49], v51 src0_sel:WORD_1
	v_cvt_pkrtz_f16_f32 v36, v36, v37
	v_cvt_pkrtz_f16_f32 v37, v44, v45
	v_cvt_pkrtz_f16_f32 v44, v46, v47
	s_nop 0
	v_mfma_f32_4x4x4_16b_f16 a[0:3], v[40:41], v[36:37], a[0:3] cbsz:4 abid:9
	v_cvt_pkrtz_f16_f32 v45, v48, v49
	s_waitcnt vmcnt(10)
	v_cvt_pk_f32_fp8_e32 v[36:37], v52
	v_cvt_pk_f32_fp8_e32 v[46:47], v53
	v_mfma_f32_4x4x4_16b_f16 a[0:3], v[42:43], v[44:45], a[0:3] cbsz:4 abid:9
	v_cvt_pk_f32_fp8_sdwa v[44:45], v52 src0_sel:WORD_1
	v_cvt_pk_f32_fp8_sdwa v[48:49], v53 src0_sel:WORD_1
	v_cvt_pkrtz_f16_f32 v36, v36, v37
	v_cvt_pkrtz_f16_f32 v37, v44, v45
	v_cvt_pkrtz_f16_f32 v44, v46, v47
	s_nop 0
	v_mfma_f32_4x4x4_16b_f16 a[0:3], v[40:41], v[36:37], a[0:3] cbsz:4 abid:10
	v_cvt_pkrtz_f16_f32 v45, v48, v49
	v_cvt_pk_f32_fp8_e32 v[36:37], v54
	v_cvt_pk_f32_fp8_e32 v[46:47], v55
	v_mfma_f32_4x4x4_16b_f16 a[0:3], v[42:43], v[44:45], a[0:3] cbsz:4 abid:10
	v_cvt_pk_f32_fp8_sdwa v[44:45], v54 src0_sel:WORD_1
	v_cvt_pk_f32_fp8_sdwa v[48:49], v55 src0_sel:WORD_1
	v_cvt_pkrtz_f16_f32 v36, v36, v37
	v_cvt_pkrtz_f16_f32 v37, v44, v45
	v_cvt_pkrtz_f16_f32 v44, v46, v47
	s_nop 0
	v_mfma_f32_4x4x4_16b_f16 a[0:3], v[40:41], v[36:37], a[0:3] cbsz:4 abid:11
	v_cvt_pkrtz_f16_f32 v45, v48, v49
	s_waitcnt vmcnt(9)
	v_cvt_pk_f32_fp8_e32 v[36:37], v56
	v_cvt_pk_f32_fp8_e32 v[46:47], v57
	v_mfma_f32_4x4x4_16b_f16 a[0:3], v[42:43], v[44:45], a[0:3] cbsz:4 abid:11
	v_cvt_pk_f32_fp8_sdwa v[44:45], v56 src0_sel:WORD_1
	v_cvt_pk_f32_fp8_sdwa v[48:49], v57 src0_sel:WORD_1
	v_cvt_pkrtz_f16_f32 v36, v36, v37
	v_cvt_pkrtz_f16_f32 v37, v44, v45
	v_cvt_pkrtz_f16_f32 v44, v46, v47
	s_nop 0
	v_mfma_f32_4x4x4_16b_f16 a[0:3], v[40:41], v[36:37], a[0:3] cbsz:4 abid:12
	v_cvt_pkrtz_f16_f32 v45, v48, v49
	;; [unrolled: 23-line block ×3, first 2 shown]
	v_cvt_pk_f32_fp8_e32 v[36:37], v62
	v_cvt_pk_f32_fp8_e32 v[46:47], v63
	v_mfma_f32_4x4x4_16b_f16 a[0:3], v[42:43], v[44:45], a[0:3] cbsz:4 abid:14
	v_cvt_pk_f32_fp8_sdwa v[44:45], v62 src0_sel:WORD_1
	v_cvt_pk_f32_fp8_sdwa v[48:49], v63 src0_sel:WORD_1
	v_cvt_pkrtz_f16_f32 v36, v36, v37
	v_cvt_pkrtz_f16_f32 v37, v44, v45
	;; [unrolled: 1-line block ×3, first 2 shown]
	s_nop 0
	v_mfma_f32_4x4x4_16b_f16 a[0:3], v[40:41], v[36:37], a[0:3] cbsz:4 abid:15
	v_cvt_pkrtz_f16_f32 v45, v48, v49
	s_waitcnt lgkmcnt(0)
	v_mul_f32_e32 v40, s0, v35
	v_cndmask_b32_e64 v35, 0, 1.0, vcc
	v_mfma_f32_4x4x4_16b_f16 a[0:3], v[42:43], v[44:45], a[0:3] cbsz:4 abid:15
	v_cmp_eq_u32_e32 vcc, 1, v39
	s_nop 3
	v_accvgpr_read_b32 v43, a1
	v_accvgpr_read_b32 v42, a0
	v_pk_mul_f32 v[42:43], v[42:43], v[40:41] op_sel_hi:[1,0]
	v_accvgpr_read_b32 v37, a3
	v_accvgpr_read_b32 v36, a2
	v_pk_mul_f32 v[36:37], v[36:37], v[40:41] op_sel_hi:[1,0]
	v_mfma_f32_4x4x1_16b_f32 a[0:3], v42, v35, 0
	v_cndmask_b32_e64 v35, 0, 1.0, vcc
	v_cmp_eq_u32_e32 vcc, 2, v39
	v_mov_b32_e32 v41, 0xff7fffff
	v_mfma_f32_4x4x1_16b_f32 a[0:3], v43, v35, a[0:3]
	v_cndmask_b32_e64 v35, 0, 1.0, vcc
	v_cmp_eq_u32_e32 vcc, 3, v39
	s_nop 0
	v_mfma_f32_4x4x1_16b_f32 a[0:3], v36, v35, a[0:3]
	v_cndmask_b32_e64 v35, 0, 1.0, vcc
	v_lshlrev_b32_e32 v36, 2, v0
	v_and_or_b32 v36, v36, 48, v39
	v_mfma_f32_4x4x1_16b_f32 a[0:3], v37, v35, a[0:3]
	v_and_b32_e32 v35, -4, v34
	v_cmp_gt_i32_e32 vcc, s3, v35
	v_or_b32_e32 v34, 3, v34
	v_cmp_gt_i32_e64 s[10:11], s3, v34
	v_accvgpr_read_b32 v37, a0
	v_max_f32_e32 v40, v37, v37
	v_max_f32_e32 v40, 0xff7fffff, v40
	v_accvgpr_read_b32 v42, a1
	v_cndmask_b32_e32 v40, v41, v40, vcc
	v_or_b32_e32 v41, 1, v35
	v_max_f32_e32 v43, v42, v42
	v_max_f32_e32 v43, v40, v43
	v_cmp_gt_i32_e64 s[0:1], s3, v41
	v_accvgpr_read_b32 v41, a2
	v_or_b32_e32 v35, 2, v35
	v_cndmask_b32_e64 v40, v40, v43, s[0:1]
	v_max_f32_e32 v43, v41, v41
	v_max_f32_e32 v43, v40, v43
	v_cmp_gt_i32_e64 s[8:9], s3, v35
	v_lshlrev_b32_e32 v44, 2, v36
	s_nop 0
	v_cndmask_b32_e64 v35, v40, v43, s[8:9]
	v_accvgpr_read_b32 v43, a3
	v_max_f32_e32 v40, v43, v43
	v_max_f32_e32 v40, v35, v40
	v_cndmask_b32_e64 v34, v35, v40, s[10:11]
	;;#ASMSTART
	v_nop
 v_nop
 v_max_f32_dpp v34, v34, v34 row_ror:4
	;;#ASMEND
	s_nop 0
	;;#ASMSTART
	v_nop
 v_nop
 v_max_f32_dpp v34, v34, v34 row_ror:8
	;;#ASMEND
	ds_bpermute_b32 v34, v44, v34
	s_waitcnt lgkmcnt(0)
	;;#ASMSTART
	v_nop
 v_nop
 v_max_f32_dpp v34, v34, v34 row_ror:4
	;;#ASMEND
	s_nop 0
	;;#ASMSTART
	v_nop
 v_nop
 v_max_f32_dpp v40, v34, v34 row_ror:8
	;;#ASMEND
	s_nop 0
	v_sub_f32_e32 v34, v37, v40
	v_mul_f32_e32 v34, 0x3fb8aa3b, v34
	v_sub_f32_e32 v35, v42, v40
	v_exp_f32_e32 v34, v34
	v_mul_f32_e32 v35, 0x3fb8aa3b, v35
	v_sub_f32_e32 v37, v41, v40
	v_exp_f32_e32 v35, v35
	;; [unrolled: 3-line block ×3, first 2 shown]
	v_mul_f32_e32 v41, 0x3fb8aa3b, v41
	v_exp_f32_e32 v41, v41
	v_cndmask_b32_e32 v34, 0, v34, vcc
	v_add_f32_e32 v36, 0, v34
	v_cndmask_b32_e64 v35, 0, v35, s[0:1]
	v_add_f32_e32 v42, v36, v35
	v_cndmask_b32_e64 v36, 0, v37, s[8:9]
	;; [unrolled: 2-line block ×3, first 2 shown]
	v_add_f32_e32 v41, v42, v37
	;;#ASMSTART
	v_nop
 v_nop
 v_add_f32_dpp v41, v41, v41 row_ror:4
	;;#ASMEND
	v_cmp_gt_u32_e32 vcc, 4, v1
	;;#ASMSTART
	v_nop
 v_nop
 v_add_f32_dpp v41, v41, v41 row_ror:8
	;;#ASMEND
	ds_bpermute_b32 v41, v44, v41
	s_waitcnt lgkmcnt(0)
	;;#ASMSTART
	v_nop
 v_nop
 v_add_f32_dpp v41, v41, v41 row_ror:4
	;;#ASMEND
	s_nop 0
	;;#ASMSTART
	v_nop
 v_nop
 v_add_f32_dpp v41, v41, v41 row_ror:8
	;;#ASMEND
	s_and_saveexec_b64 s[0:1], vcc
	s_cbranch_execz .LBB1071_12
; %bb.11:
	v_mul_u32_u24_e32 v42, 20, v38
	v_lshl_add_u32 v42, v39, 2, v42
	v_add_u32_e32 v42, 0x1400, v42
	ds_write2_b32 v42, v40, v41 offset1:20
.LBB1071_12:
	s_or_b64 exec, exec, s[0:1]
.LBB1071_13:
	s_or_b64 exec, exec, s[30:31]
	v_lshlrev_b32_e32 v41, 2, v39
	v_add_u32_e32 v48, 0x1400, v41
	s_waitcnt lgkmcnt(0)
	s_barrier
	s_load_dword s0, s[28:29], 0x8
	ds_read2_b32 v[42:43], v48 offset1:5
	ds_read2_b32 v[44:45], v48 offset0:10 offset1:15
	s_mov_b32 s10, 0xff7fffff
	s_mul_i32 s1, s2, s5
	ds_read2_b32 v[46:47], v48 offset0:20 offset1:25
	s_waitcnt lgkmcnt(0)
	v_max3_f32 v41, v42, s10, v43
	v_max3_f32 v41, v41, v44, v45
	s_mul_i32 s1, s1, s0
	v_sub_f32_e32 v42, v42, v41
	s_lshl_b32 s0, s1, 2
	s_mov_b32 s1, 0
	v_mul_f32_e32 v42, 0x3fb8aa3b, v42
	v_sub_f32_e32 v43, v43, v41
	s_lshl_b32 s8, s4, 2
	s_lshl_b64 s[2:3], s[0:1], 2
	v_exp_f32_e32 v42, v42
	v_mul_f32_e32 v43, 0x3fb8aa3b, v43
	v_sub_f32_e32 v44, v44, v41
	s_add_u32 s4, s16, s2
	v_exp_f32_e32 v43, v43
	ds_read2_b32 v[48:49], v48 offset0:30 offset1:35
	v_mul_f32_e32 v44, 0x3fb8aa3b, v44
	v_sub_f32_e32 v45, v45, v41
	s_addc_u32 s9, s17, s3
	v_exp_f32_e32 v44, v44
	v_mul_f32_e32 v45, 0x3fb8aa3b, v45
	s_mov_b32 s25, s1
	s_add_u32 s10, s18, s2
	v_exp_f32_e32 v45, v45
	s_addc_u32 s11, s19, s3
	s_lshl_b64 s[2:3], s[24:25], 2
	v_fma_f32 v42, v42, v46, 0
	s_add_u32 s10, s10, s2
	v_fmac_f32_e32 v42, v43, v47
	s_addc_u32 s11, s11, s3
	s_waitcnt lgkmcnt(0)
	v_fmac_f32_e32 v42, v44, v48
	v_or_b32_e32 v39, s8, v39
	v_fmac_f32_e32 v42, v45, v49
	s_add_u32 s2, s4, s2
	v_mul_lo_u32 v44, s5, v39
	v_mov_b32_e32 v45, 0
	s_addc_u32 s3, s9, s3
	v_lshlrev_b64 v[44:45], 2, v[44:45]
	v_lshl_add_u64 v[46:47], s[10:11], 0, v[44:45]
	v_lshl_add_u64 v[44:45], s[2:3], 0, v[44:45]
	v_lshlrev_b32_e32 v38, 3, v38
	global_store_dword v[46:47], v41, off
	global_store_dword v[44:45], v42, off
	s_and_saveexec_b64 s[2:3], s[6:7]
	s_xor_b64 s[2:3], exec, s[2:3]
	s_cbranch_execz .LBB1071_15
; %bb.14:
	s_mov_b32 s6, s1
	s_mov_b32 s7, s1
	s_waitcnt vmcnt(3)
	v_mad_u32_u24 v4, v1, 40, v38
	v_mov_b64_e32 v[2:3], s[6:7]
	ds_write2st64_b64 v4, v[2:3], v[2:3] offset1:5
                                        ; implicit-def: $vgpr37
                                        ; implicit-def: $vgpr35
                                        ; implicit-def: $vgpr40
                                        ; implicit-def: $vgpr30_vgpr31
                                        ; implicit-def: $vgpr26_vgpr27
                                        ; implicit-def: $vgpr22_vgpr23
                                        ; implicit-def: $vgpr18_vgpr19
                                        ; implicit-def: $vgpr14_vgpr15
                                        ; implicit-def: $vgpr6_vgpr7
                                        ; implicit-def: $vgpr10_vgpr11
                                        ; implicit-def: $vgpr2_vgpr3
                                        ; implicit-def: $vgpr41
                                        ; implicit-def: $vgpr42
                                        ; implicit-def: $vgpr38
.LBB1071_15:
	s_andn2_saveexec_b64 s[2:3], s[2:3]
	s_cbranch_execz .LBB1071_17
; %bb.16:
	v_add_f32_e32 v39, 0x358637bd, v42
	v_div_scale_f32 v42, s[6:7], v39, v39, 1.0
	v_rcp_f32_e32 v43, v42
	v_sub_f32_e32 v40, v40, v41
	v_mul_f32_e32 v40, 0x3fb8aa3b, v40
	v_exp_f32_e32 v40, v40
	v_fma_f32 v41, -v42, v43, 1.0
	v_fmac_f32_e32 v43, v41, v43
	v_div_scale_f32 v41, vcc, 1.0, v39, 1.0
	v_mul_f32_e32 v44, v41, v43
	v_fma_f32 v45, -v42, v44, v41
	v_fmac_f32_e32 v44, v45, v43
	v_fma_f32 v41, -v42, v44, v41
	v_div_fmas_f32 v41, v41, v43, v44
	v_div_fixup_f32 v39, v41, v39, 1.0
	v_mul_f32_e32 v40, v40, v39
	v_pk_mul_f32 v[36:37], v[36:37], v[40:41] op_sel_hi:[1,0]
	v_pk_mul_f32 v[34:35], v[34:35], v[40:41] op_sel_hi:[1,0]
	v_cvt_f16_f32_e32 v36, v36
	v_cvt_f16_f32_e32 v34, v34
	;; [unrolled: 1-line block ×4, first 2 shown]
	s_waitcnt vmcnt(6)
	v_cvt_pk_f32_fp8_sdwa v[40:41], v30 src0_sel:WORD_1
	v_cvt_pk_f32_fp8_e32 v[42:43], v31
	v_pack_b32_f16 v34, v34, v35
	v_pack_b32_f16 v35, v36, v37
	v_cvt_pk_f32_fp8_e32 v[36:37], v30
	v_cvt_pk_f32_fp8_sdwa v[30:31], v31 src0_sel:WORD_1
	s_load_dword s4, s[14:15], 0x0
	v_cvt_pkrtz_f16_f32 v36, v36, v37
	v_cvt_pkrtz_f16_f32 v37, v40, v41
	;; [unrolled: 1-line block ×3, first 2 shown]
	v_cvt_pk_f32_fp8_e32 v[30:31], v32
	v_mfma_f32_4x4x4_16b_f16 a[0:3], v[34:35], v[36:37], 0 cbsz:4
	v_cvt_pk_f32_fp8_sdwa v[36:37], v32 src0_sel:WORD_1
	v_cvt_pkrtz_f16_f32 v40, v42, v43
	v_cvt_pkrtz_f16_f32 v30, v30, v31
	;; [unrolled: 1-line block ×3, first 2 shown]
	v_mfma_f32_4x4x4_16b_f16 a[0:3], v[34:35], v[40:41], a[0:3] cbsz:4 abid:1
	v_cvt_pk_f32_fp8_e32 v[40:41], v33
	v_cvt_pk_f32_fp8_sdwa v[32:33], v33 src0_sel:WORD_1
	v_mfma_f32_4x4x4_16b_f16 a[0:3], v[34:35], v[30:31], a[0:3] cbsz:4 abid:2
	v_cvt_pk_f32_fp8_e32 v[30:31], v26
	v_cvt_pkrtz_f16_f32 v36, v40, v41
	v_cvt_pkrtz_f16_f32 v37, v32, v33
	v_cvt_pk_f32_fp8_sdwa v[32:33], v26 src0_sel:WORD_1
	v_cvt_pkrtz_f16_f32 v30, v30, v31
	v_mfma_f32_4x4x4_16b_f16 a[0:3], v[34:35], v[36:37], a[0:3] cbsz:4 abid:3
	v_cvt_pk_f32_fp8_e32 v[36:37], v27
	v_cvt_pk_f32_fp8_sdwa v[26:27], v27 src0_sel:WORD_1
	v_cvt_pkrtz_f16_f32 v31, v32, v33
	v_cvt_pkrtz_f16_f32 v32, v36, v37
	v_cvt_pkrtz_f16_f32 v33, v26, v27
	v_mfma_f32_4x4x4_16b_f16 a[0:3], v[34:35], v[30:31], a[0:3] cbsz:4 abid:4
	v_cvt_pk_f32_fp8_e32 v[26:27], v28
	v_cvt_pk_f32_fp8_sdwa v[30:31], v28 src0_sel:WORD_1
	v_mfma_f32_4x4x4_16b_f16 a[0:3], v[34:35], v[32:33], a[0:3] cbsz:4 abid:5
	v_cvt_pk_f32_fp8_e32 v[32:33], v29
	v_cvt_pk_f32_fp8_sdwa v[28:29], v29 src0_sel:WORD_1
	v_cvt_pkrtz_f16_f32 v26, v26, v27
	v_cvt_pkrtz_f16_f32 v27, v30, v31
	v_cvt_pkrtz_f16_f32 v30, v32, v33
	v_cvt_pkrtz_f16_f32 v31, v28, v29
	v_mfma_f32_4x4x4_16b_f16 a[0:3], v[34:35], v[26:27], a[0:3] cbsz:4 abid:6
	v_cvt_pk_f32_fp8_e32 v[26:27], v22
	v_cvt_pk_f32_fp8_sdwa v[28:29], v22 src0_sel:WORD_1
	v_mfma_f32_4x4x4_16b_f16 a[0:3], v[34:35], v[30:31], a[0:3] cbsz:4 abid:7
	v_cvt_pk_f32_fp8_e32 v[30:31], v23
	v_cvt_pk_f32_fp8_sdwa v[22:23], v23 src0_sel:WORD_1
	v_cvt_pkrtz_f16_f32 v26, v26, v27
	v_cvt_pkrtz_f16_f32 v27, v28, v29
	v_cvt_pkrtz_f16_f32 v28, v30, v31
	v_cvt_pkrtz_f16_f32 v29, v22, v23
	v_mfma_f32_4x4x4_16b_f16 a[0:3], v[34:35], v[26:27], a[0:3] cbsz:4 abid:8
	v_cvt_pk_f32_fp8_e32 v[22:23], v24
	v_cvt_pk_f32_fp8_sdwa v[26:27], v24 src0_sel:WORD_1
	v_mfma_f32_4x4x4_16b_f16 a[0:3], v[34:35], v[28:29], a[0:3] cbsz:4 abid:9
	v_cvt_pk_f32_fp8_e32 v[28:29], v25
	v_cvt_pk_f32_fp8_sdwa v[24:25], v25 src0_sel:WORD_1
	v_cvt_pkrtz_f16_f32 v22, v22, v23
	v_cvt_pkrtz_f16_f32 v23, v26, v27
	v_cvt_pkrtz_f16_f32 v26, v28, v29
	v_cvt_pkrtz_f16_f32 v27, v24, v25
	v_mfma_f32_4x4x4_16b_f16 a[0:3], v[34:35], v[22:23], a[0:3] cbsz:4 abid:10
	v_cvt_pk_f32_fp8_e32 v[22:23], v18
	v_cvt_pk_f32_fp8_sdwa v[24:25], v18 src0_sel:WORD_1
	v_mfma_f32_4x4x4_16b_f16 a[0:3], v[34:35], v[26:27], a[0:3] cbsz:4 abid:11
	v_cvt_pk_f32_fp8_e32 v[26:27], v19
	v_cvt_pk_f32_fp8_sdwa v[18:19], v19 src0_sel:WORD_1
	v_cvt_pkrtz_f16_f32 v22, v22, v23
	v_cvt_pkrtz_f16_f32 v23, v24, v25
	v_cvt_pkrtz_f16_f32 v24, v26, v27
	v_cvt_pkrtz_f16_f32 v25, v18, v19
	v_mfma_f32_4x4x4_16b_f16 a[0:3], v[34:35], v[22:23], a[0:3] cbsz:4 abid:12
	v_cvt_pk_f32_fp8_e32 v[18:19], v20
	v_cvt_pk_f32_fp8_sdwa v[22:23], v20 src0_sel:WORD_1
	v_mfma_f32_4x4x4_16b_f16 a[0:3], v[34:35], v[24:25], a[0:3] cbsz:4 abid:13
	v_cvt_pk_f32_fp8_e32 v[24:25], v21
	v_cvt_pk_f32_fp8_sdwa v[20:21], v21 src0_sel:WORD_1
	v_cvt_pkrtz_f16_f32 v18, v18, v19
	v_cvt_pkrtz_f16_f32 v19, v22, v23
	v_cvt_pkrtz_f16_f32 v22, v24, v25
	;; [unrolled: 1-line block ×3, first 2 shown]
	v_mfma_f32_4x4x4_16b_f16 a[0:3], v[34:35], v[18:19], a[0:3] cbsz:4 abid:14
	s_waitcnt vmcnt(4)
	v_cvt_pk_f32_fp8_e32 v[24:25], v15
	v_mfma_f32_4x4x4_16b_f16 a[0:3], v[34:35], v[22:23], a[0:3] cbsz:4 abid:15
	v_cvt_pk_f32_fp8_sdwa v[22:23], v14 src0_sel:WORD_1
	s_nop 3
	v_accvgpr_read_b32 v19, a1
	v_accvgpr_read_b32 v18, a0
	s_waitcnt lgkmcnt(0)
	v_pk_mul_f32 v[18:19], v[18:19], s[4:5] op_sel_hi:[1,0]
	s_nop 0
	v_cvt_f16_f32_e32 v20, v18
	v_cvt_f16_f32_e32 v21, v19
	v_accvgpr_read_b32 v19, a3
	v_accvgpr_read_b32 v18, a2
	v_pk_mul_f32 v[18:19], v[18:19], s[4:5] op_sel_hi:[1,0]
	v_pack_b32_f16 v20, v20, v21
	v_cvt_f16_f32_e32 v21, v18
	v_cvt_f16_f32_e32 v26, v19
	v_cvt_pk_f32_fp8_e32 v[18:19], v14
	v_cvt_pk_f32_fp8_sdwa v[14:15], v15 src0_sel:WORD_1
	v_pack_b32_f16 v21, v21, v26
	v_cvt_pkrtz_f16_f32 v18, v18, v19
	v_cvt_pkrtz_f16_f32 v19, v22, v23
	;; [unrolled: 1-line block ×4, first 2 shown]
	v_mfma_f32_4x4x4_16b_f16 a[0:3], v[34:35], v[18:19], 0 cbsz:4
	v_cvt_pk_f32_fp8_e32 v[14:15], v16
	v_cvt_pk_f32_fp8_sdwa v[18:19], v16 src0_sel:WORD_1
	v_mfma_f32_4x4x4_16b_f16 a[0:3], v[34:35], v[22:23], a[0:3] cbsz:4 abid:1
	v_cvt_pk_f32_fp8_e32 v[22:23], v17
	v_cvt_pk_f32_fp8_sdwa v[16:17], v17 src0_sel:WORD_1
	v_cvt_pkrtz_f16_f32 v14, v14, v15
	v_cvt_pkrtz_f16_f32 v15, v18, v19
	v_cvt_pkrtz_f16_f32 v18, v22, v23
	v_cvt_pkrtz_f16_f32 v19, v16, v17
	v_mfma_f32_4x4x4_16b_f16 a[0:3], v[34:35], v[14:15], a[0:3] cbsz:4 abid:2
	v_cvt_pk_f32_fp8_e32 v[14:15], v6
	v_cvt_pk_f32_fp8_sdwa v[16:17], v6 src0_sel:WORD_1
	v_mfma_f32_4x4x4_16b_f16 a[0:3], v[34:35], v[18:19], a[0:3] cbsz:4 abid:3
	v_cvt_pk_f32_fp8_e32 v[18:19], v7
	v_cvt_pk_f32_fp8_sdwa v[6:7], v7 src0_sel:WORD_1
	v_cvt_pkrtz_f16_f32 v14, v14, v15
	v_cvt_pkrtz_f16_f32 v15, v16, v17
	v_cvt_pkrtz_f16_f32 v16, v18, v19
	v_cvt_pkrtz_f16_f32 v17, v6, v7
	v_mfma_f32_4x4x4_16b_f16 a[0:3], v[34:35], v[14:15], a[0:3] cbsz:4 abid:4
	;; [unrolled: 10-line block ×3, first 2 shown]
	s_waitcnt vmcnt(2)
	v_cvt_pk_f32_fp8_e32 v[6:7], v10
	v_cvt_pk_f32_fp8_sdwa v[8:9], v10 src0_sel:WORD_1
	v_mfma_f32_4x4x4_16b_f16 a[0:3], v[34:35], v[14:15], a[0:3] cbsz:4 abid:7
	v_cvt_pk_f32_fp8_e32 v[14:15], v11
	v_cvt_pk_f32_fp8_sdwa v[10:11], v11 src0_sel:WORD_1
	v_cvt_pkrtz_f16_f32 v6, v6, v7
	v_cvt_pkrtz_f16_f32 v7, v8, v9
	v_cvt_pkrtz_f16_f32 v8, v14, v15
	v_cvt_pkrtz_f16_f32 v9, v10, v11
	v_mfma_f32_4x4x4_16b_f16 a[0:3], v[34:35], v[6:7], a[0:3] cbsz:4 abid:8
	v_cvt_pk_f32_fp8_e32 v[6:7], v12
	v_cvt_pk_f32_fp8_e32 v[10:11], v13
	v_mfma_f32_4x4x4_16b_f16 a[0:3], v[34:35], v[8:9], a[0:3] cbsz:4 abid:9
	v_cvt_pk_f32_fp8_sdwa v[8:9], v12 src0_sel:WORD_1
	v_cvt_pk_f32_fp8_sdwa v[12:13], v13 src0_sel:WORD_1
	v_cvt_pkrtz_f16_f32 v6, v6, v7
	v_cvt_pkrtz_f16_f32 v7, v8, v9
	;; [unrolled: 1-line block ×3, first 2 shown]
	s_nop 0
	v_mfma_f32_4x4x4_16b_f16 a[0:3], v[34:35], v[6:7], a[0:3] cbsz:4 abid:10
	v_cvt_pkrtz_f16_f32 v9, v12, v13
	v_cvt_pk_f32_fp8_e32 v[6:7], v2
	v_cvt_pk_f32_fp8_e32 v[10:11], v3
	v_mfma_f32_4x4x4_16b_f16 a[0:3], v[34:35], v[8:9], a[0:3] cbsz:4 abid:11
	v_cvt_pk_f32_fp8_sdwa v[8:9], v2 src0_sel:WORD_1
	v_cvt_pk_f32_fp8_sdwa v[2:3], v3 src0_sel:WORD_1
	v_cvt_pkrtz_f16_f32 v6, v6, v7
	v_cvt_pkrtz_f16_f32 v7, v8, v9
	;; [unrolled: 1-line block ×3, first 2 shown]
	s_nop 0
	v_mfma_f32_4x4x4_16b_f16 a[0:3], v[34:35], v[6:7], a[0:3] cbsz:4 abid:12
	v_cvt_pk_f32_fp8_e32 v[2:3], v4
	v_cvt_pk_f32_fp8_sdwa v[6:7], v4 src0_sel:WORD_1
	v_cvt_pkrtz_f16_f32 v8, v10, v11
	v_cvt_pkrtz_f16_f32 v2, v2, v3
	s_nop 0
	v_mfma_f32_4x4x4_16b_f16 a[0:3], v[34:35], v[8:9], a[0:3] cbsz:4 abid:13
	v_cvt_pk_f32_fp8_e32 v[8:9], v5
	v_cvt_pk_f32_fp8_sdwa v[4:5], v5 src0_sel:WORD_1
	v_cvt_pkrtz_f16_f32 v3, v6, v7
	v_cvt_pkrtz_f16_f32 v6, v8, v9
	s_nop 0
	v_mfma_f32_4x4x4_16b_f16 a[0:3], v[34:35], v[2:3], a[0:3] cbsz:4 abid:14
	v_cvt_pkrtz_f16_f32 v7, v4, v5
	s_nop 1
	v_mfma_f32_4x4x4_16b_f16 a[0:3], v[34:35], v[6:7], a[0:3] cbsz:4 abid:15
	v_mad_u32_u24 v7, v1, 40, v38
	s_nop 3
	v_accvgpr_read_b32 v5, a1
	v_accvgpr_read_b32 v3, a3
	;; [unrolled: 1-line block ×4, first 2 shown]
	v_pk_mul_f32 v[2:3], v[2:3], s[4:5] op_sel_hi:[1,0]
	v_pk_mul_f32 v[4:5], v[4:5], s[4:5] op_sel_hi:[1,0]
	v_cvt_f16_f32_e32 v6, v2
	v_cvt_f16_f32_e32 v4, v4
	;; [unrolled: 1-line block ×4, first 2 shown]
	v_pack_b32_f16 v2, v4, v5
	v_pack_b32_f16 v3, v6, v3
	ds_write2st64_b64 v7, v[20:21], v[2:3] offset1:5
.LBB1071_17:
	s_or_b64 exec, exec, s[2:3]
	v_cmp_gt_u32_e32 vcc, 64, v0
	s_waitcnt lgkmcnt(0)
	s_barrier
	s_and_saveexec_b64 s[2:3], vcc
	s_cbranch_execz .LBB1071_19
; %bb.18:
	s_waitcnt vmcnt(5)
	v_mul_u32_u24_e32 v6, 40, v1
	s_waitcnt vmcnt(3)
	ds_read2_b64 v[2:5], v6 offset1:1
	ds_read2_b64 v[6:9], v6 offset0:2 offset1:3
	s_lshl_b32 s0, s0, 7
	s_lshl_b64 s[2:3], s[0:1], 1
	s_add_u32 s2, s26, s2
	s_waitcnt lgkmcnt(1)
	v_pk_add_f16 v2, v2, 0
	v_pk_add_f16 v3, v3, 0
	;; [unrolled: 1-line block ×4, first 2 shown]
	s_waitcnt lgkmcnt(0)
	v_pk_add_f16 v2, v2, v6
	v_pk_add_f16 v6, v3, v7
	s_waitcnt vmcnt(2)
	v_pk_add_f16 v10, v2, v8
	v_mov_b32_e32 v2, 0xa00
	v_mad_u32_u24 v2, v1, 40, v2
	ds_read2_b64 v[2:5], v2 offset1:1
	v_pk_add_f16 v11, v6, v9
	v_mov_b32_e32 v6, 0xa10
	v_mad_u32_u24 v1, v1, 40, v6
	ds_read2_b64 v[6:9], v1 offset1:1
	s_addc_u32 s3, s27, s3
	s_lshl_b32 s0, s24, 7
	s_lshl_b64 s[0:1], s[0:1], 1
	s_waitcnt lgkmcnt(1)
	v_pk_add_f16 v1, v2, 0
	v_pk_add_f16 v2, v3, 0
	s_add_u32 s0, s2, s0
	v_pk_add_f16 v2, v2, v5
	s_addc_u32 s1, s3, s1
	s_lshl_b32 s2, s5, 7
	s_waitcnt lgkmcnt(0)
	v_pk_add_f16 v2, v2, v7
	s_mul_i32 s3, s2, s8
	v_pk_add_f16 v13, v2, v9
	v_or_b32_e32 v2, s3, v0
	v_mov_b32_e32 v3, 0
	s_add_i32 s3, s3, s2
	v_pk_add_f16 v1, v1, v4
	v_lshl_add_u64 v[4:5], v[2:3], 1, s[0:1]
	v_or_b32_e32 v2, s3, v0
	s_add_i32 s3, s3, s2
	v_pk_add_f16 v1, v1, v6
	v_lshl_add_u64 v[6:7], v[2:3], 1, s[0:1]
	v_or_b32_e32 v2, s3, v0
	;; [unrolled: 4-line block ×3, first 2 shown]
	v_lshl_add_u64 v[0:1], v[2:3], 1, s[0:1]
	global_store_short v[4:5], v10, off
	global_store_short_d16_hi v[6:7], v10, off
	global_store_short v[8:9], v11, off
	global_store_short_d16_hi v[0:1], v11, off
	global_store_short v[4:5], v12, off offset:128
	global_store_short_d16_hi v[6:7], v12, off offset:128
	global_store_short v[8:9], v13, off offset:128
	global_store_short_d16_hi v[0:1], v13, off offset:128
.LBB1071_19:
	s_endpgm
.LBB1071_20:
	s_mov_b64 s[12:13], 0
                                        ; implicit-def: $sgpr34_sgpr35
	s_branch .LBB1071_2
	.section	.rodata,"a",@progbits
	.p2align	6, 0x0
	.amdhsa_kernel _Z38paged_attention_ll4mi_QKV_mfma4_kernelIDF16_hLN4vllm18Fp8KVCacheDataTypeE1EDF16_Li32ELi128ELi256ELb0ELi4EEvPKT_PKT0_S7_ifPKiS9_S9_iPKfiiiPfSC_PS2_PT2_iSB_SB_
		.amdhsa_group_segment_fixed_size 5280
		.amdhsa_private_segment_fixed_size 0
		.amdhsa_kernarg_size 400
		.amdhsa_user_sgpr_count 2
		.amdhsa_user_sgpr_dispatch_ptr 0
		.amdhsa_user_sgpr_queue_ptr 0
		.amdhsa_user_sgpr_kernarg_segment_ptr 1
		.amdhsa_user_sgpr_dispatch_id 0
		.amdhsa_user_sgpr_kernarg_preload_length 0
		.amdhsa_user_sgpr_kernarg_preload_offset 0
		.amdhsa_user_sgpr_private_segment_size 0
		.amdhsa_uses_dynamic_stack 0
		.amdhsa_enable_private_segment 0
		.amdhsa_system_sgpr_workgroup_id_x 1
		.amdhsa_system_sgpr_workgroup_id_y 1
		.amdhsa_system_sgpr_workgroup_id_z 1
		.amdhsa_system_sgpr_workgroup_info 0
		.amdhsa_system_vgpr_workitem_id 0
		.amdhsa_next_free_vgpr 96
		.amdhsa_next_free_sgpr 42
		.amdhsa_accum_offset 92
		.amdhsa_reserve_vcc 1
		.amdhsa_float_round_mode_32 0
		.amdhsa_float_round_mode_16_64 0
		.amdhsa_float_denorm_mode_32 3
		.amdhsa_float_denorm_mode_16_64 3
		.amdhsa_dx10_clamp 1
		.amdhsa_ieee_mode 1
		.amdhsa_fp16_overflow 0
		.amdhsa_tg_split 0
		.amdhsa_exception_fp_ieee_invalid_op 0
		.amdhsa_exception_fp_denorm_src 0
		.amdhsa_exception_fp_ieee_div_zero 0
		.amdhsa_exception_fp_ieee_overflow 0
		.amdhsa_exception_fp_ieee_underflow 0
		.amdhsa_exception_fp_ieee_inexact 0
		.amdhsa_exception_int_div_zero 0
	.end_amdhsa_kernel
	.section	.text._Z38paged_attention_ll4mi_QKV_mfma4_kernelIDF16_hLN4vllm18Fp8KVCacheDataTypeE1EDF16_Li32ELi128ELi256ELb0ELi4EEvPKT_PKT0_S7_ifPKiS9_S9_iPKfiiiPfSC_PS2_PT2_iSB_SB_,"axG",@progbits,_Z38paged_attention_ll4mi_QKV_mfma4_kernelIDF16_hLN4vllm18Fp8KVCacheDataTypeE1EDF16_Li32ELi128ELi256ELb0ELi4EEvPKT_PKT0_S7_ifPKiS9_S9_iPKfiiiPfSC_PS2_PT2_iSB_SB_,comdat
.Lfunc_end1071:
	.size	_Z38paged_attention_ll4mi_QKV_mfma4_kernelIDF16_hLN4vllm18Fp8KVCacheDataTypeE1EDF16_Li32ELi128ELi256ELb0ELi4EEvPKT_PKT0_S7_ifPKiS9_S9_iPKfiiiPfSC_PS2_PT2_iSB_SB_, .Lfunc_end1071-_Z38paged_attention_ll4mi_QKV_mfma4_kernelIDF16_hLN4vllm18Fp8KVCacheDataTypeE1EDF16_Li32ELi128ELi256ELb0ELi4EEvPKT_PKT0_S7_ifPKiS9_S9_iPKfiiiPfSC_PS2_PT2_iSB_SB_
                                        ; -- End function
	.section	.AMDGPU.csdata,"",@progbits
; Kernel info:
; codeLenInByte = 5300
; NumSgprs: 48
; NumVgprs: 90
; NumAgprs: 4
; TotalNumVgprs: 96
; ScratchSize: 0
; MemoryBound: 0
; FloatMode: 240
; IeeeMode: 1
; LDSByteSize: 5280 bytes/workgroup (compile time only)
; SGPRBlocks: 5
; VGPRBlocks: 11
; NumSGPRsForWavesPerEU: 48
; NumVGPRsForWavesPerEU: 96
; AccumOffset: 92
; Occupancy: 5
; WaveLimiterHint : 1
; COMPUTE_PGM_RSRC2:SCRATCH_EN: 0
; COMPUTE_PGM_RSRC2:USER_SGPR: 2
; COMPUTE_PGM_RSRC2:TRAP_HANDLER: 0
; COMPUTE_PGM_RSRC2:TGID_X_EN: 1
; COMPUTE_PGM_RSRC2:TGID_Y_EN: 1
; COMPUTE_PGM_RSRC2:TGID_Z_EN: 1
; COMPUTE_PGM_RSRC2:TIDIG_COMP_CNT: 0
; COMPUTE_PGM_RSRC3_GFX90A:ACCUM_OFFSET: 22
; COMPUTE_PGM_RSRC3_GFX90A:TG_SPLIT: 0
	.section	.text._Z39paged_attention_ll4mi_QKV_mfma16_kernelIDF16_hLN4vllm18Fp8KVCacheDataTypeE1EDF16_Li32ELi128ELi256ELb0ELi5EEvPKT_PKT0_S7_ifPKiS9_S9_iPKfiiiPfSC_PS2_PT2_iSB_SB_,"axG",@progbits,_Z39paged_attention_ll4mi_QKV_mfma16_kernelIDF16_hLN4vllm18Fp8KVCacheDataTypeE1EDF16_Li32ELi128ELi256ELb0ELi5EEvPKT_PKT0_S7_ifPKiS9_S9_iPKfiiiPfSC_PS2_PT2_iSB_SB_,comdat
	.protected	_Z39paged_attention_ll4mi_QKV_mfma16_kernelIDF16_hLN4vllm18Fp8KVCacheDataTypeE1EDF16_Li32ELi128ELi256ELb0ELi5EEvPKT_PKT0_S7_ifPKiS9_S9_iPKfiiiPfSC_PS2_PT2_iSB_SB_ ; -- Begin function _Z39paged_attention_ll4mi_QKV_mfma16_kernelIDF16_hLN4vllm18Fp8KVCacheDataTypeE1EDF16_Li32ELi128ELi256ELb0ELi5EEvPKT_PKT0_S7_ifPKiS9_S9_iPKfiiiPfSC_PS2_PT2_iSB_SB_
	.globl	_Z39paged_attention_ll4mi_QKV_mfma16_kernelIDF16_hLN4vllm18Fp8KVCacheDataTypeE1EDF16_Li32ELi128ELi256ELb0ELi5EEvPKT_PKT0_S7_ifPKiS9_S9_iPKfiiiPfSC_PS2_PT2_iSB_SB_
	.p2align	8
	.type	_Z39paged_attention_ll4mi_QKV_mfma16_kernelIDF16_hLN4vllm18Fp8KVCacheDataTypeE1EDF16_Li32ELi128ELi256ELb0ELi5EEvPKT_PKT0_S7_ifPKiS9_S9_iPKfiiiPfSC_PS2_PT2_iSB_SB_,@function
_Z39paged_attention_ll4mi_QKV_mfma16_kernelIDF16_hLN4vllm18Fp8KVCacheDataTypeE1EDF16_Li32ELi128ELi256ELb0ELi5EEvPKT_PKT0_S7_ifPKiS9_S9_iPKfiiiPfSC_PS2_PT2_iSB_SB_: ; @_Z39paged_attention_ll4mi_QKV_mfma16_kernelIDF16_hLN4vllm18Fp8KVCacheDataTypeE1EDF16_Li32ELi128ELi256ELb0ELi5EEvPKT_PKT0_S7_ifPKiS9_S9_iPKfiiiPfSC_PS2_PT2_iSB_SB_
; %bb.0:
	s_load_dwordx2 s[12:13], s[0:1], 0x30
	s_mov_b32 s22, s3
	s_mov_b64 s[6:7], 0
	s_waitcnt lgkmcnt(0)
	s_cmp_lg_u64 s[12:13], 0
	s_cselect_b64 s[14:15], -1, 0
	s_and_b64 vcc, exec, s[14:15]
	s_cbranch_vccz .LBB1072_7
; %bb.1:
	s_add_i32 s8, s2, 1
	s_mov_b32 s9, 0
	s_lshl_b64 s[10:11], s[8:9], 2
	s_add_u32 s10, s12, s10
	s_mov_b32 s3, s9
	s_addc_u32 s11, s13, s11
	s_lshl_b64 s[8:9], s[2:3], 2
	s_add_u32 s8, s12, s8
	s_addc_u32 s9, s13, s9
	s_load_dword s5, s[10:11], 0x0
	s_load_dword s16, s[8:9], 0x0
	s_waitcnt lgkmcnt(0)
	s_sub_i32 s5, s5, s16
	s_cmp_eq_u32 s5, 1
	s_cselect_b64 s[8:9], -1, 0
	s_andn2_b64 vcc, exec, s[6:7]
	s_cbranch_vccnz .LBB1072_3
.LBB1072_2:
	s_mov_b32 s3, 0
	s_mov_b64 s[8:9], -1
.LBB1072_3:
	s_andn2_b64 vcc, exec, s[8:9]
	s_cbranch_vccnz .LBB1072_18
; %bb.4:
	s_load_dwordx2 s[6:7], s[0:1], 0x28
	s_lshl_b64 s[16:17], s[2:3], 2
	s_waitcnt lgkmcnt(0)
	s_add_u32 s6, s6, s16
	s_addc_u32 s7, s7, s17
	s_load_dword s5, s[6:7], 0x0
	s_lshl_b32 s18, s22, 8
	s_waitcnt lgkmcnt(0)
	s_cmp_ge_i32 s18, s5
	s_cbranch_scc1 .LBB1072_18
; %bb.5:
	s_load_dwordx2 s[6:7], s[0:1], 0x20
	s_load_dword s8, s[0:1], 0x38
	s_add_i32 s9, s5, 31
	s_ashr_i32 s10, s9, 31
	v_and_b32_e32 v1, 0xcf, v0
	s_lshr_b32 s10, s10, 27
	v_add_u32_e32 v1, s18, v1
	s_add_i32 s9, s9, s10
	v_ashrrev_i32_e32 v2, 31, v1
	s_ashr_i32 s19, s9, 5
	v_lshrrev_b32_e32 v6, 27, v2
	s_add_i32 s19, s19, -1
	s_waitcnt lgkmcnt(0)
	s_mul_i32 s8, s2, s8
	s_mov_b32 s9, 0
	v_add_u32_e32 v2, v1, v6
	s_lshl_b64 s[8:9], s[8:9], 2
	v_ashrrev_i32_e32 v2, 5, v2
	v_mov_b32_e32 v7, s19
	v_cmp_gt_i32_e32 vcc, s5, v1
	s_add_u32 s6, s6, s8
	s_addc_u32 s7, s7, s9
	v_cndmask_b32_e32 v2, v7, v2, vcc
	v_ashrrev_i32_e32 v3, 31, v2
	v_lshl_add_u64 v[4:5], v[2:3], 2, s[6:7]
	v_or_b32_e32 v2, 16, v1
	v_add_u32_e32 v3, v2, v6
	v_ashrrev_i32_e32 v3, 5, v3
	v_cmp_gt_i32_e32 vcc, s5, v2
	s_load_dwordx4 s[8:11], s[0:1], 0x8
	s_nop 0
	v_cndmask_b32_e32 v2, v7, v3, vcc
	v_ashrrev_i32_e32 v3, 31, v2
	v_lshl_add_u64 v[10:11], v[2:3], 2, s[6:7]
	v_or_b32_e32 v2, 32, v1
	v_add_u32_e32 v3, v2, v6
	v_ashrrev_i32_e32 v3, 5, v3
	v_cmp_gt_i32_e32 vcc, s5, v2
	v_or_b32_e32 v1, 48, v1
	s_nop 0
	v_cndmask_b32_e32 v2, v7, v3, vcc
	v_ashrrev_i32_e32 v3, 31, v2
	v_lshl_add_u64 v[12:13], v[2:3], 2, s[6:7]
	v_add_u32_e32 v2, v1, v6
	v_ashrrev_i32_e32 v2, 5, v2
	v_cmp_gt_i32_e32 vcc, s5, v1
	s_nop 1
	v_cndmask_b32_e32 v2, v7, v2, vcc
	v_ashrrev_i32_e32 v3, 31, v2
	v_lshl_add_u64 v[14:15], v[2:3], 2, s[6:7]
	global_load_dword v2, v[4:5], off
	global_load_dword v8, v[10:11], off
	;; [unrolled: 1-line block ×4, first 2 shown]
	s_andn2_b64 vcc, exec, s[14:15]
	s_cbranch_vccnz .LBB1072_8
; %bb.6:
	s_add_u32 s12, s12, s16
	s_addc_u32 s13, s13, s17
	s_load_dword s14, s[12:13], 0x0
	s_branch .LBB1072_9
.LBB1072_7:
	s_mov_b64 s[8:9], 0
	s_branch .LBB1072_2
.LBB1072_8:
	s_mov_b32 s14, s2
.LBB1072_9:
	s_load_dwordx4 s[44:47], s[0:1], 0x48
	v_lshrrev_b32_e32 v57, 6, v0
	v_bfe_u32 v60, v0, 4, 2
	v_and_b32_e32 v56, 15, v0
	v_lshl_or_b32 v3, v57, 2, v60
	v_lshlrev_b32_e32 v1, 3, v56
	v_and_b32_e32 v61, 63, v0
	s_mul_i32 s48, s4, 5
	v_cmp_gt_u32_e32 vcc, 5, v3
	v_lshlrev_b32_e32 v54, 1, v1
	v_lshlrev_b32_e32 v1, 4, v0
	s_and_saveexec_b64 s[12:13], vcc
	s_cbranch_execz .LBB1072_11
; %bb.10:
	s_load_dwordx2 s[16:17], s[0:1], 0x0
	s_waitcnt lgkmcnt(0)
	s_ashr_i32 s15, s44, 31
	s_mul_hi_u32 s20, s14, s44
	s_mul_i32 s15, s14, s15
	s_add_i32 s15, s20, s15
	s_mul_i32 s14, s14, s44
	s_lshl_b64 s[14:15], s[14:15], 1
	s_add_u32 s14, s16, s14
	v_add_lshl_u32 v4, v3, s48, 7
	s_addc_u32 s15, s17, s15
	v_ashrrev_i32_e32 v5, 31, v4
	v_lshl_add_u64 v[4:5], v[4:5], 1, s[14:15]
	v_mov_b32_e32 v55, 0
	v_lshl_add_u64 v[4:5], v[4:5], 0, v[54:55]
	global_load_dwordx4 v[10:13], v[4:5], off
	v_lshlrev_b32_e32 v5, 8, v0
	v_lshlrev_b32_e32 v4, 8, v56
	v_and_b32_e32 v5, 0x600, v5
	s_movk_i32 s14, 0x800
	v_and_or_b32 v4, v4, s14, v5
	v_lshlrev_b32_e32 v3, 5, v3
	v_and_b32_e32 v5, 16, v1
	v_or3_b32 v3, v4, v3, v5
	s_waitcnt vmcnt(0)
	ds_write_b128 v3, v[10:13]
.LBB1072_11:
	s_or_b64 exec, exec, s[12:13]
	s_waitcnt lgkmcnt(0)
	s_mul_i32 s12, s4, s46
	s_add_u32 s8, s8, s12
	s_addc_u32 s9, s9, 0
	v_mov_b32_e32 v59, 0
	v_mov_b64_e32 v[4:5], s[8:9]
	v_and_b32_e32 v9, 48, v0
	s_waitcnt vmcnt(3)
	v_mad_i64_i32 v[10:11], s[8:9], v2, s45, v[4:5]
	v_lshlrev_b32_e32 v2, 4, v56
	v_mov_b32_e32 v3, v59
	v_lshlrev_b32_e32 v58, 5, v9
	v_lshl_add_u64 v[10:11], v[10:11], 0, v[2:3]
	v_lshl_add_u64 v[14:15], v[10:11], 0, v[58:59]
	s_load_dword s23, s[0:1], 0x98
	s_load_dwordx4 s[40:43], s[0:1], 0x80
	s_waitcnt lgkmcnt(0)
	s_barrier
	global_load_dwordx4 v[10:13], v[14:15], off
	global_load_dwordx4 v[30:33], v[14:15], off offset:2048
	v_mul_lo_u16_e32 v16, 52, v56
	v_mov_b32_e32 v17, 5
	v_mul_lo_u16_sdwa v14, v16, v17 dst_sel:DWORD dst_unused:UNUSED_PAD src0_sel:BYTE_1 src1_sel:DWORD
	v_or_b32_e32 v25, s18, v9
	v_sub_u16_e32 v9, v56, v14
	s_ashr_i32 s8, s18, 31
	v_lshlrev_b32_sdwa v9, v17, v9 dst_sel:DWORD dst_unused:UNUSED_PAD src0_sel:DWORD src1_sel:BYTE_0
	v_or_b32_e32 v18, 0x100, v2
	v_mov_b32_e32 v19, v59
	s_lshr_b32 s13, s8, 27
	v_lshl_add_u32 v41, v60, 9, v9
	s_waitcnt vmcnt(4)
	v_mad_i64_i32 v[8:9], s[8:9], v8, s45, v[4:5]
	s_waitcnt vmcnt(3)
	v_mad_i64_i32 v[20:21], s[8:9], v6, s45, v[4:5]
	;; [unrolled: 2-line block ×3, first 2 shown]
	v_lshl_add_u64 v[6:7], v[8:9], 0, v[18:19]
	v_lshl_add_u64 v[22:23], v[6:7], 0, v[58:59]
	global_load_dwordx4 v[46:49], v[22:23], off
	v_or_b32_e32 v38, 64, v25
	v_or_b32_e32 v39, 0x80, v25
	v_or_b32_e32 v40, 0xc0, v25
	v_add_u32_e32 v42, s13, v25
	v_add_u32_e32 v43, s13, v38
	;; [unrolled: 1-line block ×4, first 2 shown]
	ds_read_b128 v[34:37], v41
	ds_read_b128 v[26:29], v41 offset:16
	ds_read_b128 v[14:17], v41 offset:2048
	;; [unrolled: 1-line block ×3, first 2 shown]
	v_lshl_add_u64 v[2:3], v[20:21], 0, v[2:3]
	v_ashrrev_i32_e32 v20, 5, v42
	v_ashrrev_i32_e32 v21, 5, v43
	;; [unrolled: 1-line block ×4, first 2 shown]
	global_load_dwordx4 v[42:45], v[22:23], off offset:2048
	v_mov_b32_e32 v24, s19
	v_cmp_gt_i32_e32 vcc, s5, v25
	v_lshl_add_u64 v[4:5], v[4:5], 0, v[18:19]
	v_lshl_add_u64 v[2:3], v[2:3], 0, v[58:59]
	v_cndmask_b32_e32 v50, v24, v20, vcc
	v_cmp_gt_i32_e32 vcc, s5, v38
	v_lshl_add_u64 v[18:19], v[4:5], 0, v[58:59]
	v_and_b32_e32 v58, 16, v0
	v_cndmask_b32_e32 v52, v24, v21, vcc
	v_cmp_gt_i32_e32 vcc, s5, v39
	v_ashrrev_i32_e32 v53, 31, v52
	v_lshl_add_u64 v[52:53], v[52:53], 2, s[6:7]
	v_cndmask_b32_e32 v62, v24, v41, vcc
	v_cmp_gt_i32_e32 vcc, s5, v40
	v_ashrrev_i32_e32 v63, 31, v62
	v_lshl_add_u64 v[66:67], v[62:63], 2, s[6:7]
	v_cndmask_b32_e32 v64, v24, v51, vcc
	global_load_dwordx4 v[22:25], v[2:3], off
	s_nop 0
	global_load_dwordx4 v[2:5], v[2:3], off offset:2048
	s_nop 0
	global_load_dwordx4 v[38:41], v[18:19], off
	s_nop 0
	global_load_dwordx4 v[18:21], v[18:19], off offset:2048
	v_ashrrev_i32_e32 v51, 31, v50
	v_ashrrev_i32_e32 v65, 31, v64
	v_lshl_add_u64 v[50:51], v[50:51], 2, s[6:7]
	v_lshl_add_u64 v[68:69], v[64:65], 2, s[6:7]
	global_load_dword v65, v[50:51], off
	global_load_dword v63, v[52:53], off
	;; [unrolled: 1-line block ×4, first 2 shown]
	s_add_u32 s6, s10, s12
	s_addc_u32 s7, s11, 0
	v_lshl_or_b32 v64, v57, 4, v56
	s_load_dword s4, s[0:1], 0x1c
	s_mov_b32 s33, 0xff7fffff
	s_waitcnt vmcnt(11)
	v_cvt_pk_f32_fp8_e32 v[50:51], v10
	v_cvt_pk_f32_fp8_sdwa v[52:53], v10 src0_sel:WORD_1
	v_cvt_pk_f32_fp8_e32 v[66:67], v11
	v_cvt_pk_f32_fp8_sdwa v[10:11], v11 src0_sel:WORD_1
	v_cvt_pkrtz_f16_f32 v50, v50, v51
	v_cvt_pkrtz_f16_f32 v51, v52, v53
	v_cvt_pk_f32_fp8_e32 v[68:69], v12
	v_cvt_pk_f32_fp8_sdwa v[70:71], v12 src0_sel:WORD_1
	v_cvt_pkrtz_f16_f32 v66, v66, v67
	v_cvt_pkrtz_f16_f32 v67, v10, v11
	s_waitcnt lgkmcnt(0)
	v_mfma_f32_16x16x16_f16 v[50:53], v[50:51], v[34:35], 0
	v_cvt_pk_f32_fp8_e32 v[10:11], v13
	v_cvt_pkrtz_f16_f32 v68, v68, v69
	v_cvt_pkrtz_f16_f32 v69, v70, v71
	v_cvt_pk_f32_fp8_sdwa v[12:13], v13 src0_sel:WORD_1
	v_mfma_f32_16x16x16_f16 v[50:53], v[66:67], v[36:37], v[50:53]
	v_cvt_pkrtz_f16_f32 v66, v10, v11
	s_waitcnt vmcnt(10)
	v_cvt_pk_f32_fp8_e32 v[70:71], v30
	v_cvt_pk_f32_fp8_sdwa v[72:73], v30 src0_sel:WORD_1
	v_cvt_pkrtz_f16_f32 v67, v12, v13
	v_mfma_f32_16x16x16_f16 v[10:13], v[68:69], v[26:27], v[50:53]
	s_waitcnt vmcnt(8)
	v_cvt_pk_f32_fp8_sdwa v[68:69], v42 src0_sel:WORD_1
	s_nop 0
	v_cvt_pkrtz_f16_f32 v50, v70, v71
	v_cvt_pkrtz_f16_f32 v51, v72, v73
	v_cvt_pk_f32_fp8_e32 v[52:53], v31
	v_cvt_pk_f32_fp8_sdwa v[30:31], v31 src0_sel:WORD_1
	v_mfma_f32_16x16x16_f16 v[10:13], v[66:67], v[28:29], v[10:13]
	v_cvt_pk_f32_fp8_sdwa v[66:67], v46 src0_sel:WORD_1
	v_cvt_pkrtz_f16_f32 v52, v52, v53
	v_cvt_pkrtz_f16_f32 v53, v30, v31
	v_mfma_f32_16x16x16_f16 v[10:13], v[50:51], v[14:15], v[10:13]
	v_cvt_pk_f32_fp8_e32 v[30:31], v32
	v_cvt_pk_f32_fp8_sdwa v[50:51], v32 src0_sel:WORD_1
	v_cvt_pkrtz_f16_f32 v30, v30, v31
	v_mfma_f32_16x16x16_f16 v[10:13], v[52:53], v[16:17], v[10:13]
	v_cvt_pk_f32_fp8_e32 v[52:53], v33
	v_cvt_pkrtz_f16_f32 v31, v50, v51
	v_cvt_pk_f32_fp8_sdwa v[32:33], v33 src0_sel:WORD_1
	s_waitcnt vmcnt(6)
	v_cvt_pk_f32_fp8_e32 v[72:73], v3
	v_cvt_pkrtz_f16_f32 v50, v52, v53
	v_cvt_pk_f32_fp8_e32 v[52:53], v46
	v_cvt_pkrtz_f16_f32 v51, v32, v33
	v_mfma_f32_16x16x16_f16 v[10:13], v[30:31], v[6:7], v[10:13]
	v_cvt_pkrtz_f16_f32 v31, v66, v67
	v_cvt_pkrtz_f16_f32 v30, v52, v53
	v_cvt_pk_f32_fp8_e32 v[32:33], v47
	v_cvt_pk_f32_fp8_sdwa v[46:47], v47 src0_sel:WORD_1
	v_mfma_f32_16x16x16_f16 v[50:53], v[50:51], v[8:9], v[10:13]
	v_cvt_pk_f32_fp8_sdwa v[66:67], v48 src0_sel:WORD_1
	v_cvt_pkrtz_f16_f32 v32, v32, v33
	v_cvt_pkrtz_f16_f32 v33, v46, v47
	v_mfma_f32_16x16x16_f16 v[10:13], v[30:31], v[34:35], 0
	v_cvt_pk_f32_fp8_e32 v[30:31], v48
	v_lshl_add_u64 v[46:47], s[6:7], 0, v[58:59]
	v_lshlrev_b32_e32 v58, 5, v64
	v_mfma_f32_16x16x16_f16 v[10:13], v[32:33], v[36:37], v[10:13]
	v_cvt_pk_f32_fp8_e32 v[32:33], v49
	v_cvt_pkrtz_f16_f32 v30, v30, v31
	v_cvt_pkrtz_f16_f32 v31, v66, v67
	v_cvt_pk_f32_fp8_sdwa v[48:49], v49 src0_sel:WORD_1
	v_cvt_pkrtz_f16_f32 v32, v32, v33
	v_cvt_pk_f32_fp8_e32 v[66:67], v42
	v_mfma_f32_16x16x16_f16 v[10:13], v[30:31], v[26:27], v[10:13]
	v_cvt_pkrtz_f16_f32 v33, v48, v49
	v_cvt_pkrtz_f16_f32 v30, v66, v67
	;; [unrolled: 1-line block ×3, first 2 shown]
	v_cvt_pk_f32_fp8_e32 v[48:49], v43
	v_cvt_pk_f32_fp8_sdwa v[42:43], v43 src0_sel:WORD_1
	v_mfma_f32_16x16x16_f16 v[10:13], v[32:33], v[28:29], v[10:13]
	v_lshl_add_u64 v[66:67], v[46:47], 0, v[58:59]
	v_cvt_pkrtz_f16_f32 v32, v48, v49
	v_cvt_pkrtz_f16_f32 v33, v42, v43
	v_mfma_f32_16x16x16_f16 v[10:13], v[30:31], v[14:15], v[10:13]
	v_cvt_pk_f32_fp8_e32 v[30:31], v44
	v_cvt_pk_f32_fp8_sdwa v[42:43], v44 src0_sel:WORD_1
	v_cvt_pk_f32_fp8_sdwa v[48:49], v22 src0_sel:WORD_1
	v_mfma_f32_16x16x16_f16 v[10:13], v[32:33], v[16:17], v[10:13]
	v_cvt_pkrtz_f16_f32 v30, v30, v31
	v_cvt_pkrtz_f16_f32 v31, v42, v43
	v_cvt_pk_f32_fp8_e32 v[32:33], v45
	v_cvt_pk_f32_fp8_sdwa v[42:43], v45 src0_sel:WORD_1
	v_cvt_pk_f32_fp8_e32 v[44:45], v22
	v_mfma_f32_16x16x16_f16 v[10:13], v[30:31], v[6:7], v[10:13]
	v_cvt_pkrtz_f16_f32 v32, v32, v33
	v_cvt_pkrtz_f16_f32 v33, v42, v43
	;; [unrolled: 1-line block ×4, first 2 shown]
	v_cvt_pk_f32_fp8_e32 v[48:49], v23
	v_cvt_pk_f32_fp8_sdwa v[22:23], v23 src0_sel:WORD_1
	v_mfma_f32_16x16x16_f16 v[42:45], v[32:33], v[8:9], v[10:13]
	s_waitcnt vmcnt(2)
	v_mad_i64_i32 v[68:69], s[6:7], v63, s45, v[66:67]
	v_cvt_pkrtz_f16_f32 v32, v48, v49
	v_cvt_pkrtz_f16_f32 v33, v22, v23
	v_mfma_f32_16x16x16_f16 v[10:13], v[30:31], v[34:35], 0
	v_cvt_pk_f32_fp8_e32 v[22:23], v24
	v_cvt_pk_f32_fp8_sdwa v[30:31], v24 src0_sel:WORD_1
	v_mad_i64_i32 v[48:49], s[6:7], v65, s45, v[66:67]
	v_cvt_pkrtz_f16_f32 v22, v22, v23
	v_cvt_pkrtz_f16_f32 v23, v30, v31
	v_cvt_pk_f32_fp8_e32 v[30:31], v25
	v_cvt_pk_f32_fp8_sdwa v[24:25], v25 src0_sel:WORD_1
	v_mfma_f32_16x16x16_f16 v[10:13], v[32:33], v[36:37], v[10:13]
	s_waitcnt vmcnt(0)
	v_mad_i64_i32 v[74:75], s[6:7], v62, s45, v[66:67]
	v_cvt_pkrtz_f16_f32 v70, v30, v31
	v_cvt_pkrtz_f16_f32 v71, v24, v25
	v_mfma_f32_16x16x16_f16 v[10:13], v[22:23], v[26:27], v[10:13]
	global_load_dwordx4 v[30:33], v[48:49], off
	global_load_dwordx4 v[22:25], v[68:69], off
	v_cvt_pk_f32_fp8_e32 v[68:69], v2
	v_mad_i64_i32 v[48:49], s[6:7], v55, s45, v[66:67]
	v_mfma_f32_16x16x16_f16 v[10:13], v[70:71], v[28:29], v[10:13]
	v_cvt_pk_f32_fp8_sdwa v[70:71], v2 src0_sel:WORD_1
	v_cvt_pk_f32_fp8_sdwa v[2:3], v3 src0_sel:WORD_1
	v_cvt_pkrtz_f16_f32 v68, v68, v69
	v_cvt_pk_f32_fp8_sdwa v[78:79], v5 src0_sel:WORD_1
	v_cvt_pkrtz_f16_f32 v69, v70, v71
	v_cvt_pkrtz_f16_f32 v70, v72, v73
	;; [unrolled: 1-line block ×3, first 2 shown]
	v_cvt_pk_f32_fp8_e32 v[2:3], v4
	v_cvt_pk_f32_fp8_sdwa v[72:73], v4 src0_sel:WORD_1
	v_mfma_f32_16x16x16_f16 v[66:69], v[68:69], v[14:15], v[10:13]
	v_or_b32_e32 v58, 0x800, v58
	v_cvt_pkrtz_f16_f32 v76, v2, v3
	v_cvt_pkrtz_f16_f32 v77, v72, v73
	v_cvt_pk_f32_fp8_e32 v[72:73], v5
	v_mfma_f32_16x16x16_f16 v[66:69], v[70:71], v[16:17], v[66:69]
	global_load_dwordx4 v[10:13], v[48:49], off
	global_load_dwordx4 v[2:5], v[74:75], off
	v_cvt_pkrtz_f16_f32 v49, v78, v79
	v_cvt_pkrtz_f16_f32 v48, v72, v73
	v_lshl_add_u64 v[46:47], v[46:47], 0, v[58:59]
	v_mfma_f32_16x16x16_f16 v[66:69], v[76:77], v[6:7], v[66:69]
	v_cvt_pk_f32_fp8_e32 v[58:59], v38
	v_cvt_pk_f32_fp8_sdwa v[70:71], v38 src0_sel:WORD_1
	v_cvt_pk_f32_fp8_e32 v[74:75], v40
	v_mfma_f32_16x16x16_f16 v[66:69], v[48:49], v[8:9], v[66:69]
	v_cvt_pk_f32_fp8_e32 v[48:49], v39
	v_cvt_pkrtz_f16_f32 v58, v58, v59
	v_cvt_pkrtz_f16_f32 v59, v70, v71
	v_cvt_pk_f32_fp8_sdwa v[38:39], v39 src0_sel:WORD_1
	v_cvt_pkrtz_f16_f32 v48, v48, v49
	v_cvt_pk_f32_fp8_sdwa v[76:77], v40 src0_sel:WORD_1
	v_mfma_f32_16x16x16_f16 v[70:73], v[58:59], v[34:35], 0
	v_cvt_pkrtz_f16_f32 v49, v38, v39
	v_cvt_pkrtz_f16_f32 v38, v74, v75
	;; [unrolled: 1-line block ×3, first 2 shown]
	v_cvt_pk_f32_fp8_e32 v[58:59], v41
	v_cvt_pk_f32_fp8_sdwa v[40:41], v41 src0_sel:WORD_1
	v_mfma_f32_16x16x16_f16 v[34:37], v[48:49], v[36:37], v[70:73]
	s_load_dword s6, s[40:41], 0x0
	v_cvt_pkrtz_f16_f32 v48, v58, v59
	v_cvt_pkrtz_f16_f32 v49, v40, v41
	v_mfma_f32_16x16x16_f16 v[70:73], v[38:39], v[26:27], v[34:37]
	v_mov_b32_e32 v74, s4
	s_waitcnt lgkmcnt(0)
	v_mul_f32_e32 v40, s6, v74
	v_pk_mul_f32 v[38:39], v[40:41], v[52:53] op_sel_hi:[0,1]
	v_mfma_f32_16x16x16_f16 v[26:29], v[48:49], v[28:29], v[70:73]
	v_cvt_pk_f32_fp8_e32 v[34:35], v18
	v_cvt_pk_f32_fp8_sdwa v[48:49], v18 src0_sel:WORD_1
	v_pk_mul_f32 v[36:37], v[40:41], v[50:51] op_sel_hi:[0,1]
	v_cvt_pk_f32_fp8_e32 v[50:51], v19
	v_cvt_pk_f32_fp8_sdwa v[18:19], v19 src0_sel:WORD_1
	v_cvt_pkrtz_f16_f32 v34, v34, v35
	v_cvt_pkrtz_f16_f32 v35, v48, v49
	v_cvt_pkrtz_f16_f32 v48, v50, v51
	v_cvt_pkrtz_f16_f32 v49, v18, v19
	v_cvt_pk_f32_fp8_e32 v[18:19], v20
	v_cvt_pk_f32_fp8_sdwa v[50:51], v20 src0_sel:WORD_1
	v_mfma_f32_16x16x16_f16 v[26:29], v[34:35], v[14:15], v[26:29]
	v_cvt_pk_f32_fp8_e32 v[34:35], v21
	v_cvt_pkrtz_f16_f32 v18, v18, v19
	v_cvt_pkrtz_f16_f32 v19, v50, v51
	v_cvt_pk_f32_fp8_sdwa v[20:21], v21 src0_sel:WORD_1
	v_mfma_f32_16x16x16_f16 v[14:17], v[48:49], v[16:17], v[26:29]
	v_pk_mul_f32 v[48:49], v[40:41], v[44:45] op_sel_hi:[0,1]
	v_pk_mul_f32 v[50:51], v[40:41], v[42:43] op_sel_hi:[0,1]
	;; [unrolled: 1-line block ×3, first 2 shown]
	v_cvt_pkrtz_f16_f32 v26, v34, v35
	v_cvt_pkrtz_f16_f32 v27, v20, v21
	v_mfma_f32_16x16x16_f16 v[14:17], v[18:19], v[6:7], v[14:17]
	v_pk_mul_f32 v[42:43], v[40:41], v[66:67] op_sel_hi:[0,1]
	v_mad_i64_i32 v[52:53], s[6:7], v65, s45, v[46:47]
	v_mfma_f32_16x16x16_f16 v[6:9], v[26:27], v[8:9], v[14:17]
	s_nop 6
	v_pk_mul_f32 v[34:35], v[40:41], v[8:9] op_sel_hi:[0,1]
	v_pk_mul_f32 v[40:41], v[40:41], v[6:7] op_sel_hi:[0,1]
	v_and_b32_e32 v6, 0xc0, v0
	v_add_u32_e32 v6, s18, v6
	v_lshl_or_b32 v6, v60, 2, v6
	v_or_b32_e32 v9, 1, v6
	v_mov_b32_e32 v7, 0xff7fffff
	v_cmp_gt_i32_e64 s[24:25], s5, v6
	v_cmp_gt_i32_e64 s[26:27], s5, v9
	v_or_b32_e32 v14, 3, v6
	v_cndmask_b32_e64 v8, v7, v36, s[24:25]
	v_cndmask_b32_e64 v9, v7, v37, s[26:27]
	v_max3_f32 v8, v8, s33, v9
	v_or_b32_e32 v9, 2, v6
	v_cmp_gt_i32_e64 s[28:29], s5, v9
	v_cmp_gt_i32_e64 s[30:31], s5, v14
	s_nop 0
	v_cndmask_b32_e64 v9, v7, v38, s[28:29]
	v_cndmask_b32_e64 v14, v7, v39, s[30:31]
	v_max3_f32 v8, v8, v9, v14
	v_or_b32_e32 v9, 16, v6
	v_or_b32_e32 v14, 17, v6
	v_cmp_gt_i32_e64 s[34:35], s5, v9
	v_cmp_gt_i32_e64 s[36:37], s5, v14
	s_nop 0
	v_cndmask_b32_e64 v9, v7, v50, s[34:35]
	v_cndmask_b32_e64 v14, v7, v51, s[36:37]
	v_max3_f32 v8, v8, v9, v14
	v_or_b32_e32 v9, 18, v6
	;; [unrolled: 8-line block ×6, first 2 shown]
	v_or_b32_e32 v6, 51, v6
	v_cmp_gt_i32_e32 vcc, s5, v9
	v_cmp_gt_i32_e64 s[4:5], s5, v6
	s_nop 0
	v_cndmask_b32_e32 v9, v7, v34, vcc
	v_cndmask_b32_e64 v6, v7, v35, s[4:5]
	v_max3_f32 v8, v8, v9, v6
	v_mbcnt_lo_u32_b32 v6, -1, 0
	v_mbcnt_hi_u32_b32 v9, -1, v6
	v_and_b32_e32 v6, 64, v9
	v_add_u32_e32 v14, 64, v6
	v_xor_b32_e32 v6, 32, v9
	v_cmp_lt_i32_e64 s[38:39], v6, v14
	s_nop 1
	v_cndmask_b32_e64 v6, v9, v6, s[38:39]
	v_lshlrev_b32_e32 v58, 2, v6
	ds_bpermute_b32 v15, v58, v8
	v_mad_i64_i32 v[6:7], s[38:39], v63, s45, v[46:47]
	global_load_dwordx4 v[26:29], v[52:53], off
	global_load_dwordx4 v[18:21], v[6:7], off
	s_waitcnt lgkmcnt(0)
	v_max_f32_e32 v6, v15, v15
	v_max_f32_e32 v15, v8, v6
	v_xor_b32_e32 v6, 16, v9
	v_cmp_lt_i32_e64 s[38:39], v6, v14
	s_nop 1
	v_cndmask_b32_e64 v6, v9, v6, s[38:39]
	v_lshlrev_b32_e32 v53, 2, v6
	ds_bpermute_b32 v14, v53, v15
	v_mad_i64_i32 v[6:7], s[38:39], v55, s45, v[46:47]
	v_mad_i64_i32 v[8:9], s[38:39], v62, s45, v[46:47]
	s_waitcnt lgkmcnt(0)
	v_max_f32_e32 v14, v14, v14
	v_max_f32_e32 v52, v15, v14
	v_sub_f32_e32 v14, v36, v52
	v_mul_f32_e32 v14, 0x3fb8aa3b, v14
	v_exp_f32_e32 v36, v14
	v_sub_f32_e32 v14, v37, v52
	v_mul_f32_e32 v14, 0x3fb8aa3b, v14
	v_exp_f32_e32 v37, v14
	global_load_dwordx4 v[14:17], v[6:7], off
	s_nop 0
	global_load_dwordx4 v[6:9], v[8:9], off
	v_sub_f32_e32 v38, v38, v52
	v_mul_f32_e32 v38, 0x3fb8aa3b, v38
	v_sub_f32_e32 v39, v39, v52
	v_exp_f32_e32 v38, v38
	v_mul_f32_e32 v39, 0x3fb8aa3b, v39
	v_exp_f32_e32 v39, v39
	v_cndmask_b32_e64 v36, 0, v36, s[24:25]
	v_add_f32_e32 v46, 0, v36
	v_cndmask_b32_e64 v37, 0, v37, s[26:27]
	v_add_f32_e32 v47, v46, v37
	;; [unrolled: 2-line block ×3, first 2 shown]
	v_cndmask_b32_e64 v47, 0, v39, s[30:31]
	v_sub_f32_e32 v39, v50, v52
	v_mul_f32_e32 v39, 0x3fb8aa3b, v39
	v_sub_f32_e32 v50, v51, v52
	v_exp_f32_e32 v39, v39
	v_mul_f32_e32 v50, 0x3fb8aa3b, v50
	v_sub_f32_e32 v48, v48, v52
	v_exp_f32_e32 v50, v50
	;; [unrolled: 3-line block ×4, first 2 shown]
	v_mul_f32_e32 v42, 0x3fb8aa3b, v42
	v_sub_f32_e32 v43, v43, v52
	v_add_f32_e32 v51, v38, v47
	v_cndmask_b32_e64 v38, 0, v39, s[34:35]
	v_exp_f32_e32 v42, v42
	v_mul_f32_e32 v43, 0x3fb8aa3b, v43
	v_sub_f32_e32 v44, v44, v52
	v_add_f32_e32 v51, v51, v38
	v_cndmask_b32_e64 v39, 0, v50, s[36:37]
	v_exp_f32_e32 v43, v43
	;; [unrolled: 5-line block ×7, first 2 shown]
	v_mul_f32_e32 v35, 0x3fb8aa3b, v35
	v_add_f32_e32 v50, v50, v44
	v_cndmask_b32_e64 v45, 0, v45, s[12:13]
	v_exp_f32_e32 v35, v35
	v_add_f32_e32 v50, v50, v45
	v_cndmask_b32_e64 v40, 0, v40, s[6:7]
	v_add_f32_e32 v50, v50, v40
	v_cndmask_b32_e64 v41, 0, v41, s[8:9]
	v_add_f32_e32 v50, v50, v41
	v_cndmask_b32_e32 v34, 0, v34, vcc
	v_add_f32_e32 v50, v50, v34
	v_cndmask_b32_e64 v35, 0, v35, s[4:5]
	v_add_f32_e32 v50, v50, v35
	ds_bpermute_b32 v51, v58, v50
	v_cmp_gt_u32_e64 s[4:5], 16, v61
	s_waitcnt lgkmcnt(0)
	s_barrier
	v_add_f32_e32 v50, v50, v51
	ds_bpermute_b32 v51, v53, v50
	s_and_saveexec_b64 s[6:7], s[4:5]
	s_cbranch_execz .LBB1072_13
; %bb.12:
	s_waitcnt lgkmcnt(0)
	v_add_f32_e32 v50, v50, v51
	v_lshlrev_b32_e32 v51, 2, v64
	ds_write2st64_b32 v51, v52, v50 offset1:1
.LBB1072_13:
	s_or_b64 exec, exec, s[6:7]
	s_waitcnt lgkmcnt(0)
	v_lshlrev_b32_e32 v51, 2, v56
	s_load_dword s8, s[0:1], 0x94
	s_waitcnt lgkmcnt(0)
	s_barrier
	ds_read2_b32 v[52:53], v51 offset1:16
	ds_read2_b32 v[58:59], v51 offset0:32 offset1:48
	ds_read2_b32 v[62:63], v51 offset0:64 offset1:80
	s_mul_i32 s9, s23, 5
	s_waitcnt lgkmcnt(2)
	v_max3_f32 v50, v52, s33, v53
	s_waitcnt lgkmcnt(1)
	v_max3_f32 v50, v50, v58, v59
	v_sub_f32_e32 v52, v52, v50
	v_mul_f32_e32 v52, 0x3fb8aa3b, v52
	v_exp_f32_e32 v55, v52
	v_sub_f32_e32 v52, v53, v50
	v_mul_f32_e32 v52, 0x3fb8aa3b, v52
	v_exp_f32_e32 v61, v52
	;; [unrolled: 3-line block ×3, first 2 shown]
	ds_read2_b32 v[52:53], v51 offset0:96 offset1:112
	v_sub_f32_e32 v51, v59, v50
	v_mul_f32_e32 v51, 0x3fb8aa3b, v51
	v_exp_f32_e32 v59, v51
	s_waitcnt lgkmcnt(1)
	v_fma_f32 v51, v55, v62, 0
	v_fmac_f32_e32 v51, v61, v63
	s_waitcnt lgkmcnt(0)
	v_fmac_f32_e32 v51, v58, v52
	v_fmac_f32_e32 v51, v59, v53
	v_add_f32_e32 v52, 0x358637bd, v51
	v_div_scale_f32 v53, s[6:7], v52, v52, 1.0
	v_rcp_f32_e32 v62, v53
	s_barrier
	v_fma_f32 v63, -v53, v62, 1.0
	v_fmac_f32_e32 v62, v63, v62
	v_div_scale_f32 v63, vcc, 1.0, v52, 1.0
	v_mul_f32_e32 v64, v63, v62
	v_fma_f32 v65, -v53, v64, v63
	v_fmac_f32_e32 v64, v65, v62
	v_fma_f32 v53, -v53, v64, v63
	v_div_fmas_f32 v53, v53, v62, v64
	v_cmp_eq_u32_e32 vcc, 1, v57
	v_div_fixup_f32 v52, v53, v52, 1.0
	s_nop 0
	v_cndmask_b32_e32 v53, v55, v61, vcc
	v_cmp_eq_u32_e32 vcc, 2, v57
	s_nop 1
	v_cndmask_b32_e32 v53, v53, v58, vcc
	v_cmp_eq_u32_e32 vcc, 3, v57
	s_nop 1
	v_cndmask_b32_e32 v53, v53, v59, vcc
	v_mul_f32_e32 v52, v53, v52
	v_pk_mul_f32 v[46:47], v[52:53], v[46:47] op_sel_hi:[0,1]
	v_pk_mul_f32 v[36:37], v[52:53], v[36:37] op_sel_hi:[0,1]
	v_cvt_f16_f32_e32 v53, v46
	v_cvt_f16_f32_e32 v36, v36
	;; [unrolled: 1-line block ×4, first 2 shown]
	v_pk_mul_f32 v[48:49], v[52:53], v[48:49] op_sel_hi:[0,1]
	v_pk_mul_f32 v[38:39], v[52:53], v[38:39] op_sel_hi:[0,1]
	v_cvt_f16_f32_e32 v38, v38
	v_cvt_f16_f32_e32 v39, v39
	;; [unrolled: 1-line block ×4, first 2 shown]
	v_pack_b32_f16 v46, v36, v37
	v_pack_b32_f16 v47, v53, v47
	v_lshlrev_b32_e32 v37, 3, v60
	v_lshlrev_b32_e32 v36, 5, v56
	;; [unrolled: 1-line block ×3, first 2 shown]
	v_or3_b32 v55, v53, v36, v37
	v_pack_b32_f16 v38, v38, v39
	v_pack_b32_f16 v39, v48, v49
	ds_write2st64_b64 v55, v[46:47], v[38:39] offset1:1
	v_pk_mul_f32 v[38:39], v[52:53], v[44:45] op_sel_hi:[0,1]
	v_pk_mul_f32 v[42:43], v[52:53], v[42:43] op_sel_hi:[0,1]
	v_cvt_f16_f32_e32 v37, v42
	v_cvt_f16_f32_e32 v42, v43
	;; [unrolled: 1-line block ×4, first 2 shown]
	v_pk_mul_f32 v[34:35], v[52:53], v[34:35] op_sel_hi:[0,1]
	v_pk_mul_f32 v[38:39], v[52:53], v[40:41] op_sel_hi:[0,1]
	v_cvt_f16_f32_e32 v38, v38
	v_cvt_f16_f32_e32 v39, v39
	;; [unrolled: 1-line block ×4, first 2 shown]
	v_pack_b32_f16 v34, v37, v42
	v_pack_b32_f16 v35, v43, v44
	v_pack_b32_f16 v38, v38, v39
	v_pack_b32_f16 v39, v40, v41
	v_cmp_gt_u32_e32 vcc, 5, v0
	ds_write2st64_b64 v55, v[34:35], v[38:39] offset0:2 offset1:3
	s_and_saveexec_b64 s[6:7], vcc
	s_cbranch_execz .LBB1072_15
; %bb.14:
	s_mov_b32 s49, 0
	v_mov_b32_e32 v57, 0
	v_lshl_add_u64 v[34:35], s[48:49], 0, v[56:57]
	v_mov_b32_e32 v37, s9
	v_mad_u64_u32 v[34:35], s[10:11], s2, v37, v[34:35]
	s_mul_i32 s3, s3, s9
	v_mov_b32_e32 v38, s22
	v_mov_b32_e32 v39, v57
	s_load_dwordx4 s[12:15], s[0:1], 0x58
	v_add_u32_e32 v37, s3, v35
	v_mad_u64_u32 v[34:35], s[10:11], v34, s8, v[38:39]
	v_mov_b32_e32 v38, v35
	v_mad_u64_u32 v[38:39], s[10:11], v37, s8, v[38:39]
	v_mov_b32_e32 v35, v38
	v_lshlrev_b64 v[34:35], 2, v[34:35]
	s_waitcnt lgkmcnt(0)
	v_lshl_add_u64 v[38:39], s[14:15], 0, v[34:35]
	v_lshl_add_u64 v[34:35], s[12:13], 0, v[34:35]
	global_store_dword v[38:39], v50, off
	global_store_dword v[34:35], v51, off
.LBB1072_15:
	s_or_b64 exec, exec, s[6:7]
	s_waitcnt vmcnt(7)
	v_cvt_pk_f32_fp8_e32 v[34:35], v30
	v_lshl_or_b32 v50, v60, 9, v36
	v_cvt_pk_f32_fp8_sdwa v[36:37], v30 src0_sel:WORD_1
	s_waitcnt lgkmcnt(0)
	s_barrier
	v_cvt_pk_f32_fp8_e32 v[38:39], v31
	v_cvt_pkrtz_f16_f32 v30, v34, v35
	v_cvt_pk_f32_fp8_sdwa v[40:41], v31 src0_sel:WORD_1
	v_cvt_pkrtz_f16_f32 v31, v36, v37
	ds_read_b128 v[34:37], v50
	v_cvt_pkrtz_f16_f32 v46, v38, v39
	v_cvt_pkrtz_f16_f32 v47, v40, v41
	ds_read_b128 v[38:41], v50 offset:16
	v_cvt_pk_f32_fp8_e32 v[48:49], v32
	v_cvt_pk_f32_fp8_sdwa v[52:53], v32 src0_sel:WORD_1
	s_waitcnt lgkmcnt(1)
	v_mfma_f32_16x16x16_f16 v[42:45], v[30:31], v[34:35], 0
	s_waitcnt vmcnt(6)
	v_cvt_pk_f32_fp8_e32 v[58:59], v24
	v_cvt_pkrtz_f16_f32 v30, v48, v49
	v_cvt_pkrtz_f16_f32 v31, v52, v53
	v_cvt_pk_f32_fp8_e32 v[48:49], v33
	v_mfma_f32_16x16x16_f16 v[42:45], v[46:47], v[36:37], v[42:45]
	v_cvt_pk_f32_fp8_sdwa v[46:47], v33 src0_sel:WORD_1
	v_cvt_pk_f32_fp8_sdwa v[62:63], v24 src0_sel:WORD_1
	v_cvt_pkrtz_f16_f32 v48, v48, v49
	s_waitcnt lgkmcnt(0)
	v_mfma_f32_16x16x16_f16 v[30:33], v[30:31], v[38:39], v[42:45]
	v_cvt_pkrtz_f16_f32 v49, v46, v47
	s_waitcnt vmcnt(5)
	v_cvt_pk_f32_fp8_sdwa v[66:67], v12 src0_sel:WORD_1
	s_waitcnt vmcnt(4)
	v_cvt_pk_f32_fp8_sdwa v[68:69], v4 src0_sel:WORD_1
	v_cvt_pk_f32_fp8_e32 v[42:43], v22
	v_mfma_f32_16x16x16_f16 v[46:49], v[48:49], v[40:41], v[30:33]
	s_waitcnt vmcnt(3)
	v_cvt_pk_f32_fp8_sdwa v[70:71], v28 src0_sel:WORD_1
	s_load_dword s6, s[42:43], 0x0
	v_cvt_pk_f32_fp8_sdwa v[30:31], v22 src0_sel:WORD_1
	v_cvt_pk_f32_fp8_e32 v[32:33], v23
	v_cvt_pkrtz_f16_f32 v22, v42, v43
	v_cvt_pk_f32_fp8_sdwa v[42:43], v23 src0_sel:WORD_1
	v_cvt_pkrtz_f16_f32 v23, v30, v31
	v_cvt_pkrtz_f16_f32 v52, v32, v33
	ds_read_b128 v[30:33], v50 offset:2048
	v_cvt_pkrtz_f16_f32 v53, v42, v43
	ds_read_b128 v[42:45], v50 offset:2064
	s_waitcnt lgkmcnt(0)
	v_mfma_f32_16x16x16_f16 v[46:49], v[22:23], v[30:31], v[46:49]
	v_cvt_pkrtz_f16_f32 v22, v58, v59
	v_cvt_pkrtz_f16_f32 v23, v62, v63
	v_cvt_pk_f32_fp8_e32 v[58:59], v25
	v_mfma_f32_16x16x16_f16 v[46:49], v[52:53], v[32:33], v[46:49]
	v_cvt_pk_f32_fp8_sdwa v[52:53], v25 src0_sel:WORD_1
	s_mov_b32 s3, 0
	v_cvt_pkrtz_f16_f32 v58, v58, v59
	v_mfma_f32_16x16x16_f16 v[22:25], v[22:23], v[42:43], v[46:49]
	v_cvt_pkrtz_f16_f32 v59, v52, v53
	v_cmp_gt_u32_e32 vcc, 64, v0
	s_nop 0
	v_cvt_pk_f32_fp8_e32 v[46:47], v10
	v_mfma_f32_16x16x16_f16 v[62:65], v[58:59], v[44:45], v[22:25]
	v_cvt_pk_f32_fp8_e32 v[58:59], v12
	s_nop 1
	v_cvt_pk_f32_fp8_sdwa v[22:23], v10 src0_sel:WORD_1
	v_cvt_pk_f32_fp8_e32 v[24:25], v11
	v_cvt_pkrtz_f16_f32 v10, v46, v47
	v_cvt_pk_f32_fp8_sdwa v[46:47], v11 src0_sel:WORD_1
	v_cvt_pkrtz_f16_f32 v11, v22, v23
	v_cvt_pkrtz_f16_f32 v52, v24, v25
	ds_read_b128 v[22:25], v50 offset:4096
	v_cvt_pkrtz_f16_f32 v53, v46, v47
	ds_read_b128 v[46:49], v50 offset:4112
	s_waitcnt lgkmcnt(1)
	v_mfma_f32_16x16x16_f16 v[62:65], v[10:11], v[22:23], v[62:65]
	v_cvt_pkrtz_f16_f32 v10, v58, v59
	v_cvt_pkrtz_f16_f32 v11, v66, v67
	v_cvt_pk_f32_fp8_e32 v[58:59], v13
	v_mfma_f32_16x16x16_f16 v[62:65], v[52:53], v[24:25], v[62:65]
	v_cvt_pk_f32_fp8_sdwa v[52:53], v13 src0_sel:WORD_1
	v_cvt_pk_f32_fp8_e32 v[66:67], v4
	v_cvt_pkrtz_f16_f32 v58, v58, v59
	s_waitcnt lgkmcnt(0)
	v_mfma_f32_16x16x16_f16 v[10:13], v[10:11], v[46:47], v[62:65]
	v_cvt_pkrtz_f16_f32 v59, v52, v53
	v_cvt_pk_f32_fp8_e32 v[52:53], v2
	s_nop 0
	v_mfma_f32_16x16x16_f16 v[62:65], v[58:59], v[48:49], v[10:13]
	s_nop 2
	v_cvt_pk_f32_fp8_sdwa v[10:11], v2 src0_sel:WORD_1
	v_cvt_pk_f32_fp8_e32 v[12:13], v3
	v_cvt_pkrtz_f16_f32 v2, v52, v53
	v_cvt_pk_f32_fp8_sdwa v[52:53], v3 src0_sel:WORD_1
	v_cvt_pkrtz_f16_f32 v3, v10, v11
	v_cvt_pkrtz_f16_f32 v58, v12, v13
	ds_read_b128 v[10:13], v50 offset:6144
	v_cvt_pkrtz_f16_f32 v59, v52, v53
	s_waitcnt lgkmcnt(0)
	v_mfma_f32_16x16x16_f16 v[62:65], v[2:3], v[10:11], v[62:65]
	ds_read_b128 v[50:53], v50 offset:6160
	v_cvt_pkrtz_f16_f32 v2, v66, v67
	v_cvt_pkrtz_f16_f32 v3, v68, v69
	v_cvt_pk_f32_fp8_e32 v[66:67], v5
	v_mfma_f32_16x16x16_f16 v[62:65], v[58:59], v[12:13], v[62:65]
	v_cvt_pk_f32_fp8_sdwa v[58:59], v5 src0_sel:WORD_1
	v_cvt_pk_f32_fp8_e32 v[68:69], v28
	v_cvt_pkrtz_f16_f32 v66, v66, v67
	s_waitcnt lgkmcnt(0)
	v_mfma_f32_16x16x16_f16 v[2:5], v[2:3], v[50:51], v[62:65]
	v_cvt_pkrtz_f16_f32 v67, v58, v59
	v_cvt_pk_f32_fp8_e32 v[58:59], v26
	s_nop 0
	v_cvt_pk_f32_fp8_sdwa v[62:63], v26 src0_sel:WORD_1
	v_cvt_pk_f32_fp8_e32 v[64:65], v27
	v_cvt_pkrtz_f16_f32 v58, v58, v59
	v_cvt_pk_f32_fp8_sdwa v[26:27], v27 src0_sel:WORD_1
	v_cvt_pkrtz_f16_f32 v59, v62, v63
	v_mfma_f32_16x16x16_f16 v[2:5], v[66:67], v[52:53], v[2:5]
	v_cvt_pkrtz_f16_f32 v66, v64, v65
	v_cvt_pkrtz_f16_f32 v67, v26, v27
	;; [unrolled: 1-line block ×3, first 2 shown]
	v_mfma_f32_16x16x16_f16 v[62:65], v[58:59], v[34:35], 0
	v_cvt_pkrtz_f16_f32 v27, v70, v71
	v_cvt_pk_f32_fp8_e32 v[58:59], v29
	s_barrier
	v_mfma_f32_16x16x16_f16 v[34:37], v[66:67], v[36:37], v[62:65]
	v_cvt_pkrtz_f16_f32 v58, v58, v59
	s_nop 1
	v_cvt_pk_f32_fp8_sdwa v[62:63], v29 src0_sel:WORD_1
	v_mfma_f32_16x16x16_f16 v[26:29], v[26:27], v[38:39], v[34:37]
	s_waitcnt vmcnt(2)
	v_cvt_pk_f32_fp8_e32 v[38:39], v19
	v_cvt_pkrtz_f16_f32 v59, v62, v63
	v_cvt_pk_f32_fp8_e32 v[34:35], v18
	v_cvt_pk_f32_fp8_sdwa v[36:37], v18 src0_sel:WORD_1
	v_cvt_pk_f32_fp8_sdwa v[18:19], v19 src0_sel:WORD_1
	v_mfma_f32_16x16x16_f16 v[26:29], v[58:59], v[40:41], v[26:29]
	v_cvt_pkrtz_f16_f32 v34, v34, v35
	v_cvt_pkrtz_f16_f32 v35, v36, v37
	;; [unrolled: 1-line block ×3, first 2 shown]
	v_cvt_pk_f32_fp8_e32 v[38:39], v20
	v_cvt_pk_f32_fp8_sdwa v[40:41], v20 src0_sel:WORD_1
	v_cvt_pkrtz_f16_f32 v37, v18, v19
	v_mfma_f32_16x16x16_f16 v[26:29], v[34:35], v[30:31], v[26:29]
	v_cvt_pkrtz_f16_f32 v30, v38, v39
	v_cvt_pkrtz_f16_f32 v31, v40, v41
	v_cvt_pk_f32_fp8_e32 v[34:35], v21
	v_cvt_pk_f32_fp8_sdwa v[38:39], v21 src0_sel:WORD_1
	v_mfma_f32_16x16x16_f16 v[18:21], v[36:37], v[32:33], v[26:29]
	s_waitcnt vmcnt(1)
	v_cvt_pk_f32_fp8_sdwa v[32:33], v16 src0_sel:WORD_1
	s_nop 0
	v_cvt_pkrtz_f16_f32 v26, v34, v35
	v_cvt_pkrtz_f16_f32 v27, v38, v39
	v_mfma_f32_16x16x16_f16 v[18:21], v[30:31], v[42:43], v[18:21]
	v_cvt_pk_f32_fp8_e32 v[28:29], v14
	v_cvt_pk_f32_fp8_sdwa v[30:31], v14 src0_sel:WORD_1
	v_cvt_pkrtz_f16_f32 v28, v28, v29
	v_mfma_f32_16x16x16_f16 v[18:21], v[26:27], v[44:45], v[18:21]
	v_cvt_pk_f32_fp8_e32 v[26:27], v15
	v_cvt_pkrtz_f16_f32 v29, v30, v31
	v_cvt_pk_f32_fp8_sdwa v[14:15], v15 src0_sel:WORD_1
	v_cvt_pk_f32_fp8_e32 v[30:31], v16
	v_cvt_pkrtz_f16_f32 v26, v26, v27
	v_mfma_f32_16x16x16_f16 v[18:21], v[28:29], v[22:23], v[18:21]
	v_cvt_pkrtz_f16_f32 v27, v14, v15
	v_cvt_pkrtz_f16_f32 v22, v30, v31
	;; [unrolled: 1-line block ×3, first 2 shown]
	v_cvt_pk_f32_fp8_e32 v[28:29], v17
	v_cvt_pk_f32_fp8_sdwa v[30:31], v17 src0_sel:WORD_1
	v_mfma_f32_16x16x16_f16 v[14:17], v[26:27], v[24:25], v[18:21]
	s_waitcnt vmcnt(0)
	v_cvt_pk_f32_fp8_sdwa v[24:25], v6 src0_sel:WORD_1
	s_nop 0
	v_pk_mul_f32 v[18:19], v[4:5], s[6:7] op_sel_hi:[1,0]
	v_cvt_pkrtz_f16_f32 v4, v28, v29
	v_cvt_pkrtz_f16_f32 v5, v30, v31
	v_mfma_f32_16x16x16_f16 v[14:17], v[22:23], v[46:47], v[14:17]
	v_cvt_pk_f32_fp8_e32 v[22:23], v6
	v_pk_mul_f32 v[20:21], v[2:3], s[6:7] op_sel_hi:[1,0]
	v_mfma_f32_16x16x16_f16 v[2:5], v[4:5], v[48:49], v[14:17]
	s_nop 3
	v_cvt_pk_f32_fp8_e32 v[14:15], v7
	v_cvt_pkrtz_f16_f32 v16, v22, v23
	v_cvt_pkrtz_f16_f32 v17, v24, v25
	v_cvt_pk_f32_fp8_sdwa v[6:7], v7 src0_sel:WORD_1
	v_cvt_pkrtz_f16_f32 v14, v14, v15
	v_cvt_pk_f32_fp8_e32 v[22:23], v8
	v_cvt_pk_f32_fp8_sdwa v[24:25], v8 src0_sel:WORD_1
	v_cvt_pkrtz_f16_f32 v15, v6, v7
	v_mfma_f32_16x16x16_f16 v[2:5], v[16:17], v[10:11], v[2:5]
	v_cvt_pkrtz_f16_f32 v6, v22, v23
	v_cvt_pkrtz_f16_f32 v7, v24, v25
	v_cvt_pk_f32_fp8_e32 v[10:11], v9
	v_cvt_pk_f32_fp8_sdwa v[8:9], v9 src0_sel:WORD_1
	v_mfma_f32_16x16x16_f16 v[2:5], v[14:15], v[12:13], v[2:5]
	v_cvt_f16_f32_e32 v12, v20
	v_cvt_pkrtz_f16_f32 v10, v10, v11
	v_cvt_pkrtz_f16_f32 v11, v8, v9
	v_mfma_f32_16x16x16_f16 v[2:5], v[6:7], v[50:51], v[2:5]
	v_cvt_f16_f32_e32 v6, v21
	v_cvt_f16_f32_e32 v7, v18
	;; [unrolled: 1-line block ×3, first 2 shown]
	v_mfma_f32_16x16x16_f16 v[2:5], v[10:11], v[52:53], v[2:5]
	s_nop 6
	v_pk_mul_f32 v[4:5], v[4:5], s[6:7] op_sel_hi:[1,0]
	v_pk_mul_f32 v[2:3], v[2:3], s[6:7] op_sel_hi:[1,0]
	v_cvt_f16_f32_e32 v11, v4
	v_cvt_f16_f32_e32 v9, v2
	;; [unrolled: 1-line block ×4, first 2 shown]
	v_pack_b32_f16 v2, v12, v6
	v_pack_b32_f16 v3, v7, v8
	;; [unrolled: 1-line block ×4, first 2 shown]
	ds_write2st64_b64 v55, v[2:3], v[4:5] offset1:1
	s_waitcnt lgkmcnt(0)
	s_barrier
	s_and_saveexec_b64 s[6:7], vcc
	s_cbranch_execz .LBB1072_18
; %bb.16:
	s_load_dwordx2 s[6:7], s[0:1], 0x68
	s_lshl_b32 s0, s8, 7
	s_mul_i32 s1, s9, s2
	v_lshlrev_b32_e32 v3, 6, v56
	s_mul_hi_u32 s9, s1, s0
	s_mul_i32 s8, s1, s0
	v_lshl_or_b32 v0, v0, 10, v3
	s_lshl_b64 s[8:9], s[8:9], 1
	v_lshlrev_b32_e32 v2, 5, v60
	v_and_b32_e32 v1, 16, v1
	v_and_b32_e32 v0, 0x1a00, v0
	s_waitcnt lgkmcnt(0)
	s_add_u32 s1, s6, s8
	v_or3_b32 v2, v0, v2, v1
	s_addc_u32 s6, s7, s9
	s_lshl_b32 s2, s22, 7
	s_lshl_b64 s[2:3], s[2:3], 1
	ds_read_b128 v[4:7], v2
	s_add_u32 s2, s1, s2
	s_addc_u32 s3, s6, s3
	v_mov_b32_e32 v55, 0
	v_add_u32_e32 v3, s48, v60
	v_lshl_add_u64 v[0:1], s[2:3], 0, v[54:55]
	v_mad_u64_u32 v[8:9], s[2:3], v3, s0, 0
	v_lshl_add_u64 v[8:9], v[8:9], 1, v[0:1]
	s_waitcnt lgkmcnt(0)
	global_store_dwordx4 v[8:9], v[4:7], off
	s_and_b64 exec, exec, s[4:5]
	s_cbranch_execz .LBB1072_18
; %bb.17:
	ds_read_b128 v[2:5], v2 offset:128
	v_add3_u32 v6, s48, v60, 4
	v_mad_u64_u32 v[6:7], s[0:1], v6, s0, 0
	v_lshl_add_u64 v[0:1], v[6:7], 1, v[0:1]
	s_waitcnt lgkmcnt(0)
	global_store_dwordx4 v[0:1], v[2:5], off
.LBB1072_18:
	s_endpgm
	.section	.rodata,"a",@progbits
	.p2align	6, 0x0
	.amdhsa_kernel _Z39paged_attention_ll4mi_QKV_mfma16_kernelIDF16_hLN4vllm18Fp8KVCacheDataTypeE1EDF16_Li32ELi128ELi256ELb0ELi5EEvPKT_PKT0_S7_ifPKiS9_S9_iPKfiiiPfSC_PS2_PT2_iSB_SB_
		.amdhsa_group_segment_fixed_size 8192
		.amdhsa_private_segment_fixed_size 0
		.amdhsa_kernarg_size 400
		.amdhsa_user_sgpr_count 2
		.amdhsa_user_sgpr_dispatch_ptr 0
		.amdhsa_user_sgpr_queue_ptr 0
		.amdhsa_user_sgpr_kernarg_segment_ptr 1
		.amdhsa_user_sgpr_dispatch_id 0
		.amdhsa_user_sgpr_kernarg_preload_length 0
		.amdhsa_user_sgpr_kernarg_preload_offset 0
		.amdhsa_user_sgpr_private_segment_size 0
		.amdhsa_uses_dynamic_stack 0
		.amdhsa_enable_private_segment 0
		.amdhsa_system_sgpr_workgroup_id_x 1
		.amdhsa_system_sgpr_workgroup_id_y 1
		.amdhsa_system_sgpr_workgroup_id_z 1
		.amdhsa_system_sgpr_workgroup_info 0
		.amdhsa_system_vgpr_workitem_id 0
		.amdhsa_next_free_vgpr 80
		.amdhsa_next_free_sgpr 50
		.amdhsa_accum_offset 80
		.amdhsa_reserve_vcc 1
		.amdhsa_float_round_mode_32 0
		.amdhsa_float_round_mode_16_64 0
		.amdhsa_float_denorm_mode_32 3
		.amdhsa_float_denorm_mode_16_64 3
		.amdhsa_dx10_clamp 1
		.amdhsa_ieee_mode 1
		.amdhsa_fp16_overflow 0
		.amdhsa_tg_split 0
		.amdhsa_exception_fp_ieee_invalid_op 0
		.amdhsa_exception_fp_denorm_src 0
		.amdhsa_exception_fp_ieee_div_zero 0
		.amdhsa_exception_fp_ieee_overflow 0
		.amdhsa_exception_fp_ieee_underflow 0
		.amdhsa_exception_fp_ieee_inexact 0
		.amdhsa_exception_int_div_zero 0
	.end_amdhsa_kernel
	.section	.text._Z39paged_attention_ll4mi_QKV_mfma16_kernelIDF16_hLN4vllm18Fp8KVCacheDataTypeE1EDF16_Li32ELi128ELi256ELb0ELi5EEvPKT_PKT0_S7_ifPKiS9_S9_iPKfiiiPfSC_PS2_PT2_iSB_SB_,"axG",@progbits,_Z39paged_attention_ll4mi_QKV_mfma16_kernelIDF16_hLN4vllm18Fp8KVCacheDataTypeE1EDF16_Li32ELi128ELi256ELb0ELi5EEvPKT_PKT0_S7_ifPKiS9_S9_iPKfiiiPfSC_PS2_PT2_iSB_SB_,comdat
.Lfunc_end1072:
	.size	_Z39paged_attention_ll4mi_QKV_mfma16_kernelIDF16_hLN4vllm18Fp8KVCacheDataTypeE1EDF16_Li32ELi128ELi256ELb0ELi5EEvPKT_PKT0_S7_ifPKiS9_S9_iPKfiiiPfSC_PS2_PT2_iSB_SB_, .Lfunc_end1072-_Z39paged_attention_ll4mi_QKV_mfma16_kernelIDF16_hLN4vllm18Fp8KVCacheDataTypeE1EDF16_Li32ELi128ELi256ELb0ELi5EEvPKT_PKT0_S7_ifPKiS9_S9_iPKfiiiPfSC_PS2_PT2_iSB_SB_
                                        ; -- End function
	.section	.AMDGPU.csdata,"",@progbits
; Kernel info:
; codeLenInByte = 6072
; NumSgprs: 56
; NumVgprs: 80
; NumAgprs: 0
; TotalNumVgprs: 80
; ScratchSize: 0
; MemoryBound: 0
; FloatMode: 240
; IeeeMode: 1
; LDSByteSize: 8192 bytes/workgroup (compile time only)
; SGPRBlocks: 6
; VGPRBlocks: 9
; NumSGPRsForWavesPerEU: 56
; NumVGPRsForWavesPerEU: 80
; AccumOffset: 80
; Occupancy: 6
; WaveLimiterHint : 1
; COMPUTE_PGM_RSRC2:SCRATCH_EN: 0
; COMPUTE_PGM_RSRC2:USER_SGPR: 2
; COMPUTE_PGM_RSRC2:TRAP_HANDLER: 0
; COMPUTE_PGM_RSRC2:TGID_X_EN: 1
; COMPUTE_PGM_RSRC2:TGID_Y_EN: 1
; COMPUTE_PGM_RSRC2:TGID_Z_EN: 1
; COMPUTE_PGM_RSRC2:TIDIG_COMP_CNT: 0
; COMPUTE_PGM_RSRC3_GFX90A:ACCUM_OFFSET: 19
; COMPUTE_PGM_RSRC3_GFX90A:TG_SPLIT: 0
	.section	.text._Z39paged_attention_ll4mi_QKV_mfma16_kernelIDF16_hLN4vllm18Fp8KVCacheDataTypeE1EDF16_Li32ELi128ELi256ELb0ELi6EEvPKT_PKT0_S7_ifPKiS9_S9_iPKfiiiPfSC_PS2_PT2_iSB_SB_,"axG",@progbits,_Z39paged_attention_ll4mi_QKV_mfma16_kernelIDF16_hLN4vllm18Fp8KVCacheDataTypeE1EDF16_Li32ELi128ELi256ELb0ELi6EEvPKT_PKT0_S7_ifPKiS9_S9_iPKfiiiPfSC_PS2_PT2_iSB_SB_,comdat
	.protected	_Z39paged_attention_ll4mi_QKV_mfma16_kernelIDF16_hLN4vllm18Fp8KVCacheDataTypeE1EDF16_Li32ELi128ELi256ELb0ELi6EEvPKT_PKT0_S7_ifPKiS9_S9_iPKfiiiPfSC_PS2_PT2_iSB_SB_ ; -- Begin function _Z39paged_attention_ll4mi_QKV_mfma16_kernelIDF16_hLN4vllm18Fp8KVCacheDataTypeE1EDF16_Li32ELi128ELi256ELb0ELi6EEvPKT_PKT0_S7_ifPKiS9_S9_iPKfiiiPfSC_PS2_PT2_iSB_SB_
	.globl	_Z39paged_attention_ll4mi_QKV_mfma16_kernelIDF16_hLN4vllm18Fp8KVCacheDataTypeE1EDF16_Li32ELi128ELi256ELb0ELi6EEvPKT_PKT0_S7_ifPKiS9_S9_iPKfiiiPfSC_PS2_PT2_iSB_SB_
	.p2align	8
	.type	_Z39paged_attention_ll4mi_QKV_mfma16_kernelIDF16_hLN4vllm18Fp8KVCacheDataTypeE1EDF16_Li32ELi128ELi256ELb0ELi6EEvPKT_PKT0_S7_ifPKiS9_S9_iPKfiiiPfSC_PS2_PT2_iSB_SB_,@function
_Z39paged_attention_ll4mi_QKV_mfma16_kernelIDF16_hLN4vllm18Fp8KVCacheDataTypeE1EDF16_Li32ELi128ELi256ELb0ELi6EEvPKT_PKT0_S7_ifPKiS9_S9_iPKfiiiPfSC_PS2_PT2_iSB_SB_: ; @_Z39paged_attention_ll4mi_QKV_mfma16_kernelIDF16_hLN4vllm18Fp8KVCacheDataTypeE1EDF16_Li32ELi128ELi256ELb0ELi6EEvPKT_PKT0_S7_ifPKiS9_S9_iPKfiiiPfSC_PS2_PT2_iSB_SB_
; %bb.0:
	s_load_dwordx2 s[12:13], s[0:1], 0x30
	s_mov_b32 s22, s3
	s_mov_b64 s[6:7], 0
	s_waitcnt lgkmcnt(0)
	s_cmp_lg_u64 s[12:13], 0
	s_cselect_b64 s[14:15], -1, 0
	s_and_b64 vcc, exec, s[14:15]
	s_cbranch_vccz .LBB1073_7
; %bb.1:
	s_add_i32 s8, s2, 1
	s_mov_b32 s9, 0
	s_lshl_b64 s[10:11], s[8:9], 2
	s_add_u32 s10, s12, s10
	s_mov_b32 s3, s9
	s_addc_u32 s11, s13, s11
	s_lshl_b64 s[8:9], s[2:3], 2
	s_add_u32 s8, s12, s8
	s_addc_u32 s9, s13, s9
	s_load_dword s5, s[10:11], 0x0
	s_load_dword s16, s[8:9], 0x0
	s_waitcnt lgkmcnt(0)
	s_sub_i32 s5, s5, s16
	s_cmp_eq_u32 s5, 1
	s_cselect_b64 s[8:9], -1, 0
	s_andn2_b64 vcc, exec, s[6:7]
	s_cbranch_vccnz .LBB1073_3
.LBB1073_2:
	s_mov_b32 s3, 0
	s_mov_b64 s[8:9], -1
.LBB1073_3:
	s_andn2_b64 vcc, exec, s[8:9]
	s_cbranch_vccnz .LBB1073_18
; %bb.4:
	s_load_dwordx2 s[6:7], s[0:1], 0x28
	s_lshl_b64 s[16:17], s[2:3], 2
	s_waitcnt lgkmcnt(0)
	s_add_u32 s6, s6, s16
	s_addc_u32 s7, s7, s17
	s_load_dword s5, s[6:7], 0x0
	s_lshl_b32 s18, s22, 8
	s_waitcnt lgkmcnt(0)
	s_cmp_ge_i32 s18, s5
	s_cbranch_scc1 .LBB1073_18
; %bb.5:
	s_load_dwordx2 s[6:7], s[0:1], 0x20
	s_load_dword s8, s[0:1], 0x38
	s_add_i32 s9, s5, 31
	s_ashr_i32 s10, s9, 31
	v_and_b32_e32 v1, 0xcf, v0
	s_lshr_b32 s10, s10, 27
	v_add_u32_e32 v1, s18, v1
	s_add_i32 s9, s9, s10
	v_ashrrev_i32_e32 v2, 31, v1
	s_ashr_i32 s19, s9, 5
	v_lshrrev_b32_e32 v6, 27, v2
	s_add_i32 s19, s19, -1
	s_waitcnt lgkmcnt(0)
	s_mul_i32 s8, s2, s8
	s_mov_b32 s9, 0
	v_add_u32_e32 v2, v1, v6
	s_lshl_b64 s[8:9], s[8:9], 2
	v_ashrrev_i32_e32 v2, 5, v2
	v_mov_b32_e32 v7, s19
	v_cmp_gt_i32_e32 vcc, s5, v1
	s_add_u32 s6, s6, s8
	s_addc_u32 s7, s7, s9
	v_cndmask_b32_e32 v2, v7, v2, vcc
	v_ashrrev_i32_e32 v3, 31, v2
	v_lshl_add_u64 v[4:5], v[2:3], 2, s[6:7]
	v_or_b32_e32 v2, 16, v1
	v_add_u32_e32 v3, v2, v6
	v_ashrrev_i32_e32 v3, 5, v3
	v_cmp_gt_i32_e32 vcc, s5, v2
	s_load_dwordx4 s[8:11], s[0:1], 0x8
	s_nop 0
	v_cndmask_b32_e32 v2, v7, v3, vcc
	v_ashrrev_i32_e32 v3, 31, v2
	v_lshl_add_u64 v[10:11], v[2:3], 2, s[6:7]
	v_or_b32_e32 v2, 32, v1
	v_add_u32_e32 v3, v2, v6
	v_ashrrev_i32_e32 v3, 5, v3
	v_cmp_gt_i32_e32 vcc, s5, v2
	v_or_b32_e32 v1, 48, v1
	s_nop 0
	v_cndmask_b32_e32 v2, v7, v3, vcc
	v_ashrrev_i32_e32 v3, 31, v2
	v_lshl_add_u64 v[12:13], v[2:3], 2, s[6:7]
	v_add_u32_e32 v2, v1, v6
	v_ashrrev_i32_e32 v2, 5, v2
	v_cmp_gt_i32_e32 vcc, s5, v1
	s_nop 1
	v_cndmask_b32_e32 v2, v7, v2, vcc
	v_ashrrev_i32_e32 v3, 31, v2
	v_lshl_add_u64 v[14:15], v[2:3], 2, s[6:7]
	global_load_dword v2, v[4:5], off
	global_load_dword v8, v[10:11], off
	;; [unrolled: 1-line block ×4, first 2 shown]
	s_andn2_b64 vcc, exec, s[14:15]
	s_cbranch_vccnz .LBB1073_8
; %bb.6:
	s_add_u32 s12, s12, s16
	s_addc_u32 s13, s13, s17
	s_load_dword s14, s[12:13], 0x0
	s_branch .LBB1073_9
.LBB1073_7:
	s_mov_b64 s[8:9], 0
	s_branch .LBB1073_2
.LBB1073_8:
	s_mov_b32 s14, s2
.LBB1073_9:
	s_load_dwordx4 s[44:47], s[0:1], 0x48
	v_lshrrev_b32_e32 v57, 6, v0
	v_bfe_u32 v60, v0, 4, 2
	v_and_b32_e32 v56, 15, v0
	v_lshl_or_b32 v3, v57, 2, v60
	v_lshlrev_b32_e32 v1, 3, v56
	v_and_b32_e32 v61, 63, v0
	s_mul_i32 s48, s4, 6
	v_cmp_gt_u32_e32 vcc, 6, v3
	v_lshlrev_b32_e32 v54, 1, v1
	v_lshlrev_b32_e32 v1, 4, v0
	s_and_saveexec_b64 s[12:13], vcc
	s_cbranch_execz .LBB1073_11
; %bb.10:
	s_load_dwordx2 s[16:17], s[0:1], 0x0
	s_waitcnt lgkmcnt(0)
	s_ashr_i32 s15, s44, 31
	s_mul_hi_u32 s20, s14, s44
	s_mul_i32 s15, s14, s15
	s_add_i32 s15, s20, s15
	s_mul_i32 s14, s14, s44
	s_lshl_b64 s[14:15], s[14:15], 1
	s_add_u32 s14, s16, s14
	v_add_lshl_u32 v4, v3, s48, 7
	s_addc_u32 s15, s17, s15
	v_ashrrev_i32_e32 v5, 31, v4
	v_lshl_add_u64 v[4:5], v[4:5], 1, s[14:15]
	v_mov_b32_e32 v55, 0
	v_lshl_add_u64 v[4:5], v[4:5], 0, v[54:55]
	global_load_dwordx4 v[10:13], v[4:5], off
	v_lshlrev_b32_e32 v5, 8, v0
	v_lshlrev_b32_e32 v4, 8, v56
	v_and_b32_e32 v5, 0x600, v5
	s_movk_i32 s14, 0x800
	v_and_or_b32 v4, v4, s14, v5
	v_lshlrev_b32_e32 v3, 5, v3
	v_and_b32_e32 v5, 16, v1
	v_or3_b32 v3, v4, v3, v5
	s_waitcnt vmcnt(0)
	ds_write_b128 v3, v[10:13]
.LBB1073_11:
	s_or_b64 exec, exec, s[12:13]
	s_waitcnt lgkmcnt(0)
	s_mul_i32 s12, s4, s46
	s_add_u32 s8, s8, s12
	s_addc_u32 s9, s9, 0
	v_mov_b32_e32 v59, 0
	v_mov_b64_e32 v[4:5], s[8:9]
	v_and_b32_e32 v9, 48, v0
	s_waitcnt vmcnt(3)
	v_mad_i64_i32 v[10:11], s[8:9], v2, s45, v[4:5]
	v_lshlrev_b32_e32 v2, 4, v56
	v_mov_b32_e32 v3, v59
	v_lshlrev_b32_e32 v58, 5, v9
	v_lshl_add_u64 v[10:11], v[10:11], 0, v[2:3]
	v_lshl_add_u64 v[14:15], v[10:11], 0, v[58:59]
	s_load_dword s23, s[0:1], 0x98
	s_load_dwordx4 s[40:43], s[0:1], 0x80
	s_waitcnt lgkmcnt(0)
	s_barrier
	global_load_dwordx4 v[10:13], v[14:15], off
	global_load_dwordx4 v[30:33], v[14:15], off offset:2048
	v_mul_lo_u16_e32 v16, 43, v56
	v_mov_b32_e32 v17, 6
	v_mul_lo_u16_sdwa v14, v16, v17 dst_sel:DWORD dst_unused:UNUSED_PAD src0_sel:BYTE_1 src1_sel:DWORD
	v_mov_b32_e32 v20, 5
	v_or_b32_e32 v25, s18, v9
	v_sub_u16_e32 v9, v56, v14
	s_ashr_i32 s8, s18, 31
	v_lshlrev_b32_sdwa v9, v20, v9 dst_sel:DWORD dst_unused:UNUSED_PAD src0_sel:DWORD src1_sel:BYTE_0
	v_or_b32_e32 v18, 0x100, v2
	v_mov_b32_e32 v19, v59
	s_lshr_b32 s13, s8, 27
	v_lshl_add_u32 v41, v60, 9, v9
	s_waitcnt vmcnt(4)
	v_mad_i64_i32 v[8:9], s[8:9], v8, s45, v[4:5]
	s_waitcnt vmcnt(3)
	v_mad_i64_i32 v[20:21], s[8:9], v6, s45, v[4:5]
	;; [unrolled: 2-line block ×3, first 2 shown]
	v_lshl_add_u64 v[6:7], v[8:9], 0, v[18:19]
	v_lshl_add_u64 v[22:23], v[6:7], 0, v[58:59]
	global_load_dwordx4 v[46:49], v[22:23], off
	v_or_b32_e32 v38, 64, v25
	v_or_b32_e32 v39, 0x80, v25
	;; [unrolled: 1-line block ×3, first 2 shown]
	v_add_u32_e32 v42, s13, v25
	v_add_u32_e32 v43, s13, v38
	;; [unrolled: 1-line block ×4, first 2 shown]
	ds_read_b128 v[34:37], v41
	ds_read_b128 v[26:29], v41 offset:16
	ds_read_b128 v[14:17], v41 offset:2048
	;; [unrolled: 1-line block ×3, first 2 shown]
	v_lshl_add_u64 v[2:3], v[20:21], 0, v[2:3]
	v_ashrrev_i32_e32 v20, 5, v42
	v_ashrrev_i32_e32 v21, 5, v43
	;; [unrolled: 1-line block ×4, first 2 shown]
	global_load_dwordx4 v[42:45], v[22:23], off offset:2048
	v_mov_b32_e32 v24, s19
	v_cmp_gt_i32_e32 vcc, s5, v25
	v_lshl_add_u64 v[4:5], v[4:5], 0, v[18:19]
	v_lshl_add_u64 v[2:3], v[2:3], 0, v[58:59]
	v_cndmask_b32_e32 v50, v24, v20, vcc
	v_cmp_gt_i32_e32 vcc, s5, v38
	v_lshl_add_u64 v[18:19], v[4:5], 0, v[58:59]
	v_and_b32_e32 v58, 16, v0
	v_cndmask_b32_e32 v52, v24, v21, vcc
	v_cmp_gt_i32_e32 vcc, s5, v39
	v_ashrrev_i32_e32 v53, 31, v52
	v_lshl_add_u64 v[52:53], v[52:53], 2, s[6:7]
	v_cndmask_b32_e32 v62, v24, v41, vcc
	v_cmp_gt_i32_e32 vcc, s5, v40
	v_ashrrev_i32_e32 v63, 31, v62
	v_lshl_add_u64 v[62:63], v[62:63], 2, s[6:7]
	v_cndmask_b32_e32 v64, v24, v51, vcc
	global_load_dwordx4 v[22:25], v[2:3], off
	s_nop 0
	global_load_dwordx4 v[2:5], v[2:3], off offset:2048
	s_nop 0
	global_load_dwordx4 v[38:41], v[18:19], off
	s_nop 0
	global_load_dwordx4 v[18:21], v[18:19], off offset:2048
	v_ashrrev_i32_e32 v65, 31, v64
	v_lshl_add_u64 v[66:67], v[64:65], 2, s[6:7]
	v_ashrrev_i32_e32 v51, 31, v50
	v_lshl_add_u64 v[50:51], v[50:51], 2, s[6:7]
	s_add_u32 s6, s10, s12
	s_addc_u32 s7, s11, 0
	v_lshl_or_b32 v55, v57, 4, v56
	s_load_dword s4, s[0:1], 0x1c
	s_mov_b32 s33, 0xff7fffff
	s_waitcnt vmcnt(7)
	v_cvt_pk_f32_fp8_e32 v[64:65], v10
	v_cvt_pk_f32_fp8_sdwa v[68:69], v10 src0_sel:WORD_1
	v_cvt_pk_f32_fp8_e32 v[70:71], v11
	v_cvt_pk_f32_fp8_sdwa v[10:11], v11 src0_sel:WORD_1
	v_cvt_pkrtz_f16_f32 v72, v64, v65
	v_cvt_pkrtz_f16_f32 v73, v68, v69
	global_load_dword v65, v[50:51], off
	global_load_dword v64, v[52:53], off
	s_nop 0
	global_load_dword v62, v[62:63], off
	s_nop 0
	global_load_dword v63, v[66:67], off
	v_cvt_pk_f32_fp8_e32 v[66:67], v12
	v_cvt_pkrtz_f16_f32 v68, v70, v71
	v_cvt_pkrtz_f16_f32 v69, v10, v11
	v_cvt_pk_f32_fp8_sdwa v[10:11], v12 src0_sel:WORD_1
	s_waitcnt lgkmcnt(0)
	v_mfma_f32_16x16x16_f16 v[50:53], v[72:73], v[34:35], 0
	v_cvt_pk_f32_fp8_e32 v[70:71], v13
	v_cvt_pkrtz_f16_f32 v66, v66, v67
	v_cvt_pkrtz_f16_f32 v67, v10, v11
	v_cvt_pk_f32_fp8_sdwa v[10:11], v13 src0_sel:WORD_1
	v_mfma_f32_16x16x16_f16 v[50:53], v[68:69], v[36:37], v[50:53]
	v_cvt_pkrtz_f16_f32 v68, v70, v71
	s_waitcnt vmcnt(10)
	v_cvt_pk_f32_fp8_e32 v[70:71], v30
	v_cvt_pk_f32_fp8_sdwa v[72:73], v30 src0_sel:WORD_1
	v_cvt_pkrtz_f16_f32 v69, v10, v11
	v_mfma_f32_16x16x16_f16 v[10:13], v[66:67], v[26:27], v[50:53]
	s_waitcnt vmcnt(9)
	v_cvt_pk_f32_fp8_sdwa v[66:67], v46 src0_sel:WORD_1
	s_waitcnt vmcnt(6)
	v_cvt_pk_f32_fp8_sdwa v[78:79], v5 src0_sel:WORD_1
	v_cvt_pkrtz_f16_f32 v50, v70, v71
	v_cvt_pkrtz_f16_f32 v51, v72, v73
	v_cvt_pk_f32_fp8_e32 v[52:53], v31
	v_cvt_pk_f32_fp8_sdwa v[30:31], v31 src0_sel:WORD_1
	v_mfma_f32_16x16x16_f16 v[10:13], v[68:69], v[28:29], v[10:13]
	v_cvt_pk_f32_fp8_sdwa v[68:69], v42 src0_sel:WORD_1
	v_cvt_pkrtz_f16_f32 v52, v52, v53
	v_cvt_pkrtz_f16_f32 v53, v30, v31
	v_mfma_f32_16x16x16_f16 v[10:13], v[50:51], v[14:15], v[10:13]
	v_cvt_pk_f32_fp8_e32 v[30:31], v32
	v_cvt_pk_f32_fp8_sdwa v[50:51], v32 src0_sel:WORD_1
	v_cvt_pk_f32_fp8_e32 v[72:73], v3
	v_mfma_f32_16x16x16_f16 v[10:13], v[52:53], v[16:17], v[10:13]
	v_cvt_pk_f32_fp8_e32 v[52:53], v33
	v_cvt_pkrtz_f16_f32 v30, v30, v31
	v_cvt_pkrtz_f16_f32 v31, v50, v51
	v_cvt_pk_f32_fp8_sdwa v[32:33], v33 src0_sel:WORD_1
	v_cvt_pkrtz_f16_f32 v50, v52, v53
	v_cvt_pk_f32_fp8_e32 v[52:53], v46
	v_mfma_f32_16x16x16_f16 v[10:13], v[30:31], v[6:7], v[10:13]
	v_cvt_pkrtz_f16_f32 v51, v32, v33
	v_cvt_pkrtz_f16_f32 v30, v52, v53
	;; [unrolled: 1-line block ×3, first 2 shown]
	v_cvt_pk_f32_fp8_e32 v[32:33], v47
	v_cvt_pk_f32_fp8_sdwa v[46:47], v47 src0_sel:WORD_1
	v_mfma_f32_16x16x16_f16 v[50:53], v[50:51], v[8:9], v[10:13]
	v_cvt_pk_f32_fp8_sdwa v[66:67], v48 src0_sel:WORD_1
	v_cvt_pkrtz_f16_f32 v32, v32, v33
	v_cvt_pkrtz_f16_f32 v33, v46, v47
	v_mfma_f32_16x16x16_f16 v[10:13], v[30:31], v[34:35], 0
	v_cvt_pk_f32_fp8_e32 v[30:31], v48
	v_lshl_add_u64 v[46:47], s[6:7], 0, v[58:59]
	v_lshlrev_b32_e32 v58, 5, v55
	v_mfma_f32_16x16x16_f16 v[10:13], v[32:33], v[36:37], v[10:13]
	v_cvt_pk_f32_fp8_e32 v[32:33], v49
	v_cvt_pkrtz_f16_f32 v30, v30, v31
	v_cvt_pkrtz_f16_f32 v31, v66, v67
	v_cvt_pk_f32_fp8_sdwa v[48:49], v49 src0_sel:WORD_1
	v_cvt_pkrtz_f16_f32 v32, v32, v33
	v_cvt_pk_f32_fp8_e32 v[66:67], v42
	v_mfma_f32_16x16x16_f16 v[10:13], v[30:31], v[26:27], v[10:13]
	v_cvt_pkrtz_f16_f32 v33, v48, v49
	v_cvt_pkrtz_f16_f32 v30, v66, v67
	;; [unrolled: 1-line block ×3, first 2 shown]
	v_cvt_pk_f32_fp8_e32 v[48:49], v43
	v_cvt_pk_f32_fp8_sdwa v[42:43], v43 src0_sel:WORD_1
	v_mfma_f32_16x16x16_f16 v[10:13], v[32:33], v[28:29], v[10:13]
	v_lshl_add_u64 v[66:67], v[46:47], 0, v[58:59]
	v_cvt_pkrtz_f16_f32 v32, v48, v49
	v_cvt_pkrtz_f16_f32 v33, v42, v43
	v_mfma_f32_16x16x16_f16 v[10:13], v[30:31], v[14:15], v[10:13]
	v_cvt_pk_f32_fp8_e32 v[30:31], v44
	v_cvt_pk_f32_fp8_sdwa v[42:43], v44 src0_sel:WORD_1
	v_cvt_pk_f32_fp8_sdwa v[48:49], v22 src0_sel:WORD_1
	v_mfma_f32_16x16x16_f16 v[10:13], v[32:33], v[16:17], v[10:13]
	v_cvt_pkrtz_f16_f32 v30, v30, v31
	v_cvt_pkrtz_f16_f32 v31, v42, v43
	v_cvt_pk_f32_fp8_e32 v[32:33], v45
	v_cvt_pk_f32_fp8_sdwa v[42:43], v45 src0_sel:WORD_1
	v_cvt_pk_f32_fp8_e32 v[44:45], v22
	v_mfma_f32_16x16x16_f16 v[10:13], v[30:31], v[6:7], v[10:13]
	v_cvt_pkrtz_f16_f32 v32, v32, v33
	v_cvt_pkrtz_f16_f32 v33, v42, v43
	;; [unrolled: 1-line block ×4, first 2 shown]
	v_cvt_pk_f32_fp8_e32 v[48:49], v23
	v_cvt_pk_f32_fp8_sdwa v[22:23], v23 src0_sel:WORD_1
	v_mfma_f32_16x16x16_f16 v[42:45], v[32:33], v[8:9], v[10:13]
	s_waitcnt vmcnt(2)
	v_mad_i64_i32 v[68:69], s[6:7], v64, s45, v[66:67]
	v_cvt_pkrtz_f16_f32 v32, v48, v49
	v_cvt_pkrtz_f16_f32 v33, v22, v23
	v_mfma_f32_16x16x16_f16 v[10:13], v[30:31], v[34:35], 0
	v_cvt_pk_f32_fp8_e32 v[22:23], v24
	v_cvt_pk_f32_fp8_sdwa v[30:31], v24 src0_sel:WORD_1
	v_mad_i64_i32 v[48:49], s[6:7], v65, s45, v[66:67]
	v_cvt_pkrtz_f16_f32 v22, v22, v23
	v_cvt_pkrtz_f16_f32 v23, v30, v31
	v_cvt_pk_f32_fp8_e32 v[30:31], v25
	v_cvt_pk_f32_fp8_sdwa v[24:25], v25 src0_sel:WORD_1
	v_mfma_f32_16x16x16_f16 v[10:13], v[32:33], v[36:37], v[10:13]
	s_waitcnt vmcnt(0)
	v_mad_i64_i32 v[74:75], s[6:7], v63, s45, v[66:67]
	v_cvt_pkrtz_f16_f32 v70, v30, v31
	v_cvt_pkrtz_f16_f32 v71, v24, v25
	v_mfma_f32_16x16x16_f16 v[10:13], v[22:23], v[26:27], v[10:13]
	global_load_dwordx4 v[30:33], v[48:49], off
	global_load_dwordx4 v[22:25], v[68:69], off
	v_cvt_pk_f32_fp8_e32 v[68:69], v2
	v_mad_i64_i32 v[48:49], s[6:7], v62, s45, v[66:67]
	v_mfma_f32_16x16x16_f16 v[10:13], v[70:71], v[28:29], v[10:13]
	v_cvt_pk_f32_fp8_sdwa v[70:71], v2 src0_sel:WORD_1
	v_cvt_pk_f32_fp8_sdwa v[2:3], v3 src0_sel:WORD_1
	v_cvt_pkrtz_f16_f32 v68, v68, v69
	v_or_b32_e32 v58, 0x800, v58
	v_cvt_pkrtz_f16_f32 v69, v70, v71
	v_cvt_pkrtz_f16_f32 v70, v72, v73
	;; [unrolled: 1-line block ×3, first 2 shown]
	v_cvt_pk_f32_fp8_e32 v[2:3], v4
	v_cvt_pk_f32_fp8_sdwa v[72:73], v4 src0_sel:WORD_1
	v_mfma_f32_16x16x16_f16 v[66:69], v[68:69], v[14:15], v[10:13]
	v_lshl_add_u64 v[46:47], v[46:47], 0, v[58:59]
	v_cvt_pkrtz_f16_f32 v76, v2, v3
	v_cvt_pkrtz_f16_f32 v77, v72, v73
	v_cvt_pk_f32_fp8_e32 v[72:73], v5
	v_mfma_f32_16x16x16_f16 v[66:69], v[70:71], v[16:17], v[66:69]
	global_load_dwordx4 v[10:13], v[48:49], off
	global_load_dwordx4 v[2:5], v[74:75], off
	v_cvt_pkrtz_f16_f32 v49, v78, v79
	v_cvt_pkrtz_f16_f32 v48, v72, v73
	v_mfma_f32_16x16x16_f16 v[66:69], v[76:77], v[6:7], v[66:69]
	v_cvt_pk_f32_fp8_e32 v[58:59], v38
	v_cvt_pk_f32_fp8_sdwa v[70:71], v38 src0_sel:WORD_1
	v_cvt_pk_f32_fp8_e32 v[74:75], v40
	v_mfma_f32_16x16x16_f16 v[66:69], v[48:49], v[8:9], v[66:69]
	v_cvt_pk_f32_fp8_e32 v[48:49], v39
	v_cvt_pkrtz_f16_f32 v58, v58, v59
	v_cvt_pkrtz_f16_f32 v59, v70, v71
	v_cvt_pk_f32_fp8_sdwa v[38:39], v39 src0_sel:WORD_1
	v_cvt_pkrtz_f16_f32 v48, v48, v49
	v_cvt_pk_f32_fp8_sdwa v[76:77], v40 src0_sel:WORD_1
	v_mfma_f32_16x16x16_f16 v[70:73], v[58:59], v[34:35], 0
	v_cvt_pkrtz_f16_f32 v49, v38, v39
	v_cvt_pkrtz_f16_f32 v38, v74, v75
	;; [unrolled: 1-line block ×3, first 2 shown]
	v_cvt_pk_f32_fp8_e32 v[58:59], v41
	v_cvt_pk_f32_fp8_sdwa v[40:41], v41 src0_sel:WORD_1
	v_mfma_f32_16x16x16_f16 v[34:37], v[48:49], v[36:37], v[70:73]
	s_load_dword s6, s[40:41], 0x0
	v_cvt_pkrtz_f16_f32 v48, v58, v59
	v_cvt_pkrtz_f16_f32 v49, v40, v41
	v_mfma_f32_16x16x16_f16 v[70:73], v[38:39], v[26:27], v[34:37]
	v_mov_b32_e32 v74, s4
	s_waitcnt lgkmcnt(0)
	v_mul_f32_e32 v40, s6, v74
	v_pk_mul_f32 v[38:39], v[40:41], v[52:53] op_sel_hi:[0,1]
	v_mfma_f32_16x16x16_f16 v[26:29], v[48:49], v[28:29], v[70:73]
	v_cvt_pk_f32_fp8_e32 v[34:35], v18
	v_cvt_pk_f32_fp8_sdwa v[48:49], v18 src0_sel:WORD_1
	v_pk_mul_f32 v[36:37], v[40:41], v[50:51] op_sel_hi:[0,1]
	v_cvt_pk_f32_fp8_e32 v[50:51], v19
	v_cvt_pk_f32_fp8_sdwa v[18:19], v19 src0_sel:WORD_1
	v_cvt_pkrtz_f16_f32 v34, v34, v35
	v_cvt_pkrtz_f16_f32 v35, v48, v49
	;; [unrolled: 1-line block ×4, first 2 shown]
	v_cvt_pk_f32_fp8_e32 v[18:19], v20
	v_cvt_pk_f32_fp8_sdwa v[50:51], v20 src0_sel:WORD_1
	v_mfma_f32_16x16x16_f16 v[26:29], v[34:35], v[14:15], v[26:29]
	v_cvt_pk_f32_fp8_e32 v[34:35], v21
	v_cvt_pkrtz_f16_f32 v18, v18, v19
	v_cvt_pkrtz_f16_f32 v19, v50, v51
	v_cvt_pk_f32_fp8_sdwa v[20:21], v21 src0_sel:WORD_1
	v_mfma_f32_16x16x16_f16 v[14:17], v[48:49], v[16:17], v[26:29]
	v_pk_mul_f32 v[48:49], v[40:41], v[44:45] op_sel_hi:[0,1]
	v_pk_mul_f32 v[50:51], v[40:41], v[42:43] op_sel_hi:[0,1]
	;; [unrolled: 1-line block ×3, first 2 shown]
	v_cvt_pkrtz_f16_f32 v26, v34, v35
	v_cvt_pkrtz_f16_f32 v27, v20, v21
	v_mfma_f32_16x16x16_f16 v[14:17], v[18:19], v[6:7], v[14:17]
	v_pk_mul_f32 v[42:43], v[40:41], v[66:67] op_sel_hi:[0,1]
	v_mad_i64_i32 v[52:53], s[6:7], v65, s45, v[46:47]
	v_mfma_f32_16x16x16_f16 v[6:9], v[26:27], v[8:9], v[14:17]
	s_nop 6
	v_pk_mul_f32 v[34:35], v[40:41], v[8:9] op_sel_hi:[0,1]
	v_pk_mul_f32 v[40:41], v[40:41], v[6:7] op_sel_hi:[0,1]
	v_and_b32_e32 v6, 0xc0, v0
	v_add_u32_e32 v6, s18, v6
	v_lshl_or_b32 v6, v60, 2, v6
	v_or_b32_e32 v9, 1, v6
	v_mov_b32_e32 v7, 0xff7fffff
	v_cmp_gt_i32_e64 s[24:25], s5, v6
	v_cmp_gt_i32_e64 s[26:27], s5, v9
	v_or_b32_e32 v14, 3, v6
	v_cndmask_b32_e64 v8, v7, v36, s[24:25]
	v_cndmask_b32_e64 v9, v7, v37, s[26:27]
	v_max3_f32 v8, v8, s33, v9
	v_or_b32_e32 v9, 2, v6
	v_cmp_gt_i32_e64 s[28:29], s5, v9
	v_cmp_gt_i32_e64 s[30:31], s5, v14
	s_nop 0
	v_cndmask_b32_e64 v9, v7, v38, s[28:29]
	v_cndmask_b32_e64 v14, v7, v39, s[30:31]
	v_max3_f32 v8, v8, v9, v14
	v_or_b32_e32 v9, 16, v6
	v_or_b32_e32 v14, 17, v6
	v_cmp_gt_i32_e64 s[34:35], s5, v9
	v_cmp_gt_i32_e64 s[36:37], s5, v14
	s_nop 0
	v_cndmask_b32_e64 v9, v7, v50, s[34:35]
	v_cndmask_b32_e64 v14, v7, v51, s[36:37]
	v_max3_f32 v8, v8, v9, v14
	v_or_b32_e32 v9, 18, v6
	;; [unrolled: 8-line block ×6, first 2 shown]
	v_or_b32_e32 v6, 51, v6
	v_cmp_gt_i32_e32 vcc, s5, v9
	v_cmp_gt_i32_e64 s[4:5], s5, v6
	s_nop 0
	v_cndmask_b32_e32 v9, v7, v34, vcc
	v_cndmask_b32_e64 v6, v7, v35, s[4:5]
	v_max3_f32 v8, v8, v9, v6
	v_mbcnt_lo_u32_b32 v6, -1, 0
	v_mbcnt_hi_u32_b32 v9, -1, v6
	v_and_b32_e32 v6, 64, v9
	v_add_u32_e32 v14, 64, v6
	v_xor_b32_e32 v6, 32, v9
	v_cmp_lt_i32_e64 s[38:39], v6, v14
	s_nop 1
	v_cndmask_b32_e64 v6, v9, v6, s[38:39]
	v_lshlrev_b32_e32 v58, 2, v6
	ds_bpermute_b32 v15, v58, v8
	v_mad_i64_i32 v[6:7], s[38:39], v64, s45, v[46:47]
	global_load_dwordx4 v[26:29], v[52:53], off
	global_load_dwordx4 v[18:21], v[6:7], off
	s_waitcnt lgkmcnt(0)
	v_max_f32_e32 v6, v15, v15
	v_max_f32_e32 v15, v8, v6
	v_xor_b32_e32 v6, 16, v9
	v_cmp_lt_i32_e64 s[38:39], v6, v14
	s_nop 1
	v_cndmask_b32_e64 v6, v9, v6, s[38:39]
	v_lshlrev_b32_e32 v53, 2, v6
	ds_bpermute_b32 v14, v53, v15
	v_mad_i64_i32 v[6:7], s[38:39], v62, s45, v[46:47]
	v_mad_i64_i32 v[8:9], s[38:39], v63, s45, v[46:47]
	s_waitcnt lgkmcnt(0)
	v_max_f32_e32 v14, v14, v14
	v_max_f32_e32 v52, v15, v14
	v_sub_f32_e32 v14, v36, v52
	v_mul_f32_e32 v14, 0x3fb8aa3b, v14
	v_exp_f32_e32 v36, v14
	v_sub_f32_e32 v14, v37, v52
	v_mul_f32_e32 v14, 0x3fb8aa3b, v14
	v_exp_f32_e32 v37, v14
	global_load_dwordx4 v[14:17], v[6:7], off
	s_nop 0
	global_load_dwordx4 v[6:9], v[8:9], off
	v_sub_f32_e32 v38, v38, v52
	v_mul_f32_e32 v38, 0x3fb8aa3b, v38
	v_sub_f32_e32 v39, v39, v52
	v_exp_f32_e32 v38, v38
	v_mul_f32_e32 v39, 0x3fb8aa3b, v39
	v_exp_f32_e32 v39, v39
	v_cndmask_b32_e64 v36, 0, v36, s[24:25]
	v_add_f32_e32 v46, 0, v36
	v_cndmask_b32_e64 v37, 0, v37, s[26:27]
	v_add_f32_e32 v47, v46, v37
	v_cndmask_b32_e64 v46, 0, v38, s[28:29]
	v_add_f32_e32 v38, v47, v46
	v_cndmask_b32_e64 v47, 0, v39, s[30:31]
	v_sub_f32_e32 v39, v50, v52
	v_mul_f32_e32 v39, 0x3fb8aa3b, v39
	v_sub_f32_e32 v50, v51, v52
	v_exp_f32_e32 v39, v39
	v_mul_f32_e32 v50, 0x3fb8aa3b, v50
	v_sub_f32_e32 v48, v48, v52
	v_exp_f32_e32 v50, v50
	;; [unrolled: 3-line block ×4, first 2 shown]
	v_mul_f32_e32 v42, 0x3fb8aa3b, v42
	v_sub_f32_e32 v43, v43, v52
	v_add_f32_e32 v51, v38, v47
	v_cndmask_b32_e64 v38, 0, v39, s[34:35]
	v_exp_f32_e32 v42, v42
	v_mul_f32_e32 v43, 0x3fb8aa3b, v43
	v_sub_f32_e32 v44, v44, v52
	v_add_f32_e32 v51, v51, v38
	v_cndmask_b32_e64 v39, 0, v50, s[36:37]
	v_exp_f32_e32 v43, v43
	;; [unrolled: 5-line block ×7, first 2 shown]
	v_mul_f32_e32 v35, 0x3fb8aa3b, v35
	v_add_f32_e32 v50, v50, v44
	v_cndmask_b32_e64 v45, 0, v45, s[12:13]
	v_exp_f32_e32 v35, v35
	v_add_f32_e32 v50, v50, v45
	v_cndmask_b32_e64 v40, 0, v40, s[6:7]
	v_add_f32_e32 v50, v50, v40
	v_cndmask_b32_e64 v41, 0, v41, s[8:9]
	v_add_f32_e32 v50, v50, v41
	v_cndmask_b32_e32 v34, 0, v34, vcc
	v_add_f32_e32 v50, v50, v34
	v_cndmask_b32_e64 v35, 0, v35, s[4:5]
	v_add_f32_e32 v50, v50, v35
	ds_bpermute_b32 v51, v58, v50
	v_cmp_gt_u32_e32 vcc, 16, v61
	s_waitcnt lgkmcnt(0)
	s_barrier
	v_add_f32_e32 v50, v50, v51
	ds_bpermute_b32 v51, v53, v50
	s_and_saveexec_b64 s[4:5], vcc
	s_cbranch_execz .LBB1073_13
; %bb.12:
	s_waitcnt lgkmcnt(0)
	v_add_f32_e32 v50, v50, v51
	v_lshlrev_b32_e32 v51, 2, v55
	ds_write2st64_b32 v51, v52, v50 offset1:1
.LBB1073_13:
	s_or_b64 exec, exec, s[4:5]
	s_waitcnt lgkmcnt(0)
	v_lshlrev_b32_e32 v51, 2, v56
	s_load_dword s6, s[0:1], 0x94
	s_waitcnt lgkmcnt(0)
	s_barrier
	ds_read2_b32 v[52:53], v51 offset1:16
	ds_read2_b32 v[58:59], v51 offset0:32 offset1:48
	ds_read2_b32 v[62:63], v51 offset0:64 offset1:80
	s_mul_i32 s7, s23, 6
	s_waitcnt lgkmcnt(2)
	v_max3_f32 v50, v52, s33, v53
	s_waitcnt lgkmcnt(1)
	v_max3_f32 v50, v50, v58, v59
	v_sub_f32_e32 v52, v52, v50
	v_mul_f32_e32 v52, 0x3fb8aa3b, v52
	v_exp_f32_e32 v55, v52
	v_sub_f32_e32 v52, v53, v50
	v_mul_f32_e32 v52, 0x3fb8aa3b, v52
	v_exp_f32_e32 v61, v52
	;; [unrolled: 3-line block ×3, first 2 shown]
	ds_read2_b32 v[52:53], v51 offset0:96 offset1:112
	v_sub_f32_e32 v51, v59, v50
	v_mul_f32_e32 v51, 0x3fb8aa3b, v51
	v_exp_f32_e32 v59, v51
	s_waitcnt lgkmcnt(1)
	v_fma_f32 v51, v55, v62, 0
	v_fmac_f32_e32 v51, v61, v63
	s_waitcnt lgkmcnt(0)
	v_fmac_f32_e32 v51, v58, v52
	v_fmac_f32_e32 v51, v59, v53
	v_add_f32_e32 v52, 0x358637bd, v51
	v_div_scale_f32 v53, s[4:5], v52, v52, 1.0
	v_rcp_f32_e32 v62, v53
	s_barrier
	v_fma_f32 v63, -v53, v62, 1.0
	v_fmac_f32_e32 v62, v63, v62
	v_div_scale_f32 v63, vcc, 1.0, v52, 1.0
	v_mul_f32_e32 v64, v63, v62
	v_fma_f32 v65, -v53, v64, v63
	v_fmac_f32_e32 v64, v65, v62
	v_fma_f32 v53, -v53, v64, v63
	v_div_fmas_f32 v53, v53, v62, v64
	v_cmp_eq_u32_e32 vcc, 1, v57
	v_div_fixup_f32 v52, v53, v52, 1.0
	s_nop 0
	v_cndmask_b32_e32 v53, v55, v61, vcc
	v_cmp_eq_u32_e32 vcc, 2, v57
	s_nop 1
	v_cndmask_b32_e32 v53, v53, v58, vcc
	v_cmp_eq_u32_e32 vcc, 3, v57
	s_nop 1
	v_cndmask_b32_e32 v53, v53, v59, vcc
	v_mul_f32_e32 v52, v53, v52
	v_pk_mul_f32 v[46:47], v[52:53], v[46:47] op_sel_hi:[0,1]
	v_pk_mul_f32 v[36:37], v[52:53], v[36:37] op_sel_hi:[0,1]
	v_cvt_f16_f32_e32 v53, v46
	v_cvt_f16_f32_e32 v36, v36
	;; [unrolled: 1-line block ×4, first 2 shown]
	v_pk_mul_f32 v[48:49], v[52:53], v[48:49] op_sel_hi:[0,1]
	v_pk_mul_f32 v[38:39], v[52:53], v[38:39] op_sel_hi:[0,1]
	v_cvt_f16_f32_e32 v38, v38
	v_cvt_f16_f32_e32 v39, v39
	;; [unrolled: 1-line block ×4, first 2 shown]
	v_pack_b32_f16 v46, v36, v37
	v_pack_b32_f16 v47, v53, v47
	v_lshlrev_b32_e32 v37, 3, v60
	v_lshlrev_b32_e32 v36, 5, v56
	;; [unrolled: 1-line block ×3, first 2 shown]
	v_or3_b32 v55, v53, v36, v37
	v_pack_b32_f16 v38, v38, v39
	v_pack_b32_f16 v39, v48, v49
	ds_write2st64_b64 v55, v[46:47], v[38:39] offset1:1
	v_pk_mul_f32 v[38:39], v[52:53], v[44:45] op_sel_hi:[0,1]
	v_pk_mul_f32 v[42:43], v[52:53], v[42:43] op_sel_hi:[0,1]
	v_cvt_f16_f32_e32 v37, v42
	v_cvt_f16_f32_e32 v42, v43
	;; [unrolled: 1-line block ×4, first 2 shown]
	v_pk_mul_f32 v[34:35], v[52:53], v[34:35] op_sel_hi:[0,1]
	v_pk_mul_f32 v[38:39], v[52:53], v[40:41] op_sel_hi:[0,1]
	v_cvt_f16_f32_e32 v38, v38
	v_cvt_f16_f32_e32 v39, v39
	v_cvt_f16_f32_e32 v40, v34
	v_cvt_f16_f32_e32 v41, v35
	v_pack_b32_f16 v34, v37, v42
	v_pack_b32_f16 v35, v43, v44
	;; [unrolled: 1-line block ×4, first 2 shown]
	v_cmp_gt_u32_e32 vcc, 6, v0
	ds_write2st64_b64 v55, v[34:35], v[38:39] offset0:2 offset1:3
	s_and_saveexec_b64 s[4:5], vcc
	s_cbranch_execz .LBB1073_15
; %bb.14:
	s_mov_b32 s49, 0
	v_mov_b32_e32 v57, 0
	v_lshl_add_u64 v[34:35], s[48:49], 0, v[56:57]
	v_mov_b32_e32 v37, s7
	v_mad_u64_u32 v[34:35], s[12:13], s2, v37, v[34:35]
	s_mul_i32 s3, s3, s7
	v_mov_b32_e32 v38, s22
	v_mov_b32_e32 v39, v57
	s_load_dwordx4 s[8:11], s[0:1], 0x58
	v_add_u32_e32 v37, s3, v35
	v_mad_u64_u32 v[34:35], s[12:13], v34, s6, v[38:39]
	v_mov_b32_e32 v38, v35
	v_mad_u64_u32 v[38:39], s[12:13], v37, s6, v[38:39]
	v_mov_b32_e32 v35, v38
	v_lshlrev_b64 v[34:35], 2, v[34:35]
	s_waitcnt lgkmcnt(0)
	v_lshl_add_u64 v[38:39], s[10:11], 0, v[34:35]
	v_lshl_add_u64 v[34:35], s[8:9], 0, v[34:35]
	global_store_dword v[38:39], v50, off
	global_store_dword v[34:35], v51, off
.LBB1073_15:
	s_or_b64 exec, exec, s[4:5]
	s_waitcnt vmcnt(7)
	v_cvt_pk_f32_fp8_e32 v[34:35], v30
	v_lshl_or_b32 v50, v60, 9, v36
	v_cvt_pk_f32_fp8_sdwa v[36:37], v30 src0_sel:WORD_1
	s_waitcnt lgkmcnt(0)
	s_barrier
	v_cvt_pk_f32_fp8_e32 v[38:39], v31
	v_cvt_pkrtz_f16_f32 v30, v34, v35
	v_cvt_pk_f32_fp8_sdwa v[40:41], v31 src0_sel:WORD_1
	v_cvt_pkrtz_f16_f32 v31, v36, v37
	ds_read_b128 v[34:37], v50
	v_cvt_pkrtz_f16_f32 v46, v38, v39
	v_cvt_pkrtz_f16_f32 v47, v40, v41
	ds_read_b128 v[38:41], v50 offset:16
	v_cvt_pk_f32_fp8_e32 v[48:49], v32
	v_cvt_pk_f32_fp8_sdwa v[52:53], v32 src0_sel:WORD_1
	s_waitcnt lgkmcnt(1)
	v_mfma_f32_16x16x16_f16 v[42:45], v[30:31], v[34:35], 0
	s_waitcnt vmcnt(6)
	v_cvt_pk_f32_fp8_e32 v[58:59], v24
	v_cvt_pkrtz_f16_f32 v30, v48, v49
	v_cvt_pkrtz_f16_f32 v31, v52, v53
	v_cvt_pk_f32_fp8_e32 v[48:49], v33
	v_mfma_f32_16x16x16_f16 v[42:45], v[46:47], v[36:37], v[42:45]
	v_cvt_pk_f32_fp8_sdwa v[46:47], v33 src0_sel:WORD_1
	v_cvt_pk_f32_fp8_sdwa v[62:63], v24 src0_sel:WORD_1
	v_cvt_pkrtz_f16_f32 v48, v48, v49
	s_waitcnt lgkmcnt(0)
	v_mfma_f32_16x16x16_f16 v[30:33], v[30:31], v[38:39], v[42:45]
	v_cvt_pkrtz_f16_f32 v49, v46, v47
	s_waitcnt vmcnt(5)
	v_cvt_pk_f32_fp8_sdwa v[66:67], v12 src0_sel:WORD_1
	s_waitcnt vmcnt(4)
	v_cvt_pk_f32_fp8_sdwa v[68:69], v4 src0_sel:WORD_1
	v_cvt_pk_f32_fp8_e32 v[42:43], v22
	v_mfma_f32_16x16x16_f16 v[46:49], v[48:49], v[40:41], v[30:33]
	s_waitcnt vmcnt(3)
	v_cvt_pk_f32_fp8_sdwa v[70:71], v28 src0_sel:WORD_1
	s_load_dword s4, s[42:43], 0x0
	v_cvt_pk_f32_fp8_sdwa v[30:31], v22 src0_sel:WORD_1
	v_cvt_pk_f32_fp8_e32 v[32:33], v23
	v_cvt_pkrtz_f16_f32 v22, v42, v43
	v_cvt_pk_f32_fp8_sdwa v[42:43], v23 src0_sel:WORD_1
	v_cvt_pkrtz_f16_f32 v23, v30, v31
	v_cvt_pkrtz_f16_f32 v52, v32, v33
	ds_read_b128 v[30:33], v50 offset:2048
	v_cvt_pkrtz_f16_f32 v53, v42, v43
	ds_read_b128 v[42:45], v50 offset:2064
	s_waitcnt lgkmcnt(0)
	v_mfma_f32_16x16x16_f16 v[46:49], v[22:23], v[30:31], v[46:49]
	v_cvt_pkrtz_f16_f32 v22, v58, v59
	v_cvt_pkrtz_f16_f32 v23, v62, v63
	v_cvt_pk_f32_fp8_e32 v[58:59], v25
	v_mfma_f32_16x16x16_f16 v[46:49], v[52:53], v[32:33], v[46:49]
	v_cvt_pk_f32_fp8_sdwa v[52:53], v25 src0_sel:WORD_1
	s_mov_b32 s3, 0
	v_cvt_pkrtz_f16_f32 v58, v58, v59
	v_mfma_f32_16x16x16_f16 v[22:25], v[22:23], v[42:43], v[46:49]
	v_cvt_pkrtz_f16_f32 v59, v52, v53
	v_cmp_gt_u32_e32 vcc, 64, v0
	s_nop 0
	v_cvt_pk_f32_fp8_e32 v[46:47], v10
	v_mfma_f32_16x16x16_f16 v[62:65], v[58:59], v[44:45], v[22:25]
	v_cvt_pk_f32_fp8_e32 v[58:59], v12
	s_nop 1
	v_cvt_pk_f32_fp8_sdwa v[22:23], v10 src0_sel:WORD_1
	v_cvt_pk_f32_fp8_e32 v[24:25], v11
	v_cvt_pkrtz_f16_f32 v10, v46, v47
	v_cvt_pk_f32_fp8_sdwa v[46:47], v11 src0_sel:WORD_1
	v_cvt_pkrtz_f16_f32 v11, v22, v23
	v_cvt_pkrtz_f16_f32 v52, v24, v25
	ds_read_b128 v[22:25], v50 offset:4096
	v_cvt_pkrtz_f16_f32 v53, v46, v47
	ds_read_b128 v[46:49], v50 offset:4112
	s_waitcnt lgkmcnt(1)
	v_mfma_f32_16x16x16_f16 v[62:65], v[10:11], v[22:23], v[62:65]
	v_cvt_pkrtz_f16_f32 v10, v58, v59
	v_cvt_pkrtz_f16_f32 v11, v66, v67
	v_cvt_pk_f32_fp8_e32 v[58:59], v13
	v_mfma_f32_16x16x16_f16 v[62:65], v[52:53], v[24:25], v[62:65]
	v_cvt_pk_f32_fp8_sdwa v[52:53], v13 src0_sel:WORD_1
	v_cvt_pk_f32_fp8_e32 v[66:67], v4
	v_cvt_pkrtz_f16_f32 v58, v58, v59
	s_waitcnt lgkmcnt(0)
	v_mfma_f32_16x16x16_f16 v[10:13], v[10:11], v[46:47], v[62:65]
	v_cvt_pkrtz_f16_f32 v59, v52, v53
	v_cvt_pk_f32_fp8_e32 v[52:53], v2
	s_nop 0
	v_mfma_f32_16x16x16_f16 v[62:65], v[58:59], v[48:49], v[10:13]
	s_nop 2
	v_cvt_pk_f32_fp8_sdwa v[10:11], v2 src0_sel:WORD_1
	v_cvt_pk_f32_fp8_e32 v[12:13], v3
	v_cvt_pkrtz_f16_f32 v2, v52, v53
	v_cvt_pk_f32_fp8_sdwa v[52:53], v3 src0_sel:WORD_1
	v_cvt_pkrtz_f16_f32 v3, v10, v11
	v_cvt_pkrtz_f16_f32 v58, v12, v13
	ds_read_b128 v[10:13], v50 offset:6144
	v_cvt_pkrtz_f16_f32 v59, v52, v53
	s_waitcnt lgkmcnt(0)
	v_mfma_f32_16x16x16_f16 v[62:65], v[2:3], v[10:11], v[62:65]
	ds_read_b128 v[50:53], v50 offset:6160
	v_cvt_pkrtz_f16_f32 v2, v66, v67
	v_cvt_pkrtz_f16_f32 v3, v68, v69
	v_cvt_pk_f32_fp8_e32 v[66:67], v5
	v_mfma_f32_16x16x16_f16 v[62:65], v[58:59], v[12:13], v[62:65]
	v_cvt_pk_f32_fp8_sdwa v[58:59], v5 src0_sel:WORD_1
	v_cvt_pk_f32_fp8_e32 v[68:69], v28
	v_cvt_pkrtz_f16_f32 v66, v66, v67
	s_waitcnt lgkmcnt(0)
	v_mfma_f32_16x16x16_f16 v[2:5], v[2:3], v[50:51], v[62:65]
	v_cvt_pkrtz_f16_f32 v67, v58, v59
	v_cvt_pk_f32_fp8_e32 v[58:59], v26
	s_nop 0
	v_cvt_pk_f32_fp8_sdwa v[62:63], v26 src0_sel:WORD_1
	v_cvt_pk_f32_fp8_e32 v[64:65], v27
	v_cvt_pkrtz_f16_f32 v58, v58, v59
	v_cvt_pk_f32_fp8_sdwa v[26:27], v27 src0_sel:WORD_1
	v_cvt_pkrtz_f16_f32 v59, v62, v63
	v_mfma_f32_16x16x16_f16 v[2:5], v[66:67], v[52:53], v[2:5]
	v_cvt_pkrtz_f16_f32 v66, v64, v65
	v_cvt_pkrtz_f16_f32 v67, v26, v27
	;; [unrolled: 1-line block ×3, first 2 shown]
	v_mfma_f32_16x16x16_f16 v[62:65], v[58:59], v[34:35], 0
	v_cvt_pkrtz_f16_f32 v27, v70, v71
	v_cvt_pk_f32_fp8_e32 v[58:59], v29
	s_barrier
	v_mfma_f32_16x16x16_f16 v[34:37], v[66:67], v[36:37], v[62:65]
	v_cvt_pkrtz_f16_f32 v58, v58, v59
	s_nop 1
	v_cvt_pk_f32_fp8_sdwa v[62:63], v29 src0_sel:WORD_1
	v_mfma_f32_16x16x16_f16 v[26:29], v[26:27], v[38:39], v[34:37]
	s_waitcnt vmcnt(2)
	v_cvt_pk_f32_fp8_e32 v[38:39], v19
	v_cvt_pkrtz_f16_f32 v59, v62, v63
	v_cvt_pk_f32_fp8_e32 v[34:35], v18
	v_cvt_pk_f32_fp8_sdwa v[36:37], v18 src0_sel:WORD_1
	v_cvt_pk_f32_fp8_sdwa v[18:19], v19 src0_sel:WORD_1
	v_mfma_f32_16x16x16_f16 v[26:29], v[58:59], v[40:41], v[26:29]
	v_cvt_pkrtz_f16_f32 v34, v34, v35
	v_cvt_pkrtz_f16_f32 v35, v36, v37
	;; [unrolled: 1-line block ×3, first 2 shown]
	v_cvt_pk_f32_fp8_e32 v[38:39], v20
	v_cvt_pk_f32_fp8_sdwa v[40:41], v20 src0_sel:WORD_1
	v_cvt_pkrtz_f16_f32 v37, v18, v19
	v_mfma_f32_16x16x16_f16 v[26:29], v[34:35], v[30:31], v[26:29]
	v_cvt_pkrtz_f16_f32 v30, v38, v39
	v_cvt_pkrtz_f16_f32 v31, v40, v41
	v_cvt_pk_f32_fp8_e32 v[34:35], v21
	v_cvt_pk_f32_fp8_sdwa v[38:39], v21 src0_sel:WORD_1
	v_mfma_f32_16x16x16_f16 v[18:21], v[36:37], v[32:33], v[26:29]
	s_waitcnt vmcnt(1)
	v_cvt_pk_f32_fp8_sdwa v[32:33], v16 src0_sel:WORD_1
	s_nop 0
	v_cvt_pkrtz_f16_f32 v26, v34, v35
	v_cvt_pkrtz_f16_f32 v27, v38, v39
	v_mfma_f32_16x16x16_f16 v[18:21], v[30:31], v[42:43], v[18:21]
	v_cvt_pk_f32_fp8_e32 v[28:29], v14
	v_cvt_pk_f32_fp8_sdwa v[30:31], v14 src0_sel:WORD_1
	v_cvt_pkrtz_f16_f32 v28, v28, v29
	v_mfma_f32_16x16x16_f16 v[18:21], v[26:27], v[44:45], v[18:21]
	v_cvt_pk_f32_fp8_e32 v[26:27], v15
	v_cvt_pkrtz_f16_f32 v29, v30, v31
	v_cvt_pk_f32_fp8_sdwa v[14:15], v15 src0_sel:WORD_1
	v_cvt_pk_f32_fp8_e32 v[30:31], v16
	v_cvt_pkrtz_f16_f32 v26, v26, v27
	v_mfma_f32_16x16x16_f16 v[18:21], v[28:29], v[22:23], v[18:21]
	v_cvt_pkrtz_f16_f32 v27, v14, v15
	v_cvt_pkrtz_f16_f32 v22, v30, v31
	;; [unrolled: 1-line block ×3, first 2 shown]
	v_cvt_pk_f32_fp8_e32 v[28:29], v17
	v_cvt_pk_f32_fp8_sdwa v[30:31], v17 src0_sel:WORD_1
	v_mfma_f32_16x16x16_f16 v[14:17], v[26:27], v[24:25], v[18:21]
	s_waitcnt vmcnt(0)
	v_cvt_pk_f32_fp8_sdwa v[24:25], v6 src0_sel:WORD_1
	s_nop 0
	v_pk_mul_f32 v[18:19], v[4:5], s[4:5] op_sel_hi:[1,0]
	v_cvt_pkrtz_f16_f32 v4, v28, v29
	v_cvt_pkrtz_f16_f32 v5, v30, v31
	v_mfma_f32_16x16x16_f16 v[14:17], v[22:23], v[46:47], v[14:17]
	v_cvt_pk_f32_fp8_e32 v[22:23], v6
	v_pk_mul_f32 v[20:21], v[2:3], s[4:5] op_sel_hi:[1,0]
	v_mfma_f32_16x16x16_f16 v[2:5], v[4:5], v[48:49], v[14:17]
	s_nop 3
	v_cvt_pk_f32_fp8_e32 v[14:15], v7
	v_cvt_pkrtz_f16_f32 v16, v22, v23
	v_cvt_pkrtz_f16_f32 v17, v24, v25
	v_cvt_pk_f32_fp8_sdwa v[6:7], v7 src0_sel:WORD_1
	v_cvt_pkrtz_f16_f32 v14, v14, v15
	v_cvt_pk_f32_fp8_e32 v[22:23], v8
	v_cvt_pk_f32_fp8_sdwa v[24:25], v8 src0_sel:WORD_1
	v_cvt_pkrtz_f16_f32 v15, v6, v7
	v_mfma_f32_16x16x16_f16 v[2:5], v[16:17], v[10:11], v[2:5]
	v_cvt_pkrtz_f16_f32 v6, v22, v23
	v_cvt_pkrtz_f16_f32 v7, v24, v25
	v_cvt_pk_f32_fp8_e32 v[10:11], v9
	v_cvt_pk_f32_fp8_sdwa v[8:9], v9 src0_sel:WORD_1
	v_mfma_f32_16x16x16_f16 v[2:5], v[14:15], v[12:13], v[2:5]
	v_cvt_f16_f32_e32 v12, v20
	v_cvt_pkrtz_f16_f32 v10, v10, v11
	v_cvt_pkrtz_f16_f32 v11, v8, v9
	v_mfma_f32_16x16x16_f16 v[2:5], v[6:7], v[50:51], v[2:5]
	v_cvt_f16_f32_e32 v6, v21
	v_cvt_f16_f32_e32 v7, v18
	;; [unrolled: 1-line block ×3, first 2 shown]
	v_mfma_f32_16x16x16_f16 v[2:5], v[10:11], v[52:53], v[2:5]
	s_nop 6
	v_pk_mul_f32 v[4:5], v[4:5], s[4:5] op_sel_hi:[1,0]
	v_pk_mul_f32 v[2:3], v[2:3], s[4:5] op_sel_hi:[1,0]
	v_cvt_f16_f32_e32 v11, v4
	v_cvt_f16_f32_e32 v9, v2
	;; [unrolled: 1-line block ×4, first 2 shown]
	v_pack_b32_f16 v2, v12, v6
	v_pack_b32_f16 v3, v7, v8
	;; [unrolled: 1-line block ×4, first 2 shown]
	ds_write2st64_b64 v55, v[2:3], v[4:5] offset1:1
	s_waitcnt lgkmcnt(0)
	s_barrier
	s_and_saveexec_b64 s[4:5], vcc
	s_cbranch_execz .LBB1073_18
; %bb.16:
	s_load_dwordx2 s[4:5], s[0:1], 0x68
	s_lshl_b32 s0, s6, 7
	s_mul_i32 s1, s7, s2
	v_lshlrev_b32_e32 v4, 6, v56
	s_mul_hi_u32 s7, s1, s0
	s_mul_i32 s6, s1, s0
	v_lshl_or_b32 v0, v0, 10, v4
	s_lshl_b64 s[6:7], s[6:7], 1
	v_lshlrev_b32_e32 v3, 5, v60
	v_and_b32_e32 v1, 16, v1
	v_and_b32_e32 v0, 0x1a00, v0
	s_waitcnt lgkmcnt(0)
	s_add_u32 s1, s4, s6
	v_or3_b32 v3, v0, v3, v1
	s_addc_u32 s4, s5, s7
	s_lshl_b32 s2, s22, 7
	s_lshl_b64 s[2:3], s[2:3], 1
	ds_read_b128 v[4:7], v3
	s_add_u32 s2, s1, s2
	s_addc_u32 s3, s4, s3
	v_mov_b32_e32 v55, 0
	v_add_u32_e32 v8, s48, v60
	v_or_b32_e32 v2, 4, v60
	v_lshl_add_u64 v[0:1], s[2:3], 0, v[54:55]
	v_mad_u64_u32 v[8:9], s[2:3], v8, s0, 0
	v_lshl_add_u64 v[8:9], v[8:9], 1, v[0:1]
	v_cmp_gt_u32_e32 vcc, 6, v2
	s_waitcnt lgkmcnt(0)
	global_store_dwordx4 v[8:9], v[4:7], off
	s_and_b64 exec, exec, vcc
	s_cbranch_execz .LBB1073_18
; %bb.17:
	ds_read_b128 v[4:7], v3 offset:128
	v_add_u32_e32 v2, s48, v2
	v_mad_u64_u32 v[2:3], s[0:1], v2, s0, 0
	v_lshl_add_u64 v[0:1], v[2:3], 1, v[0:1]
	s_waitcnt lgkmcnt(0)
	global_store_dwordx4 v[0:1], v[4:7], off
.LBB1073_18:
	s_endpgm
	.section	.rodata,"a",@progbits
	.p2align	6, 0x0
	.amdhsa_kernel _Z39paged_attention_ll4mi_QKV_mfma16_kernelIDF16_hLN4vllm18Fp8KVCacheDataTypeE1EDF16_Li32ELi128ELi256ELb0ELi6EEvPKT_PKT0_S7_ifPKiS9_S9_iPKfiiiPfSC_PS2_PT2_iSB_SB_
		.amdhsa_group_segment_fixed_size 8192
		.amdhsa_private_segment_fixed_size 0
		.amdhsa_kernarg_size 400
		.amdhsa_user_sgpr_count 2
		.amdhsa_user_sgpr_dispatch_ptr 0
		.amdhsa_user_sgpr_queue_ptr 0
		.amdhsa_user_sgpr_kernarg_segment_ptr 1
		.amdhsa_user_sgpr_dispatch_id 0
		.amdhsa_user_sgpr_kernarg_preload_length 0
		.amdhsa_user_sgpr_kernarg_preload_offset 0
		.amdhsa_user_sgpr_private_segment_size 0
		.amdhsa_uses_dynamic_stack 0
		.amdhsa_enable_private_segment 0
		.amdhsa_system_sgpr_workgroup_id_x 1
		.amdhsa_system_sgpr_workgroup_id_y 1
		.amdhsa_system_sgpr_workgroup_id_z 1
		.amdhsa_system_sgpr_workgroup_info 0
		.amdhsa_system_vgpr_workitem_id 0
		.amdhsa_next_free_vgpr 80
		.amdhsa_next_free_sgpr 50
		.amdhsa_accum_offset 80
		.amdhsa_reserve_vcc 1
		.amdhsa_float_round_mode_32 0
		.amdhsa_float_round_mode_16_64 0
		.amdhsa_float_denorm_mode_32 3
		.amdhsa_float_denorm_mode_16_64 3
		.amdhsa_dx10_clamp 1
		.amdhsa_ieee_mode 1
		.amdhsa_fp16_overflow 0
		.amdhsa_tg_split 0
		.amdhsa_exception_fp_ieee_invalid_op 0
		.amdhsa_exception_fp_denorm_src 0
		.amdhsa_exception_fp_ieee_div_zero 0
		.amdhsa_exception_fp_ieee_overflow 0
		.amdhsa_exception_fp_ieee_underflow 0
		.amdhsa_exception_fp_ieee_inexact 0
		.amdhsa_exception_int_div_zero 0
	.end_amdhsa_kernel
	.section	.text._Z39paged_attention_ll4mi_QKV_mfma16_kernelIDF16_hLN4vllm18Fp8KVCacheDataTypeE1EDF16_Li32ELi128ELi256ELb0ELi6EEvPKT_PKT0_S7_ifPKiS9_S9_iPKfiiiPfSC_PS2_PT2_iSB_SB_,"axG",@progbits,_Z39paged_attention_ll4mi_QKV_mfma16_kernelIDF16_hLN4vllm18Fp8KVCacheDataTypeE1EDF16_Li32ELi128ELi256ELb0ELi6EEvPKT_PKT0_S7_ifPKiS9_S9_iPKfiiiPfSC_PS2_PT2_iSB_SB_,comdat
.Lfunc_end1073:
	.size	_Z39paged_attention_ll4mi_QKV_mfma16_kernelIDF16_hLN4vllm18Fp8KVCacheDataTypeE1EDF16_Li32ELi128ELi256ELb0ELi6EEvPKT_PKT0_S7_ifPKiS9_S9_iPKfiiiPfSC_PS2_PT2_iSB_SB_, .Lfunc_end1073-_Z39paged_attention_ll4mi_QKV_mfma16_kernelIDF16_hLN4vllm18Fp8KVCacheDataTypeE1EDF16_Li32ELi128ELi256ELb0ELi6EEvPKT_PKT0_S7_ifPKiS9_S9_iPKfiiiPfSC_PS2_PT2_iSB_SB_
                                        ; -- End function
	.section	.AMDGPU.csdata,"",@progbits
; Kernel info:
; codeLenInByte = 6080
; NumSgprs: 56
; NumVgprs: 80
; NumAgprs: 0
; TotalNumVgprs: 80
; ScratchSize: 0
; MemoryBound: 0
; FloatMode: 240
; IeeeMode: 1
; LDSByteSize: 8192 bytes/workgroup (compile time only)
; SGPRBlocks: 6
; VGPRBlocks: 9
; NumSGPRsForWavesPerEU: 56
; NumVGPRsForWavesPerEU: 80
; AccumOffset: 80
; Occupancy: 6
; WaveLimiterHint : 1
; COMPUTE_PGM_RSRC2:SCRATCH_EN: 0
; COMPUTE_PGM_RSRC2:USER_SGPR: 2
; COMPUTE_PGM_RSRC2:TRAP_HANDLER: 0
; COMPUTE_PGM_RSRC2:TGID_X_EN: 1
; COMPUTE_PGM_RSRC2:TGID_Y_EN: 1
; COMPUTE_PGM_RSRC2:TGID_Z_EN: 1
; COMPUTE_PGM_RSRC2:TIDIG_COMP_CNT: 0
; COMPUTE_PGM_RSRC3_GFX90A:ACCUM_OFFSET: 19
; COMPUTE_PGM_RSRC3_GFX90A:TG_SPLIT: 0
	.section	.text._Z39paged_attention_ll4mi_QKV_mfma16_kernelIDF16_hLN4vllm18Fp8KVCacheDataTypeE1EDF16_Li32ELi128ELi256ELb0ELi7EEvPKT_PKT0_S7_ifPKiS9_S9_iPKfiiiPfSC_PS2_PT2_iSB_SB_,"axG",@progbits,_Z39paged_attention_ll4mi_QKV_mfma16_kernelIDF16_hLN4vllm18Fp8KVCacheDataTypeE1EDF16_Li32ELi128ELi256ELb0ELi7EEvPKT_PKT0_S7_ifPKiS9_S9_iPKfiiiPfSC_PS2_PT2_iSB_SB_,comdat
	.protected	_Z39paged_attention_ll4mi_QKV_mfma16_kernelIDF16_hLN4vllm18Fp8KVCacheDataTypeE1EDF16_Li32ELi128ELi256ELb0ELi7EEvPKT_PKT0_S7_ifPKiS9_S9_iPKfiiiPfSC_PS2_PT2_iSB_SB_ ; -- Begin function _Z39paged_attention_ll4mi_QKV_mfma16_kernelIDF16_hLN4vllm18Fp8KVCacheDataTypeE1EDF16_Li32ELi128ELi256ELb0ELi7EEvPKT_PKT0_S7_ifPKiS9_S9_iPKfiiiPfSC_PS2_PT2_iSB_SB_
	.globl	_Z39paged_attention_ll4mi_QKV_mfma16_kernelIDF16_hLN4vllm18Fp8KVCacheDataTypeE1EDF16_Li32ELi128ELi256ELb0ELi7EEvPKT_PKT0_S7_ifPKiS9_S9_iPKfiiiPfSC_PS2_PT2_iSB_SB_
	.p2align	8
	.type	_Z39paged_attention_ll4mi_QKV_mfma16_kernelIDF16_hLN4vllm18Fp8KVCacheDataTypeE1EDF16_Li32ELi128ELi256ELb0ELi7EEvPKT_PKT0_S7_ifPKiS9_S9_iPKfiiiPfSC_PS2_PT2_iSB_SB_,@function
_Z39paged_attention_ll4mi_QKV_mfma16_kernelIDF16_hLN4vllm18Fp8KVCacheDataTypeE1EDF16_Li32ELi128ELi256ELb0ELi7EEvPKT_PKT0_S7_ifPKiS9_S9_iPKfiiiPfSC_PS2_PT2_iSB_SB_: ; @_Z39paged_attention_ll4mi_QKV_mfma16_kernelIDF16_hLN4vllm18Fp8KVCacheDataTypeE1EDF16_Li32ELi128ELi256ELb0ELi7EEvPKT_PKT0_S7_ifPKiS9_S9_iPKfiiiPfSC_PS2_PT2_iSB_SB_
; %bb.0:
	s_load_dwordx2 s[12:13], s[0:1], 0x30
	s_mov_b32 s22, s3
	s_mov_b64 s[6:7], 0
	s_waitcnt lgkmcnt(0)
	s_cmp_lg_u64 s[12:13], 0
	s_cselect_b64 s[14:15], -1, 0
	s_and_b64 vcc, exec, s[14:15]
	s_cbranch_vccz .LBB1074_7
; %bb.1:
	s_add_i32 s8, s2, 1
	s_mov_b32 s9, 0
	s_lshl_b64 s[10:11], s[8:9], 2
	s_add_u32 s10, s12, s10
	s_mov_b32 s3, s9
	s_addc_u32 s11, s13, s11
	s_lshl_b64 s[8:9], s[2:3], 2
	s_add_u32 s8, s12, s8
	s_addc_u32 s9, s13, s9
	s_load_dword s5, s[10:11], 0x0
	s_load_dword s16, s[8:9], 0x0
	s_waitcnt lgkmcnt(0)
	s_sub_i32 s5, s5, s16
	s_cmp_eq_u32 s5, 1
	s_cselect_b64 s[8:9], -1, 0
	s_andn2_b64 vcc, exec, s[6:7]
	s_cbranch_vccnz .LBB1074_3
.LBB1074_2:
	s_mov_b32 s3, 0
	s_mov_b64 s[8:9], -1
.LBB1074_3:
	s_andn2_b64 vcc, exec, s[8:9]
	s_cbranch_vccnz .LBB1074_18
; %bb.4:
	s_load_dwordx2 s[6:7], s[0:1], 0x28
	s_lshl_b64 s[16:17], s[2:3], 2
	s_waitcnt lgkmcnt(0)
	s_add_u32 s6, s6, s16
	s_addc_u32 s7, s7, s17
	s_load_dword s5, s[6:7], 0x0
	s_lshl_b32 s18, s22, 8
	s_waitcnt lgkmcnt(0)
	s_cmp_ge_i32 s18, s5
	s_cbranch_scc1 .LBB1074_18
; %bb.5:
	s_load_dwordx2 s[6:7], s[0:1], 0x20
	s_load_dword s8, s[0:1], 0x38
	s_add_i32 s9, s5, 31
	s_ashr_i32 s10, s9, 31
	v_and_b32_e32 v1, 0xcf, v0
	s_lshr_b32 s10, s10, 27
	v_add_u32_e32 v1, s18, v1
	s_add_i32 s9, s9, s10
	v_ashrrev_i32_e32 v2, 31, v1
	s_ashr_i32 s19, s9, 5
	v_lshrrev_b32_e32 v6, 27, v2
	s_add_i32 s19, s19, -1
	s_waitcnt lgkmcnt(0)
	s_mul_i32 s8, s2, s8
	s_mov_b32 s9, 0
	v_add_u32_e32 v2, v1, v6
	s_lshl_b64 s[8:9], s[8:9], 2
	v_ashrrev_i32_e32 v2, 5, v2
	v_mov_b32_e32 v7, s19
	v_cmp_gt_i32_e32 vcc, s5, v1
	s_add_u32 s6, s6, s8
	s_addc_u32 s7, s7, s9
	v_cndmask_b32_e32 v2, v7, v2, vcc
	v_ashrrev_i32_e32 v3, 31, v2
	v_lshl_add_u64 v[4:5], v[2:3], 2, s[6:7]
	v_or_b32_e32 v2, 16, v1
	v_add_u32_e32 v3, v2, v6
	v_ashrrev_i32_e32 v3, 5, v3
	v_cmp_gt_i32_e32 vcc, s5, v2
	s_load_dwordx4 s[8:11], s[0:1], 0x8
	s_nop 0
	v_cndmask_b32_e32 v2, v7, v3, vcc
	v_ashrrev_i32_e32 v3, 31, v2
	v_lshl_add_u64 v[10:11], v[2:3], 2, s[6:7]
	v_or_b32_e32 v2, 32, v1
	v_add_u32_e32 v3, v2, v6
	v_ashrrev_i32_e32 v3, 5, v3
	v_cmp_gt_i32_e32 vcc, s5, v2
	v_or_b32_e32 v1, 48, v1
	s_nop 0
	v_cndmask_b32_e32 v2, v7, v3, vcc
	v_ashrrev_i32_e32 v3, 31, v2
	v_lshl_add_u64 v[12:13], v[2:3], 2, s[6:7]
	v_add_u32_e32 v2, v1, v6
	v_ashrrev_i32_e32 v2, 5, v2
	v_cmp_gt_i32_e32 vcc, s5, v1
	s_nop 1
	v_cndmask_b32_e32 v2, v7, v2, vcc
	v_ashrrev_i32_e32 v3, 31, v2
	v_lshl_add_u64 v[14:15], v[2:3], 2, s[6:7]
	global_load_dword v2, v[4:5], off
	global_load_dword v8, v[10:11], off
	;; [unrolled: 1-line block ×4, first 2 shown]
	s_andn2_b64 vcc, exec, s[14:15]
	s_cbranch_vccnz .LBB1074_8
; %bb.6:
	s_add_u32 s12, s12, s16
	s_addc_u32 s13, s13, s17
	s_load_dword s14, s[12:13], 0x0
	s_branch .LBB1074_9
.LBB1074_7:
	s_mov_b64 s[8:9], 0
	s_branch .LBB1074_2
.LBB1074_8:
	s_mov_b32 s14, s2
.LBB1074_9:
	s_load_dwordx4 s[44:47], s[0:1], 0x48
	v_lshrrev_b32_e32 v57, 6, v0
	v_bfe_u32 v60, v0, 4, 2
	v_and_b32_e32 v56, 15, v0
	v_lshl_or_b32 v3, v57, 2, v60
	v_lshlrev_b32_e32 v1, 3, v56
	v_and_b32_e32 v61, 63, v0
	s_mul_i32 s48, s4, 7
	v_cmp_gt_u32_e32 vcc, 7, v3
	v_lshlrev_b32_e32 v54, 1, v1
	v_lshlrev_b32_e32 v1, 4, v0
	s_and_saveexec_b64 s[12:13], vcc
	s_cbranch_execz .LBB1074_11
; %bb.10:
	s_load_dwordx2 s[16:17], s[0:1], 0x0
	s_waitcnt lgkmcnt(0)
	s_ashr_i32 s15, s44, 31
	s_mul_hi_u32 s20, s14, s44
	s_mul_i32 s15, s14, s15
	s_add_i32 s15, s20, s15
	s_mul_i32 s14, s14, s44
	s_lshl_b64 s[14:15], s[14:15], 1
	s_add_u32 s14, s16, s14
	v_add_lshl_u32 v4, v3, s48, 7
	s_addc_u32 s15, s17, s15
	v_ashrrev_i32_e32 v5, 31, v4
	v_lshl_add_u64 v[4:5], v[4:5], 1, s[14:15]
	v_mov_b32_e32 v55, 0
	v_lshl_add_u64 v[4:5], v[4:5], 0, v[54:55]
	global_load_dwordx4 v[10:13], v[4:5], off
	v_lshlrev_b32_e32 v5, 8, v0
	v_lshlrev_b32_e32 v4, 8, v56
	v_and_b32_e32 v5, 0x600, v5
	s_movk_i32 s14, 0x800
	v_and_or_b32 v4, v4, s14, v5
	v_lshlrev_b32_e32 v3, 5, v3
	v_and_b32_e32 v5, 16, v1
	v_or3_b32 v3, v4, v3, v5
	s_waitcnt vmcnt(0)
	ds_write_b128 v3, v[10:13]
.LBB1074_11:
	s_or_b64 exec, exec, s[12:13]
	s_waitcnt lgkmcnt(0)
	s_mul_i32 s12, s4, s46
	s_add_u32 s8, s8, s12
	s_addc_u32 s9, s9, 0
	v_mov_b32_e32 v59, 0
	v_mov_b64_e32 v[4:5], s[8:9]
	v_and_b32_e32 v9, 48, v0
	s_waitcnt vmcnt(3)
	v_mad_i64_i32 v[10:11], s[8:9], v2, s45, v[4:5]
	v_lshlrev_b32_e32 v2, 4, v56
	v_mov_b32_e32 v3, v59
	v_lshlrev_b32_e32 v58, 5, v9
	v_lshl_add_u64 v[10:11], v[10:11], 0, v[2:3]
	v_lshl_add_u64 v[14:15], v[10:11], 0, v[58:59]
	s_load_dword s23, s[0:1], 0x98
	s_load_dwordx4 s[40:43], s[0:1], 0x80
	s_waitcnt lgkmcnt(0)
	s_barrier
	global_load_dwordx4 v[10:13], v[14:15], off
	global_load_dwordx4 v[30:33], v[14:15], off offset:2048
	v_mul_lo_u16_e32 v16, 37, v56
	v_mov_b32_e32 v17, 7
	v_mul_lo_u16_sdwa v14, v16, v17 dst_sel:DWORD dst_unused:UNUSED_PAD src0_sel:BYTE_1 src1_sel:DWORD
	v_mov_b32_e32 v20, 5
	v_or_b32_e32 v25, s18, v9
	v_sub_u16_e32 v9, v56, v14
	s_ashr_i32 s8, s18, 31
	v_lshlrev_b32_sdwa v9, v20, v9 dst_sel:DWORD dst_unused:UNUSED_PAD src0_sel:DWORD src1_sel:BYTE_0
	v_or_b32_e32 v18, 0x100, v2
	v_mov_b32_e32 v19, v59
	s_lshr_b32 s13, s8, 27
	v_lshl_add_u32 v41, v60, 9, v9
	s_waitcnt vmcnt(4)
	v_mad_i64_i32 v[8:9], s[8:9], v8, s45, v[4:5]
	s_waitcnt vmcnt(3)
	v_mad_i64_i32 v[20:21], s[8:9], v6, s45, v[4:5]
	;; [unrolled: 2-line block ×3, first 2 shown]
	v_lshl_add_u64 v[6:7], v[8:9], 0, v[18:19]
	v_lshl_add_u64 v[22:23], v[6:7], 0, v[58:59]
	global_load_dwordx4 v[46:49], v[22:23], off
	v_or_b32_e32 v38, 64, v25
	v_or_b32_e32 v39, 0x80, v25
	;; [unrolled: 1-line block ×3, first 2 shown]
	v_add_u32_e32 v42, s13, v25
	v_add_u32_e32 v43, s13, v38
	;; [unrolled: 1-line block ×4, first 2 shown]
	ds_read_b128 v[34:37], v41
	ds_read_b128 v[26:29], v41 offset:16
	ds_read_b128 v[14:17], v41 offset:2048
	;; [unrolled: 1-line block ×3, first 2 shown]
	v_lshl_add_u64 v[2:3], v[20:21], 0, v[2:3]
	v_ashrrev_i32_e32 v20, 5, v42
	v_ashrrev_i32_e32 v21, 5, v43
	;; [unrolled: 1-line block ×4, first 2 shown]
	global_load_dwordx4 v[42:45], v[22:23], off offset:2048
	v_mov_b32_e32 v24, s19
	v_cmp_gt_i32_e32 vcc, s5, v25
	v_lshl_add_u64 v[4:5], v[4:5], 0, v[18:19]
	v_lshl_add_u64 v[2:3], v[2:3], 0, v[58:59]
	v_cndmask_b32_e32 v50, v24, v20, vcc
	v_cmp_gt_i32_e32 vcc, s5, v38
	v_lshl_add_u64 v[18:19], v[4:5], 0, v[58:59]
	v_and_b32_e32 v58, 16, v0
	v_cndmask_b32_e32 v52, v24, v21, vcc
	v_cmp_gt_i32_e32 vcc, s5, v39
	v_ashrrev_i32_e32 v53, 31, v52
	v_lshl_add_u64 v[52:53], v[52:53], 2, s[6:7]
	v_cndmask_b32_e32 v62, v24, v41, vcc
	v_cmp_gt_i32_e32 vcc, s5, v40
	v_ashrrev_i32_e32 v63, 31, v62
	v_lshl_add_u64 v[62:63], v[62:63], 2, s[6:7]
	v_cndmask_b32_e32 v64, v24, v51, vcc
	global_load_dwordx4 v[22:25], v[2:3], off
	s_nop 0
	global_load_dwordx4 v[2:5], v[2:3], off offset:2048
	s_nop 0
	global_load_dwordx4 v[38:41], v[18:19], off
	s_nop 0
	global_load_dwordx4 v[18:21], v[18:19], off offset:2048
	v_ashrrev_i32_e32 v65, 31, v64
	v_lshl_add_u64 v[66:67], v[64:65], 2, s[6:7]
	v_ashrrev_i32_e32 v51, 31, v50
	v_lshl_add_u64 v[50:51], v[50:51], 2, s[6:7]
	s_add_u32 s6, s10, s12
	s_addc_u32 s7, s11, 0
	v_lshl_or_b32 v55, v57, 4, v56
	s_load_dword s4, s[0:1], 0x1c
	s_mov_b32 s33, 0xff7fffff
	s_waitcnt vmcnt(7)
	v_cvt_pk_f32_fp8_e32 v[64:65], v10
	v_cvt_pk_f32_fp8_sdwa v[68:69], v10 src0_sel:WORD_1
	v_cvt_pk_f32_fp8_e32 v[70:71], v11
	v_cvt_pk_f32_fp8_sdwa v[10:11], v11 src0_sel:WORD_1
	v_cvt_pkrtz_f16_f32 v72, v64, v65
	v_cvt_pkrtz_f16_f32 v73, v68, v69
	global_load_dword v65, v[50:51], off
	global_load_dword v64, v[52:53], off
	s_nop 0
	global_load_dword v62, v[62:63], off
	s_nop 0
	global_load_dword v63, v[66:67], off
	v_cvt_pk_f32_fp8_e32 v[66:67], v12
	v_cvt_pkrtz_f16_f32 v68, v70, v71
	v_cvt_pkrtz_f16_f32 v69, v10, v11
	v_cvt_pk_f32_fp8_sdwa v[10:11], v12 src0_sel:WORD_1
	s_waitcnt lgkmcnt(0)
	v_mfma_f32_16x16x16_f16 v[50:53], v[72:73], v[34:35], 0
	v_cvt_pk_f32_fp8_e32 v[70:71], v13
	v_cvt_pkrtz_f16_f32 v66, v66, v67
	v_cvt_pkrtz_f16_f32 v67, v10, v11
	v_cvt_pk_f32_fp8_sdwa v[10:11], v13 src0_sel:WORD_1
	v_mfma_f32_16x16x16_f16 v[50:53], v[68:69], v[36:37], v[50:53]
	v_cvt_pkrtz_f16_f32 v68, v70, v71
	s_waitcnt vmcnt(10)
	v_cvt_pk_f32_fp8_e32 v[70:71], v30
	v_cvt_pk_f32_fp8_sdwa v[72:73], v30 src0_sel:WORD_1
	v_cvt_pkrtz_f16_f32 v69, v10, v11
	v_mfma_f32_16x16x16_f16 v[10:13], v[66:67], v[26:27], v[50:53]
	s_waitcnt vmcnt(9)
	v_cvt_pk_f32_fp8_sdwa v[66:67], v46 src0_sel:WORD_1
	s_waitcnt vmcnt(6)
	v_cvt_pk_f32_fp8_sdwa v[78:79], v5 src0_sel:WORD_1
	v_cvt_pkrtz_f16_f32 v50, v70, v71
	v_cvt_pkrtz_f16_f32 v51, v72, v73
	v_cvt_pk_f32_fp8_e32 v[52:53], v31
	v_cvt_pk_f32_fp8_sdwa v[30:31], v31 src0_sel:WORD_1
	v_mfma_f32_16x16x16_f16 v[10:13], v[68:69], v[28:29], v[10:13]
	v_cvt_pk_f32_fp8_sdwa v[68:69], v42 src0_sel:WORD_1
	v_cvt_pkrtz_f16_f32 v52, v52, v53
	v_cvt_pkrtz_f16_f32 v53, v30, v31
	v_mfma_f32_16x16x16_f16 v[10:13], v[50:51], v[14:15], v[10:13]
	v_cvt_pk_f32_fp8_e32 v[30:31], v32
	v_cvt_pk_f32_fp8_sdwa v[50:51], v32 src0_sel:WORD_1
	v_cvt_pk_f32_fp8_e32 v[72:73], v3
	v_mfma_f32_16x16x16_f16 v[10:13], v[52:53], v[16:17], v[10:13]
	v_cvt_pk_f32_fp8_e32 v[52:53], v33
	v_cvt_pkrtz_f16_f32 v30, v30, v31
	v_cvt_pkrtz_f16_f32 v31, v50, v51
	v_cvt_pk_f32_fp8_sdwa v[32:33], v33 src0_sel:WORD_1
	v_cvt_pkrtz_f16_f32 v50, v52, v53
	v_cvt_pk_f32_fp8_e32 v[52:53], v46
	v_mfma_f32_16x16x16_f16 v[10:13], v[30:31], v[6:7], v[10:13]
	v_cvt_pkrtz_f16_f32 v51, v32, v33
	v_cvt_pkrtz_f16_f32 v30, v52, v53
	v_cvt_pkrtz_f16_f32 v31, v66, v67
	v_cvt_pk_f32_fp8_e32 v[32:33], v47
	v_cvt_pk_f32_fp8_sdwa v[46:47], v47 src0_sel:WORD_1
	v_mfma_f32_16x16x16_f16 v[50:53], v[50:51], v[8:9], v[10:13]
	v_cvt_pk_f32_fp8_sdwa v[66:67], v48 src0_sel:WORD_1
	v_cvt_pkrtz_f16_f32 v32, v32, v33
	v_cvt_pkrtz_f16_f32 v33, v46, v47
	v_mfma_f32_16x16x16_f16 v[10:13], v[30:31], v[34:35], 0
	v_cvt_pk_f32_fp8_e32 v[30:31], v48
	v_lshl_add_u64 v[46:47], s[6:7], 0, v[58:59]
	v_lshlrev_b32_e32 v58, 5, v55
	v_mfma_f32_16x16x16_f16 v[10:13], v[32:33], v[36:37], v[10:13]
	v_cvt_pk_f32_fp8_e32 v[32:33], v49
	v_cvt_pkrtz_f16_f32 v30, v30, v31
	v_cvt_pkrtz_f16_f32 v31, v66, v67
	v_cvt_pk_f32_fp8_sdwa v[48:49], v49 src0_sel:WORD_1
	v_cvt_pkrtz_f16_f32 v32, v32, v33
	v_cvt_pk_f32_fp8_e32 v[66:67], v42
	v_mfma_f32_16x16x16_f16 v[10:13], v[30:31], v[26:27], v[10:13]
	v_cvt_pkrtz_f16_f32 v33, v48, v49
	v_cvt_pkrtz_f16_f32 v30, v66, v67
	;; [unrolled: 1-line block ×3, first 2 shown]
	v_cvt_pk_f32_fp8_e32 v[48:49], v43
	v_cvt_pk_f32_fp8_sdwa v[42:43], v43 src0_sel:WORD_1
	v_mfma_f32_16x16x16_f16 v[10:13], v[32:33], v[28:29], v[10:13]
	v_lshl_add_u64 v[66:67], v[46:47], 0, v[58:59]
	v_cvt_pkrtz_f16_f32 v32, v48, v49
	v_cvt_pkrtz_f16_f32 v33, v42, v43
	v_mfma_f32_16x16x16_f16 v[10:13], v[30:31], v[14:15], v[10:13]
	v_cvt_pk_f32_fp8_e32 v[30:31], v44
	v_cvt_pk_f32_fp8_sdwa v[42:43], v44 src0_sel:WORD_1
	v_cvt_pk_f32_fp8_sdwa v[48:49], v22 src0_sel:WORD_1
	v_mfma_f32_16x16x16_f16 v[10:13], v[32:33], v[16:17], v[10:13]
	v_cvt_pkrtz_f16_f32 v30, v30, v31
	v_cvt_pkrtz_f16_f32 v31, v42, v43
	v_cvt_pk_f32_fp8_e32 v[32:33], v45
	v_cvt_pk_f32_fp8_sdwa v[42:43], v45 src0_sel:WORD_1
	v_cvt_pk_f32_fp8_e32 v[44:45], v22
	v_mfma_f32_16x16x16_f16 v[10:13], v[30:31], v[6:7], v[10:13]
	v_cvt_pkrtz_f16_f32 v32, v32, v33
	v_cvt_pkrtz_f16_f32 v33, v42, v43
	;; [unrolled: 1-line block ×4, first 2 shown]
	v_cvt_pk_f32_fp8_e32 v[48:49], v23
	v_cvt_pk_f32_fp8_sdwa v[22:23], v23 src0_sel:WORD_1
	v_mfma_f32_16x16x16_f16 v[42:45], v[32:33], v[8:9], v[10:13]
	s_waitcnt vmcnt(2)
	v_mad_i64_i32 v[68:69], s[6:7], v64, s45, v[66:67]
	v_cvt_pkrtz_f16_f32 v32, v48, v49
	v_cvt_pkrtz_f16_f32 v33, v22, v23
	v_mfma_f32_16x16x16_f16 v[10:13], v[30:31], v[34:35], 0
	v_cvt_pk_f32_fp8_e32 v[22:23], v24
	v_cvt_pk_f32_fp8_sdwa v[30:31], v24 src0_sel:WORD_1
	v_mad_i64_i32 v[48:49], s[6:7], v65, s45, v[66:67]
	v_cvt_pkrtz_f16_f32 v22, v22, v23
	v_cvt_pkrtz_f16_f32 v23, v30, v31
	v_cvt_pk_f32_fp8_e32 v[30:31], v25
	v_cvt_pk_f32_fp8_sdwa v[24:25], v25 src0_sel:WORD_1
	v_mfma_f32_16x16x16_f16 v[10:13], v[32:33], v[36:37], v[10:13]
	s_waitcnt vmcnt(0)
	v_mad_i64_i32 v[74:75], s[6:7], v63, s45, v[66:67]
	v_cvt_pkrtz_f16_f32 v70, v30, v31
	v_cvt_pkrtz_f16_f32 v71, v24, v25
	v_mfma_f32_16x16x16_f16 v[10:13], v[22:23], v[26:27], v[10:13]
	global_load_dwordx4 v[30:33], v[48:49], off
	global_load_dwordx4 v[22:25], v[68:69], off
	v_cvt_pk_f32_fp8_e32 v[68:69], v2
	v_mad_i64_i32 v[48:49], s[6:7], v62, s45, v[66:67]
	v_mfma_f32_16x16x16_f16 v[10:13], v[70:71], v[28:29], v[10:13]
	v_cvt_pk_f32_fp8_sdwa v[70:71], v2 src0_sel:WORD_1
	v_cvt_pk_f32_fp8_sdwa v[2:3], v3 src0_sel:WORD_1
	v_cvt_pkrtz_f16_f32 v68, v68, v69
	v_or_b32_e32 v58, 0x800, v58
	v_cvt_pkrtz_f16_f32 v69, v70, v71
	v_cvt_pkrtz_f16_f32 v70, v72, v73
	;; [unrolled: 1-line block ×3, first 2 shown]
	v_cvt_pk_f32_fp8_e32 v[2:3], v4
	v_cvt_pk_f32_fp8_sdwa v[72:73], v4 src0_sel:WORD_1
	v_mfma_f32_16x16x16_f16 v[66:69], v[68:69], v[14:15], v[10:13]
	v_lshl_add_u64 v[46:47], v[46:47], 0, v[58:59]
	v_cvt_pkrtz_f16_f32 v76, v2, v3
	v_cvt_pkrtz_f16_f32 v77, v72, v73
	v_cvt_pk_f32_fp8_e32 v[72:73], v5
	v_mfma_f32_16x16x16_f16 v[66:69], v[70:71], v[16:17], v[66:69]
	global_load_dwordx4 v[10:13], v[48:49], off
	global_load_dwordx4 v[2:5], v[74:75], off
	v_cvt_pkrtz_f16_f32 v49, v78, v79
	v_cvt_pkrtz_f16_f32 v48, v72, v73
	v_mfma_f32_16x16x16_f16 v[66:69], v[76:77], v[6:7], v[66:69]
	v_cvt_pk_f32_fp8_e32 v[58:59], v38
	v_cvt_pk_f32_fp8_sdwa v[70:71], v38 src0_sel:WORD_1
	v_cvt_pk_f32_fp8_e32 v[74:75], v40
	v_mfma_f32_16x16x16_f16 v[66:69], v[48:49], v[8:9], v[66:69]
	v_cvt_pk_f32_fp8_e32 v[48:49], v39
	v_cvt_pkrtz_f16_f32 v58, v58, v59
	v_cvt_pkrtz_f16_f32 v59, v70, v71
	v_cvt_pk_f32_fp8_sdwa v[38:39], v39 src0_sel:WORD_1
	v_cvt_pkrtz_f16_f32 v48, v48, v49
	v_cvt_pk_f32_fp8_sdwa v[76:77], v40 src0_sel:WORD_1
	v_mfma_f32_16x16x16_f16 v[70:73], v[58:59], v[34:35], 0
	v_cvt_pkrtz_f16_f32 v49, v38, v39
	v_cvt_pkrtz_f16_f32 v38, v74, v75
	;; [unrolled: 1-line block ×3, first 2 shown]
	v_cvt_pk_f32_fp8_e32 v[58:59], v41
	v_cvt_pk_f32_fp8_sdwa v[40:41], v41 src0_sel:WORD_1
	v_mfma_f32_16x16x16_f16 v[34:37], v[48:49], v[36:37], v[70:73]
	s_load_dword s6, s[40:41], 0x0
	v_cvt_pkrtz_f16_f32 v48, v58, v59
	v_cvt_pkrtz_f16_f32 v49, v40, v41
	v_mfma_f32_16x16x16_f16 v[70:73], v[38:39], v[26:27], v[34:37]
	v_mov_b32_e32 v74, s4
	s_waitcnt lgkmcnt(0)
	v_mul_f32_e32 v40, s6, v74
	v_pk_mul_f32 v[38:39], v[40:41], v[52:53] op_sel_hi:[0,1]
	v_mfma_f32_16x16x16_f16 v[26:29], v[48:49], v[28:29], v[70:73]
	v_cvt_pk_f32_fp8_e32 v[34:35], v18
	v_cvt_pk_f32_fp8_sdwa v[48:49], v18 src0_sel:WORD_1
	v_pk_mul_f32 v[36:37], v[40:41], v[50:51] op_sel_hi:[0,1]
	v_cvt_pk_f32_fp8_e32 v[50:51], v19
	v_cvt_pk_f32_fp8_sdwa v[18:19], v19 src0_sel:WORD_1
	v_cvt_pkrtz_f16_f32 v34, v34, v35
	v_cvt_pkrtz_f16_f32 v35, v48, v49
	;; [unrolled: 1-line block ×4, first 2 shown]
	v_cvt_pk_f32_fp8_e32 v[18:19], v20
	v_cvt_pk_f32_fp8_sdwa v[50:51], v20 src0_sel:WORD_1
	v_mfma_f32_16x16x16_f16 v[26:29], v[34:35], v[14:15], v[26:29]
	v_cvt_pk_f32_fp8_e32 v[34:35], v21
	v_cvt_pkrtz_f16_f32 v18, v18, v19
	v_cvt_pkrtz_f16_f32 v19, v50, v51
	v_cvt_pk_f32_fp8_sdwa v[20:21], v21 src0_sel:WORD_1
	v_mfma_f32_16x16x16_f16 v[14:17], v[48:49], v[16:17], v[26:29]
	v_pk_mul_f32 v[48:49], v[40:41], v[44:45] op_sel_hi:[0,1]
	v_pk_mul_f32 v[50:51], v[40:41], v[42:43] op_sel_hi:[0,1]
	;; [unrolled: 1-line block ×3, first 2 shown]
	v_cvt_pkrtz_f16_f32 v26, v34, v35
	v_cvt_pkrtz_f16_f32 v27, v20, v21
	v_mfma_f32_16x16x16_f16 v[14:17], v[18:19], v[6:7], v[14:17]
	v_pk_mul_f32 v[42:43], v[40:41], v[66:67] op_sel_hi:[0,1]
	v_mad_i64_i32 v[52:53], s[6:7], v65, s45, v[46:47]
	v_mfma_f32_16x16x16_f16 v[6:9], v[26:27], v[8:9], v[14:17]
	s_nop 6
	v_pk_mul_f32 v[34:35], v[40:41], v[8:9] op_sel_hi:[0,1]
	v_pk_mul_f32 v[40:41], v[40:41], v[6:7] op_sel_hi:[0,1]
	v_and_b32_e32 v6, 0xc0, v0
	v_add_u32_e32 v6, s18, v6
	v_lshl_or_b32 v6, v60, 2, v6
	v_or_b32_e32 v9, 1, v6
	v_mov_b32_e32 v7, 0xff7fffff
	v_cmp_gt_i32_e64 s[24:25], s5, v6
	v_cmp_gt_i32_e64 s[26:27], s5, v9
	v_or_b32_e32 v14, 3, v6
	v_cndmask_b32_e64 v8, v7, v36, s[24:25]
	v_cndmask_b32_e64 v9, v7, v37, s[26:27]
	v_max3_f32 v8, v8, s33, v9
	v_or_b32_e32 v9, 2, v6
	v_cmp_gt_i32_e64 s[28:29], s5, v9
	v_cmp_gt_i32_e64 s[30:31], s5, v14
	s_nop 0
	v_cndmask_b32_e64 v9, v7, v38, s[28:29]
	v_cndmask_b32_e64 v14, v7, v39, s[30:31]
	v_max3_f32 v8, v8, v9, v14
	v_or_b32_e32 v9, 16, v6
	v_or_b32_e32 v14, 17, v6
	v_cmp_gt_i32_e64 s[34:35], s5, v9
	v_cmp_gt_i32_e64 s[36:37], s5, v14
	s_nop 0
	v_cndmask_b32_e64 v9, v7, v50, s[34:35]
	v_cndmask_b32_e64 v14, v7, v51, s[36:37]
	v_max3_f32 v8, v8, v9, v14
	v_or_b32_e32 v9, 18, v6
	;; [unrolled: 8-line block ×6, first 2 shown]
	v_or_b32_e32 v6, 51, v6
	v_cmp_gt_i32_e32 vcc, s5, v9
	v_cmp_gt_i32_e64 s[4:5], s5, v6
	s_nop 0
	v_cndmask_b32_e32 v9, v7, v34, vcc
	v_cndmask_b32_e64 v6, v7, v35, s[4:5]
	v_max3_f32 v8, v8, v9, v6
	v_mbcnt_lo_u32_b32 v6, -1, 0
	v_mbcnt_hi_u32_b32 v9, -1, v6
	v_and_b32_e32 v6, 64, v9
	v_add_u32_e32 v14, 64, v6
	v_xor_b32_e32 v6, 32, v9
	v_cmp_lt_i32_e64 s[38:39], v6, v14
	s_nop 1
	v_cndmask_b32_e64 v6, v9, v6, s[38:39]
	v_lshlrev_b32_e32 v58, 2, v6
	ds_bpermute_b32 v15, v58, v8
	v_mad_i64_i32 v[6:7], s[38:39], v64, s45, v[46:47]
	global_load_dwordx4 v[26:29], v[52:53], off
	global_load_dwordx4 v[18:21], v[6:7], off
	s_waitcnt lgkmcnt(0)
	v_max_f32_e32 v6, v15, v15
	v_max_f32_e32 v15, v8, v6
	v_xor_b32_e32 v6, 16, v9
	v_cmp_lt_i32_e64 s[38:39], v6, v14
	s_nop 1
	v_cndmask_b32_e64 v6, v9, v6, s[38:39]
	v_lshlrev_b32_e32 v53, 2, v6
	ds_bpermute_b32 v14, v53, v15
	v_mad_i64_i32 v[6:7], s[38:39], v62, s45, v[46:47]
	v_mad_i64_i32 v[8:9], s[38:39], v63, s45, v[46:47]
	s_waitcnt lgkmcnt(0)
	v_max_f32_e32 v14, v14, v14
	v_max_f32_e32 v52, v15, v14
	v_sub_f32_e32 v14, v36, v52
	v_mul_f32_e32 v14, 0x3fb8aa3b, v14
	v_exp_f32_e32 v36, v14
	v_sub_f32_e32 v14, v37, v52
	v_mul_f32_e32 v14, 0x3fb8aa3b, v14
	v_exp_f32_e32 v37, v14
	global_load_dwordx4 v[14:17], v[6:7], off
	s_nop 0
	global_load_dwordx4 v[6:9], v[8:9], off
	v_sub_f32_e32 v38, v38, v52
	v_mul_f32_e32 v38, 0x3fb8aa3b, v38
	v_sub_f32_e32 v39, v39, v52
	v_exp_f32_e32 v38, v38
	v_mul_f32_e32 v39, 0x3fb8aa3b, v39
	v_exp_f32_e32 v39, v39
	v_cndmask_b32_e64 v36, 0, v36, s[24:25]
	v_add_f32_e32 v46, 0, v36
	v_cndmask_b32_e64 v37, 0, v37, s[26:27]
	v_add_f32_e32 v47, v46, v37
	;; [unrolled: 2-line block ×3, first 2 shown]
	v_cndmask_b32_e64 v47, 0, v39, s[30:31]
	v_sub_f32_e32 v39, v50, v52
	v_mul_f32_e32 v39, 0x3fb8aa3b, v39
	v_sub_f32_e32 v50, v51, v52
	v_exp_f32_e32 v39, v39
	v_mul_f32_e32 v50, 0x3fb8aa3b, v50
	v_sub_f32_e32 v48, v48, v52
	v_exp_f32_e32 v50, v50
	v_mul_f32_e32 v48, 0x3fb8aa3b, v48
	v_sub_f32_e32 v49, v49, v52
	v_exp_f32_e32 v48, v48
	v_mul_f32_e32 v49, 0x3fb8aa3b, v49
	v_sub_f32_e32 v42, v42, v52
	v_exp_f32_e32 v49, v49
	v_mul_f32_e32 v42, 0x3fb8aa3b, v42
	v_sub_f32_e32 v43, v43, v52
	v_add_f32_e32 v51, v38, v47
	v_cndmask_b32_e64 v38, 0, v39, s[34:35]
	v_exp_f32_e32 v42, v42
	v_mul_f32_e32 v43, 0x3fb8aa3b, v43
	v_sub_f32_e32 v44, v44, v52
	v_add_f32_e32 v51, v51, v38
	v_cndmask_b32_e64 v39, 0, v50, s[36:37]
	v_exp_f32_e32 v43, v43
	;; [unrolled: 5-line block ×7, first 2 shown]
	v_mul_f32_e32 v35, 0x3fb8aa3b, v35
	v_add_f32_e32 v50, v50, v44
	v_cndmask_b32_e64 v45, 0, v45, s[12:13]
	v_exp_f32_e32 v35, v35
	v_add_f32_e32 v50, v50, v45
	v_cndmask_b32_e64 v40, 0, v40, s[6:7]
	v_add_f32_e32 v50, v50, v40
	v_cndmask_b32_e64 v41, 0, v41, s[8:9]
	v_add_f32_e32 v50, v50, v41
	v_cndmask_b32_e32 v34, 0, v34, vcc
	v_add_f32_e32 v50, v50, v34
	v_cndmask_b32_e64 v35, 0, v35, s[4:5]
	v_add_f32_e32 v50, v50, v35
	ds_bpermute_b32 v51, v58, v50
	v_cmp_gt_u32_e32 vcc, 16, v61
	s_waitcnt lgkmcnt(0)
	s_barrier
	v_add_f32_e32 v50, v50, v51
	ds_bpermute_b32 v51, v53, v50
	s_and_saveexec_b64 s[4:5], vcc
	s_cbranch_execz .LBB1074_13
; %bb.12:
	s_waitcnt lgkmcnt(0)
	v_add_f32_e32 v50, v50, v51
	v_lshlrev_b32_e32 v51, 2, v55
	ds_write2st64_b32 v51, v52, v50 offset1:1
.LBB1074_13:
	s_or_b64 exec, exec, s[4:5]
	s_waitcnt lgkmcnt(0)
	v_lshlrev_b32_e32 v51, 2, v56
	s_load_dword s6, s[0:1], 0x94
	s_waitcnt lgkmcnt(0)
	s_barrier
	ds_read2_b32 v[52:53], v51 offset1:16
	ds_read2_b32 v[58:59], v51 offset0:32 offset1:48
	ds_read2_b32 v[62:63], v51 offset0:64 offset1:80
	s_mul_i32 s7, s23, 7
	s_waitcnt lgkmcnt(2)
	v_max3_f32 v50, v52, s33, v53
	s_waitcnt lgkmcnt(1)
	v_max3_f32 v50, v50, v58, v59
	v_sub_f32_e32 v52, v52, v50
	v_mul_f32_e32 v52, 0x3fb8aa3b, v52
	v_exp_f32_e32 v55, v52
	v_sub_f32_e32 v52, v53, v50
	v_mul_f32_e32 v52, 0x3fb8aa3b, v52
	v_exp_f32_e32 v61, v52
	;; [unrolled: 3-line block ×3, first 2 shown]
	ds_read2_b32 v[52:53], v51 offset0:96 offset1:112
	v_sub_f32_e32 v51, v59, v50
	v_mul_f32_e32 v51, 0x3fb8aa3b, v51
	v_exp_f32_e32 v59, v51
	s_waitcnt lgkmcnt(1)
	v_fma_f32 v51, v55, v62, 0
	v_fmac_f32_e32 v51, v61, v63
	s_waitcnt lgkmcnt(0)
	v_fmac_f32_e32 v51, v58, v52
	v_fmac_f32_e32 v51, v59, v53
	v_add_f32_e32 v52, 0x358637bd, v51
	v_div_scale_f32 v53, s[4:5], v52, v52, 1.0
	v_rcp_f32_e32 v62, v53
	s_barrier
	v_fma_f32 v63, -v53, v62, 1.0
	v_fmac_f32_e32 v62, v63, v62
	v_div_scale_f32 v63, vcc, 1.0, v52, 1.0
	v_mul_f32_e32 v64, v63, v62
	v_fma_f32 v65, -v53, v64, v63
	v_fmac_f32_e32 v64, v65, v62
	v_fma_f32 v53, -v53, v64, v63
	v_div_fmas_f32 v53, v53, v62, v64
	v_cmp_eq_u32_e32 vcc, 1, v57
	v_div_fixup_f32 v52, v53, v52, 1.0
	s_nop 0
	v_cndmask_b32_e32 v53, v55, v61, vcc
	v_cmp_eq_u32_e32 vcc, 2, v57
	s_nop 1
	v_cndmask_b32_e32 v53, v53, v58, vcc
	v_cmp_eq_u32_e32 vcc, 3, v57
	s_nop 1
	v_cndmask_b32_e32 v53, v53, v59, vcc
	v_mul_f32_e32 v52, v53, v52
	v_pk_mul_f32 v[46:47], v[52:53], v[46:47] op_sel_hi:[0,1]
	v_pk_mul_f32 v[36:37], v[52:53], v[36:37] op_sel_hi:[0,1]
	v_cvt_f16_f32_e32 v53, v46
	v_cvt_f16_f32_e32 v36, v36
	;; [unrolled: 1-line block ×4, first 2 shown]
	v_pk_mul_f32 v[48:49], v[52:53], v[48:49] op_sel_hi:[0,1]
	v_pk_mul_f32 v[38:39], v[52:53], v[38:39] op_sel_hi:[0,1]
	v_cvt_f16_f32_e32 v38, v38
	v_cvt_f16_f32_e32 v39, v39
	v_cvt_f16_f32_e32 v48, v48
	v_cvt_f16_f32_e32 v49, v49
	v_pack_b32_f16 v46, v36, v37
	v_pack_b32_f16 v47, v53, v47
	v_lshlrev_b32_e32 v37, 3, v60
	v_lshlrev_b32_e32 v36, 5, v56
	;; [unrolled: 1-line block ×3, first 2 shown]
	v_or3_b32 v55, v53, v36, v37
	v_pack_b32_f16 v38, v38, v39
	v_pack_b32_f16 v39, v48, v49
	ds_write2st64_b64 v55, v[46:47], v[38:39] offset1:1
	v_pk_mul_f32 v[38:39], v[52:53], v[44:45] op_sel_hi:[0,1]
	v_pk_mul_f32 v[42:43], v[52:53], v[42:43] op_sel_hi:[0,1]
	v_cvt_f16_f32_e32 v37, v42
	v_cvt_f16_f32_e32 v42, v43
	v_cvt_f16_f32_e32 v43, v38
	v_cvt_f16_f32_e32 v44, v39
	v_pk_mul_f32 v[34:35], v[52:53], v[34:35] op_sel_hi:[0,1]
	v_pk_mul_f32 v[38:39], v[52:53], v[40:41] op_sel_hi:[0,1]
	v_cvt_f16_f32_e32 v38, v38
	v_cvt_f16_f32_e32 v39, v39
	;; [unrolled: 1-line block ×4, first 2 shown]
	v_pack_b32_f16 v34, v37, v42
	v_pack_b32_f16 v35, v43, v44
	;; [unrolled: 1-line block ×4, first 2 shown]
	v_cmp_gt_u32_e32 vcc, 7, v0
	ds_write2st64_b64 v55, v[34:35], v[38:39] offset0:2 offset1:3
	s_and_saveexec_b64 s[4:5], vcc
	s_cbranch_execz .LBB1074_15
; %bb.14:
	s_mov_b32 s49, 0
	v_mov_b32_e32 v57, 0
	v_lshl_add_u64 v[34:35], s[48:49], 0, v[56:57]
	v_mov_b32_e32 v37, s7
	v_mad_u64_u32 v[34:35], s[12:13], s2, v37, v[34:35]
	s_mul_i32 s3, s3, s7
	v_mov_b32_e32 v38, s22
	v_mov_b32_e32 v39, v57
	s_load_dwordx4 s[8:11], s[0:1], 0x58
	v_add_u32_e32 v37, s3, v35
	v_mad_u64_u32 v[34:35], s[12:13], v34, s6, v[38:39]
	v_mov_b32_e32 v38, v35
	v_mad_u64_u32 v[38:39], s[12:13], v37, s6, v[38:39]
	v_mov_b32_e32 v35, v38
	v_lshlrev_b64 v[34:35], 2, v[34:35]
	s_waitcnt lgkmcnt(0)
	v_lshl_add_u64 v[38:39], s[10:11], 0, v[34:35]
	v_lshl_add_u64 v[34:35], s[8:9], 0, v[34:35]
	global_store_dword v[38:39], v50, off
	global_store_dword v[34:35], v51, off
.LBB1074_15:
	s_or_b64 exec, exec, s[4:5]
	s_waitcnt vmcnt(7)
	v_cvt_pk_f32_fp8_e32 v[34:35], v30
	v_lshl_or_b32 v50, v60, 9, v36
	v_cvt_pk_f32_fp8_sdwa v[36:37], v30 src0_sel:WORD_1
	s_waitcnt lgkmcnt(0)
	s_barrier
	v_cvt_pk_f32_fp8_e32 v[38:39], v31
	v_cvt_pkrtz_f16_f32 v30, v34, v35
	v_cvt_pk_f32_fp8_sdwa v[40:41], v31 src0_sel:WORD_1
	v_cvt_pkrtz_f16_f32 v31, v36, v37
	ds_read_b128 v[34:37], v50
	v_cvt_pkrtz_f16_f32 v46, v38, v39
	v_cvt_pkrtz_f16_f32 v47, v40, v41
	ds_read_b128 v[38:41], v50 offset:16
	v_cvt_pk_f32_fp8_e32 v[48:49], v32
	v_cvt_pk_f32_fp8_sdwa v[52:53], v32 src0_sel:WORD_1
	s_waitcnt lgkmcnt(1)
	v_mfma_f32_16x16x16_f16 v[42:45], v[30:31], v[34:35], 0
	s_waitcnt vmcnt(6)
	v_cvt_pk_f32_fp8_e32 v[58:59], v24
	v_cvt_pkrtz_f16_f32 v30, v48, v49
	v_cvt_pkrtz_f16_f32 v31, v52, v53
	v_cvt_pk_f32_fp8_e32 v[48:49], v33
	v_mfma_f32_16x16x16_f16 v[42:45], v[46:47], v[36:37], v[42:45]
	v_cvt_pk_f32_fp8_sdwa v[46:47], v33 src0_sel:WORD_1
	v_cvt_pk_f32_fp8_sdwa v[62:63], v24 src0_sel:WORD_1
	v_cvt_pkrtz_f16_f32 v48, v48, v49
	s_waitcnt lgkmcnt(0)
	v_mfma_f32_16x16x16_f16 v[30:33], v[30:31], v[38:39], v[42:45]
	v_cvt_pkrtz_f16_f32 v49, v46, v47
	s_waitcnt vmcnt(5)
	v_cvt_pk_f32_fp8_sdwa v[66:67], v12 src0_sel:WORD_1
	s_waitcnt vmcnt(4)
	v_cvt_pk_f32_fp8_sdwa v[68:69], v4 src0_sel:WORD_1
	v_cvt_pk_f32_fp8_e32 v[42:43], v22
	v_mfma_f32_16x16x16_f16 v[46:49], v[48:49], v[40:41], v[30:33]
	s_waitcnt vmcnt(3)
	v_cvt_pk_f32_fp8_sdwa v[70:71], v28 src0_sel:WORD_1
	s_load_dword s4, s[42:43], 0x0
	v_cvt_pk_f32_fp8_sdwa v[30:31], v22 src0_sel:WORD_1
	v_cvt_pk_f32_fp8_e32 v[32:33], v23
	v_cvt_pkrtz_f16_f32 v22, v42, v43
	v_cvt_pk_f32_fp8_sdwa v[42:43], v23 src0_sel:WORD_1
	v_cvt_pkrtz_f16_f32 v23, v30, v31
	v_cvt_pkrtz_f16_f32 v52, v32, v33
	ds_read_b128 v[30:33], v50 offset:2048
	v_cvt_pkrtz_f16_f32 v53, v42, v43
	ds_read_b128 v[42:45], v50 offset:2064
	s_waitcnt lgkmcnt(0)
	v_mfma_f32_16x16x16_f16 v[46:49], v[22:23], v[30:31], v[46:49]
	v_cvt_pkrtz_f16_f32 v22, v58, v59
	v_cvt_pkrtz_f16_f32 v23, v62, v63
	v_cvt_pk_f32_fp8_e32 v[58:59], v25
	v_mfma_f32_16x16x16_f16 v[46:49], v[52:53], v[32:33], v[46:49]
	v_cvt_pk_f32_fp8_sdwa v[52:53], v25 src0_sel:WORD_1
	s_mov_b32 s3, 0
	v_cvt_pkrtz_f16_f32 v58, v58, v59
	v_mfma_f32_16x16x16_f16 v[22:25], v[22:23], v[42:43], v[46:49]
	v_cvt_pkrtz_f16_f32 v59, v52, v53
	v_cmp_gt_u32_e32 vcc, 64, v0
	s_nop 0
	v_cvt_pk_f32_fp8_e32 v[46:47], v10
	v_mfma_f32_16x16x16_f16 v[62:65], v[58:59], v[44:45], v[22:25]
	v_cvt_pk_f32_fp8_e32 v[58:59], v12
	s_nop 1
	v_cvt_pk_f32_fp8_sdwa v[22:23], v10 src0_sel:WORD_1
	v_cvt_pk_f32_fp8_e32 v[24:25], v11
	v_cvt_pkrtz_f16_f32 v10, v46, v47
	v_cvt_pk_f32_fp8_sdwa v[46:47], v11 src0_sel:WORD_1
	v_cvt_pkrtz_f16_f32 v11, v22, v23
	v_cvt_pkrtz_f16_f32 v52, v24, v25
	ds_read_b128 v[22:25], v50 offset:4096
	v_cvt_pkrtz_f16_f32 v53, v46, v47
	ds_read_b128 v[46:49], v50 offset:4112
	s_waitcnt lgkmcnt(1)
	v_mfma_f32_16x16x16_f16 v[62:65], v[10:11], v[22:23], v[62:65]
	v_cvt_pkrtz_f16_f32 v10, v58, v59
	v_cvt_pkrtz_f16_f32 v11, v66, v67
	v_cvt_pk_f32_fp8_e32 v[58:59], v13
	v_mfma_f32_16x16x16_f16 v[62:65], v[52:53], v[24:25], v[62:65]
	v_cvt_pk_f32_fp8_sdwa v[52:53], v13 src0_sel:WORD_1
	v_cvt_pk_f32_fp8_e32 v[66:67], v4
	v_cvt_pkrtz_f16_f32 v58, v58, v59
	s_waitcnt lgkmcnt(0)
	v_mfma_f32_16x16x16_f16 v[10:13], v[10:11], v[46:47], v[62:65]
	v_cvt_pkrtz_f16_f32 v59, v52, v53
	v_cvt_pk_f32_fp8_e32 v[52:53], v2
	s_nop 0
	v_mfma_f32_16x16x16_f16 v[62:65], v[58:59], v[48:49], v[10:13]
	s_nop 2
	v_cvt_pk_f32_fp8_sdwa v[10:11], v2 src0_sel:WORD_1
	v_cvt_pk_f32_fp8_e32 v[12:13], v3
	v_cvt_pkrtz_f16_f32 v2, v52, v53
	v_cvt_pk_f32_fp8_sdwa v[52:53], v3 src0_sel:WORD_1
	v_cvt_pkrtz_f16_f32 v3, v10, v11
	v_cvt_pkrtz_f16_f32 v58, v12, v13
	ds_read_b128 v[10:13], v50 offset:6144
	v_cvt_pkrtz_f16_f32 v59, v52, v53
	s_waitcnt lgkmcnt(0)
	v_mfma_f32_16x16x16_f16 v[62:65], v[2:3], v[10:11], v[62:65]
	ds_read_b128 v[50:53], v50 offset:6160
	v_cvt_pkrtz_f16_f32 v2, v66, v67
	v_cvt_pkrtz_f16_f32 v3, v68, v69
	v_cvt_pk_f32_fp8_e32 v[66:67], v5
	v_mfma_f32_16x16x16_f16 v[62:65], v[58:59], v[12:13], v[62:65]
	v_cvt_pk_f32_fp8_sdwa v[58:59], v5 src0_sel:WORD_1
	v_cvt_pk_f32_fp8_e32 v[68:69], v28
	v_cvt_pkrtz_f16_f32 v66, v66, v67
	s_waitcnt lgkmcnt(0)
	v_mfma_f32_16x16x16_f16 v[2:5], v[2:3], v[50:51], v[62:65]
	v_cvt_pkrtz_f16_f32 v67, v58, v59
	v_cvt_pk_f32_fp8_e32 v[58:59], v26
	s_nop 0
	v_cvt_pk_f32_fp8_sdwa v[62:63], v26 src0_sel:WORD_1
	v_cvt_pk_f32_fp8_e32 v[64:65], v27
	v_cvt_pkrtz_f16_f32 v58, v58, v59
	v_cvt_pk_f32_fp8_sdwa v[26:27], v27 src0_sel:WORD_1
	v_cvt_pkrtz_f16_f32 v59, v62, v63
	v_mfma_f32_16x16x16_f16 v[2:5], v[66:67], v[52:53], v[2:5]
	v_cvt_pkrtz_f16_f32 v66, v64, v65
	v_cvt_pkrtz_f16_f32 v67, v26, v27
	;; [unrolled: 1-line block ×3, first 2 shown]
	v_mfma_f32_16x16x16_f16 v[62:65], v[58:59], v[34:35], 0
	v_cvt_pkrtz_f16_f32 v27, v70, v71
	v_cvt_pk_f32_fp8_e32 v[58:59], v29
	s_barrier
	v_mfma_f32_16x16x16_f16 v[34:37], v[66:67], v[36:37], v[62:65]
	v_cvt_pkrtz_f16_f32 v58, v58, v59
	s_nop 1
	v_cvt_pk_f32_fp8_sdwa v[62:63], v29 src0_sel:WORD_1
	v_mfma_f32_16x16x16_f16 v[26:29], v[26:27], v[38:39], v[34:37]
	s_waitcnt vmcnt(2)
	v_cvt_pk_f32_fp8_e32 v[38:39], v19
	v_cvt_pkrtz_f16_f32 v59, v62, v63
	v_cvt_pk_f32_fp8_e32 v[34:35], v18
	v_cvt_pk_f32_fp8_sdwa v[36:37], v18 src0_sel:WORD_1
	v_cvt_pk_f32_fp8_sdwa v[18:19], v19 src0_sel:WORD_1
	v_mfma_f32_16x16x16_f16 v[26:29], v[58:59], v[40:41], v[26:29]
	v_cvt_pkrtz_f16_f32 v34, v34, v35
	v_cvt_pkrtz_f16_f32 v35, v36, v37
	;; [unrolled: 1-line block ×3, first 2 shown]
	v_cvt_pk_f32_fp8_e32 v[38:39], v20
	v_cvt_pk_f32_fp8_sdwa v[40:41], v20 src0_sel:WORD_1
	v_cvt_pkrtz_f16_f32 v37, v18, v19
	v_mfma_f32_16x16x16_f16 v[26:29], v[34:35], v[30:31], v[26:29]
	v_cvt_pkrtz_f16_f32 v30, v38, v39
	v_cvt_pkrtz_f16_f32 v31, v40, v41
	v_cvt_pk_f32_fp8_e32 v[34:35], v21
	v_cvt_pk_f32_fp8_sdwa v[38:39], v21 src0_sel:WORD_1
	v_mfma_f32_16x16x16_f16 v[18:21], v[36:37], v[32:33], v[26:29]
	s_waitcnt vmcnt(1)
	v_cvt_pk_f32_fp8_sdwa v[32:33], v16 src0_sel:WORD_1
	s_nop 0
	v_cvt_pkrtz_f16_f32 v26, v34, v35
	v_cvt_pkrtz_f16_f32 v27, v38, v39
	v_mfma_f32_16x16x16_f16 v[18:21], v[30:31], v[42:43], v[18:21]
	v_cvt_pk_f32_fp8_e32 v[28:29], v14
	v_cvt_pk_f32_fp8_sdwa v[30:31], v14 src0_sel:WORD_1
	v_cvt_pkrtz_f16_f32 v28, v28, v29
	v_mfma_f32_16x16x16_f16 v[18:21], v[26:27], v[44:45], v[18:21]
	v_cvt_pk_f32_fp8_e32 v[26:27], v15
	v_cvt_pkrtz_f16_f32 v29, v30, v31
	v_cvt_pk_f32_fp8_sdwa v[14:15], v15 src0_sel:WORD_1
	v_cvt_pk_f32_fp8_e32 v[30:31], v16
	v_cvt_pkrtz_f16_f32 v26, v26, v27
	v_mfma_f32_16x16x16_f16 v[18:21], v[28:29], v[22:23], v[18:21]
	v_cvt_pkrtz_f16_f32 v27, v14, v15
	v_cvt_pkrtz_f16_f32 v22, v30, v31
	;; [unrolled: 1-line block ×3, first 2 shown]
	v_cvt_pk_f32_fp8_e32 v[28:29], v17
	v_cvt_pk_f32_fp8_sdwa v[30:31], v17 src0_sel:WORD_1
	v_mfma_f32_16x16x16_f16 v[14:17], v[26:27], v[24:25], v[18:21]
	s_waitcnt vmcnt(0)
	v_cvt_pk_f32_fp8_sdwa v[24:25], v6 src0_sel:WORD_1
	s_nop 0
	v_pk_mul_f32 v[18:19], v[4:5], s[4:5] op_sel_hi:[1,0]
	v_cvt_pkrtz_f16_f32 v4, v28, v29
	v_cvt_pkrtz_f16_f32 v5, v30, v31
	v_mfma_f32_16x16x16_f16 v[14:17], v[22:23], v[46:47], v[14:17]
	v_cvt_pk_f32_fp8_e32 v[22:23], v6
	v_pk_mul_f32 v[20:21], v[2:3], s[4:5] op_sel_hi:[1,0]
	v_mfma_f32_16x16x16_f16 v[2:5], v[4:5], v[48:49], v[14:17]
	s_nop 3
	v_cvt_pk_f32_fp8_e32 v[14:15], v7
	v_cvt_pkrtz_f16_f32 v16, v22, v23
	v_cvt_pkrtz_f16_f32 v17, v24, v25
	v_cvt_pk_f32_fp8_sdwa v[6:7], v7 src0_sel:WORD_1
	v_cvt_pkrtz_f16_f32 v14, v14, v15
	v_cvt_pk_f32_fp8_e32 v[22:23], v8
	v_cvt_pk_f32_fp8_sdwa v[24:25], v8 src0_sel:WORD_1
	v_cvt_pkrtz_f16_f32 v15, v6, v7
	v_mfma_f32_16x16x16_f16 v[2:5], v[16:17], v[10:11], v[2:5]
	v_cvt_pkrtz_f16_f32 v6, v22, v23
	v_cvt_pkrtz_f16_f32 v7, v24, v25
	v_cvt_pk_f32_fp8_e32 v[10:11], v9
	v_cvt_pk_f32_fp8_sdwa v[8:9], v9 src0_sel:WORD_1
	v_mfma_f32_16x16x16_f16 v[2:5], v[14:15], v[12:13], v[2:5]
	v_cvt_f16_f32_e32 v12, v20
	v_cvt_pkrtz_f16_f32 v10, v10, v11
	v_cvt_pkrtz_f16_f32 v11, v8, v9
	v_mfma_f32_16x16x16_f16 v[2:5], v[6:7], v[50:51], v[2:5]
	v_cvt_f16_f32_e32 v6, v21
	v_cvt_f16_f32_e32 v7, v18
	;; [unrolled: 1-line block ×3, first 2 shown]
	v_mfma_f32_16x16x16_f16 v[2:5], v[10:11], v[52:53], v[2:5]
	s_nop 6
	v_pk_mul_f32 v[4:5], v[4:5], s[4:5] op_sel_hi:[1,0]
	v_pk_mul_f32 v[2:3], v[2:3], s[4:5] op_sel_hi:[1,0]
	v_cvt_f16_f32_e32 v11, v4
	v_cvt_f16_f32_e32 v9, v2
	;; [unrolled: 1-line block ×4, first 2 shown]
	v_pack_b32_f16 v2, v12, v6
	v_pack_b32_f16 v3, v7, v8
	;; [unrolled: 1-line block ×4, first 2 shown]
	ds_write2st64_b64 v55, v[2:3], v[4:5] offset1:1
	s_waitcnt lgkmcnt(0)
	s_barrier
	s_and_saveexec_b64 s[4:5], vcc
	s_cbranch_execz .LBB1074_18
; %bb.16:
	s_load_dwordx2 s[4:5], s[0:1], 0x68
	s_lshl_b32 s0, s6, 7
	s_mul_i32 s1, s7, s2
	v_lshlrev_b32_e32 v3, 6, v56
	s_mul_hi_u32 s7, s1, s0
	s_mul_i32 s6, s1, s0
	v_lshl_or_b32 v0, v0, 10, v3
	s_lshl_b64 s[6:7], s[6:7], 1
	v_lshlrev_b32_e32 v2, 5, v60
	v_and_b32_e32 v1, 16, v1
	v_and_b32_e32 v0, 0x1a00, v0
	s_waitcnt lgkmcnt(0)
	s_add_u32 s1, s4, s6
	v_or3_b32 v2, v0, v2, v1
	s_addc_u32 s4, s5, s7
	s_lshl_b32 s2, s22, 7
	s_lshl_b64 s[2:3], s[2:3], 1
	ds_read_b128 v[4:7], v2
	s_add_u32 s2, s1, s2
	s_addc_u32 s3, s4, s3
	v_mov_b32_e32 v55, 0
	v_add_u32_e32 v3, s48, v60
	v_lshl_add_u64 v[0:1], s[2:3], 0, v[54:55]
	v_mad_u64_u32 v[8:9], s[2:3], v3, s0, 0
	v_lshl_add_u64 v[8:9], v[8:9], 1, v[0:1]
	v_cmp_ne_u32_e32 vcc, 3, v60
	s_waitcnt lgkmcnt(0)
	global_store_dwordx4 v[8:9], v[4:7], off
	s_and_b64 exec, exec, vcc
	s_cbranch_execz .LBB1074_18
; %bb.17:
	ds_read_b128 v[2:5], v2 offset:128
	v_add3_u32 v6, s48, v60, 4
	v_mad_u64_u32 v[6:7], s[0:1], v6, s0, 0
	v_lshl_add_u64 v[0:1], v[6:7], 1, v[0:1]
	s_waitcnt lgkmcnt(0)
	global_store_dwordx4 v[0:1], v[2:5], off
.LBB1074_18:
	s_endpgm
	.section	.rodata,"a",@progbits
	.p2align	6, 0x0
	.amdhsa_kernel _Z39paged_attention_ll4mi_QKV_mfma16_kernelIDF16_hLN4vllm18Fp8KVCacheDataTypeE1EDF16_Li32ELi128ELi256ELb0ELi7EEvPKT_PKT0_S7_ifPKiS9_S9_iPKfiiiPfSC_PS2_PT2_iSB_SB_
		.amdhsa_group_segment_fixed_size 8192
		.amdhsa_private_segment_fixed_size 0
		.amdhsa_kernarg_size 400
		.amdhsa_user_sgpr_count 2
		.amdhsa_user_sgpr_dispatch_ptr 0
		.amdhsa_user_sgpr_queue_ptr 0
		.amdhsa_user_sgpr_kernarg_segment_ptr 1
		.amdhsa_user_sgpr_dispatch_id 0
		.amdhsa_user_sgpr_kernarg_preload_length 0
		.amdhsa_user_sgpr_kernarg_preload_offset 0
		.amdhsa_user_sgpr_private_segment_size 0
		.amdhsa_uses_dynamic_stack 0
		.amdhsa_enable_private_segment 0
		.amdhsa_system_sgpr_workgroup_id_x 1
		.amdhsa_system_sgpr_workgroup_id_y 1
		.amdhsa_system_sgpr_workgroup_id_z 1
		.amdhsa_system_sgpr_workgroup_info 0
		.amdhsa_system_vgpr_workitem_id 0
		.amdhsa_next_free_vgpr 80
		.amdhsa_next_free_sgpr 50
		.amdhsa_accum_offset 80
		.amdhsa_reserve_vcc 1
		.amdhsa_float_round_mode_32 0
		.amdhsa_float_round_mode_16_64 0
		.amdhsa_float_denorm_mode_32 3
		.amdhsa_float_denorm_mode_16_64 3
		.amdhsa_dx10_clamp 1
		.amdhsa_ieee_mode 1
		.amdhsa_fp16_overflow 0
		.amdhsa_tg_split 0
		.amdhsa_exception_fp_ieee_invalid_op 0
		.amdhsa_exception_fp_denorm_src 0
		.amdhsa_exception_fp_ieee_div_zero 0
		.amdhsa_exception_fp_ieee_overflow 0
		.amdhsa_exception_fp_ieee_underflow 0
		.amdhsa_exception_fp_ieee_inexact 0
		.amdhsa_exception_int_div_zero 0
	.end_amdhsa_kernel
	.section	.text._Z39paged_attention_ll4mi_QKV_mfma16_kernelIDF16_hLN4vllm18Fp8KVCacheDataTypeE1EDF16_Li32ELi128ELi256ELb0ELi7EEvPKT_PKT0_S7_ifPKiS9_S9_iPKfiiiPfSC_PS2_PT2_iSB_SB_,"axG",@progbits,_Z39paged_attention_ll4mi_QKV_mfma16_kernelIDF16_hLN4vllm18Fp8KVCacheDataTypeE1EDF16_Li32ELi128ELi256ELb0ELi7EEvPKT_PKT0_S7_ifPKiS9_S9_iPKfiiiPfSC_PS2_PT2_iSB_SB_,comdat
.Lfunc_end1074:
	.size	_Z39paged_attention_ll4mi_QKV_mfma16_kernelIDF16_hLN4vllm18Fp8KVCacheDataTypeE1EDF16_Li32ELi128ELi256ELb0ELi7EEvPKT_PKT0_S7_ifPKiS9_S9_iPKfiiiPfSC_PS2_PT2_iSB_SB_, .Lfunc_end1074-_Z39paged_attention_ll4mi_QKV_mfma16_kernelIDF16_hLN4vllm18Fp8KVCacheDataTypeE1EDF16_Li32ELi128ELi256ELb0ELi7EEvPKT_PKT0_S7_ifPKiS9_S9_iPKfiiiPfSC_PS2_PT2_iSB_SB_
                                        ; -- End function
	.section	.AMDGPU.csdata,"",@progbits
; Kernel info:
; codeLenInByte = 6080
; NumSgprs: 56
; NumVgprs: 80
; NumAgprs: 0
; TotalNumVgprs: 80
; ScratchSize: 0
; MemoryBound: 0
; FloatMode: 240
; IeeeMode: 1
; LDSByteSize: 8192 bytes/workgroup (compile time only)
; SGPRBlocks: 6
; VGPRBlocks: 9
; NumSGPRsForWavesPerEU: 56
; NumVGPRsForWavesPerEU: 80
; AccumOffset: 80
; Occupancy: 6
; WaveLimiterHint : 1
; COMPUTE_PGM_RSRC2:SCRATCH_EN: 0
; COMPUTE_PGM_RSRC2:USER_SGPR: 2
; COMPUTE_PGM_RSRC2:TRAP_HANDLER: 0
; COMPUTE_PGM_RSRC2:TGID_X_EN: 1
; COMPUTE_PGM_RSRC2:TGID_Y_EN: 1
; COMPUTE_PGM_RSRC2:TGID_Z_EN: 1
; COMPUTE_PGM_RSRC2:TIDIG_COMP_CNT: 0
; COMPUTE_PGM_RSRC3_GFX90A:ACCUM_OFFSET: 19
; COMPUTE_PGM_RSRC3_GFX90A:TG_SPLIT: 0
	.section	.text._Z39paged_attention_ll4mi_QKV_mfma16_kernelIDF16_hLN4vllm18Fp8KVCacheDataTypeE1EDF16_Li32ELi128ELi256ELb0ELi8EEvPKT_PKT0_S7_ifPKiS9_S9_iPKfiiiPfSC_PS2_PT2_iSB_SB_,"axG",@progbits,_Z39paged_attention_ll4mi_QKV_mfma16_kernelIDF16_hLN4vllm18Fp8KVCacheDataTypeE1EDF16_Li32ELi128ELi256ELb0ELi8EEvPKT_PKT0_S7_ifPKiS9_S9_iPKfiiiPfSC_PS2_PT2_iSB_SB_,comdat
	.protected	_Z39paged_attention_ll4mi_QKV_mfma16_kernelIDF16_hLN4vllm18Fp8KVCacheDataTypeE1EDF16_Li32ELi128ELi256ELb0ELi8EEvPKT_PKT0_S7_ifPKiS9_S9_iPKfiiiPfSC_PS2_PT2_iSB_SB_ ; -- Begin function _Z39paged_attention_ll4mi_QKV_mfma16_kernelIDF16_hLN4vllm18Fp8KVCacheDataTypeE1EDF16_Li32ELi128ELi256ELb0ELi8EEvPKT_PKT0_S7_ifPKiS9_S9_iPKfiiiPfSC_PS2_PT2_iSB_SB_
	.globl	_Z39paged_attention_ll4mi_QKV_mfma16_kernelIDF16_hLN4vllm18Fp8KVCacheDataTypeE1EDF16_Li32ELi128ELi256ELb0ELi8EEvPKT_PKT0_S7_ifPKiS9_S9_iPKfiiiPfSC_PS2_PT2_iSB_SB_
	.p2align	8
	.type	_Z39paged_attention_ll4mi_QKV_mfma16_kernelIDF16_hLN4vllm18Fp8KVCacheDataTypeE1EDF16_Li32ELi128ELi256ELb0ELi8EEvPKT_PKT0_S7_ifPKiS9_S9_iPKfiiiPfSC_PS2_PT2_iSB_SB_,@function
_Z39paged_attention_ll4mi_QKV_mfma16_kernelIDF16_hLN4vllm18Fp8KVCacheDataTypeE1EDF16_Li32ELi128ELi256ELb0ELi8EEvPKT_PKT0_S7_ifPKiS9_S9_iPKfiiiPfSC_PS2_PT2_iSB_SB_: ; @_Z39paged_attention_ll4mi_QKV_mfma16_kernelIDF16_hLN4vllm18Fp8KVCacheDataTypeE1EDF16_Li32ELi128ELi256ELb0ELi8EEvPKT_PKT0_S7_ifPKiS9_S9_iPKfiiiPfSC_PS2_PT2_iSB_SB_
; %bb.0:
	s_load_dwordx2 s[12:13], s[0:1], 0x30
	s_mov_b32 s22, s3
	s_mov_b64 s[6:7], 0
	s_waitcnt lgkmcnt(0)
	s_cmp_lg_u64 s[12:13], 0
	s_cselect_b64 s[14:15], -1, 0
	s_and_b64 vcc, exec, s[14:15]
	s_cbranch_vccz .LBB1075_7
; %bb.1:
	s_add_i32 s8, s2, 1
	s_mov_b32 s9, 0
	s_lshl_b64 s[10:11], s[8:9], 2
	s_add_u32 s10, s12, s10
	s_mov_b32 s3, s9
	s_addc_u32 s11, s13, s11
	s_lshl_b64 s[8:9], s[2:3], 2
	s_add_u32 s8, s12, s8
	s_addc_u32 s9, s13, s9
	s_load_dword s5, s[10:11], 0x0
	s_load_dword s16, s[8:9], 0x0
	s_waitcnt lgkmcnt(0)
	s_sub_i32 s5, s5, s16
	s_cmp_eq_u32 s5, 1
	s_cselect_b64 s[8:9], -1, 0
	s_andn2_b64 vcc, exec, s[6:7]
	s_cbranch_vccnz .LBB1075_3
.LBB1075_2:
	s_mov_b32 s3, 0
	s_mov_b64 s[8:9], -1
.LBB1075_3:
	s_andn2_b64 vcc, exec, s[8:9]
	s_cbranch_vccnz .LBB1075_17
; %bb.4:
	s_load_dwordx2 s[6:7], s[0:1], 0x28
	s_lshl_b64 s[16:17], s[2:3], 2
	s_waitcnt lgkmcnt(0)
	s_add_u32 s6, s6, s16
	s_addc_u32 s7, s7, s17
	s_load_dword s38, s[6:7], 0x0
	s_lshl_b32 s18, s22, 8
	s_waitcnt lgkmcnt(0)
	s_cmp_ge_i32 s18, s38
	s_cbranch_scc1 .LBB1075_17
; %bb.5:
	s_load_dwordx2 s[6:7], s[0:1], 0x20
	s_load_dword s8, s[0:1], 0x38
	s_add_i32 s5, s38, 31
	s_ashr_i32 s9, s5, 31
	v_and_b32_e32 v1, 0xcf, v0
	s_lshr_b32 s9, s9, 27
	v_add_u32_e32 v1, s18, v1
	s_add_i32 s5, s5, s9
	v_ashrrev_i32_e32 v2, 31, v1
	s_ashr_i32 s5, s5, 5
	v_lshrrev_b32_e32 v10, 27, v2
	s_add_i32 s5, s5, -1
	s_waitcnt lgkmcnt(0)
	s_mul_i32 s8, s2, s8
	s_mov_b32 s9, 0
	v_add_u32_e32 v2, v1, v10
	s_lshl_b64 s[8:9], s[8:9], 2
	v_ashrrev_i32_e32 v2, 5, v2
	v_mov_b32_e32 v11, s5
	v_cmp_gt_i32_e32 vcc, s38, v1
	s_add_u32 s6, s6, s8
	s_addc_u32 s7, s7, s9
	v_cndmask_b32_e32 v2, v11, v2, vcc
	v_ashrrev_i32_e32 v3, 31, v2
	v_lshl_add_u64 v[4:5], v[2:3], 2, s[6:7]
	v_or_b32_e32 v2, 16, v1
	v_add_u32_e32 v3, v2, v10
	v_ashrrev_i32_e32 v3, 5, v3
	v_cmp_gt_i32_e32 vcc, s38, v2
	s_load_dwordx4 s[8:11], s[0:1], 0x8
	s_nop 0
	v_cndmask_b32_e32 v2, v11, v3, vcc
	v_ashrrev_i32_e32 v3, 31, v2
	v_lshl_add_u64 v[6:7], v[2:3], 2, s[6:7]
	v_or_b32_e32 v2, 32, v1
	v_add_u32_e32 v3, v2, v10
	v_ashrrev_i32_e32 v3, 5, v3
	v_cmp_gt_i32_e32 vcc, s38, v2
	v_or_b32_e32 v1, 48, v1
	s_nop 0
	v_cndmask_b32_e32 v2, v11, v3, vcc
	v_ashrrev_i32_e32 v3, 31, v2
	v_lshl_add_u64 v[8:9], v[2:3], 2, s[6:7]
	v_add_u32_e32 v2, v1, v10
	v_ashrrev_i32_e32 v2, 5, v2
	v_cmp_gt_i32_e32 vcc, s38, v1
	s_nop 1
	v_cndmask_b32_e32 v2, v11, v2, vcc
	v_ashrrev_i32_e32 v3, 31, v2
	v_lshl_add_u64 v[10:11], v[2:3], 2, s[6:7]
	global_load_dword v2, v[4:5], off
	global_load_dword v32, v[6:7], off
	;; [unrolled: 1-line block ×4, first 2 shown]
	s_andn2_b64 vcc, exec, s[14:15]
	s_cbranch_vccnz .LBB1075_8
; %bb.6:
	s_add_u32 s12, s12, s16
	s_addc_u32 s13, s13, s17
	s_load_dword s14, s[12:13], 0x0
	s_branch .LBB1075_9
.LBB1075_7:
	s_mov_b64 s[8:9], 0
	s_branch .LBB1075_2
.LBB1075_8:
	s_mov_b32 s14, s2
.LBB1075_9:
	s_load_dwordx4 s[44:47], s[0:1], 0x48
	v_and_b32_e32 v60, 15, v0
	v_lshlrev_b32_e32 v3, 3, v60
	s_movk_i32 s12, 0x80
	v_lshrrev_b32_e32 v62, 6, v0
	v_and_b32_e32 v63, 63, v0
	v_bfe_u32 v1, v0, 4, 2
	s_lshl_b32 s23, s4, 3
	v_cmp_gt_u32_e32 vcc, s12, v0
	v_lshlrev_b32_e32 v54, 1, v3
	v_lshlrev_b32_e32 v61, 4, v0
	s_and_saveexec_b64 s[12:13], vcc
	s_cbranch_execz .LBB1075_11
; %bb.10:
	s_load_dwordx2 s[16:17], s[0:1], 0x0
	s_waitcnt lgkmcnt(0)
	s_ashr_i32 s15, s44, 31
	s_mul_hi_u32 s19, s14, s44
	s_mul_i32 s15, s14, s15
	s_add_i32 s15, s19, s15
	s_mul_i32 s14, s14, s44
	v_lshl_or_b32 v3, v62, 2, v1
	s_lshl_b64 s[14:15], s[14:15], 1
	s_add_u32 s14, s16, s14
	v_add_lshl_u32 v4, v3, s23, 7
	s_addc_u32 s15, s17, s15
	v_ashrrev_i32_e32 v5, 31, v4
	v_lshl_add_u64 v[4:5], v[4:5], 1, s[14:15]
	v_mov_b32_e32 v55, 0
	v_lshl_add_u64 v[4:5], v[4:5], 0, v[54:55]
	global_load_dwordx4 v[4:7], v[4:5], off
	v_lshlrev_b32_e32 v9, 8, v0
	v_lshlrev_b32_e32 v8, 8, v60
	v_and_b32_e32 v9, 0x600, v9
	s_movk_i32 s14, 0x800
	v_and_or_b32 v8, v8, s14, v9
	v_lshlrev_b32_e32 v3, 5, v3
	v_and_b32_e32 v9, 16, v61
	v_or3_b32 v3, v8, v3, v9
	s_waitcnt vmcnt(0)
	ds_write_b128 v3, v[4:7]
.LBB1075_11:
	s_or_b64 exec, exec, s[12:13]
	s_waitcnt lgkmcnt(0)
	s_mul_i32 s12, s4, s46
	s_add_u32 s8, s8, s12
	s_addc_u32 s9, s9, 0
	v_mov_b32_e32 v57, 0
	v_mov_b64_e32 v[24:25], s[8:9]
	v_and_b32_e32 v8, 48, v0
	s_waitcnt vmcnt(3)
	v_mad_i64_i32 v[2:3], s[8:9], v2, s45, v[24:25]
	v_lshlrev_b32_e32 v22, 4, v60
	v_mov_b32_e32 v23, v57
	v_lshlrev_b32_e32 v56, 5, v8
	v_lshl_add_u64 v[2:3], v[2:3], 0, v[22:23]
	v_lshl_add_u64 v[6:7], v[2:3], 0, v[56:57]
	s_load_dword s33, s[0:1], 0x98
	s_load_dwordx4 s[40:43], s[0:1], 0x80
	s_waitcnt lgkmcnt(0)
	s_barrier
	global_load_dwordx4 v[10:13], v[6:7], off
	global_load_dwordx4 v[2:5], v[6:7], off offset:2048
	s_ashr_i32 s4, s18, 31
	v_and_b32_e32 v6, 7, v0
	v_mov_b32_e32 v38, s5
	v_or_b32_e32 v34, 0x100, v22
	v_mov_b32_e32 v35, v57
	s_lshr_b32 s9, s4, 27
	s_waitcnt vmcnt(4)
	v_mad_i64_i32 v[32:33], s[4:5], v32, s45, v[24:25]
	v_lshlrev_b32_e32 v6, 5, v6
	s_waitcnt vmcnt(3)
	v_mad_i64_i32 v[36:37], s[4:5], v30, s45, v[24:25]
	s_waitcnt vmcnt(2)
	v_mad_i64_i32 v[24:25], s[4:5], v31, s45, v[24:25]
	v_lshl_add_u64 v[30:31], v[32:33], 0, v[34:35]
	v_lshl_or_b32 v6, v1, 9, v6
	v_lshl_add_u64 v[30:31], v[30:31], 0, v[56:57]
	v_or_b32_e32 v39, s18, v8
	ds_read_b128 v[26:29], v6
	ds_read_b128 v[18:21], v6 offset:16
	ds_read_b128 v[14:17], v6 offset:2048
	;; [unrolled: 1-line block ×3, first 2 shown]
	global_load_dwordx4 v[50:53], v[30:31], off
	v_or_b32_e32 v40, 64, v39
	v_add_u32_e32 v32, s9, v39
	v_or_b32_e32 v41, 0x80, v39
	v_add_u32_e32 v33, s9, v40
	v_ashrrev_i32_e32 v32, 5, v32
	v_cmp_gt_i32_e32 vcc, s38, v39
	v_or_b32_e32 v42, 0xc0, v39
	v_add_u32_e32 v43, s9, v41
	v_ashrrev_i32_e32 v33, 5, v33
	v_cndmask_b32_e32 v46, v38, v32, vcc
	v_cmp_gt_i32_e32 vcc, s38, v40
	v_add_u32_e32 v44, s9, v42
	v_lshl_add_u64 v[22:23], v[36:37], 0, v[22:23]
	v_lshl_add_u64 v[24:25], v[24:25], 0, v[34:35]
	v_ashrrev_i32_e32 v43, 5, v43
	v_cndmask_b32_e32 v48, v38, v33, vcc
	v_cmp_gt_i32_e32 vcc, s38, v41
	v_ashrrev_i32_e32 v44, 5, v44
	v_lshl_add_u64 v[34:35], v[22:23], 0, v[56:57]
	v_lshl_add_u64 v[36:37], v[24:25], 0, v[56:57]
	v_cndmask_b32_e32 v58, v38, v43, vcc
	v_cmp_gt_i32_e32 vcc, s38, v42
	v_ashrrev_i32_e32 v47, 31, v46
	v_ashrrev_i32_e32 v49, 31, v48
	v_cndmask_b32_e32 v64, v38, v44, vcc
	global_load_dwordx4 v[30:33], v[30:31], off offset:2048
	s_nop 0
	global_load_dwordx4 v[22:25], v[34:35], off
	global_load_dwordx4 v[42:45], v[34:35], off offset:2048
	global_load_dwordx4 v[38:41], v[36:37], off
	s_nop 0
	global_load_dwordx4 v[34:37], v[36:37], off offset:2048
	v_ashrrev_i32_e32 v59, 31, v58
	v_ashrrev_i32_e32 v65, 31, v64
	v_lshl_add_u64 v[46:47], v[46:47], 2, s[6:7]
	v_lshl_add_u64 v[48:49], v[48:49], 2, s[6:7]
	;; [unrolled: 1-line block ×4, first 2 shown]
	global_load_dword v67, v[46:47], off
	global_load_dword v65, v[48:49], off
	;; [unrolled: 1-line block ×4, first 2 shown]
	s_add_u32 s4, s10, s12
	s_addc_u32 s5, s11, 0
	v_and_b32_e32 v56, 16, v0
	v_lshl_or_b32 v66, v62, 4, v60
	s_load_dword s8, s[0:1], 0x1c
	s_waitcnt vmcnt(11)
	v_cvt_pk_f32_fp8_e32 v[46:47], v10
	v_cvt_pk_f32_fp8_sdwa v[48:49], v10 src0_sel:WORD_1
	v_cvt_pk_f32_fp8_e32 v[58:59], v11
	v_cvt_pk_f32_fp8_sdwa v[10:11], v11 src0_sel:WORD_1
	v_cvt_pkrtz_f16_f32 v46, v46, v47
	v_cvt_pkrtz_f16_f32 v47, v48, v49
	v_cvt_pk_f32_fp8_e32 v[68:69], v12
	v_cvt_pk_f32_fp8_sdwa v[70:71], v12 src0_sel:WORD_1
	v_cvt_pkrtz_f16_f32 v58, v58, v59
	v_cvt_pkrtz_f16_f32 v59, v10, v11
	v_cvt_pk_f32_fp8_e32 v[48:49], v13
	v_cvt_pk_f32_fp8_sdwa v[72:73], v13 src0_sel:WORD_1
	s_waitcnt lgkmcnt(0)
	v_mfma_f32_16x16x16_f16 v[10:13], v[46:47], v[26:27], 0
	v_cvt_pkrtz_f16_f32 v68, v68, v69
	v_cvt_pkrtz_f16_f32 v69, v70, v71
	s_waitcnt vmcnt(10)
	v_cvt_pk_f32_fp8_e32 v[46:47], v2
	v_mfma_f32_16x16x16_f16 v[10:13], v[58:59], v[28:29], v[10:13]
	v_cvt_pk_f32_fp8_sdwa v[58:59], v2 src0_sel:WORD_1
	v_cvt_pkrtz_f16_f32 v48, v48, v49
	v_cvt_pkrtz_f16_f32 v49, v72, v73
	v_mfma_f32_16x16x16_f16 v[10:13], v[68:69], v[18:19], v[10:13]
	v_cvt_pk_f32_fp8_e32 v[68:69], v3
	v_cvt_pkrtz_f16_f32 v46, v46, v47
	v_cvt_pkrtz_f16_f32 v47, v58, v59
	v_cvt_pk_f32_fp8_sdwa v[2:3], v3 src0_sel:WORD_1
	v_mfma_f32_16x16x16_f16 v[10:13], v[48:49], v[20:21], v[10:13]
	v_cvt_pkrtz_f16_f32 v48, v68, v69
	v_cvt_pk_f32_fp8_e32 v[58:59], v4
	v_cvt_pk_f32_fp8_sdwa v[68:69], v4 src0_sel:WORD_1
	v_cvt_pkrtz_f16_f32 v49, v2, v3
	v_mfma_f32_16x16x16_f16 v[10:13], v[46:47], v[14:15], v[10:13]
	v_cvt_pkrtz_f16_f32 v46, v58, v59
	v_cvt_pkrtz_f16_f32 v47, v68, v69
	v_cvt_pk_f32_fp8_e32 v[58:59], v5
	v_cvt_pk_f32_fp8_sdwa v[68:69], v5 src0_sel:WORD_1
	v_mfma_f32_16x16x16_f16 v[2:5], v[48:49], v[16:17], v[10:13]
	s_waitcnt vmcnt(7)
	v_cvt_pk_f32_fp8_e32 v[72:73], v25
	s_nop 0
	v_cvt_pkrtz_f16_f32 v10, v58, v59
	v_cvt_pkrtz_f16_f32 v11, v68, v69
	v_mfma_f32_16x16x16_f16 v[2:5], v[46:47], v[6:7], v[2:5]
	v_cvt_pk_f32_fp8_e32 v[12:13], v50
	v_cvt_pk_f32_fp8_sdwa v[58:59], v50 src0_sel:WORD_1
	v_cvt_pk_f32_fp8_sdwa v[74:75], v25 src0_sel:WORD_1
	v_mfma_f32_16x16x16_f16 v[46:49], v[10:11], v[8:9], v[2:5]
	v_cvt_pk_f32_fp8_sdwa v[10:11], v51 src0_sel:WORD_1
	s_waitcnt vmcnt(6)
	v_cvt_pk_f32_fp8_sdwa v[78:79], v44 src0_sel:WORD_1
	v_cvt_pk_f32_fp8_e32 v[2:3], v51
	v_cvt_pkrtz_f16_f32 v4, v12, v13
	v_cvt_pkrtz_f16_f32 v5, v58, v59
	v_cvt_pk_f32_fp8_e32 v[50:51], v52
	v_cvt_pkrtz_f16_f32 v12, v2, v3
	v_cvt_pk_f32_fp8_sdwa v[58:59], v52 src0_sel:WORD_1
	v_cvt_pkrtz_f16_f32 v13, v10, v11
	v_mfma_f32_16x16x16_f16 v[2:5], v[4:5], v[26:27], 0
	v_cvt_pkrtz_f16_f32 v10, v50, v51
	v_cvt_pkrtz_f16_f32 v11, v58, v59
	v_cvt_pk_f32_fp8_e32 v[50:51], v53
	v_cvt_pk_f32_fp8_sdwa v[52:53], v53 src0_sel:WORD_1
	v_mfma_f32_16x16x16_f16 v[2:5], v[12:13], v[28:29], v[2:5]
	v_lshl_add_u64 v[58:59], s[4:5], 0, v[56:57]
	v_cvt_pkrtz_f16_f32 v12, v50, v51
	v_cvt_pkrtz_f16_f32 v13, v52, v53
	v_mfma_f32_16x16x16_f16 v[2:5], v[10:11], v[18:19], v[2:5]
	v_cvt_pk_f32_fp8_e32 v[10:11], v30
	v_cvt_pk_f32_fp8_sdwa v[50:51], v30 src0_sel:WORD_1
	v_cvt_pk_f32_fp8_sdwa v[52:53], v32 src0_sel:WORD_1
	v_mfma_f32_16x16x16_f16 v[2:5], v[12:13], v[20:21], v[2:5]
	v_cvt_pk_f32_fp8_e32 v[12:13], v31
	v_cvt_pkrtz_f16_f32 v10, v10, v11
	v_cvt_pkrtz_f16_f32 v11, v50, v51
	v_cvt_pk_f32_fp8_sdwa v[30:31], v31 src0_sel:WORD_1
	v_cvt_pkrtz_f16_f32 v12, v12, v13
	v_cvt_pk_f32_fp8_e32 v[50:51], v32
	v_mfma_f32_16x16x16_f16 v[2:5], v[10:11], v[14:15], v[2:5]
	v_cvt_pkrtz_f16_f32 v13, v30, v31
	v_cvt_pkrtz_f16_f32 v10, v50, v51
	;; [unrolled: 1-line block ×3, first 2 shown]
	v_cvt_pk_f32_fp8_e32 v[30:31], v33
	v_cvt_pk_f32_fp8_sdwa v[32:33], v33 src0_sel:WORD_1
	v_mfma_f32_16x16x16_f16 v[2:5], v[12:13], v[16:17], v[2:5]
	v_lshlrev_b32_e32 v56, 5, v66
	v_cvt_pkrtz_f16_f32 v12, v30, v31
	v_cvt_pkrtz_f16_f32 v13, v32, v33
	v_mfma_f32_16x16x16_f16 v[2:5], v[10:11], v[6:7], v[2:5]
	v_cvt_pk_f32_fp8_e32 v[10:11], v22
	v_cvt_pk_f32_fp8_sdwa v[30:31], v22 src0_sel:WORD_1
	v_lshl_add_u64 v[68:69], v[58:59], 0, v[56:57]
	v_mfma_f32_16x16x16_f16 v[50:53], v[12:13], v[8:9], v[2:5]
	s_waitcnt vmcnt(3)
	v_mad_i64_i32 v[12:13], s[4:5], v67, s45, v[68:69]
	s_waitcnt vmcnt(2)
	v_mad_i64_i32 v[70:71], s[4:5], v65, s45, v[68:69]
	v_cvt_pkrtz_f16_f32 v2, v10, v11
	v_cvt_pkrtz_f16_f32 v3, v30, v31
	v_cvt_pk_f32_fp8_e32 v[4:5], v23
	v_cvt_pk_f32_fp8_sdwa v[10:11], v23 src0_sel:WORD_1
	v_cvt_pk_f32_fp8_sdwa v[30:31], v24 src0_sel:WORD_1
	v_or_b32_e32 v56, 0x800, v56
	v_cvt_pkrtz_f16_f32 v22, v4, v5
	v_cvt_pkrtz_f16_f32 v23, v10, v11
	v_cvt_pk_f32_fp8_e32 v[10:11], v24
	v_mfma_f32_16x16x16_f16 v[2:5], v[2:3], v[26:27], 0
	v_cvt_pkrtz_f16_f32 v10, v10, v11
	v_cvt_pkrtz_f16_f32 v11, v30, v31
	v_mfma_f32_16x16x16_f16 v[2:5], v[22:23], v[28:29], v[2:5]
	global_load_dwordx4 v[30:33], v[12:13], off
	global_load_dwordx4 v[22:25], v[70:71], off
	v_cvt_pkrtz_f16_f32 v12, v72, v73
	v_cvt_pkrtz_f16_f32 v13, v74, v75
	v_mfma_f32_16x16x16_f16 v[2:5], v[10:11], v[18:19], v[2:5]
	v_cvt_pk_f32_fp8_e32 v[10:11], v42
	v_cvt_pk_f32_fp8_sdwa v[70:71], v42 src0_sel:WORD_1
	s_waitcnt vmcnt(3)
	v_mad_i64_i32 v[72:73], s[4:5], v55, s45, v[68:69]
	v_mfma_f32_16x16x16_f16 v[2:5], v[12:13], v[20:21], v[2:5]
	v_cvt_pkrtz_f16_f32 v10, v10, v11
	v_cvt_pkrtz_f16_f32 v11, v70, v71
	v_cvt_pk_f32_fp8_e32 v[12:13], v43
	v_cvt_pk_f32_fp8_sdwa v[42:43], v43 src0_sel:WORD_1
	s_waitcnt vmcnt(2)
	v_mad_i64_i32 v[74:75], s[4:5], v64, s45, v[68:69]
	v_cvt_pkrtz_f16_f32 v76, v12, v13
	v_cvt_pkrtz_f16_f32 v77, v42, v43
	v_cvt_pk_f32_fp8_e32 v[42:43], v44
	v_mfma_f32_16x16x16_f16 v[68:71], v[10:11], v[14:15], v[2:5]
	global_load_dwordx4 v[10:13], v[72:73], off
	s_nop 1
	global_load_dwordx4 v[2:5], v[74:75], off
	v_cvt_pkrtz_f16_f32 v73, v78, v79
	v_cvt_pkrtz_f16_f32 v72, v42, v43
	v_cvt_pk_f32_fp8_e32 v[74:75], v45
	v_cvt_pk_f32_fp8_sdwa v[44:45], v45 src0_sel:WORD_1
	v_mfma_f32_16x16x16_f16 v[68:71], v[76:77], v[16:17], v[68:71]
	v_lshl_add_u64 v[42:43], v[58:59], 0, v[56:57]
	v_cvt_pkrtz_f16_f32 v74, v74, v75
	v_cvt_pkrtz_f16_f32 v75, v44, v45
	v_mfma_f32_16x16x16_f16 v[56:59], v[72:73], v[6:7], v[68:71]
	v_cvt_pk_f32_fp8_e32 v[44:45], v38
	v_cvt_pk_f32_fp8_sdwa v[76:77], v40 src0_sel:WORD_1
	s_load_dword s4, s[40:41], 0x0
	v_cvt_pk_f32_fp8_sdwa v[68:69], v38 src0_sel:WORD_1
	v_cvt_pk_f32_fp8_e32 v[70:71], v39
	v_cvt_pkrtz_f16_f32 v44, v44, v45
	v_cvt_pk_f32_fp8_sdwa v[38:39], v39 src0_sel:WORD_1
	v_cvt_pkrtz_f16_f32 v45, v68, v69
	v_mfma_f32_16x16x16_f16 v[56:59], v[74:75], v[8:9], v[56:59]
	v_cvt_pkrtz_f16_f32 v72, v70, v71
	v_cvt_pk_f32_fp8_e32 v[74:75], v40
	v_cvt_pkrtz_f16_f32 v73, v38, v39
	v_mfma_f32_16x16x16_f16 v[68:71], v[44:45], v[26:27], 0
	v_cvt_pkrtz_f16_f32 v39, v76, v77
	v_cvt_pkrtz_f16_f32 v38, v74, v75
	v_cvt_pk_f32_fp8_e32 v[44:45], v41
	v_cvt_pk_f32_fp8_sdwa v[40:41], v41 src0_sel:WORD_1
	v_mfma_f32_16x16x16_f16 v[26:29], v[72:73], v[28:29], v[68:71]
	s_mov_b32 s40, 0xff7fffff
	v_cvt_pkrtz_f16_f32 v44, v44, v45
	v_cvt_pkrtz_f16_f32 v45, v40, v41
	v_mfma_f32_16x16x16_f16 v[26:29], v[38:39], v[18:19], v[26:29]
	v_mov_b32_e32 v68, s8
	s_waitcnt lgkmcnt(0)
	v_mul_f32_e32 v40, s4, v68
	v_pk_mul_f32 v[38:39], v[40:41], v[48:49] op_sel_hi:[0,1]
	v_mfma_f32_16x16x16_f16 v[18:21], v[44:45], v[20:21], v[26:29]
	v_cvt_pk_f32_fp8_e32 v[44:45], v35
	v_pk_mul_f32 v[46:47], v[40:41], v[46:47] op_sel_hi:[0,1]
	v_pk_mul_f32 v[48:49], v[40:41], v[52:53] op_sel_hi:[0,1]
	v_cvt_pk_f32_fp8_e32 v[26:27], v34
	v_cvt_pk_f32_fp8_sdwa v[28:29], v34 src0_sel:WORD_1
	v_cvt_pk_f32_fp8_sdwa v[34:35], v35 src0_sel:WORD_1
	v_pk_mul_f32 v[52:53], v[40:41], v[50:51] op_sel_hi:[0,1]
	v_cvt_pkrtz_f16_f32 v26, v26, v27
	v_cvt_pkrtz_f16_f32 v27, v28, v29
	;; [unrolled: 1-line block ×4, first 2 shown]
	v_cvt_pk_f32_fp8_e32 v[34:35], v36
	v_cvt_pk_f32_fp8_sdwa v[44:45], v36 src0_sel:WORD_1
	v_mfma_f32_16x16x16_f16 v[18:21], v[26:27], v[14:15], v[18:21]
	v_pk_mul_f32 v[50:51], v[40:41], v[56:57] op_sel_hi:[0,1]
	v_cvt_pkrtz_f16_f32 v26, v34, v35
	v_cvt_pkrtz_f16_f32 v27, v44, v45
	v_cvt_pk_f32_fp8_e32 v[34:35], v37
	v_cvt_pk_f32_fp8_sdwa v[36:37], v37 src0_sel:WORD_1
	v_mfma_f32_16x16x16_f16 v[14:17], v[28:29], v[16:17], v[18:21]
	v_pk_mul_f32 v[44:45], v[40:41], v[58:59] op_sel_hi:[0,1]
	v_mad_i64_i32 v[68:69], s[4:5], v67, s45, v[42:43]
	s_nop 0
	v_cvt_pkrtz_f16_f32 v18, v34, v35
	v_cvt_pkrtz_f16_f32 v19, v36, v37
	v_mfma_f32_16x16x16_f16 v[14:17], v[26:27], v[6:7], v[14:17]
	s_nop 0
	v_mfma_f32_16x16x16_f16 v[6:9], v[18:19], v[8:9], v[14:17]
	s_nop 6
	v_pk_mul_f32 v[34:35], v[40:41], v[8:9] op_sel_hi:[0,1]
	v_pk_mul_f32 v[40:41], v[40:41], v[6:7] op_sel_hi:[0,1]
	v_and_b32_e32 v6, 0xc0, v0
	v_add_u32_e32 v6, s18, v6
	v_lshl_or_b32 v6, v1, 2, v6
	v_or_b32_e32 v9, 1, v6
	v_mov_b32_e32 v7, 0xff7fffff
	v_cmp_gt_i32_e64 s[24:25], s38, v6
	v_cmp_gt_i32_e64 s[26:27], s38, v9
	v_or_b32_e32 v14, 3, v6
	v_cndmask_b32_e64 v8, v7, v46, s[24:25]
	v_cndmask_b32_e64 v9, v7, v47, s[26:27]
	v_max3_f32 v8, v8, s40, v9
	v_or_b32_e32 v9, 2, v6
	v_cmp_gt_i32_e64 s[28:29], s38, v9
	v_cmp_gt_i32_e64 s[30:31], s38, v14
	s_nop 0
	v_cndmask_b32_e64 v9, v7, v38, s[28:29]
	v_cndmask_b32_e64 v14, v7, v39, s[30:31]
	v_max3_f32 v8, v8, v9, v14
	v_or_b32_e32 v9, 16, v6
	v_or_b32_e32 v14, 17, v6
	v_cmp_gt_i32_e64 s[34:35], s38, v9
	v_cmp_gt_i32_e64 s[36:37], s38, v14
	s_nop 0
	v_cndmask_b32_e64 v9, v7, v52, s[34:35]
	v_cndmask_b32_e64 v14, v7, v53, s[36:37]
	v_max3_f32 v8, v8, v9, v14
	v_or_b32_e32 v9, 18, v6
	;; [unrolled: 8-line block ×6, first 2 shown]
	v_or_b32_e32 v6, 51, v6
	v_cmp_gt_i32_e32 vcc, s38, v9
	v_cmp_gt_i32_e64 s[4:5], s38, v6
	s_nop 0
	v_cndmask_b32_e32 v9, v7, v34, vcc
	v_cndmask_b32_e64 v6, v7, v35, s[4:5]
	v_max3_f32 v8, v8, v9, v6
	v_mbcnt_lo_u32_b32 v6, -1, 0
	v_mbcnt_hi_u32_b32 v9, -1, v6
	v_and_b32_e32 v6, 64, v9
	v_add_u32_e32 v14, 64, v6
	v_xor_b32_e32 v6, 32, v9
	v_cmp_lt_i32_e64 s[38:39], v6, v14
	s_nop 1
	v_cndmask_b32_e64 v6, v9, v6, s[38:39]
	v_lshlrev_b32_e32 v56, 2, v6
	ds_bpermute_b32 v15, v56, v8
	v_mad_i64_i32 v[6:7], s[38:39], v65, s45, v[42:43]
	global_load_dwordx4 v[26:29], v[68:69], off
	global_load_dwordx4 v[18:21], v[6:7], off
	s_waitcnt lgkmcnt(0)
	v_max_f32_e32 v6, v15, v15
	v_max_f32_e32 v15, v8, v6
	v_xor_b32_e32 v6, 16, v9
	v_cmp_lt_i32_e64 s[38:39], v6, v14
	s_nop 1
	v_cndmask_b32_e64 v6, v9, v6, s[38:39]
	v_lshlrev_b32_e32 v57, 2, v6
	ds_bpermute_b32 v14, v57, v15
	v_mad_i64_i32 v[6:7], s[38:39], v55, s45, v[42:43]
	v_mad_i64_i32 v[8:9], s[38:39], v64, s45, v[42:43]
	s_waitcnt lgkmcnt(0)
	v_max_f32_e32 v14, v14, v14
	v_max_f32_e32 v55, v15, v14
	v_sub_f32_e32 v14, v46, v55
	v_mul_f32_e32 v14, 0x3fb8aa3b, v14
	v_exp_f32_e32 v36, v14
	v_sub_f32_e32 v14, v47, v55
	v_mul_f32_e32 v14, 0x3fb8aa3b, v14
	v_exp_f32_e32 v37, v14
	global_load_dwordx4 v[14:17], v[6:7], off
	s_nop 0
	global_load_dwordx4 v[6:9], v[8:9], off
	v_sub_f32_e32 v38, v38, v55
	v_mul_f32_e32 v38, 0x3fb8aa3b, v38
	v_sub_f32_e32 v39, v39, v55
	v_exp_f32_e32 v38, v38
	v_mul_f32_e32 v39, 0x3fb8aa3b, v39
	v_exp_f32_e32 v39, v39
	v_cndmask_b32_e64 v36, 0, v36, s[24:25]
	v_add_f32_e32 v42, 0, v36
	v_cndmask_b32_e64 v37, 0, v37, s[26:27]
	v_add_f32_e32 v42, v42, v37
	;; [unrolled: 2-line block ×3, first 2 shown]
	v_cndmask_b32_e64 v47, 0, v39, s[30:31]
	v_sub_f32_e32 v39, v52, v55
	v_sub_f32_e32 v42, v53, v55
	v_mul_f32_e32 v39, 0x3fb8aa3b, v39
	v_mul_f32_e32 v42, 0x3fb8aa3b, v42
	v_exp_f32_e32 v39, v39
	v_exp_f32_e32 v42, v42
	v_add_f32_e32 v43, v38, v47
	v_sub_f32_e32 v44, v44, v55
	v_cndmask_b32_e64 v38, 0, v39, s[34:35]
	v_cndmask_b32_e64 v39, 0, v42, s[36:37]
	v_sub_f32_e32 v42, v48, v55
	v_mul_f32_e32 v42, 0x3fb8aa3b, v42
	v_exp_f32_e32 v42, v42
	v_sub_f32_e32 v48, v49, v55
	v_add_f32_e32 v43, v43, v38
	v_mul_f32_e32 v48, 0x3fb8aa3b, v48
	v_exp_f32_e32 v49, v48
	v_add_f32_e32 v43, v43, v39
	v_cndmask_b32_e64 v48, 0, v42, s[18:19]
	v_add_f32_e32 v42, v43, v48
	v_sub_f32_e32 v43, v50, v55
	v_mul_f32_e32 v43, 0x3fb8aa3b, v43
	v_sub_f32_e32 v50, v51, v55
	v_exp_f32_e32 v43, v43
	v_mul_f32_e32 v50, 0x3fb8aa3b, v50
	v_exp_f32_e32 v50, v50
	v_mul_f32_e32 v44, 0x3fb8aa3b, v44
	v_sub_f32_e32 v45, v45, v55
	v_exp_f32_e32 v44, v44
	v_mul_f32_e32 v45, 0x3fb8aa3b, v45
	v_sub_f32_e32 v40, v40, v55
	v_cndmask_b32_e64 v49, 0, v49, s[20:21]
	v_exp_f32_e32 v45, v45
	v_mul_f32_e32 v40, 0x3fb8aa3b, v40
	v_sub_f32_e32 v41, v41, v55
	v_add_f32_e32 v51, v42, v49
	v_cndmask_b32_e64 v42, 0, v43, s[14:15]
	v_exp_f32_e32 v40, v40
	v_mul_f32_e32 v41, 0x3fb8aa3b, v41
	v_sub_f32_e32 v34, v34, v55
	v_add_f32_e32 v51, v51, v42
	;; [unrolled: 5-line block ×3, first 2 shown]
	v_cndmask_b32_e64 v44, 0, v44, s[10:11]
	v_exp_f32_e32 v34, v34
	v_mul_f32_e32 v35, 0x3fb8aa3b, v35
	v_add_f32_e32 v50, v50, v44
	v_cndmask_b32_e64 v45, 0, v45, s[12:13]
	v_exp_f32_e32 v35, v35
	v_add_f32_e32 v50, v50, v45
	v_cndmask_b32_e64 v40, 0, v40, s[6:7]
	v_add_f32_e32 v50, v50, v40
	v_cndmask_b32_e64 v41, 0, v41, s[8:9]
	v_add_f32_e32 v50, v50, v41
	v_cndmask_b32_e32 v34, 0, v34, vcc
	v_add_f32_e32 v50, v50, v34
	v_cndmask_b32_e64 v35, 0, v35, s[4:5]
	v_add_f32_e32 v50, v50, v35
	ds_bpermute_b32 v51, v56, v50
	v_cmp_gt_u32_e32 vcc, 16, v63
	s_waitcnt lgkmcnt(0)
	s_barrier
	v_add_f32_e32 v50, v50, v51
	ds_bpermute_b32 v51, v57, v50
	s_and_saveexec_b64 s[4:5], vcc
	s_cbranch_execz .LBB1075_13
; %bb.12:
	s_waitcnt lgkmcnt(0)
	v_add_f32_e32 v50, v50, v51
	v_lshlrev_b32_e32 v51, 2, v66
	ds_write2st64_b32 v51, v55, v50 offset1:1
.LBB1075_13:
	s_or_b64 exec, exec, s[4:5]
	s_waitcnt lgkmcnt(0)
	v_lshlrev_b32_e32 v51, 2, v60
	s_load_dword s6, s[0:1], 0x94
	s_waitcnt lgkmcnt(0)
	s_barrier
	ds_read2_b32 v[52:53], v51 offset1:16
	ds_read2_b32 v[56:57], v51 offset0:32 offset1:48
	ds_read2_b32 v[58:59], v51 offset0:64 offset1:80
	s_lshl_b32 s7, s33, 3
	s_waitcnt lgkmcnt(2)
	v_max3_f32 v50, v52, s40, v53
	s_waitcnt lgkmcnt(1)
	v_max3_f32 v50, v50, v56, v57
	v_sub_f32_e32 v52, v52, v50
	v_mul_f32_e32 v52, 0x3fb8aa3b, v52
	v_exp_f32_e32 v55, v52
	v_sub_f32_e32 v52, v53, v50
	v_mul_f32_e32 v52, 0x3fb8aa3b, v52
	v_exp_f32_e32 v63, v52
	;; [unrolled: 3-line block ×3, first 2 shown]
	ds_read2_b32 v[52:53], v51 offset0:96 offset1:112
	v_sub_f32_e32 v51, v57, v50
	v_mul_f32_e32 v51, 0x3fb8aa3b, v51
	v_exp_f32_e32 v57, v51
	s_waitcnt lgkmcnt(1)
	v_fma_f32 v51, v55, v58, 0
	v_fmac_f32_e32 v51, v63, v59
	s_waitcnt lgkmcnt(0)
	v_fmac_f32_e32 v51, v56, v52
	v_fmac_f32_e32 v51, v57, v53
	v_add_f32_e32 v52, 0x358637bd, v51
	v_div_scale_f32 v53, s[4:5], v52, v52, 1.0
	v_rcp_f32_e32 v58, v53
	s_barrier
	v_fma_f32 v59, -v53, v58, 1.0
	v_fmac_f32_e32 v58, v59, v58
	v_div_scale_f32 v59, vcc, 1.0, v52, 1.0
	v_mul_f32_e32 v64, v59, v58
	v_fma_f32 v65, -v53, v64, v59
	v_fmac_f32_e32 v64, v65, v58
	v_fma_f32 v53, -v53, v64, v59
	v_div_fmas_f32 v53, v53, v58, v64
	v_cmp_eq_u32_e32 vcc, 1, v62
	v_div_fixup_f32 v52, v53, v52, 1.0
	s_nop 0
	v_cndmask_b32_e32 v53, v55, v63, vcc
	v_cmp_eq_u32_e32 vcc, 2, v62
	s_nop 1
	v_cndmask_b32_e32 v53, v53, v56, vcc
	v_cmp_eq_u32_e32 vcc, 3, v62
	s_nop 1
	v_cndmask_b32_e32 v53, v53, v57, vcc
	v_mul_f32_e32 v52, v53, v52
	v_pk_mul_f32 v[46:47], v[52:53], v[46:47] op_sel_hi:[0,1]
	v_pk_mul_f32 v[36:37], v[52:53], v[36:37] op_sel_hi:[0,1]
	v_cvt_f16_f32_e32 v53, v46
	v_cvt_f16_f32_e32 v36, v36
	;; [unrolled: 1-line block ×4, first 2 shown]
	v_pk_mul_f32 v[48:49], v[52:53], v[48:49] op_sel_hi:[0,1]
	v_pk_mul_f32 v[38:39], v[52:53], v[38:39] op_sel_hi:[0,1]
	v_cvt_f16_f32_e32 v38, v38
	v_cvt_f16_f32_e32 v39, v39
	;; [unrolled: 1-line block ×4, first 2 shown]
	v_pack_b32_f16 v46, v36, v37
	v_pack_b32_f16 v47, v53, v47
	v_lshlrev_b32_e32 v37, 3, v1
	v_lshlrev_b32_e32 v36, 5, v60
	;; [unrolled: 1-line block ×3, first 2 shown]
	v_or3_b32 v55, v53, v36, v37
	v_pack_b32_f16 v38, v38, v39
	v_pack_b32_f16 v39, v48, v49
	ds_write2st64_b64 v55, v[46:47], v[38:39] offset1:1
	v_pk_mul_f32 v[38:39], v[52:53], v[44:45] op_sel_hi:[0,1]
	v_pk_mul_f32 v[42:43], v[52:53], v[42:43] op_sel_hi:[0,1]
	v_cvt_f16_f32_e32 v37, v42
	v_cvt_f16_f32_e32 v42, v43
	;; [unrolled: 1-line block ×4, first 2 shown]
	v_pk_mul_f32 v[34:35], v[52:53], v[34:35] op_sel_hi:[0,1]
	v_pk_mul_f32 v[38:39], v[52:53], v[40:41] op_sel_hi:[0,1]
	v_cvt_f16_f32_e32 v38, v38
	v_cvt_f16_f32_e32 v39, v39
	;; [unrolled: 1-line block ×4, first 2 shown]
	v_pack_b32_f16 v34, v37, v42
	v_pack_b32_f16 v35, v43, v44
	;; [unrolled: 1-line block ×4, first 2 shown]
	v_cmp_gt_u32_e32 vcc, 8, v0
	ds_write2st64_b64 v55, v[34:35], v[38:39] offset0:2 offset1:3
	s_and_saveexec_b64 s[4:5], vcc
	s_cbranch_execz .LBB1075_15
; %bb.14:
	v_or_b32_e32 v34, s23, v0
	v_mov_b32_e32 v35, 0
	v_mov_b32_e32 v37, s7
	v_mad_u64_u32 v[38:39], s[12:13], s2, v37, v[34:35]
	v_mov_b32_e32 v34, s22
	s_load_dwordx4 s[8:11], s[0:1], 0x58
	s_mul_i32 s3, s3, s7
	v_mad_u64_u32 v[34:35], s[12:13], v38, s6, v[34:35]
	v_add_u32_e32 v37, s3, v39
	v_mov_b32_e32 v38, v35
	v_mad_u64_u32 v[38:39], s[12:13], v37, s6, v[38:39]
	v_mov_b32_e32 v35, v38
	v_lshlrev_b64 v[34:35], 2, v[34:35]
	s_waitcnt lgkmcnt(0)
	v_lshl_add_u64 v[38:39], s[10:11], 0, v[34:35]
	v_lshl_add_u64 v[34:35], s[8:9], 0, v[34:35]
	global_store_dword v[38:39], v50, off
	global_store_dword v[34:35], v51, off
.LBB1075_15:
	s_or_b64 exec, exec, s[4:5]
	s_waitcnt vmcnt(7)
	v_cvt_pk_f32_fp8_e32 v[34:35], v30
	v_lshl_or_b32 v50, v1, 9, v36
	v_cvt_pk_f32_fp8_sdwa v[36:37], v30 src0_sel:WORD_1
	s_waitcnt lgkmcnt(0)
	s_barrier
	v_cvt_pk_f32_fp8_e32 v[38:39], v31
	v_cvt_pkrtz_f16_f32 v30, v34, v35
	v_cvt_pk_f32_fp8_sdwa v[40:41], v31 src0_sel:WORD_1
	v_cvt_pkrtz_f16_f32 v31, v36, v37
	ds_read_b128 v[34:37], v50
	v_cvt_pkrtz_f16_f32 v46, v38, v39
	v_cvt_pkrtz_f16_f32 v47, v40, v41
	ds_read_b128 v[38:41], v50 offset:16
	v_cvt_pk_f32_fp8_e32 v[48:49], v32
	v_cvt_pk_f32_fp8_sdwa v[52:53], v32 src0_sel:WORD_1
	s_waitcnt lgkmcnt(1)
	v_mfma_f32_16x16x16_f16 v[42:45], v[30:31], v[34:35], 0
	s_waitcnt vmcnt(6)
	v_cvt_pk_f32_fp8_e32 v[56:57], v24
	v_cvt_pkrtz_f16_f32 v30, v48, v49
	v_cvt_pkrtz_f16_f32 v31, v52, v53
	v_cvt_pk_f32_fp8_e32 v[48:49], v33
	v_mfma_f32_16x16x16_f16 v[42:45], v[46:47], v[36:37], v[42:45]
	v_cvt_pk_f32_fp8_sdwa v[46:47], v33 src0_sel:WORD_1
	v_cvt_pk_f32_fp8_sdwa v[58:59], v24 src0_sel:WORD_1
	v_cvt_pkrtz_f16_f32 v48, v48, v49
	s_waitcnt lgkmcnt(0)
	v_mfma_f32_16x16x16_f16 v[30:33], v[30:31], v[38:39], v[42:45]
	v_cvt_pkrtz_f16_f32 v49, v46, v47
	s_waitcnt vmcnt(5)
	v_cvt_pk_f32_fp8_e32 v[62:63], v12
	v_cvt_pk_f32_fp8_sdwa v[64:65], v12 src0_sel:WORD_1
	v_cvt_pk_f32_fp8_e32 v[42:43], v22
	v_mfma_f32_16x16x16_f16 v[46:49], v[48:49], v[40:41], v[30:33]
	s_waitcnt vmcnt(4)
	v_cvt_pk_f32_fp8_sdwa v[66:67], v4 src0_sel:WORD_1
	s_load_dword s4, s[42:43], 0x0
	v_cvt_pk_f32_fp8_sdwa v[30:31], v22 src0_sel:WORD_1
	v_cvt_pk_f32_fp8_e32 v[32:33], v23
	v_cvt_pkrtz_f16_f32 v22, v42, v43
	v_cvt_pk_f32_fp8_sdwa v[42:43], v23 src0_sel:WORD_1
	v_cvt_pkrtz_f16_f32 v23, v30, v31
	v_cvt_pkrtz_f16_f32 v52, v32, v33
	ds_read_b128 v[30:33], v50 offset:2048
	v_cvt_pkrtz_f16_f32 v53, v42, v43
	ds_read_b128 v[42:45], v50 offset:2064
	s_waitcnt lgkmcnt(0)
	v_mfma_f32_16x16x16_f16 v[46:49], v[22:23], v[30:31], v[46:49]
	v_cvt_pkrtz_f16_f32 v22, v56, v57
	v_cvt_pkrtz_f16_f32 v23, v58, v59
	v_cvt_pk_f32_fp8_e32 v[56:57], v25
	v_mfma_f32_16x16x16_f16 v[46:49], v[52:53], v[32:33], v[46:49]
	v_cvt_pk_f32_fp8_sdwa v[52:53], v25 src0_sel:WORD_1
	s_mov_b32 s3, 0
	v_cvt_pkrtz_f16_f32 v56, v56, v57
	v_mfma_f32_16x16x16_f16 v[22:25], v[22:23], v[42:43], v[46:49]
	v_cvt_pkrtz_f16_f32 v57, v52, v53
	v_cmp_gt_u32_e32 vcc, 64, v0
	s_nop 0
	v_cvt_pk_f32_fp8_e32 v[46:47], v10
	v_mfma_f32_16x16x16_f16 v[56:59], v[56:57], v[44:45], v[22:25]
	s_nop 2
	v_cvt_pk_f32_fp8_sdwa v[22:23], v10 src0_sel:WORD_1
	v_cvt_pk_f32_fp8_e32 v[24:25], v11
	v_cvt_pkrtz_f16_f32 v10, v46, v47
	v_cvt_pk_f32_fp8_sdwa v[46:47], v11 src0_sel:WORD_1
	v_cvt_pkrtz_f16_f32 v11, v22, v23
	v_cvt_pkrtz_f16_f32 v52, v24, v25
	ds_read_b128 v[22:25], v50 offset:4096
	v_cvt_pkrtz_f16_f32 v53, v46, v47
	ds_read_b128 v[46:49], v50 offset:4112
	s_waitcnt lgkmcnt(1)
	v_mfma_f32_16x16x16_f16 v[56:59], v[10:11], v[22:23], v[56:59]
	v_cvt_pkrtz_f16_f32 v10, v62, v63
	v_cvt_pkrtz_f16_f32 v11, v64, v65
	v_cvt_pk_f32_fp8_e32 v[62:63], v13
	v_mfma_f32_16x16x16_f16 v[56:59], v[52:53], v[24:25], v[56:59]
	v_cvt_pk_f32_fp8_sdwa v[52:53], v13 src0_sel:WORD_1
	v_cvt_pk_f32_fp8_e32 v[64:65], v4
	v_cvt_pkrtz_f16_f32 v62, v62, v63
	s_waitcnt lgkmcnt(0)
	v_mfma_f32_16x16x16_f16 v[10:13], v[10:11], v[46:47], v[56:59]
	v_cvt_pkrtz_f16_f32 v63, v52, v53
	v_cvt_pk_f32_fp8_e32 v[52:53], v2
	s_nop 0
	v_mfma_f32_16x16x16_f16 v[56:59], v[62:63], v[48:49], v[10:13]
	s_nop 2
	v_cvt_pk_f32_fp8_sdwa v[10:11], v2 src0_sel:WORD_1
	v_cvt_pk_f32_fp8_e32 v[12:13], v3
	v_cvt_pkrtz_f16_f32 v2, v52, v53
	v_cvt_pk_f32_fp8_sdwa v[52:53], v3 src0_sel:WORD_1
	v_cvt_pkrtz_f16_f32 v3, v10, v11
	v_cvt_pkrtz_f16_f32 v62, v12, v13
	ds_read_b128 v[10:13], v50 offset:6144
	v_cvt_pkrtz_f16_f32 v63, v52, v53
	s_waitcnt lgkmcnt(0)
	v_mfma_f32_16x16x16_f16 v[56:59], v[2:3], v[10:11], v[56:59]
	ds_read_b128 v[50:53], v50 offset:6160
	v_cvt_pkrtz_f16_f32 v2, v64, v65
	v_cvt_pkrtz_f16_f32 v3, v66, v67
	v_mfma_f32_16x16x16_f16 v[56:59], v[62:63], v[12:13], v[56:59]
	v_cvt_pk_f32_fp8_e32 v[64:65], v5
	v_cvt_pk_f32_fp8_sdwa v[62:63], v5 src0_sel:WORD_1
	s_waitcnt vmcnt(3)
	v_cvt_pk_f32_fp8_sdwa v[66:67], v28 src0_sel:WORD_1
	s_waitcnt lgkmcnt(0)
	v_mfma_f32_16x16x16_f16 v[2:5], v[2:3], v[50:51], v[56:59]
	v_cvt_pkrtz_f16_f32 v64, v64, v65
	v_cvt_pkrtz_f16_f32 v65, v62, v63
	v_cvt_pk_f32_fp8_e32 v[62:63], v27
	v_cvt_pk_f32_fp8_e32 v[56:57], v26
	v_cvt_pk_f32_fp8_sdwa v[58:59], v26 src0_sel:WORD_1
	v_cvt_pk_f32_fp8_sdwa v[26:27], v27 src0_sel:WORD_1
	v_mfma_f32_16x16x16_f16 v[2:5], v[64:65], v[52:53], v[2:5]
	v_cvt_pkrtz_f16_f32 v56, v56, v57
	v_cvt_pkrtz_f16_f32 v57, v58, v59
	;; [unrolled: 1-line block ×3, first 2 shown]
	v_cvt_pk_f32_fp8_e32 v[64:65], v28
	v_cvt_pkrtz_f16_f32 v63, v26, v27
	v_mfma_f32_16x16x16_f16 v[56:59], v[56:57], v[34:35], 0
	v_cvt_pkrtz_f16_f32 v26, v64, v65
	v_cvt_pkrtz_f16_f32 v27, v66, v67
	v_cvt_pk_f32_fp8_e32 v[64:65], v29
	v_mfma_f32_16x16x16_f16 v[34:37], v[62:63], v[36:37], v[56:59]
	s_barrier
	s_nop 1
	v_cvt_pk_f32_fp8_sdwa v[56:57], v29 src0_sel:WORD_1
	v_cvt_pkrtz_f16_f32 v58, v64, v65
	v_mfma_f32_16x16x16_f16 v[26:29], v[26:27], v[38:39], v[34:37]
	s_waitcnt vmcnt(2)
	v_cvt_pk_f32_fp8_e32 v[38:39], v19
	v_cvt_pkrtz_f16_f32 v59, v56, v57
	v_cvt_pk_f32_fp8_e32 v[34:35], v18
	v_cvt_pk_f32_fp8_sdwa v[36:37], v18 src0_sel:WORD_1
	v_cvt_pk_f32_fp8_sdwa v[18:19], v19 src0_sel:WORD_1
	v_mfma_f32_16x16x16_f16 v[26:29], v[58:59], v[40:41], v[26:29]
	v_cvt_pkrtz_f16_f32 v34, v34, v35
	v_cvt_pkrtz_f16_f32 v35, v36, v37
	;; [unrolled: 1-line block ×3, first 2 shown]
	v_cvt_pk_f32_fp8_e32 v[38:39], v20
	v_cvt_pk_f32_fp8_sdwa v[40:41], v20 src0_sel:WORD_1
	v_cvt_pkrtz_f16_f32 v37, v18, v19
	v_mfma_f32_16x16x16_f16 v[26:29], v[34:35], v[30:31], v[26:29]
	v_cvt_pkrtz_f16_f32 v30, v38, v39
	v_cvt_pkrtz_f16_f32 v31, v40, v41
	v_cvt_pk_f32_fp8_e32 v[34:35], v21
	v_cvt_pk_f32_fp8_sdwa v[38:39], v21 src0_sel:WORD_1
	v_mfma_f32_16x16x16_f16 v[18:21], v[36:37], v[32:33], v[26:29]
	s_waitcnt vmcnt(1)
	v_cvt_pk_f32_fp8_sdwa v[32:33], v16 src0_sel:WORD_1
	s_nop 0
	v_cvt_pkrtz_f16_f32 v26, v34, v35
	v_cvt_pkrtz_f16_f32 v27, v38, v39
	v_mfma_f32_16x16x16_f16 v[18:21], v[30:31], v[42:43], v[18:21]
	v_cvt_pk_f32_fp8_e32 v[28:29], v14
	v_cvt_pk_f32_fp8_sdwa v[30:31], v14 src0_sel:WORD_1
	v_cvt_pkrtz_f16_f32 v28, v28, v29
	v_mfma_f32_16x16x16_f16 v[18:21], v[26:27], v[44:45], v[18:21]
	v_cvt_pk_f32_fp8_e32 v[26:27], v15
	v_cvt_pkrtz_f16_f32 v29, v30, v31
	v_cvt_pk_f32_fp8_sdwa v[14:15], v15 src0_sel:WORD_1
	v_cvt_pk_f32_fp8_e32 v[30:31], v16
	v_cvt_pkrtz_f16_f32 v26, v26, v27
	v_mfma_f32_16x16x16_f16 v[18:21], v[28:29], v[22:23], v[18:21]
	v_cvt_pkrtz_f16_f32 v27, v14, v15
	v_cvt_pkrtz_f16_f32 v22, v30, v31
	;; [unrolled: 1-line block ×3, first 2 shown]
	v_cvt_pk_f32_fp8_e32 v[28:29], v17
	v_cvt_pk_f32_fp8_sdwa v[30:31], v17 src0_sel:WORD_1
	v_mfma_f32_16x16x16_f16 v[14:17], v[26:27], v[24:25], v[18:21]
	s_waitcnt vmcnt(0)
	v_cvt_pk_f32_fp8_sdwa v[24:25], v6 src0_sel:WORD_1
	s_nop 0
	v_pk_mul_f32 v[18:19], v[4:5], s[4:5] op_sel_hi:[1,0]
	v_cvt_pkrtz_f16_f32 v4, v28, v29
	v_cvt_pkrtz_f16_f32 v5, v30, v31
	v_mfma_f32_16x16x16_f16 v[14:17], v[22:23], v[46:47], v[14:17]
	v_cvt_pk_f32_fp8_e32 v[22:23], v6
	v_pk_mul_f32 v[20:21], v[2:3], s[4:5] op_sel_hi:[1,0]
	v_mfma_f32_16x16x16_f16 v[2:5], v[4:5], v[48:49], v[14:17]
	s_nop 3
	v_cvt_pk_f32_fp8_e32 v[14:15], v7
	v_cvt_pkrtz_f16_f32 v16, v22, v23
	v_cvt_pkrtz_f16_f32 v17, v24, v25
	v_cvt_pk_f32_fp8_sdwa v[6:7], v7 src0_sel:WORD_1
	v_cvt_pkrtz_f16_f32 v14, v14, v15
	v_cvt_pk_f32_fp8_e32 v[22:23], v8
	v_cvt_pk_f32_fp8_sdwa v[24:25], v8 src0_sel:WORD_1
	v_cvt_pkrtz_f16_f32 v15, v6, v7
	v_mfma_f32_16x16x16_f16 v[2:5], v[16:17], v[10:11], v[2:5]
	v_cvt_pkrtz_f16_f32 v6, v22, v23
	v_cvt_pkrtz_f16_f32 v7, v24, v25
	v_cvt_pk_f32_fp8_e32 v[10:11], v9
	v_cvt_pk_f32_fp8_sdwa v[8:9], v9 src0_sel:WORD_1
	v_mfma_f32_16x16x16_f16 v[2:5], v[14:15], v[12:13], v[2:5]
	v_cvt_f16_f32_e32 v12, v20
	v_cvt_pkrtz_f16_f32 v10, v10, v11
	v_cvt_pkrtz_f16_f32 v11, v8, v9
	v_mfma_f32_16x16x16_f16 v[2:5], v[6:7], v[50:51], v[2:5]
	v_cvt_f16_f32_e32 v6, v21
	v_cvt_f16_f32_e32 v7, v18
	;; [unrolled: 1-line block ×3, first 2 shown]
	v_mfma_f32_16x16x16_f16 v[2:5], v[10:11], v[52:53], v[2:5]
	s_nop 6
	v_pk_mul_f32 v[4:5], v[4:5], s[4:5] op_sel_hi:[1,0]
	v_pk_mul_f32 v[2:3], v[2:3], s[4:5] op_sel_hi:[1,0]
	v_cvt_f16_f32_e32 v11, v4
	v_cvt_f16_f32_e32 v9, v2
	;; [unrolled: 1-line block ×4, first 2 shown]
	v_pack_b32_f16 v2, v12, v6
	v_pack_b32_f16 v3, v7, v8
	;; [unrolled: 1-line block ×4, first 2 shown]
	ds_write2st64_b64 v55, v[2:3], v[4:5] offset1:1
	s_waitcnt lgkmcnt(0)
	s_barrier
	s_and_saveexec_b64 s[4:5], vcc
	s_cbranch_execz .LBB1075_17
; %bb.16:
	s_load_dwordx2 s[0:1], s[0:1], 0x68
	s_lshl_b32 s6, s6, 7
	s_mul_i32 s2, s7, s2
	s_mul_hi_u32 s5, s2, s6
	s_mul_i32 s4, s2, s6
	v_lshlrev_b32_e32 v4, 6, v60
	s_lshl_b64 s[4:5], s[4:5], 1
	v_lshl_or_b32 v0, v0, 10, v4
	s_waitcnt lgkmcnt(0)
	s_add_u32 s4, s0, s4
	v_lshlrev_b32_e32 v2, 5, v1
	v_and_b32_e32 v3, 16, v61
	v_and_b32_e32 v0, 0x1a00, v0
	s_addc_u32 s5, s1, s5
	s_lshl_b32 s2, s22, 7
	v_or3_b32 v0, v0, v2, v3
	s_lshl_b64 s[0:1], s[2:3], 1
	ds_read_b128 v[2:5], v0
	ds_read_b128 v[6:9], v0 offset:128
	s_add_u32 s0, s4, s0
	s_addc_u32 s1, s5, s1
	v_mov_b32_e32 v55, 0
	v_or_b32_e32 v12, s23, v1
	v_lshl_add_u64 v[10:11], s[0:1], 0, v[54:55]
	v_mad_u64_u32 v[0:1], s[0:1], v12, s6, 0
	v_lshl_add_u64 v[0:1], v[0:1], 1, v[10:11]
	s_waitcnt lgkmcnt(1)
	global_store_dwordx4 v[0:1], v[2:5], off
	v_or_b32_e32 v0, 4, v12
	v_mad_u64_u32 v[0:1], s[0:1], v0, s6, 0
	v_lshl_add_u64 v[0:1], v[0:1], 1, v[10:11]
	s_waitcnt lgkmcnt(0)
	global_store_dwordx4 v[0:1], v[6:9], off
.LBB1075_17:
	s_endpgm
	.section	.rodata,"a",@progbits
	.p2align	6, 0x0
	.amdhsa_kernel _Z39paged_attention_ll4mi_QKV_mfma16_kernelIDF16_hLN4vllm18Fp8KVCacheDataTypeE1EDF16_Li32ELi128ELi256ELb0ELi8EEvPKT_PKT0_S7_ifPKiS9_S9_iPKfiiiPfSC_PS2_PT2_iSB_SB_
		.amdhsa_group_segment_fixed_size 8192
		.amdhsa_private_segment_fixed_size 0
		.amdhsa_kernarg_size 400
		.amdhsa_user_sgpr_count 2
		.amdhsa_user_sgpr_dispatch_ptr 0
		.amdhsa_user_sgpr_queue_ptr 0
		.amdhsa_user_sgpr_kernarg_segment_ptr 1
		.amdhsa_user_sgpr_dispatch_id 0
		.amdhsa_user_sgpr_kernarg_preload_length 0
		.amdhsa_user_sgpr_kernarg_preload_offset 0
		.amdhsa_user_sgpr_private_segment_size 0
		.amdhsa_uses_dynamic_stack 0
		.amdhsa_enable_private_segment 0
		.amdhsa_system_sgpr_workgroup_id_x 1
		.amdhsa_system_sgpr_workgroup_id_y 1
		.amdhsa_system_sgpr_workgroup_id_z 1
		.amdhsa_system_sgpr_workgroup_info 0
		.amdhsa_system_vgpr_workitem_id 0
		.amdhsa_next_free_vgpr 80
		.amdhsa_next_free_sgpr 48
		.amdhsa_accum_offset 80
		.amdhsa_reserve_vcc 1
		.amdhsa_float_round_mode_32 0
		.amdhsa_float_round_mode_16_64 0
		.amdhsa_float_denorm_mode_32 3
		.amdhsa_float_denorm_mode_16_64 3
		.amdhsa_dx10_clamp 1
		.amdhsa_ieee_mode 1
		.amdhsa_fp16_overflow 0
		.amdhsa_tg_split 0
		.amdhsa_exception_fp_ieee_invalid_op 0
		.amdhsa_exception_fp_denorm_src 0
		.amdhsa_exception_fp_ieee_div_zero 0
		.amdhsa_exception_fp_ieee_overflow 0
		.amdhsa_exception_fp_ieee_underflow 0
		.amdhsa_exception_fp_ieee_inexact 0
		.amdhsa_exception_int_div_zero 0
	.end_amdhsa_kernel
	.section	.text._Z39paged_attention_ll4mi_QKV_mfma16_kernelIDF16_hLN4vllm18Fp8KVCacheDataTypeE1EDF16_Li32ELi128ELi256ELb0ELi8EEvPKT_PKT0_S7_ifPKiS9_S9_iPKfiiiPfSC_PS2_PT2_iSB_SB_,"axG",@progbits,_Z39paged_attention_ll4mi_QKV_mfma16_kernelIDF16_hLN4vllm18Fp8KVCacheDataTypeE1EDF16_Li32ELi128ELi256ELb0ELi8EEvPKT_PKT0_S7_ifPKiS9_S9_iPKfiiiPfSC_PS2_PT2_iSB_SB_,comdat
.Lfunc_end1075:
	.size	_Z39paged_attention_ll4mi_QKV_mfma16_kernelIDF16_hLN4vllm18Fp8KVCacheDataTypeE1EDF16_Li32ELi128ELi256ELb0ELi8EEvPKT_PKT0_S7_ifPKiS9_S9_iPKfiiiPfSC_PS2_PT2_iSB_SB_, .Lfunc_end1075-_Z39paged_attention_ll4mi_QKV_mfma16_kernelIDF16_hLN4vllm18Fp8KVCacheDataTypeE1EDF16_Li32ELi128ELi256ELb0ELi8EEvPKT_PKT0_S7_ifPKiS9_S9_iPKfiiiPfSC_PS2_PT2_iSB_SB_
                                        ; -- End function
	.section	.AMDGPU.csdata,"",@progbits
; Kernel info:
; codeLenInByte = 6040
; NumSgprs: 54
; NumVgprs: 80
; NumAgprs: 0
; TotalNumVgprs: 80
; ScratchSize: 0
; MemoryBound: 0
; FloatMode: 240
; IeeeMode: 1
; LDSByteSize: 8192 bytes/workgroup (compile time only)
; SGPRBlocks: 6
; VGPRBlocks: 9
; NumSGPRsForWavesPerEU: 54
; NumVGPRsForWavesPerEU: 80
; AccumOffset: 80
; Occupancy: 6
; WaveLimiterHint : 1
; COMPUTE_PGM_RSRC2:SCRATCH_EN: 0
; COMPUTE_PGM_RSRC2:USER_SGPR: 2
; COMPUTE_PGM_RSRC2:TRAP_HANDLER: 0
; COMPUTE_PGM_RSRC2:TGID_X_EN: 1
; COMPUTE_PGM_RSRC2:TGID_Y_EN: 1
; COMPUTE_PGM_RSRC2:TGID_Z_EN: 1
; COMPUTE_PGM_RSRC2:TIDIG_COMP_CNT: 0
; COMPUTE_PGM_RSRC3_GFX90A:ACCUM_OFFSET: 19
; COMPUTE_PGM_RSRC3_GFX90A:TG_SPLIT: 0
	.section	.text._Z39paged_attention_ll4mi_QKV_mfma16_kernelIDF16_hLN4vllm18Fp8KVCacheDataTypeE1EDF16_Li32ELi128ELi256ELb0ELi9EEvPKT_PKT0_S7_ifPKiS9_S9_iPKfiiiPfSC_PS2_PT2_iSB_SB_,"axG",@progbits,_Z39paged_attention_ll4mi_QKV_mfma16_kernelIDF16_hLN4vllm18Fp8KVCacheDataTypeE1EDF16_Li32ELi128ELi256ELb0ELi9EEvPKT_PKT0_S7_ifPKiS9_S9_iPKfiiiPfSC_PS2_PT2_iSB_SB_,comdat
	.protected	_Z39paged_attention_ll4mi_QKV_mfma16_kernelIDF16_hLN4vllm18Fp8KVCacheDataTypeE1EDF16_Li32ELi128ELi256ELb0ELi9EEvPKT_PKT0_S7_ifPKiS9_S9_iPKfiiiPfSC_PS2_PT2_iSB_SB_ ; -- Begin function _Z39paged_attention_ll4mi_QKV_mfma16_kernelIDF16_hLN4vllm18Fp8KVCacheDataTypeE1EDF16_Li32ELi128ELi256ELb0ELi9EEvPKT_PKT0_S7_ifPKiS9_S9_iPKfiiiPfSC_PS2_PT2_iSB_SB_
	.globl	_Z39paged_attention_ll4mi_QKV_mfma16_kernelIDF16_hLN4vllm18Fp8KVCacheDataTypeE1EDF16_Li32ELi128ELi256ELb0ELi9EEvPKT_PKT0_S7_ifPKiS9_S9_iPKfiiiPfSC_PS2_PT2_iSB_SB_
	.p2align	8
	.type	_Z39paged_attention_ll4mi_QKV_mfma16_kernelIDF16_hLN4vllm18Fp8KVCacheDataTypeE1EDF16_Li32ELi128ELi256ELb0ELi9EEvPKT_PKT0_S7_ifPKiS9_S9_iPKfiiiPfSC_PS2_PT2_iSB_SB_,@function
_Z39paged_attention_ll4mi_QKV_mfma16_kernelIDF16_hLN4vllm18Fp8KVCacheDataTypeE1EDF16_Li32ELi128ELi256ELb0ELi9EEvPKT_PKT0_S7_ifPKiS9_S9_iPKfiiiPfSC_PS2_PT2_iSB_SB_: ; @_Z39paged_attention_ll4mi_QKV_mfma16_kernelIDF16_hLN4vllm18Fp8KVCacheDataTypeE1EDF16_Li32ELi128ELi256ELb0ELi9EEvPKT_PKT0_S7_ifPKiS9_S9_iPKfiiiPfSC_PS2_PT2_iSB_SB_
; %bb.0:
	s_load_dwordx2 s[12:13], s[0:1], 0x30
	s_mov_b32 s22, s3
	s_mov_b64 s[6:7], 0
	s_waitcnt lgkmcnt(0)
	s_cmp_lg_u64 s[12:13], 0
	s_cselect_b64 s[14:15], -1, 0
	s_and_b64 vcc, exec, s[14:15]
	s_cbranch_vccz .LBB1076_7
; %bb.1:
	s_add_i32 s8, s2, 1
	s_mov_b32 s9, 0
	s_lshl_b64 s[10:11], s[8:9], 2
	s_add_u32 s10, s12, s10
	s_mov_b32 s3, s9
	s_addc_u32 s11, s13, s11
	s_lshl_b64 s[8:9], s[2:3], 2
	s_add_u32 s8, s12, s8
	s_addc_u32 s9, s13, s9
	s_load_dword s5, s[10:11], 0x0
	s_load_dword s16, s[8:9], 0x0
	s_waitcnt lgkmcnt(0)
	s_sub_i32 s5, s5, s16
	s_cmp_eq_u32 s5, 1
	s_cselect_b64 s[8:9], -1, 0
	s_andn2_b64 vcc, exec, s[6:7]
	s_cbranch_vccnz .LBB1076_3
.LBB1076_2:
	s_mov_b32 s3, 0
	s_mov_b64 s[8:9], -1
.LBB1076_3:
	s_andn2_b64 vcc, exec, s[8:9]
	s_cbranch_vccnz .LBB1076_18
; %bb.4:
	s_load_dwordx2 s[6:7], s[0:1], 0x28
	s_lshl_b64 s[16:17], s[2:3], 2
	s_waitcnt lgkmcnt(0)
	s_add_u32 s6, s6, s16
	s_addc_u32 s7, s7, s17
	s_load_dword s5, s[6:7], 0x0
	s_lshl_b32 s18, s22, 8
	s_waitcnt lgkmcnt(0)
	s_cmp_ge_i32 s18, s5
	s_cbranch_scc1 .LBB1076_18
; %bb.5:
	s_load_dwordx2 s[6:7], s[0:1], 0x20
	s_load_dword s8, s[0:1], 0x38
	s_add_i32 s9, s5, 31
	s_ashr_i32 s10, s9, 31
	v_and_b32_e32 v1, 0xcf, v0
	s_lshr_b32 s10, s10, 27
	v_add_u32_e32 v1, s18, v1
	s_add_i32 s9, s9, s10
	v_ashrrev_i32_e32 v2, 31, v1
	s_ashr_i32 s19, s9, 5
	v_lshrrev_b32_e32 v6, 27, v2
	s_add_i32 s19, s19, -1
	s_waitcnt lgkmcnt(0)
	s_mul_i32 s8, s2, s8
	s_mov_b32 s9, 0
	v_add_u32_e32 v2, v1, v6
	s_lshl_b64 s[8:9], s[8:9], 2
	v_ashrrev_i32_e32 v2, 5, v2
	v_mov_b32_e32 v7, s19
	v_cmp_gt_i32_e32 vcc, s5, v1
	s_add_u32 s6, s6, s8
	s_addc_u32 s7, s7, s9
	v_cndmask_b32_e32 v2, v7, v2, vcc
	v_ashrrev_i32_e32 v3, 31, v2
	v_lshl_add_u64 v[4:5], v[2:3], 2, s[6:7]
	v_or_b32_e32 v2, 16, v1
	v_add_u32_e32 v3, v2, v6
	v_ashrrev_i32_e32 v3, 5, v3
	v_cmp_gt_i32_e32 vcc, s5, v2
	s_load_dwordx4 s[8:11], s[0:1], 0x8
	s_nop 0
	v_cndmask_b32_e32 v2, v7, v3, vcc
	v_ashrrev_i32_e32 v3, 31, v2
	v_lshl_add_u64 v[8:9], v[2:3], 2, s[6:7]
	v_or_b32_e32 v2, 32, v1
	v_add_u32_e32 v3, v2, v6
	v_ashrrev_i32_e32 v3, 5, v3
	v_cmp_gt_i32_e32 vcc, s5, v2
	v_or_b32_e32 v1, 48, v1
	s_nop 0
	v_cndmask_b32_e32 v2, v7, v3, vcc
	v_ashrrev_i32_e32 v3, 31, v2
	v_lshl_add_u64 v[10:11], v[2:3], 2, s[6:7]
	v_add_u32_e32 v2, v1, v6
	v_ashrrev_i32_e32 v2, 5, v2
	v_cmp_gt_i32_e32 vcc, s5, v1
	s_nop 1
	v_cndmask_b32_e32 v2, v7, v2, vcc
	v_ashrrev_i32_e32 v3, 31, v2
	v_lshl_add_u64 v[12:13], v[2:3], 2, s[6:7]
	global_load_dword v2, v[4:5], off
	global_load_dword v6, v[8:9], off
	;; [unrolled: 1-line block ×4, first 2 shown]
	s_andn2_b64 vcc, exec, s[14:15]
	s_cbranch_vccnz .LBB1076_8
; %bb.6:
	s_add_u32 s12, s12, s16
	s_addc_u32 s13, s13, s17
	s_load_dword s14, s[12:13], 0x0
	s_branch .LBB1076_9
.LBB1076_7:
	s_mov_b64 s[8:9], 0
	s_branch .LBB1076_2
.LBB1076_8:
	s_mov_b32 s14, s2
.LBB1076_9:
	s_load_dwordx4 s[44:47], s[0:1], 0x48
	v_lshrrev_b32_e32 v57, 6, v0
	v_bfe_u32 v60, v0, 4, 2
	v_and_b32_e32 v56, 15, v0
	v_lshl_or_b32 v3, v57, 2, v60
	v_lshlrev_b32_e32 v1, 3, v56
	v_and_b32_e32 v61, 63, v0
	s_mul_i32 s48, s4, 9
	v_cmp_gt_u32_e32 vcc, 9, v3
	v_lshlrev_b32_e32 v54, 1, v1
	v_lshlrev_b32_e32 v1, 4, v0
	s_and_saveexec_b64 s[12:13], vcc
	s_cbranch_execz .LBB1076_11
; %bb.10:
	s_load_dwordx2 s[16:17], s[0:1], 0x0
	s_waitcnt lgkmcnt(0)
	s_ashr_i32 s15, s44, 31
	s_mul_hi_u32 s20, s14, s44
	s_mul_i32 s15, s14, s15
	s_add_i32 s15, s20, s15
	s_mul_i32 s14, s14, s44
	s_lshl_b64 s[14:15], s[14:15], 1
	s_add_u32 s14, s16, s14
	v_add_lshl_u32 v4, v3, s48, 7
	s_addc_u32 s15, s17, s15
	v_ashrrev_i32_e32 v5, 31, v4
	v_lshl_add_u64 v[4:5], v[4:5], 1, s[14:15]
	v_mov_b32_e32 v55, 0
	v_lshl_add_u64 v[4:5], v[4:5], 0, v[54:55]
	global_load_dwordx4 v[8:11], v[4:5], off
	v_lshlrev_b32_e32 v5, 8, v0
	v_lshlrev_b32_e32 v4, 8, v56
	v_and_b32_e32 v5, 0x600, v5
	s_movk_i32 s14, 0x800
	v_and_or_b32 v4, v4, s14, v5
	v_lshlrev_b32_e32 v3, 5, v3
	v_and_b32_e32 v5, 16, v1
	v_or3_b32 v3, v4, v3, v5
	s_waitcnt vmcnt(0)
	ds_write_b128 v3, v[8:11]
.LBB1076_11:
	s_or_b64 exec, exec, s[12:13]
	s_waitcnt lgkmcnt(0)
	s_mul_i32 s12, s4, s46
	s_add_u32 s8, s8, s12
	s_addc_u32 s9, s9, 0
	v_mov_b32_e32 v59, 0
	v_mov_b64_e32 v[4:5], s[8:9]
	v_and_b32_e32 v7, 48, v0
	s_waitcnt vmcnt(3)
	v_mad_i64_i32 v[8:9], s[8:9], v2, s45, v[4:5]
	v_lshlrev_b32_e32 v2, 4, v56
	v_mov_b32_e32 v3, v59
	v_lshlrev_b32_e32 v58, 5, v7
	v_lshl_add_u64 v[8:9], v[8:9], 0, v[2:3]
	v_lshl_add_u64 v[8:9], v[8:9], 0, v[58:59]
	s_load_dword s23, s[0:1], 0x98
	s_load_dwordx4 s[40:43], s[0:1], 0x80
	s_waitcnt lgkmcnt(0)
	s_barrier
	global_load_dwordx4 v[10:13], v[8:9], off
	global_load_dwordx4 v[30:33], v[8:9], off offset:2048
	v_add_u32_e32 v14, -9, v56
	v_cmp_gt_u32_e32 vcc, 9, v56
	s_ashr_i32 s8, s18, 31
	v_or_b32_e32 v24, 0x100, v2
	v_cndmask_b32_e32 v8, v14, v56, vcc
	v_mov_b32_e32 v25, v59
	s_lshr_b32 s13, s8, 27
	s_waitcnt vmcnt(4)
	v_mad_i64_i32 v[34:35], s[8:9], v6, s45, v[4:5]
	v_or_b32_e32 v39, s18, v7
	v_lshlrev_b32_e32 v7, 5, v8
	v_lshl_add_u64 v[34:35], v[34:35], 0, v[24:25]
	v_lshl_add_u32 v7, v60, 9, v7
	v_lshl_add_u64 v[34:35], v[34:35], 0, v[58:59]
	ds_read_b128 v[26:29], v7
	ds_read_b128 v[18:21], v7 offset:16
	ds_read_b128 v[14:17], v7 offset:2048
	;; [unrolled: 1-line block ×3, first 2 shown]
	global_load_dwordx4 v[46:49], v[34:35], off
	v_or_b32_e32 v41, 0x80, v39
	v_or_b32_e32 v51, 0xc0, v39
	s_waitcnt vmcnt(4)
	v_mad_i64_i32 v[36:37], s[8:9], v22, s45, v[4:5]
	s_waitcnt vmcnt(3)
	v_mad_i64_i32 v[4:5], s[8:9], v23, s45, v[4:5]
	v_add_u32_e32 v42, s13, v41
	v_add_u32_e32 v43, s13, v51
	v_lshl_add_u64 v[4:5], v[4:5], 0, v[24:25]
	v_ashrrev_i32_e32 v24, 5, v42
	v_ashrrev_i32_e32 v25, 5, v43
	global_load_dwordx4 v[42:45], v[34:35], off offset:2048
	v_or_b32_e32 v40, 64, v39
	v_add_u32_e32 v22, s13, v39
	v_mov_b32_e32 v38, s19
	v_add_u32_e32 v23, s13, v40
	v_ashrrev_i32_e32 v22, 5, v22
	v_cmp_gt_i32_e32 vcc, s5, v39
	v_ashrrev_i32_e32 v23, 5, v23
	v_lshl_add_u64 v[2:3], v[36:37], 0, v[2:3]
	v_cndmask_b32_e32 v50, v38, v22, vcc
	v_cmp_gt_i32_e32 vcc, s5, v40
	v_lshl_add_u64 v[2:3], v[2:3], 0, v[58:59]
	v_lshl_add_u64 v[36:37], v[4:5], 0, v[58:59]
	v_cndmask_b32_e32 v52, v38, v23, vcc
	v_cmp_gt_i32_e32 vcc, s5, v41
	v_ashrrev_i32_e32 v53, 31, v52
	v_lshl_add_u64 v[52:53], v[52:53], 2, s[6:7]
	v_cndmask_b32_e32 v62, v38, v24, vcc
	v_cmp_gt_i32_e32 vcc, s5, v51
	v_ashrrev_i32_e32 v51, 31, v50
	v_ashrrev_i32_e32 v63, 31, v62
	v_cndmask_b32_e32 v64, v38, v25, vcc
	global_load_dwordx4 v[22:25], v[2:3], off
	s_nop 0
	global_load_dwordx4 v[2:5], v[2:3], off offset:2048
	s_nop 0
	global_load_dwordx4 v[38:41], v[36:37], off
	s_nop 0
	global_load_dwordx4 v[34:37], v[36:37], off offset:2048
	v_ashrrev_i32_e32 v65, 31, v64
	v_lshl_add_u64 v[50:51], v[50:51], 2, s[6:7]
	v_lshl_add_u64 v[66:67], v[62:63], 2, s[6:7]
	;; [unrolled: 1-line block ×3, first 2 shown]
	global_load_dword v65, v[50:51], off
	global_load_dword v63, v[52:53], off
	;; [unrolled: 1-line block ×4, first 2 shown]
	s_add_u32 s6, s10, s12
	s_addc_u32 s7, s11, 0
	v_and_b32_e32 v58, 16, v0
	v_lshl_or_b32 v64, v57, 4, v56
	s_load_dword s4, s[0:1], 0x1c
	s_mov_b32 s33, 0xff7fffff
	s_waitcnt vmcnt(11)
	v_cvt_pk_f32_fp8_e32 v[50:51], v10
	v_cvt_pk_f32_fp8_sdwa v[52:53], v10 src0_sel:WORD_1
	v_cvt_pk_f32_fp8_e32 v[66:67], v11
	v_cvt_pk_f32_fp8_sdwa v[10:11], v11 src0_sel:WORD_1
	v_cvt_pkrtz_f16_f32 v50, v50, v51
	v_cvt_pkrtz_f16_f32 v51, v52, v53
	v_cvt_pk_f32_fp8_e32 v[68:69], v12
	v_cvt_pk_f32_fp8_sdwa v[70:71], v12 src0_sel:WORD_1
	v_cvt_pkrtz_f16_f32 v66, v66, v67
	v_cvt_pkrtz_f16_f32 v67, v10, v11
	s_waitcnt lgkmcnt(0)
	v_mfma_f32_16x16x16_f16 v[50:53], v[50:51], v[26:27], 0
	v_cvt_pk_f32_fp8_e32 v[72:73], v13
	v_cvt_pk_f32_fp8_sdwa v[74:75], v13 src0_sel:WORD_1
	v_cvt_pkrtz_f16_f32 v68, v68, v69
	v_cvt_pkrtz_f16_f32 v69, v70, v71
	v_mfma_f32_16x16x16_f16 v[10:13], v[66:67], v[28:29], v[50:53]
	s_waitcnt vmcnt(10)
	v_cvt_pk_f32_fp8_sdwa v[66:67], v30 src0_sel:WORD_1
	s_waitcnt vmcnt(6)
	v_cvt_pk_f32_fp8_sdwa v[78:79], v5 src0_sel:WORD_1
	v_cvt_pkrtz_f16_f32 v50, v72, v73
	v_cvt_pk_f32_fp8_e32 v[52:53], v30
	v_cvt_pkrtz_f16_f32 v51, v74, v75
	v_mfma_f32_16x16x16_f16 v[10:13], v[68:69], v[18:19], v[10:13]
	v_cvt_pk_f32_fp8_sdwa v[68:69], v42 src0_sel:WORD_1
	v_cvt_pkrtz_f16_f32 v52, v52, v53
	v_cvt_pkrtz_f16_f32 v53, v66, v67
	v_cvt_pk_f32_fp8_e32 v[66:67], v31
	v_cvt_pk_f32_fp8_sdwa v[30:31], v31 src0_sel:WORD_1
	v_mfma_f32_16x16x16_f16 v[10:13], v[50:51], v[20:21], v[10:13]
	v_cvt_pk_f32_fp8_e32 v[72:73], v3
	v_cvt_pkrtz_f16_f32 v50, v66, v67
	v_cvt_pkrtz_f16_f32 v51, v30, v31
	v_mfma_f32_16x16x16_f16 v[10:13], v[52:53], v[14:15], v[10:13]
	v_cvt_pk_f32_fp8_e32 v[30:31], v32
	v_cvt_pk_f32_fp8_sdwa v[52:53], v32 src0_sel:WORD_1
	v_cvt_pk_f32_fp8_sdwa v[66:67], v46 src0_sel:WORD_1
	v_mfma_f32_16x16x16_f16 v[10:13], v[50:51], v[16:17], v[10:13]
	v_cvt_pkrtz_f16_f32 v30, v30, v31
	v_cvt_pkrtz_f16_f32 v31, v52, v53
	v_cvt_pk_f32_fp8_e32 v[50:51], v33
	v_cvt_pk_f32_fp8_sdwa v[32:33], v33 src0_sel:WORD_1
	v_cvt_pk_f32_fp8_e32 v[52:53], v46
	v_mfma_f32_16x16x16_f16 v[10:13], v[30:31], v[6:7], v[10:13]
	v_cvt_pkrtz_f16_f32 v50, v50, v51
	v_cvt_pkrtz_f16_f32 v51, v32, v33
	;; [unrolled: 1-line block ×4, first 2 shown]
	v_cvt_pk_f32_fp8_e32 v[32:33], v47
	v_cvt_pk_f32_fp8_sdwa v[46:47], v47 src0_sel:WORD_1
	v_mfma_f32_16x16x16_f16 v[50:53], v[50:51], v[8:9], v[10:13]
	v_cvt_pk_f32_fp8_sdwa v[66:67], v48 src0_sel:WORD_1
	v_cvt_pkrtz_f16_f32 v32, v32, v33
	v_cvt_pkrtz_f16_f32 v33, v46, v47
	v_mfma_f32_16x16x16_f16 v[10:13], v[30:31], v[26:27], 0
	v_cvt_pk_f32_fp8_e32 v[30:31], v48
	v_lshl_add_u64 v[46:47], s[6:7], 0, v[58:59]
	v_lshlrev_b32_e32 v58, 5, v64
	v_mfma_f32_16x16x16_f16 v[10:13], v[32:33], v[28:29], v[10:13]
	v_cvt_pk_f32_fp8_e32 v[32:33], v49
	v_cvt_pkrtz_f16_f32 v30, v30, v31
	v_cvt_pkrtz_f16_f32 v31, v66, v67
	v_cvt_pk_f32_fp8_sdwa v[48:49], v49 src0_sel:WORD_1
	v_cvt_pkrtz_f16_f32 v32, v32, v33
	v_cvt_pk_f32_fp8_e32 v[66:67], v42
	v_mfma_f32_16x16x16_f16 v[10:13], v[30:31], v[18:19], v[10:13]
	v_cvt_pkrtz_f16_f32 v33, v48, v49
	v_cvt_pkrtz_f16_f32 v30, v66, v67
	;; [unrolled: 1-line block ×3, first 2 shown]
	v_cvt_pk_f32_fp8_e32 v[48:49], v43
	v_cvt_pk_f32_fp8_sdwa v[42:43], v43 src0_sel:WORD_1
	v_mfma_f32_16x16x16_f16 v[10:13], v[32:33], v[20:21], v[10:13]
	v_lshl_add_u64 v[66:67], v[46:47], 0, v[58:59]
	v_cvt_pkrtz_f16_f32 v32, v48, v49
	v_cvt_pkrtz_f16_f32 v33, v42, v43
	v_mfma_f32_16x16x16_f16 v[10:13], v[30:31], v[14:15], v[10:13]
	v_cvt_pk_f32_fp8_e32 v[30:31], v44
	v_cvt_pk_f32_fp8_sdwa v[42:43], v44 src0_sel:WORD_1
	v_cvt_pk_f32_fp8_sdwa v[48:49], v22 src0_sel:WORD_1
	v_mfma_f32_16x16x16_f16 v[10:13], v[32:33], v[16:17], v[10:13]
	v_cvt_pkrtz_f16_f32 v30, v30, v31
	v_cvt_pkrtz_f16_f32 v31, v42, v43
	v_cvt_pk_f32_fp8_e32 v[32:33], v45
	v_cvt_pk_f32_fp8_sdwa v[42:43], v45 src0_sel:WORD_1
	v_cvt_pk_f32_fp8_e32 v[44:45], v22
	v_mfma_f32_16x16x16_f16 v[10:13], v[30:31], v[6:7], v[10:13]
	v_cvt_pkrtz_f16_f32 v32, v32, v33
	v_cvt_pkrtz_f16_f32 v33, v42, v43
	;; [unrolled: 1-line block ×4, first 2 shown]
	v_cvt_pk_f32_fp8_e32 v[48:49], v23
	v_cvt_pk_f32_fp8_sdwa v[22:23], v23 src0_sel:WORD_1
	v_mfma_f32_16x16x16_f16 v[42:45], v[32:33], v[8:9], v[10:13]
	s_waitcnt vmcnt(2)
	v_mad_i64_i32 v[68:69], s[6:7], v63, s45, v[66:67]
	v_cvt_pkrtz_f16_f32 v32, v48, v49
	v_cvt_pkrtz_f16_f32 v33, v22, v23
	v_mfma_f32_16x16x16_f16 v[10:13], v[30:31], v[26:27], 0
	v_cvt_pk_f32_fp8_e32 v[22:23], v24
	v_cvt_pk_f32_fp8_sdwa v[30:31], v24 src0_sel:WORD_1
	v_mad_i64_i32 v[48:49], s[6:7], v65, s45, v[66:67]
	v_cvt_pkrtz_f16_f32 v22, v22, v23
	v_cvt_pkrtz_f16_f32 v23, v30, v31
	v_cvt_pk_f32_fp8_e32 v[30:31], v25
	v_cvt_pk_f32_fp8_sdwa v[24:25], v25 src0_sel:WORD_1
	v_mfma_f32_16x16x16_f16 v[10:13], v[32:33], v[28:29], v[10:13]
	s_waitcnt vmcnt(0)
	v_mad_i64_i32 v[74:75], s[6:7], v62, s45, v[66:67]
	v_cvt_pkrtz_f16_f32 v70, v30, v31
	v_cvt_pkrtz_f16_f32 v71, v24, v25
	v_mfma_f32_16x16x16_f16 v[10:13], v[22:23], v[18:19], v[10:13]
	global_load_dwordx4 v[30:33], v[48:49], off
	global_load_dwordx4 v[22:25], v[68:69], off
	v_cvt_pk_f32_fp8_e32 v[68:69], v2
	v_mad_i64_i32 v[48:49], s[6:7], v55, s45, v[66:67]
	v_mfma_f32_16x16x16_f16 v[10:13], v[70:71], v[20:21], v[10:13]
	v_cvt_pk_f32_fp8_sdwa v[70:71], v2 src0_sel:WORD_1
	v_cvt_pk_f32_fp8_sdwa v[2:3], v3 src0_sel:WORD_1
	v_cvt_pkrtz_f16_f32 v68, v68, v69
	v_or_b32_e32 v58, 0x800, v58
	v_cvt_pkrtz_f16_f32 v69, v70, v71
	v_cvt_pkrtz_f16_f32 v70, v72, v73
	;; [unrolled: 1-line block ×3, first 2 shown]
	v_cvt_pk_f32_fp8_e32 v[2:3], v4
	v_cvt_pk_f32_fp8_sdwa v[72:73], v4 src0_sel:WORD_1
	v_mfma_f32_16x16x16_f16 v[66:69], v[68:69], v[14:15], v[10:13]
	v_lshl_add_u64 v[46:47], v[46:47], 0, v[58:59]
	v_cvt_pkrtz_f16_f32 v76, v2, v3
	v_cvt_pkrtz_f16_f32 v77, v72, v73
	v_cvt_pk_f32_fp8_e32 v[72:73], v5
	v_mfma_f32_16x16x16_f16 v[66:69], v[70:71], v[16:17], v[66:69]
	global_load_dwordx4 v[10:13], v[48:49], off
	global_load_dwordx4 v[2:5], v[74:75], off
	v_cvt_pkrtz_f16_f32 v49, v78, v79
	v_cvt_pkrtz_f16_f32 v48, v72, v73
	v_mfma_f32_16x16x16_f16 v[66:69], v[76:77], v[6:7], v[66:69]
	v_cvt_pk_f32_fp8_e32 v[58:59], v38
	v_cvt_pk_f32_fp8_sdwa v[70:71], v38 src0_sel:WORD_1
	v_cvt_pk_f32_fp8_e32 v[74:75], v40
	v_mfma_f32_16x16x16_f16 v[66:69], v[48:49], v[8:9], v[66:69]
	v_cvt_pk_f32_fp8_e32 v[48:49], v39
	v_cvt_pkrtz_f16_f32 v58, v58, v59
	v_cvt_pkrtz_f16_f32 v59, v70, v71
	v_cvt_pk_f32_fp8_sdwa v[38:39], v39 src0_sel:WORD_1
	v_cvt_pkrtz_f16_f32 v48, v48, v49
	v_cvt_pk_f32_fp8_sdwa v[76:77], v40 src0_sel:WORD_1
	v_mfma_f32_16x16x16_f16 v[70:73], v[58:59], v[26:27], 0
	v_cvt_pkrtz_f16_f32 v49, v38, v39
	v_cvt_pkrtz_f16_f32 v38, v74, v75
	;; [unrolled: 1-line block ×3, first 2 shown]
	v_cvt_pk_f32_fp8_e32 v[58:59], v41
	v_cvt_pk_f32_fp8_sdwa v[40:41], v41 src0_sel:WORD_1
	v_mfma_f32_16x16x16_f16 v[26:29], v[48:49], v[28:29], v[70:73]
	s_load_dword s6, s[40:41], 0x0
	v_cvt_pkrtz_f16_f32 v48, v58, v59
	v_cvt_pkrtz_f16_f32 v49, v40, v41
	v_mfma_f32_16x16x16_f16 v[26:29], v[38:39], v[18:19], v[26:29]
	v_mov_b32_e32 v70, s4
	s_waitcnt lgkmcnt(0)
	v_mul_f32_e32 v40, s6, v70
	v_pk_mul_f32 v[38:39], v[40:41], v[52:53] op_sel_hi:[0,1]
	v_mfma_f32_16x16x16_f16 v[18:21], v[48:49], v[20:21], v[26:29]
	v_cvt_pk_f32_fp8_e32 v[48:49], v35
	v_pk_mul_f32 v[50:51], v[40:41], v[50:51] op_sel_hi:[0,1]
	v_pk_mul_f32 v[52:53], v[40:41], v[42:43] op_sel_hi:[0,1]
	v_cvt_pk_f32_fp8_e32 v[26:27], v34
	v_cvt_pk_f32_fp8_sdwa v[28:29], v34 src0_sel:WORD_1
	v_cvt_pk_f32_fp8_sdwa v[34:35], v35 src0_sel:WORD_1
	v_pk_mul_f32 v[42:43], v[40:41], v[66:67] op_sel_hi:[0,1]
	v_cvt_pkrtz_f16_f32 v26, v26, v27
	v_cvt_pkrtz_f16_f32 v27, v28, v29
	;; [unrolled: 1-line block ×4, first 2 shown]
	v_cvt_pk_f32_fp8_e32 v[34:35], v36
	v_cvt_pk_f32_fp8_sdwa v[48:49], v36 src0_sel:WORD_1
	v_mfma_f32_16x16x16_f16 v[18:21], v[26:27], v[14:15], v[18:21]
	v_mad_i64_i32 v[58:59], s[6:7], v65, s45, v[46:47]
	v_cvt_pkrtz_f16_f32 v26, v34, v35
	v_cvt_pkrtz_f16_f32 v27, v48, v49
	v_cvt_pk_f32_fp8_e32 v[34:35], v37
	v_cvt_pk_f32_fp8_sdwa v[36:37], v37 src0_sel:WORD_1
	v_mfma_f32_16x16x16_f16 v[14:17], v[28:29], v[16:17], v[18:21]
	v_pk_mul_f32 v[48:49], v[40:41], v[44:45] op_sel_hi:[0,1]
	v_pk_mul_f32 v[44:45], v[40:41], v[68:69] op_sel_hi:[0,1]
	s_nop 0
	v_cvt_pkrtz_f16_f32 v18, v34, v35
	v_cvt_pkrtz_f16_f32 v19, v36, v37
	v_mfma_f32_16x16x16_f16 v[14:17], v[26:27], v[6:7], v[14:17]
	s_nop 0
	v_mfma_f32_16x16x16_f16 v[6:9], v[18:19], v[8:9], v[14:17]
	s_nop 6
	v_pk_mul_f32 v[34:35], v[40:41], v[8:9] op_sel_hi:[0,1]
	v_pk_mul_f32 v[40:41], v[40:41], v[6:7] op_sel_hi:[0,1]
	v_and_b32_e32 v6, 0xc0, v0
	v_add_u32_e32 v6, s18, v6
	v_lshl_or_b32 v6, v60, 2, v6
	v_or_b32_e32 v9, 1, v6
	v_mov_b32_e32 v7, 0xff7fffff
	v_cmp_gt_i32_e64 s[24:25], s5, v6
	v_cmp_gt_i32_e64 s[26:27], s5, v9
	v_or_b32_e32 v14, 3, v6
	v_cndmask_b32_e64 v8, v7, v50, s[24:25]
	v_cndmask_b32_e64 v9, v7, v51, s[26:27]
	v_max3_f32 v8, v8, s33, v9
	v_or_b32_e32 v9, 2, v6
	v_cmp_gt_i32_e64 s[28:29], s5, v9
	v_cmp_gt_i32_e64 s[30:31], s5, v14
	s_nop 0
	v_cndmask_b32_e64 v9, v7, v38, s[28:29]
	v_cndmask_b32_e64 v14, v7, v39, s[30:31]
	v_max3_f32 v8, v8, v9, v14
	v_or_b32_e32 v9, 16, v6
	v_or_b32_e32 v14, 17, v6
	v_cmp_gt_i32_e64 s[34:35], s5, v9
	v_cmp_gt_i32_e64 s[36:37], s5, v14
	s_nop 0
	v_cndmask_b32_e64 v9, v7, v52, s[34:35]
	v_cndmask_b32_e64 v14, v7, v53, s[36:37]
	v_max3_f32 v8, v8, v9, v14
	v_or_b32_e32 v9, 18, v6
	;; [unrolled: 8-line block ×6, first 2 shown]
	v_or_b32_e32 v6, 51, v6
	v_cmp_gt_i32_e32 vcc, s5, v9
	v_cmp_gt_i32_e64 s[4:5], s5, v6
	s_nop 0
	v_cndmask_b32_e32 v9, v7, v34, vcc
	v_cndmask_b32_e64 v6, v7, v35, s[4:5]
	v_max3_f32 v8, v8, v9, v6
	v_mbcnt_lo_u32_b32 v6, -1, 0
	v_mbcnt_hi_u32_b32 v9, -1, v6
	v_and_b32_e32 v6, 64, v9
	v_add_u32_e32 v14, 64, v6
	v_xor_b32_e32 v6, 32, v9
	v_cmp_lt_i32_e64 s[38:39], v6, v14
	s_nop 1
	v_cndmask_b32_e64 v6, v9, v6, s[38:39]
	v_lshlrev_b32_e32 v65, 2, v6
	ds_bpermute_b32 v15, v65, v8
	v_mad_i64_i32 v[6:7], s[38:39], v63, s45, v[46:47]
	global_load_dwordx4 v[26:29], v[58:59], off
	global_load_dwordx4 v[18:21], v[6:7], off
	s_waitcnt lgkmcnt(0)
	v_max_f32_e32 v6, v15, v15
	v_max_f32_e32 v15, v8, v6
	v_xor_b32_e32 v6, 16, v9
	v_cmp_lt_i32_e64 s[38:39], v6, v14
	s_nop 1
	v_cndmask_b32_e64 v6, v9, v6, s[38:39]
	v_lshlrev_b32_e32 v58, 2, v6
	ds_bpermute_b32 v14, v58, v15
	v_mad_i64_i32 v[6:7], s[38:39], v55, s45, v[46:47]
	v_mad_i64_i32 v[8:9], s[38:39], v62, s45, v[46:47]
	s_waitcnt lgkmcnt(0)
	v_max_f32_e32 v14, v14, v14
	v_max_f32_e32 v55, v15, v14
	v_sub_f32_e32 v14, v50, v55
	v_mul_f32_e32 v14, 0x3fb8aa3b, v14
	v_exp_f32_e32 v36, v14
	v_sub_f32_e32 v14, v51, v55
	v_mul_f32_e32 v14, 0x3fb8aa3b, v14
	v_exp_f32_e32 v37, v14
	global_load_dwordx4 v[14:17], v[6:7], off
	s_nop 0
	global_load_dwordx4 v[6:9], v[8:9], off
	v_sub_f32_e32 v38, v38, v55
	v_mul_f32_e32 v38, 0x3fb8aa3b, v38
	v_sub_f32_e32 v39, v39, v55
	v_exp_f32_e32 v38, v38
	v_mul_f32_e32 v39, 0x3fb8aa3b, v39
	v_exp_f32_e32 v39, v39
	v_cndmask_b32_e64 v36, 0, v36, s[24:25]
	v_add_f32_e32 v46, 0, v36
	v_cndmask_b32_e64 v37, 0, v37, s[26:27]
	v_add_f32_e32 v47, v46, v37
	;; [unrolled: 2-line block ×3, first 2 shown]
	v_cndmask_b32_e64 v47, 0, v39, s[30:31]
	v_sub_f32_e32 v39, v52, v55
	v_mul_f32_e32 v39, 0x3fb8aa3b, v39
	v_sub_f32_e32 v50, v53, v55
	v_exp_f32_e32 v39, v39
	v_mul_f32_e32 v50, 0x3fb8aa3b, v50
	v_sub_f32_e32 v48, v48, v55
	v_exp_f32_e32 v50, v50
	v_mul_f32_e32 v48, 0x3fb8aa3b, v48
	v_sub_f32_e32 v49, v49, v55
	v_exp_f32_e32 v48, v48
	v_mul_f32_e32 v49, 0x3fb8aa3b, v49
	v_sub_f32_e32 v42, v42, v55
	v_exp_f32_e32 v49, v49
	v_mul_f32_e32 v42, 0x3fb8aa3b, v42
	v_sub_f32_e32 v43, v43, v55
	v_add_f32_e32 v51, v38, v47
	v_cndmask_b32_e64 v38, 0, v39, s[34:35]
	v_exp_f32_e32 v42, v42
	v_mul_f32_e32 v43, 0x3fb8aa3b, v43
	v_sub_f32_e32 v44, v44, v55
	v_add_f32_e32 v51, v51, v38
	v_cndmask_b32_e64 v39, 0, v50, s[36:37]
	v_exp_f32_e32 v43, v43
	;; [unrolled: 5-line block ×7, first 2 shown]
	v_mul_f32_e32 v35, 0x3fb8aa3b, v35
	v_add_f32_e32 v50, v50, v44
	v_cndmask_b32_e64 v45, 0, v45, s[12:13]
	v_exp_f32_e32 v35, v35
	v_add_f32_e32 v50, v50, v45
	v_cndmask_b32_e64 v40, 0, v40, s[6:7]
	v_add_f32_e32 v50, v50, v40
	v_cndmask_b32_e64 v41, 0, v41, s[8:9]
	v_add_f32_e32 v50, v50, v41
	v_cndmask_b32_e32 v34, 0, v34, vcc
	v_add_f32_e32 v50, v50, v34
	v_cndmask_b32_e64 v35, 0, v35, s[4:5]
	v_add_f32_e32 v50, v50, v35
	ds_bpermute_b32 v51, v65, v50
	v_cmp_gt_u32_e64 s[4:5], 16, v61
	s_waitcnt lgkmcnt(0)
	s_barrier
	v_add_f32_e32 v50, v50, v51
	ds_bpermute_b32 v51, v58, v50
	s_and_saveexec_b64 s[6:7], s[4:5]
	s_cbranch_execz .LBB1076_13
; %bb.12:
	s_waitcnt lgkmcnt(0)
	v_add_f32_e32 v50, v50, v51
	v_lshlrev_b32_e32 v51, 2, v64
	ds_write2st64_b32 v51, v55, v50 offset1:1
.LBB1076_13:
	s_or_b64 exec, exec, s[6:7]
	s_waitcnt lgkmcnt(0)
	v_lshlrev_b32_e32 v51, 2, v56
	s_load_dword s8, s[0:1], 0x94
	s_waitcnt lgkmcnt(0)
	s_barrier
	ds_read2_b32 v[52:53], v51 offset1:16
	ds_read2_b32 v[58:59], v51 offset0:32 offset1:48
	ds_read2_b32 v[62:63], v51 offset0:64 offset1:80
	s_mul_i32 s9, s23, 9
	s_waitcnt lgkmcnt(2)
	v_max3_f32 v50, v52, s33, v53
	s_waitcnt lgkmcnt(1)
	v_max3_f32 v50, v50, v58, v59
	v_sub_f32_e32 v52, v52, v50
	v_mul_f32_e32 v52, 0x3fb8aa3b, v52
	v_exp_f32_e32 v55, v52
	v_sub_f32_e32 v52, v53, v50
	v_mul_f32_e32 v52, 0x3fb8aa3b, v52
	v_exp_f32_e32 v61, v52
	;; [unrolled: 3-line block ×3, first 2 shown]
	ds_read2_b32 v[52:53], v51 offset0:96 offset1:112
	v_sub_f32_e32 v51, v59, v50
	v_mul_f32_e32 v51, 0x3fb8aa3b, v51
	v_exp_f32_e32 v59, v51
	s_waitcnt lgkmcnt(1)
	v_fma_f32 v51, v55, v62, 0
	v_fmac_f32_e32 v51, v61, v63
	s_waitcnt lgkmcnt(0)
	v_fmac_f32_e32 v51, v58, v52
	v_fmac_f32_e32 v51, v59, v53
	v_add_f32_e32 v52, 0x358637bd, v51
	v_div_scale_f32 v53, s[6:7], v52, v52, 1.0
	v_rcp_f32_e32 v62, v53
	s_barrier
	v_fma_f32 v63, -v53, v62, 1.0
	v_fmac_f32_e32 v62, v63, v62
	v_div_scale_f32 v63, vcc, 1.0, v52, 1.0
	v_mul_f32_e32 v64, v63, v62
	v_fma_f32 v65, -v53, v64, v63
	v_fmac_f32_e32 v64, v65, v62
	v_fma_f32 v53, -v53, v64, v63
	v_div_fmas_f32 v53, v53, v62, v64
	v_cmp_eq_u32_e32 vcc, 1, v57
	v_div_fixup_f32 v52, v53, v52, 1.0
	s_nop 0
	v_cndmask_b32_e32 v53, v55, v61, vcc
	v_cmp_eq_u32_e32 vcc, 2, v57
	s_nop 1
	v_cndmask_b32_e32 v53, v53, v58, vcc
	v_cmp_eq_u32_e32 vcc, 3, v57
	s_nop 1
	v_cndmask_b32_e32 v53, v53, v59, vcc
	v_mul_f32_e32 v52, v53, v52
	v_pk_mul_f32 v[46:47], v[52:53], v[46:47] op_sel_hi:[0,1]
	v_pk_mul_f32 v[36:37], v[52:53], v[36:37] op_sel_hi:[0,1]
	v_cvt_f16_f32_e32 v53, v46
	v_cvt_f16_f32_e32 v36, v36
	;; [unrolled: 1-line block ×4, first 2 shown]
	v_pk_mul_f32 v[48:49], v[52:53], v[48:49] op_sel_hi:[0,1]
	v_pk_mul_f32 v[38:39], v[52:53], v[38:39] op_sel_hi:[0,1]
	v_cvt_f16_f32_e32 v38, v38
	v_cvt_f16_f32_e32 v39, v39
	;; [unrolled: 1-line block ×4, first 2 shown]
	v_pack_b32_f16 v46, v36, v37
	v_pack_b32_f16 v47, v53, v47
	v_lshlrev_b32_e32 v37, 3, v60
	v_lshlrev_b32_e32 v36, 5, v56
	;; [unrolled: 1-line block ×3, first 2 shown]
	v_or3_b32 v55, v53, v36, v37
	v_pack_b32_f16 v38, v38, v39
	v_pack_b32_f16 v39, v48, v49
	ds_write2st64_b64 v55, v[46:47], v[38:39] offset1:1
	v_pk_mul_f32 v[38:39], v[52:53], v[44:45] op_sel_hi:[0,1]
	v_pk_mul_f32 v[42:43], v[52:53], v[42:43] op_sel_hi:[0,1]
	v_cvt_f16_f32_e32 v37, v42
	v_cvt_f16_f32_e32 v42, v43
	;; [unrolled: 1-line block ×4, first 2 shown]
	v_pk_mul_f32 v[34:35], v[52:53], v[34:35] op_sel_hi:[0,1]
	v_pk_mul_f32 v[38:39], v[52:53], v[40:41] op_sel_hi:[0,1]
	v_cvt_f16_f32_e32 v38, v38
	v_cvt_f16_f32_e32 v39, v39
	;; [unrolled: 1-line block ×4, first 2 shown]
	v_pack_b32_f16 v34, v37, v42
	v_pack_b32_f16 v35, v43, v44
	;; [unrolled: 1-line block ×4, first 2 shown]
	v_cmp_gt_u32_e32 vcc, 9, v0
	ds_write2st64_b64 v55, v[34:35], v[38:39] offset0:2 offset1:3
	s_and_saveexec_b64 s[6:7], vcc
	s_cbranch_execz .LBB1076_15
; %bb.14:
	s_mov_b32 s49, 0
	v_mov_b32_e32 v57, 0
	v_lshl_add_u64 v[34:35], s[48:49], 0, v[56:57]
	v_mov_b32_e32 v37, s9
	v_mad_u64_u32 v[34:35], s[10:11], s2, v37, v[34:35]
	s_mul_i32 s3, s3, s9
	v_mov_b32_e32 v38, s22
	v_mov_b32_e32 v39, v57
	s_load_dwordx4 s[12:15], s[0:1], 0x58
	v_add_u32_e32 v37, s3, v35
	v_mad_u64_u32 v[34:35], s[10:11], v34, s8, v[38:39]
	v_mov_b32_e32 v38, v35
	v_mad_u64_u32 v[38:39], s[10:11], v37, s8, v[38:39]
	v_mov_b32_e32 v35, v38
	v_lshlrev_b64 v[34:35], 2, v[34:35]
	s_waitcnt lgkmcnt(0)
	v_lshl_add_u64 v[38:39], s[14:15], 0, v[34:35]
	v_lshl_add_u64 v[34:35], s[12:13], 0, v[34:35]
	global_store_dword v[38:39], v50, off
	global_store_dword v[34:35], v51, off
.LBB1076_15:
	s_or_b64 exec, exec, s[6:7]
	s_waitcnt vmcnt(7)
	v_cvt_pk_f32_fp8_e32 v[34:35], v30
	v_lshl_or_b32 v50, v60, 9, v36
	v_cvt_pk_f32_fp8_sdwa v[36:37], v30 src0_sel:WORD_1
	s_waitcnt lgkmcnt(0)
	s_barrier
	v_cvt_pk_f32_fp8_e32 v[38:39], v31
	v_cvt_pkrtz_f16_f32 v30, v34, v35
	v_cvt_pk_f32_fp8_sdwa v[40:41], v31 src0_sel:WORD_1
	v_cvt_pkrtz_f16_f32 v31, v36, v37
	ds_read_b128 v[34:37], v50
	v_cvt_pkrtz_f16_f32 v46, v38, v39
	v_cvt_pkrtz_f16_f32 v47, v40, v41
	ds_read_b128 v[38:41], v50 offset:16
	v_cvt_pk_f32_fp8_e32 v[48:49], v32
	v_cvt_pk_f32_fp8_sdwa v[52:53], v32 src0_sel:WORD_1
	s_waitcnt lgkmcnt(1)
	v_mfma_f32_16x16x16_f16 v[42:45], v[30:31], v[34:35], 0
	s_waitcnt vmcnt(6)
	v_cvt_pk_f32_fp8_e32 v[58:59], v24
	v_cvt_pkrtz_f16_f32 v30, v48, v49
	v_cvt_pkrtz_f16_f32 v31, v52, v53
	v_cvt_pk_f32_fp8_e32 v[48:49], v33
	v_mfma_f32_16x16x16_f16 v[42:45], v[46:47], v[36:37], v[42:45]
	v_cvt_pk_f32_fp8_sdwa v[46:47], v33 src0_sel:WORD_1
	v_cvt_pk_f32_fp8_sdwa v[62:63], v24 src0_sel:WORD_1
	v_cvt_pkrtz_f16_f32 v48, v48, v49
	s_waitcnt lgkmcnt(0)
	v_mfma_f32_16x16x16_f16 v[30:33], v[30:31], v[38:39], v[42:45]
	v_cvt_pkrtz_f16_f32 v49, v46, v47
	s_waitcnt vmcnt(5)
	v_cvt_pk_f32_fp8_sdwa v[66:67], v12 src0_sel:WORD_1
	s_waitcnt vmcnt(4)
	v_cvt_pk_f32_fp8_sdwa v[68:69], v4 src0_sel:WORD_1
	v_cvt_pk_f32_fp8_e32 v[42:43], v22
	v_mfma_f32_16x16x16_f16 v[46:49], v[48:49], v[40:41], v[30:33]
	s_waitcnt vmcnt(3)
	v_cvt_pk_f32_fp8_sdwa v[70:71], v28 src0_sel:WORD_1
	s_load_dword s6, s[42:43], 0x0
	v_cvt_pk_f32_fp8_sdwa v[30:31], v22 src0_sel:WORD_1
	v_cvt_pk_f32_fp8_e32 v[32:33], v23
	v_cvt_pkrtz_f16_f32 v22, v42, v43
	v_cvt_pk_f32_fp8_sdwa v[42:43], v23 src0_sel:WORD_1
	v_cvt_pkrtz_f16_f32 v23, v30, v31
	v_cvt_pkrtz_f16_f32 v52, v32, v33
	ds_read_b128 v[30:33], v50 offset:2048
	v_cvt_pkrtz_f16_f32 v53, v42, v43
	ds_read_b128 v[42:45], v50 offset:2064
	s_waitcnt lgkmcnt(0)
	v_mfma_f32_16x16x16_f16 v[46:49], v[22:23], v[30:31], v[46:49]
	v_cvt_pkrtz_f16_f32 v22, v58, v59
	v_cvt_pkrtz_f16_f32 v23, v62, v63
	v_cvt_pk_f32_fp8_e32 v[58:59], v25
	v_mfma_f32_16x16x16_f16 v[46:49], v[52:53], v[32:33], v[46:49]
	v_cvt_pk_f32_fp8_sdwa v[52:53], v25 src0_sel:WORD_1
	s_mov_b32 s3, 0
	v_cvt_pkrtz_f16_f32 v58, v58, v59
	v_mfma_f32_16x16x16_f16 v[22:25], v[22:23], v[42:43], v[46:49]
	v_cvt_pkrtz_f16_f32 v59, v52, v53
	v_cmp_gt_u32_e32 vcc, 64, v0
	s_nop 0
	v_cvt_pk_f32_fp8_e32 v[46:47], v10
	v_mfma_f32_16x16x16_f16 v[62:65], v[58:59], v[44:45], v[22:25]
	v_cvt_pk_f32_fp8_e32 v[58:59], v12
	s_nop 1
	v_cvt_pk_f32_fp8_sdwa v[22:23], v10 src0_sel:WORD_1
	v_cvt_pk_f32_fp8_e32 v[24:25], v11
	v_cvt_pkrtz_f16_f32 v10, v46, v47
	v_cvt_pk_f32_fp8_sdwa v[46:47], v11 src0_sel:WORD_1
	v_cvt_pkrtz_f16_f32 v11, v22, v23
	v_cvt_pkrtz_f16_f32 v52, v24, v25
	ds_read_b128 v[22:25], v50 offset:4096
	v_cvt_pkrtz_f16_f32 v53, v46, v47
	ds_read_b128 v[46:49], v50 offset:4112
	s_waitcnt lgkmcnt(1)
	v_mfma_f32_16x16x16_f16 v[62:65], v[10:11], v[22:23], v[62:65]
	v_cvt_pkrtz_f16_f32 v10, v58, v59
	v_cvt_pkrtz_f16_f32 v11, v66, v67
	v_cvt_pk_f32_fp8_e32 v[58:59], v13
	v_mfma_f32_16x16x16_f16 v[62:65], v[52:53], v[24:25], v[62:65]
	v_cvt_pk_f32_fp8_sdwa v[52:53], v13 src0_sel:WORD_1
	v_cvt_pk_f32_fp8_e32 v[66:67], v4
	v_cvt_pkrtz_f16_f32 v58, v58, v59
	s_waitcnt lgkmcnt(0)
	v_mfma_f32_16x16x16_f16 v[10:13], v[10:11], v[46:47], v[62:65]
	v_cvt_pkrtz_f16_f32 v59, v52, v53
	v_cvt_pk_f32_fp8_e32 v[52:53], v2
	s_nop 0
	v_mfma_f32_16x16x16_f16 v[62:65], v[58:59], v[48:49], v[10:13]
	s_nop 2
	v_cvt_pk_f32_fp8_sdwa v[10:11], v2 src0_sel:WORD_1
	v_cvt_pk_f32_fp8_e32 v[12:13], v3
	v_cvt_pkrtz_f16_f32 v2, v52, v53
	v_cvt_pk_f32_fp8_sdwa v[52:53], v3 src0_sel:WORD_1
	v_cvt_pkrtz_f16_f32 v3, v10, v11
	v_cvt_pkrtz_f16_f32 v58, v12, v13
	ds_read_b128 v[10:13], v50 offset:6144
	v_cvt_pkrtz_f16_f32 v59, v52, v53
	s_waitcnt lgkmcnt(0)
	v_mfma_f32_16x16x16_f16 v[62:65], v[2:3], v[10:11], v[62:65]
	ds_read_b128 v[50:53], v50 offset:6160
	v_cvt_pkrtz_f16_f32 v2, v66, v67
	v_cvt_pkrtz_f16_f32 v3, v68, v69
	v_cvt_pk_f32_fp8_e32 v[66:67], v5
	v_mfma_f32_16x16x16_f16 v[62:65], v[58:59], v[12:13], v[62:65]
	v_cvt_pk_f32_fp8_sdwa v[58:59], v5 src0_sel:WORD_1
	v_cvt_pk_f32_fp8_e32 v[68:69], v28
	v_cvt_pkrtz_f16_f32 v66, v66, v67
	s_waitcnt lgkmcnt(0)
	v_mfma_f32_16x16x16_f16 v[2:5], v[2:3], v[50:51], v[62:65]
	v_cvt_pkrtz_f16_f32 v67, v58, v59
	v_cvt_pk_f32_fp8_e32 v[58:59], v26
	s_nop 0
	v_cvt_pk_f32_fp8_sdwa v[62:63], v26 src0_sel:WORD_1
	v_cvt_pk_f32_fp8_e32 v[64:65], v27
	v_cvt_pkrtz_f16_f32 v58, v58, v59
	v_cvt_pk_f32_fp8_sdwa v[26:27], v27 src0_sel:WORD_1
	v_cvt_pkrtz_f16_f32 v59, v62, v63
	v_mfma_f32_16x16x16_f16 v[2:5], v[66:67], v[52:53], v[2:5]
	v_cvt_pkrtz_f16_f32 v66, v64, v65
	v_cvt_pkrtz_f16_f32 v67, v26, v27
	;; [unrolled: 1-line block ×3, first 2 shown]
	v_mfma_f32_16x16x16_f16 v[62:65], v[58:59], v[34:35], 0
	v_cvt_pkrtz_f16_f32 v27, v70, v71
	v_cvt_pk_f32_fp8_e32 v[58:59], v29
	s_barrier
	v_mfma_f32_16x16x16_f16 v[34:37], v[66:67], v[36:37], v[62:65]
	v_cvt_pkrtz_f16_f32 v58, v58, v59
	s_nop 1
	v_cvt_pk_f32_fp8_sdwa v[62:63], v29 src0_sel:WORD_1
	v_mfma_f32_16x16x16_f16 v[26:29], v[26:27], v[38:39], v[34:37]
	s_waitcnt vmcnt(2)
	v_cvt_pk_f32_fp8_e32 v[38:39], v19
	v_cvt_pkrtz_f16_f32 v59, v62, v63
	v_cvt_pk_f32_fp8_e32 v[34:35], v18
	v_cvt_pk_f32_fp8_sdwa v[36:37], v18 src0_sel:WORD_1
	v_cvt_pk_f32_fp8_sdwa v[18:19], v19 src0_sel:WORD_1
	v_mfma_f32_16x16x16_f16 v[26:29], v[58:59], v[40:41], v[26:29]
	v_cvt_pkrtz_f16_f32 v34, v34, v35
	v_cvt_pkrtz_f16_f32 v35, v36, v37
	;; [unrolled: 1-line block ×3, first 2 shown]
	v_cvt_pk_f32_fp8_e32 v[38:39], v20
	v_cvt_pk_f32_fp8_sdwa v[40:41], v20 src0_sel:WORD_1
	v_cvt_pkrtz_f16_f32 v37, v18, v19
	v_mfma_f32_16x16x16_f16 v[26:29], v[34:35], v[30:31], v[26:29]
	v_cvt_pkrtz_f16_f32 v30, v38, v39
	v_cvt_pkrtz_f16_f32 v31, v40, v41
	v_cvt_pk_f32_fp8_e32 v[34:35], v21
	v_cvt_pk_f32_fp8_sdwa v[38:39], v21 src0_sel:WORD_1
	v_mfma_f32_16x16x16_f16 v[18:21], v[36:37], v[32:33], v[26:29]
	s_waitcnt vmcnt(1)
	v_cvt_pk_f32_fp8_sdwa v[32:33], v16 src0_sel:WORD_1
	s_nop 0
	v_cvt_pkrtz_f16_f32 v26, v34, v35
	v_cvt_pkrtz_f16_f32 v27, v38, v39
	v_mfma_f32_16x16x16_f16 v[18:21], v[30:31], v[42:43], v[18:21]
	v_cvt_pk_f32_fp8_e32 v[28:29], v14
	v_cvt_pk_f32_fp8_sdwa v[30:31], v14 src0_sel:WORD_1
	v_cvt_pkrtz_f16_f32 v28, v28, v29
	v_mfma_f32_16x16x16_f16 v[18:21], v[26:27], v[44:45], v[18:21]
	v_cvt_pk_f32_fp8_e32 v[26:27], v15
	v_cvt_pkrtz_f16_f32 v29, v30, v31
	v_cvt_pk_f32_fp8_sdwa v[14:15], v15 src0_sel:WORD_1
	v_cvt_pk_f32_fp8_e32 v[30:31], v16
	v_cvt_pkrtz_f16_f32 v26, v26, v27
	v_mfma_f32_16x16x16_f16 v[18:21], v[28:29], v[22:23], v[18:21]
	v_cvt_pkrtz_f16_f32 v27, v14, v15
	v_cvt_pkrtz_f16_f32 v22, v30, v31
	;; [unrolled: 1-line block ×3, first 2 shown]
	v_cvt_pk_f32_fp8_e32 v[28:29], v17
	v_cvt_pk_f32_fp8_sdwa v[30:31], v17 src0_sel:WORD_1
	v_mfma_f32_16x16x16_f16 v[14:17], v[26:27], v[24:25], v[18:21]
	s_waitcnt vmcnt(0)
	v_cvt_pk_f32_fp8_sdwa v[24:25], v6 src0_sel:WORD_1
	s_nop 0
	v_pk_mul_f32 v[18:19], v[4:5], s[6:7] op_sel_hi:[1,0]
	v_cvt_pkrtz_f16_f32 v4, v28, v29
	v_cvt_pkrtz_f16_f32 v5, v30, v31
	v_mfma_f32_16x16x16_f16 v[14:17], v[22:23], v[46:47], v[14:17]
	v_cvt_pk_f32_fp8_e32 v[22:23], v6
	v_pk_mul_f32 v[20:21], v[2:3], s[6:7] op_sel_hi:[1,0]
	v_mfma_f32_16x16x16_f16 v[2:5], v[4:5], v[48:49], v[14:17]
	s_nop 3
	v_cvt_pk_f32_fp8_e32 v[14:15], v7
	v_cvt_pkrtz_f16_f32 v16, v22, v23
	v_cvt_pkrtz_f16_f32 v17, v24, v25
	v_cvt_pk_f32_fp8_sdwa v[6:7], v7 src0_sel:WORD_1
	v_cvt_pkrtz_f16_f32 v14, v14, v15
	v_cvt_pk_f32_fp8_e32 v[22:23], v8
	v_cvt_pk_f32_fp8_sdwa v[24:25], v8 src0_sel:WORD_1
	v_cvt_pkrtz_f16_f32 v15, v6, v7
	v_mfma_f32_16x16x16_f16 v[2:5], v[16:17], v[10:11], v[2:5]
	v_cvt_pkrtz_f16_f32 v6, v22, v23
	v_cvt_pkrtz_f16_f32 v7, v24, v25
	v_cvt_pk_f32_fp8_e32 v[10:11], v9
	v_cvt_pk_f32_fp8_sdwa v[8:9], v9 src0_sel:WORD_1
	v_mfma_f32_16x16x16_f16 v[2:5], v[14:15], v[12:13], v[2:5]
	v_cvt_f16_f32_e32 v12, v20
	v_cvt_pkrtz_f16_f32 v10, v10, v11
	v_cvt_pkrtz_f16_f32 v11, v8, v9
	v_mfma_f32_16x16x16_f16 v[2:5], v[6:7], v[50:51], v[2:5]
	v_cvt_f16_f32_e32 v6, v21
	v_cvt_f16_f32_e32 v7, v18
	;; [unrolled: 1-line block ×3, first 2 shown]
	v_mfma_f32_16x16x16_f16 v[2:5], v[10:11], v[52:53], v[2:5]
	s_nop 6
	v_pk_mul_f32 v[4:5], v[4:5], s[6:7] op_sel_hi:[1,0]
	v_pk_mul_f32 v[2:3], v[2:3], s[6:7] op_sel_hi:[1,0]
	v_cvt_f16_f32_e32 v11, v4
	v_cvt_f16_f32_e32 v9, v2
	;; [unrolled: 1-line block ×4, first 2 shown]
	v_pack_b32_f16 v2, v12, v6
	v_pack_b32_f16 v3, v7, v8
	;; [unrolled: 1-line block ×4, first 2 shown]
	ds_write2st64_b64 v55, v[2:3], v[4:5] offset1:1
	s_waitcnt lgkmcnt(0)
	s_barrier
	s_and_saveexec_b64 s[6:7], vcc
	s_cbranch_execz .LBB1076_18
; %bb.16:
	s_load_dwordx2 s[6:7], s[0:1], 0x68
	s_lshl_b32 s0, s8, 7
	s_mul_i32 s1, s9, s2
	v_lshlrev_b32_e32 v3, 6, v56
	s_mul_hi_u32 s9, s1, s0
	s_mul_i32 s8, s1, s0
	v_lshl_or_b32 v0, v0, 10, v3
	s_lshl_b64 s[8:9], s[8:9], 1
	v_lshlrev_b32_e32 v2, 5, v60
	v_and_b32_e32 v1, 16, v1
	v_and_b32_e32 v0, 0x1a00, v0
	s_waitcnt lgkmcnt(0)
	s_add_u32 s1, s6, s8
	v_or3_b32 v2, v0, v2, v1
	s_addc_u32 s6, s7, s9
	s_lshl_b32 s2, s22, 7
	s_lshl_b64 s[2:3], s[2:3], 1
	ds_read_b128 v[4:7], v2 offset:128
	ds_read_b128 v[8:11], v2
	s_add_u32 s2, s1, s2
	s_addc_u32 s3, s6, s3
	v_mov_b32_e32 v55, 0
	v_add_u32_e32 v3, s48, v60
	v_lshl_add_u64 v[0:1], s[2:3], 0, v[54:55]
	v_mad_u64_u32 v[12:13], s[2:3], v3, s0, 0
	v_lshl_add_u64 v[12:13], v[12:13], 1, v[0:1]
	v_add_u32_e32 v3, 4, v3
	s_waitcnt lgkmcnt(0)
	global_store_dwordx4 v[12:13], v[8:11], off
	s_nop 1
	v_mad_u64_u32 v[8:9], s[2:3], v3, s0, 0
	v_lshl_add_u64 v[8:9], v[8:9], 1, v[0:1]
	global_store_dwordx4 v[8:9], v[4:7], off
	s_and_b64 exec, exec, s[4:5]
	s_cbranch_execz .LBB1076_18
; %bb.17:
	ds_read_b128 v[2:5], v2 offset:256
	v_add3_u32 v6, s48, v60, 8
	v_mad_u64_u32 v[6:7], s[0:1], v6, s0, 0
	v_lshl_add_u64 v[0:1], v[6:7], 1, v[0:1]
	s_waitcnt lgkmcnt(0)
	global_store_dwordx4 v[0:1], v[2:5], off
.LBB1076_18:
	s_endpgm
	.section	.rodata,"a",@progbits
	.p2align	6, 0x0
	.amdhsa_kernel _Z39paged_attention_ll4mi_QKV_mfma16_kernelIDF16_hLN4vllm18Fp8KVCacheDataTypeE1EDF16_Li32ELi128ELi256ELb0ELi9EEvPKT_PKT0_S7_ifPKiS9_S9_iPKfiiiPfSC_PS2_PT2_iSB_SB_
		.amdhsa_group_segment_fixed_size 8192
		.amdhsa_private_segment_fixed_size 0
		.amdhsa_kernarg_size 400
		.amdhsa_user_sgpr_count 2
		.amdhsa_user_sgpr_dispatch_ptr 0
		.amdhsa_user_sgpr_queue_ptr 0
		.amdhsa_user_sgpr_kernarg_segment_ptr 1
		.amdhsa_user_sgpr_dispatch_id 0
		.amdhsa_user_sgpr_kernarg_preload_length 0
		.amdhsa_user_sgpr_kernarg_preload_offset 0
		.amdhsa_user_sgpr_private_segment_size 0
		.amdhsa_uses_dynamic_stack 0
		.amdhsa_enable_private_segment 0
		.amdhsa_system_sgpr_workgroup_id_x 1
		.amdhsa_system_sgpr_workgroup_id_y 1
		.amdhsa_system_sgpr_workgroup_id_z 1
		.amdhsa_system_sgpr_workgroup_info 0
		.amdhsa_system_vgpr_workitem_id 0
		.amdhsa_next_free_vgpr 80
		.amdhsa_next_free_sgpr 50
		.amdhsa_accum_offset 80
		.amdhsa_reserve_vcc 1
		.amdhsa_float_round_mode_32 0
		.amdhsa_float_round_mode_16_64 0
		.amdhsa_float_denorm_mode_32 3
		.amdhsa_float_denorm_mode_16_64 3
		.amdhsa_dx10_clamp 1
		.amdhsa_ieee_mode 1
		.amdhsa_fp16_overflow 0
		.amdhsa_tg_split 0
		.amdhsa_exception_fp_ieee_invalid_op 0
		.amdhsa_exception_fp_denorm_src 0
		.amdhsa_exception_fp_ieee_div_zero 0
		.amdhsa_exception_fp_ieee_overflow 0
		.amdhsa_exception_fp_ieee_underflow 0
		.amdhsa_exception_fp_ieee_inexact 0
		.amdhsa_exception_int_div_zero 0
	.end_amdhsa_kernel
	.section	.text._Z39paged_attention_ll4mi_QKV_mfma16_kernelIDF16_hLN4vllm18Fp8KVCacheDataTypeE1EDF16_Li32ELi128ELi256ELb0ELi9EEvPKT_PKT0_S7_ifPKiS9_S9_iPKfiiiPfSC_PS2_PT2_iSB_SB_,"axG",@progbits,_Z39paged_attention_ll4mi_QKV_mfma16_kernelIDF16_hLN4vllm18Fp8KVCacheDataTypeE1EDF16_Li32ELi128ELi256ELb0ELi9EEvPKT_PKT0_S7_ifPKiS9_S9_iPKfiiiPfSC_PS2_PT2_iSB_SB_,comdat
.Lfunc_end1076:
	.size	_Z39paged_attention_ll4mi_QKV_mfma16_kernelIDF16_hLN4vllm18Fp8KVCacheDataTypeE1EDF16_Li32ELi128ELi256ELb0ELi9EEvPKT_PKT0_S7_ifPKiS9_S9_iPKfiiiPfSC_PS2_PT2_iSB_SB_, .Lfunc_end1076-_Z39paged_attention_ll4mi_QKV_mfma16_kernelIDF16_hLN4vllm18Fp8KVCacheDataTypeE1EDF16_Li32ELi128ELi256ELb0ELi9EEvPKT_PKT0_S7_ifPKiS9_S9_iPKfiiiPfSC_PS2_PT2_iSB_SB_
                                        ; -- End function
	.section	.AMDGPU.csdata,"",@progbits
; Kernel info:
; codeLenInByte = 6100
; NumSgprs: 56
; NumVgprs: 80
; NumAgprs: 0
; TotalNumVgprs: 80
; ScratchSize: 0
; MemoryBound: 0
; FloatMode: 240
; IeeeMode: 1
; LDSByteSize: 8192 bytes/workgroup (compile time only)
; SGPRBlocks: 6
; VGPRBlocks: 9
; NumSGPRsForWavesPerEU: 56
; NumVGPRsForWavesPerEU: 80
; AccumOffset: 80
; Occupancy: 6
; WaveLimiterHint : 1
; COMPUTE_PGM_RSRC2:SCRATCH_EN: 0
; COMPUTE_PGM_RSRC2:USER_SGPR: 2
; COMPUTE_PGM_RSRC2:TRAP_HANDLER: 0
; COMPUTE_PGM_RSRC2:TGID_X_EN: 1
; COMPUTE_PGM_RSRC2:TGID_Y_EN: 1
; COMPUTE_PGM_RSRC2:TGID_Z_EN: 1
; COMPUTE_PGM_RSRC2:TIDIG_COMP_CNT: 0
; COMPUTE_PGM_RSRC3_GFX90A:ACCUM_OFFSET: 19
; COMPUTE_PGM_RSRC3_GFX90A:TG_SPLIT: 0
	.section	.text._Z39paged_attention_ll4mi_QKV_mfma16_kernelIDF16_hLN4vllm18Fp8KVCacheDataTypeE1EDF16_Li32ELi128ELi256ELb0ELi10EEvPKT_PKT0_S7_ifPKiS9_S9_iPKfiiiPfSC_PS2_PT2_iSB_SB_,"axG",@progbits,_Z39paged_attention_ll4mi_QKV_mfma16_kernelIDF16_hLN4vllm18Fp8KVCacheDataTypeE1EDF16_Li32ELi128ELi256ELb0ELi10EEvPKT_PKT0_S7_ifPKiS9_S9_iPKfiiiPfSC_PS2_PT2_iSB_SB_,comdat
	.protected	_Z39paged_attention_ll4mi_QKV_mfma16_kernelIDF16_hLN4vllm18Fp8KVCacheDataTypeE1EDF16_Li32ELi128ELi256ELb0ELi10EEvPKT_PKT0_S7_ifPKiS9_S9_iPKfiiiPfSC_PS2_PT2_iSB_SB_ ; -- Begin function _Z39paged_attention_ll4mi_QKV_mfma16_kernelIDF16_hLN4vllm18Fp8KVCacheDataTypeE1EDF16_Li32ELi128ELi256ELb0ELi10EEvPKT_PKT0_S7_ifPKiS9_S9_iPKfiiiPfSC_PS2_PT2_iSB_SB_
	.globl	_Z39paged_attention_ll4mi_QKV_mfma16_kernelIDF16_hLN4vllm18Fp8KVCacheDataTypeE1EDF16_Li32ELi128ELi256ELb0ELi10EEvPKT_PKT0_S7_ifPKiS9_S9_iPKfiiiPfSC_PS2_PT2_iSB_SB_
	.p2align	8
	.type	_Z39paged_attention_ll4mi_QKV_mfma16_kernelIDF16_hLN4vllm18Fp8KVCacheDataTypeE1EDF16_Li32ELi128ELi256ELb0ELi10EEvPKT_PKT0_S7_ifPKiS9_S9_iPKfiiiPfSC_PS2_PT2_iSB_SB_,@function
_Z39paged_attention_ll4mi_QKV_mfma16_kernelIDF16_hLN4vllm18Fp8KVCacheDataTypeE1EDF16_Li32ELi128ELi256ELb0ELi10EEvPKT_PKT0_S7_ifPKiS9_S9_iPKfiiiPfSC_PS2_PT2_iSB_SB_: ; @_Z39paged_attention_ll4mi_QKV_mfma16_kernelIDF16_hLN4vllm18Fp8KVCacheDataTypeE1EDF16_Li32ELi128ELi256ELb0ELi10EEvPKT_PKT0_S7_ifPKiS9_S9_iPKfiiiPfSC_PS2_PT2_iSB_SB_
; %bb.0:
	s_load_dwordx2 s[12:13], s[0:1], 0x30
	s_mov_b32 s22, s3
	s_mov_b64 s[6:7], 0
	s_waitcnt lgkmcnt(0)
	s_cmp_lg_u64 s[12:13], 0
	s_cselect_b64 s[14:15], -1, 0
	s_and_b64 vcc, exec, s[14:15]
	s_cbranch_vccz .LBB1077_7
; %bb.1:
	s_add_i32 s8, s2, 1
	s_mov_b32 s9, 0
	s_lshl_b64 s[10:11], s[8:9], 2
	s_add_u32 s10, s12, s10
	s_mov_b32 s3, s9
	s_addc_u32 s11, s13, s11
	s_lshl_b64 s[8:9], s[2:3], 2
	s_add_u32 s8, s12, s8
	s_addc_u32 s9, s13, s9
	s_load_dword s5, s[10:11], 0x0
	s_load_dword s16, s[8:9], 0x0
	s_waitcnt lgkmcnt(0)
	s_sub_i32 s5, s5, s16
	s_cmp_eq_u32 s5, 1
	s_cselect_b64 s[8:9], -1, 0
	s_andn2_b64 vcc, exec, s[6:7]
	s_cbranch_vccnz .LBB1077_3
.LBB1077_2:
	s_mov_b32 s3, 0
	s_mov_b64 s[8:9], -1
.LBB1077_3:
	s_andn2_b64 vcc, exec, s[8:9]
	s_cbranch_vccnz .LBB1077_18
; %bb.4:
	s_load_dwordx2 s[6:7], s[0:1], 0x28
	s_lshl_b64 s[16:17], s[2:3], 2
	s_waitcnt lgkmcnt(0)
	s_add_u32 s6, s6, s16
	s_addc_u32 s7, s7, s17
	s_load_dword s5, s[6:7], 0x0
	s_lshl_b32 s18, s22, 8
	s_waitcnt lgkmcnt(0)
	s_cmp_ge_i32 s18, s5
	s_cbranch_scc1 .LBB1077_18
; %bb.5:
	s_load_dwordx2 s[6:7], s[0:1], 0x20
	s_load_dword s8, s[0:1], 0x38
	s_add_i32 s9, s5, 31
	s_ashr_i32 s10, s9, 31
	v_and_b32_e32 v1, 0xcf, v0
	s_lshr_b32 s10, s10, 27
	v_add_u32_e32 v1, s18, v1
	s_add_i32 s9, s9, s10
	v_ashrrev_i32_e32 v2, 31, v1
	s_ashr_i32 s19, s9, 5
	v_lshrrev_b32_e32 v6, 27, v2
	s_add_i32 s19, s19, -1
	s_waitcnt lgkmcnt(0)
	s_mul_i32 s8, s2, s8
	s_mov_b32 s9, 0
	v_add_u32_e32 v2, v1, v6
	s_lshl_b64 s[8:9], s[8:9], 2
	v_ashrrev_i32_e32 v2, 5, v2
	v_mov_b32_e32 v7, s19
	v_cmp_gt_i32_e32 vcc, s5, v1
	s_add_u32 s6, s6, s8
	s_addc_u32 s7, s7, s9
	v_cndmask_b32_e32 v2, v7, v2, vcc
	v_ashrrev_i32_e32 v3, 31, v2
	v_lshl_add_u64 v[4:5], v[2:3], 2, s[6:7]
	v_or_b32_e32 v2, 16, v1
	v_add_u32_e32 v3, v2, v6
	v_ashrrev_i32_e32 v3, 5, v3
	v_cmp_gt_i32_e32 vcc, s5, v2
	s_load_dwordx4 s[8:11], s[0:1], 0x8
	s_nop 0
	v_cndmask_b32_e32 v2, v7, v3, vcc
	v_ashrrev_i32_e32 v3, 31, v2
	v_lshl_add_u64 v[8:9], v[2:3], 2, s[6:7]
	v_or_b32_e32 v2, 32, v1
	v_add_u32_e32 v3, v2, v6
	v_ashrrev_i32_e32 v3, 5, v3
	v_cmp_gt_i32_e32 vcc, s5, v2
	v_or_b32_e32 v1, 48, v1
	s_nop 0
	v_cndmask_b32_e32 v2, v7, v3, vcc
	v_ashrrev_i32_e32 v3, 31, v2
	v_lshl_add_u64 v[10:11], v[2:3], 2, s[6:7]
	v_add_u32_e32 v2, v1, v6
	v_ashrrev_i32_e32 v2, 5, v2
	v_cmp_gt_i32_e32 vcc, s5, v1
	s_nop 1
	v_cndmask_b32_e32 v2, v7, v2, vcc
	v_ashrrev_i32_e32 v3, 31, v2
	v_lshl_add_u64 v[12:13], v[2:3], 2, s[6:7]
	global_load_dword v2, v[4:5], off
	global_load_dword v6, v[8:9], off
	;; [unrolled: 1-line block ×4, first 2 shown]
	s_andn2_b64 vcc, exec, s[14:15]
	s_cbranch_vccnz .LBB1077_8
; %bb.6:
	s_add_u32 s12, s12, s16
	s_addc_u32 s13, s13, s17
	s_load_dword s14, s[12:13], 0x0
	s_branch .LBB1077_9
.LBB1077_7:
	s_mov_b64 s[8:9], 0
	s_branch .LBB1077_2
.LBB1077_8:
	s_mov_b32 s14, s2
.LBB1077_9:
	s_load_dwordx4 s[44:47], s[0:1], 0x48
	v_lshrrev_b32_e32 v57, 6, v0
	v_bfe_u32 v60, v0, 4, 2
	v_and_b32_e32 v56, 15, v0
	v_lshl_or_b32 v3, v57, 2, v60
	v_lshlrev_b32_e32 v1, 3, v56
	v_and_b32_e32 v61, 63, v0
	s_mul_i32 s48, s4, 10
	v_cmp_gt_u32_e32 vcc, 10, v3
	v_lshlrev_b32_e32 v54, 1, v1
	v_lshlrev_b32_e32 v1, 4, v0
	s_and_saveexec_b64 s[12:13], vcc
	s_cbranch_execz .LBB1077_11
; %bb.10:
	s_load_dwordx2 s[16:17], s[0:1], 0x0
	s_waitcnt lgkmcnt(0)
	s_ashr_i32 s15, s44, 31
	s_mul_hi_u32 s20, s14, s44
	s_mul_i32 s15, s14, s15
	s_add_i32 s15, s20, s15
	s_mul_i32 s14, s14, s44
	s_lshl_b64 s[14:15], s[14:15], 1
	s_add_u32 s14, s16, s14
	v_add_lshl_u32 v4, v3, s48, 7
	s_addc_u32 s15, s17, s15
	v_ashrrev_i32_e32 v5, 31, v4
	v_lshl_add_u64 v[4:5], v[4:5], 1, s[14:15]
	v_mov_b32_e32 v55, 0
	v_lshl_add_u64 v[4:5], v[4:5], 0, v[54:55]
	global_load_dwordx4 v[8:11], v[4:5], off
	v_lshlrev_b32_e32 v5, 8, v0
	v_lshlrev_b32_e32 v4, 8, v56
	v_and_b32_e32 v5, 0x600, v5
	s_movk_i32 s14, 0x800
	v_and_or_b32 v4, v4, s14, v5
	v_lshlrev_b32_e32 v3, 5, v3
	v_and_b32_e32 v5, 16, v1
	v_or3_b32 v3, v4, v3, v5
	s_waitcnt vmcnt(0)
	ds_write_b128 v3, v[8:11]
.LBB1077_11:
	s_or_b64 exec, exec, s[12:13]
	s_waitcnt lgkmcnt(0)
	s_mul_i32 s12, s4, s46
	s_add_u32 s8, s8, s12
	s_addc_u32 s9, s9, 0
	v_mov_b32_e32 v59, 0
	v_mov_b64_e32 v[4:5], s[8:9]
	v_and_b32_e32 v7, 48, v0
	s_waitcnt vmcnt(3)
	v_mad_i64_i32 v[8:9], s[8:9], v2, s45, v[4:5]
	v_lshlrev_b32_e32 v2, 4, v56
	v_mov_b32_e32 v3, v59
	v_lshlrev_b32_e32 v58, 5, v7
	v_lshl_add_u64 v[8:9], v[8:9], 0, v[2:3]
	v_lshl_add_u64 v[8:9], v[8:9], 0, v[58:59]
	s_load_dword s23, s[0:1], 0x98
	s_load_dwordx4 s[40:43], s[0:1], 0x80
	s_waitcnt lgkmcnt(0)
	s_barrier
	global_load_dwordx4 v[10:13], v[8:9], off
	global_load_dwordx4 v[30:33], v[8:9], off offset:2048
	v_add_u32_e32 v14, -10, v56
	v_cmp_gt_u32_e32 vcc, 10, v56
	s_ashr_i32 s8, s18, 31
	v_or_b32_e32 v24, 0x100, v2
	v_cndmask_b32_e32 v8, v14, v56, vcc
	v_mov_b32_e32 v25, v59
	s_lshr_b32 s13, s8, 27
	s_waitcnt vmcnt(4)
	v_mad_i64_i32 v[34:35], s[8:9], v6, s45, v[4:5]
	v_or_b32_e32 v39, s18, v7
	v_lshlrev_b32_e32 v7, 5, v8
	v_lshl_add_u64 v[34:35], v[34:35], 0, v[24:25]
	v_lshl_add_u32 v7, v60, 9, v7
	v_lshl_add_u64 v[34:35], v[34:35], 0, v[58:59]
	ds_read_b128 v[26:29], v7
	ds_read_b128 v[18:21], v7 offset:16
	ds_read_b128 v[14:17], v7 offset:2048
	;; [unrolled: 1-line block ×3, first 2 shown]
	global_load_dwordx4 v[46:49], v[34:35], off
	v_or_b32_e32 v41, 0x80, v39
	v_or_b32_e32 v51, 0xc0, v39
	s_waitcnt vmcnt(4)
	v_mad_i64_i32 v[36:37], s[8:9], v22, s45, v[4:5]
	s_waitcnt vmcnt(3)
	v_mad_i64_i32 v[4:5], s[8:9], v23, s45, v[4:5]
	v_add_u32_e32 v42, s13, v41
	v_add_u32_e32 v43, s13, v51
	v_lshl_add_u64 v[4:5], v[4:5], 0, v[24:25]
	v_ashrrev_i32_e32 v24, 5, v42
	v_ashrrev_i32_e32 v25, 5, v43
	global_load_dwordx4 v[42:45], v[34:35], off offset:2048
	v_or_b32_e32 v40, 64, v39
	v_add_u32_e32 v22, s13, v39
	v_mov_b32_e32 v38, s19
	v_add_u32_e32 v23, s13, v40
	v_ashrrev_i32_e32 v22, 5, v22
	v_cmp_gt_i32_e32 vcc, s5, v39
	v_ashrrev_i32_e32 v23, 5, v23
	v_lshl_add_u64 v[2:3], v[36:37], 0, v[2:3]
	v_cndmask_b32_e32 v50, v38, v22, vcc
	v_cmp_gt_i32_e32 vcc, s5, v40
	v_lshl_add_u64 v[2:3], v[2:3], 0, v[58:59]
	v_lshl_add_u64 v[36:37], v[4:5], 0, v[58:59]
	v_cndmask_b32_e32 v52, v38, v23, vcc
	v_cmp_gt_i32_e32 vcc, s5, v41
	v_ashrrev_i32_e32 v53, 31, v52
	v_lshl_add_u64 v[52:53], v[52:53], 2, s[6:7]
	v_cndmask_b32_e32 v62, v38, v24, vcc
	v_cmp_gt_i32_e32 vcc, s5, v51
	v_ashrrev_i32_e32 v51, 31, v50
	v_ashrrev_i32_e32 v63, 31, v62
	v_cndmask_b32_e32 v64, v38, v25, vcc
	global_load_dwordx4 v[22:25], v[2:3], off
	s_nop 0
	global_load_dwordx4 v[2:5], v[2:3], off offset:2048
	s_nop 0
	global_load_dwordx4 v[38:41], v[36:37], off
	s_nop 0
	global_load_dwordx4 v[34:37], v[36:37], off offset:2048
	v_ashrrev_i32_e32 v65, 31, v64
	v_lshl_add_u64 v[50:51], v[50:51], 2, s[6:7]
	v_lshl_add_u64 v[66:67], v[62:63], 2, s[6:7]
	;; [unrolled: 1-line block ×3, first 2 shown]
	global_load_dword v65, v[50:51], off
	global_load_dword v63, v[52:53], off
	;; [unrolled: 1-line block ×4, first 2 shown]
	s_add_u32 s6, s10, s12
	s_addc_u32 s7, s11, 0
	v_and_b32_e32 v58, 16, v0
	v_lshl_or_b32 v64, v57, 4, v56
	s_load_dword s4, s[0:1], 0x1c
	s_mov_b32 s33, 0xff7fffff
	s_waitcnt vmcnt(11)
	v_cvt_pk_f32_fp8_e32 v[50:51], v10
	v_cvt_pk_f32_fp8_sdwa v[52:53], v10 src0_sel:WORD_1
	v_cvt_pk_f32_fp8_e32 v[66:67], v11
	v_cvt_pk_f32_fp8_sdwa v[10:11], v11 src0_sel:WORD_1
	v_cvt_pkrtz_f16_f32 v50, v50, v51
	v_cvt_pkrtz_f16_f32 v51, v52, v53
	v_cvt_pk_f32_fp8_e32 v[68:69], v12
	v_cvt_pk_f32_fp8_sdwa v[70:71], v12 src0_sel:WORD_1
	v_cvt_pkrtz_f16_f32 v66, v66, v67
	v_cvt_pkrtz_f16_f32 v67, v10, v11
	s_waitcnt lgkmcnt(0)
	v_mfma_f32_16x16x16_f16 v[50:53], v[50:51], v[26:27], 0
	v_cvt_pk_f32_fp8_e32 v[72:73], v13
	v_cvt_pk_f32_fp8_sdwa v[74:75], v13 src0_sel:WORD_1
	v_cvt_pkrtz_f16_f32 v68, v68, v69
	v_cvt_pkrtz_f16_f32 v69, v70, v71
	v_mfma_f32_16x16x16_f16 v[10:13], v[66:67], v[28:29], v[50:53]
	s_waitcnt vmcnt(10)
	v_cvt_pk_f32_fp8_sdwa v[66:67], v30 src0_sel:WORD_1
	s_waitcnt vmcnt(6)
	v_cvt_pk_f32_fp8_sdwa v[78:79], v5 src0_sel:WORD_1
	v_cvt_pkrtz_f16_f32 v50, v72, v73
	v_cvt_pk_f32_fp8_e32 v[52:53], v30
	v_cvt_pkrtz_f16_f32 v51, v74, v75
	v_mfma_f32_16x16x16_f16 v[10:13], v[68:69], v[18:19], v[10:13]
	v_cvt_pk_f32_fp8_sdwa v[68:69], v42 src0_sel:WORD_1
	v_cvt_pkrtz_f16_f32 v52, v52, v53
	v_cvt_pkrtz_f16_f32 v53, v66, v67
	v_cvt_pk_f32_fp8_e32 v[66:67], v31
	v_cvt_pk_f32_fp8_sdwa v[30:31], v31 src0_sel:WORD_1
	v_mfma_f32_16x16x16_f16 v[10:13], v[50:51], v[20:21], v[10:13]
	v_cvt_pk_f32_fp8_e32 v[72:73], v3
	v_cvt_pkrtz_f16_f32 v50, v66, v67
	v_cvt_pkrtz_f16_f32 v51, v30, v31
	v_mfma_f32_16x16x16_f16 v[10:13], v[52:53], v[14:15], v[10:13]
	v_cvt_pk_f32_fp8_e32 v[30:31], v32
	v_cvt_pk_f32_fp8_sdwa v[52:53], v32 src0_sel:WORD_1
	v_cvt_pk_f32_fp8_sdwa v[66:67], v46 src0_sel:WORD_1
	v_mfma_f32_16x16x16_f16 v[10:13], v[50:51], v[16:17], v[10:13]
	v_cvt_pkrtz_f16_f32 v30, v30, v31
	v_cvt_pkrtz_f16_f32 v31, v52, v53
	v_cvt_pk_f32_fp8_e32 v[50:51], v33
	v_cvt_pk_f32_fp8_sdwa v[32:33], v33 src0_sel:WORD_1
	v_cvt_pk_f32_fp8_e32 v[52:53], v46
	v_mfma_f32_16x16x16_f16 v[10:13], v[30:31], v[6:7], v[10:13]
	v_cvt_pkrtz_f16_f32 v50, v50, v51
	v_cvt_pkrtz_f16_f32 v51, v32, v33
	;; [unrolled: 1-line block ×4, first 2 shown]
	v_cvt_pk_f32_fp8_e32 v[32:33], v47
	v_cvt_pk_f32_fp8_sdwa v[46:47], v47 src0_sel:WORD_1
	v_mfma_f32_16x16x16_f16 v[50:53], v[50:51], v[8:9], v[10:13]
	v_cvt_pk_f32_fp8_sdwa v[66:67], v48 src0_sel:WORD_1
	v_cvt_pkrtz_f16_f32 v32, v32, v33
	v_cvt_pkrtz_f16_f32 v33, v46, v47
	v_mfma_f32_16x16x16_f16 v[10:13], v[30:31], v[26:27], 0
	v_cvt_pk_f32_fp8_e32 v[30:31], v48
	v_lshl_add_u64 v[46:47], s[6:7], 0, v[58:59]
	v_lshlrev_b32_e32 v58, 5, v64
	v_mfma_f32_16x16x16_f16 v[10:13], v[32:33], v[28:29], v[10:13]
	v_cvt_pk_f32_fp8_e32 v[32:33], v49
	v_cvt_pkrtz_f16_f32 v30, v30, v31
	v_cvt_pkrtz_f16_f32 v31, v66, v67
	v_cvt_pk_f32_fp8_sdwa v[48:49], v49 src0_sel:WORD_1
	v_cvt_pkrtz_f16_f32 v32, v32, v33
	v_cvt_pk_f32_fp8_e32 v[66:67], v42
	v_mfma_f32_16x16x16_f16 v[10:13], v[30:31], v[18:19], v[10:13]
	v_cvt_pkrtz_f16_f32 v33, v48, v49
	v_cvt_pkrtz_f16_f32 v30, v66, v67
	;; [unrolled: 1-line block ×3, first 2 shown]
	v_cvt_pk_f32_fp8_e32 v[48:49], v43
	v_cvt_pk_f32_fp8_sdwa v[42:43], v43 src0_sel:WORD_1
	v_mfma_f32_16x16x16_f16 v[10:13], v[32:33], v[20:21], v[10:13]
	v_lshl_add_u64 v[66:67], v[46:47], 0, v[58:59]
	v_cvt_pkrtz_f16_f32 v32, v48, v49
	v_cvt_pkrtz_f16_f32 v33, v42, v43
	v_mfma_f32_16x16x16_f16 v[10:13], v[30:31], v[14:15], v[10:13]
	v_cvt_pk_f32_fp8_e32 v[30:31], v44
	v_cvt_pk_f32_fp8_sdwa v[42:43], v44 src0_sel:WORD_1
	v_cvt_pk_f32_fp8_sdwa v[48:49], v22 src0_sel:WORD_1
	v_mfma_f32_16x16x16_f16 v[10:13], v[32:33], v[16:17], v[10:13]
	v_cvt_pkrtz_f16_f32 v30, v30, v31
	v_cvt_pkrtz_f16_f32 v31, v42, v43
	v_cvt_pk_f32_fp8_e32 v[32:33], v45
	v_cvt_pk_f32_fp8_sdwa v[42:43], v45 src0_sel:WORD_1
	v_cvt_pk_f32_fp8_e32 v[44:45], v22
	v_mfma_f32_16x16x16_f16 v[10:13], v[30:31], v[6:7], v[10:13]
	v_cvt_pkrtz_f16_f32 v32, v32, v33
	v_cvt_pkrtz_f16_f32 v33, v42, v43
	;; [unrolled: 1-line block ×4, first 2 shown]
	v_cvt_pk_f32_fp8_e32 v[48:49], v23
	v_cvt_pk_f32_fp8_sdwa v[22:23], v23 src0_sel:WORD_1
	v_mfma_f32_16x16x16_f16 v[42:45], v[32:33], v[8:9], v[10:13]
	s_waitcnt vmcnt(2)
	v_mad_i64_i32 v[68:69], s[6:7], v63, s45, v[66:67]
	v_cvt_pkrtz_f16_f32 v32, v48, v49
	v_cvt_pkrtz_f16_f32 v33, v22, v23
	v_mfma_f32_16x16x16_f16 v[10:13], v[30:31], v[26:27], 0
	v_cvt_pk_f32_fp8_e32 v[22:23], v24
	v_cvt_pk_f32_fp8_sdwa v[30:31], v24 src0_sel:WORD_1
	v_mad_i64_i32 v[48:49], s[6:7], v65, s45, v[66:67]
	v_cvt_pkrtz_f16_f32 v22, v22, v23
	v_cvt_pkrtz_f16_f32 v23, v30, v31
	v_cvt_pk_f32_fp8_e32 v[30:31], v25
	v_cvt_pk_f32_fp8_sdwa v[24:25], v25 src0_sel:WORD_1
	v_mfma_f32_16x16x16_f16 v[10:13], v[32:33], v[28:29], v[10:13]
	s_waitcnt vmcnt(0)
	v_mad_i64_i32 v[74:75], s[6:7], v62, s45, v[66:67]
	v_cvt_pkrtz_f16_f32 v70, v30, v31
	v_cvt_pkrtz_f16_f32 v71, v24, v25
	v_mfma_f32_16x16x16_f16 v[10:13], v[22:23], v[18:19], v[10:13]
	global_load_dwordx4 v[30:33], v[48:49], off
	global_load_dwordx4 v[22:25], v[68:69], off
	v_cvt_pk_f32_fp8_e32 v[68:69], v2
	v_mad_i64_i32 v[48:49], s[6:7], v55, s45, v[66:67]
	v_mfma_f32_16x16x16_f16 v[10:13], v[70:71], v[20:21], v[10:13]
	v_cvt_pk_f32_fp8_sdwa v[70:71], v2 src0_sel:WORD_1
	v_cvt_pk_f32_fp8_sdwa v[2:3], v3 src0_sel:WORD_1
	v_cvt_pkrtz_f16_f32 v68, v68, v69
	v_or_b32_e32 v58, 0x800, v58
	v_cvt_pkrtz_f16_f32 v69, v70, v71
	v_cvt_pkrtz_f16_f32 v70, v72, v73
	;; [unrolled: 1-line block ×3, first 2 shown]
	v_cvt_pk_f32_fp8_e32 v[2:3], v4
	v_cvt_pk_f32_fp8_sdwa v[72:73], v4 src0_sel:WORD_1
	v_mfma_f32_16x16x16_f16 v[66:69], v[68:69], v[14:15], v[10:13]
	v_lshl_add_u64 v[46:47], v[46:47], 0, v[58:59]
	v_cvt_pkrtz_f16_f32 v76, v2, v3
	v_cvt_pkrtz_f16_f32 v77, v72, v73
	v_cvt_pk_f32_fp8_e32 v[72:73], v5
	v_mfma_f32_16x16x16_f16 v[66:69], v[70:71], v[16:17], v[66:69]
	global_load_dwordx4 v[10:13], v[48:49], off
	global_load_dwordx4 v[2:5], v[74:75], off
	v_cvt_pkrtz_f16_f32 v49, v78, v79
	v_cvt_pkrtz_f16_f32 v48, v72, v73
	v_mfma_f32_16x16x16_f16 v[66:69], v[76:77], v[6:7], v[66:69]
	v_cvt_pk_f32_fp8_e32 v[58:59], v38
	v_cvt_pk_f32_fp8_sdwa v[70:71], v38 src0_sel:WORD_1
	v_cvt_pk_f32_fp8_e32 v[74:75], v40
	v_mfma_f32_16x16x16_f16 v[66:69], v[48:49], v[8:9], v[66:69]
	v_cvt_pk_f32_fp8_e32 v[48:49], v39
	v_cvt_pkrtz_f16_f32 v58, v58, v59
	v_cvt_pkrtz_f16_f32 v59, v70, v71
	v_cvt_pk_f32_fp8_sdwa v[38:39], v39 src0_sel:WORD_1
	v_cvt_pkrtz_f16_f32 v48, v48, v49
	v_cvt_pk_f32_fp8_sdwa v[76:77], v40 src0_sel:WORD_1
	v_mfma_f32_16x16x16_f16 v[70:73], v[58:59], v[26:27], 0
	v_cvt_pkrtz_f16_f32 v49, v38, v39
	v_cvt_pkrtz_f16_f32 v38, v74, v75
	;; [unrolled: 1-line block ×3, first 2 shown]
	v_cvt_pk_f32_fp8_e32 v[58:59], v41
	v_cvt_pk_f32_fp8_sdwa v[40:41], v41 src0_sel:WORD_1
	v_mfma_f32_16x16x16_f16 v[26:29], v[48:49], v[28:29], v[70:73]
	s_load_dword s6, s[40:41], 0x0
	v_cvt_pkrtz_f16_f32 v48, v58, v59
	v_cvt_pkrtz_f16_f32 v49, v40, v41
	v_mfma_f32_16x16x16_f16 v[26:29], v[38:39], v[18:19], v[26:29]
	v_mov_b32_e32 v70, s4
	s_waitcnt lgkmcnt(0)
	v_mul_f32_e32 v40, s6, v70
	v_pk_mul_f32 v[38:39], v[40:41], v[52:53] op_sel_hi:[0,1]
	v_mfma_f32_16x16x16_f16 v[18:21], v[48:49], v[20:21], v[26:29]
	v_cvt_pk_f32_fp8_e32 v[48:49], v35
	v_pk_mul_f32 v[50:51], v[40:41], v[50:51] op_sel_hi:[0,1]
	v_pk_mul_f32 v[52:53], v[40:41], v[42:43] op_sel_hi:[0,1]
	v_cvt_pk_f32_fp8_e32 v[26:27], v34
	v_cvt_pk_f32_fp8_sdwa v[28:29], v34 src0_sel:WORD_1
	v_cvt_pk_f32_fp8_sdwa v[34:35], v35 src0_sel:WORD_1
	v_pk_mul_f32 v[42:43], v[40:41], v[66:67] op_sel_hi:[0,1]
	v_cvt_pkrtz_f16_f32 v26, v26, v27
	v_cvt_pkrtz_f16_f32 v27, v28, v29
	;; [unrolled: 1-line block ×4, first 2 shown]
	v_cvt_pk_f32_fp8_e32 v[34:35], v36
	v_cvt_pk_f32_fp8_sdwa v[48:49], v36 src0_sel:WORD_1
	v_mfma_f32_16x16x16_f16 v[18:21], v[26:27], v[14:15], v[18:21]
	v_mad_i64_i32 v[58:59], s[6:7], v65, s45, v[46:47]
	v_cvt_pkrtz_f16_f32 v26, v34, v35
	v_cvt_pkrtz_f16_f32 v27, v48, v49
	v_cvt_pk_f32_fp8_e32 v[34:35], v37
	v_cvt_pk_f32_fp8_sdwa v[36:37], v37 src0_sel:WORD_1
	v_mfma_f32_16x16x16_f16 v[14:17], v[28:29], v[16:17], v[18:21]
	v_pk_mul_f32 v[48:49], v[40:41], v[44:45] op_sel_hi:[0,1]
	v_pk_mul_f32 v[44:45], v[40:41], v[68:69] op_sel_hi:[0,1]
	s_nop 0
	v_cvt_pkrtz_f16_f32 v18, v34, v35
	v_cvt_pkrtz_f16_f32 v19, v36, v37
	v_mfma_f32_16x16x16_f16 v[14:17], v[26:27], v[6:7], v[14:17]
	s_nop 0
	v_mfma_f32_16x16x16_f16 v[6:9], v[18:19], v[8:9], v[14:17]
	s_nop 6
	v_pk_mul_f32 v[34:35], v[40:41], v[8:9] op_sel_hi:[0,1]
	v_pk_mul_f32 v[40:41], v[40:41], v[6:7] op_sel_hi:[0,1]
	v_and_b32_e32 v6, 0xc0, v0
	v_add_u32_e32 v6, s18, v6
	v_lshl_or_b32 v6, v60, 2, v6
	v_or_b32_e32 v9, 1, v6
	v_mov_b32_e32 v7, 0xff7fffff
	v_cmp_gt_i32_e64 s[24:25], s5, v6
	v_cmp_gt_i32_e64 s[26:27], s5, v9
	v_or_b32_e32 v14, 3, v6
	v_cndmask_b32_e64 v8, v7, v50, s[24:25]
	v_cndmask_b32_e64 v9, v7, v51, s[26:27]
	v_max3_f32 v8, v8, s33, v9
	v_or_b32_e32 v9, 2, v6
	v_cmp_gt_i32_e64 s[28:29], s5, v9
	v_cmp_gt_i32_e64 s[30:31], s5, v14
	s_nop 0
	v_cndmask_b32_e64 v9, v7, v38, s[28:29]
	v_cndmask_b32_e64 v14, v7, v39, s[30:31]
	v_max3_f32 v8, v8, v9, v14
	v_or_b32_e32 v9, 16, v6
	v_or_b32_e32 v14, 17, v6
	v_cmp_gt_i32_e64 s[34:35], s5, v9
	v_cmp_gt_i32_e64 s[36:37], s5, v14
	s_nop 0
	v_cndmask_b32_e64 v9, v7, v52, s[34:35]
	v_cndmask_b32_e64 v14, v7, v53, s[36:37]
	v_max3_f32 v8, v8, v9, v14
	v_or_b32_e32 v9, 18, v6
	;; [unrolled: 8-line block ×6, first 2 shown]
	v_or_b32_e32 v6, 51, v6
	v_cmp_gt_i32_e32 vcc, s5, v9
	v_cmp_gt_i32_e64 s[4:5], s5, v6
	s_nop 0
	v_cndmask_b32_e32 v9, v7, v34, vcc
	v_cndmask_b32_e64 v6, v7, v35, s[4:5]
	v_max3_f32 v8, v8, v9, v6
	v_mbcnt_lo_u32_b32 v6, -1, 0
	v_mbcnt_hi_u32_b32 v9, -1, v6
	v_and_b32_e32 v6, 64, v9
	v_add_u32_e32 v14, 64, v6
	v_xor_b32_e32 v6, 32, v9
	v_cmp_lt_i32_e64 s[38:39], v6, v14
	s_nop 1
	v_cndmask_b32_e64 v6, v9, v6, s[38:39]
	v_lshlrev_b32_e32 v65, 2, v6
	ds_bpermute_b32 v15, v65, v8
	v_mad_i64_i32 v[6:7], s[38:39], v63, s45, v[46:47]
	global_load_dwordx4 v[26:29], v[58:59], off
	global_load_dwordx4 v[18:21], v[6:7], off
	s_waitcnt lgkmcnt(0)
	v_max_f32_e32 v6, v15, v15
	v_max_f32_e32 v15, v8, v6
	v_xor_b32_e32 v6, 16, v9
	v_cmp_lt_i32_e64 s[38:39], v6, v14
	s_nop 1
	v_cndmask_b32_e64 v6, v9, v6, s[38:39]
	v_lshlrev_b32_e32 v58, 2, v6
	ds_bpermute_b32 v14, v58, v15
	v_mad_i64_i32 v[6:7], s[38:39], v55, s45, v[46:47]
	v_mad_i64_i32 v[8:9], s[38:39], v62, s45, v[46:47]
	s_waitcnt lgkmcnt(0)
	v_max_f32_e32 v14, v14, v14
	v_max_f32_e32 v55, v15, v14
	v_sub_f32_e32 v14, v50, v55
	v_mul_f32_e32 v14, 0x3fb8aa3b, v14
	v_exp_f32_e32 v36, v14
	v_sub_f32_e32 v14, v51, v55
	v_mul_f32_e32 v14, 0x3fb8aa3b, v14
	v_exp_f32_e32 v37, v14
	global_load_dwordx4 v[14:17], v[6:7], off
	s_nop 0
	global_load_dwordx4 v[6:9], v[8:9], off
	v_sub_f32_e32 v38, v38, v55
	v_mul_f32_e32 v38, 0x3fb8aa3b, v38
	v_sub_f32_e32 v39, v39, v55
	v_exp_f32_e32 v38, v38
	v_mul_f32_e32 v39, 0x3fb8aa3b, v39
	v_exp_f32_e32 v39, v39
	v_cndmask_b32_e64 v36, 0, v36, s[24:25]
	v_add_f32_e32 v46, 0, v36
	v_cndmask_b32_e64 v37, 0, v37, s[26:27]
	v_add_f32_e32 v47, v46, v37
	;; [unrolled: 2-line block ×3, first 2 shown]
	v_cndmask_b32_e64 v47, 0, v39, s[30:31]
	v_sub_f32_e32 v39, v52, v55
	v_mul_f32_e32 v39, 0x3fb8aa3b, v39
	v_sub_f32_e32 v50, v53, v55
	v_exp_f32_e32 v39, v39
	v_mul_f32_e32 v50, 0x3fb8aa3b, v50
	v_sub_f32_e32 v48, v48, v55
	v_exp_f32_e32 v50, v50
	;; [unrolled: 3-line block ×4, first 2 shown]
	v_mul_f32_e32 v42, 0x3fb8aa3b, v42
	v_sub_f32_e32 v43, v43, v55
	v_add_f32_e32 v51, v38, v47
	v_cndmask_b32_e64 v38, 0, v39, s[34:35]
	v_exp_f32_e32 v42, v42
	v_mul_f32_e32 v43, 0x3fb8aa3b, v43
	v_sub_f32_e32 v44, v44, v55
	v_add_f32_e32 v51, v51, v38
	v_cndmask_b32_e64 v39, 0, v50, s[36:37]
	v_exp_f32_e32 v43, v43
	v_mul_f32_e32 v44, 0x3fb8aa3b, v44
	v_sub_f32_e32 v45, v45, v55
	v_add_f32_e32 v50, v51, v39
	v_cndmask_b32_e64 v48, 0, v48, s[18:19]
	v_exp_f32_e32 v44, v44
	v_mul_f32_e32 v45, 0x3fb8aa3b, v45
	v_sub_f32_e32 v40, v40, v55
	v_add_f32_e32 v50, v50, v48
	v_cndmask_b32_e64 v49, 0, v49, s[20:21]
	v_exp_f32_e32 v45, v45
	v_mul_f32_e32 v40, 0x3fb8aa3b, v40
	v_sub_f32_e32 v41, v41, v55
	v_add_f32_e32 v50, v50, v49
	v_cndmask_b32_e64 v42, 0, v42, s[14:15]
	v_exp_f32_e32 v40, v40
	v_mul_f32_e32 v41, 0x3fb8aa3b, v41
	v_sub_f32_e32 v34, v34, v55
	v_add_f32_e32 v50, v50, v42
	v_cndmask_b32_e64 v43, 0, v43, s[16:17]
	v_exp_f32_e32 v41, v41
	v_mul_f32_e32 v34, 0x3fb8aa3b, v34
	v_sub_f32_e32 v35, v35, v55
	v_add_f32_e32 v50, v50, v43
	v_cndmask_b32_e64 v44, 0, v44, s[10:11]
	v_exp_f32_e32 v34, v34
	v_mul_f32_e32 v35, 0x3fb8aa3b, v35
	v_add_f32_e32 v50, v50, v44
	v_cndmask_b32_e64 v45, 0, v45, s[12:13]
	v_exp_f32_e32 v35, v35
	v_add_f32_e32 v50, v50, v45
	v_cndmask_b32_e64 v40, 0, v40, s[6:7]
	v_add_f32_e32 v50, v50, v40
	v_cndmask_b32_e64 v41, 0, v41, s[8:9]
	v_add_f32_e32 v50, v50, v41
	v_cndmask_b32_e32 v34, 0, v34, vcc
	v_add_f32_e32 v50, v50, v34
	v_cndmask_b32_e64 v35, 0, v35, s[4:5]
	v_add_f32_e32 v50, v50, v35
	ds_bpermute_b32 v51, v65, v50
	v_cmp_gt_u32_e32 vcc, 16, v61
	s_waitcnt lgkmcnt(0)
	s_barrier
	v_add_f32_e32 v50, v50, v51
	ds_bpermute_b32 v51, v58, v50
	s_and_saveexec_b64 s[4:5], vcc
	s_cbranch_execz .LBB1077_13
; %bb.12:
	s_waitcnt lgkmcnt(0)
	v_add_f32_e32 v50, v50, v51
	v_lshlrev_b32_e32 v51, 2, v64
	ds_write2st64_b32 v51, v55, v50 offset1:1
.LBB1077_13:
	s_or_b64 exec, exec, s[4:5]
	s_waitcnt lgkmcnt(0)
	v_lshlrev_b32_e32 v51, 2, v56
	s_load_dword s6, s[0:1], 0x94
	s_waitcnt lgkmcnt(0)
	s_barrier
	ds_read2_b32 v[52:53], v51 offset1:16
	ds_read2_b32 v[58:59], v51 offset0:32 offset1:48
	ds_read2_b32 v[62:63], v51 offset0:64 offset1:80
	s_mul_i32 s7, s23, 10
	s_waitcnt lgkmcnt(2)
	v_max3_f32 v50, v52, s33, v53
	s_waitcnt lgkmcnt(1)
	v_max3_f32 v50, v50, v58, v59
	v_sub_f32_e32 v52, v52, v50
	v_mul_f32_e32 v52, 0x3fb8aa3b, v52
	v_exp_f32_e32 v55, v52
	v_sub_f32_e32 v52, v53, v50
	v_mul_f32_e32 v52, 0x3fb8aa3b, v52
	v_exp_f32_e32 v61, v52
	;; [unrolled: 3-line block ×3, first 2 shown]
	ds_read2_b32 v[52:53], v51 offset0:96 offset1:112
	v_sub_f32_e32 v51, v59, v50
	v_mul_f32_e32 v51, 0x3fb8aa3b, v51
	v_exp_f32_e32 v59, v51
	s_waitcnt lgkmcnt(1)
	v_fma_f32 v51, v55, v62, 0
	v_fmac_f32_e32 v51, v61, v63
	s_waitcnt lgkmcnt(0)
	v_fmac_f32_e32 v51, v58, v52
	v_fmac_f32_e32 v51, v59, v53
	v_add_f32_e32 v52, 0x358637bd, v51
	v_div_scale_f32 v53, s[4:5], v52, v52, 1.0
	v_rcp_f32_e32 v62, v53
	s_barrier
	v_fma_f32 v63, -v53, v62, 1.0
	v_fmac_f32_e32 v62, v63, v62
	v_div_scale_f32 v63, vcc, 1.0, v52, 1.0
	v_mul_f32_e32 v64, v63, v62
	v_fma_f32 v65, -v53, v64, v63
	v_fmac_f32_e32 v64, v65, v62
	v_fma_f32 v53, -v53, v64, v63
	v_div_fmas_f32 v53, v53, v62, v64
	v_cmp_eq_u32_e32 vcc, 1, v57
	v_div_fixup_f32 v52, v53, v52, 1.0
	s_nop 0
	v_cndmask_b32_e32 v53, v55, v61, vcc
	v_cmp_eq_u32_e32 vcc, 2, v57
	s_nop 1
	v_cndmask_b32_e32 v53, v53, v58, vcc
	v_cmp_eq_u32_e32 vcc, 3, v57
	s_nop 1
	v_cndmask_b32_e32 v53, v53, v59, vcc
	v_mul_f32_e32 v52, v53, v52
	v_pk_mul_f32 v[46:47], v[52:53], v[46:47] op_sel_hi:[0,1]
	v_pk_mul_f32 v[36:37], v[52:53], v[36:37] op_sel_hi:[0,1]
	v_cvt_f16_f32_e32 v53, v46
	v_cvt_f16_f32_e32 v36, v36
	;; [unrolled: 1-line block ×4, first 2 shown]
	v_pk_mul_f32 v[48:49], v[52:53], v[48:49] op_sel_hi:[0,1]
	v_pk_mul_f32 v[38:39], v[52:53], v[38:39] op_sel_hi:[0,1]
	v_cvt_f16_f32_e32 v38, v38
	v_cvt_f16_f32_e32 v39, v39
	;; [unrolled: 1-line block ×4, first 2 shown]
	v_pack_b32_f16 v46, v36, v37
	v_pack_b32_f16 v47, v53, v47
	v_lshlrev_b32_e32 v37, 3, v60
	v_lshlrev_b32_e32 v36, 5, v56
	;; [unrolled: 1-line block ×3, first 2 shown]
	v_or3_b32 v55, v53, v36, v37
	v_pack_b32_f16 v38, v38, v39
	v_pack_b32_f16 v39, v48, v49
	ds_write2st64_b64 v55, v[46:47], v[38:39] offset1:1
	v_pk_mul_f32 v[38:39], v[52:53], v[44:45] op_sel_hi:[0,1]
	v_pk_mul_f32 v[42:43], v[52:53], v[42:43] op_sel_hi:[0,1]
	v_cvt_f16_f32_e32 v37, v42
	v_cvt_f16_f32_e32 v42, v43
	;; [unrolled: 1-line block ×4, first 2 shown]
	v_pk_mul_f32 v[34:35], v[52:53], v[34:35] op_sel_hi:[0,1]
	v_pk_mul_f32 v[38:39], v[52:53], v[40:41] op_sel_hi:[0,1]
	v_cvt_f16_f32_e32 v38, v38
	v_cvt_f16_f32_e32 v39, v39
	;; [unrolled: 1-line block ×4, first 2 shown]
	v_pack_b32_f16 v34, v37, v42
	v_pack_b32_f16 v35, v43, v44
	;; [unrolled: 1-line block ×4, first 2 shown]
	v_cmp_gt_u32_e32 vcc, 10, v0
	ds_write2st64_b64 v55, v[34:35], v[38:39] offset0:2 offset1:3
	s_and_saveexec_b64 s[4:5], vcc
	s_cbranch_execz .LBB1077_15
; %bb.14:
	s_mov_b32 s49, 0
	v_mov_b32_e32 v57, 0
	v_lshl_add_u64 v[34:35], s[48:49], 0, v[56:57]
	v_mov_b32_e32 v37, s7
	v_mad_u64_u32 v[34:35], s[12:13], s2, v37, v[34:35]
	s_mul_i32 s3, s3, s7
	v_mov_b32_e32 v38, s22
	v_mov_b32_e32 v39, v57
	s_load_dwordx4 s[8:11], s[0:1], 0x58
	v_add_u32_e32 v37, s3, v35
	v_mad_u64_u32 v[34:35], s[12:13], v34, s6, v[38:39]
	v_mov_b32_e32 v38, v35
	v_mad_u64_u32 v[38:39], s[12:13], v37, s6, v[38:39]
	v_mov_b32_e32 v35, v38
	v_lshlrev_b64 v[34:35], 2, v[34:35]
	s_waitcnt lgkmcnt(0)
	v_lshl_add_u64 v[38:39], s[10:11], 0, v[34:35]
	v_lshl_add_u64 v[34:35], s[8:9], 0, v[34:35]
	global_store_dword v[38:39], v50, off
	global_store_dword v[34:35], v51, off
.LBB1077_15:
	s_or_b64 exec, exec, s[4:5]
	s_waitcnt vmcnt(7)
	v_cvt_pk_f32_fp8_e32 v[34:35], v30
	v_lshl_or_b32 v50, v60, 9, v36
	v_cvt_pk_f32_fp8_sdwa v[36:37], v30 src0_sel:WORD_1
	s_waitcnt lgkmcnt(0)
	s_barrier
	v_cvt_pk_f32_fp8_e32 v[38:39], v31
	v_cvt_pkrtz_f16_f32 v30, v34, v35
	v_cvt_pk_f32_fp8_sdwa v[40:41], v31 src0_sel:WORD_1
	v_cvt_pkrtz_f16_f32 v31, v36, v37
	ds_read_b128 v[34:37], v50
	v_cvt_pkrtz_f16_f32 v46, v38, v39
	v_cvt_pkrtz_f16_f32 v47, v40, v41
	ds_read_b128 v[38:41], v50 offset:16
	v_cvt_pk_f32_fp8_e32 v[48:49], v32
	v_cvt_pk_f32_fp8_sdwa v[52:53], v32 src0_sel:WORD_1
	s_waitcnt lgkmcnt(1)
	v_mfma_f32_16x16x16_f16 v[42:45], v[30:31], v[34:35], 0
	s_waitcnt vmcnt(6)
	v_cvt_pk_f32_fp8_e32 v[58:59], v24
	v_cvt_pkrtz_f16_f32 v30, v48, v49
	v_cvt_pkrtz_f16_f32 v31, v52, v53
	v_cvt_pk_f32_fp8_e32 v[48:49], v33
	v_mfma_f32_16x16x16_f16 v[42:45], v[46:47], v[36:37], v[42:45]
	v_cvt_pk_f32_fp8_sdwa v[46:47], v33 src0_sel:WORD_1
	v_cvt_pk_f32_fp8_sdwa v[62:63], v24 src0_sel:WORD_1
	v_cvt_pkrtz_f16_f32 v48, v48, v49
	s_waitcnt lgkmcnt(0)
	v_mfma_f32_16x16x16_f16 v[30:33], v[30:31], v[38:39], v[42:45]
	v_cvt_pkrtz_f16_f32 v49, v46, v47
	s_waitcnt vmcnt(5)
	v_cvt_pk_f32_fp8_sdwa v[66:67], v12 src0_sel:WORD_1
	s_waitcnt vmcnt(4)
	v_cvt_pk_f32_fp8_sdwa v[68:69], v4 src0_sel:WORD_1
	v_cvt_pk_f32_fp8_e32 v[42:43], v22
	v_mfma_f32_16x16x16_f16 v[46:49], v[48:49], v[40:41], v[30:33]
	s_waitcnt vmcnt(3)
	v_cvt_pk_f32_fp8_sdwa v[70:71], v28 src0_sel:WORD_1
	s_load_dword s4, s[42:43], 0x0
	v_cvt_pk_f32_fp8_sdwa v[30:31], v22 src0_sel:WORD_1
	v_cvt_pk_f32_fp8_e32 v[32:33], v23
	v_cvt_pkrtz_f16_f32 v22, v42, v43
	v_cvt_pk_f32_fp8_sdwa v[42:43], v23 src0_sel:WORD_1
	v_cvt_pkrtz_f16_f32 v23, v30, v31
	v_cvt_pkrtz_f16_f32 v52, v32, v33
	ds_read_b128 v[30:33], v50 offset:2048
	v_cvt_pkrtz_f16_f32 v53, v42, v43
	ds_read_b128 v[42:45], v50 offset:2064
	s_waitcnt lgkmcnt(0)
	v_mfma_f32_16x16x16_f16 v[46:49], v[22:23], v[30:31], v[46:49]
	v_cvt_pkrtz_f16_f32 v22, v58, v59
	v_cvt_pkrtz_f16_f32 v23, v62, v63
	v_cvt_pk_f32_fp8_e32 v[58:59], v25
	v_mfma_f32_16x16x16_f16 v[46:49], v[52:53], v[32:33], v[46:49]
	v_cvt_pk_f32_fp8_sdwa v[52:53], v25 src0_sel:WORD_1
	s_mov_b32 s3, 0
	v_cvt_pkrtz_f16_f32 v58, v58, v59
	v_mfma_f32_16x16x16_f16 v[22:25], v[22:23], v[42:43], v[46:49]
	v_cvt_pkrtz_f16_f32 v59, v52, v53
	v_cmp_gt_u32_e32 vcc, 64, v0
	s_nop 0
	v_cvt_pk_f32_fp8_e32 v[46:47], v10
	v_mfma_f32_16x16x16_f16 v[62:65], v[58:59], v[44:45], v[22:25]
	v_cvt_pk_f32_fp8_e32 v[58:59], v12
	s_nop 1
	v_cvt_pk_f32_fp8_sdwa v[22:23], v10 src0_sel:WORD_1
	v_cvt_pk_f32_fp8_e32 v[24:25], v11
	v_cvt_pkrtz_f16_f32 v10, v46, v47
	v_cvt_pk_f32_fp8_sdwa v[46:47], v11 src0_sel:WORD_1
	v_cvt_pkrtz_f16_f32 v11, v22, v23
	v_cvt_pkrtz_f16_f32 v52, v24, v25
	ds_read_b128 v[22:25], v50 offset:4096
	v_cvt_pkrtz_f16_f32 v53, v46, v47
	ds_read_b128 v[46:49], v50 offset:4112
	s_waitcnt lgkmcnt(1)
	v_mfma_f32_16x16x16_f16 v[62:65], v[10:11], v[22:23], v[62:65]
	v_cvt_pkrtz_f16_f32 v10, v58, v59
	v_cvt_pkrtz_f16_f32 v11, v66, v67
	v_cvt_pk_f32_fp8_e32 v[58:59], v13
	v_mfma_f32_16x16x16_f16 v[62:65], v[52:53], v[24:25], v[62:65]
	v_cvt_pk_f32_fp8_sdwa v[52:53], v13 src0_sel:WORD_1
	v_cvt_pk_f32_fp8_e32 v[66:67], v4
	v_cvt_pkrtz_f16_f32 v58, v58, v59
	s_waitcnt lgkmcnt(0)
	v_mfma_f32_16x16x16_f16 v[10:13], v[10:11], v[46:47], v[62:65]
	v_cvt_pkrtz_f16_f32 v59, v52, v53
	v_cvt_pk_f32_fp8_e32 v[52:53], v2
	s_nop 0
	v_mfma_f32_16x16x16_f16 v[62:65], v[58:59], v[48:49], v[10:13]
	s_nop 2
	v_cvt_pk_f32_fp8_sdwa v[10:11], v2 src0_sel:WORD_1
	v_cvt_pk_f32_fp8_e32 v[12:13], v3
	v_cvt_pkrtz_f16_f32 v2, v52, v53
	v_cvt_pk_f32_fp8_sdwa v[52:53], v3 src0_sel:WORD_1
	v_cvt_pkrtz_f16_f32 v3, v10, v11
	v_cvt_pkrtz_f16_f32 v58, v12, v13
	ds_read_b128 v[10:13], v50 offset:6144
	v_cvt_pkrtz_f16_f32 v59, v52, v53
	s_waitcnt lgkmcnt(0)
	v_mfma_f32_16x16x16_f16 v[62:65], v[2:3], v[10:11], v[62:65]
	ds_read_b128 v[50:53], v50 offset:6160
	v_cvt_pkrtz_f16_f32 v2, v66, v67
	v_cvt_pkrtz_f16_f32 v3, v68, v69
	v_cvt_pk_f32_fp8_e32 v[66:67], v5
	v_mfma_f32_16x16x16_f16 v[62:65], v[58:59], v[12:13], v[62:65]
	v_cvt_pk_f32_fp8_sdwa v[58:59], v5 src0_sel:WORD_1
	v_cvt_pk_f32_fp8_e32 v[68:69], v28
	v_cvt_pkrtz_f16_f32 v66, v66, v67
	s_waitcnt lgkmcnt(0)
	v_mfma_f32_16x16x16_f16 v[2:5], v[2:3], v[50:51], v[62:65]
	v_cvt_pkrtz_f16_f32 v67, v58, v59
	v_cvt_pk_f32_fp8_e32 v[58:59], v26
	s_nop 0
	v_cvt_pk_f32_fp8_sdwa v[62:63], v26 src0_sel:WORD_1
	v_cvt_pk_f32_fp8_e32 v[64:65], v27
	v_cvt_pkrtz_f16_f32 v58, v58, v59
	v_cvt_pk_f32_fp8_sdwa v[26:27], v27 src0_sel:WORD_1
	v_cvt_pkrtz_f16_f32 v59, v62, v63
	v_mfma_f32_16x16x16_f16 v[2:5], v[66:67], v[52:53], v[2:5]
	v_cvt_pkrtz_f16_f32 v66, v64, v65
	v_cvt_pkrtz_f16_f32 v67, v26, v27
	;; [unrolled: 1-line block ×3, first 2 shown]
	v_mfma_f32_16x16x16_f16 v[62:65], v[58:59], v[34:35], 0
	v_cvt_pkrtz_f16_f32 v27, v70, v71
	v_cvt_pk_f32_fp8_e32 v[58:59], v29
	s_barrier
	v_mfma_f32_16x16x16_f16 v[34:37], v[66:67], v[36:37], v[62:65]
	v_cvt_pkrtz_f16_f32 v58, v58, v59
	s_nop 1
	v_cvt_pk_f32_fp8_sdwa v[62:63], v29 src0_sel:WORD_1
	v_mfma_f32_16x16x16_f16 v[26:29], v[26:27], v[38:39], v[34:37]
	s_waitcnt vmcnt(2)
	v_cvt_pk_f32_fp8_e32 v[38:39], v19
	v_cvt_pkrtz_f16_f32 v59, v62, v63
	v_cvt_pk_f32_fp8_e32 v[34:35], v18
	v_cvt_pk_f32_fp8_sdwa v[36:37], v18 src0_sel:WORD_1
	v_cvt_pk_f32_fp8_sdwa v[18:19], v19 src0_sel:WORD_1
	v_mfma_f32_16x16x16_f16 v[26:29], v[58:59], v[40:41], v[26:29]
	v_cvt_pkrtz_f16_f32 v34, v34, v35
	v_cvt_pkrtz_f16_f32 v35, v36, v37
	v_cvt_pkrtz_f16_f32 v36, v38, v39
	v_cvt_pk_f32_fp8_e32 v[38:39], v20
	v_cvt_pk_f32_fp8_sdwa v[40:41], v20 src0_sel:WORD_1
	v_cvt_pkrtz_f16_f32 v37, v18, v19
	v_mfma_f32_16x16x16_f16 v[26:29], v[34:35], v[30:31], v[26:29]
	v_cvt_pkrtz_f16_f32 v30, v38, v39
	v_cvt_pkrtz_f16_f32 v31, v40, v41
	v_cvt_pk_f32_fp8_e32 v[34:35], v21
	v_cvt_pk_f32_fp8_sdwa v[38:39], v21 src0_sel:WORD_1
	v_mfma_f32_16x16x16_f16 v[18:21], v[36:37], v[32:33], v[26:29]
	s_waitcnt vmcnt(1)
	v_cvt_pk_f32_fp8_sdwa v[32:33], v16 src0_sel:WORD_1
	s_nop 0
	v_cvt_pkrtz_f16_f32 v26, v34, v35
	v_cvt_pkrtz_f16_f32 v27, v38, v39
	v_mfma_f32_16x16x16_f16 v[18:21], v[30:31], v[42:43], v[18:21]
	v_cvt_pk_f32_fp8_e32 v[28:29], v14
	v_cvt_pk_f32_fp8_sdwa v[30:31], v14 src0_sel:WORD_1
	v_cvt_pkrtz_f16_f32 v28, v28, v29
	v_mfma_f32_16x16x16_f16 v[18:21], v[26:27], v[44:45], v[18:21]
	v_cvt_pk_f32_fp8_e32 v[26:27], v15
	v_cvt_pkrtz_f16_f32 v29, v30, v31
	v_cvt_pk_f32_fp8_sdwa v[14:15], v15 src0_sel:WORD_1
	v_cvt_pk_f32_fp8_e32 v[30:31], v16
	v_cvt_pkrtz_f16_f32 v26, v26, v27
	v_mfma_f32_16x16x16_f16 v[18:21], v[28:29], v[22:23], v[18:21]
	v_cvt_pkrtz_f16_f32 v27, v14, v15
	v_cvt_pkrtz_f16_f32 v22, v30, v31
	;; [unrolled: 1-line block ×3, first 2 shown]
	v_cvt_pk_f32_fp8_e32 v[28:29], v17
	v_cvt_pk_f32_fp8_sdwa v[30:31], v17 src0_sel:WORD_1
	v_mfma_f32_16x16x16_f16 v[14:17], v[26:27], v[24:25], v[18:21]
	s_waitcnt vmcnt(0)
	v_cvt_pk_f32_fp8_sdwa v[24:25], v6 src0_sel:WORD_1
	s_nop 0
	v_pk_mul_f32 v[18:19], v[4:5], s[4:5] op_sel_hi:[1,0]
	v_cvt_pkrtz_f16_f32 v4, v28, v29
	v_cvt_pkrtz_f16_f32 v5, v30, v31
	v_mfma_f32_16x16x16_f16 v[14:17], v[22:23], v[46:47], v[14:17]
	v_cvt_pk_f32_fp8_e32 v[22:23], v6
	v_pk_mul_f32 v[20:21], v[2:3], s[4:5] op_sel_hi:[1,0]
	v_mfma_f32_16x16x16_f16 v[2:5], v[4:5], v[48:49], v[14:17]
	s_nop 3
	v_cvt_pk_f32_fp8_e32 v[14:15], v7
	v_cvt_pkrtz_f16_f32 v16, v22, v23
	v_cvt_pkrtz_f16_f32 v17, v24, v25
	v_cvt_pk_f32_fp8_sdwa v[6:7], v7 src0_sel:WORD_1
	v_cvt_pkrtz_f16_f32 v14, v14, v15
	v_cvt_pk_f32_fp8_e32 v[22:23], v8
	v_cvt_pk_f32_fp8_sdwa v[24:25], v8 src0_sel:WORD_1
	v_cvt_pkrtz_f16_f32 v15, v6, v7
	v_mfma_f32_16x16x16_f16 v[2:5], v[16:17], v[10:11], v[2:5]
	v_cvt_pkrtz_f16_f32 v6, v22, v23
	v_cvt_pkrtz_f16_f32 v7, v24, v25
	v_cvt_pk_f32_fp8_e32 v[10:11], v9
	v_cvt_pk_f32_fp8_sdwa v[8:9], v9 src0_sel:WORD_1
	v_mfma_f32_16x16x16_f16 v[2:5], v[14:15], v[12:13], v[2:5]
	v_cvt_f16_f32_e32 v12, v20
	v_cvt_pkrtz_f16_f32 v10, v10, v11
	v_cvt_pkrtz_f16_f32 v11, v8, v9
	v_mfma_f32_16x16x16_f16 v[2:5], v[6:7], v[50:51], v[2:5]
	v_cvt_f16_f32_e32 v6, v21
	v_cvt_f16_f32_e32 v7, v18
	;; [unrolled: 1-line block ×3, first 2 shown]
	v_mfma_f32_16x16x16_f16 v[2:5], v[10:11], v[52:53], v[2:5]
	s_nop 6
	v_pk_mul_f32 v[4:5], v[4:5], s[4:5] op_sel_hi:[1,0]
	v_pk_mul_f32 v[2:3], v[2:3], s[4:5] op_sel_hi:[1,0]
	v_cvt_f16_f32_e32 v11, v4
	v_cvt_f16_f32_e32 v9, v2
	v_cvt_f16_f32_e32 v10, v3
	v_cvt_f16_f32_e32 v5, v5
	v_pack_b32_f16 v2, v12, v6
	v_pack_b32_f16 v3, v7, v8
	;; [unrolled: 1-line block ×4, first 2 shown]
	ds_write2st64_b64 v55, v[2:3], v[4:5] offset1:1
	s_waitcnt lgkmcnt(0)
	s_barrier
	s_and_saveexec_b64 s[4:5], vcc
	s_cbranch_execz .LBB1077_18
; %bb.16:
	s_load_dwordx2 s[4:5], s[0:1], 0x68
	s_lshl_b32 s0, s6, 7
	s_mul_i32 s1, s7, s2
	v_lshlrev_b32_e32 v3, 6, v56
	s_mul_hi_u32 s7, s1, s0
	s_mul_i32 s6, s1, s0
	v_lshl_or_b32 v0, v0, 10, v3
	s_lshl_b64 s[6:7], s[6:7], 1
	v_lshlrev_b32_e32 v2, 5, v60
	v_and_b32_e32 v1, 16, v1
	v_and_b32_e32 v0, 0x1a00, v0
	s_waitcnt lgkmcnt(0)
	s_add_u32 s1, s4, s6
	v_or3_b32 v2, v0, v2, v1
	s_addc_u32 s4, s5, s7
	s_lshl_b32 s2, s22, 7
	s_lshl_b64 s[2:3], s[2:3], 1
	ds_read_b128 v[4:7], v2 offset:128
	ds_read_b128 v[8:11], v2
	s_add_u32 s2, s1, s2
	s_addc_u32 s3, s4, s3
	v_mov_b32_e32 v55, 0
	v_add_u32_e32 v14, s48, v60
	v_lshl_add_u64 v[0:1], s[2:3], 0, v[54:55]
	v_mad_u64_u32 v[12:13], s[2:3], v14, s0, 0
	v_lshl_add_u64 v[12:13], v[12:13], 1, v[0:1]
	s_waitcnt lgkmcnt(0)
	global_store_dwordx4 v[12:13], v[8:11], off
	v_or_b32_e32 v3, 8, v60
	v_cmp_gt_u32_e32 vcc, 10, v3
	v_add_u32_e32 v8, 4, v14
	v_mad_u64_u32 v[8:9], s[2:3], v8, s0, 0
	v_lshl_add_u64 v[8:9], v[8:9], 1, v[0:1]
	global_store_dwordx4 v[8:9], v[4:7], off
	s_and_b64 exec, exec, vcc
	s_cbranch_execz .LBB1077_18
; %bb.17:
	ds_read_b128 v[4:7], v2 offset:256
	v_add_u32_e32 v2, s48, v3
	v_mad_u64_u32 v[2:3], s[0:1], v2, s0, 0
	v_lshl_add_u64 v[0:1], v[2:3], 1, v[0:1]
	s_waitcnt lgkmcnt(0)
	global_store_dwordx4 v[0:1], v[4:7], off
.LBB1077_18:
	s_endpgm
	.section	.rodata,"a",@progbits
	.p2align	6, 0x0
	.amdhsa_kernel _Z39paged_attention_ll4mi_QKV_mfma16_kernelIDF16_hLN4vllm18Fp8KVCacheDataTypeE1EDF16_Li32ELi128ELi256ELb0ELi10EEvPKT_PKT0_S7_ifPKiS9_S9_iPKfiiiPfSC_PS2_PT2_iSB_SB_
		.amdhsa_group_segment_fixed_size 8192
		.amdhsa_private_segment_fixed_size 0
		.amdhsa_kernarg_size 400
		.amdhsa_user_sgpr_count 2
		.amdhsa_user_sgpr_dispatch_ptr 0
		.amdhsa_user_sgpr_queue_ptr 0
		.amdhsa_user_sgpr_kernarg_segment_ptr 1
		.amdhsa_user_sgpr_dispatch_id 0
		.amdhsa_user_sgpr_kernarg_preload_length 0
		.amdhsa_user_sgpr_kernarg_preload_offset 0
		.amdhsa_user_sgpr_private_segment_size 0
		.amdhsa_uses_dynamic_stack 0
		.amdhsa_enable_private_segment 0
		.amdhsa_system_sgpr_workgroup_id_x 1
		.amdhsa_system_sgpr_workgroup_id_y 1
		.amdhsa_system_sgpr_workgroup_id_z 1
		.amdhsa_system_sgpr_workgroup_info 0
		.amdhsa_system_vgpr_workitem_id 0
		.amdhsa_next_free_vgpr 80
		.amdhsa_next_free_sgpr 50
		.amdhsa_accum_offset 80
		.amdhsa_reserve_vcc 1
		.amdhsa_float_round_mode_32 0
		.amdhsa_float_round_mode_16_64 0
		.amdhsa_float_denorm_mode_32 3
		.amdhsa_float_denorm_mode_16_64 3
		.amdhsa_dx10_clamp 1
		.amdhsa_ieee_mode 1
		.amdhsa_fp16_overflow 0
		.amdhsa_tg_split 0
		.amdhsa_exception_fp_ieee_invalid_op 0
		.amdhsa_exception_fp_denorm_src 0
		.amdhsa_exception_fp_ieee_div_zero 0
		.amdhsa_exception_fp_ieee_overflow 0
		.amdhsa_exception_fp_ieee_underflow 0
		.amdhsa_exception_fp_ieee_inexact 0
		.amdhsa_exception_int_div_zero 0
	.end_amdhsa_kernel
	.section	.text._Z39paged_attention_ll4mi_QKV_mfma16_kernelIDF16_hLN4vllm18Fp8KVCacheDataTypeE1EDF16_Li32ELi128ELi256ELb0ELi10EEvPKT_PKT0_S7_ifPKiS9_S9_iPKfiiiPfSC_PS2_PT2_iSB_SB_,"axG",@progbits,_Z39paged_attention_ll4mi_QKV_mfma16_kernelIDF16_hLN4vllm18Fp8KVCacheDataTypeE1EDF16_Li32ELi128ELi256ELb0ELi10EEvPKT_PKT0_S7_ifPKiS9_S9_iPKfiiiPfSC_PS2_PT2_iSB_SB_,comdat
.Lfunc_end1077:
	.size	_Z39paged_attention_ll4mi_QKV_mfma16_kernelIDF16_hLN4vllm18Fp8KVCacheDataTypeE1EDF16_Li32ELi128ELi256ELb0ELi10EEvPKT_PKT0_S7_ifPKiS9_S9_iPKfiiiPfSC_PS2_PT2_iSB_SB_, .Lfunc_end1077-_Z39paged_attention_ll4mi_QKV_mfma16_kernelIDF16_hLN4vllm18Fp8KVCacheDataTypeE1EDF16_Li32ELi128ELi256ELb0ELi10EEvPKT_PKT0_S7_ifPKiS9_S9_iPKfiiiPfSC_PS2_PT2_iSB_SB_
                                        ; -- End function
	.section	.AMDGPU.csdata,"",@progbits
; Kernel info:
; codeLenInByte = 6096
; NumSgprs: 56
; NumVgprs: 80
; NumAgprs: 0
; TotalNumVgprs: 80
; ScratchSize: 0
; MemoryBound: 0
; FloatMode: 240
; IeeeMode: 1
; LDSByteSize: 8192 bytes/workgroup (compile time only)
; SGPRBlocks: 6
; VGPRBlocks: 9
; NumSGPRsForWavesPerEU: 56
; NumVGPRsForWavesPerEU: 80
; AccumOffset: 80
; Occupancy: 6
; WaveLimiterHint : 1
; COMPUTE_PGM_RSRC2:SCRATCH_EN: 0
; COMPUTE_PGM_RSRC2:USER_SGPR: 2
; COMPUTE_PGM_RSRC2:TRAP_HANDLER: 0
; COMPUTE_PGM_RSRC2:TGID_X_EN: 1
; COMPUTE_PGM_RSRC2:TGID_Y_EN: 1
; COMPUTE_PGM_RSRC2:TGID_Z_EN: 1
; COMPUTE_PGM_RSRC2:TIDIG_COMP_CNT: 0
; COMPUTE_PGM_RSRC3_GFX90A:ACCUM_OFFSET: 19
; COMPUTE_PGM_RSRC3_GFX90A:TG_SPLIT: 0
	.section	.text._Z39paged_attention_ll4mi_QKV_mfma16_kernelIDF16_hLN4vllm18Fp8KVCacheDataTypeE1EDF16_Li32ELi128ELi256ELb0ELi11EEvPKT_PKT0_S7_ifPKiS9_S9_iPKfiiiPfSC_PS2_PT2_iSB_SB_,"axG",@progbits,_Z39paged_attention_ll4mi_QKV_mfma16_kernelIDF16_hLN4vllm18Fp8KVCacheDataTypeE1EDF16_Li32ELi128ELi256ELb0ELi11EEvPKT_PKT0_S7_ifPKiS9_S9_iPKfiiiPfSC_PS2_PT2_iSB_SB_,comdat
	.protected	_Z39paged_attention_ll4mi_QKV_mfma16_kernelIDF16_hLN4vllm18Fp8KVCacheDataTypeE1EDF16_Li32ELi128ELi256ELb0ELi11EEvPKT_PKT0_S7_ifPKiS9_S9_iPKfiiiPfSC_PS2_PT2_iSB_SB_ ; -- Begin function _Z39paged_attention_ll4mi_QKV_mfma16_kernelIDF16_hLN4vllm18Fp8KVCacheDataTypeE1EDF16_Li32ELi128ELi256ELb0ELi11EEvPKT_PKT0_S7_ifPKiS9_S9_iPKfiiiPfSC_PS2_PT2_iSB_SB_
	.globl	_Z39paged_attention_ll4mi_QKV_mfma16_kernelIDF16_hLN4vllm18Fp8KVCacheDataTypeE1EDF16_Li32ELi128ELi256ELb0ELi11EEvPKT_PKT0_S7_ifPKiS9_S9_iPKfiiiPfSC_PS2_PT2_iSB_SB_
	.p2align	8
	.type	_Z39paged_attention_ll4mi_QKV_mfma16_kernelIDF16_hLN4vllm18Fp8KVCacheDataTypeE1EDF16_Li32ELi128ELi256ELb0ELi11EEvPKT_PKT0_S7_ifPKiS9_S9_iPKfiiiPfSC_PS2_PT2_iSB_SB_,@function
_Z39paged_attention_ll4mi_QKV_mfma16_kernelIDF16_hLN4vllm18Fp8KVCacheDataTypeE1EDF16_Li32ELi128ELi256ELb0ELi11EEvPKT_PKT0_S7_ifPKiS9_S9_iPKfiiiPfSC_PS2_PT2_iSB_SB_: ; @_Z39paged_attention_ll4mi_QKV_mfma16_kernelIDF16_hLN4vllm18Fp8KVCacheDataTypeE1EDF16_Li32ELi128ELi256ELb0ELi11EEvPKT_PKT0_S7_ifPKiS9_S9_iPKfiiiPfSC_PS2_PT2_iSB_SB_
; %bb.0:
	s_load_dwordx2 s[12:13], s[0:1], 0x30
	s_mov_b32 s22, s3
	s_mov_b64 s[6:7], 0
	s_waitcnt lgkmcnt(0)
	s_cmp_lg_u64 s[12:13], 0
	s_cselect_b64 s[14:15], -1, 0
	s_and_b64 vcc, exec, s[14:15]
	s_cbranch_vccz .LBB1078_7
; %bb.1:
	s_add_i32 s8, s2, 1
	s_mov_b32 s9, 0
	s_lshl_b64 s[10:11], s[8:9], 2
	s_add_u32 s10, s12, s10
	s_mov_b32 s3, s9
	s_addc_u32 s11, s13, s11
	s_lshl_b64 s[8:9], s[2:3], 2
	s_add_u32 s8, s12, s8
	s_addc_u32 s9, s13, s9
	s_load_dword s5, s[10:11], 0x0
	s_load_dword s16, s[8:9], 0x0
	s_waitcnt lgkmcnt(0)
	s_sub_i32 s5, s5, s16
	s_cmp_eq_u32 s5, 1
	s_cselect_b64 s[8:9], -1, 0
	s_andn2_b64 vcc, exec, s[6:7]
	s_cbranch_vccnz .LBB1078_3
.LBB1078_2:
	s_mov_b32 s3, 0
	s_mov_b64 s[8:9], -1
.LBB1078_3:
	s_andn2_b64 vcc, exec, s[8:9]
	s_cbranch_vccnz .LBB1078_18
; %bb.4:
	s_load_dwordx2 s[6:7], s[0:1], 0x28
	s_lshl_b64 s[16:17], s[2:3], 2
	s_waitcnt lgkmcnt(0)
	s_add_u32 s6, s6, s16
	s_addc_u32 s7, s7, s17
	s_load_dword s5, s[6:7], 0x0
	s_lshl_b32 s18, s22, 8
	s_waitcnt lgkmcnt(0)
	s_cmp_ge_i32 s18, s5
	s_cbranch_scc1 .LBB1078_18
; %bb.5:
	s_load_dwordx2 s[6:7], s[0:1], 0x20
	s_load_dword s8, s[0:1], 0x38
	s_add_i32 s9, s5, 31
	s_ashr_i32 s10, s9, 31
	v_and_b32_e32 v1, 0xcf, v0
	s_lshr_b32 s10, s10, 27
	v_add_u32_e32 v1, s18, v1
	s_add_i32 s9, s9, s10
	v_ashrrev_i32_e32 v2, 31, v1
	s_ashr_i32 s19, s9, 5
	v_lshrrev_b32_e32 v6, 27, v2
	s_add_i32 s19, s19, -1
	s_waitcnt lgkmcnt(0)
	s_mul_i32 s8, s2, s8
	s_mov_b32 s9, 0
	v_add_u32_e32 v2, v1, v6
	s_lshl_b64 s[8:9], s[8:9], 2
	v_ashrrev_i32_e32 v2, 5, v2
	v_mov_b32_e32 v7, s19
	v_cmp_gt_i32_e32 vcc, s5, v1
	s_add_u32 s6, s6, s8
	s_addc_u32 s7, s7, s9
	v_cndmask_b32_e32 v2, v7, v2, vcc
	v_ashrrev_i32_e32 v3, 31, v2
	v_lshl_add_u64 v[4:5], v[2:3], 2, s[6:7]
	v_or_b32_e32 v2, 16, v1
	v_add_u32_e32 v3, v2, v6
	v_ashrrev_i32_e32 v3, 5, v3
	v_cmp_gt_i32_e32 vcc, s5, v2
	s_load_dwordx4 s[8:11], s[0:1], 0x8
	s_nop 0
	v_cndmask_b32_e32 v2, v7, v3, vcc
	v_ashrrev_i32_e32 v3, 31, v2
	v_lshl_add_u64 v[8:9], v[2:3], 2, s[6:7]
	v_or_b32_e32 v2, 32, v1
	v_add_u32_e32 v3, v2, v6
	v_ashrrev_i32_e32 v3, 5, v3
	v_cmp_gt_i32_e32 vcc, s5, v2
	v_or_b32_e32 v1, 48, v1
	s_nop 0
	v_cndmask_b32_e32 v2, v7, v3, vcc
	v_ashrrev_i32_e32 v3, 31, v2
	v_lshl_add_u64 v[10:11], v[2:3], 2, s[6:7]
	v_add_u32_e32 v2, v1, v6
	v_ashrrev_i32_e32 v2, 5, v2
	v_cmp_gt_i32_e32 vcc, s5, v1
	s_nop 1
	v_cndmask_b32_e32 v2, v7, v2, vcc
	v_ashrrev_i32_e32 v3, 31, v2
	v_lshl_add_u64 v[12:13], v[2:3], 2, s[6:7]
	global_load_dword v2, v[4:5], off
	global_load_dword v6, v[8:9], off
	;; [unrolled: 1-line block ×4, first 2 shown]
	s_andn2_b64 vcc, exec, s[14:15]
	s_cbranch_vccnz .LBB1078_8
; %bb.6:
	s_add_u32 s12, s12, s16
	s_addc_u32 s13, s13, s17
	s_load_dword s14, s[12:13], 0x0
	s_branch .LBB1078_9
.LBB1078_7:
	s_mov_b64 s[8:9], 0
	s_branch .LBB1078_2
.LBB1078_8:
	s_mov_b32 s14, s2
.LBB1078_9:
	s_load_dwordx4 s[44:47], s[0:1], 0x48
	v_lshrrev_b32_e32 v57, 6, v0
	v_bfe_u32 v60, v0, 4, 2
	v_and_b32_e32 v56, 15, v0
	v_lshl_or_b32 v3, v57, 2, v60
	v_lshlrev_b32_e32 v1, 3, v56
	v_and_b32_e32 v61, 63, v0
	s_mul_i32 s48, s4, 11
	v_cmp_gt_u32_e32 vcc, 11, v3
	v_lshlrev_b32_e32 v54, 1, v1
	v_lshlrev_b32_e32 v1, 4, v0
	s_and_saveexec_b64 s[12:13], vcc
	s_cbranch_execz .LBB1078_11
; %bb.10:
	s_load_dwordx2 s[16:17], s[0:1], 0x0
	s_waitcnt lgkmcnt(0)
	s_ashr_i32 s15, s44, 31
	s_mul_hi_u32 s20, s14, s44
	s_mul_i32 s15, s14, s15
	s_add_i32 s15, s20, s15
	s_mul_i32 s14, s14, s44
	s_lshl_b64 s[14:15], s[14:15], 1
	s_add_u32 s14, s16, s14
	v_add_lshl_u32 v4, v3, s48, 7
	s_addc_u32 s15, s17, s15
	v_ashrrev_i32_e32 v5, 31, v4
	v_lshl_add_u64 v[4:5], v[4:5], 1, s[14:15]
	v_mov_b32_e32 v55, 0
	v_lshl_add_u64 v[4:5], v[4:5], 0, v[54:55]
	global_load_dwordx4 v[8:11], v[4:5], off
	v_lshlrev_b32_e32 v5, 8, v0
	v_lshlrev_b32_e32 v4, 8, v56
	v_and_b32_e32 v5, 0x600, v5
	s_movk_i32 s14, 0x800
	v_and_or_b32 v4, v4, s14, v5
	v_lshlrev_b32_e32 v3, 5, v3
	v_and_b32_e32 v5, 16, v1
	v_or3_b32 v3, v4, v3, v5
	s_waitcnt vmcnt(0)
	ds_write_b128 v3, v[8:11]
.LBB1078_11:
	s_or_b64 exec, exec, s[12:13]
	s_waitcnt lgkmcnt(0)
	s_mul_i32 s12, s4, s46
	s_add_u32 s8, s8, s12
	s_addc_u32 s9, s9, 0
	v_mov_b32_e32 v59, 0
	v_mov_b64_e32 v[4:5], s[8:9]
	v_and_b32_e32 v7, 48, v0
	s_waitcnt vmcnt(3)
	v_mad_i64_i32 v[8:9], s[8:9], v2, s45, v[4:5]
	v_lshlrev_b32_e32 v2, 4, v56
	v_mov_b32_e32 v3, v59
	v_lshlrev_b32_e32 v58, 5, v7
	v_lshl_add_u64 v[8:9], v[8:9], 0, v[2:3]
	v_lshl_add_u64 v[8:9], v[8:9], 0, v[58:59]
	s_load_dword s23, s[0:1], 0x98
	s_load_dwordx4 s[40:43], s[0:1], 0x80
	s_waitcnt lgkmcnt(0)
	s_barrier
	global_load_dwordx4 v[10:13], v[8:9], off
	global_load_dwordx4 v[30:33], v[8:9], off offset:2048
	v_add_u32_e32 v14, -11, v56
	v_cmp_gt_u32_e32 vcc, 11, v56
	s_ashr_i32 s8, s18, 31
	v_or_b32_e32 v24, 0x100, v2
	v_cndmask_b32_e32 v8, v14, v56, vcc
	v_mov_b32_e32 v25, v59
	s_lshr_b32 s13, s8, 27
	s_waitcnt vmcnt(4)
	v_mad_i64_i32 v[34:35], s[8:9], v6, s45, v[4:5]
	v_or_b32_e32 v39, s18, v7
	v_lshlrev_b32_e32 v7, 5, v8
	v_lshl_add_u64 v[34:35], v[34:35], 0, v[24:25]
	v_lshl_add_u32 v7, v60, 9, v7
	v_lshl_add_u64 v[34:35], v[34:35], 0, v[58:59]
	ds_read_b128 v[26:29], v7
	ds_read_b128 v[18:21], v7 offset:16
	ds_read_b128 v[14:17], v7 offset:2048
	;; [unrolled: 1-line block ×3, first 2 shown]
	global_load_dwordx4 v[46:49], v[34:35], off
	v_or_b32_e32 v41, 0x80, v39
	v_or_b32_e32 v51, 0xc0, v39
	s_waitcnt vmcnt(4)
	v_mad_i64_i32 v[36:37], s[8:9], v22, s45, v[4:5]
	s_waitcnt vmcnt(3)
	v_mad_i64_i32 v[4:5], s[8:9], v23, s45, v[4:5]
	v_add_u32_e32 v42, s13, v41
	v_add_u32_e32 v43, s13, v51
	v_lshl_add_u64 v[4:5], v[4:5], 0, v[24:25]
	v_ashrrev_i32_e32 v24, 5, v42
	v_ashrrev_i32_e32 v25, 5, v43
	global_load_dwordx4 v[42:45], v[34:35], off offset:2048
	v_or_b32_e32 v40, 64, v39
	v_add_u32_e32 v22, s13, v39
	v_mov_b32_e32 v38, s19
	v_add_u32_e32 v23, s13, v40
	v_ashrrev_i32_e32 v22, 5, v22
	v_cmp_gt_i32_e32 vcc, s5, v39
	v_ashrrev_i32_e32 v23, 5, v23
	v_lshl_add_u64 v[2:3], v[36:37], 0, v[2:3]
	v_cndmask_b32_e32 v50, v38, v22, vcc
	v_cmp_gt_i32_e32 vcc, s5, v40
	v_lshl_add_u64 v[2:3], v[2:3], 0, v[58:59]
	v_lshl_add_u64 v[36:37], v[4:5], 0, v[58:59]
	v_cndmask_b32_e32 v52, v38, v23, vcc
	v_cmp_gt_i32_e32 vcc, s5, v41
	v_ashrrev_i32_e32 v53, 31, v52
	v_lshl_add_u64 v[52:53], v[52:53], 2, s[6:7]
	v_cndmask_b32_e32 v62, v38, v24, vcc
	v_cmp_gt_i32_e32 vcc, s5, v51
	v_ashrrev_i32_e32 v51, 31, v50
	v_ashrrev_i32_e32 v63, 31, v62
	v_cndmask_b32_e32 v64, v38, v25, vcc
	global_load_dwordx4 v[22:25], v[2:3], off
	s_nop 0
	global_load_dwordx4 v[2:5], v[2:3], off offset:2048
	s_nop 0
	global_load_dwordx4 v[38:41], v[36:37], off
	s_nop 0
	global_load_dwordx4 v[34:37], v[36:37], off offset:2048
	v_ashrrev_i32_e32 v65, 31, v64
	v_lshl_add_u64 v[50:51], v[50:51], 2, s[6:7]
	v_lshl_add_u64 v[66:67], v[62:63], 2, s[6:7]
	v_lshl_add_u64 v[68:69], v[64:65], 2, s[6:7]
	global_load_dword v65, v[50:51], off
	global_load_dword v63, v[52:53], off
	;; [unrolled: 1-line block ×4, first 2 shown]
	s_add_u32 s6, s10, s12
	s_addc_u32 s7, s11, 0
	v_and_b32_e32 v58, 16, v0
	v_lshl_or_b32 v64, v57, 4, v56
	s_load_dword s4, s[0:1], 0x1c
	s_mov_b32 s33, 0xff7fffff
	s_waitcnt vmcnt(11)
	v_cvt_pk_f32_fp8_e32 v[50:51], v10
	v_cvt_pk_f32_fp8_sdwa v[52:53], v10 src0_sel:WORD_1
	v_cvt_pk_f32_fp8_e32 v[66:67], v11
	v_cvt_pk_f32_fp8_sdwa v[10:11], v11 src0_sel:WORD_1
	v_cvt_pkrtz_f16_f32 v50, v50, v51
	v_cvt_pkrtz_f16_f32 v51, v52, v53
	v_cvt_pk_f32_fp8_e32 v[68:69], v12
	v_cvt_pk_f32_fp8_sdwa v[70:71], v12 src0_sel:WORD_1
	v_cvt_pkrtz_f16_f32 v66, v66, v67
	v_cvt_pkrtz_f16_f32 v67, v10, v11
	s_waitcnt lgkmcnt(0)
	v_mfma_f32_16x16x16_f16 v[50:53], v[50:51], v[26:27], 0
	v_cvt_pk_f32_fp8_e32 v[72:73], v13
	v_cvt_pk_f32_fp8_sdwa v[74:75], v13 src0_sel:WORD_1
	v_cvt_pkrtz_f16_f32 v68, v68, v69
	v_cvt_pkrtz_f16_f32 v69, v70, v71
	v_mfma_f32_16x16x16_f16 v[10:13], v[66:67], v[28:29], v[50:53]
	s_waitcnt vmcnt(10)
	v_cvt_pk_f32_fp8_sdwa v[66:67], v30 src0_sel:WORD_1
	s_waitcnt vmcnt(6)
	v_cvt_pk_f32_fp8_sdwa v[78:79], v5 src0_sel:WORD_1
	v_cvt_pkrtz_f16_f32 v50, v72, v73
	v_cvt_pk_f32_fp8_e32 v[52:53], v30
	v_cvt_pkrtz_f16_f32 v51, v74, v75
	v_mfma_f32_16x16x16_f16 v[10:13], v[68:69], v[18:19], v[10:13]
	v_cvt_pk_f32_fp8_sdwa v[68:69], v42 src0_sel:WORD_1
	v_cvt_pkrtz_f16_f32 v52, v52, v53
	v_cvt_pkrtz_f16_f32 v53, v66, v67
	v_cvt_pk_f32_fp8_e32 v[66:67], v31
	v_cvt_pk_f32_fp8_sdwa v[30:31], v31 src0_sel:WORD_1
	v_mfma_f32_16x16x16_f16 v[10:13], v[50:51], v[20:21], v[10:13]
	v_cvt_pk_f32_fp8_e32 v[72:73], v3
	v_cvt_pkrtz_f16_f32 v50, v66, v67
	v_cvt_pkrtz_f16_f32 v51, v30, v31
	v_mfma_f32_16x16x16_f16 v[10:13], v[52:53], v[14:15], v[10:13]
	v_cvt_pk_f32_fp8_e32 v[30:31], v32
	v_cvt_pk_f32_fp8_sdwa v[52:53], v32 src0_sel:WORD_1
	v_cvt_pk_f32_fp8_sdwa v[66:67], v46 src0_sel:WORD_1
	v_mfma_f32_16x16x16_f16 v[10:13], v[50:51], v[16:17], v[10:13]
	v_cvt_pkrtz_f16_f32 v30, v30, v31
	v_cvt_pkrtz_f16_f32 v31, v52, v53
	v_cvt_pk_f32_fp8_e32 v[50:51], v33
	v_cvt_pk_f32_fp8_sdwa v[32:33], v33 src0_sel:WORD_1
	v_cvt_pk_f32_fp8_e32 v[52:53], v46
	v_mfma_f32_16x16x16_f16 v[10:13], v[30:31], v[6:7], v[10:13]
	v_cvt_pkrtz_f16_f32 v50, v50, v51
	v_cvt_pkrtz_f16_f32 v51, v32, v33
	;; [unrolled: 1-line block ×4, first 2 shown]
	v_cvt_pk_f32_fp8_e32 v[32:33], v47
	v_cvt_pk_f32_fp8_sdwa v[46:47], v47 src0_sel:WORD_1
	v_mfma_f32_16x16x16_f16 v[50:53], v[50:51], v[8:9], v[10:13]
	v_cvt_pk_f32_fp8_sdwa v[66:67], v48 src0_sel:WORD_1
	v_cvt_pkrtz_f16_f32 v32, v32, v33
	v_cvt_pkrtz_f16_f32 v33, v46, v47
	v_mfma_f32_16x16x16_f16 v[10:13], v[30:31], v[26:27], 0
	v_cvt_pk_f32_fp8_e32 v[30:31], v48
	v_lshl_add_u64 v[46:47], s[6:7], 0, v[58:59]
	v_lshlrev_b32_e32 v58, 5, v64
	v_mfma_f32_16x16x16_f16 v[10:13], v[32:33], v[28:29], v[10:13]
	v_cvt_pk_f32_fp8_e32 v[32:33], v49
	v_cvt_pkrtz_f16_f32 v30, v30, v31
	v_cvt_pkrtz_f16_f32 v31, v66, v67
	v_cvt_pk_f32_fp8_sdwa v[48:49], v49 src0_sel:WORD_1
	v_cvt_pkrtz_f16_f32 v32, v32, v33
	v_cvt_pk_f32_fp8_e32 v[66:67], v42
	v_mfma_f32_16x16x16_f16 v[10:13], v[30:31], v[18:19], v[10:13]
	v_cvt_pkrtz_f16_f32 v33, v48, v49
	v_cvt_pkrtz_f16_f32 v30, v66, v67
	;; [unrolled: 1-line block ×3, first 2 shown]
	v_cvt_pk_f32_fp8_e32 v[48:49], v43
	v_cvt_pk_f32_fp8_sdwa v[42:43], v43 src0_sel:WORD_1
	v_mfma_f32_16x16x16_f16 v[10:13], v[32:33], v[20:21], v[10:13]
	v_lshl_add_u64 v[66:67], v[46:47], 0, v[58:59]
	v_cvt_pkrtz_f16_f32 v32, v48, v49
	v_cvt_pkrtz_f16_f32 v33, v42, v43
	v_mfma_f32_16x16x16_f16 v[10:13], v[30:31], v[14:15], v[10:13]
	v_cvt_pk_f32_fp8_e32 v[30:31], v44
	v_cvt_pk_f32_fp8_sdwa v[42:43], v44 src0_sel:WORD_1
	v_cvt_pk_f32_fp8_sdwa v[48:49], v22 src0_sel:WORD_1
	v_mfma_f32_16x16x16_f16 v[10:13], v[32:33], v[16:17], v[10:13]
	v_cvt_pkrtz_f16_f32 v30, v30, v31
	v_cvt_pkrtz_f16_f32 v31, v42, v43
	v_cvt_pk_f32_fp8_e32 v[32:33], v45
	v_cvt_pk_f32_fp8_sdwa v[42:43], v45 src0_sel:WORD_1
	v_cvt_pk_f32_fp8_e32 v[44:45], v22
	v_mfma_f32_16x16x16_f16 v[10:13], v[30:31], v[6:7], v[10:13]
	v_cvt_pkrtz_f16_f32 v32, v32, v33
	v_cvt_pkrtz_f16_f32 v33, v42, v43
	;; [unrolled: 1-line block ×4, first 2 shown]
	v_cvt_pk_f32_fp8_e32 v[48:49], v23
	v_cvt_pk_f32_fp8_sdwa v[22:23], v23 src0_sel:WORD_1
	v_mfma_f32_16x16x16_f16 v[42:45], v[32:33], v[8:9], v[10:13]
	s_waitcnt vmcnt(2)
	v_mad_i64_i32 v[68:69], s[6:7], v63, s45, v[66:67]
	v_cvt_pkrtz_f16_f32 v32, v48, v49
	v_cvt_pkrtz_f16_f32 v33, v22, v23
	v_mfma_f32_16x16x16_f16 v[10:13], v[30:31], v[26:27], 0
	v_cvt_pk_f32_fp8_e32 v[22:23], v24
	v_cvt_pk_f32_fp8_sdwa v[30:31], v24 src0_sel:WORD_1
	v_mad_i64_i32 v[48:49], s[6:7], v65, s45, v[66:67]
	v_cvt_pkrtz_f16_f32 v22, v22, v23
	v_cvt_pkrtz_f16_f32 v23, v30, v31
	v_cvt_pk_f32_fp8_e32 v[30:31], v25
	v_cvt_pk_f32_fp8_sdwa v[24:25], v25 src0_sel:WORD_1
	v_mfma_f32_16x16x16_f16 v[10:13], v[32:33], v[28:29], v[10:13]
	s_waitcnt vmcnt(0)
	v_mad_i64_i32 v[74:75], s[6:7], v62, s45, v[66:67]
	v_cvt_pkrtz_f16_f32 v70, v30, v31
	v_cvt_pkrtz_f16_f32 v71, v24, v25
	v_mfma_f32_16x16x16_f16 v[10:13], v[22:23], v[18:19], v[10:13]
	global_load_dwordx4 v[30:33], v[48:49], off
	global_load_dwordx4 v[22:25], v[68:69], off
	v_cvt_pk_f32_fp8_e32 v[68:69], v2
	v_mad_i64_i32 v[48:49], s[6:7], v55, s45, v[66:67]
	v_mfma_f32_16x16x16_f16 v[10:13], v[70:71], v[20:21], v[10:13]
	v_cvt_pk_f32_fp8_sdwa v[70:71], v2 src0_sel:WORD_1
	v_cvt_pk_f32_fp8_sdwa v[2:3], v3 src0_sel:WORD_1
	v_cvt_pkrtz_f16_f32 v68, v68, v69
	v_or_b32_e32 v58, 0x800, v58
	v_cvt_pkrtz_f16_f32 v69, v70, v71
	v_cvt_pkrtz_f16_f32 v70, v72, v73
	;; [unrolled: 1-line block ×3, first 2 shown]
	v_cvt_pk_f32_fp8_e32 v[2:3], v4
	v_cvt_pk_f32_fp8_sdwa v[72:73], v4 src0_sel:WORD_1
	v_mfma_f32_16x16x16_f16 v[66:69], v[68:69], v[14:15], v[10:13]
	v_lshl_add_u64 v[46:47], v[46:47], 0, v[58:59]
	v_cvt_pkrtz_f16_f32 v76, v2, v3
	v_cvt_pkrtz_f16_f32 v77, v72, v73
	v_cvt_pk_f32_fp8_e32 v[72:73], v5
	v_mfma_f32_16x16x16_f16 v[66:69], v[70:71], v[16:17], v[66:69]
	global_load_dwordx4 v[10:13], v[48:49], off
	global_load_dwordx4 v[2:5], v[74:75], off
	v_cvt_pkrtz_f16_f32 v49, v78, v79
	v_cvt_pkrtz_f16_f32 v48, v72, v73
	v_mfma_f32_16x16x16_f16 v[66:69], v[76:77], v[6:7], v[66:69]
	v_cvt_pk_f32_fp8_e32 v[58:59], v38
	v_cvt_pk_f32_fp8_sdwa v[70:71], v38 src0_sel:WORD_1
	v_cvt_pk_f32_fp8_e32 v[74:75], v40
	v_mfma_f32_16x16x16_f16 v[66:69], v[48:49], v[8:9], v[66:69]
	v_cvt_pk_f32_fp8_e32 v[48:49], v39
	v_cvt_pkrtz_f16_f32 v58, v58, v59
	v_cvt_pkrtz_f16_f32 v59, v70, v71
	v_cvt_pk_f32_fp8_sdwa v[38:39], v39 src0_sel:WORD_1
	v_cvt_pkrtz_f16_f32 v48, v48, v49
	v_cvt_pk_f32_fp8_sdwa v[76:77], v40 src0_sel:WORD_1
	v_mfma_f32_16x16x16_f16 v[70:73], v[58:59], v[26:27], 0
	v_cvt_pkrtz_f16_f32 v49, v38, v39
	v_cvt_pkrtz_f16_f32 v38, v74, v75
	;; [unrolled: 1-line block ×3, first 2 shown]
	v_cvt_pk_f32_fp8_e32 v[58:59], v41
	v_cvt_pk_f32_fp8_sdwa v[40:41], v41 src0_sel:WORD_1
	v_mfma_f32_16x16x16_f16 v[26:29], v[48:49], v[28:29], v[70:73]
	s_load_dword s6, s[40:41], 0x0
	v_cvt_pkrtz_f16_f32 v48, v58, v59
	v_cvt_pkrtz_f16_f32 v49, v40, v41
	v_mfma_f32_16x16x16_f16 v[26:29], v[38:39], v[18:19], v[26:29]
	v_mov_b32_e32 v70, s4
	s_waitcnt lgkmcnt(0)
	v_mul_f32_e32 v40, s6, v70
	v_pk_mul_f32 v[38:39], v[40:41], v[52:53] op_sel_hi:[0,1]
	v_mfma_f32_16x16x16_f16 v[18:21], v[48:49], v[20:21], v[26:29]
	v_cvt_pk_f32_fp8_e32 v[48:49], v35
	v_pk_mul_f32 v[50:51], v[40:41], v[50:51] op_sel_hi:[0,1]
	v_pk_mul_f32 v[52:53], v[40:41], v[42:43] op_sel_hi:[0,1]
	v_cvt_pk_f32_fp8_e32 v[26:27], v34
	v_cvt_pk_f32_fp8_sdwa v[28:29], v34 src0_sel:WORD_1
	v_cvt_pk_f32_fp8_sdwa v[34:35], v35 src0_sel:WORD_1
	v_pk_mul_f32 v[42:43], v[40:41], v[66:67] op_sel_hi:[0,1]
	v_cvt_pkrtz_f16_f32 v26, v26, v27
	v_cvt_pkrtz_f16_f32 v27, v28, v29
	;; [unrolled: 1-line block ×4, first 2 shown]
	v_cvt_pk_f32_fp8_e32 v[34:35], v36
	v_cvt_pk_f32_fp8_sdwa v[48:49], v36 src0_sel:WORD_1
	v_mfma_f32_16x16x16_f16 v[18:21], v[26:27], v[14:15], v[18:21]
	v_mad_i64_i32 v[58:59], s[6:7], v65, s45, v[46:47]
	v_cvt_pkrtz_f16_f32 v26, v34, v35
	v_cvt_pkrtz_f16_f32 v27, v48, v49
	v_cvt_pk_f32_fp8_e32 v[34:35], v37
	v_cvt_pk_f32_fp8_sdwa v[36:37], v37 src0_sel:WORD_1
	v_mfma_f32_16x16x16_f16 v[14:17], v[28:29], v[16:17], v[18:21]
	v_pk_mul_f32 v[48:49], v[40:41], v[44:45] op_sel_hi:[0,1]
	v_pk_mul_f32 v[44:45], v[40:41], v[68:69] op_sel_hi:[0,1]
	s_nop 0
	v_cvt_pkrtz_f16_f32 v18, v34, v35
	v_cvt_pkrtz_f16_f32 v19, v36, v37
	v_mfma_f32_16x16x16_f16 v[14:17], v[26:27], v[6:7], v[14:17]
	s_nop 0
	v_mfma_f32_16x16x16_f16 v[6:9], v[18:19], v[8:9], v[14:17]
	s_nop 6
	v_pk_mul_f32 v[34:35], v[40:41], v[8:9] op_sel_hi:[0,1]
	v_pk_mul_f32 v[40:41], v[40:41], v[6:7] op_sel_hi:[0,1]
	v_and_b32_e32 v6, 0xc0, v0
	v_add_u32_e32 v6, s18, v6
	v_lshl_or_b32 v6, v60, 2, v6
	v_or_b32_e32 v9, 1, v6
	v_mov_b32_e32 v7, 0xff7fffff
	v_cmp_gt_i32_e64 s[24:25], s5, v6
	v_cmp_gt_i32_e64 s[26:27], s5, v9
	v_or_b32_e32 v14, 3, v6
	v_cndmask_b32_e64 v8, v7, v50, s[24:25]
	v_cndmask_b32_e64 v9, v7, v51, s[26:27]
	v_max3_f32 v8, v8, s33, v9
	v_or_b32_e32 v9, 2, v6
	v_cmp_gt_i32_e64 s[28:29], s5, v9
	v_cmp_gt_i32_e64 s[30:31], s5, v14
	s_nop 0
	v_cndmask_b32_e64 v9, v7, v38, s[28:29]
	v_cndmask_b32_e64 v14, v7, v39, s[30:31]
	v_max3_f32 v8, v8, v9, v14
	v_or_b32_e32 v9, 16, v6
	v_or_b32_e32 v14, 17, v6
	v_cmp_gt_i32_e64 s[34:35], s5, v9
	v_cmp_gt_i32_e64 s[36:37], s5, v14
	s_nop 0
	v_cndmask_b32_e64 v9, v7, v52, s[34:35]
	v_cndmask_b32_e64 v14, v7, v53, s[36:37]
	v_max3_f32 v8, v8, v9, v14
	v_or_b32_e32 v9, 18, v6
	;; [unrolled: 8-line block ×6, first 2 shown]
	v_or_b32_e32 v6, 51, v6
	v_cmp_gt_i32_e32 vcc, s5, v9
	v_cmp_gt_i32_e64 s[4:5], s5, v6
	s_nop 0
	v_cndmask_b32_e32 v9, v7, v34, vcc
	v_cndmask_b32_e64 v6, v7, v35, s[4:5]
	v_max3_f32 v8, v8, v9, v6
	v_mbcnt_lo_u32_b32 v6, -1, 0
	v_mbcnt_hi_u32_b32 v9, -1, v6
	v_and_b32_e32 v6, 64, v9
	v_add_u32_e32 v14, 64, v6
	v_xor_b32_e32 v6, 32, v9
	v_cmp_lt_i32_e64 s[38:39], v6, v14
	s_nop 1
	v_cndmask_b32_e64 v6, v9, v6, s[38:39]
	v_lshlrev_b32_e32 v65, 2, v6
	ds_bpermute_b32 v15, v65, v8
	v_mad_i64_i32 v[6:7], s[38:39], v63, s45, v[46:47]
	global_load_dwordx4 v[26:29], v[58:59], off
	global_load_dwordx4 v[18:21], v[6:7], off
	s_waitcnt lgkmcnt(0)
	v_max_f32_e32 v6, v15, v15
	v_max_f32_e32 v15, v8, v6
	v_xor_b32_e32 v6, 16, v9
	v_cmp_lt_i32_e64 s[38:39], v6, v14
	s_nop 1
	v_cndmask_b32_e64 v6, v9, v6, s[38:39]
	v_lshlrev_b32_e32 v58, 2, v6
	ds_bpermute_b32 v14, v58, v15
	v_mad_i64_i32 v[6:7], s[38:39], v55, s45, v[46:47]
	v_mad_i64_i32 v[8:9], s[38:39], v62, s45, v[46:47]
	s_waitcnt lgkmcnt(0)
	v_max_f32_e32 v14, v14, v14
	v_max_f32_e32 v55, v15, v14
	v_sub_f32_e32 v14, v50, v55
	v_mul_f32_e32 v14, 0x3fb8aa3b, v14
	v_exp_f32_e32 v36, v14
	v_sub_f32_e32 v14, v51, v55
	v_mul_f32_e32 v14, 0x3fb8aa3b, v14
	v_exp_f32_e32 v37, v14
	global_load_dwordx4 v[14:17], v[6:7], off
	s_nop 0
	global_load_dwordx4 v[6:9], v[8:9], off
	v_sub_f32_e32 v38, v38, v55
	v_mul_f32_e32 v38, 0x3fb8aa3b, v38
	v_sub_f32_e32 v39, v39, v55
	v_exp_f32_e32 v38, v38
	v_mul_f32_e32 v39, 0x3fb8aa3b, v39
	v_exp_f32_e32 v39, v39
	v_cndmask_b32_e64 v36, 0, v36, s[24:25]
	v_add_f32_e32 v46, 0, v36
	v_cndmask_b32_e64 v37, 0, v37, s[26:27]
	v_add_f32_e32 v47, v46, v37
	;; [unrolled: 2-line block ×3, first 2 shown]
	v_cndmask_b32_e64 v47, 0, v39, s[30:31]
	v_sub_f32_e32 v39, v52, v55
	v_mul_f32_e32 v39, 0x3fb8aa3b, v39
	v_sub_f32_e32 v50, v53, v55
	v_exp_f32_e32 v39, v39
	v_mul_f32_e32 v50, 0x3fb8aa3b, v50
	v_sub_f32_e32 v48, v48, v55
	v_exp_f32_e32 v50, v50
	;; [unrolled: 3-line block ×4, first 2 shown]
	v_mul_f32_e32 v42, 0x3fb8aa3b, v42
	v_sub_f32_e32 v43, v43, v55
	v_add_f32_e32 v51, v38, v47
	v_cndmask_b32_e64 v38, 0, v39, s[34:35]
	v_exp_f32_e32 v42, v42
	v_mul_f32_e32 v43, 0x3fb8aa3b, v43
	v_sub_f32_e32 v44, v44, v55
	v_add_f32_e32 v51, v51, v38
	v_cndmask_b32_e64 v39, 0, v50, s[36:37]
	v_exp_f32_e32 v43, v43
	;; [unrolled: 5-line block ×7, first 2 shown]
	v_mul_f32_e32 v35, 0x3fb8aa3b, v35
	v_add_f32_e32 v50, v50, v44
	v_cndmask_b32_e64 v45, 0, v45, s[12:13]
	v_exp_f32_e32 v35, v35
	v_add_f32_e32 v50, v50, v45
	v_cndmask_b32_e64 v40, 0, v40, s[6:7]
	v_add_f32_e32 v50, v50, v40
	v_cndmask_b32_e64 v41, 0, v41, s[8:9]
	v_add_f32_e32 v50, v50, v41
	v_cndmask_b32_e32 v34, 0, v34, vcc
	v_add_f32_e32 v50, v50, v34
	v_cndmask_b32_e64 v35, 0, v35, s[4:5]
	v_add_f32_e32 v50, v50, v35
	ds_bpermute_b32 v51, v65, v50
	v_cmp_gt_u32_e32 vcc, 16, v61
	s_waitcnt lgkmcnt(0)
	s_barrier
	v_add_f32_e32 v50, v50, v51
	ds_bpermute_b32 v51, v58, v50
	s_and_saveexec_b64 s[4:5], vcc
	s_cbranch_execz .LBB1078_13
; %bb.12:
	s_waitcnt lgkmcnt(0)
	v_add_f32_e32 v50, v50, v51
	v_lshlrev_b32_e32 v51, 2, v64
	ds_write2st64_b32 v51, v55, v50 offset1:1
.LBB1078_13:
	s_or_b64 exec, exec, s[4:5]
	s_waitcnt lgkmcnt(0)
	v_lshlrev_b32_e32 v51, 2, v56
	s_load_dword s6, s[0:1], 0x94
	s_waitcnt lgkmcnt(0)
	s_barrier
	ds_read2_b32 v[52:53], v51 offset1:16
	ds_read2_b32 v[58:59], v51 offset0:32 offset1:48
	ds_read2_b32 v[62:63], v51 offset0:64 offset1:80
	s_mul_i32 s7, s23, 11
	s_waitcnt lgkmcnt(2)
	v_max3_f32 v50, v52, s33, v53
	s_waitcnt lgkmcnt(1)
	v_max3_f32 v50, v50, v58, v59
	v_sub_f32_e32 v52, v52, v50
	v_mul_f32_e32 v52, 0x3fb8aa3b, v52
	v_exp_f32_e32 v55, v52
	v_sub_f32_e32 v52, v53, v50
	v_mul_f32_e32 v52, 0x3fb8aa3b, v52
	v_exp_f32_e32 v61, v52
	;; [unrolled: 3-line block ×3, first 2 shown]
	ds_read2_b32 v[52:53], v51 offset0:96 offset1:112
	v_sub_f32_e32 v51, v59, v50
	v_mul_f32_e32 v51, 0x3fb8aa3b, v51
	v_exp_f32_e32 v59, v51
	s_waitcnt lgkmcnt(1)
	v_fma_f32 v51, v55, v62, 0
	v_fmac_f32_e32 v51, v61, v63
	s_waitcnt lgkmcnt(0)
	v_fmac_f32_e32 v51, v58, v52
	v_fmac_f32_e32 v51, v59, v53
	v_add_f32_e32 v52, 0x358637bd, v51
	v_div_scale_f32 v53, s[4:5], v52, v52, 1.0
	v_rcp_f32_e32 v62, v53
	s_barrier
	v_fma_f32 v63, -v53, v62, 1.0
	v_fmac_f32_e32 v62, v63, v62
	v_div_scale_f32 v63, vcc, 1.0, v52, 1.0
	v_mul_f32_e32 v64, v63, v62
	v_fma_f32 v65, -v53, v64, v63
	v_fmac_f32_e32 v64, v65, v62
	v_fma_f32 v53, -v53, v64, v63
	v_div_fmas_f32 v53, v53, v62, v64
	v_cmp_eq_u32_e32 vcc, 1, v57
	v_div_fixup_f32 v52, v53, v52, 1.0
	s_nop 0
	v_cndmask_b32_e32 v53, v55, v61, vcc
	v_cmp_eq_u32_e32 vcc, 2, v57
	s_nop 1
	v_cndmask_b32_e32 v53, v53, v58, vcc
	v_cmp_eq_u32_e32 vcc, 3, v57
	s_nop 1
	v_cndmask_b32_e32 v53, v53, v59, vcc
	v_mul_f32_e32 v52, v53, v52
	v_pk_mul_f32 v[46:47], v[52:53], v[46:47] op_sel_hi:[0,1]
	v_pk_mul_f32 v[36:37], v[52:53], v[36:37] op_sel_hi:[0,1]
	v_cvt_f16_f32_e32 v53, v46
	v_cvt_f16_f32_e32 v36, v36
	;; [unrolled: 1-line block ×4, first 2 shown]
	v_pk_mul_f32 v[48:49], v[52:53], v[48:49] op_sel_hi:[0,1]
	v_pk_mul_f32 v[38:39], v[52:53], v[38:39] op_sel_hi:[0,1]
	v_cvt_f16_f32_e32 v38, v38
	v_cvt_f16_f32_e32 v39, v39
	;; [unrolled: 1-line block ×4, first 2 shown]
	v_pack_b32_f16 v46, v36, v37
	v_pack_b32_f16 v47, v53, v47
	v_lshlrev_b32_e32 v37, 3, v60
	v_lshlrev_b32_e32 v36, 5, v56
	;; [unrolled: 1-line block ×3, first 2 shown]
	v_or3_b32 v55, v53, v36, v37
	v_pack_b32_f16 v38, v38, v39
	v_pack_b32_f16 v39, v48, v49
	ds_write2st64_b64 v55, v[46:47], v[38:39] offset1:1
	v_pk_mul_f32 v[38:39], v[52:53], v[44:45] op_sel_hi:[0,1]
	v_pk_mul_f32 v[42:43], v[52:53], v[42:43] op_sel_hi:[0,1]
	v_cvt_f16_f32_e32 v37, v42
	v_cvt_f16_f32_e32 v42, v43
	;; [unrolled: 1-line block ×4, first 2 shown]
	v_pk_mul_f32 v[34:35], v[52:53], v[34:35] op_sel_hi:[0,1]
	v_pk_mul_f32 v[38:39], v[52:53], v[40:41] op_sel_hi:[0,1]
	v_cvt_f16_f32_e32 v38, v38
	v_cvt_f16_f32_e32 v39, v39
	;; [unrolled: 1-line block ×4, first 2 shown]
	v_pack_b32_f16 v34, v37, v42
	v_pack_b32_f16 v35, v43, v44
	;; [unrolled: 1-line block ×4, first 2 shown]
	v_cmp_gt_u32_e32 vcc, 11, v0
	ds_write2st64_b64 v55, v[34:35], v[38:39] offset0:2 offset1:3
	s_and_saveexec_b64 s[4:5], vcc
	s_cbranch_execz .LBB1078_15
; %bb.14:
	s_mov_b32 s49, 0
	v_mov_b32_e32 v57, 0
	v_lshl_add_u64 v[34:35], s[48:49], 0, v[56:57]
	v_mov_b32_e32 v37, s7
	v_mad_u64_u32 v[34:35], s[12:13], s2, v37, v[34:35]
	s_mul_i32 s3, s3, s7
	v_mov_b32_e32 v38, s22
	v_mov_b32_e32 v39, v57
	s_load_dwordx4 s[8:11], s[0:1], 0x58
	v_add_u32_e32 v37, s3, v35
	v_mad_u64_u32 v[34:35], s[12:13], v34, s6, v[38:39]
	v_mov_b32_e32 v38, v35
	v_mad_u64_u32 v[38:39], s[12:13], v37, s6, v[38:39]
	v_mov_b32_e32 v35, v38
	v_lshlrev_b64 v[34:35], 2, v[34:35]
	s_waitcnt lgkmcnt(0)
	v_lshl_add_u64 v[38:39], s[10:11], 0, v[34:35]
	v_lshl_add_u64 v[34:35], s[8:9], 0, v[34:35]
	global_store_dword v[38:39], v50, off
	global_store_dword v[34:35], v51, off
.LBB1078_15:
	s_or_b64 exec, exec, s[4:5]
	s_waitcnt vmcnt(7)
	v_cvt_pk_f32_fp8_e32 v[34:35], v30
	v_lshl_or_b32 v50, v60, 9, v36
	v_cvt_pk_f32_fp8_sdwa v[36:37], v30 src0_sel:WORD_1
	s_waitcnt lgkmcnt(0)
	s_barrier
	v_cvt_pk_f32_fp8_e32 v[38:39], v31
	v_cvt_pkrtz_f16_f32 v30, v34, v35
	v_cvt_pk_f32_fp8_sdwa v[40:41], v31 src0_sel:WORD_1
	v_cvt_pkrtz_f16_f32 v31, v36, v37
	ds_read_b128 v[34:37], v50
	v_cvt_pkrtz_f16_f32 v46, v38, v39
	v_cvt_pkrtz_f16_f32 v47, v40, v41
	ds_read_b128 v[38:41], v50 offset:16
	v_cvt_pk_f32_fp8_e32 v[48:49], v32
	v_cvt_pk_f32_fp8_sdwa v[52:53], v32 src0_sel:WORD_1
	s_waitcnt lgkmcnt(1)
	v_mfma_f32_16x16x16_f16 v[42:45], v[30:31], v[34:35], 0
	s_waitcnt vmcnt(6)
	v_cvt_pk_f32_fp8_e32 v[58:59], v24
	v_cvt_pkrtz_f16_f32 v30, v48, v49
	v_cvt_pkrtz_f16_f32 v31, v52, v53
	v_cvt_pk_f32_fp8_e32 v[48:49], v33
	v_mfma_f32_16x16x16_f16 v[42:45], v[46:47], v[36:37], v[42:45]
	v_cvt_pk_f32_fp8_sdwa v[46:47], v33 src0_sel:WORD_1
	v_cvt_pk_f32_fp8_sdwa v[62:63], v24 src0_sel:WORD_1
	v_cvt_pkrtz_f16_f32 v48, v48, v49
	s_waitcnt lgkmcnt(0)
	v_mfma_f32_16x16x16_f16 v[30:33], v[30:31], v[38:39], v[42:45]
	v_cvt_pkrtz_f16_f32 v49, v46, v47
	s_waitcnt vmcnt(5)
	v_cvt_pk_f32_fp8_sdwa v[66:67], v12 src0_sel:WORD_1
	s_waitcnt vmcnt(4)
	v_cvt_pk_f32_fp8_sdwa v[68:69], v4 src0_sel:WORD_1
	v_cvt_pk_f32_fp8_e32 v[42:43], v22
	v_mfma_f32_16x16x16_f16 v[46:49], v[48:49], v[40:41], v[30:33]
	s_waitcnt vmcnt(3)
	v_cvt_pk_f32_fp8_sdwa v[70:71], v28 src0_sel:WORD_1
	s_load_dword s4, s[42:43], 0x0
	v_cvt_pk_f32_fp8_sdwa v[30:31], v22 src0_sel:WORD_1
	v_cvt_pk_f32_fp8_e32 v[32:33], v23
	v_cvt_pkrtz_f16_f32 v22, v42, v43
	v_cvt_pk_f32_fp8_sdwa v[42:43], v23 src0_sel:WORD_1
	v_cvt_pkrtz_f16_f32 v23, v30, v31
	v_cvt_pkrtz_f16_f32 v52, v32, v33
	ds_read_b128 v[30:33], v50 offset:2048
	v_cvt_pkrtz_f16_f32 v53, v42, v43
	ds_read_b128 v[42:45], v50 offset:2064
	s_waitcnt lgkmcnt(0)
	v_mfma_f32_16x16x16_f16 v[46:49], v[22:23], v[30:31], v[46:49]
	v_cvt_pkrtz_f16_f32 v22, v58, v59
	v_cvt_pkrtz_f16_f32 v23, v62, v63
	v_cvt_pk_f32_fp8_e32 v[58:59], v25
	v_mfma_f32_16x16x16_f16 v[46:49], v[52:53], v[32:33], v[46:49]
	v_cvt_pk_f32_fp8_sdwa v[52:53], v25 src0_sel:WORD_1
	s_mov_b32 s3, 0
	v_cvt_pkrtz_f16_f32 v58, v58, v59
	v_mfma_f32_16x16x16_f16 v[22:25], v[22:23], v[42:43], v[46:49]
	v_cvt_pkrtz_f16_f32 v59, v52, v53
	v_cmp_gt_u32_e32 vcc, 64, v0
	s_nop 0
	v_cvt_pk_f32_fp8_e32 v[46:47], v10
	v_mfma_f32_16x16x16_f16 v[62:65], v[58:59], v[44:45], v[22:25]
	v_cvt_pk_f32_fp8_e32 v[58:59], v12
	s_nop 1
	v_cvt_pk_f32_fp8_sdwa v[22:23], v10 src0_sel:WORD_1
	v_cvt_pk_f32_fp8_e32 v[24:25], v11
	v_cvt_pkrtz_f16_f32 v10, v46, v47
	v_cvt_pk_f32_fp8_sdwa v[46:47], v11 src0_sel:WORD_1
	v_cvt_pkrtz_f16_f32 v11, v22, v23
	v_cvt_pkrtz_f16_f32 v52, v24, v25
	ds_read_b128 v[22:25], v50 offset:4096
	v_cvt_pkrtz_f16_f32 v53, v46, v47
	ds_read_b128 v[46:49], v50 offset:4112
	s_waitcnt lgkmcnt(1)
	v_mfma_f32_16x16x16_f16 v[62:65], v[10:11], v[22:23], v[62:65]
	v_cvt_pkrtz_f16_f32 v10, v58, v59
	v_cvt_pkrtz_f16_f32 v11, v66, v67
	v_cvt_pk_f32_fp8_e32 v[58:59], v13
	v_mfma_f32_16x16x16_f16 v[62:65], v[52:53], v[24:25], v[62:65]
	v_cvt_pk_f32_fp8_sdwa v[52:53], v13 src0_sel:WORD_1
	v_cvt_pk_f32_fp8_e32 v[66:67], v4
	v_cvt_pkrtz_f16_f32 v58, v58, v59
	s_waitcnt lgkmcnt(0)
	v_mfma_f32_16x16x16_f16 v[10:13], v[10:11], v[46:47], v[62:65]
	v_cvt_pkrtz_f16_f32 v59, v52, v53
	v_cvt_pk_f32_fp8_e32 v[52:53], v2
	s_nop 0
	v_mfma_f32_16x16x16_f16 v[62:65], v[58:59], v[48:49], v[10:13]
	s_nop 2
	v_cvt_pk_f32_fp8_sdwa v[10:11], v2 src0_sel:WORD_1
	v_cvt_pk_f32_fp8_e32 v[12:13], v3
	v_cvt_pkrtz_f16_f32 v2, v52, v53
	v_cvt_pk_f32_fp8_sdwa v[52:53], v3 src0_sel:WORD_1
	v_cvt_pkrtz_f16_f32 v3, v10, v11
	v_cvt_pkrtz_f16_f32 v58, v12, v13
	ds_read_b128 v[10:13], v50 offset:6144
	v_cvt_pkrtz_f16_f32 v59, v52, v53
	s_waitcnt lgkmcnt(0)
	v_mfma_f32_16x16x16_f16 v[62:65], v[2:3], v[10:11], v[62:65]
	ds_read_b128 v[50:53], v50 offset:6160
	v_cvt_pkrtz_f16_f32 v2, v66, v67
	v_cvt_pkrtz_f16_f32 v3, v68, v69
	v_cvt_pk_f32_fp8_e32 v[66:67], v5
	v_mfma_f32_16x16x16_f16 v[62:65], v[58:59], v[12:13], v[62:65]
	v_cvt_pk_f32_fp8_sdwa v[58:59], v5 src0_sel:WORD_1
	v_cvt_pk_f32_fp8_e32 v[68:69], v28
	v_cvt_pkrtz_f16_f32 v66, v66, v67
	s_waitcnt lgkmcnt(0)
	v_mfma_f32_16x16x16_f16 v[2:5], v[2:3], v[50:51], v[62:65]
	v_cvt_pkrtz_f16_f32 v67, v58, v59
	v_cvt_pk_f32_fp8_e32 v[58:59], v26
	s_nop 0
	v_cvt_pk_f32_fp8_sdwa v[62:63], v26 src0_sel:WORD_1
	v_cvt_pk_f32_fp8_e32 v[64:65], v27
	v_cvt_pkrtz_f16_f32 v58, v58, v59
	v_cvt_pk_f32_fp8_sdwa v[26:27], v27 src0_sel:WORD_1
	v_cvt_pkrtz_f16_f32 v59, v62, v63
	v_mfma_f32_16x16x16_f16 v[2:5], v[66:67], v[52:53], v[2:5]
	v_cvt_pkrtz_f16_f32 v66, v64, v65
	v_cvt_pkrtz_f16_f32 v67, v26, v27
	;; [unrolled: 1-line block ×3, first 2 shown]
	v_mfma_f32_16x16x16_f16 v[62:65], v[58:59], v[34:35], 0
	v_cvt_pkrtz_f16_f32 v27, v70, v71
	v_cvt_pk_f32_fp8_e32 v[58:59], v29
	s_barrier
	v_mfma_f32_16x16x16_f16 v[34:37], v[66:67], v[36:37], v[62:65]
	v_cvt_pkrtz_f16_f32 v58, v58, v59
	s_nop 1
	v_cvt_pk_f32_fp8_sdwa v[62:63], v29 src0_sel:WORD_1
	v_mfma_f32_16x16x16_f16 v[26:29], v[26:27], v[38:39], v[34:37]
	s_waitcnt vmcnt(2)
	v_cvt_pk_f32_fp8_e32 v[38:39], v19
	v_cvt_pkrtz_f16_f32 v59, v62, v63
	v_cvt_pk_f32_fp8_e32 v[34:35], v18
	v_cvt_pk_f32_fp8_sdwa v[36:37], v18 src0_sel:WORD_1
	v_cvt_pk_f32_fp8_sdwa v[18:19], v19 src0_sel:WORD_1
	v_mfma_f32_16x16x16_f16 v[26:29], v[58:59], v[40:41], v[26:29]
	v_cvt_pkrtz_f16_f32 v34, v34, v35
	v_cvt_pkrtz_f16_f32 v35, v36, v37
	;; [unrolled: 1-line block ×3, first 2 shown]
	v_cvt_pk_f32_fp8_e32 v[38:39], v20
	v_cvt_pk_f32_fp8_sdwa v[40:41], v20 src0_sel:WORD_1
	v_cvt_pkrtz_f16_f32 v37, v18, v19
	v_mfma_f32_16x16x16_f16 v[26:29], v[34:35], v[30:31], v[26:29]
	v_cvt_pkrtz_f16_f32 v30, v38, v39
	v_cvt_pkrtz_f16_f32 v31, v40, v41
	v_cvt_pk_f32_fp8_e32 v[34:35], v21
	v_cvt_pk_f32_fp8_sdwa v[38:39], v21 src0_sel:WORD_1
	v_mfma_f32_16x16x16_f16 v[18:21], v[36:37], v[32:33], v[26:29]
	s_waitcnt vmcnt(1)
	v_cvt_pk_f32_fp8_sdwa v[32:33], v16 src0_sel:WORD_1
	s_nop 0
	v_cvt_pkrtz_f16_f32 v26, v34, v35
	v_cvt_pkrtz_f16_f32 v27, v38, v39
	v_mfma_f32_16x16x16_f16 v[18:21], v[30:31], v[42:43], v[18:21]
	v_cvt_pk_f32_fp8_e32 v[28:29], v14
	v_cvt_pk_f32_fp8_sdwa v[30:31], v14 src0_sel:WORD_1
	v_cvt_pkrtz_f16_f32 v28, v28, v29
	v_mfma_f32_16x16x16_f16 v[18:21], v[26:27], v[44:45], v[18:21]
	v_cvt_pk_f32_fp8_e32 v[26:27], v15
	v_cvt_pkrtz_f16_f32 v29, v30, v31
	v_cvt_pk_f32_fp8_sdwa v[14:15], v15 src0_sel:WORD_1
	v_cvt_pk_f32_fp8_e32 v[30:31], v16
	v_cvt_pkrtz_f16_f32 v26, v26, v27
	v_mfma_f32_16x16x16_f16 v[18:21], v[28:29], v[22:23], v[18:21]
	v_cvt_pkrtz_f16_f32 v27, v14, v15
	v_cvt_pkrtz_f16_f32 v22, v30, v31
	v_cvt_pkrtz_f16_f32 v23, v32, v33
	v_cvt_pk_f32_fp8_e32 v[28:29], v17
	v_cvt_pk_f32_fp8_sdwa v[30:31], v17 src0_sel:WORD_1
	v_mfma_f32_16x16x16_f16 v[14:17], v[26:27], v[24:25], v[18:21]
	s_waitcnt vmcnt(0)
	v_cvt_pk_f32_fp8_sdwa v[24:25], v6 src0_sel:WORD_1
	s_nop 0
	v_pk_mul_f32 v[18:19], v[4:5], s[4:5] op_sel_hi:[1,0]
	v_cvt_pkrtz_f16_f32 v4, v28, v29
	v_cvt_pkrtz_f16_f32 v5, v30, v31
	v_mfma_f32_16x16x16_f16 v[14:17], v[22:23], v[46:47], v[14:17]
	v_cvt_pk_f32_fp8_e32 v[22:23], v6
	v_pk_mul_f32 v[20:21], v[2:3], s[4:5] op_sel_hi:[1,0]
	v_mfma_f32_16x16x16_f16 v[2:5], v[4:5], v[48:49], v[14:17]
	s_nop 3
	v_cvt_pk_f32_fp8_e32 v[14:15], v7
	v_cvt_pkrtz_f16_f32 v16, v22, v23
	v_cvt_pkrtz_f16_f32 v17, v24, v25
	v_cvt_pk_f32_fp8_sdwa v[6:7], v7 src0_sel:WORD_1
	v_cvt_pkrtz_f16_f32 v14, v14, v15
	v_cvt_pk_f32_fp8_e32 v[22:23], v8
	v_cvt_pk_f32_fp8_sdwa v[24:25], v8 src0_sel:WORD_1
	v_cvt_pkrtz_f16_f32 v15, v6, v7
	v_mfma_f32_16x16x16_f16 v[2:5], v[16:17], v[10:11], v[2:5]
	v_cvt_pkrtz_f16_f32 v6, v22, v23
	v_cvt_pkrtz_f16_f32 v7, v24, v25
	v_cvt_pk_f32_fp8_e32 v[10:11], v9
	v_cvt_pk_f32_fp8_sdwa v[8:9], v9 src0_sel:WORD_1
	v_mfma_f32_16x16x16_f16 v[2:5], v[14:15], v[12:13], v[2:5]
	v_cvt_f16_f32_e32 v12, v20
	v_cvt_pkrtz_f16_f32 v10, v10, v11
	v_cvt_pkrtz_f16_f32 v11, v8, v9
	v_mfma_f32_16x16x16_f16 v[2:5], v[6:7], v[50:51], v[2:5]
	v_cvt_f16_f32_e32 v6, v21
	v_cvt_f16_f32_e32 v7, v18
	;; [unrolled: 1-line block ×3, first 2 shown]
	v_mfma_f32_16x16x16_f16 v[2:5], v[10:11], v[52:53], v[2:5]
	s_nop 6
	v_pk_mul_f32 v[4:5], v[4:5], s[4:5] op_sel_hi:[1,0]
	v_pk_mul_f32 v[2:3], v[2:3], s[4:5] op_sel_hi:[1,0]
	v_cvt_f16_f32_e32 v11, v4
	v_cvt_f16_f32_e32 v9, v2
	;; [unrolled: 1-line block ×4, first 2 shown]
	v_pack_b32_f16 v2, v12, v6
	v_pack_b32_f16 v3, v7, v8
	;; [unrolled: 1-line block ×4, first 2 shown]
	ds_write2st64_b64 v55, v[2:3], v[4:5] offset1:1
	s_waitcnt lgkmcnt(0)
	s_barrier
	s_and_saveexec_b64 s[4:5], vcc
	s_cbranch_execz .LBB1078_18
; %bb.16:
	s_load_dwordx2 s[4:5], s[0:1], 0x68
	s_lshl_b32 s0, s6, 7
	s_mul_i32 s1, s7, s2
	v_lshlrev_b32_e32 v3, 6, v56
	s_mul_hi_u32 s7, s1, s0
	s_mul_i32 s6, s1, s0
	v_lshl_or_b32 v0, v0, 10, v3
	s_lshl_b64 s[6:7], s[6:7], 1
	v_lshlrev_b32_e32 v2, 5, v60
	v_and_b32_e32 v1, 16, v1
	v_and_b32_e32 v0, 0x1a00, v0
	s_waitcnt lgkmcnt(0)
	s_add_u32 s1, s4, s6
	v_or3_b32 v2, v0, v2, v1
	s_addc_u32 s4, s5, s7
	s_lshl_b32 s2, s22, 7
	s_lshl_b64 s[2:3], s[2:3], 1
	ds_read_b128 v[4:7], v2 offset:128
	ds_read_b128 v[8:11], v2
	s_add_u32 s2, s1, s2
	s_addc_u32 s3, s4, s3
	v_mov_b32_e32 v55, 0
	v_add_u32_e32 v3, s48, v60
	v_lshl_add_u64 v[0:1], s[2:3], 0, v[54:55]
	v_mad_u64_u32 v[12:13], s[2:3], v3, s0, 0
	v_lshl_add_u64 v[12:13], v[12:13], 1, v[0:1]
	v_add_u32_e32 v3, 4, v3
	s_waitcnt lgkmcnt(0)
	global_store_dwordx4 v[12:13], v[8:11], off
	v_cmp_ne_u32_e32 vcc, 3, v60
	s_nop 0
	v_mad_u64_u32 v[8:9], s[2:3], v3, s0, 0
	v_lshl_add_u64 v[8:9], v[8:9], 1, v[0:1]
	global_store_dwordx4 v[8:9], v[4:7], off
	s_and_b64 exec, exec, vcc
	s_cbranch_execz .LBB1078_18
; %bb.17:
	ds_read_b128 v[2:5], v2 offset:256
	v_add3_u32 v6, s48, v60, 8
	v_mad_u64_u32 v[6:7], s[0:1], v6, s0, 0
	v_lshl_add_u64 v[0:1], v[6:7], 1, v[0:1]
	s_waitcnt lgkmcnt(0)
	global_store_dwordx4 v[0:1], v[2:5], off
.LBB1078_18:
	s_endpgm
	.section	.rodata,"a",@progbits
	.p2align	6, 0x0
	.amdhsa_kernel _Z39paged_attention_ll4mi_QKV_mfma16_kernelIDF16_hLN4vllm18Fp8KVCacheDataTypeE1EDF16_Li32ELi128ELi256ELb0ELi11EEvPKT_PKT0_S7_ifPKiS9_S9_iPKfiiiPfSC_PS2_PT2_iSB_SB_
		.amdhsa_group_segment_fixed_size 8192
		.amdhsa_private_segment_fixed_size 0
		.amdhsa_kernarg_size 400
		.amdhsa_user_sgpr_count 2
		.amdhsa_user_sgpr_dispatch_ptr 0
		.amdhsa_user_sgpr_queue_ptr 0
		.amdhsa_user_sgpr_kernarg_segment_ptr 1
		.amdhsa_user_sgpr_dispatch_id 0
		.amdhsa_user_sgpr_kernarg_preload_length 0
		.amdhsa_user_sgpr_kernarg_preload_offset 0
		.amdhsa_user_sgpr_private_segment_size 0
		.amdhsa_uses_dynamic_stack 0
		.amdhsa_enable_private_segment 0
		.amdhsa_system_sgpr_workgroup_id_x 1
		.amdhsa_system_sgpr_workgroup_id_y 1
		.amdhsa_system_sgpr_workgroup_id_z 1
		.amdhsa_system_sgpr_workgroup_info 0
		.amdhsa_system_vgpr_workitem_id 0
		.amdhsa_next_free_vgpr 80
		.amdhsa_next_free_sgpr 50
		.amdhsa_accum_offset 80
		.amdhsa_reserve_vcc 1
		.amdhsa_float_round_mode_32 0
		.amdhsa_float_round_mode_16_64 0
		.amdhsa_float_denorm_mode_32 3
		.amdhsa_float_denorm_mode_16_64 3
		.amdhsa_dx10_clamp 1
		.amdhsa_ieee_mode 1
		.amdhsa_fp16_overflow 0
		.amdhsa_tg_split 0
		.amdhsa_exception_fp_ieee_invalid_op 0
		.amdhsa_exception_fp_denorm_src 0
		.amdhsa_exception_fp_ieee_div_zero 0
		.amdhsa_exception_fp_ieee_overflow 0
		.amdhsa_exception_fp_ieee_underflow 0
		.amdhsa_exception_fp_ieee_inexact 0
		.amdhsa_exception_int_div_zero 0
	.end_amdhsa_kernel
	.section	.text._Z39paged_attention_ll4mi_QKV_mfma16_kernelIDF16_hLN4vllm18Fp8KVCacheDataTypeE1EDF16_Li32ELi128ELi256ELb0ELi11EEvPKT_PKT0_S7_ifPKiS9_S9_iPKfiiiPfSC_PS2_PT2_iSB_SB_,"axG",@progbits,_Z39paged_attention_ll4mi_QKV_mfma16_kernelIDF16_hLN4vllm18Fp8KVCacheDataTypeE1EDF16_Li32ELi128ELi256ELb0ELi11EEvPKT_PKT0_S7_ifPKiS9_S9_iPKfiiiPfSC_PS2_PT2_iSB_SB_,comdat
.Lfunc_end1078:
	.size	_Z39paged_attention_ll4mi_QKV_mfma16_kernelIDF16_hLN4vllm18Fp8KVCacheDataTypeE1EDF16_Li32ELi128ELi256ELb0ELi11EEvPKT_PKT0_S7_ifPKiS9_S9_iPKfiiiPfSC_PS2_PT2_iSB_SB_, .Lfunc_end1078-_Z39paged_attention_ll4mi_QKV_mfma16_kernelIDF16_hLN4vllm18Fp8KVCacheDataTypeE1EDF16_Li32ELi128ELi256ELb0ELi11EEvPKT_PKT0_S7_ifPKiS9_S9_iPKfiiiPfSC_PS2_PT2_iSB_SB_
                                        ; -- End function
	.section	.AMDGPU.csdata,"",@progbits
; Kernel info:
; codeLenInByte = 6100
; NumSgprs: 56
; NumVgprs: 80
; NumAgprs: 0
; TotalNumVgprs: 80
; ScratchSize: 0
; MemoryBound: 0
; FloatMode: 240
; IeeeMode: 1
; LDSByteSize: 8192 bytes/workgroup (compile time only)
; SGPRBlocks: 6
; VGPRBlocks: 9
; NumSGPRsForWavesPerEU: 56
; NumVGPRsForWavesPerEU: 80
; AccumOffset: 80
; Occupancy: 6
; WaveLimiterHint : 1
; COMPUTE_PGM_RSRC2:SCRATCH_EN: 0
; COMPUTE_PGM_RSRC2:USER_SGPR: 2
; COMPUTE_PGM_RSRC2:TRAP_HANDLER: 0
; COMPUTE_PGM_RSRC2:TGID_X_EN: 1
; COMPUTE_PGM_RSRC2:TGID_Y_EN: 1
; COMPUTE_PGM_RSRC2:TGID_Z_EN: 1
; COMPUTE_PGM_RSRC2:TIDIG_COMP_CNT: 0
; COMPUTE_PGM_RSRC3_GFX90A:ACCUM_OFFSET: 19
; COMPUTE_PGM_RSRC3_GFX90A:TG_SPLIT: 0
	.section	.text._Z39paged_attention_ll4mi_QKV_mfma16_kernelIDF16_hLN4vllm18Fp8KVCacheDataTypeE1EDF16_Li32ELi128ELi256ELb0ELi12EEvPKT_PKT0_S7_ifPKiS9_S9_iPKfiiiPfSC_PS2_PT2_iSB_SB_,"axG",@progbits,_Z39paged_attention_ll4mi_QKV_mfma16_kernelIDF16_hLN4vllm18Fp8KVCacheDataTypeE1EDF16_Li32ELi128ELi256ELb0ELi12EEvPKT_PKT0_S7_ifPKiS9_S9_iPKfiiiPfSC_PS2_PT2_iSB_SB_,comdat
	.protected	_Z39paged_attention_ll4mi_QKV_mfma16_kernelIDF16_hLN4vllm18Fp8KVCacheDataTypeE1EDF16_Li32ELi128ELi256ELb0ELi12EEvPKT_PKT0_S7_ifPKiS9_S9_iPKfiiiPfSC_PS2_PT2_iSB_SB_ ; -- Begin function _Z39paged_attention_ll4mi_QKV_mfma16_kernelIDF16_hLN4vllm18Fp8KVCacheDataTypeE1EDF16_Li32ELi128ELi256ELb0ELi12EEvPKT_PKT0_S7_ifPKiS9_S9_iPKfiiiPfSC_PS2_PT2_iSB_SB_
	.globl	_Z39paged_attention_ll4mi_QKV_mfma16_kernelIDF16_hLN4vllm18Fp8KVCacheDataTypeE1EDF16_Li32ELi128ELi256ELb0ELi12EEvPKT_PKT0_S7_ifPKiS9_S9_iPKfiiiPfSC_PS2_PT2_iSB_SB_
	.p2align	8
	.type	_Z39paged_attention_ll4mi_QKV_mfma16_kernelIDF16_hLN4vllm18Fp8KVCacheDataTypeE1EDF16_Li32ELi128ELi256ELb0ELi12EEvPKT_PKT0_S7_ifPKiS9_S9_iPKfiiiPfSC_PS2_PT2_iSB_SB_,@function
_Z39paged_attention_ll4mi_QKV_mfma16_kernelIDF16_hLN4vllm18Fp8KVCacheDataTypeE1EDF16_Li32ELi128ELi256ELb0ELi12EEvPKT_PKT0_S7_ifPKiS9_S9_iPKfiiiPfSC_PS2_PT2_iSB_SB_: ; @_Z39paged_attention_ll4mi_QKV_mfma16_kernelIDF16_hLN4vllm18Fp8KVCacheDataTypeE1EDF16_Li32ELi128ELi256ELb0ELi12EEvPKT_PKT0_S7_ifPKiS9_S9_iPKfiiiPfSC_PS2_PT2_iSB_SB_
; %bb.0:
	s_load_dwordx2 s[12:13], s[0:1], 0x30
	s_mov_b32 s22, s3
	s_mov_b64 s[6:7], 0
	s_waitcnt lgkmcnt(0)
	s_cmp_lg_u64 s[12:13], 0
	s_cselect_b64 s[14:15], -1, 0
	s_and_b64 vcc, exec, s[14:15]
	s_cbranch_vccz .LBB1079_7
; %bb.1:
	s_add_i32 s8, s2, 1
	s_mov_b32 s9, 0
	s_lshl_b64 s[10:11], s[8:9], 2
	s_add_u32 s10, s12, s10
	s_mov_b32 s3, s9
	s_addc_u32 s11, s13, s11
	s_lshl_b64 s[8:9], s[2:3], 2
	s_add_u32 s8, s12, s8
	s_addc_u32 s9, s13, s9
	s_load_dword s5, s[10:11], 0x0
	s_load_dword s16, s[8:9], 0x0
	s_waitcnt lgkmcnt(0)
	s_sub_i32 s5, s5, s16
	s_cmp_eq_u32 s5, 1
	s_cselect_b64 s[8:9], -1, 0
	s_andn2_b64 vcc, exec, s[6:7]
	s_cbranch_vccnz .LBB1079_3
.LBB1079_2:
	s_mov_b32 s3, 0
	s_mov_b64 s[8:9], -1
.LBB1079_3:
	s_andn2_b64 vcc, exec, s[8:9]
	s_cbranch_vccnz .LBB1079_17
; %bb.4:
	s_load_dwordx2 s[6:7], s[0:1], 0x28
	s_lshl_b64 s[16:17], s[2:3], 2
	s_waitcnt lgkmcnt(0)
	s_add_u32 s6, s6, s16
	s_addc_u32 s7, s7, s17
	s_load_dword s5, s[6:7], 0x0
	s_lshl_b32 s18, s22, 8
	s_waitcnt lgkmcnt(0)
	s_cmp_ge_i32 s18, s5
	s_cbranch_scc1 .LBB1079_17
; %bb.5:
	s_load_dwordx2 s[6:7], s[0:1], 0x20
	s_load_dword s8, s[0:1], 0x38
	s_add_i32 s9, s5, 31
	s_ashr_i32 s10, s9, 31
	v_and_b32_e32 v1, 0xcf, v0
	s_lshr_b32 s10, s10, 27
	v_add_u32_e32 v1, s18, v1
	s_add_i32 s9, s9, s10
	v_ashrrev_i32_e32 v2, 31, v1
	s_ashr_i32 s19, s9, 5
	v_lshrrev_b32_e32 v6, 27, v2
	s_add_i32 s19, s19, -1
	s_waitcnt lgkmcnt(0)
	s_mul_i32 s8, s2, s8
	s_mov_b32 s9, 0
	v_add_u32_e32 v2, v1, v6
	s_lshl_b64 s[8:9], s[8:9], 2
	v_ashrrev_i32_e32 v2, 5, v2
	v_mov_b32_e32 v7, s19
	v_cmp_gt_i32_e32 vcc, s5, v1
	s_add_u32 s6, s6, s8
	s_addc_u32 s7, s7, s9
	v_cndmask_b32_e32 v2, v7, v2, vcc
	v_ashrrev_i32_e32 v3, 31, v2
	v_lshl_add_u64 v[4:5], v[2:3], 2, s[6:7]
	v_or_b32_e32 v2, 16, v1
	v_add_u32_e32 v3, v2, v6
	v_ashrrev_i32_e32 v3, 5, v3
	v_cmp_gt_i32_e32 vcc, s5, v2
	s_load_dwordx4 s[8:11], s[0:1], 0x8
	s_nop 0
	v_cndmask_b32_e32 v2, v7, v3, vcc
	v_ashrrev_i32_e32 v3, 31, v2
	v_lshl_add_u64 v[8:9], v[2:3], 2, s[6:7]
	v_or_b32_e32 v2, 32, v1
	v_add_u32_e32 v3, v2, v6
	v_ashrrev_i32_e32 v3, 5, v3
	v_cmp_gt_i32_e32 vcc, s5, v2
	v_or_b32_e32 v1, 48, v1
	s_nop 0
	v_cndmask_b32_e32 v2, v7, v3, vcc
	v_ashrrev_i32_e32 v3, 31, v2
	v_lshl_add_u64 v[10:11], v[2:3], 2, s[6:7]
	v_add_u32_e32 v2, v1, v6
	v_ashrrev_i32_e32 v2, 5, v2
	v_cmp_gt_i32_e32 vcc, s5, v1
	s_nop 1
	v_cndmask_b32_e32 v2, v7, v2, vcc
	v_ashrrev_i32_e32 v3, 31, v2
	v_lshl_add_u64 v[12:13], v[2:3], 2, s[6:7]
	global_load_dword v2, v[4:5], off
	global_load_dword v6, v[8:9], off
	;; [unrolled: 1-line block ×4, first 2 shown]
	s_andn2_b64 vcc, exec, s[14:15]
	s_cbranch_vccnz .LBB1079_8
; %bb.6:
	s_add_u32 s12, s12, s16
	s_addc_u32 s13, s13, s17
	s_load_dword s14, s[12:13], 0x0
	s_branch .LBB1079_9
.LBB1079_7:
	s_mov_b64 s[8:9], 0
	s_branch .LBB1079_2
.LBB1079_8:
	s_mov_b32 s14, s2
.LBB1079_9:
	s_load_dwordx4 s[44:47], s[0:1], 0x48
	v_and_b32_e32 v56, 15, v0
	v_lshlrev_b32_e32 v3, 3, v56
	s_movk_i32 s12, 0xc0
	v_lshrrev_b32_e32 v57, 6, v0
	v_and_b32_e32 v61, 63, v0
	v_bfe_u32 v1, v0, 4, 2
	s_mul_i32 s48, s4, 12
	v_cmp_gt_u32_e32 vcc, s12, v0
	v_lshlrev_b32_e32 v54, 1, v3
	v_lshlrev_b32_e32 v60, 4, v0
	s_and_saveexec_b64 s[12:13], vcc
	s_cbranch_execz .LBB1079_11
; %bb.10:
	s_load_dwordx2 s[16:17], s[0:1], 0x0
	s_waitcnt lgkmcnt(0)
	s_ashr_i32 s15, s44, 31
	s_mul_hi_u32 s20, s14, s44
	s_mul_i32 s15, s14, s15
	s_add_i32 s15, s20, s15
	s_mul_i32 s14, s14, s44
	v_lshl_or_b32 v3, v57, 2, v1
	s_lshl_b64 s[14:15], s[14:15], 1
	s_add_u32 s14, s16, s14
	v_add_lshl_u32 v4, v3, s48, 7
	s_addc_u32 s15, s17, s15
	v_ashrrev_i32_e32 v5, 31, v4
	v_lshl_add_u64 v[4:5], v[4:5], 1, s[14:15]
	v_mov_b32_e32 v55, 0
	v_lshl_add_u64 v[4:5], v[4:5], 0, v[54:55]
	global_load_dwordx4 v[8:11], v[4:5], off
	v_lshlrev_b32_e32 v5, 8, v0
	v_lshlrev_b32_e32 v4, 8, v56
	v_and_b32_e32 v5, 0x600, v5
	s_movk_i32 s14, 0x800
	v_and_or_b32 v4, v4, s14, v5
	v_lshlrev_b32_e32 v3, 5, v3
	v_and_b32_e32 v5, 16, v60
	v_or3_b32 v3, v4, v3, v5
	s_waitcnt vmcnt(0)
	ds_write_b128 v3, v[8:11]
.LBB1079_11:
	s_or_b64 exec, exec, s[12:13]
	s_waitcnt lgkmcnt(0)
	s_mul_i32 s12, s4, s46
	s_add_u32 s8, s8, s12
	s_addc_u32 s9, s9, 0
	v_mov_b32_e32 v59, 0
	v_mov_b64_e32 v[4:5], s[8:9]
	v_and_b32_e32 v7, 48, v0
	s_waitcnt vmcnt(3)
	v_mad_i64_i32 v[8:9], s[8:9], v2, s45, v[4:5]
	v_lshlrev_b32_e32 v2, 4, v56
	v_mov_b32_e32 v3, v59
	v_lshlrev_b32_e32 v58, 5, v7
	v_lshl_add_u64 v[8:9], v[8:9], 0, v[2:3]
	v_lshl_add_u64 v[8:9], v[8:9], 0, v[58:59]
	s_load_dword s23, s[0:1], 0x98
	s_load_dwordx4 s[40:43], s[0:1], 0x80
	s_waitcnt lgkmcnt(0)
	s_barrier
	global_load_dwordx4 v[10:13], v[8:9], off
	global_load_dwordx4 v[30:33], v[8:9], off offset:2048
	v_add_u32_e32 v14, -12, v56
	v_cmp_gt_u32_e32 vcc, 12, v56
	s_ashr_i32 s8, s18, 31
	v_or_b32_e32 v24, 0x100, v2
	v_cndmask_b32_e32 v8, v14, v56, vcc
	v_mov_b32_e32 v25, v59
	s_lshr_b32 s13, s8, 27
	s_waitcnt vmcnt(4)
	v_mad_i64_i32 v[34:35], s[8:9], v6, s45, v[4:5]
	v_or_b32_e32 v39, s18, v7
	v_lshlrev_b32_e32 v7, 5, v8
	v_lshl_add_u64 v[34:35], v[34:35], 0, v[24:25]
	v_lshl_add_u32 v7, v1, 9, v7
	v_lshl_add_u64 v[34:35], v[34:35], 0, v[58:59]
	ds_read_b128 v[26:29], v7
	ds_read_b128 v[18:21], v7 offset:16
	ds_read_b128 v[14:17], v7 offset:2048
	;; [unrolled: 1-line block ×3, first 2 shown]
	global_load_dwordx4 v[46:49], v[34:35], off
	v_or_b32_e32 v41, 0x80, v39
	v_or_b32_e32 v51, 0xc0, v39
	s_waitcnt vmcnt(4)
	v_mad_i64_i32 v[36:37], s[8:9], v22, s45, v[4:5]
	s_waitcnt vmcnt(3)
	v_mad_i64_i32 v[4:5], s[8:9], v23, s45, v[4:5]
	v_add_u32_e32 v42, s13, v41
	v_add_u32_e32 v43, s13, v51
	v_lshl_add_u64 v[4:5], v[4:5], 0, v[24:25]
	v_ashrrev_i32_e32 v24, 5, v42
	v_ashrrev_i32_e32 v25, 5, v43
	global_load_dwordx4 v[42:45], v[34:35], off offset:2048
	v_or_b32_e32 v40, 64, v39
	v_add_u32_e32 v22, s13, v39
	v_mov_b32_e32 v38, s19
	v_add_u32_e32 v23, s13, v40
	v_ashrrev_i32_e32 v22, 5, v22
	v_cmp_gt_i32_e32 vcc, s5, v39
	v_ashrrev_i32_e32 v23, 5, v23
	v_lshl_add_u64 v[2:3], v[36:37], 0, v[2:3]
	v_cndmask_b32_e32 v50, v38, v22, vcc
	v_cmp_gt_i32_e32 vcc, s5, v40
	v_lshl_add_u64 v[2:3], v[2:3], 0, v[58:59]
	v_lshl_add_u64 v[36:37], v[4:5], 0, v[58:59]
	v_cndmask_b32_e32 v52, v38, v23, vcc
	v_cmp_gt_i32_e32 vcc, s5, v41
	v_ashrrev_i32_e32 v53, 31, v52
	v_lshl_add_u64 v[52:53], v[52:53], 2, s[6:7]
	v_cndmask_b32_e32 v62, v38, v24, vcc
	v_cmp_gt_i32_e32 vcc, s5, v51
	v_ashrrev_i32_e32 v51, 31, v50
	v_ashrrev_i32_e32 v63, 31, v62
	v_cndmask_b32_e32 v64, v38, v25, vcc
	global_load_dwordx4 v[22:25], v[2:3], off
	s_nop 0
	global_load_dwordx4 v[2:5], v[2:3], off offset:2048
	s_nop 0
	global_load_dwordx4 v[38:41], v[36:37], off
	s_nop 0
	global_load_dwordx4 v[34:37], v[36:37], off offset:2048
	v_ashrrev_i32_e32 v65, 31, v64
	v_lshl_add_u64 v[50:51], v[50:51], 2, s[6:7]
	v_lshl_add_u64 v[66:67], v[62:63], 2, s[6:7]
	;; [unrolled: 1-line block ×3, first 2 shown]
	global_load_dword v65, v[50:51], off
	global_load_dword v63, v[52:53], off
	;; [unrolled: 1-line block ×4, first 2 shown]
	s_add_u32 s6, s10, s12
	s_addc_u32 s7, s11, 0
	v_and_b32_e32 v58, 16, v0
	v_lshl_or_b32 v64, v57, 4, v56
	s_load_dword s4, s[0:1], 0x1c
	s_mov_b32 s33, 0xff7fffff
	s_waitcnt vmcnt(11)
	v_cvt_pk_f32_fp8_e32 v[50:51], v10
	v_cvt_pk_f32_fp8_sdwa v[52:53], v10 src0_sel:WORD_1
	v_cvt_pk_f32_fp8_e32 v[66:67], v11
	v_cvt_pk_f32_fp8_sdwa v[10:11], v11 src0_sel:WORD_1
	v_cvt_pkrtz_f16_f32 v50, v50, v51
	v_cvt_pkrtz_f16_f32 v51, v52, v53
	v_cvt_pk_f32_fp8_e32 v[68:69], v12
	v_cvt_pk_f32_fp8_sdwa v[70:71], v12 src0_sel:WORD_1
	v_cvt_pkrtz_f16_f32 v66, v66, v67
	v_cvt_pkrtz_f16_f32 v67, v10, v11
	s_waitcnt lgkmcnt(0)
	v_mfma_f32_16x16x16_f16 v[50:53], v[50:51], v[26:27], 0
	v_cvt_pk_f32_fp8_e32 v[72:73], v13
	v_cvt_pk_f32_fp8_sdwa v[74:75], v13 src0_sel:WORD_1
	v_cvt_pkrtz_f16_f32 v68, v68, v69
	v_cvt_pkrtz_f16_f32 v69, v70, v71
	v_mfma_f32_16x16x16_f16 v[10:13], v[66:67], v[28:29], v[50:53]
	s_waitcnt vmcnt(10)
	v_cvt_pk_f32_fp8_sdwa v[66:67], v30 src0_sel:WORD_1
	s_waitcnt vmcnt(6)
	v_cvt_pk_f32_fp8_sdwa v[78:79], v5 src0_sel:WORD_1
	v_cvt_pkrtz_f16_f32 v50, v72, v73
	v_cvt_pk_f32_fp8_e32 v[52:53], v30
	v_cvt_pkrtz_f16_f32 v51, v74, v75
	v_mfma_f32_16x16x16_f16 v[10:13], v[68:69], v[18:19], v[10:13]
	v_cvt_pk_f32_fp8_sdwa v[68:69], v42 src0_sel:WORD_1
	v_cvt_pkrtz_f16_f32 v52, v52, v53
	v_cvt_pkrtz_f16_f32 v53, v66, v67
	v_cvt_pk_f32_fp8_e32 v[66:67], v31
	v_cvt_pk_f32_fp8_sdwa v[30:31], v31 src0_sel:WORD_1
	v_mfma_f32_16x16x16_f16 v[10:13], v[50:51], v[20:21], v[10:13]
	v_cvt_pk_f32_fp8_e32 v[72:73], v3
	v_cvt_pkrtz_f16_f32 v50, v66, v67
	v_cvt_pkrtz_f16_f32 v51, v30, v31
	v_mfma_f32_16x16x16_f16 v[10:13], v[52:53], v[14:15], v[10:13]
	v_cvt_pk_f32_fp8_e32 v[30:31], v32
	v_cvt_pk_f32_fp8_sdwa v[52:53], v32 src0_sel:WORD_1
	v_cvt_pk_f32_fp8_sdwa v[66:67], v46 src0_sel:WORD_1
	v_mfma_f32_16x16x16_f16 v[10:13], v[50:51], v[16:17], v[10:13]
	v_cvt_pkrtz_f16_f32 v30, v30, v31
	v_cvt_pkrtz_f16_f32 v31, v52, v53
	v_cvt_pk_f32_fp8_e32 v[50:51], v33
	v_cvt_pk_f32_fp8_sdwa v[32:33], v33 src0_sel:WORD_1
	v_cvt_pk_f32_fp8_e32 v[52:53], v46
	v_mfma_f32_16x16x16_f16 v[10:13], v[30:31], v[6:7], v[10:13]
	v_cvt_pkrtz_f16_f32 v50, v50, v51
	v_cvt_pkrtz_f16_f32 v51, v32, v33
	;; [unrolled: 1-line block ×4, first 2 shown]
	v_cvt_pk_f32_fp8_e32 v[32:33], v47
	v_cvt_pk_f32_fp8_sdwa v[46:47], v47 src0_sel:WORD_1
	v_mfma_f32_16x16x16_f16 v[50:53], v[50:51], v[8:9], v[10:13]
	v_cvt_pk_f32_fp8_sdwa v[66:67], v48 src0_sel:WORD_1
	v_cvt_pkrtz_f16_f32 v32, v32, v33
	v_cvt_pkrtz_f16_f32 v33, v46, v47
	v_mfma_f32_16x16x16_f16 v[10:13], v[30:31], v[26:27], 0
	v_cvt_pk_f32_fp8_e32 v[30:31], v48
	v_lshl_add_u64 v[46:47], s[6:7], 0, v[58:59]
	v_lshlrev_b32_e32 v58, 5, v64
	v_mfma_f32_16x16x16_f16 v[10:13], v[32:33], v[28:29], v[10:13]
	v_cvt_pk_f32_fp8_e32 v[32:33], v49
	v_cvt_pkrtz_f16_f32 v30, v30, v31
	v_cvt_pkrtz_f16_f32 v31, v66, v67
	v_cvt_pk_f32_fp8_sdwa v[48:49], v49 src0_sel:WORD_1
	v_cvt_pkrtz_f16_f32 v32, v32, v33
	v_cvt_pk_f32_fp8_e32 v[66:67], v42
	v_mfma_f32_16x16x16_f16 v[10:13], v[30:31], v[18:19], v[10:13]
	v_cvt_pkrtz_f16_f32 v33, v48, v49
	v_cvt_pkrtz_f16_f32 v30, v66, v67
	;; [unrolled: 1-line block ×3, first 2 shown]
	v_cvt_pk_f32_fp8_e32 v[48:49], v43
	v_cvt_pk_f32_fp8_sdwa v[42:43], v43 src0_sel:WORD_1
	v_mfma_f32_16x16x16_f16 v[10:13], v[32:33], v[20:21], v[10:13]
	v_lshl_add_u64 v[66:67], v[46:47], 0, v[58:59]
	v_cvt_pkrtz_f16_f32 v32, v48, v49
	v_cvt_pkrtz_f16_f32 v33, v42, v43
	v_mfma_f32_16x16x16_f16 v[10:13], v[30:31], v[14:15], v[10:13]
	v_cvt_pk_f32_fp8_e32 v[30:31], v44
	v_cvt_pk_f32_fp8_sdwa v[42:43], v44 src0_sel:WORD_1
	v_cvt_pk_f32_fp8_sdwa v[48:49], v22 src0_sel:WORD_1
	v_mfma_f32_16x16x16_f16 v[10:13], v[32:33], v[16:17], v[10:13]
	v_cvt_pkrtz_f16_f32 v30, v30, v31
	v_cvt_pkrtz_f16_f32 v31, v42, v43
	v_cvt_pk_f32_fp8_e32 v[32:33], v45
	v_cvt_pk_f32_fp8_sdwa v[42:43], v45 src0_sel:WORD_1
	v_cvt_pk_f32_fp8_e32 v[44:45], v22
	v_mfma_f32_16x16x16_f16 v[10:13], v[30:31], v[6:7], v[10:13]
	v_cvt_pkrtz_f16_f32 v32, v32, v33
	v_cvt_pkrtz_f16_f32 v33, v42, v43
	v_cvt_pkrtz_f16_f32 v30, v44, v45
	v_cvt_pkrtz_f16_f32 v31, v48, v49
	v_cvt_pk_f32_fp8_e32 v[48:49], v23
	v_cvt_pk_f32_fp8_sdwa v[22:23], v23 src0_sel:WORD_1
	v_mfma_f32_16x16x16_f16 v[42:45], v[32:33], v[8:9], v[10:13]
	s_waitcnt vmcnt(2)
	v_mad_i64_i32 v[68:69], s[6:7], v63, s45, v[66:67]
	v_cvt_pkrtz_f16_f32 v32, v48, v49
	v_cvt_pkrtz_f16_f32 v33, v22, v23
	v_mfma_f32_16x16x16_f16 v[10:13], v[30:31], v[26:27], 0
	v_cvt_pk_f32_fp8_e32 v[22:23], v24
	v_cvt_pk_f32_fp8_sdwa v[30:31], v24 src0_sel:WORD_1
	v_mad_i64_i32 v[48:49], s[6:7], v65, s45, v[66:67]
	v_cvt_pkrtz_f16_f32 v22, v22, v23
	v_cvt_pkrtz_f16_f32 v23, v30, v31
	v_cvt_pk_f32_fp8_e32 v[30:31], v25
	v_cvt_pk_f32_fp8_sdwa v[24:25], v25 src0_sel:WORD_1
	v_mfma_f32_16x16x16_f16 v[10:13], v[32:33], v[28:29], v[10:13]
	s_waitcnt vmcnt(0)
	v_mad_i64_i32 v[74:75], s[6:7], v62, s45, v[66:67]
	v_cvt_pkrtz_f16_f32 v70, v30, v31
	v_cvt_pkrtz_f16_f32 v71, v24, v25
	v_mfma_f32_16x16x16_f16 v[10:13], v[22:23], v[18:19], v[10:13]
	global_load_dwordx4 v[30:33], v[48:49], off
	global_load_dwordx4 v[22:25], v[68:69], off
	v_cvt_pk_f32_fp8_e32 v[68:69], v2
	v_mad_i64_i32 v[48:49], s[6:7], v55, s45, v[66:67]
	v_mfma_f32_16x16x16_f16 v[10:13], v[70:71], v[20:21], v[10:13]
	v_cvt_pk_f32_fp8_sdwa v[70:71], v2 src0_sel:WORD_1
	v_cvt_pk_f32_fp8_sdwa v[2:3], v3 src0_sel:WORD_1
	v_cvt_pkrtz_f16_f32 v68, v68, v69
	v_or_b32_e32 v58, 0x800, v58
	v_cvt_pkrtz_f16_f32 v69, v70, v71
	v_cvt_pkrtz_f16_f32 v70, v72, v73
	;; [unrolled: 1-line block ×3, first 2 shown]
	v_cvt_pk_f32_fp8_e32 v[2:3], v4
	v_cvt_pk_f32_fp8_sdwa v[72:73], v4 src0_sel:WORD_1
	v_mfma_f32_16x16x16_f16 v[66:69], v[68:69], v[14:15], v[10:13]
	v_lshl_add_u64 v[46:47], v[46:47], 0, v[58:59]
	v_cvt_pkrtz_f16_f32 v76, v2, v3
	v_cvt_pkrtz_f16_f32 v77, v72, v73
	v_cvt_pk_f32_fp8_e32 v[72:73], v5
	v_mfma_f32_16x16x16_f16 v[66:69], v[70:71], v[16:17], v[66:69]
	global_load_dwordx4 v[10:13], v[48:49], off
	global_load_dwordx4 v[2:5], v[74:75], off
	v_cvt_pkrtz_f16_f32 v49, v78, v79
	v_cvt_pkrtz_f16_f32 v48, v72, v73
	v_mfma_f32_16x16x16_f16 v[66:69], v[76:77], v[6:7], v[66:69]
	v_cvt_pk_f32_fp8_e32 v[58:59], v38
	v_cvt_pk_f32_fp8_sdwa v[70:71], v38 src0_sel:WORD_1
	v_cvt_pk_f32_fp8_e32 v[74:75], v40
	v_mfma_f32_16x16x16_f16 v[66:69], v[48:49], v[8:9], v[66:69]
	v_cvt_pk_f32_fp8_e32 v[48:49], v39
	v_cvt_pkrtz_f16_f32 v58, v58, v59
	v_cvt_pkrtz_f16_f32 v59, v70, v71
	v_cvt_pk_f32_fp8_sdwa v[38:39], v39 src0_sel:WORD_1
	v_cvt_pkrtz_f16_f32 v48, v48, v49
	v_cvt_pk_f32_fp8_sdwa v[76:77], v40 src0_sel:WORD_1
	v_mfma_f32_16x16x16_f16 v[70:73], v[58:59], v[26:27], 0
	v_cvt_pkrtz_f16_f32 v49, v38, v39
	v_cvt_pkrtz_f16_f32 v38, v74, v75
	;; [unrolled: 1-line block ×3, first 2 shown]
	v_cvt_pk_f32_fp8_e32 v[58:59], v41
	v_cvt_pk_f32_fp8_sdwa v[40:41], v41 src0_sel:WORD_1
	v_mfma_f32_16x16x16_f16 v[26:29], v[48:49], v[28:29], v[70:73]
	s_load_dword s6, s[40:41], 0x0
	v_cvt_pkrtz_f16_f32 v48, v58, v59
	v_cvt_pkrtz_f16_f32 v49, v40, v41
	v_mfma_f32_16x16x16_f16 v[26:29], v[38:39], v[18:19], v[26:29]
	v_mov_b32_e32 v70, s4
	s_waitcnt lgkmcnt(0)
	v_mul_f32_e32 v40, s6, v70
	v_pk_mul_f32 v[38:39], v[40:41], v[52:53] op_sel_hi:[0,1]
	v_mfma_f32_16x16x16_f16 v[18:21], v[48:49], v[20:21], v[26:29]
	v_cvt_pk_f32_fp8_e32 v[48:49], v35
	v_pk_mul_f32 v[50:51], v[40:41], v[50:51] op_sel_hi:[0,1]
	v_pk_mul_f32 v[52:53], v[40:41], v[42:43] op_sel_hi:[0,1]
	v_cvt_pk_f32_fp8_e32 v[26:27], v34
	v_cvt_pk_f32_fp8_sdwa v[28:29], v34 src0_sel:WORD_1
	v_cvt_pk_f32_fp8_sdwa v[34:35], v35 src0_sel:WORD_1
	v_pk_mul_f32 v[42:43], v[40:41], v[66:67] op_sel_hi:[0,1]
	v_cvt_pkrtz_f16_f32 v26, v26, v27
	v_cvt_pkrtz_f16_f32 v27, v28, v29
	;; [unrolled: 1-line block ×4, first 2 shown]
	v_cvt_pk_f32_fp8_e32 v[34:35], v36
	v_cvt_pk_f32_fp8_sdwa v[48:49], v36 src0_sel:WORD_1
	v_mfma_f32_16x16x16_f16 v[18:21], v[26:27], v[14:15], v[18:21]
	v_mad_i64_i32 v[58:59], s[6:7], v65, s45, v[46:47]
	v_cvt_pkrtz_f16_f32 v26, v34, v35
	v_cvt_pkrtz_f16_f32 v27, v48, v49
	v_cvt_pk_f32_fp8_e32 v[34:35], v37
	v_cvt_pk_f32_fp8_sdwa v[36:37], v37 src0_sel:WORD_1
	v_mfma_f32_16x16x16_f16 v[14:17], v[28:29], v[16:17], v[18:21]
	v_pk_mul_f32 v[48:49], v[40:41], v[44:45] op_sel_hi:[0,1]
	v_pk_mul_f32 v[44:45], v[40:41], v[68:69] op_sel_hi:[0,1]
	s_nop 0
	v_cvt_pkrtz_f16_f32 v18, v34, v35
	v_cvt_pkrtz_f16_f32 v19, v36, v37
	v_mfma_f32_16x16x16_f16 v[14:17], v[26:27], v[6:7], v[14:17]
	s_nop 0
	v_mfma_f32_16x16x16_f16 v[6:9], v[18:19], v[8:9], v[14:17]
	s_nop 6
	v_pk_mul_f32 v[34:35], v[40:41], v[8:9] op_sel_hi:[0,1]
	v_pk_mul_f32 v[40:41], v[40:41], v[6:7] op_sel_hi:[0,1]
	v_and_b32_e32 v6, 0xc0, v0
	v_add_u32_e32 v6, s18, v6
	v_lshl_or_b32 v6, v1, 2, v6
	v_or_b32_e32 v9, 1, v6
	v_mov_b32_e32 v7, 0xff7fffff
	v_cmp_gt_i32_e64 s[24:25], s5, v6
	v_cmp_gt_i32_e64 s[26:27], s5, v9
	v_or_b32_e32 v14, 3, v6
	v_cndmask_b32_e64 v8, v7, v50, s[24:25]
	v_cndmask_b32_e64 v9, v7, v51, s[26:27]
	v_max3_f32 v8, v8, s33, v9
	v_or_b32_e32 v9, 2, v6
	v_cmp_gt_i32_e64 s[28:29], s5, v9
	v_cmp_gt_i32_e64 s[30:31], s5, v14
	s_nop 0
	v_cndmask_b32_e64 v9, v7, v38, s[28:29]
	v_cndmask_b32_e64 v14, v7, v39, s[30:31]
	v_max3_f32 v8, v8, v9, v14
	v_or_b32_e32 v9, 16, v6
	v_or_b32_e32 v14, 17, v6
	v_cmp_gt_i32_e64 s[34:35], s5, v9
	v_cmp_gt_i32_e64 s[36:37], s5, v14
	s_nop 0
	v_cndmask_b32_e64 v9, v7, v52, s[34:35]
	v_cndmask_b32_e64 v14, v7, v53, s[36:37]
	v_max3_f32 v8, v8, v9, v14
	v_or_b32_e32 v9, 18, v6
	;; [unrolled: 8-line block ×6, first 2 shown]
	v_or_b32_e32 v6, 51, v6
	v_cmp_gt_i32_e32 vcc, s5, v9
	v_cmp_gt_i32_e64 s[4:5], s5, v6
	s_nop 0
	v_cndmask_b32_e32 v9, v7, v34, vcc
	v_cndmask_b32_e64 v6, v7, v35, s[4:5]
	v_max3_f32 v8, v8, v9, v6
	v_mbcnt_lo_u32_b32 v6, -1, 0
	v_mbcnt_hi_u32_b32 v9, -1, v6
	v_and_b32_e32 v6, 64, v9
	v_add_u32_e32 v14, 64, v6
	v_xor_b32_e32 v6, 32, v9
	v_cmp_lt_i32_e64 s[38:39], v6, v14
	s_nop 1
	v_cndmask_b32_e64 v6, v9, v6, s[38:39]
	v_lshlrev_b32_e32 v65, 2, v6
	ds_bpermute_b32 v15, v65, v8
	v_mad_i64_i32 v[6:7], s[38:39], v63, s45, v[46:47]
	global_load_dwordx4 v[26:29], v[58:59], off
	global_load_dwordx4 v[18:21], v[6:7], off
	s_waitcnt lgkmcnt(0)
	v_max_f32_e32 v6, v15, v15
	v_max_f32_e32 v15, v8, v6
	v_xor_b32_e32 v6, 16, v9
	v_cmp_lt_i32_e64 s[38:39], v6, v14
	s_nop 1
	v_cndmask_b32_e64 v6, v9, v6, s[38:39]
	v_lshlrev_b32_e32 v58, 2, v6
	ds_bpermute_b32 v14, v58, v15
	v_mad_i64_i32 v[6:7], s[38:39], v55, s45, v[46:47]
	v_mad_i64_i32 v[8:9], s[38:39], v62, s45, v[46:47]
	s_waitcnt lgkmcnt(0)
	v_max_f32_e32 v14, v14, v14
	v_max_f32_e32 v55, v15, v14
	v_sub_f32_e32 v14, v50, v55
	v_mul_f32_e32 v14, 0x3fb8aa3b, v14
	v_exp_f32_e32 v36, v14
	v_sub_f32_e32 v14, v51, v55
	v_mul_f32_e32 v14, 0x3fb8aa3b, v14
	v_exp_f32_e32 v37, v14
	global_load_dwordx4 v[14:17], v[6:7], off
	s_nop 0
	global_load_dwordx4 v[6:9], v[8:9], off
	v_sub_f32_e32 v38, v38, v55
	v_mul_f32_e32 v38, 0x3fb8aa3b, v38
	v_sub_f32_e32 v39, v39, v55
	v_exp_f32_e32 v38, v38
	v_mul_f32_e32 v39, 0x3fb8aa3b, v39
	v_exp_f32_e32 v39, v39
	v_cndmask_b32_e64 v36, 0, v36, s[24:25]
	v_add_f32_e32 v46, 0, v36
	v_cndmask_b32_e64 v37, 0, v37, s[26:27]
	v_add_f32_e32 v47, v46, v37
	;; [unrolled: 2-line block ×3, first 2 shown]
	v_cndmask_b32_e64 v47, 0, v39, s[30:31]
	v_sub_f32_e32 v39, v52, v55
	v_mul_f32_e32 v39, 0x3fb8aa3b, v39
	v_sub_f32_e32 v50, v53, v55
	v_exp_f32_e32 v39, v39
	v_mul_f32_e32 v50, 0x3fb8aa3b, v50
	v_sub_f32_e32 v48, v48, v55
	v_exp_f32_e32 v50, v50
	v_mul_f32_e32 v48, 0x3fb8aa3b, v48
	v_sub_f32_e32 v49, v49, v55
	v_exp_f32_e32 v48, v48
	v_mul_f32_e32 v49, 0x3fb8aa3b, v49
	v_sub_f32_e32 v42, v42, v55
	v_exp_f32_e32 v49, v49
	v_mul_f32_e32 v42, 0x3fb8aa3b, v42
	v_sub_f32_e32 v43, v43, v55
	v_add_f32_e32 v51, v38, v47
	v_cndmask_b32_e64 v38, 0, v39, s[34:35]
	v_exp_f32_e32 v42, v42
	v_mul_f32_e32 v43, 0x3fb8aa3b, v43
	v_sub_f32_e32 v44, v44, v55
	v_add_f32_e32 v51, v51, v38
	v_cndmask_b32_e64 v39, 0, v50, s[36:37]
	v_exp_f32_e32 v43, v43
	;; [unrolled: 5-line block ×7, first 2 shown]
	v_mul_f32_e32 v35, 0x3fb8aa3b, v35
	v_add_f32_e32 v50, v50, v44
	v_cndmask_b32_e64 v45, 0, v45, s[12:13]
	v_exp_f32_e32 v35, v35
	v_add_f32_e32 v50, v50, v45
	v_cndmask_b32_e64 v40, 0, v40, s[6:7]
	v_add_f32_e32 v50, v50, v40
	v_cndmask_b32_e64 v41, 0, v41, s[8:9]
	v_add_f32_e32 v50, v50, v41
	v_cndmask_b32_e32 v34, 0, v34, vcc
	v_add_f32_e32 v50, v50, v34
	v_cndmask_b32_e64 v35, 0, v35, s[4:5]
	v_add_f32_e32 v50, v50, v35
	ds_bpermute_b32 v51, v65, v50
	v_cmp_gt_u32_e32 vcc, 16, v61
	s_waitcnt lgkmcnt(0)
	s_barrier
	v_add_f32_e32 v50, v50, v51
	ds_bpermute_b32 v51, v58, v50
	s_and_saveexec_b64 s[4:5], vcc
	s_cbranch_execz .LBB1079_13
; %bb.12:
	s_waitcnt lgkmcnt(0)
	v_add_f32_e32 v50, v50, v51
	v_lshlrev_b32_e32 v51, 2, v64
	ds_write2st64_b32 v51, v55, v50 offset1:1
.LBB1079_13:
	s_or_b64 exec, exec, s[4:5]
	s_waitcnt lgkmcnt(0)
	v_lshlrev_b32_e32 v51, 2, v56
	s_load_dword s6, s[0:1], 0x94
	s_waitcnt lgkmcnt(0)
	s_barrier
	ds_read2_b32 v[52:53], v51 offset1:16
	ds_read2_b32 v[58:59], v51 offset0:32 offset1:48
	ds_read2_b32 v[62:63], v51 offset0:64 offset1:80
	s_mul_i32 s7, s23, 12
	s_waitcnt lgkmcnt(2)
	v_max3_f32 v50, v52, s33, v53
	s_waitcnt lgkmcnt(1)
	v_max3_f32 v50, v50, v58, v59
	v_sub_f32_e32 v52, v52, v50
	v_mul_f32_e32 v52, 0x3fb8aa3b, v52
	v_exp_f32_e32 v55, v52
	v_sub_f32_e32 v52, v53, v50
	v_mul_f32_e32 v52, 0x3fb8aa3b, v52
	v_exp_f32_e32 v61, v52
	;; [unrolled: 3-line block ×3, first 2 shown]
	ds_read2_b32 v[52:53], v51 offset0:96 offset1:112
	v_sub_f32_e32 v51, v59, v50
	v_mul_f32_e32 v51, 0x3fb8aa3b, v51
	v_exp_f32_e32 v59, v51
	s_waitcnt lgkmcnt(1)
	v_fma_f32 v51, v55, v62, 0
	v_fmac_f32_e32 v51, v61, v63
	s_waitcnt lgkmcnt(0)
	v_fmac_f32_e32 v51, v58, v52
	v_fmac_f32_e32 v51, v59, v53
	v_add_f32_e32 v52, 0x358637bd, v51
	v_div_scale_f32 v53, s[4:5], v52, v52, 1.0
	v_rcp_f32_e32 v62, v53
	s_barrier
	v_fma_f32 v63, -v53, v62, 1.0
	v_fmac_f32_e32 v62, v63, v62
	v_div_scale_f32 v63, vcc, 1.0, v52, 1.0
	v_mul_f32_e32 v64, v63, v62
	v_fma_f32 v65, -v53, v64, v63
	v_fmac_f32_e32 v64, v65, v62
	v_fma_f32 v53, -v53, v64, v63
	v_div_fmas_f32 v53, v53, v62, v64
	v_cmp_eq_u32_e32 vcc, 1, v57
	v_div_fixup_f32 v52, v53, v52, 1.0
	s_nop 0
	v_cndmask_b32_e32 v53, v55, v61, vcc
	v_cmp_eq_u32_e32 vcc, 2, v57
	s_nop 1
	v_cndmask_b32_e32 v53, v53, v58, vcc
	v_cmp_eq_u32_e32 vcc, 3, v57
	s_nop 1
	v_cndmask_b32_e32 v53, v53, v59, vcc
	v_mul_f32_e32 v52, v53, v52
	v_pk_mul_f32 v[46:47], v[52:53], v[46:47] op_sel_hi:[0,1]
	v_pk_mul_f32 v[36:37], v[52:53], v[36:37] op_sel_hi:[0,1]
	v_cvt_f16_f32_e32 v53, v46
	v_cvt_f16_f32_e32 v36, v36
	;; [unrolled: 1-line block ×4, first 2 shown]
	v_pk_mul_f32 v[48:49], v[52:53], v[48:49] op_sel_hi:[0,1]
	v_pk_mul_f32 v[38:39], v[52:53], v[38:39] op_sel_hi:[0,1]
	v_cvt_f16_f32_e32 v38, v38
	v_cvt_f16_f32_e32 v39, v39
	v_cvt_f16_f32_e32 v48, v48
	v_cvt_f16_f32_e32 v49, v49
	v_pack_b32_f16 v46, v36, v37
	v_pack_b32_f16 v47, v53, v47
	v_lshlrev_b32_e32 v37, 3, v1
	v_lshlrev_b32_e32 v36, 5, v56
	;; [unrolled: 1-line block ×3, first 2 shown]
	v_or3_b32 v55, v53, v36, v37
	v_pack_b32_f16 v38, v38, v39
	v_pack_b32_f16 v39, v48, v49
	ds_write2st64_b64 v55, v[46:47], v[38:39] offset1:1
	v_pk_mul_f32 v[38:39], v[52:53], v[44:45] op_sel_hi:[0,1]
	v_pk_mul_f32 v[42:43], v[52:53], v[42:43] op_sel_hi:[0,1]
	v_cvt_f16_f32_e32 v37, v42
	v_cvt_f16_f32_e32 v42, v43
	;; [unrolled: 1-line block ×4, first 2 shown]
	v_pk_mul_f32 v[34:35], v[52:53], v[34:35] op_sel_hi:[0,1]
	v_pk_mul_f32 v[38:39], v[52:53], v[40:41] op_sel_hi:[0,1]
	v_cvt_f16_f32_e32 v38, v38
	v_cvt_f16_f32_e32 v39, v39
	;; [unrolled: 1-line block ×4, first 2 shown]
	v_pack_b32_f16 v34, v37, v42
	v_pack_b32_f16 v35, v43, v44
	;; [unrolled: 1-line block ×4, first 2 shown]
	v_cmp_gt_u32_e32 vcc, 12, v0
	ds_write2st64_b64 v55, v[34:35], v[38:39] offset0:2 offset1:3
	s_and_saveexec_b64 s[4:5], vcc
	s_cbranch_execz .LBB1079_15
; %bb.14:
	s_mov_b32 s49, 0
	v_mov_b32_e32 v57, 0
	v_lshl_add_u64 v[34:35], s[48:49], 0, v[56:57]
	v_mov_b32_e32 v37, s7
	v_mad_u64_u32 v[34:35], s[12:13], s2, v37, v[34:35]
	s_mul_i32 s3, s3, s7
	v_mov_b32_e32 v38, s22
	v_mov_b32_e32 v39, v57
	s_load_dwordx4 s[8:11], s[0:1], 0x58
	v_add_u32_e32 v37, s3, v35
	v_mad_u64_u32 v[34:35], s[12:13], v34, s6, v[38:39]
	v_mov_b32_e32 v38, v35
	v_mad_u64_u32 v[38:39], s[12:13], v37, s6, v[38:39]
	v_mov_b32_e32 v35, v38
	v_lshlrev_b64 v[34:35], 2, v[34:35]
	s_waitcnt lgkmcnt(0)
	v_lshl_add_u64 v[38:39], s[10:11], 0, v[34:35]
	v_lshl_add_u64 v[34:35], s[8:9], 0, v[34:35]
	global_store_dword v[38:39], v50, off
	global_store_dword v[34:35], v51, off
.LBB1079_15:
	s_or_b64 exec, exec, s[4:5]
	s_waitcnt vmcnt(7)
	v_cvt_pk_f32_fp8_e32 v[34:35], v30
	v_lshl_or_b32 v50, v1, 9, v36
	v_cvt_pk_f32_fp8_sdwa v[36:37], v30 src0_sel:WORD_1
	s_waitcnt lgkmcnt(0)
	s_barrier
	v_cvt_pk_f32_fp8_e32 v[38:39], v31
	v_cvt_pkrtz_f16_f32 v30, v34, v35
	v_cvt_pk_f32_fp8_sdwa v[40:41], v31 src0_sel:WORD_1
	v_cvt_pkrtz_f16_f32 v31, v36, v37
	ds_read_b128 v[34:37], v50
	v_cvt_pkrtz_f16_f32 v46, v38, v39
	v_cvt_pkrtz_f16_f32 v47, v40, v41
	ds_read_b128 v[38:41], v50 offset:16
	v_cvt_pk_f32_fp8_e32 v[48:49], v32
	v_cvt_pk_f32_fp8_sdwa v[52:53], v32 src0_sel:WORD_1
	s_waitcnt lgkmcnt(1)
	v_mfma_f32_16x16x16_f16 v[42:45], v[30:31], v[34:35], 0
	s_waitcnt vmcnt(6)
	v_cvt_pk_f32_fp8_e32 v[58:59], v24
	v_cvt_pkrtz_f16_f32 v30, v48, v49
	v_cvt_pkrtz_f16_f32 v31, v52, v53
	v_cvt_pk_f32_fp8_e32 v[48:49], v33
	v_mfma_f32_16x16x16_f16 v[42:45], v[46:47], v[36:37], v[42:45]
	v_cvt_pk_f32_fp8_sdwa v[46:47], v33 src0_sel:WORD_1
	v_cvt_pk_f32_fp8_sdwa v[62:63], v24 src0_sel:WORD_1
	v_cvt_pkrtz_f16_f32 v48, v48, v49
	s_waitcnt lgkmcnt(0)
	v_mfma_f32_16x16x16_f16 v[30:33], v[30:31], v[38:39], v[42:45]
	v_cvt_pkrtz_f16_f32 v49, v46, v47
	s_waitcnt vmcnt(5)
	v_cvt_pk_f32_fp8_sdwa v[66:67], v12 src0_sel:WORD_1
	s_waitcnt vmcnt(4)
	v_cvt_pk_f32_fp8_sdwa v[68:69], v4 src0_sel:WORD_1
	v_cvt_pk_f32_fp8_e32 v[42:43], v22
	v_mfma_f32_16x16x16_f16 v[46:49], v[48:49], v[40:41], v[30:33]
	s_waitcnt vmcnt(3)
	v_cvt_pk_f32_fp8_sdwa v[70:71], v28 src0_sel:WORD_1
	s_load_dword s4, s[42:43], 0x0
	v_cvt_pk_f32_fp8_sdwa v[30:31], v22 src0_sel:WORD_1
	v_cvt_pk_f32_fp8_e32 v[32:33], v23
	v_cvt_pkrtz_f16_f32 v22, v42, v43
	v_cvt_pk_f32_fp8_sdwa v[42:43], v23 src0_sel:WORD_1
	v_cvt_pkrtz_f16_f32 v23, v30, v31
	v_cvt_pkrtz_f16_f32 v52, v32, v33
	ds_read_b128 v[30:33], v50 offset:2048
	v_cvt_pkrtz_f16_f32 v53, v42, v43
	ds_read_b128 v[42:45], v50 offset:2064
	s_waitcnt lgkmcnt(0)
	v_mfma_f32_16x16x16_f16 v[46:49], v[22:23], v[30:31], v[46:49]
	v_cvt_pkrtz_f16_f32 v22, v58, v59
	v_cvt_pkrtz_f16_f32 v23, v62, v63
	v_cvt_pk_f32_fp8_e32 v[58:59], v25
	v_mfma_f32_16x16x16_f16 v[46:49], v[52:53], v[32:33], v[46:49]
	v_cvt_pk_f32_fp8_sdwa v[52:53], v25 src0_sel:WORD_1
	s_mov_b32 s3, 0
	v_cvt_pkrtz_f16_f32 v58, v58, v59
	v_mfma_f32_16x16x16_f16 v[22:25], v[22:23], v[42:43], v[46:49]
	v_cvt_pkrtz_f16_f32 v59, v52, v53
	v_cmp_gt_u32_e32 vcc, 64, v0
	s_nop 0
	v_cvt_pk_f32_fp8_e32 v[46:47], v10
	v_mfma_f32_16x16x16_f16 v[62:65], v[58:59], v[44:45], v[22:25]
	v_cvt_pk_f32_fp8_e32 v[58:59], v12
	s_nop 1
	v_cvt_pk_f32_fp8_sdwa v[22:23], v10 src0_sel:WORD_1
	v_cvt_pk_f32_fp8_e32 v[24:25], v11
	v_cvt_pkrtz_f16_f32 v10, v46, v47
	v_cvt_pk_f32_fp8_sdwa v[46:47], v11 src0_sel:WORD_1
	v_cvt_pkrtz_f16_f32 v11, v22, v23
	v_cvt_pkrtz_f16_f32 v52, v24, v25
	ds_read_b128 v[22:25], v50 offset:4096
	v_cvt_pkrtz_f16_f32 v53, v46, v47
	ds_read_b128 v[46:49], v50 offset:4112
	s_waitcnt lgkmcnt(1)
	v_mfma_f32_16x16x16_f16 v[62:65], v[10:11], v[22:23], v[62:65]
	v_cvt_pkrtz_f16_f32 v10, v58, v59
	v_cvt_pkrtz_f16_f32 v11, v66, v67
	v_cvt_pk_f32_fp8_e32 v[58:59], v13
	v_mfma_f32_16x16x16_f16 v[62:65], v[52:53], v[24:25], v[62:65]
	v_cvt_pk_f32_fp8_sdwa v[52:53], v13 src0_sel:WORD_1
	v_cvt_pk_f32_fp8_e32 v[66:67], v4
	v_cvt_pkrtz_f16_f32 v58, v58, v59
	s_waitcnt lgkmcnt(0)
	v_mfma_f32_16x16x16_f16 v[10:13], v[10:11], v[46:47], v[62:65]
	v_cvt_pkrtz_f16_f32 v59, v52, v53
	v_cvt_pk_f32_fp8_e32 v[52:53], v2
	s_nop 0
	v_mfma_f32_16x16x16_f16 v[62:65], v[58:59], v[48:49], v[10:13]
	s_nop 2
	v_cvt_pk_f32_fp8_sdwa v[10:11], v2 src0_sel:WORD_1
	v_cvt_pk_f32_fp8_e32 v[12:13], v3
	v_cvt_pkrtz_f16_f32 v2, v52, v53
	v_cvt_pk_f32_fp8_sdwa v[52:53], v3 src0_sel:WORD_1
	v_cvt_pkrtz_f16_f32 v3, v10, v11
	v_cvt_pkrtz_f16_f32 v58, v12, v13
	ds_read_b128 v[10:13], v50 offset:6144
	v_cvt_pkrtz_f16_f32 v59, v52, v53
	s_waitcnt lgkmcnt(0)
	v_mfma_f32_16x16x16_f16 v[62:65], v[2:3], v[10:11], v[62:65]
	ds_read_b128 v[50:53], v50 offset:6160
	v_cvt_pkrtz_f16_f32 v2, v66, v67
	v_cvt_pkrtz_f16_f32 v3, v68, v69
	v_cvt_pk_f32_fp8_e32 v[66:67], v5
	v_mfma_f32_16x16x16_f16 v[62:65], v[58:59], v[12:13], v[62:65]
	v_cvt_pk_f32_fp8_sdwa v[58:59], v5 src0_sel:WORD_1
	v_cvt_pk_f32_fp8_e32 v[68:69], v28
	v_cvt_pkrtz_f16_f32 v66, v66, v67
	s_waitcnt lgkmcnt(0)
	v_mfma_f32_16x16x16_f16 v[2:5], v[2:3], v[50:51], v[62:65]
	v_cvt_pkrtz_f16_f32 v67, v58, v59
	v_cvt_pk_f32_fp8_e32 v[58:59], v26
	s_nop 0
	v_cvt_pk_f32_fp8_sdwa v[62:63], v26 src0_sel:WORD_1
	v_cvt_pk_f32_fp8_e32 v[64:65], v27
	v_cvt_pkrtz_f16_f32 v58, v58, v59
	v_cvt_pk_f32_fp8_sdwa v[26:27], v27 src0_sel:WORD_1
	v_cvt_pkrtz_f16_f32 v59, v62, v63
	v_mfma_f32_16x16x16_f16 v[2:5], v[66:67], v[52:53], v[2:5]
	v_cvt_pkrtz_f16_f32 v66, v64, v65
	v_cvt_pkrtz_f16_f32 v67, v26, v27
	;; [unrolled: 1-line block ×3, first 2 shown]
	v_mfma_f32_16x16x16_f16 v[62:65], v[58:59], v[34:35], 0
	v_cvt_pkrtz_f16_f32 v27, v70, v71
	v_cvt_pk_f32_fp8_e32 v[58:59], v29
	s_barrier
	v_mfma_f32_16x16x16_f16 v[34:37], v[66:67], v[36:37], v[62:65]
	v_cvt_pkrtz_f16_f32 v58, v58, v59
	s_nop 1
	v_cvt_pk_f32_fp8_sdwa v[62:63], v29 src0_sel:WORD_1
	v_mfma_f32_16x16x16_f16 v[26:29], v[26:27], v[38:39], v[34:37]
	s_waitcnt vmcnt(2)
	v_cvt_pk_f32_fp8_e32 v[38:39], v19
	v_cvt_pkrtz_f16_f32 v59, v62, v63
	v_cvt_pk_f32_fp8_e32 v[34:35], v18
	v_cvt_pk_f32_fp8_sdwa v[36:37], v18 src0_sel:WORD_1
	v_cvt_pk_f32_fp8_sdwa v[18:19], v19 src0_sel:WORD_1
	v_mfma_f32_16x16x16_f16 v[26:29], v[58:59], v[40:41], v[26:29]
	v_cvt_pkrtz_f16_f32 v34, v34, v35
	v_cvt_pkrtz_f16_f32 v35, v36, v37
	;; [unrolled: 1-line block ×3, first 2 shown]
	v_cvt_pk_f32_fp8_e32 v[38:39], v20
	v_cvt_pk_f32_fp8_sdwa v[40:41], v20 src0_sel:WORD_1
	v_cvt_pkrtz_f16_f32 v37, v18, v19
	v_mfma_f32_16x16x16_f16 v[26:29], v[34:35], v[30:31], v[26:29]
	v_cvt_pkrtz_f16_f32 v30, v38, v39
	v_cvt_pkrtz_f16_f32 v31, v40, v41
	v_cvt_pk_f32_fp8_e32 v[34:35], v21
	v_cvt_pk_f32_fp8_sdwa v[38:39], v21 src0_sel:WORD_1
	v_mfma_f32_16x16x16_f16 v[18:21], v[36:37], v[32:33], v[26:29]
	s_waitcnt vmcnt(1)
	v_cvt_pk_f32_fp8_sdwa v[32:33], v16 src0_sel:WORD_1
	s_nop 0
	v_cvt_pkrtz_f16_f32 v26, v34, v35
	v_cvt_pkrtz_f16_f32 v27, v38, v39
	v_mfma_f32_16x16x16_f16 v[18:21], v[30:31], v[42:43], v[18:21]
	v_cvt_pk_f32_fp8_e32 v[28:29], v14
	v_cvt_pk_f32_fp8_sdwa v[30:31], v14 src0_sel:WORD_1
	v_cvt_pkrtz_f16_f32 v28, v28, v29
	v_mfma_f32_16x16x16_f16 v[18:21], v[26:27], v[44:45], v[18:21]
	v_cvt_pk_f32_fp8_e32 v[26:27], v15
	v_cvt_pkrtz_f16_f32 v29, v30, v31
	v_cvt_pk_f32_fp8_sdwa v[14:15], v15 src0_sel:WORD_1
	v_cvt_pk_f32_fp8_e32 v[30:31], v16
	v_cvt_pkrtz_f16_f32 v26, v26, v27
	v_mfma_f32_16x16x16_f16 v[18:21], v[28:29], v[22:23], v[18:21]
	v_cvt_pkrtz_f16_f32 v27, v14, v15
	v_cvt_pkrtz_f16_f32 v22, v30, v31
	;; [unrolled: 1-line block ×3, first 2 shown]
	v_cvt_pk_f32_fp8_e32 v[28:29], v17
	v_cvt_pk_f32_fp8_sdwa v[30:31], v17 src0_sel:WORD_1
	v_mfma_f32_16x16x16_f16 v[14:17], v[26:27], v[24:25], v[18:21]
	s_waitcnt vmcnt(0)
	v_cvt_pk_f32_fp8_sdwa v[24:25], v6 src0_sel:WORD_1
	s_nop 0
	v_pk_mul_f32 v[18:19], v[4:5], s[4:5] op_sel_hi:[1,0]
	v_cvt_pkrtz_f16_f32 v4, v28, v29
	v_cvt_pkrtz_f16_f32 v5, v30, v31
	v_mfma_f32_16x16x16_f16 v[14:17], v[22:23], v[46:47], v[14:17]
	v_cvt_pk_f32_fp8_e32 v[22:23], v6
	v_pk_mul_f32 v[20:21], v[2:3], s[4:5] op_sel_hi:[1,0]
	v_mfma_f32_16x16x16_f16 v[2:5], v[4:5], v[48:49], v[14:17]
	s_nop 3
	v_cvt_pk_f32_fp8_e32 v[14:15], v7
	v_cvt_pkrtz_f16_f32 v16, v22, v23
	v_cvt_pkrtz_f16_f32 v17, v24, v25
	v_cvt_pk_f32_fp8_sdwa v[6:7], v7 src0_sel:WORD_1
	v_cvt_pkrtz_f16_f32 v14, v14, v15
	v_cvt_pk_f32_fp8_e32 v[22:23], v8
	v_cvt_pk_f32_fp8_sdwa v[24:25], v8 src0_sel:WORD_1
	v_cvt_pkrtz_f16_f32 v15, v6, v7
	v_mfma_f32_16x16x16_f16 v[2:5], v[16:17], v[10:11], v[2:5]
	v_cvt_pkrtz_f16_f32 v6, v22, v23
	v_cvt_pkrtz_f16_f32 v7, v24, v25
	v_cvt_pk_f32_fp8_e32 v[10:11], v9
	v_cvt_pk_f32_fp8_sdwa v[8:9], v9 src0_sel:WORD_1
	v_mfma_f32_16x16x16_f16 v[2:5], v[14:15], v[12:13], v[2:5]
	v_cvt_f16_f32_e32 v12, v20
	v_cvt_pkrtz_f16_f32 v10, v10, v11
	v_cvt_pkrtz_f16_f32 v11, v8, v9
	v_mfma_f32_16x16x16_f16 v[2:5], v[6:7], v[50:51], v[2:5]
	v_cvt_f16_f32_e32 v6, v21
	v_cvt_f16_f32_e32 v7, v18
	;; [unrolled: 1-line block ×3, first 2 shown]
	v_mfma_f32_16x16x16_f16 v[2:5], v[10:11], v[52:53], v[2:5]
	s_nop 6
	v_pk_mul_f32 v[4:5], v[4:5], s[4:5] op_sel_hi:[1,0]
	v_pk_mul_f32 v[2:3], v[2:3], s[4:5] op_sel_hi:[1,0]
	v_cvt_f16_f32_e32 v11, v4
	v_cvt_f16_f32_e32 v9, v2
	;; [unrolled: 1-line block ×4, first 2 shown]
	v_pack_b32_f16 v2, v12, v6
	v_pack_b32_f16 v3, v7, v8
	;; [unrolled: 1-line block ×4, first 2 shown]
	ds_write2st64_b64 v55, v[2:3], v[4:5] offset1:1
	s_waitcnt lgkmcnt(0)
	s_barrier
	s_and_saveexec_b64 s[4:5], vcc
	s_cbranch_execz .LBB1079_17
; %bb.16:
	s_load_dwordx2 s[0:1], s[0:1], 0x68
	s_lshl_b32 s6, s6, 7
	s_mul_i32 s2, s7, s2
	s_mul_hi_u32 s5, s2, s6
	s_mul_i32 s4, s2, s6
	s_lshl_b64 s[4:5], s[4:5], 1
	v_lshlrev_b32_e32 v4, 6, v56
	s_waitcnt lgkmcnt(0)
	s_add_u32 s4, s0, s4
	v_lshl_or_b32 v0, v0, 10, v4
	s_addc_u32 s5, s1, s5
	s_lshl_b32 s2, s22, 7
	v_lshlrev_b32_e32 v2, 5, v1
	v_and_b32_e32 v3, 16, v60
	v_and_b32_e32 v0, 0x1a00, v0
	s_lshl_b64 s[0:1], s[2:3], 1
	v_or3_b32 v0, v0, v2, v3
	s_add_u32 s0, s4, s0
	ds_read_b128 v[2:5], v0
	ds_read_b128 v[6:9], v0 offset:128
	ds_read_b128 v[10:13], v0 offset:256
	s_addc_u32 s1, s5, s1
	v_or_b32_e32 v16, s48, v1
	v_mov_b32_e32 v55, 0
	v_lshl_add_u64 v[0:1], s[0:1], 0, v[54:55]
	v_mad_u64_u32 v[14:15], s[0:1], v16, s6, 0
	v_lshl_add_u64 v[14:15], v[14:15], 1, v[0:1]
	s_waitcnt lgkmcnt(2)
	global_store_dwordx4 v[14:15], v[2:5], off
	s_nop 1
	v_add_u32_e32 v2, 4, v16
	v_mad_u64_u32 v[2:3], s[0:1], v2, s6, 0
	v_lshl_add_u64 v[2:3], v[2:3], 1, v[0:1]
	s_waitcnt lgkmcnt(1)
	global_store_dwordx4 v[2:3], v[6:9], off
	v_add_u32_e32 v2, 8, v16
	v_mad_u64_u32 v[2:3], s[0:1], v2, s6, 0
	v_lshl_add_u64 v[0:1], v[2:3], 1, v[0:1]
	s_waitcnt lgkmcnt(0)
	global_store_dwordx4 v[0:1], v[10:13], off
.LBB1079_17:
	s_endpgm
	.section	.rodata,"a",@progbits
	.p2align	6, 0x0
	.amdhsa_kernel _Z39paged_attention_ll4mi_QKV_mfma16_kernelIDF16_hLN4vllm18Fp8KVCacheDataTypeE1EDF16_Li32ELi128ELi256ELb0ELi12EEvPKT_PKT0_S7_ifPKiS9_S9_iPKfiiiPfSC_PS2_PT2_iSB_SB_
		.amdhsa_group_segment_fixed_size 8192
		.amdhsa_private_segment_fixed_size 0
		.amdhsa_kernarg_size 400
		.amdhsa_user_sgpr_count 2
		.amdhsa_user_sgpr_dispatch_ptr 0
		.amdhsa_user_sgpr_queue_ptr 0
		.amdhsa_user_sgpr_kernarg_segment_ptr 1
		.amdhsa_user_sgpr_dispatch_id 0
		.amdhsa_user_sgpr_kernarg_preload_length 0
		.amdhsa_user_sgpr_kernarg_preload_offset 0
		.amdhsa_user_sgpr_private_segment_size 0
		.amdhsa_uses_dynamic_stack 0
		.amdhsa_enable_private_segment 0
		.amdhsa_system_sgpr_workgroup_id_x 1
		.amdhsa_system_sgpr_workgroup_id_y 1
		.amdhsa_system_sgpr_workgroup_id_z 1
		.amdhsa_system_sgpr_workgroup_info 0
		.amdhsa_system_vgpr_workitem_id 0
		.amdhsa_next_free_vgpr 80
		.amdhsa_next_free_sgpr 50
		.amdhsa_accum_offset 80
		.amdhsa_reserve_vcc 1
		.amdhsa_float_round_mode_32 0
		.amdhsa_float_round_mode_16_64 0
		.amdhsa_float_denorm_mode_32 3
		.amdhsa_float_denorm_mode_16_64 3
		.amdhsa_dx10_clamp 1
		.amdhsa_ieee_mode 1
		.amdhsa_fp16_overflow 0
		.amdhsa_tg_split 0
		.amdhsa_exception_fp_ieee_invalid_op 0
		.amdhsa_exception_fp_denorm_src 0
		.amdhsa_exception_fp_ieee_div_zero 0
		.amdhsa_exception_fp_ieee_overflow 0
		.amdhsa_exception_fp_ieee_underflow 0
		.amdhsa_exception_fp_ieee_inexact 0
		.amdhsa_exception_int_div_zero 0
	.end_amdhsa_kernel
	.section	.text._Z39paged_attention_ll4mi_QKV_mfma16_kernelIDF16_hLN4vllm18Fp8KVCacheDataTypeE1EDF16_Li32ELi128ELi256ELb0ELi12EEvPKT_PKT0_S7_ifPKiS9_S9_iPKfiiiPfSC_PS2_PT2_iSB_SB_,"axG",@progbits,_Z39paged_attention_ll4mi_QKV_mfma16_kernelIDF16_hLN4vllm18Fp8KVCacheDataTypeE1EDF16_Li32ELi128ELi256ELb0ELi12EEvPKT_PKT0_S7_ifPKiS9_S9_iPKfiiiPfSC_PS2_PT2_iSB_SB_,comdat
.Lfunc_end1079:
	.size	_Z39paged_attention_ll4mi_QKV_mfma16_kernelIDF16_hLN4vllm18Fp8KVCacheDataTypeE1EDF16_Li32ELi128ELi256ELb0ELi12EEvPKT_PKT0_S7_ifPKiS9_S9_iPKfiiiPfSC_PS2_PT2_iSB_SB_, .Lfunc_end1079-_Z39paged_attention_ll4mi_QKV_mfma16_kernelIDF16_hLN4vllm18Fp8KVCacheDataTypeE1EDF16_Li32ELi128ELi256ELb0ELi12EEvPKT_PKT0_S7_ifPKiS9_S9_iPKfiiiPfSC_PS2_PT2_iSB_SB_
                                        ; -- End function
	.section	.AMDGPU.csdata,"",@progbits
; Kernel info:
; codeLenInByte = 6092
; NumSgprs: 56
; NumVgprs: 80
; NumAgprs: 0
; TotalNumVgprs: 80
; ScratchSize: 0
; MemoryBound: 0
; FloatMode: 240
; IeeeMode: 1
; LDSByteSize: 8192 bytes/workgroup (compile time only)
; SGPRBlocks: 6
; VGPRBlocks: 9
; NumSGPRsForWavesPerEU: 56
; NumVGPRsForWavesPerEU: 80
; AccumOffset: 80
; Occupancy: 6
; WaveLimiterHint : 1
; COMPUTE_PGM_RSRC2:SCRATCH_EN: 0
; COMPUTE_PGM_RSRC2:USER_SGPR: 2
; COMPUTE_PGM_RSRC2:TRAP_HANDLER: 0
; COMPUTE_PGM_RSRC2:TGID_X_EN: 1
; COMPUTE_PGM_RSRC2:TGID_Y_EN: 1
; COMPUTE_PGM_RSRC2:TGID_Z_EN: 1
; COMPUTE_PGM_RSRC2:TIDIG_COMP_CNT: 0
; COMPUTE_PGM_RSRC3_GFX90A:ACCUM_OFFSET: 19
; COMPUTE_PGM_RSRC3_GFX90A:TG_SPLIT: 0
	.section	.text._Z39paged_attention_ll4mi_QKV_mfma16_kernelIDF16_hLN4vllm18Fp8KVCacheDataTypeE1EDF16_Li32ELi128ELi256ELb0ELi13EEvPKT_PKT0_S7_ifPKiS9_S9_iPKfiiiPfSC_PS2_PT2_iSB_SB_,"axG",@progbits,_Z39paged_attention_ll4mi_QKV_mfma16_kernelIDF16_hLN4vllm18Fp8KVCacheDataTypeE1EDF16_Li32ELi128ELi256ELb0ELi13EEvPKT_PKT0_S7_ifPKiS9_S9_iPKfiiiPfSC_PS2_PT2_iSB_SB_,comdat
	.protected	_Z39paged_attention_ll4mi_QKV_mfma16_kernelIDF16_hLN4vllm18Fp8KVCacheDataTypeE1EDF16_Li32ELi128ELi256ELb0ELi13EEvPKT_PKT0_S7_ifPKiS9_S9_iPKfiiiPfSC_PS2_PT2_iSB_SB_ ; -- Begin function _Z39paged_attention_ll4mi_QKV_mfma16_kernelIDF16_hLN4vllm18Fp8KVCacheDataTypeE1EDF16_Li32ELi128ELi256ELb0ELi13EEvPKT_PKT0_S7_ifPKiS9_S9_iPKfiiiPfSC_PS2_PT2_iSB_SB_
	.globl	_Z39paged_attention_ll4mi_QKV_mfma16_kernelIDF16_hLN4vllm18Fp8KVCacheDataTypeE1EDF16_Li32ELi128ELi256ELb0ELi13EEvPKT_PKT0_S7_ifPKiS9_S9_iPKfiiiPfSC_PS2_PT2_iSB_SB_
	.p2align	8
	.type	_Z39paged_attention_ll4mi_QKV_mfma16_kernelIDF16_hLN4vllm18Fp8KVCacheDataTypeE1EDF16_Li32ELi128ELi256ELb0ELi13EEvPKT_PKT0_S7_ifPKiS9_S9_iPKfiiiPfSC_PS2_PT2_iSB_SB_,@function
_Z39paged_attention_ll4mi_QKV_mfma16_kernelIDF16_hLN4vllm18Fp8KVCacheDataTypeE1EDF16_Li32ELi128ELi256ELb0ELi13EEvPKT_PKT0_S7_ifPKiS9_S9_iPKfiiiPfSC_PS2_PT2_iSB_SB_: ; @_Z39paged_attention_ll4mi_QKV_mfma16_kernelIDF16_hLN4vllm18Fp8KVCacheDataTypeE1EDF16_Li32ELi128ELi256ELb0ELi13EEvPKT_PKT0_S7_ifPKiS9_S9_iPKfiiiPfSC_PS2_PT2_iSB_SB_
; %bb.0:
	s_load_dwordx2 s[12:13], s[0:1], 0x30
	s_mov_b32 s22, s3
	s_mov_b64 s[6:7], 0
	s_waitcnt lgkmcnt(0)
	s_cmp_lg_u64 s[12:13], 0
	s_cselect_b64 s[14:15], -1, 0
	s_and_b64 vcc, exec, s[14:15]
	s_cbranch_vccz .LBB1080_7
; %bb.1:
	s_add_i32 s8, s2, 1
	s_mov_b32 s9, 0
	s_lshl_b64 s[10:11], s[8:9], 2
	s_add_u32 s10, s12, s10
	s_mov_b32 s3, s9
	s_addc_u32 s11, s13, s11
	s_lshl_b64 s[8:9], s[2:3], 2
	s_add_u32 s8, s12, s8
	s_addc_u32 s9, s13, s9
	s_load_dword s5, s[10:11], 0x0
	s_load_dword s16, s[8:9], 0x0
	s_waitcnt lgkmcnt(0)
	s_sub_i32 s5, s5, s16
	s_cmp_eq_u32 s5, 1
	s_cselect_b64 s[8:9], -1, 0
	s_andn2_b64 vcc, exec, s[6:7]
	s_cbranch_vccnz .LBB1080_3
.LBB1080_2:
	s_mov_b32 s3, 0
	s_mov_b64 s[8:9], -1
.LBB1080_3:
	s_andn2_b64 vcc, exec, s[8:9]
	s_cbranch_vccnz .LBB1080_18
; %bb.4:
	s_load_dwordx2 s[6:7], s[0:1], 0x28
	s_lshl_b64 s[16:17], s[2:3], 2
	s_waitcnt lgkmcnt(0)
	s_add_u32 s6, s6, s16
	s_addc_u32 s7, s7, s17
	s_load_dword s5, s[6:7], 0x0
	s_lshl_b32 s18, s22, 8
	s_waitcnt lgkmcnt(0)
	s_cmp_ge_i32 s18, s5
	s_cbranch_scc1 .LBB1080_18
; %bb.5:
	s_load_dwordx2 s[6:7], s[0:1], 0x20
	s_load_dword s8, s[0:1], 0x38
	s_add_i32 s9, s5, 31
	s_ashr_i32 s10, s9, 31
	v_and_b32_e32 v1, 0xcf, v0
	s_lshr_b32 s10, s10, 27
	v_add_u32_e32 v1, s18, v1
	s_add_i32 s9, s9, s10
	v_ashrrev_i32_e32 v2, 31, v1
	s_ashr_i32 s19, s9, 5
	v_lshrrev_b32_e32 v6, 27, v2
	s_add_i32 s19, s19, -1
	s_waitcnt lgkmcnt(0)
	s_mul_i32 s8, s2, s8
	s_mov_b32 s9, 0
	v_add_u32_e32 v2, v1, v6
	s_lshl_b64 s[8:9], s[8:9], 2
	v_ashrrev_i32_e32 v2, 5, v2
	v_mov_b32_e32 v7, s19
	v_cmp_gt_i32_e32 vcc, s5, v1
	s_add_u32 s6, s6, s8
	s_addc_u32 s7, s7, s9
	v_cndmask_b32_e32 v2, v7, v2, vcc
	v_ashrrev_i32_e32 v3, 31, v2
	v_lshl_add_u64 v[4:5], v[2:3], 2, s[6:7]
	v_or_b32_e32 v2, 16, v1
	v_add_u32_e32 v3, v2, v6
	v_ashrrev_i32_e32 v3, 5, v3
	v_cmp_gt_i32_e32 vcc, s5, v2
	s_load_dwordx4 s[8:11], s[0:1], 0x8
	s_nop 0
	v_cndmask_b32_e32 v2, v7, v3, vcc
	v_ashrrev_i32_e32 v3, 31, v2
	v_lshl_add_u64 v[8:9], v[2:3], 2, s[6:7]
	v_or_b32_e32 v2, 32, v1
	v_add_u32_e32 v3, v2, v6
	v_ashrrev_i32_e32 v3, 5, v3
	v_cmp_gt_i32_e32 vcc, s5, v2
	v_or_b32_e32 v1, 48, v1
	s_nop 0
	v_cndmask_b32_e32 v2, v7, v3, vcc
	v_ashrrev_i32_e32 v3, 31, v2
	v_lshl_add_u64 v[10:11], v[2:3], 2, s[6:7]
	v_add_u32_e32 v2, v1, v6
	v_ashrrev_i32_e32 v2, 5, v2
	v_cmp_gt_i32_e32 vcc, s5, v1
	s_nop 1
	v_cndmask_b32_e32 v2, v7, v2, vcc
	v_ashrrev_i32_e32 v3, 31, v2
	v_lshl_add_u64 v[12:13], v[2:3], 2, s[6:7]
	global_load_dword v2, v[4:5], off
	global_load_dword v6, v[8:9], off
	;; [unrolled: 1-line block ×4, first 2 shown]
	s_andn2_b64 vcc, exec, s[14:15]
	s_cbranch_vccnz .LBB1080_8
; %bb.6:
	s_add_u32 s12, s12, s16
	s_addc_u32 s13, s13, s17
	s_load_dword s14, s[12:13], 0x0
	s_branch .LBB1080_9
.LBB1080_7:
	s_mov_b64 s[8:9], 0
	s_branch .LBB1080_2
.LBB1080_8:
	s_mov_b32 s14, s2
.LBB1080_9:
	s_load_dwordx4 s[44:47], s[0:1], 0x48
	v_lshrrev_b32_e32 v57, 6, v0
	v_bfe_u32 v60, v0, 4, 2
	v_and_b32_e32 v56, 15, v0
	v_lshl_or_b32 v3, v57, 2, v60
	v_lshlrev_b32_e32 v1, 3, v56
	v_and_b32_e32 v61, 63, v0
	s_mul_i32 s48, s4, 13
	v_cmp_gt_u32_e32 vcc, 13, v3
	v_lshlrev_b32_e32 v54, 1, v1
	v_lshlrev_b32_e32 v1, 4, v0
	s_and_saveexec_b64 s[12:13], vcc
	s_cbranch_execz .LBB1080_11
; %bb.10:
	s_load_dwordx2 s[16:17], s[0:1], 0x0
	s_waitcnt lgkmcnt(0)
	s_ashr_i32 s15, s44, 31
	s_mul_hi_u32 s20, s14, s44
	s_mul_i32 s15, s14, s15
	s_add_i32 s15, s20, s15
	s_mul_i32 s14, s14, s44
	s_lshl_b64 s[14:15], s[14:15], 1
	s_add_u32 s14, s16, s14
	v_add_lshl_u32 v4, v3, s48, 7
	s_addc_u32 s15, s17, s15
	v_ashrrev_i32_e32 v5, 31, v4
	v_lshl_add_u64 v[4:5], v[4:5], 1, s[14:15]
	v_mov_b32_e32 v55, 0
	v_lshl_add_u64 v[4:5], v[4:5], 0, v[54:55]
	global_load_dwordx4 v[8:11], v[4:5], off
	v_lshlrev_b32_e32 v5, 8, v0
	v_lshlrev_b32_e32 v4, 8, v56
	v_and_b32_e32 v5, 0x600, v5
	s_movk_i32 s14, 0x800
	v_and_or_b32 v4, v4, s14, v5
	v_lshlrev_b32_e32 v3, 5, v3
	v_and_b32_e32 v5, 16, v1
	v_or3_b32 v3, v4, v3, v5
	s_waitcnt vmcnt(0)
	ds_write_b128 v3, v[8:11]
.LBB1080_11:
	s_or_b64 exec, exec, s[12:13]
	s_waitcnt lgkmcnt(0)
	s_mul_i32 s12, s4, s46
	s_add_u32 s8, s8, s12
	s_addc_u32 s9, s9, 0
	v_mov_b32_e32 v59, 0
	v_mov_b64_e32 v[4:5], s[8:9]
	v_and_b32_e32 v7, 48, v0
	s_waitcnt vmcnt(3)
	v_mad_i64_i32 v[8:9], s[8:9], v2, s45, v[4:5]
	v_lshlrev_b32_e32 v2, 4, v56
	v_mov_b32_e32 v3, v59
	v_lshlrev_b32_e32 v58, 5, v7
	v_lshl_add_u64 v[8:9], v[8:9], 0, v[2:3]
	v_lshl_add_u64 v[8:9], v[8:9], 0, v[58:59]
	s_load_dword s23, s[0:1], 0x98
	s_load_dwordx4 s[40:43], s[0:1], 0x80
	s_waitcnt lgkmcnt(0)
	s_barrier
	global_load_dwordx4 v[10:13], v[8:9], off
	global_load_dwordx4 v[30:33], v[8:9], off offset:2048
	v_add_u32_e32 v14, -13, v56
	v_cmp_gt_u32_e32 vcc, 13, v56
	s_ashr_i32 s8, s18, 31
	v_or_b32_e32 v24, 0x100, v2
	v_cndmask_b32_e32 v8, v14, v56, vcc
	v_mov_b32_e32 v25, v59
	s_lshr_b32 s13, s8, 27
	s_waitcnt vmcnt(4)
	v_mad_i64_i32 v[34:35], s[8:9], v6, s45, v[4:5]
	v_or_b32_e32 v39, s18, v7
	v_lshlrev_b32_e32 v7, 5, v8
	v_lshl_add_u64 v[34:35], v[34:35], 0, v[24:25]
	v_lshl_add_u32 v7, v60, 9, v7
	v_lshl_add_u64 v[34:35], v[34:35], 0, v[58:59]
	ds_read_b128 v[26:29], v7
	ds_read_b128 v[18:21], v7 offset:16
	ds_read_b128 v[14:17], v7 offset:2048
	;; [unrolled: 1-line block ×3, first 2 shown]
	global_load_dwordx4 v[46:49], v[34:35], off
	v_or_b32_e32 v41, 0x80, v39
	v_or_b32_e32 v51, 0xc0, v39
	s_waitcnt vmcnt(4)
	v_mad_i64_i32 v[36:37], s[8:9], v22, s45, v[4:5]
	s_waitcnt vmcnt(3)
	v_mad_i64_i32 v[4:5], s[8:9], v23, s45, v[4:5]
	v_add_u32_e32 v42, s13, v41
	v_add_u32_e32 v43, s13, v51
	v_lshl_add_u64 v[4:5], v[4:5], 0, v[24:25]
	v_ashrrev_i32_e32 v24, 5, v42
	v_ashrrev_i32_e32 v25, 5, v43
	global_load_dwordx4 v[42:45], v[34:35], off offset:2048
	v_or_b32_e32 v40, 64, v39
	v_add_u32_e32 v22, s13, v39
	v_mov_b32_e32 v38, s19
	v_add_u32_e32 v23, s13, v40
	v_ashrrev_i32_e32 v22, 5, v22
	v_cmp_gt_i32_e32 vcc, s5, v39
	v_ashrrev_i32_e32 v23, 5, v23
	v_lshl_add_u64 v[2:3], v[36:37], 0, v[2:3]
	v_cndmask_b32_e32 v50, v38, v22, vcc
	v_cmp_gt_i32_e32 vcc, s5, v40
	v_lshl_add_u64 v[2:3], v[2:3], 0, v[58:59]
	v_lshl_add_u64 v[36:37], v[4:5], 0, v[58:59]
	v_cndmask_b32_e32 v52, v38, v23, vcc
	v_cmp_gt_i32_e32 vcc, s5, v41
	v_ashrrev_i32_e32 v53, 31, v52
	v_lshl_add_u64 v[52:53], v[52:53], 2, s[6:7]
	v_cndmask_b32_e32 v62, v38, v24, vcc
	v_cmp_gt_i32_e32 vcc, s5, v51
	v_ashrrev_i32_e32 v51, 31, v50
	v_ashrrev_i32_e32 v63, 31, v62
	v_cndmask_b32_e32 v64, v38, v25, vcc
	global_load_dwordx4 v[22:25], v[2:3], off
	s_nop 0
	global_load_dwordx4 v[2:5], v[2:3], off offset:2048
	s_nop 0
	global_load_dwordx4 v[38:41], v[36:37], off
	s_nop 0
	global_load_dwordx4 v[34:37], v[36:37], off offset:2048
	v_ashrrev_i32_e32 v65, 31, v64
	v_lshl_add_u64 v[50:51], v[50:51], 2, s[6:7]
	v_lshl_add_u64 v[66:67], v[62:63], 2, s[6:7]
	;; [unrolled: 1-line block ×3, first 2 shown]
	global_load_dword v65, v[50:51], off
	global_load_dword v63, v[52:53], off
	global_load_dword v55, v[66:67], off
	global_load_dword v62, v[68:69], off
	s_add_u32 s6, s10, s12
	s_addc_u32 s7, s11, 0
	v_and_b32_e32 v58, 16, v0
	v_lshl_or_b32 v64, v57, 4, v56
	s_load_dword s4, s[0:1], 0x1c
	s_mov_b32 s33, 0xff7fffff
	s_waitcnt vmcnt(11)
	v_cvt_pk_f32_fp8_e32 v[50:51], v10
	v_cvt_pk_f32_fp8_sdwa v[52:53], v10 src0_sel:WORD_1
	v_cvt_pk_f32_fp8_e32 v[66:67], v11
	v_cvt_pk_f32_fp8_sdwa v[10:11], v11 src0_sel:WORD_1
	v_cvt_pkrtz_f16_f32 v50, v50, v51
	v_cvt_pkrtz_f16_f32 v51, v52, v53
	v_cvt_pk_f32_fp8_e32 v[68:69], v12
	v_cvt_pk_f32_fp8_sdwa v[70:71], v12 src0_sel:WORD_1
	v_cvt_pkrtz_f16_f32 v66, v66, v67
	v_cvt_pkrtz_f16_f32 v67, v10, v11
	s_waitcnt lgkmcnt(0)
	v_mfma_f32_16x16x16_f16 v[50:53], v[50:51], v[26:27], 0
	v_cvt_pk_f32_fp8_e32 v[72:73], v13
	v_cvt_pk_f32_fp8_sdwa v[74:75], v13 src0_sel:WORD_1
	v_cvt_pkrtz_f16_f32 v68, v68, v69
	v_cvt_pkrtz_f16_f32 v69, v70, v71
	v_mfma_f32_16x16x16_f16 v[10:13], v[66:67], v[28:29], v[50:53]
	s_waitcnt vmcnt(10)
	v_cvt_pk_f32_fp8_sdwa v[66:67], v30 src0_sel:WORD_1
	s_waitcnt vmcnt(6)
	v_cvt_pk_f32_fp8_sdwa v[78:79], v5 src0_sel:WORD_1
	v_cvt_pkrtz_f16_f32 v50, v72, v73
	v_cvt_pk_f32_fp8_e32 v[52:53], v30
	v_cvt_pkrtz_f16_f32 v51, v74, v75
	v_mfma_f32_16x16x16_f16 v[10:13], v[68:69], v[18:19], v[10:13]
	v_cvt_pk_f32_fp8_sdwa v[68:69], v42 src0_sel:WORD_1
	v_cvt_pkrtz_f16_f32 v52, v52, v53
	v_cvt_pkrtz_f16_f32 v53, v66, v67
	v_cvt_pk_f32_fp8_e32 v[66:67], v31
	v_cvt_pk_f32_fp8_sdwa v[30:31], v31 src0_sel:WORD_1
	v_mfma_f32_16x16x16_f16 v[10:13], v[50:51], v[20:21], v[10:13]
	v_cvt_pk_f32_fp8_e32 v[72:73], v3
	v_cvt_pkrtz_f16_f32 v50, v66, v67
	v_cvt_pkrtz_f16_f32 v51, v30, v31
	v_mfma_f32_16x16x16_f16 v[10:13], v[52:53], v[14:15], v[10:13]
	v_cvt_pk_f32_fp8_e32 v[30:31], v32
	v_cvt_pk_f32_fp8_sdwa v[52:53], v32 src0_sel:WORD_1
	v_cvt_pk_f32_fp8_sdwa v[66:67], v46 src0_sel:WORD_1
	v_mfma_f32_16x16x16_f16 v[10:13], v[50:51], v[16:17], v[10:13]
	v_cvt_pkrtz_f16_f32 v30, v30, v31
	v_cvt_pkrtz_f16_f32 v31, v52, v53
	v_cvt_pk_f32_fp8_e32 v[50:51], v33
	v_cvt_pk_f32_fp8_sdwa v[32:33], v33 src0_sel:WORD_1
	v_cvt_pk_f32_fp8_e32 v[52:53], v46
	v_mfma_f32_16x16x16_f16 v[10:13], v[30:31], v[6:7], v[10:13]
	v_cvt_pkrtz_f16_f32 v50, v50, v51
	v_cvt_pkrtz_f16_f32 v51, v32, v33
	;; [unrolled: 1-line block ×4, first 2 shown]
	v_cvt_pk_f32_fp8_e32 v[32:33], v47
	v_cvt_pk_f32_fp8_sdwa v[46:47], v47 src0_sel:WORD_1
	v_mfma_f32_16x16x16_f16 v[50:53], v[50:51], v[8:9], v[10:13]
	v_cvt_pk_f32_fp8_sdwa v[66:67], v48 src0_sel:WORD_1
	v_cvt_pkrtz_f16_f32 v32, v32, v33
	v_cvt_pkrtz_f16_f32 v33, v46, v47
	v_mfma_f32_16x16x16_f16 v[10:13], v[30:31], v[26:27], 0
	v_cvt_pk_f32_fp8_e32 v[30:31], v48
	v_lshl_add_u64 v[46:47], s[6:7], 0, v[58:59]
	v_lshlrev_b32_e32 v58, 5, v64
	v_mfma_f32_16x16x16_f16 v[10:13], v[32:33], v[28:29], v[10:13]
	v_cvt_pk_f32_fp8_e32 v[32:33], v49
	v_cvt_pkrtz_f16_f32 v30, v30, v31
	v_cvt_pkrtz_f16_f32 v31, v66, v67
	v_cvt_pk_f32_fp8_sdwa v[48:49], v49 src0_sel:WORD_1
	v_cvt_pkrtz_f16_f32 v32, v32, v33
	v_cvt_pk_f32_fp8_e32 v[66:67], v42
	v_mfma_f32_16x16x16_f16 v[10:13], v[30:31], v[18:19], v[10:13]
	v_cvt_pkrtz_f16_f32 v33, v48, v49
	v_cvt_pkrtz_f16_f32 v30, v66, v67
	;; [unrolled: 1-line block ×3, first 2 shown]
	v_cvt_pk_f32_fp8_e32 v[48:49], v43
	v_cvt_pk_f32_fp8_sdwa v[42:43], v43 src0_sel:WORD_1
	v_mfma_f32_16x16x16_f16 v[10:13], v[32:33], v[20:21], v[10:13]
	v_lshl_add_u64 v[66:67], v[46:47], 0, v[58:59]
	v_cvt_pkrtz_f16_f32 v32, v48, v49
	v_cvt_pkrtz_f16_f32 v33, v42, v43
	v_mfma_f32_16x16x16_f16 v[10:13], v[30:31], v[14:15], v[10:13]
	v_cvt_pk_f32_fp8_e32 v[30:31], v44
	v_cvt_pk_f32_fp8_sdwa v[42:43], v44 src0_sel:WORD_1
	v_cvt_pk_f32_fp8_sdwa v[48:49], v22 src0_sel:WORD_1
	v_mfma_f32_16x16x16_f16 v[10:13], v[32:33], v[16:17], v[10:13]
	v_cvt_pkrtz_f16_f32 v30, v30, v31
	v_cvt_pkrtz_f16_f32 v31, v42, v43
	v_cvt_pk_f32_fp8_e32 v[32:33], v45
	v_cvt_pk_f32_fp8_sdwa v[42:43], v45 src0_sel:WORD_1
	v_cvt_pk_f32_fp8_e32 v[44:45], v22
	v_mfma_f32_16x16x16_f16 v[10:13], v[30:31], v[6:7], v[10:13]
	v_cvt_pkrtz_f16_f32 v32, v32, v33
	v_cvt_pkrtz_f16_f32 v33, v42, v43
	v_cvt_pkrtz_f16_f32 v30, v44, v45
	v_cvt_pkrtz_f16_f32 v31, v48, v49
	v_cvt_pk_f32_fp8_e32 v[48:49], v23
	v_cvt_pk_f32_fp8_sdwa v[22:23], v23 src0_sel:WORD_1
	v_mfma_f32_16x16x16_f16 v[42:45], v[32:33], v[8:9], v[10:13]
	s_waitcnt vmcnt(2)
	v_mad_i64_i32 v[68:69], s[6:7], v63, s45, v[66:67]
	v_cvt_pkrtz_f16_f32 v32, v48, v49
	v_cvt_pkrtz_f16_f32 v33, v22, v23
	v_mfma_f32_16x16x16_f16 v[10:13], v[30:31], v[26:27], 0
	v_cvt_pk_f32_fp8_e32 v[22:23], v24
	v_cvt_pk_f32_fp8_sdwa v[30:31], v24 src0_sel:WORD_1
	v_mad_i64_i32 v[48:49], s[6:7], v65, s45, v[66:67]
	v_cvt_pkrtz_f16_f32 v22, v22, v23
	v_cvt_pkrtz_f16_f32 v23, v30, v31
	v_cvt_pk_f32_fp8_e32 v[30:31], v25
	v_cvt_pk_f32_fp8_sdwa v[24:25], v25 src0_sel:WORD_1
	v_mfma_f32_16x16x16_f16 v[10:13], v[32:33], v[28:29], v[10:13]
	s_waitcnt vmcnt(0)
	v_mad_i64_i32 v[74:75], s[6:7], v62, s45, v[66:67]
	v_cvt_pkrtz_f16_f32 v70, v30, v31
	v_cvt_pkrtz_f16_f32 v71, v24, v25
	v_mfma_f32_16x16x16_f16 v[10:13], v[22:23], v[18:19], v[10:13]
	global_load_dwordx4 v[30:33], v[48:49], off
	global_load_dwordx4 v[22:25], v[68:69], off
	v_cvt_pk_f32_fp8_e32 v[68:69], v2
	v_mad_i64_i32 v[48:49], s[6:7], v55, s45, v[66:67]
	v_mfma_f32_16x16x16_f16 v[10:13], v[70:71], v[20:21], v[10:13]
	v_cvt_pk_f32_fp8_sdwa v[70:71], v2 src0_sel:WORD_1
	v_cvt_pk_f32_fp8_sdwa v[2:3], v3 src0_sel:WORD_1
	v_cvt_pkrtz_f16_f32 v68, v68, v69
	v_or_b32_e32 v58, 0x800, v58
	v_cvt_pkrtz_f16_f32 v69, v70, v71
	v_cvt_pkrtz_f16_f32 v70, v72, v73
	v_cvt_pkrtz_f16_f32 v71, v2, v3
	v_cvt_pk_f32_fp8_e32 v[2:3], v4
	v_cvt_pk_f32_fp8_sdwa v[72:73], v4 src0_sel:WORD_1
	v_mfma_f32_16x16x16_f16 v[66:69], v[68:69], v[14:15], v[10:13]
	v_lshl_add_u64 v[46:47], v[46:47], 0, v[58:59]
	v_cvt_pkrtz_f16_f32 v76, v2, v3
	v_cvt_pkrtz_f16_f32 v77, v72, v73
	v_cvt_pk_f32_fp8_e32 v[72:73], v5
	v_mfma_f32_16x16x16_f16 v[66:69], v[70:71], v[16:17], v[66:69]
	global_load_dwordx4 v[10:13], v[48:49], off
	global_load_dwordx4 v[2:5], v[74:75], off
	v_cvt_pkrtz_f16_f32 v49, v78, v79
	v_cvt_pkrtz_f16_f32 v48, v72, v73
	v_mfma_f32_16x16x16_f16 v[66:69], v[76:77], v[6:7], v[66:69]
	v_cvt_pk_f32_fp8_e32 v[58:59], v38
	v_cvt_pk_f32_fp8_sdwa v[70:71], v38 src0_sel:WORD_1
	v_cvt_pk_f32_fp8_e32 v[74:75], v40
	v_mfma_f32_16x16x16_f16 v[66:69], v[48:49], v[8:9], v[66:69]
	v_cvt_pk_f32_fp8_e32 v[48:49], v39
	v_cvt_pkrtz_f16_f32 v58, v58, v59
	v_cvt_pkrtz_f16_f32 v59, v70, v71
	v_cvt_pk_f32_fp8_sdwa v[38:39], v39 src0_sel:WORD_1
	v_cvt_pkrtz_f16_f32 v48, v48, v49
	v_cvt_pk_f32_fp8_sdwa v[76:77], v40 src0_sel:WORD_1
	v_mfma_f32_16x16x16_f16 v[70:73], v[58:59], v[26:27], 0
	v_cvt_pkrtz_f16_f32 v49, v38, v39
	v_cvt_pkrtz_f16_f32 v38, v74, v75
	;; [unrolled: 1-line block ×3, first 2 shown]
	v_cvt_pk_f32_fp8_e32 v[58:59], v41
	v_cvt_pk_f32_fp8_sdwa v[40:41], v41 src0_sel:WORD_1
	v_mfma_f32_16x16x16_f16 v[26:29], v[48:49], v[28:29], v[70:73]
	s_load_dword s6, s[40:41], 0x0
	v_cvt_pkrtz_f16_f32 v48, v58, v59
	v_cvt_pkrtz_f16_f32 v49, v40, v41
	v_mfma_f32_16x16x16_f16 v[26:29], v[38:39], v[18:19], v[26:29]
	v_mov_b32_e32 v70, s4
	s_waitcnt lgkmcnt(0)
	v_mul_f32_e32 v40, s6, v70
	v_pk_mul_f32 v[38:39], v[40:41], v[52:53] op_sel_hi:[0,1]
	v_mfma_f32_16x16x16_f16 v[18:21], v[48:49], v[20:21], v[26:29]
	v_cvt_pk_f32_fp8_e32 v[48:49], v35
	v_pk_mul_f32 v[50:51], v[40:41], v[50:51] op_sel_hi:[0,1]
	v_pk_mul_f32 v[52:53], v[40:41], v[42:43] op_sel_hi:[0,1]
	v_cvt_pk_f32_fp8_e32 v[26:27], v34
	v_cvt_pk_f32_fp8_sdwa v[28:29], v34 src0_sel:WORD_1
	v_cvt_pk_f32_fp8_sdwa v[34:35], v35 src0_sel:WORD_1
	v_pk_mul_f32 v[42:43], v[40:41], v[66:67] op_sel_hi:[0,1]
	v_cvt_pkrtz_f16_f32 v26, v26, v27
	v_cvt_pkrtz_f16_f32 v27, v28, v29
	v_cvt_pkrtz_f16_f32 v28, v48, v49
	v_cvt_pkrtz_f16_f32 v29, v34, v35
	v_cvt_pk_f32_fp8_e32 v[34:35], v36
	v_cvt_pk_f32_fp8_sdwa v[48:49], v36 src0_sel:WORD_1
	v_mfma_f32_16x16x16_f16 v[18:21], v[26:27], v[14:15], v[18:21]
	v_mad_i64_i32 v[58:59], s[6:7], v65, s45, v[46:47]
	v_cvt_pkrtz_f16_f32 v26, v34, v35
	v_cvt_pkrtz_f16_f32 v27, v48, v49
	v_cvt_pk_f32_fp8_e32 v[34:35], v37
	v_cvt_pk_f32_fp8_sdwa v[36:37], v37 src0_sel:WORD_1
	v_mfma_f32_16x16x16_f16 v[14:17], v[28:29], v[16:17], v[18:21]
	v_pk_mul_f32 v[48:49], v[40:41], v[44:45] op_sel_hi:[0,1]
	v_pk_mul_f32 v[44:45], v[40:41], v[68:69] op_sel_hi:[0,1]
	s_nop 0
	v_cvt_pkrtz_f16_f32 v18, v34, v35
	v_cvt_pkrtz_f16_f32 v19, v36, v37
	v_mfma_f32_16x16x16_f16 v[14:17], v[26:27], v[6:7], v[14:17]
	s_nop 0
	v_mfma_f32_16x16x16_f16 v[6:9], v[18:19], v[8:9], v[14:17]
	s_nop 6
	v_pk_mul_f32 v[34:35], v[40:41], v[8:9] op_sel_hi:[0,1]
	v_pk_mul_f32 v[40:41], v[40:41], v[6:7] op_sel_hi:[0,1]
	v_and_b32_e32 v6, 0xc0, v0
	v_add_u32_e32 v6, s18, v6
	v_lshl_or_b32 v6, v60, 2, v6
	v_or_b32_e32 v9, 1, v6
	v_mov_b32_e32 v7, 0xff7fffff
	v_cmp_gt_i32_e64 s[24:25], s5, v6
	v_cmp_gt_i32_e64 s[26:27], s5, v9
	v_or_b32_e32 v14, 3, v6
	v_cndmask_b32_e64 v8, v7, v50, s[24:25]
	v_cndmask_b32_e64 v9, v7, v51, s[26:27]
	v_max3_f32 v8, v8, s33, v9
	v_or_b32_e32 v9, 2, v6
	v_cmp_gt_i32_e64 s[28:29], s5, v9
	v_cmp_gt_i32_e64 s[30:31], s5, v14
	s_nop 0
	v_cndmask_b32_e64 v9, v7, v38, s[28:29]
	v_cndmask_b32_e64 v14, v7, v39, s[30:31]
	v_max3_f32 v8, v8, v9, v14
	v_or_b32_e32 v9, 16, v6
	v_or_b32_e32 v14, 17, v6
	v_cmp_gt_i32_e64 s[34:35], s5, v9
	v_cmp_gt_i32_e64 s[36:37], s5, v14
	s_nop 0
	v_cndmask_b32_e64 v9, v7, v52, s[34:35]
	v_cndmask_b32_e64 v14, v7, v53, s[36:37]
	v_max3_f32 v8, v8, v9, v14
	v_or_b32_e32 v9, 18, v6
	v_or_b32_e32 v14, 19, v6
	v_cmp_gt_i32_e64 s[18:19], s5, v9
	v_cmp_gt_i32_e64 s[20:21], s5, v14
	s_nop 0
	v_cndmask_b32_e64 v9, v7, v48, s[18:19]
	v_cndmask_b32_e64 v14, v7, v49, s[20:21]
	v_max3_f32 v8, v8, v9, v14
	v_or_b32_e32 v9, 32, v6
	v_or_b32_e32 v14, 33, v6
	v_cmp_gt_i32_e64 s[14:15], s5, v9
	v_cmp_gt_i32_e64 s[16:17], s5, v14
	s_nop 0
	v_cndmask_b32_e64 v9, v7, v42, s[14:15]
	v_cndmask_b32_e64 v14, v7, v43, s[16:17]
	v_max3_f32 v8, v8, v9, v14
	v_or_b32_e32 v9, 34, v6
	v_or_b32_e32 v14, 35, v6
	v_cmp_gt_i32_e64 s[10:11], s5, v9
	v_cmp_gt_i32_e64 s[12:13], s5, v14
	s_nop 0
	v_cndmask_b32_e64 v9, v7, v44, s[10:11]
	v_cndmask_b32_e64 v14, v7, v45, s[12:13]
	v_max3_f32 v8, v8, v9, v14
	v_or_b32_e32 v9, 48, v6
	v_or_b32_e32 v14, 49, v6
	v_cmp_gt_i32_e64 s[6:7], s5, v9
	v_cmp_gt_i32_e64 s[8:9], s5, v14
	s_nop 0
	v_cndmask_b32_e64 v9, v7, v40, s[6:7]
	v_cndmask_b32_e64 v14, v7, v41, s[8:9]
	v_max3_f32 v8, v8, v9, v14
	v_or_b32_e32 v9, 50, v6
	v_or_b32_e32 v6, 51, v6
	v_cmp_gt_i32_e32 vcc, s5, v9
	v_cmp_gt_i32_e64 s[4:5], s5, v6
	s_nop 0
	v_cndmask_b32_e32 v9, v7, v34, vcc
	v_cndmask_b32_e64 v6, v7, v35, s[4:5]
	v_max3_f32 v8, v8, v9, v6
	v_mbcnt_lo_u32_b32 v6, -1, 0
	v_mbcnt_hi_u32_b32 v9, -1, v6
	v_and_b32_e32 v6, 64, v9
	v_add_u32_e32 v14, 64, v6
	v_xor_b32_e32 v6, 32, v9
	v_cmp_lt_i32_e64 s[38:39], v6, v14
	s_nop 1
	v_cndmask_b32_e64 v6, v9, v6, s[38:39]
	v_lshlrev_b32_e32 v65, 2, v6
	ds_bpermute_b32 v15, v65, v8
	v_mad_i64_i32 v[6:7], s[38:39], v63, s45, v[46:47]
	global_load_dwordx4 v[26:29], v[58:59], off
	global_load_dwordx4 v[18:21], v[6:7], off
	s_waitcnt lgkmcnt(0)
	v_max_f32_e32 v6, v15, v15
	v_max_f32_e32 v15, v8, v6
	v_xor_b32_e32 v6, 16, v9
	v_cmp_lt_i32_e64 s[38:39], v6, v14
	s_nop 1
	v_cndmask_b32_e64 v6, v9, v6, s[38:39]
	v_lshlrev_b32_e32 v58, 2, v6
	ds_bpermute_b32 v14, v58, v15
	v_mad_i64_i32 v[6:7], s[38:39], v55, s45, v[46:47]
	v_mad_i64_i32 v[8:9], s[38:39], v62, s45, v[46:47]
	s_waitcnt lgkmcnt(0)
	v_max_f32_e32 v14, v14, v14
	v_max_f32_e32 v55, v15, v14
	v_sub_f32_e32 v14, v50, v55
	v_mul_f32_e32 v14, 0x3fb8aa3b, v14
	v_exp_f32_e32 v36, v14
	v_sub_f32_e32 v14, v51, v55
	v_mul_f32_e32 v14, 0x3fb8aa3b, v14
	v_exp_f32_e32 v37, v14
	global_load_dwordx4 v[14:17], v[6:7], off
	s_nop 0
	global_load_dwordx4 v[6:9], v[8:9], off
	v_sub_f32_e32 v38, v38, v55
	v_mul_f32_e32 v38, 0x3fb8aa3b, v38
	v_sub_f32_e32 v39, v39, v55
	v_exp_f32_e32 v38, v38
	v_mul_f32_e32 v39, 0x3fb8aa3b, v39
	v_exp_f32_e32 v39, v39
	v_cndmask_b32_e64 v36, 0, v36, s[24:25]
	v_add_f32_e32 v46, 0, v36
	v_cndmask_b32_e64 v37, 0, v37, s[26:27]
	v_add_f32_e32 v47, v46, v37
	;; [unrolled: 2-line block ×3, first 2 shown]
	v_cndmask_b32_e64 v47, 0, v39, s[30:31]
	v_sub_f32_e32 v39, v52, v55
	v_mul_f32_e32 v39, 0x3fb8aa3b, v39
	v_sub_f32_e32 v50, v53, v55
	v_exp_f32_e32 v39, v39
	v_mul_f32_e32 v50, 0x3fb8aa3b, v50
	v_sub_f32_e32 v48, v48, v55
	v_exp_f32_e32 v50, v50
	;; [unrolled: 3-line block ×4, first 2 shown]
	v_mul_f32_e32 v42, 0x3fb8aa3b, v42
	v_sub_f32_e32 v43, v43, v55
	v_add_f32_e32 v51, v38, v47
	v_cndmask_b32_e64 v38, 0, v39, s[34:35]
	v_exp_f32_e32 v42, v42
	v_mul_f32_e32 v43, 0x3fb8aa3b, v43
	v_sub_f32_e32 v44, v44, v55
	v_add_f32_e32 v51, v51, v38
	v_cndmask_b32_e64 v39, 0, v50, s[36:37]
	v_exp_f32_e32 v43, v43
	;; [unrolled: 5-line block ×7, first 2 shown]
	v_mul_f32_e32 v35, 0x3fb8aa3b, v35
	v_add_f32_e32 v50, v50, v44
	v_cndmask_b32_e64 v45, 0, v45, s[12:13]
	v_exp_f32_e32 v35, v35
	v_add_f32_e32 v50, v50, v45
	v_cndmask_b32_e64 v40, 0, v40, s[6:7]
	v_add_f32_e32 v50, v50, v40
	v_cndmask_b32_e64 v41, 0, v41, s[8:9]
	v_add_f32_e32 v50, v50, v41
	v_cndmask_b32_e32 v34, 0, v34, vcc
	v_add_f32_e32 v50, v50, v34
	v_cndmask_b32_e64 v35, 0, v35, s[4:5]
	v_add_f32_e32 v50, v50, v35
	ds_bpermute_b32 v51, v65, v50
	v_cmp_gt_u32_e64 s[4:5], 16, v61
	s_waitcnt lgkmcnt(0)
	s_barrier
	v_add_f32_e32 v50, v50, v51
	ds_bpermute_b32 v51, v58, v50
	s_and_saveexec_b64 s[6:7], s[4:5]
	s_cbranch_execz .LBB1080_13
; %bb.12:
	s_waitcnt lgkmcnt(0)
	v_add_f32_e32 v50, v50, v51
	v_lshlrev_b32_e32 v51, 2, v64
	ds_write2st64_b32 v51, v55, v50 offset1:1
.LBB1080_13:
	s_or_b64 exec, exec, s[6:7]
	s_waitcnt lgkmcnt(0)
	v_lshlrev_b32_e32 v51, 2, v56
	s_load_dword s8, s[0:1], 0x94
	s_waitcnt lgkmcnt(0)
	s_barrier
	ds_read2_b32 v[52:53], v51 offset1:16
	ds_read2_b32 v[58:59], v51 offset0:32 offset1:48
	ds_read2_b32 v[62:63], v51 offset0:64 offset1:80
	s_mul_i32 s9, s23, 13
	s_waitcnt lgkmcnt(2)
	v_max3_f32 v50, v52, s33, v53
	s_waitcnt lgkmcnt(1)
	v_max3_f32 v50, v50, v58, v59
	v_sub_f32_e32 v52, v52, v50
	v_mul_f32_e32 v52, 0x3fb8aa3b, v52
	v_exp_f32_e32 v55, v52
	v_sub_f32_e32 v52, v53, v50
	v_mul_f32_e32 v52, 0x3fb8aa3b, v52
	v_exp_f32_e32 v61, v52
	;; [unrolled: 3-line block ×3, first 2 shown]
	ds_read2_b32 v[52:53], v51 offset0:96 offset1:112
	v_sub_f32_e32 v51, v59, v50
	v_mul_f32_e32 v51, 0x3fb8aa3b, v51
	v_exp_f32_e32 v59, v51
	s_waitcnt lgkmcnt(1)
	v_fma_f32 v51, v55, v62, 0
	v_fmac_f32_e32 v51, v61, v63
	s_waitcnt lgkmcnt(0)
	v_fmac_f32_e32 v51, v58, v52
	v_fmac_f32_e32 v51, v59, v53
	v_add_f32_e32 v52, 0x358637bd, v51
	v_div_scale_f32 v53, s[6:7], v52, v52, 1.0
	v_rcp_f32_e32 v62, v53
	s_barrier
	v_fma_f32 v63, -v53, v62, 1.0
	v_fmac_f32_e32 v62, v63, v62
	v_div_scale_f32 v63, vcc, 1.0, v52, 1.0
	v_mul_f32_e32 v64, v63, v62
	v_fma_f32 v65, -v53, v64, v63
	v_fmac_f32_e32 v64, v65, v62
	v_fma_f32 v53, -v53, v64, v63
	v_div_fmas_f32 v53, v53, v62, v64
	v_cmp_eq_u32_e32 vcc, 1, v57
	v_div_fixup_f32 v52, v53, v52, 1.0
	s_nop 0
	v_cndmask_b32_e32 v53, v55, v61, vcc
	v_cmp_eq_u32_e32 vcc, 2, v57
	s_nop 1
	v_cndmask_b32_e32 v53, v53, v58, vcc
	v_cmp_eq_u32_e32 vcc, 3, v57
	s_nop 1
	v_cndmask_b32_e32 v53, v53, v59, vcc
	v_mul_f32_e32 v52, v53, v52
	v_pk_mul_f32 v[46:47], v[52:53], v[46:47] op_sel_hi:[0,1]
	v_pk_mul_f32 v[36:37], v[52:53], v[36:37] op_sel_hi:[0,1]
	v_cvt_f16_f32_e32 v53, v46
	v_cvt_f16_f32_e32 v36, v36
	;; [unrolled: 1-line block ×4, first 2 shown]
	v_pk_mul_f32 v[48:49], v[52:53], v[48:49] op_sel_hi:[0,1]
	v_pk_mul_f32 v[38:39], v[52:53], v[38:39] op_sel_hi:[0,1]
	v_cvt_f16_f32_e32 v38, v38
	v_cvt_f16_f32_e32 v39, v39
	;; [unrolled: 1-line block ×4, first 2 shown]
	v_pack_b32_f16 v46, v36, v37
	v_pack_b32_f16 v47, v53, v47
	v_lshlrev_b32_e32 v37, 3, v60
	v_lshlrev_b32_e32 v36, 5, v56
	;; [unrolled: 1-line block ×3, first 2 shown]
	v_or3_b32 v55, v53, v36, v37
	v_pack_b32_f16 v38, v38, v39
	v_pack_b32_f16 v39, v48, v49
	ds_write2st64_b64 v55, v[46:47], v[38:39] offset1:1
	v_pk_mul_f32 v[38:39], v[52:53], v[44:45] op_sel_hi:[0,1]
	v_pk_mul_f32 v[42:43], v[52:53], v[42:43] op_sel_hi:[0,1]
	v_cvt_f16_f32_e32 v37, v42
	v_cvt_f16_f32_e32 v42, v43
	;; [unrolled: 1-line block ×4, first 2 shown]
	v_pk_mul_f32 v[34:35], v[52:53], v[34:35] op_sel_hi:[0,1]
	v_pk_mul_f32 v[38:39], v[52:53], v[40:41] op_sel_hi:[0,1]
	v_cvt_f16_f32_e32 v38, v38
	v_cvt_f16_f32_e32 v39, v39
	;; [unrolled: 1-line block ×4, first 2 shown]
	v_pack_b32_f16 v34, v37, v42
	v_pack_b32_f16 v35, v43, v44
	;; [unrolled: 1-line block ×4, first 2 shown]
	v_cmp_gt_u32_e32 vcc, 13, v0
	ds_write2st64_b64 v55, v[34:35], v[38:39] offset0:2 offset1:3
	s_and_saveexec_b64 s[6:7], vcc
	s_cbranch_execz .LBB1080_15
; %bb.14:
	s_mov_b32 s49, 0
	v_mov_b32_e32 v57, 0
	v_lshl_add_u64 v[34:35], s[48:49], 0, v[56:57]
	v_mov_b32_e32 v37, s9
	v_mad_u64_u32 v[34:35], s[10:11], s2, v37, v[34:35]
	s_mul_i32 s3, s3, s9
	v_mov_b32_e32 v38, s22
	v_mov_b32_e32 v39, v57
	s_load_dwordx4 s[12:15], s[0:1], 0x58
	v_add_u32_e32 v37, s3, v35
	v_mad_u64_u32 v[34:35], s[10:11], v34, s8, v[38:39]
	v_mov_b32_e32 v38, v35
	v_mad_u64_u32 v[38:39], s[10:11], v37, s8, v[38:39]
	v_mov_b32_e32 v35, v38
	v_lshlrev_b64 v[34:35], 2, v[34:35]
	s_waitcnt lgkmcnt(0)
	v_lshl_add_u64 v[38:39], s[14:15], 0, v[34:35]
	v_lshl_add_u64 v[34:35], s[12:13], 0, v[34:35]
	global_store_dword v[38:39], v50, off
	global_store_dword v[34:35], v51, off
.LBB1080_15:
	s_or_b64 exec, exec, s[6:7]
	s_waitcnt vmcnt(7)
	v_cvt_pk_f32_fp8_e32 v[34:35], v30
	v_lshl_or_b32 v50, v60, 9, v36
	v_cvt_pk_f32_fp8_sdwa v[36:37], v30 src0_sel:WORD_1
	s_waitcnt lgkmcnt(0)
	s_barrier
	v_cvt_pk_f32_fp8_e32 v[38:39], v31
	v_cvt_pkrtz_f16_f32 v30, v34, v35
	v_cvt_pk_f32_fp8_sdwa v[40:41], v31 src0_sel:WORD_1
	v_cvt_pkrtz_f16_f32 v31, v36, v37
	ds_read_b128 v[34:37], v50
	v_cvt_pkrtz_f16_f32 v46, v38, v39
	v_cvt_pkrtz_f16_f32 v47, v40, v41
	ds_read_b128 v[38:41], v50 offset:16
	v_cvt_pk_f32_fp8_e32 v[48:49], v32
	v_cvt_pk_f32_fp8_sdwa v[52:53], v32 src0_sel:WORD_1
	s_waitcnt lgkmcnt(1)
	v_mfma_f32_16x16x16_f16 v[42:45], v[30:31], v[34:35], 0
	s_waitcnt vmcnt(6)
	v_cvt_pk_f32_fp8_e32 v[58:59], v24
	v_cvt_pkrtz_f16_f32 v30, v48, v49
	v_cvt_pkrtz_f16_f32 v31, v52, v53
	v_cvt_pk_f32_fp8_e32 v[48:49], v33
	v_mfma_f32_16x16x16_f16 v[42:45], v[46:47], v[36:37], v[42:45]
	v_cvt_pk_f32_fp8_sdwa v[46:47], v33 src0_sel:WORD_1
	v_cvt_pk_f32_fp8_sdwa v[62:63], v24 src0_sel:WORD_1
	v_cvt_pkrtz_f16_f32 v48, v48, v49
	s_waitcnt lgkmcnt(0)
	v_mfma_f32_16x16x16_f16 v[30:33], v[30:31], v[38:39], v[42:45]
	v_cvt_pkrtz_f16_f32 v49, v46, v47
	s_waitcnt vmcnt(5)
	v_cvt_pk_f32_fp8_sdwa v[66:67], v12 src0_sel:WORD_1
	s_waitcnt vmcnt(4)
	v_cvt_pk_f32_fp8_sdwa v[68:69], v4 src0_sel:WORD_1
	v_cvt_pk_f32_fp8_e32 v[42:43], v22
	v_mfma_f32_16x16x16_f16 v[46:49], v[48:49], v[40:41], v[30:33]
	s_waitcnt vmcnt(3)
	v_cvt_pk_f32_fp8_sdwa v[70:71], v28 src0_sel:WORD_1
	s_load_dword s6, s[42:43], 0x0
	v_cvt_pk_f32_fp8_sdwa v[30:31], v22 src0_sel:WORD_1
	v_cvt_pk_f32_fp8_e32 v[32:33], v23
	v_cvt_pkrtz_f16_f32 v22, v42, v43
	v_cvt_pk_f32_fp8_sdwa v[42:43], v23 src0_sel:WORD_1
	v_cvt_pkrtz_f16_f32 v23, v30, v31
	v_cvt_pkrtz_f16_f32 v52, v32, v33
	ds_read_b128 v[30:33], v50 offset:2048
	v_cvt_pkrtz_f16_f32 v53, v42, v43
	ds_read_b128 v[42:45], v50 offset:2064
	s_waitcnt lgkmcnt(0)
	v_mfma_f32_16x16x16_f16 v[46:49], v[22:23], v[30:31], v[46:49]
	v_cvt_pkrtz_f16_f32 v22, v58, v59
	v_cvt_pkrtz_f16_f32 v23, v62, v63
	v_cvt_pk_f32_fp8_e32 v[58:59], v25
	v_mfma_f32_16x16x16_f16 v[46:49], v[52:53], v[32:33], v[46:49]
	v_cvt_pk_f32_fp8_sdwa v[52:53], v25 src0_sel:WORD_1
	s_mov_b32 s3, 0
	v_cvt_pkrtz_f16_f32 v58, v58, v59
	v_mfma_f32_16x16x16_f16 v[22:25], v[22:23], v[42:43], v[46:49]
	v_cvt_pkrtz_f16_f32 v59, v52, v53
	v_cmp_gt_u32_e32 vcc, 64, v0
	s_nop 0
	v_cvt_pk_f32_fp8_e32 v[46:47], v10
	v_mfma_f32_16x16x16_f16 v[62:65], v[58:59], v[44:45], v[22:25]
	v_cvt_pk_f32_fp8_e32 v[58:59], v12
	s_nop 1
	v_cvt_pk_f32_fp8_sdwa v[22:23], v10 src0_sel:WORD_1
	v_cvt_pk_f32_fp8_e32 v[24:25], v11
	v_cvt_pkrtz_f16_f32 v10, v46, v47
	v_cvt_pk_f32_fp8_sdwa v[46:47], v11 src0_sel:WORD_1
	v_cvt_pkrtz_f16_f32 v11, v22, v23
	v_cvt_pkrtz_f16_f32 v52, v24, v25
	ds_read_b128 v[22:25], v50 offset:4096
	v_cvt_pkrtz_f16_f32 v53, v46, v47
	ds_read_b128 v[46:49], v50 offset:4112
	s_waitcnt lgkmcnt(1)
	v_mfma_f32_16x16x16_f16 v[62:65], v[10:11], v[22:23], v[62:65]
	v_cvt_pkrtz_f16_f32 v10, v58, v59
	v_cvt_pkrtz_f16_f32 v11, v66, v67
	v_cvt_pk_f32_fp8_e32 v[58:59], v13
	v_mfma_f32_16x16x16_f16 v[62:65], v[52:53], v[24:25], v[62:65]
	v_cvt_pk_f32_fp8_sdwa v[52:53], v13 src0_sel:WORD_1
	v_cvt_pk_f32_fp8_e32 v[66:67], v4
	v_cvt_pkrtz_f16_f32 v58, v58, v59
	s_waitcnt lgkmcnt(0)
	v_mfma_f32_16x16x16_f16 v[10:13], v[10:11], v[46:47], v[62:65]
	v_cvt_pkrtz_f16_f32 v59, v52, v53
	v_cvt_pk_f32_fp8_e32 v[52:53], v2
	s_nop 0
	v_mfma_f32_16x16x16_f16 v[62:65], v[58:59], v[48:49], v[10:13]
	s_nop 2
	v_cvt_pk_f32_fp8_sdwa v[10:11], v2 src0_sel:WORD_1
	v_cvt_pk_f32_fp8_e32 v[12:13], v3
	v_cvt_pkrtz_f16_f32 v2, v52, v53
	v_cvt_pk_f32_fp8_sdwa v[52:53], v3 src0_sel:WORD_1
	v_cvt_pkrtz_f16_f32 v3, v10, v11
	v_cvt_pkrtz_f16_f32 v58, v12, v13
	ds_read_b128 v[10:13], v50 offset:6144
	v_cvt_pkrtz_f16_f32 v59, v52, v53
	s_waitcnt lgkmcnt(0)
	v_mfma_f32_16x16x16_f16 v[62:65], v[2:3], v[10:11], v[62:65]
	ds_read_b128 v[50:53], v50 offset:6160
	v_cvt_pkrtz_f16_f32 v2, v66, v67
	v_cvt_pkrtz_f16_f32 v3, v68, v69
	v_cvt_pk_f32_fp8_e32 v[66:67], v5
	v_mfma_f32_16x16x16_f16 v[62:65], v[58:59], v[12:13], v[62:65]
	v_cvt_pk_f32_fp8_sdwa v[58:59], v5 src0_sel:WORD_1
	v_cvt_pk_f32_fp8_e32 v[68:69], v28
	v_cvt_pkrtz_f16_f32 v66, v66, v67
	s_waitcnt lgkmcnt(0)
	v_mfma_f32_16x16x16_f16 v[2:5], v[2:3], v[50:51], v[62:65]
	v_cvt_pkrtz_f16_f32 v67, v58, v59
	v_cvt_pk_f32_fp8_e32 v[58:59], v26
	s_nop 0
	v_cvt_pk_f32_fp8_sdwa v[62:63], v26 src0_sel:WORD_1
	v_cvt_pk_f32_fp8_e32 v[64:65], v27
	v_cvt_pkrtz_f16_f32 v58, v58, v59
	v_cvt_pk_f32_fp8_sdwa v[26:27], v27 src0_sel:WORD_1
	v_cvt_pkrtz_f16_f32 v59, v62, v63
	v_mfma_f32_16x16x16_f16 v[2:5], v[66:67], v[52:53], v[2:5]
	v_cvt_pkrtz_f16_f32 v66, v64, v65
	v_cvt_pkrtz_f16_f32 v67, v26, v27
	;; [unrolled: 1-line block ×3, first 2 shown]
	v_mfma_f32_16x16x16_f16 v[62:65], v[58:59], v[34:35], 0
	v_cvt_pkrtz_f16_f32 v27, v70, v71
	v_cvt_pk_f32_fp8_e32 v[58:59], v29
	s_barrier
	v_mfma_f32_16x16x16_f16 v[34:37], v[66:67], v[36:37], v[62:65]
	v_cvt_pkrtz_f16_f32 v58, v58, v59
	s_nop 1
	v_cvt_pk_f32_fp8_sdwa v[62:63], v29 src0_sel:WORD_1
	v_mfma_f32_16x16x16_f16 v[26:29], v[26:27], v[38:39], v[34:37]
	s_waitcnt vmcnt(2)
	v_cvt_pk_f32_fp8_e32 v[38:39], v19
	v_cvt_pkrtz_f16_f32 v59, v62, v63
	v_cvt_pk_f32_fp8_e32 v[34:35], v18
	v_cvt_pk_f32_fp8_sdwa v[36:37], v18 src0_sel:WORD_1
	v_cvt_pk_f32_fp8_sdwa v[18:19], v19 src0_sel:WORD_1
	v_mfma_f32_16x16x16_f16 v[26:29], v[58:59], v[40:41], v[26:29]
	v_cvt_pkrtz_f16_f32 v34, v34, v35
	v_cvt_pkrtz_f16_f32 v35, v36, v37
	;; [unrolled: 1-line block ×3, first 2 shown]
	v_cvt_pk_f32_fp8_e32 v[38:39], v20
	v_cvt_pk_f32_fp8_sdwa v[40:41], v20 src0_sel:WORD_1
	v_cvt_pkrtz_f16_f32 v37, v18, v19
	v_mfma_f32_16x16x16_f16 v[26:29], v[34:35], v[30:31], v[26:29]
	v_cvt_pkrtz_f16_f32 v30, v38, v39
	v_cvt_pkrtz_f16_f32 v31, v40, v41
	v_cvt_pk_f32_fp8_e32 v[34:35], v21
	v_cvt_pk_f32_fp8_sdwa v[38:39], v21 src0_sel:WORD_1
	v_mfma_f32_16x16x16_f16 v[18:21], v[36:37], v[32:33], v[26:29]
	s_waitcnt vmcnt(1)
	v_cvt_pk_f32_fp8_sdwa v[32:33], v16 src0_sel:WORD_1
	s_nop 0
	v_cvt_pkrtz_f16_f32 v26, v34, v35
	v_cvt_pkrtz_f16_f32 v27, v38, v39
	v_mfma_f32_16x16x16_f16 v[18:21], v[30:31], v[42:43], v[18:21]
	v_cvt_pk_f32_fp8_e32 v[28:29], v14
	v_cvt_pk_f32_fp8_sdwa v[30:31], v14 src0_sel:WORD_1
	v_cvt_pkrtz_f16_f32 v28, v28, v29
	v_mfma_f32_16x16x16_f16 v[18:21], v[26:27], v[44:45], v[18:21]
	v_cvt_pk_f32_fp8_e32 v[26:27], v15
	v_cvt_pkrtz_f16_f32 v29, v30, v31
	v_cvt_pk_f32_fp8_sdwa v[14:15], v15 src0_sel:WORD_1
	v_cvt_pk_f32_fp8_e32 v[30:31], v16
	v_cvt_pkrtz_f16_f32 v26, v26, v27
	v_mfma_f32_16x16x16_f16 v[18:21], v[28:29], v[22:23], v[18:21]
	v_cvt_pkrtz_f16_f32 v27, v14, v15
	v_cvt_pkrtz_f16_f32 v22, v30, v31
	;; [unrolled: 1-line block ×3, first 2 shown]
	v_cvt_pk_f32_fp8_e32 v[28:29], v17
	v_cvt_pk_f32_fp8_sdwa v[30:31], v17 src0_sel:WORD_1
	v_mfma_f32_16x16x16_f16 v[14:17], v[26:27], v[24:25], v[18:21]
	s_waitcnt vmcnt(0)
	v_cvt_pk_f32_fp8_sdwa v[24:25], v6 src0_sel:WORD_1
	s_nop 0
	v_pk_mul_f32 v[18:19], v[4:5], s[6:7] op_sel_hi:[1,0]
	v_cvt_pkrtz_f16_f32 v4, v28, v29
	v_cvt_pkrtz_f16_f32 v5, v30, v31
	v_mfma_f32_16x16x16_f16 v[14:17], v[22:23], v[46:47], v[14:17]
	v_cvt_pk_f32_fp8_e32 v[22:23], v6
	v_pk_mul_f32 v[20:21], v[2:3], s[6:7] op_sel_hi:[1,0]
	v_mfma_f32_16x16x16_f16 v[2:5], v[4:5], v[48:49], v[14:17]
	s_nop 3
	v_cvt_pk_f32_fp8_e32 v[14:15], v7
	v_cvt_pkrtz_f16_f32 v16, v22, v23
	v_cvt_pkrtz_f16_f32 v17, v24, v25
	v_cvt_pk_f32_fp8_sdwa v[6:7], v7 src0_sel:WORD_1
	v_cvt_pkrtz_f16_f32 v14, v14, v15
	v_cvt_pk_f32_fp8_e32 v[22:23], v8
	v_cvt_pk_f32_fp8_sdwa v[24:25], v8 src0_sel:WORD_1
	v_cvt_pkrtz_f16_f32 v15, v6, v7
	v_mfma_f32_16x16x16_f16 v[2:5], v[16:17], v[10:11], v[2:5]
	v_cvt_pkrtz_f16_f32 v6, v22, v23
	v_cvt_pkrtz_f16_f32 v7, v24, v25
	v_cvt_pk_f32_fp8_e32 v[10:11], v9
	v_cvt_pk_f32_fp8_sdwa v[8:9], v9 src0_sel:WORD_1
	v_mfma_f32_16x16x16_f16 v[2:5], v[14:15], v[12:13], v[2:5]
	v_cvt_f16_f32_e32 v12, v20
	v_cvt_pkrtz_f16_f32 v10, v10, v11
	v_cvt_pkrtz_f16_f32 v11, v8, v9
	v_mfma_f32_16x16x16_f16 v[2:5], v[6:7], v[50:51], v[2:5]
	v_cvt_f16_f32_e32 v6, v21
	v_cvt_f16_f32_e32 v7, v18
	;; [unrolled: 1-line block ×3, first 2 shown]
	v_mfma_f32_16x16x16_f16 v[2:5], v[10:11], v[52:53], v[2:5]
	s_nop 6
	v_pk_mul_f32 v[4:5], v[4:5], s[6:7] op_sel_hi:[1,0]
	v_pk_mul_f32 v[2:3], v[2:3], s[6:7] op_sel_hi:[1,0]
	v_cvt_f16_f32_e32 v11, v4
	v_cvt_f16_f32_e32 v9, v2
	;; [unrolled: 1-line block ×4, first 2 shown]
	v_pack_b32_f16 v2, v12, v6
	v_pack_b32_f16 v3, v7, v8
	;; [unrolled: 1-line block ×4, first 2 shown]
	ds_write2st64_b64 v55, v[2:3], v[4:5] offset1:1
	s_waitcnt lgkmcnt(0)
	s_barrier
	s_and_saveexec_b64 s[6:7], vcc
	s_cbranch_execz .LBB1080_18
; %bb.16:
	s_load_dwordx2 s[6:7], s[0:1], 0x68
	s_lshl_b32 s0, s8, 7
	s_mul_i32 s1, s9, s2
	v_lshlrev_b32_e32 v3, 6, v56
	s_mul_hi_u32 s9, s1, s0
	s_mul_i32 s8, s1, s0
	v_lshl_or_b32 v0, v0, 10, v3
	s_lshl_b64 s[8:9], s[8:9], 1
	v_lshlrev_b32_e32 v2, 5, v60
	v_and_b32_e32 v1, 16, v1
	v_and_b32_e32 v0, 0x1a00, v0
	s_waitcnt lgkmcnt(0)
	s_add_u32 s1, s6, s8
	v_or3_b32 v2, v0, v2, v1
	s_addc_u32 s6, s7, s9
	s_lshl_b32 s2, s22, 7
	ds_read_b128 v[4:7], v2 offset:256
	s_lshl_b64 s[2:3], s[2:3], 1
	ds_read_b128 v[8:11], v2 offset:128
	ds_read_b128 v[12:15], v2
	s_add_u32 s2, s1, s2
	s_addc_u32 s3, s6, s3
	v_mov_b32_e32 v55, 0
	v_add_u32_e32 v3, s48, v60
	v_lshl_add_u64 v[0:1], s[2:3], 0, v[54:55]
	v_mad_u64_u32 v[16:17], s[2:3], v3, s0, 0
	v_lshl_add_u64 v[16:17], v[16:17], 1, v[0:1]
	s_waitcnt lgkmcnt(0)
	global_store_dwordx4 v[16:17], v[12:15], off
	s_nop 1
	v_add_u32_e32 v12, 4, v3
	v_mad_u64_u32 v[12:13], s[2:3], v12, s0, 0
	v_lshl_add_u64 v[12:13], v[12:13], 1, v[0:1]
	v_add_u32_e32 v3, 8, v3
	global_store_dwordx4 v[12:13], v[8:11], off
	s_nop 1
	v_mad_u64_u32 v[8:9], s[2:3], v3, s0, 0
	v_lshl_add_u64 v[8:9], v[8:9], 1, v[0:1]
	global_store_dwordx4 v[8:9], v[4:7], off
	s_and_b64 exec, exec, s[4:5]
	s_cbranch_execz .LBB1080_18
; %bb.17:
	ds_read_b128 v[2:5], v2 offset:384
	v_add3_u32 v6, s48, v60, 12
	v_mad_u64_u32 v[6:7], s[0:1], v6, s0, 0
	v_lshl_add_u64 v[0:1], v[6:7], 1, v[0:1]
	s_waitcnt lgkmcnt(0)
	global_store_dwordx4 v[0:1], v[2:5], off
.LBB1080_18:
	s_endpgm
	.section	.rodata,"a",@progbits
	.p2align	6, 0x0
	.amdhsa_kernel _Z39paged_attention_ll4mi_QKV_mfma16_kernelIDF16_hLN4vllm18Fp8KVCacheDataTypeE1EDF16_Li32ELi128ELi256ELb0ELi13EEvPKT_PKT0_S7_ifPKiS9_S9_iPKfiiiPfSC_PS2_PT2_iSB_SB_
		.amdhsa_group_segment_fixed_size 8192
		.amdhsa_private_segment_fixed_size 0
		.amdhsa_kernarg_size 400
		.amdhsa_user_sgpr_count 2
		.amdhsa_user_sgpr_dispatch_ptr 0
		.amdhsa_user_sgpr_queue_ptr 0
		.amdhsa_user_sgpr_kernarg_segment_ptr 1
		.amdhsa_user_sgpr_dispatch_id 0
		.amdhsa_user_sgpr_kernarg_preload_length 0
		.amdhsa_user_sgpr_kernarg_preload_offset 0
		.amdhsa_user_sgpr_private_segment_size 0
		.amdhsa_uses_dynamic_stack 0
		.amdhsa_enable_private_segment 0
		.amdhsa_system_sgpr_workgroup_id_x 1
		.amdhsa_system_sgpr_workgroup_id_y 1
		.amdhsa_system_sgpr_workgroup_id_z 1
		.amdhsa_system_sgpr_workgroup_info 0
		.amdhsa_system_vgpr_workitem_id 0
		.amdhsa_next_free_vgpr 80
		.amdhsa_next_free_sgpr 50
		.amdhsa_accum_offset 80
		.amdhsa_reserve_vcc 1
		.amdhsa_float_round_mode_32 0
		.amdhsa_float_round_mode_16_64 0
		.amdhsa_float_denorm_mode_32 3
		.amdhsa_float_denorm_mode_16_64 3
		.amdhsa_dx10_clamp 1
		.amdhsa_ieee_mode 1
		.amdhsa_fp16_overflow 0
		.amdhsa_tg_split 0
		.amdhsa_exception_fp_ieee_invalid_op 0
		.amdhsa_exception_fp_denorm_src 0
		.amdhsa_exception_fp_ieee_div_zero 0
		.amdhsa_exception_fp_ieee_overflow 0
		.amdhsa_exception_fp_ieee_underflow 0
		.amdhsa_exception_fp_ieee_inexact 0
		.amdhsa_exception_int_div_zero 0
	.end_amdhsa_kernel
	.section	.text._Z39paged_attention_ll4mi_QKV_mfma16_kernelIDF16_hLN4vllm18Fp8KVCacheDataTypeE1EDF16_Li32ELi128ELi256ELb0ELi13EEvPKT_PKT0_S7_ifPKiS9_S9_iPKfiiiPfSC_PS2_PT2_iSB_SB_,"axG",@progbits,_Z39paged_attention_ll4mi_QKV_mfma16_kernelIDF16_hLN4vllm18Fp8KVCacheDataTypeE1EDF16_Li32ELi128ELi256ELb0ELi13EEvPKT_PKT0_S7_ifPKiS9_S9_iPKfiiiPfSC_PS2_PT2_iSB_SB_,comdat
.Lfunc_end1080:
	.size	_Z39paged_attention_ll4mi_QKV_mfma16_kernelIDF16_hLN4vllm18Fp8KVCacheDataTypeE1EDF16_Li32ELi128ELi256ELb0ELi13EEvPKT_PKT0_S7_ifPKiS9_S9_iPKfiiiPfSC_PS2_PT2_iSB_SB_, .Lfunc_end1080-_Z39paged_attention_ll4mi_QKV_mfma16_kernelIDF16_hLN4vllm18Fp8KVCacheDataTypeE1EDF16_Li32ELi128ELi256ELb0ELi13EEvPKT_PKT0_S7_ifPKiS9_S9_iPKfiiiPfSC_PS2_PT2_iSB_SB_
                                        ; -- End function
	.section	.AMDGPU.csdata,"",@progbits
; Kernel info:
; codeLenInByte = 6140
; NumSgprs: 56
; NumVgprs: 80
; NumAgprs: 0
; TotalNumVgprs: 80
; ScratchSize: 0
; MemoryBound: 0
; FloatMode: 240
; IeeeMode: 1
; LDSByteSize: 8192 bytes/workgroup (compile time only)
; SGPRBlocks: 6
; VGPRBlocks: 9
; NumSGPRsForWavesPerEU: 56
; NumVGPRsForWavesPerEU: 80
; AccumOffset: 80
; Occupancy: 6
; WaveLimiterHint : 1
; COMPUTE_PGM_RSRC2:SCRATCH_EN: 0
; COMPUTE_PGM_RSRC2:USER_SGPR: 2
; COMPUTE_PGM_RSRC2:TRAP_HANDLER: 0
; COMPUTE_PGM_RSRC2:TGID_X_EN: 1
; COMPUTE_PGM_RSRC2:TGID_Y_EN: 1
; COMPUTE_PGM_RSRC2:TGID_Z_EN: 1
; COMPUTE_PGM_RSRC2:TIDIG_COMP_CNT: 0
; COMPUTE_PGM_RSRC3_GFX90A:ACCUM_OFFSET: 19
; COMPUTE_PGM_RSRC3_GFX90A:TG_SPLIT: 0
	.section	.text._Z39paged_attention_ll4mi_QKV_mfma16_kernelIDF16_hLN4vllm18Fp8KVCacheDataTypeE1EDF16_Li32ELi128ELi256ELb0ELi14EEvPKT_PKT0_S7_ifPKiS9_S9_iPKfiiiPfSC_PS2_PT2_iSB_SB_,"axG",@progbits,_Z39paged_attention_ll4mi_QKV_mfma16_kernelIDF16_hLN4vllm18Fp8KVCacheDataTypeE1EDF16_Li32ELi128ELi256ELb0ELi14EEvPKT_PKT0_S7_ifPKiS9_S9_iPKfiiiPfSC_PS2_PT2_iSB_SB_,comdat
	.protected	_Z39paged_attention_ll4mi_QKV_mfma16_kernelIDF16_hLN4vllm18Fp8KVCacheDataTypeE1EDF16_Li32ELi128ELi256ELb0ELi14EEvPKT_PKT0_S7_ifPKiS9_S9_iPKfiiiPfSC_PS2_PT2_iSB_SB_ ; -- Begin function _Z39paged_attention_ll4mi_QKV_mfma16_kernelIDF16_hLN4vllm18Fp8KVCacheDataTypeE1EDF16_Li32ELi128ELi256ELb0ELi14EEvPKT_PKT0_S7_ifPKiS9_S9_iPKfiiiPfSC_PS2_PT2_iSB_SB_
	.globl	_Z39paged_attention_ll4mi_QKV_mfma16_kernelIDF16_hLN4vllm18Fp8KVCacheDataTypeE1EDF16_Li32ELi128ELi256ELb0ELi14EEvPKT_PKT0_S7_ifPKiS9_S9_iPKfiiiPfSC_PS2_PT2_iSB_SB_
	.p2align	8
	.type	_Z39paged_attention_ll4mi_QKV_mfma16_kernelIDF16_hLN4vllm18Fp8KVCacheDataTypeE1EDF16_Li32ELi128ELi256ELb0ELi14EEvPKT_PKT0_S7_ifPKiS9_S9_iPKfiiiPfSC_PS2_PT2_iSB_SB_,@function
_Z39paged_attention_ll4mi_QKV_mfma16_kernelIDF16_hLN4vllm18Fp8KVCacheDataTypeE1EDF16_Li32ELi128ELi256ELb0ELi14EEvPKT_PKT0_S7_ifPKiS9_S9_iPKfiiiPfSC_PS2_PT2_iSB_SB_: ; @_Z39paged_attention_ll4mi_QKV_mfma16_kernelIDF16_hLN4vllm18Fp8KVCacheDataTypeE1EDF16_Li32ELi128ELi256ELb0ELi14EEvPKT_PKT0_S7_ifPKiS9_S9_iPKfiiiPfSC_PS2_PT2_iSB_SB_
; %bb.0:
	s_load_dwordx2 s[12:13], s[0:1], 0x30
	s_mov_b32 s22, s3
	s_mov_b64 s[6:7], 0
	s_waitcnt lgkmcnt(0)
	s_cmp_lg_u64 s[12:13], 0
	s_cselect_b64 s[14:15], -1, 0
	s_and_b64 vcc, exec, s[14:15]
	s_cbranch_vccz .LBB1081_7
; %bb.1:
	s_add_i32 s8, s2, 1
	s_mov_b32 s9, 0
	s_lshl_b64 s[10:11], s[8:9], 2
	s_add_u32 s10, s12, s10
	s_mov_b32 s3, s9
	s_addc_u32 s11, s13, s11
	s_lshl_b64 s[8:9], s[2:3], 2
	s_add_u32 s8, s12, s8
	s_addc_u32 s9, s13, s9
	s_load_dword s5, s[10:11], 0x0
	s_load_dword s16, s[8:9], 0x0
	s_waitcnt lgkmcnt(0)
	s_sub_i32 s5, s5, s16
	s_cmp_eq_u32 s5, 1
	s_cselect_b64 s[8:9], -1, 0
	s_andn2_b64 vcc, exec, s[6:7]
	s_cbranch_vccnz .LBB1081_3
.LBB1081_2:
	s_mov_b32 s3, 0
	s_mov_b64 s[8:9], -1
.LBB1081_3:
	s_andn2_b64 vcc, exec, s[8:9]
	s_cbranch_vccnz .LBB1081_18
; %bb.4:
	s_load_dwordx2 s[6:7], s[0:1], 0x28
	s_lshl_b64 s[16:17], s[2:3], 2
	s_waitcnt lgkmcnt(0)
	s_add_u32 s6, s6, s16
	s_addc_u32 s7, s7, s17
	s_load_dword s5, s[6:7], 0x0
	s_lshl_b32 s18, s22, 8
	s_waitcnt lgkmcnt(0)
	s_cmp_ge_i32 s18, s5
	s_cbranch_scc1 .LBB1081_18
; %bb.5:
	s_load_dwordx2 s[6:7], s[0:1], 0x20
	s_load_dword s8, s[0:1], 0x38
	s_add_i32 s9, s5, 31
	s_ashr_i32 s10, s9, 31
	v_and_b32_e32 v1, 0xcf, v0
	s_lshr_b32 s10, s10, 27
	v_add_u32_e32 v1, s18, v1
	s_add_i32 s9, s9, s10
	v_ashrrev_i32_e32 v2, 31, v1
	s_ashr_i32 s19, s9, 5
	v_lshrrev_b32_e32 v6, 27, v2
	s_add_i32 s19, s19, -1
	s_waitcnt lgkmcnt(0)
	s_mul_i32 s8, s2, s8
	s_mov_b32 s9, 0
	v_add_u32_e32 v2, v1, v6
	s_lshl_b64 s[8:9], s[8:9], 2
	v_ashrrev_i32_e32 v2, 5, v2
	v_mov_b32_e32 v7, s19
	v_cmp_gt_i32_e32 vcc, s5, v1
	s_add_u32 s6, s6, s8
	s_addc_u32 s7, s7, s9
	v_cndmask_b32_e32 v2, v7, v2, vcc
	v_ashrrev_i32_e32 v3, 31, v2
	v_lshl_add_u64 v[4:5], v[2:3], 2, s[6:7]
	v_or_b32_e32 v2, 16, v1
	v_add_u32_e32 v3, v2, v6
	v_ashrrev_i32_e32 v3, 5, v3
	v_cmp_gt_i32_e32 vcc, s5, v2
	s_load_dwordx4 s[8:11], s[0:1], 0x8
	s_nop 0
	v_cndmask_b32_e32 v2, v7, v3, vcc
	v_ashrrev_i32_e32 v3, 31, v2
	v_lshl_add_u64 v[8:9], v[2:3], 2, s[6:7]
	v_or_b32_e32 v2, 32, v1
	v_add_u32_e32 v3, v2, v6
	v_ashrrev_i32_e32 v3, 5, v3
	v_cmp_gt_i32_e32 vcc, s5, v2
	v_or_b32_e32 v1, 48, v1
	s_nop 0
	v_cndmask_b32_e32 v2, v7, v3, vcc
	v_ashrrev_i32_e32 v3, 31, v2
	v_lshl_add_u64 v[10:11], v[2:3], 2, s[6:7]
	v_add_u32_e32 v2, v1, v6
	v_ashrrev_i32_e32 v2, 5, v2
	v_cmp_gt_i32_e32 vcc, s5, v1
	s_nop 1
	v_cndmask_b32_e32 v2, v7, v2, vcc
	v_ashrrev_i32_e32 v3, 31, v2
	v_lshl_add_u64 v[12:13], v[2:3], 2, s[6:7]
	global_load_dword v2, v[4:5], off
	global_load_dword v6, v[8:9], off
	global_load_dword v22, v[10:11], off
	global_load_dword v23, v[12:13], off
	s_andn2_b64 vcc, exec, s[14:15]
	s_cbranch_vccnz .LBB1081_8
; %bb.6:
	s_add_u32 s12, s12, s16
	s_addc_u32 s13, s13, s17
	s_load_dword s14, s[12:13], 0x0
	s_branch .LBB1081_9
.LBB1081_7:
	s_mov_b64 s[8:9], 0
	s_branch .LBB1081_2
.LBB1081_8:
	s_mov_b32 s14, s2
.LBB1081_9:
	s_load_dwordx4 s[44:47], s[0:1], 0x48
	v_lshrrev_b32_e32 v57, 6, v0
	v_bfe_u32 v60, v0, 4, 2
	v_and_b32_e32 v56, 15, v0
	v_lshl_or_b32 v3, v57, 2, v60
	v_lshlrev_b32_e32 v1, 3, v56
	v_and_b32_e32 v61, 63, v0
	s_mul_i32 s48, s4, 14
	v_cmp_gt_u32_e32 vcc, 14, v3
	v_lshlrev_b32_e32 v54, 1, v1
	v_lshlrev_b32_e32 v1, 4, v0
	s_and_saveexec_b64 s[12:13], vcc
	s_cbranch_execz .LBB1081_11
; %bb.10:
	s_load_dwordx2 s[16:17], s[0:1], 0x0
	s_waitcnt lgkmcnt(0)
	s_ashr_i32 s15, s44, 31
	s_mul_hi_u32 s20, s14, s44
	s_mul_i32 s15, s14, s15
	s_add_i32 s15, s20, s15
	s_mul_i32 s14, s14, s44
	s_lshl_b64 s[14:15], s[14:15], 1
	s_add_u32 s14, s16, s14
	v_add_lshl_u32 v4, v3, s48, 7
	s_addc_u32 s15, s17, s15
	v_ashrrev_i32_e32 v5, 31, v4
	v_lshl_add_u64 v[4:5], v[4:5], 1, s[14:15]
	v_mov_b32_e32 v55, 0
	v_lshl_add_u64 v[4:5], v[4:5], 0, v[54:55]
	global_load_dwordx4 v[8:11], v[4:5], off
	v_lshlrev_b32_e32 v5, 8, v0
	v_lshlrev_b32_e32 v4, 8, v56
	v_and_b32_e32 v5, 0x600, v5
	s_movk_i32 s14, 0x800
	v_and_or_b32 v4, v4, s14, v5
	v_lshlrev_b32_e32 v3, 5, v3
	v_and_b32_e32 v5, 16, v1
	v_or3_b32 v3, v4, v3, v5
	s_waitcnt vmcnt(0)
	ds_write_b128 v3, v[8:11]
.LBB1081_11:
	s_or_b64 exec, exec, s[12:13]
	s_waitcnt lgkmcnt(0)
	s_mul_i32 s12, s4, s46
	s_add_u32 s8, s8, s12
	s_addc_u32 s9, s9, 0
	v_mov_b32_e32 v59, 0
	v_mov_b64_e32 v[4:5], s[8:9]
	v_and_b32_e32 v7, 48, v0
	s_waitcnt vmcnt(3)
	v_mad_i64_i32 v[8:9], s[8:9], v2, s45, v[4:5]
	v_lshlrev_b32_e32 v2, 4, v56
	v_mov_b32_e32 v3, v59
	v_lshlrev_b32_e32 v58, 5, v7
	v_lshl_add_u64 v[8:9], v[8:9], 0, v[2:3]
	v_lshl_add_u64 v[8:9], v[8:9], 0, v[58:59]
	s_load_dword s23, s[0:1], 0x98
	s_load_dwordx4 s[40:43], s[0:1], 0x80
	s_waitcnt lgkmcnt(0)
	s_barrier
	global_load_dwordx4 v[10:13], v[8:9], off
	global_load_dwordx4 v[30:33], v[8:9], off offset:2048
	v_add_u32_e32 v14, -14, v56
	v_cmp_gt_u32_e32 vcc, 14, v56
	s_ashr_i32 s8, s18, 31
	v_or_b32_e32 v24, 0x100, v2
	v_cndmask_b32_e32 v8, v14, v56, vcc
	v_mov_b32_e32 v25, v59
	s_lshr_b32 s13, s8, 27
	s_waitcnt vmcnt(4)
	v_mad_i64_i32 v[34:35], s[8:9], v6, s45, v[4:5]
	v_or_b32_e32 v39, s18, v7
	v_lshlrev_b32_e32 v7, 5, v8
	v_lshl_add_u64 v[34:35], v[34:35], 0, v[24:25]
	v_lshl_add_u32 v7, v60, 9, v7
	v_lshl_add_u64 v[34:35], v[34:35], 0, v[58:59]
	ds_read_b128 v[26:29], v7
	ds_read_b128 v[18:21], v7 offset:16
	ds_read_b128 v[14:17], v7 offset:2048
	;; [unrolled: 1-line block ×3, first 2 shown]
	global_load_dwordx4 v[46:49], v[34:35], off
	v_or_b32_e32 v41, 0x80, v39
	v_or_b32_e32 v51, 0xc0, v39
	s_waitcnt vmcnt(4)
	v_mad_i64_i32 v[36:37], s[8:9], v22, s45, v[4:5]
	s_waitcnt vmcnt(3)
	v_mad_i64_i32 v[4:5], s[8:9], v23, s45, v[4:5]
	v_add_u32_e32 v42, s13, v41
	v_add_u32_e32 v43, s13, v51
	v_lshl_add_u64 v[4:5], v[4:5], 0, v[24:25]
	v_ashrrev_i32_e32 v24, 5, v42
	v_ashrrev_i32_e32 v25, 5, v43
	global_load_dwordx4 v[42:45], v[34:35], off offset:2048
	v_or_b32_e32 v40, 64, v39
	v_add_u32_e32 v22, s13, v39
	v_mov_b32_e32 v38, s19
	v_add_u32_e32 v23, s13, v40
	v_ashrrev_i32_e32 v22, 5, v22
	v_cmp_gt_i32_e32 vcc, s5, v39
	v_ashrrev_i32_e32 v23, 5, v23
	v_lshl_add_u64 v[2:3], v[36:37], 0, v[2:3]
	v_cndmask_b32_e32 v50, v38, v22, vcc
	v_cmp_gt_i32_e32 vcc, s5, v40
	v_lshl_add_u64 v[2:3], v[2:3], 0, v[58:59]
	v_lshl_add_u64 v[36:37], v[4:5], 0, v[58:59]
	v_cndmask_b32_e32 v52, v38, v23, vcc
	v_cmp_gt_i32_e32 vcc, s5, v41
	v_ashrrev_i32_e32 v53, 31, v52
	v_lshl_add_u64 v[52:53], v[52:53], 2, s[6:7]
	v_cndmask_b32_e32 v62, v38, v24, vcc
	v_cmp_gt_i32_e32 vcc, s5, v51
	v_ashrrev_i32_e32 v51, 31, v50
	v_ashrrev_i32_e32 v63, 31, v62
	v_cndmask_b32_e32 v64, v38, v25, vcc
	global_load_dwordx4 v[22:25], v[2:3], off
	s_nop 0
	global_load_dwordx4 v[2:5], v[2:3], off offset:2048
	s_nop 0
	global_load_dwordx4 v[38:41], v[36:37], off
	s_nop 0
	global_load_dwordx4 v[34:37], v[36:37], off offset:2048
	v_ashrrev_i32_e32 v65, 31, v64
	v_lshl_add_u64 v[50:51], v[50:51], 2, s[6:7]
	v_lshl_add_u64 v[66:67], v[62:63], 2, s[6:7]
	;; [unrolled: 1-line block ×3, first 2 shown]
	global_load_dword v65, v[50:51], off
	global_load_dword v63, v[52:53], off
	;; [unrolled: 1-line block ×4, first 2 shown]
	s_add_u32 s6, s10, s12
	s_addc_u32 s7, s11, 0
	v_and_b32_e32 v58, 16, v0
	v_lshl_or_b32 v64, v57, 4, v56
	s_load_dword s4, s[0:1], 0x1c
	s_mov_b32 s33, 0xff7fffff
	s_waitcnt vmcnt(11)
	v_cvt_pk_f32_fp8_e32 v[50:51], v10
	v_cvt_pk_f32_fp8_sdwa v[52:53], v10 src0_sel:WORD_1
	v_cvt_pk_f32_fp8_e32 v[66:67], v11
	v_cvt_pk_f32_fp8_sdwa v[10:11], v11 src0_sel:WORD_1
	v_cvt_pkrtz_f16_f32 v50, v50, v51
	v_cvt_pkrtz_f16_f32 v51, v52, v53
	v_cvt_pk_f32_fp8_e32 v[68:69], v12
	v_cvt_pk_f32_fp8_sdwa v[70:71], v12 src0_sel:WORD_1
	v_cvt_pkrtz_f16_f32 v66, v66, v67
	v_cvt_pkrtz_f16_f32 v67, v10, v11
	s_waitcnt lgkmcnt(0)
	v_mfma_f32_16x16x16_f16 v[50:53], v[50:51], v[26:27], 0
	v_cvt_pk_f32_fp8_e32 v[72:73], v13
	v_cvt_pk_f32_fp8_sdwa v[74:75], v13 src0_sel:WORD_1
	v_cvt_pkrtz_f16_f32 v68, v68, v69
	v_cvt_pkrtz_f16_f32 v69, v70, v71
	v_mfma_f32_16x16x16_f16 v[10:13], v[66:67], v[28:29], v[50:53]
	s_waitcnt vmcnt(10)
	v_cvt_pk_f32_fp8_sdwa v[66:67], v30 src0_sel:WORD_1
	s_waitcnt vmcnt(6)
	v_cvt_pk_f32_fp8_sdwa v[78:79], v5 src0_sel:WORD_1
	v_cvt_pkrtz_f16_f32 v50, v72, v73
	v_cvt_pk_f32_fp8_e32 v[52:53], v30
	v_cvt_pkrtz_f16_f32 v51, v74, v75
	v_mfma_f32_16x16x16_f16 v[10:13], v[68:69], v[18:19], v[10:13]
	v_cvt_pk_f32_fp8_sdwa v[68:69], v42 src0_sel:WORD_1
	v_cvt_pkrtz_f16_f32 v52, v52, v53
	v_cvt_pkrtz_f16_f32 v53, v66, v67
	v_cvt_pk_f32_fp8_e32 v[66:67], v31
	v_cvt_pk_f32_fp8_sdwa v[30:31], v31 src0_sel:WORD_1
	v_mfma_f32_16x16x16_f16 v[10:13], v[50:51], v[20:21], v[10:13]
	v_cvt_pk_f32_fp8_e32 v[72:73], v3
	v_cvt_pkrtz_f16_f32 v50, v66, v67
	v_cvt_pkrtz_f16_f32 v51, v30, v31
	v_mfma_f32_16x16x16_f16 v[10:13], v[52:53], v[14:15], v[10:13]
	v_cvt_pk_f32_fp8_e32 v[30:31], v32
	v_cvt_pk_f32_fp8_sdwa v[52:53], v32 src0_sel:WORD_1
	v_cvt_pk_f32_fp8_sdwa v[66:67], v46 src0_sel:WORD_1
	v_mfma_f32_16x16x16_f16 v[10:13], v[50:51], v[16:17], v[10:13]
	v_cvt_pkrtz_f16_f32 v30, v30, v31
	v_cvt_pkrtz_f16_f32 v31, v52, v53
	v_cvt_pk_f32_fp8_e32 v[50:51], v33
	v_cvt_pk_f32_fp8_sdwa v[32:33], v33 src0_sel:WORD_1
	v_cvt_pk_f32_fp8_e32 v[52:53], v46
	v_mfma_f32_16x16x16_f16 v[10:13], v[30:31], v[6:7], v[10:13]
	v_cvt_pkrtz_f16_f32 v50, v50, v51
	v_cvt_pkrtz_f16_f32 v51, v32, v33
	v_cvt_pkrtz_f16_f32 v30, v52, v53
	v_cvt_pkrtz_f16_f32 v31, v66, v67
	v_cvt_pk_f32_fp8_e32 v[32:33], v47
	v_cvt_pk_f32_fp8_sdwa v[46:47], v47 src0_sel:WORD_1
	v_mfma_f32_16x16x16_f16 v[50:53], v[50:51], v[8:9], v[10:13]
	v_cvt_pk_f32_fp8_sdwa v[66:67], v48 src0_sel:WORD_1
	v_cvt_pkrtz_f16_f32 v32, v32, v33
	v_cvt_pkrtz_f16_f32 v33, v46, v47
	v_mfma_f32_16x16x16_f16 v[10:13], v[30:31], v[26:27], 0
	v_cvt_pk_f32_fp8_e32 v[30:31], v48
	v_lshl_add_u64 v[46:47], s[6:7], 0, v[58:59]
	v_lshlrev_b32_e32 v58, 5, v64
	v_mfma_f32_16x16x16_f16 v[10:13], v[32:33], v[28:29], v[10:13]
	v_cvt_pk_f32_fp8_e32 v[32:33], v49
	v_cvt_pkrtz_f16_f32 v30, v30, v31
	v_cvt_pkrtz_f16_f32 v31, v66, v67
	v_cvt_pk_f32_fp8_sdwa v[48:49], v49 src0_sel:WORD_1
	v_cvt_pkrtz_f16_f32 v32, v32, v33
	v_cvt_pk_f32_fp8_e32 v[66:67], v42
	v_mfma_f32_16x16x16_f16 v[10:13], v[30:31], v[18:19], v[10:13]
	v_cvt_pkrtz_f16_f32 v33, v48, v49
	v_cvt_pkrtz_f16_f32 v30, v66, v67
	;; [unrolled: 1-line block ×3, first 2 shown]
	v_cvt_pk_f32_fp8_e32 v[48:49], v43
	v_cvt_pk_f32_fp8_sdwa v[42:43], v43 src0_sel:WORD_1
	v_mfma_f32_16x16x16_f16 v[10:13], v[32:33], v[20:21], v[10:13]
	v_lshl_add_u64 v[66:67], v[46:47], 0, v[58:59]
	v_cvt_pkrtz_f16_f32 v32, v48, v49
	v_cvt_pkrtz_f16_f32 v33, v42, v43
	v_mfma_f32_16x16x16_f16 v[10:13], v[30:31], v[14:15], v[10:13]
	v_cvt_pk_f32_fp8_e32 v[30:31], v44
	v_cvt_pk_f32_fp8_sdwa v[42:43], v44 src0_sel:WORD_1
	v_cvt_pk_f32_fp8_sdwa v[48:49], v22 src0_sel:WORD_1
	v_mfma_f32_16x16x16_f16 v[10:13], v[32:33], v[16:17], v[10:13]
	v_cvt_pkrtz_f16_f32 v30, v30, v31
	v_cvt_pkrtz_f16_f32 v31, v42, v43
	v_cvt_pk_f32_fp8_e32 v[32:33], v45
	v_cvt_pk_f32_fp8_sdwa v[42:43], v45 src0_sel:WORD_1
	v_cvt_pk_f32_fp8_e32 v[44:45], v22
	v_mfma_f32_16x16x16_f16 v[10:13], v[30:31], v[6:7], v[10:13]
	v_cvt_pkrtz_f16_f32 v32, v32, v33
	v_cvt_pkrtz_f16_f32 v33, v42, v43
	;; [unrolled: 1-line block ×4, first 2 shown]
	v_cvt_pk_f32_fp8_e32 v[48:49], v23
	v_cvt_pk_f32_fp8_sdwa v[22:23], v23 src0_sel:WORD_1
	v_mfma_f32_16x16x16_f16 v[42:45], v[32:33], v[8:9], v[10:13]
	s_waitcnt vmcnt(2)
	v_mad_i64_i32 v[68:69], s[6:7], v63, s45, v[66:67]
	v_cvt_pkrtz_f16_f32 v32, v48, v49
	v_cvt_pkrtz_f16_f32 v33, v22, v23
	v_mfma_f32_16x16x16_f16 v[10:13], v[30:31], v[26:27], 0
	v_cvt_pk_f32_fp8_e32 v[22:23], v24
	v_cvt_pk_f32_fp8_sdwa v[30:31], v24 src0_sel:WORD_1
	v_mad_i64_i32 v[48:49], s[6:7], v65, s45, v[66:67]
	v_cvt_pkrtz_f16_f32 v22, v22, v23
	v_cvt_pkrtz_f16_f32 v23, v30, v31
	v_cvt_pk_f32_fp8_e32 v[30:31], v25
	v_cvt_pk_f32_fp8_sdwa v[24:25], v25 src0_sel:WORD_1
	v_mfma_f32_16x16x16_f16 v[10:13], v[32:33], v[28:29], v[10:13]
	s_waitcnt vmcnt(0)
	v_mad_i64_i32 v[74:75], s[6:7], v62, s45, v[66:67]
	v_cvt_pkrtz_f16_f32 v70, v30, v31
	v_cvt_pkrtz_f16_f32 v71, v24, v25
	v_mfma_f32_16x16x16_f16 v[10:13], v[22:23], v[18:19], v[10:13]
	global_load_dwordx4 v[30:33], v[48:49], off
	global_load_dwordx4 v[22:25], v[68:69], off
	v_cvt_pk_f32_fp8_e32 v[68:69], v2
	v_mad_i64_i32 v[48:49], s[6:7], v55, s45, v[66:67]
	v_mfma_f32_16x16x16_f16 v[10:13], v[70:71], v[20:21], v[10:13]
	v_cvt_pk_f32_fp8_sdwa v[70:71], v2 src0_sel:WORD_1
	v_cvt_pk_f32_fp8_sdwa v[2:3], v3 src0_sel:WORD_1
	v_cvt_pkrtz_f16_f32 v68, v68, v69
	v_or_b32_e32 v58, 0x800, v58
	v_cvt_pkrtz_f16_f32 v69, v70, v71
	v_cvt_pkrtz_f16_f32 v70, v72, v73
	v_cvt_pkrtz_f16_f32 v71, v2, v3
	v_cvt_pk_f32_fp8_e32 v[2:3], v4
	v_cvt_pk_f32_fp8_sdwa v[72:73], v4 src0_sel:WORD_1
	v_mfma_f32_16x16x16_f16 v[66:69], v[68:69], v[14:15], v[10:13]
	v_lshl_add_u64 v[46:47], v[46:47], 0, v[58:59]
	v_cvt_pkrtz_f16_f32 v76, v2, v3
	v_cvt_pkrtz_f16_f32 v77, v72, v73
	v_cvt_pk_f32_fp8_e32 v[72:73], v5
	v_mfma_f32_16x16x16_f16 v[66:69], v[70:71], v[16:17], v[66:69]
	global_load_dwordx4 v[10:13], v[48:49], off
	global_load_dwordx4 v[2:5], v[74:75], off
	v_cvt_pkrtz_f16_f32 v49, v78, v79
	v_cvt_pkrtz_f16_f32 v48, v72, v73
	v_mfma_f32_16x16x16_f16 v[66:69], v[76:77], v[6:7], v[66:69]
	v_cvt_pk_f32_fp8_e32 v[58:59], v38
	v_cvt_pk_f32_fp8_sdwa v[70:71], v38 src0_sel:WORD_1
	v_cvt_pk_f32_fp8_e32 v[74:75], v40
	v_mfma_f32_16x16x16_f16 v[66:69], v[48:49], v[8:9], v[66:69]
	v_cvt_pk_f32_fp8_e32 v[48:49], v39
	v_cvt_pkrtz_f16_f32 v58, v58, v59
	v_cvt_pkrtz_f16_f32 v59, v70, v71
	v_cvt_pk_f32_fp8_sdwa v[38:39], v39 src0_sel:WORD_1
	v_cvt_pkrtz_f16_f32 v48, v48, v49
	v_cvt_pk_f32_fp8_sdwa v[76:77], v40 src0_sel:WORD_1
	v_mfma_f32_16x16x16_f16 v[70:73], v[58:59], v[26:27], 0
	v_cvt_pkrtz_f16_f32 v49, v38, v39
	v_cvt_pkrtz_f16_f32 v38, v74, v75
	;; [unrolled: 1-line block ×3, first 2 shown]
	v_cvt_pk_f32_fp8_e32 v[58:59], v41
	v_cvt_pk_f32_fp8_sdwa v[40:41], v41 src0_sel:WORD_1
	v_mfma_f32_16x16x16_f16 v[26:29], v[48:49], v[28:29], v[70:73]
	s_load_dword s6, s[40:41], 0x0
	v_cvt_pkrtz_f16_f32 v48, v58, v59
	v_cvt_pkrtz_f16_f32 v49, v40, v41
	v_mfma_f32_16x16x16_f16 v[26:29], v[38:39], v[18:19], v[26:29]
	v_mov_b32_e32 v70, s4
	s_waitcnt lgkmcnt(0)
	v_mul_f32_e32 v40, s6, v70
	v_pk_mul_f32 v[38:39], v[40:41], v[52:53] op_sel_hi:[0,1]
	v_mfma_f32_16x16x16_f16 v[18:21], v[48:49], v[20:21], v[26:29]
	v_cvt_pk_f32_fp8_e32 v[48:49], v35
	v_pk_mul_f32 v[50:51], v[40:41], v[50:51] op_sel_hi:[0,1]
	v_pk_mul_f32 v[52:53], v[40:41], v[42:43] op_sel_hi:[0,1]
	v_cvt_pk_f32_fp8_e32 v[26:27], v34
	v_cvt_pk_f32_fp8_sdwa v[28:29], v34 src0_sel:WORD_1
	v_cvt_pk_f32_fp8_sdwa v[34:35], v35 src0_sel:WORD_1
	v_pk_mul_f32 v[42:43], v[40:41], v[66:67] op_sel_hi:[0,1]
	v_cvt_pkrtz_f16_f32 v26, v26, v27
	v_cvt_pkrtz_f16_f32 v27, v28, v29
	;; [unrolled: 1-line block ×4, first 2 shown]
	v_cvt_pk_f32_fp8_e32 v[34:35], v36
	v_cvt_pk_f32_fp8_sdwa v[48:49], v36 src0_sel:WORD_1
	v_mfma_f32_16x16x16_f16 v[18:21], v[26:27], v[14:15], v[18:21]
	v_mad_i64_i32 v[58:59], s[6:7], v65, s45, v[46:47]
	v_cvt_pkrtz_f16_f32 v26, v34, v35
	v_cvt_pkrtz_f16_f32 v27, v48, v49
	v_cvt_pk_f32_fp8_e32 v[34:35], v37
	v_cvt_pk_f32_fp8_sdwa v[36:37], v37 src0_sel:WORD_1
	v_mfma_f32_16x16x16_f16 v[14:17], v[28:29], v[16:17], v[18:21]
	v_pk_mul_f32 v[48:49], v[40:41], v[44:45] op_sel_hi:[0,1]
	v_pk_mul_f32 v[44:45], v[40:41], v[68:69] op_sel_hi:[0,1]
	s_nop 0
	v_cvt_pkrtz_f16_f32 v18, v34, v35
	v_cvt_pkrtz_f16_f32 v19, v36, v37
	v_mfma_f32_16x16x16_f16 v[14:17], v[26:27], v[6:7], v[14:17]
	s_nop 0
	v_mfma_f32_16x16x16_f16 v[6:9], v[18:19], v[8:9], v[14:17]
	s_nop 6
	v_pk_mul_f32 v[34:35], v[40:41], v[8:9] op_sel_hi:[0,1]
	v_pk_mul_f32 v[40:41], v[40:41], v[6:7] op_sel_hi:[0,1]
	v_and_b32_e32 v6, 0xc0, v0
	v_add_u32_e32 v6, s18, v6
	v_lshl_or_b32 v6, v60, 2, v6
	v_or_b32_e32 v9, 1, v6
	v_mov_b32_e32 v7, 0xff7fffff
	v_cmp_gt_i32_e64 s[24:25], s5, v6
	v_cmp_gt_i32_e64 s[26:27], s5, v9
	v_or_b32_e32 v14, 3, v6
	v_cndmask_b32_e64 v8, v7, v50, s[24:25]
	v_cndmask_b32_e64 v9, v7, v51, s[26:27]
	v_max3_f32 v8, v8, s33, v9
	v_or_b32_e32 v9, 2, v6
	v_cmp_gt_i32_e64 s[28:29], s5, v9
	v_cmp_gt_i32_e64 s[30:31], s5, v14
	s_nop 0
	v_cndmask_b32_e64 v9, v7, v38, s[28:29]
	v_cndmask_b32_e64 v14, v7, v39, s[30:31]
	v_max3_f32 v8, v8, v9, v14
	v_or_b32_e32 v9, 16, v6
	v_or_b32_e32 v14, 17, v6
	v_cmp_gt_i32_e64 s[34:35], s5, v9
	v_cmp_gt_i32_e64 s[36:37], s5, v14
	s_nop 0
	v_cndmask_b32_e64 v9, v7, v52, s[34:35]
	v_cndmask_b32_e64 v14, v7, v53, s[36:37]
	v_max3_f32 v8, v8, v9, v14
	v_or_b32_e32 v9, 18, v6
	;; [unrolled: 8-line block ×6, first 2 shown]
	v_or_b32_e32 v6, 51, v6
	v_cmp_gt_i32_e32 vcc, s5, v9
	v_cmp_gt_i32_e64 s[4:5], s5, v6
	s_nop 0
	v_cndmask_b32_e32 v9, v7, v34, vcc
	v_cndmask_b32_e64 v6, v7, v35, s[4:5]
	v_max3_f32 v8, v8, v9, v6
	v_mbcnt_lo_u32_b32 v6, -1, 0
	v_mbcnt_hi_u32_b32 v9, -1, v6
	v_and_b32_e32 v6, 64, v9
	v_add_u32_e32 v14, 64, v6
	v_xor_b32_e32 v6, 32, v9
	v_cmp_lt_i32_e64 s[38:39], v6, v14
	s_nop 1
	v_cndmask_b32_e64 v6, v9, v6, s[38:39]
	v_lshlrev_b32_e32 v65, 2, v6
	ds_bpermute_b32 v15, v65, v8
	v_mad_i64_i32 v[6:7], s[38:39], v63, s45, v[46:47]
	global_load_dwordx4 v[26:29], v[58:59], off
	global_load_dwordx4 v[18:21], v[6:7], off
	s_waitcnt lgkmcnt(0)
	v_max_f32_e32 v6, v15, v15
	v_max_f32_e32 v15, v8, v6
	v_xor_b32_e32 v6, 16, v9
	v_cmp_lt_i32_e64 s[38:39], v6, v14
	s_nop 1
	v_cndmask_b32_e64 v6, v9, v6, s[38:39]
	v_lshlrev_b32_e32 v58, 2, v6
	ds_bpermute_b32 v14, v58, v15
	v_mad_i64_i32 v[6:7], s[38:39], v55, s45, v[46:47]
	v_mad_i64_i32 v[8:9], s[38:39], v62, s45, v[46:47]
	s_waitcnt lgkmcnt(0)
	v_max_f32_e32 v14, v14, v14
	v_max_f32_e32 v55, v15, v14
	v_sub_f32_e32 v14, v50, v55
	v_mul_f32_e32 v14, 0x3fb8aa3b, v14
	v_exp_f32_e32 v36, v14
	v_sub_f32_e32 v14, v51, v55
	v_mul_f32_e32 v14, 0x3fb8aa3b, v14
	v_exp_f32_e32 v37, v14
	global_load_dwordx4 v[14:17], v[6:7], off
	s_nop 0
	global_load_dwordx4 v[6:9], v[8:9], off
	v_sub_f32_e32 v38, v38, v55
	v_mul_f32_e32 v38, 0x3fb8aa3b, v38
	v_sub_f32_e32 v39, v39, v55
	v_exp_f32_e32 v38, v38
	v_mul_f32_e32 v39, 0x3fb8aa3b, v39
	v_exp_f32_e32 v39, v39
	v_cndmask_b32_e64 v36, 0, v36, s[24:25]
	v_add_f32_e32 v46, 0, v36
	v_cndmask_b32_e64 v37, 0, v37, s[26:27]
	v_add_f32_e32 v47, v46, v37
	;; [unrolled: 2-line block ×3, first 2 shown]
	v_cndmask_b32_e64 v47, 0, v39, s[30:31]
	v_sub_f32_e32 v39, v52, v55
	v_mul_f32_e32 v39, 0x3fb8aa3b, v39
	v_sub_f32_e32 v50, v53, v55
	v_exp_f32_e32 v39, v39
	v_mul_f32_e32 v50, 0x3fb8aa3b, v50
	v_sub_f32_e32 v48, v48, v55
	v_exp_f32_e32 v50, v50
	;; [unrolled: 3-line block ×4, first 2 shown]
	v_mul_f32_e32 v42, 0x3fb8aa3b, v42
	v_sub_f32_e32 v43, v43, v55
	v_add_f32_e32 v51, v38, v47
	v_cndmask_b32_e64 v38, 0, v39, s[34:35]
	v_exp_f32_e32 v42, v42
	v_mul_f32_e32 v43, 0x3fb8aa3b, v43
	v_sub_f32_e32 v44, v44, v55
	v_add_f32_e32 v51, v51, v38
	v_cndmask_b32_e64 v39, 0, v50, s[36:37]
	v_exp_f32_e32 v43, v43
	v_mul_f32_e32 v44, 0x3fb8aa3b, v44
	v_sub_f32_e32 v45, v45, v55
	v_add_f32_e32 v50, v51, v39
	v_cndmask_b32_e64 v48, 0, v48, s[18:19]
	v_exp_f32_e32 v44, v44
	v_mul_f32_e32 v45, 0x3fb8aa3b, v45
	v_sub_f32_e32 v40, v40, v55
	v_add_f32_e32 v50, v50, v48
	v_cndmask_b32_e64 v49, 0, v49, s[20:21]
	v_exp_f32_e32 v45, v45
	v_mul_f32_e32 v40, 0x3fb8aa3b, v40
	v_sub_f32_e32 v41, v41, v55
	v_add_f32_e32 v50, v50, v49
	v_cndmask_b32_e64 v42, 0, v42, s[14:15]
	v_exp_f32_e32 v40, v40
	v_mul_f32_e32 v41, 0x3fb8aa3b, v41
	v_sub_f32_e32 v34, v34, v55
	v_add_f32_e32 v50, v50, v42
	v_cndmask_b32_e64 v43, 0, v43, s[16:17]
	v_exp_f32_e32 v41, v41
	v_mul_f32_e32 v34, 0x3fb8aa3b, v34
	v_sub_f32_e32 v35, v35, v55
	v_add_f32_e32 v50, v50, v43
	v_cndmask_b32_e64 v44, 0, v44, s[10:11]
	v_exp_f32_e32 v34, v34
	v_mul_f32_e32 v35, 0x3fb8aa3b, v35
	v_add_f32_e32 v50, v50, v44
	v_cndmask_b32_e64 v45, 0, v45, s[12:13]
	v_exp_f32_e32 v35, v35
	v_add_f32_e32 v50, v50, v45
	v_cndmask_b32_e64 v40, 0, v40, s[6:7]
	v_add_f32_e32 v50, v50, v40
	v_cndmask_b32_e64 v41, 0, v41, s[8:9]
	v_add_f32_e32 v50, v50, v41
	v_cndmask_b32_e32 v34, 0, v34, vcc
	v_add_f32_e32 v50, v50, v34
	v_cndmask_b32_e64 v35, 0, v35, s[4:5]
	v_add_f32_e32 v50, v50, v35
	ds_bpermute_b32 v51, v65, v50
	v_cmp_gt_u32_e32 vcc, 16, v61
	s_waitcnt lgkmcnt(0)
	s_barrier
	v_add_f32_e32 v50, v50, v51
	ds_bpermute_b32 v51, v58, v50
	s_and_saveexec_b64 s[4:5], vcc
	s_cbranch_execz .LBB1081_13
; %bb.12:
	s_waitcnt lgkmcnt(0)
	v_add_f32_e32 v50, v50, v51
	v_lshlrev_b32_e32 v51, 2, v64
	ds_write2st64_b32 v51, v55, v50 offset1:1
.LBB1081_13:
	s_or_b64 exec, exec, s[4:5]
	s_waitcnt lgkmcnt(0)
	v_lshlrev_b32_e32 v51, 2, v56
	s_load_dword s6, s[0:1], 0x94
	s_waitcnt lgkmcnt(0)
	s_barrier
	ds_read2_b32 v[52:53], v51 offset1:16
	ds_read2_b32 v[58:59], v51 offset0:32 offset1:48
	ds_read2_b32 v[62:63], v51 offset0:64 offset1:80
	s_mul_i32 s7, s23, 14
	s_waitcnt lgkmcnt(2)
	v_max3_f32 v50, v52, s33, v53
	s_waitcnt lgkmcnt(1)
	v_max3_f32 v50, v50, v58, v59
	v_sub_f32_e32 v52, v52, v50
	v_mul_f32_e32 v52, 0x3fb8aa3b, v52
	v_exp_f32_e32 v55, v52
	v_sub_f32_e32 v52, v53, v50
	v_mul_f32_e32 v52, 0x3fb8aa3b, v52
	v_exp_f32_e32 v61, v52
	;; [unrolled: 3-line block ×3, first 2 shown]
	ds_read2_b32 v[52:53], v51 offset0:96 offset1:112
	v_sub_f32_e32 v51, v59, v50
	v_mul_f32_e32 v51, 0x3fb8aa3b, v51
	v_exp_f32_e32 v59, v51
	s_waitcnt lgkmcnt(1)
	v_fma_f32 v51, v55, v62, 0
	v_fmac_f32_e32 v51, v61, v63
	s_waitcnt lgkmcnt(0)
	v_fmac_f32_e32 v51, v58, v52
	v_fmac_f32_e32 v51, v59, v53
	v_add_f32_e32 v52, 0x358637bd, v51
	v_div_scale_f32 v53, s[4:5], v52, v52, 1.0
	v_rcp_f32_e32 v62, v53
	s_barrier
	v_fma_f32 v63, -v53, v62, 1.0
	v_fmac_f32_e32 v62, v63, v62
	v_div_scale_f32 v63, vcc, 1.0, v52, 1.0
	v_mul_f32_e32 v64, v63, v62
	v_fma_f32 v65, -v53, v64, v63
	v_fmac_f32_e32 v64, v65, v62
	v_fma_f32 v53, -v53, v64, v63
	v_div_fmas_f32 v53, v53, v62, v64
	v_cmp_eq_u32_e32 vcc, 1, v57
	v_div_fixup_f32 v52, v53, v52, 1.0
	s_nop 0
	v_cndmask_b32_e32 v53, v55, v61, vcc
	v_cmp_eq_u32_e32 vcc, 2, v57
	s_nop 1
	v_cndmask_b32_e32 v53, v53, v58, vcc
	v_cmp_eq_u32_e32 vcc, 3, v57
	s_nop 1
	v_cndmask_b32_e32 v53, v53, v59, vcc
	v_mul_f32_e32 v52, v53, v52
	v_pk_mul_f32 v[46:47], v[52:53], v[46:47] op_sel_hi:[0,1]
	v_pk_mul_f32 v[36:37], v[52:53], v[36:37] op_sel_hi:[0,1]
	v_cvt_f16_f32_e32 v53, v46
	v_cvt_f16_f32_e32 v36, v36
	;; [unrolled: 1-line block ×4, first 2 shown]
	v_pk_mul_f32 v[48:49], v[52:53], v[48:49] op_sel_hi:[0,1]
	v_pk_mul_f32 v[38:39], v[52:53], v[38:39] op_sel_hi:[0,1]
	v_cvt_f16_f32_e32 v38, v38
	v_cvt_f16_f32_e32 v39, v39
	;; [unrolled: 1-line block ×4, first 2 shown]
	v_pack_b32_f16 v46, v36, v37
	v_pack_b32_f16 v47, v53, v47
	v_lshlrev_b32_e32 v37, 3, v60
	v_lshlrev_b32_e32 v36, 5, v56
	;; [unrolled: 1-line block ×3, first 2 shown]
	v_or3_b32 v55, v53, v36, v37
	v_pack_b32_f16 v38, v38, v39
	v_pack_b32_f16 v39, v48, v49
	ds_write2st64_b64 v55, v[46:47], v[38:39] offset1:1
	v_pk_mul_f32 v[38:39], v[52:53], v[44:45] op_sel_hi:[0,1]
	v_pk_mul_f32 v[42:43], v[52:53], v[42:43] op_sel_hi:[0,1]
	v_cvt_f16_f32_e32 v37, v42
	v_cvt_f16_f32_e32 v42, v43
	;; [unrolled: 1-line block ×4, first 2 shown]
	v_pk_mul_f32 v[34:35], v[52:53], v[34:35] op_sel_hi:[0,1]
	v_pk_mul_f32 v[38:39], v[52:53], v[40:41] op_sel_hi:[0,1]
	v_cvt_f16_f32_e32 v38, v38
	v_cvt_f16_f32_e32 v39, v39
	;; [unrolled: 1-line block ×4, first 2 shown]
	v_pack_b32_f16 v34, v37, v42
	v_pack_b32_f16 v35, v43, v44
	;; [unrolled: 1-line block ×4, first 2 shown]
	v_cmp_gt_u32_e32 vcc, 14, v0
	ds_write2st64_b64 v55, v[34:35], v[38:39] offset0:2 offset1:3
	s_and_saveexec_b64 s[4:5], vcc
	s_cbranch_execz .LBB1081_15
; %bb.14:
	s_mov_b32 s49, 0
	v_mov_b32_e32 v57, 0
	v_lshl_add_u64 v[34:35], s[48:49], 0, v[56:57]
	v_mov_b32_e32 v37, s7
	v_mad_u64_u32 v[34:35], s[12:13], s2, v37, v[34:35]
	s_mul_i32 s3, s3, s7
	v_mov_b32_e32 v38, s22
	v_mov_b32_e32 v39, v57
	s_load_dwordx4 s[8:11], s[0:1], 0x58
	v_add_u32_e32 v37, s3, v35
	v_mad_u64_u32 v[34:35], s[12:13], v34, s6, v[38:39]
	v_mov_b32_e32 v38, v35
	v_mad_u64_u32 v[38:39], s[12:13], v37, s6, v[38:39]
	v_mov_b32_e32 v35, v38
	v_lshlrev_b64 v[34:35], 2, v[34:35]
	s_waitcnt lgkmcnt(0)
	v_lshl_add_u64 v[38:39], s[10:11], 0, v[34:35]
	v_lshl_add_u64 v[34:35], s[8:9], 0, v[34:35]
	global_store_dword v[38:39], v50, off
	global_store_dword v[34:35], v51, off
.LBB1081_15:
	s_or_b64 exec, exec, s[4:5]
	s_waitcnt vmcnt(7)
	v_cvt_pk_f32_fp8_e32 v[34:35], v30
	v_lshl_or_b32 v50, v60, 9, v36
	v_cvt_pk_f32_fp8_sdwa v[36:37], v30 src0_sel:WORD_1
	s_waitcnt lgkmcnt(0)
	s_barrier
	v_cvt_pk_f32_fp8_e32 v[38:39], v31
	v_cvt_pkrtz_f16_f32 v30, v34, v35
	v_cvt_pk_f32_fp8_sdwa v[40:41], v31 src0_sel:WORD_1
	v_cvt_pkrtz_f16_f32 v31, v36, v37
	ds_read_b128 v[34:37], v50
	v_cvt_pkrtz_f16_f32 v46, v38, v39
	v_cvt_pkrtz_f16_f32 v47, v40, v41
	ds_read_b128 v[38:41], v50 offset:16
	v_cvt_pk_f32_fp8_e32 v[48:49], v32
	v_cvt_pk_f32_fp8_sdwa v[52:53], v32 src0_sel:WORD_1
	s_waitcnt lgkmcnt(1)
	v_mfma_f32_16x16x16_f16 v[42:45], v[30:31], v[34:35], 0
	s_waitcnt vmcnt(6)
	v_cvt_pk_f32_fp8_e32 v[58:59], v24
	v_cvt_pkrtz_f16_f32 v30, v48, v49
	v_cvt_pkrtz_f16_f32 v31, v52, v53
	v_cvt_pk_f32_fp8_e32 v[48:49], v33
	v_mfma_f32_16x16x16_f16 v[42:45], v[46:47], v[36:37], v[42:45]
	v_cvt_pk_f32_fp8_sdwa v[46:47], v33 src0_sel:WORD_1
	v_cvt_pk_f32_fp8_sdwa v[62:63], v24 src0_sel:WORD_1
	v_cvt_pkrtz_f16_f32 v48, v48, v49
	s_waitcnt lgkmcnt(0)
	v_mfma_f32_16x16x16_f16 v[30:33], v[30:31], v[38:39], v[42:45]
	v_cvt_pkrtz_f16_f32 v49, v46, v47
	s_waitcnt vmcnt(5)
	v_cvt_pk_f32_fp8_sdwa v[66:67], v12 src0_sel:WORD_1
	s_waitcnt vmcnt(4)
	v_cvt_pk_f32_fp8_sdwa v[68:69], v4 src0_sel:WORD_1
	v_cvt_pk_f32_fp8_e32 v[42:43], v22
	v_mfma_f32_16x16x16_f16 v[46:49], v[48:49], v[40:41], v[30:33]
	s_waitcnt vmcnt(3)
	v_cvt_pk_f32_fp8_sdwa v[70:71], v28 src0_sel:WORD_1
	s_load_dword s4, s[42:43], 0x0
	v_cvt_pk_f32_fp8_sdwa v[30:31], v22 src0_sel:WORD_1
	v_cvt_pk_f32_fp8_e32 v[32:33], v23
	v_cvt_pkrtz_f16_f32 v22, v42, v43
	v_cvt_pk_f32_fp8_sdwa v[42:43], v23 src0_sel:WORD_1
	v_cvt_pkrtz_f16_f32 v23, v30, v31
	v_cvt_pkrtz_f16_f32 v52, v32, v33
	ds_read_b128 v[30:33], v50 offset:2048
	v_cvt_pkrtz_f16_f32 v53, v42, v43
	ds_read_b128 v[42:45], v50 offset:2064
	s_waitcnt lgkmcnt(0)
	v_mfma_f32_16x16x16_f16 v[46:49], v[22:23], v[30:31], v[46:49]
	v_cvt_pkrtz_f16_f32 v22, v58, v59
	v_cvt_pkrtz_f16_f32 v23, v62, v63
	v_cvt_pk_f32_fp8_e32 v[58:59], v25
	v_mfma_f32_16x16x16_f16 v[46:49], v[52:53], v[32:33], v[46:49]
	v_cvt_pk_f32_fp8_sdwa v[52:53], v25 src0_sel:WORD_1
	s_mov_b32 s3, 0
	v_cvt_pkrtz_f16_f32 v58, v58, v59
	v_mfma_f32_16x16x16_f16 v[22:25], v[22:23], v[42:43], v[46:49]
	v_cvt_pkrtz_f16_f32 v59, v52, v53
	v_cmp_gt_u32_e32 vcc, 64, v0
	s_nop 0
	v_cvt_pk_f32_fp8_e32 v[46:47], v10
	v_mfma_f32_16x16x16_f16 v[62:65], v[58:59], v[44:45], v[22:25]
	v_cvt_pk_f32_fp8_e32 v[58:59], v12
	s_nop 1
	v_cvt_pk_f32_fp8_sdwa v[22:23], v10 src0_sel:WORD_1
	v_cvt_pk_f32_fp8_e32 v[24:25], v11
	v_cvt_pkrtz_f16_f32 v10, v46, v47
	v_cvt_pk_f32_fp8_sdwa v[46:47], v11 src0_sel:WORD_1
	v_cvt_pkrtz_f16_f32 v11, v22, v23
	v_cvt_pkrtz_f16_f32 v52, v24, v25
	ds_read_b128 v[22:25], v50 offset:4096
	v_cvt_pkrtz_f16_f32 v53, v46, v47
	ds_read_b128 v[46:49], v50 offset:4112
	s_waitcnt lgkmcnt(1)
	v_mfma_f32_16x16x16_f16 v[62:65], v[10:11], v[22:23], v[62:65]
	v_cvt_pkrtz_f16_f32 v10, v58, v59
	v_cvt_pkrtz_f16_f32 v11, v66, v67
	v_cvt_pk_f32_fp8_e32 v[58:59], v13
	v_mfma_f32_16x16x16_f16 v[62:65], v[52:53], v[24:25], v[62:65]
	v_cvt_pk_f32_fp8_sdwa v[52:53], v13 src0_sel:WORD_1
	v_cvt_pk_f32_fp8_e32 v[66:67], v4
	v_cvt_pkrtz_f16_f32 v58, v58, v59
	s_waitcnt lgkmcnt(0)
	v_mfma_f32_16x16x16_f16 v[10:13], v[10:11], v[46:47], v[62:65]
	v_cvt_pkrtz_f16_f32 v59, v52, v53
	v_cvt_pk_f32_fp8_e32 v[52:53], v2
	s_nop 0
	v_mfma_f32_16x16x16_f16 v[62:65], v[58:59], v[48:49], v[10:13]
	s_nop 2
	v_cvt_pk_f32_fp8_sdwa v[10:11], v2 src0_sel:WORD_1
	v_cvt_pk_f32_fp8_e32 v[12:13], v3
	v_cvt_pkrtz_f16_f32 v2, v52, v53
	v_cvt_pk_f32_fp8_sdwa v[52:53], v3 src0_sel:WORD_1
	v_cvt_pkrtz_f16_f32 v3, v10, v11
	v_cvt_pkrtz_f16_f32 v58, v12, v13
	ds_read_b128 v[10:13], v50 offset:6144
	v_cvt_pkrtz_f16_f32 v59, v52, v53
	s_waitcnt lgkmcnt(0)
	v_mfma_f32_16x16x16_f16 v[62:65], v[2:3], v[10:11], v[62:65]
	ds_read_b128 v[50:53], v50 offset:6160
	v_cvt_pkrtz_f16_f32 v2, v66, v67
	v_cvt_pkrtz_f16_f32 v3, v68, v69
	v_cvt_pk_f32_fp8_e32 v[66:67], v5
	v_mfma_f32_16x16x16_f16 v[62:65], v[58:59], v[12:13], v[62:65]
	v_cvt_pk_f32_fp8_sdwa v[58:59], v5 src0_sel:WORD_1
	v_cvt_pk_f32_fp8_e32 v[68:69], v28
	v_cvt_pkrtz_f16_f32 v66, v66, v67
	s_waitcnt lgkmcnt(0)
	v_mfma_f32_16x16x16_f16 v[2:5], v[2:3], v[50:51], v[62:65]
	v_cvt_pkrtz_f16_f32 v67, v58, v59
	v_cvt_pk_f32_fp8_e32 v[58:59], v26
	s_nop 0
	v_cvt_pk_f32_fp8_sdwa v[62:63], v26 src0_sel:WORD_1
	v_cvt_pk_f32_fp8_e32 v[64:65], v27
	v_cvt_pkrtz_f16_f32 v58, v58, v59
	v_cvt_pk_f32_fp8_sdwa v[26:27], v27 src0_sel:WORD_1
	v_cvt_pkrtz_f16_f32 v59, v62, v63
	v_mfma_f32_16x16x16_f16 v[2:5], v[66:67], v[52:53], v[2:5]
	v_cvt_pkrtz_f16_f32 v66, v64, v65
	v_cvt_pkrtz_f16_f32 v67, v26, v27
	;; [unrolled: 1-line block ×3, first 2 shown]
	v_mfma_f32_16x16x16_f16 v[62:65], v[58:59], v[34:35], 0
	v_cvt_pkrtz_f16_f32 v27, v70, v71
	v_cvt_pk_f32_fp8_e32 v[58:59], v29
	s_barrier
	v_mfma_f32_16x16x16_f16 v[34:37], v[66:67], v[36:37], v[62:65]
	v_cvt_pkrtz_f16_f32 v58, v58, v59
	s_nop 1
	v_cvt_pk_f32_fp8_sdwa v[62:63], v29 src0_sel:WORD_1
	v_mfma_f32_16x16x16_f16 v[26:29], v[26:27], v[38:39], v[34:37]
	s_waitcnt vmcnt(2)
	v_cvt_pk_f32_fp8_e32 v[38:39], v19
	v_cvt_pkrtz_f16_f32 v59, v62, v63
	v_cvt_pk_f32_fp8_e32 v[34:35], v18
	v_cvt_pk_f32_fp8_sdwa v[36:37], v18 src0_sel:WORD_1
	v_cvt_pk_f32_fp8_sdwa v[18:19], v19 src0_sel:WORD_1
	v_mfma_f32_16x16x16_f16 v[26:29], v[58:59], v[40:41], v[26:29]
	v_cvt_pkrtz_f16_f32 v34, v34, v35
	v_cvt_pkrtz_f16_f32 v35, v36, v37
	;; [unrolled: 1-line block ×3, first 2 shown]
	v_cvt_pk_f32_fp8_e32 v[38:39], v20
	v_cvt_pk_f32_fp8_sdwa v[40:41], v20 src0_sel:WORD_1
	v_cvt_pkrtz_f16_f32 v37, v18, v19
	v_mfma_f32_16x16x16_f16 v[26:29], v[34:35], v[30:31], v[26:29]
	v_cvt_pkrtz_f16_f32 v30, v38, v39
	v_cvt_pkrtz_f16_f32 v31, v40, v41
	v_cvt_pk_f32_fp8_e32 v[34:35], v21
	v_cvt_pk_f32_fp8_sdwa v[38:39], v21 src0_sel:WORD_1
	v_mfma_f32_16x16x16_f16 v[18:21], v[36:37], v[32:33], v[26:29]
	s_waitcnt vmcnt(1)
	v_cvt_pk_f32_fp8_sdwa v[32:33], v16 src0_sel:WORD_1
	s_nop 0
	v_cvt_pkrtz_f16_f32 v26, v34, v35
	v_cvt_pkrtz_f16_f32 v27, v38, v39
	v_mfma_f32_16x16x16_f16 v[18:21], v[30:31], v[42:43], v[18:21]
	v_cvt_pk_f32_fp8_e32 v[28:29], v14
	v_cvt_pk_f32_fp8_sdwa v[30:31], v14 src0_sel:WORD_1
	v_cvt_pkrtz_f16_f32 v28, v28, v29
	v_mfma_f32_16x16x16_f16 v[18:21], v[26:27], v[44:45], v[18:21]
	v_cvt_pk_f32_fp8_e32 v[26:27], v15
	v_cvt_pkrtz_f16_f32 v29, v30, v31
	v_cvt_pk_f32_fp8_sdwa v[14:15], v15 src0_sel:WORD_1
	v_cvt_pk_f32_fp8_e32 v[30:31], v16
	v_cvt_pkrtz_f16_f32 v26, v26, v27
	v_mfma_f32_16x16x16_f16 v[18:21], v[28:29], v[22:23], v[18:21]
	v_cvt_pkrtz_f16_f32 v27, v14, v15
	v_cvt_pkrtz_f16_f32 v22, v30, v31
	;; [unrolled: 1-line block ×3, first 2 shown]
	v_cvt_pk_f32_fp8_e32 v[28:29], v17
	v_cvt_pk_f32_fp8_sdwa v[30:31], v17 src0_sel:WORD_1
	v_mfma_f32_16x16x16_f16 v[14:17], v[26:27], v[24:25], v[18:21]
	s_waitcnt vmcnt(0)
	v_cvt_pk_f32_fp8_sdwa v[24:25], v6 src0_sel:WORD_1
	s_nop 0
	v_pk_mul_f32 v[18:19], v[4:5], s[4:5] op_sel_hi:[1,0]
	v_cvt_pkrtz_f16_f32 v4, v28, v29
	v_cvt_pkrtz_f16_f32 v5, v30, v31
	v_mfma_f32_16x16x16_f16 v[14:17], v[22:23], v[46:47], v[14:17]
	v_cvt_pk_f32_fp8_e32 v[22:23], v6
	v_pk_mul_f32 v[20:21], v[2:3], s[4:5] op_sel_hi:[1,0]
	v_mfma_f32_16x16x16_f16 v[2:5], v[4:5], v[48:49], v[14:17]
	s_nop 3
	v_cvt_pk_f32_fp8_e32 v[14:15], v7
	v_cvt_pkrtz_f16_f32 v16, v22, v23
	v_cvt_pkrtz_f16_f32 v17, v24, v25
	v_cvt_pk_f32_fp8_sdwa v[6:7], v7 src0_sel:WORD_1
	v_cvt_pkrtz_f16_f32 v14, v14, v15
	v_cvt_pk_f32_fp8_e32 v[22:23], v8
	v_cvt_pk_f32_fp8_sdwa v[24:25], v8 src0_sel:WORD_1
	v_cvt_pkrtz_f16_f32 v15, v6, v7
	v_mfma_f32_16x16x16_f16 v[2:5], v[16:17], v[10:11], v[2:5]
	v_cvt_pkrtz_f16_f32 v6, v22, v23
	v_cvt_pkrtz_f16_f32 v7, v24, v25
	v_cvt_pk_f32_fp8_e32 v[10:11], v9
	v_cvt_pk_f32_fp8_sdwa v[8:9], v9 src0_sel:WORD_1
	v_mfma_f32_16x16x16_f16 v[2:5], v[14:15], v[12:13], v[2:5]
	v_cvt_f16_f32_e32 v12, v20
	v_cvt_pkrtz_f16_f32 v10, v10, v11
	v_cvt_pkrtz_f16_f32 v11, v8, v9
	v_mfma_f32_16x16x16_f16 v[2:5], v[6:7], v[50:51], v[2:5]
	v_cvt_f16_f32_e32 v6, v21
	v_cvt_f16_f32_e32 v7, v18
	;; [unrolled: 1-line block ×3, first 2 shown]
	v_mfma_f32_16x16x16_f16 v[2:5], v[10:11], v[52:53], v[2:5]
	s_nop 6
	v_pk_mul_f32 v[4:5], v[4:5], s[4:5] op_sel_hi:[1,0]
	v_pk_mul_f32 v[2:3], v[2:3], s[4:5] op_sel_hi:[1,0]
	v_cvt_f16_f32_e32 v11, v4
	v_cvt_f16_f32_e32 v9, v2
	;; [unrolled: 1-line block ×4, first 2 shown]
	v_pack_b32_f16 v2, v12, v6
	v_pack_b32_f16 v3, v7, v8
	;; [unrolled: 1-line block ×4, first 2 shown]
	ds_write2st64_b64 v55, v[2:3], v[4:5] offset1:1
	s_waitcnt lgkmcnt(0)
	s_barrier
	s_and_saveexec_b64 s[4:5], vcc
	s_cbranch_execz .LBB1081_18
; %bb.16:
	s_load_dwordx2 s[4:5], s[0:1], 0x68
	s_lshl_b32 s0, s6, 7
	s_mul_i32 s1, s7, s2
	v_lshlrev_b32_e32 v3, 6, v56
	s_mul_hi_u32 s7, s1, s0
	s_mul_i32 s6, s1, s0
	v_lshl_or_b32 v0, v0, 10, v3
	s_lshl_b64 s[6:7], s[6:7], 1
	v_lshlrev_b32_e32 v2, 5, v60
	v_and_b32_e32 v1, 16, v1
	v_and_b32_e32 v0, 0x1a00, v0
	s_waitcnt lgkmcnt(0)
	s_add_u32 s1, s4, s6
	v_or3_b32 v2, v0, v2, v1
	s_addc_u32 s4, s5, s7
	s_lshl_b32 s2, s22, 7
	ds_read_b128 v[4:7], v2 offset:256
	s_lshl_b64 s[2:3], s[2:3], 1
	ds_read_b128 v[8:11], v2 offset:128
	ds_read_b128 v[12:15], v2
	s_add_u32 s2, s1, s2
	s_addc_u32 s3, s4, s3
	v_mov_b32_e32 v55, 0
	v_add_u32_e32 v18, s48, v60
	v_lshl_add_u64 v[0:1], s[2:3], 0, v[54:55]
	v_mad_u64_u32 v[16:17], s[2:3], v18, s0, 0
	v_lshl_add_u64 v[16:17], v[16:17], 1, v[0:1]
	s_waitcnt lgkmcnt(0)
	global_store_dwordx4 v[16:17], v[12:15], off
	v_or_b32_e32 v3, 12, v60
	v_cmp_gt_u32_e32 vcc, 14, v3
	v_add_u32_e32 v12, 4, v18
	v_mad_u64_u32 v[12:13], s[2:3], v12, s0, 0
	v_lshl_add_u64 v[12:13], v[12:13], 1, v[0:1]
	global_store_dwordx4 v[12:13], v[8:11], off
	s_nop 1
	v_add_u32_e32 v8, 8, v18
	v_mad_u64_u32 v[8:9], s[2:3], v8, s0, 0
	v_lshl_add_u64 v[8:9], v[8:9], 1, v[0:1]
	global_store_dwordx4 v[8:9], v[4:7], off
	s_and_b64 exec, exec, vcc
	s_cbranch_execz .LBB1081_18
; %bb.17:
	ds_read_b128 v[4:7], v2 offset:384
	v_add_u32_e32 v2, s48, v3
	v_mad_u64_u32 v[2:3], s[0:1], v2, s0, 0
	v_lshl_add_u64 v[0:1], v[2:3], 1, v[0:1]
	s_waitcnt lgkmcnt(0)
	global_store_dwordx4 v[0:1], v[4:7], off
.LBB1081_18:
	s_endpgm
	.section	.rodata,"a",@progbits
	.p2align	6, 0x0
	.amdhsa_kernel _Z39paged_attention_ll4mi_QKV_mfma16_kernelIDF16_hLN4vllm18Fp8KVCacheDataTypeE1EDF16_Li32ELi128ELi256ELb0ELi14EEvPKT_PKT0_S7_ifPKiS9_S9_iPKfiiiPfSC_PS2_PT2_iSB_SB_
		.amdhsa_group_segment_fixed_size 8192
		.amdhsa_private_segment_fixed_size 0
		.amdhsa_kernarg_size 400
		.amdhsa_user_sgpr_count 2
		.amdhsa_user_sgpr_dispatch_ptr 0
		.amdhsa_user_sgpr_queue_ptr 0
		.amdhsa_user_sgpr_kernarg_segment_ptr 1
		.amdhsa_user_sgpr_dispatch_id 0
		.amdhsa_user_sgpr_kernarg_preload_length 0
		.amdhsa_user_sgpr_kernarg_preload_offset 0
		.amdhsa_user_sgpr_private_segment_size 0
		.amdhsa_uses_dynamic_stack 0
		.amdhsa_enable_private_segment 0
		.amdhsa_system_sgpr_workgroup_id_x 1
		.amdhsa_system_sgpr_workgroup_id_y 1
		.amdhsa_system_sgpr_workgroup_id_z 1
		.amdhsa_system_sgpr_workgroup_info 0
		.amdhsa_system_vgpr_workitem_id 0
		.amdhsa_next_free_vgpr 80
		.amdhsa_next_free_sgpr 50
		.amdhsa_accum_offset 80
		.amdhsa_reserve_vcc 1
		.amdhsa_float_round_mode_32 0
		.amdhsa_float_round_mode_16_64 0
		.amdhsa_float_denorm_mode_32 3
		.amdhsa_float_denorm_mode_16_64 3
		.amdhsa_dx10_clamp 1
		.amdhsa_ieee_mode 1
		.amdhsa_fp16_overflow 0
		.amdhsa_tg_split 0
		.amdhsa_exception_fp_ieee_invalid_op 0
		.amdhsa_exception_fp_denorm_src 0
		.amdhsa_exception_fp_ieee_div_zero 0
		.amdhsa_exception_fp_ieee_overflow 0
		.amdhsa_exception_fp_ieee_underflow 0
		.amdhsa_exception_fp_ieee_inexact 0
		.amdhsa_exception_int_div_zero 0
	.end_amdhsa_kernel
	.section	.text._Z39paged_attention_ll4mi_QKV_mfma16_kernelIDF16_hLN4vllm18Fp8KVCacheDataTypeE1EDF16_Li32ELi128ELi256ELb0ELi14EEvPKT_PKT0_S7_ifPKiS9_S9_iPKfiiiPfSC_PS2_PT2_iSB_SB_,"axG",@progbits,_Z39paged_attention_ll4mi_QKV_mfma16_kernelIDF16_hLN4vllm18Fp8KVCacheDataTypeE1EDF16_Li32ELi128ELi256ELb0ELi14EEvPKT_PKT0_S7_ifPKiS9_S9_iPKfiiiPfSC_PS2_PT2_iSB_SB_,comdat
.Lfunc_end1081:
	.size	_Z39paged_attention_ll4mi_QKV_mfma16_kernelIDF16_hLN4vllm18Fp8KVCacheDataTypeE1EDF16_Li32ELi128ELi256ELb0ELi14EEvPKT_PKT0_S7_ifPKiS9_S9_iPKfiiiPfSC_PS2_PT2_iSB_SB_, .Lfunc_end1081-_Z39paged_attention_ll4mi_QKV_mfma16_kernelIDF16_hLN4vllm18Fp8KVCacheDataTypeE1EDF16_Li32ELi128ELi256ELb0ELi14EEvPKT_PKT0_S7_ifPKiS9_S9_iPKfiiiPfSC_PS2_PT2_iSB_SB_
                                        ; -- End function
	.section	.AMDGPU.csdata,"",@progbits
; Kernel info:
; codeLenInByte = 6136
; NumSgprs: 56
; NumVgprs: 80
; NumAgprs: 0
; TotalNumVgprs: 80
; ScratchSize: 0
; MemoryBound: 0
; FloatMode: 240
; IeeeMode: 1
; LDSByteSize: 8192 bytes/workgroup (compile time only)
; SGPRBlocks: 6
; VGPRBlocks: 9
; NumSGPRsForWavesPerEU: 56
; NumVGPRsForWavesPerEU: 80
; AccumOffset: 80
; Occupancy: 6
; WaveLimiterHint : 1
; COMPUTE_PGM_RSRC2:SCRATCH_EN: 0
; COMPUTE_PGM_RSRC2:USER_SGPR: 2
; COMPUTE_PGM_RSRC2:TRAP_HANDLER: 0
; COMPUTE_PGM_RSRC2:TGID_X_EN: 1
; COMPUTE_PGM_RSRC2:TGID_Y_EN: 1
; COMPUTE_PGM_RSRC2:TGID_Z_EN: 1
; COMPUTE_PGM_RSRC2:TIDIG_COMP_CNT: 0
; COMPUTE_PGM_RSRC3_GFX90A:ACCUM_OFFSET: 19
; COMPUTE_PGM_RSRC3_GFX90A:TG_SPLIT: 0
	.section	.text._Z39paged_attention_ll4mi_QKV_mfma16_kernelIDF16_hLN4vllm18Fp8KVCacheDataTypeE1EDF16_Li32ELi128ELi256ELb0ELi15EEvPKT_PKT0_S7_ifPKiS9_S9_iPKfiiiPfSC_PS2_PT2_iSB_SB_,"axG",@progbits,_Z39paged_attention_ll4mi_QKV_mfma16_kernelIDF16_hLN4vllm18Fp8KVCacheDataTypeE1EDF16_Li32ELi128ELi256ELb0ELi15EEvPKT_PKT0_S7_ifPKiS9_S9_iPKfiiiPfSC_PS2_PT2_iSB_SB_,comdat
	.protected	_Z39paged_attention_ll4mi_QKV_mfma16_kernelIDF16_hLN4vllm18Fp8KVCacheDataTypeE1EDF16_Li32ELi128ELi256ELb0ELi15EEvPKT_PKT0_S7_ifPKiS9_S9_iPKfiiiPfSC_PS2_PT2_iSB_SB_ ; -- Begin function _Z39paged_attention_ll4mi_QKV_mfma16_kernelIDF16_hLN4vllm18Fp8KVCacheDataTypeE1EDF16_Li32ELi128ELi256ELb0ELi15EEvPKT_PKT0_S7_ifPKiS9_S9_iPKfiiiPfSC_PS2_PT2_iSB_SB_
	.globl	_Z39paged_attention_ll4mi_QKV_mfma16_kernelIDF16_hLN4vllm18Fp8KVCacheDataTypeE1EDF16_Li32ELi128ELi256ELb0ELi15EEvPKT_PKT0_S7_ifPKiS9_S9_iPKfiiiPfSC_PS2_PT2_iSB_SB_
	.p2align	8
	.type	_Z39paged_attention_ll4mi_QKV_mfma16_kernelIDF16_hLN4vllm18Fp8KVCacheDataTypeE1EDF16_Li32ELi128ELi256ELb0ELi15EEvPKT_PKT0_S7_ifPKiS9_S9_iPKfiiiPfSC_PS2_PT2_iSB_SB_,@function
_Z39paged_attention_ll4mi_QKV_mfma16_kernelIDF16_hLN4vllm18Fp8KVCacheDataTypeE1EDF16_Li32ELi128ELi256ELb0ELi15EEvPKT_PKT0_S7_ifPKiS9_S9_iPKfiiiPfSC_PS2_PT2_iSB_SB_: ; @_Z39paged_attention_ll4mi_QKV_mfma16_kernelIDF16_hLN4vllm18Fp8KVCacheDataTypeE1EDF16_Li32ELi128ELi256ELb0ELi15EEvPKT_PKT0_S7_ifPKiS9_S9_iPKfiiiPfSC_PS2_PT2_iSB_SB_
; %bb.0:
	s_load_dwordx2 s[12:13], s[0:1], 0x30
	s_mov_b32 s22, s3
	s_mov_b64 s[6:7], 0
	s_waitcnt lgkmcnt(0)
	s_cmp_lg_u64 s[12:13], 0
	s_cselect_b64 s[14:15], -1, 0
	s_and_b64 vcc, exec, s[14:15]
	s_cbranch_vccz .LBB1082_7
; %bb.1:
	s_add_i32 s8, s2, 1
	s_mov_b32 s9, 0
	s_lshl_b64 s[10:11], s[8:9], 2
	s_add_u32 s10, s12, s10
	s_mov_b32 s3, s9
	s_addc_u32 s11, s13, s11
	s_lshl_b64 s[8:9], s[2:3], 2
	s_add_u32 s8, s12, s8
	s_addc_u32 s9, s13, s9
	s_load_dword s5, s[10:11], 0x0
	s_load_dword s16, s[8:9], 0x0
	s_waitcnt lgkmcnt(0)
	s_sub_i32 s5, s5, s16
	s_cmp_eq_u32 s5, 1
	s_cselect_b64 s[8:9], -1, 0
	s_andn2_b64 vcc, exec, s[6:7]
	s_cbranch_vccnz .LBB1082_3
.LBB1082_2:
	s_mov_b32 s3, 0
	s_mov_b64 s[8:9], -1
.LBB1082_3:
	s_andn2_b64 vcc, exec, s[8:9]
	s_cbranch_vccnz .LBB1082_18
; %bb.4:
	s_load_dwordx2 s[6:7], s[0:1], 0x28
	s_lshl_b64 s[16:17], s[2:3], 2
	s_waitcnt lgkmcnt(0)
	s_add_u32 s6, s6, s16
	s_addc_u32 s7, s7, s17
	s_load_dword s5, s[6:7], 0x0
	s_lshl_b32 s18, s22, 8
	s_waitcnt lgkmcnt(0)
	s_cmp_ge_i32 s18, s5
	s_cbranch_scc1 .LBB1082_18
; %bb.5:
	s_load_dwordx2 s[6:7], s[0:1], 0x20
	s_load_dword s8, s[0:1], 0x38
	s_add_i32 s9, s5, 31
	s_ashr_i32 s10, s9, 31
	v_and_b32_e32 v1, 0xcf, v0
	s_lshr_b32 s10, s10, 27
	v_add_u32_e32 v1, s18, v1
	s_add_i32 s9, s9, s10
	v_ashrrev_i32_e32 v2, 31, v1
	s_ashr_i32 s19, s9, 5
	v_lshrrev_b32_e32 v10, 27, v2
	s_add_i32 s19, s19, -1
	s_waitcnt lgkmcnt(0)
	s_mul_i32 s8, s2, s8
	s_mov_b32 s9, 0
	v_add_u32_e32 v2, v1, v10
	s_lshl_b64 s[8:9], s[8:9], 2
	v_ashrrev_i32_e32 v2, 5, v2
	v_mov_b32_e32 v11, s19
	v_cmp_gt_i32_e32 vcc, s5, v1
	s_add_u32 s6, s6, s8
	s_addc_u32 s7, s7, s9
	v_cndmask_b32_e32 v2, v11, v2, vcc
	v_ashrrev_i32_e32 v3, 31, v2
	v_lshl_add_u64 v[4:5], v[2:3], 2, s[6:7]
	v_or_b32_e32 v2, 16, v1
	v_add_u32_e32 v3, v2, v10
	v_ashrrev_i32_e32 v3, 5, v3
	v_cmp_gt_i32_e32 vcc, s5, v2
	s_load_dwordx4 s[8:11], s[0:1], 0x8
	s_nop 0
	v_cndmask_b32_e32 v2, v11, v3, vcc
	v_ashrrev_i32_e32 v3, 31, v2
	v_lshl_add_u64 v[6:7], v[2:3], 2, s[6:7]
	v_or_b32_e32 v2, 32, v1
	v_add_u32_e32 v3, v2, v10
	v_ashrrev_i32_e32 v3, 5, v3
	v_cmp_gt_i32_e32 vcc, s5, v2
	v_or_b32_e32 v1, 48, v1
	s_nop 0
	v_cndmask_b32_e32 v2, v11, v3, vcc
	v_ashrrev_i32_e32 v3, 31, v2
	v_lshl_add_u64 v[8:9], v[2:3], 2, s[6:7]
	v_add_u32_e32 v2, v1, v10
	v_ashrrev_i32_e32 v2, 5, v2
	v_cmp_gt_i32_e32 vcc, s5, v1
	s_nop 1
	v_cndmask_b32_e32 v2, v11, v2, vcc
	v_ashrrev_i32_e32 v3, 31, v2
	v_lshl_add_u64 v[10:11], v[2:3], 2, s[6:7]
	global_load_dword v2, v[4:5], off
	global_load_dword v32, v[6:7], off
	global_load_dword v30, v[8:9], off
	global_load_dword v31, v[10:11], off
	s_andn2_b64 vcc, exec, s[14:15]
	s_cbranch_vccnz .LBB1082_8
; %bb.6:
	s_add_u32 s12, s12, s16
	s_addc_u32 s13, s13, s17
	s_load_dword s14, s[12:13], 0x0
	s_branch .LBB1082_9
.LBB1082_7:
	s_mov_b64 s[8:9], 0
	s_branch .LBB1082_2
.LBB1082_8:
	s_mov_b32 s14, s2
.LBB1082_9:
	s_load_dwordx4 s[44:47], s[0:1], 0x48
	v_lshrrev_b32_e32 v57, 6, v0
	v_bfe_u32 v60, v0, 4, 2
	v_and_b32_e32 v56, 15, v0
	v_lshl_or_b32 v3, v57, 2, v60
	v_lshlrev_b32_e32 v1, 3, v56
	v_and_b32_e32 v61, 63, v0
	s_mul_i32 s48, s4, 15
	v_cmp_gt_u32_e32 vcc, 15, v3
	v_lshlrev_b32_e32 v54, 1, v1
	v_lshlrev_b32_e32 v1, 4, v0
	s_and_saveexec_b64 s[12:13], vcc
	s_cbranch_execz .LBB1082_11
; %bb.10:
	s_load_dwordx2 s[16:17], s[0:1], 0x0
	s_waitcnt lgkmcnt(0)
	s_ashr_i32 s15, s44, 31
	s_mul_hi_u32 s20, s14, s44
	s_mul_i32 s15, s14, s15
	s_add_i32 s15, s20, s15
	s_mul_i32 s14, s14, s44
	s_lshl_b64 s[14:15], s[14:15], 1
	s_add_u32 s14, s16, s14
	v_add_lshl_u32 v4, v3, s48, 7
	s_addc_u32 s15, s17, s15
	v_ashrrev_i32_e32 v5, 31, v4
	v_lshl_add_u64 v[4:5], v[4:5], 1, s[14:15]
	v_mov_b32_e32 v55, 0
	v_lshl_add_u64 v[4:5], v[4:5], 0, v[54:55]
	global_load_dwordx4 v[4:7], v[4:5], off
	v_lshlrev_b32_e32 v9, 8, v0
	v_lshlrev_b32_e32 v8, 8, v56
	v_and_b32_e32 v9, 0x600, v9
	s_movk_i32 s14, 0x800
	v_and_or_b32 v8, v8, s14, v9
	v_lshlrev_b32_e32 v3, 5, v3
	v_and_b32_e32 v9, 16, v1
	v_or3_b32 v3, v8, v3, v9
	s_waitcnt vmcnt(0)
	ds_write_b128 v3, v[4:7]
.LBB1082_11:
	s_or_b64 exec, exec, s[12:13]
	s_waitcnt lgkmcnt(0)
	s_mul_i32 s12, s4, s46
	s_add_u32 s8, s8, s12
	s_addc_u32 s9, s9, 0
	v_mov_b32_e32 v59, 0
	v_mov_b64_e32 v[12:13], s[8:9]
	v_and_b32_e32 v8, 48, v0
	s_waitcnt vmcnt(3)
	v_mad_i64_i32 v[2:3], s[8:9], v2, s45, v[12:13]
	v_lshlrev_b32_e32 v10, 4, v56
	v_mov_b32_e32 v11, v59
	v_lshlrev_b32_e32 v58, 5, v8
	v_lshl_add_u64 v[2:3], v[2:3], 0, v[10:11]
	v_lshl_add_u64 v[6:7], v[2:3], 0, v[58:59]
	s_load_dword s23, s[0:1], 0x98
	s_load_dwordx4 s[40:43], s[0:1], 0x80
	s_waitcnt lgkmcnt(0)
	s_barrier
	global_load_dwordx4 v[22:25], v[6:7], off
	global_load_dwordx4 v[2:5], v[6:7], off offset:2048
	v_cmp_ne_u32_e32 vcc, 15, v56
	s_ashr_i32 s8, s18, 31
	v_or_b32_e32 v34, 0x100, v10
	v_cndmask_b32_e32 v6, 0, v56, vcc
	v_mov_b32_e32 v35, v59
	s_lshr_b32 s13, s8, 27
	s_waitcnt vmcnt(4)
	v_mad_i64_i32 v[32:33], s[8:9], v32, s45, v[12:13]
	v_lshlrev_b32_e32 v6, 5, v6
	v_lshl_add_u64 v[32:33], v[32:33], 0, v[34:35]
	v_lshl_or_b32 v6, v60, 9, v6
	v_lshl_add_u64 v[32:33], v[32:33], 0, v[58:59]
	v_or_b32_e32 v39, s18, v8
	ds_read_b128 v[26:29], v6
	ds_read_b128 v[18:21], v6 offset:16
	ds_read_b128 v[14:17], v6 offset:2048
	ds_read_b128 v[6:9], v6 offset:2064
	global_load_dwordx4 v[46:49], v[32:33], off
	v_or_b32_e32 v41, 0x80, v39
	v_or_b32_e32 v51, 0xc0, v39
	s_waitcnt vmcnt(4)
	v_mad_i64_i32 v[36:37], s[8:9], v30, s45, v[12:13]
	v_add_u32_e32 v42, s13, v41
	v_add_u32_e32 v43, s13, v51
	v_lshl_add_u64 v[10:11], v[36:37], 0, v[10:11]
	v_ashrrev_i32_e32 v36, 5, v42
	v_ashrrev_i32_e32 v37, 5, v43
	global_load_dwordx4 v[42:45], v[32:33], off offset:2048
	v_or_b32_e32 v40, 64, v39
	v_add_u32_e32 v30, s13, v39
	v_mov_b32_e32 v38, s19
	s_waitcnt vmcnt(4)
	v_mad_i64_i32 v[12:13], s[8:9], v31, s45, v[12:13]
	v_add_u32_e32 v31, s13, v40
	v_ashrrev_i32_e32 v30, 5, v30
	v_cmp_gt_i32_e32 vcc, s5, v39
	v_ashrrev_i32_e32 v31, 5, v31
	v_lshl_add_u64 v[12:13], v[12:13], 0, v[34:35]
	v_cndmask_b32_e32 v50, v38, v30, vcc
	v_cmp_gt_i32_e32 vcc, s5, v40
	v_lshl_add_u64 v[10:11], v[10:11], 0, v[58:59]
	v_lshl_add_u64 v[34:35], v[12:13], 0, v[58:59]
	v_cndmask_b32_e32 v52, v38, v31, vcc
	v_cmp_gt_i32_e32 vcc, s5, v41
	v_ashrrev_i32_e32 v53, 31, v52
	v_lshl_add_u64 v[52:53], v[52:53], 2, s[6:7]
	v_cndmask_b32_e32 v62, v38, v36, vcc
	v_cmp_gt_i32_e32 vcc, s5, v51
	v_ashrrev_i32_e32 v51, 31, v50
	v_ashrrev_i32_e32 v63, 31, v62
	v_cndmask_b32_e32 v64, v38, v37, vcc
	global_load_dwordx4 v[30:33], v[10:11], off
	s_nop 0
	global_load_dwordx4 v[10:13], v[10:11], off offset:2048
	s_nop 0
	global_load_dwordx4 v[38:41], v[34:35], off
	s_nop 0
	global_load_dwordx4 v[34:37], v[34:35], off offset:2048
	v_ashrrev_i32_e32 v65, 31, v64
	v_lshl_add_u64 v[50:51], v[50:51], 2, s[6:7]
	v_lshl_add_u64 v[66:67], v[62:63], 2, s[6:7]
	;; [unrolled: 1-line block ×3, first 2 shown]
	global_load_dword v65, v[50:51], off
	global_load_dword v63, v[52:53], off
	global_load_dword v55, v[66:67], off
	global_load_dword v62, v[68:69], off
	s_add_u32 s6, s10, s12
	s_addc_u32 s7, s11, 0
	v_and_b32_e32 v58, 16, v0
	v_lshl_or_b32 v64, v57, 4, v56
	s_load_dword s4, s[0:1], 0x1c
	s_mov_b32 s33, 0xff7fffff
	s_waitcnt vmcnt(11)
	v_cvt_pk_f32_fp8_e32 v[50:51], v22
	v_cvt_pk_f32_fp8_sdwa v[52:53], v22 src0_sel:WORD_1
	v_cvt_pk_f32_fp8_e32 v[66:67], v23
	v_cvt_pk_f32_fp8_sdwa v[22:23], v23 src0_sel:WORD_1
	v_cvt_pkrtz_f16_f32 v50, v50, v51
	v_cvt_pkrtz_f16_f32 v51, v52, v53
	v_cvt_pk_f32_fp8_e32 v[68:69], v24
	v_cvt_pk_f32_fp8_sdwa v[70:71], v24 src0_sel:WORD_1
	v_cvt_pkrtz_f16_f32 v66, v66, v67
	v_cvt_pkrtz_f16_f32 v67, v22, v23
	v_cvt_pk_f32_fp8_e32 v[52:53], v25
	v_cvt_pk_f32_fp8_sdwa v[72:73], v25 src0_sel:WORD_1
	s_waitcnt lgkmcnt(0)
	v_mfma_f32_16x16x16_f16 v[22:25], v[50:51], v[26:27], 0
	v_cvt_pkrtz_f16_f32 v68, v68, v69
	v_cvt_pkrtz_f16_f32 v69, v70, v71
	s_waitcnt vmcnt(10)
	v_cvt_pk_f32_fp8_e32 v[50:51], v2
	v_mfma_f32_16x16x16_f16 v[22:25], v[66:67], v[28:29], v[22:25]
	v_cvt_pk_f32_fp8_sdwa v[66:67], v2 src0_sel:WORD_1
	v_cvt_pkrtz_f16_f32 v52, v52, v53
	v_cvt_pkrtz_f16_f32 v53, v72, v73
	v_mfma_f32_16x16x16_f16 v[22:25], v[68:69], v[18:19], v[22:25]
	v_cvt_pkrtz_f16_f32 v50, v50, v51
	v_cvt_pkrtz_f16_f32 v51, v66, v67
	v_cvt_pk_f32_fp8_e32 v[66:67], v3
	v_cvt_pk_f32_fp8_sdwa v[2:3], v3 src0_sel:WORD_1
	v_mfma_f32_16x16x16_f16 v[22:25], v[52:53], v[20:21], v[22:25]
	s_waitcnt vmcnt(8)
	v_cvt_pk_f32_fp8_sdwa v[68:69], v42 src0_sel:WORD_1
	v_cvt_pkrtz_f16_f32 v52, v66, v67
	v_cvt_pkrtz_f16_f32 v53, v2, v3
	v_mfma_f32_16x16x16_f16 v[22:25], v[50:51], v[14:15], v[22:25]
	v_cvt_pk_f32_fp8_e32 v[2:3], v4
	v_cvt_pk_f32_fp8_sdwa v[50:51], v4 src0_sel:WORD_1
	v_cvt_pk_f32_fp8_sdwa v[66:67], v46 src0_sel:WORD_1
	v_mfma_f32_16x16x16_f16 v[22:25], v[52:53], v[16:17], v[22:25]
	v_cvt_pk_f32_fp8_e32 v[52:53], v5
	v_cvt_pkrtz_f16_f32 v2, v2, v3
	v_cvt_pkrtz_f16_f32 v3, v50, v51
	v_cvt_pk_f32_fp8_sdwa v[4:5], v5 src0_sel:WORD_1
	v_cvt_pkrtz_f16_f32 v50, v52, v53
	v_cvt_pk_f32_fp8_e32 v[52:53], v46
	v_cvt_pkrtz_f16_f32 v51, v4, v5
	v_mfma_f32_16x16x16_f16 v[2:5], v[2:3], v[6:7], v[22:25]
	s_waitcnt vmcnt(6)
	v_cvt_pk_f32_fp8_e32 v[72:73], v11
	s_nop 0
	v_cvt_pkrtz_f16_f32 v22, v52, v53
	v_cvt_pkrtz_f16_f32 v23, v66, v67
	v_cvt_pk_f32_fp8_e32 v[24:25], v47
	v_cvt_pk_f32_fp8_sdwa v[46:47], v47 src0_sel:WORD_1
	v_mfma_f32_16x16x16_f16 v[50:53], v[50:51], v[8:9], v[2:5]
	v_cvt_pk_f32_fp8_sdwa v[66:67], v48 src0_sel:WORD_1
	v_cvt_pkrtz_f16_f32 v24, v24, v25
	v_cvt_pkrtz_f16_f32 v25, v46, v47
	v_mfma_f32_16x16x16_f16 v[2:5], v[22:23], v[26:27], 0
	v_cvt_pk_f32_fp8_e32 v[22:23], v48
	v_lshl_add_u64 v[46:47], s[6:7], 0, v[58:59]
	v_lshlrev_b32_e32 v58, 5, v64
	v_mfma_f32_16x16x16_f16 v[2:5], v[24:25], v[28:29], v[2:5]
	v_cvt_pk_f32_fp8_e32 v[24:25], v49
	v_cvt_pkrtz_f16_f32 v22, v22, v23
	v_cvt_pkrtz_f16_f32 v23, v66, v67
	v_cvt_pk_f32_fp8_sdwa v[48:49], v49 src0_sel:WORD_1
	v_cvt_pkrtz_f16_f32 v24, v24, v25
	v_cvt_pk_f32_fp8_e32 v[66:67], v42
	v_mfma_f32_16x16x16_f16 v[2:5], v[22:23], v[18:19], v[2:5]
	v_cvt_pkrtz_f16_f32 v25, v48, v49
	v_cvt_pkrtz_f16_f32 v22, v66, v67
	;; [unrolled: 1-line block ×3, first 2 shown]
	v_cvt_pk_f32_fp8_e32 v[48:49], v43
	v_cvt_pk_f32_fp8_sdwa v[42:43], v43 src0_sel:WORD_1
	v_mfma_f32_16x16x16_f16 v[2:5], v[24:25], v[20:21], v[2:5]
	v_lshl_add_u64 v[66:67], v[46:47], 0, v[58:59]
	v_cvt_pkrtz_f16_f32 v24, v48, v49
	v_cvt_pkrtz_f16_f32 v25, v42, v43
	v_mfma_f32_16x16x16_f16 v[2:5], v[22:23], v[14:15], v[2:5]
	v_cvt_pk_f32_fp8_e32 v[22:23], v44
	v_cvt_pk_f32_fp8_sdwa v[42:43], v44 src0_sel:WORD_1
	v_cvt_pk_f32_fp8_sdwa v[48:49], v30 src0_sel:WORD_1
	v_mfma_f32_16x16x16_f16 v[2:5], v[24:25], v[16:17], v[2:5]
	v_cvt_pk_f32_fp8_e32 v[24:25], v45
	v_cvt_pkrtz_f16_f32 v22, v22, v23
	v_cvt_pkrtz_f16_f32 v23, v42, v43
	v_cvt_pk_f32_fp8_sdwa v[42:43], v45 src0_sel:WORD_1
	v_cvt_pk_f32_fp8_e32 v[44:45], v30
	v_cvt_pkrtz_f16_f32 v24, v24, v25
	v_mfma_f32_16x16x16_f16 v[2:5], v[22:23], v[6:7], v[2:5]
	v_cvt_pkrtz_f16_f32 v25, v42, v43
	v_cvt_pkrtz_f16_f32 v22, v44, v45
	;; [unrolled: 1-line block ×3, first 2 shown]
	v_cvt_pk_f32_fp8_e32 v[48:49], v31
	v_cvt_pk_f32_fp8_sdwa v[30:31], v31 src0_sel:WORD_1
	v_mfma_f32_16x16x16_f16 v[42:45], v[24:25], v[8:9], v[2:5]
	s_waitcnt vmcnt(2)
	v_mad_i64_i32 v[68:69], s[6:7], v63, s45, v[66:67]
	v_cvt_pkrtz_f16_f32 v24, v48, v49
	v_cvt_pkrtz_f16_f32 v25, v30, v31
	v_mfma_f32_16x16x16_f16 v[2:5], v[22:23], v[26:27], 0
	v_cvt_pk_f32_fp8_e32 v[22:23], v32
	v_cvt_pk_f32_fp8_sdwa v[30:31], v32 src0_sel:WORD_1
	v_mad_i64_i32 v[48:49], s[6:7], v65, s45, v[66:67]
	v_mfma_f32_16x16x16_f16 v[2:5], v[24:25], v[28:29], v[2:5]
	v_cvt_pkrtz_f16_f32 v22, v22, v23
	v_cvt_pkrtz_f16_f32 v23, v30, v31
	v_cvt_pk_f32_fp8_e32 v[24:25], v33
	v_cvt_pk_f32_fp8_sdwa v[30:31], v33 src0_sel:WORD_1
	v_mfma_f32_16x16x16_f16 v[2:5], v[22:23], v[18:19], v[2:5]
	v_cvt_pkrtz_f16_f32 v70, v24, v25
	v_cvt_pkrtz_f16_f32 v71, v30, v31
	global_load_dwordx4 v[30:33], v[48:49], off
	global_load_dwordx4 v[22:25], v[68:69], off
	v_mfma_f32_16x16x16_f16 v[2:5], v[70:71], v[20:21], v[2:5]
	v_cvt_pk_f32_fp8_e32 v[68:69], v10
	v_cvt_pk_f32_fp8_sdwa v[70:71], v10 src0_sel:WORD_1
	v_cvt_pk_f32_fp8_sdwa v[10:11], v11 src0_sel:WORD_1
	s_waitcnt vmcnt(3)
	v_mad_i64_i32 v[48:49], s[6:7], v55, s45, v[66:67]
	v_cvt_pkrtz_f16_f32 v68, v68, v69
	v_cvt_pkrtz_f16_f32 v69, v70, v71
	;; [unrolled: 1-line block ×4, first 2 shown]
	v_cvt_pk_f32_fp8_e32 v[10:11], v12
	v_cvt_pk_f32_fp8_sdwa v[72:73], v12 src0_sel:WORD_1
	s_waitcnt vmcnt(2)
	v_mad_i64_i32 v[74:75], s[6:7], v62, s45, v[66:67]
	v_mfma_f32_16x16x16_f16 v[66:69], v[68:69], v[14:15], v[2:5]
	v_cvt_pkrtz_f16_f32 v76, v10, v11
	v_cvt_pkrtz_f16_f32 v77, v72, v73
	v_cvt_pk_f32_fp8_e32 v[72:73], v13
	v_cvt_pk_f32_fp8_sdwa v[78:79], v13 src0_sel:WORD_1
	v_mfma_f32_16x16x16_f16 v[66:69], v[70:71], v[16:17], v[66:69]
	global_load_dwordx4 v[10:13], v[48:49], off
	global_load_dwordx4 v[2:5], v[74:75], off
	v_or_b32_e32 v58, 0x800, v58
	v_cvt_pkrtz_f16_f32 v48, v72, v73
	v_cvt_pkrtz_f16_f32 v49, v78, v79
	v_lshl_add_u64 v[46:47], v[46:47], 0, v[58:59]
	v_mfma_f32_16x16x16_f16 v[66:69], v[76:77], v[6:7], v[66:69]
	v_cvt_pk_f32_fp8_e32 v[58:59], v38
	v_cvt_pk_f32_fp8_sdwa v[70:71], v38 src0_sel:WORD_1
	v_cvt_pk_f32_fp8_e32 v[74:75], v40
	v_mfma_f32_16x16x16_f16 v[66:69], v[48:49], v[8:9], v[66:69]
	v_cvt_pk_f32_fp8_e32 v[48:49], v39
	v_cvt_pkrtz_f16_f32 v58, v58, v59
	v_cvt_pkrtz_f16_f32 v59, v70, v71
	v_cvt_pk_f32_fp8_sdwa v[38:39], v39 src0_sel:WORD_1
	v_cvt_pkrtz_f16_f32 v48, v48, v49
	v_cvt_pk_f32_fp8_sdwa v[76:77], v40 src0_sel:WORD_1
	v_mfma_f32_16x16x16_f16 v[70:73], v[58:59], v[26:27], 0
	v_cvt_pkrtz_f16_f32 v49, v38, v39
	v_cvt_pkrtz_f16_f32 v38, v74, v75
	;; [unrolled: 1-line block ×3, first 2 shown]
	v_cvt_pk_f32_fp8_e32 v[58:59], v41
	v_cvt_pk_f32_fp8_sdwa v[40:41], v41 src0_sel:WORD_1
	v_mfma_f32_16x16x16_f16 v[26:29], v[48:49], v[28:29], v[70:73]
	s_load_dword s6, s[40:41], 0x0
	v_cvt_pkrtz_f16_f32 v48, v58, v59
	v_cvt_pkrtz_f16_f32 v49, v40, v41
	v_mfma_f32_16x16x16_f16 v[26:29], v[38:39], v[18:19], v[26:29]
	v_mov_b32_e32 v70, s4
	s_waitcnt lgkmcnt(0)
	v_mul_f32_e32 v40, s6, v70
	v_pk_mul_f32 v[38:39], v[40:41], v[52:53] op_sel_hi:[0,1]
	v_mfma_f32_16x16x16_f16 v[18:21], v[48:49], v[20:21], v[26:29]
	v_cvt_pk_f32_fp8_e32 v[48:49], v35
	v_pk_mul_f32 v[50:51], v[40:41], v[50:51] op_sel_hi:[0,1]
	v_pk_mul_f32 v[52:53], v[40:41], v[42:43] op_sel_hi:[0,1]
	v_cvt_pk_f32_fp8_e32 v[26:27], v34
	v_cvt_pk_f32_fp8_sdwa v[28:29], v34 src0_sel:WORD_1
	v_cvt_pk_f32_fp8_sdwa v[34:35], v35 src0_sel:WORD_1
	v_pk_mul_f32 v[42:43], v[40:41], v[66:67] op_sel_hi:[0,1]
	v_cvt_pkrtz_f16_f32 v26, v26, v27
	v_cvt_pkrtz_f16_f32 v27, v28, v29
	;; [unrolled: 1-line block ×4, first 2 shown]
	v_cvt_pk_f32_fp8_e32 v[34:35], v36
	v_cvt_pk_f32_fp8_sdwa v[48:49], v36 src0_sel:WORD_1
	v_mfma_f32_16x16x16_f16 v[18:21], v[26:27], v[14:15], v[18:21]
	v_mad_i64_i32 v[58:59], s[6:7], v65, s45, v[46:47]
	v_cvt_pkrtz_f16_f32 v26, v34, v35
	v_cvt_pkrtz_f16_f32 v27, v48, v49
	v_cvt_pk_f32_fp8_e32 v[34:35], v37
	v_cvt_pk_f32_fp8_sdwa v[36:37], v37 src0_sel:WORD_1
	v_mfma_f32_16x16x16_f16 v[14:17], v[28:29], v[16:17], v[18:21]
	v_pk_mul_f32 v[48:49], v[40:41], v[44:45] op_sel_hi:[0,1]
	v_pk_mul_f32 v[44:45], v[40:41], v[68:69] op_sel_hi:[0,1]
	s_nop 0
	v_cvt_pkrtz_f16_f32 v18, v34, v35
	v_cvt_pkrtz_f16_f32 v19, v36, v37
	v_mfma_f32_16x16x16_f16 v[14:17], v[26:27], v[6:7], v[14:17]
	s_nop 0
	v_mfma_f32_16x16x16_f16 v[6:9], v[18:19], v[8:9], v[14:17]
	s_nop 6
	v_pk_mul_f32 v[34:35], v[40:41], v[8:9] op_sel_hi:[0,1]
	v_pk_mul_f32 v[40:41], v[40:41], v[6:7] op_sel_hi:[0,1]
	v_and_b32_e32 v6, 0xc0, v0
	v_add_u32_e32 v6, s18, v6
	v_lshl_or_b32 v6, v60, 2, v6
	v_or_b32_e32 v9, 1, v6
	v_mov_b32_e32 v7, 0xff7fffff
	v_cmp_gt_i32_e64 s[24:25], s5, v6
	v_cmp_gt_i32_e64 s[26:27], s5, v9
	v_or_b32_e32 v14, 3, v6
	v_cndmask_b32_e64 v8, v7, v50, s[24:25]
	v_cndmask_b32_e64 v9, v7, v51, s[26:27]
	v_max3_f32 v8, v8, s33, v9
	v_or_b32_e32 v9, 2, v6
	v_cmp_gt_i32_e64 s[28:29], s5, v9
	v_cmp_gt_i32_e64 s[30:31], s5, v14
	s_nop 0
	v_cndmask_b32_e64 v9, v7, v38, s[28:29]
	v_cndmask_b32_e64 v14, v7, v39, s[30:31]
	v_max3_f32 v8, v8, v9, v14
	v_or_b32_e32 v9, 16, v6
	v_or_b32_e32 v14, 17, v6
	v_cmp_gt_i32_e64 s[34:35], s5, v9
	v_cmp_gt_i32_e64 s[36:37], s5, v14
	s_nop 0
	v_cndmask_b32_e64 v9, v7, v52, s[34:35]
	v_cndmask_b32_e64 v14, v7, v53, s[36:37]
	v_max3_f32 v8, v8, v9, v14
	v_or_b32_e32 v9, 18, v6
	;; [unrolled: 8-line block ×6, first 2 shown]
	v_or_b32_e32 v6, 51, v6
	v_cmp_gt_i32_e32 vcc, s5, v9
	v_cmp_gt_i32_e64 s[4:5], s5, v6
	s_nop 0
	v_cndmask_b32_e32 v9, v7, v34, vcc
	v_cndmask_b32_e64 v6, v7, v35, s[4:5]
	v_max3_f32 v8, v8, v9, v6
	v_mbcnt_lo_u32_b32 v6, -1, 0
	v_mbcnt_hi_u32_b32 v9, -1, v6
	v_and_b32_e32 v6, 64, v9
	v_add_u32_e32 v14, 64, v6
	v_xor_b32_e32 v6, 32, v9
	v_cmp_lt_i32_e64 s[38:39], v6, v14
	s_nop 1
	v_cndmask_b32_e64 v6, v9, v6, s[38:39]
	v_lshlrev_b32_e32 v65, 2, v6
	ds_bpermute_b32 v15, v65, v8
	v_mad_i64_i32 v[6:7], s[38:39], v63, s45, v[46:47]
	global_load_dwordx4 v[26:29], v[58:59], off
	global_load_dwordx4 v[18:21], v[6:7], off
	s_waitcnt lgkmcnt(0)
	v_max_f32_e32 v6, v15, v15
	v_max_f32_e32 v15, v8, v6
	v_xor_b32_e32 v6, 16, v9
	v_cmp_lt_i32_e64 s[38:39], v6, v14
	s_nop 1
	v_cndmask_b32_e64 v6, v9, v6, s[38:39]
	v_lshlrev_b32_e32 v58, 2, v6
	ds_bpermute_b32 v14, v58, v15
	v_mad_i64_i32 v[6:7], s[38:39], v55, s45, v[46:47]
	v_mad_i64_i32 v[8:9], s[38:39], v62, s45, v[46:47]
	s_waitcnt lgkmcnt(0)
	v_max_f32_e32 v14, v14, v14
	v_max_f32_e32 v55, v15, v14
	v_sub_f32_e32 v14, v50, v55
	v_mul_f32_e32 v14, 0x3fb8aa3b, v14
	v_exp_f32_e32 v36, v14
	v_sub_f32_e32 v14, v51, v55
	v_mul_f32_e32 v14, 0x3fb8aa3b, v14
	v_exp_f32_e32 v37, v14
	global_load_dwordx4 v[14:17], v[6:7], off
	s_nop 0
	global_load_dwordx4 v[6:9], v[8:9], off
	v_sub_f32_e32 v38, v38, v55
	v_mul_f32_e32 v38, 0x3fb8aa3b, v38
	v_sub_f32_e32 v39, v39, v55
	v_exp_f32_e32 v38, v38
	v_mul_f32_e32 v39, 0x3fb8aa3b, v39
	v_exp_f32_e32 v39, v39
	v_cndmask_b32_e64 v36, 0, v36, s[24:25]
	v_add_f32_e32 v46, 0, v36
	v_cndmask_b32_e64 v37, 0, v37, s[26:27]
	v_add_f32_e32 v47, v46, v37
	;; [unrolled: 2-line block ×3, first 2 shown]
	v_cndmask_b32_e64 v47, 0, v39, s[30:31]
	v_sub_f32_e32 v39, v52, v55
	v_mul_f32_e32 v39, 0x3fb8aa3b, v39
	v_sub_f32_e32 v50, v53, v55
	v_exp_f32_e32 v39, v39
	v_mul_f32_e32 v50, 0x3fb8aa3b, v50
	v_sub_f32_e32 v48, v48, v55
	v_exp_f32_e32 v50, v50
	;; [unrolled: 3-line block ×4, first 2 shown]
	v_mul_f32_e32 v42, 0x3fb8aa3b, v42
	v_sub_f32_e32 v43, v43, v55
	v_add_f32_e32 v51, v38, v47
	v_cndmask_b32_e64 v38, 0, v39, s[34:35]
	v_exp_f32_e32 v42, v42
	v_mul_f32_e32 v43, 0x3fb8aa3b, v43
	v_sub_f32_e32 v44, v44, v55
	v_add_f32_e32 v51, v51, v38
	v_cndmask_b32_e64 v39, 0, v50, s[36:37]
	v_exp_f32_e32 v43, v43
	;; [unrolled: 5-line block ×7, first 2 shown]
	v_mul_f32_e32 v35, 0x3fb8aa3b, v35
	v_add_f32_e32 v50, v50, v44
	v_cndmask_b32_e64 v45, 0, v45, s[12:13]
	v_exp_f32_e32 v35, v35
	v_add_f32_e32 v50, v50, v45
	v_cndmask_b32_e64 v40, 0, v40, s[6:7]
	v_add_f32_e32 v50, v50, v40
	v_cndmask_b32_e64 v41, 0, v41, s[8:9]
	v_add_f32_e32 v50, v50, v41
	v_cndmask_b32_e32 v34, 0, v34, vcc
	v_add_f32_e32 v50, v50, v34
	v_cndmask_b32_e64 v35, 0, v35, s[4:5]
	v_add_f32_e32 v50, v50, v35
	ds_bpermute_b32 v51, v65, v50
	v_cmp_gt_u32_e32 vcc, 16, v61
	s_waitcnt lgkmcnt(0)
	s_barrier
	v_add_f32_e32 v50, v50, v51
	ds_bpermute_b32 v51, v58, v50
	s_and_saveexec_b64 s[4:5], vcc
	s_cbranch_execz .LBB1082_13
; %bb.12:
	s_waitcnt lgkmcnt(0)
	v_add_f32_e32 v50, v50, v51
	v_lshlrev_b32_e32 v51, 2, v64
	ds_write2st64_b32 v51, v55, v50 offset1:1
.LBB1082_13:
	s_or_b64 exec, exec, s[4:5]
	s_waitcnt lgkmcnt(0)
	v_lshlrev_b32_e32 v51, 2, v56
	s_load_dword s6, s[0:1], 0x94
	s_waitcnt lgkmcnt(0)
	s_barrier
	ds_read2_b32 v[52:53], v51 offset1:16
	ds_read2_b32 v[58:59], v51 offset0:32 offset1:48
	ds_read2_b32 v[62:63], v51 offset0:64 offset1:80
	s_mul_i32 s7, s23, 15
	s_waitcnt lgkmcnt(2)
	v_max3_f32 v50, v52, s33, v53
	s_waitcnt lgkmcnt(1)
	v_max3_f32 v50, v50, v58, v59
	v_sub_f32_e32 v52, v52, v50
	v_mul_f32_e32 v52, 0x3fb8aa3b, v52
	v_exp_f32_e32 v55, v52
	v_sub_f32_e32 v52, v53, v50
	v_mul_f32_e32 v52, 0x3fb8aa3b, v52
	v_exp_f32_e32 v61, v52
	;; [unrolled: 3-line block ×3, first 2 shown]
	ds_read2_b32 v[52:53], v51 offset0:96 offset1:112
	v_sub_f32_e32 v51, v59, v50
	v_mul_f32_e32 v51, 0x3fb8aa3b, v51
	v_exp_f32_e32 v59, v51
	s_waitcnt lgkmcnt(1)
	v_fma_f32 v51, v55, v62, 0
	v_fmac_f32_e32 v51, v61, v63
	s_waitcnt lgkmcnt(0)
	v_fmac_f32_e32 v51, v58, v52
	v_fmac_f32_e32 v51, v59, v53
	v_add_f32_e32 v52, 0x358637bd, v51
	v_div_scale_f32 v53, s[4:5], v52, v52, 1.0
	v_rcp_f32_e32 v62, v53
	s_barrier
	v_fma_f32 v63, -v53, v62, 1.0
	v_fmac_f32_e32 v62, v63, v62
	v_div_scale_f32 v63, vcc, 1.0, v52, 1.0
	v_mul_f32_e32 v64, v63, v62
	v_fma_f32 v65, -v53, v64, v63
	v_fmac_f32_e32 v64, v65, v62
	v_fma_f32 v53, -v53, v64, v63
	v_div_fmas_f32 v53, v53, v62, v64
	v_cmp_eq_u32_e32 vcc, 1, v57
	v_div_fixup_f32 v52, v53, v52, 1.0
	s_nop 0
	v_cndmask_b32_e32 v53, v55, v61, vcc
	v_cmp_eq_u32_e32 vcc, 2, v57
	s_nop 1
	v_cndmask_b32_e32 v53, v53, v58, vcc
	v_cmp_eq_u32_e32 vcc, 3, v57
	s_nop 1
	v_cndmask_b32_e32 v53, v53, v59, vcc
	v_mul_f32_e32 v52, v53, v52
	v_pk_mul_f32 v[46:47], v[52:53], v[46:47] op_sel_hi:[0,1]
	v_pk_mul_f32 v[36:37], v[52:53], v[36:37] op_sel_hi:[0,1]
	v_cvt_f16_f32_e32 v53, v46
	v_cvt_f16_f32_e32 v36, v36
	;; [unrolled: 1-line block ×4, first 2 shown]
	v_pk_mul_f32 v[48:49], v[52:53], v[48:49] op_sel_hi:[0,1]
	v_pk_mul_f32 v[38:39], v[52:53], v[38:39] op_sel_hi:[0,1]
	v_cvt_f16_f32_e32 v38, v38
	v_cvt_f16_f32_e32 v39, v39
	;; [unrolled: 1-line block ×4, first 2 shown]
	v_pack_b32_f16 v46, v36, v37
	v_pack_b32_f16 v47, v53, v47
	v_lshlrev_b32_e32 v37, 3, v60
	v_lshlrev_b32_e32 v36, 5, v56
	;; [unrolled: 1-line block ×3, first 2 shown]
	v_or3_b32 v55, v53, v36, v37
	v_pack_b32_f16 v38, v38, v39
	v_pack_b32_f16 v39, v48, v49
	ds_write2st64_b64 v55, v[46:47], v[38:39] offset1:1
	v_pk_mul_f32 v[38:39], v[52:53], v[44:45] op_sel_hi:[0,1]
	v_pk_mul_f32 v[42:43], v[52:53], v[42:43] op_sel_hi:[0,1]
	v_cvt_f16_f32_e32 v37, v42
	v_cvt_f16_f32_e32 v42, v43
	;; [unrolled: 1-line block ×4, first 2 shown]
	v_pk_mul_f32 v[34:35], v[52:53], v[34:35] op_sel_hi:[0,1]
	v_pk_mul_f32 v[38:39], v[52:53], v[40:41] op_sel_hi:[0,1]
	v_cvt_f16_f32_e32 v38, v38
	v_cvt_f16_f32_e32 v39, v39
	;; [unrolled: 1-line block ×4, first 2 shown]
	v_pack_b32_f16 v34, v37, v42
	v_pack_b32_f16 v35, v43, v44
	;; [unrolled: 1-line block ×4, first 2 shown]
	v_cmp_gt_u32_e32 vcc, 15, v0
	ds_write2st64_b64 v55, v[34:35], v[38:39] offset0:2 offset1:3
	s_and_saveexec_b64 s[4:5], vcc
	s_cbranch_execz .LBB1082_15
; %bb.14:
	s_mov_b32 s49, 0
	v_mov_b32_e32 v57, 0
	v_lshl_add_u64 v[34:35], s[48:49], 0, v[56:57]
	v_mov_b32_e32 v37, s7
	v_mad_u64_u32 v[34:35], s[12:13], s2, v37, v[34:35]
	s_mul_i32 s3, s3, s7
	v_mov_b32_e32 v38, s22
	v_mov_b32_e32 v39, v57
	s_load_dwordx4 s[8:11], s[0:1], 0x58
	v_add_u32_e32 v37, s3, v35
	v_mad_u64_u32 v[34:35], s[12:13], v34, s6, v[38:39]
	v_mov_b32_e32 v38, v35
	v_mad_u64_u32 v[38:39], s[12:13], v37, s6, v[38:39]
	v_mov_b32_e32 v35, v38
	v_lshlrev_b64 v[34:35], 2, v[34:35]
	s_waitcnt lgkmcnt(0)
	v_lshl_add_u64 v[38:39], s[10:11], 0, v[34:35]
	v_lshl_add_u64 v[34:35], s[8:9], 0, v[34:35]
	global_store_dword v[38:39], v50, off
	global_store_dword v[34:35], v51, off
.LBB1082_15:
	s_or_b64 exec, exec, s[4:5]
	s_waitcnt vmcnt(7)
	v_cvt_pk_f32_fp8_e32 v[34:35], v30
	v_lshl_or_b32 v50, v60, 9, v36
	v_cvt_pk_f32_fp8_sdwa v[36:37], v30 src0_sel:WORD_1
	s_waitcnt lgkmcnt(0)
	s_barrier
	v_cvt_pk_f32_fp8_e32 v[38:39], v31
	v_cvt_pkrtz_f16_f32 v30, v34, v35
	v_cvt_pk_f32_fp8_sdwa v[40:41], v31 src0_sel:WORD_1
	v_cvt_pkrtz_f16_f32 v31, v36, v37
	ds_read_b128 v[34:37], v50
	v_cvt_pkrtz_f16_f32 v46, v38, v39
	v_cvt_pkrtz_f16_f32 v47, v40, v41
	ds_read_b128 v[38:41], v50 offset:16
	v_cvt_pk_f32_fp8_e32 v[48:49], v32
	v_cvt_pk_f32_fp8_sdwa v[52:53], v32 src0_sel:WORD_1
	s_waitcnt lgkmcnt(1)
	v_mfma_f32_16x16x16_f16 v[42:45], v[30:31], v[34:35], 0
	s_waitcnt vmcnt(6)
	v_cvt_pk_f32_fp8_e32 v[58:59], v24
	v_cvt_pkrtz_f16_f32 v30, v48, v49
	v_cvt_pkrtz_f16_f32 v31, v52, v53
	v_cvt_pk_f32_fp8_e32 v[48:49], v33
	v_mfma_f32_16x16x16_f16 v[42:45], v[46:47], v[36:37], v[42:45]
	v_cvt_pk_f32_fp8_sdwa v[46:47], v33 src0_sel:WORD_1
	v_cvt_pk_f32_fp8_sdwa v[62:63], v24 src0_sel:WORD_1
	v_cvt_pkrtz_f16_f32 v48, v48, v49
	s_waitcnt lgkmcnt(0)
	v_mfma_f32_16x16x16_f16 v[30:33], v[30:31], v[38:39], v[42:45]
	v_cvt_pkrtz_f16_f32 v49, v46, v47
	s_waitcnt vmcnt(5)
	v_cvt_pk_f32_fp8_sdwa v[66:67], v12 src0_sel:WORD_1
	s_waitcnt vmcnt(4)
	v_cvt_pk_f32_fp8_sdwa v[68:69], v4 src0_sel:WORD_1
	v_cvt_pk_f32_fp8_e32 v[42:43], v22
	v_mfma_f32_16x16x16_f16 v[46:49], v[48:49], v[40:41], v[30:33]
	s_waitcnt vmcnt(3)
	v_cvt_pk_f32_fp8_sdwa v[70:71], v28 src0_sel:WORD_1
	s_load_dword s4, s[42:43], 0x0
	v_cvt_pk_f32_fp8_sdwa v[30:31], v22 src0_sel:WORD_1
	v_cvt_pk_f32_fp8_e32 v[32:33], v23
	v_cvt_pkrtz_f16_f32 v22, v42, v43
	v_cvt_pk_f32_fp8_sdwa v[42:43], v23 src0_sel:WORD_1
	v_cvt_pkrtz_f16_f32 v23, v30, v31
	v_cvt_pkrtz_f16_f32 v52, v32, v33
	ds_read_b128 v[30:33], v50 offset:2048
	v_cvt_pkrtz_f16_f32 v53, v42, v43
	ds_read_b128 v[42:45], v50 offset:2064
	s_waitcnt lgkmcnt(0)
	v_mfma_f32_16x16x16_f16 v[46:49], v[22:23], v[30:31], v[46:49]
	v_cvt_pkrtz_f16_f32 v22, v58, v59
	v_cvt_pkrtz_f16_f32 v23, v62, v63
	v_cvt_pk_f32_fp8_e32 v[58:59], v25
	v_mfma_f32_16x16x16_f16 v[46:49], v[52:53], v[32:33], v[46:49]
	v_cvt_pk_f32_fp8_sdwa v[52:53], v25 src0_sel:WORD_1
	s_mov_b32 s3, 0
	v_cvt_pkrtz_f16_f32 v58, v58, v59
	v_mfma_f32_16x16x16_f16 v[22:25], v[22:23], v[42:43], v[46:49]
	v_cvt_pkrtz_f16_f32 v59, v52, v53
	v_cmp_gt_u32_e32 vcc, 64, v0
	s_nop 0
	v_cvt_pk_f32_fp8_e32 v[46:47], v10
	v_mfma_f32_16x16x16_f16 v[62:65], v[58:59], v[44:45], v[22:25]
	v_cvt_pk_f32_fp8_e32 v[58:59], v12
	s_nop 1
	v_cvt_pk_f32_fp8_sdwa v[22:23], v10 src0_sel:WORD_1
	v_cvt_pk_f32_fp8_e32 v[24:25], v11
	v_cvt_pkrtz_f16_f32 v10, v46, v47
	v_cvt_pk_f32_fp8_sdwa v[46:47], v11 src0_sel:WORD_1
	v_cvt_pkrtz_f16_f32 v11, v22, v23
	v_cvt_pkrtz_f16_f32 v52, v24, v25
	ds_read_b128 v[22:25], v50 offset:4096
	v_cvt_pkrtz_f16_f32 v53, v46, v47
	ds_read_b128 v[46:49], v50 offset:4112
	s_waitcnt lgkmcnt(1)
	v_mfma_f32_16x16x16_f16 v[62:65], v[10:11], v[22:23], v[62:65]
	v_cvt_pkrtz_f16_f32 v10, v58, v59
	v_cvt_pkrtz_f16_f32 v11, v66, v67
	v_cvt_pk_f32_fp8_e32 v[58:59], v13
	v_mfma_f32_16x16x16_f16 v[62:65], v[52:53], v[24:25], v[62:65]
	v_cvt_pk_f32_fp8_sdwa v[52:53], v13 src0_sel:WORD_1
	v_cvt_pk_f32_fp8_e32 v[66:67], v4
	v_cvt_pkrtz_f16_f32 v58, v58, v59
	s_waitcnt lgkmcnt(0)
	v_mfma_f32_16x16x16_f16 v[10:13], v[10:11], v[46:47], v[62:65]
	v_cvt_pkrtz_f16_f32 v59, v52, v53
	v_cvt_pk_f32_fp8_e32 v[52:53], v2
	s_nop 0
	v_mfma_f32_16x16x16_f16 v[62:65], v[58:59], v[48:49], v[10:13]
	s_nop 2
	v_cvt_pk_f32_fp8_sdwa v[10:11], v2 src0_sel:WORD_1
	v_cvt_pk_f32_fp8_e32 v[12:13], v3
	v_cvt_pkrtz_f16_f32 v2, v52, v53
	v_cvt_pk_f32_fp8_sdwa v[52:53], v3 src0_sel:WORD_1
	v_cvt_pkrtz_f16_f32 v3, v10, v11
	v_cvt_pkrtz_f16_f32 v58, v12, v13
	ds_read_b128 v[10:13], v50 offset:6144
	v_cvt_pkrtz_f16_f32 v59, v52, v53
	s_waitcnt lgkmcnt(0)
	v_mfma_f32_16x16x16_f16 v[62:65], v[2:3], v[10:11], v[62:65]
	ds_read_b128 v[50:53], v50 offset:6160
	v_cvt_pkrtz_f16_f32 v2, v66, v67
	v_cvt_pkrtz_f16_f32 v3, v68, v69
	v_cvt_pk_f32_fp8_e32 v[66:67], v5
	v_mfma_f32_16x16x16_f16 v[62:65], v[58:59], v[12:13], v[62:65]
	v_cvt_pk_f32_fp8_sdwa v[58:59], v5 src0_sel:WORD_1
	v_cvt_pk_f32_fp8_e32 v[68:69], v28
	v_cvt_pkrtz_f16_f32 v66, v66, v67
	s_waitcnt lgkmcnt(0)
	v_mfma_f32_16x16x16_f16 v[2:5], v[2:3], v[50:51], v[62:65]
	v_cvt_pkrtz_f16_f32 v67, v58, v59
	v_cvt_pk_f32_fp8_e32 v[58:59], v26
	s_nop 0
	v_cvt_pk_f32_fp8_sdwa v[62:63], v26 src0_sel:WORD_1
	v_cvt_pk_f32_fp8_e32 v[64:65], v27
	v_cvt_pkrtz_f16_f32 v58, v58, v59
	v_cvt_pk_f32_fp8_sdwa v[26:27], v27 src0_sel:WORD_1
	v_cvt_pkrtz_f16_f32 v59, v62, v63
	v_mfma_f32_16x16x16_f16 v[2:5], v[66:67], v[52:53], v[2:5]
	v_cvt_pkrtz_f16_f32 v66, v64, v65
	v_cvt_pkrtz_f16_f32 v67, v26, v27
	;; [unrolled: 1-line block ×3, first 2 shown]
	v_mfma_f32_16x16x16_f16 v[62:65], v[58:59], v[34:35], 0
	v_cvt_pkrtz_f16_f32 v27, v70, v71
	v_cvt_pk_f32_fp8_e32 v[58:59], v29
	s_barrier
	v_mfma_f32_16x16x16_f16 v[34:37], v[66:67], v[36:37], v[62:65]
	v_cvt_pkrtz_f16_f32 v58, v58, v59
	s_nop 1
	v_cvt_pk_f32_fp8_sdwa v[62:63], v29 src0_sel:WORD_1
	v_mfma_f32_16x16x16_f16 v[26:29], v[26:27], v[38:39], v[34:37]
	s_waitcnt vmcnt(2)
	v_cvt_pk_f32_fp8_e32 v[38:39], v19
	v_cvt_pkrtz_f16_f32 v59, v62, v63
	v_cvt_pk_f32_fp8_e32 v[34:35], v18
	v_cvt_pk_f32_fp8_sdwa v[36:37], v18 src0_sel:WORD_1
	v_cvt_pk_f32_fp8_sdwa v[18:19], v19 src0_sel:WORD_1
	v_mfma_f32_16x16x16_f16 v[26:29], v[58:59], v[40:41], v[26:29]
	v_cvt_pkrtz_f16_f32 v34, v34, v35
	v_cvt_pkrtz_f16_f32 v35, v36, v37
	;; [unrolled: 1-line block ×3, first 2 shown]
	v_cvt_pk_f32_fp8_e32 v[38:39], v20
	v_cvt_pk_f32_fp8_sdwa v[40:41], v20 src0_sel:WORD_1
	v_cvt_pkrtz_f16_f32 v37, v18, v19
	v_mfma_f32_16x16x16_f16 v[26:29], v[34:35], v[30:31], v[26:29]
	v_cvt_pkrtz_f16_f32 v30, v38, v39
	v_cvt_pkrtz_f16_f32 v31, v40, v41
	v_cvt_pk_f32_fp8_e32 v[34:35], v21
	v_cvt_pk_f32_fp8_sdwa v[38:39], v21 src0_sel:WORD_1
	v_mfma_f32_16x16x16_f16 v[18:21], v[36:37], v[32:33], v[26:29]
	s_waitcnt vmcnt(1)
	v_cvt_pk_f32_fp8_sdwa v[32:33], v16 src0_sel:WORD_1
	s_nop 0
	v_cvt_pkrtz_f16_f32 v26, v34, v35
	v_cvt_pkrtz_f16_f32 v27, v38, v39
	v_mfma_f32_16x16x16_f16 v[18:21], v[30:31], v[42:43], v[18:21]
	v_cvt_pk_f32_fp8_e32 v[28:29], v14
	v_cvt_pk_f32_fp8_sdwa v[30:31], v14 src0_sel:WORD_1
	v_cvt_pkrtz_f16_f32 v28, v28, v29
	v_mfma_f32_16x16x16_f16 v[18:21], v[26:27], v[44:45], v[18:21]
	v_cvt_pk_f32_fp8_e32 v[26:27], v15
	v_cvt_pkrtz_f16_f32 v29, v30, v31
	v_cvt_pk_f32_fp8_sdwa v[14:15], v15 src0_sel:WORD_1
	v_cvt_pk_f32_fp8_e32 v[30:31], v16
	v_cvt_pkrtz_f16_f32 v26, v26, v27
	v_mfma_f32_16x16x16_f16 v[18:21], v[28:29], v[22:23], v[18:21]
	v_cvt_pkrtz_f16_f32 v27, v14, v15
	v_cvt_pkrtz_f16_f32 v22, v30, v31
	v_cvt_pkrtz_f16_f32 v23, v32, v33
	v_cvt_pk_f32_fp8_e32 v[28:29], v17
	v_cvt_pk_f32_fp8_sdwa v[30:31], v17 src0_sel:WORD_1
	v_mfma_f32_16x16x16_f16 v[14:17], v[26:27], v[24:25], v[18:21]
	s_waitcnt vmcnt(0)
	v_cvt_pk_f32_fp8_sdwa v[24:25], v6 src0_sel:WORD_1
	s_nop 0
	v_pk_mul_f32 v[18:19], v[4:5], s[4:5] op_sel_hi:[1,0]
	v_cvt_pkrtz_f16_f32 v4, v28, v29
	v_cvt_pkrtz_f16_f32 v5, v30, v31
	v_mfma_f32_16x16x16_f16 v[14:17], v[22:23], v[46:47], v[14:17]
	v_cvt_pk_f32_fp8_e32 v[22:23], v6
	v_pk_mul_f32 v[20:21], v[2:3], s[4:5] op_sel_hi:[1,0]
	v_mfma_f32_16x16x16_f16 v[2:5], v[4:5], v[48:49], v[14:17]
	s_nop 3
	v_cvt_pk_f32_fp8_e32 v[14:15], v7
	v_cvt_pkrtz_f16_f32 v16, v22, v23
	v_cvt_pkrtz_f16_f32 v17, v24, v25
	v_cvt_pk_f32_fp8_sdwa v[6:7], v7 src0_sel:WORD_1
	v_cvt_pkrtz_f16_f32 v14, v14, v15
	v_cvt_pk_f32_fp8_e32 v[22:23], v8
	v_cvt_pk_f32_fp8_sdwa v[24:25], v8 src0_sel:WORD_1
	v_cvt_pkrtz_f16_f32 v15, v6, v7
	v_mfma_f32_16x16x16_f16 v[2:5], v[16:17], v[10:11], v[2:5]
	v_cvt_pkrtz_f16_f32 v6, v22, v23
	v_cvt_pkrtz_f16_f32 v7, v24, v25
	v_cvt_pk_f32_fp8_e32 v[10:11], v9
	v_cvt_pk_f32_fp8_sdwa v[8:9], v9 src0_sel:WORD_1
	v_mfma_f32_16x16x16_f16 v[2:5], v[14:15], v[12:13], v[2:5]
	v_cvt_f16_f32_e32 v12, v20
	v_cvt_pkrtz_f16_f32 v10, v10, v11
	v_cvt_pkrtz_f16_f32 v11, v8, v9
	v_mfma_f32_16x16x16_f16 v[2:5], v[6:7], v[50:51], v[2:5]
	v_cvt_f16_f32_e32 v6, v21
	v_cvt_f16_f32_e32 v7, v18
	;; [unrolled: 1-line block ×3, first 2 shown]
	v_mfma_f32_16x16x16_f16 v[2:5], v[10:11], v[52:53], v[2:5]
	s_nop 6
	v_pk_mul_f32 v[4:5], v[4:5], s[4:5] op_sel_hi:[1,0]
	v_pk_mul_f32 v[2:3], v[2:3], s[4:5] op_sel_hi:[1,0]
	v_cvt_f16_f32_e32 v11, v4
	v_cvt_f16_f32_e32 v9, v2
	;; [unrolled: 1-line block ×4, first 2 shown]
	v_pack_b32_f16 v2, v12, v6
	v_pack_b32_f16 v3, v7, v8
	;; [unrolled: 1-line block ×4, first 2 shown]
	ds_write2st64_b64 v55, v[2:3], v[4:5] offset1:1
	s_waitcnt lgkmcnt(0)
	s_barrier
	s_and_saveexec_b64 s[4:5], vcc
	s_cbranch_execz .LBB1082_18
; %bb.16:
	s_load_dwordx2 s[4:5], s[0:1], 0x68
	s_lshl_b32 s0, s6, 7
	s_mul_i32 s1, s7, s2
	v_lshlrev_b32_e32 v3, 6, v56
	s_mul_hi_u32 s7, s1, s0
	s_mul_i32 s6, s1, s0
	v_lshl_or_b32 v0, v0, 10, v3
	s_lshl_b64 s[6:7], s[6:7], 1
	v_lshlrev_b32_e32 v2, 5, v60
	v_and_b32_e32 v1, 16, v1
	v_and_b32_e32 v0, 0x1a00, v0
	s_waitcnt lgkmcnt(0)
	s_add_u32 s1, s4, s6
	v_or3_b32 v2, v0, v2, v1
	s_addc_u32 s4, s5, s7
	s_lshl_b32 s2, s22, 7
	ds_read_b128 v[4:7], v2 offset:256
	s_lshl_b64 s[2:3], s[2:3], 1
	ds_read_b128 v[8:11], v2 offset:128
	ds_read_b128 v[12:15], v2
	s_add_u32 s2, s1, s2
	s_addc_u32 s3, s4, s3
	v_mov_b32_e32 v55, 0
	v_add_u32_e32 v3, s48, v60
	v_lshl_add_u64 v[0:1], s[2:3], 0, v[54:55]
	v_mad_u64_u32 v[16:17], s[2:3], v3, s0, 0
	v_lshl_add_u64 v[16:17], v[16:17], 1, v[0:1]
	s_waitcnt lgkmcnt(0)
	global_store_dwordx4 v[16:17], v[12:15], off
	v_cmp_ne_u32_e32 vcc, 3, v60
	s_nop 0
	v_add_u32_e32 v12, 4, v3
	v_mad_u64_u32 v[12:13], s[2:3], v12, s0, 0
	v_lshl_add_u64 v[12:13], v[12:13], 1, v[0:1]
	v_add_u32_e32 v3, 8, v3
	global_store_dwordx4 v[12:13], v[8:11], off
	s_nop 1
	v_mad_u64_u32 v[8:9], s[2:3], v3, s0, 0
	v_lshl_add_u64 v[8:9], v[8:9], 1, v[0:1]
	global_store_dwordx4 v[8:9], v[4:7], off
	s_and_b64 exec, exec, vcc
	s_cbranch_execz .LBB1082_18
; %bb.17:
	ds_read_b128 v[2:5], v2 offset:384
	v_add3_u32 v6, s48, v60, 12
	v_mad_u64_u32 v[6:7], s[0:1], v6, s0, 0
	v_lshl_add_u64 v[0:1], v[6:7], 1, v[0:1]
	s_waitcnt lgkmcnt(0)
	global_store_dwordx4 v[0:1], v[2:5], off
.LBB1082_18:
	s_endpgm
	.section	.rodata,"a",@progbits
	.p2align	6, 0x0
	.amdhsa_kernel _Z39paged_attention_ll4mi_QKV_mfma16_kernelIDF16_hLN4vllm18Fp8KVCacheDataTypeE1EDF16_Li32ELi128ELi256ELb0ELi15EEvPKT_PKT0_S7_ifPKiS9_S9_iPKfiiiPfSC_PS2_PT2_iSB_SB_
		.amdhsa_group_segment_fixed_size 8192
		.amdhsa_private_segment_fixed_size 0
		.amdhsa_kernarg_size 400
		.amdhsa_user_sgpr_count 2
		.amdhsa_user_sgpr_dispatch_ptr 0
		.amdhsa_user_sgpr_queue_ptr 0
		.amdhsa_user_sgpr_kernarg_segment_ptr 1
		.amdhsa_user_sgpr_dispatch_id 0
		.amdhsa_user_sgpr_kernarg_preload_length 0
		.amdhsa_user_sgpr_kernarg_preload_offset 0
		.amdhsa_user_sgpr_private_segment_size 0
		.amdhsa_uses_dynamic_stack 0
		.amdhsa_enable_private_segment 0
		.amdhsa_system_sgpr_workgroup_id_x 1
		.amdhsa_system_sgpr_workgroup_id_y 1
		.amdhsa_system_sgpr_workgroup_id_z 1
		.amdhsa_system_sgpr_workgroup_info 0
		.amdhsa_system_vgpr_workitem_id 0
		.amdhsa_next_free_vgpr 80
		.amdhsa_next_free_sgpr 50
		.amdhsa_accum_offset 80
		.amdhsa_reserve_vcc 1
		.amdhsa_float_round_mode_32 0
		.amdhsa_float_round_mode_16_64 0
		.amdhsa_float_denorm_mode_32 3
		.amdhsa_float_denorm_mode_16_64 3
		.amdhsa_dx10_clamp 1
		.amdhsa_ieee_mode 1
		.amdhsa_fp16_overflow 0
		.amdhsa_tg_split 0
		.amdhsa_exception_fp_ieee_invalid_op 0
		.amdhsa_exception_fp_denorm_src 0
		.amdhsa_exception_fp_ieee_div_zero 0
		.amdhsa_exception_fp_ieee_overflow 0
		.amdhsa_exception_fp_ieee_underflow 0
		.amdhsa_exception_fp_ieee_inexact 0
		.amdhsa_exception_int_div_zero 0
	.end_amdhsa_kernel
	.section	.text._Z39paged_attention_ll4mi_QKV_mfma16_kernelIDF16_hLN4vllm18Fp8KVCacheDataTypeE1EDF16_Li32ELi128ELi256ELb0ELi15EEvPKT_PKT0_S7_ifPKiS9_S9_iPKfiiiPfSC_PS2_PT2_iSB_SB_,"axG",@progbits,_Z39paged_attention_ll4mi_QKV_mfma16_kernelIDF16_hLN4vllm18Fp8KVCacheDataTypeE1EDF16_Li32ELi128ELi256ELb0ELi15EEvPKT_PKT0_S7_ifPKiS9_S9_iPKfiiiPfSC_PS2_PT2_iSB_SB_,comdat
.Lfunc_end1082:
	.size	_Z39paged_attention_ll4mi_QKV_mfma16_kernelIDF16_hLN4vllm18Fp8KVCacheDataTypeE1EDF16_Li32ELi128ELi256ELb0ELi15EEvPKT_PKT0_S7_ifPKiS9_S9_iPKfiiiPfSC_PS2_PT2_iSB_SB_, .Lfunc_end1082-_Z39paged_attention_ll4mi_QKV_mfma16_kernelIDF16_hLN4vllm18Fp8KVCacheDataTypeE1EDF16_Li32ELi128ELi256ELb0ELi15EEvPKT_PKT0_S7_ifPKiS9_S9_iPKfiiiPfSC_PS2_PT2_iSB_SB_
                                        ; -- End function
	.section	.AMDGPU.csdata,"",@progbits
; Kernel info:
; codeLenInByte = 6148
; NumSgprs: 56
; NumVgprs: 80
; NumAgprs: 0
; TotalNumVgprs: 80
; ScratchSize: 0
; MemoryBound: 0
; FloatMode: 240
; IeeeMode: 1
; LDSByteSize: 8192 bytes/workgroup (compile time only)
; SGPRBlocks: 6
; VGPRBlocks: 9
; NumSGPRsForWavesPerEU: 56
; NumVGPRsForWavesPerEU: 80
; AccumOffset: 80
; Occupancy: 6
; WaveLimiterHint : 1
; COMPUTE_PGM_RSRC2:SCRATCH_EN: 0
; COMPUTE_PGM_RSRC2:USER_SGPR: 2
; COMPUTE_PGM_RSRC2:TRAP_HANDLER: 0
; COMPUTE_PGM_RSRC2:TGID_X_EN: 1
; COMPUTE_PGM_RSRC2:TGID_Y_EN: 1
; COMPUTE_PGM_RSRC2:TGID_Z_EN: 1
; COMPUTE_PGM_RSRC2:TIDIG_COMP_CNT: 0
; COMPUTE_PGM_RSRC3_GFX90A:ACCUM_OFFSET: 19
; COMPUTE_PGM_RSRC3_GFX90A:TG_SPLIT: 0
	.section	.text._Z39paged_attention_ll4mi_QKV_mfma16_kernelIDF16_hLN4vllm18Fp8KVCacheDataTypeE1EDF16_Li32ELi128ELi256ELb0ELi16EEvPKT_PKT0_S7_ifPKiS9_S9_iPKfiiiPfSC_PS2_PT2_iSB_SB_,"axG",@progbits,_Z39paged_attention_ll4mi_QKV_mfma16_kernelIDF16_hLN4vllm18Fp8KVCacheDataTypeE1EDF16_Li32ELi128ELi256ELb0ELi16EEvPKT_PKT0_S7_ifPKiS9_S9_iPKfiiiPfSC_PS2_PT2_iSB_SB_,comdat
	.protected	_Z39paged_attention_ll4mi_QKV_mfma16_kernelIDF16_hLN4vllm18Fp8KVCacheDataTypeE1EDF16_Li32ELi128ELi256ELb0ELi16EEvPKT_PKT0_S7_ifPKiS9_S9_iPKfiiiPfSC_PS2_PT2_iSB_SB_ ; -- Begin function _Z39paged_attention_ll4mi_QKV_mfma16_kernelIDF16_hLN4vllm18Fp8KVCacheDataTypeE1EDF16_Li32ELi128ELi256ELb0ELi16EEvPKT_PKT0_S7_ifPKiS9_S9_iPKfiiiPfSC_PS2_PT2_iSB_SB_
	.globl	_Z39paged_attention_ll4mi_QKV_mfma16_kernelIDF16_hLN4vllm18Fp8KVCacheDataTypeE1EDF16_Li32ELi128ELi256ELb0ELi16EEvPKT_PKT0_S7_ifPKiS9_S9_iPKfiiiPfSC_PS2_PT2_iSB_SB_
	.p2align	8
	.type	_Z39paged_attention_ll4mi_QKV_mfma16_kernelIDF16_hLN4vllm18Fp8KVCacheDataTypeE1EDF16_Li32ELi128ELi256ELb0ELi16EEvPKT_PKT0_S7_ifPKiS9_S9_iPKfiiiPfSC_PS2_PT2_iSB_SB_,@function
_Z39paged_attention_ll4mi_QKV_mfma16_kernelIDF16_hLN4vllm18Fp8KVCacheDataTypeE1EDF16_Li32ELi128ELi256ELb0ELi16EEvPKT_PKT0_S7_ifPKiS9_S9_iPKfiiiPfSC_PS2_PT2_iSB_SB_: ; @_Z39paged_attention_ll4mi_QKV_mfma16_kernelIDF16_hLN4vllm18Fp8KVCacheDataTypeE1EDF16_Li32ELi128ELi256ELb0ELi16EEvPKT_PKT0_S7_ifPKiS9_S9_iPKfiiiPfSC_PS2_PT2_iSB_SB_
; %bb.0:
	s_load_dwordx2 s[12:13], s[0:1], 0x30
	s_mov_b32 s24, s3
	s_mov_b64 s[6:7], 0
	s_waitcnt lgkmcnt(0)
	s_cmp_lg_u64 s[12:13], 0
	s_cselect_b64 s[14:15], -1, 0
	s_and_b64 vcc, exec, s[14:15]
	s_cbranch_vccz .LBB1083_7
; %bb.1:
	s_add_i32 s8, s2, 1
	s_mov_b32 s9, 0
	s_lshl_b64 s[10:11], s[8:9], 2
	s_add_u32 s10, s12, s10
	s_mov_b32 s3, s9
	s_addc_u32 s11, s13, s11
	s_lshl_b64 s[8:9], s[2:3], 2
	s_add_u32 s8, s12, s8
	s_addc_u32 s9, s13, s9
	s_load_dword s5, s[10:11], 0x0
	s_load_dword s16, s[8:9], 0x0
	s_waitcnt lgkmcnt(0)
	s_sub_i32 s5, s5, s16
	s_cmp_eq_u32 s5, 1
	s_cselect_b64 s[8:9], -1, 0
	s_andn2_b64 vcc, exec, s[6:7]
	s_cbranch_vccnz .LBB1083_3
.LBB1083_2:
	s_mov_b32 s3, 0
	s_mov_b64 s[8:9], -1
.LBB1083_3:
	s_andn2_b64 vcc, exec, s[8:9]
	s_cbranch_vccnz .LBB1083_17
; %bb.4:
	s_load_dwordx2 s[6:7], s[0:1], 0x28
	s_lshl_b64 s[16:17], s[2:3], 2
	s_waitcnt lgkmcnt(0)
	s_add_u32 s6, s6, s16
	s_addc_u32 s7, s7, s17
	s_load_dword s38, s[6:7], 0x0
	s_lshl_b32 s18, s24, 8
	s_waitcnt lgkmcnt(0)
	s_cmp_ge_i32 s18, s38
	s_cbranch_scc1 .LBB1083_17
; %bb.5:
	s_load_dwordx2 s[6:7], s[0:1], 0x20
	s_load_dword s8, s[0:1], 0x38
	s_add_i32 s5, s38, 31
	s_ashr_i32 s9, s5, 31
	v_and_b32_e32 v1, 0xcf, v0
	s_lshr_b32 s9, s9, 27
	v_add_u32_e32 v1, s18, v1
	s_add_i32 s5, s5, s9
	v_ashrrev_i32_e32 v2, 31, v1
	s_ashr_i32 s5, s5, 5
	v_lshrrev_b32_e32 v10, 27, v2
	s_add_i32 s5, s5, -1
	s_waitcnt lgkmcnt(0)
	s_mul_i32 s8, s2, s8
	s_mov_b32 s9, 0
	v_add_u32_e32 v2, v1, v10
	s_lshl_b64 s[8:9], s[8:9], 2
	v_ashrrev_i32_e32 v2, 5, v2
	v_mov_b32_e32 v11, s5
	v_cmp_gt_i32_e32 vcc, s38, v1
	s_add_u32 s6, s6, s8
	s_addc_u32 s7, s7, s9
	v_cndmask_b32_e32 v2, v11, v2, vcc
	v_ashrrev_i32_e32 v3, 31, v2
	v_lshl_add_u64 v[4:5], v[2:3], 2, s[6:7]
	v_or_b32_e32 v2, 16, v1
	v_add_u32_e32 v3, v2, v10
	v_ashrrev_i32_e32 v3, 5, v3
	v_cmp_gt_i32_e32 vcc, s38, v2
	s_load_dwordx4 s[8:11], s[0:1], 0x8
	s_nop 0
	v_cndmask_b32_e32 v2, v11, v3, vcc
	v_ashrrev_i32_e32 v3, 31, v2
	v_lshl_add_u64 v[6:7], v[2:3], 2, s[6:7]
	v_or_b32_e32 v2, 32, v1
	v_add_u32_e32 v3, v2, v10
	v_ashrrev_i32_e32 v3, 5, v3
	v_cmp_gt_i32_e32 vcc, s38, v2
	v_or_b32_e32 v1, 48, v1
	s_nop 0
	v_cndmask_b32_e32 v2, v11, v3, vcc
	v_ashrrev_i32_e32 v3, 31, v2
	v_lshl_add_u64 v[8:9], v[2:3], 2, s[6:7]
	v_add_u32_e32 v2, v1, v10
	v_ashrrev_i32_e32 v2, 5, v2
	v_cmp_gt_i32_e32 vcc, s38, v1
	s_nop 1
	v_cndmask_b32_e32 v2, v11, v2, vcc
	v_ashrrev_i32_e32 v3, 31, v2
	v_lshl_add_u64 v[10:11], v[2:3], 2, s[6:7]
	global_load_dword v2, v[4:5], off
	global_load_dword v24, v[6:7], off
	;; [unrolled: 1-line block ×4, first 2 shown]
	s_andn2_b64 vcc, exec, s[14:15]
	s_cbranch_vccnz .LBB1083_8
; %bb.6:
	s_add_u32 s12, s12, s16
	s_addc_u32 s13, s13, s17
	s_load_dword s14, s[12:13], 0x0
	s_branch .LBB1083_9
.LBB1083_7:
	s_mov_b64 s[8:9], 0
	s_branch .LBB1083_2
.LBB1083_8:
	s_mov_b32 s14, s2
.LBB1083_9:
	s_load_dwordx4 s[44:47], s[0:1], 0x48
	v_and_b32_e32 v58, 15, v0
	v_lshlrev_b32_e32 v3, 3, v58
	s_movk_i32 s12, 0x100
	v_lshrrev_b32_e32 v60, 6, v0
	v_and_b32_e32 v61, 63, v0
	v_bfe_u32 v1, v0, 4, 2
	s_lshl_b32 s25, s4, 4
	v_cmp_gt_u32_e32 vcc, s12, v0
	v_lshlrev_b32_e32 v54, 1, v3
	v_lshlrev_b32_e32 v59, 4, v0
	s_and_saveexec_b64 s[12:13], vcc
	s_cbranch_execz .LBB1083_11
; %bb.10:
	s_load_dwordx2 s[16:17], s[0:1], 0x0
	s_waitcnt lgkmcnt(0)
	s_ashr_i32 s15, s44, 31
	s_mul_hi_u32 s19, s14, s44
	s_mul_i32 s15, s14, s15
	s_add_i32 s15, s19, s15
	s_mul_i32 s14, s14, s44
	v_lshl_or_b32 v3, v60, 2, v1
	s_lshl_b64 s[14:15], s[14:15], 1
	s_add_u32 s14, s16, s14
	v_add_lshl_u32 v4, v3, s25, 7
	s_addc_u32 s15, s17, s15
	v_ashrrev_i32_e32 v5, 31, v4
	v_lshl_add_u64 v[4:5], v[4:5], 1, s[14:15]
	v_mov_b32_e32 v55, 0
	v_lshl_add_u64 v[4:5], v[4:5], 0, v[54:55]
	global_load_dwordx4 v[4:7], v[4:5], off
	v_lshlrev_b32_e32 v9, 8, v0
	v_lshlrev_b32_e32 v8, 8, v58
	v_and_b32_e32 v9, 0x600, v9
	s_movk_i32 s14, 0x800
	v_and_or_b32 v8, v8, s14, v9
	v_lshlrev_b32_e32 v3, 5, v3
	v_and_b32_e32 v9, 16, v59
	v_or3_b32 v3, v8, v3, v9
	s_waitcnt vmcnt(0)
	ds_write_b128 v3, v[4:7]
.LBB1083_11:
	s_or_b64 exec, exec, s[12:13]
	s_waitcnt lgkmcnt(0)
	s_mul_i32 s12, s4, s46
	s_add_u32 s8, s8, s12
	s_addc_u32 s9, s9, 0
	v_mov_b32_e32 v57, 0
	v_mov_b64_e32 v[16:17], s[8:9]
	v_and_b32_e32 v8, 48, v0
	s_waitcnt vmcnt(3)
	v_mad_i64_i32 v[2:3], s[8:9], v2, s45, v[16:17]
	v_lshlrev_b32_e32 v14, 4, v58
	v_mov_b32_e32 v15, v57
	v_lshlrev_b32_e32 v56, 5, v8
	v_lshl_add_u64 v[2:3], v[2:3], 0, v[14:15]
	v_lshl_add_u64 v[6:7], v[2:3], 0, v[56:57]
	s_load_dword s33, s[0:1], 0x98
	s_load_dwordx4 s[40:43], s[0:1], 0x80
	s_waitcnt lgkmcnt(0)
	s_barrier
	global_load_dwordx4 v[30:33], v[6:7], off
	global_load_dwordx4 v[2:5], v[6:7], off offset:2048
	s_ashr_i32 s4, s18, 31
	v_mov_b32_e32 v38, s5
	v_or_b32_e32 v34, 0x100, v14
	v_mov_b32_e32 v35, v57
	s_lshr_b32 s9, s4, 27
	s_waitcnt vmcnt(4)
	v_mad_i64_i32 v[24:25], s[4:5], v24, s45, v[16:17]
	v_lshlrev_b32_e32 v62, 5, v58
	v_lshl_add_u64 v[24:25], v[24:25], 0, v[34:35]
	v_lshl_or_b32 v55, v1, 9, v62
	v_lshl_add_u64 v[24:25], v[24:25], 0, v[56:57]
	v_or_b32_e32 v39, s18, v8
	ds_read_b128 v[26:29], v55
	ds_read_b128 v[18:21], v55 offset:16
	ds_read_b128 v[10:13], v55 offset:2048
	;; [unrolled: 1-line block ×3, first 2 shown]
	global_load_dwordx4 v[46:49], v[24:25], off
	v_or_b32_e32 v41, 0x80, v39
	v_or_b32_e32 v51, 0xc0, v39
	s_waitcnt vmcnt(4)
	v_mad_i64_i32 v[36:37], s[4:5], v22, s45, v[16:17]
	v_add_u32_e32 v42, s9, v41
	v_add_u32_e32 v43, s9, v51
	v_lshl_add_u64 v[14:15], v[36:37], 0, v[14:15]
	v_ashrrev_i32_e32 v36, 5, v42
	v_ashrrev_i32_e32 v37, 5, v43
	global_load_dwordx4 v[42:45], v[24:25], off offset:2048
	v_or_b32_e32 v40, 64, v39
	v_add_u32_e32 v22, s9, v39
	s_waitcnt vmcnt(4)
	v_mad_i64_i32 v[16:17], s[4:5], v23, s45, v[16:17]
	v_add_u32_e32 v23, s9, v40
	v_ashrrev_i32_e32 v22, 5, v22
	v_cmp_gt_i32_e32 vcc, s38, v39
	v_ashrrev_i32_e32 v23, 5, v23
	v_lshl_add_u64 v[16:17], v[16:17], 0, v[34:35]
	v_cndmask_b32_e32 v50, v38, v22, vcc
	v_cmp_gt_i32_e32 vcc, s38, v40
	v_lshl_add_u64 v[14:15], v[14:15], 0, v[56:57]
	v_lshl_add_u64 v[34:35], v[16:17], 0, v[56:57]
	v_cndmask_b32_e32 v52, v38, v23, vcc
	v_cmp_gt_i32_e32 vcc, s38, v41
	v_ashrrev_i32_e32 v53, 31, v52
	v_lshl_add_u64 v[52:53], v[52:53], 2, s[6:7]
	v_cndmask_b32_e32 v64, v38, v36, vcc
	v_cmp_gt_i32_e32 vcc, s38, v51
	v_ashrrev_i32_e32 v51, 31, v50
	v_lshl_add_u64 v[50:51], v[50:51], 2, s[6:7]
	v_cndmask_b32_e32 v66, v38, v37, vcc
	global_load_dwordx4 v[22:25], v[14:15], off
	s_nop 0
	global_load_dwordx4 v[14:17], v[14:15], off offset:2048
	s_nop 0
	global_load_dwordx4 v[38:41], v[34:35], off
	s_nop 0
	global_load_dwordx4 v[34:37], v[34:35], off offset:2048
	v_ashrrev_i32_e32 v67, 31, v66
	v_lshl_add_u64 v[68:69], v[66:67], 2, s[6:7]
	v_ashrrev_i32_e32 v65, 31, v64
	v_lshl_add_u64 v[64:65], v[64:65], 2, s[6:7]
	s_add_u32 s4, s10, s12
	s_addc_u32 s5, s11, 0
	v_and_b32_e32 v56, 16, v0
	v_lshl_or_b32 v63, v60, 4, v58
	s_load_dword s8, s[0:1], 0x1c
	s_waitcnt vmcnt(7)
	v_cvt_pk_f32_fp8_e32 v[66:67], v30
	v_cvt_pk_f32_fp8_sdwa v[70:71], v30 src0_sel:WORD_1
	v_cvt_pk_f32_fp8_e32 v[72:73], v31
	v_cvt_pk_f32_fp8_sdwa v[30:31], v31 src0_sel:WORD_1
	;; [unrolled: 2-line block ×4, first 2 shown]
	v_cvt_pkrtz_f16_f32 v32, v66, v67
	v_cvt_pkrtz_f16_f32 v33, v70, v71
	;; [unrolled: 1-line block ×4, first 2 shown]
	s_waitcnt lgkmcnt(0)
	v_mfma_f32_16x16x16_f16 v[30:33], v[32:33], v[26:27], 0
	v_cvt_pkrtz_f16_f32 v74, v74, v75
	v_cvt_pkrtz_f16_f32 v75, v76, v77
	s_waitcnt vmcnt(6)
	v_cvt_pk_f32_fp8_e32 v[70:71], v2
	v_mfma_f32_16x16x16_f16 v[30:33], v[66:67], v[28:29], v[30:33]
	global_load_dword v67, v[50:51], off
	global_load_dword v66, v[52:53], off
	s_nop 0
	global_load_dword v65, v[64:65], off
	s_nop 0
	global_load_dword v64, v[68:69], off
	v_cvt_pk_f32_fp8_sdwa v[82:83], v2 src0_sel:WORD_1
	v_cvt_pkrtz_f16_f32 v76, v78, v79
	v_cvt_pkrtz_f16_f32 v77, v80, v81
	v_mfma_f32_16x16x16_f16 v[30:33], v[74:75], v[18:19], v[30:33]
	v_cvt_pkrtz_f16_f32 v50, v70, v71
	v_cvt_pkrtz_f16_f32 v51, v82, v83
	v_cvt_pk_f32_fp8_e32 v[72:73], v3
	v_cvt_pk_f32_fp8_sdwa v[2:3], v3 src0_sel:WORD_1
	v_mfma_f32_16x16x16_f16 v[30:33], v[76:77], v[20:21], v[30:33]
	v_cvt_pk_f32_fp8_e32 v[68:69], v5
	v_cvt_pkrtz_f16_f32 v52, v72, v73
	v_cvt_pkrtz_f16_f32 v53, v2, v3
	v_mfma_f32_16x16x16_f16 v[30:33], v[50:51], v[10:11], v[30:33]
	v_cvt_pk_f32_fp8_e32 v[2:3], v4
	v_cvt_pk_f32_fp8_sdwa v[50:51], v4 src0_sel:WORD_1
	v_cvt_pk_f32_fp8_sdwa v[4:5], v5 src0_sel:WORD_1
	v_mfma_f32_16x16x16_f16 v[30:33], v[52:53], v[12:13], v[30:33]
	v_cvt_pkrtz_f16_f32 v2, v2, v3
	v_cvt_pkrtz_f16_f32 v3, v50, v51
	;; [unrolled: 1-line block ×3, first 2 shown]
	s_waitcnt vmcnt(9)
	v_cvt_pk_f32_fp8_e32 v[52:53], v46
	v_cvt_pk_f32_fp8_sdwa v[68:69], v46 src0_sel:WORD_1
	v_cvt_pkrtz_f16_f32 v51, v4, v5
	v_mfma_f32_16x16x16_f16 v[2:5], v[2:3], v[6:7], v[30:33]
	s_waitcnt vmcnt(8)
	v_cvt_pk_f32_fp8_sdwa v[70:71], v42 src0_sel:WORD_1
	s_waitcnt vmcnt(6)
	v_cvt_pk_f32_fp8_e32 v[74:75], v15
	v_cvt_pk_f32_fp8_sdwa v[80:81], v17 src0_sel:WORD_1
	v_cvt_pkrtz_f16_f32 v30, v52, v53
	v_cvt_pkrtz_f16_f32 v31, v68, v69
	v_cvt_pk_f32_fp8_e32 v[32:33], v47
	v_cvt_pk_f32_fp8_sdwa v[46:47], v47 src0_sel:WORD_1
	v_mfma_f32_16x16x16_f16 v[50:53], v[50:51], v[8:9], v[2:5]
	v_cvt_pk_f32_fp8_sdwa v[68:69], v48 src0_sel:WORD_1
	v_cvt_pkrtz_f16_f32 v32, v32, v33
	v_cvt_pkrtz_f16_f32 v33, v46, v47
	v_mfma_f32_16x16x16_f16 v[2:5], v[30:31], v[26:27], 0
	v_cvt_pk_f32_fp8_e32 v[30:31], v48
	v_lshl_add_u64 v[46:47], s[4:5], 0, v[56:57]
	v_lshlrev_b32_e32 v56, 5, v63
	v_mfma_f32_16x16x16_f16 v[2:5], v[32:33], v[28:29], v[2:5]
	v_cvt_pk_f32_fp8_e32 v[32:33], v49
	v_cvt_pkrtz_f16_f32 v30, v30, v31
	v_cvt_pkrtz_f16_f32 v31, v68, v69
	v_cvt_pk_f32_fp8_sdwa v[48:49], v49 src0_sel:WORD_1
	v_cvt_pkrtz_f16_f32 v32, v32, v33
	v_cvt_pk_f32_fp8_e32 v[68:69], v42
	v_mfma_f32_16x16x16_f16 v[2:5], v[30:31], v[18:19], v[2:5]
	v_cvt_pkrtz_f16_f32 v33, v48, v49
	v_cvt_pkrtz_f16_f32 v30, v68, v69
	;; [unrolled: 1-line block ×3, first 2 shown]
	v_cvt_pk_f32_fp8_e32 v[48:49], v43
	v_cvt_pk_f32_fp8_sdwa v[42:43], v43 src0_sel:WORD_1
	v_mfma_f32_16x16x16_f16 v[2:5], v[32:33], v[20:21], v[2:5]
	v_lshl_add_u64 v[68:69], v[46:47], 0, v[56:57]
	v_cvt_pkrtz_f16_f32 v32, v48, v49
	v_cvt_pkrtz_f16_f32 v33, v42, v43
	v_mfma_f32_16x16x16_f16 v[2:5], v[30:31], v[10:11], v[2:5]
	v_cvt_pk_f32_fp8_e32 v[30:31], v44
	v_cvt_pk_f32_fp8_sdwa v[42:43], v44 src0_sel:WORD_1
	v_cvt_pk_f32_fp8_sdwa v[48:49], v22 src0_sel:WORD_1
	v_mfma_f32_16x16x16_f16 v[2:5], v[32:33], v[12:13], v[2:5]
	v_cvt_pkrtz_f16_f32 v30, v30, v31
	v_cvt_pkrtz_f16_f32 v31, v42, v43
	v_cvt_pk_f32_fp8_e32 v[32:33], v45
	v_cvt_pk_f32_fp8_sdwa v[42:43], v45 src0_sel:WORD_1
	v_cvt_pk_f32_fp8_e32 v[44:45], v22
	v_mfma_f32_16x16x16_f16 v[2:5], v[30:31], v[6:7], v[2:5]
	v_cvt_pkrtz_f16_f32 v32, v32, v33
	v_cvt_pkrtz_f16_f32 v33, v42, v43
	;; [unrolled: 1-line block ×4, first 2 shown]
	v_cvt_pk_f32_fp8_e32 v[48:49], v23
	v_cvt_pk_f32_fp8_sdwa v[22:23], v23 src0_sel:WORD_1
	v_mfma_f32_16x16x16_f16 v[42:45], v[32:33], v[8:9], v[2:5]
	v_or_b32_e32 v56, 0x800, v56
	v_cvt_pkrtz_f16_f32 v32, v48, v49
	v_cvt_pkrtz_f16_f32 v33, v22, v23
	v_mfma_f32_16x16x16_f16 v[2:5], v[30:31], v[26:27], 0
	v_cvt_pk_f32_fp8_e32 v[22:23], v24
	v_cvt_pk_f32_fp8_sdwa v[30:31], v24 src0_sel:WORD_1
	s_waitcnt vmcnt(3)
	v_mad_i64_i32 v[48:49], s[4:5], v67, s45, v[68:69]
	v_cvt_pkrtz_f16_f32 v22, v22, v23
	v_cvt_pkrtz_f16_f32 v23, v30, v31
	v_cvt_pk_f32_fp8_e32 v[30:31], v25
	v_cvt_pk_f32_fp8_sdwa v[24:25], v25 src0_sel:WORD_1
	v_mfma_f32_16x16x16_f16 v[2:5], v[32:33], v[28:29], v[2:5]
	s_waitcnt vmcnt(2)
	v_mad_i64_i32 v[70:71], s[4:5], v66, s45, v[68:69]
	v_cvt_pkrtz_f16_f32 v72, v30, v31
	v_cvt_pkrtz_f16_f32 v73, v24, v25
	v_mfma_f32_16x16x16_f16 v[2:5], v[22:23], v[18:19], v[2:5]
	global_load_dwordx4 v[30:33], v[48:49], off
	global_load_dwordx4 v[22:25], v[70:71], off
	v_cvt_pk_f32_fp8_e32 v[70:71], v14
	s_waitcnt vmcnt(3)
	v_mad_i64_i32 v[48:49], s[4:5], v65, s45, v[68:69]
	v_mfma_f32_16x16x16_f16 v[2:5], v[72:73], v[20:21], v[2:5]
	v_cvt_pk_f32_fp8_sdwa v[72:73], v14 src0_sel:WORD_1
	v_cvt_pk_f32_fp8_sdwa v[14:15], v15 src0_sel:WORD_1
	v_cvt_pkrtz_f16_f32 v70, v70, v71
	s_waitcnt vmcnt(2)
	v_mad_i64_i32 v[76:77], s[4:5], v64, s45, v[68:69]
	v_cvt_pkrtz_f16_f32 v71, v72, v73
	v_cvt_pkrtz_f16_f32 v72, v74, v75
	;; [unrolled: 1-line block ×3, first 2 shown]
	v_cvt_pk_f32_fp8_e32 v[14:15], v16
	v_cvt_pk_f32_fp8_sdwa v[74:75], v16 src0_sel:WORD_1
	v_mfma_f32_16x16x16_f16 v[68:71], v[70:71], v[10:11], v[2:5]
	v_lshl_add_u64 v[46:47], v[46:47], 0, v[56:57]
	v_cvt_pkrtz_f16_f32 v78, v14, v15
	v_cvt_pkrtz_f16_f32 v79, v74, v75
	v_cvt_pk_f32_fp8_e32 v[74:75], v17
	v_mfma_f32_16x16x16_f16 v[68:71], v[72:73], v[12:13], v[68:71]
	global_load_dwordx4 v[14:17], v[48:49], off
	global_load_dwordx4 v[2:5], v[76:77], off
	v_cvt_pkrtz_f16_f32 v49, v80, v81
	v_cvt_pkrtz_f16_f32 v48, v74, v75
	v_mfma_f32_16x16x16_f16 v[68:71], v[78:79], v[6:7], v[68:71]
	v_cvt_pk_f32_fp8_e32 v[56:57], v38
	v_cvt_pk_f32_fp8_sdwa v[72:73], v38 src0_sel:WORD_1
	s_load_dword s4, s[40:41], 0x0
	v_mfma_f32_16x16x16_f16 v[68:71], v[48:49], v[8:9], v[68:71]
	v_cvt_pk_f32_fp8_e32 v[48:49], v39
	v_cvt_pkrtz_f16_f32 v56, v56, v57
	v_cvt_pkrtz_f16_f32 v57, v72, v73
	v_cvt_pk_f32_fp8_sdwa v[38:39], v39 src0_sel:WORD_1
	v_cvt_pkrtz_f16_f32 v48, v48, v49
	v_cvt_pk_f32_fp8_e32 v[76:77], v40
	v_cvt_pk_f32_fp8_sdwa v[78:79], v40 src0_sel:WORD_1
	v_cvt_pkrtz_f16_f32 v49, v38, v39
	v_mfma_f32_16x16x16_f16 v[72:75], v[56:57], v[26:27], 0
	v_cvt_pkrtz_f16_f32 v56, v76, v77
	v_cvt_pkrtz_f16_f32 v57, v78, v79
	v_cvt_pk_f32_fp8_e32 v[76:77], v41
	v_cvt_pk_f32_fp8_sdwa v[40:41], v41 src0_sel:WORD_1
	v_mov_b32_e32 v26, s8
	s_waitcnt lgkmcnt(0)
	v_mul_f32_e32 v78, s4, v26
	v_mfma_f32_16x16x16_f16 v[26:29], v[48:49], v[28:29], v[72:75]
	v_cvt_pkrtz_f16_f32 v48, v76, v77
	v_cvt_pkrtz_f16_f32 v49, v40, v41
	v_pk_mul_f32 v[38:39], v[78:79], v[52:53] op_sel_hi:[0,1]
	v_mfma_f32_16x16x16_f16 v[26:29], v[56:57], v[18:19], v[26:29]
	v_cvt_pk_f32_fp8_e32 v[18:19], v34
	v_cvt_pk_f32_fp8_sdwa v[52:53], v34 src0_sel:WORD_1
	v_pk_mul_f32 v[40:41], v[78:79], v[50:51] op_sel_hi:[0,1]
	v_mfma_f32_16x16x16_f16 v[26:29], v[48:49], v[20:21], v[26:29]
	v_cvt_pkrtz_f16_f32 v20, v18, v19
	v_cvt_pkrtz_f16_f32 v21, v52, v53
	v_cvt_pk_f32_fp8_e32 v[48:49], v35
	v_cvt_pk_f32_fp8_sdwa v[34:35], v35 src0_sel:WORD_1
	v_mfma_f32_16x16x16_f16 v[26:29], v[20:21], v[10:11], v[26:29]
	v_cvt_pkrtz_f16_f32 v48, v48, v49
	v_cvt_pkrtz_f16_f32 v49, v34, v35
	v_cvt_pk_f32_fp8_e32 v[10:11], v36
	v_cvt_pk_f32_fp8_sdwa v[20:21], v36 src0_sel:WORD_1
	s_mov_b32 s40, 0xff7fffff
	v_pk_mul_f32 v[52:53], v[78:79], v[42:43] op_sel_hi:[0,1]
	v_cvt_pkrtz_f16_f32 v50, v10, v11
	v_cvt_pkrtz_f16_f32 v51, v20, v21
	v_cvt_pk_f32_fp8_e32 v[20:21], v37
	v_cvt_pk_f32_fp8_sdwa v[36:37], v37 src0_sel:WORD_1
	v_mfma_f32_16x16x16_f16 v[10:13], v[48:49], v[12:13], v[26:29]
	v_pk_mul_f32 v[44:45], v[78:79], v[44:45] op_sel_hi:[0,1]
	v_cvt_pkrtz_f16_f32 v20, v20, v21
	v_cvt_pkrtz_f16_f32 v21, v36, v37
	v_mfma_f32_16x16x16_f16 v[10:13], v[50:51], v[6:7], v[10:13]
	v_pk_mul_f32 v[50:51], v[78:79], v[68:69] op_sel_hi:[0,1]
	v_pk_mul_f32 v[42:43], v[78:79], v[70:71] op_sel_hi:[0,1]
	v_mad_i64_i32 v[18:19], s[4:5], v67, s45, v[46:47]
	v_mfma_f32_16x16x16_f16 v[6:9], v[20:21], v[8:9], v[10:13]
	v_mad_i64_i32 v[34:35], s[4:5], v66, s45, v[46:47]
	global_load_dwordx4 v[26:29], v[18:19], off
	s_nop 0
	global_load_dwordx4 v[18:21], v[34:35], off
	s_nop 2
	v_pk_mul_f32 v[48:49], v[78:79], v[6:7] op_sel_hi:[0,1]
	v_and_b32_e32 v6, 0xc0, v0
	v_add_u32_e32 v6, s18, v6
	v_lshl_or_b32 v6, v1, 2, v6
	v_pk_mul_f32 v[36:37], v[78:79], v[8:9] op_sel_hi:[0,1]
	v_or_b32_e32 v9, 1, v6
	v_mov_b32_e32 v7, 0xff7fffff
	v_cmp_gt_i32_e64 s[26:27], s38, v6
	v_cmp_gt_i32_e64 s[28:29], s38, v9
	v_or_b32_e32 v10, 3, v6
	v_cndmask_b32_e64 v8, v7, v40, s[26:27]
	v_cndmask_b32_e64 v9, v7, v41, s[28:29]
	v_max3_f32 v8, v8, s40, v9
	v_or_b32_e32 v9, 2, v6
	v_cmp_gt_i32_e64 s[30:31], s38, v9
	v_cmp_gt_i32_e64 s[34:35], s38, v10
	s_nop 0
	v_cndmask_b32_e64 v9, v7, v38, s[30:31]
	v_cndmask_b32_e64 v10, v7, v39, s[34:35]
	v_max3_f32 v8, v8, v9, v10
	v_or_b32_e32 v9, 16, v6
	v_or_b32_e32 v10, 17, v6
	v_cmp_gt_i32_e64 s[18:19], s38, v9
	v_cmp_gt_i32_e64 s[20:21], s38, v10
	s_nop 0
	v_cndmask_b32_e64 v9, v7, v52, s[18:19]
	v_cndmask_b32_e64 v10, v7, v53, s[20:21]
	v_max3_f32 v8, v8, v9, v10
	v_or_b32_e32 v9, 18, v6
	v_or_b32_e32 v10, 19, v6
	v_cmp_gt_i32_e64 s[22:23], s38, v9
	v_cmp_gt_i32_e64 s[36:37], s38, v10
	s_nop 0
	v_cndmask_b32_e64 v9, v7, v44, s[22:23]
	v_cndmask_b32_e64 v10, v7, v45, s[36:37]
	v_max3_f32 v8, v8, v9, v10
	v_or_b32_e32 v9, 32, v6
	v_or_b32_e32 v10, 33, v6
	v_cmp_gt_i32_e64 s[10:11], s38, v9
	v_cmp_gt_i32_e64 s[12:13], s38, v10
	s_nop 0
	v_cndmask_b32_e64 v9, v7, v50, s[10:11]
	v_cndmask_b32_e64 v10, v7, v51, s[12:13]
	v_max3_f32 v8, v8, v9, v10
	v_or_b32_e32 v9, 34, v6
	v_or_b32_e32 v10, 35, v6
	v_cmp_gt_i32_e64 s[14:15], s38, v9
	v_cmp_gt_i32_e64 s[16:17], s38, v10
	s_nop 0
	v_cndmask_b32_e64 v9, v7, v42, s[14:15]
	v_cndmask_b32_e64 v10, v7, v43, s[16:17]
	v_max3_f32 v8, v8, v9, v10
	v_or_b32_e32 v9, 48, v6
	v_or_b32_e32 v10, 49, v6
	v_cmp_gt_i32_e32 vcc, s38, v9
	v_cmp_gt_i32_e64 s[4:5], s38, v10
	s_nop 0
	v_cndmask_b32_e32 v9, v7, v48, vcc
	v_cndmask_b32_e64 v10, v7, v49, s[4:5]
	v_max3_f32 v8, v8, v9, v10
	v_or_b32_e32 v9, 50, v6
	v_or_b32_e32 v6, 51, v6
	v_cmp_gt_i32_e64 s[6:7], s38, v9
	v_cmp_gt_i32_e64 s[8:9], s38, v6
	s_nop 0
	v_cndmask_b32_e64 v9, v7, v36, s[6:7]
	v_cndmask_b32_e64 v6, v7, v37, s[8:9]
	v_max3_f32 v8, v8, v9, v6
	v_mbcnt_lo_u32_b32 v6, -1, 0
	v_mbcnt_hi_u32_b32 v9, -1, v6
	v_and_b32_e32 v6, 64, v9
	v_add_u32_e32 v10, 64, v6
	v_xor_b32_e32 v6, 32, v9
	v_cmp_lt_i32_e64 s[38:39], v6, v10
	s_nop 1
	v_cndmask_b32_e64 v6, v9, v6, s[38:39]
	v_lshlrev_b32_e32 v57, 2, v6
	ds_bpermute_b32 v11, v57, v8
	v_mad_i64_i32 v[6:7], s[38:39], v65, s45, v[46:47]
	s_waitcnt lgkmcnt(0)
	v_max_f32_e32 v11, v11, v11
	v_max_f32_e32 v34, v8, v11
	v_xor_b32_e32 v8, 16, v9
	v_cmp_lt_i32_e64 s[38:39], v8, v10
	s_nop 1
	v_cndmask_b32_e64 v8, v9, v8, s[38:39]
	v_lshlrev_b32_e32 v65, 2, v8
	v_mad_i64_i32 v[8:9], s[38:39], v64, s45, v[46:47]
	global_load_dwordx4 v[10:13], v[6:7], off
	s_nop 0
	global_load_dwordx4 v[6:9], v[8:9], off
	ds_bpermute_b32 v35, v65, v34
	s_waitcnt lgkmcnt(0)
	s_barrier
	v_max_f32_e32 v35, v35, v35
	v_max_f32_e32 v56, v34, v35
	v_sub_f32_e32 v46, v50, v56
	v_sub_f32_e32 v42, v42, v56
	;; [unrolled: 1-line block ×3, first 2 shown]
	v_mul_f32_e32 v46, 0x3fb8aa3b, v46
	v_mul_f32_e32 v42, 0x3fb8aa3b, v42
	;; [unrolled: 1-line block ×3, first 2 shown]
	v_sub_f32_e32 v39, v39, v56
	v_exp_f32_e32 v46, v46
	v_exp_f32_e32 v50, v42
	v_sub_f32_e32 v34, v40, v56
	v_exp_f32_e32 v38, v38
	v_mul_f32_e32 v39, 0x3fb8aa3b, v39
	v_mul_f32_e32 v34, 0x3fb8aa3b, v34
	v_sub_f32_e32 v35, v41, v56
	v_exp_f32_e32 v39, v39
	v_sub_f32_e32 v47, v51, v56
	v_sub_f32_e32 v42, v43, v56
	;; [unrolled: 1-line block ×4, first 2 shown]
	v_exp_f32_e32 v34, v34
	v_mul_f32_e32 v35, 0x3fb8aa3b, v35
	v_mul_f32_e32 v47, 0x3fb8aa3b, v47
	;; [unrolled: 1-line block ×5, first 2 shown]
	v_exp_f32_e32 v35, v35
	v_exp_f32_e32 v47, v47
	;; [unrolled: 1-line block ×3, first 2 shown]
	v_cndmask_b32_e64 v42, 0, v46, s[10:11]
	v_cndmask_b32_e64 v46, 0, v50, s[14:15]
	v_exp_f32_e32 v48, v48
	v_exp_f32_e32 v50, v36
	v_cndmask_b32_e64 v40, 0, v38, s[30:31]
	v_sub_f32_e32 v38, v52, v56
	v_cndmask_b32_e64 v41, 0, v39, s[34:35]
	v_mul_f32_e32 v38, 0x3fb8aa3b, v38
	v_sub_f32_e32 v39, v53, v56
	v_sub_f32_e32 v36, v37, v56
	v_cndmask_b32_e64 v34, 0, v34, s[26:27]
	v_exp_f32_e32 v38, v38
	v_mul_f32_e32 v39, 0x3fb8aa3b, v39
	v_sub_f32_e32 v44, v44, v56
	v_mul_f32_e32 v36, 0x3fb8aa3b, v36
	v_cndmask_b32_e64 v35, 0, v35, s[28:29]
	v_exp_f32_e32 v39, v39
	v_mul_f32_e32 v44, 0x3fb8aa3b, v44
	v_sub_f32_e32 v45, v45, v56
	v_cndmask_b32_e64 v43, 0, v47, s[12:13]
	v_cndmask_b32_e64 v47, 0, v51, s[16:17]
	v_exp_f32_e32 v51, v36
	v_cndmask_b32_e32 v36, 0, v48, vcc
	v_cndmask_b32_e64 v48, 0, v50, s[6:7]
	v_add_f32_e32 v50, 0, v34
	v_exp_f32_e32 v44, v44
	v_mul_f32_e32 v45, 0x3fb8aa3b, v45
	v_add_f32_e32 v50, v50, v35
	v_exp_f32_e32 v45, v45
	v_add_f32_e32 v50, v50, v40
	v_cndmask_b32_e64 v38, 0, v38, s[18:19]
	v_add_f32_e32 v50, v50, v41
	v_cndmask_b32_e64 v39, 0, v39, s[20:21]
	;; [unrolled: 2-line block ×4, first 2 shown]
	v_sub_f32_e32 v49, v49, v56
	v_add_f32_e32 v50, v50, v44
	v_mul_f32_e32 v49, 0x3fb8aa3b, v49
	v_add_f32_e32 v50, v50, v45
	v_exp_f32_e32 v49, v49
	v_add_f32_e32 v50, v50, v42
	v_add_f32_e32 v50, v50, v43
	;; [unrolled: 1-line block ×4, first 2 shown]
	v_cndmask_b32_e64 v37, 0, v49, s[4:5]
	v_add_f32_e32 v50, v50, v36
	v_add_f32_e32 v50, v50, v37
	v_cndmask_b32_e64 v49, 0, v51, s[8:9]
	v_add_f32_e32 v50, v50, v48
	v_add_f32_e32 v50, v50, v49
	ds_bpermute_b32 v51, v57, v50
	v_cmp_gt_u32_e32 vcc, 16, v61
	s_waitcnt lgkmcnt(0)
	v_add_f32_e32 v50, v50, v51
	ds_bpermute_b32 v51, v65, v50
	s_and_saveexec_b64 s[4:5], vcc
	s_cbranch_execz .LBB1083_13
; %bb.12:
	s_waitcnt lgkmcnt(0)
	v_add_f32_e32 v50, v50, v51
	v_lshlrev_b32_e32 v51, 2, v63
	ds_write2st64_b32 v51, v56, v50 offset1:1
.LBB1083_13:
	s_or_b64 exec, exec, s[4:5]
	s_waitcnt lgkmcnt(0)
	v_lshlrev_b32_e32 v51, 2, v58
	s_load_dword s6, s[0:1], 0x94
	s_waitcnt lgkmcnt(0)
	s_barrier
	ds_read2_b32 v[52:53], v51 offset1:16
	ds_read2_b32 v[56:57], v51 offset0:32 offset1:48
	ds_read2_b32 v[64:65], v51 offset0:64 offset1:80
	s_lshl_b32 s7, s33, 4
	s_waitcnt lgkmcnt(2)
	v_max3_f32 v50, v52, s40, v53
	s_waitcnt lgkmcnt(1)
	v_max3_f32 v50, v50, v56, v57
	v_sub_f32_e32 v52, v52, v50
	v_mul_f32_e32 v52, 0x3fb8aa3b, v52
	v_exp_f32_e32 v61, v52
	v_sub_f32_e32 v52, v53, v50
	v_mul_f32_e32 v52, 0x3fb8aa3b, v52
	v_exp_f32_e32 v63, v52
	;; [unrolled: 3-line block ×3, first 2 shown]
	ds_read2_b32 v[52:53], v51 offset0:96 offset1:112
	v_sub_f32_e32 v51, v57, v50
	v_mul_f32_e32 v51, 0x3fb8aa3b, v51
	v_exp_f32_e32 v57, v51
	s_waitcnt lgkmcnt(1)
	v_fma_f32 v51, v61, v64, 0
	v_fmac_f32_e32 v51, v63, v65
	s_waitcnt lgkmcnt(0)
	v_fmac_f32_e32 v51, v56, v52
	v_fmac_f32_e32 v51, v57, v53
	v_add_f32_e32 v52, 0x358637bd, v51
	v_div_scale_f32 v53, s[4:5], v52, v52, 1.0
	v_rcp_f32_e32 v64, v53
	s_barrier
	v_fma_f32 v65, -v53, v64, 1.0
	v_fmac_f32_e32 v64, v65, v64
	v_div_scale_f32 v65, vcc, 1.0, v52, 1.0
	v_mul_f32_e32 v66, v65, v64
	v_fma_f32 v67, -v53, v66, v65
	v_fmac_f32_e32 v66, v67, v64
	v_fma_f32 v53, -v53, v66, v65
	v_div_fmas_f32 v53, v53, v64, v66
	v_cmp_eq_u32_e32 vcc, 1, v60
	v_div_fixup_f32 v52, v53, v52, 1.0
	s_nop 0
	v_cndmask_b32_e32 v53, v61, v63, vcc
	v_cmp_eq_u32_e32 vcc, 2, v60
	s_nop 1
	v_cndmask_b32_e32 v53, v53, v56, vcc
	v_cmp_eq_u32_e32 vcc, 3, v60
	s_nop 1
	v_cndmask_b32_e32 v53, v53, v57, vcc
	v_mul_f32_e32 v52, v53, v52
	v_pk_mul_f32 v[40:41], v[52:53], v[40:41] op_sel_hi:[0,1]
	v_pk_mul_f32 v[34:35], v[52:53], v[34:35] op_sel_hi:[0,1]
	v_cvt_f16_f32_e32 v34, v34
	v_cvt_f16_f32_e32 v35, v35
	v_cvt_f16_f32_e32 v40, v40
	v_cvt_f16_f32_e32 v41, v41
	v_lshlrev_b32_e32 v53, 3, v1
	v_pack_b32_f16 v34, v34, v35
	v_pk_mul_f32 v[38:39], v[52:53], v[38:39] op_sel_hi:[0,1]
	v_pack_b32_f16 v35, v40, v41
	v_pk_mul_f32 v[40:41], v[52:53], v[44:45] op_sel_hi:[0,1]
	v_cvt_f16_f32_e32 v38, v38
	v_cvt_f16_f32_e32 v39, v39
	;; [unrolled: 1-line block ×4, first 2 shown]
	v_lshlrev_b32_e32 v44, 11, v60
	v_or3_b32 v56, v44, v62, v53
	v_pack_b32_f16 v38, v38, v39
	v_pack_b32_f16 v39, v40, v41
	ds_write2st64_b64 v56, v[34:35], v[38:39] offset1:1
	v_pk_mul_f32 v[34:35], v[52:53], v[46:47] op_sel_hi:[0,1]
	v_pk_mul_f32 v[38:39], v[52:53], v[42:43] op_sel_hi:[0,1]
	v_cvt_f16_f32_e32 v40, v34
	v_cvt_f16_f32_e32 v41, v35
	v_pk_mul_f32 v[34:35], v[52:53], v[48:49] op_sel_hi:[0,1]
	v_pk_mul_f32 v[36:37], v[52:53], v[36:37] op_sel_hi:[0,1]
	v_cvt_f16_f32_e32 v38, v38
	v_cvt_f16_f32_e32 v39, v39
	v_cvt_f16_f32_e32 v36, v36
	v_cvt_f16_f32_e32 v37, v37
	v_cvt_f16_f32_e32 v42, v34
	v_cvt_f16_f32_e32 v43, v35
	v_pack_b32_f16 v34, v38, v39
	v_pack_b32_f16 v35, v40, v41
	;; [unrolled: 1-line block ×4, first 2 shown]
	v_cmp_gt_u32_e32 vcc, 16, v0
	ds_write2st64_b64 v56, v[34:35], v[36:37] offset0:2 offset1:3
	s_and_saveexec_b64 s[4:5], vcc
	s_cbranch_execz .LBB1083_15
; %bb.14:
	v_or_b32_e32 v34, s25, v0
	v_mov_b32_e32 v35, 0
	v_mov_b32_e32 v36, s7
	v_mad_u64_u32 v[36:37], s[12:13], s2, v36, v[34:35]
	v_mov_b32_e32 v34, s24
	s_load_dwordx4 s[8:11], s[0:1], 0x58
	s_mul_i32 s3, s3, s7
	v_mad_u64_u32 v[34:35], s[12:13], v36, s6, v[34:35]
	v_add_u32_e32 v37, s3, v37
	v_mov_b32_e32 v36, v35
	v_mad_u64_u32 v[36:37], s[12:13], v37, s6, v[36:37]
	v_mov_b32_e32 v35, v36
	v_lshlrev_b64 v[34:35], 2, v[34:35]
	s_waitcnt lgkmcnt(0)
	v_lshl_add_u64 v[36:37], s[10:11], 0, v[34:35]
	v_lshl_add_u64 v[34:35], s[8:9], 0, v[34:35]
	global_store_dword v[36:37], v50, off
	global_store_dword v[34:35], v51, off
.LBB1083_15:
	s_or_b64 exec, exec, s[4:5]
	s_waitcnt vmcnt(7)
	v_cvt_pk_f32_fp8_e32 v[34:35], v30
	v_cvt_pk_f32_fp8_sdwa v[36:37], v30 src0_sel:WORD_1
	s_waitcnt lgkmcnt(0)
	s_barrier
	v_cvt_pk_f32_fp8_e32 v[38:39], v31
	v_cvt_pkrtz_f16_f32 v30, v34, v35
	v_cvt_pk_f32_fp8_sdwa v[40:41], v31 src0_sel:WORD_1
	v_cvt_pkrtz_f16_f32 v31, v36, v37
	ds_read_b128 v[34:37], v55
	v_cvt_pkrtz_f16_f32 v46, v38, v39
	v_cvt_pkrtz_f16_f32 v47, v40, v41
	ds_read_b128 v[38:41], v55 offset:16
	v_cvt_pk_f32_fp8_e32 v[48:49], v32
	v_cvt_pk_f32_fp8_sdwa v[50:51], v32 src0_sel:WORD_1
	s_waitcnt lgkmcnt(1)
	v_mfma_f32_16x16x16_f16 v[42:45], v[30:31], v[34:35], 0
	s_waitcnt vmcnt(6)
	v_cvt_pk_f32_fp8_e32 v[52:53], v24
	v_cvt_pkrtz_f16_f32 v30, v48, v49
	v_cvt_pkrtz_f16_f32 v31, v50, v51
	v_cvt_pk_f32_fp8_e32 v[48:49], v33
	v_mfma_f32_16x16x16_f16 v[42:45], v[46:47], v[36:37], v[42:45]
	v_cvt_pk_f32_fp8_sdwa v[46:47], v33 src0_sel:WORD_1
	v_cvt_pk_f32_fp8_sdwa v[60:61], v24 src0_sel:WORD_1
	v_cvt_pkrtz_f16_f32 v48, v48, v49
	s_waitcnt lgkmcnt(0)
	v_mfma_f32_16x16x16_f16 v[30:33], v[30:31], v[38:39], v[42:45]
	v_cvt_pkrtz_f16_f32 v49, v46, v47
	s_waitcnt vmcnt(5)
	v_cvt_pk_f32_fp8_e32 v[62:63], v16
	v_cvt_pk_f32_fp8_sdwa v[64:65], v16 src0_sel:WORD_1
	v_cvt_pk_f32_fp8_e32 v[42:43], v22
	v_mfma_f32_16x16x16_f16 v[46:49], v[48:49], v[40:41], v[30:33]
	s_waitcnt vmcnt(4)
	v_cvt_pk_f32_fp8_e32 v[66:67], v4
	v_cvt_pk_f32_fp8_sdwa v[68:69], v4 src0_sel:WORD_1
	v_cvt_pk_f32_fp8_sdwa v[30:31], v22 src0_sel:WORD_1
	v_cvt_pk_f32_fp8_e32 v[32:33], v23
	v_cvt_pkrtz_f16_f32 v22, v42, v43
	v_cvt_pk_f32_fp8_sdwa v[42:43], v23 src0_sel:WORD_1
	v_cvt_pkrtz_f16_f32 v23, v30, v31
	v_cvt_pkrtz_f16_f32 v50, v32, v33
	ds_read_b128 v[30:33], v55 offset:2048
	v_cvt_pkrtz_f16_f32 v51, v42, v43
	ds_read_b128 v[42:45], v55 offset:2064
	s_waitcnt lgkmcnt(1)
	v_mfma_f32_16x16x16_f16 v[46:49], v[22:23], v[30:31], v[46:49]
	v_cvt_pkrtz_f16_f32 v22, v52, v53
	v_cvt_pkrtz_f16_f32 v23, v60, v61
	v_cvt_pk_f32_fp8_e32 v[52:53], v25
	v_mfma_f32_16x16x16_f16 v[46:49], v[50:51], v[32:33], v[46:49]
	v_cvt_pk_f32_fp8_sdwa v[50:51], v25 src0_sel:WORD_1
	s_load_dword s4, s[42:43], 0x0
	v_cvt_pkrtz_f16_f32 v52, v52, v53
	s_waitcnt lgkmcnt(0)
	v_mfma_f32_16x16x16_f16 v[22:25], v[22:23], v[42:43], v[46:49]
	v_cvt_pkrtz_f16_f32 v53, v50, v51
	s_mov_b32 s3, 0
	v_cmp_gt_u32_e32 vcc, 64, v0
	v_cvt_pk_f32_fp8_e32 v[46:47], v14
	v_mfma_f32_16x16x16_f16 v[50:53], v[52:53], v[44:45], v[22:25]
	s_nop 2
	v_cvt_pk_f32_fp8_sdwa v[22:23], v14 src0_sel:WORD_1
	v_cvt_pk_f32_fp8_e32 v[24:25], v15
	v_cvt_pkrtz_f16_f32 v14, v46, v47
	v_cvt_pk_f32_fp8_sdwa v[46:47], v15 src0_sel:WORD_1
	v_cvt_pkrtz_f16_f32 v15, v22, v23
	v_cvt_pkrtz_f16_f32 v60, v24, v25
	ds_read_b128 v[22:25], v55 offset:4096
	v_cvt_pkrtz_f16_f32 v61, v46, v47
	ds_read_b128 v[46:49], v55 offset:4112
	s_waitcnt lgkmcnt(1)
	v_mfma_f32_16x16x16_f16 v[50:53], v[14:15], v[22:23], v[50:53]
	v_cvt_pkrtz_f16_f32 v14, v62, v63
	v_cvt_pkrtz_f16_f32 v15, v64, v65
	v_cvt_pk_f32_fp8_e32 v[62:63], v17
	v_mfma_f32_16x16x16_f16 v[50:53], v[60:61], v[24:25], v[50:53]
	v_cvt_pk_f32_fp8_sdwa v[60:61], v17 src0_sel:WORD_1
	v_cvt_pkrtz_f16_f32 v62, v62, v63
	s_waitcnt lgkmcnt(0)
	v_mfma_f32_16x16x16_f16 v[14:17], v[14:15], v[46:47], v[50:53]
	v_cvt_pkrtz_f16_f32 v63, v60, v61
	s_nop 1
	v_cvt_pk_f32_fp8_e32 v[50:51], v2
	v_mfma_f32_16x16x16_f16 v[60:63], v[62:63], v[48:49], v[14:17]
	s_nop 2
	v_cvt_pk_f32_fp8_sdwa v[14:15], v2 src0_sel:WORD_1
	v_cvt_pk_f32_fp8_e32 v[16:17], v3
	v_cvt_pkrtz_f16_f32 v2, v50, v51
	v_cvt_pk_f32_fp8_sdwa v[50:51], v3 src0_sel:WORD_1
	v_cvt_pkrtz_f16_f32 v3, v14, v15
	v_cvt_pkrtz_f16_f32 v64, v16, v17
	ds_read_b128 v[14:17], v55 offset:6144
	v_cvt_pkrtz_f16_f32 v65, v50, v51
	ds_read_b128 v[50:53], v55 offset:6160
	s_waitcnt lgkmcnt(1)
	v_mfma_f32_16x16x16_f16 v[60:63], v[2:3], v[14:15], v[60:63]
	v_cvt_pkrtz_f16_f32 v2, v66, v67
	v_cvt_pkrtz_f16_f32 v3, v68, v69
	v_cvt_pk_f32_fp8_e32 v[66:67], v5
	v_mfma_f32_16x16x16_f16 v[60:63], v[64:65], v[16:17], v[60:63]
	v_cvt_pk_f32_fp8_sdwa v[64:65], v5 src0_sel:WORD_1
	s_waitcnt vmcnt(3)
	v_cvt_pk_f32_fp8_sdwa v[68:69], v28 src0_sel:WORD_1
	v_cvt_pkrtz_f16_f32 v66, v66, v67
	s_waitcnt lgkmcnt(0)
	v_mfma_f32_16x16x16_f16 v[2:5], v[2:3], v[50:51], v[60:63]
	v_cvt_pkrtz_f16_f32 v67, v64, v65
	v_cvt_pk_f32_fp8_e32 v[64:65], v27
	s_nop 0
	v_cvt_pk_f32_fp8_e32 v[60:61], v26
	v_cvt_pk_f32_fp8_sdwa v[62:63], v26 src0_sel:WORD_1
	v_cvt_pk_f32_fp8_sdwa v[26:27], v27 src0_sel:WORD_1
	v_mfma_f32_16x16x16_f16 v[2:5], v[66:67], v[52:53], v[2:5]
	v_cvt_pkrtz_f16_f32 v60, v60, v61
	v_cvt_pkrtz_f16_f32 v61, v62, v63
	;; [unrolled: 1-line block ×3, first 2 shown]
	v_cvt_pk_f32_fp8_e32 v[66:67], v28
	v_cvt_pkrtz_f16_f32 v65, v26, v27
	v_mfma_f32_16x16x16_f16 v[60:63], v[60:61], v[34:35], 0
	v_cvt_pkrtz_f16_f32 v26, v66, v67
	v_cvt_pkrtz_f16_f32 v27, v68, v69
	v_cvt_pk_f32_fp8_e32 v[66:67], v29
	v_mfma_f32_16x16x16_f16 v[34:37], v[64:65], v[36:37], v[60:63]
	s_barrier
	s_nop 1
	v_cvt_pk_f32_fp8_sdwa v[60:61], v29 src0_sel:WORD_1
	v_cvt_pkrtz_f16_f32 v62, v66, v67
	v_mfma_f32_16x16x16_f16 v[26:29], v[26:27], v[38:39], v[34:37]
	s_waitcnt vmcnt(2)
	v_cvt_pk_f32_fp8_e32 v[38:39], v19
	v_cvt_pkrtz_f16_f32 v63, v60, v61
	v_cvt_pk_f32_fp8_e32 v[34:35], v18
	v_cvt_pk_f32_fp8_sdwa v[36:37], v18 src0_sel:WORD_1
	v_cvt_pk_f32_fp8_sdwa v[18:19], v19 src0_sel:WORD_1
	v_mfma_f32_16x16x16_f16 v[26:29], v[62:63], v[40:41], v[26:29]
	v_cvt_pkrtz_f16_f32 v34, v34, v35
	v_cvt_pkrtz_f16_f32 v35, v36, v37
	;; [unrolled: 1-line block ×3, first 2 shown]
	v_cvt_pk_f32_fp8_e32 v[38:39], v20
	v_cvt_pk_f32_fp8_sdwa v[40:41], v20 src0_sel:WORD_1
	v_cvt_pkrtz_f16_f32 v37, v18, v19
	v_mfma_f32_16x16x16_f16 v[26:29], v[34:35], v[30:31], v[26:29]
	v_cvt_pkrtz_f16_f32 v30, v38, v39
	v_cvt_pkrtz_f16_f32 v31, v40, v41
	v_cvt_pk_f32_fp8_e32 v[34:35], v21
	v_cvt_pk_f32_fp8_sdwa v[38:39], v21 src0_sel:WORD_1
	v_mfma_f32_16x16x16_f16 v[18:21], v[36:37], v[32:33], v[26:29]
	s_waitcnt vmcnt(1)
	v_cvt_pk_f32_fp8_sdwa v[32:33], v12 src0_sel:WORD_1
	s_nop 0
	v_cvt_pkrtz_f16_f32 v26, v34, v35
	v_cvt_pkrtz_f16_f32 v27, v38, v39
	v_mfma_f32_16x16x16_f16 v[18:21], v[30:31], v[42:43], v[18:21]
	v_cvt_pk_f32_fp8_e32 v[28:29], v10
	v_cvt_pk_f32_fp8_sdwa v[30:31], v10 src0_sel:WORD_1
	v_cvt_pkrtz_f16_f32 v28, v28, v29
	v_mfma_f32_16x16x16_f16 v[18:21], v[26:27], v[44:45], v[18:21]
	v_cvt_pk_f32_fp8_e32 v[26:27], v11
	v_cvt_pkrtz_f16_f32 v29, v30, v31
	v_cvt_pk_f32_fp8_sdwa v[10:11], v11 src0_sel:WORD_1
	v_cvt_pk_f32_fp8_e32 v[30:31], v12
	v_cvt_pkrtz_f16_f32 v26, v26, v27
	v_mfma_f32_16x16x16_f16 v[18:21], v[28:29], v[22:23], v[18:21]
	v_cvt_pkrtz_f16_f32 v27, v10, v11
	v_cvt_pkrtz_f16_f32 v22, v30, v31
	;; [unrolled: 1-line block ×3, first 2 shown]
	v_cvt_pk_f32_fp8_e32 v[28:29], v13
	v_cvt_pk_f32_fp8_sdwa v[30:31], v13 src0_sel:WORD_1
	v_mfma_f32_16x16x16_f16 v[10:13], v[26:27], v[24:25], v[18:21]
	s_waitcnt vmcnt(0)
	v_cvt_pk_f32_fp8_sdwa v[24:25], v6 src0_sel:WORD_1
	s_nop 0
	v_pk_mul_f32 v[18:19], v[4:5], s[4:5] op_sel_hi:[1,0]
	v_cvt_pkrtz_f16_f32 v4, v28, v29
	v_cvt_pkrtz_f16_f32 v5, v30, v31
	v_mfma_f32_16x16x16_f16 v[10:13], v[22:23], v[46:47], v[10:13]
	v_cvt_pk_f32_fp8_e32 v[22:23], v6
	v_pk_mul_f32 v[20:21], v[2:3], s[4:5] op_sel_hi:[1,0]
	v_mfma_f32_16x16x16_f16 v[2:5], v[4:5], v[48:49], v[10:13]
	s_nop 3
	v_cvt_pk_f32_fp8_e32 v[10:11], v7
	v_cvt_pkrtz_f16_f32 v12, v22, v23
	v_cvt_pkrtz_f16_f32 v13, v24, v25
	v_cvt_pk_f32_fp8_sdwa v[6:7], v7 src0_sel:WORD_1
	v_cvt_pkrtz_f16_f32 v10, v10, v11
	v_cvt_pk_f32_fp8_e32 v[22:23], v8
	v_cvt_pk_f32_fp8_sdwa v[24:25], v8 src0_sel:WORD_1
	v_cvt_pkrtz_f16_f32 v11, v6, v7
	v_mfma_f32_16x16x16_f16 v[2:5], v[12:13], v[14:15], v[2:5]
	v_cvt_pkrtz_f16_f32 v6, v22, v23
	v_cvt_pkrtz_f16_f32 v7, v24, v25
	v_cvt_pk_f32_fp8_e32 v[12:13], v9
	v_cvt_pk_f32_fp8_sdwa v[8:9], v9 src0_sel:WORD_1
	v_mfma_f32_16x16x16_f16 v[2:5], v[10:11], v[16:17], v[2:5]
	v_cvt_f16_f32_e32 v14, v20
	v_cvt_pkrtz_f16_f32 v10, v12, v13
	v_cvt_pkrtz_f16_f32 v11, v8, v9
	v_mfma_f32_16x16x16_f16 v[2:5], v[6:7], v[50:51], v[2:5]
	v_cvt_f16_f32_e32 v6, v21
	v_cvt_f16_f32_e32 v7, v18
	;; [unrolled: 1-line block ×3, first 2 shown]
	v_mfma_f32_16x16x16_f16 v[2:5], v[10:11], v[52:53], v[2:5]
	s_nop 6
	v_pk_mul_f32 v[4:5], v[4:5], s[4:5] op_sel_hi:[1,0]
	v_pk_mul_f32 v[2:3], v[2:3], s[4:5] op_sel_hi:[1,0]
	v_cvt_f16_f32_e32 v11, v4
	v_cvt_f16_f32_e32 v9, v2
	;; [unrolled: 1-line block ×4, first 2 shown]
	v_pack_b32_f16 v2, v14, v6
	v_pack_b32_f16 v3, v7, v8
	;; [unrolled: 1-line block ×4, first 2 shown]
	ds_write2st64_b64 v56, v[2:3], v[4:5] offset1:1
	s_waitcnt lgkmcnt(0)
	s_barrier
	s_and_saveexec_b64 s[4:5], vcc
	s_cbranch_execz .LBB1083_17
; %bb.16:
	s_load_dwordx2 s[0:1], s[0:1], 0x68
	s_lshl_b32 s6, s6, 7
	s_mul_i32 s2, s7, s2
	s_mul_hi_u32 s5, s2, s6
	s_mul_i32 s4, s2, s6
	s_lshl_b64 s[4:5], s[4:5], 1
	s_waitcnt lgkmcnt(0)
	s_add_u32 s4, s0, s4
	v_lshlrev_b32_e32 v4, 6, v58
	s_addc_u32 s5, s1, s5
	s_lshl_b32 s2, s24, 7
	v_lshl_or_b32 v0, v0, 10, v4
	s_lshl_b64 s[0:1], s[2:3], 1
	v_lshlrev_b32_e32 v2, 5, v1
	v_and_b32_e32 v3, 16, v59
	v_and_b32_e32 v0, 0x1a00, v0
	s_add_u32 s0, s4, s0
	v_or3_b32 v0, v0, v2, v3
	s_addc_u32 s1, s5, s1
	v_mov_b32_e32 v55, 0
	v_or_b32_e32 v20, s25, v1
	ds_read_b128 v[2:5], v0
	ds_read_b128 v[6:9], v0 offset:128
	ds_read_b128 v[10:13], v0 offset:256
	;; [unrolled: 1-line block ×3, first 2 shown]
	v_lshl_add_u64 v[18:19], s[0:1], 0, v[54:55]
	v_mad_u64_u32 v[0:1], s[0:1], v20, s6, 0
	v_lshl_add_u64 v[0:1], v[0:1], 1, v[18:19]
	s_waitcnt lgkmcnt(3)
	global_store_dwordx4 v[0:1], v[2:5], off
	v_or_b32_e32 v0, 4, v20
	v_mad_u64_u32 v[0:1], s[0:1], v0, s6, 0
	v_lshl_add_u64 v[0:1], v[0:1], 1, v[18:19]
	s_waitcnt lgkmcnt(2)
	global_store_dwordx4 v[0:1], v[6:9], off
	v_or_b32_e32 v0, 8, v20
	v_mad_u64_u32 v[0:1], s[0:1], v0, s6, 0
	v_lshl_add_u64 v[0:1], v[0:1], 1, v[18:19]
	s_waitcnt lgkmcnt(1)
	global_store_dwordx4 v[0:1], v[10:13], off
	v_or_b32_e32 v0, 12, v20
	v_mad_u64_u32 v[0:1], s[0:1], v0, s6, 0
	v_lshl_add_u64 v[0:1], v[0:1], 1, v[18:19]
	s_waitcnt lgkmcnt(0)
	global_store_dwordx4 v[0:1], v[14:17], off
.LBB1083_17:
	s_endpgm
	.section	.rodata,"a",@progbits
	.p2align	6, 0x0
	.amdhsa_kernel _Z39paged_attention_ll4mi_QKV_mfma16_kernelIDF16_hLN4vllm18Fp8KVCacheDataTypeE1EDF16_Li32ELi128ELi256ELb0ELi16EEvPKT_PKT0_S7_ifPKiS9_S9_iPKfiiiPfSC_PS2_PT2_iSB_SB_
		.amdhsa_group_segment_fixed_size 8192
		.amdhsa_private_segment_fixed_size 0
		.amdhsa_kernarg_size 400
		.amdhsa_user_sgpr_count 2
		.amdhsa_user_sgpr_dispatch_ptr 0
		.amdhsa_user_sgpr_queue_ptr 0
		.amdhsa_user_sgpr_kernarg_segment_ptr 1
		.amdhsa_user_sgpr_dispatch_id 0
		.amdhsa_user_sgpr_kernarg_preload_length 0
		.amdhsa_user_sgpr_kernarg_preload_offset 0
		.amdhsa_user_sgpr_private_segment_size 0
		.amdhsa_uses_dynamic_stack 0
		.amdhsa_enable_private_segment 0
		.amdhsa_system_sgpr_workgroup_id_x 1
		.amdhsa_system_sgpr_workgroup_id_y 1
		.amdhsa_system_sgpr_workgroup_id_z 1
		.amdhsa_system_sgpr_workgroup_info 0
		.amdhsa_system_vgpr_workitem_id 0
		.amdhsa_next_free_vgpr 84
		.amdhsa_next_free_sgpr 48
		.amdhsa_accum_offset 84
		.amdhsa_reserve_vcc 1
		.amdhsa_float_round_mode_32 0
		.amdhsa_float_round_mode_16_64 0
		.amdhsa_float_denorm_mode_32 3
		.amdhsa_float_denorm_mode_16_64 3
		.amdhsa_dx10_clamp 1
		.amdhsa_ieee_mode 1
		.amdhsa_fp16_overflow 0
		.amdhsa_tg_split 0
		.amdhsa_exception_fp_ieee_invalid_op 0
		.amdhsa_exception_fp_denorm_src 0
		.amdhsa_exception_fp_ieee_div_zero 0
		.amdhsa_exception_fp_ieee_overflow 0
		.amdhsa_exception_fp_ieee_underflow 0
		.amdhsa_exception_fp_ieee_inexact 0
		.amdhsa_exception_int_div_zero 0
	.end_amdhsa_kernel
	.section	.text._Z39paged_attention_ll4mi_QKV_mfma16_kernelIDF16_hLN4vllm18Fp8KVCacheDataTypeE1EDF16_Li32ELi128ELi256ELb0ELi16EEvPKT_PKT0_S7_ifPKiS9_S9_iPKfiiiPfSC_PS2_PT2_iSB_SB_,"axG",@progbits,_Z39paged_attention_ll4mi_QKV_mfma16_kernelIDF16_hLN4vllm18Fp8KVCacheDataTypeE1EDF16_Li32ELi128ELi256ELb0ELi16EEvPKT_PKT0_S7_ifPKiS9_S9_iPKfiiiPfSC_PS2_PT2_iSB_SB_,comdat
.Lfunc_end1083:
	.size	_Z39paged_attention_ll4mi_QKV_mfma16_kernelIDF16_hLN4vllm18Fp8KVCacheDataTypeE1EDF16_Li32ELi128ELi256ELb0ELi16EEvPKT_PKT0_S7_ifPKiS9_S9_iPKfiiiPfSC_PS2_PT2_iSB_SB_, .Lfunc_end1083-_Z39paged_attention_ll4mi_QKV_mfma16_kernelIDF16_hLN4vllm18Fp8KVCacheDataTypeE1EDF16_Li32ELi128ELi256ELb0ELi16EEvPKT_PKT0_S7_ifPKiS9_S9_iPKfiiiPfSC_PS2_PT2_iSB_SB_
                                        ; -- End function
	.section	.AMDGPU.csdata,"",@progbits
; Kernel info:
; codeLenInByte = 6112
; NumSgprs: 54
; NumVgprs: 84
; NumAgprs: 0
; TotalNumVgprs: 84
; ScratchSize: 0
; MemoryBound: 0
; FloatMode: 240
; IeeeMode: 1
; LDSByteSize: 8192 bytes/workgroup (compile time only)
; SGPRBlocks: 6
; VGPRBlocks: 10
; NumSGPRsForWavesPerEU: 54
; NumVGPRsForWavesPerEU: 84
; AccumOffset: 84
; Occupancy: 5
; WaveLimiterHint : 1
; COMPUTE_PGM_RSRC2:SCRATCH_EN: 0
; COMPUTE_PGM_RSRC2:USER_SGPR: 2
; COMPUTE_PGM_RSRC2:TRAP_HANDLER: 0
; COMPUTE_PGM_RSRC2:TGID_X_EN: 1
; COMPUTE_PGM_RSRC2:TGID_Y_EN: 1
; COMPUTE_PGM_RSRC2:TGID_Z_EN: 1
; COMPUTE_PGM_RSRC2:TIDIG_COMP_CNT: 0
; COMPUTE_PGM_RSRC3_GFX90A:ACCUM_OFFSET: 20
; COMPUTE_PGM_RSRC3_GFX90A:TG_SPLIT: 0
	.section	.text._Z39paged_attention_ll4mi_QKV_mfma16_kernelIDF16_hLN4vllm18Fp8KVCacheDataTypeE1EDF16_Li32ELi128ELi256ELb0ELi1EEvPKT_PKT0_S7_ifPKiS9_S9_iPKfiiiPfSC_PS2_PT2_iSB_SB_,"axG",@progbits,_Z39paged_attention_ll4mi_QKV_mfma16_kernelIDF16_hLN4vllm18Fp8KVCacheDataTypeE1EDF16_Li32ELi128ELi256ELb0ELi1EEvPKT_PKT0_S7_ifPKiS9_S9_iPKfiiiPfSC_PS2_PT2_iSB_SB_,comdat
	.protected	_Z39paged_attention_ll4mi_QKV_mfma16_kernelIDF16_hLN4vllm18Fp8KVCacheDataTypeE1EDF16_Li32ELi128ELi256ELb0ELi1EEvPKT_PKT0_S7_ifPKiS9_S9_iPKfiiiPfSC_PS2_PT2_iSB_SB_ ; -- Begin function _Z39paged_attention_ll4mi_QKV_mfma16_kernelIDF16_hLN4vllm18Fp8KVCacheDataTypeE1EDF16_Li32ELi128ELi256ELb0ELi1EEvPKT_PKT0_S7_ifPKiS9_S9_iPKfiiiPfSC_PS2_PT2_iSB_SB_
	.globl	_Z39paged_attention_ll4mi_QKV_mfma16_kernelIDF16_hLN4vllm18Fp8KVCacheDataTypeE1EDF16_Li32ELi128ELi256ELb0ELi1EEvPKT_PKT0_S7_ifPKiS9_S9_iPKfiiiPfSC_PS2_PT2_iSB_SB_
	.p2align	8
	.type	_Z39paged_attention_ll4mi_QKV_mfma16_kernelIDF16_hLN4vllm18Fp8KVCacheDataTypeE1EDF16_Li32ELi128ELi256ELb0ELi1EEvPKT_PKT0_S7_ifPKiS9_S9_iPKfiiiPfSC_PS2_PT2_iSB_SB_,@function
_Z39paged_attention_ll4mi_QKV_mfma16_kernelIDF16_hLN4vllm18Fp8KVCacheDataTypeE1EDF16_Li32ELi128ELi256ELb0ELi1EEvPKT_PKT0_S7_ifPKiS9_S9_iPKfiiiPfSC_PS2_PT2_iSB_SB_: ; @_Z39paged_attention_ll4mi_QKV_mfma16_kernelIDF16_hLN4vllm18Fp8KVCacheDataTypeE1EDF16_Li32ELi128ELi256ELb0ELi1EEvPKT_PKT0_S7_ifPKiS9_S9_iPKfiiiPfSC_PS2_PT2_iSB_SB_
; %bb.0:
	s_load_dwordx2 s[12:13], s[0:1], 0x30
	s_mov_b32 s5, s3
	s_mov_b64 s[6:7], 0
	s_waitcnt lgkmcnt(0)
	s_cmp_lg_u64 s[12:13], 0
	s_cselect_b64 s[14:15], -1, 0
	s_and_b64 vcc, exec, s[14:15]
	s_cbranch_vccz .LBB1084_7
; %bb.1:
	s_add_i32 s8, s2, 1
	s_mov_b32 s9, 0
	s_lshl_b64 s[10:11], s[8:9], 2
	s_add_u32 s10, s12, s10
	s_mov_b32 s3, s9
	s_addc_u32 s11, s13, s11
	s_lshl_b64 s[8:9], s[2:3], 2
	s_add_u32 s8, s12, s8
	s_addc_u32 s9, s13, s9
	s_load_dword s16, s[10:11], 0x0
	s_load_dword s17, s[8:9], 0x0
	s_waitcnt lgkmcnt(0)
	s_sub_i32 s8, s16, s17
	s_cmp_eq_u32 s8, 1
	s_cselect_b64 s[8:9], -1, 0
	s_andn2_b64 vcc, exec, s[6:7]
	s_cbranch_vccnz .LBB1084_3
.LBB1084_2:
	s_mov_b32 s3, 0
	s_mov_b64 s[8:9], -1
.LBB1084_3:
	s_andn2_b64 vcc, exec, s[8:9]
	s_cbranch_vccnz .LBB1084_17
; %bb.4:
	s_load_dwordx2 s[6:7], s[0:1], 0x28
	s_lshl_b64 s[16:17], s[2:3], 2
	s_waitcnt lgkmcnt(0)
	s_add_u32 s6, s6, s16
	s_addc_u32 s7, s7, s17
	s_load_dword s33, s[6:7], 0x0
	s_lshl_b32 s18, s5, 8
	s_waitcnt lgkmcnt(0)
	s_cmp_ge_i32 s18, s33
	s_cbranch_scc1 .LBB1084_17
; %bb.5:
	s_load_dwordx2 s[6:7], s[0:1], 0x20
	s_load_dword s8, s[0:1], 0x38
	s_add_i32 s9, s33, 31
	s_ashr_i32 s10, s9, 31
	v_and_b32_e32 v1, 0xcf, v0
	s_lshr_b32 s10, s10, 27
	v_add_u32_e32 v1, s18, v1
	s_add_i32 s9, s9, s10
	v_ashrrev_i32_e32 v2, 31, v1
	s_ashr_i32 s19, s9, 5
	v_lshrrev_b32_e32 v10, 27, v2
	s_add_i32 s19, s19, -1
	s_waitcnt lgkmcnt(0)
	s_mul_i32 s8, s2, s8
	s_mov_b32 s9, 0
	v_add_u32_e32 v2, v1, v10
	s_lshl_b64 s[8:9], s[8:9], 2
	v_ashrrev_i32_e32 v2, 5, v2
	v_mov_b32_e32 v11, s19
	v_cmp_gt_i32_e32 vcc, s33, v1
	s_add_u32 s6, s6, s8
	s_addc_u32 s7, s7, s9
	v_cndmask_b32_e32 v2, v11, v2, vcc
	v_ashrrev_i32_e32 v3, 31, v2
	v_lshl_add_u64 v[4:5], v[2:3], 2, s[6:7]
	v_or_b32_e32 v2, 16, v1
	v_add_u32_e32 v3, v2, v10
	v_ashrrev_i32_e32 v3, 5, v3
	v_cmp_gt_i32_e32 vcc, s33, v2
	s_load_dwordx4 s[8:11], s[0:1], 0x8
	s_nop 0
	v_cndmask_b32_e32 v2, v11, v3, vcc
	v_ashrrev_i32_e32 v3, 31, v2
	v_lshl_add_u64 v[6:7], v[2:3], 2, s[6:7]
	v_or_b32_e32 v2, 32, v1
	v_add_u32_e32 v3, v2, v10
	v_ashrrev_i32_e32 v3, 5, v3
	v_cmp_gt_i32_e32 vcc, s33, v2
	v_or_b32_e32 v1, 48, v1
	s_nop 0
	v_cndmask_b32_e32 v2, v11, v3, vcc
	v_ashrrev_i32_e32 v3, 31, v2
	v_lshl_add_u64 v[8:9], v[2:3], 2, s[6:7]
	v_add_u32_e32 v2, v1, v10
	v_ashrrev_i32_e32 v2, 5, v2
	v_cmp_gt_i32_e32 vcc, s33, v1
	s_nop 1
	v_cndmask_b32_e32 v2, v11, v2, vcc
	v_ashrrev_i32_e32 v3, 31, v2
	v_lshl_add_u64 v[10:11], v[2:3], 2, s[6:7]
	global_load_dword v2, v[4:5], off
	global_load_dword v32, v[6:7], off
	;; [unrolled: 1-line block ×4, first 2 shown]
	s_andn2_b64 vcc, exec, s[14:15]
	s_cbranch_vccnz .LBB1084_8
; %bb.6:
	s_add_u32 s12, s12, s16
	s_addc_u32 s13, s13, s17
	s_load_dword s14, s[12:13], 0x0
	s_branch .LBB1084_9
.LBB1084_7:
	s_mov_b64 s[8:9], 0
	s_branch .LBB1084_2
.LBB1084_8:
	s_mov_b32 s14, s2
.LBB1084_9:
	s_load_dwordx4 s[44:47], s[0:1], 0x48
	v_lshrrev_b32_e32 v61, 6, v0
	v_bfe_u32 v58, v0, 4, 2
	v_and_b32_e32 v59, 15, v0
	v_lshl_or_b32 v1, v61, 2, v58
	v_lshlrev_b32_e32 v3, 3, v59
	v_and_b32_e32 v62, 63, v0
	v_cmp_eq_u32_e32 vcc, 0, v1
	v_lshlrev_b32_e32 v1, 1, v3
	v_lshlrev_b32_e32 v60, 4, v0
	s_and_saveexec_b64 s[12:13], vcc
	s_cbranch_execz .LBB1084_11
; %bb.10:
	s_load_dwordx2 s[16:17], s[0:1], 0x0
	s_waitcnt lgkmcnt(0)
	s_ashr_i32 s15, s44, 31
	s_mul_hi_u32 s20, s14, s44
	s_mul_i32 s15, s14, s15
	s_add_i32 s15, s20, s15
	s_mul_i32 s14, s14, s44
	s_lshl_b64 s[14:15], s[14:15], 1
	s_add_u32 s16, s16, s14
	s_addc_u32 s17, s17, s15
	s_lshl_b32 s14, s4, 7
	s_ashr_i32 s15, s14, 31
	s_lshl_b64 s[14:15], s[14:15], 1
	s_add_u32 s14, s16, s14
	s_addc_u32 s15, s17, s15
	global_load_dwordx4 v[4:7], v1, s[14:15]
	v_lshlrev_b32_e32 v3, 8, v0
	v_lshlrev_b32_e32 v8, 8, v59
	v_and_b32_e32 v3, 0x600, v3
	v_and_b32_e32 v8, 0x800, v8
	;; [unrolled: 1-line block ×3, first 2 shown]
	v_or3_b32 v3, v8, v3, v9
	s_waitcnt vmcnt(0)
	ds_write_b128 v3, v[4:7]
.LBB1084_11:
	s_or_b64 exec, exec, s[12:13]
	s_waitcnt lgkmcnt(0)
	s_mul_i32 s13, s4, s46
	s_add_u32 s8, s8, s13
	s_addc_u32 s9, s9, 0
	v_mov_b32_e32 v55, 0
	v_mov_b64_e32 v[24:25], s[8:9]
	v_and_b32_e32 v33, 48, v0
	s_waitcnt vmcnt(3)
	v_mad_i64_i32 v[2:3], s[8:9], v2, s45, v[24:25]
	v_lshlrev_b32_e32 v22, 4, v59
	v_mov_b32_e32 v23, v55
	v_lshlrev_b32_e32 v54, 5, v33
	v_lshl_add_u64 v[2:3], v[2:3], 0, v[22:23]
	v_lshl_add_u64 v[6:7], v[2:3], 0, v[54:55]
	s_barrier
	global_load_dwordx4 v[10:13], v[6:7], off
	global_load_dwordx4 v[2:5], v[6:7], off offset:2048
	s_ashr_i32 s8, s18, 31
	v_or_b32_e32 v34, 0x100, v22
	v_mov_b32_e32 v35, v55
	v_or_b32_e32 v39, s18, v33
	s_lshr_b32 s14, s8, 27
	s_waitcnt vmcnt(4)
	v_mad_i64_i32 v[32:33], s[8:9], v32, s45, v[24:25]
	s_waitcnt vmcnt(3)
	v_mad_i64_i32 v[36:37], s[8:9], v30, s45, v[24:25]
	;; [unrolled: 2-line block ×3, first 2 shown]
	v_lshl_add_u64 v[30:31], v[32:33], 0, v[34:35]
	v_lshlrev_b32_e32 v6, 9, v58
	v_lshl_add_u64 v[30:31], v[30:31], 0, v[54:55]
	s_load_dword s12, s[0:1], 0x1c
	s_load_dwordx4 s[40:43], s[0:1], 0x80
	ds_read_b128 v[26:29], v6
	ds_read_b128 v[18:21], v6 offset:16
	ds_read_b128 v[14:17], v6 offset:2048
	;; [unrolled: 1-line block ×3, first 2 shown]
	global_load_dwordx4 v[46:49], v[30:31], off
	v_or_b32_e32 v40, 64, v39
	v_add_u32_e32 v32, s14, v39
	v_mov_b32_e32 v38, s19
	v_add_u32_e32 v33, s14, v40
	v_ashrrev_i32_e32 v32, 5, v32
	v_cmp_gt_i32_e32 vcc, s33, v39
	v_ashrrev_i32_e32 v33, 5, v33
	v_or_b32_e32 v41, 0x80, v39
	v_cndmask_b32_e32 v52, v38, v32, vcc
	v_cmp_gt_i32_e32 vcc, s33, v40
	v_add_u32_e32 v43, s14, v41
	v_ashrrev_i32_e32 v43, 5, v43
	v_cndmask_b32_e32 v56, v38, v33, vcc
	global_load_dwordx4 v[30:33], v[30:31], off offset:2048
	v_cmp_gt_i32_e32 vcc, s33, v41
	v_ashrrev_i32_e32 v53, 31, v52
	v_or_b32_e32 v42, 0xc0, v39
	v_cndmask_b32_e32 v64, v38, v43, vcc
	v_ashrrev_i32_e32 v65, 31, v64
	v_lshl_add_u64 v[66:67], v[52:53], 2, s[6:7]
	v_lshl_add_u64 v[52:53], v[64:65], 2, s[6:7]
	v_add_u32_e32 v44, s14, v42
	v_lshl_add_u64 v[22:23], v[36:37], 0, v[22:23]
	v_lshl_add_u64 v[24:25], v[24:25], 0, v[34:35]
	v_ashrrev_i32_e32 v44, 5, v44
	v_lshl_add_u64 v[34:35], v[22:23], 0, v[54:55]
	v_lshl_add_u64 v[36:37], v[24:25], 0, v[54:55]
	v_cmp_gt_i32_e32 vcc, s33, v42
	v_ashrrev_i32_e32 v57, 31, v56
	v_lshl_add_u64 v[56:57], v[56:57], 2, s[6:7]
	v_cndmask_b32_e32 v50, v38, v44, vcc
	global_load_dwordx4 v[22:25], v[34:35], off
	global_load_dwordx4 v[38:41], v[34:35], off offset:2048
	global_load_dwordx4 v[42:45], v[36:37], off
	s_nop 0
	global_load_dwordx4 v[34:37], v[36:37], off offset:2048
	v_ashrrev_i32_e32 v51, 31, v50
	global_load_dword v66, v[66:67], off
	s_add_u32 s8, s10, s13
	global_load_dword v67, v[56:57], off
	s_addc_u32 s9, s11, 0
	v_and_b32_e32 v54, 16, v0
	v_lshl_or_b32 v63, v61, 4, v59
	s_waitcnt vmcnt(9)
	v_cvt_pk_f32_fp8_e32 v[64:65], v10
	v_cvt_pk_f32_fp8_sdwa v[68:69], v10 src0_sel:WORD_1
	v_cvt_pk_f32_fp8_e32 v[70:71], v11
	v_cvt_pk_f32_fp8_sdwa v[10:11], v11 src0_sel:WORD_1
	;; [unrolled: 2-line block ×4, first 2 shown]
	v_cvt_pkrtz_f16_f32 v12, v64, v65
	v_cvt_pkrtz_f16_f32 v13, v68, v69
	;; [unrolled: 1-line block ×4, first 2 shown]
	s_waitcnt lgkmcnt(0)
	v_mfma_f32_16x16x16_f16 v[10:13], v[12:13], v[26:27], 0
	v_cvt_pkrtz_f16_f32 v72, v72, v73
	v_cvt_pkrtz_f16_f32 v73, v74, v75
	s_waitcnt vmcnt(8)
	v_cvt_pk_f32_fp8_e32 v[80:81], v2
	v_mfma_f32_16x16x16_f16 v[10:13], v[68:69], v[28:29], v[10:13]
	v_cvt_pk_f32_fp8_sdwa v[82:83], v2 src0_sel:WORD_1
	v_cvt_pkrtz_f16_f32 v56, v76, v77
	v_cvt_pkrtz_f16_f32 v57, v78, v79
	v_mfma_f32_16x16x16_f16 v[10:13], v[72:73], v[18:19], v[10:13]
	v_cvt_pkrtz_f16_f32 v72, v80, v81
	v_cvt_pkrtz_f16_f32 v73, v82, v83
	v_cvt_pk_f32_fp8_e32 v[84:85], v3
	v_cvt_pk_f32_fp8_sdwa v[2:3], v3 src0_sel:WORD_1
	v_mfma_f32_16x16x16_f16 v[10:13], v[56:57], v[20:21], v[10:13]
	v_cvt_pk_f32_fp8_e32 v[64:65], v4
	v_cvt_pk_f32_fp8_sdwa v[70:71], v4 src0_sel:WORD_1
	v_cvt_pk_f32_fp8_e32 v[68:69], v5
	v_cvt_pk_f32_fp8_sdwa v[56:57], v5 src0_sel:WORD_1
	v_cvt_pkrtz_f16_f32 v75, v2, v3
	v_mfma_f32_16x16x16_f16 v[2:5], v[72:73], v[14:15], v[10:13]
	v_cvt_pkrtz_f16_f32 v74, v84, v85
	s_waitcnt vmcnt(5)
	v_cvt_pk_f32_fp8_e32 v[72:73], v25
	v_lshl_add_u64 v[12:13], v[50:51], 2, s[6:7]
	v_cvt_pkrtz_f16_f32 v10, v64, v65
	global_load_dword v64, v[52:53], off
	global_load_dword v65, v[12:13], off
	v_cvt_pkrtz_f16_f32 v11, v70, v71
	v_mfma_f32_16x16x16_f16 v[2:5], v[74:75], v[16:17], v[2:5]
	v_cvt_pkrtz_f16_f32 v50, v68, v69
	v_cvt_pkrtz_f16_f32 v51, v56, v57
	v_cvt_pk_f32_fp8_sdwa v[12:13], v46 src0_sel:WORD_1
	v_mfma_f32_16x16x16_f16 v[2:5], v[10:11], v[6:7], v[2:5]
	v_cvt_pk_f32_fp8_e32 v[10:11], v46
	v_cvt_pk_f32_fp8_sdwa v[56:57], v48 src0_sel:WORD_1
	v_cvt_pk_f32_fp8_sdwa v[74:75], v25 src0_sel:WORD_1
	v_mfma_f32_16x16x16_f16 v[50:53], v[50:51], v[8:9], v[2:5]
	s_waitcnt vmcnt(6)
	v_cvt_pk_f32_fp8_sdwa v[78:79], v40 src0_sel:WORD_1
	s_nop 0
	v_cvt_pk_f32_fp8_e32 v[2:3], v47
	v_cvt_pkrtz_f16_f32 v4, v10, v11
	v_cvt_pkrtz_f16_f32 v5, v12, v13
	v_cvt_pk_f32_fp8_sdwa v[10:11], v47 src0_sel:WORD_1
	v_cvt_pkrtz_f16_f32 v12, v2, v3
	v_cvt_pk_f32_fp8_e32 v[46:47], v48
	v_mfma_f32_16x16x16_f16 v[2:5], v[4:5], v[26:27], 0
	v_cvt_pkrtz_f16_f32 v13, v10, v11
	v_cvt_pkrtz_f16_f32 v10, v46, v47
	;; [unrolled: 1-line block ×3, first 2 shown]
	v_cvt_pk_f32_fp8_e32 v[46:47], v49
	v_cvt_pk_f32_fp8_sdwa v[48:49], v49 src0_sel:WORD_1
	v_mfma_f32_16x16x16_f16 v[2:5], v[12:13], v[28:29], v[2:5]
	v_lshl_add_u64 v[56:57], s[8:9], 0, v[54:55]
	v_cvt_pkrtz_f16_f32 v12, v46, v47
	v_cvt_pkrtz_f16_f32 v13, v48, v49
	v_mfma_f32_16x16x16_f16 v[2:5], v[10:11], v[18:19], v[2:5]
	v_cvt_pk_f32_fp8_e32 v[10:11], v30
	v_cvt_pk_f32_fp8_sdwa v[46:47], v30 src0_sel:WORD_1
	v_cvt_pk_f32_fp8_sdwa v[48:49], v32 src0_sel:WORD_1
	v_mfma_f32_16x16x16_f16 v[2:5], v[12:13], v[20:21], v[2:5]
	v_cvt_pk_f32_fp8_e32 v[12:13], v31
	v_cvt_pkrtz_f16_f32 v10, v10, v11
	v_cvt_pkrtz_f16_f32 v11, v46, v47
	v_cvt_pk_f32_fp8_sdwa v[30:31], v31 src0_sel:WORD_1
	v_cvt_pkrtz_f16_f32 v12, v12, v13
	v_cvt_pk_f32_fp8_e32 v[46:47], v32
	v_mfma_f32_16x16x16_f16 v[2:5], v[10:11], v[14:15], v[2:5]
	v_cvt_pkrtz_f16_f32 v13, v30, v31
	v_cvt_pkrtz_f16_f32 v10, v46, v47
	;; [unrolled: 1-line block ×3, first 2 shown]
	v_cvt_pk_f32_fp8_e32 v[30:31], v33
	v_cvt_pk_f32_fp8_sdwa v[32:33], v33 src0_sel:WORD_1
	v_mfma_f32_16x16x16_f16 v[2:5], v[12:13], v[16:17], v[2:5]
	v_lshlrev_b32_e32 v54, 5, v63
	v_cvt_pkrtz_f16_f32 v12, v30, v31
	v_cvt_pkrtz_f16_f32 v13, v32, v33
	v_mfma_f32_16x16x16_f16 v[2:5], v[10:11], v[6:7], v[2:5]
	v_cvt_pk_f32_fp8_e32 v[10:11], v22
	v_cvt_pk_f32_fp8_sdwa v[30:31], v22 src0_sel:WORD_1
	v_lshl_add_u64 v[68:69], v[56:57], 0, v[54:55]
	v_mfma_f32_16x16x16_f16 v[46:49], v[12:13], v[8:9], v[2:5]
	s_waitcnt vmcnt(3)
	v_mad_i64_i32 v[12:13], s[6:7], v66, s45, v[68:69]
	s_waitcnt vmcnt(2)
	v_mad_i64_i32 v[70:71], s[6:7], v67, s45, v[68:69]
	v_cvt_pkrtz_f16_f32 v2, v10, v11
	v_cvt_pkrtz_f16_f32 v3, v30, v31
	v_cvt_pk_f32_fp8_e32 v[4:5], v23
	v_cvt_pk_f32_fp8_sdwa v[10:11], v23 src0_sel:WORD_1
	v_cvt_pk_f32_fp8_sdwa v[30:31], v24 src0_sel:WORD_1
	v_or_b32_e32 v54, 0x800, v54
	v_cvt_pkrtz_f16_f32 v22, v4, v5
	v_cvt_pkrtz_f16_f32 v23, v10, v11
	v_cvt_pk_f32_fp8_e32 v[10:11], v24
	v_mfma_f32_16x16x16_f16 v[2:5], v[2:3], v[26:27], 0
	v_cvt_pkrtz_f16_f32 v10, v10, v11
	v_cvt_pkrtz_f16_f32 v11, v30, v31
	v_mfma_f32_16x16x16_f16 v[2:5], v[22:23], v[28:29], v[2:5]
	global_load_dwordx4 v[30:33], v[12:13], off
	global_load_dwordx4 v[22:25], v[70:71], off
	v_cvt_pkrtz_f16_f32 v12, v72, v73
	v_cvt_pkrtz_f16_f32 v13, v74, v75
	v_mfma_f32_16x16x16_f16 v[2:5], v[10:11], v[18:19], v[2:5]
	v_cvt_pk_f32_fp8_e32 v[10:11], v38
	v_cvt_pk_f32_fp8_sdwa v[70:71], v38 src0_sel:WORD_1
	s_waitcnt vmcnt(3)
	v_mad_i64_i32 v[72:73], s[6:7], v64, s45, v[68:69]
	v_mfma_f32_16x16x16_f16 v[2:5], v[12:13], v[20:21], v[2:5]
	v_cvt_pkrtz_f16_f32 v10, v10, v11
	v_cvt_pkrtz_f16_f32 v11, v70, v71
	v_cvt_pk_f32_fp8_e32 v[12:13], v39
	v_cvt_pk_f32_fp8_sdwa v[38:39], v39 src0_sel:WORD_1
	s_waitcnt vmcnt(2)
	v_mad_i64_i32 v[74:75], s[6:7], v65, s45, v[68:69]
	v_cvt_pkrtz_f16_f32 v76, v12, v13
	v_cvt_pkrtz_f16_f32 v77, v38, v39
	v_cvt_pk_f32_fp8_e32 v[38:39], v40
	v_mfma_f32_16x16x16_f16 v[68:71], v[10:11], v[14:15], v[2:5]
	global_load_dwordx4 v[10:13], v[72:73], off
	s_nop 1
	global_load_dwordx4 v[2:5], v[74:75], off
	v_cvt_pkrtz_f16_f32 v73, v78, v79
	v_cvt_pkrtz_f16_f32 v72, v38, v39
	v_cvt_pk_f32_fp8_e32 v[74:75], v41
	v_cvt_pk_f32_fp8_sdwa v[40:41], v41 src0_sel:WORD_1
	v_mfma_f32_16x16x16_f16 v[68:71], v[76:77], v[16:17], v[68:71]
	v_lshl_add_u64 v[38:39], v[56:57], 0, v[54:55]
	v_cvt_pkrtz_f16_f32 v56, v74, v75
	v_cvt_pkrtz_f16_f32 v57, v40, v41
	v_mfma_f32_16x16x16_f16 v[68:71], v[72:73], v[6:7], v[68:71]
	v_cvt_pk_f32_fp8_e32 v[40:41], v42
	v_cvt_pk_f32_fp8_sdwa v[72:73], v42 src0_sel:WORD_1
	s_load_dword s6, s[40:41], 0x0
	v_mfma_f32_16x16x16_f16 v[68:71], v[56:57], v[8:9], v[68:71]
	v_cvt_pk_f32_fp8_e32 v[56:57], v43
	v_cvt_pkrtz_f16_f32 v40, v40, v41
	v_cvt_pkrtz_f16_f32 v41, v72, v73
	v_cvt_pk_f32_fp8_sdwa v[42:43], v43 src0_sel:WORD_1
	v_cvt_pkrtz_f16_f32 v56, v56, v57
	v_cvt_pk_f32_fp8_e32 v[72:73], v44
	v_cvt_pk_f32_fp8_sdwa v[74:75], v44 src0_sel:WORD_1
	v_cvt_pkrtz_f16_f32 v57, v42, v43
	v_mfma_f32_16x16x16_f16 v[40:43], v[40:41], v[26:27], 0
	v_cvt_pkrtz_f16_f32 v72, v72, v73
	v_cvt_pkrtz_f16_f32 v73, v74, v75
	v_cvt_pk_f32_fp8_e32 v[74:75], v45
	v_cvt_pk_f32_fp8_sdwa v[44:45], v45 src0_sel:WORD_1
	v_mov_b32_e32 v26, s12
	s_waitcnt lgkmcnt(0)
	v_mul_f32_e32 v54, s6, v26
	v_mfma_f32_16x16x16_f16 v[26:29], v[56:57], v[28:29], v[40:43]
	v_pk_mul_f32 v[50:51], v[54:55], v[50:51] op_sel_hi:[0,1]
	s_mov_b32 s40, 0xff7fffff
	s_nop 0
	v_cvt_pkrtz_f16_f32 v42, v74, v75
	v_cvt_pkrtz_f16_f32 v43, v44, v45
	v_mfma_f32_16x16x16_f16 v[26:29], v[72:73], v[18:19], v[26:29]
	v_cvt_pk_f32_fp8_e32 v[18:19], v34
	v_cvt_pk_f32_fp8_sdwa v[44:45], v34 src0_sel:WORD_1
	v_pk_mul_f32 v[40:41], v[54:55], v[52:53] op_sel_hi:[0,1]
	v_mfma_f32_16x16x16_f16 v[26:29], v[42:43], v[20:21], v[26:29]
	v_cvt_pkrtz_f16_f32 v20, v18, v19
	v_cvt_pkrtz_f16_f32 v21, v44, v45
	v_cvt_pk_f32_fp8_e32 v[42:43], v35
	v_cvt_pk_f32_fp8_sdwa v[34:35], v35 src0_sel:WORD_1
	v_mfma_f32_16x16x16_f16 v[26:29], v[20:21], v[14:15], v[26:29]
	v_cvt_pkrtz_f16_f32 v42, v42, v43
	v_cvt_pkrtz_f16_f32 v43, v34, v35
	v_cvt_pk_f32_fp8_e32 v[14:15], v36
	v_cvt_pk_f32_fp8_sdwa v[20:21], v36 src0_sel:WORD_1
	v_pk_mul_f32 v[44:45], v[54:55], v[48:49] op_sel_hi:[0,1]
	v_mad_i64_i32 v[18:19], s[6:7], v66, s45, v[38:39]
	v_cvt_pkrtz_f16_f32 v52, v14, v15
	v_cvt_pkrtz_f16_f32 v53, v20, v21
	v_cvt_pk_f32_fp8_e32 v[20:21], v37
	v_cvt_pk_f32_fp8_sdwa v[36:37], v37 src0_sel:WORD_1
	v_mfma_f32_16x16x16_f16 v[14:17], v[42:43], v[16:17], v[26:29]
	v_pk_mul_f32 v[42:43], v[54:55], v[70:71] op_sel_hi:[0,1]
	v_cvt_pkrtz_f16_f32 v20, v20, v21
	v_cvt_pkrtz_f16_f32 v21, v36, v37
	v_mfma_f32_16x16x16_f16 v[14:17], v[52:53], v[6:7], v[14:17]
	v_pk_mul_f32 v[52:53], v[54:55], v[46:47] op_sel_hi:[0,1]
	v_pk_mul_f32 v[46:47], v[54:55], v[68:69] op_sel_hi:[0,1]
	v_mad_i64_i32 v[34:35], s[6:7], v67, s45, v[38:39]
	v_mfma_f32_16x16x16_f16 v[6:9], v[20:21], v[8:9], v[14:17]
	global_load_dwordx4 v[26:29], v[18:19], off
	s_nop 0
	global_load_dwordx4 v[18:21], v[34:35], off
	s_nop 3
	v_pk_mul_f32 v[48:49], v[54:55], v[6:7] op_sel_hi:[0,1]
	v_and_b32_e32 v6, 0xc0, v0
	v_add_u32_e32 v6, s18, v6
	v_lshl_or_b32 v6, v58, 2, v6
	v_pk_mul_f32 v[36:37], v[54:55], v[8:9] op_sel_hi:[0,1]
	v_or_b32_e32 v9, 1, v6
	v_mov_b32_e32 v7, 0xff7fffff
	v_cmp_gt_i32_e64 s[26:27], s33, v6
	v_cmp_gt_i32_e64 s[28:29], s33, v9
	v_or_b32_e32 v14, 3, v6
	v_cndmask_b32_e64 v8, v7, v50, s[26:27]
	v_cndmask_b32_e64 v9, v7, v51, s[28:29]
	v_max3_f32 v8, v8, s40, v9
	v_or_b32_e32 v9, 2, v6
	v_cmp_gt_i32_e64 s[30:31], s33, v9
	v_cmp_gt_i32_e64 s[34:35], s33, v14
	s_nop 0
	v_cndmask_b32_e64 v9, v7, v40, s[30:31]
	v_cndmask_b32_e64 v14, v7, v41, s[34:35]
	v_max3_f32 v8, v8, v9, v14
	v_or_b32_e32 v9, 16, v6
	v_or_b32_e32 v14, 17, v6
	v_cmp_gt_i32_e64 s[18:19], s33, v9
	v_cmp_gt_i32_e64 s[20:21], s33, v14
	s_nop 0
	v_cndmask_b32_e64 v9, v7, v52, s[18:19]
	v_cndmask_b32_e64 v14, v7, v53, s[20:21]
	v_max3_f32 v8, v8, v9, v14
	v_or_b32_e32 v9, 18, v6
	v_or_b32_e32 v14, 19, v6
	v_cmp_gt_i32_e64 s[22:23], s33, v9
	v_cmp_gt_i32_e64 s[36:37], s33, v14
	s_nop 0
	v_cndmask_b32_e64 v9, v7, v44, s[22:23]
	v_cndmask_b32_e64 v14, v7, v45, s[36:37]
	v_max3_f32 v8, v8, v9, v14
	v_or_b32_e32 v9, 32, v6
	v_or_b32_e32 v14, 33, v6
	v_cmp_gt_i32_e64 s[10:11], s33, v9
	v_cmp_gt_i32_e64 s[12:13], s33, v14
	s_nop 0
	v_cndmask_b32_e64 v9, v7, v46, s[10:11]
	v_cndmask_b32_e64 v14, v7, v47, s[12:13]
	v_max3_f32 v8, v8, v9, v14
	v_or_b32_e32 v9, 34, v6
	v_or_b32_e32 v14, 35, v6
	v_cmp_gt_i32_e64 s[14:15], s33, v9
	v_cmp_gt_i32_e64 s[16:17], s33, v14
	s_nop 0
	v_cndmask_b32_e64 v9, v7, v42, s[14:15]
	v_cndmask_b32_e64 v14, v7, v43, s[16:17]
	v_max3_f32 v8, v8, v9, v14
	v_or_b32_e32 v9, 48, v6
	v_or_b32_e32 v14, 49, v6
	v_cmp_gt_i32_e32 vcc, s33, v9
	v_cmp_gt_i32_e64 s[24:25], s33, v14
	s_nop 0
	v_cndmask_b32_e32 v9, v7, v48, vcc
	v_cndmask_b32_e64 v14, v7, v49, s[24:25]
	v_max3_f32 v8, v8, v9, v14
	v_or_b32_e32 v9, 50, v6
	v_or_b32_e32 v6, 51, v6
	v_cmp_gt_i32_e64 s[6:7], s33, v9
	v_cmp_gt_i32_e64 s[8:9], s33, v6
	s_nop 0
	v_cndmask_b32_e64 v9, v7, v36, s[6:7]
	v_cndmask_b32_e64 v6, v7, v37, s[8:9]
	v_max3_f32 v8, v8, v9, v6
	v_mbcnt_lo_u32_b32 v6, -1, 0
	v_mbcnt_hi_u32_b32 v9, -1, v6
	v_and_b32_e32 v6, 64, v9
	v_add_u32_e32 v14, 64, v6
	v_xor_b32_e32 v6, 32, v9
	v_cmp_lt_i32_e64 s[38:39], v6, v14
	s_nop 1
	v_cndmask_b32_e64 v6, v9, v6, s[38:39]
	v_lshlrev_b32_e32 v56, 2, v6
	ds_bpermute_b32 v15, v56, v8
	v_mad_i64_i32 v[6:7], s[38:39], v64, s45, v[38:39]
	s_waitcnt lgkmcnt(0)
	v_max_f32_e32 v15, v15, v15
	v_max_f32_e32 v34, v8, v15
	v_xor_b32_e32 v8, 16, v9
	v_cmp_lt_i32_e64 s[38:39], v8, v14
	s_nop 1
	v_cndmask_b32_e64 v8, v9, v8, s[38:39]
	v_lshlrev_b32_e32 v57, 2, v8
	v_mad_i64_i32 v[8:9], s[38:39], v65, s45, v[38:39]
	global_load_dwordx4 v[14:17], v[6:7], off
	s_nop 0
	global_load_dwordx4 v[6:9], v[8:9], off
	ds_bpermute_b32 v35, v57, v34
	s_waitcnt lgkmcnt(0)
	s_barrier
	v_max_f32_e32 v35, v35, v35
	v_max_f32_e32 v54, v34, v35
	v_sub_f32_e32 v46, v46, v54
	v_sub_f32_e32 v42, v42, v54
	;; [unrolled: 1-line block ×3, first 2 shown]
	v_mul_f32_e32 v46, 0x3fb8aa3b, v46
	v_mul_f32_e32 v42, 0x3fb8aa3b, v42
	v_sub_f32_e32 v34, v50, v54
	v_mul_f32_e32 v38, 0x3fb8aa3b, v38
	v_sub_f32_e32 v39, v41, v54
	v_exp_f32_e32 v46, v46
	v_exp_f32_e32 v50, v42
	;; [unrolled: 1-line block ×3, first 2 shown]
	v_mul_f32_e32 v39, 0x3fb8aa3b, v39
	v_mul_f32_e32 v34, 0x3fb8aa3b, v34
	v_sub_f32_e32 v35, v51, v54
	v_exp_f32_e32 v39, v39
	v_sub_f32_e32 v47, v47, v54
	v_sub_f32_e32 v42, v43, v54
	;; [unrolled: 1-line block ×4, first 2 shown]
	v_exp_f32_e32 v34, v34
	v_mul_f32_e32 v35, 0x3fb8aa3b, v35
	v_mul_f32_e32 v47, 0x3fb8aa3b, v47
	;; [unrolled: 1-line block ×5, first 2 shown]
	v_exp_f32_e32 v35, v35
	v_exp_f32_e32 v47, v47
	;; [unrolled: 1-line block ×3, first 2 shown]
	v_cndmask_b32_e64 v42, 0, v46, s[10:11]
	v_cndmask_b32_e64 v46, 0, v50, s[14:15]
	v_exp_f32_e32 v48, v48
	v_exp_f32_e32 v50, v36
	v_cndmask_b32_e64 v40, 0, v38, s[30:31]
	v_sub_f32_e32 v38, v52, v54
	v_cndmask_b32_e64 v41, 0, v39, s[34:35]
	v_mul_f32_e32 v38, 0x3fb8aa3b, v38
	v_sub_f32_e32 v39, v53, v54
	v_sub_f32_e32 v36, v37, v54
	v_cndmask_b32_e64 v34, 0, v34, s[26:27]
	v_exp_f32_e32 v38, v38
	v_mul_f32_e32 v39, 0x3fb8aa3b, v39
	v_sub_f32_e32 v44, v44, v54
	v_mul_f32_e32 v36, 0x3fb8aa3b, v36
	v_cndmask_b32_e64 v35, 0, v35, s[28:29]
	v_exp_f32_e32 v39, v39
	v_mul_f32_e32 v44, 0x3fb8aa3b, v44
	v_sub_f32_e32 v45, v45, v54
	v_cndmask_b32_e64 v43, 0, v47, s[12:13]
	v_cndmask_b32_e64 v47, 0, v51, s[16:17]
	v_exp_f32_e32 v51, v36
	v_cndmask_b32_e32 v36, 0, v48, vcc
	v_cndmask_b32_e64 v48, 0, v50, s[6:7]
	v_add_f32_e32 v50, 0, v34
	v_exp_f32_e32 v44, v44
	v_mul_f32_e32 v45, 0x3fb8aa3b, v45
	v_add_f32_e32 v50, v50, v35
	v_exp_f32_e32 v45, v45
	v_add_f32_e32 v50, v50, v40
	v_cndmask_b32_e64 v38, 0, v38, s[18:19]
	v_add_f32_e32 v50, v50, v41
	v_cndmask_b32_e64 v39, 0, v39, s[20:21]
	;; [unrolled: 2-line block ×4, first 2 shown]
	v_sub_f32_e32 v49, v49, v54
	v_add_f32_e32 v50, v50, v44
	v_mul_f32_e32 v49, 0x3fb8aa3b, v49
	v_add_f32_e32 v50, v50, v45
	v_exp_f32_e32 v49, v49
	v_add_f32_e32 v50, v50, v42
	v_add_f32_e32 v50, v50, v43
	;; [unrolled: 1-line block ×4, first 2 shown]
	v_cndmask_b32_e64 v37, 0, v49, s[24:25]
	v_add_f32_e32 v50, v50, v36
	v_add_f32_e32 v50, v50, v37
	v_cndmask_b32_e64 v49, 0, v51, s[8:9]
	v_add_f32_e32 v50, v50, v48
	v_add_f32_e32 v50, v50, v49
	ds_bpermute_b32 v51, v56, v50
	v_cmp_lt_u32_e64 s[6:7], 15, v62
	v_cmp_gt_u32_e32 vcc, 16, v62
	s_waitcnt lgkmcnt(0)
	v_add_f32_e32 v50, v50, v51
	ds_bpermute_b32 v51, v57, v50
	s_and_saveexec_b64 s[8:9], vcc
	s_cbranch_execz .LBB1084_13
; %bb.12:
	s_waitcnt lgkmcnt(0)
	v_add_f32_e32 v50, v50, v51
	v_lshlrev_b32_e32 v51, 2, v63
	ds_write2st64_b32 v51, v54, v50 offset1:1
.LBB1084_13:
	s_or_b64 exec, exec, s[8:9]
	s_waitcnt lgkmcnt(0)
	v_lshlrev_b32_e32 v51, 2, v59
	s_load_dwordx2 s[8:9], s[0:1], 0x94
	s_waitcnt lgkmcnt(0)
	s_barrier
	ds_read2_b32 v[52:53], v51 offset1:16
	ds_read2_b32 v[56:57], v51 offset0:32 offset1:48
	ds_read2_b32 v[62:63], v51 offset0:64 offset1:80
	s_waitcnt lgkmcnt(2)
	v_max3_f32 v50, v52, s40, v53
	s_waitcnt lgkmcnt(1)
	v_max3_f32 v50, v50, v56, v57
	v_sub_f32_e32 v52, v52, v50
	v_mul_f32_e32 v52, 0x3fb8aa3b, v52
	v_exp_f32_e32 v54, v52
	v_sub_f32_e32 v52, v53, v50
	v_mul_f32_e32 v52, 0x3fb8aa3b, v52
	v_exp_f32_e32 v64, v52
	;; [unrolled: 3-line block ×3, first 2 shown]
	ds_read2_b32 v[52:53], v51 offset0:96 offset1:112
	v_sub_f32_e32 v51, v57, v50
	v_mul_f32_e32 v51, 0x3fb8aa3b, v51
	v_exp_f32_e32 v57, v51
	s_waitcnt lgkmcnt(1)
	v_fma_f32 v51, v54, v62, 0
	v_fmac_f32_e32 v51, v64, v63
	s_waitcnt lgkmcnt(0)
	v_fmac_f32_e32 v51, v56, v52
	v_fmac_f32_e32 v51, v57, v53
	v_add_f32_e32 v52, 0x358637bd, v51
	v_div_scale_f32 v53, s[10:11], v52, v52, 1.0
	v_rcp_f32_e32 v62, v53
	s_barrier
	v_fma_f32 v63, -v53, v62, 1.0
	v_fmac_f32_e32 v62, v63, v62
	v_div_scale_f32 v63, vcc, 1.0, v52, 1.0
	v_mul_f32_e32 v65, v63, v62
	v_fma_f32 v66, -v53, v65, v63
	v_fmac_f32_e32 v65, v66, v62
	v_fma_f32 v53, -v53, v65, v63
	v_div_fmas_f32 v53, v53, v62, v65
	v_cmp_eq_u32_e32 vcc, 1, v61
	v_div_fixup_f32 v52, v53, v52, 1.0
	s_nop 0
	v_cndmask_b32_e32 v53, v54, v64, vcc
	v_cmp_eq_u32_e32 vcc, 2, v61
	s_nop 1
	v_cndmask_b32_e32 v53, v53, v56, vcc
	v_cmp_eq_u32_e32 vcc, 3, v61
	s_nop 1
	v_cndmask_b32_e32 v53, v53, v57, vcc
	v_mul_f32_e32 v52, v53, v52
	v_pk_mul_f32 v[40:41], v[52:53], v[40:41] op_sel_hi:[0,1]
	v_pk_mul_f32 v[34:35], v[52:53], v[34:35] op_sel_hi:[0,1]
	v_cvt_f16_f32_e32 v53, v40
	v_cvt_f16_f32_e32 v34, v34
	;; [unrolled: 1-line block ×4, first 2 shown]
	v_pk_mul_f32 v[44:45], v[52:53], v[44:45] op_sel_hi:[0,1]
	v_pk_mul_f32 v[38:39], v[52:53], v[38:39] op_sel_hi:[0,1]
	v_cvt_f16_f32_e32 v38, v38
	v_cvt_f16_f32_e32 v39, v39
	;; [unrolled: 1-line block ×4, first 2 shown]
	v_pack_b32_f16 v40, v34, v35
	v_pack_b32_f16 v41, v53, v41
	v_lshlrev_b32_e32 v35, 3, v58
	v_lshlrev_b32_e32 v34, 5, v59
	;; [unrolled: 1-line block ×3, first 2 shown]
	v_or3_b32 v54, v53, v34, v35
	v_pack_b32_f16 v38, v38, v39
	v_pack_b32_f16 v39, v44, v45
	ds_write2st64_b64 v54, v[40:41], v[38:39] offset1:1
	v_pk_mul_f32 v[38:39], v[52:53], v[46:47] op_sel_hi:[0,1]
	v_pk_mul_f32 v[40:41], v[52:53], v[42:43] op_sel_hi:[0,1]
	v_cvt_f16_f32_e32 v35, v40
	v_cvt_f16_f32_e32 v40, v41
	;; [unrolled: 1-line block ×4, first 2 shown]
	v_pk_mul_f32 v[38:39], v[52:53], v[48:49] op_sel_hi:[0,1]
	v_pk_mul_f32 v[36:37], v[52:53], v[36:37] op_sel_hi:[0,1]
	v_cvt_f16_f32_e32 v43, v36
	v_cvt_f16_f32_e32 v44, v37
	;; [unrolled: 1-line block ×4, first 2 shown]
	v_pack_b32_f16 v36, v35, v40
	v_pack_b32_f16 v37, v41, v42
	;; [unrolled: 1-line block ×4, first 2 shown]
	v_cmp_eq_u32_e32 vcc, 0, v0
	ds_write2st64_b64 v54, v[36:37], v[38:39] offset0:2 offset1:3
	s_and_saveexec_b64 s[10:11], vcc
	s_cbranch_execz .LBB1084_15
; %bb.14:
	s_mul_i32 s3, s3, s9
	s_mul_hi_u32 s16, s2, s9
	s_add_i32 s16, s16, s3
	s_mul_i32 s3, s2, s9
	s_add_u32 s3, s3, s4
	s_addc_u32 s16, s16, 0
	s_load_dwordx4 s[12:15], s[0:1], 0x58
	s_mul_i32 s16, s16, s8
	s_mul_hi_u32 s17, s3, s8
	s_add_i32 s17, s17, s16
	s_mul_i32 s3, s3, s8
	s_add_u32 s16, s3, s5
	s_addc_u32 s17, s17, 0
	s_lshl_b64 s[16:17], s[16:17], 2
	s_waitcnt lgkmcnt(0)
	s_add_u32 s14, s14, s16
	s_addc_u32 s15, s15, s17
	s_add_u32 s12, s12, s16
	s_addc_u32 s13, s13, s17
	global_store_dword v55, v50, s[14:15]
	global_store_dword v55, v51, s[12:13]
.LBB1084_15:
	s_or_b64 exec, exec, s[10:11]
	s_waitcnt vmcnt(7)
	v_cvt_pk_f32_fp8_e32 v[36:37], v30
	v_lshl_or_b32 v50, v58, 9, v34
	v_cvt_pk_f32_fp8_sdwa v[34:35], v30 src0_sel:WORD_1
	s_waitcnt lgkmcnt(0)
	s_barrier
	v_cvt_pk_f32_fp8_e32 v[38:39], v31
	v_cvt_pkrtz_f16_f32 v30, v36, v37
	v_cvt_pk_f32_fp8_sdwa v[40:41], v31 src0_sel:WORD_1
	v_cvt_pkrtz_f16_f32 v31, v34, v35
	ds_read_b128 v[34:37], v50
	v_cvt_pkrtz_f16_f32 v46, v38, v39
	v_cvt_pkrtz_f16_f32 v47, v40, v41
	ds_read_b128 v[38:41], v50 offset:16
	v_cvt_pk_f32_fp8_e32 v[48:49], v32
	v_cvt_pk_f32_fp8_sdwa v[52:53], v32 src0_sel:WORD_1
	s_waitcnt lgkmcnt(1)
	v_mfma_f32_16x16x16_f16 v[42:45], v[30:31], v[34:35], 0
	s_waitcnt vmcnt(6)
	v_cvt_pk_f32_fp8_e32 v[56:57], v24
	v_cvt_pkrtz_f16_f32 v30, v48, v49
	v_cvt_pkrtz_f16_f32 v31, v52, v53
	v_cvt_pk_f32_fp8_e32 v[48:49], v33
	v_mfma_f32_16x16x16_f16 v[42:45], v[46:47], v[36:37], v[42:45]
	v_cvt_pk_f32_fp8_sdwa v[46:47], v33 src0_sel:WORD_1
	v_cvt_pk_f32_fp8_sdwa v[62:63], v24 src0_sel:WORD_1
	v_cvt_pkrtz_f16_f32 v48, v48, v49
	s_waitcnt lgkmcnt(0)
	v_mfma_f32_16x16x16_f16 v[30:33], v[30:31], v[38:39], v[42:45]
	v_cvt_pkrtz_f16_f32 v49, v46, v47
	s_waitcnt vmcnt(5)
	v_cvt_pk_f32_fp8_sdwa v[66:67], v12 src0_sel:WORD_1
	s_waitcnt vmcnt(4)
	v_cvt_pk_f32_fp8_sdwa v[68:69], v4 src0_sel:WORD_1
	v_cvt_pk_f32_fp8_e32 v[42:43], v22
	v_mfma_f32_16x16x16_f16 v[46:49], v[48:49], v[40:41], v[30:33]
	s_waitcnt vmcnt(3)
	v_cvt_pk_f32_fp8_sdwa v[70:71], v28 src0_sel:WORD_1
	s_load_dword s10, s[42:43], 0x0
	v_cvt_pk_f32_fp8_sdwa v[30:31], v22 src0_sel:WORD_1
	v_cvt_pk_f32_fp8_e32 v[32:33], v23
	v_cvt_pkrtz_f16_f32 v22, v42, v43
	v_cvt_pk_f32_fp8_sdwa v[42:43], v23 src0_sel:WORD_1
	v_cvt_pkrtz_f16_f32 v23, v30, v31
	v_cvt_pkrtz_f16_f32 v52, v32, v33
	ds_read_b128 v[30:33], v50 offset:2048
	v_cvt_pkrtz_f16_f32 v53, v42, v43
	ds_read_b128 v[42:45], v50 offset:2064
	s_waitcnt lgkmcnt(0)
	v_mfma_f32_16x16x16_f16 v[46:49], v[22:23], v[30:31], v[46:49]
	v_cvt_pkrtz_f16_f32 v22, v56, v57
	v_cvt_pkrtz_f16_f32 v23, v62, v63
	v_cvt_pk_f32_fp8_e32 v[56:57], v25
	v_mfma_f32_16x16x16_f16 v[46:49], v[52:53], v[32:33], v[46:49]
	v_cvt_pk_f32_fp8_sdwa v[52:53], v25 src0_sel:WORD_1
	v_cmp_gt_u32_e32 vcc, 64, v0
	v_cvt_pkrtz_f16_f32 v56, v56, v57
	v_mfma_f32_16x16x16_f16 v[22:25], v[22:23], v[42:43], v[46:49]
	v_cvt_pkrtz_f16_f32 v57, v52, v53
	s_xor_b64 s[6:7], s[6:7], -1
	s_mov_b32 s3, 0
	v_cvt_pk_f32_fp8_e32 v[46:47], v10
	v_mfma_f32_16x16x16_f16 v[62:65], v[56:57], v[44:45], v[22:25]
	v_cvt_pk_f32_fp8_e32 v[56:57], v12
	s_and_b64 s[6:7], vcc, s[6:7]
	s_nop 0
	v_cvt_pk_f32_fp8_sdwa v[22:23], v10 src0_sel:WORD_1
	v_cvt_pk_f32_fp8_e32 v[24:25], v11
	v_cvt_pkrtz_f16_f32 v10, v46, v47
	v_cvt_pk_f32_fp8_sdwa v[46:47], v11 src0_sel:WORD_1
	v_cvt_pkrtz_f16_f32 v11, v22, v23
	v_cvt_pkrtz_f16_f32 v52, v24, v25
	ds_read_b128 v[22:25], v50 offset:4096
	v_cvt_pkrtz_f16_f32 v53, v46, v47
	ds_read_b128 v[46:49], v50 offset:4112
	s_waitcnt lgkmcnt(1)
	v_mfma_f32_16x16x16_f16 v[62:65], v[10:11], v[22:23], v[62:65]
	v_cvt_pkrtz_f16_f32 v10, v56, v57
	v_cvt_pkrtz_f16_f32 v11, v66, v67
	v_cvt_pk_f32_fp8_e32 v[56:57], v13
	v_mfma_f32_16x16x16_f16 v[62:65], v[52:53], v[24:25], v[62:65]
	v_cvt_pk_f32_fp8_sdwa v[52:53], v13 src0_sel:WORD_1
	v_cvt_pk_f32_fp8_e32 v[66:67], v4
	v_cvt_pkrtz_f16_f32 v56, v56, v57
	s_waitcnt lgkmcnt(0)
	v_mfma_f32_16x16x16_f16 v[10:13], v[10:11], v[46:47], v[62:65]
	v_cvt_pkrtz_f16_f32 v57, v52, v53
	v_cvt_pk_f32_fp8_e32 v[52:53], v2
	s_nop 0
	v_mfma_f32_16x16x16_f16 v[62:65], v[56:57], v[48:49], v[10:13]
	s_nop 2
	v_cvt_pk_f32_fp8_sdwa v[10:11], v2 src0_sel:WORD_1
	v_cvt_pk_f32_fp8_e32 v[12:13], v3
	v_cvt_pkrtz_f16_f32 v2, v52, v53
	v_cvt_pk_f32_fp8_sdwa v[52:53], v3 src0_sel:WORD_1
	v_cvt_pkrtz_f16_f32 v3, v10, v11
	v_cvt_pkrtz_f16_f32 v56, v12, v13
	ds_read_b128 v[10:13], v50 offset:6144
	v_cvt_pkrtz_f16_f32 v57, v52, v53
	s_waitcnt lgkmcnt(0)
	v_mfma_f32_16x16x16_f16 v[62:65], v[2:3], v[10:11], v[62:65]
	ds_read_b128 v[50:53], v50 offset:6160
	v_cvt_pkrtz_f16_f32 v2, v66, v67
	v_cvt_pkrtz_f16_f32 v3, v68, v69
	v_cvt_pk_f32_fp8_e32 v[66:67], v5
	v_mfma_f32_16x16x16_f16 v[62:65], v[56:57], v[12:13], v[62:65]
	v_cvt_pk_f32_fp8_sdwa v[56:57], v5 src0_sel:WORD_1
	v_cvt_pk_f32_fp8_e32 v[68:69], v28
	v_cvt_pkrtz_f16_f32 v66, v66, v67
	s_waitcnt lgkmcnt(0)
	v_mfma_f32_16x16x16_f16 v[2:5], v[2:3], v[50:51], v[62:65]
	v_cvt_pkrtz_f16_f32 v67, v56, v57
	v_cvt_pk_f32_fp8_e32 v[56:57], v26
	s_nop 0
	v_cvt_pk_f32_fp8_sdwa v[62:63], v26 src0_sel:WORD_1
	v_cvt_pk_f32_fp8_e32 v[64:65], v27
	v_cvt_pkrtz_f16_f32 v56, v56, v57
	v_cvt_pk_f32_fp8_sdwa v[26:27], v27 src0_sel:WORD_1
	v_cvt_pkrtz_f16_f32 v57, v62, v63
	v_mfma_f32_16x16x16_f16 v[2:5], v[66:67], v[52:53], v[2:5]
	v_cvt_pkrtz_f16_f32 v66, v64, v65
	v_cvt_pkrtz_f16_f32 v67, v26, v27
	v_cvt_pkrtz_f16_f32 v26, v68, v69
	v_mfma_f32_16x16x16_f16 v[62:65], v[56:57], v[34:35], 0
	v_cvt_pkrtz_f16_f32 v27, v70, v71
	v_cvt_pk_f32_fp8_e32 v[56:57], v29
	s_barrier
	v_mfma_f32_16x16x16_f16 v[34:37], v[66:67], v[36:37], v[62:65]
	v_cvt_pkrtz_f16_f32 v56, v56, v57
	s_nop 1
	v_cvt_pk_f32_fp8_sdwa v[62:63], v29 src0_sel:WORD_1
	v_mfma_f32_16x16x16_f16 v[26:29], v[26:27], v[38:39], v[34:37]
	s_waitcnt vmcnt(2)
	v_cvt_pk_f32_fp8_e32 v[38:39], v19
	v_cvt_pkrtz_f16_f32 v57, v62, v63
	v_cvt_pk_f32_fp8_e32 v[34:35], v18
	v_cvt_pk_f32_fp8_sdwa v[36:37], v18 src0_sel:WORD_1
	v_cvt_pk_f32_fp8_sdwa v[18:19], v19 src0_sel:WORD_1
	v_mfma_f32_16x16x16_f16 v[26:29], v[56:57], v[40:41], v[26:29]
	v_cvt_pkrtz_f16_f32 v34, v34, v35
	v_cvt_pkrtz_f16_f32 v35, v36, v37
	;; [unrolled: 1-line block ×3, first 2 shown]
	v_cvt_pk_f32_fp8_e32 v[38:39], v20
	v_cvt_pk_f32_fp8_sdwa v[40:41], v20 src0_sel:WORD_1
	v_cvt_pkrtz_f16_f32 v37, v18, v19
	v_mfma_f32_16x16x16_f16 v[26:29], v[34:35], v[30:31], v[26:29]
	v_cvt_pkrtz_f16_f32 v30, v38, v39
	v_cvt_pkrtz_f16_f32 v31, v40, v41
	v_cvt_pk_f32_fp8_e32 v[34:35], v21
	v_cvt_pk_f32_fp8_sdwa v[38:39], v21 src0_sel:WORD_1
	v_mfma_f32_16x16x16_f16 v[18:21], v[36:37], v[32:33], v[26:29]
	s_waitcnt vmcnt(1)
	v_cvt_pk_f32_fp8_sdwa v[32:33], v16 src0_sel:WORD_1
	s_nop 0
	v_cvt_pkrtz_f16_f32 v26, v34, v35
	v_cvt_pkrtz_f16_f32 v27, v38, v39
	v_mfma_f32_16x16x16_f16 v[18:21], v[30:31], v[42:43], v[18:21]
	v_cvt_pk_f32_fp8_e32 v[28:29], v14
	v_cvt_pk_f32_fp8_sdwa v[30:31], v14 src0_sel:WORD_1
	v_cvt_pkrtz_f16_f32 v28, v28, v29
	v_mfma_f32_16x16x16_f16 v[18:21], v[26:27], v[44:45], v[18:21]
	v_cvt_pk_f32_fp8_e32 v[26:27], v15
	v_cvt_pkrtz_f16_f32 v29, v30, v31
	v_cvt_pk_f32_fp8_sdwa v[14:15], v15 src0_sel:WORD_1
	v_cvt_pk_f32_fp8_e32 v[30:31], v16
	v_cvt_pkrtz_f16_f32 v26, v26, v27
	v_mfma_f32_16x16x16_f16 v[18:21], v[28:29], v[22:23], v[18:21]
	v_cvt_pkrtz_f16_f32 v27, v14, v15
	v_cvt_pkrtz_f16_f32 v22, v30, v31
	;; [unrolled: 1-line block ×3, first 2 shown]
	v_cvt_pk_f32_fp8_e32 v[28:29], v17
	v_cvt_pk_f32_fp8_sdwa v[30:31], v17 src0_sel:WORD_1
	v_mfma_f32_16x16x16_f16 v[14:17], v[26:27], v[24:25], v[18:21]
	s_waitcnt vmcnt(0)
	v_cvt_pk_f32_fp8_sdwa v[24:25], v6 src0_sel:WORD_1
	s_nop 0
	v_pk_mul_f32 v[18:19], v[4:5], s[10:11] op_sel_hi:[1,0]
	v_cvt_pkrtz_f16_f32 v4, v28, v29
	v_cvt_pkrtz_f16_f32 v5, v30, v31
	v_mfma_f32_16x16x16_f16 v[14:17], v[22:23], v[46:47], v[14:17]
	v_cvt_pk_f32_fp8_e32 v[22:23], v6
	v_pk_mul_f32 v[20:21], v[2:3], s[10:11] op_sel_hi:[1,0]
	v_mfma_f32_16x16x16_f16 v[2:5], v[4:5], v[48:49], v[14:17]
	s_nop 3
	v_cvt_pk_f32_fp8_e32 v[14:15], v7
	v_cvt_pkrtz_f16_f32 v16, v22, v23
	v_cvt_pkrtz_f16_f32 v17, v24, v25
	v_cvt_pk_f32_fp8_sdwa v[6:7], v7 src0_sel:WORD_1
	v_cvt_pkrtz_f16_f32 v14, v14, v15
	v_cvt_pk_f32_fp8_e32 v[22:23], v8
	v_cvt_pk_f32_fp8_sdwa v[24:25], v8 src0_sel:WORD_1
	v_cvt_pkrtz_f16_f32 v15, v6, v7
	v_mfma_f32_16x16x16_f16 v[2:5], v[16:17], v[10:11], v[2:5]
	v_cvt_pkrtz_f16_f32 v6, v22, v23
	v_cvt_pkrtz_f16_f32 v7, v24, v25
	v_cvt_pk_f32_fp8_e32 v[10:11], v9
	v_cvt_pk_f32_fp8_sdwa v[8:9], v9 src0_sel:WORD_1
	v_mfma_f32_16x16x16_f16 v[2:5], v[14:15], v[12:13], v[2:5]
	v_cvt_f16_f32_e32 v12, v20
	v_cvt_pkrtz_f16_f32 v10, v10, v11
	v_cvt_pkrtz_f16_f32 v11, v8, v9
	v_mfma_f32_16x16x16_f16 v[2:5], v[6:7], v[50:51], v[2:5]
	v_cvt_f16_f32_e32 v6, v21
	v_cvt_f16_f32_e32 v7, v18
	;; [unrolled: 1-line block ×3, first 2 shown]
	v_mfma_f32_16x16x16_f16 v[2:5], v[10:11], v[52:53], v[2:5]
	s_nop 6
	v_pk_mul_f32 v[4:5], v[4:5], s[10:11] op_sel_hi:[1,0]
	v_pk_mul_f32 v[2:3], v[2:3], s[10:11] op_sel_hi:[1,0]
	v_cvt_f16_f32_e32 v11, v4
	v_cvt_f16_f32_e32 v9, v2
	;; [unrolled: 1-line block ×4, first 2 shown]
	v_pack_b32_f16 v2, v12, v6
	v_pack_b32_f16 v3, v7, v8
	;; [unrolled: 1-line block ×4, first 2 shown]
	ds_write2st64_b64 v54, v[2:3], v[4:5] offset1:1
	s_waitcnt lgkmcnt(0)
	s_barrier
	s_and_saveexec_b64 s[10:11], s[6:7]
	s_cbranch_execz .LBB1084_17
; %bb.16:
	s_load_dwordx2 s[0:1], s[0:1], 0x68
	s_mul_i32 s2, s9, s2
	s_lshl_b32 s8, s8, 7
	s_mul_hi_u32 s7, s2, s8
	s_mul_i32 s6, s2, s8
	v_lshlrev_b32_e32 v4, 6, v59
	s_lshl_b64 s[6:7], s[6:7], 1
	v_lshl_or_b32 v0, v0, 10, v4
	s_waitcnt lgkmcnt(0)
	s_add_u32 s6, s0, s6
	v_lshlrev_b32_e32 v2, 5, v58
	v_and_b32_e32 v3, 16, v60
	v_and_b32_e32 v0, 0x1a00, v0
	s_addc_u32 s7, s1, s7
	s_lshl_b32 s2, s5, 7
	v_or3_b32 v0, v0, v2, v3
	s_lshl_b64 s[0:1], s[2:3], 1
	ds_read_b128 v[2:5], v0
	s_add_u32 s2, s6, s0
	s_addc_u32 s3, s7, s1
	s_mul_hi_u32 s1, s8, s4
	s_mul_i32 s0, s8, s4
	s_lshl_b64 s[0:1], s[0:1], 1
	s_add_u32 s0, s2, s0
	s_addc_u32 s1, s3, s1
	s_waitcnt lgkmcnt(0)
	global_store_dwordx4 v1, v[2:5], s[0:1]
.LBB1084_17:
	s_endpgm
	.section	.rodata,"a",@progbits
	.p2align	6, 0x0
	.amdhsa_kernel _Z39paged_attention_ll4mi_QKV_mfma16_kernelIDF16_hLN4vllm18Fp8KVCacheDataTypeE1EDF16_Li32ELi128ELi256ELb0ELi1EEvPKT_PKT0_S7_ifPKiS9_S9_iPKfiiiPfSC_PS2_PT2_iSB_SB_
		.amdhsa_group_segment_fixed_size 8192
		.amdhsa_private_segment_fixed_size 0
		.amdhsa_kernarg_size 400
		.amdhsa_user_sgpr_count 2
		.amdhsa_user_sgpr_dispatch_ptr 0
		.amdhsa_user_sgpr_queue_ptr 0
		.amdhsa_user_sgpr_kernarg_segment_ptr 1
		.amdhsa_user_sgpr_dispatch_id 0
		.amdhsa_user_sgpr_kernarg_preload_length 0
		.amdhsa_user_sgpr_kernarg_preload_offset 0
		.amdhsa_user_sgpr_private_segment_size 0
		.amdhsa_uses_dynamic_stack 0
		.amdhsa_enable_private_segment 0
		.amdhsa_system_sgpr_workgroup_id_x 1
		.amdhsa_system_sgpr_workgroup_id_y 1
		.amdhsa_system_sgpr_workgroup_id_z 1
		.amdhsa_system_sgpr_workgroup_info 0
		.amdhsa_system_vgpr_workitem_id 0
		.amdhsa_next_free_vgpr 86
		.amdhsa_next_free_sgpr 48
		.amdhsa_accum_offset 88
		.amdhsa_reserve_vcc 1
		.amdhsa_float_round_mode_32 0
		.amdhsa_float_round_mode_16_64 0
		.amdhsa_float_denorm_mode_32 3
		.amdhsa_float_denorm_mode_16_64 3
		.amdhsa_dx10_clamp 1
		.amdhsa_ieee_mode 1
		.amdhsa_fp16_overflow 0
		.amdhsa_tg_split 0
		.amdhsa_exception_fp_ieee_invalid_op 0
		.amdhsa_exception_fp_denorm_src 0
		.amdhsa_exception_fp_ieee_div_zero 0
		.amdhsa_exception_fp_ieee_overflow 0
		.amdhsa_exception_fp_ieee_underflow 0
		.amdhsa_exception_fp_ieee_inexact 0
		.amdhsa_exception_int_div_zero 0
	.end_amdhsa_kernel
	.section	.text._Z39paged_attention_ll4mi_QKV_mfma16_kernelIDF16_hLN4vllm18Fp8KVCacheDataTypeE1EDF16_Li32ELi128ELi256ELb0ELi1EEvPKT_PKT0_S7_ifPKiS9_S9_iPKfiiiPfSC_PS2_PT2_iSB_SB_,"axG",@progbits,_Z39paged_attention_ll4mi_QKV_mfma16_kernelIDF16_hLN4vllm18Fp8KVCacheDataTypeE1EDF16_Li32ELi128ELi256ELb0ELi1EEvPKT_PKT0_S7_ifPKiS9_S9_iPKfiiiPfSC_PS2_PT2_iSB_SB_,comdat
.Lfunc_end1084:
	.size	_Z39paged_attention_ll4mi_QKV_mfma16_kernelIDF16_hLN4vllm18Fp8KVCacheDataTypeE1EDF16_Li32ELi128ELi256ELb0ELi1EEvPKT_PKT0_S7_ifPKiS9_S9_iPKfiiiPfSC_PS2_PT2_iSB_SB_, .Lfunc_end1084-_Z39paged_attention_ll4mi_QKV_mfma16_kernelIDF16_hLN4vllm18Fp8KVCacheDataTypeE1EDF16_Li32ELi128ELi256ELb0ELi1EEvPKT_PKT0_S7_ifPKiS9_S9_iPKfiiiPfSC_PS2_PT2_iSB_SB_
                                        ; -- End function
	.section	.AMDGPU.csdata,"",@progbits
; Kernel info:
; codeLenInByte = 5932
; NumSgprs: 54
; NumVgprs: 86
; NumAgprs: 0
; TotalNumVgprs: 86
; ScratchSize: 0
; MemoryBound: 0
; FloatMode: 240
; IeeeMode: 1
; LDSByteSize: 8192 bytes/workgroup (compile time only)
; SGPRBlocks: 6
; VGPRBlocks: 10
; NumSGPRsForWavesPerEU: 54
; NumVGPRsForWavesPerEU: 86
; AccumOffset: 88
; Occupancy: 5
; WaveLimiterHint : 1
; COMPUTE_PGM_RSRC2:SCRATCH_EN: 0
; COMPUTE_PGM_RSRC2:USER_SGPR: 2
; COMPUTE_PGM_RSRC2:TRAP_HANDLER: 0
; COMPUTE_PGM_RSRC2:TGID_X_EN: 1
; COMPUTE_PGM_RSRC2:TGID_Y_EN: 1
; COMPUTE_PGM_RSRC2:TGID_Z_EN: 1
; COMPUTE_PGM_RSRC2:TIDIG_COMP_CNT: 0
; COMPUTE_PGM_RSRC3_GFX90A:ACCUM_OFFSET: 21
; COMPUTE_PGM_RSRC3_GFX90A:TG_SPLIT: 0
	.section	.text._Z39paged_attention_ll4mi_QKV_mfma16_kernelIDF16_hLN4vllm18Fp8KVCacheDataTypeE1EDF16_Li32ELi128ELi256ELb0ELi2EEvPKT_PKT0_S7_ifPKiS9_S9_iPKfiiiPfSC_PS2_PT2_iSB_SB_,"axG",@progbits,_Z39paged_attention_ll4mi_QKV_mfma16_kernelIDF16_hLN4vllm18Fp8KVCacheDataTypeE1EDF16_Li32ELi128ELi256ELb0ELi2EEvPKT_PKT0_S7_ifPKiS9_S9_iPKfiiiPfSC_PS2_PT2_iSB_SB_,comdat
	.protected	_Z39paged_attention_ll4mi_QKV_mfma16_kernelIDF16_hLN4vllm18Fp8KVCacheDataTypeE1EDF16_Li32ELi128ELi256ELb0ELi2EEvPKT_PKT0_S7_ifPKiS9_S9_iPKfiiiPfSC_PS2_PT2_iSB_SB_ ; -- Begin function _Z39paged_attention_ll4mi_QKV_mfma16_kernelIDF16_hLN4vllm18Fp8KVCacheDataTypeE1EDF16_Li32ELi128ELi256ELb0ELi2EEvPKT_PKT0_S7_ifPKiS9_S9_iPKfiiiPfSC_PS2_PT2_iSB_SB_
	.globl	_Z39paged_attention_ll4mi_QKV_mfma16_kernelIDF16_hLN4vllm18Fp8KVCacheDataTypeE1EDF16_Li32ELi128ELi256ELb0ELi2EEvPKT_PKT0_S7_ifPKiS9_S9_iPKfiiiPfSC_PS2_PT2_iSB_SB_
	.p2align	8
	.type	_Z39paged_attention_ll4mi_QKV_mfma16_kernelIDF16_hLN4vllm18Fp8KVCacheDataTypeE1EDF16_Li32ELi128ELi256ELb0ELi2EEvPKT_PKT0_S7_ifPKiS9_S9_iPKfiiiPfSC_PS2_PT2_iSB_SB_,@function
_Z39paged_attention_ll4mi_QKV_mfma16_kernelIDF16_hLN4vllm18Fp8KVCacheDataTypeE1EDF16_Li32ELi128ELi256ELb0ELi2EEvPKT_PKT0_S7_ifPKiS9_S9_iPKfiiiPfSC_PS2_PT2_iSB_SB_: ; @_Z39paged_attention_ll4mi_QKV_mfma16_kernelIDF16_hLN4vllm18Fp8KVCacheDataTypeE1EDF16_Li32ELi128ELi256ELb0ELi2EEvPKT_PKT0_S7_ifPKiS9_S9_iPKfiiiPfSC_PS2_PT2_iSB_SB_
; %bb.0:
	s_load_dwordx2 s[12:13], s[0:1], 0x30
	s_mov_b32 s22, s3
	s_mov_b64 s[6:7], 0
	s_waitcnt lgkmcnt(0)
	s_cmp_lg_u64 s[12:13], 0
	s_cselect_b64 s[14:15], -1, 0
	s_and_b64 vcc, exec, s[14:15]
	s_cbranch_vccz .LBB1085_7
; %bb.1:
	s_add_i32 s8, s2, 1
	s_mov_b32 s9, 0
	s_lshl_b64 s[10:11], s[8:9], 2
	s_add_u32 s10, s12, s10
	s_mov_b32 s3, s9
	s_addc_u32 s11, s13, s11
	s_lshl_b64 s[8:9], s[2:3], 2
	s_add_u32 s8, s12, s8
	s_addc_u32 s9, s13, s9
	s_load_dword s5, s[10:11], 0x0
	s_load_dword s16, s[8:9], 0x0
	s_waitcnt lgkmcnt(0)
	s_sub_i32 s5, s5, s16
	s_cmp_eq_u32 s5, 1
	s_cselect_b64 s[8:9], -1, 0
	s_andn2_b64 vcc, exec, s[6:7]
	s_cbranch_vccnz .LBB1085_3
.LBB1085_2:
	s_mov_b32 s3, 0
	s_mov_b64 s[8:9], -1
.LBB1085_3:
	s_andn2_b64 vcc, exec, s[8:9]
	s_cbranch_vccnz .LBB1085_17
; %bb.4:
	s_load_dwordx2 s[6:7], s[0:1], 0x28
	s_lshl_b64 s[16:17], s[2:3], 2
	s_waitcnt lgkmcnt(0)
	s_add_u32 s6, s6, s16
	s_addc_u32 s7, s7, s17
	s_load_dword s38, s[6:7], 0x0
	s_lshl_b32 s18, s22, 8
	s_waitcnt lgkmcnt(0)
	s_cmp_ge_i32 s18, s38
	s_cbranch_scc1 .LBB1085_17
; %bb.5:
	s_load_dwordx2 s[6:7], s[0:1], 0x20
	s_load_dword s8, s[0:1], 0x38
	s_add_i32 s5, s38, 31
	s_ashr_i32 s9, s5, 31
	v_and_b32_e32 v1, 0xcf, v0
	s_lshr_b32 s9, s9, 27
	v_add_u32_e32 v1, s18, v1
	s_add_i32 s5, s5, s9
	v_ashrrev_i32_e32 v2, 31, v1
	s_ashr_i32 s5, s5, 5
	v_lshrrev_b32_e32 v10, 27, v2
	s_add_i32 s5, s5, -1
	s_waitcnt lgkmcnt(0)
	s_mul_i32 s8, s2, s8
	s_mov_b32 s9, 0
	v_add_u32_e32 v2, v1, v10
	s_lshl_b64 s[8:9], s[8:9], 2
	v_ashrrev_i32_e32 v2, 5, v2
	v_mov_b32_e32 v11, s5
	v_cmp_gt_i32_e32 vcc, s38, v1
	s_add_u32 s6, s6, s8
	s_addc_u32 s7, s7, s9
	v_cndmask_b32_e32 v2, v11, v2, vcc
	v_ashrrev_i32_e32 v3, 31, v2
	v_lshl_add_u64 v[4:5], v[2:3], 2, s[6:7]
	v_or_b32_e32 v2, 16, v1
	v_add_u32_e32 v3, v2, v10
	v_ashrrev_i32_e32 v3, 5, v3
	v_cmp_gt_i32_e32 vcc, s38, v2
	s_load_dwordx4 s[8:11], s[0:1], 0x8
	s_nop 0
	v_cndmask_b32_e32 v2, v11, v3, vcc
	v_ashrrev_i32_e32 v3, 31, v2
	v_lshl_add_u64 v[6:7], v[2:3], 2, s[6:7]
	v_or_b32_e32 v2, 32, v1
	v_add_u32_e32 v3, v2, v10
	v_ashrrev_i32_e32 v3, 5, v3
	v_cmp_gt_i32_e32 vcc, s38, v2
	v_or_b32_e32 v1, 48, v1
	s_nop 0
	v_cndmask_b32_e32 v2, v11, v3, vcc
	v_ashrrev_i32_e32 v3, 31, v2
	v_lshl_add_u64 v[8:9], v[2:3], 2, s[6:7]
	v_add_u32_e32 v2, v1, v10
	v_ashrrev_i32_e32 v2, 5, v2
	v_cmp_gt_i32_e32 vcc, s38, v1
	s_nop 1
	v_cndmask_b32_e32 v2, v11, v2, vcc
	v_ashrrev_i32_e32 v3, 31, v2
	v_lshl_add_u64 v[10:11], v[2:3], 2, s[6:7]
	global_load_dword v2, v[4:5], off
	global_load_dword v32, v[6:7], off
	;; [unrolled: 1-line block ×4, first 2 shown]
	s_andn2_b64 vcc, exec, s[14:15]
	s_cbranch_vccnz .LBB1085_8
; %bb.6:
	s_add_u32 s12, s12, s16
	s_addc_u32 s13, s13, s17
	s_load_dword s14, s[12:13], 0x0
	s_branch .LBB1085_9
.LBB1085_7:
	s_mov_b64 s[8:9], 0
	s_branch .LBB1085_2
.LBB1085_8:
	s_mov_b32 s14, s2
.LBB1085_9:
	s_load_dwordx4 s[44:47], s[0:1], 0x48
	v_lshrrev_b32_e32 v63, 6, v0
	v_bfe_u32 v1, v0, 4, 2
	v_and_b32_e32 v60, 15, v0
	v_lshl_or_b32 v3, v63, 2, v1
	v_lshlrev_b32_e32 v4, 3, v60
	v_and_b32_e32 v62, 63, v0
	s_lshl_b32 s23, s4, 1
	v_cmp_gt_u32_e32 vcc, 2, v3
	v_lshlrev_b32_e32 v54, 1, v4
	v_lshlrev_b32_e32 v61, 4, v0
	s_and_saveexec_b64 s[12:13], vcc
	s_cbranch_execz .LBB1085_11
; %bb.10:
	s_load_dwordx2 s[16:17], s[0:1], 0x0
	s_waitcnt lgkmcnt(0)
	s_ashr_i32 s15, s44, 31
	s_mul_hi_u32 s19, s14, s44
	s_mul_i32 s15, s14, s15
	s_add_i32 s15, s19, s15
	s_mul_i32 s14, s14, s44
	s_lshl_b64 s[14:15], s[14:15], 1
	s_add_u32 s14, s16, s14
	v_add_lshl_u32 v4, v1, s23, 7
	s_addc_u32 s15, s17, s15
	v_ashrrev_i32_e32 v5, 31, v4
	v_lshl_add_u64 v[4:5], v[4:5], 1, s[14:15]
	v_mov_b32_e32 v55, 0
	v_lshl_add_u64 v[4:5], v[4:5], 0, v[54:55]
	global_load_dwordx4 v[4:7], v[4:5], off
	v_lshlrev_b32_e32 v9, 8, v0
	v_lshlrev_b32_e32 v8, 8, v60
	v_and_b32_e32 v9, 0x600, v9
	s_movk_i32 s14, 0x800
	v_and_or_b32 v8, v8, s14, v9
	v_lshlrev_b32_e32 v3, 5, v3
	v_and_b32_e32 v9, 16, v61
	v_or3_b32 v3, v8, v3, v9
	s_waitcnt vmcnt(0)
	ds_write_b128 v3, v[4:7]
.LBB1085_11:
	s_or_b64 exec, exec, s[12:13]
	s_waitcnt lgkmcnt(0)
	s_mul_i32 s12, s4, s46
	s_add_u32 s8, s8, s12
	s_addc_u32 s9, s9, 0
	v_mov_b32_e32 v57, 0
	v_mov_b64_e32 v[24:25], s[8:9]
	v_and_b32_e32 v8, 48, v0
	s_waitcnt vmcnt(3)
	v_mad_i64_i32 v[2:3], s[8:9], v2, s45, v[24:25]
	v_lshlrev_b32_e32 v22, 4, v60
	v_mov_b32_e32 v23, v57
	v_lshlrev_b32_e32 v56, 5, v8
	v_lshl_add_u64 v[2:3], v[2:3], 0, v[22:23]
	v_lshl_add_u64 v[6:7], v[2:3], 0, v[56:57]
	s_load_dword s33, s[0:1], 0x98
	s_load_dwordx4 s[40:43], s[0:1], 0x80
	s_waitcnt lgkmcnt(0)
	s_barrier
	global_load_dwordx4 v[10:13], v[6:7], off
	global_load_dwordx4 v[2:5], v[6:7], off offset:2048
	s_ashr_i32 s4, s18, 31
	v_and_b32_e32 v6, 1, v0
	v_mov_b32_e32 v38, s5
	v_or_b32_e32 v34, 0x100, v22
	v_mov_b32_e32 v35, v57
	s_lshr_b32 s9, s4, 27
	s_waitcnt vmcnt(4)
	v_mad_i64_i32 v[32:33], s[4:5], v32, s45, v[24:25]
	v_lshlrev_b32_e32 v6, 5, v6
	s_waitcnt vmcnt(3)
	v_mad_i64_i32 v[36:37], s[4:5], v30, s45, v[24:25]
	s_waitcnt vmcnt(2)
	v_mad_i64_i32 v[24:25], s[4:5], v31, s45, v[24:25]
	v_lshl_add_u64 v[30:31], v[32:33], 0, v[34:35]
	v_lshl_or_b32 v6, v1, 9, v6
	v_lshl_add_u64 v[30:31], v[30:31], 0, v[56:57]
	v_or_b32_e32 v39, s18, v8
	ds_read_b128 v[26:29], v6
	ds_read_b128 v[18:21], v6 offset:16
	ds_read_b128 v[14:17], v6 offset:2048
	;; [unrolled: 1-line block ×3, first 2 shown]
	global_load_dwordx4 v[50:53], v[30:31], off
	v_or_b32_e32 v40, 64, v39
	v_add_u32_e32 v32, s9, v39
	v_or_b32_e32 v41, 0x80, v39
	v_add_u32_e32 v33, s9, v40
	v_ashrrev_i32_e32 v32, 5, v32
	v_cmp_gt_i32_e32 vcc, s38, v39
	v_or_b32_e32 v42, 0xc0, v39
	v_add_u32_e32 v43, s9, v41
	v_ashrrev_i32_e32 v33, 5, v33
	v_cndmask_b32_e32 v46, v38, v32, vcc
	v_cmp_gt_i32_e32 vcc, s38, v40
	v_add_u32_e32 v44, s9, v42
	v_lshl_add_u64 v[22:23], v[36:37], 0, v[22:23]
	v_lshl_add_u64 v[24:25], v[24:25], 0, v[34:35]
	v_ashrrev_i32_e32 v43, 5, v43
	v_cndmask_b32_e32 v48, v38, v33, vcc
	v_cmp_gt_i32_e32 vcc, s38, v41
	v_ashrrev_i32_e32 v44, 5, v44
	v_lshl_add_u64 v[34:35], v[22:23], 0, v[56:57]
	v_lshl_add_u64 v[36:37], v[24:25], 0, v[56:57]
	v_cndmask_b32_e32 v58, v38, v43, vcc
	v_cmp_gt_i32_e32 vcc, s38, v42
	v_ashrrev_i32_e32 v47, 31, v46
	v_ashrrev_i32_e32 v49, 31, v48
	v_cndmask_b32_e32 v64, v38, v44, vcc
	global_load_dwordx4 v[30:33], v[30:31], off offset:2048
	s_nop 0
	global_load_dwordx4 v[22:25], v[34:35], off
	global_load_dwordx4 v[42:45], v[34:35], off offset:2048
	global_load_dwordx4 v[38:41], v[36:37], off
	s_nop 0
	global_load_dwordx4 v[34:37], v[36:37], off offset:2048
	v_ashrrev_i32_e32 v59, 31, v58
	v_ashrrev_i32_e32 v65, 31, v64
	v_lshl_add_u64 v[46:47], v[46:47], 2, s[6:7]
	v_lshl_add_u64 v[48:49], v[48:49], 2, s[6:7]
	;; [unrolled: 1-line block ×4, first 2 shown]
	global_load_dword v67, v[46:47], off
	global_load_dword v65, v[48:49], off
	;; [unrolled: 1-line block ×4, first 2 shown]
	s_add_u32 s4, s10, s12
	s_addc_u32 s5, s11, 0
	v_and_b32_e32 v56, 16, v0
	v_lshl_or_b32 v66, v63, 4, v60
	s_load_dword s8, s[0:1], 0x1c
	s_waitcnt vmcnt(11)
	v_cvt_pk_f32_fp8_e32 v[46:47], v10
	v_cvt_pk_f32_fp8_sdwa v[48:49], v10 src0_sel:WORD_1
	v_cvt_pk_f32_fp8_e32 v[58:59], v11
	v_cvt_pk_f32_fp8_sdwa v[10:11], v11 src0_sel:WORD_1
	v_cvt_pkrtz_f16_f32 v46, v46, v47
	v_cvt_pkrtz_f16_f32 v47, v48, v49
	v_cvt_pk_f32_fp8_e32 v[68:69], v12
	v_cvt_pk_f32_fp8_sdwa v[70:71], v12 src0_sel:WORD_1
	v_cvt_pkrtz_f16_f32 v58, v58, v59
	v_cvt_pkrtz_f16_f32 v59, v10, v11
	v_cvt_pk_f32_fp8_e32 v[48:49], v13
	v_cvt_pk_f32_fp8_sdwa v[72:73], v13 src0_sel:WORD_1
	s_waitcnt lgkmcnt(0)
	v_mfma_f32_16x16x16_f16 v[10:13], v[46:47], v[26:27], 0
	v_cvt_pkrtz_f16_f32 v68, v68, v69
	v_cvt_pkrtz_f16_f32 v69, v70, v71
	s_waitcnt vmcnt(10)
	v_cvt_pk_f32_fp8_e32 v[46:47], v2
	v_mfma_f32_16x16x16_f16 v[10:13], v[58:59], v[28:29], v[10:13]
	v_cvt_pk_f32_fp8_sdwa v[58:59], v2 src0_sel:WORD_1
	v_cvt_pkrtz_f16_f32 v48, v48, v49
	v_cvt_pkrtz_f16_f32 v49, v72, v73
	v_mfma_f32_16x16x16_f16 v[10:13], v[68:69], v[18:19], v[10:13]
	v_cvt_pk_f32_fp8_e32 v[68:69], v3
	v_cvt_pkrtz_f16_f32 v46, v46, v47
	v_cvt_pkrtz_f16_f32 v47, v58, v59
	v_cvt_pk_f32_fp8_sdwa v[2:3], v3 src0_sel:WORD_1
	v_mfma_f32_16x16x16_f16 v[10:13], v[48:49], v[20:21], v[10:13]
	v_cvt_pkrtz_f16_f32 v48, v68, v69
	v_cvt_pk_f32_fp8_e32 v[58:59], v4
	v_cvt_pk_f32_fp8_sdwa v[68:69], v4 src0_sel:WORD_1
	v_cvt_pkrtz_f16_f32 v49, v2, v3
	v_mfma_f32_16x16x16_f16 v[10:13], v[46:47], v[14:15], v[10:13]
	v_cvt_pkrtz_f16_f32 v46, v58, v59
	v_cvt_pkrtz_f16_f32 v47, v68, v69
	v_cvt_pk_f32_fp8_e32 v[58:59], v5
	v_cvt_pk_f32_fp8_sdwa v[68:69], v5 src0_sel:WORD_1
	v_mfma_f32_16x16x16_f16 v[2:5], v[48:49], v[16:17], v[10:13]
	s_waitcnt vmcnt(7)
	v_cvt_pk_f32_fp8_e32 v[72:73], v25
	s_nop 0
	v_cvt_pkrtz_f16_f32 v10, v58, v59
	v_cvt_pkrtz_f16_f32 v11, v68, v69
	v_mfma_f32_16x16x16_f16 v[2:5], v[46:47], v[6:7], v[2:5]
	v_cvt_pk_f32_fp8_e32 v[12:13], v50
	v_cvt_pk_f32_fp8_sdwa v[58:59], v50 src0_sel:WORD_1
	v_cvt_pk_f32_fp8_sdwa v[74:75], v25 src0_sel:WORD_1
	v_mfma_f32_16x16x16_f16 v[46:49], v[10:11], v[8:9], v[2:5]
	v_cvt_pk_f32_fp8_sdwa v[10:11], v51 src0_sel:WORD_1
	s_waitcnt vmcnt(6)
	v_cvt_pk_f32_fp8_sdwa v[78:79], v44 src0_sel:WORD_1
	v_cvt_pk_f32_fp8_e32 v[2:3], v51
	v_cvt_pkrtz_f16_f32 v4, v12, v13
	v_cvt_pkrtz_f16_f32 v5, v58, v59
	v_cvt_pk_f32_fp8_e32 v[50:51], v52
	v_cvt_pkrtz_f16_f32 v12, v2, v3
	v_cvt_pk_f32_fp8_sdwa v[58:59], v52 src0_sel:WORD_1
	v_cvt_pkrtz_f16_f32 v13, v10, v11
	v_mfma_f32_16x16x16_f16 v[2:5], v[4:5], v[26:27], 0
	v_cvt_pkrtz_f16_f32 v10, v50, v51
	v_cvt_pkrtz_f16_f32 v11, v58, v59
	v_cvt_pk_f32_fp8_e32 v[50:51], v53
	v_cvt_pk_f32_fp8_sdwa v[52:53], v53 src0_sel:WORD_1
	v_mfma_f32_16x16x16_f16 v[2:5], v[12:13], v[28:29], v[2:5]
	v_lshl_add_u64 v[58:59], s[4:5], 0, v[56:57]
	v_cvt_pkrtz_f16_f32 v12, v50, v51
	v_cvt_pkrtz_f16_f32 v13, v52, v53
	v_mfma_f32_16x16x16_f16 v[2:5], v[10:11], v[18:19], v[2:5]
	v_cvt_pk_f32_fp8_e32 v[10:11], v30
	v_cvt_pk_f32_fp8_sdwa v[50:51], v30 src0_sel:WORD_1
	v_cvt_pk_f32_fp8_sdwa v[52:53], v32 src0_sel:WORD_1
	v_mfma_f32_16x16x16_f16 v[2:5], v[12:13], v[20:21], v[2:5]
	v_cvt_pk_f32_fp8_e32 v[12:13], v31
	v_cvt_pkrtz_f16_f32 v10, v10, v11
	v_cvt_pkrtz_f16_f32 v11, v50, v51
	v_cvt_pk_f32_fp8_sdwa v[30:31], v31 src0_sel:WORD_1
	v_cvt_pkrtz_f16_f32 v12, v12, v13
	v_cvt_pk_f32_fp8_e32 v[50:51], v32
	v_mfma_f32_16x16x16_f16 v[2:5], v[10:11], v[14:15], v[2:5]
	v_cvt_pkrtz_f16_f32 v13, v30, v31
	v_cvt_pkrtz_f16_f32 v10, v50, v51
	;; [unrolled: 1-line block ×3, first 2 shown]
	v_cvt_pk_f32_fp8_e32 v[30:31], v33
	v_cvt_pk_f32_fp8_sdwa v[32:33], v33 src0_sel:WORD_1
	v_mfma_f32_16x16x16_f16 v[2:5], v[12:13], v[16:17], v[2:5]
	v_lshlrev_b32_e32 v56, 5, v66
	v_cvt_pkrtz_f16_f32 v12, v30, v31
	v_cvt_pkrtz_f16_f32 v13, v32, v33
	v_mfma_f32_16x16x16_f16 v[2:5], v[10:11], v[6:7], v[2:5]
	v_cvt_pk_f32_fp8_e32 v[10:11], v22
	v_cvt_pk_f32_fp8_sdwa v[30:31], v22 src0_sel:WORD_1
	v_lshl_add_u64 v[68:69], v[58:59], 0, v[56:57]
	v_mfma_f32_16x16x16_f16 v[50:53], v[12:13], v[8:9], v[2:5]
	s_waitcnt vmcnt(3)
	v_mad_i64_i32 v[12:13], s[4:5], v67, s45, v[68:69]
	s_waitcnt vmcnt(2)
	v_mad_i64_i32 v[70:71], s[4:5], v65, s45, v[68:69]
	v_cvt_pkrtz_f16_f32 v2, v10, v11
	v_cvt_pkrtz_f16_f32 v3, v30, v31
	v_cvt_pk_f32_fp8_e32 v[4:5], v23
	v_cvt_pk_f32_fp8_sdwa v[10:11], v23 src0_sel:WORD_1
	v_cvt_pk_f32_fp8_sdwa v[30:31], v24 src0_sel:WORD_1
	v_or_b32_e32 v56, 0x800, v56
	v_cvt_pkrtz_f16_f32 v22, v4, v5
	v_cvt_pkrtz_f16_f32 v23, v10, v11
	v_cvt_pk_f32_fp8_e32 v[10:11], v24
	v_mfma_f32_16x16x16_f16 v[2:5], v[2:3], v[26:27], 0
	v_cvt_pkrtz_f16_f32 v10, v10, v11
	v_cvt_pkrtz_f16_f32 v11, v30, v31
	v_mfma_f32_16x16x16_f16 v[2:5], v[22:23], v[28:29], v[2:5]
	global_load_dwordx4 v[30:33], v[12:13], off
	global_load_dwordx4 v[22:25], v[70:71], off
	v_cvt_pkrtz_f16_f32 v12, v72, v73
	v_cvt_pkrtz_f16_f32 v13, v74, v75
	v_mfma_f32_16x16x16_f16 v[2:5], v[10:11], v[18:19], v[2:5]
	v_cvt_pk_f32_fp8_e32 v[10:11], v42
	v_cvt_pk_f32_fp8_sdwa v[70:71], v42 src0_sel:WORD_1
	s_waitcnt vmcnt(3)
	v_mad_i64_i32 v[72:73], s[4:5], v55, s45, v[68:69]
	v_mfma_f32_16x16x16_f16 v[2:5], v[12:13], v[20:21], v[2:5]
	v_cvt_pkrtz_f16_f32 v10, v10, v11
	v_cvt_pkrtz_f16_f32 v11, v70, v71
	v_cvt_pk_f32_fp8_e32 v[12:13], v43
	v_cvt_pk_f32_fp8_sdwa v[42:43], v43 src0_sel:WORD_1
	s_waitcnt vmcnt(2)
	v_mad_i64_i32 v[74:75], s[4:5], v64, s45, v[68:69]
	v_cvt_pkrtz_f16_f32 v76, v12, v13
	v_cvt_pkrtz_f16_f32 v77, v42, v43
	v_cvt_pk_f32_fp8_e32 v[42:43], v44
	v_mfma_f32_16x16x16_f16 v[68:71], v[10:11], v[14:15], v[2:5]
	global_load_dwordx4 v[10:13], v[72:73], off
	s_nop 1
	global_load_dwordx4 v[2:5], v[74:75], off
	v_cvt_pkrtz_f16_f32 v73, v78, v79
	v_cvt_pkrtz_f16_f32 v72, v42, v43
	v_cvt_pk_f32_fp8_e32 v[74:75], v45
	v_cvt_pk_f32_fp8_sdwa v[44:45], v45 src0_sel:WORD_1
	v_mfma_f32_16x16x16_f16 v[68:71], v[76:77], v[16:17], v[68:71]
	v_lshl_add_u64 v[42:43], v[58:59], 0, v[56:57]
	v_cvt_pkrtz_f16_f32 v74, v74, v75
	v_cvt_pkrtz_f16_f32 v75, v44, v45
	v_mfma_f32_16x16x16_f16 v[56:59], v[72:73], v[6:7], v[68:71]
	v_cvt_pk_f32_fp8_e32 v[44:45], v38
	v_cvt_pk_f32_fp8_sdwa v[76:77], v40 src0_sel:WORD_1
	s_load_dword s4, s[40:41], 0x0
	v_cvt_pk_f32_fp8_sdwa v[68:69], v38 src0_sel:WORD_1
	v_cvt_pk_f32_fp8_e32 v[70:71], v39
	v_cvt_pkrtz_f16_f32 v44, v44, v45
	v_cvt_pk_f32_fp8_sdwa v[38:39], v39 src0_sel:WORD_1
	v_cvt_pkrtz_f16_f32 v45, v68, v69
	v_mfma_f32_16x16x16_f16 v[56:59], v[74:75], v[8:9], v[56:59]
	v_cvt_pkrtz_f16_f32 v72, v70, v71
	v_cvt_pk_f32_fp8_e32 v[74:75], v40
	v_cvt_pkrtz_f16_f32 v73, v38, v39
	v_mfma_f32_16x16x16_f16 v[68:71], v[44:45], v[26:27], 0
	v_cvt_pkrtz_f16_f32 v39, v76, v77
	v_cvt_pkrtz_f16_f32 v38, v74, v75
	v_cvt_pk_f32_fp8_e32 v[44:45], v41
	v_cvt_pk_f32_fp8_sdwa v[40:41], v41 src0_sel:WORD_1
	v_mfma_f32_16x16x16_f16 v[26:29], v[72:73], v[28:29], v[68:71]
	s_mov_b32 s40, 0xff7fffff
	v_cvt_pkrtz_f16_f32 v44, v44, v45
	v_cvt_pkrtz_f16_f32 v45, v40, v41
	v_mfma_f32_16x16x16_f16 v[26:29], v[38:39], v[18:19], v[26:29]
	v_mov_b32_e32 v68, s8
	s_waitcnt lgkmcnt(0)
	v_mul_f32_e32 v40, s4, v68
	v_pk_mul_f32 v[38:39], v[40:41], v[48:49] op_sel_hi:[0,1]
	v_mfma_f32_16x16x16_f16 v[18:21], v[44:45], v[20:21], v[26:29]
	v_cvt_pk_f32_fp8_e32 v[44:45], v35
	v_pk_mul_f32 v[46:47], v[40:41], v[46:47] op_sel_hi:[0,1]
	v_pk_mul_f32 v[48:49], v[40:41], v[52:53] op_sel_hi:[0,1]
	v_cvt_pk_f32_fp8_e32 v[26:27], v34
	v_cvt_pk_f32_fp8_sdwa v[28:29], v34 src0_sel:WORD_1
	v_cvt_pk_f32_fp8_sdwa v[34:35], v35 src0_sel:WORD_1
	v_pk_mul_f32 v[52:53], v[40:41], v[50:51] op_sel_hi:[0,1]
	v_cvt_pkrtz_f16_f32 v26, v26, v27
	v_cvt_pkrtz_f16_f32 v27, v28, v29
	;; [unrolled: 1-line block ×4, first 2 shown]
	v_cvt_pk_f32_fp8_e32 v[34:35], v36
	v_cvt_pk_f32_fp8_sdwa v[44:45], v36 src0_sel:WORD_1
	v_mfma_f32_16x16x16_f16 v[18:21], v[26:27], v[14:15], v[18:21]
	v_pk_mul_f32 v[50:51], v[40:41], v[56:57] op_sel_hi:[0,1]
	v_cvt_pkrtz_f16_f32 v26, v34, v35
	v_cvt_pkrtz_f16_f32 v27, v44, v45
	v_cvt_pk_f32_fp8_e32 v[34:35], v37
	v_cvt_pk_f32_fp8_sdwa v[36:37], v37 src0_sel:WORD_1
	v_mfma_f32_16x16x16_f16 v[14:17], v[28:29], v[16:17], v[18:21]
	v_pk_mul_f32 v[44:45], v[40:41], v[58:59] op_sel_hi:[0,1]
	v_mad_i64_i32 v[68:69], s[4:5], v67, s45, v[42:43]
	s_nop 0
	v_cvt_pkrtz_f16_f32 v18, v34, v35
	v_cvt_pkrtz_f16_f32 v19, v36, v37
	v_mfma_f32_16x16x16_f16 v[14:17], v[26:27], v[6:7], v[14:17]
	s_nop 0
	v_mfma_f32_16x16x16_f16 v[6:9], v[18:19], v[8:9], v[14:17]
	s_nop 6
	v_pk_mul_f32 v[34:35], v[40:41], v[8:9] op_sel_hi:[0,1]
	v_pk_mul_f32 v[40:41], v[40:41], v[6:7] op_sel_hi:[0,1]
	v_and_b32_e32 v6, 0xc0, v0
	v_add_u32_e32 v6, s18, v6
	v_lshl_or_b32 v6, v1, 2, v6
	v_or_b32_e32 v9, 1, v6
	v_mov_b32_e32 v7, 0xff7fffff
	v_cmp_gt_i32_e64 s[24:25], s38, v6
	v_cmp_gt_i32_e64 s[26:27], s38, v9
	v_or_b32_e32 v14, 3, v6
	v_cndmask_b32_e64 v8, v7, v46, s[24:25]
	v_cndmask_b32_e64 v9, v7, v47, s[26:27]
	v_max3_f32 v8, v8, s40, v9
	v_or_b32_e32 v9, 2, v6
	v_cmp_gt_i32_e64 s[28:29], s38, v9
	v_cmp_gt_i32_e64 s[30:31], s38, v14
	s_nop 0
	v_cndmask_b32_e64 v9, v7, v38, s[28:29]
	v_cndmask_b32_e64 v14, v7, v39, s[30:31]
	v_max3_f32 v8, v8, v9, v14
	v_or_b32_e32 v9, 16, v6
	v_or_b32_e32 v14, 17, v6
	v_cmp_gt_i32_e64 s[34:35], s38, v9
	v_cmp_gt_i32_e64 s[36:37], s38, v14
	s_nop 0
	v_cndmask_b32_e64 v9, v7, v52, s[34:35]
	v_cndmask_b32_e64 v14, v7, v53, s[36:37]
	v_max3_f32 v8, v8, v9, v14
	v_or_b32_e32 v9, 18, v6
	;; [unrolled: 8-line block ×6, first 2 shown]
	v_or_b32_e32 v6, 51, v6
	v_cmp_gt_i32_e32 vcc, s38, v9
	v_cmp_gt_i32_e64 s[4:5], s38, v6
	s_nop 0
	v_cndmask_b32_e32 v9, v7, v34, vcc
	v_cndmask_b32_e64 v6, v7, v35, s[4:5]
	v_max3_f32 v8, v8, v9, v6
	v_mbcnt_lo_u32_b32 v6, -1, 0
	v_mbcnt_hi_u32_b32 v9, -1, v6
	v_and_b32_e32 v6, 64, v9
	v_add_u32_e32 v14, 64, v6
	v_xor_b32_e32 v6, 32, v9
	v_cmp_lt_i32_e64 s[38:39], v6, v14
	s_nop 1
	v_cndmask_b32_e64 v6, v9, v6, s[38:39]
	v_lshlrev_b32_e32 v56, 2, v6
	ds_bpermute_b32 v15, v56, v8
	v_mad_i64_i32 v[6:7], s[38:39], v65, s45, v[42:43]
	global_load_dwordx4 v[26:29], v[68:69], off
	global_load_dwordx4 v[18:21], v[6:7], off
	s_waitcnt lgkmcnt(0)
	v_max_f32_e32 v6, v15, v15
	v_max_f32_e32 v15, v8, v6
	v_xor_b32_e32 v6, 16, v9
	v_cmp_lt_i32_e64 s[38:39], v6, v14
	s_nop 1
	v_cndmask_b32_e64 v6, v9, v6, s[38:39]
	v_lshlrev_b32_e32 v57, 2, v6
	ds_bpermute_b32 v14, v57, v15
	v_mad_i64_i32 v[6:7], s[38:39], v55, s45, v[42:43]
	v_mad_i64_i32 v[8:9], s[38:39], v64, s45, v[42:43]
	s_waitcnt lgkmcnt(0)
	v_max_f32_e32 v14, v14, v14
	v_max_f32_e32 v55, v15, v14
	v_sub_f32_e32 v14, v46, v55
	v_mul_f32_e32 v14, 0x3fb8aa3b, v14
	v_exp_f32_e32 v36, v14
	v_sub_f32_e32 v14, v47, v55
	v_mul_f32_e32 v14, 0x3fb8aa3b, v14
	v_exp_f32_e32 v37, v14
	global_load_dwordx4 v[14:17], v[6:7], off
	s_nop 0
	global_load_dwordx4 v[6:9], v[8:9], off
	v_sub_f32_e32 v38, v38, v55
	v_mul_f32_e32 v38, 0x3fb8aa3b, v38
	v_sub_f32_e32 v39, v39, v55
	v_exp_f32_e32 v38, v38
	v_mul_f32_e32 v39, 0x3fb8aa3b, v39
	v_exp_f32_e32 v39, v39
	v_cndmask_b32_e64 v36, 0, v36, s[24:25]
	v_add_f32_e32 v42, 0, v36
	v_cndmask_b32_e64 v37, 0, v37, s[26:27]
	v_add_f32_e32 v42, v42, v37
	;; [unrolled: 2-line block ×3, first 2 shown]
	v_cndmask_b32_e64 v47, 0, v39, s[30:31]
	v_sub_f32_e32 v39, v52, v55
	v_sub_f32_e32 v42, v53, v55
	v_mul_f32_e32 v39, 0x3fb8aa3b, v39
	v_mul_f32_e32 v42, 0x3fb8aa3b, v42
	v_exp_f32_e32 v39, v39
	v_exp_f32_e32 v42, v42
	v_add_f32_e32 v43, v38, v47
	v_sub_f32_e32 v44, v44, v55
	v_cndmask_b32_e64 v38, 0, v39, s[34:35]
	v_cndmask_b32_e64 v39, 0, v42, s[36:37]
	v_sub_f32_e32 v42, v48, v55
	v_mul_f32_e32 v42, 0x3fb8aa3b, v42
	v_exp_f32_e32 v42, v42
	v_sub_f32_e32 v48, v49, v55
	v_add_f32_e32 v43, v43, v38
	v_mul_f32_e32 v48, 0x3fb8aa3b, v48
	v_exp_f32_e32 v49, v48
	v_add_f32_e32 v43, v43, v39
	v_cndmask_b32_e64 v48, 0, v42, s[18:19]
	v_add_f32_e32 v42, v43, v48
	v_sub_f32_e32 v43, v50, v55
	v_mul_f32_e32 v43, 0x3fb8aa3b, v43
	v_sub_f32_e32 v50, v51, v55
	v_exp_f32_e32 v43, v43
	v_mul_f32_e32 v50, 0x3fb8aa3b, v50
	v_exp_f32_e32 v50, v50
	v_mul_f32_e32 v44, 0x3fb8aa3b, v44
	v_sub_f32_e32 v45, v45, v55
	v_exp_f32_e32 v44, v44
	v_mul_f32_e32 v45, 0x3fb8aa3b, v45
	v_sub_f32_e32 v40, v40, v55
	v_cndmask_b32_e64 v49, 0, v49, s[20:21]
	v_exp_f32_e32 v45, v45
	v_mul_f32_e32 v40, 0x3fb8aa3b, v40
	v_sub_f32_e32 v41, v41, v55
	v_add_f32_e32 v51, v42, v49
	v_cndmask_b32_e64 v42, 0, v43, s[14:15]
	v_exp_f32_e32 v40, v40
	v_mul_f32_e32 v41, 0x3fb8aa3b, v41
	v_sub_f32_e32 v34, v34, v55
	v_add_f32_e32 v51, v51, v42
	;; [unrolled: 5-line block ×3, first 2 shown]
	v_cndmask_b32_e64 v44, 0, v44, s[10:11]
	v_exp_f32_e32 v34, v34
	v_mul_f32_e32 v35, 0x3fb8aa3b, v35
	v_add_f32_e32 v50, v50, v44
	v_cndmask_b32_e64 v45, 0, v45, s[12:13]
	v_exp_f32_e32 v35, v35
	v_add_f32_e32 v50, v50, v45
	v_cndmask_b32_e64 v40, 0, v40, s[6:7]
	v_add_f32_e32 v50, v50, v40
	v_cndmask_b32_e64 v41, 0, v41, s[8:9]
	v_add_f32_e32 v50, v50, v41
	v_cndmask_b32_e32 v34, 0, v34, vcc
	v_add_f32_e32 v50, v50, v34
	v_cndmask_b32_e64 v35, 0, v35, s[4:5]
	v_add_f32_e32 v50, v50, v35
	ds_bpermute_b32 v51, v56, v50
	v_cmp_gt_u32_e32 vcc, 16, v62
	s_waitcnt lgkmcnt(0)
	s_barrier
	v_add_f32_e32 v50, v50, v51
	ds_bpermute_b32 v51, v57, v50
	s_and_saveexec_b64 s[4:5], vcc
	s_cbranch_execz .LBB1085_13
; %bb.12:
	s_waitcnt lgkmcnt(0)
	v_add_f32_e32 v50, v50, v51
	v_lshlrev_b32_e32 v51, 2, v66
	ds_write2st64_b32 v51, v55, v50 offset1:1
.LBB1085_13:
	s_or_b64 exec, exec, s[4:5]
	s_waitcnt lgkmcnt(0)
	v_lshlrev_b32_e32 v51, 2, v60
	s_load_dword s6, s[0:1], 0x94
	s_waitcnt lgkmcnt(0)
	s_barrier
	ds_read2_b32 v[52:53], v51 offset1:16
	ds_read2_b32 v[56:57], v51 offset0:32 offset1:48
	ds_read2_b32 v[58:59], v51 offset0:64 offset1:80
	s_lshl_b32 s7, s33, 1
	s_waitcnt lgkmcnt(2)
	v_max3_f32 v50, v52, s40, v53
	s_waitcnt lgkmcnt(1)
	v_max3_f32 v50, v50, v56, v57
	v_sub_f32_e32 v52, v52, v50
	v_mul_f32_e32 v52, 0x3fb8aa3b, v52
	v_exp_f32_e32 v55, v52
	v_sub_f32_e32 v52, v53, v50
	v_mul_f32_e32 v52, 0x3fb8aa3b, v52
	v_exp_f32_e32 v64, v52
	;; [unrolled: 3-line block ×3, first 2 shown]
	ds_read2_b32 v[52:53], v51 offset0:96 offset1:112
	v_sub_f32_e32 v51, v57, v50
	v_mul_f32_e32 v51, 0x3fb8aa3b, v51
	v_exp_f32_e32 v57, v51
	s_waitcnt lgkmcnt(1)
	v_fma_f32 v51, v55, v58, 0
	v_fmac_f32_e32 v51, v64, v59
	s_waitcnt lgkmcnt(0)
	v_fmac_f32_e32 v51, v56, v52
	v_fmac_f32_e32 v51, v57, v53
	v_add_f32_e32 v52, 0x358637bd, v51
	v_div_scale_f32 v53, s[4:5], v52, v52, 1.0
	v_rcp_f32_e32 v58, v53
	s_barrier
	v_fma_f32 v59, -v53, v58, 1.0
	v_fmac_f32_e32 v58, v59, v58
	v_div_scale_f32 v59, vcc, 1.0, v52, 1.0
	v_mul_f32_e32 v65, v59, v58
	v_fma_f32 v66, -v53, v65, v59
	v_fmac_f32_e32 v65, v66, v58
	v_fma_f32 v53, -v53, v65, v59
	v_div_fmas_f32 v53, v53, v58, v65
	v_cmp_eq_u32_e32 vcc, 1, v63
	v_div_fixup_f32 v52, v53, v52, 1.0
	s_nop 0
	v_cndmask_b32_e32 v53, v55, v64, vcc
	v_cmp_eq_u32_e32 vcc, 2, v63
	s_nop 1
	v_cndmask_b32_e32 v53, v53, v56, vcc
	v_cmp_eq_u32_e32 vcc, 3, v63
	s_nop 1
	v_cndmask_b32_e32 v53, v53, v57, vcc
	v_mul_f32_e32 v52, v53, v52
	v_pk_mul_f32 v[46:47], v[52:53], v[46:47] op_sel_hi:[0,1]
	v_pk_mul_f32 v[36:37], v[52:53], v[36:37] op_sel_hi:[0,1]
	v_cvt_f16_f32_e32 v53, v46
	v_cvt_f16_f32_e32 v36, v36
	;; [unrolled: 1-line block ×4, first 2 shown]
	v_pk_mul_f32 v[48:49], v[52:53], v[48:49] op_sel_hi:[0,1]
	v_pk_mul_f32 v[38:39], v[52:53], v[38:39] op_sel_hi:[0,1]
	v_cvt_f16_f32_e32 v38, v38
	v_cvt_f16_f32_e32 v39, v39
	;; [unrolled: 1-line block ×4, first 2 shown]
	v_pack_b32_f16 v46, v36, v37
	v_pack_b32_f16 v47, v53, v47
	v_lshlrev_b32_e32 v37, 3, v1
	v_lshlrev_b32_e32 v36, 5, v60
	;; [unrolled: 1-line block ×3, first 2 shown]
	v_or3_b32 v55, v53, v36, v37
	v_pack_b32_f16 v38, v38, v39
	v_pack_b32_f16 v39, v48, v49
	ds_write2st64_b64 v55, v[46:47], v[38:39] offset1:1
	v_pk_mul_f32 v[38:39], v[52:53], v[44:45] op_sel_hi:[0,1]
	v_pk_mul_f32 v[42:43], v[52:53], v[42:43] op_sel_hi:[0,1]
	v_cvt_f16_f32_e32 v37, v42
	v_cvt_f16_f32_e32 v42, v43
	;; [unrolled: 1-line block ×4, first 2 shown]
	v_pk_mul_f32 v[34:35], v[52:53], v[34:35] op_sel_hi:[0,1]
	v_pk_mul_f32 v[38:39], v[52:53], v[40:41] op_sel_hi:[0,1]
	v_cvt_f16_f32_e32 v38, v38
	v_cvt_f16_f32_e32 v39, v39
	;; [unrolled: 1-line block ×4, first 2 shown]
	v_pack_b32_f16 v34, v37, v42
	v_pack_b32_f16 v35, v43, v44
	;; [unrolled: 1-line block ×4, first 2 shown]
	v_cmp_gt_u32_e32 vcc, 2, v0
	ds_write2st64_b64 v55, v[34:35], v[38:39] offset0:2 offset1:3
	s_and_saveexec_b64 s[4:5], vcc
	s_cbranch_execz .LBB1085_15
; %bb.14:
	v_or_b32_e32 v34, s23, v0
	v_mov_b32_e32 v35, 0
	v_mov_b32_e32 v37, s7
	v_mad_u64_u32 v[38:39], s[12:13], s2, v37, v[34:35]
	v_mov_b32_e32 v34, s22
	s_load_dwordx4 s[8:11], s[0:1], 0x58
	s_mul_i32 s3, s3, s7
	v_mad_u64_u32 v[34:35], s[12:13], v38, s6, v[34:35]
	v_add_u32_e32 v37, s3, v39
	v_mov_b32_e32 v38, v35
	v_mad_u64_u32 v[38:39], s[12:13], v37, s6, v[38:39]
	v_mov_b32_e32 v35, v38
	v_lshlrev_b64 v[34:35], 2, v[34:35]
	s_waitcnt lgkmcnt(0)
	v_lshl_add_u64 v[38:39], s[10:11], 0, v[34:35]
	v_lshl_add_u64 v[34:35], s[8:9], 0, v[34:35]
	global_store_dword v[38:39], v50, off
	global_store_dword v[34:35], v51, off
.LBB1085_15:
	s_or_b64 exec, exec, s[4:5]
	s_waitcnt vmcnt(7)
	v_cvt_pk_f32_fp8_e32 v[34:35], v30
	v_lshl_or_b32 v50, v1, 9, v36
	v_cvt_pk_f32_fp8_sdwa v[36:37], v30 src0_sel:WORD_1
	s_waitcnt lgkmcnt(0)
	s_barrier
	v_cvt_pk_f32_fp8_e32 v[38:39], v31
	v_cvt_pkrtz_f16_f32 v30, v34, v35
	v_cvt_pk_f32_fp8_sdwa v[40:41], v31 src0_sel:WORD_1
	v_cvt_pkrtz_f16_f32 v31, v36, v37
	ds_read_b128 v[34:37], v50
	v_cvt_pkrtz_f16_f32 v46, v38, v39
	v_cvt_pkrtz_f16_f32 v47, v40, v41
	ds_read_b128 v[38:41], v50 offset:16
	v_cvt_pk_f32_fp8_e32 v[48:49], v32
	v_cvt_pk_f32_fp8_sdwa v[52:53], v32 src0_sel:WORD_1
	s_waitcnt lgkmcnt(1)
	v_mfma_f32_16x16x16_f16 v[42:45], v[30:31], v[34:35], 0
	s_waitcnt vmcnt(6)
	v_cvt_pk_f32_fp8_e32 v[56:57], v24
	v_cvt_pkrtz_f16_f32 v30, v48, v49
	v_cvt_pkrtz_f16_f32 v31, v52, v53
	v_cvt_pk_f32_fp8_e32 v[48:49], v33
	v_mfma_f32_16x16x16_f16 v[42:45], v[46:47], v[36:37], v[42:45]
	v_cvt_pk_f32_fp8_sdwa v[46:47], v33 src0_sel:WORD_1
	v_cvt_pk_f32_fp8_sdwa v[58:59], v24 src0_sel:WORD_1
	v_cvt_pkrtz_f16_f32 v48, v48, v49
	s_waitcnt lgkmcnt(0)
	v_mfma_f32_16x16x16_f16 v[30:33], v[30:31], v[38:39], v[42:45]
	v_cvt_pkrtz_f16_f32 v49, v46, v47
	s_waitcnt vmcnt(5)
	v_cvt_pk_f32_fp8_e32 v[64:65], v12
	v_cvt_pk_f32_fp8_sdwa v[66:67], v12 src0_sel:WORD_1
	v_cvt_pk_f32_fp8_e32 v[42:43], v22
	v_mfma_f32_16x16x16_f16 v[46:49], v[48:49], v[40:41], v[30:33]
	s_waitcnt vmcnt(4)
	v_cvt_pk_f32_fp8_sdwa v[68:69], v4 src0_sel:WORD_1
	s_load_dword s4, s[42:43], 0x0
	v_cvt_pk_f32_fp8_sdwa v[30:31], v22 src0_sel:WORD_1
	v_cvt_pk_f32_fp8_e32 v[32:33], v23
	v_cvt_pkrtz_f16_f32 v22, v42, v43
	v_cvt_pk_f32_fp8_sdwa v[42:43], v23 src0_sel:WORD_1
	v_cvt_pkrtz_f16_f32 v23, v30, v31
	v_cvt_pkrtz_f16_f32 v52, v32, v33
	ds_read_b128 v[30:33], v50 offset:2048
	v_cvt_pkrtz_f16_f32 v53, v42, v43
	ds_read_b128 v[42:45], v50 offset:2064
	s_waitcnt lgkmcnt(0)
	v_mfma_f32_16x16x16_f16 v[46:49], v[22:23], v[30:31], v[46:49]
	v_cvt_pkrtz_f16_f32 v22, v56, v57
	v_cvt_pkrtz_f16_f32 v23, v58, v59
	v_cvt_pk_f32_fp8_e32 v[56:57], v25
	v_mfma_f32_16x16x16_f16 v[46:49], v[52:53], v[32:33], v[46:49]
	v_cvt_pk_f32_fp8_sdwa v[52:53], v25 src0_sel:WORD_1
	v_cmp_gt_u32_e32 vcc, 64, v0
	v_cvt_pkrtz_f16_f32 v56, v56, v57
	v_mfma_f32_16x16x16_f16 v[22:25], v[22:23], v[42:43], v[46:49]
	v_cvt_pkrtz_f16_f32 v57, v52, v53
	s_mov_b32 s3, 0
	s_nop 0
	v_cvt_pk_f32_fp8_e32 v[46:47], v10
	v_mfma_f32_16x16x16_f16 v[56:59], v[56:57], v[44:45], v[22:25]
	s_nop 2
	v_cvt_pk_f32_fp8_sdwa v[22:23], v10 src0_sel:WORD_1
	v_cvt_pk_f32_fp8_e32 v[24:25], v11
	v_cvt_pkrtz_f16_f32 v10, v46, v47
	v_cvt_pk_f32_fp8_sdwa v[46:47], v11 src0_sel:WORD_1
	v_cvt_pkrtz_f16_f32 v11, v22, v23
	v_cvt_pkrtz_f16_f32 v52, v24, v25
	ds_read_b128 v[22:25], v50 offset:4096
	v_cvt_pkrtz_f16_f32 v53, v46, v47
	ds_read_b128 v[46:49], v50 offset:4112
	s_waitcnt lgkmcnt(1)
	v_mfma_f32_16x16x16_f16 v[56:59], v[10:11], v[22:23], v[56:59]
	v_cvt_pkrtz_f16_f32 v10, v64, v65
	v_cvt_pkrtz_f16_f32 v11, v66, v67
	v_cvt_pk_f32_fp8_e32 v[64:65], v13
	v_mfma_f32_16x16x16_f16 v[56:59], v[52:53], v[24:25], v[56:59]
	v_cvt_pk_f32_fp8_sdwa v[52:53], v13 src0_sel:WORD_1
	v_cvt_pk_f32_fp8_e32 v[66:67], v4
	v_cvt_pkrtz_f16_f32 v64, v64, v65
	s_waitcnt lgkmcnt(0)
	v_mfma_f32_16x16x16_f16 v[10:13], v[10:11], v[46:47], v[56:59]
	v_cvt_pkrtz_f16_f32 v65, v52, v53
	v_cvt_pk_f32_fp8_e32 v[52:53], v2
	s_nop 0
	v_mfma_f32_16x16x16_f16 v[56:59], v[64:65], v[48:49], v[10:13]
	s_nop 2
	v_cvt_pk_f32_fp8_sdwa v[10:11], v2 src0_sel:WORD_1
	v_cvt_pk_f32_fp8_e32 v[12:13], v3
	v_cvt_pkrtz_f16_f32 v2, v52, v53
	v_cvt_pk_f32_fp8_sdwa v[52:53], v3 src0_sel:WORD_1
	v_cvt_pkrtz_f16_f32 v3, v10, v11
	v_cvt_pkrtz_f16_f32 v64, v12, v13
	ds_read_b128 v[10:13], v50 offset:6144
	v_cvt_pkrtz_f16_f32 v65, v52, v53
	s_waitcnt lgkmcnt(0)
	v_mfma_f32_16x16x16_f16 v[56:59], v[2:3], v[10:11], v[56:59]
	ds_read_b128 v[50:53], v50 offset:6160
	v_cvt_pkrtz_f16_f32 v2, v66, v67
	v_cvt_pkrtz_f16_f32 v3, v68, v69
	v_mfma_f32_16x16x16_f16 v[56:59], v[64:65], v[12:13], v[56:59]
	v_cvt_pk_f32_fp8_e32 v[66:67], v5
	v_cvt_pk_f32_fp8_sdwa v[64:65], v5 src0_sel:WORD_1
	s_waitcnt vmcnt(3)
	v_cvt_pk_f32_fp8_sdwa v[68:69], v28 src0_sel:WORD_1
	s_waitcnt lgkmcnt(0)
	v_mfma_f32_16x16x16_f16 v[2:5], v[2:3], v[50:51], v[56:59]
	v_cvt_pkrtz_f16_f32 v66, v66, v67
	v_cvt_pkrtz_f16_f32 v67, v64, v65
	v_cvt_pk_f32_fp8_e32 v[64:65], v27
	v_cvt_pk_f32_fp8_e32 v[56:57], v26
	v_cvt_pk_f32_fp8_sdwa v[58:59], v26 src0_sel:WORD_1
	v_cvt_pk_f32_fp8_sdwa v[26:27], v27 src0_sel:WORD_1
	v_mfma_f32_16x16x16_f16 v[2:5], v[66:67], v[52:53], v[2:5]
	v_cvt_pkrtz_f16_f32 v56, v56, v57
	v_cvt_pkrtz_f16_f32 v57, v58, v59
	;; [unrolled: 1-line block ×3, first 2 shown]
	v_cvt_pk_f32_fp8_e32 v[66:67], v28
	v_cvt_pkrtz_f16_f32 v65, v26, v27
	v_mfma_f32_16x16x16_f16 v[56:59], v[56:57], v[34:35], 0
	v_cvt_pkrtz_f16_f32 v26, v66, v67
	v_cvt_pkrtz_f16_f32 v27, v68, v69
	v_cvt_pk_f32_fp8_e32 v[66:67], v29
	v_mfma_f32_16x16x16_f16 v[34:37], v[64:65], v[36:37], v[56:59]
	s_barrier
	s_nop 1
	v_cvt_pk_f32_fp8_sdwa v[56:57], v29 src0_sel:WORD_1
	v_cvt_pkrtz_f16_f32 v58, v66, v67
	v_mfma_f32_16x16x16_f16 v[26:29], v[26:27], v[38:39], v[34:37]
	s_waitcnt vmcnt(2)
	v_cvt_pk_f32_fp8_e32 v[38:39], v19
	v_cvt_pkrtz_f16_f32 v59, v56, v57
	v_cvt_pk_f32_fp8_e32 v[34:35], v18
	v_cvt_pk_f32_fp8_sdwa v[36:37], v18 src0_sel:WORD_1
	v_cvt_pk_f32_fp8_sdwa v[18:19], v19 src0_sel:WORD_1
	v_mfma_f32_16x16x16_f16 v[26:29], v[58:59], v[40:41], v[26:29]
	v_cvt_pkrtz_f16_f32 v34, v34, v35
	v_cvt_pkrtz_f16_f32 v35, v36, v37
	;; [unrolled: 1-line block ×3, first 2 shown]
	v_cvt_pk_f32_fp8_e32 v[38:39], v20
	v_cvt_pk_f32_fp8_sdwa v[40:41], v20 src0_sel:WORD_1
	v_cvt_pkrtz_f16_f32 v37, v18, v19
	v_mfma_f32_16x16x16_f16 v[26:29], v[34:35], v[30:31], v[26:29]
	v_cvt_pkrtz_f16_f32 v30, v38, v39
	v_cvt_pkrtz_f16_f32 v31, v40, v41
	v_cvt_pk_f32_fp8_e32 v[34:35], v21
	v_cvt_pk_f32_fp8_sdwa v[38:39], v21 src0_sel:WORD_1
	v_mfma_f32_16x16x16_f16 v[18:21], v[36:37], v[32:33], v[26:29]
	s_waitcnt vmcnt(1)
	v_cvt_pk_f32_fp8_sdwa v[32:33], v16 src0_sel:WORD_1
	s_nop 0
	v_cvt_pkrtz_f16_f32 v26, v34, v35
	v_cvt_pkrtz_f16_f32 v27, v38, v39
	v_mfma_f32_16x16x16_f16 v[18:21], v[30:31], v[42:43], v[18:21]
	v_cvt_pk_f32_fp8_e32 v[28:29], v14
	v_cvt_pk_f32_fp8_sdwa v[30:31], v14 src0_sel:WORD_1
	v_cvt_pkrtz_f16_f32 v28, v28, v29
	v_mfma_f32_16x16x16_f16 v[18:21], v[26:27], v[44:45], v[18:21]
	v_cvt_pk_f32_fp8_e32 v[26:27], v15
	v_cvt_pkrtz_f16_f32 v29, v30, v31
	v_cvt_pk_f32_fp8_sdwa v[14:15], v15 src0_sel:WORD_1
	v_cvt_pk_f32_fp8_e32 v[30:31], v16
	v_cvt_pkrtz_f16_f32 v26, v26, v27
	v_mfma_f32_16x16x16_f16 v[18:21], v[28:29], v[22:23], v[18:21]
	v_cvt_pkrtz_f16_f32 v27, v14, v15
	v_cvt_pkrtz_f16_f32 v22, v30, v31
	;; [unrolled: 1-line block ×3, first 2 shown]
	v_cvt_pk_f32_fp8_e32 v[28:29], v17
	v_cvt_pk_f32_fp8_sdwa v[30:31], v17 src0_sel:WORD_1
	v_mfma_f32_16x16x16_f16 v[14:17], v[26:27], v[24:25], v[18:21]
	s_waitcnt vmcnt(0)
	v_cvt_pk_f32_fp8_sdwa v[24:25], v6 src0_sel:WORD_1
	s_nop 0
	v_pk_mul_f32 v[18:19], v[4:5], s[4:5] op_sel_hi:[1,0]
	v_cvt_pkrtz_f16_f32 v4, v28, v29
	v_cvt_pkrtz_f16_f32 v5, v30, v31
	v_mfma_f32_16x16x16_f16 v[14:17], v[22:23], v[46:47], v[14:17]
	v_cvt_pk_f32_fp8_e32 v[22:23], v6
	v_pk_mul_f32 v[20:21], v[2:3], s[4:5] op_sel_hi:[1,0]
	v_mfma_f32_16x16x16_f16 v[2:5], v[4:5], v[48:49], v[14:17]
	s_nop 3
	v_cvt_pk_f32_fp8_e32 v[14:15], v7
	v_cvt_pkrtz_f16_f32 v16, v22, v23
	v_cvt_pkrtz_f16_f32 v17, v24, v25
	v_cvt_pk_f32_fp8_sdwa v[6:7], v7 src0_sel:WORD_1
	v_cvt_pkrtz_f16_f32 v14, v14, v15
	v_cvt_pk_f32_fp8_e32 v[22:23], v8
	v_cvt_pk_f32_fp8_sdwa v[24:25], v8 src0_sel:WORD_1
	v_cvt_pkrtz_f16_f32 v15, v6, v7
	v_mfma_f32_16x16x16_f16 v[2:5], v[16:17], v[10:11], v[2:5]
	v_cvt_pkrtz_f16_f32 v6, v22, v23
	v_cvt_pkrtz_f16_f32 v7, v24, v25
	v_cvt_pk_f32_fp8_e32 v[10:11], v9
	v_cvt_pk_f32_fp8_sdwa v[8:9], v9 src0_sel:WORD_1
	v_mfma_f32_16x16x16_f16 v[2:5], v[14:15], v[12:13], v[2:5]
	v_cvt_f16_f32_e32 v12, v20
	v_cvt_pkrtz_f16_f32 v10, v10, v11
	v_cvt_pkrtz_f16_f32 v11, v8, v9
	v_mfma_f32_16x16x16_f16 v[2:5], v[6:7], v[50:51], v[2:5]
	v_cvt_f16_f32_e32 v6, v21
	v_cvt_f16_f32_e32 v7, v18
	v_cvt_f16_f32_e32 v8, v19
	v_mfma_f32_16x16x16_f16 v[2:5], v[10:11], v[52:53], v[2:5]
	s_nop 6
	v_pk_mul_f32 v[4:5], v[4:5], s[4:5] op_sel_hi:[1,0]
	v_pk_mul_f32 v[2:3], v[2:3], s[4:5] op_sel_hi:[1,0]
	v_cvt_f16_f32_e32 v11, v4
	v_cvt_f16_f32_e32 v9, v2
	;; [unrolled: 1-line block ×4, first 2 shown]
	v_cmp_gt_u32_e64 s[4:5], 32, v62
	v_pack_b32_f16 v2, v12, v6
	v_pack_b32_f16 v3, v7, v8
	;; [unrolled: 1-line block ×4, first 2 shown]
	s_and_b64 s[4:5], vcc, s[4:5]
	ds_write2st64_b64 v55, v[2:3], v[4:5] offset1:1
	s_waitcnt lgkmcnt(0)
	s_barrier
	s_and_saveexec_b64 s[8:9], s[4:5]
	s_cbranch_execz .LBB1085_17
; %bb.16:
	s_load_dwordx2 s[0:1], s[0:1], 0x68
	s_mul_i32 s2, s7, s2
	s_lshl_b32 s6, s6, 7
	v_lshlrev_b32_e32 v4, 6, v60
	s_mul_hi_u32 s5, s2, s6
	s_mul_i32 s4, s2, s6
	v_lshl_or_b32 v0, v0, 10, v4
	s_lshl_b64 s[4:5], s[4:5], 1
	v_lshlrev_b32_e32 v2, 5, v1
	v_and_b32_e32 v3, 16, v61
	v_and_b32_e32 v0, 0x1a00, v0
	s_waitcnt lgkmcnt(0)
	s_add_u32 s4, s0, s4
	v_or3_b32 v0, v0, v2, v3
	s_addc_u32 s5, s1, s5
	s_lshl_b32 s2, s22, 7
	ds_read_b128 v[2:5], v0
	s_lshl_b64 s[0:1], s[2:3], 1
	s_add_u32 s0, s4, s0
	v_or_b32_e32 v0, s23, v1
	s_addc_u32 s1, s5, s1
	v_mad_u64_u32 v[0:1], s[2:3], s6, v0, 0
	v_lshl_add_u64 v[0:1], v[0:1], 1, s[0:1]
	v_mov_b32_e32 v55, 0
	v_lshl_add_u64 v[0:1], v[0:1], 0, v[54:55]
	s_waitcnt lgkmcnt(0)
	global_store_dwordx4 v[0:1], v[2:5], off
.LBB1085_17:
	s_endpgm
	.section	.rodata,"a",@progbits
	.p2align	6, 0x0
	.amdhsa_kernel _Z39paged_attention_ll4mi_QKV_mfma16_kernelIDF16_hLN4vllm18Fp8KVCacheDataTypeE1EDF16_Li32ELi128ELi256ELb0ELi2EEvPKT_PKT0_S7_ifPKiS9_S9_iPKfiiiPfSC_PS2_PT2_iSB_SB_
		.amdhsa_group_segment_fixed_size 8192
		.amdhsa_private_segment_fixed_size 0
		.amdhsa_kernarg_size 400
		.amdhsa_user_sgpr_count 2
		.amdhsa_user_sgpr_dispatch_ptr 0
		.amdhsa_user_sgpr_queue_ptr 0
		.amdhsa_user_sgpr_kernarg_segment_ptr 1
		.amdhsa_user_sgpr_dispatch_id 0
		.amdhsa_user_sgpr_kernarg_preload_length 0
		.amdhsa_user_sgpr_kernarg_preload_offset 0
		.amdhsa_user_sgpr_private_segment_size 0
		.amdhsa_uses_dynamic_stack 0
		.amdhsa_enable_private_segment 0
		.amdhsa_system_sgpr_workgroup_id_x 1
		.amdhsa_system_sgpr_workgroup_id_y 1
		.amdhsa_system_sgpr_workgroup_id_z 1
		.amdhsa_system_sgpr_workgroup_info 0
		.amdhsa_system_vgpr_workitem_id 0
		.amdhsa_next_free_vgpr 80
		.amdhsa_next_free_sgpr 48
		.amdhsa_accum_offset 80
		.amdhsa_reserve_vcc 1
		.amdhsa_float_round_mode_32 0
		.amdhsa_float_round_mode_16_64 0
		.amdhsa_float_denorm_mode_32 3
		.amdhsa_float_denorm_mode_16_64 3
		.amdhsa_dx10_clamp 1
		.amdhsa_ieee_mode 1
		.amdhsa_fp16_overflow 0
		.amdhsa_tg_split 0
		.amdhsa_exception_fp_ieee_invalid_op 0
		.amdhsa_exception_fp_denorm_src 0
		.amdhsa_exception_fp_ieee_div_zero 0
		.amdhsa_exception_fp_ieee_overflow 0
		.amdhsa_exception_fp_ieee_underflow 0
		.amdhsa_exception_fp_ieee_inexact 0
		.amdhsa_exception_int_div_zero 0
	.end_amdhsa_kernel
	.section	.text._Z39paged_attention_ll4mi_QKV_mfma16_kernelIDF16_hLN4vllm18Fp8KVCacheDataTypeE1EDF16_Li32ELi128ELi256ELb0ELi2EEvPKT_PKT0_S7_ifPKiS9_S9_iPKfiiiPfSC_PS2_PT2_iSB_SB_,"axG",@progbits,_Z39paged_attention_ll4mi_QKV_mfma16_kernelIDF16_hLN4vllm18Fp8KVCacheDataTypeE1EDF16_Li32ELi128ELi256ELb0ELi2EEvPKT_PKT0_S7_ifPKiS9_S9_iPKfiiiPfSC_PS2_PT2_iSB_SB_,comdat
.Lfunc_end1085:
	.size	_Z39paged_attention_ll4mi_QKV_mfma16_kernelIDF16_hLN4vllm18Fp8KVCacheDataTypeE1EDF16_Li32ELi128ELi256ELb0ELi2EEvPKT_PKT0_S7_ifPKiS9_S9_iPKfiiiPfSC_PS2_PT2_iSB_SB_, .Lfunc_end1085-_Z39paged_attention_ll4mi_QKV_mfma16_kernelIDF16_hLN4vllm18Fp8KVCacheDataTypeE1EDF16_Li32ELi128ELi256ELb0ELi2EEvPKT_PKT0_S7_ifPKiS9_S9_iPKfiiiPfSC_PS2_PT2_iSB_SB_
                                        ; -- End function
	.section	.AMDGPU.csdata,"",@progbits
; Kernel info:
; codeLenInByte = 6008
; NumSgprs: 54
; NumVgprs: 80
; NumAgprs: 0
; TotalNumVgprs: 80
; ScratchSize: 0
; MemoryBound: 0
; FloatMode: 240
; IeeeMode: 1
; LDSByteSize: 8192 bytes/workgroup (compile time only)
; SGPRBlocks: 6
; VGPRBlocks: 9
; NumSGPRsForWavesPerEU: 54
; NumVGPRsForWavesPerEU: 80
; AccumOffset: 80
; Occupancy: 6
; WaveLimiterHint : 1
; COMPUTE_PGM_RSRC2:SCRATCH_EN: 0
; COMPUTE_PGM_RSRC2:USER_SGPR: 2
; COMPUTE_PGM_RSRC2:TRAP_HANDLER: 0
; COMPUTE_PGM_RSRC2:TGID_X_EN: 1
; COMPUTE_PGM_RSRC2:TGID_Y_EN: 1
; COMPUTE_PGM_RSRC2:TGID_Z_EN: 1
; COMPUTE_PGM_RSRC2:TIDIG_COMP_CNT: 0
; COMPUTE_PGM_RSRC3_GFX90A:ACCUM_OFFSET: 19
; COMPUTE_PGM_RSRC3_GFX90A:TG_SPLIT: 0
	.section	.text._Z39paged_attention_ll4mi_QKV_mfma16_kernelIDF16_hLN4vllm18Fp8KVCacheDataTypeE1EDF16_Li32ELi128ELi256ELb0ELi3EEvPKT_PKT0_S7_ifPKiS9_S9_iPKfiiiPfSC_PS2_PT2_iSB_SB_,"axG",@progbits,_Z39paged_attention_ll4mi_QKV_mfma16_kernelIDF16_hLN4vllm18Fp8KVCacheDataTypeE1EDF16_Li32ELi128ELi256ELb0ELi3EEvPKT_PKT0_S7_ifPKiS9_S9_iPKfiiiPfSC_PS2_PT2_iSB_SB_,comdat
	.protected	_Z39paged_attention_ll4mi_QKV_mfma16_kernelIDF16_hLN4vllm18Fp8KVCacheDataTypeE1EDF16_Li32ELi128ELi256ELb0ELi3EEvPKT_PKT0_S7_ifPKiS9_S9_iPKfiiiPfSC_PS2_PT2_iSB_SB_ ; -- Begin function _Z39paged_attention_ll4mi_QKV_mfma16_kernelIDF16_hLN4vllm18Fp8KVCacheDataTypeE1EDF16_Li32ELi128ELi256ELb0ELi3EEvPKT_PKT0_S7_ifPKiS9_S9_iPKfiiiPfSC_PS2_PT2_iSB_SB_
	.globl	_Z39paged_attention_ll4mi_QKV_mfma16_kernelIDF16_hLN4vllm18Fp8KVCacheDataTypeE1EDF16_Li32ELi128ELi256ELb0ELi3EEvPKT_PKT0_S7_ifPKiS9_S9_iPKfiiiPfSC_PS2_PT2_iSB_SB_
	.p2align	8
	.type	_Z39paged_attention_ll4mi_QKV_mfma16_kernelIDF16_hLN4vllm18Fp8KVCacheDataTypeE1EDF16_Li32ELi128ELi256ELb0ELi3EEvPKT_PKT0_S7_ifPKiS9_S9_iPKfiiiPfSC_PS2_PT2_iSB_SB_,@function
_Z39paged_attention_ll4mi_QKV_mfma16_kernelIDF16_hLN4vllm18Fp8KVCacheDataTypeE1EDF16_Li32ELi128ELi256ELb0ELi3EEvPKT_PKT0_S7_ifPKiS9_S9_iPKfiiiPfSC_PS2_PT2_iSB_SB_: ; @_Z39paged_attention_ll4mi_QKV_mfma16_kernelIDF16_hLN4vllm18Fp8KVCacheDataTypeE1EDF16_Li32ELi128ELi256ELb0ELi3EEvPKT_PKT0_S7_ifPKiS9_S9_iPKfiiiPfSC_PS2_PT2_iSB_SB_
; %bb.0:
	s_load_dwordx2 s[12:13], s[0:1], 0x30
	s_mov_b32 s22, s3
	s_mov_b64 s[6:7], 0
	s_waitcnt lgkmcnt(0)
	s_cmp_lg_u64 s[12:13], 0
	s_cselect_b64 s[14:15], -1, 0
	s_and_b64 vcc, exec, s[14:15]
	s_cbranch_vccz .LBB1086_7
; %bb.1:
	s_add_i32 s8, s2, 1
	s_mov_b32 s9, 0
	s_lshl_b64 s[10:11], s[8:9], 2
	s_add_u32 s10, s12, s10
	s_mov_b32 s3, s9
	s_addc_u32 s11, s13, s11
	s_lshl_b64 s[8:9], s[2:3], 2
	s_add_u32 s8, s12, s8
	s_addc_u32 s9, s13, s9
	s_load_dword s5, s[10:11], 0x0
	s_load_dword s16, s[8:9], 0x0
	s_waitcnt lgkmcnt(0)
	s_sub_i32 s5, s5, s16
	s_cmp_eq_u32 s5, 1
	s_cselect_b64 s[8:9], -1, 0
	s_andn2_b64 vcc, exec, s[6:7]
	s_cbranch_vccnz .LBB1086_3
.LBB1086_2:
	s_mov_b32 s3, 0
	s_mov_b64 s[8:9], -1
.LBB1086_3:
	s_andn2_b64 vcc, exec, s[8:9]
	s_cbranch_vccnz .LBB1086_17
; %bb.4:
	s_load_dwordx2 s[6:7], s[0:1], 0x28
	s_lshl_b64 s[16:17], s[2:3], 2
	s_waitcnt lgkmcnt(0)
	s_add_u32 s6, s6, s16
	s_addc_u32 s7, s7, s17
	s_load_dword s5, s[6:7], 0x0
	s_lshl_b32 s18, s22, 8
	s_waitcnt lgkmcnt(0)
	s_cmp_ge_i32 s18, s5
	s_cbranch_scc1 .LBB1086_17
; %bb.5:
	s_load_dwordx2 s[6:7], s[0:1], 0x20
	s_load_dword s8, s[0:1], 0x38
	s_add_i32 s9, s5, 31
	s_ashr_i32 s10, s9, 31
	v_and_b32_e32 v1, 0xcf, v0
	s_lshr_b32 s10, s10, 27
	v_add_u32_e32 v1, s18, v1
	s_add_i32 s9, s9, s10
	v_ashrrev_i32_e32 v2, 31, v1
	s_ashr_i32 s19, s9, 5
	v_lshrrev_b32_e32 v6, 27, v2
	s_add_i32 s19, s19, -1
	s_waitcnt lgkmcnt(0)
	s_mul_i32 s8, s2, s8
	s_mov_b32 s9, 0
	v_add_u32_e32 v2, v1, v6
	s_lshl_b64 s[8:9], s[8:9], 2
	v_ashrrev_i32_e32 v2, 5, v2
	v_mov_b32_e32 v7, s19
	v_cmp_gt_i32_e32 vcc, s5, v1
	s_add_u32 s6, s6, s8
	s_addc_u32 s7, s7, s9
	v_cndmask_b32_e32 v2, v7, v2, vcc
	v_ashrrev_i32_e32 v3, 31, v2
	v_lshl_add_u64 v[4:5], v[2:3], 2, s[6:7]
	v_or_b32_e32 v2, 16, v1
	v_add_u32_e32 v3, v2, v6
	v_ashrrev_i32_e32 v3, 5, v3
	v_cmp_gt_i32_e32 vcc, s5, v2
	s_load_dwordx4 s[8:11], s[0:1], 0x8
	s_nop 0
	v_cndmask_b32_e32 v2, v7, v3, vcc
	v_ashrrev_i32_e32 v3, 31, v2
	v_lshl_add_u64 v[10:11], v[2:3], 2, s[6:7]
	v_or_b32_e32 v2, 32, v1
	v_add_u32_e32 v3, v2, v6
	v_ashrrev_i32_e32 v3, 5, v3
	v_cmp_gt_i32_e32 vcc, s5, v2
	v_or_b32_e32 v1, 48, v1
	s_nop 0
	v_cndmask_b32_e32 v2, v7, v3, vcc
	v_ashrrev_i32_e32 v3, 31, v2
	v_lshl_add_u64 v[12:13], v[2:3], 2, s[6:7]
	v_add_u32_e32 v2, v1, v6
	v_ashrrev_i32_e32 v2, 5, v2
	v_cmp_gt_i32_e32 vcc, s5, v1
	s_nop 1
	v_cndmask_b32_e32 v2, v7, v2, vcc
	v_ashrrev_i32_e32 v3, 31, v2
	v_lshl_add_u64 v[14:15], v[2:3], 2, s[6:7]
	global_load_dword v2, v[4:5], off
	global_load_dword v8, v[10:11], off
	;; [unrolled: 1-line block ×4, first 2 shown]
	s_andn2_b64 vcc, exec, s[14:15]
	s_cbranch_vccnz .LBB1086_8
; %bb.6:
	s_add_u32 s12, s12, s16
	s_addc_u32 s13, s13, s17
	s_load_dword s14, s[12:13], 0x0
	s_branch .LBB1086_9
.LBB1086_7:
	s_mov_b64 s[8:9], 0
	s_branch .LBB1086_2
.LBB1086_8:
	s_mov_b32 s14, s2
.LBB1086_9:
	s_load_dwordx4 s[44:47], s[0:1], 0x48
	v_lshrrev_b32_e32 v57, 6, v0
	v_bfe_u32 v60, v0, 4, 2
	v_and_b32_e32 v56, 15, v0
	s_mul_i32 s48, s4, 3
	v_lshl_or_b32 v3, v57, 2, v60
	v_lshlrev_b32_e32 v4, 3, v56
	v_and_b32_e32 v62, 63, v0
	v_add_u32_e32 v1, s48, v60
	v_cmp_gt_u32_e32 vcc, 3, v3
	v_lshlrev_b32_e32 v54, 1, v4
	v_lshlrev_b32_e32 v61, 4, v0
	s_and_saveexec_b64 s[12:13], vcc
	s_cbranch_execz .LBB1086_11
; %bb.10:
	s_load_dwordx2 s[16:17], s[0:1], 0x0
	s_waitcnt lgkmcnt(0)
	s_ashr_i32 s15, s44, 31
	s_mul_hi_u32 s20, s14, s44
	s_mul_i32 s15, s14, s15
	s_add_i32 s15, s20, s15
	s_mul_i32 s14, s14, s44
	s_lshl_b64 s[14:15], s[14:15], 1
	s_add_u32 s14, s16, s14
	v_lshlrev_b32_e32 v4, 7, v1
	s_addc_u32 s15, s17, s15
	v_ashrrev_i32_e32 v5, 31, v4
	v_lshl_add_u64 v[4:5], v[4:5], 1, s[14:15]
	v_mov_b32_e32 v55, 0
	v_lshl_add_u64 v[4:5], v[4:5], 0, v[54:55]
	global_load_dwordx4 v[10:13], v[4:5], off
	v_lshlrev_b32_e32 v5, 8, v0
	v_lshlrev_b32_e32 v4, 8, v56
	v_and_b32_e32 v5, 0x600, v5
	s_movk_i32 s14, 0x800
	v_and_or_b32 v4, v4, s14, v5
	v_lshlrev_b32_e32 v3, 5, v3
	v_and_b32_e32 v5, 16, v61
	v_or3_b32 v3, v4, v3, v5
	s_waitcnt vmcnt(0)
	ds_write_b128 v3, v[10:13]
.LBB1086_11:
	s_or_b64 exec, exec, s[12:13]
	s_waitcnt lgkmcnt(0)
	s_mul_i32 s12, s4, s46
	s_add_u32 s8, s8, s12
	s_addc_u32 s9, s9, 0
	v_mov_b32_e32 v59, 0
	v_mov_b64_e32 v[4:5], s[8:9]
	v_and_b32_e32 v9, 48, v0
	s_waitcnt vmcnt(3)
	v_mad_i64_i32 v[10:11], s[8:9], v2, s45, v[4:5]
	v_lshlrev_b32_e32 v2, 4, v56
	v_mov_b32_e32 v3, v59
	v_lshlrev_b32_e32 v58, 5, v9
	v_lshl_add_u64 v[10:11], v[10:11], 0, v[2:3]
	v_lshl_add_u64 v[14:15], v[10:11], 0, v[58:59]
	s_load_dword s23, s[0:1], 0x98
	s_load_dwordx4 s[40:43], s[0:1], 0x80
	s_waitcnt lgkmcnt(0)
	s_barrier
	global_load_dwordx4 v[10:13], v[14:15], off
	global_load_dwordx4 v[30:33], v[14:15], off offset:2048
	v_mul_lo_u16_e32 v16, 0x56, v56
	v_mov_b32_e32 v17, 3
	v_mul_lo_u16_sdwa v14, v16, v17 dst_sel:DWORD dst_unused:UNUSED_PAD src0_sel:BYTE_1 src1_sel:DWORD
	v_mov_b32_e32 v20, 5
	v_or_b32_e32 v25, s18, v9
	v_sub_u16_e32 v9, v56, v14
	s_ashr_i32 s8, s18, 31
	v_lshlrev_b32_sdwa v9, v20, v9 dst_sel:DWORD dst_unused:UNUSED_PAD src0_sel:DWORD src1_sel:BYTE_0
	v_or_b32_e32 v18, 0x100, v2
	v_mov_b32_e32 v19, v59
	s_lshr_b32 s13, s8, 27
	v_lshl_add_u32 v41, v60, 9, v9
	s_waitcnt vmcnt(4)
	v_mad_i64_i32 v[8:9], s[8:9], v8, s45, v[4:5]
	s_waitcnt vmcnt(3)
	v_mad_i64_i32 v[20:21], s[8:9], v6, s45, v[4:5]
	;; [unrolled: 2-line block ×3, first 2 shown]
	v_lshl_add_u64 v[6:7], v[8:9], 0, v[18:19]
	v_lshl_add_u64 v[22:23], v[6:7], 0, v[58:59]
	global_load_dwordx4 v[46:49], v[22:23], off
	v_or_b32_e32 v38, 64, v25
	v_or_b32_e32 v39, 0x80, v25
	;; [unrolled: 1-line block ×3, first 2 shown]
	v_add_u32_e32 v42, s13, v25
	v_add_u32_e32 v43, s13, v38
	;; [unrolled: 1-line block ×4, first 2 shown]
	ds_read_b128 v[34:37], v41
	ds_read_b128 v[26:29], v41 offset:16
	ds_read_b128 v[14:17], v41 offset:2048
	;; [unrolled: 1-line block ×3, first 2 shown]
	v_lshl_add_u64 v[2:3], v[20:21], 0, v[2:3]
	v_ashrrev_i32_e32 v20, 5, v42
	v_ashrrev_i32_e32 v21, 5, v43
	;; [unrolled: 1-line block ×4, first 2 shown]
	global_load_dwordx4 v[42:45], v[22:23], off offset:2048
	v_mov_b32_e32 v24, s19
	v_cmp_gt_i32_e32 vcc, s5, v25
	v_lshl_add_u64 v[4:5], v[4:5], 0, v[18:19]
	v_lshl_add_u64 v[2:3], v[2:3], 0, v[58:59]
	v_cndmask_b32_e32 v50, v24, v20, vcc
	v_cmp_gt_i32_e32 vcc, s5, v38
	v_lshl_add_u64 v[18:19], v[4:5], 0, v[58:59]
	v_and_b32_e32 v58, 16, v0
	v_cndmask_b32_e32 v52, v24, v21, vcc
	v_cmp_gt_i32_e32 vcc, s5, v39
	v_ashrrev_i32_e32 v53, 31, v52
	v_lshl_add_u64 v[52:53], v[52:53], 2, s[6:7]
	v_cndmask_b32_e32 v64, v24, v41, vcc
	v_cmp_gt_i32_e32 vcc, s5, v40
	v_ashrrev_i32_e32 v65, 31, v64
	v_lshl_add_u64 v[68:69], v[64:65], 2, s[6:7]
	v_cndmask_b32_e32 v66, v24, v51, vcc
	global_load_dwordx4 v[22:25], v[2:3], off
	s_nop 0
	global_load_dwordx4 v[2:5], v[2:3], off offset:2048
	s_nop 0
	global_load_dwordx4 v[38:41], v[18:19], off
	s_nop 0
	global_load_dwordx4 v[18:21], v[18:19], off offset:2048
	v_ashrrev_i32_e32 v67, 31, v66
	v_lshl_add_u64 v[70:71], v[66:67], 2, s[6:7]
	v_ashrrev_i32_e32 v51, 31, v50
	v_lshl_add_u64 v[50:51], v[50:51], 2, s[6:7]
	s_add_u32 s6, s10, s12
	s_addc_u32 s7, s11, 0
	v_lshl_or_b32 v55, v57, 4, v56
	s_load_dword s4, s[0:1], 0x1c
	s_mov_b32 s33, 0xff7fffff
	s_waitcnt vmcnt(7)
	v_cvt_pk_f32_fp8_e32 v[64:65], v10
	v_cvt_pk_f32_fp8_sdwa v[66:67], v10 src0_sel:WORD_1
	v_cvt_pk_f32_fp8_e32 v[72:73], v11
	v_cvt_pk_f32_fp8_sdwa v[10:11], v11 src0_sel:WORD_1
	v_cvt_pkrtz_f16_f32 v74, v64, v65
	v_cvt_pkrtz_f16_f32 v75, v66, v67
	global_load_dword v66, v[50:51], off
	global_load_dword v65, v[52:53], off
	global_load_dword v63, v[68:69], off
	global_load_dword v64, v[70:71], off
	v_cvt_pk_f32_fp8_e32 v[68:69], v12
	v_cvt_pkrtz_f16_f32 v70, v72, v73
	v_cvt_pkrtz_f16_f32 v71, v10, v11
	v_cvt_pk_f32_fp8_sdwa v[10:11], v12 src0_sel:WORD_1
	s_waitcnt lgkmcnt(0)
	v_mfma_f32_16x16x16_f16 v[50:53], v[74:75], v[34:35], 0
	v_cvt_pk_f32_fp8_e32 v[72:73], v13
	v_cvt_pkrtz_f16_f32 v68, v68, v69
	v_cvt_pkrtz_f16_f32 v69, v10, v11
	v_cvt_pk_f32_fp8_sdwa v[10:11], v13 src0_sel:WORD_1
	v_mfma_f32_16x16x16_f16 v[50:53], v[70:71], v[36:37], v[50:53]
	v_cvt_pkrtz_f16_f32 v70, v72, v73
	s_waitcnt vmcnt(10)
	v_cvt_pk_f32_fp8_e32 v[72:73], v30
	v_cvt_pk_f32_fp8_sdwa v[74:75], v30 src0_sel:WORD_1
	v_cvt_pkrtz_f16_f32 v71, v10, v11
	v_mfma_f32_16x16x16_f16 v[10:13], v[68:69], v[26:27], v[50:53]
	s_waitcnt vmcnt(9)
	v_cvt_pk_f32_fp8_sdwa v[68:69], v46 src0_sel:WORD_1
	v_mov_b32_e32 v67, s4
	s_waitcnt vmcnt(6)
	v_cvt_pk_f32_fp8_sdwa v[80:81], v5 src0_sel:WORD_1
	v_cvt_pkrtz_f16_f32 v50, v72, v73
	v_cvt_pkrtz_f16_f32 v51, v74, v75
	v_cvt_pk_f32_fp8_e32 v[52:53], v31
	v_cvt_pk_f32_fp8_sdwa v[30:31], v31 src0_sel:WORD_1
	v_mfma_f32_16x16x16_f16 v[10:13], v[70:71], v[28:29], v[10:13]
	v_cvt_pk_f32_fp8_sdwa v[70:71], v42 src0_sel:WORD_1
	v_cvt_pkrtz_f16_f32 v52, v52, v53
	v_cvt_pkrtz_f16_f32 v53, v30, v31
	v_mfma_f32_16x16x16_f16 v[10:13], v[50:51], v[14:15], v[10:13]
	v_cvt_pk_f32_fp8_e32 v[30:31], v32
	v_cvt_pk_f32_fp8_sdwa v[50:51], v32 src0_sel:WORD_1
	v_cvt_pk_f32_fp8_e32 v[74:75], v3
	v_mfma_f32_16x16x16_f16 v[10:13], v[52:53], v[16:17], v[10:13]
	v_cvt_pk_f32_fp8_e32 v[52:53], v33
	v_cvt_pkrtz_f16_f32 v30, v30, v31
	v_cvt_pkrtz_f16_f32 v31, v50, v51
	v_cvt_pk_f32_fp8_sdwa v[32:33], v33 src0_sel:WORD_1
	v_cvt_pkrtz_f16_f32 v50, v52, v53
	v_cvt_pk_f32_fp8_e32 v[52:53], v46
	v_mfma_f32_16x16x16_f16 v[10:13], v[30:31], v[6:7], v[10:13]
	v_cvt_pkrtz_f16_f32 v51, v32, v33
	v_cvt_pkrtz_f16_f32 v30, v52, v53
	;; [unrolled: 1-line block ×3, first 2 shown]
	v_cvt_pk_f32_fp8_e32 v[32:33], v47
	v_cvt_pk_f32_fp8_sdwa v[46:47], v47 src0_sel:WORD_1
	v_mfma_f32_16x16x16_f16 v[50:53], v[50:51], v[8:9], v[10:13]
	v_cvt_pk_f32_fp8_sdwa v[68:69], v48 src0_sel:WORD_1
	v_cvt_pkrtz_f16_f32 v32, v32, v33
	v_cvt_pkrtz_f16_f32 v33, v46, v47
	v_mfma_f32_16x16x16_f16 v[10:13], v[30:31], v[34:35], 0
	v_cvt_pk_f32_fp8_e32 v[30:31], v48
	v_lshl_add_u64 v[46:47], s[6:7], 0, v[58:59]
	v_lshlrev_b32_e32 v58, 5, v55
	v_mfma_f32_16x16x16_f16 v[10:13], v[32:33], v[36:37], v[10:13]
	v_cvt_pk_f32_fp8_e32 v[32:33], v49
	v_cvt_pkrtz_f16_f32 v30, v30, v31
	v_cvt_pkrtz_f16_f32 v31, v68, v69
	v_cvt_pk_f32_fp8_sdwa v[48:49], v49 src0_sel:WORD_1
	v_cvt_pkrtz_f16_f32 v32, v32, v33
	v_cvt_pk_f32_fp8_e32 v[68:69], v42
	v_mfma_f32_16x16x16_f16 v[10:13], v[30:31], v[26:27], v[10:13]
	v_cvt_pkrtz_f16_f32 v33, v48, v49
	v_cvt_pkrtz_f16_f32 v30, v68, v69
	;; [unrolled: 1-line block ×3, first 2 shown]
	v_cvt_pk_f32_fp8_e32 v[48:49], v43
	v_cvt_pk_f32_fp8_sdwa v[42:43], v43 src0_sel:WORD_1
	v_mfma_f32_16x16x16_f16 v[10:13], v[32:33], v[28:29], v[10:13]
	v_lshl_add_u64 v[68:69], v[46:47], 0, v[58:59]
	v_cvt_pkrtz_f16_f32 v32, v48, v49
	v_cvt_pkrtz_f16_f32 v33, v42, v43
	v_mfma_f32_16x16x16_f16 v[10:13], v[30:31], v[14:15], v[10:13]
	v_cvt_pk_f32_fp8_e32 v[30:31], v44
	v_cvt_pk_f32_fp8_sdwa v[42:43], v44 src0_sel:WORD_1
	v_cvt_pk_f32_fp8_sdwa v[48:49], v22 src0_sel:WORD_1
	v_mfma_f32_16x16x16_f16 v[10:13], v[32:33], v[16:17], v[10:13]
	v_cvt_pkrtz_f16_f32 v30, v30, v31
	v_cvt_pkrtz_f16_f32 v31, v42, v43
	v_cvt_pk_f32_fp8_e32 v[32:33], v45
	v_cvt_pk_f32_fp8_sdwa v[42:43], v45 src0_sel:WORD_1
	v_cvt_pk_f32_fp8_e32 v[44:45], v22
	v_mfma_f32_16x16x16_f16 v[10:13], v[30:31], v[6:7], v[10:13]
	v_cvt_pkrtz_f16_f32 v32, v32, v33
	v_cvt_pkrtz_f16_f32 v33, v42, v43
	;; [unrolled: 1-line block ×4, first 2 shown]
	v_cvt_pk_f32_fp8_e32 v[48:49], v23
	v_cvt_pk_f32_fp8_sdwa v[22:23], v23 src0_sel:WORD_1
	v_mfma_f32_16x16x16_f16 v[42:45], v[32:33], v[8:9], v[10:13]
	s_waitcnt vmcnt(2)
	v_mad_i64_i32 v[70:71], s[6:7], v65, s45, v[68:69]
	v_cvt_pkrtz_f16_f32 v32, v48, v49
	v_cvt_pkrtz_f16_f32 v33, v22, v23
	v_mfma_f32_16x16x16_f16 v[10:13], v[30:31], v[34:35], 0
	v_cvt_pk_f32_fp8_e32 v[22:23], v24
	v_cvt_pk_f32_fp8_sdwa v[30:31], v24 src0_sel:WORD_1
	v_mad_i64_i32 v[48:49], s[6:7], v66, s45, v[68:69]
	v_cvt_pkrtz_f16_f32 v22, v22, v23
	v_cvt_pkrtz_f16_f32 v23, v30, v31
	v_cvt_pk_f32_fp8_e32 v[30:31], v25
	v_cvt_pk_f32_fp8_sdwa v[24:25], v25 src0_sel:WORD_1
	v_mfma_f32_16x16x16_f16 v[10:13], v[32:33], v[36:37], v[10:13]
	s_waitcnt vmcnt(0)
	v_mad_i64_i32 v[76:77], s[6:7], v64, s45, v[68:69]
	v_cvt_pkrtz_f16_f32 v72, v30, v31
	v_cvt_pkrtz_f16_f32 v73, v24, v25
	v_mfma_f32_16x16x16_f16 v[10:13], v[22:23], v[26:27], v[10:13]
	global_load_dwordx4 v[30:33], v[48:49], off
	global_load_dwordx4 v[22:25], v[70:71], off
	v_cvt_pk_f32_fp8_e32 v[70:71], v2
	v_mad_i64_i32 v[48:49], s[6:7], v63, s45, v[68:69]
	v_mfma_f32_16x16x16_f16 v[10:13], v[72:73], v[28:29], v[10:13]
	v_cvt_pk_f32_fp8_sdwa v[72:73], v2 src0_sel:WORD_1
	v_cvt_pk_f32_fp8_sdwa v[2:3], v3 src0_sel:WORD_1
	v_cvt_pkrtz_f16_f32 v70, v70, v71
	v_or_b32_e32 v58, 0x800, v58
	v_cvt_pkrtz_f16_f32 v71, v72, v73
	v_cvt_pkrtz_f16_f32 v72, v74, v75
	;; [unrolled: 1-line block ×3, first 2 shown]
	v_cvt_pk_f32_fp8_e32 v[2:3], v4
	v_cvt_pk_f32_fp8_sdwa v[74:75], v4 src0_sel:WORD_1
	v_mfma_f32_16x16x16_f16 v[68:71], v[70:71], v[14:15], v[10:13]
	v_lshl_add_u64 v[46:47], v[46:47], 0, v[58:59]
	v_cvt_pkrtz_f16_f32 v78, v2, v3
	v_cvt_pkrtz_f16_f32 v79, v74, v75
	v_cvt_pk_f32_fp8_e32 v[74:75], v5
	v_mfma_f32_16x16x16_f16 v[68:71], v[72:73], v[16:17], v[68:71]
	global_load_dwordx4 v[10:13], v[48:49], off
	global_load_dwordx4 v[2:5], v[76:77], off
	v_cvt_pkrtz_f16_f32 v49, v80, v81
	v_cvt_pkrtz_f16_f32 v48, v74, v75
	v_mfma_f32_16x16x16_f16 v[68:71], v[78:79], v[6:7], v[68:71]
	v_cvt_pk_f32_fp8_e32 v[58:59], v38
	v_cvt_pk_f32_fp8_sdwa v[72:73], v38 src0_sel:WORD_1
	v_cvt_pk_f32_fp8_e32 v[76:77], v40
	v_mfma_f32_16x16x16_f16 v[68:71], v[48:49], v[8:9], v[68:71]
	v_cvt_pk_f32_fp8_e32 v[48:49], v39
	v_cvt_pkrtz_f16_f32 v58, v58, v59
	v_cvt_pkrtz_f16_f32 v59, v72, v73
	v_cvt_pk_f32_fp8_sdwa v[38:39], v39 src0_sel:WORD_1
	v_cvt_pkrtz_f16_f32 v48, v48, v49
	v_cvt_pk_f32_fp8_sdwa v[78:79], v40 src0_sel:WORD_1
	v_mfma_f32_16x16x16_f16 v[72:75], v[58:59], v[34:35], 0
	v_cvt_pkrtz_f16_f32 v49, v38, v39
	v_cvt_pkrtz_f16_f32 v38, v76, v77
	;; [unrolled: 1-line block ×3, first 2 shown]
	v_cvt_pk_f32_fp8_e32 v[58:59], v41
	v_cvt_pk_f32_fp8_sdwa v[40:41], v41 src0_sel:WORD_1
	v_mfma_f32_16x16x16_f16 v[34:37], v[48:49], v[36:37], v[72:75]
	s_load_dword s6, s[40:41], 0x0
	v_cvt_pkrtz_f16_f32 v48, v58, v59
	v_cvt_pkrtz_f16_f32 v49, v40, v41
	v_mfma_f32_16x16x16_f16 v[72:75], v[38:39], v[26:27], v[34:37]
	s_waitcnt lgkmcnt(0)
	v_mul_f32_e32 v40, s6, v67
	v_pk_mul_f32 v[38:39], v[40:41], v[52:53] op_sel_hi:[0,1]
	v_mfma_f32_16x16x16_f16 v[26:29], v[48:49], v[28:29], v[72:75]
	v_cvt_pk_f32_fp8_e32 v[34:35], v18
	v_cvt_pk_f32_fp8_sdwa v[48:49], v18 src0_sel:WORD_1
	v_pk_mul_f32 v[36:37], v[40:41], v[50:51] op_sel_hi:[0,1]
	v_cvt_pk_f32_fp8_e32 v[50:51], v19
	v_cvt_pk_f32_fp8_sdwa v[18:19], v19 src0_sel:WORD_1
	v_cvt_pkrtz_f16_f32 v34, v34, v35
	v_cvt_pkrtz_f16_f32 v35, v48, v49
	;; [unrolled: 1-line block ×4, first 2 shown]
	v_cvt_pk_f32_fp8_e32 v[18:19], v20
	v_cvt_pk_f32_fp8_sdwa v[50:51], v20 src0_sel:WORD_1
	v_mfma_f32_16x16x16_f16 v[26:29], v[34:35], v[14:15], v[26:29]
	v_cvt_pk_f32_fp8_e32 v[34:35], v21
	v_cvt_pkrtz_f16_f32 v18, v18, v19
	v_cvt_pkrtz_f16_f32 v19, v50, v51
	v_cvt_pk_f32_fp8_sdwa v[20:21], v21 src0_sel:WORD_1
	v_mfma_f32_16x16x16_f16 v[14:17], v[48:49], v[16:17], v[26:29]
	v_pk_mul_f32 v[48:49], v[40:41], v[44:45] op_sel_hi:[0,1]
	v_pk_mul_f32 v[50:51], v[40:41], v[42:43] op_sel_hi:[0,1]
	;; [unrolled: 1-line block ×3, first 2 shown]
	v_cvt_pkrtz_f16_f32 v26, v34, v35
	v_cvt_pkrtz_f16_f32 v27, v20, v21
	v_mfma_f32_16x16x16_f16 v[14:17], v[18:19], v[6:7], v[14:17]
	v_pk_mul_f32 v[42:43], v[40:41], v[68:69] op_sel_hi:[0,1]
	v_mad_i64_i32 v[52:53], s[6:7], v66, s45, v[46:47]
	v_mfma_f32_16x16x16_f16 v[6:9], v[26:27], v[8:9], v[14:17]
	s_nop 6
	v_pk_mul_f32 v[34:35], v[40:41], v[8:9] op_sel_hi:[0,1]
	v_pk_mul_f32 v[40:41], v[40:41], v[6:7] op_sel_hi:[0,1]
	v_and_b32_e32 v6, 0xc0, v0
	v_add_u32_e32 v6, s18, v6
	v_lshl_or_b32 v6, v60, 2, v6
	v_or_b32_e32 v9, 1, v6
	v_mov_b32_e32 v7, 0xff7fffff
	v_cmp_gt_i32_e64 s[24:25], s5, v6
	v_cmp_gt_i32_e64 s[26:27], s5, v9
	v_or_b32_e32 v14, 3, v6
	v_cndmask_b32_e64 v8, v7, v36, s[24:25]
	v_cndmask_b32_e64 v9, v7, v37, s[26:27]
	v_max3_f32 v8, v8, s33, v9
	v_or_b32_e32 v9, 2, v6
	v_cmp_gt_i32_e64 s[28:29], s5, v9
	v_cmp_gt_i32_e64 s[30:31], s5, v14
	s_nop 0
	v_cndmask_b32_e64 v9, v7, v38, s[28:29]
	v_cndmask_b32_e64 v14, v7, v39, s[30:31]
	v_max3_f32 v8, v8, v9, v14
	v_or_b32_e32 v9, 16, v6
	v_or_b32_e32 v14, 17, v6
	v_cmp_gt_i32_e64 s[34:35], s5, v9
	v_cmp_gt_i32_e64 s[36:37], s5, v14
	s_nop 0
	v_cndmask_b32_e64 v9, v7, v50, s[34:35]
	v_cndmask_b32_e64 v14, v7, v51, s[36:37]
	v_max3_f32 v8, v8, v9, v14
	v_or_b32_e32 v9, 18, v6
	v_or_b32_e32 v14, 19, v6
	v_cmp_gt_i32_e64 s[18:19], s5, v9
	v_cmp_gt_i32_e64 s[20:21], s5, v14
	s_nop 0
	v_cndmask_b32_e64 v9, v7, v48, s[18:19]
	v_cndmask_b32_e64 v14, v7, v49, s[20:21]
	v_max3_f32 v8, v8, v9, v14
	v_or_b32_e32 v9, 32, v6
	v_or_b32_e32 v14, 33, v6
	v_cmp_gt_i32_e64 s[14:15], s5, v9
	v_cmp_gt_i32_e64 s[16:17], s5, v14
	s_nop 0
	v_cndmask_b32_e64 v9, v7, v42, s[14:15]
	v_cndmask_b32_e64 v14, v7, v43, s[16:17]
	v_max3_f32 v8, v8, v9, v14
	v_or_b32_e32 v9, 34, v6
	v_or_b32_e32 v14, 35, v6
	v_cmp_gt_i32_e64 s[10:11], s5, v9
	v_cmp_gt_i32_e64 s[12:13], s5, v14
	s_nop 0
	v_cndmask_b32_e64 v9, v7, v44, s[10:11]
	v_cndmask_b32_e64 v14, v7, v45, s[12:13]
	v_max3_f32 v8, v8, v9, v14
	v_or_b32_e32 v9, 48, v6
	v_or_b32_e32 v14, 49, v6
	v_cmp_gt_i32_e64 s[6:7], s5, v9
	v_cmp_gt_i32_e64 s[8:9], s5, v14
	s_nop 0
	v_cndmask_b32_e64 v9, v7, v40, s[6:7]
	v_cndmask_b32_e64 v14, v7, v41, s[8:9]
	v_max3_f32 v8, v8, v9, v14
	v_or_b32_e32 v9, 50, v6
	v_or_b32_e32 v6, 51, v6
	v_cmp_gt_i32_e32 vcc, s5, v9
	v_cmp_gt_i32_e64 s[4:5], s5, v6
	s_nop 0
	v_cndmask_b32_e32 v9, v7, v34, vcc
	v_cndmask_b32_e64 v6, v7, v35, s[4:5]
	v_max3_f32 v8, v8, v9, v6
	v_mbcnt_lo_u32_b32 v6, -1, 0
	v_mbcnt_hi_u32_b32 v9, -1, v6
	v_and_b32_e32 v6, 64, v9
	v_add_u32_e32 v14, 64, v6
	v_xor_b32_e32 v6, 32, v9
	v_cmp_lt_i32_e64 s[38:39], v6, v14
	s_nop 1
	v_cndmask_b32_e64 v6, v9, v6, s[38:39]
	v_lshlrev_b32_e32 v58, 2, v6
	ds_bpermute_b32 v15, v58, v8
	v_mad_i64_i32 v[6:7], s[38:39], v65, s45, v[46:47]
	global_load_dwordx4 v[26:29], v[52:53], off
	global_load_dwordx4 v[18:21], v[6:7], off
	s_waitcnt lgkmcnt(0)
	v_max_f32_e32 v6, v15, v15
	v_max_f32_e32 v15, v8, v6
	v_xor_b32_e32 v6, 16, v9
	v_cmp_lt_i32_e64 s[38:39], v6, v14
	s_nop 1
	v_cndmask_b32_e64 v6, v9, v6, s[38:39]
	v_lshlrev_b32_e32 v53, 2, v6
	ds_bpermute_b32 v14, v53, v15
	v_mad_i64_i32 v[6:7], s[38:39], v63, s45, v[46:47]
	v_mad_i64_i32 v[8:9], s[38:39], v64, s45, v[46:47]
	s_waitcnt lgkmcnt(0)
	v_max_f32_e32 v14, v14, v14
	v_max_f32_e32 v52, v15, v14
	v_sub_f32_e32 v14, v36, v52
	v_mul_f32_e32 v14, 0x3fb8aa3b, v14
	v_exp_f32_e32 v36, v14
	v_sub_f32_e32 v14, v37, v52
	v_mul_f32_e32 v14, 0x3fb8aa3b, v14
	v_exp_f32_e32 v37, v14
	global_load_dwordx4 v[14:17], v[6:7], off
	s_nop 0
	global_load_dwordx4 v[6:9], v[8:9], off
	v_sub_f32_e32 v38, v38, v52
	v_mul_f32_e32 v38, 0x3fb8aa3b, v38
	v_sub_f32_e32 v39, v39, v52
	v_exp_f32_e32 v38, v38
	v_mul_f32_e32 v39, 0x3fb8aa3b, v39
	v_exp_f32_e32 v39, v39
	v_cndmask_b32_e64 v36, 0, v36, s[24:25]
	v_add_f32_e32 v46, 0, v36
	v_cndmask_b32_e64 v37, 0, v37, s[26:27]
	v_add_f32_e32 v47, v46, v37
	;; [unrolled: 2-line block ×3, first 2 shown]
	v_cndmask_b32_e64 v47, 0, v39, s[30:31]
	v_sub_f32_e32 v39, v50, v52
	v_mul_f32_e32 v39, 0x3fb8aa3b, v39
	v_sub_f32_e32 v50, v51, v52
	v_exp_f32_e32 v39, v39
	v_mul_f32_e32 v50, 0x3fb8aa3b, v50
	v_sub_f32_e32 v48, v48, v52
	v_exp_f32_e32 v50, v50
	;; [unrolled: 3-line block ×4, first 2 shown]
	v_mul_f32_e32 v42, 0x3fb8aa3b, v42
	v_sub_f32_e32 v43, v43, v52
	v_add_f32_e32 v51, v38, v47
	v_cndmask_b32_e64 v38, 0, v39, s[34:35]
	v_exp_f32_e32 v42, v42
	v_mul_f32_e32 v43, 0x3fb8aa3b, v43
	v_sub_f32_e32 v44, v44, v52
	v_add_f32_e32 v51, v51, v38
	v_cndmask_b32_e64 v39, 0, v50, s[36:37]
	v_exp_f32_e32 v43, v43
	;; [unrolled: 5-line block ×7, first 2 shown]
	v_mul_f32_e32 v35, 0x3fb8aa3b, v35
	v_add_f32_e32 v50, v50, v44
	v_cndmask_b32_e64 v45, 0, v45, s[12:13]
	v_exp_f32_e32 v35, v35
	v_add_f32_e32 v50, v50, v45
	v_cndmask_b32_e64 v40, 0, v40, s[6:7]
	v_add_f32_e32 v50, v50, v40
	v_cndmask_b32_e64 v41, 0, v41, s[8:9]
	v_add_f32_e32 v50, v50, v41
	v_cndmask_b32_e32 v34, 0, v34, vcc
	v_add_f32_e32 v50, v50, v34
	v_cndmask_b32_e64 v35, 0, v35, s[4:5]
	v_add_f32_e32 v50, v50, v35
	ds_bpermute_b32 v51, v58, v50
	v_cmp_gt_u32_e32 vcc, 16, v62
	s_waitcnt lgkmcnt(0)
	s_barrier
	v_add_f32_e32 v50, v50, v51
	ds_bpermute_b32 v51, v53, v50
	s_and_saveexec_b64 s[4:5], vcc
	s_cbranch_execz .LBB1086_13
; %bb.12:
	s_waitcnt lgkmcnt(0)
	v_add_f32_e32 v50, v50, v51
	v_lshlrev_b32_e32 v51, 2, v55
	ds_write2st64_b32 v51, v52, v50 offset1:1
.LBB1086_13:
	s_or_b64 exec, exec, s[4:5]
	s_waitcnt lgkmcnt(0)
	v_lshlrev_b32_e32 v51, 2, v56
	s_load_dword s6, s[0:1], 0x94
	s_waitcnt lgkmcnt(0)
	s_barrier
	ds_read2_b32 v[52:53], v51 offset1:16
	ds_read2_b32 v[58:59], v51 offset0:32 offset1:48
	ds_read2_b32 v[62:63], v51 offset0:64 offset1:80
	s_mul_i32 s7, s23, 3
	s_waitcnt lgkmcnt(2)
	v_max3_f32 v50, v52, s33, v53
	s_waitcnt lgkmcnt(1)
	v_max3_f32 v50, v50, v58, v59
	v_sub_f32_e32 v52, v52, v50
	v_mul_f32_e32 v52, 0x3fb8aa3b, v52
	v_exp_f32_e32 v55, v52
	v_sub_f32_e32 v52, v53, v50
	v_mul_f32_e32 v52, 0x3fb8aa3b, v52
	v_exp_f32_e32 v64, v52
	;; [unrolled: 3-line block ×3, first 2 shown]
	ds_read2_b32 v[52:53], v51 offset0:96 offset1:112
	v_sub_f32_e32 v51, v59, v50
	v_mul_f32_e32 v51, 0x3fb8aa3b, v51
	v_exp_f32_e32 v59, v51
	s_waitcnt lgkmcnt(1)
	v_fma_f32 v51, v55, v62, 0
	v_fmac_f32_e32 v51, v64, v63
	s_waitcnt lgkmcnt(0)
	v_fmac_f32_e32 v51, v58, v52
	v_fmac_f32_e32 v51, v59, v53
	v_add_f32_e32 v52, 0x358637bd, v51
	v_div_scale_f32 v53, s[4:5], v52, v52, 1.0
	v_rcp_f32_e32 v62, v53
	s_barrier
	v_fma_f32 v63, -v53, v62, 1.0
	v_fmac_f32_e32 v62, v63, v62
	v_div_scale_f32 v63, vcc, 1.0, v52, 1.0
	v_mul_f32_e32 v65, v63, v62
	v_fma_f32 v66, -v53, v65, v63
	v_fmac_f32_e32 v65, v66, v62
	v_fma_f32 v53, -v53, v65, v63
	v_div_fmas_f32 v53, v53, v62, v65
	v_cmp_eq_u32_e32 vcc, 1, v57
	v_div_fixup_f32 v52, v53, v52, 1.0
	s_nop 0
	v_cndmask_b32_e32 v53, v55, v64, vcc
	v_cmp_eq_u32_e32 vcc, 2, v57
	s_nop 1
	v_cndmask_b32_e32 v53, v53, v58, vcc
	v_cmp_eq_u32_e32 vcc, 3, v57
	s_nop 1
	v_cndmask_b32_e32 v53, v53, v59, vcc
	v_mul_f32_e32 v52, v53, v52
	v_pk_mul_f32 v[46:47], v[52:53], v[46:47] op_sel_hi:[0,1]
	v_pk_mul_f32 v[36:37], v[52:53], v[36:37] op_sel_hi:[0,1]
	v_cvt_f16_f32_e32 v53, v46
	v_cvt_f16_f32_e32 v36, v36
	;; [unrolled: 1-line block ×4, first 2 shown]
	v_pk_mul_f32 v[48:49], v[52:53], v[48:49] op_sel_hi:[0,1]
	v_pk_mul_f32 v[38:39], v[52:53], v[38:39] op_sel_hi:[0,1]
	v_cvt_f16_f32_e32 v38, v38
	v_cvt_f16_f32_e32 v39, v39
	;; [unrolled: 1-line block ×4, first 2 shown]
	v_pack_b32_f16 v46, v36, v37
	v_pack_b32_f16 v47, v53, v47
	v_lshlrev_b32_e32 v37, 3, v60
	v_lshlrev_b32_e32 v36, 5, v56
	;; [unrolled: 1-line block ×3, first 2 shown]
	v_or3_b32 v55, v53, v36, v37
	v_pack_b32_f16 v38, v38, v39
	v_pack_b32_f16 v39, v48, v49
	ds_write2st64_b64 v55, v[46:47], v[38:39] offset1:1
	v_pk_mul_f32 v[38:39], v[52:53], v[44:45] op_sel_hi:[0,1]
	v_pk_mul_f32 v[42:43], v[52:53], v[42:43] op_sel_hi:[0,1]
	v_cvt_f16_f32_e32 v37, v42
	v_cvt_f16_f32_e32 v42, v43
	;; [unrolled: 1-line block ×4, first 2 shown]
	v_pk_mul_f32 v[34:35], v[52:53], v[34:35] op_sel_hi:[0,1]
	v_pk_mul_f32 v[38:39], v[52:53], v[40:41] op_sel_hi:[0,1]
	v_cvt_f16_f32_e32 v38, v38
	v_cvt_f16_f32_e32 v39, v39
	;; [unrolled: 1-line block ×4, first 2 shown]
	v_pack_b32_f16 v34, v37, v42
	v_pack_b32_f16 v35, v43, v44
	;; [unrolled: 1-line block ×4, first 2 shown]
	v_cmp_gt_u32_e32 vcc, 3, v0
	ds_write2st64_b64 v55, v[34:35], v[38:39] offset0:2 offset1:3
	s_and_saveexec_b64 s[4:5], vcc
	s_cbranch_execz .LBB1086_15
; %bb.14:
	s_mov_b32 s49, 0
	v_mov_b32_e32 v57, 0
	v_lshl_add_u64 v[34:35], s[48:49], 0, v[56:57]
	v_mov_b32_e32 v37, s7
	v_mad_u64_u32 v[34:35], s[12:13], s2, v37, v[34:35]
	s_mul_i32 s3, s3, s7
	v_mov_b32_e32 v38, s22
	v_mov_b32_e32 v39, v57
	s_load_dwordx4 s[8:11], s[0:1], 0x58
	v_add_u32_e32 v37, s3, v35
	v_mad_u64_u32 v[34:35], s[12:13], v34, s6, v[38:39]
	v_mov_b32_e32 v38, v35
	v_mad_u64_u32 v[38:39], s[12:13], v37, s6, v[38:39]
	v_mov_b32_e32 v35, v38
	v_lshlrev_b64 v[34:35], 2, v[34:35]
	s_waitcnt lgkmcnt(0)
	v_lshl_add_u64 v[38:39], s[10:11], 0, v[34:35]
	v_lshl_add_u64 v[34:35], s[8:9], 0, v[34:35]
	global_store_dword v[38:39], v50, off
	global_store_dword v[34:35], v51, off
.LBB1086_15:
	s_or_b64 exec, exec, s[4:5]
	s_waitcnt vmcnt(7)
	v_cvt_pk_f32_fp8_e32 v[34:35], v30
	v_lshl_or_b32 v50, v60, 9, v36
	v_cvt_pk_f32_fp8_sdwa v[36:37], v30 src0_sel:WORD_1
	s_waitcnt lgkmcnt(0)
	s_barrier
	v_cvt_pk_f32_fp8_e32 v[38:39], v31
	v_cvt_pkrtz_f16_f32 v30, v34, v35
	v_cvt_pk_f32_fp8_sdwa v[40:41], v31 src0_sel:WORD_1
	v_cvt_pkrtz_f16_f32 v31, v36, v37
	ds_read_b128 v[34:37], v50
	v_cvt_pkrtz_f16_f32 v46, v38, v39
	v_cvt_pkrtz_f16_f32 v47, v40, v41
	ds_read_b128 v[38:41], v50 offset:16
	v_cvt_pk_f32_fp8_e32 v[48:49], v32
	v_cvt_pk_f32_fp8_sdwa v[52:53], v32 src0_sel:WORD_1
	s_waitcnt lgkmcnt(1)
	v_mfma_f32_16x16x16_f16 v[42:45], v[30:31], v[34:35], 0
	s_waitcnt vmcnt(6)
	v_cvt_pk_f32_fp8_e32 v[58:59], v24
	v_cvt_pkrtz_f16_f32 v30, v48, v49
	v_cvt_pkrtz_f16_f32 v31, v52, v53
	v_cvt_pk_f32_fp8_e32 v[48:49], v33
	v_mfma_f32_16x16x16_f16 v[42:45], v[46:47], v[36:37], v[42:45]
	v_cvt_pk_f32_fp8_sdwa v[46:47], v33 src0_sel:WORD_1
	v_cvt_pk_f32_fp8_sdwa v[62:63], v24 src0_sel:WORD_1
	v_cvt_pkrtz_f16_f32 v48, v48, v49
	s_waitcnt lgkmcnt(0)
	v_mfma_f32_16x16x16_f16 v[30:33], v[30:31], v[38:39], v[42:45]
	v_cvt_pkrtz_f16_f32 v49, v46, v47
	s_waitcnt vmcnt(5)
	v_cvt_pk_f32_fp8_sdwa v[66:67], v12 src0_sel:WORD_1
	s_waitcnt vmcnt(4)
	v_cvt_pk_f32_fp8_sdwa v[68:69], v4 src0_sel:WORD_1
	v_cvt_pk_f32_fp8_e32 v[42:43], v22
	v_mfma_f32_16x16x16_f16 v[46:49], v[48:49], v[40:41], v[30:33]
	s_waitcnt vmcnt(3)
	v_cvt_pk_f32_fp8_sdwa v[70:71], v28 src0_sel:WORD_1
	s_load_dword s4, s[42:43], 0x0
	v_cvt_pk_f32_fp8_sdwa v[30:31], v22 src0_sel:WORD_1
	v_cvt_pk_f32_fp8_e32 v[32:33], v23
	v_cvt_pkrtz_f16_f32 v22, v42, v43
	v_cvt_pk_f32_fp8_sdwa v[42:43], v23 src0_sel:WORD_1
	v_cvt_pkrtz_f16_f32 v23, v30, v31
	v_cvt_pkrtz_f16_f32 v52, v32, v33
	ds_read_b128 v[30:33], v50 offset:2048
	v_cvt_pkrtz_f16_f32 v53, v42, v43
	ds_read_b128 v[42:45], v50 offset:2064
	s_waitcnt lgkmcnt(0)
	v_mfma_f32_16x16x16_f16 v[46:49], v[22:23], v[30:31], v[46:49]
	v_cvt_pkrtz_f16_f32 v22, v58, v59
	v_cvt_pkrtz_f16_f32 v23, v62, v63
	v_cvt_pk_f32_fp8_e32 v[58:59], v25
	v_mfma_f32_16x16x16_f16 v[46:49], v[52:53], v[32:33], v[46:49]
	v_cvt_pk_f32_fp8_sdwa v[52:53], v25 src0_sel:WORD_1
	v_cmp_gt_u32_e32 vcc, 64, v0
	v_cvt_pkrtz_f16_f32 v58, v58, v59
	v_mfma_f32_16x16x16_f16 v[22:25], v[22:23], v[42:43], v[46:49]
	v_cvt_pkrtz_f16_f32 v59, v52, v53
	s_mov_b32 s3, 0
	s_nop 0
	v_cvt_pk_f32_fp8_e32 v[46:47], v10
	v_mfma_f32_16x16x16_f16 v[62:65], v[58:59], v[44:45], v[22:25]
	v_cvt_pk_f32_fp8_e32 v[58:59], v12
	s_nop 1
	v_cvt_pk_f32_fp8_sdwa v[22:23], v10 src0_sel:WORD_1
	v_cvt_pk_f32_fp8_e32 v[24:25], v11
	v_cvt_pkrtz_f16_f32 v10, v46, v47
	v_cvt_pk_f32_fp8_sdwa v[46:47], v11 src0_sel:WORD_1
	v_cvt_pkrtz_f16_f32 v11, v22, v23
	v_cvt_pkrtz_f16_f32 v52, v24, v25
	ds_read_b128 v[22:25], v50 offset:4096
	v_cvt_pkrtz_f16_f32 v53, v46, v47
	ds_read_b128 v[46:49], v50 offset:4112
	s_waitcnt lgkmcnt(1)
	v_mfma_f32_16x16x16_f16 v[62:65], v[10:11], v[22:23], v[62:65]
	v_cvt_pkrtz_f16_f32 v10, v58, v59
	v_cvt_pkrtz_f16_f32 v11, v66, v67
	v_cvt_pk_f32_fp8_e32 v[58:59], v13
	v_mfma_f32_16x16x16_f16 v[62:65], v[52:53], v[24:25], v[62:65]
	v_cvt_pk_f32_fp8_sdwa v[52:53], v13 src0_sel:WORD_1
	v_cvt_pk_f32_fp8_e32 v[66:67], v4
	v_cvt_pkrtz_f16_f32 v58, v58, v59
	s_waitcnt lgkmcnt(0)
	v_mfma_f32_16x16x16_f16 v[10:13], v[10:11], v[46:47], v[62:65]
	v_cvt_pkrtz_f16_f32 v59, v52, v53
	v_cvt_pk_f32_fp8_e32 v[52:53], v2
	s_nop 0
	v_mfma_f32_16x16x16_f16 v[62:65], v[58:59], v[48:49], v[10:13]
	s_nop 2
	v_cvt_pk_f32_fp8_sdwa v[10:11], v2 src0_sel:WORD_1
	v_cvt_pk_f32_fp8_e32 v[12:13], v3
	v_cvt_pkrtz_f16_f32 v2, v52, v53
	v_cvt_pk_f32_fp8_sdwa v[52:53], v3 src0_sel:WORD_1
	v_cvt_pkrtz_f16_f32 v3, v10, v11
	v_cvt_pkrtz_f16_f32 v58, v12, v13
	ds_read_b128 v[10:13], v50 offset:6144
	v_cvt_pkrtz_f16_f32 v59, v52, v53
	s_waitcnt lgkmcnt(0)
	v_mfma_f32_16x16x16_f16 v[62:65], v[2:3], v[10:11], v[62:65]
	ds_read_b128 v[50:53], v50 offset:6160
	v_cvt_pkrtz_f16_f32 v2, v66, v67
	v_cvt_pkrtz_f16_f32 v3, v68, v69
	v_cvt_pk_f32_fp8_e32 v[66:67], v5
	v_mfma_f32_16x16x16_f16 v[62:65], v[58:59], v[12:13], v[62:65]
	v_cvt_pk_f32_fp8_sdwa v[58:59], v5 src0_sel:WORD_1
	v_cvt_pk_f32_fp8_e32 v[68:69], v28
	v_cvt_pkrtz_f16_f32 v66, v66, v67
	s_waitcnt lgkmcnt(0)
	v_mfma_f32_16x16x16_f16 v[2:5], v[2:3], v[50:51], v[62:65]
	v_cvt_pkrtz_f16_f32 v67, v58, v59
	v_cvt_pk_f32_fp8_e32 v[58:59], v26
	s_nop 0
	v_cvt_pk_f32_fp8_sdwa v[62:63], v26 src0_sel:WORD_1
	v_cvt_pk_f32_fp8_e32 v[64:65], v27
	v_cvt_pkrtz_f16_f32 v58, v58, v59
	v_cvt_pk_f32_fp8_sdwa v[26:27], v27 src0_sel:WORD_1
	v_cvt_pkrtz_f16_f32 v59, v62, v63
	v_mfma_f32_16x16x16_f16 v[2:5], v[66:67], v[52:53], v[2:5]
	v_cvt_pkrtz_f16_f32 v66, v64, v65
	v_cvt_pkrtz_f16_f32 v67, v26, v27
	;; [unrolled: 1-line block ×3, first 2 shown]
	v_mfma_f32_16x16x16_f16 v[62:65], v[58:59], v[34:35], 0
	v_cvt_pkrtz_f16_f32 v27, v70, v71
	v_cvt_pk_f32_fp8_e32 v[58:59], v29
	s_barrier
	v_mfma_f32_16x16x16_f16 v[34:37], v[66:67], v[36:37], v[62:65]
	v_cvt_pkrtz_f16_f32 v58, v58, v59
	s_nop 1
	v_cvt_pk_f32_fp8_sdwa v[62:63], v29 src0_sel:WORD_1
	v_mfma_f32_16x16x16_f16 v[26:29], v[26:27], v[38:39], v[34:37]
	s_waitcnt vmcnt(2)
	v_cvt_pk_f32_fp8_e32 v[38:39], v19
	v_cvt_pkrtz_f16_f32 v59, v62, v63
	v_cvt_pk_f32_fp8_e32 v[34:35], v18
	v_cvt_pk_f32_fp8_sdwa v[36:37], v18 src0_sel:WORD_1
	v_cvt_pk_f32_fp8_sdwa v[18:19], v19 src0_sel:WORD_1
	v_mfma_f32_16x16x16_f16 v[26:29], v[58:59], v[40:41], v[26:29]
	v_cvt_pkrtz_f16_f32 v34, v34, v35
	v_cvt_pkrtz_f16_f32 v35, v36, v37
	;; [unrolled: 1-line block ×3, first 2 shown]
	v_cvt_pk_f32_fp8_e32 v[38:39], v20
	v_cvt_pk_f32_fp8_sdwa v[40:41], v20 src0_sel:WORD_1
	v_cvt_pkrtz_f16_f32 v37, v18, v19
	v_mfma_f32_16x16x16_f16 v[26:29], v[34:35], v[30:31], v[26:29]
	v_cvt_pkrtz_f16_f32 v30, v38, v39
	v_cvt_pkrtz_f16_f32 v31, v40, v41
	v_cvt_pk_f32_fp8_e32 v[34:35], v21
	v_cvt_pk_f32_fp8_sdwa v[38:39], v21 src0_sel:WORD_1
	v_mfma_f32_16x16x16_f16 v[18:21], v[36:37], v[32:33], v[26:29]
	s_waitcnt vmcnt(1)
	v_cvt_pk_f32_fp8_sdwa v[32:33], v16 src0_sel:WORD_1
	s_nop 0
	v_cvt_pkrtz_f16_f32 v26, v34, v35
	v_cvt_pkrtz_f16_f32 v27, v38, v39
	v_mfma_f32_16x16x16_f16 v[18:21], v[30:31], v[42:43], v[18:21]
	v_cvt_pk_f32_fp8_e32 v[28:29], v14
	v_cvt_pk_f32_fp8_sdwa v[30:31], v14 src0_sel:WORD_1
	v_cvt_pkrtz_f16_f32 v28, v28, v29
	v_mfma_f32_16x16x16_f16 v[18:21], v[26:27], v[44:45], v[18:21]
	v_cvt_pk_f32_fp8_e32 v[26:27], v15
	v_cvt_pkrtz_f16_f32 v29, v30, v31
	v_cvt_pk_f32_fp8_sdwa v[14:15], v15 src0_sel:WORD_1
	v_cvt_pk_f32_fp8_e32 v[30:31], v16
	v_cvt_pkrtz_f16_f32 v26, v26, v27
	v_mfma_f32_16x16x16_f16 v[18:21], v[28:29], v[22:23], v[18:21]
	v_cvt_pkrtz_f16_f32 v27, v14, v15
	v_cvt_pkrtz_f16_f32 v22, v30, v31
	;; [unrolled: 1-line block ×3, first 2 shown]
	v_cvt_pk_f32_fp8_e32 v[28:29], v17
	v_cvt_pk_f32_fp8_sdwa v[30:31], v17 src0_sel:WORD_1
	v_mfma_f32_16x16x16_f16 v[14:17], v[26:27], v[24:25], v[18:21]
	s_waitcnt vmcnt(0)
	v_cvt_pk_f32_fp8_sdwa v[24:25], v6 src0_sel:WORD_1
	s_nop 0
	v_pk_mul_f32 v[18:19], v[4:5], s[4:5] op_sel_hi:[1,0]
	v_cvt_pkrtz_f16_f32 v4, v28, v29
	v_cvt_pkrtz_f16_f32 v5, v30, v31
	v_mfma_f32_16x16x16_f16 v[14:17], v[22:23], v[46:47], v[14:17]
	v_cvt_pk_f32_fp8_e32 v[22:23], v6
	v_pk_mul_f32 v[20:21], v[2:3], s[4:5] op_sel_hi:[1,0]
	v_mfma_f32_16x16x16_f16 v[2:5], v[4:5], v[48:49], v[14:17]
	s_nop 3
	v_cvt_pk_f32_fp8_e32 v[14:15], v7
	v_cvt_pkrtz_f16_f32 v16, v22, v23
	v_cvt_pkrtz_f16_f32 v17, v24, v25
	v_cvt_pk_f32_fp8_sdwa v[6:7], v7 src0_sel:WORD_1
	v_cvt_pkrtz_f16_f32 v14, v14, v15
	v_cvt_pk_f32_fp8_e32 v[22:23], v8
	v_cvt_pk_f32_fp8_sdwa v[24:25], v8 src0_sel:WORD_1
	v_cvt_pkrtz_f16_f32 v15, v6, v7
	v_mfma_f32_16x16x16_f16 v[2:5], v[16:17], v[10:11], v[2:5]
	v_cvt_pkrtz_f16_f32 v6, v22, v23
	v_cvt_pkrtz_f16_f32 v7, v24, v25
	v_cvt_pk_f32_fp8_e32 v[10:11], v9
	v_cvt_pk_f32_fp8_sdwa v[8:9], v9 src0_sel:WORD_1
	v_mfma_f32_16x16x16_f16 v[2:5], v[14:15], v[12:13], v[2:5]
	v_cvt_f16_f32_e32 v12, v20
	v_cvt_pkrtz_f16_f32 v10, v10, v11
	v_cvt_pkrtz_f16_f32 v11, v8, v9
	v_mfma_f32_16x16x16_f16 v[2:5], v[6:7], v[50:51], v[2:5]
	v_cvt_f16_f32_e32 v6, v21
	v_cvt_f16_f32_e32 v7, v18
	;; [unrolled: 1-line block ×3, first 2 shown]
	v_mfma_f32_16x16x16_f16 v[2:5], v[10:11], v[52:53], v[2:5]
	s_nop 6
	v_pk_mul_f32 v[4:5], v[4:5], s[4:5] op_sel_hi:[1,0]
	v_pk_mul_f32 v[2:3], v[2:3], s[4:5] op_sel_hi:[1,0]
	v_cvt_f16_f32_e32 v11, v4
	v_cvt_f16_f32_e32 v9, v2
	;; [unrolled: 1-line block ×4, first 2 shown]
	v_cmp_ne_u32_e64 s[4:5], 3, v60
	v_pack_b32_f16 v2, v12, v6
	v_pack_b32_f16 v3, v7, v8
	;; [unrolled: 1-line block ×4, first 2 shown]
	s_and_b64 s[4:5], vcc, s[4:5]
	ds_write2st64_b64 v55, v[2:3], v[4:5] offset1:1
	s_waitcnt lgkmcnt(0)
	s_barrier
	s_and_saveexec_b64 s[8:9], s[4:5]
	s_cbranch_execz .LBB1086_17
; %bb.16:
	s_load_dwordx2 s[0:1], s[0:1], 0x68
	s_mul_i32 s2, s7, s2
	s_lshl_b32 s6, s6, 7
	v_lshlrev_b32_e32 v4, 6, v56
	s_mul_hi_u32 s5, s2, s6
	s_mul_i32 s4, s2, s6
	v_lshl_or_b32 v0, v0, 10, v4
	s_lshl_b64 s[4:5], s[4:5], 1
	v_lshlrev_b32_e32 v2, 5, v60
	v_and_b32_e32 v3, 16, v61
	v_and_b32_e32 v0, 0x1a00, v0
	s_waitcnt lgkmcnt(0)
	s_add_u32 s4, s0, s4
	v_or3_b32 v0, v0, v2, v3
	s_addc_u32 s5, s1, s5
	s_lshl_b32 s2, s22, 7
	ds_read_b128 v[2:5], v0
	s_lshl_b64 s[0:1], s[2:3], 1
	s_add_u32 s0, s4, s0
	s_addc_u32 s1, s5, s1
	v_mad_u64_u32 v[0:1], s[2:3], s6, v1, 0
	v_lshl_add_u64 v[0:1], v[0:1], 1, s[0:1]
	v_mov_b32_e32 v55, 0
	v_lshl_add_u64 v[0:1], v[0:1], 0, v[54:55]
	s_waitcnt lgkmcnt(0)
	global_store_dwordx4 v[0:1], v[2:5], off
.LBB1086_17:
	s_endpgm
	.section	.rodata,"a",@progbits
	.p2align	6, 0x0
	.amdhsa_kernel _Z39paged_attention_ll4mi_QKV_mfma16_kernelIDF16_hLN4vllm18Fp8KVCacheDataTypeE1EDF16_Li32ELi128ELi256ELb0ELi3EEvPKT_PKT0_S7_ifPKiS9_S9_iPKfiiiPfSC_PS2_PT2_iSB_SB_
		.amdhsa_group_segment_fixed_size 8192
		.amdhsa_private_segment_fixed_size 0
		.amdhsa_kernarg_size 400
		.amdhsa_user_sgpr_count 2
		.amdhsa_user_sgpr_dispatch_ptr 0
		.amdhsa_user_sgpr_queue_ptr 0
		.amdhsa_user_sgpr_kernarg_segment_ptr 1
		.amdhsa_user_sgpr_dispatch_id 0
		.amdhsa_user_sgpr_kernarg_preload_length 0
		.amdhsa_user_sgpr_kernarg_preload_offset 0
		.amdhsa_user_sgpr_private_segment_size 0
		.amdhsa_uses_dynamic_stack 0
		.amdhsa_enable_private_segment 0
		.amdhsa_system_sgpr_workgroup_id_x 1
		.amdhsa_system_sgpr_workgroup_id_y 1
		.amdhsa_system_sgpr_workgroup_id_z 1
		.amdhsa_system_sgpr_workgroup_info 0
		.amdhsa_system_vgpr_workitem_id 0
		.amdhsa_next_free_vgpr 82
		.amdhsa_next_free_sgpr 50
		.amdhsa_accum_offset 84
		.amdhsa_reserve_vcc 1
		.amdhsa_float_round_mode_32 0
		.amdhsa_float_round_mode_16_64 0
		.amdhsa_float_denorm_mode_32 3
		.amdhsa_float_denorm_mode_16_64 3
		.amdhsa_dx10_clamp 1
		.amdhsa_ieee_mode 1
		.amdhsa_fp16_overflow 0
		.amdhsa_tg_split 0
		.amdhsa_exception_fp_ieee_invalid_op 0
		.amdhsa_exception_fp_denorm_src 0
		.amdhsa_exception_fp_ieee_div_zero 0
		.amdhsa_exception_fp_ieee_overflow 0
		.amdhsa_exception_fp_ieee_underflow 0
		.amdhsa_exception_fp_ieee_inexact 0
		.amdhsa_exception_int_div_zero 0
	.end_amdhsa_kernel
	.section	.text._Z39paged_attention_ll4mi_QKV_mfma16_kernelIDF16_hLN4vllm18Fp8KVCacheDataTypeE1EDF16_Li32ELi128ELi256ELb0ELi3EEvPKT_PKT0_S7_ifPKiS9_S9_iPKfiiiPfSC_PS2_PT2_iSB_SB_,"axG",@progbits,_Z39paged_attention_ll4mi_QKV_mfma16_kernelIDF16_hLN4vllm18Fp8KVCacheDataTypeE1EDF16_Li32ELi128ELi256ELb0ELi3EEvPKT_PKT0_S7_ifPKiS9_S9_iPKfiiiPfSC_PS2_PT2_iSB_SB_,comdat
.Lfunc_end1086:
	.size	_Z39paged_attention_ll4mi_QKV_mfma16_kernelIDF16_hLN4vllm18Fp8KVCacheDataTypeE1EDF16_Li32ELi128ELi256ELb0ELi3EEvPKT_PKT0_S7_ifPKiS9_S9_iPKfiiiPfSC_PS2_PT2_iSB_SB_, .Lfunc_end1086-_Z39paged_attention_ll4mi_QKV_mfma16_kernelIDF16_hLN4vllm18Fp8KVCacheDataTypeE1EDF16_Li32ELi128ELi256ELb0ELi3EEvPKT_PKT0_S7_ifPKiS9_S9_iPKfiiiPfSC_PS2_PT2_iSB_SB_
                                        ; -- End function
	.section	.AMDGPU.csdata,"",@progbits
; Kernel info:
; codeLenInByte = 6028
; NumSgprs: 56
; NumVgprs: 82
; NumAgprs: 0
; TotalNumVgprs: 82
; ScratchSize: 0
; MemoryBound: 0
; FloatMode: 240
; IeeeMode: 1
; LDSByteSize: 8192 bytes/workgroup (compile time only)
; SGPRBlocks: 6
; VGPRBlocks: 10
; NumSGPRsForWavesPerEU: 56
; NumVGPRsForWavesPerEU: 82
; AccumOffset: 84
; Occupancy: 5
; WaveLimiterHint : 1
; COMPUTE_PGM_RSRC2:SCRATCH_EN: 0
; COMPUTE_PGM_RSRC2:USER_SGPR: 2
; COMPUTE_PGM_RSRC2:TRAP_HANDLER: 0
; COMPUTE_PGM_RSRC2:TGID_X_EN: 1
; COMPUTE_PGM_RSRC2:TGID_Y_EN: 1
; COMPUTE_PGM_RSRC2:TGID_Z_EN: 1
; COMPUTE_PGM_RSRC2:TIDIG_COMP_CNT: 0
; COMPUTE_PGM_RSRC3_GFX90A:ACCUM_OFFSET: 20
; COMPUTE_PGM_RSRC3_GFX90A:TG_SPLIT: 0
	.section	.text._Z39paged_attention_ll4mi_QKV_mfma16_kernelIDF16_hLN4vllm18Fp8KVCacheDataTypeE1EDF16_Li32ELi128ELi256ELb0ELi4EEvPKT_PKT0_S7_ifPKiS9_S9_iPKfiiiPfSC_PS2_PT2_iSB_SB_,"axG",@progbits,_Z39paged_attention_ll4mi_QKV_mfma16_kernelIDF16_hLN4vllm18Fp8KVCacheDataTypeE1EDF16_Li32ELi128ELi256ELb0ELi4EEvPKT_PKT0_S7_ifPKiS9_S9_iPKfiiiPfSC_PS2_PT2_iSB_SB_,comdat
	.protected	_Z39paged_attention_ll4mi_QKV_mfma16_kernelIDF16_hLN4vllm18Fp8KVCacheDataTypeE1EDF16_Li32ELi128ELi256ELb0ELi4EEvPKT_PKT0_S7_ifPKiS9_S9_iPKfiiiPfSC_PS2_PT2_iSB_SB_ ; -- Begin function _Z39paged_attention_ll4mi_QKV_mfma16_kernelIDF16_hLN4vllm18Fp8KVCacheDataTypeE1EDF16_Li32ELi128ELi256ELb0ELi4EEvPKT_PKT0_S7_ifPKiS9_S9_iPKfiiiPfSC_PS2_PT2_iSB_SB_
	.globl	_Z39paged_attention_ll4mi_QKV_mfma16_kernelIDF16_hLN4vllm18Fp8KVCacheDataTypeE1EDF16_Li32ELi128ELi256ELb0ELi4EEvPKT_PKT0_S7_ifPKiS9_S9_iPKfiiiPfSC_PS2_PT2_iSB_SB_
	.p2align	8
	.type	_Z39paged_attention_ll4mi_QKV_mfma16_kernelIDF16_hLN4vllm18Fp8KVCacheDataTypeE1EDF16_Li32ELi128ELi256ELb0ELi4EEvPKT_PKT0_S7_ifPKiS9_S9_iPKfiiiPfSC_PS2_PT2_iSB_SB_,@function
_Z39paged_attention_ll4mi_QKV_mfma16_kernelIDF16_hLN4vllm18Fp8KVCacheDataTypeE1EDF16_Li32ELi128ELi256ELb0ELi4EEvPKT_PKT0_S7_ifPKiS9_S9_iPKfiiiPfSC_PS2_PT2_iSB_SB_: ; @_Z39paged_attention_ll4mi_QKV_mfma16_kernelIDF16_hLN4vllm18Fp8KVCacheDataTypeE1EDF16_Li32ELi128ELi256ELb0ELi4EEvPKT_PKT0_S7_ifPKiS9_S9_iPKfiiiPfSC_PS2_PT2_iSB_SB_
; %bb.0:
	s_load_dwordx2 s[12:13], s[0:1], 0x30
	s_mov_b32 s24, s3
	s_mov_b64 s[6:7], 0
	s_waitcnt lgkmcnt(0)
	s_cmp_lg_u64 s[12:13], 0
	s_cselect_b64 s[14:15], -1, 0
	s_and_b64 vcc, exec, s[14:15]
	s_cbranch_vccz .LBB1087_7
; %bb.1:
	s_add_i32 s8, s2, 1
	s_mov_b32 s9, 0
	s_lshl_b64 s[10:11], s[8:9], 2
	s_add_u32 s10, s12, s10
	s_mov_b32 s3, s9
	s_addc_u32 s11, s13, s11
	s_lshl_b64 s[8:9], s[2:3], 2
	s_add_u32 s8, s12, s8
	s_addc_u32 s9, s13, s9
	s_load_dword s5, s[10:11], 0x0
	s_load_dword s16, s[8:9], 0x0
	s_waitcnt lgkmcnt(0)
	s_sub_i32 s5, s5, s16
	s_cmp_eq_u32 s5, 1
	s_cselect_b64 s[8:9], -1, 0
	s_andn2_b64 vcc, exec, s[6:7]
	s_cbranch_vccnz .LBB1087_3
.LBB1087_2:
	s_mov_b32 s3, 0
	s_mov_b64 s[8:9], -1
.LBB1087_3:
	s_andn2_b64 vcc, exec, s[8:9]
	s_cbranch_vccnz .LBB1087_17
; %bb.4:
	s_load_dwordx2 s[6:7], s[0:1], 0x28
	s_lshl_b64 s[16:17], s[2:3], 2
	s_waitcnt lgkmcnt(0)
	s_add_u32 s6, s6, s16
	s_addc_u32 s7, s7, s17
	s_load_dword s48, s[6:7], 0x0
	s_lshl_b32 s18, s24, 8
	s_waitcnt lgkmcnt(0)
	s_cmp_ge_i32 s18, s48
	s_cbranch_scc1 .LBB1087_17
; %bb.5:
	s_load_dwordx2 s[6:7], s[0:1], 0x20
	s_load_dword s8, s[0:1], 0x38
	s_add_i32 s5, s48, 31
	s_ashr_i32 s9, s5, 31
	v_and_b32_e32 v1, 0xcf, v0
	s_lshr_b32 s9, s9, 27
	v_add_u32_e32 v1, s18, v1
	s_add_i32 s5, s5, s9
	v_ashrrev_i32_e32 v2, 31, v1
	s_ashr_i32 s5, s5, 5
	v_lshrrev_b32_e32 v10, 27, v2
	s_add_i32 s5, s5, -1
	s_waitcnt lgkmcnt(0)
	s_mul_i32 s8, s2, s8
	s_mov_b32 s9, 0
	v_add_u32_e32 v2, v1, v10
	s_lshl_b64 s[8:9], s[8:9], 2
	v_ashrrev_i32_e32 v2, 5, v2
	v_mov_b32_e32 v11, s5
	v_cmp_gt_i32_e32 vcc, s48, v1
	s_add_u32 s6, s6, s8
	s_addc_u32 s7, s7, s9
	v_cndmask_b32_e32 v2, v11, v2, vcc
	v_ashrrev_i32_e32 v3, 31, v2
	v_lshl_add_u64 v[4:5], v[2:3], 2, s[6:7]
	v_or_b32_e32 v2, 16, v1
	v_add_u32_e32 v3, v2, v10
	v_ashrrev_i32_e32 v3, 5, v3
	v_cmp_gt_i32_e32 vcc, s48, v2
	s_load_dwordx4 s[8:11], s[0:1], 0x8
	s_nop 0
	v_cndmask_b32_e32 v2, v11, v3, vcc
	v_ashrrev_i32_e32 v3, 31, v2
	v_lshl_add_u64 v[6:7], v[2:3], 2, s[6:7]
	v_or_b32_e32 v2, 32, v1
	v_add_u32_e32 v3, v2, v10
	v_ashrrev_i32_e32 v3, 5, v3
	v_cmp_gt_i32_e32 vcc, s48, v2
	v_or_b32_e32 v1, 48, v1
	s_nop 0
	v_cndmask_b32_e32 v2, v11, v3, vcc
	v_ashrrev_i32_e32 v3, 31, v2
	v_lshl_add_u64 v[8:9], v[2:3], 2, s[6:7]
	v_add_u32_e32 v2, v1, v10
	v_ashrrev_i32_e32 v2, 5, v2
	v_cmp_gt_i32_e32 vcc, s48, v1
	s_nop 1
	v_cndmask_b32_e32 v2, v11, v2, vcc
	v_ashrrev_i32_e32 v3, 31, v2
	v_lshl_add_u64 v[10:11], v[2:3], 2, s[6:7]
	global_load_dword v2, v[4:5], off
	global_load_dword v32, v[6:7], off
	;; [unrolled: 1-line block ×4, first 2 shown]
	s_andn2_b64 vcc, exec, s[14:15]
	s_cbranch_vccnz .LBB1087_8
; %bb.6:
	s_add_u32 s12, s12, s16
	s_addc_u32 s13, s13, s17
	s_load_dword s14, s[12:13], 0x0
	s_branch .LBB1087_9
.LBB1087_7:
	s_mov_b64 s[8:9], 0
	s_branch .LBB1087_2
.LBB1087_8:
	s_mov_b32 s14, s2
.LBB1087_9:
	s_load_dwordx4 s[44:47], s[0:1], 0x48
	v_and_b32_e32 v60, 15, v0
	v_bfe_u32 v63, v0, 4, 2
	s_lshl_b32 s25, s4, 2
	v_lshlrev_b32_e32 v3, 3, v60
	v_lshrrev_b32_e32 v64, 6, v0
	v_and_b32_e32 v65, 63, v0
	v_or_b32_e32 v1, s25, v63
	v_cmp_gt_u32_e64 s[26:27], 64, v0
	v_lshlrev_b32_e32 v54, 1, v3
	v_lshlrev_b32_e32 v61, 5, v63
	;; [unrolled: 1-line block ×3, first 2 shown]
	s_and_saveexec_b64 s[12:13], s[26:27]
	s_cbranch_execz .LBB1087_11
; %bb.10:
	s_load_dwordx2 s[16:17], s[0:1], 0x0
	s_waitcnt lgkmcnt(0)
	s_ashr_i32 s15, s44, 31
	s_mul_hi_u32 s19, s14, s44
	s_mul_i32 s15, s14, s15
	s_add_i32 s15, s19, s15
	s_mul_i32 s14, s14, s44
	s_lshl_b64 s[14:15], s[14:15], 1
	s_add_u32 s14, s16, s14
	v_lshlrev_b32_e32 v4, 7, v1
	s_addc_u32 s15, s17, s15
	v_ashrrev_i32_e32 v5, 31, v4
	v_lshl_add_u64 v[4:5], v[4:5], 1, s[14:15]
	v_mov_b32_e32 v55, 0
	v_lshl_add_u64 v[4:5], v[4:5], 0, v[54:55]
	global_load_dwordx4 v[4:7], v[4:5], off
	v_lshlrev_b32_e32 v8, 8, v0
	v_lshlrev_b32_e32 v3, 8, v60
	v_and_b32_e32 v8, 0x600, v8
	s_movk_i32 s14, 0x800
	v_and_or_b32 v3, v3, s14, v8
	v_lshl_or_b32 v8, v64, 7, v61
	v_and_b32_e32 v9, 16, v62
	v_or3_b32 v3, v3, v8, v9
	s_waitcnt vmcnt(0)
	ds_write_b128 v3, v[4:7]
.LBB1087_11:
	s_or_b64 exec, exec, s[12:13]
	s_waitcnt lgkmcnt(0)
	s_mul_i32 s12, s4, s46
	s_add_u32 s8, s8, s12
	s_addc_u32 s9, s9, 0
	v_mov_b32_e32 v57, 0
	v_mov_b64_e32 v[24:25], s[8:9]
	v_and_b32_e32 v8, 48, v0
	s_waitcnt vmcnt(3)
	v_mad_i64_i32 v[2:3], s[8:9], v2, s45, v[24:25]
	v_lshlrev_b32_e32 v22, 4, v60
	v_mov_b32_e32 v23, v57
	v_lshlrev_b32_e32 v56, 5, v8
	v_lshl_add_u64 v[2:3], v[2:3], 0, v[22:23]
	v_lshl_add_u64 v[6:7], v[2:3], 0, v[56:57]
	s_load_dword s33, s[0:1], 0x98
	s_load_dwordx4 s[40:43], s[0:1], 0x80
	s_waitcnt lgkmcnt(0)
	s_barrier
	global_load_dwordx4 v[10:13], v[6:7], off
	global_load_dwordx4 v[2:5], v[6:7], off offset:2048
	s_ashr_i32 s4, s18, 31
	v_and_b32_e32 v6, 3, v0
	v_mov_b32_e32 v38, s5
	v_or_b32_e32 v34, 0x100, v22
	v_mov_b32_e32 v35, v57
	s_lshr_b32 s9, s4, 27
	s_waitcnt vmcnt(4)
	v_mad_i64_i32 v[32:33], s[4:5], v32, s45, v[24:25]
	v_lshlrev_b32_e32 v6, 5, v6
	s_waitcnt vmcnt(3)
	v_mad_i64_i32 v[36:37], s[4:5], v30, s45, v[24:25]
	s_waitcnt vmcnt(2)
	v_mad_i64_i32 v[24:25], s[4:5], v31, s45, v[24:25]
	v_lshl_add_u64 v[30:31], v[32:33], 0, v[34:35]
	v_lshl_or_b32 v6, v63, 9, v6
	v_lshl_add_u64 v[30:31], v[30:31], 0, v[56:57]
	v_or_b32_e32 v39, s18, v8
	ds_read_b128 v[26:29], v6
	ds_read_b128 v[18:21], v6 offset:16
	ds_read_b128 v[14:17], v6 offset:2048
	;; [unrolled: 1-line block ×3, first 2 shown]
	global_load_dwordx4 v[50:53], v[30:31], off
	v_or_b32_e32 v40, 64, v39
	v_add_u32_e32 v32, s9, v39
	v_or_b32_e32 v41, 0x80, v39
	v_add_u32_e32 v33, s9, v40
	v_ashrrev_i32_e32 v32, 5, v32
	v_cmp_gt_i32_e32 vcc, s48, v39
	v_or_b32_e32 v42, 0xc0, v39
	v_add_u32_e32 v43, s9, v41
	v_ashrrev_i32_e32 v33, 5, v33
	v_cndmask_b32_e32 v46, v38, v32, vcc
	v_cmp_gt_i32_e32 vcc, s48, v40
	v_add_u32_e32 v44, s9, v42
	v_lshl_add_u64 v[22:23], v[36:37], 0, v[22:23]
	v_lshl_add_u64 v[24:25], v[24:25], 0, v[34:35]
	v_ashrrev_i32_e32 v43, 5, v43
	v_cndmask_b32_e32 v48, v38, v33, vcc
	v_cmp_gt_i32_e32 vcc, s48, v41
	v_ashrrev_i32_e32 v44, 5, v44
	v_lshl_add_u64 v[34:35], v[22:23], 0, v[56:57]
	v_lshl_add_u64 v[36:37], v[24:25], 0, v[56:57]
	v_cndmask_b32_e32 v58, v38, v43, vcc
	v_cmp_gt_i32_e32 vcc, s48, v42
	v_ashrrev_i32_e32 v47, 31, v46
	v_ashrrev_i32_e32 v49, 31, v48
	v_cndmask_b32_e32 v66, v38, v44, vcc
	global_load_dwordx4 v[30:33], v[30:31], off offset:2048
	s_nop 0
	global_load_dwordx4 v[22:25], v[34:35], off
	global_load_dwordx4 v[42:45], v[34:35], off offset:2048
	global_load_dwordx4 v[38:41], v[36:37], off
	s_nop 0
	global_load_dwordx4 v[34:37], v[36:37], off offset:2048
	v_ashrrev_i32_e32 v59, 31, v58
	v_ashrrev_i32_e32 v67, 31, v66
	v_lshl_add_u64 v[46:47], v[46:47], 2, s[6:7]
	v_lshl_add_u64 v[48:49], v[48:49], 2, s[6:7]
	;; [unrolled: 1-line block ×4, first 2 shown]
	global_load_dword v69, v[46:47], off
	global_load_dword v67, v[48:49], off
	;; [unrolled: 1-line block ×4, first 2 shown]
	s_add_u32 s4, s10, s12
	s_addc_u32 s5, s11, 0
	v_and_b32_e32 v56, 16, v0
	v_lshl_or_b32 v68, v64, 4, v60
	s_load_dword s8, s[0:1], 0x1c
	s_mov_b32 s44, 0xff7fffff
	s_waitcnt vmcnt(11)
	v_cvt_pk_f32_fp8_e32 v[46:47], v10
	v_cvt_pk_f32_fp8_sdwa v[48:49], v10 src0_sel:WORD_1
	v_cvt_pk_f32_fp8_e32 v[58:59], v11
	v_cvt_pk_f32_fp8_sdwa v[10:11], v11 src0_sel:WORD_1
	v_cvt_pkrtz_f16_f32 v46, v46, v47
	v_cvt_pkrtz_f16_f32 v47, v48, v49
	v_cvt_pk_f32_fp8_e32 v[70:71], v12
	v_cvt_pk_f32_fp8_sdwa v[72:73], v12 src0_sel:WORD_1
	v_cvt_pkrtz_f16_f32 v58, v58, v59
	v_cvt_pkrtz_f16_f32 v59, v10, v11
	v_cvt_pk_f32_fp8_e32 v[48:49], v13
	v_cvt_pk_f32_fp8_sdwa v[74:75], v13 src0_sel:WORD_1
	s_waitcnt lgkmcnt(0)
	v_mfma_f32_16x16x16_f16 v[10:13], v[46:47], v[26:27], 0
	v_cvt_pkrtz_f16_f32 v70, v70, v71
	v_cvt_pkrtz_f16_f32 v71, v72, v73
	s_waitcnt vmcnt(10)
	v_cvt_pk_f32_fp8_e32 v[46:47], v2
	v_mfma_f32_16x16x16_f16 v[10:13], v[58:59], v[28:29], v[10:13]
	v_cvt_pk_f32_fp8_sdwa v[58:59], v2 src0_sel:WORD_1
	v_cvt_pkrtz_f16_f32 v48, v48, v49
	v_cvt_pkrtz_f16_f32 v49, v74, v75
	v_mfma_f32_16x16x16_f16 v[10:13], v[70:71], v[18:19], v[10:13]
	v_cvt_pk_f32_fp8_e32 v[70:71], v3
	v_cvt_pkrtz_f16_f32 v46, v46, v47
	v_cvt_pkrtz_f16_f32 v47, v58, v59
	v_cvt_pk_f32_fp8_sdwa v[2:3], v3 src0_sel:WORD_1
	v_mfma_f32_16x16x16_f16 v[10:13], v[48:49], v[20:21], v[10:13]
	v_cvt_pkrtz_f16_f32 v48, v70, v71
	v_cvt_pk_f32_fp8_e32 v[58:59], v4
	v_cvt_pk_f32_fp8_sdwa v[70:71], v4 src0_sel:WORD_1
	v_cvt_pkrtz_f16_f32 v49, v2, v3
	v_mfma_f32_16x16x16_f16 v[10:13], v[46:47], v[14:15], v[10:13]
	v_cvt_pkrtz_f16_f32 v46, v58, v59
	v_cvt_pkrtz_f16_f32 v47, v70, v71
	v_cvt_pk_f32_fp8_e32 v[58:59], v5
	v_cvt_pk_f32_fp8_sdwa v[70:71], v5 src0_sel:WORD_1
	v_mfma_f32_16x16x16_f16 v[2:5], v[48:49], v[16:17], v[10:13]
	s_waitcnt vmcnt(7)
	v_cvt_pk_f32_fp8_e32 v[74:75], v25
	s_nop 0
	v_cvt_pkrtz_f16_f32 v10, v58, v59
	v_cvt_pkrtz_f16_f32 v11, v70, v71
	v_mfma_f32_16x16x16_f16 v[2:5], v[46:47], v[6:7], v[2:5]
	v_cvt_pk_f32_fp8_e32 v[12:13], v50
	v_cvt_pk_f32_fp8_sdwa v[58:59], v50 src0_sel:WORD_1
	v_cvt_pk_f32_fp8_sdwa v[76:77], v25 src0_sel:WORD_1
	v_mfma_f32_16x16x16_f16 v[46:49], v[10:11], v[8:9], v[2:5]
	v_cvt_pk_f32_fp8_sdwa v[10:11], v51 src0_sel:WORD_1
	s_waitcnt vmcnt(6)
	v_cvt_pk_f32_fp8_sdwa v[80:81], v44 src0_sel:WORD_1
	v_cvt_pk_f32_fp8_e32 v[2:3], v51
	v_cvt_pkrtz_f16_f32 v4, v12, v13
	v_cvt_pkrtz_f16_f32 v5, v58, v59
	v_cvt_pk_f32_fp8_e32 v[50:51], v52
	v_cvt_pkrtz_f16_f32 v12, v2, v3
	v_cvt_pk_f32_fp8_sdwa v[58:59], v52 src0_sel:WORD_1
	v_cvt_pkrtz_f16_f32 v13, v10, v11
	v_mfma_f32_16x16x16_f16 v[2:5], v[4:5], v[26:27], 0
	v_cvt_pkrtz_f16_f32 v10, v50, v51
	v_cvt_pkrtz_f16_f32 v11, v58, v59
	v_cvt_pk_f32_fp8_e32 v[50:51], v53
	v_cvt_pk_f32_fp8_sdwa v[52:53], v53 src0_sel:WORD_1
	v_mfma_f32_16x16x16_f16 v[2:5], v[12:13], v[28:29], v[2:5]
	v_lshl_add_u64 v[58:59], s[4:5], 0, v[56:57]
	v_cvt_pkrtz_f16_f32 v12, v50, v51
	v_cvt_pkrtz_f16_f32 v13, v52, v53
	v_mfma_f32_16x16x16_f16 v[2:5], v[10:11], v[18:19], v[2:5]
	v_cvt_pk_f32_fp8_e32 v[10:11], v30
	v_cvt_pk_f32_fp8_sdwa v[50:51], v30 src0_sel:WORD_1
	v_cvt_pk_f32_fp8_sdwa v[52:53], v32 src0_sel:WORD_1
	v_mfma_f32_16x16x16_f16 v[2:5], v[12:13], v[20:21], v[2:5]
	v_cvt_pk_f32_fp8_e32 v[12:13], v31
	v_cvt_pkrtz_f16_f32 v10, v10, v11
	v_cvt_pkrtz_f16_f32 v11, v50, v51
	v_cvt_pk_f32_fp8_sdwa v[30:31], v31 src0_sel:WORD_1
	v_cvt_pkrtz_f16_f32 v12, v12, v13
	v_cvt_pk_f32_fp8_e32 v[50:51], v32
	v_mfma_f32_16x16x16_f16 v[2:5], v[10:11], v[14:15], v[2:5]
	v_cvt_pkrtz_f16_f32 v13, v30, v31
	v_cvt_pkrtz_f16_f32 v10, v50, v51
	;; [unrolled: 1-line block ×3, first 2 shown]
	v_cvt_pk_f32_fp8_e32 v[30:31], v33
	v_cvt_pk_f32_fp8_sdwa v[32:33], v33 src0_sel:WORD_1
	v_mfma_f32_16x16x16_f16 v[2:5], v[12:13], v[16:17], v[2:5]
	v_lshlrev_b32_e32 v56, 5, v68
	v_cvt_pkrtz_f16_f32 v12, v30, v31
	v_cvt_pkrtz_f16_f32 v13, v32, v33
	v_mfma_f32_16x16x16_f16 v[2:5], v[10:11], v[6:7], v[2:5]
	v_cvt_pk_f32_fp8_e32 v[10:11], v22
	v_cvt_pk_f32_fp8_sdwa v[30:31], v22 src0_sel:WORD_1
	v_lshl_add_u64 v[70:71], v[58:59], 0, v[56:57]
	v_mfma_f32_16x16x16_f16 v[50:53], v[12:13], v[8:9], v[2:5]
	s_waitcnt vmcnt(3)
	v_mad_i64_i32 v[12:13], s[4:5], v69, s45, v[70:71]
	s_waitcnt vmcnt(2)
	v_mad_i64_i32 v[72:73], s[4:5], v67, s45, v[70:71]
	v_cvt_pkrtz_f16_f32 v2, v10, v11
	v_cvt_pkrtz_f16_f32 v3, v30, v31
	v_cvt_pk_f32_fp8_e32 v[4:5], v23
	v_cvt_pk_f32_fp8_sdwa v[10:11], v23 src0_sel:WORD_1
	v_cvt_pk_f32_fp8_sdwa v[30:31], v24 src0_sel:WORD_1
	v_or_b32_e32 v56, 0x800, v56
	v_cvt_pkrtz_f16_f32 v22, v4, v5
	v_cvt_pkrtz_f16_f32 v23, v10, v11
	v_cvt_pk_f32_fp8_e32 v[10:11], v24
	v_mfma_f32_16x16x16_f16 v[2:5], v[2:3], v[26:27], 0
	v_cvt_pkrtz_f16_f32 v10, v10, v11
	v_cvt_pkrtz_f16_f32 v11, v30, v31
	v_mfma_f32_16x16x16_f16 v[2:5], v[22:23], v[28:29], v[2:5]
	global_load_dwordx4 v[30:33], v[12:13], off
	global_load_dwordx4 v[22:25], v[72:73], off
	v_cvt_pkrtz_f16_f32 v12, v74, v75
	v_cvt_pkrtz_f16_f32 v13, v76, v77
	v_mfma_f32_16x16x16_f16 v[2:5], v[10:11], v[18:19], v[2:5]
	v_cvt_pk_f32_fp8_e32 v[10:11], v42
	v_cvt_pk_f32_fp8_sdwa v[72:73], v42 src0_sel:WORD_1
	s_waitcnt vmcnt(3)
	v_mad_i64_i32 v[74:75], s[4:5], v55, s45, v[70:71]
	v_mfma_f32_16x16x16_f16 v[2:5], v[12:13], v[20:21], v[2:5]
	v_cvt_pkrtz_f16_f32 v10, v10, v11
	v_cvt_pkrtz_f16_f32 v11, v72, v73
	v_cvt_pk_f32_fp8_e32 v[12:13], v43
	v_cvt_pk_f32_fp8_sdwa v[42:43], v43 src0_sel:WORD_1
	s_waitcnt vmcnt(2)
	v_mad_i64_i32 v[76:77], s[4:5], v66, s45, v[70:71]
	v_cvt_pkrtz_f16_f32 v78, v12, v13
	v_cvt_pkrtz_f16_f32 v79, v42, v43
	v_cvt_pk_f32_fp8_e32 v[42:43], v44
	v_mfma_f32_16x16x16_f16 v[70:73], v[10:11], v[14:15], v[2:5]
	global_load_dwordx4 v[10:13], v[74:75], off
	s_nop 1
	global_load_dwordx4 v[2:5], v[76:77], off
	v_cvt_pkrtz_f16_f32 v75, v80, v81
	v_cvt_pkrtz_f16_f32 v74, v42, v43
	v_cvt_pk_f32_fp8_e32 v[76:77], v45
	v_cvt_pk_f32_fp8_sdwa v[44:45], v45 src0_sel:WORD_1
	v_mfma_f32_16x16x16_f16 v[70:73], v[78:79], v[16:17], v[70:73]
	v_lshl_add_u64 v[42:43], v[58:59], 0, v[56:57]
	v_cvt_pkrtz_f16_f32 v76, v76, v77
	v_cvt_pkrtz_f16_f32 v77, v44, v45
	v_mfma_f32_16x16x16_f16 v[56:59], v[74:75], v[6:7], v[70:73]
	v_cvt_pk_f32_fp8_e32 v[44:45], v38
	v_cvt_pk_f32_fp8_sdwa v[78:79], v40 src0_sel:WORD_1
	s_load_dword s4, s[40:41], 0x0
	v_cvt_pk_f32_fp8_sdwa v[70:71], v38 src0_sel:WORD_1
	v_cvt_pk_f32_fp8_e32 v[72:73], v39
	v_cvt_pkrtz_f16_f32 v44, v44, v45
	v_cvt_pk_f32_fp8_sdwa v[38:39], v39 src0_sel:WORD_1
	v_cvt_pkrtz_f16_f32 v45, v70, v71
	v_mfma_f32_16x16x16_f16 v[56:59], v[76:77], v[8:9], v[56:59]
	v_cvt_pkrtz_f16_f32 v74, v72, v73
	v_cvt_pk_f32_fp8_e32 v[76:77], v40
	v_cvt_pkrtz_f16_f32 v75, v38, v39
	v_mfma_f32_16x16x16_f16 v[70:73], v[44:45], v[26:27], 0
	v_cvt_pkrtz_f16_f32 v39, v78, v79
	v_cvt_pkrtz_f16_f32 v38, v76, v77
	v_cvt_pk_f32_fp8_e32 v[44:45], v41
	v_cvt_pk_f32_fp8_sdwa v[40:41], v41 src0_sel:WORD_1
	v_mfma_f32_16x16x16_f16 v[26:29], v[74:75], v[28:29], v[70:73]
	v_cvt_pkrtz_f16_f32 v44, v44, v45
	v_cvt_pkrtz_f16_f32 v45, v40, v41
	v_mfma_f32_16x16x16_f16 v[26:29], v[38:39], v[18:19], v[26:29]
	v_mov_b32_e32 v70, s8
	s_waitcnt lgkmcnt(0)
	v_mul_f32_e32 v40, s4, v70
	v_pk_mul_f32 v[38:39], v[40:41], v[48:49] op_sel_hi:[0,1]
	v_mfma_f32_16x16x16_f16 v[18:21], v[44:45], v[20:21], v[26:29]
	v_cvt_pk_f32_fp8_e32 v[44:45], v35
	v_pk_mul_f32 v[46:47], v[40:41], v[46:47] op_sel_hi:[0,1]
	v_pk_mul_f32 v[48:49], v[40:41], v[52:53] op_sel_hi:[0,1]
	v_cvt_pk_f32_fp8_e32 v[26:27], v34
	v_cvt_pk_f32_fp8_sdwa v[28:29], v34 src0_sel:WORD_1
	v_cvt_pk_f32_fp8_sdwa v[34:35], v35 src0_sel:WORD_1
	v_pk_mul_f32 v[52:53], v[40:41], v[50:51] op_sel_hi:[0,1]
	v_cvt_pkrtz_f16_f32 v26, v26, v27
	v_cvt_pkrtz_f16_f32 v27, v28, v29
	;; [unrolled: 1-line block ×4, first 2 shown]
	v_cvt_pk_f32_fp8_e32 v[34:35], v36
	v_cvt_pk_f32_fp8_sdwa v[44:45], v36 src0_sel:WORD_1
	v_mfma_f32_16x16x16_f16 v[18:21], v[26:27], v[14:15], v[18:21]
	v_pk_mul_f32 v[50:51], v[40:41], v[56:57] op_sel_hi:[0,1]
	v_cvt_pkrtz_f16_f32 v26, v34, v35
	v_cvt_pkrtz_f16_f32 v27, v44, v45
	v_cvt_pk_f32_fp8_e32 v[34:35], v37
	v_cvt_pk_f32_fp8_sdwa v[36:37], v37 src0_sel:WORD_1
	v_mfma_f32_16x16x16_f16 v[14:17], v[28:29], v[16:17], v[18:21]
	v_pk_mul_f32 v[44:45], v[40:41], v[58:59] op_sel_hi:[0,1]
	v_mad_i64_i32 v[70:71], s[4:5], v69, s45, v[42:43]
	s_nop 0
	v_cvt_pkrtz_f16_f32 v18, v34, v35
	v_cvt_pkrtz_f16_f32 v19, v36, v37
	v_mfma_f32_16x16x16_f16 v[14:17], v[26:27], v[6:7], v[14:17]
	s_nop 0
	v_mfma_f32_16x16x16_f16 v[6:9], v[18:19], v[8:9], v[14:17]
	s_nop 6
	v_pk_mul_f32 v[34:35], v[40:41], v[8:9] op_sel_hi:[0,1]
	v_pk_mul_f32 v[40:41], v[40:41], v[6:7] op_sel_hi:[0,1]
	v_and_b32_e32 v6, 0xc0, v0
	v_add_u32_e32 v6, s18, v6
	v_lshl_or_b32 v6, v63, 2, v6
	v_or_b32_e32 v9, 1, v6
	v_mov_b32_e32 v7, 0xff7fffff
	v_cmp_gt_i32_e64 s[4:5], s48, v6
	v_cmp_gt_i32_e64 s[28:29], s48, v9
	v_or_b32_e32 v14, 3, v6
	v_cndmask_b32_e64 v8, v7, v46, s[4:5]
	v_cndmask_b32_e64 v9, v7, v47, s[28:29]
	v_max3_f32 v8, v8, s44, v9
	v_or_b32_e32 v9, 2, v6
	v_cmp_gt_i32_e64 s[30:31], s48, v9
	v_cmp_gt_i32_e64 s[34:35], s48, v14
	s_nop 0
	v_cndmask_b32_e64 v9, v7, v38, s[30:31]
	v_cndmask_b32_e64 v14, v7, v39, s[34:35]
	v_max3_f32 v8, v8, v9, v14
	v_or_b32_e32 v9, 16, v6
	v_or_b32_e32 v14, 17, v6
	v_cmp_gt_i32_e64 s[36:37], s48, v9
	v_cmp_gt_i32_e64 s[38:39], s48, v14
	s_nop 0
	v_cndmask_b32_e64 v9, v7, v52, s[36:37]
	v_cndmask_b32_e64 v14, v7, v53, s[38:39]
	v_max3_f32 v8, v8, v9, v14
	v_or_b32_e32 v9, 18, v6
	;; [unrolled: 8-line block ×6, first 2 shown]
	v_or_b32_e32 v6, 51, v6
	v_cmp_gt_i32_e32 vcc, s48, v9
	v_cmp_gt_i32_e64 s[6:7], s48, v6
	s_nop 0
	v_cndmask_b32_e32 v9, v7, v34, vcc
	v_cndmask_b32_e64 v6, v7, v35, s[6:7]
	v_max3_f32 v8, v8, v9, v6
	v_mbcnt_lo_u32_b32 v6, -1, 0
	v_mbcnt_hi_u32_b32 v9, -1, v6
	v_and_b32_e32 v6, 64, v9
	v_add_u32_e32 v14, 64, v6
	v_xor_b32_e32 v6, 32, v9
	v_cmp_lt_i32_e64 s[40:41], v6, v14
	s_nop 1
	v_cndmask_b32_e64 v6, v9, v6, s[40:41]
	v_lshlrev_b32_e32 v56, 2, v6
	ds_bpermute_b32 v15, v56, v8
	v_mad_i64_i32 v[6:7], s[40:41], v67, s45, v[42:43]
	global_load_dwordx4 v[26:29], v[70:71], off
	global_load_dwordx4 v[18:21], v[6:7], off
	s_waitcnt lgkmcnt(0)
	v_max_f32_e32 v6, v15, v15
	v_max_f32_e32 v15, v8, v6
	v_xor_b32_e32 v6, 16, v9
	v_cmp_lt_i32_e64 s[40:41], v6, v14
	s_nop 1
	v_cndmask_b32_e64 v6, v9, v6, s[40:41]
	v_lshlrev_b32_e32 v57, 2, v6
	ds_bpermute_b32 v14, v57, v15
	v_mad_i64_i32 v[6:7], s[40:41], v55, s45, v[42:43]
	v_mad_i64_i32 v[8:9], s[40:41], v66, s45, v[42:43]
	s_waitcnt lgkmcnt(0)
	v_max_f32_e32 v14, v14, v14
	v_max_f32_e32 v55, v15, v14
	v_sub_f32_e32 v14, v46, v55
	v_mul_f32_e32 v14, 0x3fb8aa3b, v14
	v_exp_f32_e32 v36, v14
	v_sub_f32_e32 v14, v47, v55
	v_mul_f32_e32 v14, 0x3fb8aa3b, v14
	v_exp_f32_e32 v37, v14
	global_load_dwordx4 v[14:17], v[6:7], off
	s_nop 0
	global_load_dwordx4 v[6:9], v[8:9], off
	v_sub_f32_e32 v38, v38, v55
	v_mul_f32_e32 v38, 0x3fb8aa3b, v38
	v_sub_f32_e32 v39, v39, v55
	v_exp_f32_e32 v38, v38
	v_mul_f32_e32 v39, 0x3fb8aa3b, v39
	v_exp_f32_e32 v39, v39
	v_cndmask_b32_e64 v36, 0, v36, s[4:5]
	v_add_f32_e32 v42, 0, v36
	v_cndmask_b32_e64 v37, 0, v37, s[28:29]
	v_add_f32_e32 v42, v42, v37
	;; [unrolled: 2-line block ×3, first 2 shown]
	v_cndmask_b32_e64 v47, 0, v39, s[34:35]
	v_sub_f32_e32 v39, v52, v55
	v_sub_f32_e32 v42, v53, v55
	v_mul_f32_e32 v39, 0x3fb8aa3b, v39
	v_mul_f32_e32 v42, 0x3fb8aa3b, v42
	v_exp_f32_e32 v39, v39
	v_exp_f32_e32 v42, v42
	v_add_f32_e32 v43, v38, v47
	v_sub_f32_e32 v44, v44, v55
	v_cndmask_b32_e64 v38, 0, v39, s[36:37]
	v_cndmask_b32_e64 v39, 0, v42, s[38:39]
	v_sub_f32_e32 v42, v48, v55
	v_mul_f32_e32 v42, 0x3fb8aa3b, v42
	v_exp_f32_e32 v42, v42
	v_sub_f32_e32 v48, v49, v55
	v_add_f32_e32 v43, v43, v38
	v_mul_f32_e32 v48, 0x3fb8aa3b, v48
	v_exp_f32_e32 v49, v48
	v_add_f32_e32 v43, v43, v39
	v_cndmask_b32_e64 v48, 0, v42, s[20:21]
	v_add_f32_e32 v42, v43, v48
	v_sub_f32_e32 v43, v50, v55
	v_mul_f32_e32 v43, 0x3fb8aa3b, v43
	v_sub_f32_e32 v50, v51, v55
	v_exp_f32_e32 v43, v43
	v_mul_f32_e32 v50, 0x3fb8aa3b, v50
	v_exp_f32_e32 v50, v50
	v_mul_f32_e32 v44, 0x3fb8aa3b, v44
	v_sub_f32_e32 v45, v45, v55
	v_exp_f32_e32 v44, v44
	v_mul_f32_e32 v45, 0x3fb8aa3b, v45
	v_sub_f32_e32 v40, v40, v55
	v_cndmask_b32_e64 v49, 0, v49, s[22:23]
	v_exp_f32_e32 v45, v45
	v_mul_f32_e32 v40, 0x3fb8aa3b, v40
	v_sub_f32_e32 v41, v41, v55
	v_add_f32_e32 v51, v42, v49
	v_cndmask_b32_e64 v42, 0, v43, s[16:17]
	v_exp_f32_e32 v40, v40
	v_mul_f32_e32 v41, 0x3fb8aa3b, v41
	v_sub_f32_e32 v34, v34, v55
	v_add_f32_e32 v51, v51, v42
	;; [unrolled: 5-line block ×3, first 2 shown]
	v_cndmask_b32_e64 v44, 0, v44, s[12:13]
	v_exp_f32_e32 v34, v34
	v_mul_f32_e32 v35, 0x3fb8aa3b, v35
	v_add_f32_e32 v50, v50, v44
	v_cndmask_b32_e64 v45, 0, v45, s[14:15]
	v_exp_f32_e32 v35, v35
	v_add_f32_e32 v50, v50, v45
	v_cndmask_b32_e64 v40, 0, v40, s[8:9]
	v_add_f32_e32 v50, v50, v40
	v_cndmask_b32_e64 v41, 0, v41, s[10:11]
	v_add_f32_e32 v50, v50, v41
	v_cndmask_b32_e32 v34, 0, v34, vcc
	v_add_f32_e32 v50, v50, v34
	v_cndmask_b32_e64 v35, 0, v35, s[6:7]
	v_add_f32_e32 v50, v50, v35
	ds_bpermute_b32 v51, v56, v50
	v_cmp_gt_u32_e32 vcc, 16, v65
	s_waitcnt lgkmcnt(0)
	s_barrier
	v_add_f32_e32 v50, v50, v51
	ds_bpermute_b32 v51, v57, v50
	s_and_saveexec_b64 s[4:5], vcc
	s_cbranch_execz .LBB1087_13
; %bb.12:
	s_waitcnt lgkmcnt(0)
	v_add_f32_e32 v50, v50, v51
	v_lshlrev_b32_e32 v51, 2, v68
	ds_write2st64_b32 v51, v55, v50 offset1:1
.LBB1087_13:
	s_or_b64 exec, exec, s[4:5]
	s_waitcnt lgkmcnt(0)
	v_lshlrev_b32_e32 v51, 2, v60
	s_load_dword s6, s[0:1], 0x94
	s_waitcnt lgkmcnt(0)
	s_barrier
	ds_read2_b32 v[52:53], v51 offset1:16
	ds_read2_b32 v[56:57], v51 offset0:32 offset1:48
	ds_read2_b32 v[58:59], v51 offset0:64 offset1:80
	s_lshl_b32 s7, s33, 2
	s_waitcnt lgkmcnt(2)
	v_max3_f32 v50, v52, s44, v53
	s_waitcnt lgkmcnt(1)
	v_max3_f32 v50, v50, v56, v57
	v_sub_f32_e32 v52, v52, v50
	v_mul_f32_e32 v52, 0x3fb8aa3b, v52
	v_exp_f32_e32 v55, v52
	v_sub_f32_e32 v52, v53, v50
	v_mul_f32_e32 v52, 0x3fb8aa3b, v52
	v_exp_f32_e32 v65, v52
	;; [unrolled: 3-line block ×3, first 2 shown]
	ds_read2_b32 v[52:53], v51 offset0:96 offset1:112
	v_sub_f32_e32 v51, v57, v50
	v_mul_f32_e32 v51, 0x3fb8aa3b, v51
	v_exp_f32_e32 v57, v51
	s_waitcnt lgkmcnt(1)
	v_fma_f32 v51, v55, v58, 0
	v_fmac_f32_e32 v51, v65, v59
	s_waitcnt lgkmcnt(0)
	v_fmac_f32_e32 v51, v56, v52
	v_fmac_f32_e32 v51, v57, v53
	v_add_f32_e32 v52, 0x358637bd, v51
	v_div_scale_f32 v53, s[4:5], v52, v52, 1.0
	v_rcp_f32_e32 v58, v53
	s_barrier
	v_fma_f32 v59, -v53, v58, 1.0
	v_fmac_f32_e32 v58, v59, v58
	v_div_scale_f32 v59, vcc, 1.0, v52, 1.0
	v_mul_f32_e32 v66, v59, v58
	v_fma_f32 v67, -v53, v66, v59
	v_fmac_f32_e32 v66, v67, v58
	v_fma_f32 v53, -v53, v66, v59
	v_div_fmas_f32 v53, v53, v58, v66
	v_cmp_eq_u32_e32 vcc, 1, v64
	v_div_fixup_f32 v52, v53, v52, 1.0
	s_nop 0
	v_cndmask_b32_e32 v53, v55, v65, vcc
	v_cmp_eq_u32_e32 vcc, 2, v64
	s_nop 1
	v_cndmask_b32_e32 v53, v53, v56, vcc
	v_cmp_eq_u32_e32 vcc, 3, v64
	s_nop 1
	v_cndmask_b32_e32 v53, v53, v57, vcc
	v_mul_f32_e32 v52, v53, v52
	v_pk_mul_f32 v[46:47], v[52:53], v[46:47] op_sel_hi:[0,1]
	v_pk_mul_f32 v[36:37], v[52:53], v[36:37] op_sel_hi:[0,1]
	v_cvt_f16_f32_e32 v53, v46
	v_cvt_f16_f32_e32 v36, v36
	;; [unrolled: 1-line block ×4, first 2 shown]
	v_pk_mul_f32 v[48:49], v[52:53], v[48:49] op_sel_hi:[0,1]
	v_pk_mul_f32 v[38:39], v[52:53], v[38:39] op_sel_hi:[0,1]
	v_cvt_f16_f32_e32 v38, v38
	v_cvt_f16_f32_e32 v39, v39
	v_cvt_f16_f32_e32 v48, v48
	v_cvt_f16_f32_e32 v49, v49
	v_pack_b32_f16 v46, v36, v37
	v_pack_b32_f16 v47, v53, v47
	v_lshlrev_b32_e32 v37, 3, v63
	v_lshlrev_b32_e32 v36, 5, v60
	;; [unrolled: 1-line block ×3, first 2 shown]
	v_or3_b32 v55, v53, v36, v37
	v_pack_b32_f16 v38, v38, v39
	v_pack_b32_f16 v39, v48, v49
	ds_write2st64_b64 v55, v[46:47], v[38:39] offset1:1
	v_pk_mul_f32 v[38:39], v[52:53], v[44:45] op_sel_hi:[0,1]
	v_pk_mul_f32 v[42:43], v[52:53], v[42:43] op_sel_hi:[0,1]
	v_cvt_f16_f32_e32 v37, v42
	v_cvt_f16_f32_e32 v42, v43
	;; [unrolled: 1-line block ×4, first 2 shown]
	v_pk_mul_f32 v[34:35], v[52:53], v[34:35] op_sel_hi:[0,1]
	v_pk_mul_f32 v[38:39], v[52:53], v[40:41] op_sel_hi:[0,1]
	v_cvt_f16_f32_e32 v38, v38
	v_cvt_f16_f32_e32 v39, v39
	;; [unrolled: 1-line block ×4, first 2 shown]
	v_pack_b32_f16 v34, v37, v42
	v_pack_b32_f16 v35, v43, v44
	;; [unrolled: 1-line block ×4, first 2 shown]
	v_cmp_gt_u32_e32 vcc, 4, v0
	ds_write2st64_b64 v55, v[34:35], v[38:39] offset0:2 offset1:3
	s_and_saveexec_b64 s[4:5], vcc
	s_cbranch_execz .LBB1087_15
; %bb.14:
	v_or_b32_e32 v34, s25, v0
	v_mov_b32_e32 v35, 0
	v_mov_b32_e32 v37, s7
	v_mad_u64_u32 v[38:39], s[12:13], s2, v37, v[34:35]
	v_mov_b32_e32 v34, s24
	s_load_dwordx4 s[8:11], s[0:1], 0x58
	s_mul_i32 s3, s3, s7
	v_mad_u64_u32 v[34:35], s[12:13], v38, s6, v[34:35]
	v_add_u32_e32 v37, s3, v39
	v_mov_b32_e32 v38, v35
	v_mad_u64_u32 v[38:39], s[12:13], v37, s6, v[38:39]
	v_mov_b32_e32 v35, v38
	v_lshlrev_b64 v[34:35], 2, v[34:35]
	s_waitcnt lgkmcnt(0)
	v_lshl_add_u64 v[38:39], s[10:11], 0, v[34:35]
	v_lshl_add_u64 v[34:35], s[8:9], 0, v[34:35]
	global_store_dword v[38:39], v50, off
	global_store_dword v[34:35], v51, off
.LBB1087_15:
	s_or_b64 exec, exec, s[4:5]
	s_waitcnt vmcnt(7)
	v_cvt_pk_f32_fp8_e32 v[34:35], v30
	v_lshl_or_b32 v50, v63, 9, v36
	v_cvt_pk_f32_fp8_sdwa v[36:37], v30 src0_sel:WORD_1
	s_waitcnt lgkmcnt(0)
	s_barrier
	v_cvt_pk_f32_fp8_e32 v[38:39], v31
	v_cvt_pkrtz_f16_f32 v30, v34, v35
	v_cvt_pk_f32_fp8_sdwa v[40:41], v31 src0_sel:WORD_1
	v_cvt_pkrtz_f16_f32 v31, v36, v37
	ds_read_b128 v[34:37], v50
	v_cvt_pkrtz_f16_f32 v46, v38, v39
	v_cvt_pkrtz_f16_f32 v47, v40, v41
	ds_read_b128 v[38:41], v50 offset:16
	v_cvt_pk_f32_fp8_e32 v[48:49], v32
	v_cvt_pk_f32_fp8_sdwa v[52:53], v32 src0_sel:WORD_1
	s_waitcnt lgkmcnt(1)
	v_mfma_f32_16x16x16_f16 v[42:45], v[30:31], v[34:35], 0
	s_waitcnt vmcnt(6)
	v_cvt_pk_f32_fp8_e32 v[56:57], v24
	v_cvt_pkrtz_f16_f32 v30, v48, v49
	v_cvt_pkrtz_f16_f32 v31, v52, v53
	v_cvt_pk_f32_fp8_e32 v[48:49], v33
	v_mfma_f32_16x16x16_f16 v[42:45], v[46:47], v[36:37], v[42:45]
	v_cvt_pk_f32_fp8_sdwa v[46:47], v33 src0_sel:WORD_1
	v_cvt_pk_f32_fp8_sdwa v[58:59], v24 src0_sel:WORD_1
	v_cvt_pkrtz_f16_f32 v48, v48, v49
	s_waitcnt lgkmcnt(0)
	v_mfma_f32_16x16x16_f16 v[30:33], v[30:31], v[38:39], v[42:45]
	v_cvt_pkrtz_f16_f32 v49, v46, v47
	s_waitcnt vmcnt(5)
	v_cvt_pk_f32_fp8_e32 v[64:65], v12
	v_cvt_pk_f32_fp8_sdwa v[66:67], v12 src0_sel:WORD_1
	v_cvt_pk_f32_fp8_e32 v[42:43], v22
	v_mfma_f32_16x16x16_f16 v[46:49], v[48:49], v[40:41], v[30:33]
	s_waitcnt vmcnt(4)
	v_cvt_pk_f32_fp8_sdwa v[68:69], v4 src0_sel:WORD_1
	s_load_dword s4, s[42:43], 0x0
	v_cvt_pk_f32_fp8_sdwa v[30:31], v22 src0_sel:WORD_1
	v_cvt_pk_f32_fp8_e32 v[32:33], v23
	v_cvt_pkrtz_f16_f32 v22, v42, v43
	v_cvt_pk_f32_fp8_sdwa v[42:43], v23 src0_sel:WORD_1
	v_cvt_pkrtz_f16_f32 v23, v30, v31
	v_cvt_pkrtz_f16_f32 v52, v32, v33
	ds_read_b128 v[30:33], v50 offset:2048
	v_cvt_pkrtz_f16_f32 v53, v42, v43
	ds_read_b128 v[42:45], v50 offset:2064
	s_waitcnt lgkmcnt(0)
	v_mfma_f32_16x16x16_f16 v[46:49], v[22:23], v[30:31], v[46:49]
	v_cvt_pkrtz_f16_f32 v22, v56, v57
	v_cvt_pkrtz_f16_f32 v23, v58, v59
	v_cvt_pk_f32_fp8_e32 v[56:57], v25
	v_mfma_f32_16x16x16_f16 v[46:49], v[52:53], v[32:33], v[46:49]
	v_cvt_pk_f32_fp8_sdwa v[52:53], v25 src0_sel:WORD_1
	s_mov_b32 s3, 0
	v_cvt_pkrtz_f16_f32 v56, v56, v57
	v_mfma_f32_16x16x16_f16 v[22:25], v[22:23], v[42:43], v[46:49]
	v_cvt_pkrtz_f16_f32 v57, v52, v53
	s_nop 1
	v_cvt_pk_f32_fp8_e32 v[46:47], v10
	v_mfma_f32_16x16x16_f16 v[56:59], v[56:57], v[44:45], v[22:25]
	s_nop 2
	v_cvt_pk_f32_fp8_sdwa v[22:23], v10 src0_sel:WORD_1
	v_cvt_pk_f32_fp8_e32 v[24:25], v11
	v_cvt_pkrtz_f16_f32 v10, v46, v47
	v_cvt_pk_f32_fp8_sdwa v[46:47], v11 src0_sel:WORD_1
	v_cvt_pkrtz_f16_f32 v11, v22, v23
	v_cvt_pkrtz_f16_f32 v52, v24, v25
	ds_read_b128 v[22:25], v50 offset:4096
	v_cvt_pkrtz_f16_f32 v53, v46, v47
	ds_read_b128 v[46:49], v50 offset:4112
	s_waitcnt lgkmcnt(1)
	v_mfma_f32_16x16x16_f16 v[56:59], v[10:11], v[22:23], v[56:59]
	v_cvt_pkrtz_f16_f32 v10, v64, v65
	v_cvt_pkrtz_f16_f32 v11, v66, v67
	v_cvt_pk_f32_fp8_e32 v[64:65], v13
	v_mfma_f32_16x16x16_f16 v[56:59], v[52:53], v[24:25], v[56:59]
	v_cvt_pk_f32_fp8_sdwa v[52:53], v13 src0_sel:WORD_1
	v_cvt_pk_f32_fp8_e32 v[66:67], v4
	v_cvt_pkrtz_f16_f32 v64, v64, v65
	s_waitcnt lgkmcnt(0)
	v_mfma_f32_16x16x16_f16 v[10:13], v[10:11], v[46:47], v[56:59]
	v_cvt_pkrtz_f16_f32 v65, v52, v53
	v_cvt_pk_f32_fp8_e32 v[52:53], v2
	s_nop 0
	v_mfma_f32_16x16x16_f16 v[56:59], v[64:65], v[48:49], v[10:13]
	s_nop 2
	v_cvt_pk_f32_fp8_sdwa v[10:11], v2 src0_sel:WORD_1
	v_cvt_pk_f32_fp8_e32 v[12:13], v3
	v_cvt_pkrtz_f16_f32 v2, v52, v53
	v_cvt_pk_f32_fp8_sdwa v[52:53], v3 src0_sel:WORD_1
	v_cvt_pkrtz_f16_f32 v3, v10, v11
	v_cvt_pkrtz_f16_f32 v64, v12, v13
	ds_read_b128 v[10:13], v50 offset:6144
	v_cvt_pkrtz_f16_f32 v65, v52, v53
	s_waitcnt lgkmcnt(0)
	v_mfma_f32_16x16x16_f16 v[56:59], v[2:3], v[10:11], v[56:59]
	ds_read_b128 v[50:53], v50 offset:6160
	v_cvt_pkrtz_f16_f32 v2, v66, v67
	v_cvt_pkrtz_f16_f32 v3, v68, v69
	v_mfma_f32_16x16x16_f16 v[56:59], v[64:65], v[12:13], v[56:59]
	v_cvt_pk_f32_fp8_e32 v[66:67], v5
	v_cvt_pk_f32_fp8_sdwa v[64:65], v5 src0_sel:WORD_1
	s_waitcnt vmcnt(3)
	v_cvt_pk_f32_fp8_sdwa v[68:69], v28 src0_sel:WORD_1
	s_waitcnt lgkmcnt(0)
	v_mfma_f32_16x16x16_f16 v[2:5], v[2:3], v[50:51], v[56:59]
	v_cvt_pkrtz_f16_f32 v66, v66, v67
	v_cvt_pkrtz_f16_f32 v67, v64, v65
	v_cvt_pk_f32_fp8_e32 v[64:65], v27
	v_cvt_pk_f32_fp8_e32 v[56:57], v26
	v_cvt_pk_f32_fp8_sdwa v[58:59], v26 src0_sel:WORD_1
	v_cvt_pk_f32_fp8_sdwa v[26:27], v27 src0_sel:WORD_1
	v_mfma_f32_16x16x16_f16 v[2:5], v[66:67], v[52:53], v[2:5]
	v_cvt_pkrtz_f16_f32 v56, v56, v57
	v_cvt_pkrtz_f16_f32 v57, v58, v59
	;; [unrolled: 1-line block ×3, first 2 shown]
	v_cvt_pk_f32_fp8_e32 v[66:67], v28
	v_cvt_pkrtz_f16_f32 v65, v26, v27
	v_mfma_f32_16x16x16_f16 v[56:59], v[56:57], v[34:35], 0
	v_cvt_pkrtz_f16_f32 v26, v66, v67
	v_cvt_pkrtz_f16_f32 v27, v68, v69
	v_cvt_pk_f32_fp8_e32 v[66:67], v29
	v_mfma_f32_16x16x16_f16 v[34:37], v[64:65], v[36:37], v[56:59]
	s_barrier
	s_nop 1
	v_cvt_pk_f32_fp8_sdwa v[56:57], v29 src0_sel:WORD_1
	v_cvt_pkrtz_f16_f32 v58, v66, v67
	v_mfma_f32_16x16x16_f16 v[26:29], v[26:27], v[38:39], v[34:37]
	s_waitcnt vmcnt(2)
	v_cvt_pk_f32_fp8_e32 v[38:39], v19
	v_cvt_pkrtz_f16_f32 v59, v56, v57
	v_cvt_pk_f32_fp8_e32 v[34:35], v18
	v_cvt_pk_f32_fp8_sdwa v[36:37], v18 src0_sel:WORD_1
	v_cvt_pk_f32_fp8_sdwa v[18:19], v19 src0_sel:WORD_1
	v_mfma_f32_16x16x16_f16 v[26:29], v[58:59], v[40:41], v[26:29]
	v_cvt_pkrtz_f16_f32 v34, v34, v35
	v_cvt_pkrtz_f16_f32 v35, v36, v37
	v_cvt_pkrtz_f16_f32 v36, v38, v39
	v_cvt_pk_f32_fp8_e32 v[38:39], v20
	v_cvt_pk_f32_fp8_sdwa v[40:41], v20 src0_sel:WORD_1
	v_cvt_pkrtz_f16_f32 v37, v18, v19
	v_mfma_f32_16x16x16_f16 v[26:29], v[34:35], v[30:31], v[26:29]
	v_cvt_pkrtz_f16_f32 v30, v38, v39
	v_cvt_pkrtz_f16_f32 v31, v40, v41
	v_cvt_pk_f32_fp8_e32 v[34:35], v21
	v_cvt_pk_f32_fp8_sdwa v[38:39], v21 src0_sel:WORD_1
	v_mfma_f32_16x16x16_f16 v[18:21], v[36:37], v[32:33], v[26:29]
	s_waitcnt vmcnt(1)
	v_cvt_pk_f32_fp8_sdwa v[32:33], v16 src0_sel:WORD_1
	s_nop 0
	v_cvt_pkrtz_f16_f32 v26, v34, v35
	v_cvt_pkrtz_f16_f32 v27, v38, v39
	v_mfma_f32_16x16x16_f16 v[18:21], v[30:31], v[42:43], v[18:21]
	v_cvt_pk_f32_fp8_e32 v[28:29], v14
	v_cvt_pk_f32_fp8_sdwa v[30:31], v14 src0_sel:WORD_1
	v_cvt_pkrtz_f16_f32 v28, v28, v29
	v_mfma_f32_16x16x16_f16 v[18:21], v[26:27], v[44:45], v[18:21]
	v_cvt_pk_f32_fp8_e32 v[26:27], v15
	v_cvt_pkrtz_f16_f32 v29, v30, v31
	v_cvt_pk_f32_fp8_sdwa v[14:15], v15 src0_sel:WORD_1
	v_cvt_pk_f32_fp8_e32 v[30:31], v16
	v_cvt_pkrtz_f16_f32 v26, v26, v27
	v_mfma_f32_16x16x16_f16 v[18:21], v[28:29], v[22:23], v[18:21]
	v_cvt_pkrtz_f16_f32 v27, v14, v15
	v_cvt_pkrtz_f16_f32 v22, v30, v31
	;; [unrolled: 1-line block ×3, first 2 shown]
	v_cvt_pk_f32_fp8_e32 v[28:29], v17
	v_cvt_pk_f32_fp8_sdwa v[30:31], v17 src0_sel:WORD_1
	v_mfma_f32_16x16x16_f16 v[14:17], v[26:27], v[24:25], v[18:21]
	s_waitcnt vmcnt(0)
	v_cvt_pk_f32_fp8_sdwa v[24:25], v6 src0_sel:WORD_1
	s_nop 0
	v_pk_mul_f32 v[18:19], v[4:5], s[4:5] op_sel_hi:[1,0]
	v_cvt_pkrtz_f16_f32 v4, v28, v29
	v_cvt_pkrtz_f16_f32 v5, v30, v31
	v_mfma_f32_16x16x16_f16 v[14:17], v[22:23], v[46:47], v[14:17]
	v_cvt_pk_f32_fp8_e32 v[22:23], v6
	v_pk_mul_f32 v[20:21], v[2:3], s[4:5] op_sel_hi:[1,0]
	v_mfma_f32_16x16x16_f16 v[2:5], v[4:5], v[48:49], v[14:17]
	s_nop 3
	v_cvt_pk_f32_fp8_e32 v[14:15], v7
	v_cvt_pkrtz_f16_f32 v16, v22, v23
	v_cvt_pkrtz_f16_f32 v17, v24, v25
	v_cvt_pk_f32_fp8_sdwa v[6:7], v7 src0_sel:WORD_1
	v_cvt_pkrtz_f16_f32 v14, v14, v15
	v_cvt_pk_f32_fp8_e32 v[22:23], v8
	v_cvt_pk_f32_fp8_sdwa v[24:25], v8 src0_sel:WORD_1
	v_cvt_pkrtz_f16_f32 v15, v6, v7
	v_mfma_f32_16x16x16_f16 v[2:5], v[16:17], v[10:11], v[2:5]
	v_cvt_pkrtz_f16_f32 v6, v22, v23
	v_cvt_pkrtz_f16_f32 v7, v24, v25
	v_cvt_pk_f32_fp8_e32 v[10:11], v9
	v_cvt_pk_f32_fp8_sdwa v[8:9], v9 src0_sel:WORD_1
	v_mfma_f32_16x16x16_f16 v[2:5], v[14:15], v[12:13], v[2:5]
	v_cvt_f16_f32_e32 v12, v20
	v_cvt_pkrtz_f16_f32 v10, v10, v11
	v_cvt_pkrtz_f16_f32 v11, v8, v9
	v_mfma_f32_16x16x16_f16 v[2:5], v[6:7], v[50:51], v[2:5]
	v_cvt_f16_f32_e32 v6, v21
	v_cvt_f16_f32_e32 v7, v18
	;; [unrolled: 1-line block ×3, first 2 shown]
	v_mfma_f32_16x16x16_f16 v[2:5], v[10:11], v[52:53], v[2:5]
	s_nop 6
	v_pk_mul_f32 v[4:5], v[4:5], s[4:5] op_sel_hi:[1,0]
	v_pk_mul_f32 v[2:3], v[2:3], s[4:5] op_sel_hi:[1,0]
	v_cvt_f16_f32_e32 v11, v4
	v_cvt_f16_f32_e32 v9, v2
	v_cvt_f16_f32_e32 v10, v3
	v_cvt_f16_f32_e32 v5, v5
	v_pack_b32_f16 v2, v12, v6
	v_pack_b32_f16 v3, v7, v8
	v_pack_b32_f16 v4, v9, v10
	v_pack_b32_f16 v5, v11, v5
	ds_write2st64_b64 v55, v[2:3], v[4:5] offset1:1
	s_waitcnt lgkmcnt(0)
	s_barrier
	s_and_saveexec_b64 s[4:5], s[26:27]
	s_cbranch_execz .LBB1087_17
; %bb.16:
	s_load_dwordx2 s[0:1], s[0:1], 0x68
	s_lshl_b32 s6, s6, 7
	s_mul_i32 s2, s7, s2
	v_lshlrev_b32_e32 v3, 6, v60
	s_mul_hi_u32 s5, s2, s6
	s_mul_i32 s4, s2, s6
	v_lshl_or_b32 v0, v0, 10, v3
	s_lshl_b64 s[4:5], s[4:5], 1
	v_and_b32_e32 v2, 16, v62
	v_and_b32_e32 v0, 0x1a00, v0
	s_waitcnt lgkmcnt(0)
	s_add_u32 s4, s0, s4
	v_or3_b32 v0, v0, v61, v2
	s_addc_u32 s5, s1, s5
	s_lshl_b32 s2, s24, 7
	ds_read_b128 v[2:5], v0
	s_lshl_b64 s[0:1], s[2:3], 1
	s_add_u32 s0, s4, s0
	s_addc_u32 s1, s5, s1
	v_mad_u64_u32 v[0:1], s[2:3], s6, v1, 0
	v_lshl_add_u64 v[0:1], v[0:1], 1, s[0:1]
	v_mov_b32_e32 v55, 0
	v_lshl_add_u64 v[0:1], v[0:1], 0, v[54:55]
	s_waitcnt lgkmcnt(0)
	global_store_dwordx4 v[0:1], v[2:5], off
.LBB1087_17:
	s_endpgm
	.section	.rodata,"a",@progbits
	.p2align	6, 0x0
	.amdhsa_kernel _Z39paged_attention_ll4mi_QKV_mfma16_kernelIDF16_hLN4vllm18Fp8KVCacheDataTypeE1EDF16_Li32ELi128ELi256ELb0ELi4EEvPKT_PKT0_S7_ifPKiS9_S9_iPKfiiiPfSC_PS2_PT2_iSB_SB_
		.amdhsa_group_segment_fixed_size 8192
		.amdhsa_private_segment_fixed_size 0
		.amdhsa_kernarg_size 400
		.amdhsa_user_sgpr_count 2
		.amdhsa_user_sgpr_dispatch_ptr 0
		.amdhsa_user_sgpr_queue_ptr 0
		.amdhsa_user_sgpr_kernarg_segment_ptr 1
		.amdhsa_user_sgpr_dispatch_id 0
		.amdhsa_user_sgpr_kernarg_preload_length 0
		.amdhsa_user_sgpr_kernarg_preload_offset 0
		.amdhsa_user_sgpr_private_segment_size 0
		.amdhsa_uses_dynamic_stack 0
		.amdhsa_enable_private_segment 0
		.amdhsa_system_sgpr_workgroup_id_x 1
		.amdhsa_system_sgpr_workgroup_id_y 1
		.amdhsa_system_sgpr_workgroup_id_z 1
		.amdhsa_system_sgpr_workgroup_info 0
		.amdhsa_system_vgpr_workitem_id 0
		.amdhsa_next_free_vgpr 82
		.amdhsa_next_free_sgpr 49
		.amdhsa_accum_offset 84
		.amdhsa_reserve_vcc 1
		.amdhsa_float_round_mode_32 0
		.amdhsa_float_round_mode_16_64 0
		.amdhsa_float_denorm_mode_32 3
		.amdhsa_float_denorm_mode_16_64 3
		.amdhsa_dx10_clamp 1
		.amdhsa_ieee_mode 1
		.amdhsa_fp16_overflow 0
		.amdhsa_tg_split 0
		.amdhsa_exception_fp_ieee_invalid_op 0
		.amdhsa_exception_fp_denorm_src 0
		.amdhsa_exception_fp_ieee_div_zero 0
		.amdhsa_exception_fp_ieee_overflow 0
		.amdhsa_exception_fp_ieee_underflow 0
		.amdhsa_exception_fp_ieee_inexact 0
		.amdhsa_exception_int_div_zero 0
	.end_amdhsa_kernel
	.section	.text._Z39paged_attention_ll4mi_QKV_mfma16_kernelIDF16_hLN4vllm18Fp8KVCacheDataTypeE1EDF16_Li32ELi128ELi256ELb0ELi4EEvPKT_PKT0_S7_ifPKiS9_S9_iPKfiiiPfSC_PS2_PT2_iSB_SB_,"axG",@progbits,_Z39paged_attention_ll4mi_QKV_mfma16_kernelIDF16_hLN4vllm18Fp8KVCacheDataTypeE1EDF16_Li32ELi128ELi256ELb0ELi4EEvPKT_PKT0_S7_ifPKiS9_S9_iPKfiiiPfSC_PS2_PT2_iSB_SB_,comdat
.Lfunc_end1087:
	.size	_Z39paged_attention_ll4mi_QKV_mfma16_kernelIDF16_hLN4vllm18Fp8KVCacheDataTypeE1EDF16_Li32ELi128ELi256ELb0ELi4EEvPKT_PKT0_S7_ifPKiS9_S9_iPKfiiiPfSC_PS2_PT2_iSB_SB_, .Lfunc_end1087-_Z39paged_attention_ll4mi_QKV_mfma16_kernelIDF16_hLN4vllm18Fp8KVCacheDataTypeE1EDF16_Li32ELi128ELi256ELb0ELi4EEvPKT_PKT0_S7_ifPKiS9_S9_iPKfiiiPfSC_PS2_PT2_iSB_SB_
                                        ; -- End function
	.section	.AMDGPU.csdata,"",@progbits
; Kernel info:
; codeLenInByte = 5988
; NumSgprs: 55
; NumVgprs: 82
; NumAgprs: 0
; TotalNumVgprs: 82
; ScratchSize: 0
; MemoryBound: 0
; FloatMode: 240
; IeeeMode: 1
; LDSByteSize: 8192 bytes/workgroup (compile time only)
; SGPRBlocks: 6
; VGPRBlocks: 10
; NumSGPRsForWavesPerEU: 55
; NumVGPRsForWavesPerEU: 82
; AccumOffset: 84
; Occupancy: 5
; WaveLimiterHint : 1
; COMPUTE_PGM_RSRC2:SCRATCH_EN: 0
; COMPUTE_PGM_RSRC2:USER_SGPR: 2
; COMPUTE_PGM_RSRC2:TRAP_HANDLER: 0
; COMPUTE_PGM_RSRC2:TGID_X_EN: 1
; COMPUTE_PGM_RSRC2:TGID_Y_EN: 1
; COMPUTE_PGM_RSRC2:TGID_Z_EN: 1
; COMPUTE_PGM_RSRC2:TIDIG_COMP_CNT: 0
; COMPUTE_PGM_RSRC3_GFX90A:ACCUM_OFFSET: 20
; COMPUTE_PGM_RSRC3_GFX90A:TG_SPLIT: 0
	.section	.text._Z38paged_attention_ll4mi_QKV_mfma4_kernelI14__hip_bfloat16hLN4vllm18Fp8KVCacheDataTypeE1EhLi16ELi64ELi256ELb1ELi1EEvPKT_PKT0_S8_ifPKiSA_SA_iPKfiiiPfSD_PS3_PT2_iSC_SC_,"axG",@progbits,_Z38paged_attention_ll4mi_QKV_mfma4_kernelI14__hip_bfloat16hLN4vllm18Fp8KVCacheDataTypeE1EhLi16ELi64ELi256ELb1ELi1EEvPKT_PKT0_S8_ifPKiSA_SA_iPKfiiiPfSD_PS3_PT2_iSC_SC_,comdat
	.protected	_Z38paged_attention_ll4mi_QKV_mfma4_kernelI14__hip_bfloat16hLN4vllm18Fp8KVCacheDataTypeE1EhLi16ELi64ELi256ELb1ELi1EEvPKT_PKT0_S8_ifPKiSA_SA_iPKfiiiPfSD_PS3_PT2_iSC_SC_ ; -- Begin function _Z38paged_attention_ll4mi_QKV_mfma4_kernelI14__hip_bfloat16hLN4vllm18Fp8KVCacheDataTypeE1EhLi16ELi64ELi256ELb1ELi1EEvPKT_PKT0_S8_ifPKiSA_SA_iPKfiiiPfSD_PS3_PT2_iSC_SC_
	.globl	_Z38paged_attention_ll4mi_QKV_mfma4_kernelI14__hip_bfloat16hLN4vllm18Fp8KVCacheDataTypeE1EhLi16ELi64ELi256ELb1ELi1EEvPKT_PKT0_S8_ifPKiSA_SA_iPKfiiiPfSD_PS3_PT2_iSC_SC_
	.p2align	8
	.type	_Z38paged_attention_ll4mi_QKV_mfma4_kernelI14__hip_bfloat16hLN4vllm18Fp8KVCacheDataTypeE1EhLi16ELi64ELi256ELb1ELi1EEvPKT_PKT0_S8_ifPKiSA_SA_iPKfiiiPfSD_PS3_PT2_iSC_SC_,@function
_Z38paged_attention_ll4mi_QKV_mfma4_kernelI14__hip_bfloat16hLN4vllm18Fp8KVCacheDataTypeE1EhLi16ELi64ELi256ELb1ELi1EEvPKT_PKT0_S8_ifPKiSA_SA_iPKfiiiPfSD_PS3_PT2_iSC_SC_: ; @_Z38paged_attention_ll4mi_QKV_mfma4_kernelI14__hip_bfloat16hLN4vllm18Fp8KVCacheDataTypeE1EhLi16ELi64ELi256ELb1ELi1EEvPKT_PKT0_S8_ifPKiSA_SA_iPKfiiiPfSD_PS3_PT2_iSC_SC_
; %bb.0:
	s_load_dwordx2 s[8:9], s[0:1], 0x30
	s_mov_b32 s20, s3
	s_mov_b64 s[6:7], 0
	s_waitcnt lgkmcnt(0)
	s_cmp_lg_u64 s[8:9], 0
	s_cselect_b64 s[10:11], -1, 0
	s_and_b64 vcc, exec, s[10:11]
	s_cbranch_vccz .LBB1088_10
; %bb.1:
	s_add_i32 s12, s2, 1
	s_mov_b32 s13, 0
	s_lshl_b64 s[14:15], s[12:13], 2
	s_add_u32 s14, s8, s14
	s_mov_b32 s3, s13
	s_addc_u32 s15, s9, s15
	s_lshl_b64 s[12:13], s[2:3], 2
	s_add_u32 s12, s8, s12
	s_addc_u32 s13, s9, s13
	s_load_dword s5, s[14:15], 0x0
	s_load_dword s16, s[12:13], 0x0
	s_waitcnt lgkmcnt(0)
	s_sub_i32 s5, s5, s16
	s_cmp_eq_u32 s5, 1
	s_cselect_b64 s[12:13], -1, 0
	s_andn2_b64 vcc, exec, s[6:7]
	s_cbranch_vccnz .LBB1088_3
.LBB1088_2:
	s_mov_b32 s3, 0
	s_mov_b64 s[12:13], -1
.LBB1088_3:
	s_andn2_b64 vcc, exec, s[12:13]
	s_cbranch_vccnz .LBB1088_25
; %bb.4:
	s_load_dword s5, s[0:1], 0x9c
	s_load_dwordx2 s[6:7], s[0:1], 0x28
	s_add_u32 s24, s0, 0x90
	s_addc_u32 s25, s1, 0
	s_lshl_b64 s[28:29], s[2:3], 2
	s_waitcnt lgkmcnt(0)
	s_and_b32 s5, s5, 0xffff
	s_add_u32 s6, s6, s28
	s_addc_u32 s7, s7, s29
	s_load_dword s3, s[6:7], 0x0
	s_mul_i32 s5, s20, s5
	s_waitcnt lgkmcnt(0)
	s_cmp_ge_i32 s5, s3
	s_cbranch_scc1 .LBB1088_25
; %bb.5:
	v_and_b32_e32 v2, 0xc0, v0
	v_add_u32_e32 v4, s5, v2
	v_lshrrev_b32_e32 v1, 6, v0
	v_cmp_gt_i32_e64 s[6:7], s3, v4
	v_cmp_le_i32_e32 vcc, s3, v4
                                        ; implicit-def: $sgpr30
                                        ; implicit-def: $sgpr21
	s_and_saveexec_b64 s[12:13], vcc
	s_xor_b64 s[12:13], exec, s[12:13]
	s_cbranch_execz .LBB1088_7
; %bb.6:
	v_mul_u32_u24_e32 v2, 20, v1
	v_or_b32_e32 v2, 0xa00, v2
	v_mov_b32_e32 v3, 0xa50
	v_mov_b32_e32 v4, 0xff7fffff
	v_mad_u32_u24 v3, v1, 20, v3
	ds_write2_b32 v2, v4, v4 offset1:1
	v_mov_b32_e32 v2, 0
	ds_write2_b32 v3, v2, v2 offset1:1
	v_mov_b32_e32 v3, 0xa08
	s_mov_b32 s21, 0xff7fffff
	s_mov_b32 s30, 0
	v_mad_u32_u24 v3, v1, 20, v3
	v_mov_b32_e32 v5, 0xa58
	v_mad_u32_u24 v5, v1, 20, v5
	ds_write2_b32 v3, v4, v4 offset1:1
	ds_write2_b32 v5, v2, v2 offset1:1
                                        ; implicit-def: $vgpr4
.LBB1088_7:
	s_or_saveexec_b64 s[26:27], s[12:13]
	s_load_dwordx2 s[22:23], s[0:1], 0x68
	s_load_dwordx4 s[16:19], s[0:1], 0x58
	s_load_dword s33, s[24:25], 0x4
	s_load_dwordx4 s[12:15], s[0:1], 0x80
	v_and_b32_e32 v32, 63, v0
	v_and_b32_e32 v33, 3, v0
	v_mov_b32_e32 v21, s30
	v_mov_b32_e32 v24, s21
	;; [unrolled: 1-line block ×5, first 2 shown]
                                        ; implicit-def: $vgpr6_vgpr7
                                        ; implicit-def: $vgpr2_vgpr3
                                        ; implicit-def: $vgpr14_vgpr15
                                        ; implicit-def: $vgpr10_vgpr11
	s_xor_b64 exec, exec, s[26:27]
	s_cbranch_execz .LBB1088_19
; %bb.8:
	s_load_dwordx2 s[30:31], s[0:1], 0x20
	s_load_dword s21, s[0:1], 0x38
	s_add_i32 s34, s3, 15
	s_ashr_i32 s35, s34, 31
	s_lshr_b32 s35, s35, 28
	v_add_u32_e32 v34, s5, v0
	s_add_i32 s34, s34, s35
	v_ashrrev_i32_e32 v2, 31, v34
	s_ashr_i32 s34, s34, 4
	v_lshrrev_b32_e32 v2, 28, v2
	s_add_i32 s36, s34, -1
	s_waitcnt lgkmcnt(0)
	s_mul_i32 s34, s2, s21
	s_mov_b32 s35, 0
	v_add_u32_e32 v2, v34, v2
	s_lshl_b64 s[34:35], s[34:35], 2
	v_ashrrev_i32_e32 v2, 4, v2
	v_mov_b32_e32 v3, s36
	v_cmp_gt_i32_e32 vcc, s3, v34
	s_add_u32 s30, s30, s34
	s_addc_u32 s31, s31, s35
	v_cndmask_b32_e32 v2, v3, v2, vcc
	v_ashrrev_i32_e32 v3, 31, v2
	v_lshl_add_u64 v[6:7], v[2:3], 2, s[30:31]
	v_ashrrev_i32_e32 v2, 31, v4
	v_lshrrev_b32_e32 v2, 28, v2
	v_add_u32_e32 v2, v4, v2
	v_ashrrev_i32_e32 v4, 4, v2
	v_min_i32_e32 v2, s36, v4
	v_ashrrev_i32_e32 v3, 31, v2
	v_lshl_add_u64 v[8:9], v[2:3], 2, s[30:31]
	v_add_u32_e32 v2, 1, v4
	v_min_i32_e32 v2, s36, v2
	v_ashrrev_i32_e32 v3, 31, v2
	v_lshl_add_u64 v[10:11], v[2:3], 2, s[30:31]
	v_add_u32_e32 v2, 2, v4
	;; [unrolled: 4-line block ×3, first 2 shown]
	v_min_i32_e32 v2, s36, v2
	v_ashrrev_i32_e32 v3, 31, v2
	v_lshl_add_u64 v[14:15], v[2:3], 2, s[30:31]
	global_load_dword v4, v[6:7], off
	global_load_dword v3, v[8:9], off
	;; [unrolled: 1-line block ×5, first 2 shown]
	s_load_dwordx2 s[34:35], s[0:1], 0x8
	s_andn2_b64 vcc, exec, s[10:11]
	s_cbranch_vccnz .LBB1088_11
; %bb.9:
	s_add_u32 s8, s8, s28
	s_addc_u32 s9, s9, s29
	s_load_dword s5, s[8:9], 0x0
	s_branch .LBB1088_12
.LBB1088_10:
	s_mov_b64 s[12:13], 0
	s_branch .LBB1088_2
.LBB1088_11:
	s_mov_b32 s5, s2
.LBB1088_12:
	s_load_dwordx2 s[28:29], s[0:1], 0x10
	s_load_dwordx4 s[8:11], s[0:1], 0x48
	v_cmp_eq_u32_e32 vcc, 0, v33
	s_mov_b32 s31, 0
	v_mov_b32_e32 v31, 0
	v_mov_b32_e32 v10, 0
	;; [unrolled: 1-line block ×5, first 2 shown]
	s_and_saveexec_b64 s[36:37], vcc
	s_cbranch_execz .LBB1088_14
; %bb.13:
	s_load_dwordx2 s[38:39], s[0:1], 0x0
	s_waitcnt lgkmcnt(0)
	s_ashr_i32 s11, s8, 31
	s_mul_hi_u32 s21, s5, s8
	s_mul_i32 s11, s5, s11
	s_add_i32 s41, s21, s11
	s_mul_i32 s40, s5, s8
	s_lshl_b64 s[40:41], s[40:41], 1
	s_add_u32 s5, s38, s40
	s_addc_u32 s8, s39, s41
	s_lshl_b32 s30, s4, 6
	s_lshl_b64 s[38:39], s[30:31], 1
	s_add_u32 s38, s5, s38
	s_addc_u32 s39, s8, s39
	v_lshlrev_b32_e32 v5, 2, v32
	global_load_dwordx4 v[10:13], v5, s[38:39]
.LBB1088_14:
	s_or_b64 exec, exec, s[36:37]
	s_waitcnt lgkmcnt(0)
	s_mul_i32 s8, s4, s10
	s_add_u32 s10, s8, s34
	s_addc_u32 s11, 0, s35
	v_mov_b64_e32 v[6:7], s[10:11]
	s_waitcnt vmcnt(4)
	v_mad_i64_i32 v[4:5], s[10:11], v4, s9, v[6:7]
	v_lshlrev_b32_e32 v6, 4, v0
	v_and_b32_e32 v30, 0xf0, v6
	v_lshl_add_u64 v[4:5], v[4:5], 0, v[30:31]
	global_load_dwordx4 v[26:29], v[4:5], off
	global_load_dwordx4 v[22:25], v[4:5], off offset:256
	global_load_dwordx4 v[18:21], v[4:5], off offset:512
	;; [unrolled: 1-line block ×3, first 2 shown]
	v_mov_b32_e32 v30, 0
	s_and_saveexec_b64 s[10:11], vcc
	s_cbranch_execz .LBB1088_16
; %bb.15:
	s_load_dwordx2 s[34:35], s[0:1], 0x40
	s_mov_b32 s5, s31
	s_lshl_b64 s[30:31], s[4:5], 2
	v_mov_b32_e32 v31, 1.0
	s_waitcnt lgkmcnt(0)
	s_add_u32 s30, s34, s30
	s_addc_u32 s31, s35, s31
	s_load_dword s5, s[30:31], 0x0
	s_waitcnt lgkmcnt(0)
	v_mov_b32_e32 v30, s5
.LBB1088_16:
	s_or_b64 exec, exec, s[10:11]
	s_add_u32 s10, s28, s8
	s_waitcnt vmcnt(7)
	v_mul_hi_i32 v4, v3, s9
	s_addc_u32 s11, s29, 0
	v_lshlrev_b32_e32 v38, 4, v32
	v_mov_b32_e32 v39, 0
	v_ashrrev_i32_e32 v4, 31, v4
	v_lshl_add_u64 v[40:41], s[10:11], 0, v[38:39]
	v_lshrrev_b32_e32 v38, 29, v4
	v_mad_i64_i32 v[4:5], s[10:11], v3, s9, v[38:39]
	s_waitcnt vmcnt(6)
	v_mul_hi_i32 v3, v2, s9
	v_ashrrev_i32_e32 v3, 31, v3
	s_waitcnt vmcnt(5)
	v_mul_hi_i32 v37, v36, s9
	v_lshrrev_b32_e32 v38, 29, v3
	v_ashrrev_i32_e32 v37, 31, v37
	v_mad_i64_i32 v[2:3], s[10:11], v2, s9, v[38:39]
	v_lshrrev_b32_e32 v38, 29, v37
	v_mad_i64_i32 v[36:37], s[10:11], v36, s9, v[38:39]
	s_waitcnt vmcnt(4)
	v_mul_hi_i32 v38, v35, s9
	v_ashrrev_i32_e32 v38, 31, v38
	v_lshrrev_b32_e32 v38, 29, v38
	v_and_b32_e32 v4, -8, v4
	v_mad_i64_i32 v[38:39], s[8:9], v35, s9, v[38:39]
	v_lshl_add_u64 v[42:43], v[40:41], 0, v[4:5]
	v_and_b32_e32 v2, -8, v2
	v_and_b32_e32 v36, -8, v36
	;; [unrolled: 1-line block ×3, first 2 shown]
	v_lshl_add_u64 v[44:45], v[40:41], 0, v[2:3]
	global_load_dwordx4 v[6:9], v[42:43], off
	global_load_dwordx4 v[2:5], v[44:45], off
	v_lshl_add_u64 v[36:37], v[40:41], 0, v[36:37]
	v_lshl_add_u64 v[38:39], v[40:41], 0, v[38:39]
	s_waitcnt vmcnt(5)
	v_cvt_pk_f32_fp8_e32 v[40:41], v26
	v_cvt_pk_f32_fp8_sdwa v[42:43], v26 src0_sel:WORD_1
	v_cvt_pk_f32_fp8_e32 v[44:45], v27
	v_cvt_pk_f32_fp8_sdwa v[26:27], v27 src0_sel:WORD_1
	s_load_dword s0, s[0:1], 0x1c
	s_mov_b32 s1, 0x7060302
	v_perm_b32 v40, v41, v40, s1
	v_perm_b32 v41, v43, v42, s1
	;; [unrolled: 1-line block ×3, first 2 shown]
	v_cvt_pk_f32_fp8_e32 v[26:27], v28
	v_mfma_f32_4x4x4_16b_bf16 a[0:3], v[10:11], v[40:41], 0 cbsz:4
	v_cvt_pk_f32_fp8_sdwa v[40:41], v28 src0_sel:WORD_1
	v_perm_b32 v42, v45, v44, s1
	v_perm_b32 v26, v27, v26, s1
	s_load_dword s5, s[12:13], 0x0
	v_mfma_f32_4x4x4_16b_bf16 a[0:3], v[12:13], v[42:43], a[0:3] cbsz:4
	v_cvt_pk_f32_fp8_e32 v[42:43], v29
	v_cvt_pk_f32_fp8_sdwa v[28:29], v29 src0_sel:WORD_1
	v_perm_b32 v27, v41, v40, s1
	v_cmp_eq_u32_e32 vcc, 1, v33
	v_perm_b32 v40, v43, v42, s1
	v_mfma_f32_4x4x4_16b_bf16 a[0:3], v[10:11], v[26:27], a[0:3] cbsz:4 abid:1
	v_perm_b32 v41, v29, v28, s1
	s_waitcnt vmcnt(4)
	v_cvt_pk_f32_fp8_e32 v[26:27], v22
	v_cvt_pk_f32_fp8_sdwa v[28:29], v22 src0_sel:WORD_1
	v_mfma_f32_4x4x4_16b_bf16 a[0:3], v[12:13], v[40:41], a[0:3] cbsz:4 abid:1
	v_cvt_pk_f32_fp8_e32 v[40:41], v23
	v_cvt_pk_f32_fp8_sdwa v[22:23], v23 src0_sel:WORD_1
	v_perm_b32 v26, v27, v26, s1
	v_perm_b32 v27, v29, v28, s1
	v_perm_b32 v28, v41, v40, s1
	v_perm_b32 v29, v23, v22, s1
	v_mfma_f32_4x4x4_16b_bf16 a[0:3], v[10:11], v[26:27], a[0:3] cbsz:4 abid:2
	v_cvt_pk_f32_fp8_e32 v[22:23], v24
	v_cvt_pk_f32_fp8_sdwa v[26:27], v24 src0_sel:WORD_1
	v_mfma_f32_4x4x4_16b_bf16 a[0:3], v[12:13], v[28:29], a[0:3] cbsz:4 abid:2
	v_cvt_pk_f32_fp8_e32 v[28:29], v25
	v_cvt_pk_f32_fp8_sdwa v[24:25], v25 src0_sel:WORD_1
	v_perm_b32 v22, v23, v22, s1
	v_perm_b32 v23, v27, v26, s1
	v_perm_b32 v26, v29, v28, s1
	v_perm_b32 v27, v25, v24, s1
	v_mfma_f32_4x4x4_16b_bf16 a[0:3], v[10:11], v[22:23], a[0:3] cbsz:4 abid:3
	s_waitcnt vmcnt(3)
	v_cvt_pk_f32_fp8_e32 v[22:23], v18
	v_cvt_pk_f32_fp8_sdwa v[24:25], v18 src0_sel:WORD_1
	v_mfma_f32_4x4x4_16b_bf16 a[0:3], v[12:13], v[26:27], a[0:3] cbsz:4 abid:3
	v_cvt_pk_f32_fp8_e32 v[26:27], v19
	v_cvt_pk_f32_fp8_sdwa v[18:19], v19 src0_sel:WORD_1
	v_perm_b32 v22, v23, v22, s1
	v_perm_b32 v23, v25, v24, s1
	v_perm_b32 v24, v27, v26, s1
	v_perm_b32 v25, v19, v18, s1
	v_mfma_f32_4x4x4_16b_bf16 a[0:3], v[10:11], v[22:23], a[0:3] cbsz:4 abid:4
	v_cvt_pk_f32_fp8_e32 v[18:19], v20
	v_cvt_pk_f32_fp8_sdwa v[22:23], v20 src0_sel:WORD_1
	v_mfma_f32_4x4x4_16b_bf16 a[0:3], v[12:13], v[24:25], a[0:3] cbsz:4 abid:4
	v_cvt_pk_f32_fp8_e32 v[24:25], v21
	v_cvt_pk_f32_fp8_sdwa v[20:21], v21 src0_sel:WORD_1
	v_perm_b32 v18, v19, v18, s1
	v_perm_b32 v19, v23, v22, s1
	v_perm_b32 v22, v25, v24, s1
	v_perm_b32 v23, v21, v20, s1
	v_mfma_f32_4x4x4_16b_bf16 a[0:3], v[10:11], v[18:19], a[0:3] cbsz:4 abid:5
	;; [unrolled: 21-line block ×3, first 2 shown]
	s_waitcnt lgkmcnt(0)
	v_mov_b32_e32 v10, s0
	v_mov_b32_e32 v25, 0xff7fffff
	v_mfma_f32_4x4x4_16b_bf16 a[0:3], v[12:13], v[18:19], a[0:3] cbsz:4 abid:7
	v_mul_f32_e32 v18, s5, v10
	s_nop 3
	v_accvgpr_read_b32 v11, a1
	v_accvgpr_read_b32 v10, a0
	v_pk_mul_f32 v[20:21], v[10:11], v[18:19] op_sel_hi:[1,0]
	global_load_dwordx4 v[14:17], v[36:37], off
	global_load_dwordx4 v[10:13], v[38:39], off
	v_accvgpr_read_b32 v23, a3
	v_accvgpr_read_b32 v22, a2
	v_pk_mul_f32 v[18:19], v[22:23], v[18:19] op_sel_hi:[1,0]
	v_mfma_f32_4x4x1_16b_f32 a[0:3], v20, v31, 0
	v_cndmask_b32_e64 v20, 0, 1.0, vcc
	v_cmp_eq_u32_e32 vcc, 2, v33
	s_nop 0
	v_mfma_f32_4x4x1_16b_f32 a[0:3], v21, v20, a[0:3]
	v_cndmask_b32_e64 v20, 0, 1.0, vcc
	v_cmp_eq_u32_e32 vcc, 3, v33
	s_nop 0
	v_mfma_f32_4x4x1_16b_f32 a[0:3], v18, v20, a[0:3]
	v_cndmask_b32_e64 v18, 0, 1.0, vcc
	s_nop 1
	v_mfma_f32_4x4x1_16b_f32 a[0:3], v19, v18, a[0:3]
	v_and_b32_e32 v18, -4, v34
	v_subrev_u32_e32 v19, s3, v18
	v_add_u32_e32 v20, 1, v19
	v_cvt_f32_i32_e32 v20, v20
	v_add_u32_e32 v21, 2, v19
	v_cvt_f32_i32_e32 v21, v21
	v_accvgpr_read_b32 v22, a0
	v_fma_f32 v20, v30, v20, v22
	v_accvgpr_read_b32 v22, a1
	v_fma_f32 v21, v30, v21, v22
	v_add_u32_e32 v22, 3, v19
	v_cvt_f32_i32_e32 v22, v22
	v_add_u32_e32 v19, 4, v19
	v_max_f32_e32 v24, 0xff7fffff, v20
	v_cmp_gt_i32_e32 vcc, s3, v18
	v_cvt_f32_i32_e32 v19, v19
	v_accvgpr_read_b32 v23, a2
	v_cndmask_b32_e32 v24, v25, v24, vcc
	v_or_b32_e32 v25, 1, v18
	v_max_f32_e32 v26, v24, v21
	v_cmp_gt_i32_e64 s[0:1], s3, v25
	v_fma_f32 v22, v30, v22, v23
	v_or_b32_e32 v18, 2, v18
	v_cndmask_b32_e64 v24, v24, v26, s[0:1]
	v_accvgpr_read_b32 v23, a3
	v_max_f32_e32 v25, v24, v22
	v_cmp_gt_i32_e64 s[8:9], s3, v18
	v_fmac_f32_e32 v23, v30, v19
	v_lshlrev_b32_e32 v19, 2, v0
	v_cndmask_b32_e64 v18, v24, v25, s[8:9]
	v_or_b32_e32 v24, 3, v34
	v_max_f32_e32 v25, v18, v23
	v_cmp_gt_i32_e64 s[10:11], s3, v24
	v_and_or_b32 v19, v19, 48, v33
	s_nop 0
	v_cndmask_b32_e64 v18, v18, v25, s[10:11]
	;;#ASMSTART
	v_nop
 v_nop
 v_max_f32_dpp v18, v18, v18 row_ror:4
	;;#ASMEND
	v_lshlrev_b32_e32 v25, 2, v19
	;;#ASMSTART
	v_nop
 v_nop
 v_max_f32_dpp v18, v18, v18 row_ror:8
	;;#ASMEND
	ds_bpermute_b32 v18, v25, v18
	s_waitcnt lgkmcnt(0)
	;;#ASMSTART
	v_nop
 v_nop
 v_max_f32_dpp v18, v18, v18 row_ror:4
	;;#ASMEND
	s_nop 0
	;;#ASMSTART
	v_nop
 v_nop
 v_max_f32_dpp v24, v18, v18 row_ror:8
	;;#ASMEND
	s_nop 0
	v_sub_f32_e32 v18, v20, v24
	v_mul_f32_e32 v18, 0x3fb8aa3b, v18
	v_sub_f32_e32 v19, v21, v24
	v_exp_f32_e32 v18, v18
	v_mul_f32_e32 v19, 0x3fb8aa3b, v19
	v_sub_f32_e32 v21, v22, v24
	v_exp_f32_e32 v19, v19
	;; [unrolled: 3-line block ×3, first 2 shown]
	v_mul_f32_e32 v22, 0x3fb8aa3b, v22
	v_exp_f32_e32 v22, v22
	v_cndmask_b32_e32 v18, 0, v18, vcc
	v_add_f32_e32 v20, 0, v18
	v_cndmask_b32_e64 v19, 0, v19, s[0:1]
	v_add_f32_e32 v23, v20, v19
	v_cndmask_b32_e64 v20, 0, v21, s[8:9]
	;; [unrolled: 2-line block ×3, first 2 shown]
	v_add_f32_e32 v22, v23, v21
	;;#ASMSTART
	v_nop
 v_nop
 v_add_f32_dpp v22, v22, v22 row_ror:4
	;;#ASMEND
	v_cmp_gt_u32_e32 vcc, 4, v32
	;;#ASMSTART
	v_nop
 v_nop
 v_add_f32_dpp v22, v22, v22 row_ror:8
	;;#ASMEND
	ds_bpermute_b32 v22, v25, v22
	s_waitcnt lgkmcnt(0)
	;;#ASMSTART
	v_nop
 v_nop
 v_add_f32_dpp v22, v22, v22 row_ror:4
	;;#ASMEND
	s_nop 0
	;;#ASMSTART
	v_nop
 v_nop
 v_add_f32_dpp v22, v22, v22 row_ror:8
	;;#ASMEND
	s_and_saveexec_b64 s[0:1], vcc
	s_cbranch_execz .LBB1088_18
; %bb.17:
	v_mul_u32_u24_e32 v23, 20, v1
	v_lshl_add_u32 v23, v33, 2, v23
	v_add_u32_e32 v23, 0x800, v23
	ds_write2_b32 v23, v24, v22 offset0:128 offset1:148
.LBB1088_18:
	s_or_b64 exec, exec, s[0:1]
.LBB1088_19:
	s_or_b64 exec, exec, s[26:27]
	s_waitcnt lgkmcnt(0)
	s_barrier
	s_load_dword s0, s[24:25], 0x8
	v_lshlrev_b32_e32 v22, 2, v33
	v_add_u32_e32 v30, 0x800, v22
	ds_read2_b32 v[22:23], v30 offset0:128 offset1:133
	ds_read2_b32 v[26:27], v30 offset0:138 offset1:143
	s_mul_i32 s1, s33, s2
	s_waitcnt lgkmcnt(0)
	s_mul_i32 s0, s1, s0
	s_mov_b32 s1, 0xff7fffff
	v_max3_f32 v25, v22, s1, v23
	v_max3_f32 v25, v25, v26, v27
	v_sub_f32_e32 v22, v22, v25
	ds_read2_b32 v[28:29], v30 offset0:148 offset1:153
	v_mul_f32_e32 v22, 0x3fb8aa3b, v22
	v_sub_f32_e32 v23, v23, v25
	v_sub_f32_e32 v26, v26, v25
	v_exp_f32_e32 v34, v22
	v_mul_f32_e32 v23, 0x3fb8aa3b, v23
	v_mul_f32_e32 v26, 0x3fb8aa3b, v26
	v_exp_f32_e32 v23, v23
	ds_read2_b32 v[30:31], v30 offset0:158 offset1:163
	v_exp_f32_e32 v35, v26
	v_sub_f32_e32 v26, v27, v25
	v_mul_f32_e32 v26, 0x3fb8aa3b, v26
	v_exp_f32_e32 v27, v26
	s_waitcnt lgkmcnt(1)
	v_fma_f32 v26, v34, v28, 0
	v_fmac_f32_e32 v26, v23, v29
	s_waitcnt lgkmcnt(0)
	v_fmac_f32_e32 v26, v35, v30
	v_mov_b32_e32 v22, 0
	v_fmac_f32_e32 v26, v27, v31
	s_mov_b32 s1, 0
	v_cmp_eq_u32_e32 vcc, 0, v33
	s_and_saveexec_b64 s[2:3], vcc
	s_cbranch_execz .LBB1088_21
; %bb.20:
	s_lshl_b64 s[8:9], s[0:1], 2
	s_add_u32 s5, s16, s8
	s_mov_b32 s21, s1
	s_addc_u32 s12, s17, s9
	s_lshl_b64 s[10:11], s[20:21], 2
	s_add_u32 s5, s5, s10
	s_addc_u32 s12, s12, s11
	s_add_u32 s8, s18, s8
	s_addc_u32 s9, s19, s9
	;; [unrolled: 2-line block ×3, first 2 shown]
	s_mul_i32 s8, s33, s4
	s_mov_b32 s9, s1
	s_lshl_b64 s[8:9], s[8:9], 2
	s_add_u32 s10, s5, s8
	s_addc_u32 s11, s12, s9
	s_add_u32 s8, s13, s8
	s_addc_u32 s9, s16, s9
	global_store_dword v22, v25, s[8:9]
	global_store_dword v22, v26, s[10:11]
.LBB1088_21:
	s_or_b64 exec, exec, s[2:3]
	v_mov_b32_e32 v23, 0
	s_and_saveexec_b64 s[2:3], s[6:7]
	s_cbranch_execz .LBB1088_23
; %bb.22:
	v_add_f32_e32 v22, 0x358637bd, v26
	v_div_scale_f32 v23, s[6:7], v22, v22, 1.0
	v_rcp_f32_e32 v26, v23
	v_div_scale_f32 v27, vcc, 1.0, v22, 1.0
	v_sub_f32_e32 v24, v24, v25
	v_fma_f32 v28, -v23, v26, 1.0
	v_fmac_f32_e32 v26, v28, v26
	v_mul_f32_e32 v28, v27, v26
	v_fma_f32 v29, -v23, v28, v27
	v_mul_f32_e32 v24, 0x3fb8aa3b, v24
	v_fmac_f32_e32 v28, v29, v26
	v_exp_f32_e32 v24, v24
	v_fma_f32 v23, -v23, v28, v27
	v_div_fmas_f32 v23, v23, v26, v28
	v_div_fixup_f32 v22, v23, v22, 1.0
	v_mul_f32_e32 v22, v24, v22
	v_pk_mul_f32 v[18:19], v[18:19], v[22:23] op_sel_hi:[1,0]
	v_pk_mul_f32 v[20:21], v[20:21], v[22:23] op_sel_hi:[1,0]
	v_bfe_u32 v22, v19, 16, 1
	v_bfe_u32 v23, v18, 16, 1
	s_movk_i32 s1, 0x7fff
	v_add3_u32 v18, v18, v23, s1
	v_add3_u32 v19, v19, v22, s1
	s_mov_b32 s5, 0x7060302
	v_perm_b32 v18, v19, v18, s5
	v_bfe_u32 v19, v21, 16, 1
	v_bfe_u32 v22, v20, 16, 1
	v_add3_u32 v22, v20, v22, s1
	v_add3_u32 v19, v21, v19, s1
	s_waitcnt vmcnt(3)
	v_cvt_pk_f32_fp8_e32 v[20:21], v6
	v_perm_b32 v19, v19, v22, s5
	v_cvt_pk_f32_fp8_sdwa v[22:23], v6 src0_sel:WORD_1
	v_cvt_pk_f32_fp8_e32 v[24:25], v7
	v_perm_b32 v6, v21, v20, s5
	v_cvt_pk_f32_fp8_sdwa v[20:21], v7 src0_sel:WORD_1
	v_perm_b32 v7, v23, v22, s5
	v_perm_b32 v22, v25, v24, s5
	s_load_dword s6, s[14:15], 0x0
	v_mfma_f32_4x4x4_16b_bf16 a[0:3], v[18:19], v[6:7], 0 cbsz:4
	v_perm_b32 v23, v21, v20, s5
	v_cvt_pk_f32_fp8_e32 v[6:7], v8
	v_cvt_pk_f32_fp8_sdwa v[20:21], v8 src0_sel:WORD_1
	v_mfma_f32_4x4x4_16b_bf16 a[0:3], v[18:19], v[22:23], a[0:3] cbsz:4 abid:1
	v_cvt_pk_f32_fp8_e32 v[22:23], v9
	v_cvt_pk_f32_fp8_sdwa v[8:9], v9 src0_sel:WORD_1
	v_perm_b32 v6, v7, v6, s5
	v_perm_b32 v7, v21, v20, s5
	;; [unrolled: 1-line block ×4, first 2 shown]
	v_mfma_f32_4x4x4_16b_bf16 a[0:3], v[18:19], v[6:7], a[0:3] cbsz:4 abid:2
	s_waitcnt vmcnt(2)
	v_cvt_pk_f32_fp8_e32 v[6:7], v2
	v_cvt_pk_f32_fp8_sdwa v[8:9], v2 src0_sel:WORD_1
	v_mfma_f32_4x4x4_16b_bf16 a[0:3], v[18:19], v[20:21], a[0:3] cbsz:4 abid:3
	v_cvt_pk_f32_fp8_e32 v[20:21], v3
	v_perm_b32 v2, v7, v6, s5
	v_cvt_pk_f32_fp8_sdwa v[6:7], v3 src0_sel:WORD_1
	v_perm_b32 v3, v9, v8, s5
	v_perm_b32 v8, v21, v20, s5
	;; [unrolled: 1-line block ×3, first 2 shown]
	v_mfma_f32_4x4x4_16b_bf16 a[0:3], v[18:19], v[2:3], a[0:3] cbsz:4 abid:4
	v_cvt_pk_f32_fp8_e32 v[2:3], v4
	v_cvt_pk_f32_fp8_sdwa v[6:7], v4 src0_sel:WORD_1
	v_mfma_f32_4x4x4_16b_bf16 a[0:3], v[18:19], v[8:9], a[0:3] cbsz:4 abid:5
	v_cvt_pk_f32_fp8_e32 v[8:9], v5
	v_cvt_pk_f32_fp8_sdwa v[4:5], v5 src0_sel:WORD_1
	v_perm_b32 v2, v3, v2, s5
	v_perm_b32 v3, v7, v6, s5
	;; [unrolled: 1-line block ×4, first 2 shown]
	v_mfma_f32_4x4x4_16b_bf16 a[0:3], v[18:19], v[2:3], a[0:3] cbsz:4 abid:6
	s_waitcnt vmcnt(1)
	v_cvt_pk_f32_fp8_e32 v[2:3], v14
	v_cvt_pk_f32_fp8_sdwa v[4:5], v14 src0_sel:WORD_1
	v_mfma_f32_4x4x4_16b_bf16 a[0:3], v[18:19], v[6:7], a[0:3] cbsz:4 abid:7
	v_cvt_pk_f32_fp8_e32 v[6:7], v15
	v_cvt_pk_f32_fp8_sdwa v[8:9], v15 src0_sel:WORD_1
	v_perm_b32 v2, v3, v2, s5
	v_perm_b32 v3, v5, v4, s5
	;; [unrolled: 1-line block ×4, first 2 shown]
	v_mfma_f32_4x4x4_16b_bf16 a[0:3], v[18:19], v[2:3], a[0:3] cbsz:4 abid:8
	v_cvt_pk_f32_fp8_e32 v[2:3], v16
	v_cvt_pk_f32_fp8_e32 v[6:7], v17
	v_mfma_f32_4x4x4_16b_bf16 a[0:3], v[18:19], v[4:5], a[0:3] cbsz:4 abid:9
	v_cvt_pk_f32_fp8_sdwa v[4:5], v16 src0_sel:WORD_1
	v_cvt_pk_f32_fp8_sdwa v[8:9], v17 src0_sel:WORD_1
	v_perm_b32 v2, v3, v2, s5
	v_perm_b32 v3, v5, v4, s5
	;; [unrolled: 1-line block ×3, first 2 shown]
	s_nop 0
	v_mfma_f32_4x4x4_16b_bf16 a[0:3], v[18:19], v[2:3], a[0:3] cbsz:4 abid:10
	v_perm_b32 v5, v9, v8, s5
	s_waitcnt vmcnt(0)
	v_cvt_pk_f32_fp8_e32 v[2:3], v10
	v_cvt_pk_f32_fp8_e32 v[6:7], v11
	v_mfma_f32_4x4x4_16b_bf16 a[0:3], v[18:19], v[4:5], a[0:3] cbsz:4 abid:11
	v_cvt_pk_f32_fp8_sdwa v[4:5], v10 src0_sel:WORD_1
	v_cvt_pk_f32_fp8_sdwa v[8:9], v11 src0_sel:WORD_1
	v_perm_b32 v2, v3, v2, s5
	v_perm_b32 v3, v5, v4, s5
	;; [unrolled: 1-line block ×3, first 2 shown]
	s_nop 0
	v_mfma_f32_4x4x4_16b_bf16 a[0:3], v[18:19], v[2:3], a[0:3] cbsz:4 abid:12
	v_perm_b32 v5, v9, v8, s5
	v_cvt_pk_f32_fp8_e32 v[2:3], v12
	v_cvt_pk_f32_fp8_e32 v[6:7], v13
	v_mfma_f32_4x4x4_16b_bf16 a[0:3], v[18:19], v[4:5], a[0:3] cbsz:4 abid:13
	v_cvt_pk_f32_fp8_sdwa v[4:5], v12 src0_sel:WORD_1
	v_cvt_pk_f32_fp8_sdwa v[8:9], v13 src0_sel:WORD_1
	v_perm_b32 v2, v3, v2, s5
	v_perm_b32 v3, v5, v4, s5
	;; [unrolled: 1-line block ×3, first 2 shown]
	s_nop 0
	v_mfma_f32_4x4x4_16b_bf16 a[0:3], v[18:19], v[2:3], a[0:3] cbsz:4 abid:14
	v_perm_b32 v5, v9, v8, s5
	s_nop 1
	v_mfma_f32_4x4x4_16b_bf16 a[0:3], v[18:19], v[4:5], a[0:3] cbsz:4 abid:15
	s_nop 4
	v_accvgpr_read_b32 v5, a1
	v_accvgpr_read_b32 v4, a0
	;; [unrolled: 1-line block ×4, first 2 shown]
	s_waitcnt lgkmcnt(0)
	v_pk_mul_f32 v[4:5], v[4:5], s[6:7] op_sel_hi:[1,0]
	v_pk_mul_f32 v[2:3], v[2:3], s[6:7] op_sel_hi:[1,0]
	v_bfe_u32 v6, v5, 16, 1
	v_bfe_u32 v7, v4, 16, 1
	v_add3_u32 v4, v4, v7, s1
	v_add3_u32 v5, v5, v6, s1
	v_bfe_u32 v6, v3, 16, 1
	v_bfe_u32 v7, v2, 16, 1
	v_add3_u32 v2, v2, v7, s1
	v_add3_u32 v3, v3, v6, s1
	v_perm_b32 v23, v3, v2, s5
	v_perm_b32 v22, v5, v4, s5
.LBB1088_23:
	s_or_b64 exec, exec, s[2:3]
	v_lshlrev_b32_e32 v1, 3, v1
	v_mad_u32_u24 v1, v32, 40, v1
	v_cmp_gt_u32_e32 vcc, 64, v0
	ds_write_b64 v1, v[22:23]
	s_waitcnt lgkmcnt(0)
	s_barrier
	s_and_saveexec_b64 s[2:3], vcc
	s_cbranch_execz .LBB1088_25
; %bb.24:
	s_waitcnt vmcnt(3)
	v_mul_u32_u24_e32 v6, 40, v32
	s_waitcnt vmcnt(2)
	ds_read2_b64 v[2:5], v6 offset1:1
	ds_read2_b64 v[6:9], v6 offset0:2 offset1:3
	s_lshl_b32 s0, s0, 6
	s_mov_b32 s1, 0
	s_lshl_b64 s[2:3], s[0:1], 1
	s_waitcnt lgkmcnt(1)
	v_lshlrev_b32_e32 v2, 16, v2
	v_add_f32_e32 v2, 0, v2
	s_add_u32 s2, s22, s2
	v_and_b32_e32 v2, 0xffff0000, v2
	v_lshlrev_b32_e32 v3, 16, v4
	s_addc_u32 s3, s23, s3
	s_lshl_b32 s0, s20, 6
	v_add_f32_e32 v2, v2, v3
	s_lshl_b64 s[0:1], s[0:1], 1
	v_and_b32_e32 v2, 0xffff0000, v2
	s_waitcnt lgkmcnt(0)
	v_lshlrev_b32_e32 v3, 16, v6
	s_add_u32 s0, s2, s0
	s_mul_i32 s2, s4, s33
	v_add_f32_e32 v2, v2, v3
	s_addc_u32 s1, s3, s1
	v_lshl_or_b32 v0, s2, 6, v0
	v_mov_b32_e32 v1, 0
	v_and_b32_e32 v2, 0xffff0000, v2
	v_lshlrev_b32_e32 v3, 16, v8
	v_lshl_add_u64 v[0:1], v[0:1], 1, s[0:1]
	v_add_f32_e32 v2, v2, v3
	global_store_short_d16_hi v[0:1], v2, off
.LBB1088_25:
	s_endpgm
	.section	.rodata,"a",@progbits
	.p2align	6, 0x0
	.amdhsa_kernel _Z38paged_attention_ll4mi_QKV_mfma4_kernelI14__hip_bfloat16hLN4vllm18Fp8KVCacheDataTypeE1EhLi16ELi64ELi256ELb1ELi1EEvPKT_PKT0_S8_ifPKiSA_SA_iPKfiiiPfSD_PS3_PT2_iSC_SC_
		.amdhsa_group_segment_fixed_size 2720
		.amdhsa_private_segment_fixed_size 0
		.amdhsa_kernarg_size 400
		.amdhsa_user_sgpr_count 2
		.amdhsa_user_sgpr_dispatch_ptr 0
		.amdhsa_user_sgpr_queue_ptr 0
		.amdhsa_user_sgpr_kernarg_segment_ptr 1
		.amdhsa_user_sgpr_dispatch_id 0
		.amdhsa_user_sgpr_kernarg_preload_length 0
		.amdhsa_user_sgpr_kernarg_preload_offset 0
		.amdhsa_user_sgpr_private_segment_size 0
		.amdhsa_uses_dynamic_stack 0
		.amdhsa_enable_private_segment 0
		.amdhsa_system_sgpr_workgroup_id_x 1
		.amdhsa_system_sgpr_workgroup_id_y 1
		.amdhsa_system_sgpr_workgroup_id_z 1
		.amdhsa_system_sgpr_workgroup_info 0
		.amdhsa_system_vgpr_workitem_id 0
		.amdhsa_next_free_vgpr 52
		.amdhsa_next_free_sgpr 42
		.amdhsa_accum_offset 48
		.amdhsa_reserve_vcc 1
		.amdhsa_float_round_mode_32 0
		.amdhsa_float_round_mode_16_64 0
		.amdhsa_float_denorm_mode_32 3
		.amdhsa_float_denorm_mode_16_64 3
		.amdhsa_dx10_clamp 1
		.amdhsa_ieee_mode 1
		.amdhsa_fp16_overflow 0
		.amdhsa_tg_split 0
		.amdhsa_exception_fp_ieee_invalid_op 0
		.amdhsa_exception_fp_denorm_src 0
		.amdhsa_exception_fp_ieee_div_zero 0
		.amdhsa_exception_fp_ieee_overflow 0
		.amdhsa_exception_fp_ieee_underflow 0
		.amdhsa_exception_fp_ieee_inexact 0
		.amdhsa_exception_int_div_zero 0
	.end_amdhsa_kernel
	.section	.text._Z38paged_attention_ll4mi_QKV_mfma4_kernelI14__hip_bfloat16hLN4vllm18Fp8KVCacheDataTypeE1EhLi16ELi64ELi256ELb1ELi1EEvPKT_PKT0_S8_ifPKiSA_SA_iPKfiiiPfSD_PS3_PT2_iSC_SC_,"axG",@progbits,_Z38paged_attention_ll4mi_QKV_mfma4_kernelI14__hip_bfloat16hLN4vllm18Fp8KVCacheDataTypeE1EhLi16ELi64ELi256ELb1ELi1EEvPKT_PKT0_S8_ifPKiSA_SA_iPKfiiiPfSD_PS3_PT2_iSC_SC_,comdat
.Lfunc_end1088:
	.size	_Z38paged_attention_ll4mi_QKV_mfma4_kernelI14__hip_bfloat16hLN4vllm18Fp8KVCacheDataTypeE1EhLi16ELi64ELi256ELb1ELi1EEvPKT_PKT0_S8_ifPKiSA_SA_iPKfiiiPfSD_PS3_PT2_iSC_SC_, .Lfunc_end1088-_Z38paged_attention_ll4mi_QKV_mfma4_kernelI14__hip_bfloat16hLN4vllm18Fp8KVCacheDataTypeE1EhLi16ELi64ELi256ELb1ELi1EEvPKT_PKT0_S8_ifPKiSA_SA_iPKfiiiPfSD_PS3_PT2_iSC_SC_
                                        ; -- End function
	.section	.AMDGPU.csdata,"",@progbits
; Kernel info:
; codeLenInByte = 4052
; NumSgprs: 48
; NumVgprs: 46
; NumAgprs: 4
; TotalNumVgprs: 52
; ScratchSize: 0
; MemoryBound: 0
; FloatMode: 240
; IeeeMode: 1
; LDSByteSize: 2720 bytes/workgroup (compile time only)
; SGPRBlocks: 5
; VGPRBlocks: 6
; NumSGPRsForWavesPerEU: 48
; NumVGPRsForWavesPerEU: 52
; AccumOffset: 48
; Occupancy: 8
; WaveLimiterHint : 1
; COMPUTE_PGM_RSRC2:SCRATCH_EN: 0
; COMPUTE_PGM_RSRC2:USER_SGPR: 2
; COMPUTE_PGM_RSRC2:TRAP_HANDLER: 0
; COMPUTE_PGM_RSRC2:TGID_X_EN: 1
; COMPUTE_PGM_RSRC2:TGID_Y_EN: 1
; COMPUTE_PGM_RSRC2:TGID_Z_EN: 1
; COMPUTE_PGM_RSRC2:TIDIG_COMP_CNT: 0
; COMPUTE_PGM_RSRC3_GFX90A:ACCUM_OFFSET: 11
; COMPUTE_PGM_RSRC3_GFX90A:TG_SPLIT: 0
	.section	.text._Z38paged_attention_ll4mi_QKV_mfma4_kernelI14__hip_bfloat16hLN4vllm18Fp8KVCacheDataTypeE1EhLi16ELi64ELi256ELb1ELi2EEvPKT_PKT0_S8_ifPKiSA_SA_iPKfiiiPfSD_PS3_PT2_iSC_SC_,"axG",@progbits,_Z38paged_attention_ll4mi_QKV_mfma4_kernelI14__hip_bfloat16hLN4vllm18Fp8KVCacheDataTypeE1EhLi16ELi64ELi256ELb1ELi2EEvPKT_PKT0_S8_ifPKiSA_SA_iPKfiiiPfSD_PS3_PT2_iSC_SC_,comdat
	.protected	_Z38paged_attention_ll4mi_QKV_mfma4_kernelI14__hip_bfloat16hLN4vllm18Fp8KVCacheDataTypeE1EhLi16ELi64ELi256ELb1ELi2EEvPKT_PKT0_S8_ifPKiSA_SA_iPKfiiiPfSD_PS3_PT2_iSC_SC_ ; -- Begin function _Z38paged_attention_ll4mi_QKV_mfma4_kernelI14__hip_bfloat16hLN4vllm18Fp8KVCacheDataTypeE1EhLi16ELi64ELi256ELb1ELi2EEvPKT_PKT0_S8_ifPKiSA_SA_iPKfiiiPfSD_PS3_PT2_iSC_SC_
	.globl	_Z38paged_attention_ll4mi_QKV_mfma4_kernelI14__hip_bfloat16hLN4vllm18Fp8KVCacheDataTypeE1EhLi16ELi64ELi256ELb1ELi2EEvPKT_PKT0_S8_ifPKiSA_SA_iPKfiiiPfSD_PS3_PT2_iSC_SC_
	.p2align	8
	.type	_Z38paged_attention_ll4mi_QKV_mfma4_kernelI14__hip_bfloat16hLN4vllm18Fp8KVCacheDataTypeE1EhLi16ELi64ELi256ELb1ELi2EEvPKT_PKT0_S8_ifPKiSA_SA_iPKfiiiPfSD_PS3_PT2_iSC_SC_,@function
_Z38paged_attention_ll4mi_QKV_mfma4_kernelI14__hip_bfloat16hLN4vllm18Fp8KVCacheDataTypeE1EhLi16ELi64ELi256ELb1ELi2EEvPKT_PKT0_S8_ifPKiSA_SA_iPKfiiiPfSD_PS3_PT2_iSC_SC_: ; @_Z38paged_attention_ll4mi_QKV_mfma4_kernelI14__hip_bfloat16hLN4vllm18Fp8KVCacheDataTypeE1EhLi16ELi64ELi256ELb1ELi2EEvPKT_PKT0_S8_ifPKiSA_SA_iPKfiiiPfSD_PS3_PT2_iSC_SC_
; %bb.0:
	s_load_dwordx2 s[16:17], s[0:1], 0x30
	s_mov_b32 s20, s3
	s_mov_b64 s[6:7], 0
	s_waitcnt lgkmcnt(0)
	s_cmp_lg_u64 s[16:17], 0
	s_cselect_b64 s[18:19], -1, 0
	s_and_b64 vcc, exec, s[18:19]
	s_cbranch_vccz .LBB1089_10
; %bb.1:
	s_add_i32 s8, s2, 1
	s_mov_b32 s9, 0
	s_lshl_b64 s[10:11], s[8:9], 2
	s_add_u32 s10, s16, s10
	s_mov_b32 s3, s9
	s_addc_u32 s11, s17, s11
	s_lshl_b64 s[8:9], s[2:3], 2
	s_add_u32 s8, s16, s8
	s_addc_u32 s9, s17, s9
	s_load_dword s5, s[10:11], 0x0
	s_load_dword s12, s[8:9], 0x0
	s_waitcnt lgkmcnt(0)
	s_sub_i32 s5, s5, s12
	s_cmp_eq_u32 s5, 1
	s_cselect_b64 s[8:9], -1, 0
	s_andn2_b64 vcc, exec, s[6:7]
	s_cbranch_vccnz .LBB1089_3
.LBB1089_2:
	s_mov_b32 s3, 0
	s_mov_b64 s[8:9], -1
.LBB1089_3:
	s_andn2_b64 vcc, exec, s[8:9]
	s_cbranch_vccnz .LBB1089_25
; %bb.4:
	s_load_dword s5, s[0:1], 0x9c
	s_load_dwordx2 s[6:7], s[0:1], 0x28
	s_add_u32 s24, s0, 0x90
	s_addc_u32 s25, s1, 0
	s_lshl_b64 s[28:29], s[2:3], 2
	s_waitcnt lgkmcnt(0)
	s_and_b32 s5, s5, 0xffff
	s_add_u32 s6, s6, s28
	s_addc_u32 s7, s7, s29
	s_load_dword s3, s[6:7], 0x0
	s_mul_i32 s5, s20, s5
	s_waitcnt lgkmcnt(0)
	s_cmp_ge_i32 s5, s3
	s_cbranch_scc1 .LBB1089_25
; %bb.5:
	v_and_b32_e32 v2, 0xc0, v0
	v_add_u32_e32 v4, s5, v2
	v_lshrrev_b32_e32 v1, 6, v0
	v_cmp_gt_i32_e64 s[6:7], s3, v4
	v_cmp_le_i32_e32 vcc, s3, v4
                                        ; implicit-def: $sgpr30
                                        ; implicit-def: $sgpr21
	s_and_saveexec_b64 s[8:9], vcc
	s_xor_b64 s[8:9], exec, s[8:9]
	s_cbranch_execz .LBB1089_7
; %bb.6:
	v_mul_u32_u24_e32 v2, 20, v1
	v_or_b32_e32 v2, 0xa00, v2
	v_mov_b32_e32 v3, 0xa50
	v_mov_b32_e32 v4, 0xff7fffff
	v_mad_u32_u24 v3, v1, 20, v3
	ds_write2_b32 v2, v4, v4 offset1:1
	v_mov_b32_e32 v2, 0
	ds_write2_b32 v3, v2, v2 offset1:1
	v_mov_b32_e32 v3, 0xa08
	s_mov_b32 s21, 0xff7fffff
	s_mov_b32 s30, 0
	v_mad_u32_u24 v3, v1, 20, v3
	v_mov_b32_e32 v5, 0xa58
	v_mad_u32_u24 v5, v1, 20, v5
	ds_write2_b32 v3, v4, v4 offset1:1
	ds_write2_b32 v5, v2, v2 offset1:1
                                        ; implicit-def: $vgpr4
.LBB1089_7:
	s_or_saveexec_b64 s[26:27], s[8:9]
	s_load_dwordx2 s[22:23], s[0:1], 0x68
	s_load_dwordx4 s[12:15], s[0:1], 0x58
	s_load_dword s38, s[24:25], 0x4
	s_load_dwordx4 s[8:11], s[0:1], 0x80
	v_and_b32_e32 v38, 63, v0
	v_and_b32_e32 v39, 3, v0
	s_lshl_b32 s33, s4, 1
	v_mov_b32_e32 v21, s30
	v_mov_b32_e32 v24, s21
	;; [unrolled: 1-line block ×5, first 2 shown]
                                        ; implicit-def: $vgpr14_vgpr15
                                        ; implicit-def: $vgpr10_vgpr11
                                        ; implicit-def: $vgpr6_vgpr7
                                        ; implicit-def: $vgpr2_vgpr3
	s_xor_b64 exec, exec, s[26:27]
	s_cbranch_execz .LBB1089_19
; %bb.8:
	s_load_dwordx2 s[30:31], s[0:1], 0x20
	s_load_dword s21, s[0:1], 0x38
	s_add_i32 s34, s3, 15
	s_ashr_i32 s35, s34, 31
	s_lshr_b32 s35, s35, 28
	v_add_u32_e32 v40, s5, v0
	s_add_i32 s34, s34, s35
	v_ashrrev_i32_e32 v2, 31, v40
	s_ashr_i32 s34, s34, 4
	v_lshrrev_b32_e32 v2, 28, v2
	s_add_i32 s36, s34, -1
	s_waitcnt lgkmcnt(0)
	s_mul_i32 s34, s2, s21
	s_mov_b32 s35, 0
	v_add_u32_e32 v2, v40, v2
	s_lshl_b64 s[34:35], s[34:35], 2
	v_ashrrev_i32_e32 v2, 4, v2
	v_mov_b32_e32 v3, s36
	v_cmp_gt_i32_e32 vcc, s3, v40
	s_add_u32 s30, s30, s34
	s_addc_u32 s31, s31, s35
	v_cndmask_b32_e32 v2, v3, v2, vcc
	v_ashrrev_i32_e32 v3, 31, v2
	v_lshl_add_u64 v[8:9], v[2:3], 2, s[30:31]
	v_ashrrev_i32_e32 v2, 31, v4
	v_lshrrev_b32_e32 v2, 28, v2
	v_add_u32_e32 v2, v4, v2
	v_ashrrev_i32_e32 v4, 4, v2
	v_min_i32_e32 v2, s36, v4
	v_ashrrev_i32_e32 v3, 31, v2
	v_lshl_add_u64 v[10:11], v[2:3], 2, s[30:31]
	v_add_u32_e32 v2, 1, v4
	v_min_i32_e32 v2, s36, v2
	v_ashrrev_i32_e32 v3, 31, v2
	v_lshl_add_u64 v[12:13], v[2:3], 2, s[30:31]
	v_add_u32_e32 v2, 2, v4
	;; [unrolled: 4-line block ×3, first 2 shown]
	v_min_i32_e32 v2, s36, v2
	v_ashrrev_i32_e32 v3, 31, v2
	v_lshl_add_u64 v[16:17], v[2:3], 2, s[30:31]
	global_load_dword v2, v[8:9], off
	global_load_dword v7, v[10:11], off
	;; [unrolled: 1-line block ×5, first 2 shown]
	s_load_dwordx2 s[30:31], s[0:1], 0x8
	s_andn2_b64 vcc, exec, s[18:19]
	s_cbranch_vccnz .LBB1089_11
; %bb.9:
	s_add_u32 s16, s16, s28
	s_addc_u32 s17, s17, s29
	s_load_dword s5, s[16:17], 0x0
	s_branch .LBB1089_12
.LBB1089_10:
	s_mov_b64 s[8:9], 0
	s_branch .LBB1089_2
.LBB1089_11:
	s_mov_b32 s5, s2
.LBB1089_12:
	s_load_dwordx2 s[28:29], s[0:1], 0x10
	s_load_dwordx4 s[16:19], s[0:1], 0x48
	v_cmp_gt_u32_e32 vcc, 2, v39
	s_mov_b32 s37, 0
	v_mov_b32_e32 v3, 0
	v_mov_b32_e32 v18, 0
	;; [unrolled: 1-line block ×5, first 2 shown]
	s_and_saveexec_b64 s[34:35], vcc
	s_cbranch_execz .LBB1089_14
; %bb.13:
	s_load_dwordx2 s[40:41], s[0:1], 0x0
	s_waitcnt lgkmcnt(0)
	s_ashr_i32 s19, s16, 31
	s_mul_hi_u32 s21, s5, s16
	s_mul_i32 s19, s5, s19
	s_add_i32 s43, s21, s19
	s_mul_i32 s42, s5, s16
	s_lshl_b64 s[42:43], s[42:43], 1
	s_add_u32 s5, s40, s42
	s_addc_u32 s16, s41, s43
	s_lshl_b32 s36, s4, 7
	s_lshl_b64 s[36:37], s[36:37], 1
	s_add_u32 s36, s5, s36
	v_lshlrev_b32_e32 v8, 3, v39
	v_lshrrev_b32_e32 v9, 2, v38
	s_addc_u32 s37, s16, s37
	v_add_lshl_u32 v8, v8, v9, 4
	global_load_dwordx4 v[18:21], v8, s[36:37]
.LBB1089_14:
	s_or_b64 exec, exec, s[34:35]
	s_waitcnt lgkmcnt(0)
	s_mul_i32 s16, s4, s18
	s_add_u32 s4, s16, s30
	s_addc_u32 s5, 0, s31
	v_mov_b64_e32 v[8:9], s[4:5]
	s_waitcnt vmcnt(4)
	v_mad_i64_i32 v[8:9], s[4:5], v2, s17, v[8:9]
	v_lshlrev_b32_e32 v2, 4, v0
	v_and_b32_e32 v2, 0xf0, v2
	v_lshl_add_u64 v[8:9], v[8:9], 0, v[2:3]
	global_load_dwordx4 v[34:37], v[8:9], off
	global_load_dwordx4 v[30:33], v[8:9], off offset:256
	global_load_dwordx4 v[26:29], v[8:9], off offset:512
	;; [unrolled: 1-line block ×3, first 2 shown]
	v_mov_b32_e32 v41, 0
	s_and_saveexec_b64 s[4:5], vcc
	s_cbranch_execz .LBB1089_16
; %bb.15:
	s_load_dwordx2 s[18:19], s[0:1], 0x40
	v_or_b32_e32 v8, s33, v39
	v_mov_b32_e32 v9, 0
	s_waitcnt lgkmcnt(0)
	v_lshl_add_u64 v[8:9], v[8:9], 2, s[18:19]
	global_load_dword v41, v[8:9], off
.LBB1089_16:
	s_or_b64 exec, exec, s[4:5]
	s_waitcnt vmcnt(7)
	v_mul_hi_i32 v8, v7, s17
	s_add_u32 s4, s28, s16
	v_ashrrev_i32_e32 v8, 31, v8
	s_addc_u32 s5, s29, 0
	v_lshlrev_b32_e32 v2, 4, v38
	v_lshrrev_b32_e32 v8, 29, v8
	v_mov_b32_e32 v9, 0
	v_lshl_add_u64 v[2:3], s[4:5], 0, v[2:3]
	v_mad_i64_i32 v[10:11], s[4:5], v7, s17, v[8:9]
	s_waitcnt vmcnt(6)
	v_mul_hi_i32 v7, v6, s17
	v_ashrrev_i32_e32 v7, 31, v7
	v_lshrrev_b32_e32 v8, 29, v7
	v_mad_i64_i32 v[6:7], s[4:5], v6, s17, v[8:9]
	v_and_b32_e32 v10, -8, v10
	v_and_b32_e32 v6, -8, v6
	v_lshl_add_u64 v[42:43], v[2:3], 0, v[10:11]
	v_lshl_add_u64 v[6:7], v[2:3], 0, v[6:7]
	global_load_dwordx4 v[14:17], v[42:43], off
	global_load_dwordx4 v[10:13], v[6:7], off
	s_waitcnt vmcnt(7)
	v_mul_hi_i32 v6, v5, s17
	v_ashrrev_i32_e32 v6, 31, v6
	v_lshrrev_b32_e32 v8, 29, v6
	v_mad_i64_i32 v[6:7], s[4:5], v5, s17, v[8:9]
	s_waitcnt vmcnt(6)
	v_mul_hi_i32 v5, v4, s17
	v_ashrrev_i32_e32 v5, 31, v5
	v_lshrrev_b32_e32 v8, 29, v5
	v_and_b32_e32 v6, -8, v6
	v_mad_i64_i32 v[4:5], s[4:5], v4, s17, v[8:9]
	v_lshl_add_u64 v[42:43], v[2:3], 0, v[6:7]
	v_and_b32_e32 v4, -8, v4
	v_lshl_add_u64 v[44:45], v[2:3], 0, v[4:5]
	global_load_dwordx4 v[6:9], v[42:43], off
	global_load_dwordx4 v[2:5], v[44:45], off
	s_waitcnt vmcnt(7)
	v_cvt_pk_f32_fp8_e32 v[42:43], v34
	s_load_dword s0, s[0:1], 0x1c
	v_cvt_pk_f32_fp8_sdwa v[44:45], v34 src0_sel:WORD_1
	s_mov_b32 s1, 0x7060302
	v_perm_b32 v34, v43, v42, s1
	v_cvt_pk_f32_fp8_sdwa v[42:43], v35 src0_sel:WORD_1
	v_cvt_pk_f32_fp8_e32 v[46:47], v35
	v_perm_b32 v35, v45, v44, s1
	v_cmp_eq_u32_e32 vcc, 0, v39
	v_perm_b32 v45, v43, v42, s1
	v_mfma_f32_4x4x4_16b_bf16 a[0:3], v[18:19], v[34:35], 0 cbsz:4
	v_cvt_pk_f32_fp8_e32 v[34:35], v36
	v_cvt_pk_f32_fp8_sdwa v[42:43], v36 src0_sel:WORD_1
	v_perm_b32 v44, v47, v46, s1
	v_perm_b32 v34, v35, v34, s1
	s_nop 0
	v_mfma_f32_4x4x4_16b_bf16 a[0:3], v[20:21], v[44:45], a[0:3] cbsz:4
	v_cvt_pk_f32_fp8_e32 v[44:45], v37
	v_cvt_pk_f32_fp8_sdwa v[36:37], v37 src0_sel:WORD_1
	v_perm_b32 v35, v43, v42, s1
	v_perm_b32 v42, v45, v44, s1
	s_nop 0
	v_mfma_f32_4x4x4_16b_bf16 a[0:3], v[18:19], v[34:35], a[0:3] cbsz:4 abid:1
	s_waitcnt vmcnt(6)
	v_cvt_pk_f32_fp8_e32 v[34:35], v30
	v_perm_b32 v43, v37, v36, s1
	v_cvt_pk_f32_fp8_sdwa v[36:37], v30 src0_sel:WORD_1
	v_perm_b32 v30, v35, v34, s1
	v_cvt_pk_f32_fp8_sdwa v[34:35], v31 src0_sel:WORD_1
	v_mfma_f32_4x4x4_16b_bf16 a[0:3], v[20:21], v[42:43], a[0:3] cbsz:4 abid:1
	v_cvt_pk_f32_fp8_e32 v[42:43], v31
	v_perm_b32 v31, v37, v36, s1
	v_perm_b32 v37, v35, v34, s1
	v_cvt_pk_f32_fp8_sdwa v[34:35], v32 src0_sel:WORD_1
	v_mfma_f32_4x4x4_16b_bf16 a[0:3], v[18:19], v[30:31], a[0:3] cbsz:4 abid:2
	v_cvt_pk_f32_fp8_e32 v[30:31], v32
	v_perm_b32 v36, v43, v42, s1
	v_perm_b32 v30, v31, v30, s1
	s_nop 0
	v_mfma_f32_4x4x4_16b_bf16 a[0:3], v[20:21], v[36:37], a[0:3] cbsz:4 abid:2
	v_cvt_pk_f32_fp8_e32 v[36:37], v33
	v_cvt_pk_f32_fp8_sdwa v[32:33], v33 src0_sel:WORD_1
	v_perm_b32 v31, v35, v34, s1
	v_perm_b32 v34, v37, v36, s1
	s_nop 0
	v_mfma_f32_4x4x4_16b_bf16 a[0:3], v[18:19], v[30:31], a[0:3] cbsz:4 abid:3
	s_waitcnt vmcnt(5)
	v_cvt_pk_f32_fp8_e32 v[30:31], v26
	v_perm_b32 v35, v33, v32, s1
	v_cvt_pk_f32_fp8_sdwa v[32:33], v26 src0_sel:WORD_1
	v_perm_b32 v26, v31, v30, s1
	v_cvt_pk_f32_fp8_sdwa v[30:31], v27 src0_sel:WORD_1
	v_mfma_f32_4x4x4_16b_bf16 a[0:3], v[20:21], v[34:35], a[0:3] cbsz:4 abid:3
	v_cvt_pk_f32_fp8_e32 v[34:35], v27
	v_perm_b32 v27, v33, v32, s1
	v_perm_b32 v33, v31, v30, s1
	v_cvt_pk_f32_fp8_sdwa v[30:31], v28 src0_sel:WORD_1
	v_mfma_f32_4x4x4_16b_bf16 a[0:3], v[18:19], v[26:27], a[0:3] cbsz:4 abid:4
	v_cvt_pk_f32_fp8_e32 v[26:27], v28
	v_perm_b32 v32, v35, v34, s1
	v_perm_b32 v26, v27, v26, s1
	s_nop 0
	v_mfma_f32_4x4x4_16b_bf16 a[0:3], v[20:21], v[32:33], a[0:3] cbsz:4 abid:4
	v_cvt_pk_f32_fp8_e32 v[32:33], v29
	v_cvt_pk_f32_fp8_sdwa v[28:29], v29 src0_sel:WORD_1
	v_perm_b32 v27, v31, v30, s1
	v_perm_b32 v30, v33, v32, s1
	s_nop 0
	v_mfma_f32_4x4x4_16b_bf16 a[0:3], v[18:19], v[26:27], a[0:3] cbsz:4 abid:5
	s_waitcnt vmcnt(4)
	v_cvt_pk_f32_fp8_e32 v[26:27], v22
	v_perm_b32 v31, v29, v28, s1
	v_cvt_pk_f32_fp8_sdwa v[28:29], v22 src0_sel:WORD_1
	v_perm_b32 v22, v27, v26, s1
	v_mfma_f32_4x4x4_16b_bf16 a[0:3], v[20:21], v[30:31], a[0:3] cbsz:4 abid:5
	v_cvt_pk_f32_fp8_e32 v[30:31], v23
	v_cvt_pk_f32_fp8_sdwa v[26:27], v23 src0_sel:WORD_1
	v_perm_b32 v23, v29, v28, s1
	v_perm_b32 v28, v31, v30, s1
	s_nop 0
	v_mfma_f32_4x4x4_16b_bf16 a[0:3], v[18:19], v[22:23], a[0:3] cbsz:4 abid:6
	v_perm_b32 v29, v27, v26, s1
	v_cvt_pk_f32_fp8_e32 v[22:23], v24
	v_cvt_pk_f32_fp8_sdwa v[26:27], v24 src0_sel:WORD_1
	v_mfma_f32_4x4x4_16b_bf16 a[0:3], v[20:21], v[28:29], a[0:3] cbsz:4 abid:6
	v_cvt_pk_f32_fp8_e32 v[28:29], v25
	v_cvt_pk_f32_fp8_sdwa v[24:25], v25 src0_sel:WORD_1
	v_perm_b32 v22, v23, v22, s1
	v_perm_b32 v23, v27, v26, s1
	;; [unrolled: 1-line block ×4, first 2 shown]
	v_mfma_f32_4x4x4_16b_bf16 a[0:3], v[18:19], v[22:23], a[0:3] cbsz:4 abid:7
	s_load_dword s1, s[8:9], 0x0
	s_waitcnt lgkmcnt(0)
	v_mov_b32_e32 v18, s0
	v_mfma_f32_4x4x4_16b_bf16 a[0:3], v[20:21], v[26:27], a[0:3] cbsz:4 abid:7
	v_mov_b32_e32 v25, 0xff7fffff
	v_mul_f32_e32 v20, s1, v18
	s_nop 2
	v_accvgpr_read_b32 v23, a1
	v_accvgpr_read_b32 v22, a0
	v_pk_mul_f32 v[22:23], v[22:23], v[20:21] op_sel_hi:[1,0]
	v_accvgpr_read_b32 v19, a3
	v_accvgpr_read_b32 v18, a2
	v_pk_mul_f32 v[18:19], v[18:19], v[20:21] op_sel_hi:[1,0]
	v_cndmask_b32_e64 v20, 0, 1.0, vcc
	v_cmp_eq_u32_e32 vcc, 1, v39
	s_nop 0
	v_mfma_f32_4x4x1_16b_f32 a[0:3], v22, v20, 0
	v_cndmask_b32_e64 v20, 0, 1.0, vcc
	v_cmp_eq_u32_e32 vcc, 2, v39
	s_nop 0
	v_mfma_f32_4x4x1_16b_f32 a[0:3], v23, v20, a[0:3]
	;; [unrolled: 4-line block ×3, first 2 shown]
	v_cndmask_b32_e64 v18, 0, 1.0, vcc
	s_nop 1
	v_mfma_f32_4x4x1_16b_f32 a[0:3], v19, v18, a[0:3]
	v_and_b32_e32 v18, -4, v40
	v_subrev_u32_e32 v19, s3, v18
	v_add_u32_e32 v20, 1, v19
	v_cvt_f32_i32_e32 v20, v20
	v_add_u32_e32 v21, 2, v19
	v_cvt_f32_i32_e32 v21, v21
	v_accvgpr_read_b32 v22, a0
	v_fma_f32 v20, v41, v20, v22
	v_accvgpr_read_b32 v22, a1
	v_fma_f32 v21, v41, v21, v22
	v_add_u32_e32 v22, 3, v19
	v_cvt_f32_i32_e32 v22, v22
	v_add_u32_e32 v19, 4, v19
	v_max_f32_e32 v24, 0xff7fffff, v20
	v_cmp_gt_i32_e32 vcc, s3, v18
	v_cvt_f32_i32_e32 v19, v19
	v_accvgpr_read_b32 v23, a2
	v_cndmask_b32_e32 v24, v25, v24, vcc
	v_or_b32_e32 v25, 1, v18
	v_max_f32_e32 v26, v24, v21
	v_cmp_gt_i32_e64 s[0:1], s3, v25
	v_fma_f32 v22, v41, v22, v23
	v_or_b32_e32 v18, 2, v18
	v_cndmask_b32_e64 v24, v24, v26, s[0:1]
	v_accvgpr_read_b32 v23, a3
	v_max_f32_e32 v25, v24, v22
	v_cmp_gt_i32_e64 s[4:5], s3, v18
	v_fmac_f32_e32 v23, v41, v19
	v_lshlrev_b32_e32 v19, 2, v0
	v_cndmask_b32_e64 v18, v24, v25, s[4:5]
	v_or_b32_e32 v24, 3, v40
	v_max_f32_e32 v25, v18, v23
	v_cmp_gt_i32_e64 s[8:9], s3, v24
	v_and_or_b32 v19, v19, 48, v39
	s_nop 0
	v_cndmask_b32_e64 v18, v18, v25, s[8:9]
	;;#ASMSTART
	v_nop
 v_nop
 v_max_f32_dpp v18, v18, v18 row_ror:4
	;;#ASMEND
	v_lshlrev_b32_e32 v25, 2, v19
	;;#ASMSTART
	v_nop
 v_nop
 v_max_f32_dpp v18, v18, v18 row_ror:8
	;;#ASMEND
	ds_bpermute_b32 v18, v25, v18
	s_waitcnt lgkmcnt(0)
	;;#ASMSTART
	v_nop
 v_nop
 v_max_f32_dpp v18, v18, v18 row_ror:4
	;;#ASMEND
	s_nop 0
	;;#ASMSTART
	v_nop
 v_nop
 v_max_f32_dpp v24, v18, v18 row_ror:8
	;;#ASMEND
	s_nop 0
	v_sub_f32_e32 v18, v20, v24
	v_mul_f32_e32 v18, 0x3fb8aa3b, v18
	v_sub_f32_e32 v19, v21, v24
	v_exp_f32_e32 v18, v18
	v_mul_f32_e32 v19, 0x3fb8aa3b, v19
	v_sub_f32_e32 v21, v22, v24
	v_exp_f32_e32 v19, v19
	;; [unrolled: 3-line block ×3, first 2 shown]
	v_mul_f32_e32 v22, 0x3fb8aa3b, v22
	v_exp_f32_e32 v22, v22
	v_cndmask_b32_e32 v18, 0, v18, vcc
	v_add_f32_e32 v20, 0, v18
	v_cndmask_b32_e64 v19, 0, v19, s[0:1]
	v_add_f32_e32 v23, v20, v19
	v_cndmask_b32_e64 v20, 0, v21, s[4:5]
	;; [unrolled: 2-line block ×3, first 2 shown]
	v_add_f32_e32 v22, v23, v21
	;;#ASMSTART
	v_nop
 v_nop
 v_add_f32_dpp v22, v22, v22 row_ror:4
	;;#ASMEND
	v_cmp_gt_u32_e32 vcc, 4, v38
	;;#ASMSTART
	v_nop
 v_nop
 v_add_f32_dpp v22, v22, v22 row_ror:8
	;;#ASMEND
	ds_bpermute_b32 v22, v25, v22
	s_waitcnt lgkmcnt(0)
	;;#ASMSTART
	v_nop
 v_nop
 v_add_f32_dpp v22, v22, v22 row_ror:4
	;;#ASMEND
	s_nop 0
	;;#ASMSTART
	v_nop
 v_nop
 v_add_f32_dpp v22, v22, v22 row_ror:8
	;;#ASMEND
	s_and_saveexec_b64 s[0:1], vcc
	s_cbranch_execz .LBB1089_18
; %bb.17:
	v_mul_u32_u24_e32 v23, 20, v1
	v_lshl_add_u32 v23, v39, 2, v23
	v_add_u32_e32 v23, 0x800, v23
	ds_write2_b32 v23, v24, v22 offset0:128 offset1:148
.LBB1089_18:
	s_or_b64 exec, exec, s[0:1]
.LBB1089_19:
	s_or_b64 exec, exec, s[26:27]
	s_waitcnt lgkmcnt(0)
	s_barrier
	s_load_dword s0, s[24:25], 0x8
	v_lshlrev_b32_e32 v22, 2, v39
	v_add_u32_e32 v30, 0x800, v22
	ds_read2_b32 v[22:23], v30 offset0:128 offset1:133
	ds_read2_b32 v[26:27], v30 offset0:138 offset1:143
	s_mul_i32 s1, s2, s38
	s_waitcnt lgkmcnt(0)
	s_mul_i32 s1, s1, s0
	s_lshl_b32 s0, s1, 1
	s_mov_b32 s1, 0xff7fffff
	v_max3_f32 v25, v22, s1, v23
	v_max3_f32 v25, v25, v26, v27
	v_sub_f32_e32 v22, v22, v25
	v_mul_f32_e32 v22, 0x3fb8aa3b, v22
	ds_read2_b32 v[28:29], v30 offset0:148 offset1:153
	v_exp_f32_e32 v31, v22
	v_sub_f32_e32 v22, v23, v25
	v_sub_f32_e32 v26, v26, v25
	v_mul_f32_e32 v22, 0x3fb8aa3b, v22
	v_mul_f32_e32 v26, 0x3fb8aa3b, v26
	v_exp_f32_e32 v32, v22
	ds_read2_b32 v[22:23], v30 offset0:158 offset1:163
	v_exp_f32_e32 v30, v26
	v_sub_f32_e32 v26, v27, v25
	v_mul_f32_e32 v26, 0x3fb8aa3b, v26
	v_exp_f32_e32 v27, v26
	s_waitcnt lgkmcnt(1)
	v_fma_f32 v26, v31, v28, 0
	v_fmac_f32_e32 v26, v32, v29
	s_waitcnt lgkmcnt(0)
	v_fmac_f32_e32 v26, v30, v22
	v_fmac_f32_e32 v26, v27, v23
	v_cmp_gt_u32_e32 vcc, 2, v39
	s_and_saveexec_b64 s[2:3], vcc
	s_cbranch_execz .LBB1089_21
; %bb.20:
	s_mov_b32 s1, 0
	s_lshl_b64 s[4:5], s[0:1], 2
	s_add_u32 s12, s12, s4
	s_mov_b32 s21, s1
	s_addc_u32 s13, s13, s5
	s_lshl_b64 s[8:9], s[20:21], 2
	s_add_u32 s12, s12, s8
	s_addc_u32 s13, s13, s9
	s_add_u32 s1, s14, s4
	s_addc_u32 s5, s15, s5
	v_or_b32_e32 v22, s33, v39
	s_add_u32 s4, s1, s8
	v_mul_lo_u32 v22, s38, v22
	v_mov_b32_e32 v23, 0
	s_addc_u32 s5, s5, s9
	v_lshlrev_b64 v[22:23], 2, v[22:23]
	v_lshl_add_u64 v[28:29], s[12:13], 0, v[22:23]
	v_lshl_add_u64 v[22:23], s[4:5], 0, v[22:23]
	global_store_dword v[22:23], v25, off
	global_store_dword v[28:29], v26, off
.LBB1089_21:
	s_or_b64 exec, exec, s[2:3]
	v_mov_b32_e32 v22, 0
	v_mov_b32_e32 v23, 0
	s_and_saveexec_b64 s[2:3], s[6:7]
	s_cbranch_execz .LBB1089_23
; %bb.22:
	v_add_f32_e32 v22, 0x358637bd, v26
	v_div_scale_f32 v23, s[4:5], v22, v22, 1.0
	v_rcp_f32_e32 v26, v23
	v_div_scale_f32 v27, vcc, 1.0, v22, 1.0
	v_sub_f32_e32 v24, v24, v25
	v_fma_f32 v28, -v23, v26, 1.0
	v_fmac_f32_e32 v26, v28, v26
	v_mul_f32_e32 v28, v27, v26
	v_fma_f32 v29, -v23, v28, v27
	v_mul_f32_e32 v24, 0x3fb8aa3b, v24
	v_fmac_f32_e32 v28, v29, v26
	v_exp_f32_e32 v24, v24
	v_fma_f32 v23, -v23, v28, v27
	v_div_fmas_f32 v23, v23, v26, v28
	v_div_fixup_f32 v22, v23, v22, 1.0
	v_mul_f32_e32 v22, v24, v22
	v_pk_mul_f32 v[18:19], v[18:19], v[22:23] op_sel_hi:[1,0]
	v_pk_mul_f32 v[20:21], v[20:21], v[22:23] op_sel_hi:[1,0]
	v_bfe_u32 v22, v19, 16, 1
	v_bfe_u32 v23, v18, 16, 1
	s_movk_i32 s1, 0x7fff
	v_add3_u32 v18, v18, v23, s1
	v_add3_u32 v19, v19, v22, s1
	s_mov_b32 s5, 0x7060302
	v_perm_b32 v18, v19, v18, s5
	v_bfe_u32 v19, v21, 16, 1
	v_bfe_u32 v22, v20, 16, 1
	v_add3_u32 v22, v20, v22, s1
	v_add3_u32 v19, v21, v19, s1
	s_waitcnt vmcnt(3)
	v_cvt_pk_f32_fp8_e32 v[20:21], v14
	v_perm_b32 v19, v19, v22, s5
	v_cvt_pk_f32_fp8_sdwa v[22:23], v14 src0_sel:WORD_1
	v_cvt_pk_f32_fp8_e32 v[24:25], v15
	v_perm_b32 v14, v21, v20, s5
	v_cvt_pk_f32_fp8_sdwa v[20:21], v15 src0_sel:WORD_1
	v_perm_b32 v15, v23, v22, s5
	v_perm_b32 v22, v25, v24, s5
	s_load_dword s4, s[10:11], 0x0
	v_mfma_f32_4x4x4_16b_bf16 a[0:3], v[18:19], v[14:15], 0 cbsz:4
	v_perm_b32 v23, v21, v20, s5
	v_cvt_pk_f32_fp8_e32 v[14:15], v16
	v_cvt_pk_f32_fp8_sdwa v[20:21], v16 src0_sel:WORD_1
	v_mfma_f32_4x4x4_16b_bf16 a[0:3], v[18:19], v[22:23], a[0:3] cbsz:4 abid:1
	v_cvt_pk_f32_fp8_e32 v[22:23], v17
	v_cvt_pk_f32_fp8_sdwa v[16:17], v17 src0_sel:WORD_1
	v_perm_b32 v14, v15, v14, s5
	v_perm_b32 v15, v21, v20, s5
	v_perm_b32 v20, v23, v22, s5
	v_perm_b32 v21, v17, v16, s5
	v_mfma_f32_4x4x4_16b_bf16 a[0:3], v[18:19], v[14:15], a[0:3] cbsz:4 abid:2
	s_waitcnt vmcnt(2)
	v_cvt_pk_f32_fp8_e32 v[14:15], v10
	v_cvt_pk_f32_fp8_sdwa v[16:17], v10 src0_sel:WORD_1
	v_mfma_f32_4x4x4_16b_bf16 a[0:3], v[18:19], v[20:21], a[0:3] cbsz:4 abid:3
	v_cvt_pk_f32_fp8_e32 v[20:21], v11
	v_perm_b32 v10, v15, v14, s5
	v_cvt_pk_f32_fp8_sdwa v[14:15], v11 src0_sel:WORD_1
	v_perm_b32 v11, v17, v16, s5
	v_perm_b32 v16, v21, v20, s5
	v_perm_b32 v17, v15, v14, s5
	v_mfma_f32_4x4x4_16b_bf16 a[0:3], v[18:19], v[10:11], a[0:3] cbsz:4 abid:4
	v_cvt_pk_f32_fp8_e32 v[10:11], v12
	v_cvt_pk_f32_fp8_sdwa v[14:15], v12 src0_sel:WORD_1
	v_mfma_f32_4x4x4_16b_bf16 a[0:3], v[18:19], v[16:17], a[0:3] cbsz:4 abid:5
	v_cvt_pk_f32_fp8_e32 v[16:17], v13
	v_cvt_pk_f32_fp8_sdwa v[12:13], v13 src0_sel:WORD_1
	v_perm_b32 v10, v11, v10, s5
	v_perm_b32 v11, v15, v14, s5
	v_perm_b32 v14, v17, v16, s5
	v_perm_b32 v15, v13, v12, s5
	v_mfma_f32_4x4x4_16b_bf16 a[0:3], v[18:19], v[10:11], a[0:3] cbsz:4 abid:6
	s_waitcnt vmcnt(1)
	v_cvt_pk_f32_fp8_e32 v[10:11], v6
	v_cvt_pk_f32_fp8_sdwa v[12:13], v6 src0_sel:WORD_1
	v_mfma_f32_4x4x4_16b_bf16 a[0:3], v[18:19], v[14:15], a[0:3] cbsz:4 abid:7
	v_cvt_pk_f32_fp8_e32 v[14:15], v7
	v_perm_b32 v6, v11, v10, s5
	v_cvt_pk_f32_fp8_sdwa v[10:11], v7 src0_sel:WORD_1
	v_perm_b32 v7, v13, v12, s5
	v_perm_b32 v12, v15, v14, s5
	v_perm_b32 v13, v11, v10, s5
	v_mfma_f32_4x4x4_16b_bf16 a[0:3], v[18:19], v[6:7], a[0:3] cbsz:4 abid:8
	v_cvt_pk_f32_fp8_e32 v[6:7], v8
	v_cvt_pk_f32_fp8_sdwa v[10:11], v8 src0_sel:WORD_1
	v_mfma_f32_4x4x4_16b_bf16 a[0:3], v[18:19], v[12:13], a[0:3] cbsz:4 abid:9
	v_cvt_pk_f32_fp8_e32 v[12:13], v9
	v_cvt_pk_f32_fp8_sdwa v[8:9], v9 src0_sel:WORD_1
	v_perm_b32 v6, v7, v6, s5
	v_perm_b32 v7, v11, v10, s5
	v_perm_b32 v10, v13, v12, s5
	v_perm_b32 v11, v9, v8, s5
	v_mfma_f32_4x4x4_16b_bf16 a[0:3], v[18:19], v[6:7], a[0:3] cbsz:4 abid:10
	s_waitcnt vmcnt(0)
	v_cvt_pk_f32_fp8_e32 v[6:7], v2
	v_cvt_pk_f32_fp8_sdwa v[8:9], v2 src0_sel:WORD_1
	v_mfma_f32_4x4x4_16b_bf16 a[0:3], v[18:19], v[10:11], a[0:3] cbsz:4 abid:11
	v_cvt_pk_f32_fp8_e32 v[10:11], v3
	v_perm_b32 v2, v7, v6, s5
	v_cvt_pk_f32_fp8_sdwa v[6:7], v3 src0_sel:WORD_1
	v_perm_b32 v3, v9, v8, s5
	v_perm_b32 v8, v11, v10, s5
	v_perm_b32 v9, v7, v6, s5
	v_mfma_f32_4x4x4_16b_bf16 a[0:3], v[18:19], v[2:3], a[0:3] cbsz:4 abid:12
	v_cvt_pk_f32_fp8_e32 v[2:3], v4
	v_cvt_pk_f32_fp8_sdwa v[6:7], v4 src0_sel:WORD_1
	v_mfma_f32_4x4x4_16b_bf16 a[0:3], v[18:19], v[8:9], a[0:3] cbsz:4 abid:13
	v_cvt_pk_f32_fp8_e32 v[8:9], v5
	v_cvt_pk_f32_fp8_sdwa v[4:5], v5 src0_sel:WORD_1
	v_perm_b32 v2, v3, v2, s5
	v_perm_b32 v3, v7, v6, s5
	;; [unrolled: 1-line block ×4, first 2 shown]
	v_mfma_f32_4x4x4_16b_bf16 a[0:3], v[18:19], v[2:3], a[0:3] cbsz:4 abid:14
	s_nop 1
	v_mfma_f32_4x4x4_16b_bf16 a[0:3], v[18:19], v[6:7], a[0:3] cbsz:4 abid:15
	s_nop 4
	v_accvgpr_read_b32 v5, a1
	v_accvgpr_read_b32 v4, a0
	;; [unrolled: 1-line block ×4, first 2 shown]
	s_waitcnt lgkmcnt(0)
	v_pk_mul_f32 v[4:5], v[4:5], s[4:5] op_sel_hi:[1,0]
	v_pk_mul_f32 v[2:3], v[2:3], s[4:5] op_sel_hi:[1,0]
	v_bfe_u32 v6, v5, 16, 1
	v_bfe_u32 v7, v4, 16, 1
	v_add3_u32 v4, v4, v7, s1
	v_add3_u32 v5, v5, v6, s1
	v_bfe_u32 v6, v3, 16, 1
	v_bfe_u32 v7, v2, 16, 1
	v_add3_u32 v2, v2, v7, s1
	v_add3_u32 v3, v3, v6, s1
	v_perm_b32 v23, v3, v2, s5
	v_perm_b32 v22, v5, v4, s5
.LBB1089_23:
	s_or_b64 exec, exec, s[2:3]
	v_lshlrev_b32_e32 v1, 3, v1
	v_mad_u32_u24 v1, v38, 40, v1
	v_cmp_gt_u32_e32 vcc, 64, v0
	ds_write_b64 v1, v[22:23]
	s_waitcnt lgkmcnt(0)
	s_barrier
	s_and_saveexec_b64 s[2:3], vcc
	s_cbranch_execz .LBB1089_25
; %bb.24:
	v_mul_u32_u24_e32 v1, 40, v38
	s_waitcnt vmcnt(0)
	ds_read2_b64 v[2:5], v1 offset1:1
	ds_read2_b64 v[6:9], v1 offset0:2 offset1:3
	s_mov_b32 s1, 0
	s_lshl_b32 s0, s0, 6
	s_lshl_b64 s[2:3], s[0:1], 1
	s_waitcnt lgkmcnt(1)
	v_and_b32_e32 v1, 0xffff0000, v2
	v_add_f32_e32 v1, 0, v1
	v_and_b32_e32 v3, 0xffff0000, v4
	v_and_b32_e32 v1, 0xffff0000, v1
	v_add_f32_e32 v1, v1, v3
	s_waitcnt lgkmcnt(0)
	v_and_b32_e32 v5, 0xffff0000, v6
	v_and_b32_e32 v1, 0xffff0000, v1
	v_add_f32_e32 v1, v1, v5
	v_and_b32_e32 v1, 0xffff0000, v1
	v_and_b32_e32 v3, 0xffff0000, v8
	v_add_f32_e32 v7, v1, v3
	v_lshlrev_b32_e32 v1, 16, v2
	s_add_u32 s2, s22, s2
	v_add_f32_e32 v1, 0, v1
	s_addc_u32 s3, s23, s3
	s_lshl_b32 s0, s20, 6
	v_and_b32_e32 v1, 0xffff0000, v1
	v_lshlrev_b32_e32 v2, 16, v4
	s_lshl_b64 s[0:1], s[0:1], 1
	v_add_f32_e32 v1, v1, v2
	s_add_u32 s0, s2, s0
	v_and_b32_e32 v1, 0xffff0000, v1
	v_lshlrev_b32_e32 v2, 16, v6
	s_addc_u32 s1, s3, s1
	s_lshl_b32 s2, s38, 6
	v_add_f32_e32 v1, v1, v2
	v_and_b32_e32 v1, 0xffff0000, v1
	v_lshlrev_b32_e32 v2, 16, v8
	s_mul_i32 s3, s2, s33
	v_add_f32_e32 v1, v1, v2
	v_or_b32_e32 v2, s3, v0
	v_mov_b32_e32 v3, 0
	s_add_i32 s3, s3, s2
	v_lshl_add_u64 v[4:5], v[2:3], 1, s[0:1]
	v_or_b32_e32 v2, s3, v0
	global_store_short_d16_hi v[4:5], v1, off
	v_lshl_add_u64 v[0:1], v[2:3], 1, s[0:1]
	global_store_short_d16_hi v[0:1], v7, off
.LBB1089_25:
	s_endpgm
	.section	.rodata,"a",@progbits
	.p2align	6, 0x0
	.amdhsa_kernel _Z38paged_attention_ll4mi_QKV_mfma4_kernelI14__hip_bfloat16hLN4vllm18Fp8KVCacheDataTypeE1EhLi16ELi64ELi256ELb1ELi2EEvPKT_PKT0_S8_ifPKiSA_SA_iPKfiiiPfSD_PS3_PT2_iSC_SC_
		.amdhsa_group_segment_fixed_size 2720
		.amdhsa_private_segment_fixed_size 0
		.amdhsa_kernarg_size 400
		.amdhsa_user_sgpr_count 2
		.amdhsa_user_sgpr_dispatch_ptr 0
		.amdhsa_user_sgpr_queue_ptr 0
		.amdhsa_user_sgpr_kernarg_segment_ptr 1
		.amdhsa_user_sgpr_dispatch_id 0
		.amdhsa_user_sgpr_kernarg_preload_length 0
		.amdhsa_user_sgpr_kernarg_preload_offset 0
		.amdhsa_user_sgpr_private_segment_size 0
		.amdhsa_uses_dynamic_stack 0
		.amdhsa_enable_private_segment 0
		.amdhsa_system_sgpr_workgroup_id_x 1
		.amdhsa_system_sgpr_workgroup_id_y 1
		.amdhsa_system_sgpr_workgroup_id_z 1
		.amdhsa_system_sgpr_workgroup_info 0
		.amdhsa_system_vgpr_workitem_id 0
		.amdhsa_next_free_vgpr 52
		.amdhsa_next_free_sgpr 44
		.amdhsa_accum_offset 48
		.amdhsa_reserve_vcc 1
		.amdhsa_float_round_mode_32 0
		.amdhsa_float_round_mode_16_64 0
		.amdhsa_float_denorm_mode_32 3
		.amdhsa_float_denorm_mode_16_64 3
		.amdhsa_dx10_clamp 1
		.amdhsa_ieee_mode 1
		.amdhsa_fp16_overflow 0
		.amdhsa_tg_split 0
		.amdhsa_exception_fp_ieee_invalid_op 0
		.amdhsa_exception_fp_denorm_src 0
		.amdhsa_exception_fp_ieee_div_zero 0
		.amdhsa_exception_fp_ieee_overflow 0
		.amdhsa_exception_fp_ieee_underflow 0
		.amdhsa_exception_fp_ieee_inexact 0
		.amdhsa_exception_int_div_zero 0
	.end_amdhsa_kernel
	.section	.text._Z38paged_attention_ll4mi_QKV_mfma4_kernelI14__hip_bfloat16hLN4vllm18Fp8KVCacheDataTypeE1EhLi16ELi64ELi256ELb1ELi2EEvPKT_PKT0_S8_ifPKiSA_SA_iPKfiiiPfSD_PS3_PT2_iSC_SC_,"axG",@progbits,_Z38paged_attention_ll4mi_QKV_mfma4_kernelI14__hip_bfloat16hLN4vllm18Fp8KVCacheDataTypeE1EhLi16ELi64ELi256ELb1ELi2EEvPKT_PKT0_S8_ifPKiSA_SA_iPKfiiiPfSD_PS3_PT2_iSC_SC_,comdat
.Lfunc_end1089:
	.size	_Z38paged_attention_ll4mi_QKV_mfma4_kernelI14__hip_bfloat16hLN4vllm18Fp8KVCacheDataTypeE1EhLi16ELi64ELi256ELb1ELi2EEvPKT_PKT0_S8_ifPKiSA_SA_iPKfiiiPfSD_PS3_PT2_iSC_SC_, .Lfunc_end1089-_Z38paged_attention_ll4mi_QKV_mfma4_kernelI14__hip_bfloat16hLN4vllm18Fp8KVCacheDataTypeE1EhLi16ELi64ELi256ELb1ELi2EEvPKT_PKT0_S8_ifPKiSA_SA_iPKfiiiPfSD_PS3_PT2_iSC_SC_
                                        ; -- End function
	.section	.AMDGPU.csdata,"",@progbits
; Kernel info:
; codeLenInByte = 4196
; NumSgprs: 50
; NumVgprs: 48
; NumAgprs: 4
; TotalNumVgprs: 52
; ScratchSize: 0
; MemoryBound: 0
; FloatMode: 240
; IeeeMode: 1
; LDSByteSize: 2720 bytes/workgroup (compile time only)
; SGPRBlocks: 6
; VGPRBlocks: 6
; NumSGPRsForWavesPerEU: 50
; NumVGPRsForWavesPerEU: 52
; AccumOffset: 48
; Occupancy: 8
; WaveLimiterHint : 1
; COMPUTE_PGM_RSRC2:SCRATCH_EN: 0
; COMPUTE_PGM_RSRC2:USER_SGPR: 2
; COMPUTE_PGM_RSRC2:TRAP_HANDLER: 0
; COMPUTE_PGM_RSRC2:TGID_X_EN: 1
; COMPUTE_PGM_RSRC2:TGID_Y_EN: 1
; COMPUTE_PGM_RSRC2:TGID_Z_EN: 1
; COMPUTE_PGM_RSRC2:TIDIG_COMP_CNT: 0
; COMPUTE_PGM_RSRC3_GFX90A:ACCUM_OFFSET: 11
; COMPUTE_PGM_RSRC3_GFX90A:TG_SPLIT: 0
	.section	.text._Z38paged_attention_ll4mi_QKV_mfma4_kernelI14__hip_bfloat16hLN4vllm18Fp8KVCacheDataTypeE1EhLi16ELi64ELi256ELb1ELi3EEvPKT_PKT0_S8_ifPKiSA_SA_iPKfiiiPfSD_PS3_PT2_iSC_SC_,"axG",@progbits,_Z38paged_attention_ll4mi_QKV_mfma4_kernelI14__hip_bfloat16hLN4vllm18Fp8KVCacheDataTypeE1EhLi16ELi64ELi256ELb1ELi3EEvPKT_PKT0_S8_ifPKiSA_SA_iPKfiiiPfSD_PS3_PT2_iSC_SC_,comdat
	.protected	_Z38paged_attention_ll4mi_QKV_mfma4_kernelI14__hip_bfloat16hLN4vllm18Fp8KVCacheDataTypeE1EhLi16ELi64ELi256ELb1ELi3EEvPKT_PKT0_S8_ifPKiSA_SA_iPKfiiiPfSD_PS3_PT2_iSC_SC_ ; -- Begin function _Z38paged_attention_ll4mi_QKV_mfma4_kernelI14__hip_bfloat16hLN4vllm18Fp8KVCacheDataTypeE1EhLi16ELi64ELi256ELb1ELi3EEvPKT_PKT0_S8_ifPKiSA_SA_iPKfiiiPfSD_PS3_PT2_iSC_SC_
	.globl	_Z38paged_attention_ll4mi_QKV_mfma4_kernelI14__hip_bfloat16hLN4vllm18Fp8KVCacheDataTypeE1EhLi16ELi64ELi256ELb1ELi3EEvPKT_PKT0_S8_ifPKiSA_SA_iPKfiiiPfSD_PS3_PT2_iSC_SC_
	.p2align	8
	.type	_Z38paged_attention_ll4mi_QKV_mfma4_kernelI14__hip_bfloat16hLN4vllm18Fp8KVCacheDataTypeE1EhLi16ELi64ELi256ELb1ELi3EEvPKT_PKT0_S8_ifPKiSA_SA_iPKfiiiPfSD_PS3_PT2_iSC_SC_,@function
_Z38paged_attention_ll4mi_QKV_mfma4_kernelI14__hip_bfloat16hLN4vllm18Fp8KVCacheDataTypeE1EhLi16ELi64ELi256ELb1ELi3EEvPKT_PKT0_S8_ifPKiSA_SA_iPKfiiiPfSD_PS3_PT2_iSC_SC_: ; @_Z38paged_attention_ll4mi_QKV_mfma4_kernelI14__hip_bfloat16hLN4vllm18Fp8KVCacheDataTypeE1EhLi16ELi64ELi256ELb1ELi3EEvPKT_PKT0_S8_ifPKiSA_SA_iPKfiiiPfSD_PS3_PT2_iSC_SC_
; %bb.0:
	s_load_dwordx2 s[16:17], s[0:1], 0x30
	s_mov_b32 s20, s3
	s_mov_b64 s[6:7], 0
	s_waitcnt lgkmcnt(0)
	s_cmp_lg_u64 s[16:17], 0
	s_cselect_b64 s[18:19], -1, 0
	s_and_b64 vcc, exec, s[18:19]
	s_cbranch_vccz .LBB1090_10
; %bb.1:
	s_add_i32 s8, s2, 1
	s_mov_b32 s9, 0
	s_lshl_b64 s[10:11], s[8:9], 2
	s_add_u32 s10, s16, s10
	s_mov_b32 s3, s9
	s_addc_u32 s11, s17, s11
	s_lshl_b64 s[8:9], s[2:3], 2
	s_add_u32 s8, s16, s8
	s_addc_u32 s9, s17, s9
	s_load_dword s5, s[10:11], 0x0
	s_load_dword s12, s[8:9], 0x0
	s_waitcnt lgkmcnt(0)
	s_sub_i32 s5, s5, s12
	s_cmp_eq_u32 s5, 1
	s_cselect_b64 s[8:9], -1, 0
	s_andn2_b64 vcc, exec, s[6:7]
	s_cbranch_vccnz .LBB1090_3
.LBB1090_2:
	s_mov_b32 s3, 0
	s_mov_b64 s[8:9], -1
.LBB1090_3:
	s_andn2_b64 vcc, exec, s[8:9]
	s_cbranch_vccnz .LBB1090_25
; %bb.4:
	s_load_dword s5, s[0:1], 0x9c
	s_load_dwordx2 s[6:7], s[0:1], 0x28
	s_add_u32 s24, s0, 0x90
	s_addc_u32 s25, s1, 0
	s_lshl_b64 s[28:29], s[2:3], 2
	s_waitcnt lgkmcnt(0)
	s_and_b32 s5, s5, 0xffff
	s_add_u32 s6, s6, s28
	s_addc_u32 s7, s7, s29
	s_load_dword s3, s[6:7], 0x0
	s_mul_i32 s5, s20, s5
	s_waitcnt lgkmcnt(0)
	s_cmp_ge_i32 s5, s3
	s_cbranch_scc1 .LBB1090_25
; %bb.5:
	v_and_b32_e32 v2, 0xc0, v0
	v_add_u32_e32 v4, s5, v2
	v_lshrrev_b32_e32 v1, 6, v0
	v_cmp_gt_i32_e64 s[6:7], s3, v4
	v_cmp_le_i32_e32 vcc, s3, v4
                                        ; implicit-def: $sgpr30
                                        ; implicit-def: $sgpr21
	s_and_saveexec_b64 s[8:9], vcc
	s_xor_b64 s[8:9], exec, s[8:9]
	s_cbranch_execz .LBB1090_7
; %bb.6:
	v_mul_u32_u24_e32 v2, 20, v1
	v_or_b32_e32 v2, 0xa00, v2
	v_mov_b32_e32 v3, 0xa50
	v_mov_b32_e32 v4, 0xff7fffff
	v_mad_u32_u24 v3, v1, 20, v3
	ds_write2_b32 v2, v4, v4 offset1:1
	v_mov_b32_e32 v2, 0
	ds_write2_b32 v3, v2, v2 offset1:1
	v_mov_b32_e32 v3, 0xa08
	s_mov_b32 s21, 0xff7fffff
	s_mov_b32 s30, 0
	v_mad_u32_u24 v3, v1, 20, v3
	v_mov_b32_e32 v5, 0xa58
	v_mad_u32_u24 v5, v1, 20, v5
	ds_write2_b32 v3, v4, v4 offset1:1
	ds_write2_b32 v5, v2, v2 offset1:1
                                        ; implicit-def: $vgpr4
.LBB1090_7:
	s_or_saveexec_b64 s[26:27], s[8:9]
	s_load_dwordx2 s[22:23], s[0:1], 0x68
	s_load_dwordx4 s[12:15], s[0:1], 0x58
	s_load_dword s38, s[24:25], 0x4
	s_load_dwordx4 s[8:11], s[0:1], 0x80
	v_and_b32_e32 v32, 63, v0
	v_and_b32_e32 v33, 3, v0
	s_mul_i32 s33, s4, 3
	v_mov_b32_e32 v21, s30
	v_mov_b32_e32 v24, s21
	;; [unrolled: 1-line block ×5, first 2 shown]
                                        ; implicit-def: $vgpr6_vgpr7
                                        ; implicit-def: $vgpr2_vgpr3
                                        ; implicit-def: $vgpr14_vgpr15
                                        ; implicit-def: $vgpr10_vgpr11
	s_xor_b64 exec, exec, s[26:27]
	s_cbranch_execz .LBB1090_19
; %bb.8:
	s_load_dwordx2 s[30:31], s[0:1], 0x20
	s_load_dword s21, s[0:1], 0x38
	s_add_i32 s34, s3, 15
	s_ashr_i32 s35, s34, 31
	s_lshr_b32 s35, s35, 28
	v_add_u32_e32 v34, s5, v0
	s_add_i32 s34, s34, s35
	v_ashrrev_i32_e32 v2, 31, v34
	s_ashr_i32 s34, s34, 4
	v_lshrrev_b32_e32 v2, 28, v2
	s_add_i32 s36, s34, -1
	s_waitcnt lgkmcnt(0)
	s_mul_i32 s34, s2, s21
	s_mov_b32 s35, 0
	v_add_u32_e32 v2, v34, v2
	s_lshl_b64 s[34:35], s[34:35], 2
	v_ashrrev_i32_e32 v2, 4, v2
	v_mov_b32_e32 v3, s36
	v_cmp_gt_i32_e32 vcc, s3, v34
	s_add_u32 s30, s30, s34
	s_addc_u32 s31, s31, s35
	v_cndmask_b32_e32 v2, v3, v2, vcc
	v_ashrrev_i32_e32 v3, 31, v2
	v_lshl_add_u64 v[6:7], v[2:3], 2, s[30:31]
	v_ashrrev_i32_e32 v2, 31, v4
	v_lshrrev_b32_e32 v2, 28, v2
	v_add_u32_e32 v2, v4, v2
	v_ashrrev_i32_e32 v4, 4, v2
	v_min_i32_e32 v2, s36, v4
	v_ashrrev_i32_e32 v3, 31, v2
	v_lshl_add_u64 v[8:9], v[2:3], 2, s[30:31]
	v_add_u32_e32 v2, 1, v4
	v_min_i32_e32 v2, s36, v2
	v_ashrrev_i32_e32 v3, 31, v2
	v_lshl_add_u64 v[10:11], v[2:3], 2, s[30:31]
	v_add_u32_e32 v2, 2, v4
	;; [unrolled: 4-line block ×3, first 2 shown]
	v_min_i32_e32 v2, s36, v2
	v_ashrrev_i32_e32 v3, 31, v2
	v_lshl_add_u64 v[14:15], v[2:3], 2, s[30:31]
	global_load_dword v2, v[6:7], off
	global_load_dword v5, v[8:9], off
	;; [unrolled: 1-line block ×5, first 2 shown]
	s_load_dwordx2 s[30:31], s[0:1], 0x8
	s_andn2_b64 vcc, exec, s[18:19]
	s_cbranch_vccnz .LBB1090_11
; %bb.9:
	s_add_u32 s16, s16, s28
	s_addc_u32 s17, s17, s29
	s_load_dword s5, s[16:17], 0x0
	s_branch .LBB1090_12
.LBB1090_10:
	s_mov_b64 s[8:9], 0
	s_branch .LBB1090_2
.LBB1090_11:
	s_mov_b32 s5, s2
.LBB1090_12:
	s_load_dwordx2 s[28:29], s[0:1], 0x10
	s_load_dwordx4 s[16:19], s[0:1], 0x48
	v_cmp_ne_u32_e32 vcc, 3, v33
	s_mov_b32 s37, 0
	v_mov_b32_e32 v3, 0
	v_mov_b32_e32 v10, 0
	;; [unrolled: 1-line block ×5, first 2 shown]
	s_and_saveexec_b64 s[34:35], vcc
	s_cbranch_execz .LBB1090_14
; %bb.13:
	s_load_dwordx2 s[40:41], s[0:1], 0x0
	s_waitcnt lgkmcnt(0)
	s_ashr_i32 s19, s16, 31
	s_mul_hi_u32 s21, s5, s16
	s_mul_i32 s19, s5, s19
	s_add_i32 s43, s21, s19
	s_mul_i32 s42, s5, s16
	s_lshl_b64 s[42:43], s[42:43], 1
	s_add_u32 s5, s40, s42
	s_mul_i32 s36, s4, 0xc0
	s_addc_u32 s16, s41, s43
	s_lshl_b64 s[36:37], s[36:37], 1
	s_add_u32 s36, s5, s36
	v_lshlrev_b32_e32 v6, 3, v33
	v_lshrrev_b32_e32 v7, 2, v32
	s_addc_u32 s37, s16, s37
	v_add_lshl_u32 v6, v6, v7, 4
	global_load_dwordx4 v[10:13], v6, s[36:37]
.LBB1090_14:
	s_or_b64 exec, exec, s[34:35]
	s_waitcnt lgkmcnt(0)
	s_mul_i32 s16, s4, s18
	s_add_u32 s4, s16, s30
	s_addc_u32 s5, 0, s31
	v_mov_b64_e32 v[6:7], s[4:5]
	s_waitcnt vmcnt(4)
	v_mad_i64_i32 v[6:7], s[4:5], v2, s17, v[6:7]
	v_lshlrev_b32_e32 v2, 4, v0
	v_and_b32_e32 v2, 0xf0, v2
	v_lshl_add_u64 v[6:7], v[6:7], 0, v[2:3]
	global_load_dwordx4 v[26:29], v[6:7], off
	global_load_dwordx4 v[22:25], v[6:7], off offset:256
	global_load_dwordx4 v[18:21], v[6:7], off offset:512
	;; [unrolled: 1-line block ×3, first 2 shown]
	v_mov_b32_e32 v31, 1.0
	v_mov_b32_e32 v30, 0
	s_and_saveexec_b64 s[4:5], vcc
	s_cbranch_execz .LBB1090_16
; %bb.15:
	s_load_dwordx2 s[18:19], s[0:1], 0x40
	v_add_u32_e32 v30, s33, v33
	v_mov_b32_e32 v31, 0
	s_waitcnt lgkmcnt(0)
	v_lshl_add_u64 v[6:7], v[30:31], 2, s[18:19]
	global_load_dword v30, v[6:7], off
.LBB1090_16:
	s_or_b64 exec, exec, s[4:5]
	s_add_u32 s4, s28, s16
	s_addc_u32 s5, s29, 0
	v_lshlrev_b32_e32 v2, 4, v32
	v_lshl_add_u64 v[38:39], s[4:5], 0, v[2:3]
	s_waitcnt vmcnt(7)
	v_mul_hi_i32 v2, v5, s17
	v_ashrrev_i32_e32 v2, 31, v2
	v_lshrrev_b32_e32 v40, 29, v2
	v_mov_b32_e32 v41, 0
	v_mad_i64_i32 v[2:3], s[4:5], v5, s17, v[40:41]
	v_and_b32_e32 v2, -8, v2
	v_lshl_add_u64 v[42:43], v[38:39], 0, v[2:3]
	s_waitcnt vmcnt(6)
	v_mul_hi_i32 v2, v4, s17
	v_ashrrev_i32_e32 v2, 31, v2
	s_waitcnt vmcnt(5)
	v_mul_hi_i32 v37, v36, s17
	v_lshrrev_b32_e32 v40, 29, v2
	v_ashrrev_i32_e32 v37, 31, v37
	v_mad_i64_i32 v[2:3], s[4:5], v4, s17, v[40:41]
	v_lshrrev_b32_e32 v40, 29, v37
	v_mad_i64_i32 v[36:37], s[4:5], v36, s17, v[40:41]
	s_waitcnt vmcnt(4)
	v_mul_hi_i32 v40, v35, s17
	v_ashrrev_i32_e32 v40, 31, v40
	v_lshrrev_b32_e32 v40, 29, v40
	v_mad_i64_i32 v[40:41], s[4:5], v35, s17, v[40:41]
	v_and_b32_e32 v2, -8, v2
	v_and_b32_e32 v36, -8, v36
	;; [unrolled: 1-line block ×3, first 2 shown]
	v_lshl_add_u64 v[44:45], v[38:39], 0, v[2:3]
	v_lshl_add_u64 v[36:37], v[38:39], 0, v[36:37]
	;; [unrolled: 1-line block ×3, first 2 shown]
	s_waitcnt vmcnt(3)
	v_cvt_pk_f32_fp8_e32 v[40:41], v26
	s_load_dword s0, s[0:1], 0x1c
	global_load_dwordx4 v[6:9], v[42:43], off
	global_load_dwordx4 v[2:5], v[44:45], off
	v_cvt_pk_f32_fp8_sdwa v[42:43], v26 src0_sel:WORD_1
	s_mov_b32 s1, 0x7060302
	v_perm_b32 v26, v41, v40, s1
	v_cvt_pk_f32_fp8_sdwa v[40:41], v27 src0_sel:WORD_1
	v_cvt_pk_f32_fp8_e32 v[44:45], v27
	v_perm_b32 v27, v43, v42, s1
	v_cmp_eq_u32_e32 vcc, 0, v33
	v_perm_b32 v43, v41, v40, s1
	v_mfma_f32_4x4x4_16b_bf16 a[0:3], v[10:11], v[26:27], 0 cbsz:4
	v_cvt_pk_f32_fp8_e32 v[26:27], v28
	v_cvt_pk_f32_fp8_sdwa v[40:41], v28 src0_sel:WORD_1
	v_perm_b32 v42, v45, v44, s1
	v_perm_b32 v26, v27, v26, s1
	s_nop 0
	v_mfma_f32_4x4x4_16b_bf16 a[0:3], v[12:13], v[42:43], a[0:3] cbsz:4
	v_cvt_pk_f32_fp8_e32 v[42:43], v29
	v_cvt_pk_f32_fp8_sdwa v[28:29], v29 src0_sel:WORD_1
	v_perm_b32 v27, v41, v40, s1
	v_perm_b32 v40, v43, v42, s1
	s_nop 0
	v_mfma_f32_4x4x4_16b_bf16 a[0:3], v[10:11], v[26:27], a[0:3] cbsz:4 abid:1
	s_waitcnt vmcnt(4)
	v_cvt_pk_f32_fp8_e32 v[26:27], v22
	v_perm_b32 v41, v29, v28, s1
	v_cvt_pk_f32_fp8_sdwa v[28:29], v22 src0_sel:WORD_1
	v_perm_b32 v22, v27, v26, s1
	v_cvt_pk_f32_fp8_sdwa v[26:27], v23 src0_sel:WORD_1
	v_mfma_f32_4x4x4_16b_bf16 a[0:3], v[12:13], v[40:41], a[0:3] cbsz:4 abid:1
	v_cvt_pk_f32_fp8_e32 v[40:41], v23
	v_perm_b32 v23, v29, v28, s1
	v_perm_b32 v29, v27, v26, s1
	v_cvt_pk_f32_fp8_sdwa v[26:27], v24 src0_sel:WORD_1
	v_mfma_f32_4x4x4_16b_bf16 a[0:3], v[10:11], v[22:23], a[0:3] cbsz:4 abid:2
	v_cvt_pk_f32_fp8_e32 v[22:23], v24
	v_perm_b32 v28, v41, v40, s1
	v_perm_b32 v22, v23, v22, s1
	s_nop 0
	v_mfma_f32_4x4x4_16b_bf16 a[0:3], v[12:13], v[28:29], a[0:3] cbsz:4 abid:2
	v_cvt_pk_f32_fp8_e32 v[28:29], v25
	v_cvt_pk_f32_fp8_sdwa v[24:25], v25 src0_sel:WORD_1
	v_perm_b32 v23, v27, v26, s1
	v_perm_b32 v26, v29, v28, s1
	s_nop 0
	v_mfma_f32_4x4x4_16b_bf16 a[0:3], v[10:11], v[22:23], a[0:3] cbsz:4 abid:3
	s_waitcnt vmcnt(3)
	v_cvt_pk_f32_fp8_e32 v[22:23], v18
	v_perm_b32 v27, v25, v24, s1
	v_cvt_pk_f32_fp8_sdwa v[24:25], v18 src0_sel:WORD_1
	v_perm_b32 v18, v23, v22, s1
	v_cvt_pk_f32_fp8_sdwa v[22:23], v19 src0_sel:WORD_1
	v_mfma_f32_4x4x4_16b_bf16 a[0:3], v[12:13], v[26:27], a[0:3] cbsz:4 abid:3
	v_cvt_pk_f32_fp8_e32 v[26:27], v19
	v_perm_b32 v19, v25, v24, s1
	v_perm_b32 v25, v23, v22, s1
	v_cvt_pk_f32_fp8_sdwa v[22:23], v20 src0_sel:WORD_1
	v_mfma_f32_4x4x4_16b_bf16 a[0:3], v[10:11], v[18:19], a[0:3] cbsz:4 abid:4
	v_cvt_pk_f32_fp8_e32 v[18:19], v20
	v_perm_b32 v24, v27, v26, s1
	v_perm_b32 v18, v19, v18, s1
	s_nop 0
	v_mfma_f32_4x4x4_16b_bf16 a[0:3], v[12:13], v[24:25], a[0:3] cbsz:4 abid:4
	v_cvt_pk_f32_fp8_e32 v[24:25], v21
	v_cvt_pk_f32_fp8_sdwa v[20:21], v21 src0_sel:WORD_1
	v_perm_b32 v19, v23, v22, s1
	v_perm_b32 v22, v25, v24, s1
	s_nop 0
	v_mfma_f32_4x4x4_16b_bf16 a[0:3], v[10:11], v[18:19], a[0:3] cbsz:4 abid:5
	s_waitcnt vmcnt(2)
	v_cvt_pk_f32_fp8_e32 v[18:19], v14
	v_perm_b32 v23, v21, v20, s1
	v_cvt_pk_f32_fp8_sdwa v[20:21], v14 src0_sel:WORD_1
	v_mov_b32_e32 v25, 0xff7fffff
	v_mfma_f32_4x4x4_16b_bf16 a[0:3], v[12:13], v[22:23], a[0:3] cbsz:4 abid:5
	v_cvt_pk_f32_fp8_e32 v[22:23], v15
	v_perm_b32 v14, v19, v18, s1
	v_cvt_pk_f32_fp8_sdwa v[18:19], v15 src0_sel:WORD_1
	v_perm_b32 v15, v21, v20, s1
	v_perm_b32 v20, v23, v22, s1
	v_perm_b32 v21, v19, v18, s1
	v_mfma_f32_4x4x4_16b_bf16 a[0:3], v[10:11], v[14:15], a[0:3] cbsz:4 abid:6
	v_cvt_pk_f32_fp8_e32 v[14:15], v16
	v_cvt_pk_f32_fp8_sdwa v[18:19], v16 src0_sel:WORD_1
	v_mfma_f32_4x4x4_16b_bf16 a[0:3], v[12:13], v[20:21], a[0:3] cbsz:4 abid:6
	v_cvt_pk_f32_fp8_e32 v[20:21], v17
	v_cvt_pk_f32_fp8_sdwa v[16:17], v17 src0_sel:WORD_1
	v_perm_b32 v14, v15, v14, s1
	v_perm_b32 v15, v19, v18, s1
	;; [unrolled: 1-line block ×4, first 2 shown]
	v_mfma_f32_4x4x4_16b_bf16 a[0:3], v[10:11], v[14:15], a[0:3] cbsz:4 abid:7
	s_load_dword s1, s[8:9], 0x0
	s_waitcnt lgkmcnt(0)
	v_mov_b32_e32 v10, s0
	v_mfma_f32_4x4x4_16b_bf16 a[0:3], v[12:13], v[18:19], a[0:3] cbsz:4 abid:7
	v_mul_f32_e32 v12, s1, v10
	s_nop 3
	v_accvgpr_read_b32 v15, a1
	v_accvgpr_read_b32 v14, a0
	v_pk_mul_f32 v[14:15], v[14:15], v[12:13] op_sel_hi:[1,0]
	v_accvgpr_read_b32 v11, a3
	v_accvgpr_read_b32 v10, a2
	v_pk_mul_f32 v[18:19], v[10:11], v[12:13] op_sel_hi:[1,0]
	v_cndmask_b32_e64 v10, 0, 1.0, vcc
	v_cmp_eq_u32_e32 vcc, 1, v33
	s_nop 0
	v_mfma_f32_4x4x1_16b_f32 a[0:3], v14, v10, 0
	v_cndmask_b32_e64 v10, 0, 1.0, vcc
	v_cmp_eq_u32_e32 vcc, 2, v33
	s_nop 0
	v_mfma_f32_4x4x1_16b_f32 a[0:3], v15, v10, a[0:3]
	v_cndmask_b32_e64 v10, 0, 1.0, vcc
	s_nop 1
	v_mfma_f32_4x4x1_16b_f32 a[0:3], v18, v10, a[0:3]
	global_load_dwordx4 v[14:17], v[36:37], off
	global_load_dwordx4 v[10:13], v[38:39], off
	v_and_b32_e32 v18, -4, v34
	v_mfma_f32_4x4x1_16b_f32 a[0:3], v19, v31, a[0:3]
	v_subrev_u32_e32 v19, s3, v18
	v_add_u32_e32 v20, 1, v19
	v_cvt_f32_i32_e32 v20, v20
	v_add_u32_e32 v21, 2, v19
	v_cvt_f32_i32_e32 v21, v21
	v_accvgpr_read_b32 v22, a0
	v_fma_f32 v20, v30, v20, v22
	v_accvgpr_read_b32 v22, a1
	v_fma_f32 v21, v30, v21, v22
	v_add_u32_e32 v22, 3, v19
	v_cvt_f32_i32_e32 v22, v22
	v_add_u32_e32 v19, 4, v19
	v_max_f32_e32 v24, 0xff7fffff, v20
	v_cmp_gt_i32_e32 vcc, s3, v18
	v_cvt_f32_i32_e32 v19, v19
	v_accvgpr_read_b32 v23, a2
	v_cndmask_b32_e32 v24, v25, v24, vcc
	v_or_b32_e32 v25, 1, v18
	v_max_f32_e32 v26, v24, v21
	v_cmp_gt_i32_e64 s[0:1], s3, v25
	v_fma_f32 v22, v30, v22, v23
	v_or_b32_e32 v18, 2, v18
	v_cndmask_b32_e64 v24, v24, v26, s[0:1]
	v_accvgpr_read_b32 v23, a3
	v_max_f32_e32 v25, v24, v22
	v_cmp_gt_i32_e64 s[4:5], s3, v18
	v_fmac_f32_e32 v23, v30, v19
	v_lshlrev_b32_e32 v19, 2, v0
	v_cndmask_b32_e64 v18, v24, v25, s[4:5]
	v_or_b32_e32 v24, 3, v34
	v_max_f32_e32 v25, v18, v23
	v_cmp_gt_i32_e64 s[8:9], s3, v24
	v_and_or_b32 v19, v19, 48, v33
	s_nop 0
	v_cndmask_b32_e64 v18, v18, v25, s[8:9]
	;;#ASMSTART
	v_nop
 v_nop
 v_max_f32_dpp v18, v18, v18 row_ror:4
	;;#ASMEND
	v_lshlrev_b32_e32 v25, 2, v19
	;;#ASMSTART
	v_nop
 v_nop
 v_max_f32_dpp v18, v18, v18 row_ror:8
	;;#ASMEND
	ds_bpermute_b32 v18, v25, v18
	s_waitcnt lgkmcnt(0)
	;;#ASMSTART
	v_nop
 v_nop
 v_max_f32_dpp v18, v18, v18 row_ror:4
	;;#ASMEND
	s_nop 0
	;;#ASMSTART
	v_nop
 v_nop
 v_max_f32_dpp v24, v18, v18 row_ror:8
	;;#ASMEND
	s_nop 0
	v_sub_f32_e32 v18, v20, v24
	v_mul_f32_e32 v18, 0x3fb8aa3b, v18
	v_sub_f32_e32 v19, v21, v24
	v_exp_f32_e32 v18, v18
	v_mul_f32_e32 v19, 0x3fb8aa3b, v19
	v_sub_f32_e32 v21, v22, v24
	v_exp_f32_e32 v19, v19
	;; [unrolled: 3-line block ×3, first 2 shown]
	v_mul_f32_e32 v22, 0x3fb8aa3b, v22
	v_exp_f32_e32 v22, v22
	v_cndmask_b32_e32 v18, 0, v18, vcc
	v_add_f32_e32 v20, 0, v18
	v_cndmask_b32_e64 v19, 0, v19, s[0:1]
	v_add_f32_e32 v23, v20, v19
	v_cndmask_b32_e64 v20, 0, v21, s[4:5]
	;; [unrolled: 2-line block ×3, first 2 shown]
	v_add_f32_e32 v22, v23, v21
	;;#ASMSTART
	v_nop
 v_nop
 v_add_f32_dpp v22, v22, v22 row_ror:4
	;;#ASMEND
	v_cmp_gt_u32_e32 vcc, 4, v32
	;;#ASMSTART
	v_nop
 v_nop
 v_add_f32_dpp v22, v22, v22 row_ror:8
	;;#ASMEND
	ds_bpermute_b32 v22, v25, v22
	s_waitcnt lgkmcnt(0)
	;;#ASMSTART
	v_nop
 v_nop
 v_add_f32_dpp v22, v22, v22 row_ror:4
	;;#ASMEND
	s_nop 0
	;;#ASMSTART
	v_nop
 v_nop
 v_add_f32_dpp v22, v22, v22 row_ror:8
	;;#ASMEND
	s_and_saveexec_b64 s[0:1], vcc
	s_cbranch_execz .LBB1090_18
; %bb.17:
	v_mul_u32_u24_e32 v23, 20, v1
	v_lshl_add_u32 v23, v33, 2, v23
	v_add_u32_e32 v23, 0x800, v23
	ds_write2_b32 v23, v24, v22 offset0:128 offset1:148
.LBB1090_18:
	s_or_b64 exec, exec, s[0:1]
.LBB1090_19:
	s_or_b64 exec, exec, s[26:27]
	s_waitcnt lgkmcnt(0)
	s_barrier
	s_load_dword s0, s[24:25], 0x8
	v_lshlrev_b32_e32 v22, 2, v33
	v_add_u32_e32 v30, 0x800, v22
	ds_read2_b32 v[22:23], v30 offset0:128 offset1:133
	ds_read2_b32 v[26:27], v30 offset0:138 offset1:143
	s_mul_i32 s1, s2, s38
	s_waitcnt lgkmcnt(0)
	s_mul_i32 s0, s1, s0
	s_mov_b32 s1, 0xff7fffff
	v_max3_f32 v25, v22, s1, v23
	v_max3_f32 v25, v25, v26, v27
	v_sub_f32_e32 v22, v22, v25
	v_mul_f32_e32 v22, 0x3fb8aa3b, v22
	ds_read2_b32 v[28:29], v30 offset0:148 offset1:153
	v_exp_f32_e32 v31, v22
	v_sub_f32_e32 v22, v23, v25
	v_sub_f32_e32 v26, v26, v25
	v_mul_f32_e32 v22, 0x3fb8aa3b, v22
	v_mul_f32_e32 v26, 0x3fb8aa3b, v26
	v_exp_f32_e32 v34, v22
	ds_read2_b32 v[22:23], v30 offset0:158 offset1:163
	v_exp_f32_e32 v30, v26
	v_sub_f32_e32 v26, v27, v25
	v_mul_f32_e32 v26, 0x3fb8aa3b, v26
	v_exp_f32_e32 v27, v26
	s_waitcnt lgkmcnt(1)
	v_fma_f32 v26, v31, v28, 0
	v_fmac_f32_e32 v26, v34, v29
	s_waitcnt lgkmcnt(0)
	v_fmac_f32_e32 v26, v30, v22
	s_mul_i32 s0, s0, 3
	v_fmac_f32_e32 v26, v27, v23
	v_cmp_ne_u32_e32 vcc, 3, v33
	s_and_saveexec_b64 s[2:3], vcc
	s_cbranch_execz .LBB1090_21
; %bb.20:
	s_mov_b32 s1, 0
	s_lshl_b64 s[4:5], s[0:1], 2
	s_add_u32 s12, s12, s4
	s_mov_b32 s21, s1
	s_addc_u32 s13, s13, s5
	s_lshl_b64 s[8:9], s[20:21], 2
	s_add_u32 s12, s12, s8
	s_addc_u32 s13, s13, s9
	s_add_u32 s1, s14, s4
	s_addc_u32 s5, s15, s5
	v_add_u32_e32 v22, s33, v33
	s_add_u32 s4, s1, s8
	v_mul_lo_u32 v22, s38, v22
	v_mov_b32_e32 v23, 0
	s_addc_u32 s5, s5, s9
	v_lshlrev_b64 v[22:23], 2, v[22:23]
	v_lshl_add_u64 v[28:29], s[12:13], 0, v[22:23]
	v_lshl_add_u64 v[22:23], s[4:5], 0, v[22:23]
	global_store_dword v[22:23], v25, off
	global_store_dword v[28:29], v26, off
.LBB1090_21:
	s_or_b64 exec, exec, s[2:3]
	v_mov_b32_e32 v22, 0
	v_mov_b32_e32 v23, 0
	s_and_saveexec_b64 s[2:3], s[6:7]
	s_cbranch_execz .LBB1090_23
; %bb.22:
	v_add_f32_e32 v22, 0x358637bd, v26
	v_div_scale_f32 v23, s[4:5], v22, v22, 1.0
	v_rcp_f32_e32 v26, v23
	v_div_scale_f32 v27, vcc, 1.0, v22, 1.0
	v_sub_f32_e32 v24, v24, v25
	v_fma_f32 v28, -v23, v26, 1.0
	v_fmac_f32_e32 v26, v28, v26
	v_mul_f32_e32 v28, v27, v26
	v_fma_f32 v29, -v23, v28, v27
	v_mul_f32_e32 v24, 0x3fb8aa3b, v24
	v_fmac_f32_e32 v28, v29, v26
	v_exp_f32_e32 v24, v24
	v_fma_f32 v23, -v23, v28, v27
	v_div_fmas_f32 v23, v23, v26, v28
	v_div_fixup_f32 v22, v23, v22, 1.0
	v_mul_f32_e32 v22, v24, v22
	v_pk_mul_f32 v[18:19], v[18:19], v[22:23] op_sel_hi:[1,0]
	v_pk_mul_f32 v[20:21], v[20:21], v[22:23] op_sel_hi:[1,0]
	v_bfe_u32 v22, v19, 16, 1
	v_bfe_u32 v23, v18, 16, 1
	s_movk_i32 s1, 0x7fff
	v_add3_u32 v18, v18, v23, s1
	v_add3_u32 v19, v19, v22, s1
	s_mov_b32 s5, 0x7060302
	v_perm_b32 v18, v19, v18, s5
	v_bfe_u32 v19, v21, 16, 1
	v_bfe_u32 v22, v20, 16, 1
	v_add3_u32 v22, v20, v22, s1
	v_add3_u32 v19, v21, v19, s1
	s_waitcnt vmcnt(3)
	v_cvt_pk_f32_fp8_e32 v[20:21], v6
	v_perm_b32 v19, v19, v22, s5
	v_cvt_pk_f32_fp8_sdwa v[22:23], v6 src0_sel:WORD_1
	v_cvt_pk_f32_fp8_e32 v[24:25], v7
	v_perm_b32 v6, v21, v20, s5
	v_cvt_pk_f32_fp8_sdwa v[20:21], v7 src0_sel:WORD_1
	v_perm_b32 v7, v23, v22, s5
	v_perm_b32 v22, v25, v24, s5
	s_load_dword s4, s[10:11], 0x0
	v_mfma_f32_4x4x4_16b_bf16 a[0:3], v[18:19], v[6:7], 0 cbsz:4
	v_perm_b32 v23, v21, v20, s5
	v_cvt_pk_f32_fp8_e32 v[6:7], v8
	v_cvt_pk_f32_fp8_sdwa v[20:21], v8 src0_sel:WORD_1
	v_mfma_f32_4x4x4_16b_bf16 a[0:3], v[18:19], v[22:23], a[0:3] cbsz:4 abid:1
	v_cvt_pk_f32_fp8_e32 v[22:23], v9
	v_cvt_pk_f32_fp8_sdwa v[8:9], v9 src0_sel:WORD_1
	v_perm_b32 v6, v7, v6, s5
	v_perm_b32 v7, v21, v20, s5
	;; [unrolled: 1-line block ×4, first 2 shown]
	v_mfma_f32_4x4x4_16b_bf16 a[0:3], v[18:19], v[6:7], a[0:3] cbsz:4 abid:2
	s_waitcnt vmcnt(2)
	v_cvt_pk_f32_fp8_e32 v[6:7], v2
	v_cvt_pk_f32_fp8_sdwa v[8:9], v2 src0_sel:WORD_1
	v_mfma_f32_4x4x4_16b_bf16 a[0:3], v[18:19], v[20:21], a[0:3] cbsz:4 abid:3
	v_cvt_pk_f32_fp8_e32 v[20:21], v3
	v_perm_b32 v2, v7, v6, s5
	v_cvt_pk_f32_fp8_sdwa v[6:7], v3 src0_sel:WORD_1
	v_perm_b32 v3, v9, v8, s5
	v_perm_b32 v8, v21, v20, s5
	;; [unrolled: 1-line block ×3, first 2 shown]
	v_mfma_f32_4x4x4_16b_bf16 a[0:3], v[18:19], v[2:3], a[0:3] cbsz:4 abid:4
	v_cvt_pk_f32_fp8_e32 v[2:3], v4
	v_cvt_pk_f32_fp8_sdwa v[6:7], v4 src0_sel:WORD_1
	v_mfma_f32_4x4x4_16b_bf16 a[0:3], v[18:19], v[8:9], a[0:3] cbsz:4 abid:5
	v_cvt_pk_f32_fp8_e32 v[8:9], v5
	v_cvt_pk_f32_fp8_sdwa v[4:5], v5 src0_sel:WORD_1
	v_perm_b32 v2, v3, v2, s5
	v_perm_b32 v3, v7, v6, s5
	;; [unrolled: 1-line block ×4, first 2 shown]
	v_mfma_f32_4x4x4_16b_bf16 a[0:3], v[18:19], v[2:3], a[0:3] cbsz:4 abid:6
	s_waitcnt vmcnt(1)
	v_cvt_pk_f32_fp8_e32 v[2:3], v14
	v_cvt_pk_f32_fp8_sdwa v[4:5], v14 src0_sel:WORD_1
	v_mfma_f32_4x4x4_16b_bf16 a[0:3], v[18:19], v[6:7], a[0:3] cbsz:4 abid:7
	v_cvt_pk_f32_fp8_e32 v[6:7], v15
	v_cvt_pk_f32_fp8_sdwa v[8:9], v15 src0_sel:WORD_1
	v_perm_b32 v2, v3, v2, s5
	v_perm_b32 v3, v5, v4, s5
	;; [unrolled: 1-line block ×4, first 2 shown]
	v_mfma_f32_4x4x4_16b_bf16 a[0:3], v[18:19], v[2:3], a[0:3] cbsz:4 abid:8
	v_cvt_pk_f32_fp8_e32 v[2:3], v16
	v_cvt_pk_f32_fp8_e32 v[6:7], v17
	v_mfma_f32_4x4x4_16b_bf16 a[0:3], v[18:19], v[4:5], a[0:3] cbsz:4 abid:9
	v_cvt_pk_f32_fp8_sdwa v[4:5], v16 src0_sel:WORD_1
	v_cvt_pk_f32_fp8_sdwa v[8:9], v17 src0_sel:WORD_1
	v_perm_b32 v2, v3, v2, s5
	v_perm_b32 v3, v5, v4, s5
	;; [unrolled: 1-line block ×3, first 2 shown]
	s_nop 0
	v_mfma_f32_4x4x4_16b_bf16 a[0:3], v[18:19], v[2:3], a[0:3] cbsz:4 abid:10
	v_perm_b32 v5, v9, v8, s5
	s_waitcnt vmcnt(0)
	v_cvt_pk_f32_fp8_e32 v[2:3], v10
	v_cvt_pk_f32_fp8_e32 v[6:7], v11
	v_mfma_f32_4x4x4_16b_bf16 a[0:3], v[18:19], v[4:5], a[0:3] cbsz:4 abid:11
	v_cvt_pk_f32_fp8_sdwa v[4:5], v10 src0_sel:WORD_1
	v_cvt_pk_f32_fp8_sdwa v[8:9], v11 src0_sel:WORD_1
	v_perm_b32 v2, v3, v2, s5
	v_perm_b32 v3, v5, v4, s5
	;; [unrolled: 1-line block ×3, first 2 shown]
	s_nop 0
	v_mfma_f32_4x4x4_16b_bf16 a[0:3], v[18:19], v[2:3], a[0:3] cbsz:4 abid:12
	v_perm_b32 v5, v9, v8, s5
	v_cvt_pk_f32_fp8_e32 v[2:3], v12
	v_cvt_pk_f32_fp8_e32 v[6:7], v13
	v_mfma_f32_4x4x4_16b_bf16 a[0:3], v[18:19], v[4:5], a[0:3] cbsz:4 abid:13
	v_cvt_pk_f32_fp8_sdwa v[4:5], v12 src0_sel:WORD_1
	v_cvt_pk_f32_fp8_sdwa v[8:9], v13 src0_sel:WORD_1
	v_perm_b32 v2, v3, v2, s5
	v_perm_b32 v3, v5, v4, s5
	;; [unrolled: 1-line block ×3, first 2 shown]
	s_nop 0
	v_mfma_f32_4x4x4_16b_bf16 a[0:3], v[18:19], v[2:3], a[0:3] cbsz:4 abid:14
	v_perm_b32 v5, v9, v8, s5
	s_nop 1
	v_mfma_f32_4x4x4_16b_bf16 a[0:3], v[18:19], v[4:5], a[0:3] cbsz:4 abid:15
	s_nop 4
	v_accvgpr_read_b32 v5, a1
	v_accvgpr_read_b32 v4, a0
	;; [unrolled: 1-line block ×4, first 2 shown]
	s_waitcnt lgkmcnt(0)
	v_pk_mul_f32 v[4:5], v[4:5], s[4:5] op_sel_hi:[1,0]
	v_pk_mul_f32 v[2:3], v[2:3], s[4:5] op_sel_hi:[1,0]
	v_bfe_u32 v6, v5, 16, 1
	v_bfe_u32 v7, v4, 16, 1
	v_add3_u32 v4, v4, v7, s1
	v_add3_u32 v5, v5, v6, s1
	v_bfe_u32 v6, v3, 16, 1
	v_bfe_u32 v7, v2, 16, 1
	v_add3_u32 v2, v2, v7, s1
	v_add3_u32 v3, v3, v6, s1
	v_perm_b32 v23, v3, v2, s5
	v_perm_b32 v22, v5, v4, s5
.LBB1090_23:
	s_or_b64 exec, exec, s[2:3]
	v_lshlrev_b32_e32 v1, 3, v1
	v_mad_u32_u24 v1, v32, 40, v1
	v_cmp_gt_u32_e32 vcc, 64, v0
	ds_write_b64 v1, v[22:23]
	s_waitcnt lgkmcnt(0)
	s_barrier
	s_and_saveexec_b64 s[2:3], vcc
	s_cbranch_execz .LBB1090_25
; %bb.24:
	v_mul_u32_u24_e32 v1, 40, v32
	s_waitcnt vmcnt(2)
	ds_read2_b64 v[2:5], v1 offset1:1
	ds_read2_b64 v[6:9], v1 offset0:2 offset1:3
	s_mov_b32 s1, 0
	s_lshl_b32 s0, s0, 6
	s_lshl_b64 s[2:3], s[0:1], 1
	s_waitcnt lgkmcnt(1)
	v_and_b32_e32 v1, 0xffff0000, v2
	v_lshlrev_b32_e32 v3, 16, v3
	v_add_f32_e32 v1, 0, v1
	v_add_f32_e32 v3, 0, v3
	v_and_b32_e32 v1, 0xffff0000, v1
	s_waitcnt vmcnt(0)
	v_and_b32_e32 v10, 0xffff0000, v4
	v_and_b32_e32 v3, 0xffff0000, v3
	v_add_f32_e32 v1, v1, v10
	v_lshlrev_b32_e32 v5, 16, v5
	v_and_b32_e32 v1, 0xffff0000, v1
	v_add_f32_e32 v3, v3, v5
	s_waitcnt lgkmcnt(0)
	v_and_b32_e32 v5, 0xffff0000, v6
	v_and_b32_e32 v3, 0xffff0000, v3
	v_add_f32_e32 v1, v1, v5
	v_lshlrev_b32_e32 v5, 16, v7
	v_and_b32_e32 v1, 0xffff0000, v1
	v_add_f32_e32 v3, v3, v5
	v_and_b32_e32 v5, 0xffff0000, v8
	v_lshlrev_b32_e32 v2, 16, v2
	v_and_b32_e32 v3, 0xffff0000, v3
	v_add_f32_e32 v1, v1, v5
	v_lshlrev_b32_e32 v5, 16, v9
	s_add_u32 s2, s22, s2
	v_add_f32_e32 v2, 0, v2
	v_add_f32_e32 v7, v3, v5
	s_addc_u32 s3, s23, s3
	s_lshl_b32 s0, s20, 6
	v_and_b32_e32 v2, 0xffff0000, v2
	v_lshlrev_b32_e32 v3, 16, v4
	s_lshl_b64 s[0:1], s[0:1], 1
	v_add_f32_e32 v2, v2, v3
	s_add_u32 s0, s2, s0
	v_and_b32_e32 v2, 0xffff0000, v2
	v_lshlrev_b32_e32 v3, 16, v6
	s_addc_u32 s1, s3, s1
	s_lshl_b32 s2, s38, 6
	v_add_f32_e32 v2, v2, v3
	v_and_b32_e32 v2, 0xffff0000, v2
	v_lshlrev_b32_e32 v3, 16, v8
	s_mul_i32 s3, s2, s33
	v_add_f32_e32 v6, v2, v3
	v_or_b32_e32 v2, s3, v0
	v_mov_b32_e32 v3, 0
	s_add_i32 s3, s3, s2
	v_lshl_add_u64 v[4:5], v[2:3], 1, s[0:1]
	v_or_b32_e32 v2, s3, v0
	s_add_i32 s3, s3, s2
	global_store_short_d16_hi v[4:5], v6, off
	v_lshl_add_u64 v[4:5], v[2:3], 1, s[0:1]
	v_or_b32_e32 v2, s3, v0
	global_store_short_d16_hi v[4:5], v1, off
	v_lshl_add_u64 v[0:1], v[2:3], 1, s[0:1]
	global_store_short_d16_hi v[0:1], v7, off
.LBB1090_25:
	s_endpgm
	.section	.rodata,"a",@progbits
	.p2align	6, 0x0
	.amdhsa_kernel _Z38paged_attention_ll4mi_QKV_mfma4_kernelI14__hip_bfloat16hLN4vllm18Fp8KVCacheDataTypeE1EhLi16ELi64ELi256ELb1ELi3EEvPKT_PKT0_S8_ifPKiSA_SA_iPKfiiiPfSD_PS3_PT2_iSC_SC_
		.amdhsa_group_segment_fixed_size 2720
		.amdhsa_private_segment_fixed_size 0
		.amdhsa_kernarg_size 400
		.amdhsa_user_sgpr_count 2
		.amdhsa_user_sgpr_dispatch_ptr 0
		.amdhsa_user_sgpr_queue_ptr 0
		.amdhsa_user_sgpr_kernarg_segment_ptr 1
		.amdhsa_user_sgpr_dispatch_id 0
		.amdhsa_user_sgpr_kernarg_preload_length 0
		.amdhsa_user_sgpr_kernarg_preload_offset 0
		.amdhsa_user_sgpr_private_segment_size 0
		.amdhsa_uses_dynamic_stack 0
		.amdhsa_enable_private_segment 0
		.amdhsa_system_sgpr_workgroup_id_x 1
		.amdhsa_system_sgpr_workgroup_id_y 1
		.amdhsa_system_sgpr_workgroup_id_z 1
		.amdhsa_system_sgpr_workgroup_info 0
		.amdhsa_system_vgpr_workitem_id 0
		.amdhsa_next_free_vgpr 52
		.amdhsa_next_free_sgpr 44
		.amdhsa_accum_offset 48
		.amdhsa_reserve_vcc 1
		.amdhsa_float_round_mode_32 0
		.amdhsa_float_round_mode_16_64 0
		.amdhsa_float_denorm_mode_32 3
		.amdhsa_float_denorm_mode_16_64 3
		.amdhsa_dx10_clamp 1
		.amdhsa_ieee_mode 1
		.amdhsa_fp16_overflow 0
		.amdhsa_tg_split 0
		.amdhsa_exception_fp_ieee_invalid_op 0
		.amdhsa_exception_fp_denorm_src 0
		.amdhsa_exception_fp_ieee_div_zero 0
		.amdhsa_exception_fp_ieee_overflow 0
		.amdhsa_exception_fp_ieee_underflow 0
		.amdhsa_exception_fp_ieee_inexact 0
		.amdhsa_exception_int_div_zero 0
	.end_amdhsa_kernel
	.section	.text._Z38paged_attention_ll4mi_QKV_mfma4_kernelI14__hip_bfloat16hLN4vllm18Fp8KVCacheDataTypeE1EhLi16ELi64ELi256ELb1ELi3EEvPKT_PKT0_S8_ifPKiSA_SA_iPKfiiiPfSD_PS3_PT2_iSC_SC_,"axG",@progbits,_Z38paged_attention_ll4mi_QKV_mfma4_kernelI14__hip_bfloat16hLN4vllm18Fp8KVCacheDataTypeE1EhLi16ELi64ELi256ELb1ELi3EEvPKT_PKT0_S8_ifPKiSA_SA_iPKfiiiPfSD_PS3_PT2_iSC_SC_,comdat
.Lfunc_end1090:
	.size	_Z38paged_attention_ll4mi_QKV_mfma4_kernelI14__hip_bfloat16hLN4vllm18Fp8KVCacheDataTypeE1EhLi16ELi64ELi256ELb1ELi3EEvPKT_PKT0_S8_ifPKiSA_SA_iPKfiiiPfSD_PS3_PT2_iSC_SC_, .Lfunc_end1090-_Z38paged_attention_ll4mi_QKV_mfma4_kernelI14__hip_bfloat16hLN4vllm18Fp8KVCacheDataTypeE1EhLi16ELi64ELi256ELb1ELi3EEvPKT_PKT0_S8_ifPKiSA_SA_iPKfiiiPfSD_PS3_PT2_iSC_SC_
                                        ; -- End function
	.section	.AMDGPU.csdata,"",@progbits
; Kernel info:
; codeLenInByte = 4280
; NumSgprs: 50
; NumVgprs: 46
; NumAgprs: 4
; TotalNumVgprs: 52
; ScratchSize: 0
; MemoryBound: 0
; FloatMode: 240
; IeeeMode: 1
; LDSByteSize: 2720 bytes/workgroup (compile time only)
; SGPRBlocks: 6
; VGPRBlocks: 6
; NumSGPRsForWavesPerEU: 50
; NumVGPRsForWavesPerEU: 52
; AccumOffset: 48
; Occupancy: 8
; WaveLimiterHint : 1
; COMPUTE_PGM_RSRC2:SCRATCH_EN: 0
; COMPUTE_PGM_RSRC2:USER_SGPR: 2
; COMPUTE_PGM_RSRC2:TRAP_HANDLER: 0
; COMPUTE_PGM_RSRC2:TGID_X_EN: 1
; COMPUTE_PGM_RSRC2:TGID_Y_EN: 1
; COMPUTE_PGM_RSRC2:TGID_Z_EN: 1
; COMPUTE_PGM_RSRC2:TIDIG_COMP_CNT: 0
; COMPUTE_PGM_RSRC3_GFX90A:ACCUM_OFFSET: 11
; COMPUTE_PGM_RSRC3_GFX90A:TG_SPLIT: 0
	.section	.text._Z38paged_attention_ll4mi_QKV_mfma4_kernelI14__hip_bfloat16hLN4vllm18Fp8KVCacheDataTypeE1EhLi16ELi64ELi256ELb1ELi4EEvPKT_PKT0_S8_ifPKiSA_SA_iPKfiiiPfSD_PS3_PT2_iSC_SC_,"axG",@progbits,_Z38paged_attention_ll4mi_QKV_mfma4_kernelI14__hip_bfloat16hLN4vllm18Fp8KVCacheDataTypeE1EhLi16ELi64ELi256ELb1ELi4EEvPKT_PKT0_S8_ifPKiSA_SA_iPKfiiiPfSD_PS3_PT2_iSC_SC_,comdat
	.protected	_Z38paged_attention_ll4mi_QKV_mfma4_kernelI14__hip_bfloat16hLN4vllm18Fp8KVCacheDataTypeE1EhLi16ELi64ELi256ELb1ELi4EEvPKT_PKT0_S8_ifPKiSA_SA_iPKfiiiPfSD_PS3_PT2_iSC_SC_ ; -- Begin function _Z38paged_attention_ll4mi_QKV_mfma4_kernelI14__hip_bfloat16hLN4vllm18Fp8KVCacheDataTypeE1EhLi16ELi64ELi256ELb1ELi4EEvPKT_PKT0_S8_ifPKiSA_SA_iPKfiiiPfSD_PS3_PT2_iSC_SC_
	.globl	_Z38paged_attention_ll4mi_QKV_mfma4_kernelI14__hip_bfloat16hLN4vllm18Fp8KVCacheDataTypeE1EhLi16ELi64ELi256ELb1ELi4EEvPKT_PKT0_S8_ifPKiSA_SA_iPKfiiiPfSD_PS3_PT2_iSC_SC_
	.p2align	8
	.type	_Z38paged_attention_ll4mi_QKV_mfma4_kernelI14__hip_bfloat16hLN4vllm18Fp8KVCacheDataTypeE1EhLi16ELi64ELi256ELb1ELi4EEvPKT_PKT0_S8_ifPKiSA_SA_iPKfiiiPfSD_PS3_PT2_iSC_SC_,@function
_Z38paged_attention_ll4mi_QKV_mfma4_kernelI14__hip_bfloat16hLN4vllm18Fp8KVCacheDataTypeE1EhLi16ELi64ELi256ELb1ELi4EEvPKT_PKT0_S8_ifPKiSA_SA_iPKfiiiPfSD_PS3_PT2_iSC_SC_: ; @_Z38paged_attention_ll4mi_QKV_mfma4_kernelI14__hip_bfloat16hLN4vllm18Fp8KVCacheDataTypeE1EhLi16ELi64ELi256ELb1ELi4EEvPKT_PKT0_S8_ifPKiSA_SA_iPKfiiiPfSD_PS3_PT2_iSC_SC_
; %bb.0:
	s_load_dwordx2 s[16:17], s[0:1], 0x30
	s_mov_b32 s24, s3
	s_mov_b64 s[6:7], 0
	s_waitcnt lgkmcnt(0)
	s_cmp_lg_u64 s[16:17], 0
	s_cselect_b64 s[18:19], -1, 0
	s_and_b64 vcc, exec, s[18:19]
	s_cbranch_vccz .LBB1091_18
; %bb.1:
	s_add_i32 s8, s2, 1
	s_mov_b32 s9, 0
	s_lshl_b64 s[10:11], s[8:9], 2
	s_add_u32 s10, s16, s10
	s_mov_b32 s3, s9
	s_addc_u32 s11, s17, s11
	s_lshl_b64 s[8:9], s[2:3], 2
	s_add_u32 s8, s16, s8
	s_addc_u32 s9, s17, s9
	s_load_dword s5, s[10:11], 0x0
	s_load_dword s12, s[8:9], 0x0
	s_mov_b64 s[34:35], s[2:3]
	s_waitcnt lgkmcnt(0)
	s_sub_i32 s5, s5, s12
	s_cmp_eq_u32 s5, 1
	s_cselect_b64 s[8:9], -1, 0
	s_andn2_b64 vcc, exec, s[6:7]
	s_cbranch_vccnz .LBB1091_3
.LBB1091_2:
	s_mov_b32 s3, 0
	s_mov_b64 s[8:9], -1
	s_mov_b64 s[34:35], s[2:3]
.LBB1091_3:
	s_andn2_b64 vcc, exec, s[8:9]
	s_cbranch_vccnz .LBB1091_17
; %bb.4:
	s_load_dword s3, s[0:1], 0x9c
	s_load_dwordx2 s[6:7], s[0:1], 0x28
	s_add_u32 s28, s0, 0x90
	s_addc_u32 s29, s1, 0
	s_lshl_b64 s[40:41], s[34:35], 2
	s_waitcnt lgkmcnt(0)
	s_and_b32 s5, s3, 0xffff
	s_add_u32 s6, s6, s40
	s_addc_u32 s7, s7, s41
	s_load_dword s3, s[6:7], 0x0
	s_mul_i32 s5, s24, s5
	s_waitcnt lgkmcnt(0)
	s_cmp_ge_i32 s5, s3
	s_cbranch_scc1 .LBB1091_17
; %bb.5:
	v_and_b32_e32 v2, 0xc0, v0
	v_and_b32_e32 v25, 3, v0
	s_lshl_b32 s33, s4, 2
	v_add_u32_e32 v4, s5, v2
	v_lshrrev_b32_e32 v1, 6, v0
	v_cmp_gt_i32_e64 s[6:7], s3, v4
	v_cmp_le_i32_e32 vcc, s3, v4
	v_or_b32_e32 v22, s33, v25
                                        ; implicit-def: $sgpr21
                                        ; implicit-def: $sgpr20
	s_and_saveexec_b64 s[8:9], vcc
	s_xor_b64 s[8:9], exec, s[8:9]
	s_cbranch_execz .LBB1091_7
; %bb.6:
	v_mul_u32_u24_e32 v2, 20, v1
	v_or_b32_e32 v2, 0xa00, v2
	v_mov_b32_e32 v3, 0xa50
	v_mov_b32_e32 v4, 0xff7fffff
	v_mad_u32_u24 v3, v1, 20, v3
	ds_write2_b32 v2, v4, v4 offset1:1
	v_mov_b32_e32 v2, 0
	ds_write2_b32 v3, v2, v2 offset1:1
	v_mov_b32_e32 v3, 0xa08
	s_mov_b32 s20, 0xff7fffff
	s_mov_b32 s21, 0
	v_mad_u32_u24 v3, v1, 20, v3
	v_mov_b32_e32 v5, 0xa58
	v_or_b32_e32 v22, s33, v25
	v_mad_u32_u24 v5, v1, 20, v5
	ds_write2_b32 v3, v4, v4 offset1:1
	ds_write2_b32 v5, v2, v2 offset1:1
                                        ; implicit-def: $vgpr4
.LBB1091_7:
	s_or_saveexec_b64 s[30:31], s[8:9]
	s_load_dwordx2 s[26:27], s[0:1], 0x68
	s_load_dwordx4 s[12:15], s[0:1], 0x58
	s_load_dword s44, s[28:29], 0x4
	s_load_dwordx4 s[8:11], s[0:1], 0x80
	v_and_b32_e32 v24, 63, v0
	v_mov_b32_e32 v21, s21
	v_mov_b32_e32 v26, s20
	;; [unrolled: 1-line block ×5, first 2 shown]
                                        ; implicit-def: $vgpr14_vgpr15
                                        ; implicit-def: $vgpr10_vgpr11
                                        ; implicit-def: $vgpr6_vgpr7
                                        ; implicit-def: $vgpr2_vgpr3
	s_xor_b64 exec, exec, s[30:31]
	s_cbranch_execz .LBB1091_13
; %bb.8:
	s_load_dwordx2 s[20:21], s[0:1], 0x20
	s_load_dword s22, s[0:1], 0x38
	s_add_i32 s23, s3, 15
	s_ashr_i32 s25, s23, 31
	s_lshr_b32 s25, s25, 28
	v_add_u32_e32 v26, s5, v0
	s_add_i32 s23, s23, s25
	v_ashrrev_i32_e32 v2, 31, v26
	s_ashr_i32 s23, s23, 4
	v_lshrrev_b32_e32 v2, 28, v2
	s_add_i32 s25, s23, -1
	s_waitcnt lgkmcnt(0)
	s_mul_i32 s42, s2, s22
	s_mov_b32 s43, 0
	v_add_u32_e32 v2, v26, v2
	s_lshl_b64 s[22:23], s[42:43], 2
	v_ashrrev_i32_e32 v2, 4, v2
	v_mov_b32_e32 v3, s25
	v_cmp_gt_i32_e32 vcc, s3, v26
	s_add_u32 s20, s20, s22
	s_addc_u32 s21, s21, s23
	v_cndmask_b32_e32 v2, v3, v2, vcc
	v_ashrrev_i32_e32 v3, 31, v2
	v_lshl_add_u64 v[8:9], v[2:3], 2, s[20:21]
	v_ashrrev_i32_e32 v2, 31, v4
	v_lshrrev_b32_e32 v2, 28, v2
	v_add_u32_e32 v2, v4, v2
	v_ashrrev_i32_e32 v4, 4, v2
	v_min_i32_e32 v2, s25, v4
	v_ashrrev_i32_e32 v3, 31, v2
	v_lshl_add_u64 v[10:11], v[2:3], 2, s[20:21]
	v_add_u32_e32 v2, 1, v4
	v_min_i32_e32 v2, s25, v2
	v_ashrrev_i32_e32 v3, 31, v2
	v_lshl_add_u64 v[12:13], v[2:3], 2, s[20:21]
	v_add_u32_e32 v2, 2, v4
	;; [unrolled: 4-line block ×3, first 2 shown]
	v_min_i32_e32 v2, s25, v2
	v_ashrrev_i32_e32 v3, 31, v2
	v_lshl_add_u64 v[16:17], v[2:3], 2, s[20:21]
	global_load_dword v6, v[8:9], off
	global_load_dword v5, v[10:11], off
	;; [unrolled: 1-line block ×5, first 2 shown]
	s_load_dwordx2 s[38:39], s[0:1], 0x40
	s_load_dwordx4 s[20:23], s[0:1], 0x0
	s_load_dwordx2 s[36:37], s[0:1], 0x10
	s_andn2_b64 vcc, exec, s[18:19]
	s_cbranch_vccnz .LBB1091_10
; %bb.9:
	s_add_u32 s16, s16, s40
	s_addc_u32 s17, s17, s41
	s_load_dword s42, s[16:17], 0x0
	s_waitcnt lgkmcnt(0)
	s_mov_b64 s[34:35], s[42:43]
.LBB1091_10:
	s_load_dwordx4 s[16:19], s[0:1], 0x48
	s_load_dword s5, s[0:1], 0x1c
	v_lshlrev_b32_e32 v10, 3, v25
	v_cmp_eq_u32_e32 vcc, 0, v25
	s_waitcnt lgkmcnt(0)
	s_ashr_i32 s1, s16, 31
	s_mul_hi_u32 s19, s34, s16
	s_mul_i32 s1, s34, s1
	s_mul_i32 s25, s35, s16
	s_add_i32 s1, s19, s1
	s_mul_i32 s0, s34, s16
	s_add_i32 s1, s1, s25
	s_lshl_b64 s[0:1], s[0:1], 1
	s_add_u32 s16, s20, s0
	s_addc_u32 s19, s21, s1
	s_lshl_b32 s42, s4, 8
	s_lshl_b64 s[0:1], s[42:43], 1
	s_add_u32 s0, s16, s0
	s_addc_u32 s1, s19, s1
	s_mul_i32 s4, s4, s18
	s_add_u32 s18, s4, s22
	s_addc_u32 s19, 0, s23
	v_mov_b64_e32 v[8:9], s[18:19]
	s_waitcnt vmcnt(4)
	v_mad_i64_i32 v[6:7], s[18:19], v6, s17, v[8:9]
	v_lshlrev_b32_e32 v8, 4, v0
	v_and_b32_e32 v8, 0xf0, v8
	v_mov_b32_e32 v9, 0
	v_lshl_add_u64 v[6:7], v[6:7], 0, v[8:9]
	v_lshrrev_b32_e32 v8, 2, v24
	v_add_lshl_u32 v8, v10, v8, 4
	global_load_dwordx4 v[28:31], v[6:7], off
	global_load_dwordx4 v[32:35], v[6:7], off offset:256
	global_load_dwordx4 v[18:21], v[6:7], off offset:512
	global_load_dwordx4 v[36:39], v8, s[0:1]
	global_load_dwordx4 v[40:43], v[6:7], off offset:768
	v_mov_b32_e32 v23, v9
	v_lshl_add_u64 v[10:11], v[22:23], 2, s[38:39]
	global_load_dword v23, v[10:11], off
	s_waitcnt vmcnt(9)
	v_mul_hi_i32 v8, v5, s17
	s_add_u32 s18, s36, s4
	s_waitcnt vmcnt(8)
	v_mul_hi_i32 v10, v4, s17
	v_ashrrev_i32_e32 v13, 31, v8
	s_addc_u32 s19, s37, 0
	v_lshlrev_b32_e32 v8, 4, v24
	s_waitcnt vmcnt(7)
	v_mul_hi_i32 v11, v3, s17
	v_ashrrev_i32_e32 v14, 31, v10
	v_lshl_add_u64 v[6:7], s[18:19], 0, v[8:9]
	v_lshrrev_b32_e32 v8, 29, v13
	s_waitcnt vmcnt(6)
	v_mul_hi_i32 v12, v2, s17
	v_ashrrev_i32_e32 v15, 31, v11
	v_mad_i64_i32 v[10:11], s[18:19], v5, s17, v[8:9]
	v_lshrrev_b32_e32 v8, 29, v14
	v_ashrrev_i32_e32 v12, 31, v12
	v_and_b32_e32 v10, -8, v10
	v_mad_i64_i32 v[4:5], s[18:19], v4, s17, v[8:9]
	v_lshrrev_b32_e32 v8, 29, v15
	v_lshl_add_u64 v[44:45], v[6:7], 0, v[10:11]
	v_mad_i64_i32 v[10:11], s[18:19], v3, s17, v[8:9]
	v_lshrrev_b32_e32 v8, 29, v12
	v_mad_i64_i32 v[2:3], s[16:17], v2, s17, v[8:9]
	v_and_b32_e32 v4, -8, v4
	v_and_b32_e32 v10, -8, v10
	;; [unrolled: 1-line block ×3, first 2 shown]
	v_lshl_add_u64 v[4:5], v[6:7], 0, v[4:5]
	v_lshl_add_u64 v[46:47], v[6:7], 0, v[10:11]
	global_load_dwordx4 v[14:17], v[44:45], off
	global_load_dwordx4 v[10:13], v[4:5], off
	v_lshl_add_u64 v[44:45], v[6:7], 0, v[2:3]
	global_load_dwordx4 v[6:9], v[46:47], off
	global_load_dwordx4 v[2:5], v[44:45], off
	s_mov_b32 s0, 0x7060302
	s_waitcnt vmcnt(9)
	v_cvt_pk_f32_fp8_e32 v[44:45], v28
	v_cvt_pk_f32_fp8_sdwa v[46:47], v28 src0_sel:WORD_1
	v_cvt_pk_f32_fp8_e32 v[48:49], v29
	v_cvt_pk_f32_fp8_sdwa v[28:29], v29 src0_sel:WORD_1
	;; [unrolled: 2-line block ×3, first 2 shown]
	v_perm_b32 v44, v45, v44, s0
	v_perm_b32 v45, v47, v46, s0
	v_cvt_pk_f32_fp8_e32 v[54:55], v31
	v_cvt_pk_f32_fp8_sdwa v[30:31], v31 src0_sel:WORD_1
	s_waitcnt vmcnt(6)
	v_mfma_f32_4x4x4_16b_bf16 a[0:3], v[36:37], v[44:45], 0 cbsz:4
	v_perm_b32 v46, v49, v48, s0
	v_perm_b32 v47, v29, v28, s0
	v_cvt_pk_f32_fp8_e32 v[56:57], v32
	v_cvt_pk_f32_fp8_sdwa v[58:59], v32 src0_sel:WORD_1
	v_mfma_f32_4x4x4_16b_bf16 a[0:3], v[38:39], v[46:47], a[0:3] cbsz:4
	v_perm_b32 v28, v51, v50, s0
	v_perm_b32 v29, v53, v52, s0
	v_cvt_pk_f32_fp8_e32 v[60:61], v33
	v_cvt_pk_f32_fp8_sdwa v[32:33], v33 src0_sel:WORD_1
	v_mfma_f32_4x4x4_16b_bf16 a[0:3], v[36:37], v[28:29], a[0:3] cbsz:4 abid:1
	v_perm_b32 v48, v55, v54, s0
	v_perm_b32 v49, v31, v30, s0
	v_cvt_pk_f32_fp8_e32 v[62:63], v34
	v_cvt_pk_f32_fp8_sdwa v[64:65], v34 src0_sel:WORD_1
	v_mfma_f32_4x4x4_16b_bf16 a[0:3], v[38:39], v[48:49], a[0:3] cbsz:4 abid:1
	;; [unrolled: 5-line block ×5, first 2 shown]
	v_perm_b32 v28, v67, v66, s0
	v_perm_b32 v29, v35, v34, s0
	;; [unrolled: 1-line block ×4, first 2 shown]
	v_mfma_f32_4x4x4_16b_bf16 a[0:3], v[38:39], v[28:29], a[0:3] cbsz:4 abid:3
	v_perm_b32 v28, v73, v72, s0
	v_perm_b32 v29, v19, v18, s0
	v_mfma_f32_4x4x4_16b_bf16 a[0:3], v[36:37], v[30:31], a[0:3] cbsz:4 abid:4
	v_cvt_pk_f32_fp8_e32 v[18:19], v20
	v_cvt_pk_f32_fp8_e32 v[30:31], v21
	v_mfma_f32_4x4x4_16b_bf16 a[0:3], v[38:39], v[28:29], a[0:3] cbsz:4 abid:4
	v_cvt_pk_f32_fp8_sdwa v[28:29], v20 src0_sel:WORD_1
	v_cvt_pk_f32_fp8_sdwa v[20:21], v21 src0_sel:WORD_1
	v_perm_b32 v18, v19, v18, s0
	v_perm_b32 v19, v29, v28, s0
	;; [unrolled: 1-line block ×3, first 2 shown]
	s_nop 0
	v_mfma_f32_4x4x4_16b_bf16 a[0:3], v[36:37], v[18:19], a[0:3] cbsz:4 abid:5
	s_waitcnt vmcnt(5)
	v_cvt_pk_f32_fp8_e32 v[18:19], v40
	v_cvt_pk_f32_fp8_sdwa v[20:21], v40 src0_sel:WORD_1
	v_perm_b32 v28, v31, v30, s0
	v_cvt_pk_f32_fp8_sdwa v[30:31], v41 src0_sel:WORD_1
	v_perm_b32 v18, v19, v18, s0
	v_mfma_f32_4x4x4_16b_bf16 a[0:3], v[38:39], v[28:29], a[0:3] cbsz:4 abid:5
	v_cvt_pk_f32_fp8_e32 v[28:29], v41
	v_perm_b32 v19, v21, v20, s0
	v_perm_b32 v21, v31, v30, s0
	v_cvt_pk_f32_fp8_sdwa v[30:31], v43 src0_sel:WORD_1
	v_mfma_f32_4x4x4_16b_bf16 a[0:3], v[36:37], v[18:19], a[0:3] cbsz:4 abid:6
	v_perm_b32 v20, v29, v28, s0
	v_cvt_pk_f32_fp8_e32 v[18:19], v42
	v_cvt_pk_f32_fp8_e32 v[28:29], v43
	v_mfma_f32_4x4x4_16b_bf16 a[0:3], v[38:39], v[20:21], a[0:3] cbsz:4 abid:6
	v_cvt_pk_f32_fp8_sdwa v[20:21], v42 src0_sel:WORD_1
	v_perm_b32 v18, v19, v18, s0
	v_perm_b32 v19, v21, v20, s0
	v_perm_b32 v20, v29, v28, s0
	v_perm_b32 v21, v31, v30, s0
	v_mfma_f32_4x4x4_16b_bf16 a[0:3], v[36:37], v[18:19], a[0:3] cbsz:4 abid:7
	s_load_dword s0, s[8:9], 0x0
	v_mov_b32_e32 v18, s5
	v_mfma_f32_4x4x4_16b_bf16 a[0:3], v[38:39], v[20:21], a[0:3] cbsz:4 abid:7
	s_waitcnt lgkmcnt(0)
	v_mul_f32_e32 v20, s0, v18
	s_nop 2
	v_accvgpr_read_b32 v29, a1
	v_accvgpr_read_b32 v28, a0
	v_pk_mul_f32 v[28:29], v[28:29], v[20:21] op_sel_hi:[1,0]
	v_accvgpr_read_b32 v19, a3
	v_accvgpr_read_b32 v18, a2
	v_pk_mul_f32 v[18:19], v[18:19], v[20:21] op_sel_hi:[1,0]
	v_cndmask_b32_e64 v20, 0, 1.0, vcc
	v_cmp_eq_u32_e32 vcc, 1, v25
	s_nop 0
	v_mfma_f32_4x4x1_16b_f32 a[0:3], v28, v20, 0
	v_cndmask_b32_e64 v20, 0, 1.0, vcc
	v_cmp_eq_u32_e32 vcc, 2, v25
	s_nop 0
	v_mfma_f32_4x4x1_16b_f32 a[0:3], v29, v20, a[0:3]
	v_cndmask_b32_e64 v20, 0, 1.0, vcc
	v_cmp_eq_u32_e32 vcc, 3, v25
	v_mov_b32_e32 v29, 0xff7fffff
	v_mfma_f32_4x4x1_16b_f32 a[0:3], v18, v20, a[0:3]
	v_cndmask_b32_e64 v18, 0, 1.0, vcc
	s_nop 1
	v_mfma_f32_4x4x1_16b_f32 a[0:3], v19, v18, a[0:3]
	v_and_b32_e32 v18, -4, v26
	v_subrev_u32_e32 v19, s3, v18
	v_add_u32_e32 v20, 1, v19
	v_cvt_f32_i32_e32 v20, v20
	v_add_u32_e32 v21, 2, v19
	v_cvt_f32_i32_e32 v21, v21
	v_accvgpr_read_b32 v27, a0
	s_waitcnt vmcnt(4)
	v_fma_f32 v20, v23, v20, v27
	v_accvgpr_read_b32 v27, a1
	v_fma_f32 v21, v23, v21, v27
	v_add_u32_e32 v27, 3, v19
	v_cvt_f32_i32_e32 v27, v27
	v_add_u32_e32 v19, 4, v19
	v_cvt_f32_i32_e32 v19, v19
	v_accvgpr_read_b32 v28, a2
	v_fma_f32 v27, v23, v27, v28
	v_accvgpr_read_b32 v28, a3
	v_fmac_f32_e32 v28, v23, v19
	v_max_f32_e32 v23, 0xff7fffff, v20
	v_cmp_gt_i32_e32 vcc, s3, v18
	v_lshlrev_b32_e32 v19, 2, v0
	v_and_or_b32 v19, v19, 48, v25
	v_cndmask_b32_e32 v23, v29, v23, vcc
	v_or_b32_e32 v29, 1, v18
	v_max_f32_e32 v30, v23, v21
	v_cmp_gt_i32_e64 s[0:1], s3, v29
	v_or_b32_e32 v18, 2, v18
	v_cmp_gt_i32_e64 s[4:5], s3, v18
	v_cndmask_b32_e64 v23, v23, v30, s[0:1]
	v_max_f32_e32 v29, v23, v27
	v_cndmask_b32_e64 v18, v23, v29, s[4:5]
	v_or_b32_e32 v23, 3, v26
	v_max_f32_e32 v26, v18, v28
	v_cmp_gt_i32_e64 s[8:9], s3, v23
	v_lshlrev_b32_e32 v23, 2, v19
	s_nop 0
	v_cndmask_b32_e64 v18, v18, v26, s[8:9]
	;;#ASMSTART
	v_nop
 v_nop
 v_max_f32_dpp v18, v18, v18 row_ror:4
	;;#ASMEND
	s_nop 0
	;;#ASMSTART
	v_nop
 v_nop
 v_max_f32_dpp v18, v18, v18 row_ror:8
	;;#ASMEND
	ds_bpermute_b32 v18, v23, v18
	s_waitcnt lgkmcnt(0)
	;;#ASMSTART
	v_nop
 v_nop
 v_max_f32_dpp v18, v18, v18 row_ror:4
	;;#ASMEND
	s_nop 0
	;;#ASMSTART
	v_nop
 v_nop
 v_max_f32_dpp v26, v18, v18 row_ror:8
	;;#ASMEND
	s_nop 0
	v_sub_f32_e32 v18, v20, v26
	v_mul_f32_e32 v18, 0x3fb8aa3b, v18
	v_sub_f32_e32 v19, v21, v26
	v_exp_f32_e32 v18, v18
	v_mul_f32_e32 v19, 0x3fb8aa3b, v19
	v_sub_f32_e32 v21, v27, v26
	v_exp_f32_e32 v19, v19
	;; [unrolled: 3-line block ×3, first 2 shown]
	v_mul_f32_e32 v27, 0x3fb8aa3b, v27
	v_exp_f32_e32 v27, v27
	v_cndmask_b32_e32 v18, 0, v18, vcc
	v_add_f32_e32 v20, 0, v18
	v_cndmask_b32_e64 v19, 0, v19, s[0:1]
	v_add_f32_e32 v28, v20, v19
	v_cndmask_b32_e64 v20, 0, v21, s[4:5]
	;; [unrolled: 2-line block ×3, first 2 shown]
	v_add_f32_e32 v27, v28, v21
	;;#ASMSTART
	v_nop
 v_nop
 v_add_f32_dpp v27, v27, v27 row_ror:4
	;;#ASMEND
	v_cmp_gt_u32_e32 vcc, 4, v24
	;;#ASMSTART
	v_nop
 v_nop
 v_add_f32_dpp v27, v27, v27 row_ror:8
	;;#ASMEND
	ds_bpermute_b32 v23, v23, v27
	s_waitcnt lgkmcnt(0)
	;;#ASMSTART
	v_nop
 v_nop
 v_add_f32_dpp v23, v23, v23 row_ror:4
	;;#ASMEND
	s_nop 0
	;;#ASMSTART
	v_nop
 v_nop
 v_add_f32_dpp v23, v23, v23 row_ror:8
	;;#ASMEND
	s_and_saveexec_b64 s[0:1], vcc
	s_cbranch_execz .LBB1091_12
; %bb.11:
	v_mul_u32_u24_e32 v27, 20, v1
	v_lshl_add_u32 v27, v25, 2, v27
	v_add_u32_e32 v27, 0x800, v27
	ds_write2_b32 v27, v26, v23 offset0:128 offset1:148
.LBB1091_12:
	s_or_b64 exec, exec, s[0:1]
.LBB1091_13:
	s_or_b64 exec, exec, s[30:31]
	v_lshlrev_b32_e32 v23, 2, v25
	v_add_u32_e32 v23, 0x800, v23
	s_waitcnt lgkmcnt(0)
	s_barrier
	s_load_dword s0, s[28:29], 0x8
	ds_read2_b32 v[28:29], v23 offset0:128 offset1:133
	ds_read2_b32 v[30:31], v23 offset0:138 offset1:143
	s_mov_b32 s4, 0xff7fffff
	s_mul_i32 s1, s2, s44
	ds_read2_b32 v[32:33], v23 offset0:148 offset1:153
	s_waitcnt lgkmcnt(0)
	v_max3_f32 v25, v28, s4, v29
	s_mul_i32 s1, s1, s0
	v_max3_f32 v25, v25, v30, v31
	s_lshl_b32 s0, s1, 2
	s_mov_b32 s1, 0
	v_sub_f32_e32 v27, v28, v25
	v_sub_f32_e32 v28, v29, v25
	s_lshl_b64 s[2:3], s[0:1], 2
	v_mul_f32_e32 v27, 0x3fb8aa3b, v27
	v_mul_f32_e32 v28, 0x3fb8aa3b, v28
	s_mov_b32 s25, s1
	s_add_u32 s1, s12, s2
	v_exp_f32_e32 v27, v27
	v_exp_f32_e32 v34, v28
	ds_read2_b32 v[28:29], v23 offset0:158 offset1:163
	v_sub_f32_e32 v23, v30, v25
	s_addc_u32 s8, s13, s3
	v_mul_f32_e32 v23, 0x3fb8aa3b, v23
	v_sub_f32_e32 v30, v31, v25
	s_add_u32 s4, s14, s2
	v_exp_f32_e32 v23, v23
	v_mul_f32_e32 v30, 0x3fb8aa3b, v30
	s_addc_u32 s5, s15, s3
	s_lshl_b64 s[2:3], s[24:25], 2
	v_exp_f32_e32 v30, v30
	s_add_u32 s4, s4, s2
	v_fma_f32 v27, v27, v32, 0
	s_addc_u32 s5, s5, s3
	v_fmac_f32_e32 v27, v34, v33
	s_waitcnt lgkmcnt(0)
	v_fmac_f32_e32 v27, v23, v28
	s_add_u32 s2, s1, s2
	v_mul_lo_u32 v22, s44, v22
	v_mov_b32_e32 v23, 0
	v_fmac_f32_e32 v27, v30, v29
	s_addc_u32 s3, s8, s3
	v_lshlrev_b64 v[28:29], 2, v[22:23]
	v_lshl_add_u64 v[30:31], s[4:5], 0, v[28:29]
	v_lshl_add_u64 v[28:29], s[2:3], 0, v[28:29]
	v_mov_b32_e32 v22, v23
	global_store_dword v[30:31], v25, off
	global_store_dword v[28:29], v27, off
	s_and_saveexec_b64 s[2:3], s[6:7]
	s_cbranch_execz .LBB1091_15
; %bb.14:
	v_add_f32_e32 v22, 0x358637bd, v27
	v_div_scale_f32 v23, s[4:5], v22, v22, 1.0
	v_rcp_f32_e32 v27, v23
	v_div_scale_f32 v28, vcc, 1.0, v22, 1.0
	v_sub_f32_e32 v25, v26, v25
	v_fma_f32 v29, -v23, v27, 1.0
	v_fmac_f32_e32 v27, v29, v27
	v_mul_f32_e32 v29, v28, v27
	v_fma_f32 v30, -v23, v29, v28
	v_mul_f32_e32 v25, 0x3fb8aa3b, v25
	v_fmac_f32_e32 v29, v30, v27
	v_exp_f32_e32 v25, v25
	v_fma_f32 v23, -v23, v29, v28
	v_div_fmas_f32 v23, v23, v27, v29
	v_div_fixup_f32 v22, v23, v22, 1.0
	v_mul_f32_e32 v22, v25, v22
	v_pk_mul_f32 v[18:19], v[18:19], v[22:23] op_sel_hi:[1,0]
	v_pk_mul_f32 v[20:21], v[20:21], v[22:23] op_sel_hi:[1,0]
	v_bfe_u32 v22, v19, 16, 1
	v_bfe_u32 v23, v18, 16, 1
	s_movk_i32 s1, 0x7fff
	v_add3_u32 v18, v18, v23, s1
	v_add3_u32 v19, v19, v22, s1
	s_mov_b32 s5, 0x7060302
	v_perm_b32 v18, v19, v18, s5
	v_bfe_u32 v19, v21, 16, 1
	v_bfe_u32 v22, v20, 16, 1
	v_add3_u32 v22, v20, v22, s1
	v_add3_u32 v19, v21, v19, s1
	s_waitcnt vmcnt(5)
	v_cvt_pk_f32_fp8_e32 v[20:21], v14
	v_perm_b32 v19, v19, v22, s5
	v_cvt_pk_f32_fp8_sdwa v[22:23], v14 src0_sel:WORD_1
	v_cvt_pk_f32_fp8_e32 v[26:27], v15
	v_perm_b32 v14, v21, v20, s5
	v_cvt_pk_f32_fp8_sdwa v[20:21], v15 src0_sel:WORD_1
	v_perm_b32 v15, v23, v22, s5
	v_perm_b32 v22, v27, v26, s5
	s_load_dword s4, s[10:11], 0x0
	v_mfma_f32_4x4x4_16b_bf16 a[0:3], v[18:19], v[14:15], 0 cbsz:4
	v_perm_b32 v23, v21, v20, s5
	v_cvt_pk_f32_fp8_e32 v[14:15], v16
	v_cvt_pk_f32_fp8_sdwa v[20:21], v16 src0_sel:WORD_1
	v_mfma_f32_4x4x4_16b_bf16 a[0:3], v[18:19], v[22:23], a[0:3] cbsz:4 abid:1
	v_cvt_pk_f32_fp8_e32 v[22:23], v17
	v_cvt_pk_f32_fp8_sdwa v[16:17], v17 src0_sel:WORD_1
	v_perm_b32 v14, v15, v14, s5
	v_perm_b32 v15, v21, v20, s5
	v_perm_b32 v20, v23, v22, s5
	v_perm_b32 v21, v17, v16, s5
	v_mfma_f32_4x4x4_16b_bf16 a[0:3], v[18:19], v[14:15], a[0:3] cbsz:4 abid:2
	s_waitcnt vmcnt(4)
	v_cvt_pk_f32_fp8_e32 v[14:15], v10
	v_cvt_pk_f32_fp8_sdwa v[16:17], v10 src0_sel:WORD_1
	v_mfma_f32_4x4x4_16b_bf16 a[0:3], v[18:19], v[20:21], a[0:3] cbsz:4 abid:3
	v_cvt_pk_f32_fp8_e32 v[20:21], v11
	v_perm_b32 v10, v15, v14, s5
	v_cvt_pk_f32_fp8_sdwa v[14:15], v11 src0_sel:WORD_1
	v_perm_b32 v11, v17, v16, s5
	v_perm_b32 v16, v21, v20, s5
	v_perm_b32 v17, v15, v14, s5
	v_mfma_f32_4x4x4_16b_bf16 a[0:3], v[18:19], v[10:11], a[0:3] cbsz:4 abid:4
	v_cvt_pk_f32_fp8_e32 v[10:11], v12
	v_cvt_pk_f32_fp8_sdwa v[14:15], v12 src0_sel:WORD_1
	v_mfma_f32_4x4x4_16b_bf16 a[0:3], v[18:19], v[16:17], a[0:3] cbsz:4 abid:5
	v_cvt_pk_f32_fp8_e32 v[16:17], v13
	v_cvt_pk_f32_fp8_sdwa v[12:13], v13 src0_sel:WORD_1
	v_perm_b32 v10, v11, v10, s5
	v_perm_b32 v11, v15, v14, s5
	v_perm_b32 v14, v17, v16, s5
	v_perm_b32 v15, v13, v12, s5
	v_mfma_f32_4x4x4_16b_bf16 a[0:3], v[18:19], v[10:11], a[0:3] cbsz:4 abid:6
	s_waitcnt vmcnt(3)
	v_cvt_pk_f32_fp8_e32 v[10:11], v6
	v_cvt_pk_f32_fp8_sdwa v[12:13], v6 src0_sel:WORD_1
	v_mfma_f32_4x4x4_16b_bf16 a[0:3], v[18:19], v[14:15], a[0:3] cbsz:4 abid:7
	v_cvt_pk_f32_fp8_e32 v[14:15], v7
	v_perm_b32 v6, v11, v10, s5
	v_cvt_pk_f32_fp8_sdwa v[10:11], v7 src0_sel:WORD_1
	v_perm_b32 v7, v13, v12, s5
	v_perm_b32 v12, v15, v14, s5
	v_perm_b32 v13, v11, v10, s5
	v_mfma_f32_4x4x4_16b_bf16 a[0:3], v[18:19], v[6:7], a[0:3] cbsz:4 abid:8
	;; [unrolled: 21-line block ×3, first 2 shown]
	v_cvt_pk_f32_fp8_e32 v[2:3], v4
	v_cvt_pk_f32_fp8_sdwa v[6:7], v4 src0_sel:WORD_1
	v_mfma_f32_4x4x4_16b_bf16 a[0:3], v[18:19], v[8:9], a[0:3] cbsz:4 abid:13
	v_cvt_pk_f32_fp8_e32 v[8:9], v5
	v_cvt_pk_f32_fp8_sdwa v[4:5], v5 src0_sel:WORD_1
	v_perm_b32 v2, v3, v2, s5
	v_perm_b32 v3, v7, v6, s5
	;; [unrolled: 1-line block ×4, first 2 shown]
	v_mfma_f32_4x4x4_16b_bf16 a[0:3], v[18:19], v[2:3], a[0:3] cbsz:4 abid:14
	s_nop 1
	v_mfma_f32_4x4x4_16b_bf16 a[0:3], v[18:19], v[6:7], a[0:3] cbsz:4 abid:15
	s_nop 4
	v_accvgpr_read_b32 v5, a1
	v_accvgpr_read_b32 v4, a0
	;; [unrolled: 1-line block ×4, first 2 shown]
	s_waitcnt lgkmcnt(0)
	v_pk_mul_f32 v[4:5], v[4:5], s[4:5] op_sel_hi:[1,0]
	v_pk_mul_f32 v[2:3], v[2:3], s[4:5] op_sel_hi:[1,0]
	v_bfe_u32 v6, v5, 16, 1
	v_bfe_u32 v7, v4, 16, 1
	v_add3_u32 v4, v4, v7, s1
	v_add3_u32 v5, v5, v6, s1
	v_bfe_u32 v6, v3, 16, 1
	v_bfe_u32 v7, v2, 16, 1
	v_add3_u32 v2, v2, v7, s1
	v_add3_u32 v3, v3, v6, s1
	v_perm_b32 v23, v3, v2, s5
	v_perm_b32 v22, v5, v4, s5
.LBB1091_15:
	s_or_b64 exec, exec, s[2:3]
	v_lshlrev_b32_e32 v1, 3, v1
	v_mad_u32_u24 v1, v24, 40, v1
	v_cmp_gt_u32_e32 vcc, 64, v0
	ds_write_b64 v1, v[22:23]
	s_waitcnt lgkmcnt(0)
	s_barrier
	s_and_saveexec_b64 s[2:3], vcc
	s_cbranch_execz .LBB1091_17
; %bb.16:
	v_mul_u32_u24_e32 v1, 40, v24
	s_waitcnt vmcnt(2)
	ds_read2_b64 v[2:5], v1 offset1:1
	ds_read2_b64 v[6:9], v1 offset0:2 offset1:3
	s_mov_b32 s1, 0
	s_lshl_b32 s0, s0, 6
	s_lshl_b64 s[2:3], s[0:1], 1
	s_waitcnt lgkmcnt(1)
	v_lshlrev_b32_e32 v1, 16, v2
	v_and_b32_e32 v2, 0xffff0000, v2
	v_add_f32_e32 v1, 0, v1
	v_add_f32_e32 v2, 0, v2
	v_lshlrev_b32_e32 v10, 16, v3
	v_and_b32_e32 v3, 0xffff0000, v3
	v_and_b32_e32 v1, 0xffff0000, v1
	;; [unrolled: 1-line block ×3, first 2 shown]
	v_add_f32_e32 v3, 0, v3
	v_lshlrev_b32_e32 v11, 16, v4
	v_and_b32_e32 v4, 0xffff0000, v4
	v_add_f32_e32 v10, 0, v10
	v_and_b32_e32 v3, 0xffff0000, v3
	v_add_f32_e32 v1, v1, v11
	v_add_f32_e32 v2, v2, v4
	v_lshlrev_b32_e32 v4, 16, v5
	v_and_b32_e32 v5, 0xffff0000, v5
	v_and_b32_e32 v10, 0xffff0000, v10
	;; [unrolled: 1-line block ×3, first 2 shown]
	v_add_f32_e32 v3, v3, v5
	s_waitcnt lgkmcnt(0)
	v_lshlrev_b32_e32 v5, 16, v6
	v_and_b32_e32 v2, 0xffff0000, v2
	v_add_f32_e32 v4, v10, v4
	v_add_f32_e32 v1, v1, v5
	v_and_b32_e32 v5, 0xffff0000, v6
	v_and_b32_e32 v4, 0xffff0000, v4
	v_add_f32_e32 v2, v2, v5
	v_lshlrev_b32_e32 v5, 16, v7
	s_add_u32 s2, s26, s2
	v_and_b32_e32 v3, 0xffff0000, v3
	v_add_f32_e32 v4, v4, v5
	v_and_b32_e32 v5, 0xffff0000, v7
	s_addc_u32 s3, s27, s3
	s_lshl_b32 s0, s24, 6
	v_and_b32_e32 v1, 0xffff0000, v1
	v_add_f32_e32 v3, v3, v5
	v_lshlrev_b32_e32 v5, 16, v8
	s_lshl_b64 s[0:1], s[0:1], 1
	v_and_b32_e32 v2, 0xffff0000, v2
	v_add_f32_e32 v1, v1, v5
	v_and_b32_e32 v5, 0xffff0000, v8
	s_add_u32 s0, s2, s0
	v_and_b32_e32 v4, 0xffff0000, v4
	v_add_f32_e32 v6, v2, v5
	v_lshlrev_b32_e32 v2, 16, v9
	s_addc_u32 s1, s3, s1
	s_lshl_b32 s2, s44, 6
	v_and_b32_e32 v3, 0xffff0000, v3
	v_add_f32_e32 v7, v4, v2
	v_and_b32_e32 v2, 0xffff0000, v9
	s_mul_i32 s3, s2, s33
	v_add_f32_e32 v8, v3, v2
	v_or_b32_e32 v2, s3, v0
	v_mov_b32_e32 v3, 0
	s_add_i32 s3, s3, s2
	v_lshl_add_u64 v[4:5], v[2:3], 1, s[0:1]
	v_or_b32_e32 v2, s3, v0
	s_add_i32 s3, s3, s2
	global_store_short_d16_hi v[4:5], v1, off
	v_lshl_add_u64 v[4:5], v[2:3], 1, s[0:1]
	v_or_b32_e32 v2, s3, v0
	s_add_i32 s3, s3, s2
	global_store_short_d16_hi v[4:5], v6, off
	v_lshl_add_u64 v[4:5], v[2:3], 1, s[0:1]
	v_or_b32_e32 v2, s3, v0
	v_lshl_add_u64 v[0:1], v[2:3], 1, s[0:1]
	global_store_short_d16_hi v[4:5], v7, off
	global_store_short_d16_hi v[0:1], v8, off
.LBB1091_17:
	s_endpgm
.LBB1091_18:
	s_mov_b64 s[8:9], 0
                                        ; implicit-def: $sgpr34_sgpr35
	s_branch .LBB1091_2
	.section	.rodata,"a",@progbits
	.p2align	6, 0x0
	.amdhsa_kernel _Z38paged_attention_ll4mi_QKV_mfma4_kernelI14__hip_bfloat16hLN4vllm18Fp8KVCacheDataTypeE1EhLi16ELi64ELi256ELb1ELi4EEvPKT_PKT0_S8_ifPKiSA_SA_iPKfiiiPfSD_PS3_PT2_iSC_SC_
		.amdhsa_group_segment_fixed_size 2720
		.amdhsa_private_segment_fixed_size 0
		.amdhsa_kernarg_size 400
		.amdhsa_user_sgpr_count 2
		.amdhsa_user_sgpr_dispatch_ptr 0
		.amdhsa_user_sgpr_queue_ptr 0
		.amdhsa_user_sgpr_kernarg_segment_ptr 1
		.amdhsa_user_sgpr_dispatch_id 0
		.amdhsa_user_sgpr_kernarg_preload_length 0
		.amdhsa_user_sgpr_kernarg_preload_offset 0
		.amdhsa_user_sgpr_private_segment_size 0
		.amdhsa_uses_dynamic_stack 0
		.amdhsa_enable_private_segment 0
		.amdhsa_system_sgpr_workgroup_id_x 1
		.amdhsa_system_sgpr_workgroup_id_y 1
		.amdhsa_system_sgpr_workgroup_id_z 1
		.amdhsa_system_sgpr_workgroup_info 0
		.amdhsa_system_vgpr_workitem_id 0
		.amdhsa_next_free_vgpr 80
		.amdhsa_next_free_sgpr 45
		.amdhsa_accum_offset 76
		.amdhsa_reserve_vcc 1
		.amdhsa_float_round_mode_32 0
		.amdhsa_float_round_mode_16_64 0
		.amdhsa_float_denorm_mode_32 3
		.amdhsa_float_denorm_mode_16_64 3
		.amdhsa_dx10_clamp 1
		.amdhsa_ieee_mode 1
		.amdhsa_fp16_overflow 0
		.amdhsa_tg_split 0
		.amdhsa_exception_fp_ieee_invalid_op 0
		.amdhsa_exception_fp_denorm_src 0
		.amdhsa_exception_fp_ieee_div_zero 0
		.amdhsa_exception_fp_ieee_overflow 0
		.amdhsa_exception_fp_ieee_underflow 0
		.amdhsa_exception_fp_ieee_inexact 0
		.amdhsa_exception_int_div_zero 0
	.end_amdhsa_kernel
	.section	.text._Z38paged_attention_ll4mi_QKV_mfma4_kernelI14__hip_bfloat16hLN4vllm18Fp8KVCacheDataTypeE1EhLi16ELi64ELi256ELb1ELi4EEvPKT_PKT0_S8_ifPKiSA_SA_iPKfiiiPfSD_PS3_PT2_iSC_SC_,"axG",@progbits,_Z38paged_attention_ll4mi_QKV_mfma4_kernelI14__hip_bfloat16hLN4vllm18Fp8KVCacheDataTypeE1EhLi16ELi64ELi256ELb1ELi4EEvPKT_PKT0_S8_ifPKiSA_SA_iPKfiiiPfSD_PS3_PT2_iSC_SC_,comdat
.Lfunc_end1091:
	.size	_Z38paged_attention_ll4mi_QKV_mfma4_kernelI14__hip_bfloat16hLN4vllm18Fp8KVCacheDataTypeE1EhLi16ELi64ELi256ELb1ELi4EEvPKT_PKT0_S8_ifPKiSA_SA_iPKfiiiPfSD_PS3_PT2_iSC_SC_, .Lfunc_end1091-_Z38paged_attention_ll4mi_QKV_mfma4_kernelI14__hip_bfloat16hLN4vllm18Fp8KVCacheDataTypeE1EhLi16ELi64ELi256ELb1ELi4EEvPKT_PKT0_S8_ifPKiSA_SA_iPKfiiiPfSD_PS3_PT2_iSC_SC_
                                        ; -- End function
	.section	.AMDGPU.csdata,"",@progbits
; Kernel info:
; codeLenInByte = 4268
; NumSgprs: 51
; NumVgprs: 74
; NumAgprs: 4
; TotalNumVgprs: 80
; ScratchSize: 0
; MemoryBound: 0
; FloatMode: 240
; IeeeMode: 1
; LDSByteSize: 2720 bytes/workgroup (compile time only)
; SGPRBlocks: 6
; VGPRBlocks: 9
; NumSGPRsForWavesPerEU: 51
; NumVGPRsForWavesPerEU: 80
; AccumOffset: 76
; Occupancy: 6
; WaveLimiterHint : 1
; COMPUTE_PGM_RSRC2:SCRATCH_EN: 0
; COMPUTE_PGM_RSRC2:USER_SGPR: 2
; COMPUTE_PGM_RSRC2:TRAP_HANDLER: 0
; COMPUTE_PGM_RSRC2:TGID_X_EN: 1
; COMPUTE_PGM_RSRC2:TGID_Y_EN: 1
; COMPUTE_PGM_RSRC2:TGID_Z_EN: 1
; COMPUTE_PGM_RSRC2:TIDIG_COMP_CNT: 0
; COMPUTE_PGM_RSRC3_GFX90A:ACCUM_OFFSET: 18
; COMPUTE_PGM_RSRC3_GFX90A:TG_SPLIT: 0
	.section	.text._Z39paged_attention_ll4mi_QKV_mfma16_kernelI14__hip_bfloat16hLN4vllm18Fp8KVCacheDataTypeE1EhLi16ELi64ELi256ELb1ELi5EEvPKT_PKT0_S8_ifPKiSA_SA_iPKfiiiPfSD_PS3_PT2_iSC_SC_,"axG",@progbits,_Z39paged_attention_ll4mi_QKV_mfma16_kernelI14__hip_bfloat16hLN4vllm18Fp8KVCacheDataTypeE1EhLi16ELi64ELi256ELb1ELi5EEvPKT_PKT0_S8_ifPKiSA_SA_iPKfiiiPfSD_PS3_PT2_iSC_SC_,comdat
	.protected	_Z39paged_attention_ll4mi_QKV_mfma16_kernelI14__hip_bfloat16hLN4vllm18Fp8KVCacheDataTypeE1EhLi16ELi64ELi256ELb1ELi5EEvPKT_PKT0_S8_ifPKiSA_SA_iPKfiiiPfSD_PS3_PT2_iSC_SC_ ; -- Begin function _Z39paged_attention_ll4mi_QKV_mfma16_kernelI14__hip_bfloat16hLN4vllm18Fp8KVCacheDataTypeE1EhLi16ELi64ELi256ELb1ELi5EEvPKT_PKT0_S8_ifPKiSA_SA_iPKfiiiPfSD_PS3_PT2_iSC_SC_
	.globl	_Z39paged_attention_ll4mi_QKV_mfma16_kernelI14__hip_bfloat16hLN4vllm18Fp8KVCacheDataTypeE1EhLi16ELi64ELi256ELb1ELi5EEvPKT_PKT0_S8_ifPKiSA_SA_iPKfiiiPfSD_PS3_PT2_iSC_SC_
	.p2align	8
	.type	_Z39paged_attention_ll4mi_QKV_mfma16_kernelI14__hip_bfloat16hLN4vllm18Fp8KVCacheDataTypeE1EhLi16ELi64ELi256ELb1ELi5EEvPKT_PKT0_S8_ifPKiSA_SA_iPKfiiiPfSD_PS3_PT2_iSC_SC_,@function
_Z39paged_attention_ll4mi_QKV_mfma16_kernelI14__hip_bfloat16hLN4vllm18Fp8KVCacheDataTypeE1EhLi16ELi64ELi256ELb1ELi5EEvPKT_PKT0_S8_ifPKiSA_SA_iPKfiiiPfSD_PS3_PT2_iSC_SC_: ; @_Z39paged_attention_ll4mi_QKV_mfma16_kernelI14__hip_bfloat16hLN4vllm18Fp8KVCacheDataTypeE1EhLi16ELi64ELi256ELb1ELi5EEvPKT_PKT0_S8_ifPKiSA_SA_iPKfiiiPfSD_PS3_PT2_iSC_SC_
; %bb.0:
	s_load_dwordx2 s[6:7], s[0:1], 0x30
	s_mov_b32 s28, s3
	s_mov_b64 s[8:9], 0
	s_waitcnt lgkmcnt(0)
	s_cmp_lg_u64 s[6:7], 0
	s_cselect_b64 s[10:11], -1, 0
	s_and_b64 vcc, exec, s[10:11]
	s_cbranch_vccz .LBB1092_7
; %bb.1:
	s_add_i32 s12, s2, 1
	s_mov_b32 s13, 0
	s_lshl_b64 s[14:15], s[12:13], 2
	s_add_u32 s14, s6, s14
	s_mov_b32 s3, s13
	s_addc_u32 s15, s7, s15
	s_lshl_b64 s[12:13], s[2:3], 2
	s_add_u32 s12, s6, s12
	s_addc_u32 s13, s7, s13
	s_load_dword s5, s[14:15], 0x0
	s_load_dword s16, s[12:13], 0x0
	s_waitcnt lgkmcnt(0)
	s_sub_i32 s5, s5, s16
	s_cmp_eq_u32 s5, 1
	s_cselect_b64 s[12:13], -1, 0
	s_andn2_b64 vcc, exec, s[8:9]
	s_cbranch_vccnz .LBB1092_3
.LBB1092_2:
	s_mov_b32 s3, 0
	s_mov_b64 s[12:13], -1
.LBB1092_3:
	s_andn2_b64 vcc, exec, s[12:13]
	s_cbranch_vccnz .LBB1092_20
; %bb.4:
	s_load_dwordx2 s[8:9], s[0:1], 0x28
	s_lshl_b64 s[12:13], s[2:3], 2
	s_waitcnt lgkmcnt(0)
	s_add_u32 s8, s8, s12
	s_addc_u32 s9, s9, s13
	s_load_dword s29, s[8:9], 0x0
	s_lshl_b32 s16, s28, 8
	s_waitcnt lgkmcnt(0)
	s_cmp_ge_i32 s16, s29
	s_cbranch_scc1 .LBB1092_20
; %bb.5:
	s_load_dwordx2 s[8:9], s[0:1], 0x20
	s_load_dword s5, s[0:1], 0x38
	s_add_i32 s14, s29, 15
	s_ashr_i32 s15, s14, 31
	v_and_b32_e32 v1, 0xcf, v0
	s_lshr_b32 s15, s15, 28
	v_add_u32_e32 v1, s16, v1
	s_add_i32 s14, s14, s15
	v_ashrrev_i32_e32 v2, 31, v1
	s_ashr_i32 s17, s14, 4
	v_lshrrev_b32_e32 v4, 28, v2
	s_add_i32 s17, s17, -1
	s_waitcnt lgkmcnt(0)
	s_mul_i32 s14, s2, s5
	s_mov_b32 s15, 0
	v_add_u32_e32 v2, v1, v4
	s_lshl_b64 s[14:15], s[14:15], 2
	v_ashrrev_i32_e32 v2, 4, v2
	v_mov_b32_e32 v5, s17
	v_cmp_gt_i32_e32 vcc, s29, v1
	s_add_u32 s8, s8, s14
	s_addc_u32 s9, s9, s15
	v_cndmask_b32_e32 v2, v5, v2, vcc
	v_ashrrev_i32_e32 v3, 31, v2
	v_lshl_add_u64 v[6:7], v[2:3], 2, s[8:9]
	v_or_b32_e32 v2, 16, v1
	v_add_u32_e32 v3, v2, v4
	v_ashrrev_i32_e32 v3, 4, v3
	v_cmp_gt_i32_e32 vcc, s29, v2
	s_load_dwordx2 s[14:15], s[0:1], 0x8
	s_nop 0
	v_cndmask_b32_e32 v2, v5, v3, vcc
	v_ashrrev_i32_e32 v3, 31, v2
	v_lshl_add_u64 v[8:9], v[2:3], 2, s[8:9]
	v_or_b32_e32 v2, 32, v1
	v_add_u32_e32 v3, v2, v4
	v_ashrrev_i32_e32 v3, 4, v3
	v_cmp_gt_i32_e32 vcc, s29, v2
	v_or_b32_e32 v1, 48, v1
	s_nop 0
	v_cndmask_b32_e32 v2, v5, v3, vcc
	v_ashrrev_i32_e32 v3, 31, v2
	v_lshl_add_u64 v[10:11], v[2:3], 2, s[8:9]
	v_add_u32_e32 v2, v1, v4
	v_ashrrev_i32_e32 v2, 4, v2
	v_cmp_gt_i32_e32 vcc, s29, v1
	s_nop 1
	v_cndmask_b32_e32 v2, v5, v2, vcc
	v_ashrrev_i32_e32 v3, 31, v2
	v_lshl_add_u64 v[12:13], v[2:3], 2, s[8:9]
	global_load_dword v5, v[6:7], off
	global_load_dword v4, v[8:9], off
	;; [unrolled: 1-line block ×4, first 2 shown]
	s_andn2_b64 vcc, exec, s[10:11]
	s_cbranch_vccnz .LBB1092_8
; %bb.6:
	s_add_u32 s6, s6, s12
	s_addc_u32 s7, s7, s13
	s_load_dword s5, s[6:7], 0x0
	s_branch .LBB1092_9
.LBB1092_7:
	s_mov_b64 s[12:13], 0
	s_branch .LBB1092_2
.LBB1092_8:
	s_mov_b32 s5, s2
.LBB1092_9:
	s_load_dwordx2 s[6:7], s[0:1], 0x10
	s_load_dwordx4 s[44:47], s[0:1], 0x48
	v_lshrrev_b32_e32 v29, 6, v0
	v_bfe_u32 v42, v0, 4, 2
	v_lshl_or_b32 v6, v29, 2, v42
	v_and_b32_e32 v28, 15, v0
	v_lshlrev_b32_e32 v1, 3, v28
	v_cmp_gt_u32_e32 vcc, 5, v6
	v_cmp_gt_u32_e64 s[30:31], 8, v28
	s_mul_i32 s48, s4, 5
	s_and_b64 s[12:13], s[30:31], vcc
	v_lshlrev_b32_e32 v26, 1, v1
	v_lshlrev_b32_e32 v1, 4, v0
	s_and_saveexec_b64 s[10:11], s[12:13]
	s_cbranch_execz .LBB1092_11
; %bb.10:
	s_load_dwordx2 s[12:13], s[0:1], 0x0
	s_waitcnt lgkmcnt(0)
	s_ashr_i32 s18, s44, 31
	s_mul_hi_u32 s19, s5, s44
	s_mul_i32 s18, s5, s18
	s_add_i32 s19, s19, s18
	s_mul_i32 s18, s5, s44
	s_lshl_b64 s[18:19], s[18:19], 1
	s_add_u32 s12, s12, s18
	v_add_lshl_u32 v8, v6, s48, 6
	s_addc_u32 s13, s13, s19
	v_ashrrev_i32_e32 v9, 31, v8
	v_lshl_add_u64 v[8:9], v[8:9], 1, s[12:13]
	v_mov_b32_e32 v27, 0
	v_lshl_add_u64 v[8:9], v[8:9], 0, v[26:27]
	global_load_dwordx4 v[8:11], v[8:9], off
	v_lshlrev_b32_e32 v12, 8, v28
	v_lshlrev_b32_e32 v6, 5, v6
	v_and_b32_e32 v7, 16, v1
	v_and_b32_e32 v12, 0xe00, v12
	v_or3_b32 v6, v12, v6, v7
	s_waitcnt vmcnt(0)
	ds_write_b128 v6, v[8:11]
.LBB1092_11:
	s_or_b64 exec, exec, s[10:11]
	s_waitcnt lgkmcnt(0)
	s_mul_i32 s10, s4, s46
	s_add_u32 s4, s14, s10
	s_addc_u32 s5, s15, 0
	v_and_b32_e32 v32, 48, v0
	v_and_b32_e32 v30, 0xf0, v1
	v_mov_b32_e32 v31, 0
	v_lshl_add_u64 v[6:7], s[4:5], 0, v[30:31]
	v_lshlrev_b32_e32 v30, 4, v32
	v_lshl_add_u64 v[6:7], v[6:7], 0, v[30:31]
	s_waitcnt vmcnt(3)
	v_mad_i64_i32 v[8:9], s[4:5], v5, s45, v[6:7]
	s_waitcnt vmcnt(2)
	v_mad_i64_i32 v[4:5], s[4:5], v4, s45, v[6:7]
	s_barrier
	global_load_dwordx4 v[22:25], v[8:9], off
	global_load_dwordx4 v[18:21], v[4:5], off
	s_waitcnt vmcnt(3)
	v_mad_i64_i32 v[4:5], s[4:5], v3, s45, v[6:7]
	s_waitcnt vmcnt(2)
	v_mad_i64_i32 v[2:3], s[4:5], v2, s45, v[6:7]
	global_load_dwordx4 v[14:17], v[4:5], off
	global_load_dwordx4 v[6:9], v[2:3], off
	v_mul_lo_u16_e32 v2, 52, v28
	v_mov_b32_e32 v3, 5
	v_mul_lo_u16_sdwa v2, v2, v3 dst_sel:DWORD dst_unused:UNUSED_PAD src0_sel:BYTE_1 src1_sel:DWORD
	v_sub_u16_e32 v2, v28, v2
	v_lshlrev_b32_sdwa v2, v3, v2 dst_sel:DWORD dst_unused:UNUSED_PAD src0_sel:DWORD src1_sel:BYTE_0
	v_lshl_add_u32 v2, v42, 9, v2
	ds_read_b128 v[10:13], v2
	ds_read_b128 v[2:5], v2 offset:16
	v_and_b32_e32 v27, 63, v0
	v_cmp_gt_u32_e32 vcc, 5, v28
	v_mov_b32_e32 v43, 0
	s_and_saveexec_b64 s[4:5], vcc
	s_cbranch_execz .LBB1092_13
; %bb.12:
	s_load_dwordx2 s[12:13], s[0:1], 0x40
	v_add_u32_e32 v34, s48, v28
	v_ashrrev_i32_e32 v35, 31, v34
	s_waitcnt lgkmcnt(0)
	v_lshl_add_u64 v[34:35], v[34:35], 2, s[12:13]
	global_load_dword v43, v[34:35], off
.LBB1092_13:
	s_or_b64 exec, exec, s[4:5]
	v_or_b32_e32 v62, s16, v32
	v_ashrrev_i32_e32 v30, 4, v62
	v_mov_b32_e32 v63, s17
	v_cmp_gt_i32_e32 vcc, s29, v62
	s_waitcnt vmcnt(2)
	v_cvt_pk_f32_fp8_e32 v[52:53], v20
	v_cvt_pk_f32_fp8_sdwa v[54:55], v20 src0_sel:WORD_1
	v_cndmask_b32_e32 v20, v63, v30, vcc
	v_cvt_pk_f32_fp8_e32 v[56:57], v21
	v_cvt_pk_f32_fp8_sdwa v[58:59], v21 src0_sel:WORD_1
	v_ashrrev_i32_e32 v21, 31, v20
	v_cvt_pk_f32_fp8_e32 v[40:41], v22
	v_cvt_pk_f32_fp8_sdwa v[44:45], v22 src0_sel:WORD_1
	v_lshl_add_u64 v[20:21], v[20:21], 2, s[8:9]
	v_cvt_pk_f32_fp8_e32 v[46:47], v18
	v_cvt_pk_f32_fp8_sdwa v[48:49], v18 src0_sel:WORD_1
	global_load_dword v64, v[20:21], off
	s_mov_b32 s33, 0x7060302
	v_cvt_pk_f32_fp8_e32 v[32:33], v23
	v_cvt_pk_f32_fp8_sdwa v[34:35], v23 src0_sel:WORD_1
	v_perm_b32 v20, v41, v40, s33
	v_perm_b32 v21, v45, v44, s33
	v_cvt_pk_f32_fp8_e32 v[38:39], v24
	v_cvt_pk_f32_fp8_sdwa v[36:37], v24 src0_sel:WORD_1
	v_cvt_pk_f32_fp8_e32 v[50:51], v19
	v_cvt_pk_f32_fp8_sdwa v[18:19], v19 src0_sel:WORD_1
	v_perm_b32 v44, v47, v46, s33
	v_perm_b32 v45, v49, v48, s33
	v_cvt_pk_f32_fp8_e32 v[22:23], v25
	s_waitcnt vmcnt(2)
	v_cvt_pk_f32_fp8_e32 v[40:41], v14
	v_cvt_pk_f32_fp8_sdwa v[46:47], v14 src0_sel:WORD_1
	v_perm_b32 v48, v33, v32, s33
	v_perm_b32 v49, v35, v34, s33
	v_or_b32_e32 v14, 64, v62
	v_or_b32_e32 v32, 0xc0, v62
	v_cvt_pk_f32_fp8_sdwa v[24:25], v25 src0_sel:WORD_1
	s_load_dword s11, s[0:1], 0x1c
	s_load_dwordx4 s[40:43], s[0:1], 0x80
	v_perm_b32 v38, v39, v38, s33
	v_perm_b32 v39, v37, v36, s33
	v_or_b32_e32 v65, 0x80, v62
	v_ashrrev_i32_e32 v62, 4, v14
	v_cmp_gt_i32_e32 vcc, s29, v32
	v_ashrrev_i32_e32 v66, 4, v32
	v_cmp_gt_i32_e64 s[4:5], s29, v14
	v_perm_b32 v36, v51, v50, s33
	v_perm_b32 v37, v19, v18, s33
	s_waitcnt lgkmcnt(0)
	v_mfma_f32_16x16x16_bf16 v[32:35], v[20:21], v[10:11], 0
	s_add_u32 s6, s6, s10
	v_lshlrev_b32_e32 v30, 4, v28
	v_cndmask_b32_e64 v50, v63, v62, s[4:5]
	v_perm_b32 v62, v23, v22, s33
	v_mfma_f32_16x16x16_bf16 v[20:23], v[44:45], v[10:11], 0
	v_lshl_or_b32 v30, v29, 8, v30
	s_addc_u32 s7, s7, 0
	v_ashrrev_i32_e32 v14, 4, v65
	v_lshl_add_u64 v[18:19], s[6:7], 0, v[30:31]
	v_cmp_gt_i32_e64 s[6:7], s29, v65
	v_mfma_f32_16x16x16_bf16 v[30:33], v[48:49], v[12:13], v[32:35]
	v_cndmask_b32_e32 v48, v63, v66, vcc
	s_load_dword s4, s[40:41], 0x0
	v_cvt_pk_f32_fp8_e32 v[60:61], v15
	v_cndmask_b32_e64 v34, v63, v14, s[6:7]
	v_perm_b32 v63, v25, v24, s33
	v_perm_b32 v24, v53, v52, s33
	;; [unrolled: 1-line block ×3, first 2 shown]
	v_mfma_f32_16x16x16_bf16 v[20:23], v[36:37], v[12:13], v[20:23]
	v_perm_b32 v40, v41, v40, s33
	v_perm_b32 v41, v47, v46, s33
	v_ashrrev_i32_e32 v51, 31, v50
	v_mfma_f32_16x16x16_bf16 v[20:23], v[24:25], v[2:3], v[20:23]
	v_mov_b32_e32 v24, s11
	s_waitcnt lgkmcnt(0)
	v_mul_f32_e32 v54, s4, v24
	v_cvt_pk_f32_fp8_sdwa v[24:25], v15 src0_sel:WORD_1
	v_mfma_f32_16x16x16_bf16 v[30:33], v[38:39], v[2:3], v[30:33]
	v_ashrrev_i32_e32 v35, 31, v34
	v_ashrrev_i32_e32 v49, 31, v48
	v_lshl_add_u64 v[36:37], v[50:51], 2, s[8:9]
	v_lshl_add_u64 v[34:35], v[34:35], 2, s[8:9]
	;; [unrolled: 1-line block ×3, first 2 shown]
	global_load_dword v14, v[36:37], off
	global_load_dword v44, v[34:35], off
	;; [unrolled: 1-line block ×3, first 2 shown]
	v_perm_b32 v46, v61, v60, s33
	v_cvt_pk_f32_fp8_e32 v[48:49], v16
	v_cvt_pk_f32_fp8_sdwa v[50:51], v16 src0_sel:WORD_1
	v_perm_b32 v47, v25, v24, s33
	v_mfma_f32_16x16x16_bf16 v[36:39], v[62:63], v[4:5], v[30:33]
	v_perm_b32 v24, v49, v48, s33
	v_perm_b32 v25, v51, v50, s33
	;; [unrolled: 1-line block ×3, first 2 shown]
	v_mfma_f32_16x16x16_bf16 v[30:33], v[40:41], v[10:11], 0
	v_cvt_pk_f32_fp8_e32 v[40:41], v17
	v_cvt_pk_f32_fp8_sdwa v[16:17], v17 src0_sel:WORD_1
	v_perm_b32 v53, v59, v58, s33
	v_mfma_f32_16x16x16_bf16 v[46:49], v[46:47], v[12:13], v[30:33]
	s_mov_b32 s44, 0xff7fffff
	s_waitcnt vmcnt(3)
	v_mad_i64_i32 v[34:35], s[4:5], v64, s45, v[18:19]
	v_perm_b32 v32, v41, v40, s33
	v_perm_b32 v33, v17, v16, s33
	v_mfma_f32_16x16x16_bf16 v[46:49], v[24:25], v[2:3], v[46:49]
	v_cvt_pk_f32_fp8_e32 v[16:17], v6
	v_cvt_pk_f32_fp8_sdwa v[24:25], v6 src0_sel:WORD_1
	v_pk_mul_f32 v[30:31], v[54:55], v[38:39] op_sel_hi:[0,1]
	v_mfma_f32_16x16x16_bf16 v[46:49], v[32:33], v[4:5], v[46:49]
	v_cvt_pk_f32_fp8_e32 v[32:33], v7
	v_perm_b32 v16, v17, v16, s33
	v_perm_b32 v17, v25, v24, s33
	v_cvt_pk_f32_fp8_sdwa v[6:7], v7 src0_sel:WORD_1
	v_pk_mul_f32 v[38:39], v[54:55], v[36:37] op_sel_hi:[0,1]
	v_perm_b32 v24, v33, v32, s33
	v_cvt_pk_f32_fp8_e32 v[32:33], v8
	v_cvt_pk_f32_fp8_sdwa v[36:37], v8 src0_sel:WORD_1
	v_perm_b32 v25, v7, v6, s33
	v_mfma_f32_16x16x16_bf16 v[20:23], v[52:53], v[4:5], v[20:23]
	v_mfma_f32_16x16x16_bf16 v[50:53], v[16:17], v[10:11], 0
	v_perm_b32 v10, v33, v32, s33
	v_perm_b32 v11, v37, v36, s33
	v_cvt_pk_f32_fp8_e32 v[16:17], v9
	v_cvt_pk_f32_fp8_sdwa v[32:33], v9 src0_sel:WORD_1
	v_mfma_f32_16x16x16_bf16 v[6:9], v[24:25], v[12:13], v[50:53]
	s_nop 0
	v_pk_mul_f32 v[36:37], v[54:55], v[22:23] op_sel_hi:[0,1]
	v_perm_b32 v12, v17, v16, s33
	v_perm_b32 v13, v33, v32, s33
	v_mfma_f32_16x16x16_bf16 v[6:9], v[10:11], v[2:3], v[6:9]
	v_pk_mul_f32 v[40:41], v[54:55], v[20:21] op_sel_hi:[0,1]
	v_pk_mul_f32 v[24:25], v[54:55], v[48:49] op_sel_hi:[0,1]
	;; [unrolled: 1-line block ×3, first 2 shown]
	v_mfma_f32_16x16x16_bf16 v[2:5], v[12:13], v[4:5], v[6:9]
	s_nop 6
	v_pk_mul_f32 v[22:23], v[54:55], v[2:3] op_sel_hi:[0,1]
	v_and_b32_e32 v2, 0xc0, v0
	v_add_u32_e32 v2, s16, v2
	v_lshl_or_b32 v2, v42, 2, v2
	v_or_b32_e32 v3, 1, v2
	v_pk_mul_f32 v[20:21], v[54:55], v[4:5] op_sel_hi:[0,1]
	v_subrev_u32_e32 v4, s29, v3
	v_add_u32_e32 v6, 1, v4
	v_add_u32_e32 v7, 2, v4
	;; [unrolled: 1-line block ×3, first 2 shown]
	v_cvt_f32_i32_e32 v6, v6
	v_cvt_f32_i32_e32 v7, v7
	;; [unrolled: 1-line block ×3, first 2 shown]
	v_add_u32_e32 v9, 19, v4
	v_fmac_f32_e32 v39, v43, v6
	v_fma_f32 v30, v43, v7, v30
	v_fmac_f32_e32 v31, v43, v8
	v_add_u32_e32 v6, 16, v4
	v_add_u32_e32 v7, 17, v4
	;; [unrolled: 1-line block ×3, first 2 shown]
	v_cvt_f32_i32_e32 v6, v6
	v_cvt_f32_i32_e32 v7, v7
	;; [unrolled: 1-line block ×4, first 2 shown]
	v_fma_f32 v40, v43, v6, v40
	v_fmac_f32_e32 v41, v43, v7
	v_fma_f32 v36, v43, v8, v36
	v_add_u32_e32 v6, 32, v4
	v_add_u32_e32 v7, 33, v4
	;; [unrolled: 1-line block ×3, first 2 shown]
	v_cvt_f32_i32_e32 v6, v6
	v_cvt_f32_i32_e32 v7, v7
	;; [unrolled: 1-line block ×4, first 2 shown]
	v_fmac_f32_e32 v37, v43, v9
	v_add_u32_e32 v9, 35, v4
	v_fma_f32 v32, v43, v6, v32
	v_fmac_f32_e32 v33, v43, v7
	v_fma_f32 v24, v43, v8, v24
	v_add_u32_e32 v6, 48, v4
	v_add_u32_e32 v7, 49, v4
	;; [unrolled: 1-line block ×4, first 2 shown]
	v_cvt_f32_i32_e32 v4, v4
	v_cvt_f32_i32_e32 v6, v6
	v_cvt_f32_i32_e32 v7, v7
	v_fma_f32 v5, v43, v5, v38
	v_fmac_f32_e32 v21, v43, v4
	v_mov_b32_e32 v4, 0xff7fffff
	v_cmp_gt_i32_e64 s[4:5], s29, v2
	v_cmp_gt_i32_e64 s[34:35], s29, v3
	v_fma_f32 v22, v43, v6, v22
	v_cndmask_b32_e64 v6, v4, v5, s[4:5]
	v_cndmask_b32_e64 v3, v4, v39, s[34:35]
	v_fmac_f32_e32 v23, v43, v7
	v_max3_f32 v3, v6, s44, v3
	v_or_b32_e32 v6, 2, v2
	v_or_b32_e32 v7, 3, v2
	v_cmp_gt_i32_e64 s[36:37], s29, v6
	v_cmp_gt_i32_e64 s[38:39], s29, v7
	v_cvt_f32_i32_e32 v9, v9
	v_cndmask_b32_e64 v6, v4, v30, s[36:37]
	v_cndmask_b32_e64 v7, v4, v31, s[38:39]
	v_max3_f32 v3, v3, v6, v7
	v_or_b32_e32 v6, 16, v2
	v_or_b32_e32 v7, 17, v2
	v_cmp_gt_i32_e64 s[24:25], s29, v6
	v_cmp_gt_i32_e64 s[26:27], s29, v7
	v_fmac_f32_e32 v25, v43, v9
	v_cndmask_b32_e64 v6, v4, v40, s[24:25]
	v_cndmask_b32_e64 v7, v4, v41, s[26:27]
	v_max3_f32 v3, v3, v6, v7
	v_or_b32_e32 v6, 18, v2
	v_or_b32_e32 v7, 19, v2
	v_cmp_gt_i32_e64 s[20:21], s29, v6
	v_cmp_gt_i32_e64 s[22:23], s29, v7
	v_cvt_f32_i32_e32 v8, v8
	v_cndmask_b32_e64 v6, v4, v36, s[20:21]
	v_cndmask_b32_e64 v7, v4, v37, s[22:23]
	v_max3_f32 v3, v3, v6, v7
	v_or_b32_e32 v6, 32, v2
	v_or_b32_e32 v7, 33, v2
	v_cmp_gt_i32_e64 s[16:17], s29, v6
	v_cmp_gt_i32_e64 s[18:19], s29, v7
	v_fma_f32 v20, v43, v8, v20
	v_cndmask_b32_e64 v6, v4, v32, s[16:17]
	v_cndmask_b32_e64 v7, v4, v33, s[18:19]
	v_max3_f32 v3, v3, v6, v7
	v_or_b32_e32 v6, 34, v2
	v_or_b32_e32 v7, 35, v2
	v_cmp_gt_i32_e64 s[12:13], s29, v6
	v_cmp_gt_i32_e64 s[14:15], s29, v7
	s_nop 0
	v_cndmask_b32_e64 v6, v4, v24, s[12:13]
	v_cndmask_b32_e64 v7, v4, v25, s[14:15]
	v_max3_f32 v3, v3, v6, v7
	v_or_b32_e32 v6, 48, v2
	v_or_b32_e32 v7, 49, v2
	v_cmp_gt_i32_e64 s[8:9], s29, v6
	v_cmp_gt_i32_e64 s[10:11], s29, v7
	s_nop 0
	v_cndmask_b32_e64 v6, v4, v22, s[8:9]
	v_cndmask_b32_e64 v7, v4, v23, s[10:11]
	v_max3_f32 v3, v3, v6, v7
	v_or_b32_e32 v6, 50, v2
	v_or_b32_e32 v2, 51, v2
	v_cmp_gt_i32_e32 vcc, s29, v6
	v_cmp_gt_i32_e64 s[6:7], s29, v2
	s_nop 0
	v_cndmask_b32_e32 v6, v4, v20, vcc
	v_cndmask_b32_e64 v2, v4, v21, s[6:7]
	v_max3_f32 v4, v3, v6, v2
	v_mbcnt_lo_u32_b32 v2, -1, 0
	v_mbcnt_hi_u32_b32 v6, -1, v2
	v_and_b32_e32 v2, 64, v6
	v_add_u32_e32 v7, 64, v2
	v_xor_b32_e32 v2, 32, v6
	v_cmp_lt_i32_e64 s[40:41], v2, v7
	s_nop 1
	v_cndmask_b32_e64 v2, v6, v2, s[40:41]
	v_lshlrev_b32_e32 v43, 2, v2
	ds_bpermute_b32 v8, v43, v4
	s_waitcnt vmcnt(2)
	v_mad_i64_i32 v[2:3], s[40:41], v14, s45, v[18:19]
	global_load_dwordx4 v[14:17], v[34:35], off
	global_load_dwordx4 v[10:13], v[2:3], off
	v_xor_b32_e32 v3, 16, v6
	v_cmp_lt_i32_e64 s[40:41], v3, v7
	s_waitcnt lgkmcnt(0)
	v_max_f32_e32 v2, v8, v8
	v_max_f32_e32 v2, v4, v2
	v_cndmask_b32_e64 v3, v6, v3, s[40:41]
	v_lshlrev_b32_e32 v46, 2, v3
	ds_bpermute_b32 v3, v46, v2
	s_waitcnt vmcnt(3)
	v_mad_i64_i32 v[34:35], s[40:41], v44, s45, v[18:19]
	s_waitcnt vmcnt(2)
	v_mad_i64_i32 v[18:19], s[40:41], v45, s45, v[18:19]
	s_waitcnt lgkmcnt(0)
	v_max_f32_e32 v3, v3, v3
	v_max_f32_e32 v38, v2, v3
	v_sub_f32_e32 v2, v5, v38
	v_mul_f32_e32 v2, 0x3fb8aa3b, v2
	v_exp_f32_e32 v44, v2
	v_sub_f32_e32 v2, v39, v38
	v_mul_f32_e32 v2, 0x3fb8aa3b, v2
	v_exp_f32_e32 v39, v2
	global_load_dwordx4 v[6:9], v[34:35], off
	global_load_dwordx4 v[2:5], v[18:19], off
	v_sub_f32_e32 v30, v30, v38
	v_mul_f32_e32 v30, 0x3fb8aa3b, v30
	v_sub_f32_e32 v31, v31, v38
	v_exp_f32_e32 v30, v30
	v_mul_f32_e32 v31, 0x3fb8aa3b, v31
	v_exp_f32_e32 v31, v31
	v_cndmask_b32_e64 v18, 0, v44, s[4:5]
	v_add_f32_e32 v34, 0, v18
	v_cndmask_b32_e64 v19, 0, v39, s[34:35]
	v_add_f32_e32 v35, v34, v19
	;; [unrolled: 2-line block ×3, first 2 shown]
	v_cndmask_b32_e64 v35, 0, v31, s[38:39]
	v_sub_f32_e32 v31, v40, v38
	v_mul_f32_e32 v31, 0x3fb8aa3b, v31
	v_sub_f32_e32 v39, v41, v38
	v_exp_f32_e32 v31, v31
	v_mul_f32_e32 v39, 0x3fb8aa3b, v39
	v_sub_f32_e32 v36, v36, v38
	v_exp_f32_e32 v39, v39
	;; [unrolled: 3-line block ×4, first 2 shown]
	v_mul_f32_e32 v32, 0x3fb8aa3b, v32
	v_sub_f32_e32 v33, v33, v38
	v_add_f32_e32 v40, v30, v35
	v_cndmask_b32_e64 v30, 0, v31, s[24:25]
	v_exp_f32_e32 v32, v32
	v_mul_f32_e32 v33, 0x3fb8aa3b, v33
	v_sub_f32_e32 v24, v24, v38
	v_add_f32_e32 v40, v40, v30
	v_cndmask_b32_e64 v31, 0, v39, s[26:27]
	v_exp_f32_e32 v33, v33
	;; [unrolled: 5-line block ×7, first 2 shown]
	v_mul_f32_e32 v21, 0x3fb8aa3b, v21
	v_add_f32_e32 v39, v39, v24
	v_cndmask_b32_e64 v25, 0, v25, s[14:15]
	v_exp_f32_e32 v21, v21
	v_add_f32_e32 v39, v39, v25
	v_cndmask_b32_e64 v22, 0, v22, s[8:9]
	v_add_f32_e32 v39, v39, v22
	v_cndmask_b32_e64 v23, 0, v23, s[10:11]
	v_add_f32_e32 v39, v39, v23
	v_cndmask_b32_e32 v20, 0, v20, vcc
	v_add_f32_e32 v39, v39, v20
	v_cndmask_b32_e64 v21, 0, v21, s[6:7]
	v_add_f32_e32 v39, v39, v21
	ds_bpermute_b32 v40, v43, v39
	s_load_dword s9, s[0:1], 0x98
	v_cmp_gt_u32_e64 s[6:7], 16, v27
	s_waitcnt lgkmcnt(0)
	s_barrier
	v_add_f32_e32 v40, v39, v40
	ds_bpermute_b32 v41, v46, v40
	v_lshlrev_b32_e32 v39, 2, v28
	s_waitcnt lgkmcnt(0)
	s_and_saveexec_b64 s[4:5], s[6:7]
	s_cbranch_execz .LBB1092_15
; %bb.14:
	v_add_f32_e32 v27, v40, v41
	v_lshl_or_b32 v40, v29, 6, v39
	ds_write2st64_b32 v40, v38, v27 offset1:1
.LBB1092_15:
	s_or_b64 exec, exec, s[4:5]
	s_load_dword s8, s[0:1], 0x94
	s_waitcnt lgkmcnt(0)
	s_barrier
	ds_read2_b32 v[40:41], v39 offset1:16
	ds_read2_b32 v[44:45], v39 offset0:32 offset1:48
	ds_read2_b32 v[46:47], v39 offset0:64 offset1:80
	s_movk_i32 s10, 0x7fff
	s_mul_i32 s9, s9, 5
	s_waitcnt lgkmcnt(2)
	v_max3_f32 v27, v40, s44, v41
	s_waitcnt lgkmcnt(1)
	v_max3_f32 v27, v27, v44, v45
	v_sub_f32_e32 v38, v40, v27
	v_mul_f32_e32 v38, 0x3fb8aa3b, v38
	v_exp_f32_e32 v43, v38
	v_sub_f32_e32 v38, v41, v27
	v_mul_f32_e32 v38, 0x3fb8aa3b, v38
	v_exp_f32_e32 v48, v38
	v_sub_f32_e32 v38, v44, v27
	v_mul_f32_e32 v38, 0x3fb8aa3b, v38
	v_exp_f32_e32 v44, v38
	ds_read2_b32 v[40:41], v39 offset0:96 offset1:112
	v_sub_f32_e32 v38, v45, v27
	v_mul_f32_e32 v38, 0x3fb8aa3b, v38
	v_exp_f32_e32 v39, v38
	s_waitcnt lgkmcnt(1)
	v_fma_f32 v38, v43, v46, 0
	v_fmac_f32_e32 v38, v48, v47
	s_waitcnt lgkmcnt(0)
	v_fmac_f32_e32 v38, v44, v40
	v_fmac_f32_e32 v38, v39, v41
	v_add_f32_e32 v40, 0x358637bd, v38
	v_div_scale_f32 v41, s[4:5], v40, v40, 1.0
	v_rcp_f32_e32 v45, v41
	s_barrier
	v_fma_f32 v46, -v41, v45, 1.0
	v_fmac_f32_e32 v45, v46, v45
	v_div_scale_f32 v46, vcc, 1.0, v40, 1.0
	v_mul_f32_e32 v47, v46, v45
	v_fma_f32 v49, -v41, v47, v46
	v_fmac_f32_e32 v47, v49, v45
	v_fma_f32 v41, -v41, v47, v46
	v_div_fmas_f32 v41, v41, v45, v47
	v_cmp_eq_u32_e32 vcc, 1, v29
	v_div_fixup_f32 v40, v41, v40, 1.0
	s_nop 0
	v_cndmask_b32_e32 v41, v43, v48, vcc
	v_cmp_eq_u32_e32 vcc, 2, v29
	s_nop 1
	v_cndmask_b32_e32 v41, v41, v44, vcc
	v_cmp_eq_u32_e32 vcc, 3, v29
	v_lshlrev_b32_e32 v29, 11, v29
	s_nop 0
	v_cndmask_b32_e32 v39, v41, v39, vcc
	v_mul_f32_e32 v40, v39, v40
	v_pk_mul_f32 v[18:19], v[40:41], v[18:19] op_sel_hi:[0,1]
	v_pk_mul_f32 v[34:35], v[40:41], v[34:35] op_sel_hi:[0,1]
	v_bfe_u32 v39, v19, 16, 1
	v_bfe_u32 v41, v18, 16, 1
	v_add3_u32 v18, v18, v41, s10
	v_add3_u32 v19, v19, v39, s10
	v_perm_b32 v44, v19, v18, s33
	v_bfe_u32 v18, v35, 16, 1
	v_bfe_u32 v19, v34, 16, 1
	v_add3_u32 v19, v34, v19, s10
	v_add3_u32 v18, v35, v18, s10
	v_perm_b32 v45, v18, v19, s33
	v_lshlrev_b32_e32 v18, 3, v42
	v_lshlrev_b32_e32 v19, 5, v28
	v_pk_mul_f32 v[30:31], v[40:41], v[30:31] op_sel_hi:[0,1]
	v_or3_b32 v18, v29, v19, v18
	v_pk_mul_f32 v[34:35], v[40:41], v[36:37] op_sel_hi:[0,1]
	v_bfe_u32 v29, v31, 16, 1
	v_bfe_u32 v36, v30, 16, 1
	v_add3_u32 v30, v30, v36, s10
	v_add3_u32 v29, v31, v29, s10
	v_perm_b32 v30, v29, v30, s33
	v_bfe_u32 v29, v35, 16, 1
	v_bfe_u32 v31, v34, 16, 1
	v_add3_u32 v31, v34, v31, s10
	v_add3_u32 v29, v35, v29, s10
	v_perm_b32 v31, v29, v31, s33
	ds_write2st64_b64 v18, v[44:45], v[30:31] offset1:1
	v_pk_mul_f32 v[30:31], v[40:41], v[32:33] op_sel_hi:[0,1]
	v_bfe_u32 v29, v31, 16, 1
	v_bfe_u32 v32, v30, 16, 1
	v_pk_mul_f32 v[24:25], v[40:41], v[24:25] op_sel_hi:[0,1]
	v_add3_u32 v30, v30, v32, s10
	v_add3_u32 v29, v31, v29, s10
	v_perm_b32 v30, v29, v30, s33
	v_bfe_u32 v29, v25, 16, 1
	v_bfe_u32 v31, v24, 16, 1
	v_add3_u32 v24, v24, v31, s10
	v_add3_u32 v25, v25, v29, s10
	v_pk_mul_f32 v[22:23], v[40:41], v[22:23] op_sel_hi:[0,1]
	v_perm_b32 v31, v25, v24, s33
	v_bfe_u32 v24, v23, 16, 1
	v_bfe_u32 v25, v22, 16, 1
	v_pk_mul_f32 v[20:21], v[40:41], v[20:21] op_sel_hi:[0,1]
	v_add3_u32 v22, v22, v25, s10
	v_add3_u32 v23, v23, v24, s10
	v_perm_b32 v22, v23, v22, s33
	v_bfe_u32 v23, v21, 16, 1
	v_bfe_u32 v24, v20, 16, 1
	v_add3_u32 v20, v20, v24, s10
	v_add3_u32 v21, v21, v23, s10
	v_perm_b32 v23, v21, v20, s33
	v_cmp_gt_u32_e32 vcc, 5, v0
	ds_write2st64_b64 v18, v[30:31], v[22:23] offset0:2 offset1:3
	s_and_saveexec_b64 s[4:5], vcc
	s_cbranch_execz .LBB1092_17
; %bb.16:
	s_mov_b32 s49, 0
	v_mov_b32_e32 v29, 0
	v_lshl_add_u64 v[20:21], s[48:49], 0, v[28:29]
	v_mov_b32_e32 v22, s9
	v_mad_u64_u32 v[20:21], s[16:17], s2, v22, v[20:21]
	s_mul_i32 s3, s3, s9
	v_mov_b32_e32 v28, s28
	s_load_dwordx4 s[12:15], s[0:1], 0x58
	v_add_u32_e32 v23, s3, v21
	v_mad_u64_u32 v[20:21], s[16:17], v20, s8, v[28:29]
	v_mov_b32_e32 v22, v21
	v_mad_u64_u32 v[22:23], s[16:17], v23, s8, v[22:23]
	v_mov_b32_e32 v21, v22
	v_lshlrev_b64 v[20:21], 2, v[20:21]
	s_waitcnt lgkmcnt(0)
	v_lshl_add_u64 v[22:23], s[14:15], 0, v[20:21]
	v_lshl_add_u64 v[20:21], s[12:13], 0, v[20:21]
	global_store_dword v[22:23], v27, off
	global_store_dword v[20:21], v38, off
.LBB1092_17:
	s_or_b64 exec, exec, s[4:5]
	s_waitcnt vmcnt(3)
	v_cvt_pk_f32_fp8_e32 v[20:21], v14
	v_cvt_pk_f32_fp8_sdwa v[22:23], v14 src0_sel:WORD_1
	s_mov_b32 s4, 0x7060302
	v_lshl_or_b32 v14, v42, 9, v19
	s_waitcnt lgkmcnt(0)
	s_barrier
	v_perm_b32 v24, v21, v20, s4
	v_perm_b32 v25, v23, v22, s4
	v_cvt_pk_f32_fp8_e32 v[28:29], v15
	ds_read_b128 v[20:23], v14
	v_cvt_pk_f32_fp8_sdwa v[36:37], v15 src0_sel:WORD_1
	s_load_dword s12, s[42:43], 0x0
	v_perm_b32 v38, v29, v28, s4
	ds_read_b128 v[28:31], v14 offset:16
	v_perm_b32 v39, v37, v36, s4
	s_waitcnt lgkmcnt(0)
	v_mfma_f32_16x16x16_bf16 v[32:35], v[24:25], v[20:21], 0
	v_cvt_pk_f32_fp8_e32 v[24:25], v16
	v_cvt_pk_f32_fp8_sdwa v[36:37], v16 src0_sel:WORD_1
	v_cmp_gt_u32_e32 vcc, 64, v0
	v_mfma_f32_16x16x16_bf16 v[20:23], v[38:39], v[22:23], v[32:35]
	v_perm_b32 v24, v25, v24, s4
	v_perm_b32 v25, v37, v36, s4
	s_mov_b32 s3, 0
	v_cvt_pk_f32_fp8_e32 v[32:33], v17
	v_cvt_pk_f32_fp8_sdwa v[16:17], v17 src0_sel:WORD_1
	s_waitcnt vmcnt(2)
	v_cvt_pk_f32_fp8_sdwa v[34:35], v10 src0_sel:WORD_1
	v_mfma_f32_16x16x16_bf16 v[20:23], v[24:25], v[28:29], v[20:23]
	v_perm_b32 v36, v33, v32, s4
	v_cvt_pk_f32_fp8_e32 v[32:33], v10
	v_perm_b32 v37, v17, v16, s4
	v_perm_b32 v17, v35, v34, s4
	v_cvt_pk_f32_fp8_e32 v[24:25], v11
	v_perm_b32 v16, v33, v32, s4
	ds_read_b128 v[32:35], v14 offset:2048
	v_cvt_pk_f32_fp8_sdwa v[10:11], v11 src0_sel:WORD_1
	v_mfma_f32_16x16x16_bf16 v[20:23], v[36:37], v[30:31], v[20:23]
	ds_read_b128 v[28:31], v14 offset:2064
	v_perm_b32 v24, v25, v24, s4
	v_perm_b32 v25, v11, v10, s4
	s_waitcnt lgkmcnt(1)
	v_mfma_f32_16x16x16_bf16 v[20:23], v[16:17], v[32:33], v[20:23]
	v_cvt_pk_f32_fp8_e32 v[10:11], v12
	v_cvt_pk_f32_fp8_sdwa v[16:17], v12 src0_sel:WORD_1
	s_waitcnt vmcnt(1)
	v_cvt_pk_f32_fp8_sdwa v[32:33], v6 src0_sel:WORD_1
	v_mfma_f32_16x16x16_bf16 v[20:23], v[24:25], v[34:35], v[20:23]
	v_cvt_pk_f32_fp8_e32 v[24:25], v13
	v_perm_b32 v10, v11, v10, s4
	v_perm_b32 v11, v17, v16, s4
	v_cvt_pk_f32_fp8_sdwa v[12:13], v13 src0_sel:WORD_1
	v_perm_b32 v16, v25, v24, s4
	v_cvt_pk_f32_fp8_e32 v[24:25], v6
	v_mov_b32_e32 v27, 0
	v_perm_b32 v17, v13, v12, s4
	s_waitcnt lgkmcnt(0)
	v_mfma_f32_16x16x16_bf16 v[10:13], v[10:11], v[28:29], v[20:23]
	v_perm_b32 v24, v25, v24, s4
	v_perm_b32 v25, v33, v32, s4
	v_cvt_pk_f32_fp8_e32 v[28:29], v7
	ds_read_b128 v[20:23], v14 offset:4096
	v_cvt_pk_f32_fp8_sdwa v[6:7], v7 src0_sel:WORD_1
	v_mfma_f32_16x16x16_bf16 v[10:13], v[16:17], v[30:31], v[10:13]
	v_perm_b32 v16, v29, v28, s4
	ds_read_b128 v[28:31], v14 offset:4112
	v_perm_b32 v17, v7, v6, s4
	s_waitcnt lgkmcnt(1)
	v_mfma_f32_16x16x16_bf16 v[10:13], v[24:25], v[20:21], v[10:13]
	v_cvt_pk_f32_fp8_e32 v[6:7], v8
	v_cvt_pk_f32_fp8_sdwa v[20:21], v8 src0_sel:WORD_1
	v_perm_b32 v6, v7, v6, s4
	v_mfma_f32_16x16x16_bf16 v[10:13], v[16:17], v[22:23], v[10:13]
	v_cvt_pk_f32_fp8_e32 v[16:17], v9
	v_perm_b32 v7, v21, v20, s4
	v_cvt_pk_f32_fp8_sdwa v[8:9], v9 src0_sel:WORD_1
	s_waitcnt vmcnt(0)
	v_cvt_pk_f32_fp8_e32 v[20:21], v2
	v_perm_b32 v16, v17, v16, s4
	v_cvt_pk_f32_fp8_sdwa v[22:23], v2 src0_sel:WORD_1
	v_perm_b32 v17, v9, v8, s4
	s_waitcnt lgkmcnt(0)
	v_mfma_f32_16x16x16_bf16 v[6:9], v[6:7], v[28:29], v[10:13]
	v_perm_b32 v20, v21, v20, s4
	v_perm_b32 v21, v23, v22, s4
	v_cvt_pk_f32_fp8_e32 v[22:23], v3
	ds_read_b128 v[10:13], v14 offset:6144
	v_cvt_pk_f32_fp8_sdwa v[2:3], v3 src0_sel:WORD_1
	v_mfma_f32_16x16x16_bf16 v[6:9], v[16:17], v[30:31], v[6:9]
	v_perm_b32 v22, v23, v22, s4
	ds_read_b128 v[14:17], v14 offset:6160
	v_perm_b32 v23, v3, v2, s4
	s_waitcnt lgkmcnt(1)
	v_mfma_f32_16x16x16_bf16 v[6:9], v[20:21], v[10:11], v[6:9]
	v_cvt_pk_f32_fp8_e32 v[2:3], v4
	v_cvt_pk_f32_fp8_sdwa v[10:11], v4 src0_sel:WORD_1
	s_waitcnt lgkmcnt(0)
	v_mfma_f32_16x16x16_bf16 v[6:9], v[22:23], v[12:13], v[6:9]
	v_perm_b32 v2, v3, v2, s4
	v_perm_b32 v3, v11, v10, s4
	v_cvt_pk_f32_fp8_e32 v[10:11], v5
	v_cvt_pk_f32_fp8_sdwa v[4:5], v5 src0_sel:WORD_1
	s_barrier
	v_perm_b32 v10, v11, v10, s4
	v_perm_b32 v11, v5, v4, s4
	v_mfma_f32_16x16x16_bf16 v[2:5], v[2:3], v[14:15], v[6:9]
	s_nop 0
	v_mfma_f32_16x16x16_bf16 v[2:5], v[10:11], v[16:17], v[2:5]
	s_nop 6
	v_pk_mul_f32 v[2:3], v[2:3], s[12:13] op_sel_hi:[1,0]
	v_pk_mul_f32 v[4:5], v[4:5], s[12:13] op_sel_hi:[1,0]
	v_bfe_u32 v6, v3, 16, 1
	v_bfe_u32 v7, v2, 16, 1
	v_add3_u32 v2, v2, v7, s10
	v_add3_u32 v3, v3, v6, s10
	v_perm_b32 v2, v3, v2, s4
	v_bfe_u32 v3, v5, 16, 1
	v_bfe_u32 v6, v4, 16, 1
	v_add3_u32 v4, v4, v6, s10
	v_add3_u32 v3, v5, v3, s10
	v_perm_b32 v3, v3, v4, s4
	s_and_b64 s[4:5], vcc, s[30:31]
	ds_write_b64 v18, v[2:3]
	s_waitcnt lgkmcnt(0)
	s_barrier
	s_and_saveexec_b64 s[10:11], s[4:5]
	s_cbranch_execz .LBB1092_20
; %bb.18:
	s_load_dwordx2 s[4:5], s[0:1], 0x68
	s_lshl_b32 s0, s8, 6
	s_mul_i32 s1, s9, s2
	s_mul_hi_u32 s9, s1, s0
	s_mul_i32 s8, s1, s0
	v_lshlrev_b32_e32 v0, 10, v0
	s_lshl_b64 s[8:9], s[8:9], 1
	v_and_b32_e32 v0, 0x1800, v0
	v_lshlrev_b32_e32 v2, 5, v42
	v_and_b32_e32 v1, 16, v1
	s_waitcnt lgkmcnt(0)
	s_add_u32 s1, s4, s8
	v_or3_b32 v2, v0, v2, v1
	s_addc_u32 s4, s5, s9
	s_lshl_b32 s2, s28, 6
	s_lshl_b64 s[2:3], s[2:3], 1
	ds_read_b128 v[4:7], v2
	s_add_u32 s2, s1, s2
	s_addc_u32 s3, s4, s3
	v_add_u32_e32 v3, s48, v42
	v_lshl_add_u64 v[0:1], s[2:3], 0, v[26:27]
	v_mad_u64_u32 v[8:9], s[2:3], v3, s0, 0
	v_lshl_add_u64 v[8:9], v[8:9], 1, v[0:1]
	s_waitcnt lgkmcnt(0)
	global_store_dwordx4 v[8:9], v[4:7], off
	s_and_b64 exec, exec, s[6:7]
	s_cbranch_execz .LBB1092_20
; %bb.19:
	ds_read_b128 v[2:5], v2 offset:128
	v_add3_u32 v6, s48, v42, 4
	v_mad_u64_u32 v[6:7], s[0:1], v6, s0, 0
	v_lshl_add_u64 v[0:1], v[6:7], 1, v[0:1]
	s_waitcnt lgkmcnt(0)
	global_store_dwordx4 v[0:1], v[2:5], off
.LBB1092_20:
	s_endpgm
	.section	.rodata,"a",@progbits
	.p2align	6, 0x0
	.amdhsa_kernel _Z39paged_attention_ll4mi_QKV_mfma16_kernelI14__hip_bfloat16hLN4vllm18Fp8KVCacheDataTypeE1EhLi16ELi64ELi256ELb1ELi5EEvPKT_PKT0_S8_ifPKiSA_SA_iPKfiiiPfSD_PS3_PT2_iSC_SC_
		.amdhsa_group_segment_fixed_size 8192
		.amdhsa_private_segment_fixed_size 0
		.amdhsa_kernarg_size 400
		.amdhsa_user_sgpr_count 2
		.amdhsa_user_sgpr_dispatch_ptr 0
		.amdhsa_user_sgpr_queue_ptr 0
		.amdhsa_user_sgpr_kernarg_segment_ptr 1
		.amdhsa_user_sgpr_dispatch_id 0
		.amdhsa_user_sgpr_kernarg_preload_length 0
		.amdhsa_user_sgpr_kernarg_preload_offset 0
		.amdhsa_user_sgpr_private_segment_size 0
		.amdhsa_uses_dynamic_stack 0
		.amdhsa_enable_private_segment 0
		.amdhsa_system_sgpr_workgroup_id_x 1
		.amdhsa_system_sgpr_workgroup_id_y 1
		.amdhsa_system_sgpr_workgroup_id_z 1
		.amdhsa_system_sgpr_workgroup_info 0
		.amdhsa_system_vgpr_workitem_id 0
		.amdhsa_next_free_vgpr 67
		.amdhsa_next_free_sgpr 50
		.amdhsa_accum_offset 68
		.amdhsa_reserve_vcc 1
		.amdhsa_float_round_mode_32 0
		.amdhsa_float_round_mode_16_64 0
		.amdhsa_float_denorm_mode_32 3
		.amdhsa_float_denorm_mode_16_64 3
		.amdhsa_dx10_clamp 1
		.amdhsa_ieee_mode 1
		.amdhsa_fp16_overflow 0
		.amdhsa_tg_split 0
		.amdhsa_exception_fp_ieee_invalid_op 0
		.amdhsa_exception_fp_denorm_src 0
		.amdhsa_exception_fp_ieee_div_zero 0
		.amdhsa_exception_fp_ieee_overflow 0
		.amdhsa_exception_fp_ieee_underflow 0
		.amdhsa_exception_fp_ieee_inexact 0
		.amdhsa_exception_int_div_zero 0
	.end_amdhsa_kernel
	.section	.text._Z39paged_attention_ll4mi_QKV_mfma16_kernelI14__hip_bfloat16hLN4vllm18Fp8KVCacheDataTypeE1EhLi16ELi64ELi256ELb1ELi5EEvPKT_PKT0_S8_ifPKiSA_SA_iPKfiiiPfSD_PS3_PT2_iSC_SC_,"axG",@progbits,_Z39paged_attention_ll4mi_QKV_mfma16_kernelI14__hip_bfloat16hLN4vllm18Fp8KVCacheDataTypeE1EhLi16ELi64ELi256ELb1ELi5EEvPKT_PKT0_S8_ifPKiSA_SA_iPKfiiiPfSD_PS3_PT2_iSC_SC_,comdat
.Lfunc_end1092:
	.size	_Z39paged_attention_ll4mi_QKV_mfma16_kernelI14__hip_bfloat16hLN4vllm18Fp8KVCacheDataTypeE1EhLi16ELi64ELi256ELb1ELi5EEvPKT_PKT0_S8_ifPKiSA_SA_iPKfiiiPfSD_PS3_PT2_iSC_SC_, .Lfunc_end1092-_Z39paged_attention_ll4mi_QKV_mfma16_kernelI14__hip_bfloat16hLN4vllm18Fp8KVCacheDataTypeE1EhLi16ELi64ELi256ELb1ELi5EEvPKT_PKT0_S8_ifPKiSA_SA_iPKfiiiPfSD_PS3_PT2_iSC_SC_
                                        ; -- End function
	.section	.AMDGPU.csdata,"",@progbits
; Kernel info:
; codeLenInByte = 5108
; NumSgprs: 56
; NumVgprs: 67
; NumAgprs: 0
; TotalNumVgprs: 67
; ScratchSize: 0
; MemoryBound: 0
; FloatMode: 240
; IeeeMode: 1
; LDSByteSize: 8192 bytes/workgroup (compile time only)
; SGPRBlocks: 6
; VGPRBlocks: 8
; NumSGPRsForWavesPerEU: 56
; NumVGPRsForWavesPerEU: 67
; AccumOffset: 68
; Occupancy: 7
; WaveLimiterHint : 1
; COMPUTE_PGM_RSRC2:SCRATCH_EN: 0
; COMPUTE_PGM_RSRC2:USER_SGPR: 2
; COMPUTE_PGM_RSRC2:TRAP_HANDLER: 0
; COMPUTE_PGM_RSRC2:TGID_X_EN: 1
; COMPUTE_PGM_RSRC2:TGID_Y_EN: 1
; COMPUTE_PGM_RSRC2:TGID_Z_EN: 1
; COMPUTE_PGM_RSRC2:TIDIG_COMP_CNT: 0
; COMPUTE_PGM_RSRC3_GFX90A:ACCUM_OFFSET: 16
; COMPUTE_PGM_RSRC3_GFX90A:TG_SPLIT: 0
	.section	.text._Z39paged_attention_ll4mi_QKV_mfma16_kernelI14__hip_bfloat16hLN4vllm18Fp8KVCacheDataTypeE1EhLi16ELi64ELi256ELb1ELi6EEvPKT_PKT0_S8_ifPKiSA_SA_iPKfiiiPfSD_PS3_PT2_iSC_SC_,"axG",@progbits,_Z39paged_attention_ll4mi_QKV_mfma16_kernelI14__hip_bfloat16hLN4vllm18Fp8KVCacheDataTypeE1EhLi16ELi64ELi256ELb1ELi6EEvPKT_PKT0_S8_ifPKiSA_SA_iPKfiiiPfSD_PS3_PT2_iSC_SC_,comdat
	.protected	_Z39paged_attention_ll4mi_QKV_mfma16_kernelI14__hip_bfloat16hLN4vllm18Fp8KVCacheDataTypeE1EhLi16ELi64ELi256ELb1ELi6EEvPKT_PKT0_S8_ifPKiSA_SA_iPKfiiiPfSD_PS3_PT2_iSC_SC_ ; -- Begin function _Z39paged_attention_ll4mi_QKV_mfma16_kernelI14__hip_bfloat16hLN4vllm18Fp8KVCacheDataTypeE1EhLi16ELi64ELi256ELb1ELi6EEvPKT_PKT0_S8_ifPKiSA_SA_iPKfiiiPfSD_PS3_PT2_iSC_SC_
	.globl	_Z39paged_attention_ll4mi_QKV_mfma16_kernelI14__hip_bfloat16hLN4vllm18Fp8KVCacheDataTypeE1EhLi16ELi64ELi256ELb1ELi6EEvPKT_PKT0_S8_ifPKiSA_SA_iPKfiiiPfSD_PS3_PT2_iSC_SC_
	.p2align	8
	.type	_Z39paged_attention_ll4mi_QKV_mfma16_kernelI14__hip_bfloat16hLN4vllm18Fp8KVCacheDataTypeE1EhLi16ELi64ELi256ELb1ELi6EEvPKT_PKT0_S8_ifPKiSA_SA_iPKfiiiPfSD_PS3_PT2_iSC_SC_,@function
_Z39paged_attention_ll4mi_QKV_mfma16_kernelI14__hip_bfloat16hLN4vllm18Fp8KVCacheDataTypeE1EhLi16ELi64ELi256ELb1ELi6EEvPKT_PKT0_S8_ifPKiSA_SA_iPKfiiiPfSD_PS3_PT2_iSC_SC_: ; @_Z39paged_attention_ll4mi_QKV_mfma16_kernelI14__hip_bfloat16hLN4vllm18Fp8KVCacheDataTypeE1EhLi16ELi64ELi256ELb1ELi6EEvPKT_PKT0_S8_ifPKiSA_SA_iPKfiiiPfSD_PS3_PT2_iSC_SC_
; %bb.0:
	s_load_dwordx2 s[6:7], s[0:1], 0x30
	s_mov_b32 s28, s3
	s_mov_b64 s[8:9], 0
	s_waitcnt lgkmcnt(0)
	s_cmp_lg_u64 s[6:7], 0
	s_cselect_b64 s[10:11], -1, 0
	s_and_b64 vcc, exec, s[10:11]
	s_cbranch_vccz .LBB1093_7
; %bb.1:
	s_add_i32 s12, s2, 1
	s_mov_b32 s13, 0
	s_lshl_b64 s[14:15], s[12:13], 2
	s_add_u32 s14, s6, s14
	s_mov_b32 s3, s13
	s_addc_u32 s15, s7, s15
	s_lshl_b64 s[12:13], s[2:3], 2
	s_add_u32 s12, s6, s12
	s_addc_u32 s13, s7, s13
	s_load_dword s5, s[14:15], 0x0
	s_load_dword s16, s[12:13], 0x0
	s_waitcnt lgkmcnt(0)
	s_sub_i32 s5, s5, s16
	s_cmp_eq_u32 s5, 1
	s_cselect_b64 s[12:13], -1, 0
	s_andn2_b64 vcc, exec, s[8:9]
	s_cbranch_vccnz .LBB1093_3
.LBB1093_2:
	s_mov_b32 s3, 0
	s_mov_b64 s[12:13], -1
.LBB1093_3:
	s_andn2_b64 vcc, exec, s[12:13]
	s_cbranch_vccnz .LBB1093_20
; %bb.4:
	s_load_dwordx2 s[8:9], s[0:1], 0x28
	s_lshl_b64 s[12:13], s[2:3], 2
	s_waitcnt lgkmcnt(0)
	s_add_u32 s8, s8, s12
	s_addc_u32 s9, s9, s13
	s_load_dword s29, s[8:9], 0x0
	s_lshl_b32 s16, s28, 8
	s_waitcnt lgkmcnt(0)
	s_cmp_ge_i32 s16, s29
	s_cbranch_scc1 .LBB1093_20
; %bb.5:
	s_load_dwordx2 s[8:9], s[0:1], 0x20
	s_load_dword s5, s[0:1], 0x38
	s_add_i32 s14, s29, 15
	s_ashr_i32 s15, s14, 31
	v_and_b32_e32 v1, 0xcf, v0
	s_lshr_b32 s15, s15, 28
	v_add_u32_e32 v1, s16, v1
	s_add_i32 s14, s14, s15
	v_ashrrev_i32_e32 v2, 31, v1
	s_ashr_i32 s17, s14, 4
	v_lshrrev_b32_e32 v4, 28, v2
	s_add_i32 s17, s17, -1
	s_waitcnt lgkmcnt(0)
	s_mul_i32 s14, s2, s5
	s_mov_b32 s15, 0
	v_add_u32_e32 v2, v1, v4
	s_lshl_b64 s[14:15], s[14:15], 2
	v_ashrrev_i32_e32 v2, 4, v2
	v_mov_b32_e32 v5, s17
	v_cmp_gt_i32_e32 vcc, s29, v1
	s_add_u32 s8, s8, s14
	s_addc_u32 s9, s9, s15
	v_cndmask_b32_e32 v2, v5, v2, vcc
	v_ashrrev_i32_e32 v3, 31, v2
	v_lshl_add_u64 v[6:7], v[2:3], 2, s[8:9]
	v_or_b32_e32 v2, 16, v1
	v_add_u32_e32 v3, v2, v4
	v_ashrrev_i32_e32 v3, 4, v3
	v_cmp_gt_i32_e32 vcc, s29, v2
	s_load_dwordx2 s[14:15], s[0:1], 0x8
	s_nop 0
	v_cndmask_b32_e32 v2, v5, v3, vcc
	v_ashrrev_i32_e32 v3, 31, v2
	v_lshl_add_u64 v[8:9], v[2:3], 2, s[8:9]
	v_or_b32_e32 v2, 32, v1
	v_add_u32_e32 v3, v2, v4
	v_ashrrev_i32_e32 v3, 4, v3
	v_cmp_gt_i32_e32 vcc, s29, v2
	v_or_b32_e32 v1, 48, v1
	s_nop 0
	v_cndmask_b32_e32 v2, v5, v3, vcc
	v_ashrrev_i32_e32 v3, 31, v2
	v_lshl_add_u64 v[10:11], v[2:3], 2, s[8:9]
	v_add_u32_e32 v2, v1, v4
	v_ashrrev_i32_e32 v2, 4, v2
	v_cmp_gt_i32_e32 vcc, s29, v1
	s_nop 1
	v_cndmask_b32_e32 v2, v5, v2, vcc
	v_ashrrev_i32_e32 v3, 31, v2
	v_lshl_add_u64 v[12:13], v[2:3], 2, s[8:9]
	global_load_dword v5, v[6:7], off
	global_load_dword v4, v[8:9], off
	;; [unrolled: 1-line block ×4, first 2 shown]
	s_andn2_b64 vcc, exec, s[10:11]
	s_cbranch_vccnz .LBB1093_8
; %bb.6:
	s_add_u32 s6, s6, s12
	s_addc_u32 s7, s7, s13
	s_load_dword s5, s[6:7], 0x0
	s_branch .LBB1093_9
.LBB1093_7:
	s_mov_b64 s[12:13], 0
	s_branch .LBB1093_2
.LBB1093_8:
	s_mov_b32 s5, s2
.LBB1093_9:
	s_load_dwordx2 s[6:7], s[0:1], 0x10
	s_load_dwordx4 s[44:47], s[0:1], 0x48
	v_lshrrev_b32_e32 v29, 6, v0
	v_bfe_u32 v42, v0, 4, 2
	v_lshl_or_b32 v6, v29, 2, v42
	v_and_b32_e32 v28, 15, v0
	v_lshlrev_b32_e32 v1, 3, v28
	v_cmp_gt_u32_e32 vcc, 6, v6
	v_cmp_gt_u32_e64 s[30:31], 8, v28
	s_mul_i32 s48, s4, 6
	s_and_b64 s[12:13], s[30:31], vcc
	v_lshlrev_b32_e32 v26, 1, v1
	v_lshlrev_b32_e32 v1, 4, v0
	s_and_saveexec_b64 s[10:11], s[12:13]
	s_cbranch_execz .LBB1093_11
; %bb.10:
	s_load_dwordx2 s[12:13], s[0:1], 0x0
	s_waitcnt lgkmcnt(0)
	s_ashr_i32 s18, s44, 31
	s_mul_hi_u32 s19, s5, s44
	s_mul_i32 s18, s5, s18
	s_add_i32 s19, s19, s18
	s_mul_i32 s18, s5, s44
	s_lshl_b64 s[18:19], s[18:19], 1
	s_add_u32 s12, s12, s18
	v_add_lshl_u32 v8, v6, s48, 6
	s_addc_u32 s13, s13, s19
	v_ashrrev_i32_e32 v9, 31, v8
	v_lshl_add_u64 v[8:9], v[8:9], 1, s[12:13]
	v_mov_b32_e32 v27, 0
	v_lshl_add_u64 v[8:9], v[8:9], 0, v[26:27]
	global_load_dwordx4 v[8:11], v[8:9], off
	v_lshlrev_b32_e32 v12, 8, v28
	v_lshlrev_b32_e32 v6, 5, v6
	v_and_b32_e32 v7, 16, v1
	v_and_b32_e32 v12, 0xe00, v12
	v_or3_b32 v6, v12, v6, v7
	s_waitcnt vmcnt(0)
	ds_write_b128 v6, v[8:11]
.LBB1093_11:
	s_or_b64 exec, exec, s[10:11]
	s_waitcnt lgkmcnt(0)
	s_mul_i32 s10, s4, s46
	s_add_u32 s4, s14, s10
	s_addc_u32 s5, s15, 0
	v_and_b32_e32 v32, 48, v0
	v_and_b32_e32 v30, 0xf0, v1
	v_mov_b32_e32 v31, 0
	v_lshl_add_u64 v[6:7], s[4:5], 0, v[30:31]
	v_lshlrev_b32_e32 v30, 4, v32
	v_lshl_add_u64 v[6:7], v[6:7], 0, v[30:31]
	s_waitcnt vmcnt(3)
	v_mad_i64_i32 v[8:9], s[4:5], v5, s45, v[6:7]
	s_waitcnt vmcnt(2)
	v_mad_i64_i32 v[4:5], s[4:5], v4, s45, v[6:7]
	s_barrier
	global_load_dwordx4 v[22:25], v[8:9], off
	global_load_dwordx4 v[18:21], v[4:5], off
	s_waitcnt vmcnt(3)
	v_mad_i64_i32 v[4:5], s[4:5], v3, s45, v[6:7]
	s_waitcnt vmcnt(2)
	v_mad_i64_i32 v[2:3], s[4:5], v2, s45, v[6:7]
	global_load_dwordx4 v[14:17], v[4:5], off
	global_load_dwordx4 v[6:9], v[2:3], off
	v_mul_lo_u16_e32 v2, 43, v28
	v_mov_b32_e32 v3, 6
	v_mul_lo_u16_sdwa v2, v2, v3 dst_sel:DWORD dst_unused:UNUSED_PAD src0_sel:BYTE_1 src1_sel:DWORD
	v_sub_u16_e32 v2, v28, v2
	v_mov_b32_e32 v3, 5
	v_lshlrev_b32_sdwa v2, v3, v2 dst_sel:DWORD dst_unused:UNUSED_PAD src0_sel:DWORD src1_sel:BYTE_0
	v_lshl_add_u32 v2, v42, 9, v2
	ds_read_b128 v[10:13], v2
	ds_read_b128 v[2:5], v2 offset:16
	v_and_b32_e32 v27, 63, v0
	v_cmp_gt_u32_e32 vcc, 6, v28
	v_mov_b32_e32 v43, 0
	s_and_saveexec_b64 s[4:5], vcc
	s_cbranch_execz .LBB1093_13
; %bb.12:
	s_load_dwordx2 s[12:13], s[0:1], 0x40
	v_add_u32_e32 v34, s48, v28
	v_ashrrev_i32_e32 v35, 31, v34
	s_waitcnt lgkmcnt(0)
	v_lshl_add_u64 v[34:35], v[34:35], 2, s[12:13]
	global_load_dword v43, v[34:35], off
.LBB1093_13:
	s_or_b64 exec, exec, s[4:5]
	v_or_b32_e32 v62, s16, v32
	v_ashrrev_i32_e32 v30, 4, v62
	v_mov_b32_e32 v63, s17
	v_cmp_gt_i32_e32 vcc, s29, v62
	s_waitcnt vmcnt(2)
	v_cvt_pk_f32_fp8_e32 v[52:53], v20
	v_cvt_pk_f32_fp8_sdwa v[54:55], v20 src0_sel:WORD_1
	v_cndmask_b32_e32 v20, v63, v30, vcc
	v_cvt_pk_f32_fp8_e32 v[56:57], v21
	v_cvt_pk_f32_fp8_sdwa v[58:59], v21 src0_sel:WORD_1
	v_ashrrev_i32_e32 v21, 31, v20
	v_cvt_pk_f32_fp8_e32 v[40:41], v22
	v_cvt_pk_f32_fp8_sdwa v[44:45], v22 src0_sel:WORD_1
	v_lshl_add_u64 v[20:21], v[20:21], 2, s[8:9]
	v_cvt_pk_f32_fp8_e32 v[46:47], v18
	v_cvt_pk_f32_fp8_sdwa v[48:49], v18 src0_sel:WORD_1
	global_load_dword v64, v[20:21], off
	s_mov_b32 s33, 0x7060302
	v_cvt_pk_f32_fp8_e32 v[32:33], v23
	v_cvt_pk_f32_fp8_sdwa v[34:35], v23 src0_sel:WORD_1
	v_perm_b32 v20, v41, v40, s33
	v_perm_b32 v21, v45, v44, s33
	v_cvt_pk_f32_fp8_e32 v[38:39], v24
	v_cvt_pk_f32_fp8_sdwa v[36:37], v24 src0_sel:WORD_1
	v_cvt_pk_f32_fp8_e32 v[50:51], v19
	v_cvt_pk_f32_fp8_sdwa v[18:19], v19 src0_sel:WORD_1
	v_perm_b32 v44, v47, v46, s33
	v_perm_b32 v45, v49, v48, s33
	v_cvt_pk_f32_fp8_e32 v[22:23], v25
	s_waitcnt vmcnt(2)
	v_cvt_pk_f32_fp8_e32 v[40:41], v14
	v_cvt_pk_f32_fp8_sdwa v[46:47], v14 src0_sel:WORD_1
	v_perm_b32 v48, v33, v32, s33
	v_perm_b32 v49, v35, v34, s33
	v_or_b32_e32 v14, 64, v62
	v_or_b32_e32 v32, 0xc0, v62
	v_cvt_pk_f32_fp8_sdwa v[24:25], v25 src0_sel:WORD_1
	s_load_dword s11, s[0:1], 0x1c
	s_load_dwordx4 s[40:43], s[0:1], 0x80
	v_perm_b32 v38, v39, v38, s33
	v_perm_b32 v39, v37, v36, s33
	v_or_b32_e32 v65, 0x80, v62
	v_ashrrev_i32_e32 v62, 4, v14
	v_cmp_gt_i32_e32 vcc, s29, v32
	v_ashrrev_i32_e32 v66, 4, v32
	v_cmp_gt_i32_e64 s[4:5], s29, v14
	v_perm_b32 v36, v51, v50, s33
	v_perm_b32 v37, v19, v18, s33
	s_waitcnt lgkmcnt(0)
	v_mfma_f32_16x16x16_bf16 v[32:35], v[20:21], v[10:11], 0
	s_add_u32 s6, s6, s10
	v_lshlrev_b32_e32 v30, 4, v28
	v_cndmask_b32_e64 v50, v63, v62, s[4:5]
	v_perm_b32 v62, v23, v22, s33
	v_mfma_f32_16x16x16_bf16 v[20:23], v[44:45], v[10:11], 0
	v_lshl_or_b32 v30, v29, 8, v30
	s_addc_u32 s7, s7, 0
	v_ashrrev_i32_e32 v14, 4, v65
	v_lshl_add_u64 v[18:19], s[6:7], 0, v[30:31]
	v_cmp_gt_i32_e64 s[6:7], s29, v65
	v_mfma_f32_16x16x16_bf16 v[30:33], v[48:49], v[12:13], v[32:35]
	v_cndmask_b32_e32 v48, v63, v66, vcc
	s_load_dword s4, s[40:41], 0x0
	v_cvt_pk_f32_fp8_e32 v[60:61], v15
	v_cndmask_b32_e64 v34, v63, v14, s[6:7]
	v_perm_b32 v63, v25, v24, s33
	v_perm_b32 v24, v53, v52, s33
	;; [unrolled: 1-line block ×3, first 2 shown]
	v_mfma_f32_16x16x16_bf16 v[20:23], v[36:37], v[12:13], v[20:23]
	v_perm_b32 v40, v41, v40, s33
	v_perm_b32 v41, v47, v46, s33
	v_ashrrev_i32_e32 v51, 31, v50
	v_mfma_f32_16x16x16_bf16 v[20:23], v[24:25], v[2:3], v[20:23]
	v_mov_b32_e32 v24, s11
	s_waitcnt lgkmcnt(0)
	v_mul_f32_e32 v54, s4, v24
	v_cvt_pk_f32_fp8_sdwa v[24:25], v15 src0_sel:WORD_1
	v_mfma_f32_16x16x16_bf16 v[30:33], v[38:39], v[2:3], v[30:33]
	v_ashrrev_i32_e32 v35, 31, v34
	v_ashrrev_i32_e32 v49, 31, v48
	v_lshl_add_u64 v[36:37], v[50:51], 2, s[8:9]
	v_lshl_add_u64 v[34:35], v[34:35], 2, s[8:9]
	;; [unrolled: 1-line block ×3, first 2 shown]
	global_load_dword v14, v[36:37], off
	global_load_dword v44, v[34:35], off
	;; [unrolled: 1-line block ×3, first 2 shown]
	v_perm_b32 v46, v61, v60, s33
	v_cvt_pk_f32_fp8_e32 v[48:49], v16
	v_cvt_pk_f32_fp8_sdwa v[50:51], v16 src0_sel:WORD_1
	v_perm_b32 v47, v25, v24, s33
	v_mfma_f32_16x16x16_bf16 v[36:39], v[62:63], v[4:5], v[30:33]
	v_perm_b32 v24, v49, v48, s33
	v_perm_b32 v25, v51, v50, s33
	;; [unrolled: 1-line block ×3, first 2 shown]
	v_mfma_f32_16x16x16_bf16 v[30:33], v[40:41], v[10:11], 0
	v_cvt_pk_f32_fp8_e32 v[40:41], v17
	v_cvt_pk_f32_fp8_sdwa v[16:17], v17 src0_sel:WORD_1
	v_perm_b32 v53, v59, v58, s33
	v_mfma_f32_16x16x16_bf16 v[46:49], v[46:47], v[12:13], v[30:33]
	s_mov_b32 s44, 0xff7fffff
	s_waitcnt vmcnt(3)
	v_mad_i64_i32 v[34:35], s[4:5], v64, s45, v[18:19]
	v_perm_b32 v32, v41, v40, s33
	v_perm_b32 v33, v17, v16, s33
	v_mfma_f32_16x16x16_bf16 v[46:49], v[24:25], v[2:3], v[46:49]
	v_cvt_pk_f32_fp8_e32 v[16:17], v6
	v_cvt_pk_f32_fp8_sdwa v[24:25], v6 src0_sel:WORD_1
	v_pk_mul_f32 v[30:31], v[54:55], v[38:39] op_sel_hi:[0,1]
	v_mfma_f32_16x16x16_bf16 v[46:49], v[32:33], v[4:5], v[46:49]
	v_cvt_pk_f32_fp8_e32 v[32:33], v7
	v_perm_b32 v16, v17, v16, s33
	v_perm_b32 v17, v25, v24, s33
	v_cvt_pk_f32_fp8_sdwa v[6:7], v7 src0_sel:WORD_1
	v_pk_mul_f32 v[38:39], v[54:55], v[36:37] op_sel_hi:[0,1]
	v_perm_b32 v24, v33, v32, s33
	v_cvt_pk_f32_fp8_e32 v[32:33], v8
	v_cvt_pk_f32_fp8_sdwa v[36:37], v8 src0_sel:WORD_1
	v_perm_b32 v25, v7, v6, s33
	v_mfma_f32_16x16x16_bf16 v[20:23], v[52:53], v[4:5], v[20:23]
	v_mfma_f32_16x16x16_bf16 v[50:53], v[16:17], v[10:11], 0
	v_perm_b32 v10, v33, v32, s33
	v_perm_b32 v11, v37, v36, s33
	v_cvt_pk_f32_fp8_e32 v[16:17], v9
	v_cvt_pk_f32_fp8_sdwa v[32:33], v9 src0_sel:WORD_1
	v_mfma_f32_16x16x16_bf16 v[6:9], v[24:25], v[12:13], v[50:53]
	s_nop 0
	v_pk_mul_f32 v[36:37], v[54:55], v[22:23] op_sel_hi:[0,1]
	v_perm_b32 v12, v17, v16, s33
	v_perm_b32 v13, v33, v32, s33
	v_mfma_f32_16x16x16_bf16 v[6:9], v[10:11], v[2:3], v[6:9]
	v_pk_mul_f32 v[40:41], v[54:55], v[20:21] op_sel_hi:[0,1]
	v_pk_mul_f32 v[24:25], v[54:55], v[48:49] op_sel_hi:[0,1]
	;; [unrolled: 1-line block ×3, first 2 shown]
	v_mfma_f32_16x16x16_bf16 v[2:5], v[12:13], v[4:5], v[6:9]
	s_nop 6
	v_pk_mul_f32 v[22:23], v[54:55], v[2:3] op_sel_hi:[0,1]
	v_and_b32_e32 v2, 0xc0, v0
	v_add_u32_e32 v2, s16, v2
	v_lshl_or_b32 v2, v42, 2, v2
	v_or_b32_e32 v3, 1, v2
	v_pk_mul_f32 v[20:21], v[54:55], v[4:5] op_sel_hi:[0,1]
	v_subrev_u32_e32 v4, s29, v3
	v_add_u32_e32 v6, 1, v4
	v_add_u32_e32 v7, 2, v4
	;; [unrolled: 1-line block ×3, first 2 shown]
	v_cvt_f32_i32_e32 v6, v6
	v_cvt_f32_i32_e32 v7, v7
	;; [unrolled: 1-line block ×3, first 2 shown]
	v_add_u32_e32 v9, 19, v4
	v_fmac_f32_e32 v39, v43, v6
	v_fma_f32 v30, v43, v7, v30
	v_fmac_f32_e32 v31, v43, v8
	v_add_u32_e32 v6, 16, v4
	v_add_u32_e32 v7, 17, v4
	;; [unrolled: 1-line block ×3, first 2 shown]
	v_cvt_f32_i32_e32 v6, v6
	v_cvt_f32_i32_e32 v7, v7
	v_cvt_f32_i32_e32 v8, v8
	v_cvt_f32_i32_e32 v9, v9
	v_fma_f32 v40, v43, v6, v40
	v_fmac_f32_e32 v41, v43, v7
	v_fma_f32 v36, v43, v8, v36
	v_add_u32_e32 v6, 32, v4
	v_add_u32_e32 v7, 33, v4
	;; [unrolled: 1-line block ×3, first 2 shown]
	v_cvt_f32_i32_e32 v6, v6
	v_cvt_f32_i32_e32 v7, v7
	;; [unrolled: 1-line block ×4, first 2 shown]
	v_fmac_f32_e32 v37, v43, v9
	v_add_u32_e32 v9, 35, v4
	v_fma_f32 v32, v43, v6, v32
	v_fmac_f32_e32 v33, v43, v7
	v_fma_f32 v24, v43, v8, v24
	v_add_u32_e32 v6, 48, v4
	v_add_u32_e32 v7, 49, v4
	;; [unrolled: 1-line block ×4, first 2 shown]
	v_cvt_f32_i32_e32 v4, v4
	v_cvt_f32_i32_e32 v6, v6
	;; [unrolled: 1-line block ×3, first 2 shown]
	v_fma_f32 v5, v43, v5, v38
	v_fmac_f32_e32 v21, v43, v4
	v_mov_b32_e32 v4, 0xff7fffff
	v_cmp_gt_i32_e64 s[4:5], s29, v2
	v_cmp_gt_i32_e64 s[34:35], s29, v3
	v_fma_f32 v22, v43, v6, v22
	v_cndmask_b32_e64 v6, v4, v5, s[4:5]
	v_cndmask_b32_e64 v3, v4, v39, s[34:35]
	v_fmac_f32_e32 v23, v43, v7
	v_max3_f32 v3, v6, s44, v3
	v_or_b32_e32 v6, 2, v2
	v_or_b32_e32 v7, 3, v2
	v_cmp_gt_i32_e64 s[36:37], s29, v6
	v_cmp_gt_i32_e64 s[38:39], s29, v7
	v_cvt_f32_i32_e32 v9, v9
	v_cndmask_b32_e64 v6, v4, v30, s[36:37]
	v_cndmask_b32_e64 v7, v4, v31, s[38:39]
	v_max3_f32 v3, v3, v6, v7
	v_or_b32_e32 v6, 16, v2
	v_or_b32_e32 v7, 17, v2
	v_cmp_gt_i32_e64 s[24:25], s29, v6
	v_cmp_gt_i32_e64 s[26:27], s29, v7
	v_fmac_f32_e32 v25, v43, v9
	v_cndmask_b32_e64 v6, v4, v40, s[24:25]
	v_cndmask_b32_e64 v7, v4, v41, s[26:27]
	v_max3_f32 v3, v3, v6, v7
	v_or_b32_e32 v6, 18, v2
	v_or_b32_e32 v7, 19, v2
	v_cmp_gt_i32_e64 s[20:21], s29, v6
	v_cmp_gt_i32_e64 s[22:23], s29, v7
	v_cvt_f32_i32_e32 v8, v8
	v_cndmask_b32_e64 v6, v4, v36, s[20:21]
	v_cndmask_b32_e64 v7, v4, v37, s[22:23]
	v_max3_f32 v3, v3, v6, v7
	v_or_b32_e32 v6, 32, v2
	v_or_b32_e32 v7, 33, v2
	v_cmp_gt_i32_e64 s[16:17], s29, v6
	v_cmp_gt_i32_e64 s[18:19], s29, v7
	v_fma_f32 v20, v43, v8, v20
	v_cndmask_b32_e64 v6, v4, v32, s[16:17]
	v_cndmask_b32_e64 v7, v4, v33, s[18:19]
	v_max3_f32 v3, v3, v6, v7
	v_or_b32_e32 v6, 34, v2
	v_or_b32_e32 v7, 35, v2
	v_cmp_gt_i32_e64 s[12:13], s29, v6
	v_cmp_gt_i32_e64 s[14:15], s29, v7
	s_nop 0
	v_cndmask_b32_e64 v6, v4, v24, s[12:13]
	v_cndmask_b32_e64 v7, v4, v25, s[14:15]
	v_max3_f32 v3, v3, v6, v7
	v_or_b32_e32 v6, 48, v2
	v_or_b32_e32 v7, 49, v2
	v_cmp_gt_i32_e64 s[8:9], s29, v6
	v_cmp_gt_i32_e64 s[10:11], s29, v7
	s_nop 0
	v_cndmask_b32_e64 v6, v4, v22, s[8:9]
	v_cndmask_b32_e64 v7, v4, v23, s[10:11]
	v_max3_f32 v3, v3, v6, v7
	v_or_b32_e32 v6, 50, v2
	v_or_b32_e32 v2, 51, v2
	v_cmp_gt_i32_e32 vcc, s29, v6
	v_cmp_gt_i32_e64 s[6:7], s29, v2
	s_nop 0
	v_cndmask_b32_e32 v6, v4, v20, vcc
	v_cndmask_b32_e64 v2, v4, v21, s[6:7]
	v_max3_f32 v4, v3, v6, v2
	v_mbcnt_lo_u32_b32 v2, -1, 0
	v_mbcnt_hi_u32_b32 v6, -1, v2
	v_and_b32_e32 v2, 64, v6
	v_add_u32_e32 v7, 64, v2
	v_xor_b32_e32 v2, 32, v6
	v_cmp_lt_i32_e64 s[40:41], v2, v7
	s_nop 1
	v_cndmask_b32_e64 v2, v6, v2, s[40:41]
	v_lshlrev_b32_e32 v43, 2, v2
	ds_bpermute_b32 v8, v43, v4
	s_waitcnt vmcnt(2)
	v_mad_i64_i32 v[2:3], s[40:41], v14, s45, v[18:19]
	global_load_dwordx4 v[14:17], v[34:35], off
	global_load_dwordx4 v[10:13], v[2:3], off
	v_xor_b32_e32 v3, 16, v6
	v_cmp_lt_i32_e64 s[40:41], v3, v7
	s_waitcnt lgkmcnt(0)
	v_max_f32_e32 v2, v8, v8
	v_max_f32_e32 v2, v4, v2
	v_cndmask_b32_e64 v3, v6, v3, s[40:41]
	v_lshlrev_b32_e32 v46, 2, v3
	ds_bpermute_b32 v3, v46, v2
	s_waitcnt vmcnt(3)
	v_mad_i64_i32 v[34:35], s[40:41], v44, s45, v[18:19]
	s_waitcnt vmcnt(2)
	v_mad_i64_i32 v[18:19], s[40:41], v45, s45, v[18:19]
	s_waitcnt lgkmcnt(0)
	v_max_f32_e32 v3, v3, v3
	v_max_f32_e32 v38, v2, v3
	v_sub_f32_e32 v2, v5, v38
	v_mul_f32_e32 v2, 0x3fb8aa3b, v2
	v_exp_f32_e32 v44, v2
	v_sub_f32_e32 v2, v39, v38
	v_mul_f32_e32 v2, 0x3fb8aa3b, v2
	v_exp_f32_e32 v39, v2
	global_load_dwordx4 v[6:9], v[34:35], off
	global_load_dwordx4 v[2:5], v[18:19], off
	v_sub_f32_e32 v30, v30, v38
	v_mul_f32_e32 v30, 0x3fb8aa3b, v30
	v_sub_f32_e32 v31, v31, v38
	v_exp_f32_e32 v30, v30
	v_mul_f32_e32 v31, 0x3fb8aa3b, v31
	v_exp_f32_e32 v31, v31
	v_cndmask_b32_e64 v18, 0, v44, s[4:5]
	v_add_f32_e32 v34, 0, v18
	v_cndmask_b32_e64 v19, 0, v39, s[34:35]
	v_add_f32_e32 v35, v34, v19
	;; [unrolled: 2-line block ×3, first 2 shown]
	v_cndmask_b32_e64 v35, 0, v31, s[38:39]
	v_sub_f32_e32 v31, v40, v38
	v_mul_f32_e32 v31, 0x3fb8aa3b, v31
	v_sub_f32_e32 v39, v41, v38
	v_exp_f32_e32 v31, v31
	v_mul_f32_e32 v39, 0x3fb8aa3b, v39
	v_sub_f32_e32 v36, v36, v38
	v_exp_f32_e32 v39, v39
	;; [unrolled: 3-line block ×4, first 2 shown]
	v_mul_f32_e32 v32, 0x3fb8aa3b, v32
	v_sub_f32_e32 v33, v33, v38
	v_add_f32_e32 v40, v30, v35
	v_cndmask_b32_e64 v30, 0, v31, s[24:25]
	v_exp_f32_e32 v32, v32
	v_mul_f32_e32 v33, 0x3fb8aa3b, v33
	v_sub_f32_e32 v24, v24, v38
	v_add_f32_e32 v40, v40, v30
	v_cndmask_b32_e64 v31, 0, v39, s[26:27]
	v_exp_f32_e32 v33, v33
	;; [unrolled: 5-line block ×7, first 2 shown]
	v_mul_f32_e32 v21, 0x3fb8aa3b, v21
	v_add_f32_e32 v39, v39, v24
	v_cndmask_b32_e64 v25, 0, v25, s[14:15]
	v_exp_f32_e32 v21, v21
	v_add_f32_e32 v39, v39, v25
	v_cndmask_b32_e64 v22, 0, v22, s[8:9]
	v_add_f32_e32 v39, v39, v22
	v_cndmask_b32_e64 v23, 0, v23, s[10:11]
	v_add_f32_e32 v39, v39, v23
	v_cndmask_b32_e32 v20, 0, v20, vcc
	v_add_f32_e32 v39, v39, v20
	v_cndmask_b32_e64 v21, 0, v21, s[6:7]
	v_add_f32_e32 v39, v39, v21
	ds_bpermute_b32 v40, v43, v39
	s_load_dword s7, s[0:1], 0x98
	v_cmp_gt_u32_e32 vcc, 16, v27
	s_waitcnt lgkmcnt(0)
	s_barrier
	v_add_f32_e32 v40, v39, v40
	ds_bpermute_b32 v41, v46, v40
	v_lshlrev_b32_e32 v39, 2, v28
	s_waitcnt lgkmcnt(0)
	s_and_saveexec_b64 s[4:5], vcc
	s_cbranch_execz .LBB1093_15
; %bb.14:
	v_add_f32_e32 v27, v40, v41
	v_lshl_or_b32 v40, v29, 6, v39
	ds_write2st64_b32 v40, v38, v27 offset1:1
.LBB1093_15:
	s_or_b64 exec, exec, s[4:5]
	s_load_dword s6, s[0:1], 0x94
	s_waitcnt lgkmcnt(0)
	s_barrier
	ds_read2_b32 v[40:41], v39 offset1:16
	ds_read2_b32 v[44:45], v39 offset0:32 offset1:48
	ds_read2_b32 v[46:47], v39 offset0:64 offset1:80
	s_movk_i32 s8, 0x7fff
	s_mul_i32 s7, s7, 6
	s_waitcnt lgkmcnt(2)
	v_max3_f32 v27, v40, s44, v41
	s_waitcnt lgkmcnt(1)
	v_max3_f32 v27, v27, v44, v45
	v_sub_f32_e32 v38, v40, v27
	v_mul_f32_e32 v38, 0x3fb8aa3b, v38
	v_exp_f32_e32 v43, v38
	v_sub_f32_e32 v38, v41, v27
	v_mul_f32_e32 v38, 0x3fb8aa3b, v38
	v_exp_f32_e32 v48, v38
	;; [unrolled: 3-line block ×3, first 2 shown]
	ds_read2_b32 v[40:41], v39 offset0:96 offset1:112
	v_sub_f32_e32 v38, v45, v27
	v_mul_f32_e32 v38, 0x3fb8aa3b, v38
	v_exp_f32_e32 v39, v38
	s_waitcnt lgkmcnt(1)
	v_fma_f32 v38, v43, v46, 0
	v_fmac_f32_e32 v38, v48, v47
	s_waitcnt lgkmcnt(0)
	v_fmac_f32_e32 v38, v44, v40
	v_fmac_f32_e32 v38, v39, v41
	v_add_f32_e32 v40, 0x358637bd, v38
	v_div_scale_f32 v41, s[4:5], v40, v40, 1.0
	v_rcp_f32_e32 v45, v41
	s_barrier
	v_fma_f32 v46, -v41, v45, 1.0
	v_fmac_f32_e32 v45, v46, v45
	v_div_scale_f32 v46, vcc, 1.0, v40, 1.0
	v_mul_f32_e32 v47, v46, v45
	v_fma_f32 v49, -v41, v47, v46
	v_fmac_f32_e32 v47, v49, v45
	v_fma_f32 v41, -v41, v47, v46
	v_div_fmas_f32 v41, v41, v45, v47
	v_cmp_eq_u32_e32 vcc, 1, v29
	v_div_fixup_f32 v40, v41, v40, 1.0
	s_nop 0
	v_cndmask_b32_e32 v41, v43, v48, vcc
	v_cmp_eq_u32_e32 vcc, 2, v29
	s_nop 1
	v_cndmask_b32_e32 v41, v41, v44, vcc
	v_cmp_eq_u32_e32 vcc, 3, v29
	v_lshlrev_b32_e32 v29, 11, v29
	s_nop 0
	v_cndmask_b32_e32 v39, v41, v39, vcc
	v_mul_f32_e32 v40, v39, v40
	v_pk_mul_f32 v[18:19], v[40:41], v[18:19] op_sel_hi:[0,1]
	v_pk_mul_f32 v[34:35], v[40:41], v[34:35] op_sel_hi:[0,1]
	v_bfe_u32 v39, v19, 16, 1
	v_bfe_u32 v41, v18, 16, 1
	v_add3_u32 v18, v18, v41, s8
	v_add3_u32 v19, v19, v39, s8
	v_perm_b32 v44, v19, v18, s33
	v_bfe_u32 v18, v35, 16, 1
	v_bfe_u32 v19, v34, 16, 1
	v_add3_u32 v19, v34, v19, s8
	v_add3_u32 v18, v35, v18, s8
	v_perm_b32 v45, v18, v19, s33
	v_lshlrev_b32_e32 v18, 3, v42
	v_lshlrev_b32_e32 v19, 5, v28
	v_pk_mul_f32 v[30:31], v[40:41], v[30:31] op_sel_hi:[0,1]
	v_or3_b32 v18, v29, v19, v18
	v_pk_mul_f32 v[34:35], v[40:41], v[36:37] op_sel_hi:[0,1]
	v_bfe_u32 v29, v31, 16, 1
	v_bfe_u32 v36, v30, 16, 1
	v_add3_u32 v30, v30, v36, s8
	v_add3_u32 v29, v31, v29, s8
	v_perm_b32 v30, v29, v30, s33
	v_bfe_u32 v29, v35, 16, 1
	v_bfe_u32 v31, v34, 16, 1
	v_add3_u32 v31, v34, v31, s8
	v_add3_u32 v29, v35, v29, s8
	v_perm_b32 v31, v29, v31, s33
	ds_write2st64_b64 v18, v[44:45], v[30:31] offset1:1
	v_pk_mul_f32 v[30:31], v[40:41], v[32:33] op_sel_hi:[0,1]
	v_bfe_u32 v29, v31, 16, 1
	v_bfe_u32 v32, v30, 16, 1
	v_pk_mul_f32 v[24:25], v[40:41], v[24:25] op_sel_hi:[0,1]
	v_add3_u32 v30, v30, v32, s8
	v_add3_u32 v29, v31, v29, s8
	v_perm_b32 v30, v29, v30, s33
	v_bfe_u32 v29, v25, 16, 1
	v_bfe_u32 v31, v24, 16, 1
	v_add3_u32 v24, v24, v31, s8
	v_add3_u32 v25, v25, v29, s8
	v_pk_mul_f32 v[22:23], v[40:41], v[22:23] op_sel_hi:[0,1]
	v_perm_b32 v31, v25, v24, s33
	v_bfe_u32 v24, v23, 16, 1
	v_bfe_u32 v25, v22, 16, 1
	v_pk_mul_f32 v[20:21], v[40:41], v[20:21] op_sel_hi:[0,1]
	v_add3_u32 v22, v22, v25, s8
	v_add3_u32 v23, v23, v24, s8
	v_perm_b32 v22, v23, v22, s33
	v_bfe_u32 v23, v21, 16, 1
	v_bfe_u32 v24, v20, 16, 1
	v_add3_u32 v20, v20, v24, s8
	v_add3_u32 v21, v21, v23, s8
	v_perm_b32 v23, v21, v20, s33
	v_cmp_gt_u32_e32 vcc, 6, v0
	ds_write2st64_b64 v18, v[30:31], v[22:23] offset0:2 offset1:3
	s_and_saveexec_b64 s[4:5], vcc
	s_cbranch_execz .LBB1093_17
; %bb.16:
	s_mov_b32 s49, 0
	v_mov_b32_e32 v29, 0
	v_lshl_add_u64 v[20:21], s[48:49], 0, v[28:29]
	v_mov_b32_e32 v22, s7
	v_mad_u64_u32 v[20:21], s[10:11], s2, v22, v[20:21]
	s_mul_i32 s3, s3, s7
	v_mov_b32_e32 v28, s28
	s_load_dwordx4 s[12:15], s[0:1], 0x58
	v_add_u32_e32 v23, s3, v21
	v_mad_u64_u32 v[20:21], s[10:11], v20, s6, v[28:29]
	v_mov_b32_e32 v22, v21
	v_mad_u64_u32 v[22:23], s[10:11], v23, s6, v[22:23]
	v_mov_b32_e32 v21, v22
	v_lshlrev_b64 v[20:21], 2, v[20:21]
	s_waitcnt lgkmcnt(0)
	v_lshl_add_u64 v[22:23], s[14:15], 0, v[20:21]
	v_lshl_add_u64 v[20:21], s[12:13], 0, v[20:21]
	global_store_dword v[22:23], v27, off
	global_store_dword v[20:21], v38, off
.LBB1093_17:
	s_or_b64 exec, exec, s[4:5]
	s_waitcnt vmcnt(3)
	v_cvt_pk_f32_fp8_e32 v[20:21], v14
	v_cvt_pk_f32_fp8_sdwa v[22:23], v14 src0_sel:WORD_1
	s_mov_b32 s4, 0x7060302
	v_lshl_or_b32 v14, v42, 9, v19
	s_waitcnt lgkmcnt(0)
	s_barrier
	v_perm_b32 v24, v21, v20, s4
	v_perm_b32 v25, v23, v22, s4
	v_cvt_pk_f32_fp8_e32 v[28:29], v15
	ds_read_b128 v[20:23], v14
	v_cvt_pk_f32_fp8_sdwa v[36:37], v15 src0_sel:WORD_1
	s_load_dword s10, s[42:43], 0x0
	v_perm_b32 v38, v29, v28, s4
	ds_read_b128 v[28:31], v14 offset:16
	v_perm_b32 v39, v37, v36, s4
	s_waitcnt lgkmcnt(0)
	v_mfma_f32_16x16x16_bf16 v[32:35], v[24:25], v[20:21], 0
	v_cvt_pk_f32_fp8_e32 v[24:25], v16
	v_cvt_pk_f32_fp8_sdwa v[36:37], v16 src0_sel:WORD_1
	v_cmp_gt_u32_e32 vcc, 64, v0
	v_mfma_f32_16x16x16_bf16 v[20:23], v[38:39], v[22:23], v[32:35]
	v_perm_b32 v24, v25, v24, s4
	v_perm_b32 v25, v37, v36, s4
	s_mov_b32 s3, 0
	v_cvt_pk_f32_fp8_e32 v[32:33], v17
	v_cvt_pk_f32_fp8_sdwa v[16:17], v17 src0_sel:WORD_1
	s_waitcnt vmcnt(2)
	v_cvt_pk_f32_fp8_sdwa v[34:35], v10 src0_sel:WORD_1
	v_mfma_f32_16x16x16_bf16 v[20:23], v[24:25], v[28:29], v[20:23]
	v_perm_b32 v36, v33, v32, s4
	v_cvt_pk_f32_fp8_e32 v[32:33], v10
	v_perm_b32 v37, v17, v16, s4
	v_perm_b32 v17, v35, v34, s4
	v_cvt_pk_f32_fp8_e32 v[24:25], v11
	v_perm_b32 v16, v33, v32, s4
	ds_read_b128 v[32:35], v14 offset:2048
	v_cvt_pk_f32_fp8_sdwa v[10:11], v11 src0_sel:WORD_1
	v_mfma_f32_16x16x16_bf16 v[20:23], v[36:37], v[30:31], v[20:23]
	ds_read_b128 v[28:31], v14 offset:2064
	v_perm_b32 v24, v25, v24, s4
	v_perm_b32 v25, v11, v10, s4
	s_waitcnt lgkmcnt(1)
	v_mfma_f32_16x16x16_bf16 v[20:23], v[16:17], v[32:33], v[20:23]
	v_cvt_pk_f32_fp8_e32 v[10:11], v12
	v_cvt_pk_f32_fp8_sdwa v[16:17], v12 src0_sel:WORD_1
	s_waitcnt vmcnt(1)
	v_cvt_pk_f32_fp8_sdwa v[32:33], v6 src0_sel:WORD_1
	v_mfma_f32_16x16x16_bf16 v[20:23], v[24:25], v[34:35], v[20:23]
	v_cvt_pk_f32_fp8_e32 v[24:25], v13
	v_perm_b32 v10, v11, v10, s4
	v_perm_b32 v11, v17, v16, s4
	v_cvt_pk_f32_fp8_sdwa v[12:13], v13 src0_sel:WORD_1
	v_perm_b32 v16, v25, v24, s4
	v_cvt_pk_f32_fp8_e32 v[24:25], v6
	v_mov_b32_e32 v27, 0
	v_perm_b32 v17, v13, v12, s4
	s_waitcnt lgkmcnt(0)
	v_mfma_f32_16x16x16_bf16 v[10:13], v[10:11], v[28:29], v[20:23]
	v_perm_b32 v24, v25, v24, s4
	v_perm_b32 v25, v33, v32, s4
	v_cvt_pk_f32_fp8_e32 v[28:29], v7
	ds_read_b128 v[20:23], v14 offset:4096
	v_cvt_pk_f32_fp8_sdwa v[6:7], v7 src0_sel:WORD_1
	v_mfma_f32_16x16x16_bf16 v[10:13], v[16:17], v[30:31], v[10:13]
	v_perm_b32 v16, v29, v28, s4
	ds_read_b128 v[28:31], v14 offset:4112
	v_perm_b32 v17, v7, v6, s4
	s_waitcnt lgkmcnt(1)
	v_mfma_f32_16x16x16_bf16 v[10:13], v[24:25], v[20:21], v[10:13]
	v_cvt_pk_f32_fp8_e32 v[6:7], v8
	v_cvt_pk_f32_fp8_sdwa v[20:21], v8 src0_sel:WORD_1
	v_perm_b32 v6, v7, v6, s4
	v_mfma_f32_16x16x16_bf16 v[10:13], v[16:17], v[22:23], v[10:13]
	v_cvt_pk_f32_fp8_e32 v[16:17], v9
	v_perm_b32 v7, v21, v20, s4
	v_cvt_pk_f32_fp8_sdwa v[8:9], v9 src0_sel:WORD_1
	s_waitcnt vmcnt(0)
	v_cvt_pk_f32_fp8_e32 v[20:21], v2
	v_perm_b32 v16, v17, v16, s4
	v_cvt_pk_f32_fp8_sdwa v[22:23], v2 src0_sel:WORD_1
	v_perm_b32 v17, v9, v8, s4
	s_waitcnt lgkmcnt(0)
	v_mfma_f32_16x16x16_bf16 v[6:9], v[6:7], v[28:29], v[10:13]
	v_perm_b32 v20, v21, v20, s4
	v_perm_b32 v21, v23, v22, s4
	v_cvt_pk_f32_fp8_e32 v[22:23], v3
	ds_read_b128 v[10:13], v14 offset:6144
	v_cvt_pk_f32_fp8_sdwa v[2:3], v3 src0_sel:WORD_1
	v_mfma_f32_16x16x16_bf16 v[6:9], v[16:17], v[30:31], v[6:9]
	v_perm_b32 v22, v23, v22, s4
	ds_read_b128 v[14:17], v14 offset:6160
	v_perm_b32 v23, v3, v2, s4
	s_waitcnt lgkmcnt(1)
	v_mfma_f32_16x16x16_bf16 v[6:9], v[20:21], v[10:11], v[6:9]
	v_cvt_pk_f32_fp8_e32 v[2:3], v4
	v_cvt_pk_f32_fp8_sdwa v[10:11], v4 src0_sel:WORD_1
	s_waitcnt lgkmcnt(0)
	v_mfma_f32_16x16x16_bf16 v[6:9], v[22:23], v[12:13], v[6:9]
	v_perm_b32 v2, v3, v2, s4
	v_perm_b32 v3, v11, v10, s4
	v_cvt_pk_f32_fp8_e32 v[10:11], v5
	v_cvt_pk_f32_fp8_sdwa v[4:5], v5 src0_sel:WORD_1
	s_barrier
	v_perm_b32 v10, v11, v10, s4
	v_perm_b32 v11, v5, v4, s4
	v_mfma_f32_16x16x16_bf16 v[2:5], v[2:3], v[14:15], v[6:9]
	s_nop 0
	v_mfma_f32_16x16x16_bf16 v[2:5], v[10:11], v[16:17], v[2:5]
	s_nop 6
	v_pk_mul_f32 v[2:3], v[2:3], s[10:11] op_sel_hi:[1,0]
	v_pk_mul_f32 v[4:5], v[4:5], s[10:11] op_sel_hi:[1,0]
	v_bfe_u32 v6, v3, 16, 1
	v_bfe_u32 v7, v2, 16, 1
	v_add3_u32 v2, v2, v7, s8
	v_add3_u32 v3, v3, v6, s8
	v_perm_b32 v2, v3, v2, s4
	v_bfe_u32 v3, v5, 16, 1
	v_bfe_u32 v6, v4, 16, 1
	v_add3_u32 v4, v4, v6, s8
	v_add3_u32 v3, v5, v3, s8
	v_perm_b32 v3, v3, v4, s4
	s_and_b64 s[4:5], vcc, s[30:31]
	ds_write_b64 v18, v[2:3]
	s_waitcnt lgkmcnt(0)
	s_barrier
	s_and_saveexec_b64 s[8:9], s[4:5]
	s_cbranch_execz .LBB1093_20
; %bb.18:
	s_load_dwordx2 s[4:5], s[0:1], 0x68
	s_lshl_b32 s0, s6, 6
	s_mul_i32 s1, s7, s2
	s_mul_hi_u32 s7, s1, s0
	s_mul_i32 s6, s1, s0
	v_lshlrev_b32_e32 v0, 10, v0
	s_lshl_b64 s[6:7], s[6:7], 1
	v_and_b32_e32 v0, 0x1800, v0
	v_lshlrev_b32_e32 v3, 5, v42
	v_and_b32_e32 v1, 16, v1
	s_waitcnt lgkmcnt(0)
	s_add_u32 s1, s4, s6
	v_or3_b32 v3, v0, v3, v1
	s_addc_u32 s4, s5, s7
	s_lshl_b32 s2, s28, 6
	s_lshl_b64 s[2:3], s[2:3], 1
	ds_read_b128 v[4:7], v3
	s_add_u32 s2, s1, s2
	s_addc_u32 s3, s4, s3
	v_add_u32_e32 v8, s48, v42
	v_or_b32_e32 v2, 4, v42
	v_lshl_add_u64 v[0:1], s[2:3], 0, v[26:27]
	v_mad_u64_u32 v[8:9], s[2:3], v8, s0, 0
	v_lshl_add_u64 v[8:9], v[8:9], 1, v[0:1]
	v_cmp_gt_u32_e32 vcc, 6, v2
	s_waitcnt lgkmcnt(0)
	global_store_dwordx4 v[8:9], v[4:7], off
	s_and_b64 exec, exec, vcc
	s_cbranch_execz .LBB1093_20
; %bb.19:
	ds_read_b128 v[4:7], v3 offset:128
	v_add_u32_e32 v2, s48, v2
	v_mad_u64_u32 v[2:3], s[0:1], v2, s0, 0
	v_lshl_add_u64 v[0:1], v[2:3], 1, v[0:1]
	s_waitcnt lgkmcnt(0)
	global_store_dwordx4 v[0:1], v[4:7], off
.LBB1093_20:
	s_endpgm
	.section	.rodata,"a",@progbits
	.p2align	6, 0x0
	.amdhsa_kernel _Z39paged_attention_ll4mi_QKV_mfma16_kernelI14__hip_bfloat16hLN4vllm18Fp8KVCacheDataTypeE1EhLi16ELi64ELi256ELb1ELi6EEvPKT_PKT0_S8_ifPKiSA_SA_iPKfiiiPfSD_PS3_PT2_iSC_SC_
		.amdhsa_group_segment_fixed_size 8192
		.amdhsa_private_segment_fixed_size 0
		.amdhsa_kernarg_size 400
		.amdhsa_user_sgpr_count 2
		.amdhsa_user_sgpr_dispatch_ptr 0
		.amdhsa_user_sgpr_queue_ptr 0
		.amdhsa_user_sgpr_kernarg_segment_ptr 1
		.amdhsa_user_sgpr_dispatch_id 0
		.amdhsa_user_sgpr_kernarg_preload_length 0
		.amdhsa_user_sgpr_kernarg_preload_offset 0
		.amdhsa_user_sgpr_private_segment_size 0
		.amdhsa_uses_dynamic_stack 0
		.amdhsa_enable_private_segment 0
		.amdhsa_system_sgpr_workgroup_id_x 1
		.amdhsa_system_sgpr_workgroup_id_y 1
		.amdhsa_system_sgpr_workgroup_id_z 1
		.amdhsa_system_sgpr_workgroup_info 0
		.amdhsa_system_vgpr_workitem_id 0
		.amdhsa_next_free_vgpr 67
		.amdhsa_next_free_sgpr 50
		.amdhsa_accum_offset 68
		.amdhsa_reserve_vcc 1
		.amdhsa_float_round_mode_32 0
		.amdhsa_float_round_mode_16_64 0
		.amdhsa_float_denorm_mode_32 3
		.amdhsa_float_denorm_mode_16_64 3
		.amdhsa_dx10_clamp 1
		.amdhsa_ieee_mode 1
		.amdhsa_fp16_overflow 0
		.amdhsa_tg_split 0
		.amdhsa_exception_fp_ieee_invalid_op 0
		.amdhsa_exception_fp_denorm_src 0
		.amdhsa_exception_fp_ieee_div_zero 0
		.amdhsa_exception_fp_ieee_overflow 0
		.amdhsa_exception_fp_ieee_underflow 0
		.amdhsa_exception_fp_ieee_inexact 0
		.amdhsa_exception_int_div_zero 0
	.end_amdhsa_kernel
	.section	.text._Z39paged_attention_ll4mi_QKV_mfma16_kernelI14__hip_bfloat16hLN4vllm18Fp8KVCacheDataTypeE1EhLi16ELi64ELi256ELb1ELi6EEvPKT_PKT0_S8_ifPKiSA_SA_iPKfiiiPfSD_PS3_PT2_iSC_SC_,"axG",@progbits,_Z39paged_attention_ll4mi_QKV_mfma16_kernelI14__hip_bfloat16hLN4vllm18Fp8KVCacheDataTypeE1EhLi16ELi64ELi256ELb1ELi6EEvPKT_PKT0_S8_ifPKiSA_SA_iPKfiiiPfSD_PS3_PT2_iSC_SC_,comdat
.Lfunc_end1093:
	.size	_Z39paged_attention_ll4mi_QKV_mfma16_kernelI14__hip_bfloat16hLN4vllm18Fp8KVCacheDataTypeE1EhLi16ELi64ELi256ELb1ELi6EEvPKT_PKT0_S8_ifPKiSA_SA_iPKfiiiPfSD_PS3_PT2_iSC_SC_, .Lfunc_end1093-_Z39paged_attention_ll4mi_QKV_mfma16_kernelI14__hip_bfloat16hLN4vllm18Fp8KVCacheDataTypeE1EhLi16ELi64ELi256ELb1ELi6EEvPKT_PKT0_S8_ifPKiSA_SA_iPKfiiiPfSD_PS3_PT2_iSC_SC_
                                        ; -- End function
	.section	.AMDGPU.csdata,"",@progbits
; Kernel info:
; codeLenInByte = 5112
; NumSgprs: 56
; NumVgprs: 67
; NumAgprs: 0
; TotalNumVgprs: 67
; ScratchSize: 0
; MemoryBound: 0
; FloatMode: 240
; IeeeMode: 1
; LDSByteSize: 8192 bytes/workgroup (compile time only)
; SGPRBlocks: 6
; VGPRBlocks: 8
; NumSGPRsForWavesPerEU: 56
; NumVGPRsForWavesPerEU: 67
; AccumOffset: 68
; Occupancy: 7
; WaveLimiterHint : 1
; COMPUTE_PGM_RSRC2:SCRATCH_EN: 0
; COMPUTE_PGM_RSRC2:USER_SGPR: 2
; COMPUTE_PGM_RSRC2:TRAP_HANDLER: 0
; COMPUTE_PGM_RSRC2:TGID_X_EN: 1
; COMPUTE_PGM_RSRC2:TGID_Y_EN: 1
; COMPUTE_PGM_RSRC2:TGID_Z_EN: 1
; COMPUTE_PGM_RSRC2:TIDIG_COMP_CNT: 0
; COMPUTE_PGM_RSRC3_GFX90A:ACCUM_OFFSET: 16
; COMPUTE_PGM_RSRC3_GFX90A:TG_SPLIT: 0
	.section	.text._Z39paged_attention_ll4mi_QKV_mfma16_kernelI14__hip_bfloat16hLN4vllm18Fp8KVCacheDataTypeE1EhLi16ELi64ELi256ELb1ELi7EEvPKT_PKT0_S8_ifPKiSA_SA_iPKfiiiPfSD_PS3_PT2_iSC_SC_,"axG",@progbits,_Z39paged_attention_ll4mi_QKV_mfma16_kernelI14__hip_bfloat16hLN4vllm18Fp8KVCacheDataTypeE1EhLi16ELi64ELi256ELb1ELi7EEvPKT_PKT0_S8_ifPKiSA_SA_iPKfiiiPfSD_PS3_PT2_iSC_SC_,comdat
	.protected	_Z39paged_attention_ll4mi_QKV_mfma16_kernelI14__hip_bfloat16hLN4vllm18Fp8KVCacheDataTypeE1EhLi16ELi64ELi256ELb1ELi7EEvPKT_PKT0_S8_ifPKiSA_SA_iPKfiiiPfSD_PS3_PT2_iSC_SC_ ; -- Begin function _Z39paged_attention_ll4mi_QKV_mfma16_kernelI14__hip_bfloat16hLN4vllm18Fp8KVCacheDataTypeE1EhLi16ELi64ELi256ELb1ELi7EEvPKT_PKT0_S8_ifPKiSA_SA_iPKfiiiPfSD_PS3_PT2_iSC_SC_
	.globl	_Z39paged_attention_ll4mi_QKV_mfma16_kernelI14__hip_bfloat16hLN4vllm18Fp8KVCacheDataTypeE1EhLi16ELi64ELi256ELb1ELi7EEvPKT_PKT0_S8_ifPKiSA_SA_iPKfiiiPfSD_PS3_PT2_iSC_SC_
	.p2align	8
	.type	_Z39paged_attention_ll4mi_QKV_mfma16_kernelI14__hip_bfloat16hLN4vllm18Fp8KVCacheDataTypeE1EhLi16ELi64ELi256ELb1ELi7EEvPKT_PKT0_S8_ifPKiSA_SA_iPKfiiiPfSD_PS3_PT2_iSC_SC_,@function
_Z39paged_attention_ll4mi_QKV_mfma16_kernelI14__hip_bfloat16hLN4vllm18Fp8KVCacheDataTypeE1EhLi16ELi64ELi256ELb1ELi7EEvPKT_PKT0_S8_ifPKiSA_SA_iPKfiiiPfSD_PS3_PT2_iSC_SC_: ; @_Z39paged_attention_ll4mi_QKV_mfma16_kernelI14__hip_bfloat16hLN4vllm18Fp8KVCacheDataTypeE1EhLi16ELi64ELi256ELb1ELi7EEvPKT_PKT0_S8_ifPKiSA_SA_iPKfiiiPfSD_PS3_PT2_iSC_SC_
; %bb.0:
	s_load_dwordx2 s[6:7], s[0:1], 0x30
	s_mov_b32 s28, s3
	s_mov_b64 s[8:9], 0
	s_waitcnt lgkmcnt(0)
	s_cmp_lg_u64 s[6:7], 0
	s_cselect_b64 s[10:11], -1, 0
	s_and_b64 vcc, exec, s[10:11]
	s_cbranch_vccz .LBB1094_7
; %bb.1:
	s_add_i32 s12, s2, 1
	s_mov_b32 s13, 0
	s_lshl_b64 s[14:15], s[12:13], 2
	s_add_u32 s14, s6, s14
	s_mov_b32 s3, s13
	s_addc_u32 s15, s7, s15
	s_lshl_b64 s[12:13], s[2:3], 2
	s_add_u32 s12, s6, s12
	s_addc_u32 s13, s7, s13
	s_load_dword s5, s[14:15], 0x0
	s_load_dword s16, s[12:13], 0x0
	s_waitcnt lgkmcnt(0)
	s_sub_i32 s5, s5, s16
	s_cmp_eq_u32 s5, 1
	s_cselect_b64 s[12:13], -1, 0
	s_andn2_b64 vcc, exec, s[8:9]
	s_cbranch_vccnz .LBB1094_3
.LBB1094_2:
	s_mov_b32 s3, 0
	s_mov_b64 s[12:13], -1
.LBB1094_3:
	s_andn2_b64 vcc, exec, s[12:13]
	s_cbranch_vccnz .LBB1094_20
; %bb.4:
	s_load_dwordx2 s[8:9], s[0:1], 0x28
	s_lshl_b64 s[12:13], s[2:3], 2
	s_waitcnt lgkmcnt(0)
	s_add_u32 s8, s8, s12
	s_addc_u32 s9, s9, s13
	s_load_dword s29, s[8:9], 0x0
	s_lshl_b32 s16, s28, 8
	s_waitcnt lgkmcnt(0)
	s_cmp_ge_i32 s16, s29
	s_cbranch_scc1 .LBB1094_20
; %bb.5:
	s_load_dwordx2 s[8:9], s[0:1], 0x20
	s_load_dword s5, s[0:1], 0x38
	s_add_i32 s14, s29, 15
	s_ashr_i32 s15, s14, 31
	v_and_b32_e32 v1, 0xcf, v0
	s_lshr_b32 s15, s15, 28
	v_add_u32_e32 v1, s16, v1
	s_add_i32 s14, s14, s15
	v_ashrrev_i32_e32 v2, 31, v1
	s_ashr_i32 s17, s14, 4
	v_lshrrev_b32_e32 v4, 28, v2
	s_add_i32 s17, s17, -1
	s_waitcnt lgkmcnt(0)
	s_mul_i32 s14, s2, s5
	s_mov_b32 s15, 0
	v_add_u32_e32 v2, v1, v4
	s_lshl_b64 s[14:15], s[14:15], 2
	v_ashrrev_i32_e32 v2, 4, v2
	v_mov_b32_e32 v5, s17
	v_cmp_gt_i32_e32 vcc, s29, v1
	s_add_u32 s8, s8, s14
	s_addc_u32 s9, s9, s15
	v_cndmask_b32_e32 v2, v5, v2, vcc
	v_ashrrev_i32_e32 v3, 31, v2
	v_lshl_add_u64 v[6:7], v[2:3], 2, s[8:9]
	v_or_b32_e32 v2, 16, v1
	v_add_u32_e32 v3, v2, v4
	v_ashrrev_i32_e32 v3, 4, v3
	v_cmp_gt_i32_e32 vcc, s29, v2
	s_load_dwordx2 s[14:15], s[0:1], 0x8
	s_nop 0
	v_cndmask_b32_e32 v2, v5, v3, vcc
	v_ashrrev_i32_e32 v3, 31, v2
	v_lshl_add_u64 v[8:9], v[2:3], 2, s[8:9]
	v_or_b32_e32 v2, 32, v1
	v_add_u32_e32 v3, v2, v4
	v_ashrrev_i32_e32 v3, 4, v3
	v_cmp_gt_i32_e32 vcc, s29, v2
	v_or_b32_e32 v1, 48, v1
	s_nop 0
	v_cndmask_b32_e32 v2, v5, v3, vcc
	v_ashrrev_i32_e32 v3, 31, v2
	v_lshl_add_u64 v[10:11], v[2:3], 2, s[8:9]
	v_add_u32_e32 v2, v1, v4
	v_ashrrev_i32_e32 v2, 4, v2
	v_cmp_gt_i32_e32 vcc, s29, v1
	s_nop 1
	v_cndmask_b32_e32 v2, v5, v2, vcc
	v_ashrrev_i32_e32 v3, 31, v2
	v_lshl_add_u64 v[12:13], v[2:3], 2, s[8:9]
	global_load_dword v5, v[6:7], off
	global_load_dword v4, v[8:9], off
	;; [unrolled: 1-line block ×4, first 2 shown]
	s_andn2_b64 vcc, exec, s[10:11]
	s_cbranch_vccnz .LBB1094_8
; %bb.6:
	s_add_u32 s6, s6, s12
	s_addc_u32 s7, s7, s13
	s_load_dword s5, s[6:7], 0x0
	s_branch .LBB1094_9
.LBB1094_7:
	s_mov_b64 s[12:13], 0
	s_branch .LBB1094_2
.LBB1094_8:
	s_mov_b32 s5, s2
.LBB1094_9:
	s_load_dwordx2 s[6:7], s[0:1], 0x10
	s_load_dwordx4 s[44:47], s[0:1], 0x48
	v_lshrrev_b32_e32 v29, 6, v0
	v_bfe_u32 v42, v0, 4, 2
	v_lshl_or_b32 v6, v29, 2, v42
	v_and_b32_e32 v28, 15, v0
	v_lshlrev_b32_e32 v1, 3, v28
	v_cmp_gt_u32_e32 vcc, 7, v6
	v_cmp_gt_u32_e64 s[30:31], 8, v28
	s_mul_i32 s48, s4, 7
	s_and_b64 s[12:13], s[30:31], vcc
	v_lshlrev_b32_e32 v26, 1, v1
	v_lshlrev_b32_e32 v1, 4, v0
	s_and_saveexec_b64 s[10:11], s[12:13]
	s_cbranch_execz .LBB1094_11
; %bb.10:
	s_load_dwordx2 s[12:13], s[0:1], 0x0
	s_waitcnt lgkmcnt(0)
	s_ashr_i32 s18, s44, 31
	s_mul_hi_u32 s19, s5, s44
	s_mul_i32 s18, s5, s18
	s_add_i32 s19, s19, s18
	s_mul_i32 s18, s5, s44
	s_lshl_b64 s[18:19], s[18:19], 1
	s_add_u32 s12, s12, s18
	v_add_lshl_u32 v8, v6, s48, 6
	s_addc_u32 s13, s13, s19
	v_ashrrev_i32_e32 v9, 31, v8
	v_lshl_add_u64 v[8:9], v[8:9], 1, s[12:13]
	v_mov_b32_e32 v27, 0
	v_lshl_add_u64 v[8:9], v[8:9], 0, v[26:27]
	global_load_dwordx4 v[8:11], v[8:9], off
	v_lshlrev_b32_e32 v12, 8, v28
	v_lshlrev_b32_e32 v6, 5, v6
	v_and_b32_e32 v7, 16, v1
	v_and_b32_e32 v12, 0xe00, v12
	v_or3_b32 v6, v12, v6, v7
	s_waitcnt vmcnt(0)
	ds_write_b128 v6, v[8:11]
.LBB1094_11:
	s_or_b64 exec, exec, s[10:11]
	s_waitcnt lgkmcnt(0)
	s_mul_i32 s10, s4, s46
	s_add_u32 s4, s14, s10
	s_addc_u32 s5, s15, 0
	v_and_b32_e32 v32, 48, v0
	v_and_b32_e32 v30, 0xf0, v1
	v_mov_b32_e32 v31, 0
	v_lshl_add_u64 v[6:7], s[4:5], 0, v[30:31]
	v_lshlrev_b32_e32 v30, 4, v32
	v_lshl_add_u64 v[6:7], v[6:7], 0, v[30:31]
	s_waitcnt vmcnt(3)
	v_mad_i64_i32 v[8:9], s[4:5], v5, s45, v[6:7]
	s_waitcnt vmcnt(2)
	v_mad_i64_i32 v[4:5], s[4:5], v4, s45, v[6:7]
	s_barrier
	global_load_dwordx4 v[22:25], v[8:9], off
	global_load_dwordx4 v[18:21], v[4:5], off
	s_waitcnt vmcnt(3)
	v_mad_i64_i32 v[4:5], s[4:5], v3, s45, v[6:7]
	s_waitcnt vmcnt(2)
	v_mad_i64_i32 v[2:3], s[4:5], v2, s45, v[6:7]
	global_load_dwordx4 v[14:17], v[4:5], off
	global_load_dwordx4 v[6:9], v[2:3], off
	v_mul_lo_u16_e32 v2, 37, v28
	v_mov_b32_e32 v3, 7
	v_mul_lo_u16_sdwa v2, v2, v3 dst_sel:DWORD dst_unused:UNUSED_PAD src0_sel:BYTE_1 src1_sel:DWORD
	v_sub_u16_e32 v2, v28, v2
	v_mov_b32_e32 v3, 5
	v_lshlrev_b32_sdwa v2, v3, v2 dst_sel:DWORD dst_unused:UNUSED_PAD src0_sel:DWORD src1_sel:BYTE_0
	v_lshl_add_u32 v2, v42, 9, v2
	ds_read_b128 v[10:13], v2
	ds_read_b128 v[2:5], v2 offset:16
	v_and_b32_e32 v27, 63, v0
	v_cmp_gt_u32_e32 vcc, 7, v28
	v_mov_b32_e32 v43, 0
	s_and_saveexec_b64 s[4:5], vcc
	s_cbranch_execz .LBB1094_13
; %bb.12:
	s_load_dwordx2 s[12:13], s[0:1], 0x40
	v_add_u32_e32 v34, s48, v28
	v_ashrrev_i32_e32 v35, 31, v34
	s_waitcnt lgkmcnt(0)
	v_lshl_add_u64 v[34:35], v[34:35], 2, s[12:13]
	global_load_dword v43, v[34:35], off
.LBB1094_13:
	s_or_b64 exec, exec, s[4:5]
	v_or_b32_e32 v62, s16, v32
	v_ashrrev_i32_e32 v30, 4, v62
	v_mov_b32_e32 v63, s17
	v_cmp_gt_i32_e32 vcc, s29, v62
	s_waitcnt vmcnt(2)
	v_cvt_pk_f32_fp8_e32 v[52:53], v20
	v_cvt_pk_f32_fp8_sdwa v[54:55], v20 src0_sel:WORD_1
	v_cndmask_b32_e32 v20, v63, v30, vcc
	v_cvt_pk_f32_fp8_e32 v[56:57], v21
	v_cvt_pk_f32_fp8_sdwa v[58:59], v21 src0_sel:WORD_1
	v_ashrrev_i32_e32 v21, 31, v20
	v_cvt_pk_f32_fp8_e32 v[40:41], v22
	v_cvt_pk_f32_fp8_sdwa v[44:45], v22 src0_sel:WORD_1
	v_lshl_add_u64 v[20:21], v[20:21], 2, s[8:9]
	v_cvt_pk_f32_fp8_e32 v[46:47], v18
	v_cvt_pk_f32_fp8_sdwa v[48:49], v18 src0_sel:WORD_1
	global_load_dword v64, v[20:21], off
	s_mov_b32 s33, 0x7060302
	v_cvt_pk_f32_fp8_e32 v[32:33], v23
	v_cvt_pk_f32_fp8_sdwa v[34:35], v23 src0_sel:WORD_1
	v_perm_b32 v20, v41, v40, s33
	v_perm_b32 v21, v45, v44, s33
	v_cvt_pk_f32_fp8_e32 v[38:39], v24
	v_cvt_pk_f32_fp8_sdwa v[36:37], v24 src0_sel:WORD_1
	v_cvt_pk_f32_fp8_e32 v[50:51], v19
	v_cvt_pk_f32_fp8_sdwa v[18:19], v19 src0_sel:WORD_1
	v_perm_b32 v44, v47, v46, s33
	v_perm_b32 v45, v49, v48, s33
	v_cvt_pk_f32_fp8_e32 v[22:23], v25
	s_waitcnt vmcnt(2)
	v_cvt_pk_f32_fp8_e32 v[40:41], v14
	v_cvt_pk_f32_fp8_sdwa v[46:47], v14 src0_sel:WORD_1
	v_perm_b32 v48, v33, v32, s33
	v_perm_b32 v49, v35, v34, s33
	v_or_b32_e32 v14, 64, v62
	v_or_b32_e32 v32, 0xc0, v62
	v_cvt_pk_f32_fp8_sdwa v[24:25], v25 src0_sel:WORD_1
	s_load_dword s11, s[0:1], 0x1c
	s_load_dwordx4 s[40:43], s[0:1], 0x80
	v_perm_b32 v38, v39, v38, s33
	v_perm_b32 v39, v37, v36, s33
	v_or_b32_e32 v65, 0x80, v62
	v_ashrrev_i32_e32 v62, 4, v14
	v_cmp_gt_i32_e32 vcc, s29, v32
	v_ashrrev_i32_e32 v66, 4, v32
	v_cmp_gt_i32_e64 s[4:5], s29, v14
	v_perm_b32 v36, v51, v50, s33
	v_perm_b32 v37, v19, v18, s33
	s_waitcnt lgkmcnt(0)
	v_mfma_f32_16x16x16_bf16 v[32:35], v[20:21], v[10:11], 0
	s_add_u32 s6, s6, s10
	v_lshlrev_b32_e32 v30, 4, v28
	v_cndmask_b32_e64 v50, v63, v62, s[4:5]
	v_perm_b32 v62, v23, v22, s33
	v_mfma_f32_16x16x16_bf16 v[20:23], v[44:45], v[10:11], 0
	v_lshl_or_b32 v30, v29, 8, v30
	s_addc_u32 s7, s7, 0
	v_ashrrev_i32_e32 v14, 4, v65
	v_lshl_add_u64 v[18:19], s[6:7], 0, v[30:31]
	v_cmp_gt_i32_e64 s[6:7], s29, v65
	v_mfma_f32_16x16x16_bf16 v[30:33], v[48:49], v[12:13], v[32:35]
	v_cndmask_b32_e32 v48, v63, v66, vcc
	s_load_dword s4, s[40:41], 0x0
	v_cvt_pk_f32_fp8_e32 v[60:61], v15
	v_cndmask_b32_e64 v34, v63, v14, s[6:7]
	v_perm_b32 v63, v25, v24, s33
	v_perm_b32 v24, v53, v52, s33
	;; [unrolled: 1-line block ×3, first 2 shown]
	v_mfma_f32_16x16x16_bf16 v[20:23], v[36:37], v[12:13], v[20:23]
	v_perm_b32 v40, v41, v40, s33
	v_perm_b32 v41, v47, v46, s33
	v_ashrrev_i32_e32 v51, 31, v50
	v_mfma_f32_16x16x16_bf16 v[20:23], v[24:25], v[2:3], v[20:23]
	v_mov_b32_e32 v24, s11
	s_waitcnt lgkmcnt(0)
	v_mul_f32_e32 v54, s4, v24
	v_cvt_pk_f32_fp8_sdwa v[24:25], v15 src0_sel:WORD_1
	v_mfma_f32_16x16x16_bf16 v[30:33], v[38:39], v[2:3], v[30:33]
	v_ashrrev_i32_e32 v35, 31, v34
	v_ashrrev_i32_e32 v49, 31, v48
	v_lshl_add_u64 v[36:37], v[50:51], 2, s[8:9]
	v_lshl_add_u64 v[34:35], v[34:35], 2, s[8:9]
	;; [unrolled: 1-line block ×3, first 2 shown]
	global_load_dword v14, v[36:37], off
	global_load_dword v44, v[34:35], off
	;; [unrolled: 1-line block ×3, first 2 shown]
	v_perm_b32 v46, v61, v60, s33
	v_cvt_pk_f32_fp8_e32 v[48:49], v16
	v_cvt_pk_f32_fp8_sdwa v[50:51], v16 src0_sel:WORD_1
	v_perm_b32 v47, v25, v24, s33
	v_mfma_f32_16x16x16_bf16 v[36:39], v[62:63], v[4:5], v[30:33]
	v_perm_b32 v24, v49, v48, s33
	v_perm_b32 v25, v51, v50, s33
	;; [unrolled: 1-line block ×3, first 2 shown]
	v_mfma_f32_16x16x16_bf16 v[30:33], v[40:41], v[10:11], 0
	v_cvt_pk_f32_fp8_e32 v[40:41], v17
	v_cvt_pk_f32_fp8_sdwa v[16:17], v17 src0_sel:WORD_1
	v_perm_b32 v53, v59, v58, s33
	v_mfma_f32_16x16x16_bf16 v[46:49], v[46:47], v[12:13], v[30:33]
	s_mov_b32 s44, 0xff7fffff
	s_waitcnt vmcnt(3)
	v_mad_i64_i32 v[34:35], s[4:5], v64, s45, v[18:19]
	v_perm_b32 v32, v41, v40, s33
	v_perm_b32 v33, v17, v16, s33
	v_mfma_f32_16x16x16_bf16 v[46:49], v[24:25], v[2:3], v[46:49]
	v_cvt_pk_f32_fp8_e32 v[16:17], v6
	v_cvt_pk_f32_fp8_sdwa v[24:25], v6 src0_sel:WORD_1
	v_pk_mul_f32 v[30:31], v[54:55], v[38:39] op_sel_hi:[0,1]
	v_mfma_f32_16x16x16_bf16 v[46:49], v[32:33], v[4:5], v[46:49]
	v_cvt_pk_f32_fp8_e32 v[32:33], v7
	v_perm_b32 v16, v17, v16, s33
	v_perm_b32 v17, v25, v24, s33
	v_cvt_pk_f32_fp8_sdwa v[6:7], v7 src0_sel:WORD_1
	v_pk_mul_f32 v[38:39], v[54:55], v[36:37] op_sel_hi:[0,1]
	v_perm_b32 v24, v33, v32, s33
	v_cvt_pk_f32_fp8_e32 v[32:33], v8
	v_cvt_pk_f32_fp8_sdwa v[36:37], v8 src0_sel:WORD_1
	v_perm_b32 v25, v7, v6, s33
	v_mfma_f32_16x16x16_bf16 v[20:23], v[52:53], v[4:5], v[20:23]
	v_mfma_f32_16x16x16_bf16 v[50:53], v[16:17], v[10:11], 0
	v_perm_b32 v10, v33, v32, s33
	v_perm_b32 v11, v37, v36, s33
	v_cvt_pk_f32_fp8_e32 v[16:17], v9
	v_cvt_pk_f32_fp8_sdwa v[32:33], v9 src0_sel:WORD_1
	v_mfma_f32_16x16x16_bf16 v[6:9], v[24:25], v[12:13], v[50:53]
	s_nop 0
	v_pk_mul_f32 v[36:37], v[54:55], v[22:23] op_sel_hi:[0,1]
	v_perm_b32 v12, v17, v16, s33
	v_perm_b32 v13, v33, v32, s33
	v_mfma_f32_16x16x16_bf16 v[6:9], v[10:11], v[2:3], v[6:9]
	v_pk_mul_f32 v[40:41], v[54:55], v[20:21] op_sel_hi:[0,1]
	v_pk_mul_f32 v[24:25], v[54:55], v[48:49] op_sel_hi:[0,1]
	;; [unrolled: 1-line block ×3, first 2 shown]
	v_mfma_f32_16x16x16_bf16 v[2:5], v[12:13], v[4:5], v[6:9]
	s_nop 6
	v_pk_mul_f32 v[22:23], v[54:55], v[2:3] op_sel_hi:[0,1]
	v_and_b32_e32 v2, 0xc0, v0
	v_add_u32_e32 v2, s16, v2
	v_lshl_or_b32 v2, v42, 2, v2
	v_or_b32_e32 v3, 1, v2
	v_pk_mul_f32 v[20:21], v[54:55], v[4:5] op_sel_hi:[0,1]
	v_subrev_u32_e32 v4, s29, v3
	v_add_u32_e32 v6, 1, v4
	v_add_u32_e32 v7, 2, v4
	;; [unrolled: 1-line block ×3, first 2 shown]
	v_cvt_f32_i32_e32 v6, v6
	v_cvt_f32_i32_e32 v7, v7
	v_cvt_f32_i32_e32 v8, v8
	v_add_u32_e32 v9, 19, v4
	v_fmac_f32_e32 v39, v43, v6
	v_fma_f32 v30, v43, v7, v30
	v_fmac_f32_e32 v31, v43, v8
	v_add_u32_e32 v6, 16, v4
	v_add_u32_e32 v7, 17, v4
	;; [unrolled: 1-line block ×3, first 2 shown]
	v_cvt_f32_i32_e32 v6, v6
	v_cvt_f32_i32_e32 v7, v7
	;; [unrolled: 1-line block ×4, first 2 shown]
	v_fma_f32 v40, v43, v6, v40
	v_fmac_f32_e32 v41, v43, v7
	v_fma_f32 v36, v43, v8, v36
	v_add_u32_e32 v6, 32, v4
	v_add_u32_e32 v7, 33, v4
	;; [unrolled: 1-line block ×3, first 2 shown]
	v_cvt_f32_i32_e32 v6, v6
	v_cvt_f32_i32_e32 v7, v7
	;; [unrolled: 1-line block ×4, first 2 shown]
	v_fmac_f32_e32 v37, v43, v9
	v_add_u32_e32 v9, 35, v4
	v_fma_f32 v32, v43, v6, v32
	v_fmac_f32_e32 v33, v43, v7
	v_fma_f32 v24, v43, v8, v24
	v_add_u32_e32 v6, 48, v4
	v_add_u32_e32 v7, 49, v4
	;; [unrolled: 1-line block ×4, first 2 shown]
	v_cvt_f32_i32_e32 v4, v4
	v_cvt_f32_i32_e32 v6, v6
	;; [unrolled: 1-line block ×3, first 2 shown]
	v_fma_f32 v5, v43, v5, v38
	v_fmac_f32_e32 v21, v43, v4
	v_mov_b32_e32 v4, 0xff7fffff
	v_cmp_gt_i32_e64 s[4:5], s29, v2
	v_cmp_gt_i32_e64 s[34:35], s29, v3
	v_fma_f32 v22, v43, v6, v22
	v_cndmask_b32_e64 v6, v4, v5, s[4:5]
	v_cndmask_b32_e64 v3, v4, v39, s[34:35]
	v_fmac_f32_e32 v23, v43, v7
	v_max3_f32 v3, v6, s44, v3
	v_or_b32_e32 v6, 2, v2
	v_or_b32_e32 v7, 3, v2
	v_cmp_gt_i32_e64 s[36:37], s29, v6
	v_cmp_gt_i32_e64 s[38:39], s29, v7
	v_cvt_f32_i32_e32 v9, v9
	v_cndmask_b32_e64 v6, v4, v30, s[36:37]
	v_cndmask_b32_e64 v7, v4, v31, s[38:39]
	v_max3_f32 v3, v3, v6, v7
	v_or_b32_e32 v6, 16, v2
	v_or_b32_e32 v7, 17, v2
	v_cmp_gt_i32_e64 s[24:25], s29, v6
	v_cmp_gt_i32_e64 s[26:27], s29, v7
	v_fmac_f32_e32 v25, v43, v9
	v_cndmask_b32_e64 v6, v4, v40, s[24:25]
	v_cndmask_b32_e64 v7, v4, v41, s[26:27]
	v_max3_f32 v3, v3, v6, v7
	v_or_b32_e32 v6, 18, v2
	v_or_b32_e32 v7, 19, v2
	v_cmp_gt_i32_e64 s[20:21], s29, v6
	v_cmp_gt_i32_e64 s[22:23], s29, v7
	v_cvt_f32_i32_e32 v8, v8
	v_cndmask_b32_e64 v6, v4, v36, s[20:21]
	v_cndmask_b32_e64 v7, v4, v37, s[22:23]
	v_max3_f32 v3, v3, v6, v7
	v_or_b32_e32 v6, 32, v2
	v_or_b32_e32 v7, 33, v2
	v_cmp_gt_i32_e64 s[16:17], s29, v6
	v_cmp_gt_i32_e64 s[18:19], s29, v7
	v_fma_f32 v20, v43, v8, v20
	v_cndmask_b32_e64 v6, v4, v32, s[16:17]
	v_cndmask_b32_e64 v7, v4, v33, s[18:19]
	v_max3_f32 v3, v3, v6, v7
	v_or_b32_e32 v6, 34, v2
	v_or_b32_e32 v7, 35, v2
	v_cmp_gt_i32_e64 s[12:13], s29, v6
	v_cmp_gt_i32_e64 s[14:15], s29, v7
	s_nop 0
	v_cndmask_b32_e64 v6, v4, v24, s[12:13]
	v_cndmask_b32_e64 v7, v4, v25, s[14:15]
	v_max3_f32 v3, v3, v6, v7
	v_or_b32_e32 v6, 48, v2
	v_or_b32_e32 v7, 49, v2
	v_cmp_gt_i32_e64 s[8:9], s29, v6
	v_cmp_gt_i32_e64 s[10:11], s29, v7
	s_nop 0
	v_cndmask_b32_e64 v6, v4, v22, s[8:9]
	v_cndmask_b32_e64 v7, v4, v23, s[10:11]
	v_max3_f32 v3, v3, v6, v7
	v_or_b32_e32 v6, 50, v2
	v_or_b32_e32 v2, 51, v2
	v_cmp_gt_i32_e32 vcc, s29, v6
	v_cmp_gt_i32_e64 s[6:7], s29, v2
	s_nop 0
	v_cndmask_b32_e32 v6, v4, v20, vcc
	v_cndmask_b32_e64 v2, v4, v21, s[6:7]
	v_max3_f32 v4, v3, v6, v2
	v_mbcnt_lo_u32_b32 v2, -1, 0
	v_mbcnt_hi_u32_b32 v6, -1, v2
	v_and_b32_e32 v2, 64, v6
	v_add_u32_e32 v7, 64, v2
	v_xor_b32_e32 v2, 32, v6
	v_cmp_lt_i32_e64 s[40:41], v2, v7
	s_nop 1
	v_cndmask_b32_e64 v2, v6, v2, s[40:41]
	v_lshlrev_b32_e32 v43, 2, v2
	ds_bpermute_b32 v8, v43, v4
	s_waitcnt vmcnt(2)
	v_mad_i64_i32 v[2:3], s[40:41], v14, s45, v[18:19]
	global_load_dwordx4 v[14:17], v[34:35], off
	global_load_dwordx4 v[10:13], v[2:3], off
	v_xor_b32_e32 v3, 16, v6
	v_cmp_lt_i32_e64 s[40:41], v3, v7
	s_waitcnt lgkmcnt(0)
	v_max_f32_e32 v2, v8, v8
	v_max_f32_e32 v2, v4, v2
	v_cndmask_b32_e64 v3, v6, v3, s[40:41]
	v_lshlrev_b32_e32 v46, 2, v3
	ds_bpermute_b32 v3, v46, v2
	s_waitcnt vmcnt(3)
	v_mad_i64_i32 v[34:35], s[40:41], v44, s45, v[18:19]
	s_waitcnt vmcnt(2)
	v_mad_i64_i32 v[18:19], s[40:41], v45, s45, v[18:19]
	s_waitcnt lgkmcnt(0)
	v_max_f32_e32 v3, v3, v3
	v_max_f32_e32 v38, v2, v3
	v_sub_f32_e32 v2, v5, v38
	v_mul_f32_e32 v2, 0x3fb8aa3b, v2
	v_exp_f32_e32 v44, v2
	v_sub_f32_e32 v2, v39, v38
	v_mul_f32_e32 v2, 0x3fb8aa3b, v2
	v_exp_f32_e32 v39, v2
	global_load_dwordx4 v[6:9], v[34:35], off
	global_load_dwordx4 v[2:5], v[18:19], off
	v_sub_f32_e32 v30, v30, v38
	v_mul_f32_e32 v30, 0x3fb8aa3b, v30
	v_sub_f32_e32 v31, v31, v38
	v_exp_f32_e32 v30, v30
	v_mul_f32_e32 v31, 0x3fb8aa3b, v31
	v_exp_f32_e32 v31, v31
	v_cndmask_b32_e64 v18, 0, v44, s[4:5]
	v_add_f32_e32 v34, 0, v18
	v_cndmask_b32_e64 v19, 0, v39, s[34:35]
	v_add_f32_e32 v35, v34, v19
	;; [unrolled: 2-line block ×3, first 2 shown]
	v_cndmask_b32_e64 v35, 0, v31, s[38:39]
	v_sub_f32_e32 v31, v40, v38
	v_mul_f32_e32 v31, 0x3fb8aa3b, v31
	v_sub_f32_e32 v39, v41, v38
	v_exp_f32_e32 v31, v31
	v_mul_f32_e32 v39, 0x3fb8aa3b, v39
	v_sub_f32_e32 v36, v36, v38
	v_exp_f32_e32 v39, v39
	;; [unrolled: 3-line block ×4, first 2 shown]
	v_mul_f32_e32 v32, 0x3fb8aa3b, v32
	v_sub_f32_e32 v33, v33, v38
	v_add_f32_e32 v40, v30, v35
	v_cndmask_b32_e64 v30, 0, v31, s[24:25]
	v_exp_f32_e32 v32, v32
	v_mul_f32_e32 v33, 0x3fb8aa3b, v33
	v_sub_f32_e32 v24, v24, v38
	v_add_f32_e32 v40, v40, v30
	v_cndmask_b32_e64 v31, 0, v39, s[26:27]
	v_exp_f32_e32 v33, v33
	;; [unrolled: 5-line block ×7, first 2 shown]
	v_mul_f32_e32 v21, 0x3fb8aa3b, v21
	v_add_f32_e32 v39, v39, v24
	v_cndmask_b32_e64 v25, 0, v25, s[14:15]
	v_exp_f32_e32 v21, v21
	v_add_f32_e32 v39, v39, v25
	v_cndmask_b32_e64 v22, 0, v22, s[8:9]
	v_add_f32_e32 v39, v39, v22
	v_cndmask_b32_e64 v23, 0, v23, s[10:11]
	v_add_f32_e32 v39, v39, v23
	v_cndmask_b32_e32 v20, 0, v20, vcc
	v_add_f32_e32 v39, v39, v20
	v_cndmask_b32_e64 v21, 0, v21, s[6:7]
	v_add_f32_e32 v39, v39, v21
	ds_bpermute_b32 v40, v43, v39
	s_load_dword s7, s[0:1], 0x98
	v_cmp_gt_u32_e32 vcc, 16, v27
	s_waitcnt lgkmcnt(0)
	s_barrier
	v_add_f32_e32 v40, v39, v40
	ds_bpermute_b32 v41, v46, v40
	v_lshlrev_b32_e32 v39, 2, v28
	s_waitcnt lgkmcnt(0)
	s_and_saveexec_b64 s[4:5], vcc
	s_cbranch_execz .LBB1094_15
; %bb.14:
	v_add_f32_e32 v27, v40, v41
	v_lshl_or_b32 v40, v29, 6, v39
	ds_write2st64_b32 v40, v38, v27 offset1:1
.LBB1094_15:
	s_or_b64 exec, exec, s[4:5]
	s_load_dword s6, s[0:1], 0x94
	s_waitcnt lgkmcnt(0)
	s_barrier
	ds_read2_b32 v[40:41], v39 offset1:16
	ds_read2_b32 v[44:45], v39 offset0:32 offset1:48
	ds_read2_b32 v[46:47], v39 offset0:64 offset1:80
	s_movk_i32 s8, 0x7fff
	s_mul_i32 s7, s7, 7
	s_waitcnt lgkmcnt(2)
	v_max3_f32 v27, v40, s44, v41
	s_waitcnt lgkmcnt(1)
	v_max3_f32 v27, v27, v44, v45
	v_sub_f32_e32 v38, v40, v27
	v_mul_f32_e32 v38, 0x3fb8aa3b, v38
	v_exp_f32_e32 v43, v38
	v_sub_f32_e32 v38, v41, v27
	v_mul_f32_e32 v38, 0x3fb8aa3b, v38
	v_exp_f32_e32 v48, v38
	;; [unrolled: 3-line block ×3, first 2 shown]
	ds_read2_b32 v[40:41], v39 offset0:96 offset1:112
	v_sub_f32_e32 v38, v45, v27
	v_mul_f32_e32 v38, 0x3fb8aa3b, v38
	v_exp_f32_e32 v39, v38
	s_waitcnt lgkmcnt(1)
	v_fma_f32 v38, v43, v46, 0
	v_fmac_f32_e32 v38, v48, v47
	s_waitcnt lgkmcnt(0)
	v_fmac_f32_e32 v38, v44, v40
	v_fmac_f32_e32 v38, v39, v41
	v_add_f32_e32 v40, 0x358637bd, v38
	v_div_scale_f32 v41, s[4:5], v40, v40, 1.0
	v_rcp_f32_e32 v45, v41
	s_barrier
	v_fma_f32 v46, -v41, v45, 1.0
	v_fmac_f32_e32 v45, v46, v45
	v_div_scale_f32 v46, vcc, 1.0, v40, 1.0
	v_mul_f32_e32 v47, v46, v45
	v_fma_f32 v49, -v41, v47, v46
	v_fmac_f32_e32 v47, v49, v45
	v_fma_f32 v41, -v41, v47, v46
	v_div_fmas_f32 v41, v41, v45, v47
	v_cmp_eq_u32_e32 vcc, 1, v29
	v_div_fixup_f32 v40, v41, v40, 1.0
	s_nop 0
	v_cndmask_b32_e32 v41, v43, v48, vcc
	v_cmp_eq_u32_e32 vcc, 2, v29
	s_nop 1
	v_cndmask_b32_e32 v41, v41, v44, vcc
	v_cmp_eq_u32_e32 vcc, 3, v29
	v_lshlrev_b32_e32 v29, 11, v29
	s_nop 0
	v_cndmask_b32_e32 v39, v41, v39, vcc
	v_mul_f32_e32 v40, v39, v40
	v_pk_mul_f32 v[18:19], v[40:41], v[18:19] op_sel_hi:[0,1]
	v_pk_mul_f32 v[34:35], v[40:41], v[34:35] op_sel_hi:[0,1]
	v_bfe_u32 v39, v19, 16, 1
	v_bfe_u32 v41, v18, 16, 1
	v_add3_u32 v18, v18, v41, s8
	v_add3_u32 v19, v19, v39, s8
	v_perm_b32 v44, v19, v18, s33
	v_bfe_u32 v18, v35, 16, 1
	v_bfe_u32 v19, v34, 16, 1
	v_add3_u32 v19, v34, v19, s8
	v_add3_u32 v18, v35, v18, s8
	v_perm_b32 v45, v18, v19, s33
	v_lshlrev_b32_e32 v18, 3, v42
	v_lshlrev_b32_e32 v19, 5, v28
	v_pk_mul_f32 v[30:31], v[40:41], v[30:31] op_sel_hi:[0,1]
	v_or3_b32 v18, v29, v19, v18
	v_pk_mul_f32 v[34:35], v[40:41], v[36:37] op_sel_hi:[0,1]
	v_bfe_u32 v29, v31, 16, 1
	v_bfe_u32 v36, v30, 16, 1
	v_add3_u32 v30, v30, v36, s8
	v_add3_u32 v29, v31, v29, s8
	v_perm_b32 v30, v29, v30, s33
	v_bfe_u32 v29, v35, 16, 1
	v_bfe_u32 v31, v34, 16, 1
	v_add3_u32 v31, v34, v31, s8
	v_add3_u32 v29, v35, v29, s8
	v_perm_b32 v31, v29, v31, s33
	ds_write2st64_b64 v18, v[44:45], v[30:31] offset1:1
	v_pk_mul_f32 v[30:31], v[40:41], v[32:33] op_sel_hi:[0,1]
	v_bfe_u32 v29, v31, 16, 1
	v_bfe_u32 v32, v30, 16, 1
	v_pk_mul_f32 v[24:25], v[40:41], v[24:25] op_sel_hi:[0,1]
	v_add3_u32 v30, v30, v32, s8
	v_add3_u32 v29, v31, v29, s8
	v_perm_b32 v30, v29, v30, s33
	v_bfe_u32 v29, v25, 16, 1
	v_bfe_u32 v31, v24, 16, 1
	v_add3_u32 v24, v24, v31, s8
	v_add3_u32 v25, v25, v29, s8
	v_pk_mul_f32 v[22:23], v[40:41], v[22:23] op_sel_hi:[0,1]
	v_perm_b32 v31, v25, v24, s33
	v_bfe_u32 v24, v23, 16, 1
	v_bfe_u32 v25, v22, 16, 1
	v_pk_mul_f32 v[20:21], v[40:41], v[20:21] op_sel_hi:[0,1]
	v_add3_u32 v22, v22, v25, s8
	v_add3_u32 v23, v23, v24, s8
	v_perm_b32 v22, v23, v22, s33
	v_bfe_u32 v23, v21, 16, 1
	v_bfe_u32 v24, v20, 16, 1
	v_add3_u32 v20, v20, v24, s8
	v_add3_u32 v21, v21, v23, s8
	v_perm_b32 v23, v21, v20, s33
	v_cmp_gt_u32_e32 vcc, 7, v0
	ds_write2st64_b64 v18, v[30:31], v[22:23] offset0:2 offset1:3
	s_and_saveexec_b64 s[4:5], vcc
	s_cbranch_execz .LBB1094_17
; %bb.16:
	s_mov_b32 s49, 0
	v_mov_b32_e32 v29, 0
	v_lshl_add_u64 v[20:21], s[48:49], 0, v[28:29]
	v_mov_b32_e32 v22, s7
	v_mad_u64_u32 v[20:21], s[10:11], s2, v22, v[20:21]
	s_mul_i32 s3, s3, s7
	v_mov_b32_e32 v28, s28
	s_load_dwordx4 s[12:15], s[0:1], 0x58
	v_add_u32_e32 v23, s3, v21
	v_mad_u64_u32 v[20:21], s[10:11], v20, s6, v[28:29]
	v_mov_b32_e32 v22, v21
	v_mad_u64_u32 v[22:23], s[10:11], v23, s6, v[22:23]
	v_mov_b32_e32 v21, v22
	v_lshlrev_b64 v[20:21], 2, v[20:21]
	s_waitcnt lgkmcnt(0)
	v_lshl_add_u64 v[22:23], s[14:15], 0, v[20:21]
	v_lshl_add_u64 v[20:21], s[12:13], 0, v[20:21]
	global_store_dword v[22:23], v27, off
	global_store_dword v[20:21], v38, off
.LBB1094_17:
	s_or_b64 exec, exec, s[4:5]
	s_waitcnt vmcnt(3)
	v_cvt_pk_f32_fp8_e32 v[20:21], v14
	v_cvt_pk_f32_fp8_sdwa v[22:23], v14 src0_sel:WORD_1
	s_mov_b32 s4, 0x7060302
	v_lshl_or_b32 v14, v42, 9, v19
	s_waitcnt lgkmcnt(0)
	s_barrier
	v_perm_b32 v24, v21, v20, s4
	v_perm_b32 v25, v23, v22, s4
	v_cvt_pk_f32_fp8_e32 v[28:29], v15
	ds_read_b128 v[20:23], v14
	v_cvt_pk_f32_fp8_sdwa v[36:37], v15 src0_sel:WORD_1
	s_load_dword s10, s[42:43], 0x0
	v_perm_b32 v38, v29, v28, s4
	ds_read_b128 v[28:31], v14 offset:16
	v_perm_b32 v39, v37, v36, s4
	s_waitcnt lgkmcnt(0)
	v_mfma_f32_16x16x16_bf16 v[32:35], v[24:25], v[20:21], 0
	v_cvt_pk_f32_fp8_e32 v[24:25], v16
	v_cvt_pk_f32_fp8_sdwa v[36:37], v16 src0_sel:WORD_1
	v_cmp_gt_u32_e32 vcc, 64, v0
	v_mfma_f32_16x16x16_bf16 v[20:23], v[38:39], v[22:23], v[32:35]
	v_perm_b32 v24, v25, v24, s4
	v_perm_b32 v25, v37, v36, s4
	s_mov_b32 s3, 0
	v_cvt_pk_f32_fp8_e32 v[32:33], v17
	v_cvt_pk_f32_fp8_sdwa v[16:17], v17 src0_sel:WORD_1
	s_waitcnt vmcnt(2)
	v_cvt_pk_f32_fp8_sdwa v[34:35], v10 src0_sel:WORD_1
	v_mfma_f32_16x16x16_bf16 v[20:23], v[24:25], v[28:29], v[20:23]
	v_perm_b32 v36, v33, v32, s4
	v_cvt_pk_f32_fp8_e32 v[32:33], v10
	v_perm_b32 v37, v17, v16, s4
	v_perm_b32 v17, v35, v34, s4
	v_cvt_pk_f32_fp8_e32 v[24:25], v11
	v_perm_b32 v16, v33, v32, s4
	ds_read_b128 v[32:35], v14 offset:2048
	v_cvt_pk_f32_fp8_sdwa v[10:11], v11 src0_sel:WORD_1
	v_mfma_f32_16x16x16_bf16 v[20:23], v[36:37], v[30:31], v[20:23]
	ds_read_b128 v[28:31], v14 offset:2064
	v_perm_b32 v24, v25, v24, s4
	v_perm_b32 v25, v11, v10, s4
	s_waitcnt lgkmcnt(1)
	v_mfma_f32_16x16x16_bf16 v[20:23], v[16:17], v[32:33], v[20:23]
	v_cvt_pk_f32_fp8_e32 v[10:11], v12
	v_cvt_pk_f32_fp8_sdwa v[16:17], v12 src0_sel:WORD_1
	s_waitcnt vmcnt(1)
	v_cvt_pk_f32_fp8_sdwa v[32:33], v6 src0_sel:WORD_1
	v_mfma_f32_16x16x16_bf16 v[20:23], v[24:25], v[34:35], v[20:23]
	v_cvt_pk_f32_fp8_e32 v[24:25], v13
	v_perm_b32 v10, v11, v10, s4
	v_perm_b32 v11, v17, v16, s4
	v_cvt_pk_f32_fp8_sdwa v[12:13], v13 src0_sel:WORD_1
	v_perm_b32 v16, v25, v24, s4
	v_cvt_pk_f32_fp8_e32 v[24:25], v6
	v_mov_b32_e32 v27, 0
	v_perm_b32 v17, v13, v12, s4
	s_waitcnt lgkmcnt(0)
	v_mfma_f32_16x16x16_bf16 v[10:13], v[10:11], v[28:29], v[20:23]
	v_perm_b32 v24, v25, v24, s4
	v_perm_b32 v25, v33, v32, s4
	v_cvt_pk_f32_fp8_e32 v[28:29], v7
	ds_read_b128 v[20:23], v14 offset:4096
	v_cvt_pk_f32_fp8_sdwa v[6:7], v7 src0_sel:WORD_1
	v_mfma_f32_16x16x16_bf16 v[10:13], v[16:17], v[30:31], v[10:13]
	v_perm_b32 v16, v29, v28, s4
	ds_read_b128 v[28:31], v14 offset:4112
	v_perm_b32 v17, v7, v6, s4
	s_waitcnt lgkmcnt(1)
	v_mfma_f32_16x16x16_bf16 v[10:13], v[24:25], v[20:21], v[10:13]
	v_cvt_pk_f32_fp8_e32 v[6:7], v8
	v_cvt_pk_f32_fp8_sdwa v[20:21], v8 src0_sel:WORD_1
	v_perm_b32 v6, v7, v6, s4
	v_mfma_f32_16x16x16_bf16 v[10:13], v[16:17], v[22:23], v[10:13]
	v_cvt_pk_f32_fp8_e32 v[16:17], v9
	v_perm_b32 v7, v21, v20, s4
	v_cvt_pk_f32_fp8_sdwa v[8:9], v9 src0_sel:WORD_1
	s_waitcnt vmcnt(0)
	v_cvt_pk_f32_fp8_e32 v[20:21], v2
	v_perm_b32 v16, v17, v16, s4
	v_cvt_pk_f32_fp8_sdwa v[22:23], v2 src0_sel:WORD_1
	v_perm_b32 v17, v9, v8, s4
	s_waitcnt lgkmcnt(0)
	v_mfma_f32_16x16x16_bf16 v[6:9], v[6:7], v[28:29], v[10:13]
	v_perm_b32 v20, v21, v20, s4
	v_perm_b32 v21, v23, v22, s4
	v_cvt_pk_f32_fp8_e32 v[22:23], v3
	ds_read_b128 v[10:13], v14 offset:6144
	v_cvt_pk_f32_fp8_sdwa v[2:3], v3 src0_sel:WORD_1
	v_mfma_f32_16x16x16_bf16 v[6:9], v[16:17], v[30:31], v[6:9]
	v_perm_b32 v22, v23, v22, s4
	ds_read_b128 v[14:17], v14 offset:6160
	v_perm_b32 v23, v3, v2, s4
	s_waitcnt lgkmcnt(1)
	v_mfma_f32_16x16x16_bf16 v[6:9], v[20:21], v[10:11], v[6:9]
	v_cvt_pk_f32_fp8_e32 v[2:3], v4
	v_cvt_pk_f32_fp8_sdwa v[10:11], v4 src0_sel:WORD_1
	s_waitcnt lgkmcnt(0)
	v_mfma_f32_16x16x16_bf16 v[6:9], v[22:23], v[12:13], v[6:9]
	v_perm_b32 v2, v3, v2, s4
	v_perm_b32 v3, v11, v10, s4
	v_cvt_pk_f32_fp8_e32 v[10:11], v5
	v_cvt_pk_f32_fp8_sdwa v[4:5], v5 src0_sel:WORD_1
	s_barrier
	v_perm_b32 v10, v11, v10, s4
	v_perm_b32 v11, v5, v4, s4
	v_mfma_f32_16x16x16_bf16 v[2:5], v[2:3], v[14:15], v[6:9]
	s_nop 0
	v_mfma_f32_16x16x16_bf16 v[2:5], v[10:11], v[16:17], v[2:5]
	s_nop 6
	v_pk_mul_f32 v[2:3], v[2:3], s[10:11] op_sel_hi:[1,0]
	v_pk_mul_f32 v[4:5], v[4:5], s[10:11] op_sel_hi:[1,0]
	v_bfe_u32 v6, v3, 16, 1
	v_bfe_u32 v7, v2, 16, 1
	v_add3_u32 v2, v2, v7, s8
	v_add3_u32 v3, v3, v6, s8
	v_perm_b32 v2, v3, v2, s4
	v_bfe_u32 v3, v5, 16, 1
	v_bfe_u32 v6, v4, 16, 1
	v_add3_u32 v4, v4, v6, s8
	v_add3_u32 v3, v5, v3, s8
	v_perm_b32 v3, v3, v4, s4
	s_and_b64 s[4:5], vcc, s[30:31]
	ds_write_b64 v18, v[2:3]
	s_waitcnt lgkmcnt(0)
	s_barrier
	s_and_saveexec_b64 s[8:9], s[4:5]
	s_cbranch_execz .LBB1094_20
; %bb.18:
	s_load_dwordx2 s[4:5], s[0:1], 0x68
	s_lshl_b32 s0, s6, 6
	s_mul_i32 s1, s7, s2
	s_mul_hi_u32 s7, s1, s0
	s_mul_i32 s6, s1, s0
	v_lshlrev_b32_e32 v0, 10, v0
	s_lshl_b64 s[6:7], s[6:7], 1
	v_and_b32_e32 v0, 0x1800, v0
	v_lshlrev_b32_e32 v2, 5, v42
	v_and_b32_e32 v1, 16, v1
	s_waitcnt lgkmcnt(0)
	s_add_u32 s1, s4, s6
	v_or3_b32 v2, v0, v2, v1
	s_addc_u32 s4, s5, s7
	s_lshl_b32 s2, s28, 6
	s_lshl_b64 s[2:3], s[2:3], 1
	ds_read_b128 v[4:7], v2
	s_add_u32 s2, s1, s2
	s_addc_u32 s3, s4, s3
	v_add_u32_e32 v3, s48, v42
	v_lshl_add_u64 v[0:1], s[2:3], 0, v[26:27]
	v_mad_u64_u32 v[8:9], s[2:3], v3, s0, 0
	v_lshl_add_u64 v[8:9], v[8:9], 1, v[0:1]
	v_cmp_ne_u32_e32 vcc, 3, v42
	s_waitcnt lgkmcnt(0)
	global_store_dwordx4 v[8:9], v[4:7], off
	s_and_b64 exec, exec, vcc
	s_cbranch_execz .LBB1094_20
; %bb.19:
	ds_read_b128 v[2:5], v2 offset:128
	v_add3_u32 v6, s48, v42, 4
	v_mad_u64_u32 v[6:7], s[0:1], v6, s0, 0
	v_lshl_add_u64 v[0:1], v[6:7], 1, v[0:1]
	s_waitcnt lgkmcnt(0)
	global_store_dwordx4 v[0:1], v[2:5], off
.LBB1094_20:
	s_endpgm
	.section	.rodata,"a",@progbits
	.p2align	6, 0x0
	.amdhsa_kernel _Z39paged_attention_ll4mi_QKV_mfma16_kernelI14__hip_bfloat16hLN4vllm18Fp8KVCacheDataTypeE1EhLi16ELi64ELi256ELb1ELi7EEvPKT_PKT0_S8_ifPKiSA_SA_iPKfiiiPfSD_PS3_PT2_iSC_SC_
		.amdhsa_group_segment_fixed_size 8192
		.amdhsa_private_segment_fixed_size 0
		.amdhsa_kernarg_size 400
		.amdhsa_user_sgpr_count 2
		.amdhsa_user_sgpr_dispatch_ptr 0
		.amdhsa_user_sgpr_queue_ptr 0
		.amdhsa_user_sgpr_kernarg_segment_ptr 1
		.amdhsa_user_sgpr_dispatch_id 0
		.amdhsa_user_sgpr_kernarg_preload_length 0
		.amdhsa_user_sgpr_kernarg_preload_offset 0
		.amdhsa_user_sgpr_private_segment_size 0
		.amdhsa_uses_dynamic_stack 0
		.amdhsa_enable_private_segment 0
		.amdhsa_system_sgpr_workgroup_id_x 1
		.amdhsa_system_sgpr_workgroup_id_y 1
		.amdhsa_system_sgpr_workgroup_id_z 1
		.amdhsa_system_sgpr_workgroup_info 0
		.amdhsa_system_vgpr_workitem_id 0
		.amdhsa_next_free_vgpr 67
		.amdhsa_next_free_sgpr 50
		.amdhsa_accum_offset 68
		.amdhsa_reserve_vcc 1
		.amdhsa_float_round_mode_32 0
		.amdhsa_float_round_mode_16_64 0
		.amdhsa_float_denorm_mode_32 3
		.amdhsa_float_denorm_mode_16_64 3
		.amdhsa_dx10_clamp 1
		.amdhsa_ieee_mode 1
		.amdhsa_fp16_overflow 0
		.amdhsa_tg_split 0
		.amdhsa_exception_fp_ieee_invalid_op 0
		.amdhsa_exception_fp_denorm_src 0
		.amdhsa_exception_fp_ieee_div_zero 0
		.amdhsa_exception_fp_ieee_overflow 0
		.amdhsa_exception_fp_ieee_underflow 0
		.amdhsa_exception_fp_ieee_inexact 0
		.amdhsa_exception_int_div_zero 0
	.end_amdhsa_kernel
	.section	.text._Z39paged_attention_ll4mi_QKV_mfma16_kernelI14__hip_bfloat16hLN4vllm18Fp8KVCacheDataTypeE1EhLi16ELi64ELi256ELb1ELi7EEvPKT_PKT0_S8_ifPKiSA_SA_iPKfiiiPfSD_PS3_PT2_iSC_SC_,"axG",@progbits,_Z39paged_attention_ll4mi_QKV_mfma16_kernelI14__hip_bfloat16hLN4vllm18Fp8KVCacheDataTypeE1EhLi16ELi64ELi256ELb1ELi7EEvPKT_PKT0_S8_ifPKiSA_SA_iPKfiiiPfSD_PS3_PT2_iSC_SC_,comdat
.Lfunc_end1094:
	.size	_Z39paged_attention_ll4mi_QKV_mfma16_kernelI14__hip_bfloat16hLN4vllm18Fp8KVCacheDataTypeE1EhLi16ELi64ELi256ELb1ELi7EEvPKT_PKT0_S8_ifPKiSA_SA_iPKfiiiPfSD_PS3_PT2_iSC_SC_, .Lfunc_end1094-_Z39paged_attention_ll4mi_QKV_mfma16_kernelI14__hip_bfloat16hLN4vllm18Fp8KVCacheDataTypeE1EhLi16ELi64ELi256ELb1ELi7EEvPKT_PKT0_S8_ifPKiSA_SA_iPKfiiiPfSD_PS3_PT2_iSC_SC_
                                        ; -- End function
	.section	.AMDGPU.csdata,"",@progbits
; Kernel info:
; codeLenInByte = 5112
; NumSgprs: 56
; NumVgprs: 67
; NumAgprs: 0
; TotalNumVgprs: 67
; ScratchSize: 0
; MemoryBound: 0
; FloatMode: 240
; IeeeMode: 1
; LDSByteSize: 8192 bytes/workgroup (compile time only)
; SGPRBlocks: 6
; VGPRBlocks: 8
; NumSGPRsForWavesPerEU: 56
; NumVGPRsForWavesPerEU: 67
; AccumOffset: 68
; Occupancy: 7
; WaveLimiterHint : 1
; COMPUTE_PGM_RSRC2:SCRATCH_EN: 0
; COMPUTE_PGM_RSRC2:USER_SGPR: 2
; COMPUTE_PGM_RSRC2:TRAP_HANDLER: 0
; COMPUTE_PGM_RSRC2:TGID_X_EN: 1
; COMPUTE_PGM_RSRC2:TGID_Y_EN: 1
; COMPUTE_PGM_RSRC2:TGID_Z_EN: 1
; COMPUTE_PGM_RSRC2:TIDIG_COMP_CNT: 0
; COMPUTE_PGM_RSRC3_GFX90A:ACCUM_OFFSET: 16
; COMPUTE_PGM_RSRC3_GFX90A:TG_SPLIT: 0
	.section	.text._Z39paged_attention_ll4mi_QKV_mfma16_kernelI14__hip_bfloat16hLN4vllm18Fp8KVCacheDataTypeE1EhLi16ELi64ELi256ELb1ELi8EEvPKT_PKT0_S8_ifPKiSA_SA_iPKfiiiPfSD_PS3_PT2_iSC_SC_,"axG",@progbits,_Z39paged_attention_ll4mi_QKV_mfma16_kernelI14__hip_bfloat16hLN4vllm18Fp8KVCacheDataTypeE1EhLi16ELi64ELi256ELb1ELi8EEvPKT_PKT0_S8_ifPKiSA_SA_iPKfiiiPfSD_PS3_PT2_iSC_SC_,comdat
	.protected	_Z39paged_attention_ll4mi_QKV_mfma16_kernelI14__hip_bfloat16hLN4vllm18Fp8KVCacheDataTypeE1EhLi16ELi64ELi256ELb1ELi8EEvPKT_PKT0_S8_ifPKiSA_SA_iPKfiiiPfSD_PS3_PT2_iSC_SC_ ; -- Begin function _Z39paged_attention_ll4mi_QKV_mfma16_kernelI14__hip_bfloat16hLN4vllm18Fp8KVCacheDataTypeE1EhLi16ELi64ELi256ELb1ELi8EEvPKT_PKT0_S8_ifPKiSA_SA_iPKfiiiPfSD_PS3_PT2_iSC_SC_
	.globl	_Z39paged_attention_ll4mi_QKV_mfma16_kernelI14__hip_bfloat16hLN4vllm18Fp8KVCacheDataTypeE1EhLi16ELi64ELi256ELb1ELi8EEvPKT_PKT0_S8_ifPKiSA_SA_iPKfiiiPfSD_PS3_PT2_iSC_SC_
	.p2align	8
	.type	_Z39paged_attention_ll4mi_QKV_mfma16_kernelI14__hip_bfloat16hLN4vllm18Fp8KVCacheDataTypeE1EhLi16ELi64ELi256ELb1ELi8EEvPKT_PKT0_S8_ifPKiSA_SA_iPKfiiiPfSD_PS3_PT2_iSC_SC_,@function
_Z39paged_attention_ll4mi_QKV_mfma16_kernelI14__hip_bfloat16hLN4vllm18Fp8KVCacheDataTypeE1EhLi16ELi64ELi256ELb1ELi8EEvPKT_PKT0_S8_ifPKiSA_SA_iPKfiiiPfSD_PS3_PT2_iSC_SC_: ; @_Z39paged_attention_ll4mi_QKV_mfma16_kernelI14__hip_bfloat16hLN4vllm18Fp8KVCacheDataTypeE1EhLi16ELi64ELi256ELb1ELi8EEvPKT_PKT0_S8_ifPKiSA_SA_iPKfiiiPfSD_PS3_PT2_iSC_SC_
; %bb.0:
	s_load_dwordx2 s[8:9], s[0:1], 0x30
	s_mov_b32 s16, s3
	s_mov_b64 s[6:7], 0
	s_waitcnt lgkmcnt(0)
	s_cmp_lg_u64 s[8:9], 0
	s_cselect_b64 s[10:11], -1, 0
	s_and_b64 vcc, exec, s[10:11]
	s_cbranch_vccz .LBB1095_7
; %bb.1:
	s_add_i32 s12, s2, 1
	s_mov_b32 s13, 0
	s_lshl_b64 s[14:15], s[12:13], 2
	s_add_u32 s14, s8, s14
	s_mov_b32 s3, s13
	s_addc_u32 s15, s9, s15
	s_lshl_b64 s[12:13], s[2:3], 2
	s_add_u32 s12, s8, s12
	s_addc_u32 s13, s9, s13
	s_load_dword s5, s[14:15], 0x0
	s_load_dword s17, s[12:13], 0x0
	s_waitcnt lgkmcnt(0)
	s_sub_i32 s5, s5, s17
	s_cmp_eq_u32 s5, 1
	s_cselect_b64 s[12:13], -1, 0
	s_andn2_b64 vcc, exec, s[6:7]
	s_cbranch_vccnz .LBB1095_3
.LBB1095_2:
	s_mov_b32 s3, 0
	s_mov_b64 s[12:13], -1
.LBB1095_3:
	s_andn2_b64 vcc, exec, s[12:13]
	s_cbranch_vccnz .LBB1095_19
; %bb.4:
	s_load_dwordx2 s[6:7], s[0:1], 0x28
	s_lshl_b64 s[12:13], s[2:3], 2
	s_waitcnt lgkmcnt(0)
	s_add_u32 s6, s6, s12
	s_addc_u32 s7, s7, s13
	s_load_dword s33, s[6:7], 0x0
	s_lshl_b32 s20, s16, 8
	s_waitcnt lgkmcnt(0)
	s_cmp_ge_i32 s20, s33
	s_cbranch_scc1 .LBB1095_19
; %bb.5:
	s_load_dwordx2 s[6:7], s[0:1], 0x20
	s_load_dword s5, s[0:1], 0x38
	s_add_i32 s14, s33, 15
	s_ashr_i32 s15, s14, 31
	v_and_b32_e32 v1, 0xcf, v0
	s_lshr_b32 s15, s15, 28
	v_add_u32_e32 v1, s20, v1
	s_add_i32 s14, s14, s15
	v_ashrrev_i32_e32 v2, 31, v1
	s_ashr_i32 s21, s14, 4
	v_lshrrev_b32_e32 v4, 28, v2
	s_add_i32 s21, s21, -1
	s_waitcnt lgkmcnt(0)
	s_mul_i32 s14, s2, s5
	s_mov_b32 s15, 0
	v_add_u32_e32 v2, v1, v4
	s_lshl_b64 s[14:15], s[14:15], 2
	v_ashrrev_i32_e32 v2, 4, v2
	v_mov_b32_e32 v5, s21
	v_cmp_gt_i32_e32 vcc, s33, v1
	s_add_u32 s6, s6, s14
	s_addc_u32 s7, s7, s15
	v_cndmask_b32_e32 v2, v5, v2, vcc
	v_ashrrev_i32_e32 v3, 31, v2
	v_lshl_add_u64 v[6:7], v[2:3], 2, s[6:7]
	v_or_b32_e32 v2, 16, v1
	v_add_u32_e32 v3, v2, v4
	v_ashrrev_i32_e32 v3, 4, v3
	v_cmp_gt_i32_e32 vcc, s33, v2
	s_load_dwordx2 s[14:15], s[0:1], 0x8
	s_nop 0
	v_cndmask_b32_e32 v2, v5, v3, vcc
	v_ashrrev_i32_e32 v3, 31, v2
	v_lshl_add_u64 v[8:9], v[2:3], 2, s[6:7]
	v_or_b32_e32 v2, 32, v1
	v_add_u32_e32 v3, v2, v4
	v_ashrrev_i32_e32 v3, 4, v3
	v_cmp_gt_i32_e32 vcc, s33, v2
	v_or_b32_e32 v1, 48, v1
	s_nop 0
	v_cndmask_b32_e32 v2, v5, v3, vcc
	v_ashrrev_i32_e32 v3, 31, v2
	v_lshl_add_u64 v[10:11], v[2:3], 2, s[6:7]
	v_add_u32_e32 v2, v1, v4
	v_ashrrev_i32_e32 v2, 4, v2
	v_cmp_gt_i32_e32 vcc, s33, v1
	s_nop 1
	v_cndmask_b32_e32 v2, v5, v2, vcc
	v_ashrrev_i32_e32 v3, 31, v2
	v_lshl_add_u64 v[12:13], v[2:3], 2, s[6:7]
	global_load_dword v5, v[6:7], off
	global_load_dword v4, v[8:9], off
	;; [unrolled: 1-line block ×4, first 2 shown]
	s_andn2_b64 vcc, exec, s[10:11]
	s_cbranch_vccnz .LBB1095_8
; %bb.6:
	s_add_u32 s8, s8, s12
	s_addc_u32 s9, s9, s13
	s_load_dword s5, s[8:9], 0x0
	s_branch .LBB1095_9
.LBB1095_7:
	s_mov_b64 s[12:13], 0
	s_branch .LBB1095_2
.LBB1095_8:
	s_mov_b32 s5, s2
.LBB1095_9:
	s_load_dwordx2 s[8:9], s[0:1], 0x10
	s_load_dwordx4 s[44:47], s[0:1], 0x48
	v_and_b32_e32 v48, 15, v0
	s_movk_i32 s10, 0x80
	v_lshlrev_b32_e32 v6, 3, v48
	v_cmp_gt_u32_e32 vcc, s10, v0
	v_cmp_gt_u32_e64 s[18:19], 8, v48
	v_lshrrev_b32_e32 v47, 6, v0
	v_bfe_u32 v1, v0, 4, 2
	s_lshl_b32 s17, s4, 3
	s_and_b64 s[12:13], vcc, s[18:19]
	v_lshlrev_b32_e32 v26, 1, v6
	v_lshlrev_b32_e32 v46, 4, v0
	s_and_saveexec_b64 s[10:11], s[12:13]
	s_cbranch_execz .LBB1095_11
; %bb.10:
	s_load_dwordx2 s[12:13], s[0:1], 0x0
	s_waitcnt lgkmcnt(0)
	s_ashr_i32 s22, s44, 31
	s_mul_hi_u32 s23, s5, s44
	s_mul_i32 s22, s5, s22
	s_add_i32 s23, s23, s22
	s_mul_i32 s22, s5, s44
	v_lshl_or_b32 v10, v47, 2, v1
	s_lshl_b64 s[22:23], s[22:23], 1
	s_add_u32 s12, s12, s22
	v_add_lshl_u32 v6, v10, s17, 6
	s_addc_u32 s13, s13, s23
	v_ashrrev_i32_e32 v7, 31, v6
	v_lshl_add_u64 v[6:7], v[6:7], 1, s[12:13]
	v_mov_b32_e32 v27, 0
	v_lshl_add_u64 v[6:7], v[6:7], 0, v[26:27]
	global_load_dwordx4 v[6:9], v[6:7], off
	v_lshlrev_b32_e32 v12, 8, v48
	v_lshlrev_b32_e32 v10, 5, v10
	v_and_b32_e32 v11, 16, v46
	v_and_b32_e32 v12, 0xe00, v12
	v_or3_b32 v10, v12, v10, v11
	s_waitcnt vmcnt(0)
	ds_write_b128 v10, v[6:9]
.LBB1095_11:
	s_or_b64 exec, exec, s[10:11]
	s_waitcnt lgkmcnt(0)
	s_mul_i32 s10, s4, s46
	s_add_u32 s4, s14, s10
	s_addc_u32 s5, s15, 0
	v_and_b32_e32 v30, 48, v0
	v_and_b32_e32 v28, 0xf0, v46
	v_mov_b32_e32 v29, 0
	v_lshl_add_u64 v[6:7], s[4:5], 0, v[28:29]
	v_lshlrev_b32_e32 v28, 4, v30
	v_lshl_add_u64 v[6:7], v[6:7], 0, v[28:29]
	s_waitcnt vmcnt(3)
	v_mad_i64_i32 v[8:9], s[4:5], v5, s45, v[6:7]
	s_waitcnt vmcnt(2)
	v_mad_i64_i32 v[4:5], s[4:5], v4, s45, v[6:7]
	s_barrier
	global_load_dwordx4 v[22:25], v[8:9], off
	global_load_dwordx4 v[18:21], v[4:5], off
	s_waitcnt vmcnt(3)
	v_mad_i64_i32 v[4:5], s[4:5], v3, s45, v[6:7]
	s_waitcnt vmcnt(2)
	v_mad_i64_i32 v[2:3], s[4:5], v2, s45, v[6:7]
	global_load_dwordx4 v[14:17], v[4:5], off
	global_load_dwordx4 v[6:9], v[2:3], off
	v_and_b32_e32 v2, 7, v0
	v_lshlrev_b32_e32 v2, 5, v2
	v_lshl_or_b32 v2, v1, 9, v2
	ds_read_b128 v[10:13], v2
	ds_read_b128 v[2:5], v2 offset:16
	v_and_b32_e32 v27, 63, v0
	v_mov_b32_e32 v49, 0
	s_and_saveexec_b64 s[4:5], s[18:19]
	s_cbranch_execz .LBB1095_13
; %bb.12:
	s_load_dwordx2 s[12:13], s[0:1], 0x40
	v_or_b32_e32 v32, s17, v48
	v_ashrrev_i32_e32 v33, 31, v32
	s_waitcnt lgkmcnt(0)
	v_lshl_add_u64 v[32:33], v[32:33], 2, s[12:13]
	global_load_dword v49, v[32:33], off
.LBB1095_13:
	s_or_b64 exec, exec, s[4:5]
	v_or_b32_e32 v51, s20, v30
	v_ashrrev_i32_e32 v28, 4, v51
	v_mov_b32_e32 v67, s21
	v_cmp_gt_i32_e32 vcc, s33, v51
	s_waitcnt vmcnt(3)
	v_cvt_pk_f32_fp8_sdwa v[42:43], v22 src0_sel:WORD_1
	s_mov_b32 s44, 0x7060302
	v_cndmask_b32_e32 v30, v67, v28, vcc
	v_ashrrev_i32_e32 v31, 31, v30
	v_lshl_add_u64 v[30:31], v[30:31], 2, s[6:7]
	global_load_dword v50, v[30:31], off
	v_cvt_pk_f32_fp8_e32 v[30:31], v22
	v_cvt_pk_f32_fp8_e32 v[32:33], v23
	v_cvt_pk_f32_fp8_sdwa v[40:41], v23 src0_sel:WORD_1
	v_cvt_pk_f32_fp8_e32 v[38:39], v24
	v_cvt_pk_f32_fp8_sdwa v[36:37], v24 src0_sel:WORD_1
	;; [unrolled: 2-line block ×3, first 2 shown]
	s_waitcnt vmcnt(3)
	v_cvt_pk_f32_fp8_e32 v[24:25], v18
	v_cvt_pk_f32_fp8_sdwa v[44:45], v18 src0_sel:WORD_1
	v_cvt_pk_f32_fp8_e32 v[52:53], v19
	v_cvt_pk_f32_fp8_sdwa v[54:55], v19 src0_sel:WORD_1
	v_perm_b32 v18, v31, v30, s44
	v_perm_b32 v19, v43, v42, s44
	v_cvt_pk_f32_fp8_e32 v[56:57], v20
	v_cvt_pk_f32_fp8_sdwa v[58:59], v20 src0_sel:WORD_1
	v_lshlrev_b32_e32 v20, 4, v48
	v_perm_b32 v24, v25, v24, s44
	v_perm_b32 v25, v45, v44, s44
	;; [unrolled: 1-line block ×4, first 2 shown]
	v_cvt_pk_f32_fp8_e32 v[60:61], v21
	v_cvt_pk_f32_fp8_sdwa v[62:63], v21 src0_sel:WORD_1
	v_lshl_or_b32 v28, v47, 8, v20
	s_waitcnt lgkmcnt(1)
	v_mfma_f32_16x16x16_bf16 v[18:21], v[18:19], v[10:11], 0
	s_waitcnt vmcnt(2)
	v_cvt_pk_f32_fp8_e32 v[42:43], v14
	v_cvt_pk_f32_fp8_sdwa v[30:31], v14 src0_sel:WORD_1
	v_or_b32_e32 v14, 64, v51
	s_add_u32 s4, s8, s10
	v_or_b32_e32 v40, 0x80, v51
	v_or_b32_e32 v41, 0xc0, v51
	v_ashrrev_i32_e32 v51, 4, v14
	v_cmp_gt_i32_e32 vcc, s33, v14
	s_addc_u32 s5, s9, 0
	v_ashrrev_i32_e32 v66, 4, v40
	v_mfma_f32_16x16x16_bf16 v[18:21], v[44:45], v[12:13], v[18:21]
	v_cndmask_b32_e32 v44, v67, v51, vcc
	v_cmp_gt_i32_e32 vcc, s33, v40
	v_perm_b32 v52, v53, v52, s44
	v_perm_b32 v53, v55, v54, s44
	;; [unrolled: 1-line block ×4, first 2 shown]
	v_ashrrev_i32_e32 v36, 4, v41
	v_lshl_add_u64 v[28:29], s[4:5], 0, v[28:29]
	v_cndmask_b32_e32 v66, v67, v66, vcc
	v_cmp_gt_i32_e32 vcc, s33, v41
	v_mfma_f32_16x16x16_bf16 v[38:41], v[24:25], v[10:11], 0
	s_load_dword s4, s[0:1], 0x1c
	s_load_dwordx4 s[40:43], s[0:1], 0x80
	v_cndmask_b32_e32 v68, v67, v36, vcc
	v_ashrrev_i32_e32 v45, 31, v44
	v_ashrrev_i32_e32 v67, 31, v66
	;; [unrolled: 1-line block ×3, first 2 shown]
	v_perm_b32 v37, v23, v22, s44
	v_mfma_f32_16x16x16_bf16 v[22:25], v[52:53], v[12:13], v[38:41]
	v_perm_b32 v36, v35, v34, s44
	v_perm_b32 v34, v43, v42, s44
	v_lshl_add_u64 v[42:43], v[66:67], 2, s[6:7]
	v_lshl_add_u64 v[40:41], v[44:45], 2, s[6:7]
	;; [unrolled: 1-line block ×3, first 2 shown]
	s_load_dword s46, s[0:1], 0x98
	s_waitcnt lgkmcnt(0)
	s_load_dword s5, s[40:41], 0x0
	global_load_dword v41, v[40:41], off
	s_nop 0
	global_load_dword v51, v[42:43], off
	global_load_dword v52, v[44:45], off
	v_perm_b32 v54, v57, v56, s44
	v_perm_b32 v55, v59, v58, s44
	;; [unrolled: 1-line block ×4, first 2 shown]
	v_mov_b32_e32 v14, s4
	v_cvt_pk_f32_fp8_e32 v[32:33], v15
	v_mfma_f32_16x16x16_bf16 v[22:25], v[54:55], v[2:3], v[22:25]
	s_waitcnt lgkmcnt(0)
	v_mul_f32_e32 v40, s5, v14
	v_perm_b32 v35, v31, v30, s44
	v_cvt_pk_f32_fp8_sdwa v[14:15], v15 src0_sel:WORD_1
	v_mfma_f32_16x16x16_bf16 v[18:21], v[64:65], v[2:3], v[18:21]
	v_cvt_pk_f32_fp8_e32 v[42:43], v16
	v_cvt_pk_f32_fp8_sdwa v[44:45], v16 src0_sel:WORD_1
	s_mov_b32 s47, 0xff7fffff
	v_mfma_f32_16x16x16_bf16 v[22:25], v[38:39], v[4:5], v[22:25]
	v_perm_b32 v38, v33, v32, s44
	v_perm_b32 v39, v15, v14, s44
	v_mfma_f32_16x16x16_bf16 v[30:33], v[34:35], v[10:11], 0
	v_perm_b32 v34, v43, v42, s44
	v_perm_b32 v35, v45, v44, s44
	v_cvt_pk_f32_fp8_e32 v[42:43], v17
	v_mfma_f32_16x16x16_bf16 v[18:21], v[36:37], v[4:5], v[18:21]
	v_cvt_pk_f32_fp8_sdwa v[44:45], v17 src0_sel:WORD_1
	s_waitcnt vmcnt(3)
	v_mad_i64_i32 v[36:37], s[4:5], v50, s45, v[28:29]
	v_mfma_f32_16x16x16_bf16 v[14:17], v[38:39], v[12:13], v[30:33]
	v_mfma_f32_16x16x16_bf16 v[14:17], v[34:35], v[2:3], v[14:17]
	s_nop 1
	v_cvt_pk_f32_fp8_sdwa v[32:33], v6 src0_sel:WORD_1
	v_cvt_pk_f32_fp8_e32 v[34:35], v8
	s_waitcnt vmcnt(2)
	v_pk_mul_f32 v[30:31], v[40:41], v[20:21] op_sel_hi:[0,1]
	v_perm_b32 v20, v43, v42, s44
	v_perm_b32 v21, v45, v44, s44
	v_pk_mul_f32 v[38:39], v[40:41], v[18:19] op_sel_hi:[0,1]
	v_cvt_pk_f32_fp8_e32 v[18:19], v6
	v_mfma_f32_16x16x16_bf16 v[14:17], v[20:21], v[4:5], v[14:17]
	v_cvt_pk_f32_fp8_e32 v[20:21], v7
	v_perm_b32 v18, v19, v18, s44
	v_perm_b32 v19, v33, v32, s44
	v_cvt_pk_f32_fp8_sdwa v[6:7], v7 src0_sel:WORD_1
	v_perm_b32 v32, v21, v20, s44
	v_cvt_pk_f32_fp8_sdwa v[42:43], v8 src0_sel:WORD_1
	v_mfma_f32_16x16x16_bf16 v[18:21], v[18:19], v[10:11], 0
	v_perm_b32 v33, v7, v6, s44
	v_perm_b32 v10, v35, v34, s44
	;; [unrolled: 1-line block ×3, first 2 shown]
	v_cvt_pk_f32_fp8_e32 v[34:35], v9
	v_cvt_pk_f32_fp8_sdwa v[42:43], v9 src0_sel:WORD_1
	v_mfma_f32_16x16x16_bf16 v[6:9], v[32:33], v[12:13], v[18:21]
	v_pk_mul_f32 v[32:33], v[40:41], v[24:25] op_sel_hi:[0,1]
	v_perm_b32 v12, v35, v34, s44
	v_perm_b32 v13, v43, v42, s44
	v_mfma_f32_16x16x16_bf16 v[6:9], v[10:11], v[2:3], v[6:9]
	v_pk_mul_f32 v[34:35], v[40:41], v[22:23] op_sel_hi:[0,1]
	v_pk_mul_f32 v[22:23], v[40:41], v[16:17] op_sel_hi:[0,1]
	;; [unrolled: 1-line block ×3, first 2 shown]
	v_mfma_f32_16x16x16_bf16 v[2:5], v[12:13], v[4:5], v[6:9]
	s_nop 6
	v_pk_mul_f32 v[20:21], v[40:41], v[2:3] op_sel_hi:[0,1]
	v_and_b32_e32 v2, 0xc0, v0
	v_add_u32_e32 v2, s20, v2
	v_lshl_or_b32 v2, v1, 2, v2
	v_or_b32_e32 v3, 1, v2
	v_pk_mul_f32 v[18:19], v[40:41], v[4:5] op_sel_hi:[0,1]
	v_subrev_u32_e32 v4, s33, v3
	v_add_u32_e32 v6, 1, v4
	v_add_u32_e32 v7, 2, v4
	;; [unrolled: 1-line block ×3, first 2 shown]
	v_cvt_f32_i32_e32 v6, v6
	v_cvt_f32_i32_e32 v7, v7
	v_cvt_f32_i32_e32 v8, v8
	v_add_u32_e32 v9, 19, v4
	v_fmac_f32_e32 v39, v49, v6
	v_fma_f32 v30, v49, v7, v30
	v_fmac_f32_e32 v31, v49, v8
	v_add_u32_e32 v6, 16, v4
	v_add_u32_e32 v7, 17, v4
	;; [unrolled: 1-line block ×3, first 2 shown]
	v_cvt_f32_i32_e32 v6, v6
	v_cvt_f32_i32_e32 v7, v7
	;; [unrolled: 1-line block ×4, first 2 shown]
	v_fma_f32 v34, v49, v6, v34
	v_fmac_f32_e32 v35, v49, v7
	v_fma_f32 v40, v49, v8, v32
	v_add_u32_e32 v6, 32, v4
	v_add_u32_e32 v7, 33, v4
	;; [unrolled: 1-line block ×3, first 2 shown]
	v_cvt_f32_i32_e32 v6, v6
	v_cvt_f32_i32_e32 v7, v7
	;; [unrolled: 1-line block ×4, first 2 shown]
	v_fmac_f32_e32 v33, v49, v9
	v_add_u32_e32 v9, 35, v4
	v_fma_f32 v24, v49, v6, v24
	v_fmac_f32_e32 v25, v49, v7
	v_fma_f32 v22, v49, v8, v22
	v_add_u32_e32 v6, 48, v4
	v_add_u32_e32 v7, 49, v4
	;; [unrolled: 1-line block ×4, first 2 shown]
	v_cvt_f32_i32_e32 v4, v4
	v_cvt_f32_i32_e32 v6, v6
	;; [unrolled: 1-line block ×3, first 2 shown]
	v_fma_f32 v5, v49, v5, v38
	v_fmac_f32_e32 v19, v49, v4
	v_mov_b32_e32 v4, 0xff7fffff
	v_cmp_gt_i32_e64 s[4:5], s33, v2
	v_cmp_gt_i32_e64 s[20:21], s33, v3
	v_fma_f32 v20, v49, v6, v20
	v_cndmask_b32_e64 v6, v4, v5, s[4:5]
	v_cndmask_b32_e64 v3, v4, v39, s[20:21]
	v_fmac_f32_e32 v21, v49, v7
	v_max3_f32 v3, v6, s47, v3
	v_or_b32_e32 v6, 2, v2
	v_or_b32_e32 v7, 3, v2
	v_cmp_gt_i32_e64 s[22:23], s33, v6
	v_cmp_gt_i32_e64 s[24:25], s33, v7
	v_cvt_f32_i32_e32 v9, v9
	v_cndmask_b32_e64 v6, v4, v30, s[22:23]
	v_cndmask_b32_e64 v7, v4, v31, s[24:25]
	v_max3_f32 v3, v3, v6, v7
	v_or_b32_e32 v6, 16, v2
	v_or_b32_e32 v7, 17, v2
	v_cmp_gt_i32_e64 s[26:27], s33, v6
	v_cmp_gt_i32_e64 s[28:29], s33, v7
	v_fmac_f32_e32 v23, v49, v9
	v_cndmask_b32_e64 v6, v4, v34, s[26:27]
	v_cndmask_b32_e64 v7, v4, v35, s[28:29]
	v_max3_f32 v3, v3, v6, v7
	v_or_b32_e32 v6, 18, v2
	v_or_b32_e32 v7, 19, v2
	v_cmp_gt_i32_e64 s[30:31], s33, v6
	v_cmp_gt_i32_e64 s[34:35], s33, v7
	v_cvt_f32_i32_e32 v8, v8
	v_cndmask_b32_e64 v6, v4, v40, s[30:31]
	v_cndmask_b32_e64 v7, v4, v33, s[34:35]
	v_max3_f32 v3, v3, v6, v7
	v_or_b32_e32 v6, 32, v2
	v_or_b32_e32 v7, 33, v2
	v_cmp_gt_i32_e64 s[36:37], s33, v6
	v_cmp_gt_i32_e64 s[38:39], s33, v7
	v_fma_f32 v18, v49, v8, v18
	v_cndmask_b32_e64 v6, v4, v24, s[36:37]
	v_cndmask_b32_e64 v7, v4, v25, s[38:39]
	v_max3_f32 v3, v3, v6, v7
	v_or_b32_e32 v6, 34, v2
	v_or_b32_e32 v7, 35, v2
	v_cmp_gt_i32_e64 s[12:13], s33, v6
	v_cmp_gt_i32_e64 s[14:15], s33, v7
	s_nop 0
	v_cndmask_b32_e64 v6, v4, v22, s[12:13]
	v_cndmask_b32_e64 v7, v4, v23, s[14:15]
	v_max3_f32 v3, v3, v6, v7
	v_or_b32_e32 v6, 48, v2
	v_or_b32_e32 v7, 49, v2
	v_cmp_gt_i32_e64 s[8:9], s33, v6
	v_cmp_gt_i32_e64 s[10:11], s33, v7
	s_nop 0
	v_cndmask_b32_e64 v6, v4, v20, s[8:9]
	v_cndmask_b32_e64 v7, v4, v21, s[10:11]
	v_max3_f32 v3, v3, v6, v7
	v_or_b32_e32 v6, 50, v2
	v_or_b32_e32 v2, 51, v2
	v_cmp_gt_i32_e32 vcc, s33, v6
	v_cmp_gt_i32_e64 s[6:7], s33, v2
	s_nop 0
	v_cndmask_b32_e32 v6, v4, v18, vcc
	v_cndmask_b32_e64 v2, v4, v19, s[6:7]
	v_max3_f32 v4, v3, v6, v2
	v_mbcnt_lo_u32_b32 v2, -1, 0
	v_mbcnt_hi_u32_b32 v6, -1, v2
	v_and_b32_e32 v2, 64, v6
	v_add_u32_e32 v7, 64, v2
	v_xor_b32_e32 v2, 32, v6
	v_cmp_lt_i32_e64 s[40:41], v2, v7
	s_nop 1
	v_cndmask_b32_e64 v2, v6, v2, s[40:41]
	v_lshlrev_b32_e32 v42, 2, v2
	ds_bpermute_b32 v8, v42, v4
	v_mad_i64_i32 v[2:3], s[40:41], v41, s45, v[28:29]
	global_load_dwordx4 v[14:17], v[36:37], off
	global_load_dwordx4 v[10:13], v[2:3], off
	v_xor_b32_e32 v3, 16, v6
	v_cmp_lt_i32_e64 s[40:41], v3, v7
	s_waitcnt lgkmcnt(0)
	v_max_f32_e32 v2, v8, v8
	v_max_f32_e32 v2, v4, v2
	v_cndmask_b32_e64 v3, v6, v3, s[40:41]
	v_lshlrev_b32_e32 v41, 2, v3
	ds_bpermute_b32 v3, v41, v2
	s_waitcnt vmcnt(3)
	v_mad_i64_i32 v[36:37], s[40:41], v51, s45, v[28:29]
	s_waitcnt vmcnt(2)
	v_mad_i64_i32 v[28:29], s[40:41], v52, s45, v[28:29]
	s_waitcnt lgkmcnt(0)
	v_max_f32_e32 v3, v3, v3
	v_max_f32_e32 v32, v2, v3
	v_sub_f32_e32 v2, v5, v32
	v_mul_f32_e32 v2, 0x3fb8aa3b, v2
	v_exp_f32_e32 v38, v2
	v_sub_f32_e32 v2, v39, v32
	v_mul_f32_e32 v2, 0x3fb8aa3b, v2
	v_exp_f32_e32 v39, v2
	global_load_dwordx4 v[6:9], v[36:37], off
	global_load_dwordx4 v[2:5], v[28:29], off
	v_sub_f32_e32 v29, v30, v32
	v_sub_f32_e32 v30, v31, v32
	v_mul_f32_e32 v29, 0x3fb8aa3b, v29
	v_mul_f32_e32 v30, 0x3fb8aa3b, v30
	v_exp_f32_e32 v29, v29
	v_exp_f32_e32 v30, v30
	v_cndmask_b32_e64 v36, 0, v38, s[4:5]
	v_cndmask_b32_e64 v37, 0, v39, s[20:21]
	;; [unrolled: 1-line block ×4, first 2 shown]
	v_sub_f32_e32 v29, v34, v32
	v_sub_f32_e32 v30, v35, v32
	v_mul_f32_e32 v29, 0x3fb8aa3b, v29
	v_mul_f32_e32 v30, 0x3fb8aa3b, v30
	v_exp_f32_e32 v29, v29
	v_exp_f32_e32 v30, v30
	v_add_f32_e32 v28, 0, v36
	v_add_f32_e32 v28, v28, v37
	;; [unrolled: 1-line block ×4, first 2 shown]
	v_cndmask_b32_e64 v28, 0, v29, s[26:27]
	v_cndmask_b32_e64 v29, 0, v30, s[28:29]
	v_sub_f32_e32 v30, v40, v32
	v_mul_f32_e32 v30, 0x3fb8aa3b, v30
	v_sub_f32_e32 v33, v33, v32
	v_exp_f32_e32 v30, v30
	v_mul_f32_e32 v33, 0x3fb8aa3b, v33
	v_sub_f32_e32 v24, v24, v32
	v_exp_f32_e32 v33, v33
	;; [unrolled: 3-line block ×3, first 2 shown]
	v_mul_f32_e32 v25, 0x3fb8aa3b, v25
	v_sub_f32_e32 v22, v22, v32
	v_add_f32_e32 v31, v31, v28
	v_exp_f32_e32 v25, v25
	v_mul_f32_e32 v22, 0x3fb8aa3b, v22
	v_sub_f32_e32 v23, v23, v32
	v_add_f32_e32 v31, v31, v29
	v_cndmask_b32_e64 v30, 0, v30, s[30:31]
	v_exp_f32_e32 v22, v22
	v_mul_f32_e32 v23, 0x3fb8aa3b, v23
	v_sub_f32_e32 v20, v20, v32
	v_add_f32_e32 v34, v31, v30
	v_cndmask_b32_e64 v31, 0, v33, s[34:35]
	;; [unrolled: 5-line block ×5, first 2 shown]
	v_exp_f32_e32 v18, v18
	v_mul_f32_e32 v19, 0x3fb8aa3b, v19
	v_add_f32_e32 v33, v33, v22
	v_cndmask_b32_e64 v23, 0, v23, s[14:15]
	v_exp_f32_e32 v19, v19
	v_add_f32_e32 v33, v33, v23
	v_cndmask_b32_e64 v20, 0, v20, s[8:9]
	v_add_f32_e32 v33, v33, v20
	v_cndmask_b32_e64 v21, 0, v21, s[10:11]
	v_add_f32_e32 v33, v33, v21
	v_cndmask_b32_e32 v18, 0, v18, vcc
	v_add_f32_e32 v33, v33, v18
	v_cndmask_b32_e64 v19, 0, v19, s[6:7]
	v_add_f32_e32 v33, v33, v19
	ds_bpermute_b32 v34, v42, v33
	v_cmp_gt_u32_e32 vcc, 16, v27
	s_waitcnt lgkmcnt(0)
	s_barrier
	v_add_f32_e32 v34, v33, v34
	ds_bpermute_b32 v35, v41, v34
	v_lshlrev_b32_e32 v33, 2, v48
	s_and_saveexec_b64 s[4:5], vcc
	s_cbranch_execz .LBB1095_15
; %bb.14:
	s_waitcnt lgkmcnt(0)
	v_add_f32_e32 v27, v34, v35
	v_lshl_or_b32 v34, v47, 6, v33
	ds_write2st64_b32 v34, v32, v27 offset1:1
.LBB1095_15:
	s_or_b64 exec, exec, s[4:5]
	s_load_dword s6, s[0:1], 0x94
	s_waitcnt lgkmcnt(0)
	s_barrier
	ds_read2_b32 v[34:35], v33 offset1:16
	ds_read2_b32 v[40:41], v33 offset0:32 offset1:48
	ds_read2_b32 v[42:43], v33 offset0:64 offset1:80
	s_movk_i32 s8, 0x7fff
	s_lshl_b32 s7, s46, 3
	s_waitcnt lgkmcnt(2)
	v_max3_f32 v27, v34, s47, v35
	s_waitcnt lgkmcnt(1)
	v_max3_f32 v27, v27, v40, v41
	v_sub_f32_e32 v32, v34, v27
	v_sub_f32_e32 v34, v35, v27
	v_mul_f32_e32 v34, 0x3fb8aa3b, v34
	v_mul_f32_e32 v32, 0x3fb8aa3b, v32
	v_exp_f32_e32 v44, v34
	v_sub_f32_e32 v34, v40, v27
	v_exp_f32_e32 v32, v32
	v_mul_f32_e32 v34, 0x3fb8aa3b, v34
	v_exp_f32_e32 v40, v34
	ds_read2_b32 v[34:35], v33 offset0:96 offset1:112
	v_sub_f32_e32 v33, v41, v27
	v_mul_f32_e32 v33, 0x3fb8aa3b, v33
	v_exp_f32_e32 v41, v33
	s_waitcnt lgkmcnt(1)
	v_fma_f32 v33, v32, v42, 0
	v_fmac_f32_e32 v33, v44, v43
	s_waitcnt lgkmcnt(0)
	v_fmac_f32_e32 v33, v40, v34
	v_fmac_f32_e32 v33, v41, v35
	v_add_f32_e32 v34, 0x358637bd, v33
	v_div_scale_f32 v35, s[4:5], v34, v34, 1.0
	v_rcp_f32_e32 v42, v35
	s_barrier
	v_fma_f32 v43, -v35, v42, 1.0
	v_fmac_f32_e32 v42, v43, v42
	v_div_scale_f32 v43, vcc, 1.0, v34, 1.0
	v_mul_f32_e32 v45, v43, v42
	v_fma_f32 v49, -v35, v45, v43
	v_fmac_f32_e32 v45, v49, v42
	v_fma_f32 v35, -v35, v45, v43
	v_div_fmas_f32 v35, v35, v42, v45
	v_cmp_eq_u32_e32 vcc, 1, v47
	v_div_fixup_f32 v34, v35, v34, 1.0
	s_nop 0
	v_cndmask_b32_e32 v32, v32, v44, vcc
	v_cmp_eq_u32_e32 vcc, 2, v47
	s_nop 1
	v_cndmask_b32_e32 v32, v32, v40, vcc
	v_cmp_eq_u32_e32 vcc, 3, v47
	s_nop 1
	v_cndmask_b32_e32 v32, v32, v41, vcc
	v_mul_f32_e32 v40, v32, v34
	v_pk_mul_f32 v[36:37], v[40:41], v[36:37] op_sel_hi:[0,1]
	v_pk_mul_f32 v[34:35], v[40:41], v[38:39] op_sel_hi:[0,1]
	v_bfe_u32 v32, v37, 16, 1
	v_bfe_u32 v38, v36, 16, 1
	v_add3_u32 v36, v36, v38, s8
	v_add3_u32 v32, v37, v32, s8
	v_perm_b32 v36, v32, v36, s44
	v_bfe_u32 v32, v35, 16, 1
	v_bfe_u32 v37, v34, 16, 1
	v_add3_u32 v34, v34, v37, s8
	v_add3_u32 v32, v35, v32, s8
	v_perm_b32 v37, v32, v34, s44
	v_lshlrev_b32_e32 v32, 3, v1
	v_lshlrev_b32_e32 v34, 5, v48
	;; [unrolled: 1-line block ×3, first 2 shown]
	v_pk_mul_f32 v[28:29], v[40:41], v[28:29] op_sel_hi:[0,1]
	v_or3_b32 v32, v35, v34, v32
	v_bfe_u32 v35, v29, 16, 1
	v_bfe_u32 v38, v28, 16, 1
	v_pk_mul_f32 v[30:31], v[40:41], v[30:31] op_sel_hi:[0,1]
	v_add3_u32 v28, v28, v38, s8
	v_add3_u32 v29, v29, v35, s8
	v_perm_b32 v28, v29, v28, s44
	v_bfe_u32 v29, v31, 16, 1
	v_bfe_u32 v35, v30, 16, 1
	v_add3_u32 v30, v30, v35, s8
	v_add3_u32 v29, v31, v29, s8
	v_perm_b32 v29, v29, v30, s44
	v_pk_mul_f32 v[24:25], v[40:41], v[24:25] op_sel_hi:[0,1]
	ds_write2st64_b64 v32, v[36:37], v[28:29] offset1:1
	v_bfe_u32 v28, v25, 16, 1
	v_bfe_u32 v29, v24, 16, 1
	v_pk_mul_f32 v[22:23], v[40:41], v[22:23] op_sel_hi:[0,1]
	v_add3_u32 v24, v24, v29, s8
	v_add3_u32 v25, v25, v28, s8
	v_perm_b32 v24, v25, v24, s44
	v_bfe_u32 v25, v23, 16, 1
	v_bfe_u32 v28, v22, 16, 1
	v_add3_u32 v22, v22, v28, s8
	v_add3_u32 v23, v23, v25, s8
	v_pk_mul_f32 v[20:21], v[40:41], v[20:21] op_sel_hi:[0,1]
	v_perm_b32 v25, v23, v22, s44
	v_bfe_u32 v22, v21, 16, 1
	v_bfe_u32 v23, v20, 16, 1
	v_pk_mul_f32 v[18:19], v[40:41], v[18:19] op_sel_hi:[0,1]
	v_add3_u32 v20, v20, v23, s8
	v_add3_u32 v21, v21, v22, s8
	v_perm_b32 v20, v21, v20, s44
	v_bfe_u32 v21, v19, 16, 1
	v_bfe_u32 v22, v18, 16, 1
	v_add3_u32 v18, v18, v22, s8
	v_add3_u32 v19, v19, v21, s8
	v_perm_b32 v21, v19, v18, s44
	v_cmp_gt_u32_e32 vcc, 8, v0
	ds_write2st64_b64 v32, v[24:25], v[20:21] offset0:2 offset1:3
	s_and_saveexec_b64 s[4:5], vcc
	s_cbranch_execz .LBB1095_17
; %bb.16:
	v_or_b32_e32 v18, s17, v0
	v_mov_b32_e32 v19, 0
	v_mov_b32_e32 v20, s7
	v_mad_u64_u32 v[20:21], s[10:11], s2, v20, v[18:19]
	v_mov_b32_e32 v18, s16
	s_load_dwordx4 s[12:15], s[0:1], 0x58
	s_mul_i32 s3, s3, s7
	v_mad_u64_u32 v[18:19], s[10:11], v20, s6, v[18:19]
	v_add_u32_e32 v21, s3, v21
	v_mov_b32_e32 v20, v19
	v_mad_u64_u32 v[20:21], s[10:11], v21, s6, v[20:21]
	v_mov_b32_e32 v19, v20
	v_lshlrev_b64 v[18:19], 2, v[18:19]
	s_waitcnt lgkmcnt(0)
	v_lshl_add_u64 v[20:21], s[14:15], 0, v[18:19]
	v_lshl_add_u64 v[18:19], s[12:13], 0, v[18:19]
	global_store_dword v[20:21], v27, off
	global_store_dword v[18:19], v33, off
.LBB1095_17:
	s_or_b64 exec, exec, s[4:5]
	s_waitcnt vmcnt(3)
	v_cvt_pk_f32_fp8_e32 v[18:19], v14
	v_cvt_pk_f32_fp8_sdwa v[20:21], v14 src0_sel:WORD_1
	s_mov_b32 s4, 0x7060302
	v_lshl_or_b32 v14, v1, 9, v34
	s_waitcnt lgkmcnt(0)
	s_barrier
	v_perm_b32 v28, v19, v18, s4
	v_perm_b32 v29, v21, v20, s4
	v_cvt_pk_f32_fp8_e32 v[22:23], v15
	ds_read_b128 v[18:21], v14
	v_cvt_pk_f32_fp8_sdwa v[34:35], v15 src0_sel:WORD_1
	v_cvt_pk_f32_fp8_sdwa v[38:39], v16 src0_sel:WORD_1
	v_perm_b32 v36, v23, v22, s4
	ds_read_b128 v[22:25], v14 offset:16
	v_perm_b32 v37, v35, v34, s4
	s_waitcnt lgkmcnt(1)
	v_mfma_f32_16x16x16_bf16 v[28:31], v[28:29], v[18:19], 0
	v_cvt_pk_f32_fp8_e32 v[34:35], v16
	s_load_dword s10, s[42:43], 0x0
	v_cmp_gt_u32_e32 vcc, 64, v0
	v_mfma_f32_16x16x16_bf16 v[18:21], v[36:37], v[20:21], v[28:31]
	s_waitcnt vmcnt(2)
	v_cvt_pk_f32_fp8_sdwa v[36:37], v10 src0_sel:WORD_1
	s_mov_b32 s3, 0
	v_mov_b32_e32 v27, 0
	v_cvt_pk_f32_fp8_e32 v[28:29], v17
	v_perm_b32 v30, v35, v34, s4
	v_perm_b32 v31, v39, v38, s4
	v_cvt_pk_f32_fp8_sdwa v[16:17], v17 src0_sel:WORD_1
	v_perm_b32 v28, v29, v28, s4
	v_cvt_pk_f32_fp8_e32 v[34:35], v10
	v_perm_b32 v29, v17, v16, s4
	s_waitcnt lgkmcnt(0)
	v_mfma_f32_16x16x16_bf16 v[16:19], v[30:31], v[22:23], v[18:21]
	v_perm_b32 v34, v35, v34, s4
	v_perm_b32 v35, v37, v36, s4
	v_cvt_pk_f32_fp8_e32 v[30:31], v11
	ds_read_b128 v[20:23], v14 offset:2048
	v_cvt_pk_f32_fp8_sdwa v[10:11], v11 src0_sel:WORD_1
	v_mfma_f32_16x16x16_bf16 v[16:19], v[28:29], v[24:25], v[16:19]
	v_perm_b32 v24, v31, v30, s4
	ds_read_b128 v[28:31], v14 offset:2064
	v_perm_b32 v25, v11, v10, s4
	s_waitcnt lgkmcnt(1)
	v_mfma_f32_16x16x16_bf16 v[16:19], v[34:35], v[20:21], v[16:19]
	v_cvt_pk_f32_fp8_e32 v[10:11], v12
	v_cvt_pk_f32_fp8_sdwa v[20:21], v12 src0_sel:WORD_1
	v_perm_b32 v10, v11, v10, s4
	v_mfma_f32_16x16x16_bf16 v[16:19], v[24:25], v[22:23], v[16:19]
	v_cvt_pk_f32_fp8_e32 v[22:23], v13
	v_perm_b32 v11, v21, v20, s4
	v_cvt_pk_f32_fp8_sdwa v[12:13], v13 src0_sel:WORD_1
	s_waitcnt vmcnt(1)
	v_cvt_pk_f32_fp8_sdwa v[24:25], v6 src0_sel:WORD_1
	v_perm_b32 v20, v23, v22, s4
	v_cvt_pk_f32_fp8_e32 v[22:23], v6
	v_perm_b32 v21, v13, v12, s4
	s_waitcnt lgkmcnt(0)
	v_mfma_f32_16x16x16_bf16 v[10:13], v[10:11], v[28:29], v[16:19]
	v_perm_b32 v29, v25, v24, s4
	v_perm_b32 v28, v23, v22, s4
	v_cvt_pk_f32_fp8_e32 v[22:23], v7
	ds_read_b128 v[16:19], v14 offset:4096
	v_cvt_pk_f32_fp8_sdwa v[6:7], v7 src0_sel:WORD_1
	v_mfma_f32_16x16x16_bf16 v[10:13], v[20:21], v[30:31], v[10:13]
	v_perm_b32 v24, v23, v22, s4
	ds_read_b128 v[20:23], v14 offset:4112
	v_perm_b32 v25, v7, v6, s4
	s_waitcnt lgkmcnt(1)
	v_mfma_f32_16x16x16_bf16 v[10:13], v[28:29], v[16:17], v[10:13]
	v_cvt_pk_f32_fp8_e32 v[6:7], v8
	v_cvt_pk_f32_fp8_sdwa v[16:17], v8 src0_sel:WORD_1
	v_perm_b32 v6, v7, v6, s4
	v_mfma_f32_16x16x16_bf16 v[10:13], v[24:25], v[18:19], v[10:13]
	v_cvt_pk_f32_fp8_e32 v[18:19], v9
	v_perm_b32 v7, v17, v16, s4
	v_cvt_pk_f32_fp8_sdwa v[8:9], v9 src0_sel:WORD_1
	s_waitcnt vmcnt(0)
	v_cvt_pk_f32_fp8_sdwa v[24:25], v2 src0_sel:WORD_1
	v_perm_b32 v16, v19, v18, s4
	v_cvt_pk_f32_fp8_e32 v[18:19], v2
	v_perm_b32 v17, v9, v8, s4
	s_waitcnt lgkmcnt(0)
	v_mfma_f32_16x16x16_bf16 v[6:9], v[6:7], v[20:21], v[10:13]
	v_cvt_pk_f32_fp8_e32 v[20:21], v3
	v_perm_b32 v18, v19, v18, s4
	v_perm_b32 v19, v25, v24, s4
	ds_read_b128 v[10:13], v14 offset:6144
	v_cvt_pk_f32_fp8_sdwa v[2:3], v3 src0_sel:WORD_1
	v_mfma_f32_16x16x16_bf16 v[6:9], v[16:17], v[22:23], v[6:9]
	v_perm_b32 v20, v21, v20, s4
	ds_read_b128 v[14:17], v14 offset:6160
	v_perm_b32 v21, v3, v2, s4
	s_waitcnt lgkmcnt(1)
	v_mfma_f32_16x16x16_bf16 v[6:9], v[18:19], v[10:11], v[6:9]
	v_cvt_pk_f32_fp8_e32 v[2:3], v4
	v_cvt_pk_f32_fp8_sdwa v[10:11], v4 src0_sel:WORD_1
	s_waitcnt lgkmcnt(0)
	v_mfma_f32_16x16x16_bf16 v[6:9], v[20:21], v[12:13], v[6:9]
	v_perm_b32 v2, v3, v2, s4
	v_perm_b32 v3, v11, v10, s4
	v_cvt_pk_f32_fp8_e32 v[10:11], v5
	v_cvt_pk_f32_fp8_sdwa v[4:5], v5 src0_sel:WORD_1
	s_barrier
	v_perm_b32 v10, v11, v10, s4
	v_perm_b32 v11, v5, v4, s4
	v_mfma_f32_16x16x16_bf16 v[2:5], v[2:3], v[14:15], v[6:9]
	s_nop 0
	v_mfma_f32_16x16x16_bf16 v[2:5], v[10:11], v[16:17], v[2:5]
	s_nop 6
	v_pk_mul_f32 v[2:3], v[2:3], s[10:11] op_sel_hi:[1,0]
	v_pk_mul_f32 v[4:5], v[4:5], s[10:11] op_sel_hi:[1,0]
	v_bfe_u32 v6, v3, 16, 1
	v_bfe_u32 v7, v2, 16, 1
	v_add3_u32 v2, v2, v7, s8
	v_add3_u32 v3, v3, v6, s8
	v_perm_b32 v2, v3, v2, s4
	v_bfe_u32 v3, v5, 16, 1
	v_bfe_u32 v6, v4, 16, 1
	v_add3_u32 v4, v4, v6, s8
	v_add3_u32 v3, v5, v3, s8
	v_perm_b32 v3, v3, v4, s4
	s_and_b64 s[4:5], vcc, s[18:19]
	ds_write_b64 v32, v[2:3]
	s_waitcnt lgkmcnt(0)
	s_barrier
	s_and_saveexec_b64 s[8:9], s[4:5]
	s_cbranch_execz .LBB1095_19
; %bb.18:
	s_load_dwordx2 s[0:1], s[0:1], 0x68
	s_lshl_b32 s6, s6, 6
	s_mul_i32 s2, s7, s2
	s_mul_hi_u32 s5, s2, s6
	s_mul_i32 s4, s2, s6
	s_lshl_b64 s[4:5], s[4:5], 1
	v_lshlrev_b32_e32 v0, 10, v0
	s_waitcnt lgkmcnt(0)
	s_add_u32 s4, s0, s4
	v_and_b32_e32 v0, 0x1800, v0
	v_lshlrev_b32_e32 v2, 5, v1
	v_and_b32_e32 v3, 16, v46
	s_addc_u32 s5, s1, s5
	s_lshl_b32 s2, s16, 6
	v_or3_b32 v0, v0, v2, v3
	s_lshl_b64 s[0:1], s[2:3], 1
	ds_read_b128 v[2:5], v0
	ds_read_b128 v[6:9], v0 offset:128
	s_add_u32 s0, s4, s0
	s_addc_u32 s1, s5, s1
	v_or_b32_e32 v12, s17, v1
	v_lshl_add_u64 v[10:11], s[0:1], 0, v[26:27]
	v_mad_u64_u32 v[0:1], s[0:1], v12, s6, 0
	v_lshl_add_u64 v[0:1], v[0:1], 1, v[10:11]
	s_waitcnt lgkmcnt(1)
	global_store_dwordx4 v[0:1], v[2:5], off
	v_or_b32_e32 v0, 4, v12
	v_mad_u64_u32 v[0:1], s[0:1], v0, s6, 0
	v_lshl_add_u64 v[0:1], v[0:1], 1, v[10:11]
	s_waitcnt lgkmcnt(0)
	global_store_dwordx4 v[0:1], v[6:9], off
.LBB1095_19:
	s_endpgm
	.section	.rodata,"a",@progbits
	.p2align	6, 0x0
	.amdhsa_kernel _Z39paged_attention_ll4mi_QKV_mfma16_kernelI14__hip_bfloat16hLN4vllm18Fp8KVCacheDataTypeE1EhLi16ELi64ELi256ELb1ELi8EEvPKT_PKT0_S8_ifPKiSA_SA_iPKfiiiPfSD_PS3_PT2_iSC_SC_
		.amdhsa_group_segment_fixed_size 8192
		.amdhsa_private_segment_fixed_size 0
		.amdhsa_kernarg_size 400
		.amdhsa_user_sgpr_count 2
		.amdhsa_user_sgpr_dispatch_ptr 0
		.amdhsa_user_sgpr_queue_ptr 0
		.amdhsa_user_sgpr_kernarg_segment_ptr 1
		.amdhsa_user_sgpr_dispatch_id 0
		.amdhsa_user_sgpr_kernarg_preload_length 0
		.amdhsa_user_sgpr_kernarg_preload_offset 0
		.amdhsa_user_sgpr_private_segment_size 0
		.amdhsa_uses_dynamic_stack 0
		.amdhsa_enable_private_segment 0
		.amdhsa_system_sgpr_workgroup_id_x 1
		.amdhsa_system_sgpr_workgroup_id_y 1
		.amdhsa_system_sgpr_workgroup_id_z 1
		.amdhsa_system_sgpr_workgroup_info 0
		.amdhsa_system_vgpr_workitem_id 0
		.amdhsa_next_free_vgpr 70
		.amdhsa_next_free_sgpr 48
		.amdhsa_accum_offset 72
		.amdhsa_reserve_vcc 1
		.amdhsa_float_round_mode_32 0
		.amdhsa_float_round_mode_16_64 0
		.amdhsa_float_denorm_mode_32 3
		.amdhsa_float_denorm_mode_16_64 3
		.amdhsa_dx10_clamp 1
		.amdhsa_ieee_mode 1
		.amdhsa_fp16_overflow 0
		.amdhsa_tg_split 0
		.amdhsa_exception_fp_ieee_invalid_op 0
		.amdhsa_exception_fp_denorm_src 0
		.amdhsa_exception_fp_ieee_div_zero 0
		.amdhsa_exception_fp_ieee_overflow 0
		.amdhsa_exception_fp_ieee_underflow 0
		.amdhsa_exception_fp_ieee_inexact 0
		.amdhsa_exception_int_div_zero 0
	.end_amdhsa_kernel
	.section	.text._Z39paged_attention_ll4mi_QKV_mfma16_kernelI14__hip_bfloat16hLN4vllm18Fp8KVCacheDataTypeE1EhLi16ELi64ELi256ELb1ELi8EEvPKT_PKT0_S8_ifPKiSA_SA_iPKfiiiPfSD_PS3_PT2_iSC_SC_,"axG",@progbits,_Z39paged_attention_ll4mi_QKV_mfma16_kernelI14__hip_bfloat16hLN4vllm18Fp8KVCacheDataTypeE1EhLi16ELi64ELi256ELb1ELi8EEvPKT_PKT0_S8_ifPKiSA_SA_iPKfiiiPfSD_PS3_PT2_iSC_SC_,comdat
.Lfunc_end1095:
	.size	_Z39paged_attention_ll4mi_QKV_mfma16_kernelI14__hip_bfloat16hLN4vllm18Fp8KVCacheDataTypeE1EhLi16ELi64ELi256ELb1ELi8EEvPKT_PKT0_S8_ifPKiSA_SA_iPKfiiiPfSD_PS3_PT2_iSC_SC_, .Lfunc_end1095-_Z39paged_attention_ll4mi_QKV_mfma16_kernelI14__hip_bfloat16hLN4vllm18Fp8KVCacheDataTypeE1EhLi16ELi64ELi256ELb1ELi8EEvPKT_PKT0_S8_ifPKiSA_SA_iPKfiiiPfSD_PS3_PT2_iSC_SC_
                                        ; -- End function
	.section	.AMDGPU.csdata,"",@progbits
; Kernel info:
; codeLenInByte = 5064
; NumSgprs: 54
; NumVgprs: 70
; NumAgprs: 0
; TotalNumVgprs: 70
; ScratchSize: 0
; MemoryBound: 0
; FloatMode: 240
; IeeeMode: 1
; LDSByteSize: 8192 bytes/workgroup (compile time only)
; SGPRBlocks: 6
; VGPRBlocks: 8
; NumSGPRsForWavesPerEU: 54
; NumVGPRsForWavesPerEU: 70
; AccumOffset: 72
; Occupancy: 7
; WaveLimiterHint : 1
; COMPUTE_PGM_RSRC2:SCRATCH_EN: 0
; COMPUTE_PGM_RSRC2:USER_SGPR: 2
; COMPUTE_PGM_RSRC2:TRAP_HANDLER: 0
; COMPUTE_PGM_RSRC2:TGID_X_EN: 1
; COMPUTE_PGM_RSRC2:TGID_Y_EN: 1
; COMPUTE_PGM_RSRC2:TGID_Z_EN: 1
; COMPUTE_PGM_RSRC2:TIDIG_COMP_CNT: 0
; COMPUTE_PGM_RSRC3_GFX90A:ACCUM_OFFSET: 17
; COMPUTE_PGM_RSRC3_GFX90A:TG_SPLIT: 0
	.section	.text._Z39paged_attention_ll4mi_QKV_mfma16_kernelI14__hip_bfloat16hLN4vllm18Fp8KVCacheDataTypeE1EhLi16ELi64ELi256ELb1ELi9EEvPKT_PKT0_S8_ifPKiSA_SA_iPKfiiiPfSD_PS3_PT2_iSC_SC_,"axG",@progbits,_Z39paged_attention_ll4mi_QKV_mfma16_kernelI14__hip_bfloat16hLN4vllm18Fp8KVCacheDataTypeE1EhLi16ELi64ELi256ELb1ELi9EEvPKT_PKT0_S8_ifPKiSA_SA_iPKfiiiPfSD_PS3_PT2_iSC_SC_,comdat
	.protected	_Z39paged_attention_ll4mi_QKV_mfma16_kernelI14__hip_bfloat16hLN4vllm18Fp8KVCacheDataTypeE1EhLi16ELi64ELi256ELb1ELi9EEvPKT_PKT0_S8_ifPKiSA_SA_iPKfiiiPfSD_PS3_PT2_iSC_SC_ ; -- Begin function _Z39paged_attention_ll4mi_QKV_mfma16_kernelI14__hip_bfloat16hLN4vllm18Fp8KVCacheDataTypeE1EhLi16ELi64ELi256ELb1ELi9EEvPKT_PKT0_S8_ifPKiSA_SA_iPKfiiiPfSD_PS3_PT2_iSC_SC_
	.globl	_Z39paged_attention_ll4mi_QKV_mfma16_kernelI14__hip_bfloat16hLN4vllm18Fp8KVCacheDataTypeE1EhLi16ELi64ELi256ELb1ELi9EEvPKT_PKT0_S8_ifPKiSA_SA_iPKfiiiPfSD_PS3_PT2_iSC_SC_
	.p2align	8
	.type	_Z39paged_attention_ll4mi_QKV_mfma16_kernelI14__hip_bfloat16hLN4vllm18Fp8KVCacheDataTypeE1EhLi16ELi64ELi256ELb1ELi9EEvPKT_PKT0_S8_ifPKiSA_SA_iPKfiiiPfSD_PS3_PT2_iSC_SC_,@function
_Z39paged_attention_ll4mi_QKV_mfma16_kernelI14__hip_bfloat16hLN4vllm18Fp8KVCacheDataTypeE1EhLi16ELi64ELi256ELb1ELi9EEvPKT_PKT0_S8_ifPKiSA_SA_iPKfiiiPfSD_PS3_PT2_iSC_SC_: ; @_Z39paged_attention_ll4mi_QKV_mfma16_kernelI14__hip_bfloat16hLN4vllm18Fp8KVCacheDataTypeE1EhLi16ELi64ELi256ELb1ELi9EEvPKT_PKT0_S8_ifPKiSA_SA_iPKfiiiPfSD_PS3_PT2_iSC_SC_
; %bb.0:
	s_load_dwordx2 s[6:7], s[0:1], 0x30
	s_mov_b32 s28, s3
	s_mov_b64 s[8:9], 0
	s_waitcnt lgkmcnt(0)
	s_cmp_lg_u64 s[6:7], 0
	s_cselect_b64 s[10:11], -1, 0
	s_and_b64 vcc, exec, s[10:11]
	s_cbranch_vccz .LBB1096_7
; %bb.1:
	s_add_i32 s12, s2, 1
	s_mov_b32 s13, 0
	s_lshl_b64 s[14:15], s[12:13], 2
	s_add_u32 s14, s6, s14
	s_mov_b32 s3, s13
	s_addc_u32 s15, s7, s15
	s_lshl_b64 s[12:13], s[2:3], 2
	s_add_u32 s12, s6, s12
	s_addc_u32 s13, s7, s13
	s_load_dword s5, s[14:15], 0x0
	s_load_dword s16, s[12:13], 0x0
	s_waitcnt lgkmcnt(0)
	s_sub_i32 s5, s5, s16
	s_cmp_eq_u32 s5, 1
	s_cselect_b64 s[12:13], -1, 0
	s_andn2_b64 vcc, exec, s[8:9]
	s_cbranch_vccnz .LBB1096_3
.LBB1096_2:
	s_mov_b32 s3, 0
	s_mov_b64 s[12:13], -1
.LBB1096_3:
	s_andn2_b64 vcc, exec, s[12:13]
	s_cbranch_vccnz .LBB1096_20
; %bb.4:
	s_load_dwordx2 s[8:9], s[0:1], 0x28
	s_lshl_b64 s[12:13], s[2:3], 2
	s_waitcnt lgkmcnt(0)
	s_add_u32 s8, s8, s12
	s_addc_u32 s9, s9, s13
	s_load_dword s29, s[8:9], 0x0
	s_lshl_b32 s16, s28, 8
	s_waitcnt lgkmcnt(0)
	s_cmp_ge_i32 s16, s29
	s_cbranch_scc1 .LBB1096_20
; %bb.5:
	s_load_dwordx2 s[8:9], s[0:1], 0x20
	s_load_dword s5, s[0:1], 0x38
	s_add_i32 s14, s29, 15
	s_ashr_i32 s15, s14, 31
	v_and_b32_e32 v1, 0xcf, v0
	s_lshr_b32 s15, s15, 28
	v_add_u32_e32 v1, s16, v1
	s_add_i32 s14, s14, s15
	v_ashrrev_i32_e32 v2, 31, v1
	s_ashr_i32 s17, s14, 4
	v_lshrrev_b32_e32 v4, 28, v2
	s_add_i32 s17, s17, -1
	s_waitcnt lgkmcnt(0)
	s_mul_i32 s14, s2, s5
	s_mov_b32 s15, 0
	v_add_u32_e32 v2, v1, v4
	s_lshl_b64 s[14:15], s[14:15], 2
	v_ashrrev_i32_e32 v2, 4, v2
	v_mov_b32_e32 v5, s17
	v_cmp_gt_i32_e32 vcc, s29, v1
	s_add_u32 s8, s8, s14
	s_addc_u32 s9, s9, s15
	v_cndmask_b32_e32 v2, v5, v2, vcc
	v_ashrrev_i32_e32 v3, 31, v2
	v_lshl_add_u64 v[6:7], v[2:3], 2, s[8:9]
	v_or_b32_e32 v2, 16, v1
	v_add_u32_e32 v3, v2, v4
	v_ashrrev_i32_e32 v3, 4, v3
	v_cmp_gt_i32_e32 vcc, s29, v2
	s_load_dwordx2 s[14:15], s[0:1], 0x8
	s_nop 0
	v_cndmask_b32_e32 v2, v5, v3, vcc
	v_ashrrev_i32_e32 v3, 31, v2
	v_lshl_add_u64 v[8:9], v[2:3], 2, s[8:9]
	v_or_b32_e32 v2, 32, v1
	v_add_u32_e32 v3, v2, v4
	v_ashrrev_i32_e32 v3, 4, v3
	v_cmp_gt_i32_e32 vcc, s29, v2
	v_or_b32_e32 v1, 48, v1
	s_nop 0
	v_cndmask_b32_e32 v2, v5, v3, vcc
	v_ashrrev_i32_e32 v3, 31, v2
	v_lshl_add_u64 v[10:11], v[2:3], 2, s[8:9]
	v_add_u32_e32 v2, v1, v4
	v_ashrrev_i32_e32 v2, 4, v2
	v_cmp_gt_i32_e32 vcc, s29, v1
	s_nop 1
	v_cndmask_b32_e32 v2, v5, v2, vcc
	v_ashrrev_i32_e32 v3, 31, v2
	v_lshl_add_u64 v[12:13], v[2:3], 2, s[8:9]
	global_load_dword v5, v[6:7], off
	global_load_dword v4, v[8:9], off
	;; [unrolled: 1-line block ×4, first 2 shown]
	s_andn2_b64 vcc, exec, s[10:11]
	s_cbranch_vccnz .LBB1096_8
; %bb.6:
	s_add_u32 s6, s6, s12
	s_addc_u32 s7, s7, s13
	s_load_dword s5, s[6:7], 0x0
	s_branch .LBB1096_9
.LBB1096_7:
	s_mov_b64 s[12:13], 0
	s_branch .LBB1096_2
.LBB1096_8:
	s_mov_b32 s5, s2
.LBB1096_9:
	s_load_dwordx2 s[6:7], s[0:1], 0x10
	s_load_dwordx4 s[44:47], s[0:1], 0x48
	v_lshrrev_b32_e32 v29, 6, v0
	v_bfe_u32 v42, v0, 4, 2
	v_lshl_or_b32 v6, v29, 2, v42
	v_and_b32_e32 v28, 15, v0
	v_lshlrev_b32_e32 v1, 3, v28
	v_cmp_gt_u32_e32 vcc, 9, v6
	v_cmp_gt_u32_e64 s[30:31], 8, v28
	s_mul_i32 s48, s4, 9
	s_and_b64 s[12:13], s[30:31], vcc
	v_lshlrev_b32_e32 v26, 1, v1
	v_lshlrev_b32_e32 v1, 4, v0
	s_and_saveexec_b64 s[10:11], s[12:13]
	s_cbranch_execz .LBB1096_11
; %bb.10:
	s_load_dwordx2 s[12:13], s[0:1], 0x0
	s_waitcnt lgkmcnt(0)
	s_ashr_i32 s18, s44, 31
	s_mul_hi_u32 s19, s5, s44
	s_mul_i32 s18, s5, s18
	s_add_i32 s19, s19, s18
	s_mul_i32 s18, s5, s44
	s_lshl_b64 s[18:19], s[18:19], 1
	s_add_u32 s12, s12, s18
	v_add_lshl_u32 v8, v6, s48, 6
	s_addc_u32 s13, s13, s19
	v_ashrrev_i32_e32 v9, 31, v8
	v_lshl_add_u64 v[8:9], v[8:9], 1, s[12:13]
	v_mov_b32_e32 v27, 0
	v_lshl_add_u64 v[8:9], v[8:9], 0, v[26:27]
	global_load_dwordx4 v[8:11], v[8:9], off
	v_lshlrev_b32_e32 v12, 8, v28
	v_lshlrev_b32_e32 v6, 5, v6
	v_and_b32_e32 v7, 16, v1
	v_and_b32_e32 v12, 0xe00, v12
	v_or3_b32 v6, v12, v6, v7
	s_waitcnt vmcnt(0)
	ds_write_b128 v6, v[8:11]
.LBB1096_11:
	s_or_b64 exec, exec, s[10:11]
	s_waitcnt lgkmcnt(0)
	s_mul_i32 s10, s4, s46
	s_add_u32 s4, s14, s10
	s_addc_u32 s5, s15, 0
	v_and_b32_e32 v32, 48, v0
	v_and_b32_e32 v30, 0xf0, v1
	v_mov_b32_e32 v31, 0
	v_lshl_add_u64 v[6:7], s[4:5], 0, v[30:31]
	v_lshlrev_b32_e32 v30, 4, v32
	v_lshl_add_u64 v[6:7], v[6:7], 0, v[30:31]
	s_waitcnt vmcnt(3)
	v_mad_i64_i32 v[8:9], s[4:5], v5, s45, v[6:7]
	s_waitcnt vmcnt(2)
	v_mad_i64_i32 v[4:5], s[4:5], v4, s45, v[6:7]
	s_barrier
	global_load_dwordx4 v[22:25], v[8:9], off
	global_load_dwordx4 v[18:21], v[4:5], off
	s_waitcnt vmcnt(3)
	v_mad_i64_i32 v[4:5], s[4:5], v3, s45, v[6:7]
	s_waitcnt vmcnt(2)
	v_mad_i64_i32 v[2:3], s[4:5], v2, s45, v[6:7]
	global_load_dwordx4 v[14:17], v[4:5], off
	global_load_dwordx4 v[6:9], v[2:3], off
	v_add_u32_e32 v2, -9, v28
	v_cmp_gt_u32_e32 vcc, 9, v28
	v_and_b32_e32 v27, 63, v0
	v_mov_b32_e32 v43, 0
	v_cndmask_b32_e32 v2, v2, v28, vcc
	v_lshlrev_b32_e32 v2, 5, v2
	v_lshl_add_u32 v2, v42, 9, v2
	ds_read_b128 v[10:13], v2
	ds_read_b128 v[2:5], v2 offset:16
	s_and_saveexec_b64 s[4:5], vcc
	s_cbranch_execz .LBB1096_13
; %bb.12:
	s_load_dwordx2 s[12:13], s[0:1], 0x40
	v_add_u32_e32 v34, s48, v28
	v_ashrrev_i32_e32 v35, 31, v34
	s_waitcnt lgkmcnt(0)
	v_lshl_add_u64 v[34:35], v[34:35], 2, s[12:13]
	global_load_dword v43, v[34:35], off
.LBB1096_13:
	s_or_b64 exec, exec, s[4:5]
	v_or_b32_e32 v62, s16, v32
	v_ashrrev_i32_e32 v30, 4, v62
	v_mov_b32_e32 v63, s17
	v_cmp_gt_i32_e32 vcc, s29, v62
	s_waitcnt vmcnt(2)
	v_cvt_pk_f32_fp8_e32 v[52:53], v20
	v_cvt_pk_f32_fp8_sdwa v[54:55], v20 src0_sel:WORD_1
	v_cndmask_b32_e32 v20, v63, v30, vcc
	v_cvt_pk_f32_fp8_e32 v[56:57], v21
	v_cvt_pk_f32_fp8_sdwa v[58:59], v21 src0_sel:WORD_1
	v_ashrrev_i32_e32 v21, 31, v20
	v_cvt_pk_f32_fp8_e32 v[40:41], v22
	v_cvt_pk_f32_fp8_sdwa v[44:45], v22 src0_sel:WORD_1
	v_lshl_add_u64 v[20:21], v[20:21], 2, s[8:9]
	v_cvt_pk_f32_fp8_e32 v[46:47], v18
	v_cvt_pk_f32_fp8_sdwa v[48:49], v18 src0_sel:WORD_1
	global_load_dword v64, v[20:21], off
	s_mov_b32 s33, 0x7060302
	v_cvt_pk_f32_fp8_e32 v[32:33], v23
	v_cvt_pk_f32_fp8_sdwa v[34:35], v23 src0_sel:WORD_1
	v_perm_b32 v20, v41, v40, s33
	v_perm_b32 v21, v45, v44, s33
	v_cvt_pk_f32_fp8_e32 v[38:39], v24
	v_cvt_pk_f32_fp8_sdwa v[36:37], v24 src0_sel:WORD_1
	v_cvt_pk_f32_fp8_e32 v[50:51], v19
	v_cvt_pk_f32_fp8_sdwa v[18:19], v19 src0_sel:WORD_1
	v_perm_b32 v44, v47, v46, s33
	v_perm_b32 v45, v49, v48, s33
	v_cvt_pk_f32_fp8_e32 v[22:23], v25
	s_waitcnt vmcnt(2)
	v_cvt_pk_f32_fp8_e32 v[40:41], v14
	v_cvt_pk_f32_fp8_sdwa v[46:47], v14 src0_sel:WORD_1
	v_perm_b32 v48, v33, v32, s33
	v_perm_b32 v49, v35, v34, s33
	v_or_b32_e32 v14, 64, v62
	v_or_b32_e32 v32, 0xc0, v62
	v_cvt_pk_f32_fp8_sdwa v[24:25], v25 src0_sel:WORD_1
	s_load_dword s11, s[0:1], 0x1c
	s_load_dwordx4 s[40:43], s[0:1], 0x80
	v_perm_b32 v38, v39, v38, s33
	v_perm_b32 v39, v37, v36, s33
	v_or_b32_e32 v65, 0x80, v62
	v_ashrrev_i32_e32 v62, 4, v14
	v_cmp_gt_i32_e32 vcc, s29, v32
	v_ashrrev_i32_e32 v66, 4, v32
	v_cmp_gt_i32_e64 s[4:5], s29, v14
	v_perm_b32 v36, v51, v50, s33
	v_perm_b32 v37, v19, v18, s33
	s_waitcnt lgkmcnt(0)
	v_mfma_f32_16x16x16_bf16 v[32:35], v[20:21], v[10:11], 0
	s_add_u32 s6, s6, s10
	v_lshlrev_b32_e32 v30, 4, v28
	v_cndmask_b32_e64 v50, v63, v62, s[4:5]
	v_perm_b32 v62, v23, v22, s33
	v_mfma_f32_16x16x16_bf16 v[20:23], v[44:45], v[10:11], 0
	v_lshl_or_b32 v30, v29, 8, v30
	s_addc_u32 s7, s7, 0
	v_ashrrev_i32_e32 v14, 4, v65
	v_lshl_add_u64 v[18:19], s[6:7], 0, v[30:31]
	v_cmp_gt_i32_e64 s[6:7], s29, v65
	v_mfma_f32_16x16x16_bf16 v[30:33], v[48:49], v[12:13], v[32:35]
	v_cndmask_b32_e32 v48, v63, v66, vcc
	s_load_dword s4, s[40:41], 0x0
	v_cvt_pk_f32_fp8_e32 v[60:61], v15
	v_cndmask_b32_e64 v34, v63, v14, s[6:7]
	v_perm_b32 v63, v25, v24, s33
	v_perm_b32 v24, v53, v52, s33
	;; [unrolled: 1-line block ×3, first 2 shown]
	v_mfma_f32_16x16x16_bf16 v[20:23], v[36:37], v[12:13], v[20:23]
	v_perm_b32 v40, v41, v40, s33
	v_perm_b32 v41, v47, v46, s33
	v_ashrrev_i32_e32 v51, 31, v50
	v_mfma_f32_16x16x16_bf16 v[20:23], v[24:25], v[2:3], v[20:23]
	v_mov_b32_e32 v24, s11
	s_waitcnt lgkmcnt(0)
	v_mul_f32_e32 v54, s4, v24
	v_cvt_pk_f32_fp8_sdwa v[24:25], v15 src0_sel:WORD_1
	v_mfma_f32_16x16x16_bf16 v[30:33], v[38:39], v[2:3], v[30:33]
	v_ashrrev_i32_e32 v35, 31, v34
	v_ashrrev_i32_e32 v49, 31, v48
	v_lshl_add_u64 v[36:37], v[50:51], 2, s[8:9]
	v_lshl_add_u64 v[34:35], v[34:35], 2, s[8:9]
	v_lshl_add_u64 v[48:49], v[48:49], 2, s[8:9]
	global_load_dword v14, v[36:37], off
	global_load_dword v44, v[34:35], off
	;; [unrolled: 1-line block ×3, first 2 shown]
	v_perm_b32 v46, v61, v60, s33
	v_cvt_pk_f32_fp8_e32 v[48:49], v16
	v_cvt_pk_f32_fp8_sdwa v[50:51], v16 src0_sel:WORD_1
	v_perm_b32 v47, v25, v24, s33
	v_mfma_f32_16x16x16_bf16 v[36:39], v[62:63], v[4:5], v[30:33]
	v_perm_b32 v24, v49, v48, s33
	v_perm_b32 v25, v51, v50, s33
	;; [unrolled: 1-line block ×3, first 2 shown]
	v_mfma_f32_16x16x16_bf16 v[30:33], v[40:41], v[10:11], 0
	v_cvt_pk_f32_fp8_e32 v[40:41], v17
	v_cvt_pk_f32_fp8_sdwa v[16:17], v17 src0_sel:WORD_1
	v_perm_b32 v53, v59, v58, s33
	v_mfma_f32_16x16x16_bf16 v[46:49], v[46:47], v[12:13], v[30:33]
	s_mov_b32 s44, 0xff7fffff
	s_waitcnt vmcnt(3)
	v_mad_i64_i32 v[34:35], s[4:5], v64, s45, v[18:19]
	v_perm_b32 v32, v41, v40, s33
	v_perm_b32 v33, v17, v16, s33
	v_mfma_f32_16x16x16_bf16 v[46:49], v[24:25], v[2:3], v[46:49]
	v_cvt_pk_f32_fp8_e32 v[16:17], v6
	v_cvt_pk_f32_fp8_sdwa v[24:25], v6 src0_sel:WORD_1
	v_pk_mul_f32 v[30:31], v[54:55], v[38:39] op_sel_hi:[0,1]
	v_mfma_f32_16x16x16_bf16 v[46:49], v[32:33], v[4:5], v[46:49]
	v_cvt_pk_f32_fp8_e32 v[32:33], v7
	v_perm_b32 v16, v17, v16, s33
	v_perm_b32 v17, v25, v24, s33
	v_cvt_pk_f32_fp8_sdwa v[6:7], v7 src0_sel:WORD_1
	v_pk_mul_f32 v[38:39], v[54:55], v[36:37] op_sel_hi:[0,1]
	v_perm_b32 v24, v33, v32, s33
	v_cvt_pk_f32_fp8_e32 v[32:33], v8
	v_cvt_pk_f32_fp8_sdwa v[36:37], v8 src0_sel:WORD_1
	v_perm_b32 v25, v7, v6, s33
	v_mfma_f32_16x16x16_bf16 v[20:23], v[52:53], v[4:5], v[20:23]
	v_mfma_f32_16x16x16_bf16 v[50:53], v[16:17], v[10:11], 0
	v_perm_b32 v10, v33, v32, s33
	v_perm_b32 v11, v37, v36, s33
	v_cvt_pk_f32_fp8_e32 v[16:17], v9
	v_cvt_pk_f32_fp8_sdwa v[32:33], v9 src0_sel:WORD_1
	v_mfma_f32_16x16x16_bf16 v[6:9], v[24:25], v[12:13], v[50:53]
	s_nop 0
	v_pk_mul_f32 v[36:37], v[54:55], v[22:23] op_sel_hi:[0,1]
	v_perm_b32 v12, v17, v16, s33
	v_perm_b32 v13, v33, v32, s33
	v_mfma_f32_16x16x16_bf16 v[6:9], v[10:11], v[2:3], v[6:9]
	v_pk_mul_f32 v[40:41], v[54:55], v[20:21] op_sel_hi:[0,1]
	v_pk_mul_f32 v[24:25], v[54:55], v[48:49] op_sel_hi:[0,1]
	;; [unrolled: 1-line block ×3, first 2 shown]
	v_mfma_f32_16x16x16_bf16 v[2:5], v[12:13], v[4:5], v[6:9]
	s_nop 6
	v_pk_mul_f32 v[22:23], v[54:55], v[2:3] op_sel_hi:[0,1]
	v_and_b32_e32 v2, 0xc0, v0
	v_add_u32_e32 v2, s16, v2
	v_lshl_or_b32 v2, v42, 2, v2
	v_or_b32_e32 v3, 1, v2
	v_pk_mul_f32 v[20:21], v[54:55], v[4:5] op_sel_hi:[0,1]
	v_subrev_u32_e32 v4, s29, v3
	v_add_u32_e32 v6, 1, v4
	v_add_u32_e32 v7, 2, v4
	;; [unrolled: 1-line block ×3, first 2 shown]
	v_cvt_f32_i32_e32 v6, v6
	v_cvt_f32_i32_e32 v7, v7
	;; [unrolled: 1-line block ×3, first 2 shown]
	v_add_u32_e32 v9, 19, v4
	v_fmac_f32_e32 v39, v43, v6
	v_fma_f32 v30, v43, v7, v30
	v_fmac_f32_e32 v31, v43, v8
	v_add_u32_e32 v6, 16, v4
	v_add_u32_e32 v7, 17, v4
	;; [unrolled: 1-line block ×3, first 2 shown]
	v_cvt_f32_i32_e32 v6, v6
	v_cvt_f32_i32_e32 v7, v7
	;; [unrolled: 1-line block ×4, first 2 shown]
	v_fma_f32 v40, v43, v6, v40
	v_fmac_f32_e32 v41, v43, v7
	v_fma_f32 v36, v43, v8, v36
	v_add_u32_e32 v6, 32, v4
	v_add_u32_e32 v7, 33, v4
	v_add_u32_e32 v8, 34, v4
	v_cvt_f32_i32_e32 v6, v6
	v_cvt_f32_i32_e32 v7, v7
	;; [unrolled: 1-line block ×4, first 2 shown]
	v_fmac_f32_e32 v37, v43, v9
	v_add_u32_e32 v9, 35, v4
	v_fma_f32 v32, v43, v6, v32
	v_fmac_f32_e32 v33, v43, v7
	v_fma_f32 v24, v43, v8, v24
	v_add_u32_e32 v6, 48, v4
	v_add_u32_e32 v7, 49, v4
	;; [unrolled: 1-line block ×4, first 2 shown]
	v_cvt_f32_i32_e32 v4, v4
	v_cvt_f32_i32_e32 v6, v6
	;; [unrolled: 1-line block ×3, first 2 shown]
	v_fma_f32 v5, v43, v5, v38
	v_fmac_f32_e32 v21, v43, v4
	v_mov_b32_e32 v4, 0xff7fffff
	v_cmp_gt_i32_e64 s[4:5], s29, v2
	v_cmp_gt_i32_e64 s[34:35], s29, v3
	v_fma_f32 v22, v43, v6, v22
	v_cndmask_b32_e64 v6, v4, v5, s[4:5]
	v_cndmask_b32_e64 v3, v4, v39, s[34:35]
	v_fmac_f32_e32 v23, v43, v7
	v_max3_f32 v3, v6, s44, v3
	v_or_b32_e32 v6, 2, v2
	v_or_b32_e32 v7, 3, v2
	v_cmp_gt_i32_e64 s[36:37], s29, v6
	v_cmp_gt_i32_e64 s[38:39], s29, v7
	v_cvt_f32_i32_e32 v9, v9
	v_cndmask_b32_e64 v6, v4, v30, s[36:37]
	v_cndmask_b32_e64 v7, v4, v31, s[38:39]
	v_max3_f32 v3, v3, v6, v7
	v_or_b32_e32 v6, 16, v2
	v_or_b32_e32 v7, 17, v2
	v_cmp_gt_i32_e64 s[24:25], s29, v6
	v_cmp_gt_i32_e64 s[26:27], s29, v7
	v_fmac_f32_e32 v25, v43, v9
	v_cndmask_b32_e64 v6, v4, v40, s[24:25]
	v_cndmask_b32_e64 v7, v4, v41, s[26:27]
	v_max3_f32 v3, v3, v6, v7
	v_or_b32_e32 v6, 18, v2
	v_or_b32_e32 v7, 19, v2
	v_cmp_gt_i32_e64 s[20:21], s29, v6
	v_cmp_gt_i32_e64 s[22:23], s29, v7
	v_cvt_f32_i32_e32 v8, v8
	v_cndmask_b32_e64 v6, v4, v36, s[20:21]
	v_cndmask_b32_e64 v7, v4, v37, s[22:23]
	v_max3_f32 v3, v3, v6, v7
	v_or_b32_e32 v6, 32, v2
	v_or_b32_e32 v7, 33, v2
	v_cmp_gt_i32_e64 s[16:17], s29, v6
	v_cmp_gt_i32_e64 s[18:19], s29, v7
	v_fma_f32 v20, v43, v8, v20
	v_cndmask_b32_e64 v6, v4, v32, s[16:17]
	v_cndmask_b32_e64 v7, v4, v33, s[18:19]
	v_max3_f32 v3, v3, v6, v7
	v_or_b32_e32 v6, 34, v2
	v_or_b32_e32 v7, 35, v2
	v_cmp_gt_i32_e64 s[12:13], s29, v6
	v_cmp_gt_i32_e64 s[14:15], s29, v7
	s_nop 0
	v_cndmask_b32_e64 v6, v4, v24, s[12:13]
	v_cndmask_b32_e64 v7, v4, v25, s[14:15]
	v_max3_f32 v3, v3, v6, v7
	v_or_b32_e32 v6, 48, v2
	v_or_b32_e32 v7, 49, v2
	v_cmp_gt_i32_e64 s[8:9], s29, v6
	v_cmp_gt_i32_e64 s[10:11], s29, v7
	s_nop 0
	v_cndmask_b32_e64 v6, v4, v22, s[8:9]
	v_cndmask_b32_e64 v7, v4, v23, s[10:11]
	v_max3_f32 v3, v3, v6, v7
	v_or_b32_e32 v6, 50, v2
	v_or_b32_e32 v2, 51, v2
	v_cmp_gt_i32_e32 vcc, s29, v6
	v_cmp_gt_i32_e64 s[6:7], s29, v2
	s_nop 0
	v_cndmask_b32_e32 v6, v4, v20, vcc
	v_cndmask_b32_e64 v2, v4, v21, s[6:7]
	v_max3_f32 v4, v3, v6, v2
	v_mbcnt_lo_u32_b32 v2, -1, 0
	v_mbcnt_hi_u32_b32 v6, -1, v2
	v_and_b32_e32 v2, 64, v6
	v_add_u32_e32 v7, 64, v2
	v_xor_b32_e32 v2, 32, v6
	v_cmp_lt_i32_e64 s[40:41], v2, v7
	s_nop 1
	v_cndmask_b32_e64 v2, v6, v2, s[40:41]
	v_lshlrev_b32_e32 v43, 2, v2
	ds_bpermute_b32 v8, v43, v4
	s_waitcnt vmcnt(2)
	v_mad_i64_i32 v[2:3], s[40:41], v14, s45, v[18:19]
	global_load_dwordx4 v[14:17], v[34:35], off
	global_load_dwordx4 v[10:13], v[2:3], off
	v_xor_b32_e32 v3, 16, v6
	v_cmp_lt_i32_e64 s[40:41], v3, v7
	s_waitcnt lgkmcnt(0)
	v_max_f32_e32 v2, v8, v8
	v_max_f32_e32 v2, v4, v2
	v_cndmask_b32_e64 v3, v6, v3, s[40:41]
	v_lshlrev_b32_e32 v46, 2, v3
	ds_bpermute_b32 v3, v46, v2
	s_waitcnt vmcnt(3)
	v_mad_i64_i32 v[34:35], s[40:41], v44, s45, v[18:19]
	s_waitcnt vmcnt(2)
	v_mad_i64_i32 v[18:19], s[40:41], v45, s45, v[18:19]
	s_waitcnt lgkmcnt(0)
	v_max_f32_e32 v3, v3, v3
	v_max_f32_e32 v38, v2, v3
	v_sub_f32_e32 v2, v5, v38
	v_mul_f32_e32 v2, 0x3fb8aa3b, v2
	v_exp_f32_e32 v44, v2
	v_sub_f32_e32 v2, v39, v38
	v_mul_f32_e32 v2, 0x3fb8aa3b, v2
	v_exp_f32_e32 v39, v2
	global_load_dwordx4 v[6:9], v[34:35], off
	global_load_dwordx4 v[2:5], v[18:19], off
	v_sub_f32_e32 v30, v30, v38
	v_mul_f32_e32 v30, 0x3fb8aa3b, v30
	v_sub_f32_e32 v31, v31, v38
	v_exp_f32_e32 v30, v30
	v_mul_f32_e32 v31, 0x3fb8aa3b, v31
	v_exp_f32_e32 v31, v31
	v_cndmask_b32_e64 v18, 0, v44, s[4:5]
	v_add_f32_e32 v34, 0, v18
	v_cndmask_b32_e64 v19, 0, v39, s[34:35]
	v_add_f32_e32 v35, v34, v19
	;; [unrolled: 2-line block ×3, first 2 shown]
	v_cndmask_b32_e64 v35, 0, v31, s[38:39]
	v_sub_f32_e32 v31, v40, v38
	v_mul_f32_e32 v31, 0x3fb8aa3b, v31
	v_sub_f32_e32 v39, v41, v38
	v_exp_f32_e32 v31, v31
	v_mul_f32_e32 v39, 0x3fb8aa3b, v39
	v_sub_f32_e32 v36, v36, v38
	v_exp_f32_e32 v39, v39
	;; [unrolled: 3-line block ×4, first 2 shown]
	v_mul_f32_e32 v32, 0x3fb8aa3b, v32
	v_sub_f32_e32 v33, v33, v38
	v_add_f32_e32 v40, v30, v35
	v_cndmask_b32_e64 v30, 0, v31, s[24:25]
	v_exp_f32_e32 v32, v32
	v_mul_f32_e32 v33, 0x3fb8aa3b, v33
	v_sub_f32_e32 v24, v24, v38
	v_add_f32_e32 v40, v40, v30
	v_cndmask_b32_e64 v31, 0, v39, s[26:27]
	v_exp_f32_e32 v33, v33
	;; [unrolled: 5-line block ×7, first 2 shown]
	v_mul_f32_e32 v21, 0x3fb8aa3b, v21
	v_add_f32_e32 v39, v39, v24
	v_cndmask_b32_e64 v25, 0, v25, s[14:15]
	v_exp_f32_e32 v21, v21
	v_add_f32_e32 v39, v39, v25
	v_cndmask_b32_e64 v22, 0, v22, s[8:9]
	v_add_f32_e32 v39, v39, v22
	v_cndmask_b32_e64 v23, 0, v23, s[10:11]
	v_add_f32_e32 v39, v39, v23
	v_cndmask_b32_e32 v20, 0, v20, vcc
	v_add_f32_e32 v39, v39, v20
	v_cndmask_b32_e64 v21, 0, v21, s[6:7]
	v_add_f32_e32 v39, v39, v21
	ds_bpermute_b32 v40, v43, v39
	s_load_dword s9, s[0:1], 0x98
	v_cmp_gt_u32_e64 s[6:7], 16, v27
	s_waitcnt lgkmcnt(0)
	s_barrier
	v_add_f32_e32 v40, v39, v40
	ds_bpermute_b32 v41, v46, v40
	v_lshlrev_b32_e32 v39, 2, v28
	s_waitcnt lgkmcnt(0)
	s_and_saveexec_b64 s[4:5], s[6:7]
	s_cbranch_execz .LBB1096_15
; %bb.14:
	v_add_f32_e32 v27, v40, v41
	v_lshl_or_b32 v40, v29, 6, v39
	ds_write2st64_b32 v40, v38, v27 offset1:1
.LBB1096_15:
	s_or_b64 exec, exec, s[4:5]
	s_load_dword s8, s[0:1], 0x94
	s_waitcnt lgkmcnt(0)
	s_barrier
	ds_read2_b32 v[40:41], v39 offset1:16
	ds_read2_b32 v[44:45], v39 offset0:32 offset1:48
	ds_read2_b32 v[46:47], v39 offset0:64 offset1:80
	s_movk_i32 s10, 0x7fff
	s_mul_i32 s9, s9, 9
	s_waitcnt lgkmcnt(2)
	v_max3_f32 v27, v40, s44, v41
	s_waitcnt lgkmcnt(1)
	v_max3_f32 v27, v27, v44, v45
	v_sub_f32_e32 v38, v40, v27
	v_mul_f32_e32 v38, 0x3fb8aa3b, v38
	v_exp_f32_e32 v43, v38
	v_sub_f32_e32 v38, v41, v27
	v_mul_f32_e32 v38, 0x3fb8aa3b, v38
	v_exp_f32_e32 v48, v38
	;; [unrolled: 3-line block ×3, first 2 shown]
	ds_read2_b32 v[40:41], v39 offset0:96 offset1:112
	v_sub_f32_e32 v38, v45, v27
	v_mul_f32_e32 v38, 0x3fb8aa3b, v38
	v_exp_f32_e32 v39, v38
	s_waitcnt lgkmcnt(1)
	v_fma_f32 v38, v43, v46, 0
	v_fmac_f32_e32 v38, v48, v47
	s_waitcnt lgkmcnt(0)
	v_fmac_f32_e32 v38, v44, v40
	v_fmac_f32_e32 v38, v39, v41
	v_add_f32_e32 v40, 0x358637bd, v38
	v_div_scale_f32 v41, s[4:5], v40, v40, 1.0
	v_rcp_f32_e32 v45, v41
	s_barrier
	v_fma_f32 v46, -v41, v45, 1.0
	v_fmac_f32_e32 v45, v46, v45
	v_div_scale_f32 v46, vcc, 1.0, v40, 1.0
	v_mul_f32_e32 v47, v46, v45
	v_fma_f32 v49, -v41, v47, v46
	v_fmac_f32_e32 v47, v49, v45
	v_fma_f32 v41, -v41, v47, v46
	v_div_fmas_f32 v41, v41, v45, v47
	v_cmp_eq_u32_e32 vcc, 1, v29
	v_div_fixup_f32 v40, v41, v40, 1.0
	s_nop 0
	v_cndmask_b32_e32 v41, v43, v48, vcc
	v_cmp_eq_u32_e32 vcc, 2, v29
	s_nop 1
	v_cndmask_b32_e32 v41, v41, v44, vcc
	v_cmp_eq_u32_e32 vcc, 3, v29
	v_lshlrev_b32_e32 v29, 11, v29
	s_nop 0
	v_cndmask_b32_e32 v39, v41, v39, vcc
	v_mul_f32_e32 v40, v39, v40
	v_pk_mul_f32 v[18:19], v[40:41], v[18:19] op_sel_hi:[0,1]
	v_pk_mul_f32 v[34:35], v[40:41], v[34:35] op_sel_hi:[0,1]
	v_bfe_u32 v39, v19, 16, 1
	v_bfe_u32 v41, v18, 16, 1
	v_add3_u32 v18, v18, v41, s10
	v_add3_u32 v19, v19, v39, s10
	v_perm_b32 v44, v19, v18, s33
	v_bfe_u32 v18, v35, 16, 1
	v_bfe_u32 v19, v34, 16, 1
	v_add3_u32 v19, v34, v19, s10
	v_add3_u32 v18, v35, v18, s10
	v_perm_b32 v45, v18, v19, s33
	v_lshlrev_b32_e32 v18, 3, v42
	v_lshlrev_b32_e32 v19, 5, v28
	v_pk_mul_f32 v[30:31], v[40:41], v[30:31] op_sel_hi:[0,1]
	v_or3_b32 v18, v29, v19, v18
	v_pk_mul_f32 v[34:35], v[40:41], v[36:37] op_sel_hi:[0,1]
	v_bfe_u32 v29, v31, 16, 1
	v_bfe_u32 v36, v30, 16, 1
	v_add3_u32 v30, v30, v36, s10
	v_add3_u32 v29, v31, v29, s10
	v_perm_b32 v30, v29, v30, s33
	v_bfe_u32 v29, v35, 16, 1
	v_bfe_u32 v31, v34, 16, 1
	v_add3_u32 v31, v34, v31, s10
	v_add3_u32 v29, v35, v29, s10
	v_perm_b32 v31, v29, v31, s33
	ds_write2st64_b64 v18, v[44:45], v[30:31] offset1:1
	v_pk_mul_f32 v[30:31], v[40:41], v[32:33] op_sel_hi:[0,1]
	v_bfe_u32 v29, v31, 16, 1
	v_bfe_u32 v32, v30, 16, 1
	v_pk_mul_f32 v[24:25], v[40:41], v[24:25] op_sel_hi:[0,1]
	v_add3_u32 v30, v30, v32, s10
	v_add3_u32 v29, v31, v29, s10
	v_perm_b32 v30, v29, v30, s33
	v_bfe_u32 v29, v25, 16, 1
	v_bfe_u32 v31, v24, 16, 1
	v_add3_u32 v24, v24, v31, s10
	v_add3_u32 v25, v25, v29, s10
	v_pk_mul_f32 v[22:23], v[40:41], v[22:23] op_sel_hi:[0,1]
	v_perm_b32 v31, v25, v24, s33
	v_bfe_u32 v24, v23, 16, 1
	v_bfe_u32 v25, v22, 16, 1
	v_pk_mul_f32 v[20:21], v[40:41], v[20:21] op_sel_hi:[0,1]
	v_add3_u32 v22, v22, v25, s10
	v_add3_u32 v23, v23, v24, s10
	v_perm_b32 v22, v23, v22, s33
	v_bfe_u32 v23, v21, 16, 1
	v_bfe_u32 v24, v20, 16, 1
	v_add3_u32 v20, v20, v24, s10
	v_add3_u32 v21, v21, v23, s10
	v_perm_b32 v23, v21, v20, s33
	v_cmp_gt_u32_e32 vcc, 9, v0
	ds_write2st64_b64 v18, v[30:31], v[22:23] offset0:2 offset1:3
	s_and_saveexec_b64 s[4:5], vcc
	s_cbranch_execz .LBB1096_17
; %bb.16:
	s_mov_b32 s49, 0
	v_mov_b32_e32 v29, 0
	v_lshl_add_u64 v[20:21], s[48:49], 0, v[28:29]
	v_mov_b32_e32 v22, s9
	v_mad_u64_u32 v[20:21], s[16:17], s2, v22, v[20:21]
	s_mul_i32 s3, s3, s9
	v_mov_b32_e32 v28, s28
	s_load_dwordx4 s[12:15], s[0:1], 0x58
	v_add_u32_e32 v23, s3, v21
	v_mad_u64_u32 v[20:21], s[16:17], v20, s8, v[28:29]
	v_mov_b32_e32 v22, v21
	v_mad_u64_u32 v[22:23], s[16:17], v23, s8, v[22:23]
	v_mov_b32_e32 v21, v22
	v_lshlrev_b64 v[20:21], 2, v[20:21]
	s_waitcnt lgkmcnt(0)
	v_lshl_add_u64 v[22:23], s[14:15], 0, v[20:21]
	v_lshl_add_u64 v[20:21], s[12:13], 0, v[20:21]
	global_store_dword v[22:23], v27, off
	global_store_dword v[20:21], v38, off
.LBB1096_17:
	s_or_b64 exec, exec, s[4:5]
	s_waitcnt vmcnt(3)
	v_cvt_pk_f32_fp8_e32 v[20:21], v14
	v_cvt_pk_f32_fp8_sdwa v[22:23], v14 src0_sel:WORD_1
	s_mov_b32 s4, 0x7060302
	v_lshl_or_b32 v14, v42, 9, v19
	s_waitcnt lgkmcnt(0)
	s_barrier
	v_perm_b32 v24, v21, v20, s4
	v_perm_b32 v25, v23, v22, s4
	v_cvt_pk_f32_fp8_e32 v[28:29], v15
	ds_read_b128 v[20:23], v14
	v_cvt_pk_f32_fp8_sdwa v[36:37], v15 src0_sel:WORD_1
	s_load_dword s12, s[42:43], 0x0
	v_perm_b32 v38, v29, v28, s4
	ds_read_b128 v[28:31], v14 offset:16
	v_perm_b32 v39, v37, v36, s4
	s_waitcnt lgkmcnt(0)
	v_mfma_f32_16x16x16_bf16 v[32:35], v[24:25], v[20:21], 0
	v_cvt_pk_f32_fp8_e32 v[24:25], v16
	v_cvt_pk_f32_fp8_sdwa v[36:37], v16 src0_sel:WORD_1
	v_cmp_gt_u32_e32 vcc, 64, v0
	v_mfma_f32_16x16x16_bf16 v[20:23], v[38:39], v[22:23], v[32:35]
	v_perm_b32 v24, v25, v24, s4
	v_perm_b32 v25, v37, v36, s4
	s_mov_b32 s3, 0
	v_cvt_pk_f32_fp8_e32 v[32:33], v17
	v_cvt_pk_f32_fp8_sdwa v[16:17], v17 src0_sel:WORD_1
	s_waitcnt vmcnt(2)
	v_cvt_pk_f32_fp8_sdwa v[34:35], v10 src0_sel:WORD_1
	v_mfma_f32_16x16x16_bf16 v[20:23], v[24:25], v[28:29], v[20:23]
	v_perm_b32 v36, v33, v32, s4
	v_cvt_pk_f32_fp8_e32 v[32:33], v10
	v_perm_b32 v37, v17, v16, s4
	v_perm_b32 v17, v35, v34, s4
	v_cvt_pk_f32_fp8_e32 v[24:25], v11
	v_perm_b32 v16, v33, v32, s4
	ds_read_b128 v[32:35], v14 offset:2048
	v_cvt_pk_f32_fp8_sdwa v[10:11], v11 src0_sel:WORD_1
	v_mfma_f32_16x16x16_bf16 v[20:23], v[36:37], v[30:31], v[20:23]
	ds_read_b128 v[28:31], v14 offset:2064
	v_perm_b32 v24, v25, v24, s4
	v_perm_b32 v25, v11, v10, s4
	s_waitcnt lgkmcnt(1)
	v_mfma_f32_16x16x16_bf16 v[20:23], v[16:17], v[32:33], v[20:23]
	v_cvt_pk_f32_fp8_e32 v[10:11], v12
	v_cvt_pk_f32_fp8_sdwa v[16:17], v12 src0_sel:WORD_1
	s_waitcnt vmcnt(1)
	v_cvt_pk_f32_fp8_sdwa v[32:33], v6 src0_sel:WORD_1
	v_mfma_f32_16x16x16_bf16 v[20:23], v[24:25], v[34:35], v[20:23]
	v_cvt_pk_f32_fp8_e32 v[24:25], v13
	v_perm_b32 v10, v11, v10, s4
	v_perm_b32 v11, v17, v16, s4
	v_cvt_pk_f32_fp8_sdwa v[12:13], v13 src0_sel:WORD_1
	v_perm_b32 v16, v25, v24, s4
	v_cvt_pk_f32_fp8_e32 v[24:25], v6
	v_mov_b32_e32 v27, 0
	v_perm_b32 v17, v13, v12, s4
	s_waitcnt lgkmcnt(0)
	v_mfma_f32_16x16x16_bf16 v[10:13], v[10:11], v[28:29], v[20:23]
	v_perm_b32 v24, v25, v24, s4
	v_perm_b32 v25, v33, v32, s4
	v_cvt_pk_f32_fp8_e32 v[28:29], v7
	ds_read_b128 v[20:23], v14 offset:4096
	v_cvt_pk_f32_fp8_sdwa v[6:7], v7 src0_sel:WORD_1
	v_mfma_f32_16x16x16_bf16 v[10:13], v[16:17], v[30:31], v[10:13]
	v_perm_b32 v16, v29, v28, s4
	ds_read_b128 v[28:31], v14 offset:4112
	v_perm_b32 v17, v7, v6, s4
	s_waitcnt lgkmcnt(1)
	v_mfma_f32_16x16x16_bf16 v[10:13], v[24:25], v[20:21], v[10:13]
	v_cvt_pk_f32_fp8_e32 v[6:7], v8
	v_cvt_pk_f32_fp8_sdwa v[20:21], v8 src0_sel:WORD_1
	v_perm_b32 v6, v7, v6, s4
	v_mfma_f32_16x16x16_bf16 v[10:13], v[16:17], v[22:23], v[10:13]
	v_cvt_pk_f32_fp8_e32 v[16:17], v9
	v_perm_b32 v7, v21, v20, s4
	v_cvt_pk_f32_fp8_sdwa v[8:9], v9 src0_sel:WORD_1
	s_waitcnt vmcnt(0)
	v_cvt_pk_f32_fp8_e32 v[20:21], v2
	v_perm_b32 v16, v17, v16, s4
	v_cvt_pk_f32_fp8_sdwa v[22:23], v2 src0_sel:WORD_1
	v_perm_b32 v17, v9, v8, s4
	s_waitcnt lgkmcnt(0)
	v_mfma_f32_16x16x16_bf16 v[6:9], v[6:7], v[28:29], v[10:13]
	v_perm_b32 v20, v21, v20, s4
	v_perm_b32 v21, v23, v22, s4
	v_cvt_pk_f32_fp8_e32 v[22:23], v3
	ds_read_b128 v[10:13], v14 offset:6144
	v_cvt_pk_f32_fp8_sdwa v[2:3], v3 src0_sel:WORD_1
	v_mfma_f32_16x16x16_bf16 v[6:9], v[16:17], v[30:31], v[6:9]
	v_perm_b32 v22, v23, v22, s4
	ds_read_b128 v[14:17], v14 offset:6160
	v_perm_b32 v23, v3, v2, s4
	s_waitcnt lgkmcnt(1)
	v_mfma_f32_16x16x16_bf16 v[6:9], v[20:21], v[10:11], v[6:9]
	v_cvt_pk_f32_fp8_e32 v[2:3], v4
	v_cvt_pk_f32_fp8_sdwa v[10:11], v4 src0_sel:WORD_1
	s_waitcnt lgkmcnt(0)
	v_mfma_f32_16x16x16_bf16 v[6:9], v[22:23], v[12:13], v[6:9]
	v_perm_b32 v2, v3, v2, s4
	v_perm_b32 v3, v11, v10, s4
	v_cvt_pk_f32_fp8_e32 v[10:11], v5
	v_cvt_pk_f32_fp8_sdwa v[4:5], v5 src0_sel:WORD_1
	s_barrier
	v_perm_b32 v10, v11, v10, s4
	v_perm_b32 v11, v5, v4, s4
	v_mfma_f32_16x16x16_bf16 v[2:5], v[2:3], v[14:15], v[6:9]
	s_nop 0
	v_mfma_f32_16x16x16_bf16 v[2:5], v[10:11], v[16:17], v[2:5]
	s_nop 6
	v_pk_mul_f32 v[2:3], v[2:3], s[12:13] op_sel_hi:[1,0]
	v_pk_mul_f32 v[4:5], v[4:5], s[12:13] op_sel_hi:[1,0]
	v_bfe_u32 v6, v3, 16, 1
	v_bfe_u32 v7, v2, 16, 1
	v_add3_u32 v2, v2, v7, s10
	v_add3_u32 v3, v3, v6, s10
	v_perm_b32 v2, v3, v2, s4
	v_bfe_u32 v3, v5, 16, 1
	v_bfe_u32 v6, v4, 16, 1
	v_add3_u32 v4, v4, v6, s10
	v_add3_u32 v3, v5, v3, s10
	v_perm_b32 v3, v3, v4, s4
	s_and_b64 s[4:5], vcc, s[30:31]
	ds_write_b64 v18, v[2:3]
	s_waitcnt lgkmcnt(0)
	s_barrier
	s_and_saveexec_b64 s[10:11], s[4:5]
	s_cbranch_execz .LBB1096_20
; %bb.18:
	s_load_dwordx2 s[4:5], s[0:1], 0x68
	s_lshl_b32 s0, s8, 6
	s_mul_i32 s1, s9, s2
	s_mul_hi_u32 s9, s1, s0
	s_mul_i32 s8, s1, s0
	v_lshlrev_b32_e32 v0, 10, v0
	s_lshl_b64 s[8:9], s[8:9], 1
	v_and_b32_e32 v0, 0x1800, v0
	v_lshlrev_b32_e32 v2, 5, v42
	v_and_b32_e32 v1, 16, v1
	s_waitcnt lgkmcnt(0)
	s_add_u32 s1, s4, s8
	v_or3_b32 v2, v0, v2, v1
	s_addc_u32 s4, s5, s9
	s_lshl_b32 s2, s28, 6
	s_lshl_b64 s[2:3], s[2:3], 1
	ds_read_b128 v[4:7], v2 offset:128
	ds_read_b128 v[8:11], v2
	s_add_u32 s2, s1, s2
	s_addc_u32 s3, s4, s3
	v_add_u32_e32 v3, s48, v42
	v_lshl_add_u64 v[0:1], s[2:3], 0, v[26:27]
	v_mad_u64_u32 v[12:13], s[2:3], v3, s0, 0
	v_lshl_add_u64 v[12:13], v[12:13], 1, v[0:1]
	v_add_u32_e32 v3, 4, v3
	s_waitcnt lgkmcnt(0)
	global_store_dwordx4 v[12:13], v[8:11], off
	s_nop 1
	v_mad_u64_u32 v[8:9], s[2:3], v3, s0, 0
	v_lshl_add_u64 v[8:9], v[8:9], 1, v[0:1]
	global_store_dwordx4 v[8:9], v[4:7], off
	s_and_b64 exec, exec, s[6:7]
	s_cbranch_execz .LBB1096_20
; %bb.19:
	ds_read_b128 v[2:5], v2 offset:256
	v_add3_u32 v6, s48, v42, 8
	v_mad_u64_u32 v[6:7], s[0:1], v6, s0, 0
	v_lshl_add_u64 v[0:1], v[6:7], 1, v[0:1]
	s_waitcnt lgkmcnt(0)
	global_store_dwordx4 v[0:1], v[2:5], off
.LBB1096_20:
	s_endpgm
	.section	.rodata,"a",@progbits
	.p2align	6, 0x0
	.amdhsa_kernel _Z39paged_attention_ll4mi_QKV_mfma16_kernelI14__hip_bfloat16hLN4vllm18Fp8KVCacheDataTypeE1EhLi16ELi64ELi256ELb1ELi9EEvPKT_PKT0_S8_ifPKiSA_SA_iPKfiiiPfSD_PS3_PT2_iSC_SC_
		.amdhsa_group_segment_fixed_size 8192
		.amdhsa_private_segment_fixed_size 0
		.amdhsa_kernarg_size 400
		.amdhsa_user_sgpr_count 2
		.amdhsa_user_sgpr_dispatch_ptr 0
		.amdhsa_user_sgpr_queue_ptr 0
		.amdhsa_user_sgpr_kernarg_segment_ptr 1
		.amdhsa_user_sgpr_dispatch_id 0
		.amdhsa_user_sgpr_kernarg_preload_length 0
		.amdhsa_user_sgpr_kernarg_preload_offset 0
		.amdhsa_user_sgpr_private_segment_size 0
		.amdhsa_uses_dynamic_stack 0
		.amdhsa_enable_private_segment 0
		.amdhsa_system_sgpr_workgroup_id_x 1
		.amdhsa_system_sgpr_workgroup_id_y 1
		.amdhsa_system_sgpr_workgroup_id_z 1
		.amdhsa_system_sgpr_workgroup_info 0
		.amdhsa_system_vgpr_workitem_id 0
		.amdhsa_next_free_vgpr 67
		.amdhsa_next_free_sgpr 50
		.amdhsa_accum_offset 68
		.amdhsa_reserve_vcc 1
		.amdhsa_float_round_mode_32 0
		.amdhsa_float_round_mode_16_64 0
		.amdhsa_float_denorm_mode_32 3
		.amdhsa_float_denorm_mode_16_64 3
		.amdhsa_dx10_clamp 1
		.amdhsa_ieee_mode 1
		.amdhsa_fp16_overflow 0
		.amdhsa_tg_split 0
		.amdhsa_exception_fp_ieee_invalid_op 0
		.amdhsa_exception_fp_denorm_src 0
		.amdhsa_exception_fp_ieee_div_zero 0
		.amdhsa_exception_fp_ieee_overflow 0
		.amdhsa_exception_fp_ieee_underflow 0
		.amdhsa_exception_fp_ieee_inexact 0
		.amdhsa_exception_int_div_zero 0
	.end_amdhsa_kernel
	.section	.text._Z39paged_attention_ll4mi_QKV_mfma16_kernelI14__hip_bfloat16hLN4vllm18Fp8KVCacheDataTypeE1EhLi16ELi64ELi256ELb1ELi9EEvPKT_PKT0_S8_ifPKiSA_SA_iPKfiiiPfSD_PS3_PT2_iSC_SC_,"axG",@progbits,_Z39paged_attention_ll4mi_QKV_mfma16_kernelI14__hip_bfloat16hLN4vllm18Fp8KVCacheDataTypeE1EhLi16ELi64ELi256ELb1ELi9EEvPKT_PKT0_S8_ifPKiSA_SA_iPKfiiiPfSD_PS3_PT2_iSC_SC_,comdat
.Lfunc_end1096:
	.size	_Z39paged_attention_ll4mi_QKV_mfma16_kernelI14__hip_bfloat16hLN4vllm18Fp8KVCacheDataTypeE1EhLi16ELi64ELi256ELb1ELi9EEvPKT_PKT0_S8_ifPKiSA_SA_iPKfiiiPfSD_PS3_PT2_iSC_SC_, .Lfunc_end1096-_Z39paged_attention_ll4mi_QKV_mfma16_kernelI14__hip_bfloat16hLN4vllm18Fp8KVCacheDataTypeE1EhLi16ELi64ELi256ELb1ELi9EEvPKT_PKT0_S8_ifPKiSA_SA_iPKfiiiPfSD_PS3_PT2_iSC_SC_
                                        ; -- End function
	.section	.AMDGPU.csdata,"",@progbits
; Kernel info:
; codeLenInByte = 5132
; NumSgprs: 56
; NumVgprs: 67
; NumAgprs: 0
; TotalNumVgprs: 67
; ScratchSize: 0
; MemoryBound: 0
; FloatMode: 240
; IeeeMode: 1
; LDSByteSize: 8192 bytes/workgroup (compile time only)
; SGPRBlocks: 6
; VGPRBlocks: 8
; NumSGPRsForWavesPerEU: 56
; NumVGPRsForWavesPerEU: 67
; AccumOffset: 68
; Occupancy: 7
; WaveLimiterHint : 1
; COMPUTE_PGM_RSRC2:SCRATCH_EN: 0
; COMPUTE_PGM_RSRC2:USER_SGPR: 2
; COMPUTE_PGM_RSRC2:TRAP_HANDLER: 0
; COMPUTE_PGM_RSRC2:TGID_X_EN: 1
; COMPUTE_PGM_RSRC2:TGID_Y_EN: 1
; COMPUTE_PGM_RSRC2:TGID_Z_EN: 1
; COMPUTE_PGM_RSRC2:TIDIG_COMP_CNT: 0
; COMPUTE_PGM_RSRC3_GFX90A:ACCUM_OFFSET: 16
; COMPUTE_PGM_RSRC3_GFX90A:TG_SPLIT: 0
	.section	.text._Z39paged_attention_ll4mi_QKV_mfma16_kernelI14__hip_bfloat16hLN4vllm18Fp8KVCacheDataTypeE1EhLi16ELi64ELi256ELb1ELi10EEvPKT_PKT0_S8_ifPKiSA_SA_iPKfiiiPfSD_PS3_PT2_iSC_SC_,"axG",@progbits,_Z39paged_attention_ll4mi_QKV_mfma16_kernelI14__hip_bfloat16hLN4vllm18Fp8KVCacheDataTypeE1EhLi16ELi64ELi256ELb1ELi10EEvPKT_PKT0_S8_ifPKiSA_SA_iPKfiiiPfSD_PS3_PT2_iSC_SC_,comdat
	.protected	_Z39paged_attention_ll4mi_QKV_mfma16_kernelI14__hip_bfloat16hLN4vllm18Fp8KVCacheDataTypeE1EhLi16ELi64ELi256ELb1ELi10EEvPKT_PKT0_S8_ifPKiSA_SA_iPKfiiiPfSD_PS3_PT2_iSC_SC_ ; -- Begin function _Z39paged_attention_ll4mi_QKV_mfma16_kernelI14__hip_bfloat16hLN4vllm18Fp8KVCacheDataTypeE1EhLi16ELi64ELi256ELb1ELi10EEvPKT_PKT0_S8_ifPKiSA_SA_iPKfiiiPfSD_PS3_PT2_iSC_SC_
	.globl	_Z39paged_attention_ll4mi_QKV_mfma16_kernelI14__hip_bfloat16hLN4vllm18Fp8KVCacheDataTypeE1EhLi16ELi64ELi256ELb1ELi10EEvPKT_PKT0_S8_ifPKiSA_SA_iPKfiiiPfSD_PS3_PT2_iSC_SC_
	.p2align	8
	.type	_Z39paged_attention_ll4mi_QKV_mfma16_kernelI14__hip_bfloat16hLN4vllm18Fp8KVCacheDataTypeE1EhLi16ELi64ELi256ELb1ELi10EEvPKT_PKT0_S8_ifPKiSA_SA_iPKfiiiPfSD_PS3_PT2_iSC_SC_,@function
_Z39paged_attention_ll4mi_QKV_mfma16_kernelI14__hip_bfloat16hLN4vllm18Fp8KVCacheDataTypeE1EhLi16ELi64ELi256ELb1ELi10EEvPKT_PKT0_S8_ifPKiSA_SA_iPKfiiiPfSD_PS3_PT2_iSC_SC_: ; @_Z39paged_attention_ll4mi_QKV_mfma16_kernelI14__hip_bfloat16hLN4vllm18Fp8KVCacheDataTypeE1EhLi16ELi64ELi256ELb1ELi10EEvPKT_PKT0_S8_ifPKiSA_SA_iPKfiiiPfSD_PS3_PT2_iSC_SC_
; %bb.0:
	s_load_dwordx2 s[6:7], s[0:1], 0x30
	s_mov_b32 s28, s3
	s_mov_b64 s[8:9], 0
	s_waitcnt lgkmcnt(0)
	s_cmp_lg_u64 s[6:7], 0
	s_cselect_b64 s[10:11], -1, 0
	s_and_b64 vcc, exec, s[10:11]
	s_cbranch_vccz .LBB1097_7
; %bb.1:
	s_add_i32 s12, s2, 1
	s_mov_b32 s13, 0
	s_lshl_b64 s[14:15], s[12:13], 2
	s_add_u32 s14, s6, s14
	s_mov_b32 s3, s13
	s_addc_u32 s15, s7, s15
	s_lshl_b64 s[12:13], s[2:3], 2
	s_add_u32 s12, s6, s12
	s_addc_u32 s13, s7, s13
	s_load_dword s5, s[14:15], 0x0
	s_load_dword s16, s[12:13], 0x0
	s_waitcnt lgkmcnt(0)
	s_sub_i32 s5, s5, s16
	s_cmp_eq_u32 s5, 1
	s_cselect_b64 s[12:13], -1, 0
	s_andn2_b64 vcc, exec, s[8:9]
	s_cbranch_vccnz .LBB1097_3
.LBB1097_2:
	s_mov_b32 s3, 0
	s_mov_b64 s[12:13], -1
.LBB1097_3:
	s_andn2_b64 vcc, exec, s[12:13]
	s_cbranch_vccnz .LBB1097_20
; %bb.4:
	s_load_dwordx2 s[8:9], s[0:1], 0x28
	s_lshl_b64 s[12:13], s[2:3], 2
	s_waitcnt lgkmcnt(0)
	s_add_u32 s8, s8, s12
	s_addc_u32 s9, s9, s13
	s_load_dword s29, s[8:9], 0x0
	s_lshl_b32 s16, s28, 8
	s_waitcnt lgkmcnt(0)
	s_cmp_ge_i32 s16, s29
	s_cbranch_scc1 .LBB1097_20
; %bb.5:
	s_load_dwordx2 s[8:9], s[0:1], 0x20
	s_load_dword s5, s[0:1], 0x38
	s_add_i32 s14, s29, 15
	s_ashr_i32 s15, s14, 31
	v_and_b32_e32 v1, 0xcf, v0
	s_lshr_b32 s15, s15, 28
	v_add_u32_e32 v1, s16, v1
	s_add_i32 s14, s14, s15
	v_ashrrev_i32_e32 v2, 31, v1
	s_ashr_i32 s17, s14, 4
	v_lshrrev_b32_e32 v4, 28, v2
	s_add_i32 s17, s17, -1
	s_waitcnt lgkmcnt(0)
	s_mul_i32 s14, s2, s5
	s_mov_b32 s15, 0
	v_add_u32_e32 v2, v1, v4
	s_lshl_b64 s[14:15], s[14:15], 2
	v_ashrrev_i32_e32 v2, 4, v2
	v_mov_b32_e32 v5, s17
	v_cmp_gt_i32_e32 vcc, s29, v1
	s_add_u32 s8, s8, s14
	s_addc_u32 s9, s9, s15
	v_cndmask_b32_e32 v2, v5, v2, vcc
	v_ashrrev_i32_e32 v3, 31, v2
	v_lshl_add_u64 v[6:7], v[2:3], 2, s[8:9]
	v_or_b32_e32 v2, 16, v1
	v_add_u32_e32 v3, v2, v4
	v_ashrrev_i32_e32 v3, 4, v3
	v_cmp_gt_i32_e32 vcc, s29, v2
	s_load_dwordx2 s[14:15], s[0:1], 0x8
	s_nop 0
	v_cndmask_b32_e32 v2, v5, v3, vcc
	v_ashrrev_i32_e32 v3, 31, v2
	v_lshl_add_u64 v[8:9], v[2:3], 2, s[8:9]
	v_or_b32_e32 v2, 32, v1
	v_add_u32_e32 v3, v2, v4
	v_ashrrev_i32_e32 v3, 4, v3
	v_cmp_gt_i32_e32 vcc, s29, v2
	v_or_b32_e32 v1, 48, v1
	s_nop 0
	v_cndmask_b32_e32 v2, v5, v3, vcc
	v_ashrrev_i32_e32 v3, 31, v2
	v_lshl_add_u64 v[10:11], v[2:3], 2, s[8:9]
	v_add_u32_e32 v2, v1, v4
	v_ashrrev_i32_e32 v2, 4, v2
	v_cmp_gt_i32_e32 vcc, s29, v1
	s_nop 1
	v_cndmask_b32_e32 v2, v5, v2, vcc
	v_ashrrev_i32_e32 v3, 31, v2
	v_lshl_add_u64 v[12:13], v[2:3], 2, s[8:9]
	global_load_dword v5, v[6:7], off
	global_load_dword v4, v[8:9], off
	;; [unrolled: 1-line block ×4, first 2 shown]
	s_andn2_b64 vcc, exec, s[10:11]
	s_cbranch_vccnz .LBB1097_8
; %bb.6:
	s_add_u32 s6, s6, s12
	s_addc_u32 s7, s7, s13
	s_load_dword s5, s[6:7], 0x0
	s_branch .LBB1097_9
.LBB1097_7:
	s_mov_b64 s[12:13], 0
	s_branch .LBB1097_2
.LBB1097_8:
	s_mov_b32 s5, s2
.LBB1097_9:
	s_load_dwordx2 s[6:7], s[0:1], 0x10
	s_load_dwordx4 s[44:47], s[0:1], 0x48
	v_lshrrev_b32_e32 v29, 6, v0
	v_bfe_u32 v42, v0, 4, 2
	v_lshl_or_b32 v6, v29, 2, v42
	v_and_b32_e32 v28, 15, v0
	v_lshlrev_b32_e32 v1, 3, v28
	v_cmp_gt_u32_e32 vcc, 10, v6
	v_cmp_gt_u32_e64 s[30:31], 8, v28
	s_mul_i32 s48, s4, 10
	s_and_b64 s[12:13], s[30:31], vcc
	v_lshlrev_b32_e32 v26, 1, v1
	v_lshlrev_b32_e32 v1, 4, v0
	s_and_saveexec_b64 s[10:11], s[12:13]
	s_cbranch_execz .LBB1097_11
; %bb.10:
	s_load_dwordx2 s[12:13], s[0:1], 0x0
	s_waitcnt lgkmcnt(0)
	s_ashr_i32 s18, s44, 31
	s_mul_hi_u32 s19, s5, s44
	s_mul_i32 s18, s5, s18
	s_add_i32 s19, s19, s18
	s_mul_i32 s18, s5, s44
	s_lshl_b64 s[18:19], s[18:19], 1
	s_add_u32 s12, s12, s18
	v_add_lshl_u32 v8, v6, s48, 6
	s_addc_u32 s13, s13, s19
	v_ashrrev_i32_e32 v9, 31, v8
	v_lshl_add_u64 v[8:9], v[8:9], 1, s[12:13]
	v_mov_b32_e32 v27, 0
	v_lshl_add_u64 v[8:9], v[8:9], 0, v[26:27]
	global_load_dwordx4 v[8:11], v[8:9], off
	v_lshlrev_b32_e32 v12, 8, v28
	v_lshlrev_b32_e32 v6, 5, v6
	v_and_b32_e32 v7, 16, v1
	v_and_b32_e32 v12, 0xe00, v12
	v_or3_b32 v6, v12, v6, v7
	s_waitcnt vmcnt(0)
	ds_write_b128 v6, v[8:11]
.LBB1097_11:
	s_or_b64 exec, exec, s[10:11]
	s_waitcnt lgkmcnt(0)
	s_mul_i32 s10, s4, s46
	s_add_u32 s4, s14, s10
	s_addc_u32 s5, s15, 0
	v_and_b32_e32 v32, 48, v0
	v_and_b32_e32 v30, 0xf0, v1
	v_mov_b32_e32 v31, 0
	v_lshl_add_u64 v[6:7], s[4:5], 0, v[30:31]
	v_lshlrev_b32_e32 v30, 4, v32
	v_lshl_add_u64 v[6:7], v[6:7], 0, v[30:31]
	s_waitcnt vmcnt(3)
	v_mad_i64_i32 v[8:9], s[4:5], v5, s45, v[6:7]
	s_waitcnt vmcnt(2)
	v_mad_i64_i32 v[4:5], s[4:5], v4, s45, v[6:7]
	s_barrier
	global_load_dwordx4 v[22:25], v[8:9], off
	global_load_dwordx4 v[18:21], v[4:5], off
	s_waitcnt vmcnt(3)
	v_mad_i64_i32 v[4:5], s[4:5], v3, s45, v[6:7]
	s_waitcnt vmcnt(2)
	v_mad_i64_i32 v[2:3], s[4:5], v2, s45, v[6:7]
	global_load_dwordx4 v[14:17], v[4:5], off
	global_load_dwordx4 v[6:9], v[2:3], off
	v_add_u32_e32 v2, -10, v28
	v_cmp_gt_u32_e32 vcc, 10, v28
	v_and_b32_e32 v27, 63, v0
	v_mov_b32_e32 v43, 0
	v_cndmask_b32_e32 v2, v2, v28, vcc
	v_lshlrev_b32_e32 v2, 5, v2
	v_lshl_add_u32 v2, v42, 9, v2
	ds_read_b128 v[10:13], v2
	ds_read_b128 v[2:5], v2 offset:16
	s_and_saveexec_b64 s[4:5], vcc
	s_cbranch_execz .LBB1097_13
; %bb.12:
	s_load_dwordx2 s[12:13], s[0:1], 0x40
	v_add_u32_e32 v34, s48, v28
	v_ashrrev_i32_e32 v35, 31, v34
	s_waitcnt lgkmcnt(0)
	v_lshl_add_u64 v[34:35], v[34:35], 2, s[12:13]
	global_load_dword v43, v[34:35], off
.LBB1097_13:
	s_or_b64 exec, exec, s[4:5]
	v_or_b32_e32 v62, s16, v32
	v_ashrrev_i32_e32 v30, 4, v62
	v_mov_b32_e32 v63, s17
	v_cmp_gt_i32_e32 vcc, s29, v62
	s_waitcnt vmcnt(2)
	v_cvt_pk_f32_fp8_e32 v[52:53], v20
	v_cvt_pk_f32_fp8_sdwa v[54:55], v20 src0_sel:WORD_1
	v_cndmask_b32_e32 v20, v63, v30, vcc
	v_cvt_pk_f32_fp8_e32 v[56:57], v21
	v_cvt_pk_f32_fp8_sdwa v[58:59], v21 src0_sel:WORD_1
	v_ashrrev_i32_e32 v21, 31, v20
	v_cvt_pk_f32_fp8_e32 v[40:41], v22
	v_cvt_pk_f32_fp8_sdwa v[44:45], v22 src0_sel:WORD_1
	v_lshl_add_u64 v[20:21], v[20:21], 2, s[8:9]
	v_cvt_pk_f32_fp8_e32 v[46:47], v18
	v_cvt_pk_f32_fp8_sdwa v[48:49], v18 src0_sel:WORD_1
	global_load_dword v64, v[20:21], off
	s_mov_b32 s33, 0x7060302
	v_cvt_pk_f32_fp8_e32 v[32:33], v23
	v_cvt_pk_f32_fp8_sdwa v[34:35], v23 src0_sel:WORD_1
	v_perm_b32 v20, v41, v40, s33
	v_perm_b32 v21, v45, v44, s33
	v_cvt_pk_f32_fp8_e32 v[38:39], v24
	v_cvt_pk_f32_fp8_sdwa v[36:37], v24 src0_sel:WORD_1
	v_cvt_pk_f32_fp8_e32 v[50:51], v19
	v_cvt_pk_f32_fp8_sdwa v[18:19], v19 src0_sel:WORD_1
	v_perm_b32 v44, v47, v46, s33
	v_perm_b32 v45, v49, v48, s33
	v_cvt_pk_f32_fp8_e32 v[22:23], v25
	s_waitcnt vmcnt(2)
	v_cvt_pk_f32_fp8_e32 v[40:41], v14
	v_cvt_pk_f32_fp8_sdwa v[46:47], v14 src0_sel:WORD_1
	v_perm_b32 v48, v33, v32, s33
	v_perm_b32 v49, v35, v34, s33
	v_or_b32_e32 v14, 64, v62
	v_or_b32_e32 v32, 0xc0, v62
	v_cvt_pk_f32_fp8_sdwa v[24:25], v25 src0_sel:WORD_1
	s_load_dword s11, s[0:1], 0x1c
	s_load_dwordx4 s[40:43], s[0:1], 0x80
	v_perm_b32 v38, v39, v38, s33
	v_perm_b32 v39, v37, v36, s33
	v_or_b32_e32 v65, 0x80, v62
	v_ashrrev_i32_e32 v62, 4, v14
	v_cmp_gt_i32_e32 vcc, s29, v32
	v_ashrrev_i32_e32 v66, 4, v32
	v_cmp_gt_i32_e64 s[4:5], s29, v14
	v_perm_b32 v36, v51, v50, s33
	v_perm_b32 v37, v19, v18, s33
	s_waitcnt lgkmcnt(0)
	v_mfma_f32_16x16x16_bf16 v[32:35], v[20:21], v[10:11], 0
	s_add_u32 s6, s6, s10
	v_lshlrev_b32_e32 v30, 4, v28
	v_cndmask_b32_e64 v50, v63, v62, s[4:5]
	v_perm_b32 v62, v23, v22, s33
	v_mfma_f32_16x16x16_bf16 v[20:23], v[44:45], v[10:11], 0
	v_lshl_or_b32 v30, v29, 8, v30
	s_addc_u32 s7, s7, 0
	v_ashrrev_i32_e32 v14, 4, v65
	v_lshl_add_u64 v[18:19], s[6:7], 0, v[30:31]
	v_cmp_gt_i32_e64 s[6:7], s29, v65
	v_mfma_f32_16x16x16_bf16 v[30:33], v[48:49], v[12:13], v[32:35]
	v_cndmask_b32_e32 v48, v63, v66, vcc
	s_load_dword s4, s[40:41], 0x0
	v_cvt_pk_f32_fp8_e32 v[60:61], v15
	v_cndmask_b32_e64 v34, v63, v14, s[6:7]
	v_perm_b32 v63, v25, v24, s33
	v_perm_b32 v24, v53, v52, s33
	;; [unrolled: 1-line block ×3, first 2 shown]
	v_mfma_f32_16x16x16_bf16 v[20:23], v[36:37], v[12:13], v[20:23]
	v_perm_b32 v40, v41, v40, s33
	v_perm_b32 v41, v47, v46, s33
	v_ashrrev_i32_e32 v51, 31, v50
	v_mfma_f32_16x16x16_bf16 v[20:23], v[24:25], v[2:3], v[20:23]
	v_mov_b32_e32 v24, s11
	s_waitcnt lgkmcnt(0)
	v_mul_f32_e32 v54, s4, v24
	v_cvt_pk_f32_fp8_sdwa v[24:25], v15 src0_sel:WORD_1
	v_mfma_f32_16x16x16_bf16 v[30:33], v[38:39], v[2:3], v[30:33]
	v_ashrrev_i32_e32 v35, 31, v34
	v_ashrrev_i32_e32 v49, 31, v48
	v_lshl_add_u64 v[36:37], v[50:51], 2, s[8:9]
	v_lshl_add_u64 v[34:35], v[34:35], 2, s[8:9]
	;; [unrolled: 1-line block ×3, first 2 shown]
	global_load_dword v14, v[36:37], off
	global_load_dword v44, v[34:35], off
	;; [unrolled: 1-line block ×3, first 2 shown]
	v_perm_b32 v46, v61, v60, s33
	v_cvt_pk_f32_fp8_e32 v[48:49], v16
	v_cvt_pk_f32_fp8_sdwa v[50:51], v16 src0_sel:WORD_1
	v_perm_b32 v47, v25, v24, s33
	v_mfma_f32_16x16x16_bf16 v[36:39], v[62:63], v[4:5], v[30:33]
	v_perm_b32 v24, v49, v48, s33
	v_perm_b32 v25, v51, v50, s33
	;; [unrolled: 1-line block ×3, first 2 shown]
	v_mfma_f32_16x16x16_bf16 v[30:33], v[40:41], v[10:11], 0
	v_cvt_pk_f32_fp8_e32 v[40:41], v17
	v_cvt_pk_f32_fp8_sdwa v[16:17], v17 src0_sel:WORD_1
	v_perm_b32 v53, v59, v58, s33
	v_mfma_f32_16x16x16_bf16 v[46:49], v[46:47], v[12:13], v[30:33]
	s_mov_b32 s44, 0xff7fffff
	s_waitcnt vmcnt(3)
	v_mad_i64_i32 v[34:35], s[4:5], v64, s45, v[18:19]
	v_perm_b32 v32, v41, v40, s33
	v_perm_b32 v33, v17, v16, s33
	v_mfma_f32_16x16x16_bf16 v[46:49], v[24:25], v[2:3], v[46:49]
	v_cvt_pk_f32_fp8_e32 v[16:17], v6
	v_cvt_pk_f32_fp8_sdwa v[24:25], v6 src0_sel:WORD_1
	v_pk_mul_f32 v[30:31], v[54:55], v[38:39] op_sel_hi:[0,1]
	v_mfma_f32_16x16x16_bf16 v[46:49], v[32:33], v[4:5], v[46:49]
	v_cvt_pk_f32_fp8_e32 v[32:33], v7
	v_perm_b32 v16, v17, v16, s33
	v_perm_b32 v17, v25, v24, s33
	v_cvt_pk_f32_fp8_sdwa v[6:7], v7 src0_sel:WORD_1
	v_pk_mul_f32 v[38:39], v[54:55], v[36:37] op_sel_hi:[0,1]
	v_perm_b32 v24, v33, v32, s33
	v_cvt_pk_f32_fp8_e32 v[32:33], v8
	v_cvt_pk_f32_fp8_sdwa v[36:37], v8 src0_sel:WORD_1
	v_perm_b32 v25, v7, v6, s33
	v_mfma_f32_16x16x16_bf16 v[20:23], v[52:53], v[4:5], v[20:23]
	v_mfma_f32_16x16x16_bf16 v[50:53], v[16:17], v[10:11], 0
	v_perm_b32 v10, v33, v32, s33
	v_perm_b32 v11, v37, v36, s33
	v_cvt_pk_f32_fp8_e32 v[16:17], v9
	v_cvt_pk_f32_fp8_sdwa v[32:33], v9 src0_sel:WORD_1
	v_mfma_f32_16x16x16_bf16 v[6:9], v[24:25], v[12:13], v[50:53]
	s_nop 0
	v_pk_mul_f32 v[36:37], v[54:55], v[22:23] op_sel_hi:[0,1]
	v_perm_b32 v12, v17, v16, s33
	v_perm_b32 v13, v33, v32, s33
	v_mfma_f32_16x16x16_bf16 v[6:9], v[10:11], v[2:3], v[6:9]
	v_pk_mul_f32 v[40:41], v[54:55], v[20:21] op_sel_hi:[0,1]
	v_pk_mul_f32 v[24:25], v[54:55], v[48:49] op_sel_hi:[0,1]
	;; [unrolled: 1-line block ×3, first 2 shown]
	v_mfma_f32_16x16x16_bf16 v[2:5], v[12:13], v[4:5], v[6:9]
	s_nop 6
	v_pk_mul_f32 v[22:23], v[54:55], v[2:3] op_sel_hi:[0,1]
	v_and_b32_e32 v2, 0xc0, v0
	v_add_u32_e32 v2, s16, v2
	v_lshl_or_b32 v2, v42, 2, v2
	v_or_b32_e32 v3, 1, v2
	v_pk_mul_f32 v[20:21], v[54:55], v[4:5] op_sel_hi:[0,1]
	v_subrev_u32_e32 v4, s29, v3
	v_add_u32_e32 v6, 1, v4
	v_add_u32_e32 v7, 2, v4
	;; [unrolled: 1-line block ×3, first 2 shown]
	v_cvt_f32_i32_e32 v6, v6
	v_cvt_f32_i32_e32 v7, v7
	;; [unrolled: 1-line block ×3, first 2 shown]
	v_add_u32_e32 v9, 19, v4
	v_fmac_f32_e32 v39, v43, v6
	v_fma_f32 v30, v43, v7, v30
	v_fmac_f32_e32 v31, v43, v8
	v_add_u32_e32 v6, 16, v4
	v_add_u32_e32 v7, 17, v4
	;; [unrolled: 1-line block ×3, first 2 shown]
	v_cvt_f32_i32_e32 v6, v6
	v_cvt_f32_i32_e32 v7, v7
	;; [unrolled: 1-line block ×4, first 2 shown]
	v_fma_f32 v40, v43, v6, v40
	v_fmac_f32_e32 v41, v43, v7
	v_fma_f32 v36, v43, v8, v36
	v_add_u32_e32 v6, 32, v4
	v_add_u32_e32 v7, 33, v4
	;; [unrolled: 1-line block ×3, first 2 shown]
	v_cvt_f32_i32_e32 v6, v6
	v_cvt_f32_i32_e32 v7, v7
	;; [unrolled: 1-line block ×4, first 2 shown]
	v_fmac_f32_e32 v37, v43, v9
	v_add_u32_e32 v9, 35, v4
	v_fma_f32 v32, v43, v6, v32
	v_fmac_f32_e32 v33, v43, v7
	v_fma_f32 v24, v43, v8, v24
	v_add_u32_e32 v6, 48, v4
	v_add_u32_e32 v7, 49, v4
	;; [unrolled: 1-line block ×4, first 2 shown]
	v_cvt_f32_i32_e32 v4, v4
	v_cvt_f32_i32_e32 v6, v6
	;; [unrolled: 1-line block ×3, first 2 shown]
	v_fma_f32 v5, v43, v5, v38
	v_fmac_f32_e32 v21, v43, v4
	v_mov_b32_e32 v4, 0xff7fffff
	v_cmp_gt_i32_e64 s[4:5], s29, v2
	v_cmp_gt_i32_e64 s[34:35], s29, v3
	v_fma_f32 v22, v43, v6, v22
	v_cndmask_b32_e64 v6, v4, v5, s[4:5]
	v_cndmask_b32_e64 v3, v4, v39, s[34:35]
	v_fmac_f32_e32 v23, v43, v7
	v_max3_f32 v3, v6, s44, v3
	v_or_b32_e32 v6, 2, v2
	v_or_b32_e32 v7, 3, v2
	v_cmp_gt_i32_e64 s[36:37], s29, v6
	v_cmp_gt_i32_e64 s[38:39], s29, v7
	v_cvt_f32_i32_e32 v9, v9
	v_cndmask_b32_e64 v6, v4, v30, s[36:37]
	v_cndmask_b32_e64 v7, v4, v31, s[38:39]
	v_max3_f32 v3, v3, v6, v7
	v_or_b32_e32 v6, 16, v2
	v_or_b32_e32 v7, 17, v2
	v_cmp_gt_i32_e64 s[24:25], s29, v6
	v_cmp_gt_i32_e64 s[26:27], s29, v7
	v_fmac_f32_e32 v25, v43, v9
	v_cndmask_b32_e64 v6, v4, v40, s[24:25]
	v_cndmask_b32_e64 v7, v4, v41, s[26:27]
	v_max3_f32 v3, v3, v6, v7
	v_or_b32_e32 v6, 18, v2
	v_or_b32_e32 v7, 19, v2
	v_cmp_gt_i32_e64 s[20:21], s29, v6
	v_cmp_gt_i32_e64 s[22:23], s29, v7
	v_cvt_f32_i32_e32 v8, v8
	v_cndmask_b32_e64 v6, v4, v36, s[20:21]
	v_cndmask_b32_e64 v7, v4, v37, s[22:23]
	v_max3_f32 v3, v3, v6, v7
	v_or_b32_e32 v6, 32, v2
	v_or_b32_e32 v7, 33, v2
	v_cmp_gt_i32_e64 s[16:17], s29, v6
	v_cmp_gt_i32_e64 s[18:19], s29, v7
	v_fma_f32 v20, v43, v8, v20
	v_cndmask_b32_e64 v6, v4, v32, s[16:17]
	v_cndmask_b32_e64 v7, v4, v33, s[18:19]
	v_max3_f32 v3, v3, v6, v7
	v_or_b32_e32 v6, 34, v2
	v_or_b32_e32 v7, 35, v2
	v_cmp_gt_i32_e64 s[12:13], s29, v6
	v_cmp_gt_i32_e64 s[14:15], s29, v7
	s_nop 0
	v_cndmask_b32_e64 v6, v4, v24, s[12:13]
	v_cndmask_b32_e64 v7, v4, v25, s[14:15]
	v_max3_f32 v3, v3, v6, v7
	v_or_b32_e32 v6, 48, v2
	v_or_b32_e32 v7, 49, v2
	v_cmp_gt_i32_e64 s[8:9], s29, v6
	v_cmp_gt_i32_e64 s[10:11], s29, v7
	s_nop 0
	v_cndmask_b32_e64 v6, v4, v22, s[8:9]
	v_cndmask_b32_e64 v7, v4, v23, s[10:11]
	v_max3_f32 v3, v3, v6, v7
	v_or_b32_e32 v6, 50, v2
	v_or_b32_e32 v2, 51, v2
	v_cmp_gt_i32_e32 vcc, s29, v6
	v_cmp_gt_i32_e64 s[6:7], s29, v2
	s_nop 0
	v_cndmask_b32_e32 v6, v4, v20, vcc
	v_cndmask_b32_e64 v2, v4, v21, s[6:7]
	v_max3_f32 v4, v3, v6, v2
	v_mbcnt_lo_u32_b32 v2, -1, 0
	v_mbcnt_hi_u32_b32 v6, -1, v2
	v_and_b32_e32 v2, 64, v6
	v_add_u32_e32 v7, 64, v2
	v_xor_b32_e32 v2, 32, v6
	v_cmp_lt_i32_e64 s[40:41], v2, v7
	s_nop 1
	v_cndmask_b32_e64 v2, v6, v2, s[40:41]
	v_lshlrev_b32_e32 v43, 2, v2
	ds_bpermute_b32 v8, v43, v4
	s_waitcnt vmcnt(2)
	v_mad_i64_i32 v[2:3], s[40:41], v14, s45, v[18:19]
	global_load_dwordx4 v[14:17], v[34:35], off
	global_load_dwordx4 v[10:13], v[2:3], off
	v_xor_b32_e32 v3, 16, v6
	v_cmp_lt_i32_e64 s[40:41], v3, v7
	s_waitcnt lgkmcnt(0)
	v_max_f32_e32 v2, v8, v8
	v_max_f32_e32 v2, v4, v2
	v_cndmask_b32_e64 v3, v6, v3, s[40:41]
	v_lshlrev_b32_e32 v46, 2, v3
	ds_bpermute_b32 v3, v46, v2
	s_waitcnt vmcnt(3)
	v_mad_i64_i32 v[34:35], s[40:41], v44, s45, v[18:19]
	s_waitcnt vmcnt(2)
	v_mad_i64_i32 v[18:19], s[40:41], v45, s45, v[18:19]
	s_waitcnt lgkmcnt(0)
	v_max_f32_e32 v3, v3, v3
	v_max_f32_e32 v38, v2, v3
	v_sub_f32_e32 v2, v5, v38
	v_mul_f32_e32 v2, 0x3fb8aa3b, v2
	v_exp_f32_e32 v44, v2
	v_sub_f32_e32 v2, v39, v38
	v_mul_f32_e32 v2, 0x3fb8aa3b, v2
	v_exp_f32_e32 v39, v2
	global_load_dwordx4 v[6:9], v[34:35], off
	global_load_dwordx4 v[2:5], v[18:19], off
	v_sub_f32_e32 v30, v30, v38
	v_mul_f32_e32 v30, 0x3fb8aa3b, v30
	v_sub_f32_e32 v31, v31, v38
	v_exp_f32_e32 v30, v30
	v_mul_f32_e32 v31, 0x3fb8aa3b, v31
	v_exp_f32_e32 v31, v31
	v_cndmask_b32_e64 v18, 0, v44, s[4:5]
	v_add_f32_e32 v34, 0, v18
	v_cndmask_b32_e64 v19, 0, v39, s[34:35]
	v_add_f32_e32 v35, v34, v19
	v_cndmask_b32_e64 v34, 0, v30, s[36:37]
	v_add_f32_e32 v30, v35, v34
	v_cndmask_b32_e64 v35, 0, v31, s[38:39]
	v_sub_f32_e32 v31, v40, v38
	v_mul_f32_e32 v31, 0x3fb8aa3b, v31
	v_sub_f32_e32 v39, v41, v38
	v_exp_f32_e32 v31, v31
	v_mul_f32_e32 v39, 0x3fb8aa3b, v39
	v_sub_f32_e32 v36, v36, v38
	v_exp_f32_e32 v39, v39
	;; [unrolled: 3-line block ×4, first 2 shown]
	v_mul_f32_e32 v32, 0x3fb8aa3b, v32
	v_sub_f32_e32 v33, v33, v38
	v_add_f32_e32 v40, v30, v35
	v_cndmask_b32_e64 v30, 0, v31, s[24:25]
	v_exp_f32_e32 v32, v32
	v_mul_f32_e32 v33, 0x3fb8aa3b, v33
	v_sub_f32_e32 v24, v24, v38
	v_add_f32_e32 v40, v40, v30
	v_cndmask_b32_e64 v31, 0, v39, s[26:27]
	v_exp_f32_e32 v33, v33
	;; [unrolled: 5-line block ×7, first 2 shown]
	v_mul_f32_e32 v21, 0x3fb8aa3b, v21
	v_add_f32_e32 v39, v39, v24
	v_cndmask_b32_e64 v25, 0, v25, s[14:15]
	v_exp_f32_e32 v21, v21
	v_add_f32_e32 v39, v39, v25
	v_cndmask_b32_e64 v22, 0, v22, s[8:9]
	v_add_f32_e32 v39, v39, v22
	v_cndmask_b32_e64 v23, 0, v23, s[10:11]
	v_add_f32_e32 v39, v39, v23
	v_cndmask_b32_e32 v20, 0, v20, vcc
	v_add_f32_e32 v39, v39, v20
	v_cndmask_b32_e64 v21, 0, v21, s[6:7]
	v_add_f32_e32 v39, v39, v21
	ds_bpermute_b32 v40, v43, v39
	s_load_dword s7, s[0:1], 0x98
	v_cmp_gt_u32_e32 vcc, 16, v27
	s_waitcnt lgkmcnt(0)
	s_barrier
	v_add_f32_e32 v40, v39, v40
	ds_bpermute_b32 v41, v46, v40
	v_lshlrev_b32_e32 v39, 2, v28
	s_waitcnt lgkmcnt(0)
	s_and_saveexec_b64 s[4:5], vcc
	s_cbranch_execz .LBB1097_15
; %bb.14:
	v_add_f32_e32 v27, v40, v41
	v_lshl_or_b32 v40, v29, 6, v39
	ds_write2st64_b32 v40, v38, v27 offset1:1
.LBB1097_15:
	s_or_b64 exec, exec, s[4:5]
	s_load_dword s6, s[0:1], 0x94
	s_waitcnt lgkmcnt(0)
	s_barrier
	ds_read2_b32 v[40:41], v39 offset1:16
	ds_read2_b32 v[44:45], v39 offset0:32 offset1:48
	ds_read2_b32 v[46:47], v39 offset0:64 offset1:80
	s_movk_i32 s8, 0x7fff
	s_mul_i32 s7, s7, 10
	s_waitcnt lgkmcnt(2)
	v_max3_f32 v27, v40, s44, v41
	s_waitcnt lgkmcnt(1)
	v_max3_f32 v27, v27, v44, v45
	v_sub_f32_e32 v38, v40, v27
	v_mul_f32_e32 v38, 0x3fb8aa3b, v38
	v_exp_f32_e32 v43, v38
	v_sub_f32_e32 v38, v41, v27
	v_mul_f32_e32 v38, 0x3fb8aa3b, v38
	v_exp_f32_e32 v48, v38
	;; [unrolled: 3-line block ×3, first 2 shown]
	ds_read2_b32 v[40:41], v39 offset0:96 offset1:112
	v_sub_f32_e32 v38, v45, v27
	v_mul_f32_e32 v38, 0x3fb8aa3b, v38
	v_exp_f32_e32 v39, v38
	s_waitcnt lgkmcnt(1)
	v_fma_f32 v38, v43, v46, 0
	v_fmac_f32_e32 v38, v48, v47
	s_waitcnt lgkmcnt(0)
	v_fmac_f32_e32 v38, v44, v40
	v_fmac_f32_e32 v38, v39, v41
	v_add_f32_e32 v40, 0x358637bd, v38
	v_div_scale_f32 v41, s[4:5], v40, v40, 1.0
	v_rcp_f32_e32 v45, v41
	s_barrier
	v_fma_f32 v46, -v41, v45, 1.0
	v_fmac_f32_e32 v45, v46, v45
	v_div_scale_f32 v46, vcc, 1.0, v40, 1.0
	v_mul_f32_e32 v47, v46, v45
	v_fma_f32 v49, -v41, v47, v46
	v_fmac_f32_e32 v47, v49, v45
	v_fma_f32 v41, -v41, v47, v46
	v_div_fmas_f32 v41, v41, v45, v47
	v_cmp_eq_u32_e32 vcc, 1, v29
	v_div_fixup_f32 v40, v41, v40, 1.0
	s_nop 0
	v_cndmask_b32_e32 v41, v43, v48, vcc
	v_cmp_eq_u32_e32 vcc, 2, v29
	s_nop 1
	v_cndmask_b32_e32 v41, v41, v44, vcc
	v_cmp_eq_u32_e32 vcc, 3, v29
	v_lshlrev_b32_e32 v29, 11, v29
	s_nop 0
	v_cndmask_b32_e32 v39, v41, v39, vcc
	v_mul_f32_e32 v40, v39, v40
	v_pk_mul_f32 v[18:19], v[40:41], v[18:19] op_sel_hi:[0,1]
	v_pk_mul_f32 v[34:35], v[40:41], v[34:35] op_sel_hi:[0,1]
	v_bfe_u32 v39, v19, 16, 1
	v_bfe_u32 v41, v18, 16, 1
	v_add3_u32 v18, v18, v41, s8
	v_add3_u32 v19, v19, v39, s8
	v_perm_b32 v44, v19, v18, s33
	v_bfe_u32 v18, v35, 16, 1
	v_bfe_u32 v19, v34, 16, 1
	v_add3_u32 v19, v34, v19, s8
	v_add3_u32 v18, v35, v18, s8
	v_perm_b32 v45, v18, v19, s33
	v_lshlrev_b32_e32 v18, 3, v42
	v_lshlrev_b32_e32 v19, 5, v28
	v_pk_mul_f32 v[30:31], v[40:41], v[30:31] op_sel_hi:[0,1]
	v_or3_b32 v18, v29, v19, v18
	v_pk_mul_f32 v[34:35], v[40:41], v[36:37] op_sel_hi:[0,1]
	v_bfe_u32 v29, v31, 16, 1
	v_bfe_u32 v36, v30, 16, 1
	v_add3_u32 v30, v30, v36, s8
	v_add3_u32 v29, v31, v29, s8
	v_perm_b32 v30, v29, v30, s33
	v_bfe_u32 v29, v35, 16, 1
	v_bfe_u32 v31, v34, 16, 1
	v_add3_u32 v31, v34, v31, s8
	v_add3_u32 v29, v35, v29, s8
	v_perm_b32 v31, v29, v31, s33
	ds_write2st64_b64 v18, v[44:45], v[30:31] offset1:1
	v_pk_mul_f32 v[30:31], v[40:41], v[32:33] op_sel_hi:[0,1]
	v_bfe_u32 v29, v31, 16, 1
	v_bfe_u32 v32, v30, 16, 1
	v_pk_mul_f32 v[24:25], v[40:41], v[24:25] op_sel_hi:[0,1]
	v_add3_u32 v30, v30, v32, s8
	v_add3_u32 v29, v31, v29, s8
	v_perm_b32 v30, v29, v30, s33
	v_bfe_u32 v29, v25, 16, 1
	v_bfe_u32 v31, v24, 16, 1
	v_add3_u32 v24, v24, v31, s8
	v_add3_u32 v25, v25, v29, s8
	v_pk_mul_f32 v[22:23], v[40:41], v[22:23] op_sel_hi:[0,1]
	v_perm_b32 v31, v25, v24, s33
	v_bfe_u32 v24, v23, 16, 1
	v_bfe_u32 v25, v22, 16, 1
	v_pk_mul_f32 v[20:21], v[40:41], v[20:21] op_sel_hi:[0,1]
	v_add3_u32 v22, v22, v25, s8
	v_add3_u32 v23, v23, v24, s8
	v_perm_b32 v22, v23, v22, s33
	v_bfe_u32 v23, v21, 16, 1
	v_bfe_u32 v24, v20, 16, 1
	v_add3_u32 v20, v20, v24, s8
	v_add3_u32 v21, v21, v23, s8
	v_perm_b32 v23, v21, v20, s33
	v_cmp_gt_u32_e32 vcc, 10, v0
	ds_write2st64_b64 v18, v[30:31], v[22:23] offset0:2 offset1:3
	s_and_saveexec_b64 s[4:5], vcc
	s_cbranch_execz .LBB1097_17
; %bb.16:
	s_mov_b32 s49, 0
	v_mov_b32_e32 v29, 0
	v_lshl_add_u64 v[20:21], s[48:49], 0, v[28:29]
	v_mov_b32_e32 v22, s7
	v_mad_u64_u32 v[20:21], s[10:11], s2, v22, v[20:21]
	s_mul_i32 s3, s3, s7
	v_mov_b32_e32 v28, s28
	s_load_dwordx4 s[12:15], s[0:1], 0x58
	v_add_u32_e32 v23, s3, v21
	v_mad_u64_u32 v[20:21], s[10:11], v20, s6, v[28:29]
	v_mov_b32_e32 v22, v21
	v_mad_u64_u32 v[22:23], s[10:11], v23, s6, v[22:23]
	v_mov_b32_e32 v21, v22
	v_lshlrev_b64 v[20:21], 2, v[20:21]
	s_waitcnt lgkmcnt(0)
	v_lshl_add_u64 v[22:23], s[14:15], 0, v[20:21]
	v_lshl_add_u64 v[20:21], s[12:13], 0, v[20:21]
	global_store_dword v[22:23], v27, off
	global_store_dword v[20:21], v38, off
.LBB1097_17:
	s_or_b64 exec, exec, s[4:5]
	s_waitcnt vmcnt(3)
	v_cvt_pk_f32_fp8_e32 v[20:21], v14
	v_cvt_pk_f32_fp8_sdwa v[22:23], v14 src0_sel:WORD_1
	s_mov_b32 s4, 0x7060302
	v_lshl_or_b32 v14, v42, 9, v19
	s_waitcnt lgkmcnt(0)
	s_barrier
	v_perm_b32 v24, v21, v20, s4
	v_perm_b32 v25, v23, v22, s4
	v_cvt_pk_f32_fp8_e32 v[28:29], v15
	ds_read_b128 v[20:23], v14
	v_cvt_pk_f32_fp8_sdwa v[36:37], v15 src0_sel:WORD_1
	s_load_dword s10, s[42:43], 0x0
	v_perm_b32 v38, v29, v28, s4
	ds_read_b128 v[28:31], v14 offset:16
	v_perm_b32 v39, v37, v36, s4
	s_waitcnt lgkmcnt(0)
	v_mfma_f32_16x16x16_bf16 v[32:35], v[24:25], v[20:21], 0
	v_cvt_pk_f32_fp8_e32 v[24:25], v16
	v_cvt_pk_f32_fp8_sdwa v[36:37], v16 src0_sel:WORD_1
	v_cmp_gt_u32_e32 vcc, 64, v0
	v_mfma_f32_16x16x16_bf16 v[20:23], v[38:39], v[22:23], v[32:35]
	v_perm_b32 v24, v25, v24, s4
	v_perm_b32 v25, v37, v36, s4
	s_mov_b32 s3, 0
	v_cvt_pk_f32_fp8_e32 v[32:33], v17
	v_cvt_pk_f32_fp8_sdwa v[16:17], v17 src0_sel:WORD_1
	s_waitcnt vmcnt(2)
	v_cvt_pk_f32_fp8_sdwa v[34:35], v10 src0_sel:WORD_1
	v_mfma_f32_16x16x16_bf16 v[20:23], v[24:25], v[28:29], v[20:23]
	v_perm_b32 v36, v33, v32, s4
	v_cvt_pk_f32_fp8_e32 v[32:33], v10
	v_perm_b32 v37, v17, v16, s4
	v_perm_b32 v17, v35, v34, s4
	v_cvt_pk_f32_fp8_e32 v[24:25], v11
	v_perm_b32 v16, v33, v32, s4
	ds_read_b128 v[32:35], v14 offset:2048
	v_cvt_pk_f32_fp8_sdwa v[10:11], v11 src0_sel:WORD_1
	v_mfma_f32_16x16x16_bf16 v[20:23], v[36:37], v[30:31], v[20:23]
	ds_read_b128 v[28:31], v14 offset:2064
	v_perm_b32 v24, v25, v24, s4
	v_perm_b32 v25, v11, v10, s4
	s_waitcnt lgkmcnt(1)
	v_mfma_f32_16x16x16_bf16 v[20:23], v[16:17], v[32:33], v[20:23]
	v_cvt_pk_f32_fp8_e32 v[10:11], v12
	v_cvt_pk_f32_fp8_sdwa v[16:17], v12 src0_sel:WORD_1
	s_waitcnt vmcnt(1)
	v_cvt_pk_f32_fp8_sdwa v[32:33], v6 src0_sel:WORD_1
	v_mfma_f32_16x16x16_bf16 v[20:23], v[24:25], v[34:35], v[20:23]
	v_cvt_pk_f32_fp8_e32 v[24:25], v13
	v_perm_b32 v10, v11, v10, s4
	v_perm_b32 v11, v17, v16, s4
	v_cvt_pk_f32_fp8_sdwa v[12:13], v13 src0_sel:WORD_1
	v_perm_b32 v16, v25, v24, s4
	v_cvt_pk_f32_fp8_e32 v[24:25], v6
	v_mov_b32_e32 v27, 0
	v_perm_b32 v17, v13, v12, s4
	s_waitcnt lgkmcnt(0)
	v_mfma_f32_16x16x16_bf16 v[10:13], v[10:11], v[28:29], v[20:23]
	v_perm_b32 v24, v25, v24, s4
	v_perm_b32 v25, v33, v32, s4
	v_cvt_pk_f32_fp8_e32 v[28:29], v7
	ds_read_b128 v[20:23], v14 offset:4096
	v_cvt_pk_f32_fp8_sdwa v[6:7], v7 src0_sel:WORD_1
	v_mfma_f32_16x16x16_bf16 v[10:13], v[16:17], v[30:31], v[10:13]
	v_perm_b32 v16, v29, v28, s4
	ds_read_b128 v[28:31], v14 offset:4112
	v_perm_b32 v17, v7, v6, s4
	s_waitcnt lgkmcnt(1)
	v_mfma_f32_16x16x16_bf16 v[10:13], v[24:25], v[20:21], v[10:13]
	v_cvt_pk_f32_fp8_e32 v[6:7], v8
	v_cvt_pk_f32_fp8_sdwa v[20:21], v8 src0_sel:WORD_1
	v_perm_b32 v6, v7, v6, s4
	v_mfma_f32_16x16x16_bf16 v[10:13], v[16:17], v[22:23], v[10:13]
	v_cvt_pk_f32_fp8_e32 v[16:17], v9
	v_perm_b32 v7, v21, v20, s4
	v_cvt_pk_f32_fp8_sdwa v[8:9], v9 src0_sel:WORD_1
	s_waitcnt vmcnt(0)
	v_cvt_pk_f32_fp8_e32 v[20:21], v2
	v_perm_b32 v16, v17, v16, s4
	v_cvt_pk_f32_fp8_sdwa v[22:23], v2 src0_sel:WORD_1
	v_perm_b32 v17, v9, v8, s4
	s_waitcnt lgkmcnt(0)
	v_mfma_f32_16x16x16_bf16 v[6:9], v[6:7], v[28:29], v[10:13]
	v_perm_b32 v20, v21, v20, s4
	v_perm_b32 v21, v23, v22, s4
	v_cvt_pk_f32_fp8_e32 v[22:23], v3
	ds_read_b128 v[10:13], v14 offset:6144
	v_cvt_pk_f32_fp8_sdwa v[2:3], v3 src0_sel:WORD_1
	v_mfma_f32_16x16x16_bf16 v[6:9], v[16:17], v[30:31], v[6:9]
	v_perm_b32 v22, v23, v22, s4
	ds_read_b128 v[14:17], v14 offset:6160
	v_perm_b32 v23, v3, v2, s4
	s_waitcnt lgkmcnt(1)
	v_mfma_f32_16x16x16_bf16 v[6:9], v[20:21], v[10:11], v[6:9]
	v_cvt_pk_f32_fp8_e32 v[2:3], v4
	v_cvt_pk_f32_fp8_sdwa v[10:11], v4 src0_sel:WORD_1
	s_waitcnt lgkmcnt(0)
	v_mfma_f32_16x16x16_bf16 v[6:9], v[22:23], v[12:13], v[6:9]
	v_perm_b32 v2, v3, v2, s4
	v_perm_b32 v3, v11, v10, s4
	v_cvt_pk_f32_fp8_e32 v[10:11], v5
	v_cvt_pk_f32_fp8_sdwa v[4:5], v5 src0_sel:WORD_1
	s_barrier
	v_perm_b32 v10, v11, v10, s4
	v_perm_b32 v11, v5, v4, s4
	v_mfma_f32_16x16x16_bf16 v[2:5], v[2:3], v[14:15], v[6:9]
	s_nop 0
	v_mfma_f32_16x16x16_bf16 v[2:5], v[10:11], v[16:17], v[2:5]
	s_nop 6
	v_pk_mul_f32 v[2:3], v[2:3], s[10:11] op_sel_hi:[1,0]
	v_pk_mul_f32 v[4:5], v[4:5], s[10:11] op_sel_hi:[1,0]
	v_bfe_u32 v6, v3, 16, 1
	v_bfe_u32 v7, v2, 16, 1
	v_add3_u32 v2, v2, v7, s8
	v_add3_u32 v3, v3, v6, s8
	v_perm_b32 v2, v3, v2, s4
	v_bfe_u32 v3, v5, 16, 1
	v_bfe_u32 v6, v4, 16, 1
	v_add3_u32 v4, v4, v6, s8
	v_add3_u32 v3, v5, v3, s8
	v_perm_b32 v3, v3, v4, s4
	s_and_b64 s[4:5], vcc, s[30:31]
	ds_write_b64 v18, v[2:3]
	s_waitcnt lgkmcnt(0)
	s_barrier
	s_and_saveexec_b64 s[8:9], s[4:5]
	s_cbranch_execz .LBB1097_20
; %bb.18:
	s_load_dwordx2 s[4:5], s[0:1], 0x68
	s_lshl_b32 s0, s6, 6
	s_mul_i32 s1, s7, s2
	s_mul_hi_u32 s7, s1, s0
	s_mul_i32 s6, s1, s0
	v_lshlrev_b32_e32 v0, 10, v0
	s_lshl_b64 s[6:7], s[6:7], 1
	v_and_b32_e32 v0, 0x1800, v0
	v_lshlrev_b32_e32 v2, 5, v42
	v_and_b32_e32 v1, 16, v1
	s_waitcnt lgkmcnt(0)
	s_add_u32 s1, s4, s6
	v_or3_b32 v2, v0, v2, v1
	s_addc_u32 s4, s5, s7
	s_lshl_b32 s2, s28, 6
	s_lshl_b64 s[2:3], s[2:3], 1
	ds_read_b128 v[4:7], v2 offset:128
	ds_read_b128 v[8:11], v2
	s_add_u32 s2, s1, s2
	s_addc_u32 s3, s4, s3
	v_add_u32_e32 v14, s48, v42
	v_lshl_add_u64 v[0:1], s[2:3], 0, v[26:27]
	v_mad_u64_u32 v[12:13], s[2:3], v14, s0, 0
	v_lshl_add_u64 v[12:13], v[12:13], 1, v[0:1]
	s_waitcnt lgkmcnt(0)
	global_store_dwordx4 v[12:13], v[8:11], off
	v_or_b32_e32 v3, 8, v42
	v_cmp_gt_u32_e32 vcc, 10, v3
	v_add_u32_e32 v8, 4, v14
	v_mad_u64_u32 v[8:9], s[2:3], v8, s0, 0
	v_lshl_add_u64 v[8:9], v[8:9], 1, v[0:1]
	global_store_dwordx4 v[8:9], v[4:7], off
	s_and_b64 exec, exec, vcc
	s_cbranch_execz .LBB1097_20
; %bb.19:
	ds_read_b128 v[4:7], v2 offset:256
	v_add_u32_e32 v2, s48, v3
	v_mad_u64_u32 v[2:3], s[0:1], v2, s0, 0
	v_lshl_add_u64 v[0:1], v[2:3], 1, v[0:1]
	s_waitcnt lgkmcnt(0)
	global_store_dwordx4 v[0:1], v[4:7], off
.LBB1097_20:
	s_endpgm
	.section	.rodata,"a",@progbits
	.p2align	6, 0x0
	.amdhsa_kernel _Z39paged_attention_ll4mi_QKV_mfma16_kernelI14__hip_bfloat16hLN4vllm18Fp8KVCacheDataTypeE1EhLi16ELi64ELi256ELb1ELi10EEvPKT_PKT0_S8_ifPKiSA_SA_iPKfiiiPfSD_PS3_PT2_iSC_SC_
		.amdhsa_group_segment_fixed_size 8192
		.amdhsa_private_segment_fixed_size 0
		.amdhsa_kernarg_size 400
		.amdhsa_user_sgpr_count 2
		.amdhsa_user_sgpr_dispatch_ptr 0
		.amdhsa_user_sgpr_queue_ptr 0
		.amdhsa_user_sgpr_kernarg_segment_ptr 1
		.amdhsa_user_sgpr_dispatch_id 0
		.amdhsa_user_sgpr_kernarg_preload_length 0
		.amdhsa_user_sgpr_kernarg_preload_offset 0
		.amdhsa_user_sgpr_private_segment_size 0
		.amdhsa_uses_dynamic_stack 0
		.amdhsa_enable_private_segment 0
		.amdhsa_system_sgpr_workgroup_id_x 1
		.amdhsa_system_sgpr_workgroup_id_y 1
		.amdhsa_system_sgpr_workgroup_id_z 1
		.amdhsa_system_sgpr_workgroup_info 0
		.amdhsa_system_vgpr_workitem_id 0
		.amdhsa_next_free_vgpr 67
		.amdhsa_next_free_sgpr 50
		.amdhsa_accum_offset 68
		.amdhsa_reserve_vcc 1
		.amdhsa_float_round_mode_32 0
		.amdhsa_float_round_mode_16_64 0
		.amdhsa_float_denorm_mode_32 3
		.amdhsa_float_denorm_mode_16_64 3
		.amdhsa_dx10_clamp 1
		.amdhsa_ieee_mode 1
		.amdhsa_fp16_overflow 0
		.amdhsa_tg_split 0
		.amdhsa_exception_fp_ieee_invalid_op 0
		.amdhsa_exception_fp_denorm_src 0
		.amdhsa_exception_fp_ieee_div_zero 0
		.amdhsa_exception_fp_ieee_overflow 0
		.amdhsa_exception_fp_ieee_underflow 0
		.amdhsa_exception_fp_ieee_inexact 0
		.amdhsa_exception_int_div_zero 0
	.end_amdhsa_kernel
	.section	.text._Z39paged_attention_ll4mi_QKV_mfma16_kernelI14__hip_bfloat16hLN4vllm18Fp8KVCacheDataTypeE1EhLi16ELi64ELi256ELb1ELi10EEvPKT_PKT0_S8_ifPKiSA_SA_iPKfiiiPfSD_PS3_PT2_iSC_SC_,"axG",@progbits,_Z39paged_attention_ll4mi_QKV_mfma16_kernelI14__hip_bfloat16hLN4vllm18Fp8KVCacheDataTypeE1EhLi16ELi64ELi256ELb1ELi10EEvPKT_PKT0_S8_ifPKiSA_SA_iPKfiiiPfSD_PS3_PT2_iSC_SC_,comdat
.Lfunc_end1097:
	.size	_Z39paged_attention_ll4mi_QKV_mfma16_kernelI14__hip_bfloat16hLN4vllm18Fp8KVCacheDataTypeE1EhLi16ELi64ELi256ELb1ELi10EEvPKT_PKT0_S8_ifPKiSA_SA_iPKfiiiPfSD_PS3_PT2_iSC_SC_, .Lfunc_end1097-_Z39paged_attention_ll4mi_QKV_mfma16_kernelI14__hip_bfloat16hLN4vllm18Fp8KVCacheDataTypeE1EhLi16ELi64ELi256ELb1ELi10EEvPKT_PKT0_S8_ifPKiSA_SA_iPKfiiiPfSD_PS3_PT2_iSC_SC_
                                        ; -- End function
	.section	.AMDGPU.csdata,"",@progbits
; Kernel info:
; codeLenInByte = 5128
; NumSgprs: 56
; NumVgprs: 67
; NumAgprs: 0
; TotalNumVgprs: 67
; ScratchSize: 0
; MemoryBound: 0
; FloatMode: 240
; IeeeMode: 1
; LDSByteSize: 8192 bytes/workgroup (compile time only)
; SGPRBlocks: 6
; VGPRBlocks: 8
; NumSGPRsForWavesPerEU: 56
; NumVGPRsForWavesPerEU: 67
; AccumOffset: 68
; Occupancy: 7
; WaveLimiterHint : 1
; COMPUTE_PGM_RSRC2:SCRATCH_EN: 0
; COMPUTE_PGM_RSRC2:USER_SGPR: 2
; COMPUTE_PGM_RSRC2:TRAP_HANDLER: 0
; COMPUTE_PGM_RSRC2:TGID_X_EN: 1
; COMPUTE_PGM_RSRC2:TGID_Y_EN: 1
; COMPUTE_PGM_RSRC2:TGID_Z_EN: 1
; COMPUTE_PGM_RSRC2:TIDIG_COMP_CNT: 0
; COMPUTE_PGM_RSRC3_GFX90A:ACCUM_OFFSET: 16
; COMPUTE_PGM_RSRC3_GFX90A:TG_SPLIT: 0
	.section	.text._Z39paged_attention_ll4mi_QKV_mfma16_kernelI14__hip_bfloat16hLN4vllm18Fp8KVCacheDataTypeE1EhLi16ELi64ELi256ELb1ELi11EEvPKT_PKT0_S8_ifPKiSA_SA_iPKfiiiPfSD_PS3_PT2_iSC_SC_,"axG",@progbits,_Z39paged_attention_ll4mi_QKV_mfma16_kernelI14__hip_bfloat16hLN4vllm18Fp8KVCacheDataTypeE1EhLi16ELi64ELi256ELb1ELi11EEvPKT_PKT0_S8_ifPKiSA_SA_iPKfiiiPfSD_PS3_PT2_iSC_SC_,comdat
	.protected	_Z39paged_attention_ll4mi_QKV_mfma16_kernelI14__hip_bfloat16hLN4vllm18Fp8KVCacheDataTypeE1EhLi16ELi64ELi256ELb1ELi11EEvPKT_PKT0_S8_ifPKiSA_SA_iPKfiiiPfSD_PS3_PT2_iSC_SC_ ; -- Begin function _Z39paged_attention_ll4mi_QKV_mfma16_kernelI14__hip_bfloat16hLN4vllm18Fp8KVCacheDataTypeE1EhLi16ELi64ELi256ELb1ELi11EEvPKT_PKT0_S8_ifPKiSA_SA_iPKfiiiPfSD_PS3_PT2_iSC_SC_
	.globl	_Z39paged_attention_ll4mi_QKV_mfma16_kernelI14__hip_bfloat16hLN4vllm18Fp8KVCacheDataTypeE1EhLi16ELi64ELi256ELb1ELi11EEvPKT_PKT0_S8_ifPKiSA_SA_iPKfiiiPfSD_PS3_PT2_iSC_SC_
	.p2align	8
	.type	_Z39paged_attention_ll4mi_QKV_mfma16_kernelI14__hip_bfloat16hLN4vllm18Fp8KVCacheDataTypeE1EhLi16ELi64ELi256ELb1ELi11EEvPKT_PKT0_S8_ifPKiSA_SA_iPKfiiiPfSD_PS3_PT2_iSC_SC_,@function
_Z39paged_attention_ll4mi_QKV_mfma16_kernelI14__hip_bfloat16hLN4vllm18Fp8KVCacheDataTypeE1EhLi16ELi64ELi256ELb1ELi11EEvPKT_PKT0_S8_ifPKiSA_SA_iPKfiiiPfSD_PS3_PT2_iSC_SC_: ; @_Z39paged_attention_ll4mi_QKV_mfma16_kernelI14__hip_bfloat16hLN4vllm18Fp8KVCacheDataTypeE1EhLi16ELi64ELi256ELb1ELi11EEvPKT_PKT0_S8_ifPKiSA_SA_iPKfiiiPfSD_PS3_PT2_iSC_SC_
; %bb.0:
	s_load_dwordx2 s[6:7], s[0:1], 0x30
	s_mov_b32 s28, s3
	s_mov_b64 s[8:9], 0
	s_waitcnt lgkmcnt(0)
	s_cmp_lg_u64 s[6:7], 0
	s_cselect_b64 s[10:11], -1, 0
	s_and_b64 vcc, exec, s[10:11]
	s_cbranch_vccz .LBB1098_7
; %bb.1:
	s_add_i32 s12, s2, 1
	s_mov_b32 s13, 0
	s_lshl_b64 s[14:15], s[12:13], 2
	s_add_u32 s14, s6, s14
	s_mov_b32 s3, s13
	s_addc_u32 s15, s7, s15
	s_lshl_b64 s[12:13], s[2:3], 2
	s_add_u32 s12, s6, s12
	s_addc_u32 s13, s7, s13
	s_load_dword s5, s[14:15], 0x0
	s_load_dword s16, s[12:13], 0x0
	s_waitcnt lgkmcnt(0)
	s_sub_i32 s5, s5, s16
	s_cmp_eq_u32 s5, 1
	s_cselect_b64 s[12:13], -1, 0
	s_andn2_b64 vcc, exec, s[8:9]
	s_cbranch_vccnz .LBB1098_3
.LBB1098_2:
	s_mov_b32 s3, 0
	s_mov_b64 s[12:13], -1
.LBB1098_3:
	s_andn2_b64 vcc, exec, s[12:13]
	s_cbranch_vccnz .LBB1098_20
; %bb.4:
	s_load_dwordx2 s[8:9], s[0:1], 0x28
	s_lshl_b64 s[12:13], s[2:3], 2
	s_waitcnt lgkmcnt(0)
	s_add_u32 s8, s8, s12
	s_addc_u32 s9, s9, s13
	s_load_dword s29, s[8:9], 0x0
	s_lshl_b32 s16, s28, 8
	s_waitcnt lgkmcnt(0)
	s_cmp_ge_i32 s16, s29
	s_cbranch_scc1 .LBB1098_20
; %bb.5:
	s_load_dwordx2 s[8:9], s[0:1], 0x20
	s_load_dword s5, s[0:1], 0x38
	s_add_i32 s14, s29, 15
	s_ashr_i32 s15, s14, 31
	v_and_b32_e32 v1, 0xcf, v0
	s_lshr_b32 s15, s15, 28
	v_add_u32_e32 v1, s16, v1
	s_add_i32 s14, s14, s15
	v_ashrrev_i32_e32 v2, 31, v1
	s_ashr_i32 s17, s14, 4
	v_lshrrev_b32_e32 v4, 28, v2
	s_add_i32 s17, s17, -1
	s_waitcnt lgkmcnt(0)
	s_mul_i32 s14, s2, s5
	s_mov_b32 s15, 0
	v_add_u32_e32 v2, v1, v4
	s_lshl_b64 s[14:15], s[14:15], 2
	v_ashrrev_i32_e32 v2, 4, v2
	v_mov_b32_e32 v5, s17
	v_cmp_gt_i32_e32 vcc, s29, v1
	s_add_u32 s8, s8, s14
	s_addc_u32 s9, s9, s15
	v_cndmask_b32_e32 v2, v5, v2, vcc
	v_ashrrev_i32_e32 v3, 31, v2
	v_lshl_add_u64 v[6:7], v[2:3], 2, s[8:9]
	v_or_b32_e32 v2, 16, v1
	v_add_u32_e32 v3, v2, v4
	v_ashrrev_i32_e32 v3, 4, v3
	v_cmp_gt_i32_e32 vcc, s29, v2
	s_load_dwordx2 s[14:15], s[0:1], 0x8
	s_nop 0
	v_cndmask_b32_e32 v2, v5, v3, vcc
	v_ashrrev_i32_e32 v3, 31, v2
	v_lshl_add_u64 v[8:9], v[2:3], 2, s[8:9]
	v_or_b32_e32 v2, 32, v1
	v_add_u32_e32 v3, v2, v4
	v_ashrrev_i32_e32 v3, 4, v3
	v_cmp_gt_i32_e32 vcc, s29, v2
	v_or_b32_e32 v1, 48, v1
	s_nop 0
	v_cndmask_b32_e32 v2, v5, v3, vcc
	v_ashrrev_i32_e32 v3, 31, v2
	v_lshl_add_u64 v[10:11], v[2:3], 2, s[8:9]
	v_add_u32_e32 v2, v1, v4
	v_ashrrev_i32_e32 v2, 4, v2
	v_cmp_gt_i32_e32 vcc, s29, v1
	s_nop 1
	v_cndmask_b32_e32 v2, v5, v2, vcc
	v_ashrrev_i32_e32 v3, 31, v2
	v_lshl_add_u64 v[12:13], v[2:3], 2, s[8:9]
	global_load_dword v5, v[6:7], off
	global_load_dword v4, v[8:9], off
	;; [unrolled: 1-line block ×4, first 2 shown]
	s_andn2_b64 vcc, exec, s[10:11]
	s_cbranch_vccnz .LBB1098_8
; %bb.6:
	s_add_u32 s6, s6, s12
	s_addc_u32 s7, s7, s13
	s_load_dword s5, s[6:7], 0x0
	s_branch .LBB1098_9
.LBB1098_7:
	s_mov_b64 s[12:13], 0
	s_branch .LBB1098_2
.LBB1098_8:
	s_mov_b32 s5, s2
.LBB1098_9:
	s_load_dwordx2 s[6:7], s[0:1], 0x10
	s_load_dwordx4 s[44:47], s[0:1], 0x48
	v_lshrrev_b32_e32 v29, 6, v0
	v_bfe_u32 v42, v0, 4, 2
	v_lshl_or_b32 v6, v29, 2, v42
	v_and_b32_e32 v28, 15, v0
	v_lshlrev_b32_e32 v1, 3, v28
	v_cmp_gt_u32_e32 vcc, 11, v6
	v_cmp_gt_u32_e64 s[30:31], 8, v28
	s_mul_i32 s48, s4, 11
	s_and_b64 s[12:13], s[30:31], vcc
	v_lshlrev_b32_e32 v26, 1, v1
	v_lshlrev_b32_e32 v1, 4, v0
	s_and_saveexec_b64 s[10:11], s[12:13]
	s_cbranch_execz .LBB1098_11
; %bb.10:
	s_load_dwordx2 s[12:13], s[0:1], 0x0
	s_waitcnt lgkmcnt(0)
	s_ashr_i32 s18, s44, 31
	s_mul_hi_u32 s19, s5, s44
	s_mul_i32 s18, s5, s18
	s_add_i32 s19, s19, s18
	s_mul_i32 s18, s5, s44
	s_lshl_b64 s[18:19], s[18:19], 1
	s_add_u32 s12, s12, s18
	v_add_lshl_u32 v8, v6, s48, 6
	s_addc_u32 s13, s13, s19
	v_ashrrev_i32_e32 v9, 31, v8
	v_lshl_add_u64 v[8:9], v[8:9], 1, s[12:13]
	v_mov_b32_e32 v27, 0
	v_lshl_add_u64 v[8:9], v[8:9], 0, v[26:27]
	global_load_dwordx4 v[8:11], v[8:9], off
	v_lshlrev_b32_e32 v12, 8, v28
	v_lshlrev_b32_e32 v6, 5, v6
	v_and_b32_e32 v7, 16, v1
	v_and_b32_e32 v12, 0xe00, v12
	v_or3_b32 v6, v12, v6, v7
	s_waitcnt vmcnt(0)
	ds_write_b128 v6, v[8:11]
.LBB1098_11:
	s_or_b64 exec, exec, s[10:11]
	s_waitcnt lgkmcnt(0)
	s_mul_i32 s10, s4, s46
	s_add_u32 s4, s14, s10
	s_addc_u32 s5, s15, 0
	v_and_b32_e32 v32, 48, v0
	v_and_b32_e32 v30, 0xf0, v1
	v_mov_b32_e32 v31, 0
	v_lshl_add_u64 v[6:7], s[4:5], 0, v[30:31]
	v_lshlrev_b32_e32 v30, 4, v32
	v_lshl_add_u64 v[6:7], v[6:7], 0, v[30:31]
	s_waitcnt vmcnt(3)
	v_mad_i64_i32 v[8:9], s[4:5], v5, s45, v[6:7]
	s_waitcnt vmcnt(2)
	v_mad_i64_i32 v[4:5], s[4:5], v4, s45, v[6:7]
	s_barrier
	global_load_dwordx4 v[22:25], v[8:9], off
	global_load_dwordx4 v[18:21], v[4:5], off
	s_waitcnt vmcnt(3)
	v_mad_i64_i32 v[4:5], s[4:5], v3, s45, v[6:7]
	s_waitcnt vmcnt(2)
	v_mad_i64_i32 v[2:3], s[4:5], v2, s45, v[6:7]
	global_load_dwordx4 v[14:17], v[4:5], off
	global_load_dwordx4 v[6:9], v[2:3], off
	v_add_u32_e32 v2, -11, v28
	v_cmp_gt_u32_e32 vcc, 11, v28
	v_and_b32_e32 v27, 63, v0
	v_mov_b32_e32 v43, 0
	v_cndmask_b32_e32 v2, v2, v28, vcc
	v_lshlrev_b32_e32 v2, 5, v2
	v_lshl_add_u32 v2, v42, 9, v2
	ds_read_b128 v[10:13], v2
	ds_read_b128 v[2:5], v2 offset:16
	s_and_saveexec_b64 s[4:5], vcc
	s_cbranch_execz .LBB1098_13
; %bb.12:
	s_load_dwordx2 s[12:13], s[0:1], 0x40
	v_add_u32_e32 v34, s48, v28
	v_ashrrev_i32_e32 v35, 31, v34
	s_waitcnt lgkmcnt(0)
	v_lshl_add_u64 v[34:35], v[34:35], 2, s[12:13]
	global_load_dword v43, v[34:35], off
.LBB1098_13:
	s_or_b64 exec, exec, s[4:5]
	v_or_b32_e32 v62, s16, v32
	v_ashrrev_i32_e32 v30, 4, v62
	v_mov_b32_e32 v63, s17
	v_cmp_gt_i32_e32 vcc, s29, v62
	s_waitcnt vmcnt(2)
	v_cvt_pk_f32_fp8_e32 v[52:53], v20
	v_cvt_pk_f32_fp8_sdwa v[54:55], v20 src0_sel:WORD_1
	v_cndmask_b32_e32 v20, v63, v30, vcc
	v_cvt_pk_f32_fp8_e32 v[56:57], v21
	v_cvt_pk_f32_fp8_sdwa v[58:59], v21 src0_sel:WORD_1
	v_ashrrev_i32_e32 v21, 31, v20
	v_cvt_pk_f32_fp8_e32 v[40:41], v22
	v_cvt_pk_f32_fp8_sdwa v[44:45], v22 src0_sel:WORD_1
	v_lshl_add_u64 v[20:21], v[20:21], 2, s[8:9]
	v_cvt_pk_f32_fp8_e32 v[46:47], v18
	v_cvt_pk_f32_fp8_sdwa v[48:49], v18 src0_sel:WORD_1
	global_load_dword v64, v[20:21], off
	s_mov_b32 s33, 0x7060302
	v_cvt_pk_f32_fp8_e32 v[32:33], v23
	v_cvt_pk_f32_fp8_sdwa v[34:35], v23 src0_sel:WORD_1
	v_perm_b32 v20, v41, v40, s33
	v_perm_b32 v21, v45, v44, s33
	v_cvt_pk_f32_fp8_e32 v[38:39], v24
	v_cvt_pk_f32_fp8_sdwa v[36:37], v24 src0_sel:WORD_1
	v_cvt_pk_f32_fp8_e32 v[50:51], v19
	v_cvt_pk_f32_fp8_sdwa v[18:19], v19 src0_sel:WORD_1
	v_perm_b32 v44, v47, v46, s33
	v_perm_b32 v45, v49, v48, s33
	v_cvt_pk_f32_fp8_e32 v[22:23], v25
	s_waitcnt vmcnt(2)
	v_cvt_pk_f32_fp8_e32 v[40:41], v14
	v_cvt_pk_f32_fp8_sdwa v[46:47], v14 src0_sel:WORD_1
	v_perm_b32 v48, v33, v32, s33
	v_perm_b32 v49, v35, v34, s33
	v_or_b32_e32 v14, 64, v62
	v_or_b32_e32 v32, 0xc0, v62
	v_cvt_pk_f32_fp8_sdwa v[24:25], v25 src0_sel:WORD_1
	s_load_dword s11, s[0:1], 0x1c
	s_load_dwordx4 s[40:43], s[0:1], 0x80
	v_perm_b32 v38, v39, v38, s33
	v_perm_b32 v39, v37, v36, s33
	v_or_b32_e32 v65, 0x80, v62
	v_ashrrev_i32_e32 v62, 4, v14
	v_cmp_gt_i32_e32 vcc, s29, v32
	v_ashrrev_i32_e32 v66, 4, v32
	v_cmp_gt_i32_e64 s[4:5], s29, v14
	v_perm_b32 v36, v51, v50, s33
	v_perm_b32 v37, v19, v18, s33
	s_waitcnt lgkmcnt(0)
	v_mfma_f32_16x16x16_bf16 v[32:35], v[20:21], v[10:11], 0
	s_add_u32 s6, s6, s10
	v_lshlrev_b32_e32 v30, 4, v28
	v_cndmask_b32_e64 v50, v63, v62, s[4:5]
	v_perm_b32 v62, v23, v22, s33
	v_mfma_f32_16x16x16_bf16 v[20:23], v[44:45], v[10:11], 0
	v_lshl_or_b32 v30, v29, 8, v30
	s_addc_u32 s7, s7, 0
	v_ashrrev_i32_e32 v14, 4, v65
	v_lshl_add_u64 v[18:19], s[6:7], 0, v[30:31]
	v_cmp_gt_i32_e64 s[6:7], s29, v65
	v_mfma_f32_16x16x16_bf16 v[30:33], v[48:49], v[12:13], v[32:35]
	v_cndmask_b32_e32 v48, v63, v66, vcc
	s_load_dword s4, s[40:41], 0x0
	v_cvt_pk_f32_fp8_e32 v[60:61], v15
	v_cndmask_b32_e64 v34, v63, v14, s[6:7]
	v_perm_b32 v63, v25, v24, s33
	v_perm_b32 v24, v53, v52, s33
	;; [unrolled: 1-line block ×3, first 2 shown]
	v_mfma_f32_16x16x16_bf16 v[20:23], v[36:37], v[12:13], v[20:23]
	v_perm_b32 v40, v41, v40, s33
	v_perm_b32 v41, v47, v46, s33
	v_ashrrev_i32_e32 v51, 31, v50
	v_mfma_f32_16x16x16_bf16 v[20:23], v[24:25], v[2:3], v[20:23]
	v_mov_b32_e32 v24, s11
	s_waitcnt lgkmcnt(0)
	v_mul_f32_e32 v54, s4, v24
	v_cvt_pk_f32_fp8_sdwa v[24:25], v15 src0_sel:WORD_1
	v_mfma_f32_16x16x16_bf16 v[30:33], v[38:39], v[2:3], v[30:33]
	v_ashrrev_i32_e32 v35, 31, v34
	v_ashrrev_i32_e32 v49, 31, v48
	v_lshl_add_u64 v[36:37], v[50:51], 2, s[8:9]
	v_lshl_add_u64 v[34:35], v[34:35], 2, s[8:9]
	;; [unrolled: 1-line block ×3, first 2 shown]
	global_load_dword v14, v[36:37], off
	global_load_dword v44, v[34:35], off
	;; [unrolled: 1-line block ×3, first 2 shown]
	v_perm_b32 v46, v61, v60, s33
	v_cvt_pk_f32_fp8_e32 v[48:49], v16
	v_cvt_pk_f32_fp8_sdwa v[50:51], v16 src0_sel:WORD_1
	v_perm_b32 v47, v25, v24, s33
	v_mfma_f32_16x16x16_bf16 v[36:39], v[62:63], v[4:5], v[30:33]
	v_perm_b32 v24, v49, v48, s33
	v_perm_b32 v25, v51, v50, s33
	;; [unrolled: 1-line block ×3, first 2 shown]
	v_mfma_f32_16x16x16_bf16 v[30:33], v[40:41], v[10:11], 0
	v_cvt_pk_f32_fp8_e32 v[40:41], v17
	v_cvt_pk_f32_fp8_sdwa v[16:17], v17 src0_sel:WORD_1
	v_perm_b32 v53, v59, v58, s33
	v_mfma_f32_16x16x16_bf16 v[46:49], v[46:47], v[12:13], v[30:33]
	s_mov_b32 s44, 0xff7fffff
	s_waitcnt vmcnt(3)
	v_mad_i64_i32 v[34:35], s[4:5], v64, s45, v[18:19]
	v_perm_b32 v32, v41, v40, s33
	v_perm_b32 v33, v17, v16, s33
	v_mfma_f32_16x16x16_bf16 v[46:49], v[24:25], v[2:3], v[46:49]
	v_cvt_pk_f32_fp8_e32 v[16:17], v6
	v_cvt_pk_f32_fp8_sdwa v[24:25], v6 src0_sel:WORD_1
	v_pk_mul_f32 v[30:31], v[54:55], v[38:39] op_sel_hi:[0,1]
	v_mfma_f32_16x16x16_bf16 v[46:49], v[32:33], v[4:5], v[46:49]
	v_cvt_pk_f32_fp8_e32 v[32:33], v7
	v_perm_b32 v16, v17, v16, s33
	v_perm_b32 v17, v25, v24, s33
	v_cvt_pk_f32_fp8_sdwa v[6:7], v7 src0_sel:WORD_1
	v_pk_mul_f32 v[38:39], v[54:55], v[36:37] op_sel_hi:[0,1]
	v_perm_b32 v24, v33, v32, s33
	v_cvt_pk_f32_fp8_e32 v[32:33], v8
	v_cvt_pk_f32_fp8_sdwa v[36:37], v8 src0_sel:WORD_1
	v_perm_b32 v25, v7, v6, s33
	v_mfma_f32_16x16x16_bf16 v[20:23], v[52:53], v[4:5], v[20:23]
	v_mfma_f32_16x16x16_bf16 v[50:53], v[16:17], v[10:11], 0
	v_perm_b32 v10, v33, v32, s33
	v_perm_b32 v11, v37, v36, s33
	v_cvt_pk_f32_fp8_e32 v[16:17], v9
	v_cvt_pk_f32_fp8_sdwa v[32:33], v9 src0_sel:WORD_1
	v_mfma_f32_16x16x16_bf16 v[6:9], v[24:25], v[12:13], v[50:53]
	s_nop 0
	v_pk_mul_f32 v[36:37], v[54:55], v[22:23] op_sel_hi:[0,1]
	v_perm_b32 v12, v17, v16, s33
	v_perm_b32 v13, v33, v32, s33
	v_mfma_f32_16x16x16_bf16 v[6:9], v[10:11], v[2:3], v[6:9]
	v_pk_mul_f32 v[40:41], v[54:55], v[20:21] op_sel_hi:[0,1]
	v_pk_mul_f32 v[24:25], v[54:55], v[48:49] op_sel_hi:[0,1]
	v_pk_mul_f32 v[32:33], v[54:55], v[46:47] op_sel_hi:[0,1]
	v_mfma_f32_16x16x16_bf16 v[2:5], v[12:13], v[4:5], v[6:9]
	s_nop 6
	v_pk_mul_f32 v[22:23], v[54:55], v[2:3] op_sel_hi:[0,1]
	v_and_b32_e32 v2, 0xc0, v0
	v_add_u32_e32 v2, s16, v2
	v_lshl_or_b32 v2, v42, 2, v2
	v_or_b32_e32 v3, 1, v2
	v_pk_mul_f32 v[20:21], v[54:55], v[4:5] op_sel_hi:[0,1]
	v_subrev_u32_e32 v4, s29, v3
	v_add_u32_e32 v6, 1, v4
	v_add_u32_e32 v7, 2, v4
	;; [unrolled: 1-line block ×3, first 2 shown]
	v_cvt_f32_i32_e32 v6, v6
	v_cvt_f32_i32_e32 v7, v7
	;; [unrolled: 1-line block ×3, first 2 shown]
	v_add_u32_e32 v9, 19, v4
	v_fmac_f32_e32 v39, v43, v6
	v_fma_f32 v30, v43, v7, v30
	v_fmac_f32_e32 v31, v43, v8
	v_add_u32_e32 v6, 16, v4
	v_add_u32_e32 v7, 17, v4
	;; [unrolled: 1-line block ×3, first 2 shown]
	v_cvt_f32_i32_e32 v6, v6
	v_cvt_f32_i32_e32 v7, v7
	;; [unrolled: 1-line block ×4, first 2 shown]
	v_fma_f32 v40, v43, v6, v40
	v_fmac_f32_e32 v41, v43, v7
	v_fma_f32 v36, v43, v8, v36
	v_add_u32_e32 v6, 32, v4
	v_add_u32_e32 v7, 33, v4
	v_add_u32_e32 v8, 34, v4
	v_cvt_f32_i32_e32 v6, v6
	v_cvt_f32_i32_e32 v7, v7
	;; [unrolled: 1-line block ×4, first 2 shown]
	v_fmac_f32_e32 v37, v43, v9
	v_add_u32_e32 v9, 35, v4
	v_fma_f32 v32, v43, v6, v32
	v_fmac_f32_e32 v33, v43, v7
	v_fma_f32 v24, v43, v8, v24
	v_add_u32_e32 v6, 48, v4
	v_add_u32_e32 v7, 49, v4
	;; [unrolled: 1-line block ×4, first 2 shown]
	v_cvt_f32_i32_e32 v4, v4
	v_cvt_f32_i32_e32 v6, v6
	;; [unrolled: 1-line block ×3, first 2 shown]
	v_fma_f32 v5, v43, v5, v38
	v_fmac_f32_e32 v21, v43, v4
	v_mov_b32_e32 v4, 0xff7fffff
	v_cmp_gt_i32_e64 s[4:5], s29, v2
	v_cmp_gt_i32_e64 s[34:35], s29, v3
	v_fma_f32 v22, v43, v6, v22
	v_cndmask_b32_e64 v6, v4, v5, s[4:5]
	v_cndmask_b32_e64 v3, v4, v39, s[34:35]
	v_fmac_f32_e32 v23, v43, v7
	v_max3_f32 v3, v6, s44, v3
	v_or_b32_e32 v6, 2, v2
	v_or_b32_e32 v7, 3, v2
	v_cmp_gt_i32_e64 s[36:37], s29, v6
	v_cmp_gt_i32_e64 s[38:39], s29, v7
	v_cvt_f32_i32_e32 v9, v9
	v_cndmask_b32_e64 v6, v4, v30, s[36:37]
	v_cndmask_b32_e64 v7, v4, v31, s[38:39]
	v_max3_f32 v3, v3, v6, v7
	v_or_b32_e32 v6, 16, v2
	v_or_b32_e32 v7, 17, v2
	v_cmp_gt_i32_e64 s[24:25], s29, v6
	v_cmp_gt_i32_e64 s[26:27], s29, v7
	v_fmac_f32_e32 v25, v43, v9
	v_cndmask_b32_e64 v6, v4, v40, s[24:25]
	v_cndmask_b32_e64 v7, v4, v41, s[26:27]
	v_max3_f32 v3, v3, v6, v7
	v_or_b32_e32 v6, 18, v2
	v_or_b32_e32 v7, 19, v2
	v_cmp_gt_i32_e64 s[20:21], s29, v6
	v_cmp_gt_i32_e64 s[22:23], s29, v7
	v_cvt_f32_i32_e32 v8, v8
	v_cndmask_b32_e64 v6, v4, v36, s[20:21]
	v_cndmask_b32_e64 v7, v4, v37, s[22:23]
	v_max3_f32 v3, v3, v6, v7
	v_or_b32_e32 v6, 32, v2
	v_or_b32_e32 v7, 33, v2
	v_cmp_gt_i32_e64 s[16:17], s29, v6
	v_cmp_gt_i32_e64 s[18:19], s29, v7
	v_fma_f32 v20, v43, v8, v20
	v_cndmask_b32_e64 v6, v4, v32, s[16:17]
	v_cndmask_b32_e64 v7, v4, v33, s[18:19]
	v_max3_f32 v3, v3, v6, v7
	v_or_b32_e32 v6, 34, v2
	v_or_b32_e32 v7, 35, v2
	v_cmp_gt_i32_e64 s[12:13], s29, v6
	v_cmp_gt_i32_e64 s[14:15], s29, v7
	s_nop 0
	v_cndmask_b32_e64 v6, v4, v24, s[12:13]
	v_cndmask_b32_e64 v7, v4, v25, s[14:15]
	v_max3_f32 v3, v3, v6, v7
	v_or_b32_e32 v6, 48, v2
	v_or_b32_e32 v7, 49, v2
	v_cmp_gt_i32_e64 s[8:9], s29, v6
	v_cmp_gt_i32_e64 s[10:11], s29, v7
	s_nop 0
	v_cndmask_b32_e64 v6, v4, v22, s[8:9]
	v_cndmask_b32_e64 v7, v4, v23, s[10:11]
	v_max3_f32 v3, v3, v6, v7
	v_or_b32_e32 v6, 50, v2
	v_or_b32_e32 v2, 51, v2
	v_cmp_gt_i32_e32 vcc, s29, v6
	v_cmp_gt_i32_e64 s[6:7], s29, v2
	s_nop 0
	v_cndmask_b32_e32 v6, v4, v20, vcc
	v_cndmask_b32_e64 v2, v4, v21, s[6:7]
	v_max3_f32 v4, v3, v6, v2
	v_mbcnt_lo_u32_b32 v2, -1, 0
	v_mbcnt_hi_u32_b32 v6, -1, v2
	v_and_b32_e32 v2, 64, v6
	v_add_u32_e32 v7, 64, v2
	v_xor_b32_e32 v2, 32, v6
	v_cmp_lt_i32_e64 s[40:41], v2, v7
	s_nop 1
	v_cndmask_b32_e64 v2, v6, v2, s[40:41]
	v_lshlrev_b32_e32 v43, 2, v2
	ds_bpermute_b32 v8, v43, v4
	s_waitcnt vmcnt(2)
	v_mad_i64_i32 v[2:3], s[40:41], v14, s45, v[18:19]
	global_load_dwordx4 v[14:17], v[34:35], off
	global_load_dwordx4 v[10:13], v[2:3], off
	v_xor_b32_e32 v3, 16, v6
	v_cmp_lt_i32_e64 s[40:41], v3, v7
	s_waitcnt lgkmcnt(0)
	v_max_f32_e32 v2, v8, v8
	v_max_f32_e32 v2, v4, v2
	v_cndmask_b32_e64 v3, v6, v3, s[40:41]
	v_lshlrev_b32_e32 v46, 2, v3
	ds_bpermute_b32 v3, v46, v2
	s_waitcnt vmcnt(3)
	v_mad_i64_i32 v[34:35], s[40:41], v44, s45, v[18:19]
	s_waitcnt vmcnt(2)
	v_mad_i64_i32 v[18:19], s[40:41], v45, s45, v[18:19]
	s_waitcnt lgkmcnt(0)
	v_max_f32_e32 v3, v3, v3
	v_max_f32_e32 v38, v2, v3
	v_sub_f32_e32 v2, v5, v38
	v_mul_f32_e32 v2, 0x3fb8aa3b, v2
	v_exp_f32_e32 v44, v2
	v_sub_f32_e32 v2, v39, v38
	v_mul_f32_e32 v2, 0x3fb8aa3b, v2
	v_exp_f32_e32 v39, v2
	global_load_dwordx4 v[6:9], v[34:35], off
	global_load_dwordx4 v[2:5], v[18:19], off
	v_sub_f32_e32 v30, v30, v38
	v_mul_f32_e32 v30, 0x3fb8aa3b, v30
	v_sub_f32_e32 v31, v31, v38
	v_exp_f32_e32 v30, v30
	v_mul_f32_e32 v31, 0x3fb8aa3b, v31
	v_exp_f32_e32 v31, v31
	v_cndmask_b32_e64 v18, 0, v44, s[4:5]
	v_add_f32_e32 v34, 0, v18
	v_cndmask_b32_e64 v19, 0, v39, s[34:35]
	v_add_f32_e32 v35, v34, v19
	;; [unrolled: 2-line block ×3, first 2 shown]
	v_cndmask_b32_e64 v35, 0, v31, s[38:39]
	v_sub_f32_e32 v31, v40, v38
	v_mul_f32_e32 v31, 0x3fb8aa3b, v31
	v_sub_f32_e32 v39, v41, v38
	v_exp_f32_e32 v31, v31
	v_mul_f32_e32 v39, 0x3fb8aa3b, v39
	v_sub_f32_e32 v36, v36, v38
	v_exp_f32_e32 v39, v39
	;; [unrolled: 3-line block ×4, first 2 shown]
	v_mul_f32_e32 v32, 0x3fb8aa3b, v32
	v_sub_f32_e32 v33, v33, v38
	v_add_f32_e32 v40, v30, v35
	v_cndmask_b32_e64 v30, 0, v31, s[24:25]
	v_exp_f32_e32 v32, v32
	v_mul_f32_e32 v33, 0x3fb8aa3b, v33
	v_sub_f32_e32 v24, v24, v38
	v_add_f32_e32 v40, v40, v30
	v_cndmask_b32_e64 v31, 0, v39, s[26:27]
	v_exp_f32_e32 v33, v33
	;; [unrolled: 5-line block ×7, first 2 shown]
	v_mul_f32_e32 v21, 0x3fb8aa3b, v21
	v_add_f32_e32 v39, v39, v24
	v_cndmask_b32_e64 v25, 0, v25, s[14:15]
	v_exp_f32_e32 v21, v21
	v_add_f32_e32 v39, v39, v25
	v_cndmask_b32_e64 v22, 0, v22, s[8:9]
	v_add_f32_e32 v39, v39, v22
	v_cndmask_b32_e64 v23, 0, v23, s[10:11]
	v_add_f32_e32 v39, v39, v23
	v_cndmask_b32_e32 v20, 0, v20, vcc
	v_add_f32_e32 v39, v39, v20
	v_cndmask_b32_e64 v21, 0, v21, s[6:7]
	v_add_f32_e32 v39, v39, v21
	ds_bpermute_b32 v40, v43, v39
	s_load_dword s7, s[0:1], 0x98
	v_cmp_gt_u32_e32 vcc, 16, v27
	s_waitcnt lgkmcnt(0)
	s_barrier
	v_add_f32_e32 v40, v39, v40
	ds_bpermute_b32 v41, v46, v40
	v_lshlrev_b32_e32 v39, 2, v28
	s_waitcnt lgkmcnt(0)
	s_and_saveexec_b64 s[4:5], vcc
	s_cbranch_execz .LBB1098_15
; %bb.14:
	v_add_f32_e32 v27, v40, v41
	v_lshl_or_b32 v40, v29, 6, v39
	ds_write2st64_b32 v40, v38, v27 offset1:1
.LBB1098_15:
	s_or_b64 exec, exec, s[4:5]
	s_load_dword s6, s[0:1], 0x94
	s_waitcnt lgkmcnt(0)
	s_barrier
	ds_read2_b32 v[40:41], v39 offset1:16
	ds_read2_b32 v[44:45], v39 offset0:32 offset1:48
	ds_read2_b32 v[46:47], v39 offset0:64 offset1:80
	s_movk_i32 s8, 0x7fff
	s_mul_i32 s7, s7, 11
	s_waitcnt lgkmcnt(2)
	v_max3_f32 v27, v40, s44, v41
	s_waitcnt lgkmcnt(1)
	v_max3_f32 v27, v27, v44, v45
	v_sub_f32_e32 v38, v40, v27
	v_mul_f32_e32 v38, 0x3fb8aa3b, v38
	v_exp_f32_e32 v43, v38
	v_sub_f32_e32 v38, v41, v27
	v_mul_f32_e32 v38, 0x3fb8aa3b, v38
	v_exp_f32_e32 v48, v38
	;; [unrolled: 3-line block ×3, first 2 shown]
	ds_read2_b32 v[40:41], v39 offset0:96 offset1:112
	v_sub_f32_e32 v38, v45, v27
	v_mul_f32_e32 v38, 0x3fb8aa3b, v38
	v_exp_f32_e32 v39, v38
	s_waitcnt lgkmcnt(1)
	v_fma_f32 v38, v43, v46, 0
	v_fmac_f32_e32 v38, v48, v47
	s_waitcnt lgkmcnt(0)
	v_fmac_f32_e32 v38, v44, v40
	v_fmac_f32_e32 v38, v39, v41
	v_add_f32_e32 v40, 0x358637bd, v38
	v_div_scale_f32 v41, s[4:5], v40, v40, 1.0
	v_rcp_f32_e32 v45, v41
	s_barrier
	v_fma_f32 v46, -v41, v45, 1.0
	v_fmac_f32_e32 v45, v46, v45
	v_div_scale_f32 v46, vcc, 1.0, v40, 1.0
	v_mul_f32_e32 v47, v46, v45
	v_fma_f32 v49, -v41, v47, v46
	v_fmac_f32_e32 v47, v49, v45
	v_fma_f32 v41, -v41, v47, v46
	v_div_fmas_f32 v41, v41, v45, v47
	v_cmp_eq_u32_e32 vcc, 1, v29
	v_div_fixup_f32 v40, v41, v40, 1.0
	s_nop 0
	v_cndmask_b32_e32 v41, v43, v48, vcc
	v_cmp_eq_u32_e32 vcc, 2, v29
	s_nop 1
	v_cndmask_b32_e32 v41, v41, v44, vcc
	v_cmp_eq_u32_e32 vcc, 3, v29
	v_lshlrev_b32_e32 v29, 11, v29
	s_nop 0
	v_cndmask_b32_e32 v39, v41, v39, vcc
	v_mul_f32_e32 v40, v39, v40
	v_pk_mul_f32 v[18:19], v[40:41], v[18:19] op_sel_hi:[0,1]
	v_pk_mul_f32 v[34:35], v[40:41], v[34:35] op_sel_hi:[0,1]
	v_bfe_u32 v39, v19, 16, 1
	v_bfe_u32 v41, v18, 16, 1
	v_add3_u32 v18, v18, v41, s8
	v_add3_u32 v19, v19, v39, s8
	v_perm_b32 v44, v19, v18, s33
	v_bfe_u32 v18, v35, 16, 1
	v_bfe_u32 v19, v34, 16, 1
	v_add3_u32 v19, v34, v19, s8
	v_add3_u32 v18, v35, v18, s8
	v_perm_b32 v45, v18, v19, s33
	v_lshlrev_b32_e32 v18, 3, v42
	v_lshlrev_b32_e32 v19, 5, v28
	v_pk_mul_f32 v[30:31], v[40:41], v[30:31] op_sel_hi:[0,1]
	v_or3_b32 v18, v29, v19, v18
	v_pk_mul_f32 v[34:35], v[40:41], v[36:37] op_sel_hi:[0,1]
	v_bfe_u32 v29, v31, 16, 1
	v_bfe_u32 v36, v30, 16, 1
	v_add3_u32 v30, v30, v36, s8
	v_add3_u32 v29, v31, v29, s8
	v_perm_b32 v30, v29, v30, s33
	v_bfe_u32 v29, v35, 16, 1
	v_bfe_u32 v31, v34, 16, 1
	v_add3_u32 v31, v34, v31, s8
	v_add3_u32 v29, v35, v29, s8
	v_perm_b32 v31, v29, v31, s33
	ds_write2st64_b64 v18, v[44:45], v[30:31] offset1:1
	v_pk_mul_f32 v[30:31], v[40:41], v[32:33] op_sel_hi:[0,1]
	v_bfe_u32 v29, v31, 16, 1
	v_bfe_u32 v32, v30, 16, 1
	v_pk_mul_f32 v[24:25], v[40:41], v[24:25] op_sel_hi:[0,1]
	v_add3_u32 v30, v30, v32, s8
	v_add3_u32 v29, v31, v29, s8
	v_perm_b32 v30, v29, v30, s33
	v_bfe_u32 v29, v25, 16, 1
	v_bfe_u32 v31, v24, 16, 1
	v_add3_u32 v24, v24, v31, s8
	v_add3_u32 v25, v25, v29, s8
	v_pk_mul_f32 v[22:23], v[40:41], v[22:23] op_sel_hi:[0,1]
	v_perm_b32 v31, v25, v24, s33
	v_bfe_u32 v24, v23, 16, 1
	v_bfe_u32 v25, v22, 16, 1
	v_pk_mul_f32 v[20:21], v[40:41], v[20:21] op_sel_hi:[0,1]
	v_add3_u32 v22, v22, v25, s8
	v_add3_u32 v23, v23, v24, s8
	v_perm_b32 v22, v23, v22, s33
	v_bfe_u32 v23, v21, 16, 1
	v_bfe_u32 v24, v20, 16, 1
	v_add3_u32 v20, v20, v24, s8
	v_add3_u32 v21, v21, v23, s8
	v_perm_b32 v23, v21, v20, s33
	v_cmp_gt_u32_e32 vcc, 11, v0
	ds_write2st64_b64 v18, v[30:31], v[22:23] offset0:2 offset1:3
	s_and_saveexec_b64 s[4:5], vcc
	s_cbranch_execz .LBB1098_17
; %bb.16:
	s_mov_b32 s49, 0
	v_mov_b32_e32 v29, 0
	v_lshl_add_u64 v[20:21], s[48:49], 0, v[28:29]
	v_mov_b32_e32 v22, s7
	v_mad_u64_u32 v[20:21], s[10:11], s2, v22, v[20:21]
	s_mul_i32 s3, s3, s7
	v_mov_b32_e32 v28, s28
	s_load_dwordx4 s[12:15], s[0:1], 0x58
	v_add_u32_e32 v23, s3, v21
	v_mad_u64_u32 v[20:21], s[10:11], v20, s6, v[28:29]
	v_mov_b32_e32 v22, v21
	v_mad_u64_u32 v[22:23], s[10:11], v23, s6, v[22:23]
	v_mov_b32_e32 v21, v22
	v_lshlrev_b64 v[20:21], 2, v[20:21]
	s_waitcnt lgkmcnt(0)
	v_lshl_add_u64 v[22:23], s[14:15], 0, v[20:21]
	v_lshl_add_u64 v[20:21], s[12:13], 0, v[20:21]
	global_store_dword v[22:23], v27, off
	global_store_dword v[20:21], v38, off
.LBB1098_17:
	s_or_b64 exec, exec, s[4:5]
	s_waitcnt vmcnt(3)
	v_cvt_pk_f32_fp8_e32 v[20:21], v14
	v_cvt_pk_f32_fp8_sdwa v[22:23], v14 src0_sel:WORD_1
	s_mov_b32 s4, 0x7060302
	v_lshl_or_b32 v14, v42, 9, v19
	s_waitcnt lgkmcnt(0)
	s_barrier
	v_perm_b32 v24, v21, v20, s4
	v_perm_b32 v25, v23, v22, s4
	v_cvt_pk_f32_fp8_e32 v[28:29], v15
	ds_read_b128 v[20:23], v14
	v_cvt_pk_f32_fp8_sdwa v[36:37], v15 src0_sel:WORD_1
	s_load_dword s10, s[42:43], 0x0
	v_perm_b32 v38, v29, v28, s4
	ds_read_b128 v[28:31], v14 offset:16
	v_perm_b32 v39, v37, v36, s4
	s_waitcnt lgkmcnt(0)
	v_mfma_f32_16x16x16_bf16 v[32:35], v[24:25], v[20:21], 0
	v_cvt_pk_f32_fp8_e32 v[24:25], v16
	v_cvt_pk_f32_fp8_sdwa v[36:37], v16 src0_sel:WORD_1
	v_cmp_gt_u32_e32 vcc, 64, v0
	v_mfma_f32_16x16x16_bf16 v[20:23], v[38:39], v[22:23], v[32:35]
	v_perm_b32 v24, v25, v24, s4
	v_perm_b32 v25, v37, v36, s4
	s_mov_b32 s3, 0
	v_cvt_pk_f32_fp8_e32 v[32:33], v17
	v_cvt_pk_f32_fp8_sdwa v[16:17], v17 src0_sel:WORD_1
	s_waitcnt vmcnt(2)
	v_cvt_pk_f32_fp8_sdwa v[34:35], v10 src0_sel:WORD_1
	v_mfma_f32_16x16x16_bf16 v[20:23], v[24:25], v[28:29], v[20:23]
	v_perm_b32 v36, v33, v32, s4
	v_cvt_pk_f32_fp8_e32 v[32:33], v10
	v_perm_b32 v37, v17, v16, s4
	v_perm_b32 v17, v35, v34, s4
	v_cvt_pk_f32_fp8_e32 v[24:25], v11
	v_perm_b32 v16, v33, v32, s4
	ds_read_b128 v[32:35], v14 offset:2048
	v_cvt_pk_f32_fp8_sdwa v[10:11], v11 src0_sel:WORD_1
	v_mfma_f32_16x16x16_bf16 v[20:23], v[36:37], v[30:31], v[20:23]
	ds_read_b128 v[28:31], v14 offset:2064
	v_perm_b32 v24, v25, v24, s4
	v_perm_b32 v25, v11, v10, s4
	s_waitcnt lgkmcnt(1)
	v_mfma_f32_16x16x16_bf16 v[20:23], v[16:17], v[32:33], v[20:23]
	v_cvt_pk_f32_fp8_e32 v[10:11], v12
	v_cvt_pk_f32_fp8_sdwa v[16:17], v12 src0_sel:WORD_1
	s_waitcnt vmcnt(1)
	v_cvt_pk_f32_fp8_sdwa v[32:33], v6 src0_sel:WORD_1
	v_mfma_f32_16x16x16_bf16 v[20:23], v[24:25], v[34:35], v[20:23]
	v_cvt_pk_f32_fp8_e32 v[24:25], v13
	v_perm_b32 v10, v11, v10, s4
	v_perm_b32 v11, v17, v16, s4
	v_cvt_pk_f32_fp8_sdwa v[12:13], v13 src0_sel:WORD_1
	v_perm_b32 v16, v25, v24, s4
	v_cvt_pk_f32_fp8_e32 v[24:25], v6
	v_mov_b32_e32 v27, 0
	v_perm_b32 v17, v13, v12, s4
	s_waitcnt lgkmcnt(0)
	v_mfma_f32_16x16x16_bf16 v[10:13], v[10:11], v[28:29], v[20:23]
	v_perm_b32 v24, v25, v24, s4
	v_perm_b32 v25, v33, v32, s4
	v_cvt_pk_f32_fp8_e32 v[28:29], v7
	ds_read_b128 v[20:23], v14 offset:4096
	v_cvt_pk_f32_fp8_sdwa v[6:7], v7 src0_sel:WORD_1
	v_mfma_f32_16x16x16_bf16 v[10:13], v[16:17], v[30:31], v[10:13]
	v_perm_b32 v16, v29, v28, s4
	ds_read_b128 v[28:31], v14 offset:4112
	v_perm_b32 v17, v7, v6, s4
	s_waitcnt lgkmcnt(1)
	v_mfma_f32_16x16x16_bf16 v[10:13], v[24:25], v[20:21], v[10:13]
	v_cvt_pk_f32_fp8_e32 v[6:7], v8
	v_cvt_pk_f32_fp8_sdwa v[20:21], v8 src0_sel:WORD_1
	v_perm_b32 v6, v7, v6, s4
	v_mfma_f32_16x16x16_bf16 v[10:13], v[16:17], v[22:23], v[10:13]
	v_cvt_pk_f32_fp8_e32 v[16:17], v9
	v_perm_b32 v7, v21, v20, s4
	v_cvt_pk_f32_fp8_sdwa v[8:9], v9 src0_sel:WORD_1
	s_waitcnt vmcnt(0)
	v_cvt_pk_f32_fp8_e32 v[20:21], v2
	v_perm_b32 v16, v17, v16, s4
	v_cvt_pk_f32_fp8_sdwa v[22:23], v2 src0_sel:WORD_1
	v_perm_b32 v17, v9, v8, s4
	s_waitcnt lgkmcnt(0)
	v_mfma_f32_16x16x16_bf16 v[6:9], v[6:7], v[28:29], v[10:13]
	v_perm_b32 v20, v21, v20, s4
	v_perm_b32 v21, v23, v22, s4
	v_cvt_pk_f32_fp8_e32 v[22:23], v3
	ds_read_b128 v[10:13], v14 offset:6144
	v_cvt_pk_f32_fp8_sdwa v[2:3], v3 src0_sel:WORD_1
	v_mfma_f32_16x16x16_bf16 v[6:9], v[16:17], v[30:31], v[6:9]
	v_perm_b32 v22, v23, v22, s4
	ds_read_b128 v[14:17], v14 offset:6160
	v_perm_b32 v23, v3, v2, s4
	s_waitcnt lgkmcnt(1)
	v_mfma_f32_16x16x16_bf16 v[6:9], v[20:21], v[10:11], v[6:9]
	v_cvt_pk_f32_fp8_e32 v[2:3], v4
	v_cvt_pk_f32_fp8_sdwa v[10:11], v4 src0_sel:WORD_1
	s_waitcnt lgkmcnt(0)
	v_mfma_f32_16x16x16_bf16 v[6:9], v[22:23], v[12:13], v[6:9]
	v_perm_b32 v2, v3, v2, s4
	v_perm_b32 v3, v11, v10, s4
	v_cvt_pk_f32_fp8_e32 v[10:11], v5
	v_cvt_pk_f32_fp8_sdwa v[4:5], v5 src0_sel:WORD_1
	s_barrier
	v_perm_b32 v10, v11, v10, s4
	v_perm_b32 v11, v5, v4, s4
	v_mfma_f32_16x16x16_bf16 v[2:5], v[2:3], v[14:15], v[6:9]
	s_nop 0
	v_mfma_f32_16x16x16_bf16 v[2:5], v[10:11], v[16:17], v[2:5]
	s_nop 6
	v_pk_mul_f32 v[2:3], v[2:3], s[10:11] op_sel_hi:[1,0]
	v_pk_mul_f32 v[4:5], v[4:5], s[10:11] op_sel_hi:[1,0]
	v_bfe_u32 v6, v3, 16, 1
	v_bfe_u32 v7, v2, 16, 1
	v_add3_u32 v2, v2, v7, s8
	v_add3_u32 v3, v3, v6, s8
	v_perm_b32 v2, v3, v2, s4
	v_bfe_u32 v3, v5, 16, 1
	v_bfe_u32 v6, v4, 16, 1
	v_add3_u32 v4, v4, v6, s8
	v_add3_u32 v3, v5, v3, s8
	v_perm_b32 v3, v3, v4, s4
	s_and_b64 s[4:5], vcc, s[30:31]
	ds_write_b64 v18, v[2:3]
	s_waitcnt lgkmcnt(0)
	s_barrier
	s_and_saveexec_b64 s[8:9], s[4:5]
	s_cbranch_execz .LBB1098_20
; %bb.18:
	s_load_dwordx2 s[4:5], s[0:1], 0x68
	s_lshl_b32 s0, s6, 6
	s_mul_i32 s1, s7, s2
	s_mul_hi_u32 s7, s1, s0
	s_mul_i32 s6, s1, s0
	v_lshlrev_b32_e32 v0, 10, v0
	s_lshl_b64 s[6:7], s[6:7], 1
	v_and_b32_e32 v0, 0x1800, v0
	v_lshlrev_b32_e32 v2, 5, v42
	v_and_b32_e32 v1, 16, v1
	s_waitcnt lgkmcnt(0)
	s_add_u32 s1, s4, s6
	v_or3_b32 v2, v0, v2, v1
	s_addc_u32 s4, s5, s7
	s_lshl_b32 s2, s28, 6
	s_lshl_b64 s[2:3], s[2:3], 1
	ds_read_b128 v[4:7], v2 offset:128
	ds_read_b128 v[8:11], v2
	s_add_u32 s2, s1, s2
	s_addc_u32 s3, s4, s3
	v_add_u32_e32 v3, s48, v42
	v_lshl_add_u64 v[0:1], s[2:3], 0, v[26:27]
	v_mad_u64_u32 v[12:13], s[2:3], v3, s0, 0
	v_lshl_add_u64 v[12:13], v[12:13], 1, v[0:1]
	v_add_u32_e32 v3, 4, v3
	s_waitcnt lgkmcnt(0)
	global_store_dwordx4 v[12:13], v[8:11], off
	v_cmp_ne_u32_e32 vcc, 3, v42
	s_nop 0
	v_mad_u64_u32 v[8:9], s[2:3], v3, s0, 0
	v_lshl_add_u64 v[8:9], v[8:9], 1, v[0:1]
	global_store_dwordx4 v[8:9], v[4:7], off
	s_and_b64 exec, exec, vcc
	s_cbranch_execz .LBB1098_20
; %bb.19:
	ds_read_b128 v[2:5], v2 offset:256
	v_add3_u32 v6, s48, v42, 8
	v_mad_u64_u32 v[6:7], s[0:1], v6, s0, 0
	v_lshl_add_u64 v[0:1], v[6:7], 1, v[0:1]
	s_waitcnt lgkmcnt(0)
	global_store_dwordx4 v[0:1], v[2:5], off
.LBB1098_20:
	s_endpgm
	.section	.rodata,"a",@progbits
	.p2align	6, 0x0
	.amdhsa_kernel _Z39paged_attention_ll4mi_QKV_mfma16_kernelI14__hip_bfloat16hLN4vllm18Fp8KVCacheDataTypeE1EhLi16ELi64ELi256ELb1ELi11EEvPKT_PKT0_S8_ifPKiSA_SA_iPKfiiiPfSD_PS3_PT2_iSC_SC_
		.amdhsa_group_segment_fixed_size 8192
		.amdhsa_private_segment_fixed_size 0
		.amdhsa_kernarg_size 400
		.amdhsa_user_sgpr_count 2
		.amdhsa_user_sgpr_dispatch_ptr 0
		.amdhsa_user_sgpr_queue_ptr 0
		.amdhsa_user_sgpr_kernarg_segment_ptr 1
		.amdhsa_user_sgpr_dispatch_id 0
		.amdhsa_user_sgpr_kernarg_preload_length 0
		.amdhsa_user_sgpr_kernarg_preload_offset 0
		.amdhsa_user_sgpr_private_segment_size 0
		.amdhsa_uses_dynamic_stack 0
		.amdhsa_enable_private_segment 0
		.amdhsa_system_sgpr_workgroup_id_x 1
		.amdhsa_system_sgpr_workgroup_id_y 1
		.amdhsa_system_sgpr_workgroup_id_z 1
		.amdhsa_system_sgpr_workgroup_info 0
		.amdhsa_system_vgpr_workitem_id 0
		.amdhsa_next_free_vgpr 67
		.amdhsa_next_free_sgpr 50
		.amdhsa_accum_offset 68
		.amdhsa_reserve_vcc 1
		.amdhsa_float_round_mode_32 0
		.amdhsa_float_round_mode_16_64 0
		.amdhsa_float_denorm_mode_32 3
		.amdhsa_float_denorm_mode_16_64 3
		.amdhsa_dx10_clamp 1
		.amdhsa_ieee_mode 1
		.amdhsa_fp16_overflow 0
		.amdhsa_tg_split 0
		.amdhsa_exception_fp_ieee_invalid_op 0
		.amdhsa_exception_fp_denorm_src 0
		.amdhsa_exception_fp_ieee_div_zero 0
		.amdhsa_exception_fp_ieee_overflow 0
		.amdhsa_exception_fp_ieee_underflow 0
		.amdhsa_exception_fp_ieee_inexact 0
		.amdhsa_exception_int_div_zero 0
	.end_amdhsa_kernel
	.section	.text._Z39paged_attention_ll4mi_QKV_mfma16_kernelI14__hip_bfloat16hLN4vllm18Fp8KVCacheDataTypeE1EhLi16ELi64ELi256ELb1ELi11EEvPKT_PKT0_S8_ifPKiSA_SA_iPKfiiiPfSD_PS3_PT2_iSC_SC_,"axG",@progbits,_Z39paged_attention_ll4mi_QKV_mfma16_kernelI14__hip_bfloat16hLN4vllm18Fp8KVCacheDataTypeE1EhLi16ELi64ELi256ELb1ELi11EEvPKT_PKT0_S8_ifPKiSA_SA_iPKfiiiPfSD_PS3_PT2_iSC_SC_,comdat
.Lfunc_end1098:
	.size	_Z39paged_attention_ll4mi_QKV_mfma16_kernelI14__hip_bfloat16hLN4vllm18Fp8KVCacheDataTypeE1EhLi16ELi64ELi256ELb1ELi11EEvPKT_PKT0_S8_ifPKiSA_SA_iPKfiiiPfSD_PS3_PT2_iSC_SC_, .Lfunc_end1098-_Z39paged_attention_ll4mi_QKV_mfma16_kernelI14__hip_bfloat16hLN4vllm18Fp8KVCacheDataTypeE1EhLi16ELi64ELi256ELb1ELi11EEvPKT_PKT0_S8_ifPKiSA_SA_iPKfiiiPfSD_PS3_PT2_iSC_SC_
                                        ; -- End function
	.section	.AMDGPU.csdata,"",@progbits
; Kernel info:
; codeLenInByte = 5132
; NumSgprs: 56
; NumVgprs: 67
; NumAgprs: 0
; TotalNumVgprs: 67
; ScratchSize: 0
; MemoryBound: 0
; FloatMode: 240
; IeeeMode: 1
; LDSByteSize: 8192 bytes/workgroup (compile time only)
; SGPRBlocks: 6
; VGPRBlocks: 8
; NumSGPRsForWavesPerEU: 56
; NumVGPRsForWavesPerEU: 67
; AccumOffset: 68
; Occupancy: 7
; WaveLimiterHint : 1
; COMPUTE_PGM_RSRC2:SCRATCH_EN: 0
; COMPUTE_PGM_RSRC2:USER_SGPR: 2
; COMPUTE_PGM_RSRC2:TRAP_HANDLER: 0
; COMPUTE_PGM_RSRC2:TGID_X_EN: 1
; COMPUTE_PGM_RSRC2:TGID_Y_EN: 1
; COMPUTE_PGM_RSRC2:TGID_Z_EN: 1
; COMPUTE_PGM_RSRC2:TIDIG_COMP_CNT: 0
; COMPUTE_PGM_RSRC3_GFX90A:ACCUM_OFFSET: 16
; COMPUTE_PGM_RSRC3_GFX90A:TG_SPLIT: 0
	.section	.text._Z39paged_attention_ll4mi_QKV_mfma16_kernelI14__hip_bfloat16hLN4vllm18Fp8KVCacheDataTypeE1EhLi16ELi64ELi256ELb1ELi12EEvPKT_PKT0_S8_ifPKiSA_SA_iPKfiiiPfSD_PS3_PT2_iSC_SC_,"axG",@progbits,_Z39paged_attention_ll4mi_QKV_mfma16_kernelI14__hip_bfloat16hLN4vllm18Fp8KVCacheDataTypeE1EhLi16ELi64ELi256ELb1ELi12EEvPKT_PKT0_S8_ifPKiSA_SA_iPKfiiiPfSD_PS3_PT2_iSC_SC_,comdat
	.protected	_Z39paged_attention_ll4mi_QKV_mfma16_kernelI14__hip_bfloat16hLN4vllm18Fp8KVCacheDataTypeE1EhLi16ELi64ELi256ELb1ELi12EEvPKT_PKT0_S8_ifPKiSA_SA_iPKfiiiPfSD_PS3_PT2_iSC_SC_ ; -- Begin function _Z39paged_attention_ll4mi_QKV_mfma16_kernelI14__hip_bfloat16hLN4vllm18Fp8KVCacheDataTypeE1EhLi16ELi64ELi256ELb1ELi12EEvPKT_PKT0_S8_ifPKiSA_SA_iPKfiiiPfSD_PS3_PT2_iSC_SC_
	.globl	_Z39paged_attention_ll4mi_QKV_mfma16_kernelI14__hip_bfloat16hLN4vllm18Fp8KVCacheDataTypeE1EhLi16ELi64ELi256ELb1ELi12EEvPKT_PKT0_S8_ifPKiSA_SA_iPKfiiiPfSD_PS3_PT2_iSC_SC_
	.p2align	8
	.type	_Z39paged_attention_ll4mi_QKV_mfma16_kernelI14__hip_bfloat16hLN4vllm18Fp8KVCacheDataTypeE1EhLi16ELi64ELi256ELb1ELi12EEvPKT_PKT0_S8_ifPKiSA_SA_iPKfiiiPfSD_PS3_PT2_iSC_SC_,@function
_Z39paged_attention_ll4mi_QKV_mfma16_kernelI14__hip_bfloat16hLN4vllm18Fp8KVCacheDataTypeE1EhLi16ELi64ELi256ELb1ELi12EEvPKT_PKT0_S8_ifPKiSA_SA_iPKfiiiPfSD_PS3_PT2_iSC_SC_: ; @_Z39paged_attention_ll4mi_QKV_mfma16_kernelI14__hip_bfloat16hLN4vllm18Fp8KVCacheDataTypeE1EhLi16ELi64ELi256ELb1ELi12EEvPKT_PKT0_S8_ifPKiSA_SA_iPKfiiiPfSD_PS3_PT2_iSC_SC_
; %bb.0:
	s_load_dwordx2 s[6:7], s[0:1], 0x30
	s_mov_b32 s28, s3
	s_mov_b64 s[8:9], 0
	s_waitcnt lgkmcnt(0)
	s_cmp_lg_u64 s[6:7], 0
	s_cselect_b64 s[10:11], -1, 0
	s_and_b64 vcc, exec, s[10:11]
	s_cbranch_vccz .LBB1099_7
; %bb.1:
	s_add_i32 s12, s2, 1
	s_mov_b32 s13, 0
	s_lshl_b64 s[14:15], s[12:13], 2
	s_add_u32 s14, s6, s14
	s_mov_b32 s3, s13
	s_addc_u32 s15, s7, s15
	s_lshl_b64 s[12:13], s[2:3], 2
	s_add_u32 s12, s6, s12
	s_addc_u32 s13, s7, s13
	s_load_dword s5, s[14:15], 0x0
	s_load_dword s16, s[12:13], 0x0
	s_waitcnt lgkmcnt(0)
	s_sub_i32 s5, s5, s16
	s_cmp_eq_u32 s5, 1
	s_cselect_b64 s[12:13], -1, 0
	s_andn2_b64 vcc, exec, s[8:9]
	s_cbranch_vccnz .LBB1099_3
.LBB1099_2:
	s_mov_b32 s3, 0
	s_mov_b64 s[12:13], -1
.LBB1099_3:
	s_andn2_b64 vcc, exec, s[12:13]
	s_cbranch_vccnz .LBB1099_19
; %bb.4:
	s_load_dwordx2 s[8:9], s[0:1], 0x28
	s_lshl_b64 s[12:13], s[2:3], 2
	s_waitcnt lgkmcnt(0)
	s_add_u32 s8, s8, s12
	s_addc_u32 s9, s9, s13
	s_load_dword s29, s[8:9], 0x0
	s_lshl_b32 s16, s28, 8
	s_waitcnt lgkmcnt(0)
	s_cmp_ge_i32 s16, s29
	s_cbranch_scc1 .LBB1099_19
; %bb.5:
	s_load_dwordx2 s[8:9], s[0:1], 0x20
	s_load_dword s5, s[0:1], 0x38
	s_add_i32 s14, s29, 15
	s_ashr_i32 s15, s14, 31
	v_and_b32_e32 v1, 0xcf, v0
	s_lshr_b32 s15, s15, 28
	v_add_u32_e32 v1, s16, v1
	s_add_i32 s14, s14, s15
	v_ashrrev_i32_e32 v2, 31, v1
	s_ashr_i32 s17, s14, 4
	v_lshrrev_b32_e32 v4, 28, v2
	s_add_i32 s17, s17, -1
	s_waitcnt lgkmcnt(0)
	s_mul_i32 s14, s2, s5
	s_mov_b32 s15, 0
	v_add_u32_e32 v2, v1, v4
	s_lshl_b64 s[14:15], s[14:15], 2
	v_ashrrev_i32_e32 v2, 4, v2
	v_mov_b32_e32 v5, s17
	v_cmp_gt_i32_e32 vcc, s29, v1
	s_add_u32 s8, s8, s14
	s_addc_u32 s9, s9, s15
	v_cndmask_b32_e32 v2, v5, v2, vcc
	v_ashrrev_i32_e32 v3, 31, v2
	v_lshl_add_u64 v[6:7], v[2:3], 2, s[8:9]
	v_or_b32_e32 v2, 16, v1
	v_add_u32_e32 v3, v2, v4
	v_ashrrev_i32_e32 v3, 4, v3
	v_cmp_gt_i32_e32 vcc, s29, v2
	s_load_dwordx2 s[14:15], s[0:1], 0x8
	s_nop 0
	v_cndmask_b32_e32 v2, v5, v3, vcc
	v_ashrrev_i32_e32 v3, 31, v2
	v_lshl_add_u64 v[8:9], v[2:3], 2, s[8:9]
	v_or_b32_e32 v2, 32, v1
	v_add_u32_e32 v3, v2, v4
	v_ashrrev_i32_e32 v3, 4, v3
	v_cmp_gt_i32_e32 vcc, s29, v2
	v_or_b32_e32 v1, 48, v1
	s_nop 0
	v_cndmask_b32_e32 v2, v5, v3, vcc
	v_ashrrev_i32_e32 v3, 31, v2
	v_lshl_add_u64 v[10:11], v[2:3], 2, s[8:9]
	v_add_u32_e32 v2, v1, v4
	v_ashrrev_i32_e32 v2, 4, v2
	v_cmp_gt_i32_e32 vcc, s29, v1
	s_nop 1
	v_cndmask_b32_e32 v2, v5, v2, vcc
	v_ashrrev_i32_e32 v3, 31, v2
	v_lshl_add_u64 v[12:13], v[2:3], 2, s[8:9]
	global_load_dword v5, v[6:7], off
	global_load_dword v4, v[8:9], off
	global_load_dword v3, v[10:11], off
	global_load_dword v2, v[12:13], off
	s_andn2_b64 vcc, exec, s[10:11]
	s_cbranch_vccnz .LBB1099_8
; %bb.6:
	s_add_u32 s6, s6, s12
	s_addc_u32 s7, s7, s13
	s_load_dword s5, s[6:7], 0x0
	s_branch .LBB1099_9
.LBB1099_7:
	s_mov_b64 s[12:13], 0
	s_branch .LBB1099_2
.LBB1099_8:
	s_mov_b32 s5, s2
.LBB1099_9:
	s_load_dwordx2 s[6:7], s[0:1], 0x10
	s_load_dwordx4 s[44:47], s[0:1], 0x48
	v_and_b32_e32 v28, 15, v0
	s_movk_i32 s10, 0xc0
	v_lshlrev_b32_e32 v6, 3, v28
	v_cmp_gt_u32_e32 vcc, s10, v0
	v_cmp_gt_u32_e64 s[30:31], 8, v28
	v_lshrrev_b32_e32 v29, 6, v0
	v_bfe_u32 v1, v0, 4, 2
	s_mul_i32 s48, s4, 12
	s_and_b64 s[12:13], vcc, s[30:31]
	v_lshlrev_b32_e32 v26, 1, v6
	v_lshlrev_b32_e32 v42, 4, v0
	s_and_saveexec_b64 s[10:11], s[12:13]
	s_cbranch_execz .LBB1099_11
; %bb.10:
	s_load_dwordx2 s[12:13], s[0:1], 0x0
	s_waitcnt lgkmcnt(0)
	s_ashr_i32 s18, s44, 31
	s_mul_hi_u32 s19, s5, s44
	s_mul_i32 s18, s5, s18
	s_add_i32 s19, s19, s18
	s_mul_i32 s18, s5, s44
	v_lshl_or_b32 v10, v29, 2, v1
	s_lshl_b64 s[18:19], s[18:19], 1
	s_add_u32 s12, s12, s18
	v_add_lshl_u32 v6, v10, s48, 6
	s_addc_u32 s13, s13, s19
	v_ashrrev_i32_e32 v7, 31, v6
	v_lshl_add_u64 v[6:7], v[6:7], 1, s[12:13]
	v_mov_b32_e32 v27, 0
	v_lshl_add_u64 v[6:7], v[6:7], 0, v[26:27]
	global_load_dwordx4 v[6:9], v[6:7], off
	v_lshlrev_b32_e32 v12, 8, v28
	v_lshlrev_b32_e32 v10, 5, v10
	v_and_b32_e32 v11, 16, v42
	v_and_b32_e32 v12, 0xe00, v12
	v_or3_b32 v10, v12, v10, v11
	s_waitcnt vmcnt(0)
	ds_write_b128 v10, v[6:9]
.LBB1099_11:
	s_or_b64 exec, exec, s[10:11]
	s_waitcnt lgkmcnt(0)
	s_mul_i32 s10, s4, s46
	s_add_u32 s4, s14, s10
	s_addc_u32 s5, s15, 0
	v_and_b32_e32 v32, 48, v0
	v_and_b32_e32 v30, 0xf0, v42
	v_mov_b32_e32 v31, 0
	v_lshl_add_u64 v[6:7], s[4:5], 0, v[30:31]
	v_lshlrev_b32_e32 v30, 4, v32
	v_lshl_add_u64 v[6:7], v[6:7], 0, v[30:31]
	s_waitcnt vmcnt(3)
	v_mad_i64_i32 v[8:9], s[4:5], v5, s45, v[6:7]
	s_waitcnt vmcnt(2)
	v_mad_i64_i32 v[4:5], s[4:5], v4, s45, v[6:7]
	s_barrier
	global_load_dwordx4 v[22:25], v[8:9], off
	global_load_dwordx4 v[18:21], v[4:5], off
	s_waitcnt vmcnt(3)
	v_mad_i64_i32 v[4:5], s[4:5], v3, s45, v[6:7]
	s_waitcnt vmcnt(2)
	v_mad_i64_i32 v[2:3], s[4:5], v2, s45, v[6:7]
	global_load_dwordx4 v[14:17], v[4:5], off
	global_load_dwordx4 v[6:9], v[2:3], off
	v_add_u32_e32 v2, -12, v28
	v_cmp_gt_u32_e32 vcc, 12, v28
	v_and_b32_e32 v27, 63, v0
	v_mov_b32_e32 v43, 0
	v_cndmask_b32_e32 v2, v2, v28, vcc
	v_lshlrev_b32_e32 v2, 5, v2
	v_lshl_add_u32 v2, v1, 9, v2
	ds_read_b128 v[10:13], v2
	ds_read_b128 v[2:5], v2 offset:16
	s_and_saveexec_b64 s[4:5], vcc
	s_cbranch_execz .LBB1099_13
; %bb.12:
	s_load_dwordx2 s[12:13], s[0:1], 0x40
	v_add_u32_e32 v34, s48, v28
	v_ashrrev_i32_e32 v35, 31, v34
	s_waitcnt lgkmcnt(0)
	v_lshl_add_u64 v[34:35], v[34:35], 2, s[12:13]
	global_load_dword v43, v[34:35], off
.LBB1099_13:
	s_or_b64 exec, exec, s[4:5]
	v_or_b32_e32 v62, s16, v32
	v_ashrrev_i32_e32 v30, 4, v62
	v_mov_b32_e32 v63, s17
	v_cmp_gt_i32_e32 vcc, s29, v62
	s_waitcnt vmcnt(2)
	v_cvt_pk_f32_fp8_e32 v[52:53], v20
	v_cvt_pk_f32_fp8_sdwa v[54:55], v20 src0_sel:WORD_1
	v_cndmask_b32_e32 v20, v63, v30, vcc
	v_cvt_pk_f32_fp8_e32 v[56:57], v21
	v_cvt_pk_f32_fp8_sdwa v[58:59], v21 src0_sel:WORD_1
	v_ashrrev_i32_e32 v21, 31, v20
	v_cvt_pk_f32_fp8_e32 v[40:41], v22
	v_cvt_pk_f32_fp8_sdwa v[44:45], v22 src0_sel:WORD_1
	v_lshl_add_u64 v[20:21], v[20:21], 2, s[8:9]
	v_cvt_pk_f32_fp8_e32 v[46:47], v18
	v_cvt_pk_f32_fp8_sdwa v[48:49], v18 src0_sel:WORD_1
	global_load_dword v64, v[20:21], off
	s_mov_b32 s33, 0x7060302
	v_cvt_pk_f32_fp8_e32 v[32:33], v23
	v_cvt_pk_f32_fp8_sdwa v[34:35], v23 src0_sel:WORD_1
	v_perm_b32 v20, v41, v40, s33
	v_perm_b32 v21, v45, v44, s33
	v_cvt_pk_f32_fp8_e32 v[38:39], v24
	v_cvt_pk_f32_fp8_sdwa v[36:37], v24 src0_sel:WORD_1
	v_cvt_pk_f32_fp8_e32 v[50:51], v19
	v_cvt_pk_f32_fp8_sdwa v[18:19], v19 src0_sel:WORD_1
	v_perm_b32 v44, v47, v46, s33
	v_perm_b32 v45, v49, v48, s33
	v_cvt_pk_f32_fp8_e32 v[22:23], v25
	s_waitcnt vmcnt(2)
	v_cvt_pk_f32_fp8_e32 v[40:41], v14
	v_cvt_pk_f32_fp8_sdwa v[46:47], v14 src0_sel:WORD_1
	v_perm_b32 v48, v33, v32, s33
	v_perm_b32 v49, v35, v34, s33
	v_or_b32_e32 v14, 64, v62
	v_or_b32_e32 v32, 0xc0, v62
	v_cvt_pk_f32_fp8_sdwa v[24:25], v25 src0_sel:WORD_1
	s_load_dword s11, s[0:1], 0x1c
	s_load_dwordx4 s[40:43], s[0:1], 0x80
	v_perm_b32 v38, v39, v38, s33
	v_perm_b32 v39, v37, v36, s33
	v_or_b32_e32 v65, 0x80, v62
	v_ashrrev_i32_e32 v62, 4, v14
	v_cmp_gt_i32_e32 vcc, s29, v32
	v_ashrrev_i32_e32 v66, 4, v32
	v_cmp_gt_i32_e64 s[4:5], s29, v14
	v_perm_b32 v36, v51, v50, s33
	v_perm_b32 v37, v19, v18, s33
	s_waitcnt lgkmcnt(0)
	v_mfma_f32_16x16x16_bf16 v[32:35], v[20:21], v[10:11], 0
	s_add_u32 s6, s6, s10
	v_lshlrev_b32_e32 v30, 4, v28
	v_cndmask_b32_e64 v50, v63, v62, s[4:5]
	v_perm_b32 v62, v23, v22, s33
	v_mfma_f32_16x16x16_bf16 v[20:23], v[44:45], v[10:11], 0
	v_lshl_or_b32 v30, v29, 8, v30
	s_addc_u32 s7, s7, 0
	v_ashrrev_i32_e32 v14, 4, v65
	v_lshl_add_u64 v[18:19], s[6:7], 0, v[30:31]
	v_cmp_gt_i32_e64 s[6:7], s29, v65
	v_mfma_f32_16x16x16_bf16 v[30:33], v[48:49], v[12:13], v[32:35]
	v_cndmask_b32_e32 v48, v63, v66, vcc
	s_load_dword s4, s[40:41], 0x0
	v_cvt_pk_f32_fp8_e32 v[60:61], v15
	v_cndmask_b32_e64 v34, v63, v14, s[6:7]
	v_perm_b32 v63, v25, v24, s33
	v_perm_b32 v24, v53, v52, s33
	;; [unrolled: 1-line block ×3, first 2 shown]
	v_mfma_f32_16x16x16_bf16 v[20:23], v[36:37], v[12:13], v[20:23]
	v_perm_b32 v40, v41, v40, s33
	v_perm_b32 v41, v47, v46, s33
	v_ashrrev_i32_e32 v51, 31, v50
	v_mfma_f32_16x16x16_bf16 v[20:23], v[24:25], v[2:3], v[20:23]
	v_mov_b32_e32 v24, s11
	s_waitcnt lgkmcnt(0)
	v_mul_f32_e32 v54, s4, v24
	v_cvt_pk_f32_fp8_sdwa v[24:25], v15 src0_sel:WORD_1
	v_mfma_f32_16x16x16_bf16 v[30:33], v[38:39], v[2:3], v[30:33]
	v_ashrrev_i32_e32 v35, 31, v34
	v_ashrrev_i32_e32 v49, 31, v48
	v_lshl_add_u64 v[36:37], v[50:51], 2, s[8:9]
	v_lshl_add_u64 v[34:35], v[34:35], 2, s[8:9]
	;; [unrolled: 1-line block ×3, first 2 shown]
	global_load_dword v14, v[36:37], off
	global_load_dword v44, v[34:35], off
	;; [unrolled: 1-line block ×3, first 2 shown]
	v_perm_b32 v46, v61, v60, s33
	v_cvt_pk_f32_fp8_e32 v[48:49], v16
	v_cvt_pk_f32_fp8_sdwa v[50:51], v16 src0_sel:WORD_1
	v_perm_b32 v47, v25, v24, s33
	v_mfma_f32_16x16x16_bf16 v[36:39], v[62:63], v[4:5], v[30:33]
	v_perm_b32 v24, v49, v48, s33
	v_perm_b32 v25, v51, v50, s33
	;; [unrolled: 1-line block ×3, first 2 shown]
	v_mfma_f32_16x16x16_bf16 v[30:33], v[40:41], v[10:11], 0
	v_cvt_pk_f32_fp8_e32 v[40:41], v17
	v_cvt_pk_f32_fp8_sdwa v[16:17], v17 src0_sel:WORD_1
	v_perm_b32 v53, v59, v58, s33
	v_mfma_f32_16x16x16_bf16 v[46:49], v[46:47], v[12:13], v[30:33]
	s_mov_b32 s44, 0xff7fffff
	s_waitcnt vmcnt(3)
	v_mad_i64_i32 v[34:35], s[4:5], v64, s45, v[18:19]
	v_perm_b32 v32, v41, v40, s33
	v_perm_b32 v33, v17, v16, s33
	v_mfma_f32_16x16x16_bf16 v[46:49], v[24:25], v[2:3], v[46:49]
	v_cvt_pk_f32_fp8_e32 v[16:17], v6
	v_cvt_pk_f32_fp8_sdwa v[24:25], v6 src0_sel:WORD_1
	v_pk_mul_f32 v[30:31], v[54:55], v[38:39] op_sel_hi:[0,1]
	v_mfma_f32_16x16x16_bf16 v[46:49], v[32:33], v[4:5], v[46:49]
	v_cvt_pk_f32_fp8_e32 v[32:33], v7
	v_perm_b32 v16, v17, v16, s33
	v_perm_b32 v17, v25, v24, s33
	v_cvt_pk_f32_fp8_sdwa v[6:7], v7 src0_sel:WORD_1
	v_pk_mul_f32 v[38:39], v[54:55], v[36:37] op_sel_hi:[0,1]
	v_perm_b32 v24, v33, v32, s33
	v_cvt_pk_f32_fp8_e32 v[32:33], v8
	v_cvt_pk_f32_fp8_sdwa v[36:37], v8 src0_sel:WORD_1
	v_perm_b32 v25, v7, v6, s33
	v_mfma_f32_16x16x16_bf16 v[20:23], v[52:53], v[4:5], v[20:23]
	v_mfma_f32_16x16x16_bf16 v[50:53], v[16:17], v[10:11], 0
	v_perm_b32 v10, v33, v32, s33
	v_perm_b32 v11, v37, v36, s33
	v_cvt_pk_f32_fp8_e32 v[16:17], v9
	v_cvt_pk_f32_fp8_sdwa v[32:33], v9 src0_sel:WORD_1
	v_mfma_f32_16x16x16_bf16 v[6:9], v[24:25], v[12:13], v[50:53]
	s_nop 0
	v_pk_mul_f32 v[36:37], v[54:55], v[22:23] op_sel_hi:[0,1]
	v_perm_b32 v12, v17, v16, s33
	v_perm_b32 v13, v33, v32, s33
	v_mfma_f32_16x16x16_bf16 v[6:9], v[10:11], v[2:3], v[6:9]
	v_pk_mul_f32 v[40:41], v[54:55], v[20:21] op_sel_hi:[0,1]
	v_pk_mul_f32 v[24:25], v[54:55], v[48:49] op_sel_hi:[0,1]
	v_pk_mul_f32 v[32:33], v[54:55], v[46:47] op_sel_hi:[0,1]
	v_mfma_f32_16x16x16_bf16 v[2:5], v[12:13], v[4:5], v[6:9]
	s_nop 6
	v_pk_mul_f32 v[22:23], v[54:55], v[2:3] op_sel_hi:[0,1]
	v_and_b32_e32 v2, 0xc0, v0
	v_add_u32_e32 v2, s16, v2
	v_lshl_or_b32 v2, v1, 2, v2
	v_or_b32_e32 v3, 1, v2
	v_pk_mul_f32 v[20:21], v[54:55], v[4:5] op_sel_hi:[0,1]
	v_subrev_u32_e32 v4, s29, v3
	v_add_u32_e32 v6, 1, v4
	v_add_u32_e32 v7, 2, v4
	;; [unrolled: 1-line block ×3, first 2 shown]
	v_cvt_f32_i32_e32 v6, v6
	v_cvt_f32_i32_e32 v7, v7
	;; [unrolled: 1-line block ×3, first 2 shown]
	v_add_u32_e32 v9, 19, v4
	v_fmac_f32_e32 v39, v43, v6
	v_fma_f32 v30, v43, v7, v30
	v_fmac_f32_e32 v31, v43, v8
	v_add_u32_e32 v6, 16, v4
	v_add_u32_e32 v7, 17, v4
	;; [unrolled: 1-line block ×3, first 2 shown]
	v_cvt_f32_i32_e32 v6, v6
	v_cvt_f32_i32_e32 v7, v7
	;; [unrolled: 1-line block ×4, first 2 shown]
	v_fma_f32 v40, v43, v6, v40
	v_fmac_f32_e32 v41, v43, v7
	v_fma_f32 v36, v43, v8, v36
	v_add_u32_e32 v6, 32, v4
	v_add_u32_e32 v7, 33, v4
	;; [unrolled: 1-line block ×3, first 2 shown]
	v_cvt_f32_i32_e32 v6, v6
	v_cvt_f32_i32_e32 v7, v7
	;; [unrolled: 1-line block ×4, first 2 shown]
	v_fmac_f32_e32 v37, v43, v9
	v_add_u32_e32 v9, 35, v4
	v_fma_f32 v32, v43, v6, v32
	v_fmac_f32_e32 v33, v43, v7
	v_fma_f32 v24, v43, v8, v24
	v_add_u32_e32 v6, 48, v4
	v_add_u32_e32 v7, 49, v4
	;; [unrolled: 1-line block ×4, first 2 shown]
	v_cvt_f32_i32_e32 v4, v4
	v_cvt_f32_i32_e32 v6, v6
	;; [unrolled: 1-line block ×3, first 2 shown]
	v_fma_f32 v5, v43, v5, v38
	v_fmac_f32_e32 v21, v43, v4
	v_mov_b32_e32 v4, 0xff7fffff
	v_cmp_gt_i32_e64 s[4:5], s29, v2
	v_cmp_gt_i32_e64 s[34:35], s29, v3
	v_fma_f32 v22, v43, v6, v22
	v_cndmask_b32_e64 v6, v4, v5, s[4:5]
	v_cndmask_b32_e64 v3, v4, v39, s[34:35]
	v_fmac_f32_e32 v23, v43, v7
	v_max3_f32 v3, v6, s44, v3
	v_or_b32_e32 v6, 2, v2
	v_or_b32_e32 v7, 3, v2
	v_cmp_gt_i32_e64 s[36:37], s29, v6
	v_cmp_gt_i32_e64 s[38:39], s29, v7
	v_cvt_f32_i32_e32 v9, v9
	v_cndmask_b32_e64 v6, v4, v30, s[36:37]
	v_cndmask_b32_e64 v7, v4, v31, s[38:39]
	v_max3_f32 v3, v3, v6, v7
	v_or_b32_e32 v6, 16, v2
	v_or_b32_e32 v7, 17, v2
	v_cmp_gt_i32_e64 s[24:25], s29, v6
	v_cmp_gt_i32_e64 s[26:27], s29, v7
	v_fmac_f32_e32 v25, v43, v9
	v_cndmask_b32_e64 v6, v4, v40, s[24:25]
	v_cndmask_b32_e64 v7, v4, v41, s[26:27]
	v_max3_f32 v3, v3, v6, v7
	v_or_b32_e32 v6, 18, v2
	v_or_b32_e32 v7, 19, v2
	v_cmp_gt_i32_e64 s[20:21], s29, v6
	v_cmp_gt_i32_e64 s[22:23], s29, v7
	v_cvt_f32_i32_e32 v8, v8
	v_cndmask_b32_e64 v6, v4, v36, s[20:21]
	v_cndmask_b32_e64 v7, v4, v37, s[22:23]
	v_max3_f32 v3, v3, v6, v7
	v_or_b32_e32 v6, 32, v2
	v_or_b32_e32 v7, 33, v2
	v_cmp_gt_i32_e64 s[16:17], s29, v6
	v_cmp_gt_i32_e64 s[18:19], s29, v7
	v_fma_f32 v20, v43, v8, v20
	v_cndmask_b32_e64 v6, v4, v32, s[16:17]
	v_cndmask_b32_e64 v7, v4, v33, s[18:19]
	v_max3_f32 v3, v3, v6, v7
	v_or_b32_e32 v6, 34, v2
	v_or_b32_e32 v7, 35, v2
	v_cmp_gt_i32_e64 s[12:13], s29, v6
	v_cmp_gt_i32_e64 s[14:15], s29, v7
	s_nop 0
	v_cndmask_b32_e64 v6, v4, v24, s[12:13]
	v_cndmask_b32_e64 v7, v4, v25, s[14:15]
	v_max3_f32 v3, v3, v6, v7
	v_or_b32_e32 v6, 48, v2
	v_or_b32_e32 v7, 49, v2
	v_cmp_gt_i32_e64 s[8:9], s29, v6
	v_cmp_gt_i32_e64 s[10:11], s29, v7
	s_nop 0
	v_cndmask_b32_e64 v6, v4, v22, s[8:9]
	v_cndmask_b32_e64 v7, v4, v23, s[10:11]
	v_max3_f32 v3, v3, v6, v7
	v_or_b32_e32 v6, 50, v2
	v_or_b32_e32 v2, 51, v2
	v_cmp_gt_i32_e32 vcc, s29, v6
	v_cmp_gt_i32_e64 s[6:7], s29, v2
	s_nop 0
	v_cndmask_b32_e32 v6, v4, v20, vcc
	v_cndmask_b32_e64 v2, v4, v21, s[6:7]
	v_max3_f32 v4, v3, v6, v2
	v_mbcnt_lo_u32_b32 v2, -1, 0
	v_mbcnt_hi_u32_b32 v6, -1, v2
	v_and_b32_e32 v2, 64, v6
	v_add_u32_e32 v7, 64, v2
	v_xor_b32_e32 v2, 32, v6
	v_cmp_lt_i32_e64 s[40:41], v2, v7
	s_nop 1
	v_cndmask_b32_e64 v2, v6, v2, s[40:41]
	v_lshlrev_b32_e32 v43, 2, v2
	ds_bpermute_b32 v8, v43, v4
	s_waitcnt vmcnt(2)
	v_mad_i64_i32 v[2:3], s[40:41], v14, s45, v[18:19]
	global_load_dwordx4 v[14:17], v[34:35], off
	global_load_dwordx4 v[10:13], v[2:3], off
	v_xor_b32_e32 v3, 16, v6
	v_cmp_lt_i32_e64 s[40:41], v3, v7
	s_waitcnt lgkmcnt(0)
	v_max_f32_e32 v2, v8, v8
	v_max_f32_e32 v2, v4, v2
	v_cndmask_b32_e64 v3, v6, v3, s[40:41]
	v_lshlrev_b32_e32 v46, 2, v3
	ds_bpermute_b32 v3, v46, v2
	s_waitcnt vmcnt(3)
	v_mad_i64_i32 v[34:35], s[40:41], v44, s45, v[18:19]
	s_waitcnt vmcnt(2)
	v_mad_i64_i32 v[18:19], s[40:41], v45, s45, v[18:19]
	s_waitcnt lgkmcnt(0)
	v_max_f32_e32 v3, v3, v3
	v_max_f32_e32 v38, v2, v3
	v_sub_f32_e32 v2, v5, v38
	v_mul_f32_e32 v2, 0x3fb8aa3b, v2
	v_exp_f32_e32 v44, v2
	v_sub_f32_e32 v2, v39, v38
	v_mul_f32_e32 v2, 0x3fb8aa3b, v2
	v_exp_f32_e32 v39, v2
	global_load_dwordx4 v[6:9], v[34:35], off
	global_load_dwordx4 v[2:5], v[18:19], off
	v_sub_f32_e32 v30, v30, v38
	v_mul_f32_e32 v30, 0x3fb8aa3b, v30
	v_sub_f32_e32 v31, v31, v38
	v_exp_f32_e32 v30, v30
	v_mul_f32_e32 v31, 0x3fb8aa3b, v31
	v_exp_f32_e32 v31, v31
	v_cndmask_b32_e64 v18, 0, v44, s[4:5]
	v_add_f32_e32 v34, 0, v18
	v_cndmask_b32_e64 v19, 0, v39, s[34:35]
	v_add_f32_e32 v35, v34, v19
	;; [unrolled: 2-line block ×3, first 2 shown]
	v_cndmask_b32_e64 v35, 0, v31, s[38:39]
	v_sub_f32_e32 v31, v40, v38
	v_mul_f32_e32 v31, 0x3fb8aa3b, v31
	v_sub_f32_e32 v39, v41, v38
	v_exp_f32_e32 v31, v31
	v_mul_f32_e32 v39, 0x3fb8aa3b, v39
	v_sub_f32_e32 v36, v36, v38
	v_exp_f32_e32 v39, v39
	;; [unrolled: 3-line block ×4, first 2 shown]
	v_mul_f32_e32 v32, 0x3fb8aa3b, v32
	v_sub_f32_e32 v33, v33, v38
	v_add_f32_e32 v40, v30, v35
	v_cndmask_b32_e64 v30, 0, v31, s[24:25]
	v_exp_f32_e32 v32, v32
	v_mul_f32_e32 v33, 0x3fb8aa3b, v33
	v_sub_f32_e32 v24, v24, v38
	v_add_f32_e32 v40, v40, v30
	v_cndmask_b32_e64 v31, 0, v39, s[26:27]
	v_exp_f32_e32 v33, v33
	;; [unrolled: 5-line block ×7, first 2 shown]
	v_mul_f32_e32 v21, 0x3fb8aa3b, v21
	v_add_f32_e32 v39, v39, v24
	v_cndmask_b32_e64 v25, 0, v25, s[14:15]
	v_exp_f32_e32 v21, v21
	v_add_f32_e32 v39, v39, v25
	v_cndmask_b32_e64 v22, 0, v22, s[8:9]
	v_add_f32_e32 v39, v39, v22
	v_cndmask_b32_e64 v23, 0, v23, s[10:11]
	v_add_f32_e32 v39, v39, v23
	v_cndmask_b32_e32 v20, 0, v20, vcc
	v_add_f32_e32 v39, v39, v20
	v_cndmask_b32_e64 v21, 0, v21, s[6:7]
	v_add_f32_e32 v39, v39, v21
	ds_bpermute_b32 v40, v43, v39
	s_load_dword s7, s[0:1], 0x98
	v_cmp_gt_u32_e32 vcc, 16, v27
	s_waitcnt lgkmcnt(0)
	s_barrier
	v_add_f32_e32 v40, v39, v40
	ds_bpermute_b32 v41, v46, v40
	v_lshlrev_b32_e32 v39, 2, v28
	s_waitcnt lgkmcnt(0)
	s_and_saveexec_b64 s[4:5], vcc
	s_cbranch_execz .LBB1099_15
; %bb.14:
	v_add_f32_e32 v27, v40, v41
	v_lshl_or_b32 v40, v29, 6, v39
	ds_write2st64_b32 v40, v38, v27 offset1:1
.LBB1099_15:
	s_or_b64 exec, exec, s[4:5]
	s_load_dword s6, s[0:1], 0x94
	s_waitcnt lgkmcnt(0)
	s_barrier
	ds_read2_b32 v[40:41], v39 offset1:16
	ds_read2_b32 v[44:45], v39 offset0:32 offset1:48
	ds_read2_b32 v[46:47], v39 offset0:64 offset1:80
	s_movk_i32 s8, 0x7fff
	s_mul_i32 s7, s7, 12
	s_waitcnt lgkmcnt(2)
	v_max3_f32 v27, v40, s44, v41
	s_waitcnt lgkmcnt(1)
	v_max3_f32 v27, v27, v44, v45
	v_sub_f32_e32 v38, v40, v27
	v_mul_f32_e32 v38, 0x3fb8aa3b, v38
	v_exp_f32_e32 v43, v38
	v_sub_f32_e32 v38, v41, v27
	v_mul_f32_e32 v38, 0x3fb8aa3b, v38
	v_exp_f32_e32 v48, v38
	;; [unrolled: 3-line block ×3, first 2 shown]
	ds_read2_b32 v[40:41], v39 offset0:96 offset1:112
	v_sub_f32_e32 v38, v45, v27
	v_mul_f32_e32 v38, 0x3fb8aa3b, v38
	v_exp_f32_e32 v39, v38
	s_waitcnt lgkmcnt(1)
	v_fma_f32 v38, v43, v46, 0
	v_fmac_f32_e32 v38, v48, v47
	s_waitcnt lgkmcnt(0)
	v_fmac_f32_e32 v38, v44, v40
	v_fmac_f32_e32 v38, v39, v41
	v_add_f32_e32 v40, 0x358637bd, v38
	v_div_scale_f32 v41, s[4:5], v40, v40, 1.0
	v_rcp_f32_e32 v45, v41
	s_barrier
	v_fma_f32 v46, -v41, v45, 1.0
	v_fmac_f32_e32 v45, v46, v45
	v_div_scale_f32 v46, vcc, 1.0, v40, 1.0
	v_mul_f32_e32 v47, v46, v45
	v_fma_f32 v49, -v41, v47, v46
	v_fmac_f32_e32 v47, v49, v45
	v_fma_f32 v41, -v41, v47, v46
	v_div_fmas_f32 v41, v41, v45, v47
	v_cmp_eq_u32_e32 vcc, 1, v29
	v_div_fixup_f32 v40, v41, v40, 1.0
	s_nop 0
	v_cndmask_b32_e32 v41, v43, v48, vcc
	v_cmp_eq_u32_e32 vcc, 2, v29
	s_nop 1
	v_cndmask_b32_e32 v41, v41, v44, vcc
	v_cmp_eq_u32_e32 vcc, 3, v29
	v_lshlrev_b32_e32 v29, 11, v29
	s_nop 0
	v_cndmask_b32_e32 v39, v41, v39, vcc
	v_mul_f32_e32 v40, v39, v40
	v_pk_mul_f32 v[18:19], v[40:41], v[18:19] op_sel_hi:[0,1]
	v_pk_mul_f32 v[34:35], v[40:41], v[34:35] op_sel_hi:[0,1]
	v_bfe_u32 v39, v19, 16, 1
	v_bfe_u32 v41, v18, 16, 1
	v_add3_u32 v18, v18, v41, s8
	v_add3_u32 v19, v19, v39, s8
	v_perm_b32 v44, v19, v18, s33
	v_bfe_u32 v18, v35, 16, 1
	v_bfe_u32 v19, v34, 16, 1
	v_add3_u32 v19, v34, v19, s8
	v_add3_u32 v18, v35, v18, s8
	v_perm_b32 v45, v18, v19, s33
	v_lshlrev_b32_e32 v18, 3, v1
	v_lshlrev_b32_e32 v19, 5, v28
	v_pk_mul_f32 v[30:31], v[40:41], v[30:31] op_sel_hi:[0,1]
	v_or3_b32 v18, v29, v19, v18
	v_pk_mul_f32 v[34:35], v[40:41], v[36:37] op_sel_hi:[0,1]
	v_bfe_u32 v29, v31, 16, 1
	v_bfe_u32 v36, v30, 16, 1
	v_add3_u32 v30, v30, v36, s8
	v_add3_u32 v29, v31, v29, s8
	v_perm_b32 v30, v29, v30, s33
	v_bfe_u32 v29, v35, 16, 1
	v_bfe_u32 v31, v34, 16, 1
	v_add3_u32 v31, v34, v31, s8
	v_add3_u32 v29, v35, v29, s8
	v_perm_b32 v31, v29, v31, s33
	ds_write2st64_b64 v18, v[44:45], v[30:31] offset1:1
	v_pk_mul_f32 v[30:31], v[40:41], v[32:33] op_sel_hi:[0,1]
	v_bfe_u32 v29, v31, 16, 1
	v_bfe_u32 v32, v30, 16, 1
	v_pk_mul_f32 v[24:25], v[40:41], v[24:25] op_sel_hi:[0,1]
	v_add3_u32 v30, v30, v32, s8
	v_add3_u32 v29, v31, v29, s8
	v_perm_b32 v30, v29, v30, s33
	v_bfe_u32 v29, v25, 16, 1
	v_bfe_u32 v31, v24, 16, 1
	v_add3_u32 v24, v24, v31, s8
	v_add3_u32 v25, v25, v29, s8
	v_pk_mul_f32 v[22:23], v[40:41], v[22:23] op_sel_hi:[0,1]
	v_perm_b32 v31, v25, v24, s33
	v_bfe_u32 v24, v23, 16, 1
	v_bfe_u32 v25, v22, 16, 1
	v_pk_mul_f32 v[20:21], v[40:41], v[20:21] op_sel_hi:[0,1]
	v_add3_u32 v22, v22, v25, s8
	v_add3_u32 v23, v23, v24, s8
	v_perm_b32 v22, v23, v22, s33
	v_bfe_u32 v23, v21, 16, 1
	v_bfe_u32 v24, v20, 16, 1
	v_add3_u32 v20, v20, v24, s8
	v_add3_u32 v21, v21, v23, s8
	v_perm_b32 v23, v21, v20, s33
	v_cmp_gt_u32_e32 vcc, 12, v0
	ds_write2st64_b64 v18, v[30:31], v[22:23] offset0:2 offset1:3
	s_and_saveexec_b64 s[4:5], vcc
	s_cbranch_execz .LBB1099_17
; %bb.16:
	s_mov_b32 s49, 0
	v_mov_b32_e32 v29, 0
	v_lshl_add_u64 v[20:21], s[48:49], 0, v[28:29]
	v_mov_b32_e32 v22, s7
	v_mad_u64_u32 v[20:21], s[10:11], s2, v22, v[20:21]
	s_mul_i32 s3, s3, s7
	v_mov_b32_e32 v28, s28
	s_load_dwordx4 s[12:15], s[0:1], 0x58
	v_add_u32_e32 v23, s3, v21
	v_mad_u64_u32 v[20:21], s[10:11], v20, s6, v[28:29]
	v_mov_b32_e32 v22, v21
	v_mad_u64_u32 v[22:23], s[10:11], v23, s6, v[22:23]
	v_mov_b32_e32 v21, v22
	v_lshlrev_b64 v[20:21], 2, v[20:21]
	s_waitcnt lgkmcnt(0)
	v_lshl_add_u64 v[22:23], s[14:15], 0, v[20:21]
	v_lshl_add_u64 v[20:21], s[12:13], 0, v[20:21]
	global_store_dword v[22:23], v27, off
	global_store_dword v[20:21], v38, off
.LBB1099_17:
	s_or_b64 exec, exec, s[4:5]
	s_waitcnt vmcnt(3)
	v_cvt_pk_f32_fp8_e32 v[20:21], v14
	v_cvt_pk_f32_fp8_sdwa v[22:23], v14 src0_sel:WORD_1
	s_mov_b32 s4, 0x7060302
	v_lshl_or_b32 v14, v1, 9, v19
	s_waitcnt lgkmcnt(0)
	s_barrier
	v_perm_b32 v24, v21, v20, s4
	v_perm_b32 v25, v23, v22, s4
	v_cvt_pk_f32_fp8_e32 v[28:29], v15
	ds_read_b128 v[20:23], v14
	v_cvt_pk_f32_fp8_sdwa v[36:37], v15 src0_sel:WORD_1
	s_load_dword s10, s[42:43], 0x0
	v_perm_b32 v38, v29, v28, s4
	ds_read_b128 v[28:31], v14 offset:16
	v_perm_b32 v39, v37, v36, s4
	s_waitcnt lgkmcnt(0)
	v_mfma_f32_16x16x16_bf16 v[32:35], v[24:25], v[20:21], 0
	v_cvt_pk_f32_fp8_e32 v[24:25], v16
	v_cvt_pk_f32_fp8_sdwa v[36:37], v16 src0_sel:WORD_1
	v_cmp_gt_u32_e32 vcc, 64, v0
	v_mfma_f32_16x16x16_bf16 v[20:23], v[38:39], v[22:23], v[32:35]
	v_perm_b32 v24, v25, v24, s4
	v_perm_b32 v25, v37, v36, s4
	s_mov_b32 s3, 0
	v_cvt_pk_f32_fp8_e32 v[32:33], v17
	v_cvt_pk_f32_fp8_sdwa v[16:17], v17 src0_sel:WORD_1
	s_waitcnt vmcnt(2)
	v_cvt_pk_f32_fp8_sdwa v[34:35], v10 src0_sel:WORD_1
	v_mfma_f32_16x16x16_bf16 v[20:23], v[24:25], v[28:29], v[20:23]
	v_perm_b32 v36, v33, v32, s4
	v_cvt_pk_f32_fp8_e32 v[32:33], v10
	v_perm_b32 v37, v17, v16, s4
	v_perm_b32 v17, v35, v34, s4
	v_cvt_pk_f32_fp8_e32 v[24:25], v11
	v_perm_b32 v16, v33, v32, s4
	ds_read_b128 v[32:35], v14 offset:2048
	v_cvt_pk_f32_fp8_sdwa v[10:11], v11 src0_sel:WORD_1
	v_mfma_f32_16x16x16_bf16 v[20:23], v[36:37], v[30:31], v[20:23]
	ds_read_b128 v[28:31], v14 offset:2064
	v_perm_b32 v24, v25, v24, s4
	v_perm_b32 v25, v11, v10, s4
	s_waitcnt lgkmcnt(1)
	v_mfma_f32_16x16x16_bf16 v[20:23], v[16:17], v[32:33], v[20:23]
	v_cvt_pk_f32_fp8_e32 v[10:11], v12
	v_cvt_pk_f32_fp8_sdwa v[16:17], v12 src0_sel:WORD_1
	s_waitcnt vmcnt(1)
	v_cvt_pk_f32_fp8_sdwa v[32:33], v6 src0_sel:WORD_1
	v_mfma_f32_16x16x16_bf16 v[20:23], v[24:25], v[34:35], v[20:23]
	v_cvt_pk_f32_fp8_e32 v[24:25], v13
	v_perm_b32 v10, v11, v10, s4
	v_perm_b32 v11, v17, v16, s4
	v_cvt_pk_f32_fp8_sdwa v[12:13], v13 src0_sel:WORD_1
	v_perm_b32 v16, v25, v24, s4
	v_cvt_pk_f32_fp8_e32 v[24:25], v6
	v_mov_b32_e32 v27, 0
	v_perm_b32 v17, v13, v12, s4
	s_waitcnt lgkmcnt(0)
	v_mfma_f32_16x16x16_bf16 v[10:13], v[10:11], v[28:29], v[20:23]
	v_perm_b32 v24, v25, v24, s4
	v_perm_b32 v25, v33, v32, s4
	v_cvt_pk_f32_fp8_e32 v[28:29], v7
	ds_read_b128 v[20:23], v14 offset:4096
	v_cvt_pk_f32_fp8_sdwa v[6:7], v7 src0_sel:WORD_1
	v_mfma_f32_16x16x16_bf16 v[10:13], v[16:17], v[30:31], v[10:13]
	v_perm_b32 v16, v29, v28, s4
	ds_read_b128 v[28:31], v14 offset:4112
	v_perm_b32 v17, v7, v6, s4
	s_waitcnt lgkmcnt(1)
	v_mfma_f32_16x16x16_bf16 v[10:13], v[24:25], v[20:21], v[10:13]
	v_cvt_pk_f32_fp8_e32 v[6:7], v8
	v_cvt_pk_f32_fp8_sdwa v[20:21], v8 src0_sel:WORD_1
	v_perm_b32 v6, v7, v6, s4
	v_mfma_f32_16x16x16_bf16 v[10:13], v[16:17], v[22:23], v[10:13]
	v_cvt_pk_f32_fp8_e32 v[16:17], v9
	v_perm_b32 v7, v21, v20, s4
	v_cvt_pk_f32_fp8_sdwa v[8:9], v9 src0_sel:WORD_1
	s_waitcnt vmcnt(0)
	v_cvt_pk_f32_fp8_e32 v[20:21], v2
	v_perm_b32 v16, v17, v16, s4
	v_cvt_pk_f32_fp8_sdwa v[22:23], v2 src0_sel:WORD_1
	v_perm_b32 v17, v9, v8, s4
	s_waitcnt lgkmcnt(0)
	v_mfma_f32_16x16x16_bf16 v[6:9], v[6:7], v[28:29], v[10:13]
	v_perm_b32 v20, v21, v20, s4
	v_perm_b32 v21, v23, v22, s4
	v_cvt_pk_f32_fp8_e32 v[22:23], v3
	ds_read_b128 v[10:13], v14 offset:6144
	v_cvt_pk_f32_fp8_sdwa v[2:3], v3 src0_sel:WORD_1
	v_mfma_f32_16x16x16_bf16 v[6:9], v[16:17], v[30:31], v[6:9]
	v_perm_b32 v22, v23, v22, s4
	ds_read_b128 v[14:17], v14 offset:6160
	v_perm_b32 v23, v3, v2, s4
	s_waitcnt lgkmcnt(1)
	v_mfma_f32_16x16x16_bf16 v[6:9], v[20:21], v[10:11], v[6:9]
	v_cvt_pk_f32_fp8_e32 v[2:3], v4
	v_cvt_pk_f32_fp8_sdwa v[10:11], v4 src0_sel:WORD_1
	s_waitcnt lgkmcnt(0)
	v_mfma_f32_16x16x16_bf16 v[6:9], v[22:23], v[12:13], v[6:9]
	v_perm_b32 v2, v3, v2, s4
	v_perm_b32 v3, v11, v10, s4
	v_cvt_pk_f32_fp8_e32 v[10:11], v5
	v_cvt_pk_f32_fp8_sdwa v[4:5], v5 src0_sel:WORD_1
	s_barrier
	v_perm_b32 v10, v11, v10, s4
	v_perm_b32 v11, v5, v4, s4
	v_mfma_f32_16x16x16_bf16 v[2:5], v[2:3], v[14:15], v[6:9]
	s_nop 0
	v_mfma_f32_16x16x16_bf16 v[2:5], v[10:11], v[16:17], v[2:5]
	s_nop 6
	v_pk_mul_f32 v[2:3], v[2:3], s[10:11] op_sel_hi:[1,0]
	v_pk_mul_f32 v[4:5], v[4:5], s[10:11] op_sel_hi:[1,0]
	v_bfe_u32 v6, v3, 16, 1
	v_bfe_u32 v7, v2, 16, 1
	v_add3_u32 v2, v2, v7, s8
	v_add3_u32 v3, v3, v6, s8
	v_perm_b32 v2, v3, v2, s4
	v_bfe_u32 v3, v5, 16, 1
	v_bfe_u32 v6, v4, 16, 1
	v_add3_u32 v4, v4, v6, s8
	v_add3_u32 v3, v5, v3, s8
	v_perm_b32 v3, v3, v4, s4
	s_and_b64 s[4:5], vcc, s[30:31]
	ds_write_b64 v18, v[2:3]
	s_waitcnt lgkmcnt(0)
	s_barrier
	s_and_saveexec_b64 s[8:9], s[4:5]
	s_cbranch_execz .LBB1099_19
; %bb.18:
	s_load_dwordx2 s[0:1], s[0:1], 0x68
	s_lshl_b32 s6, s6, 6
	s_mul_i32 s2, s7, s2
	s_mul_hi_u32 s5, s2, s6
	s_mul_i32 s4, s2, s6
	s_lshl_b64 s[4:5], s[4:5], 1
	s_waitcnt lgkmcnt(0)
	s_add_u32 s4, s0, s4
	v_lshlrev_b32_e32 v0, 10, v0
	s_addc_u32 s5, s1, s5
	s_lshl_b32 s2, s28, 6
	v_and_b32_e32 v0, 0x1800, v0
	v_lshlrev_b32_e32 v2, 5, v1
	v_and_b32_e32 v3, 16, v42
	s_lshl_b64 s[0:1], s[2:3], 1
	v_or3_b32 v0, v0, v2, v3
	s_add_u32 s0, s4, s0
	ds_read_b128 v[2:5], v0
	ds_read_b128 v[6:9], v0 offset:128
	ds_read_b128 v[10:13], v0 offset:256
	s_addc_u32 s1, s5, s1
	v_or_b32_e32 v16, s48, v1
	v_lshl_add_u64 v[0:1], s[0:1], 0, v[26:27]
	v_mad_u64_u32 v[14:15], s[0:1], v16, s6, 0
	v_lshl_add_u64 v[14:15], v[14:15], 1, v[0:1]
	s_waitcnt lgkmcnt(2)
	global_store_dwordx4 v[14:15], v[2:5], off
	s_nop 1
	v_add_u32_e32 v2, 4, v16
	v_mad_u64_u32 v[2:3], s[0:1], v2, s6, 0
	v_lshl_add_u64 v[2:3], v[2:3], 1, v[0:1]
	s_waitcnt lgkmcnt(1)
	global_store_dwordx4 v[2:3], v[6:9], off
	v_add_u32_e32 v2, 8, v16
	v_mad_u64_u32 v[2:3], s[0:1], v2, s6, 0
	v_lshl_add_u64 v[0:1], v[2:3], 1, v[0:1]
	s_waitcnt lgkmcnt(0)
	global_store_dwordx4 v[0:1], v[10:13], off
.LBB1099_19:
	s_endpgm
	.section	.rodata,"a",@progbits
	.p2align	6, 0x0
	.amdhsa_kernel _Z39paged_attention_ll4mi_QKV_mfma16_kernelI14__hip_bfloat16hLN4vllm18Fp8KVCacheDataTypeE1EhLi16ELi64ELi256ELb1ELi12EEvPKT_PKT0_S8_ifPKiSA_SA_iPKfiiiPfSD_PS3_PT2_iSC_SC_
		.amdhsa_group_segment_fixed_size 8192
		.amdhsa_private_segment_fixed_size 0
		.amdhsa_kernarg_size 400
		.amdhsa_user_sgpr_count 2
		.amdhsa_user_sgpr_dispatch_ptr 0
		.amdhsa_user_sgpr_queue_ptr 0
		.amdhsa_user_sgpr_kernarg_segment_ptr 1
		.amdhsa_user_sgpr_dispatch_id 0
		.amdhsa_user_sgpr_kernarg_preload_length 0
		.amdhsa_user_sgpr_kernarg_preload_offset 0
		.amdhsa_user_sgpr_private_segment_size 0
		.amdhsa_uses_dynamic_stack 0
		.amdhsa_enable_private_segment 0
		.amdhsa_system_sgpr_workgroup_id_x 1
		.amdhsa_system_sgpr_workgroup_id_y 1
		.amdhsa_system_sgpr_workgroup_id_z 1
		.amdhsa_system_sgpr_workgroup_info 0
		.amdhsa_system_vgpr_workitem_id 0
		.amdhsa_next_free_vgpr 67
		.amdhsa_next_free_sgpr 50
		.amdhsa_accum_offset 68
		.amdhsa_reserve_vcc 1
		.amdhsa_float_round_mode_32 0
		.amdhsa_float_round_mode_16_64 0
		.amdhsa_float_denorm_mode_32 3
		.amdhsa_float_denorm_mode_16_64 3
		.amdhsa_dx10_clamp 1
		.amdhsa_ieee_mode 1
		.amdhsa_fp16_overflow 0
		.amdhsa_tg_split 0
		.amdhsa_exception_fp_ieee_invalid_op 0
		.amdhsa_exception_fp_denorm_src 0
		.amdhsa_exception_fp_ieee_div_zero 0
		.amdhsa_exception_fp_ieee_overflow 0
		.amdhsa_exception_fp_ieee_underflow 0
		.amdhsa_exception_fp_ieee_inexact 0
		.amdhsa_exception_int_div_zero 0
	.end_amdhsa_kernel
	.section	.text._Z39paged_attention_ll4mi_QKV_mfma16_kernelI14__hip_bfloat16hLN4vllm18Fp8KVCacheDataTypeE1EhLi16ELi64ELi256ELb1ELi12EEvPKT_PKT0_S8_ifPKiSA_SA_iPKfiiiPfSD_PS3_PT2_iSC_SC_,"axG",@progbits,_Z39paged_attention_ll4mi_QKV_mfma16_kernelI14__hip_bfloat16hLN4vllm18Fp8KVCacheDataTypeE1EhLi16ELi64ELi256ELb1ELi12EEvPKT_PKT0_S8_ifPKiSA_SA_iPKfiiiPfSD_PS3_PT2_iSC_SC_,comdat
.Lfunc_end1099:
	.size	_Z39paged_attention_ll4mi_QKV_mfma16_kernelI14__hip_bfloat16hLN4vllm18Fp8KVCacheDataTypeE1EhLi16ELi64ELi256ELb1ELi12EEvPKT_PKT0_S8_ifPKiSA_SA_iPKfiiiPfSD_PS3_PT2_iSC_SC_, .Lfunc_end1099-_Z39paged_attention_ll4mi_QKV_mfma16_kernelI14__hip_bfloat16hLN4vllm18Fp8KVCacheDataTypeE1EhLi16ELi64ELi256ELb1ELi12EEvPKT_PKT0_S8_ifPKiSA_SA_iPKfiiiPfSD_PS3_PT2_iSC_SC_
                                        ; -- End function
	.section	.AMDGPU.csdata,"",@progbits
; Kernel info:
; codeLenInByte = 5124
; NumSgprs: 56
; NumVgprs: 67
; NumAgprs: 0
; TotalNumVgprs: 67
; ScratchSize: 0
; MemoryBound: 0
; FloatMode: 240
; IeeeMode: 1
; LDSByteSize: 8192 bytes/workgroup (compile time only)
; SGPRBlocks: 6
; VGPRBlocks: 8
; NumSGPRsForWavesPerEU: 56
; NumVGPRsForWavesPerEU: 67
; AccumOffset: 68
; Occupancy: 7
; WaveLimiterHint : 1
; COMPUTE_PGM_RSRC2:SCRATCH_EN: 0
; COMPUTE_PGM_RSRC2:USER_SGPR: 2
; COMPUTE_PGM_RSRC2:TRAP_HANDLER: 0
; COMPUTE_PGM_RSRC2:TGID_X_EN: 1
; COMPUTE_PGM_RSRC2:TGID_Y_EN: 1
; COMPUTE_PGM_RSRC2:TGID_Z_EN: 1
; COMPUTE_PGM_RSRC2:TIDIG_COMP_CNT: 0
; COMPUTE_PGM_RSRC3_GFX90A:ACCUM_OFFSET: 16
; COMPUTE_PGM_RSRC3_GFX90A:TG_SPLIT: 0
	.section	.text._Z39paged_attention_ll4mi_QKV_mfma16_kernelI14__hip_bfloat16hLN4vllm18Fp8KVCacheDataTypeE1EhLi16ELi64ELi256ELb1ELi13EEvPKT_PKT0_S8_ifPKiSA_SA_iPKfiiiPfSD_PS3_PT2_iSC_SC_,"axG",@progbits,_Z39paged_attention_ll4mi_QKV_mfma16_kernelI14__hip_bfloat16hLN4vllm18Fp8KVCacheDataTypeE1EhLi16ELi64ELi256ELb1ELi13EEvPKT_PKT0_S8_ifPKiSA_SA_iPKfiiiPfSD_PS3_PT2_iSC_SC_,comdat
	.protected	_Z39paged_attention_ll4mi_QKV_mfma16_kernelI14__hip_bfloat16hLN4vllm18Fp8KVCacheDataTypeE1EhLi16ELi64ELi256ELb1ELi13EEvPKT_PKT0_S8_ifPKiSA_SA_iPKfiiiPfSD_PS3_PT2_iSC_SC_ ; -- Begin function _Z39paged_attention_ll4mi_QKV_mfma16_kernelI14__hip_bfloat16hLN4vllm18Fp8KVCacheDataTypeE1EhLi16ELi64ELi256ELb1ELi13EEvPKT_PKT0_S8_ifPKiSA_SA_iPKfiiiPfSD_PS3_PT2_iSC_SC_
	.globl	_Z39paged_attention_ll4mi_QKV_mfma16_kernelI14__hip_bfloat16hLN4vllm18Fp8KVCacheDataTypeE1EhLi16ELi64ELi256ELb1ELi13EEvPKT_PKT0_S8_ifPKiSA_SA_iPKfiiiPfSD_PS3_PT2_iSC_SC_
	.p2align	8
	.type	_Z39paged_attention_ll4mi_QKV_mfma16_kernelI14__hip_bfloat16hLN4vllm18Fp8KVCacheDataTypeE1EhLi16ELi64ELi256ELb1ELi13EEvPKT_PKT0_S8_ifPKiSA_SA_iPKfiiiPfSD_PS3_PT2_iSC_SC_,@function
_Z39paged_attention_ll4mi_QKV_mfma16_kernelI14__hip_bfloat16hLN4vllm18Fp8KVCacheDataTypeE1EhLi16ELi64ELi256ELb1ELi13EEvPKT_PKT0_S8_ifPKiSA_SA_iPKfiiiPfSD_PS3_PT2_iSC_SC_: ; @_Z39paged_attention_ll4mi_QKV_mfma16_kernelI14__hip_bfloat16hLN4vllm18Fp8KVCacheDataTypeE1EhLi16ELi64ELi256ELb1ELi13EEvPKT_PKT0_S8_ifPKiSA_SA_iPKfiiiPfSD_PS3_PT2_iSC_SC_
; %bb.0:
	s_load_dwordx2 s[6:7], s[0:1], 0x30
	s_mov_b32 s28, s3
	s_mov_b64 s[8:9], 0
	s_waitcnt lgkmcnt(0)
	s_cmp_lg_u64 s[6:7], 0
	s_cselect_b64 s[10:11], -1, 0
	s_and_b64 vcc, exec, s[10:11]
	s_cbranch_vccz .LBB1100_7
; %bb.1:
	s_add_i32 s12, s2, 1
	s_mov_b32 s13, 0
	s_lshl_b64 s[14:15], s[12:13], 2
	s_add_u32 s14, s6, s14
	s_mov_b32 s3, s13
	s_addc_u32 s15, s7, s15
	s_lshl_b64 s[12:13], s[2:3], 2
	s_add_u32 s12, s6, s12
	s_addc_u32 s13, s7, s13
	s_load_dword s5, s[14:15], 0x0
	s_load_dword s16, s[12:13], 0x0
	s_waitcnt lgkmcnt(0)
	s_sub_i32 s5, s5, s16
	s_cmp_eq_u32 s5, 1
	s_cselect_b64 s[12:13], -1, 0
	s_andn2_b64 vcc, exec, s[8:9]
	s_cbranch_vccnz .LBB1100_3
.LBB1100_2:
	s_mov_b32 s3, 0
	s_mov_b64 s[12:13], -1
.LBB1100_3:
	s_andn2_b64 vcc, exec, s[12:13]
	s_cbranch_vccnz .LBB1100_20
; %bb.4:
	s_load_dwordx2 s[8:9], s[0:1], 0x28
	s_lshl_b64 s[12:13], s[2:3], 2
	s_waitcnt lgkmcnt(0)
	s_add_u32 s8, s8, s12
	s_addc_u32 s9, s9, s13
	s_load_dword s29, s[8:9], 0x0
	s_lshl_b32 s16, s28, 8
	s_waitcnt lgkmcnt(0)
	s_cmp_ge_i32 s16, s29
	s_cbranch_scc1 .LBB1100_20
; %bb.5:
	s_load_dwordx2 s[8:9], s[0:1], 0x20
	s_load_dword s5, s[0:1], 0x38
	s_add_i32 s14, s29, 15
	s_ashr_i32 s15, s14, 31
	v_and_b32_e32 v1, 0xcf, v0
	s_lshr_b32 s15, s15, 28
	v_add_u32_e32 v1, s16, v1
	s_add_i32 s14, s14, s15
	v_ashrrev_i32_e32 v2, 31, v1
	s_ashr_i32 s17, s14, 4
	v_lshrrev_b32_e32 v4, 28, v2
	s_add_i32 s17, s17, -1
	s_waitcnt lgkmcnt(0)
	s_mul_i32 s14, s2, s5
	s_mov_b32 s15, 0
	v_add_u32_e32 v2, v1, v4
	s_lshl_b64 s[14:15], s[14:15], 2
	v_ashrrev_i32_e32 v2, 4, v2
	v_mov_b32_e32 v5, s17
	v_cmp_gt_i32_e32 vcc, s29, v1
	s_add_u32 s8, s8, s14
	s_addc_u32 s9, s9, s15
	v_cndmask_b32_e32 v2, v5, v2, vcc
	v_ashrrev_i32_e32 v3, 31, v2
	v_lshl_add_u64 v[6:7], v[2:3], 2, s[8:9]
	v_or_b32_e32 v2, 16, v1
	v_add_u32_e32 v3, v2, v4
	v_ashrrev_i32_e32 v3, 4, v3
	v_cmp_gt_i32_e32 vcc, s29, v2
	s_load_dwordx2 s[14:15], s[0:1], 0x8
	s_nop 0
	v_cndmask_b32_e32 v2, v5, v3, vcc
	v_ashrrev_i32_e32 v3, 31, v2
	v_lshl_add_u64 v[8:9], v[2:3], 2, s[8:9]
	v_or_b32_e32 v2, 32, v1
	v_add_u32_e32 v3, v2, v4
	v_ashrrev_i32_e32 v3, 4, v3
	v_cmp_gt_i32_e32 vcc, s29, v2
	v_or_b32_e32 v1, 48, v1
	s_nop 0
	v_cndmask_b32_e32 v2, v5, v3, vcc
	v_ashrrev_i32_e32 v3, 31, v2
	v_lshl_add_u64 v[10:11], v[2:3], 2, s[8:9]
	v_add_u32_e32 v2, v1, v4
	v_ashrrev_i32_e32 v2, 4, v2
	v_cmp_gt_i32_e32 vcc, s29, v1
	s_nop 1
	v_cndmask_b32_e32 v2, v5, v2, vcc
	v_ashrrev_i32_e32 v3, 31, v2
	v_lshl_add_u64 v[12:13], v[2:3], 2, s[8:9]
	global_load_dword v5, v[6:7], off
	global_load_dword v4, v[8:9], off
	;; [unrolled: 1-line block ×4, first 2 shown]
	s_andn2_b64 vcc, exec, s[10:11]
	s_cbranch_vccnz .LBB1100_8
; %bb.6:
	s_add_u32 s6, s6, s12
	s_addc_u32 s7, s7, s13
	s_load_dword s5, s[6:7], 0x0
	s_branch .LBB1100_9
.LBB1100_7:
	s_mov_b64 s[12:13], 0
	s_branch .LBB1100_2
.LBB1100_8:
	s_mov_b32 s5, s2
.LBB1100_9:
	s_load_dwordx2 s[6:7], s[0:1], 0x10
	s_load_dwordx4 s[44:47], s[0:1], 0x48
	v_lshrrev_b32_e32 v29, 6, v0
	v_bfe_u32 v42, v0, 4, 2
	v_lshl_or_b32 v6, v29, 2, v42
	v_and_b32_e32 v28, 15, v0
	v_lshlrev_b32_e32 v1, 3, v28
	v_cmp_gt_u32_e32 vcc, 13, v6
	v_cmp_gt_u32_e64 s[30:31], 8, v28
	s_mul_i32 s48, s4, 13
	s_and_b64 s[12:13], s[30:31], vcc
	v_lshlrev_b32_e32 v26, 1, v1
	v_lshlrev_b32_e32 v1, 4, v0
	s_and_saveexec_b64 s[10:11], s[12:13]
	s_cbranch_execz .LBB1100_11
; %bb.10:
	s_load_dwordx2 s[12:13], s[0:1], 0x0
	s_waitcnt lgkmcnt(0)
	s_ashr_i32 s18, s44, 31
	s_mul_hi_u32 s19, s5, s44
	s_mul_i32 s18, s5, s18
	s_add_i32 s19, s19, s18
	s_mul_i32 s18, s5, s44
	s_lshl_b64 s[18:19], s[18:19], 1
	s_add_u32 s12, s12, s18
	v_add_lshl_u32 v8, v6, s48, 6
	s_addc_u32 s13, s13, s19
	v_ashrrev_i32_e32 v9, 31, v8
	v_lshl_add_u64 v[8:9], v[8:9], 1, s[12:13]
	v_mov_b32_e32 v27, 0
	v_lshl_add_u64 v[8:9], v[8:9], 0, v[26:27]
	global_load_dwordx4 v[8:11], v[8:9], off
	v_lshlrev_b32_e32 v12, 8, v28
	v_lshlrev_b32_e32 v6, 5, v6
	v_and_b32_e32 v7, 16, v1
	v_and_b32_e32 v12, 0xe00, v12
	v_or3_b32 v6, v12, v6, v7
	s_waitcnt vmcnt(0)
	ds_write_b128 v6, v[8:11]
.LBB1100_11:
	s_or_b64 exec, exec, s[10:11]
	s_waitcnt lgkmcnt(0)
	s_mul_i32 s10, s4, s46
	s_add_u32 s4, s14, s10
	s_addc_u32 s5, s15, 0
	v_and_b32_e32 v32, 48, v0
	v_and_b32_e32 v30, 0xf0, v1
	v_mov_b32_e32 v31, 0
	v_lshl_add_u64 v[6:7], s[4:5], 0, v[30:31]
	v_lshlrev_b32_e32 v30, 4, v32
	v_lshl_add_u64 v[6:7], v[6:7], 0, v[30:31]
	s_waitcnt vmcnt(3)
	v_mad_i64_i32 v[8:9], s[4:5], v5, s45, v[6:7]
	s_waitcnt vmcnt(2)
	v_mad_i64_i32 v[4:5], s[4:5], v4, s45, v[6:7]
	s_barrier
	global_load_dwordx4 v[22:25], v[8:9], off
	global_load_dwordx4 v[18:21], v[4:5], off
	s_waitcnt vmcnt(3)
	v_mad_i64_i32 v[4:5], s[4:5], v3, s45, v[6:7]
	s_waitcnt vmcnt(2)
	v_mad_i64_i32 v[2:3], s[4:5], v2, s45, v[6:7]
	global_load_dwordx4 v[14:17], v[4:5], off
	global_load_dwordx4 v[6:9], v[2:3], off
	v_add_u32_e32 v2, -13, v28
	v_cmp_gt_u32_e32 vcc, 13, v28
	v_and_b32_e32 v27, 63, v0
	v_mov_b32_e32 v43, 0
	v_cndmask_b32_e32 v2, v2, v28, vcc
	v_lshlrev_b32_e32 v2, 5, v2
	v_lshl_add_u32 v2, v42, 9, v2
	ds_read_b128 v[10:13], v2
	ds_read_b128 v[2:5], v2 offset:16
	s_and_saveexec_b64 s[4:5], vcc
	s_cbranch_execz .LBB1100_13
; %bb.12:
	s_load_dwordx2 s[12:13], s[0:1], 0x40
	v_add_u32_e32 v34, s48, v28
	v_ashrrev_i32_e32 v35, 31, v34
	s_waitcnt lgkmcnt(0)
	v_lshl_add_u64 v[34:35], v[34:35], 2, s[12:13]
	global_load_dword v43, v[34:35], off
.LBB1100_13:
	s_or_b64 exec, exec, s[4:5]
	v_or_b32_e32 v62, s16, v32
	v_ashrrev_i32_e32 v30, 4, v62
	v_mov_b32_e32 v63, s17
	v_cmp_gt_i32_e32 vcc, s29, v62
	s_waitcnt vmcnt(2)
	v_cvt_pk_f32_fp8_e32 v[52:53], v20
	v_cvt_pk_f32_fp8_sdwa v[54:55], v20 src0_sel:WORD_1
	v_cndmask_b32_e32 v20, v63, v30, vcc
	v_cvt_pk_f32_fp8_e32 v[56:57], v21
	v_cvt_pk_f32_fp8_sdwa v[58:59], v21 src0_sel:WORD_1
	v_ashrrev_i32_e32 v21, 31, v20
	v_cvt_pk_f32_fp8_e32 v[40:41], v22
	v_cvt_pk_f32_fp8_sdwa v[44:45], v22 src0_sel:WORD_1
	v_lshl_add_u64 v[20:21], v[20:21], 2, s[8:9]
	v_cvt_pk_f32_fp8_e32 v[46:47], v18
	v_cvt_pk_f32_fp8_sdwa v[48:49], v18 src0_sel:WORD_1
	global_load_dword v64, v[20:21], off
	s_mov_b32 s33, 0x7060302
	v_cvt_pk_f32_fp8_e32 v[32:33], v23
	v_cvt_pk_f32_fp8_sdwa v[34:35], v23 src0_sel:WORD_1
	v_perm_b32 v20, v41, v40, s33
	v_perm_b32 v21, v45, v44, s33
	v_cvt_pk_f32_fp8_e32 v[38:39], v24
	v_cvt_pk_f32_fp8_sdwa v[36:37], v24 src0_sel:WORD_1
	v_cvt_pk_f32_fp8_e32 v[50:51], v19
	v_cvt_pk_f32_fp8_sdwa v[18:19], v19 src0_sel:WORD_1
	v_perm_b32 v44, v47, v46, s33
	v_perm_b32 v45, v49, v48, s33
	v_cvt_pk_f32_fp8_e32 v[22:23], v25
	s_waitcnt vmcnt(2)
	v_cvt_pk_f32_fp8_e32 v[40:41], v14
	v_cvt_pk_f32_fp8_sdwa v[46:47], v14 src0_sel:WORD_1
	v_perm_b32 v48, v33, v32, s33
	v_perm_b32 v49, v35, v34, s33
	v_or_b32_e32 v14, 64, v62
	v_or_b32_e32 v32, 0xc0, v62
	v_cvt_pk_f32_fp8_sdwa v[24:25], v25 src0_sel:WORD_1
	s_load_dword s11, s[0:1], 0x1c
	s_load_dwordx4 s[40:43], s[0:1], 0x80
	v_perm_b32 v38, v39, v38, s33
	v_perm_b32 v39, v37, v36, s33
	v_or_b32_e32 v65, 0x80, v62
	v_ashrrev_i32_e32 v62, 4, v14
	v_cmp_gt_i32_e32 vcc, s29, v32
	v_ashrrev_i32_e32 v66, 4, v32
	v_cmp_gt_i32_e64 s[4:5], s29, v14
	v_perm_b32 v36, v51, v50, s33
	v_perm_b32 v37, v19, v18, s33
	s_waitcnt lgkmcnt(0)
	v_mfma_f32_16x16x16_bf16 v[32:35], v[20:21], v[10:11], 0
	s_add_u32 s6, s6, s10
	v_lshlrev_b32_e32 v30, 4, v28
	v_cndmask_b32_e64 v50, v63, v62, s[4:5]
	v_perm_b32 v62, v23, v22, s33
	v_mfma_f32_16x16x16_bf16 v[20:23], v[44:45], v[10:11], 0
	v_lshl_or_b32 v30, v29, 8, v30
	s_addc_u32 s7, s7, 0
	v_ashrrev_i32_e32 v14, 4, v65
	v_lshl_add_u64 v[18:19], s[6:7], 0, v[30:31]
	v_cmp_gt_i32_e64 s[6:7], s29, v65
	v_mfma_f32_16x16x16_bf16 v[30:33], v[48:49], v[12:13], v[32:35]
	v_cndmask_b32_e32 v48, v63, v66, vcc
	s_load_dword s4, s[40:41], 0x0
	v_cvt_pk_f32_fp8_e32 v[60:61], v15
	v_cndmask_b32_e64 v34, v63, v14, s[6:7]
	v_perm_b32 v63, v25, v24, s33
	v_perm_b32 v24, v53, v52, s33
	;; [unrolled: 1-line block ×3, first 2 shown]
	v_mfma_f32_16x16x16_bf16 v[20:23], v[36:37], v[12:13], v[20:23]
	v_perm_b32 v40, v41, v40, s33
	v_perm_b32 v41, v47, v46, s33
	v_ashrrev_i32_e32 v51, 31, v50
	v_mfma_f32_16x16x16_bf16 v[20:23], v[24:25], v[2:3], v[20:23]
	v_mov_b32_e32 v24, s11
	s_waitcnt lgkmcnt(0)
	v_mul_f32_e32 v54, s4, v24
	v_cvt_pk_f32_fp8_sdwa v[24:25], v15 src0_sel:WORD_1
	v_mfma_f32_16x16x16_bf16 v[30:33], v[38:39], v[2:3], v[30:33]
	v_ashrrev_i32_e32 v35, 31, v34
	v_ashrrev_i32_e32 v49, 31, v48
	v_lshl_add_u64 v[36:37], v[50:51], 2, s[8:9]
	v_lshl_add_u64 v[34:35], v[34:35], 2, s[8:9]
	;; [unrolled: 1-line block ×3, first 2 shown]
	global_load_dword v14, v[36:37], off
	global_load_dword v44, v[34:35], off
	;; [unrolled: 1-line block ×3, first 2 shown]
	v_perm_b32 v46, v61, v60, s33
	v_cvt_pk_f32_fp8_e32 v[48:49], v16
	v_cvt_pk_f32_fp8_sdwa v[50:51], v16 src0_sel:WORD_1
	v_perm_b32 v47, v25, v24, s33
	v_mfma_f32_16x16x16_bf16 v[36:39], v[62:63], v[4:5], v[30:33]
	v_perm_b32 v24, v49, v48, s33
	v_perm_b32 v25, v51, v50, s33
	;; [unrolled: 1-line block ×3, first 2 shown]
	v_mfma_f32_16x16x16_bf16 v[30:33], v[40:41], v[10:11], 0
	v_cvt_pk_f32_fp8_e32 v[40:41], v17
	v_cvt_pk_f32_fp8_sdwa v[16:17], v17 src0_sel:WORD_1
	v_perm_b32 v53, v59, v58, s33
	v_mfma_f32_16x16x16_bf16 v[46:49], v[46:47], v[12:13], v[30:33]
	s_mov_b32 s44, 0xff7fffff
	s_waitcnt vmcnt(3)
	v_mad_i64_i32 v[34:35], s[4:5], v64, s45, v[18:19]
	v_perm_b32 v32, v41, v40, s33
	v_perm_b32 v33, v17, v16, s33
	v_mfma_f32_16x16x16_bf16 v[46:49], v[24:25], v[2:3], v[46:49]
	v_cvt_pk_f32_fp8_e32 v[16:17], v6
	v_cvt_pk_f32_fp8_sdwa v[24:25], v6 src0_sel:WORD_1
	v_pk_mul_f32 v[30:31], v[54:55], v[38:39] op_sel_hi:[0,1]
	v_mfma_f32_16x16x16_bf16 v[46:49], v[32:33], v[4:5], v[46:49]
	v_cvt_pk_f32_fp8_e32 v[32:33], v7
	v_perm_b32 v16, v17, v16, s33
	v_perm_b32 v17, v25, v24, s33
	v_cvt_pk_f32_fp8_sdwa v[6:7], v7 src0_sel:WORD_1
	v_pk_mul_f32 v[38:39], v[54:55], v[36:37] op_sel_hi:[0,1]
	v_perm_b32 v24, v33, v32, s33
	v_cvt_pk_f32_fp8_e32 v[32:33], v8
	v_cvt_pk_f32_fp8_sdwa v[36:37], v8 src0_sel:WORD_1
	v_perm_b32 v25, v7, v6, s33
	v_mfma_f32_16x16x16_bf16 v[20:23], v[52:53], v[4:5], v[20:23]
	v_mfma_f32_16x16x16_bf16 v[50:53], v[16:17], v[10:11], 0
	v_perm_b32 v10, v33, v32, s33
	v_perm_b32 v11, v37, v36, s33
	v_cvt_pk_f32_fp8_e32 v[16:17], v9
	v_cvt_pk_f32_fp8_sdwa v[32:33], v9 src0_sel:WORD_1
	v_mfma_f32_16x16x16_bf16 v[6:9], v[24:25], v[12:13], v[50:53]
	s_nop 0
	v_pk_mul_f32 v[36:37], v[54:55], v[22:23] op_sel_hi:[0,1]
	v_perm_b32 v12, v17, v16, s33
	v_perm_b32 v13, v33, v32, s33
	v_mfma_f32_16x16x16_bf16 v[6:9], v[10:11], v[2:3], v[6:9]
	v_pk_mul_f32 v[40:41], v[54:55], v[20:21] op_sel_hi:[0,1]
	v_pk_mul_f32 v[24:25], v[54:55], v[48:49] op_sel_hi:[0,1]
	v_pk_mul_f32 v[32:33], v[54:55], v[46:47] op_sel_hi:[0,1]
	v_mfma_f32_16x16x16_bf16 v[2:5], v[12:13], v[4:5], v[6:9]
	s_nop 6
	v_pk_mul_f32 v[22:23], v[54:55], v[2:3] op_sel_hi:[0,1]
	v_and_b32_e32 v2, 0xc0, v0
	v_add_u32_e32 v2, s16, v2
	v_lshl_or_b32 v2, v42, 2, v2
	v_or_b32_e32 v3, 1, v2
	v_pk_mul_f32 v[20:21], v[54:55], v[4:5] op_sel_hi:[0,1]
	v_subrev_u32_e32 v4, s29, v3
	v_add_u32_e32 v6, 1, v4
	v_add_u32_e32 v7, 2, v4
	v_add_u32_e32 v8, 3, v4
	v_cvt_f32_i32_e32 v6, v6
	v_cvt_f32_i32_e32 v7, v7
	;; [unrolled: 1-line block ×3, first 2 shown]
	v_add_u32_e32 v9, 19, v4
	v_fmac_f32_e32 v39, v43, v6
	v_fma_f32 v30, v43, v7, v30
	v_fmac_f32_e32 v31, v43, v8
	v_add_u32_e32 v6, 16, v4
	v_add_u32_e32 v7, 17, v4
	v_add_u32_e32 v8, 18, v4
	v_cvt_f32_i32_e32 v6, v6
	v_cvt_f32_i32_e32 v7, v7
	;; [unrolled: 1-line block ×4, first 2 shown]
	v_fma_f32 v40, v43, v6, v40
	v_fmac_f32_e32 v41, v43, v7
	v_fma_f32 v36, v43, v8, v36
	v_add_u32_e32 v6, 32, v4
	v_add_u32_e32 v7, 33, v4
	;; [unrolled: 1-line block ×3, first 2 shown]
	v_cvt_f32_i32_e32 v6, v6
	v_cvt_f32_i32_e32 v7, v7
	;; [unrolled: 1-line block ×4, first 2 shown]
	v_fmac_f32_e32 v37, v43, v9
	v_add_u32_e32 v9, 35, v4
	v_fma_f32 v32, v43, v6, v32
	v_fmac_f32_e32 v33, v43, v7
	v_fma_f32 v24, v43, v8, v24
	v_add_u32_e32 v6, 48, v4
	v_add_u32_e32 v7, 49, v4
	;; [unrolled: 1-line block ×4, first 2 shown]
	v_cvt_f32_i32_e32 v4, v4
	v_cvt_f32_i32_e32 v6, v6
	;; [unrolled: 1-line block ×3, first 2 shown]
	v_fma_f32 v5, v43, v5, v38
	v_fmac_f32_e32 v21, v43, v4
	v_mov_b32_e32 v4, 0xff7fffff
	v_cmp_gt_i32_e64 s[4:5], s29, v2
	v_cmp_gt_i32_e64 s[34:35], s29, v3
	v_fma_f32 v22, v43, v6, v22
	v_cndmask_b32_e64 v6, v4, v5, s[4:5]
	v_cndmask_b32_e64 v3, v4, v39, s[34:35]
	v_fmac_f32_e32 v23, v43, v7
	v_max3_f32 v3, v6, s44, v3
	v_or_b32_e32 v6, 2, v2
	v_or_b32_e32 v7, 3, v2
	v_cmp_gt_i32_e64 s[36:37], s29, v6
	v_cmp_gt_i32_e64 s[38:39], s29, v7
	v_cvt_f32_i32_e32 v9, v9
	v_cndmask_b32_e64 v6, v4, v30, s[36:37]
	v_cndmask_b32_e64 v7, v4, v31, s[38:39]
	v_max3_f32 v3, v3, v6, v7
	v_or_b32_e32 v6, 16, v2
	v_or_b32_e32 v7, 17, v2
	v_cmp_gt_i32_e64 s[24:25], s29, v6
	v_cmp_gt_i32_e64 s[26:27], s29, v7
	v_fmac_f32_e32 v25, v43, v9
	v_cndmask_b32_e64 v6, v4, v40, s[24:25]
	v_cndmask_b32_e64 v7, v4, v41, s[26:27]
	v_max3_f32 v3, v3, v6, v7
	v_or_b32_e32 v6, 18, v2
	v_or_b32_e32 v7, 19, v2
	v_cmp_gt_i32_e64 s[20:21], s29, v6
	v_cmp_gt_i32_e64 s[22:23], s29, v7
	v_cvt_f32_i32_e32 v8, v8
	v_cndmask_b32_e64 v6, v4, v36, s[20:21]
	v_cndmask_b32_e64 v7, v4, v37, s[22:23]
	v_max3_f32 v3, v3, v6, v7
	v_or_b32_e32 v6, 32, v2
	v_or_b32_e32 v7, 33, v2
	v_cmp_gt_i32_e64 s[16:17], s29, v6
	v_cmp_gt_i32_e64 s[18:19], s29, v7
	v_fma_f32 v20, v43, v8, v20
	v_cndmask_b32_e64 v6, v4, v32, s[16:17]
	v_cndmask_b32_e64 v7, v4, v33, s[18:19]
	v_max3_f32 v3, v3, v6, v7
	v_or_b32_e32 v6, 34, v2
	v_or_b32_e32 v7, 35, v2
	v_cmp_gt_i32_e64 s[12:13], s29, v6
	v_cmp_gt_i32_e64 s[14:15], s29, v7
	s_nop 0
	v_cndmask_b32_e64 v6, v4, v24, s[12:13]
	v_cndmask_b32_e64 v7, v4, v25, s[14:15]
	v_max3_f32 v3, v3, v6, v7
	v_or_b32_e32 v6, 48, v2
	v_or_b32_e32 v7, 49, v2
	v_cmp_gt_i32_e64 s[8:9], s29, v6
	v_cmp_gt_i32_e64 s[10:11], s29, v7
	s_nop 0
	v_cndmask_b32_e64 v6, v4, v22, s[8:9]
	v_cndmask_b32_e64 v7, v4, v23, s[10:11]
	v_max3_f32 v3, v3, v6, v7
	v_or_b32_e32 v6, 50, v2
	v_or_b32_e32 v2, 51, v2
	v_cmp_gt_i32_e32 vcc, s29, v6
	v_cmp_gt_i32_e64 s[6:7], s29, v2
	s_nop 0
	v_cndmask_b32_e32 v6, v4, v20, vcc
	v_cndmask_b32_e64 v2, v4, v21, s[6:7]
	v_max3_f32 v4, v3, v6, v2
	v_mbcnt_lo_u32_b32 v2, -1, 0
	v_mbcnt_hi_u32_b32 v6, -1, v2
	v_and_b32_e32 v2, 64, v6
	v_add_u32_e32 v7, 64, v2
	v_xor_b32_e32 v2, 32, v6
	v_cmp_lt_i32_e64 s[40:41], v2, v7
	s_nop 1
	v_cndmask_b32_e64 v2, v6, v2, s[40:41]
	v_lshlrev_b32_e32 v43, 2, v2
	ds_bpermute_b32 v8, v43, v4
	s_waitcnt vmcnt(2)
	v_mad_i64_i32 v[2:3], s[40:41], v14, s45, v[18:19]
	global_load_dwordx4 v[14:17], v[34:35], off
	global_load_dwordx4 v[10:13], v[2:3], off
	v_xor_b32_e32 v3, 16, v6
	v_cmp_lt_i32_e64 s[40:41], v3, v7
	s_waitcnt lgkmcnt(0)
	v_max_f32_e32 v2, v8, v8
	v_max_f32_e32 v2, v4, v2
	v_cndmask_b32_e64 v3, v6, v3, s[40:41]
	v_lshlrev_b32_e32 v46, 2, v3
	ds_bpermute_b32 v3, v46, v2
	s_waitcnt vmcnt(3)
	v_mad_i64_i32 v[34:35], s[40:41], v44, s45, v[18:19]
	s_waitcnt vmcnt(2)
	v_mad_i64_i32 v[18:19], s[40:41], v45, s45, v[18:19]
	s_waitcnt lgkmcnt(0)
	v_max_f32_e32 v3, v3, v3
	v_max_f32_e32 v38, v2, v3
	v_sub_f32_e32 v2, v5, v38
	v_mul_f32_e32 v2, 0x3fb8aa3b, v2
	v_exp_f32_e32 v44, v2
	v_sub_f32_e32 v2, v39, v38
	v_mul_f32_e32 v2, 0x3fb8aa3b, v2
	v_exp_f32_e32 v39, v2
	global_load_dwordx4 v[6:9], v[34:35], off
	global_load_dwordx4 v[2:5], v[18:19], off
	v_sub_f32_e32 v30, v30, v38
	v_mul_f32_e32 v30, 0x3fb8aa3b, v30
	v_sub_f32_e32 v31, v31, v38
	v_exp_f32_e32 v30, v30
	v_mul_f32_e32 v31, 0x3fb8aa3b, v31
	v_exp_f32_e32 v31, v31
	v_cndmask_b32_e64 v18, 0, v44, s[4:5]
	v_add_f32_e32 v34, 0, v18
	v_cndmask_b32_e64 v19, 0, v39, s[34:35]
	v_add_f32_e32 v35, v34, v19
	;; [unrolled: 2-line block ×3, first 2 shown]
	v_cndmask_b32_e64 v35, 0, v31, s[38:39]
	v_sub_f32_e32 v31, v40, v38
	v_mul_f32_e32 v31, 0x3fb8aa3b, v31
	v_sub_f32_e32 v39, v41, v38
	v_exp_f32_e32 v31, v31
	v_mul_f32_e32 v39, 0x3fb8aa3b, v39
	v_sub_f32_e32 v36, v36, v38
	v_exp_f32_e32 v39, v39
	v_mul_f32_e32 v36, 0x3fb8aa3b, v36
	v_sub_f32_e32 v37, v37, v38
	v_exp_f32_e32 v36, v36
	v_mul_f32_e32 v37, 0x3fb8aa3b, v37
	v_sub_f32_e32 v32, v32, v38
	v_exp_f32_e32 v37, v37
	v_mul_f32_e32 v32, 0x3fb8aa3b, v32
	v_sub_f32_e32 v33, v33, v38
	v_add_f32_e32 v40, v30, v35
	v_cndmask_b32_e64 v30, 0, v31, s[24:25]
	v_exp_f32_e32 v32, v32
	v_mul_f32_e32 v33, 0x3fb8aa3b, v33
	v_sub_f32_e32 v24, v24, v38
	v_add_f32_e32 v40, v40, v30
	v_cndmask_b32_e64 v31, 0, v39, s[26:27]
	v_exp_f32_e32 v33, v33
	;; [unrolled: 5-line block ×7, first 2 shown]
	v_mul_f32_e32 v21, 0x3fb8aa3b, v21
	v_add_f32_e32 v39, v39, v24
	v_cndmask_b32_e64 v25, 0, v25, s[14:15]
	v_exp_f32_e32 v21, v21
	v_add_f32_e32 v39, v39, v25
	v_cndmask_b32_e64 v22, 0, v22, s[8:9]
	v_add_f32_e32 v39, v39, v22
	v_cndmask_b32_e64 v23, 0, v23, s[10:11]
	v_add_f32_e32 v39, v39, v23
	v_cndmask_b32_e32 v20, 0, v20, vcc
	v_add_f32_e32 v39, v39, v20
	v_cndmask_b32_e64 v21, 0, v21, s[6:7]
	v_add_f32_e32 v39, v39, v21
	ds_bpermute_b32 v40, v43, v39
	s_load_dword s9, s[0:1], 0x98
	v_cmp_gt_u32_e64 s[6:7], 16, v27
	s_waitcnt lgkmcnt(0)
	s_barrier
	v_add_f32_e32 v40, v39, v40
	ds_bpermute_b32 v41, v46, v40
	v_lshlrev_b32_e32 v39, 2, v28
	s_waitcnt lgkmcnt(0)
	s_and_saveexec_b64 s[4:5], s[6:7]
	s_cbranch_execz .LBB1100_15
; %bb.14:
	v_add_f32_e32 v27, v40, v41
	v_lshl_or_b32 v40, v29, 6, v39
	ds_write2st64_b32 v40, v38, v27 offset1:1
.LBB1100_15:
	s_or_b64 exec, exec, s[4:5]
	s_load_dword s8, s[0:1], 0x94
	s_waitcnt lgkmcnt(0)
	s_barrier
	ds_read2_b32 v[40:41], v39 offset1:16
	ds_read2_b32 v[44:45], v39 offset0:32 offset1:48
	ds_read2_b32 v[46:47], v39 offset0:64 offset1:80
	s_movk_i32 s10, 0x7fff
	s_mul_i32 s9, s9, 13
	s_waitcnt lgkmcnt(2)
	v_max3_f32 v27, v40, s44, v41
	s_waitcnt lgkmcnt(1)
	v_max3_f32 v27, v27, v44, v45
	v_sub_f32_e32 v38, v40, v27
	v_mul_f32_e32 v38, 0x3fb8aa3b, v38
	v_exp_f32_e32 v43, v38
	v_sub_f32_e32 v38, v41, v27
	v_mul_f32_e32 v38, 0x3fb8aa3b, v38
	v_exp_f32_e32 v48, v38
	;; [unrolled: 3-line block ×3, first 2 shown]
	ds_read2_b32 v[40:41], v39 offset0:96 offset1:112
	v_sub_f32_e32 v38, v45, v27
	v_mul_f32_e32 v38, 0x3fb8aa3b, v38
	v_exp_f32_e32 v39, v38
	s_waitcnt lgkmcnt(1)
	v_fma_f32 v38, v43, v46, 0
	v_fmac_f32_e32 v38, v48, v47
	s_waitcnt lgkmcnt(0)
	v_fmac_f32_e32 v38, v44, v40
	v_fmac_f32_e32 v38, v39, v41
	v_add_f32_e32 v40, 0x358637bd, v38
	v_div_scale_f32 v41, s[4:5], v40, v40, 1.0
	v_rcp_f32_e32 v45, v41
	s_barrier
	v_fma_f32 v46, -v41, v45, 1.0
	v_fmac_f32_e32 v45, v46, v45
	v_div_scale_f32 v46, vcc, 1.0, v40, 1.0
	v_mul_f32_e32 v47, v46, v45
	v_fma_f32 v49, -v41, v47, v46
	v_fmac_f32_e32 v47, v49, v45
	v_fma_f32 v41, -v41, v47, v46
	v_div_fmas_f32 v41, v41, v45, v47
	v_cmp_eq_u32_e32 vcc, 1, v29
	v_div_fixup_f32 v40, v41, v40, 1.0
	s_nop 0
	v_cndmask_b32_e32 v41, v43, v48, vcc
	v_cmp_eq_u32_e32 vcc, 2, v29
	s_nop 1
	v_cndmask_b32_e32 v41, v41, v44, vcc
	v_cmp_eq_u32_e32 vcc, 3, v29
	v_lshlrev_b32_e32 v29, 11, v29
	s_nop 0
	v_cndmask_b32_e32 v39, v41, v39, vcc
	v_mul_f32_e32 v40, v39, v40
	v_pk_mul_f32 v[18:19], v[40:41], v[18:19] op_sel_hi:[0,1]
	v_pk_mul_f32 v[34:35], v[40:41], v[34:35] op_sel_hi:[0,1]
	v_bfe_u32 v39, v19, 16, 1
	v_bfe_u32 v41, v18, 16, 1
	v_add3_u32 v18, v18, v41, s10
	v_add3_u32 v19, v19, v39, s10
	v_perm_b32 v44, v19, v18, s33
	v_bfe_u32 v18, v35, 16, 1
	v_bfe_u32 v19, v34, 16, 1
	v_add3_u32 v19, v34, v19, s10
	v_add3_u32 v18, v35, v18, s10
	v_perm_b32 v45, v18, v19, s33
	v_lshlrev_b32_e32 v18, 3, v42
	v_lshlrev_b32_e32 v19, 5, v28
	v_pk_mul_f32 v[30:31], v[40:41], v[30:31] op_sel_hi:[0,1]
	v_or3_b32 v18, v29, v19, v18
	v_pk_mul_f32 v[34:35], v[40:41], v[36:37] op_sel_hi:[0,1]
	v_bfe_u32 v29, v31, 16, 1
	v_bfe_u32 v36, v30, 16, 1
	v_add3_u32 v30, v30, v36, s10
	v_add3_u32 v29, v31, v29, s10
	v_perm_b32 v30, v29, v30, s33
	v_bfe_u32 v29, v35, 16, 1
	v_bfe_u32 v31, v34, 16, 1
	v_add3_u32 v31, v34, v31, s10
	v_add3_u32 v29, v35, v29, s10
	v_perm_b32 v31, v29, v31, s33
	ds_write2st64_b64 v18, v[44:45], v[30:31] offset1:1
	v_pk_mul_f32 v[30:31], v[40:41], v[32:33] op_sel_hi:[0,1]
	v_bfe_u32 v29, v31, 16, 1
	v_bfe_u32 v32, v30, 16, 1
	v_pk_mul_f32 v[24:25], v[40:41], v[24:25] op_sel_hi:[0,1]
	v_add3_u32 v30, v30, v32, s10
	v_add3_u32 v29, v31, v29, s10
	v_perm_b32 v30, v29, v30, s33
	v_bfe_u32 v29, v25, 16, 1
	v_bfe_u32 v31, v24, 16, 1
	v_add3_u32 v24, v24, v31, s10
	v_add3_u32 v25, v25, v29, s10
	v_pk_mul_f32 v[22:23], v[40:41], v[22:23] op_sel_hi:[0,1]
	v_perm_b32 v31, v25, v24, s33
	v_bfe_u32 v24, v23, 16, 1
	v_bfe_u32 v25, v22, 16, 1
	v_pk_mul_f32 v[20:21], v[40:41], v[20:21] op_sel_hi:[0,1]
	v_add3_u32 v22, v22, v25, s10
	v_add3_u32 v23, v23, v24, s10
	v_perm_b32 v22, v23, v22, s33
	v_bfe_u32 v23, v21, 16, 1
	v_bfe_u32 v24, v20, 16, 1
	v_add3_u32 v20, v20, v24, s10
	v_add3_u32 v21, v21, v23, s10
	v_perm_b32 v23, v21, v20, s33
	v_cmp_gt_u32_e32 vcc, 13, v0
	ds_write2st64_b64 v18, v[30:31], v[22:23] offset0:2 offset1:3
	s_and_saveexec_b64 s[4:5], vcc
	s_cbranch_execz .LBB1100_17
; %bb.16:
	s_mov_b32 s49, 0
	v_mov_b32_e32 v29, 0
	v_lshl_add_u64 v[20:21], s[48:49], 0, v[28:29]
	v_mov_b32_e32 v22, s9
	v_mad_u64_u32 v[20:21], s[16:17], s2, v22, v[20:21]
	s_mul_i32 s3, s3, s9
	v_mov_b32_e32 v28, s28
	s_load_dwordx4 s[12:15], s[0:1], 0x58
	v_add_u32_e32 v23, s3, v21
	v_mad_u64_u32 v[20:21], s[16:17], v20, s8, v[28:29]
	v_mov_b32_e32 v22, v21
	v_mad_u64_u32 v[22:23], s[16:17], v23, s8, v[22:23]
	v_mov_b32_e32 v21, v22
	v_lshlrev_b64 v[20:21], 2, v[20:21]
	s_waitcnt lgkmcnt(0)
	v_lshl_add_u64 v[22:23], s[14:15], 0, v[20:21]
	v_lshl_add_u64 v[20:21], s[12:13], 0, v[20:21]
	global_store_dword v[22:23], v27, off
	global_store_dword v[20:21], v38, off
.LBB1100_17:
	s_or_b64 exec, exec, s[4:5]
	s_waitcnt vmcnt(3)
	v_cvt_pk_f32_fp8_e32 v[20:21], v14
	v_cvt_pk_f32_fp8_sdwa v[22:23], v14 src0_sel:WORD_1
	s_mov_b32 s4, 0x7060302
	v_lshl_or_b32 v14, v42, 9, v19
	s_waitcnt lgkmcnt(0)
	s_barrier
	v_perm_b32 v24, v21, v20, s4
	v_perm_b32 v25, v23, v22, s4
	v_cvt_pk_f32_fp8_e32 v[28:29], v15
	ds_read_b128 v[20:23], v14
	v_cvt_pk_f32_fp8_sdwa v[36:37], v15 src0_sel:WORD_1
	s_load_dword s12, s[42:43], 0x0
	v_perm_b32 v38, v29, v28, s4
	ds_read_b128 v[28:31], v14 offset:16
	v_perm_b32 v39, v37, v36, s4
	s_waitcnt lgkmcnt(0)
	v_mfma_f32_16x16x16_bf16 v[32:35], v[24:25], v[20:21], 0
	v_cvt_pk_f32_fp8_e32 v[24:25], v16
	v_cvt_pk_f32_fp8_sdwa v[36:37], v16 src0_sel:WORD_1
	v_cmp_gt_u32_e32 vcc, 64, v0
	v_mfma_f32_16x16x16_bf16 v[20:23], v[38:39], v[22:23], v[32:35]
	v_perm_b32 v24, v25, v24, s4
	v_perm_b32 v25, v37, v36, s4
	s_mov_b32 s3, 0
	v_cvt_pk_f32_fp8_e32 v[32:33], v17
	v_cvt_pk_f32_fp8_sdwa v[16:17], v17 src0_sel:WORD_1
	s_waitcnt vmcnt(2)
	v_cvt_pk_f32_fp8_sdwa v[34:35], v10 src0_sel:WORD_1
	v_mfma_f32_16x16x16_bf16 v[20:23], v[24:25], v[28:29], v[20:23]
	v_perm_b32 v36, v33, v32, s4
	v_cvt_pk_f32_fp8_e32 v[32:33], v10
	v_perm_b32 v37, v17, v16, s4
	v_perm_b32 v17, v35, v34, s4
	v_cvt_pk_f32_fp8_e32 v[24:25], v11
	v_perm_b32 v16, v33, v32, s4
	ds_read_b128 v[32:35], v14 offset:2048
	v_cvt_pk_f32_fp8_sdwa v[10:11], v11 src0_sel:WORD_1
	v_mfma_f32_16x16x16_bf16 v[20:23], v[36:37], v[30:31], v[20:23]
	ds_read_b128 v[28:31], v14 offset:2064
	v_perm_b32 v24, v25, v24, s4
	v_perm_b32 v25, v11, v10, s4
	s_waitcnt lgkmcnt(1)
	v_mfma_f32_16x16x16_bf16 v[20:23], v[16:17], v[32:33], v[20:23]
	v_cvt_pk_f32_fp8_e32 v[10:11], v12
	v_cvt_pk_f32_fp8_sdwa v[16:17], v12 src0_sel:WORD_1
	s_waitcnt vmcnt(1)
	v_cvt_pk_f32_fp8_sdwa v[32:33], v6 src0_sel:WORD_1
	v_mfma_f32_16x16x16_bf16 v[20:23], v[24:25], v[34:35], v[20:23]
	v_cvt_pk_f32_fp8_e32 v[24:25], v13
	v_perm_b32 v10, v11, v10, s4
	v_perm_b32 v11, v17, v16, s4
	v_cvt_pk_f32_fp8_sdwa v[12:13], v13 src0_sel:WORD_1
	v_perm_b32 v16, v25, v24, s4
	v_cvt_pk_f32_fp8_e32 v[24:25], v6
	v_mov_b32_e32 v27, 0
	v_perm_b32 v17, v13, v12, s4
	s_waitcnt lgkmcnt(0)
	v_mfma_f32_16x16x16_bf16 v[10:13], v[10:11], v[28:29], v[20:23]
	v_perm_b32 v24, v25, v24, s4
	v_perm_b32 v25, v33, v32, s4
	v_cvt_pk_f32_fp8_e32 v[28:29], v7
	ds_read_b128 v[20:23], v14 offset:4096
	v_cvt_pk_f32_fp8_sdwa v[6:7], v7 src0_sel:WORD_1
	v_mfma_f32_16x16x16_bf16 v[10:13], v[16:17], v[30:31], v[10:13]
	v_perm_b32 v16, v29, v28, s4
	ds_read_b128 v[28:31], v14 offset:4112
	v_perm_b32 v17, v7, v6, s4
	s_waitcnt lgkmcnt(1)
	v_mfma_f32_16x16x16_bf16 v[10:13], v[24:25], v[20:21], v[10:13]
	v_cvt_pk_f32_fp8_e32 v[6:7], v8
	v_cvt_pk_f32_fp8_sdwa v[20:21], v8 src0_sel:WORD_1
	v_perm_b32 v6, v7, v6, s4
	v_mfma_f32_16x16x16_bf16 v[10:13], v[16:17], v[22:23], v[10:13]
	v_cvt_pk_f32_fp8_e32 v[16:17], v9
	v_perm_b32 v7, v21, v20, s4
	v_cvt_pk_f32_fp8_sdwa v[8:9], v9 src0_sel:WORD_1
	s_waitcnt vmcnt(0)
	v_cvt_pk_f32_fp8_e32 v[20:21], v2
	v_perm_b32 v16, v17, v16, s4
	v_cvt_pk_f32_fp8_sdwa v[22:23], v2 src0_sel:WORD_1
	v_perm_b32 v17, v9, v8, s4
	s_waitcnt lgkmcnt(0)
	v_mfma_f32_16x16x16_bf16 v[6:9], v[6:7], v[28:29], v[10:13]
	v_perm_b32 v20, v21, v20, s4
	v_perm_b32 v21, v23, v22, s4
	v_cvt_pk_f32_fp8_e32 v[22:23], v3
	ds_read_b128 v[10:13], v14 offset:6144
	v_cvt_pk_f32_fp8_sdwa v[2:3], v3 src0_sel:WORD_1
	v_mfma_f32_16x16x16_bf16 v[6:9], v[16:17], v[30:31], v[6:9]
	v_perm_b32 v22, v23, v22, s4
	ds_read_b128 v[14:17], v14 offset:6160
	v_perm_b32 v23, v3, v2, s4
	s_waitcnt lgkmcnt(1)
	v_mfma_f32_16x16x16_bf16 v[6:9], v[20:21], v[10:11], v[6:9]
	v_cvt_pk_f32_fp8_e32 v[2:3], v4
	v_cvt_pk_f32_fp8_sdwa v[10:11], v4 src0_sel:WORD_1
	s_waitcnt lgkmcnt(0)
	v_mfma_f32_16x16x16_bf16 v[6:9], v[22:23], v[12:13], v[6:9]
	v_perm_b32 v2, v3, v2, s4
	v_perm_b32 v3, v11, v10, s4
	v_cvt_pk_f32_fp8_e32 v[10:11], v5
	v_cvt_pk_f32_fp8_sdwa v[4:5], v5 src0_sel:WORD_1
	s_barrier
	v_perm_b32 v10, v11, v10, s4
	v_perm_b32 v11, v5, v4, s4
	v_mfma_f32_16x16x16_bf16 v[2:5], v[2:3], v[14:15], v[6:9]
	s_nop 0
	v_mfma_f32_16x16x16_bf16 v[2:5], v[10:11], v[16:17], v[2:5]
	s_nop 6
	v_pk_mul_f32 v[2:3], v[2:3], s[12:13] op_sel_hi:[1,0]
	v_pk_mul_f32 v[4:5], v[4:5], s[12:13] op_sel_hi:[1,0]
	v_bfe_u32 v6, v3, 16, 1
	v_bfe_u32 v7, v2, 16, 1
	v_add3_u32 v2, v2, v7, s10
	v_add3_u32 v3, v3, v6, s10
	v_perm_b32 v2, v3, v2, s4
	v_bfe_u32 v3, v5, 16, 1
	v_bfe_u32 v6, v4, 16, 1
	v_add3_u32 v4, v4, v6, s10
	v_add3_u32 v3, v5, v3, s10
	v_perm_b32 v3, v3, v4, s4
	s_and_b64 s[4:5], vcc, s[30:31]
	ds_write_b64 v18, v[2:3]
	s_waitcnt lgkmcnt(0)
	s_barrier
	s_and_saveexec_b64 s[10:11], s[4:5]
	s_cbranch_execz .LBB1100_20
; %bb.18:
	s_load_dwordx2 s[4:5], s[0:1], 0x68
	s_lshl_b32 s0, s8, 6
	s_mul_i32 s1, s9, s2
	s_mul_hi_u32 s9, s1, s0
	s_mul_i32 s8, s1, s0
	v_lshlrev_b32_e32 v0, 10, v0
	s_lshl_b64 s[8:9], s[8:9], 1
	v_and_b32_e32 v0, 0x1800, v0
	v_lshlrev_b32_e32 v2, 5, v42
	v_and_b32_e32 v1, 16, v1
	s_waitcnt lgkmcnt(0)
	s_add_u32 s1, s4, s8
	v_or3_b32 v2, v0, v2, v1
	s_addc_u32 s4, s5, s9
	s_lshl_b32 s2, s28, 6
	ds_read_b128 v[4:7], v2 offset:256
	s_lshl_b64 s[2:3], s[2:3], 1
	ds_read_b128 v[8:11], v2 offset:128
	ds_read_b128 v[12:15], v2
	s_add_u32 s2, s1, s2
	s_addc_u32 s3, s4, s3
	v_add_u32_e32 v3, s48, v42
	v_lshl_add_u64 v[0:1], s[2:3], 0, v[26:27]
	v_mad_u64_u32 v[16:17], s[2:3], v3, s0, 0
	v_lshl_add_u64 v[16:17], v[16:17], 1, v[0:1]
	s_waitcnt lgkmcnt(0)
	global_store_dwordx4 v[16:17], v[12:15], off
	s_nop 1
	v_add_u32_e32 v12, 4, v3
	v_mad_u64_u32 v[12:13], s[2:3], v12, s0, 0
	v_lshl_add_u64 v[12:13], v[12:13], 1, v[0:1]
	v_add_u32_e32 v3, 8, v3
	global_store_dwordx4 v[12:13], v[8:11], off
	s_nop 1
	v_mad_u64_u32 v[8:9], s[2:3], v3, s0, 0
	v_lshl_add_u64 v[8:9], v[8:9], 1, v[0:1]
	global_store_dwordx4 v[8:9], v[4:7], off
	s_and_b64 exec, exec, s[6:7]
	s_cbranch_execz .LBB1100_20
; %bb.19:
	ds_read_b128 v[2:5], v2 offset:384
	v_add3_u32 v6, s48, v42, 12
	v_mad_u64_u32 v[6:7], s[0:1], v6, s0, 0
	v_lshl_add_u64 v[0:1], v[6:7], 1, v[0:1]
	s_waitcnt lgkmcnt(0)
	global_store_dwordx4 v[0:1], v[2:5], off
.LBB1100_20:
	s_endpgm
	.section	.rodata,"a",@progbits
	.p2align	6, 0x0
	.amdhsa_kernel _Z39paged_attention_ll4mi_QKV_mfma16_kernelI14__hip_bfloat16hLN4vllm18Fp8KVCacheDataTypeE1EhLi16ELi64ELi256ELb1ELi13EEvPKT_PKT0_S8_ifPKiSA_SA_iPKfiiiPfSD_PS3_PT2_iSC_SC_
		.amdhsa_group_segment_fixed_size 8192
		.amdhsa_private_segment_fixed_size 0
		.amdhsa_kernarg_size 400
		.amdhsa_user_sgpr_count 2
		.amdhsa_user_sgpr_dispatch_ptr 0
		.amdhsa_user_sgpr_queue_ptr 0
		.amdhsa_user_sgpr_kernarg_segment_ptr 1
		.amdhsa_user_sgpr_dispatch_id 0
		.amdhsa_user_sgpr_kernarg_preload_length 0
		.amdhsa_user_sgpr_kernarg_preload_offset 0
		.amdhsa_user_sgpr_private_segment_size 0
		.amdhsa_uses_dynamic_stack 0
		.amdhsa_enable_private_segment 0
		.amdhsa_system_sgpr_workgroup_id_x 1
		.amdhsa_system_sgpr_workgroup_id_y 1
		.amdhsa_system_sgpr_workgroup_id_z 1
		.amdhsa_system_sgpr_workgroup_info 0
		.amdhsa_system_vgpr_workitem_id 0
		.amdhsa_next_free_vgpr 67
		.amdhsa_next_free_sgpr 50
		.amdhsa_accum_offset 68
		.amdhsa_reserve_vcc 1
		.amdhsa_float_round_mode_32 0
		.amdhsa_float_round_mode_16_64 0
		.amdhsa_float_denorm_mode_32 3
		.amdhsa_float_denorm_mode_16_64 3
		.amdhsa_dx10_clamp 1
		.amdhsa_ieee_mode 1
		.amdhsa_fp16_overflow 0
		.amdhsa_tg_split 0
		.amdhsa_exception_fp_ieee_invalid_op 0
		.amdhsa_exception_fp_denorm_src 0
		.amdhsa_exception_fp_ieee_div_zero 0
		.amdhsa_exception_fp_ieee_overflow 0
		.amdhsa_exception_fp_ieee_underflow 0
		.amdhsa_exception_fp_ieee_inexact 0
		.amdhsa_exception_int_div_zero 0
	.end_amdhsa_kernel
	.section	.text._Z39paged_attention_ll4mi_QKV_mfma16_kernelI14__hip_bfloat16hLN4vllm18Fp8KVCacheDataTypeE1EhLi16ELi64ELi256ELb1ELi13EEvPKT_PKT0_S8_ifPKiSA_SA_iPKfiiiPfSD_PS3_PT2_iSC_SC_,"axG",@progbits,_Z39paged_attention_ll4mi_QKV_mfma16_kernelI14__hip_bfloat16hLN4vllm18Fp8KVCacheDataTypeE1EhLi16ELi64ELi256ELb1ELi13EEvPKT_PKT0_S8_ifPKiSA_SA_iPKfiiiPfSD_PS3_PT2_iSC_SC_,comdat
.Lfunc_end1100:
	.size	_Z39paged_attention_ll4mi_QKV_mfma16_kernelI14__hip_bfloat16hLN4vllm18Fp8KVCacheDataTypeE1EhLi16ELi64ELi256ELb1ELi13EEvPKT_PKT0_S8_ifPKiSA_SA_iPKfiiiPfSD_PS3_PT2_iSC_SC_, .Lfunc_end1100-_Z39paged_attention_ll4mi_QKV_mfma16_kernelI14__hip_bfloat16hLN4vllm18Fp8KVCacheDataTypeE1EhLi16ELi64ELi256ELb1ELi13EEvPKT_PKT0_S8_ifPKiSA_SA_iPKfiiiPfSD_PS3_PT2_iSC_SC_
                                        ; -- End function
	.section	.AMDGPU.csdata,"",@progbits
; Kernel info:
; codeLenInByte = 5172
; NumSgprs: 56
; NumVgprs: 67
; NumAgprs: 0
; TotalNumVgprs: 67
; ScratchSize: 0
; MemoryBound: 0
; FloatMode: 240
; IeeeMode: 1
; LDSByteSize: 8192 bytes/workgroup (compile time only)
; SGPRBlocks: 6
; VGPRBlocks: 8
; NumSGPRsForWavesPerEU: 56
; NumVGPRsForWavesPerEU: 67
; AccumOffset: 68
; Occupancy: 7
; WaveLimiterHint : 1
; COMPUTE_PGM_RSRC2:SCRATCH_EN: 0
; COMPUTE_PGM_RSRC2:USER_SGPR: 2
; COMPUTE_PGM_RSRC2:TRAP_HANDLER: 0
; COMPUTE_PGM_RSRC2:TGID_X_EN: 1
; COMPUTE_PGM_RSRC2:TGID_Y_EN: 1
; COMPUTE_PGM_RSRC2:TGID_Z_EN: 1
; COMPUTE_PGM_RSRC2:TIDIG_COMP_CNT: 0
; COMPUTE_PGM_RSRC3_GFX90A:ACCUM_OFFSET: 16
; COMPUTE_PGM_RSRC3_GFX90A:TG_SPLIT: 0
	.section	.text._Z39paged_attention_ll4mi_QKV_mfma16_kernelI14__hip_bfloat16hLN4vllm18Fp8KVCacheDataTypeE1EhLi16ELi64ELi256ELb1ELi14EEvPKT_PKT0_S8_ifPKiSA_SA_iPKfiiiPfSD_PS3_PT2_iSC_SC_,"axG",@progbits,_Z39paged_attention_ll4mi_QKV_mfma16_kernelI14__hip_bfloat16hLN4vllm18Fp8KVCacheDataTypeE1EhLi16ELi64ELi256ELb1ELi14EEvPKT_PKT0_S8_ifPKiSA_SA_iPKfiiiPfSD_PS3_PT2_iSC_SC_,comdat
	.protected	_Z39paged_attention_ll4mi_QKV_mfma16_kernelI14__hip_bfloat16hLN4vllm18Fp8KVCacheDataTypeE1EhLi16ELi64ELi256ELb1ELi14EEvPKT_PKT0_S8_ifPKiSA_SA_iPKfiiiPfSD_PS3_PT2_iSC_SC_ ; -- Begin function _Z39paged_attention_ll4mi_QKV_mfma16_kernelI14__hip_bfloat16hLN4vllm18Fp8KVCacheDataTypeE1EhLi16ELi64ELi256ELb1ELi14EEvPKT_PKT0_S8_ifPKiSA_SA_iPKfiiiPfSD_PS3_PT2_iSC_SC_
	.globl	_Z39paged_attention_ll4mi_QKV_mfma16_kernelI14__hip_bfloat16hLN4vllm18Fp8KVCacheDataTypeE1EhLi16ELi64ELi256ELb1ELi14EEvPKT_PKT0_S8_ifPKiSA_SA_iPKfiiiPfSD_PS3_PT2_iSC_SC_
	.p2align	8
	.type	_Z39paged_attention_ll4mi_QKV_mfma16_kernelI14__hip_bfloat16hLN4vllm18Fp8KVCacheDataTypeE1EhLi16ELi64ELi256ELb1ELi14EEvPKT_PKT0_S8_ifPKiSA_SA_iPKfiiiPfSD_PS3_PT2_iSC_SC_,@function
_Z39paged_attention_ll4mi_QKV_mfma16_kernelI14__hip_bfloat16hLN4vllm18Fp8KVCacheDataTypeE1EhLi16ELi64ELi256ELb1ELi14EEvPKT_PKT0_S8_ifPKiSA_SA_iPKfiiiPfSD_PS3_PT2_iSC_SC_: ; @_Z39paged_attention_ll4mi_QKV_mfma16_kernelI14__hip_bfloat16hLN4vllm18Fp8KVCacheDataTypeE1EhLi16ELi64ELi256ELb1ELi14EEvPKT_PKT0_S8_ifPKiSA_SA_iPKfiiiPfSD_PS3_PT2_iSC_SC_
; %bb.0:
	s_load_dwordx2 s[6:7], s[0:1], 0x30
	s_mov_b32 s28, s3
	s_mov_b64 s[8:9], 0
	s_waitcnt lgkmcnt(0)
	s_cmp_lg_u64 s[6:7], 0
	s_cselect_b64 s[10:11], -1, 0
	s_and_b64 vcc, exec, s[10:11]
	s_cbranch_vccz .LBB1101_7
; %bb.1:
	s_add_i32 s12, s2, 1
	s_mov_b32 s13, 0
	s_lshl_b64 s[14:15], s[12:13], 2
	s_add_u32 s14, s6, s14
	s_mov_b32 s3, s13
	s_addc_u32 s15, s7, s15
	s_lshl_b64 s[12:13], s[2:3], 2
	s_add_u32 s12, s6, s12
	s_addc_u32 s13, s7, s13
	s_load_dword s5, s[14:15], 0x0
	s_load_dword s16, s[12:13], 0x0
	s_waitcnt lgkmcnt(0)
	s_sub_i32 s5, s5, s16
	s_cmp_eq_u32 s5, 1
	s_cselect_b64 s[12:13], -1, 0
	s_andn2_b64 vcc, exec, s[8:9]
	s_cbranch_vccnz .LBB1101_3
.LBB1101_2:
	s_mov_b32 s3, 0
	s_mov_b64 s[12:13], -1
.LBB1101_3:
	s_andn2_b64 vcc, exec, s[12:13]
	s_cbranch_vccnz .LBB1101_20
; %bb.4:
	s_load_dwordx2 s[8:9], s[0:1], 0x28
	s_lshl_b64 s[12:13], s[2:3], 2
	s_waitcnt lgkmcnt(0)
	s_add_u32 s8, s8, s12
	s_addc_u32 s9, s9, s13
	s_load_dword s29, s[8:9], 0x0
	s_lshl_b32 s16, s28, 8
	s_waitcnt lgkmcnt(0)
	s_cmp_ge_i32 s16, s29
	s_cbranch_scc1 .LBB1101_20
; %bb.5:
	s_load_dwordx2 s[8:9], s[0:1], 0x20
	s_load_dword s5, s[0:1], 0x38
	s_add_i32 s14, s29, 15
	s_ashr_i32 s15, s14, 31
	v_and_b32_e32 v1, 0xcf, v0
	s_lshr_b32 s15, s15, 28
	v_add_u32_e32 v1, s16, v1
	s_add_i32 s14, s14, s15
	v_ashrrev_i32_e32 v2, 31, v1
	s_ashr_i32 s17, s14, 4
	v_lshrrev_b32_e32 v4, 28, v2
	s_add_i32 s17, s17, -1
	s_waitcnt lgkmcnt(0)
	s_mul_i32 s14, s2, s5
	s_mov_b32 s15, 0
	v_add_u32_e32 v2, v1, v4
	s_lshl_b64 s[14:15], s[14:15], 2
	v_ashrrev_i32_e32 v2, 4, v2
	v_mov_b32_e32 v5, s17
	v_cmp_gt_i32_e32 vcc, s29, v1
	s_add_u32 s8, s8, s14
	s_addc_u32 s9, s9, s15
	v_cndmask_b32_e32 v2, v5, v2, vcc
	v_ashrrev_i32_e32 v3, 31, v2
	v_lshl_add_u64 v[6:7], v[2:3], 2, s[8:9]
	v_or_b32_e32 v2, 16, v1
	v_add_u32_e32 v3, v2, v4
	v_ashrrev_i32_e32 v3, 4, v3
	v_cmp_gt_i32_e32 vcc, s29, v2
	s_load_dwordx2 s[14:15], s[0:1], 0x8
	s_nop 0
	v_cndmask_b32_e32 v2, v5, v3, vcc
	v_ashrrev_i32_e32 v3, 31, v2
	v_lshl_add_u64 v[8:9], v[2:3], 2, s[8:9]
	v_or_b32_e32 v2, 32, v1
	v_add_u32_e32 v3, v2, v4
	v_ashrrev_i32_e32 v3, 4, v3
	v_cmp_gt_i32_e32 vcc, s29, v2
	v_or_b32_e32 v1, 48, v1
	s_nop 0
	v_cndmask_b32_e32 v2, v5, v3, vcc
	v_ashrrev_i32_e32 v3, 31, v2
	v_lshl_add_u64 v[10:11], v[2:3], 2, s[8:9]
	v_add_u32_e32 v2, v1, v4
	v_ashrrev_i32_e32 v2, 4, v2
	v_cmp_gt_i32_e32 vcc, s29, v1
	s_nop 1
	v_cndmask_b32_e32 v2, v5, v2, vcc
	v_ashrrev_i32_e32 v3, 31, v2
	v_lshl_add_u64 v[12:13], v[2:3], 2, s[8:9]
	global_load_dword v5, v[6:7], off
	global_load_dword v4, v[8:9], off
	;; [unrolled: 1-line block ×4, first 2 shown]
	s_andn2_b64 vcc, exec, s[10:11]
	s_cbranch_vccnz .LBB1101_8
; %bb.6:
	s_add_u32 s6, s6, s12
	s_addc_u32 s7, s7, s13
	s_load_dword s5, s[6:7], 0x0
	s_branch .LBB1101_9
.LBB1101_7:
	s_mov_b64 s[12:13], 0
	s_branch .LBB1101_2
.LBB1101_8:
	s_mov_b32 s5, s2
.LBB1101_9:
	s_load_dwordx2 s[6:7], s[0:1], 0x10
	s_load_dwordx4 s[44:47], s[0:1], 0x48
	v_lshrrev_b32_e32 v29, 6, v0
	v_bfe_u32 v42, v0, 4, 2
	v_lshl_or_b32 v6, v29, 2, v42
	v_and_b32_e32 v28, 15, v0
	v_lshlrev_b32_e32 v1, 3, v28
	v_cmp_gt_u32_e32 vcc, 14, v6
	v_cmp_gt_u32_e64 s[30:31], 8, v28
	s_mul_i32 s48, s4, 14
	s_and_b64 s[12:13], s[30:31], vcc
	v_lshlrev_b32_e32 v26, 1, v1
	v_lshlrev_b32_e32 v1, 4, v0
	s_and_saveexec_b64 s[10:11], s[12:13]
	s_cbranch_execz .LBB1101_11
; %bb.10:
	s_load_dwordx2 s[12:13], s[0:1], 0x0
	s_waitcnt lgkmcnt(0)
	s_ashr_i32 s18, s44, 31
	s_mul_hi_u32 s19, s5, s44
	s_mul_i32 s18, s5, s18
	s_add_i32 s19, s19, s18
	s_mul_i32 s18, s5, s44
	s_lshl_b64 s[18:19], s[18:19], 1
	s_add_u32 s12, s12, s18
	v_add_lshl_u32 v8, v6, s48, 6
	s_addc_u32 s13, s13, s19
	v_ashrrev_i32_e32 v9, 31, v8
	v_lshl_add_u64 v[8:9], v[8:9], 1, s[12:13]
	v_mov_b32_e32 v27, 0
	v_lshl_add_u64 v[8:9], v[8:9], 0, v[26:27]
	global_load_dwordx4 v[8:11], v[8:9], off
	v_lshlrev_b32_e32 v12, 8, v28
	v_lshlrev_b32_e32 v6, 5, v6
	v_and_b32_e32 v7, 16, v1
	v_and_b32_e32 v12, 0xe00, v12
	v_or3_b32 v6, v12, v6, v7
	s_waitcnt vmcnt(0)
	ds_write_b128 v6, v[8:11]
.LBB1101_11:
	s_or_b64 exec, exec, s[10:11]
	s_waitcnt lgkmcnt(0)
	s_mul_i32 s10, s4, s46
	s_add_u32 s4, s14, s10
	s_addc_u32 s5, s15, 0
	v_and_b32_e32 v32, 48, v0
	v_and_b32_e32 v30, 0xf0, v1
	v_mov_b32_e32 v31, 0
	v_lshl_add_u64 v[6:7], s[4:5], 0, v[30:31]
	v_lshlrev_b32_e32 v30, 4, v32
	v_lshl_add_u64 v[6:7], v[6:7], 0, v[30:31]
	s_waitcnt vmcnt(3)
	v_mad_i64_i32 v[8:9], s[4:5], v5, s45, v[6:7]
	s_waitcnt vmcnt(2)
	v_mad_i64_i32 v[4:5], s[4:5], v4, s45, v[6:7]
	s_barrier
	global_load_dwordx4 v[22:25], v[8:9], off
	global_load_dwordx4 v[18:21], v[4:5], off
	s_waitcnt vmcnt(3)
	v_mad_i64_i32 v[4:5], s[4:5], v3, s45, v[6:7]
	s_waitcnt vmcnt(2)
	v_mad_i64_i32 v[2:3], s[4:5], v2, s45, v[6:7]
	global_load_dwordx4 v[14:17], v[4:5], off
	global_load_dwordx4 v[6:9], v[2:3], off
	v_add_u32_e32 v2, -14, v28
	v_cmp_gt_u32_e32 vcc, 14, v28
	v_and_b32_e32 v27, 63, v0
	v_mov_b32_e32 v43, 0
	v_cndmask_b32_e32 v2, v2, v28, vcc
	v_lshlrev_b32_e32 v2, 5, v2
	v_lshl_add_u32 v2, v42, 9, v2
	ds_read_b128 v[10:13], v2
	ds_read_b128 v[2:5], v2 offset:16
	s_and_saveexec_b64 s[4:5], vcc
	s_cbranch_execz .LBB1101_13
; %bb.12:
	s_load_dwordx2 s[12:13], s[0:1], 0x40
	v_add_u32_e32 v34, s48, v28
	v_ashrrev_i32_e32 v35, 31, v34
	s_waitcnt lgkmcnt(0)
	v_lshl_add_u64 v[34:35], v[34:35], 2, s[12:13]
	global_load_dword v43, v[34:35], off
.LBB1101_13:
	s_or_b64 exec, exec, s[4:5]
	v_or_b32_e32 v62, s16, v32
	v_ashrrev_i32_e32 v30, 4, v62
	v_mov_b32_e32 v63, s17
	v_cmp_gt_i32_e32 vcc, s29, v62
	s_waitcnt vmcnt(2)
	v_cvt_pk_f32_fp8_e32 v[52:53], v20
	v_cvt_pk_f32_fp8_sdwa v[54:55], v20 src0_sel:WORD_1
	v_cndmask_b32_e32 v20, v63, v30, vcc
	v_cvt_pk_f32_fp8_e32 v[56:57], v21
	v_cvt_pk_f32_fp8_sdwa v[58:59], v21 src0_sel:WORD_1
	v_ashrrev_i32_e32 v21, 31, v20
	v_cvt_pk_f32_fp8_e32 v[40:41], v22
	v_cvt_pk_f32_fp8_sdwa v[44:45], v22 src0_sel:WORD_1
	v_lshl_add_u64 v[20:21], v[20:21], 2, s[8:9]
	v_cvt_pk_f32_fp8_e32 v[46:47], v18
	v_cvt_pk_f32_fp8_sdwa v[48:49], v18 src0_sel:WORD_1
	global_load_dword v64, v[20:21], off
	s_mov_b32 s33, 0x7060302
	v_cvt_pk_f32_fp8_e32 v[32:33], v23
	v_cvt_pk_f32_fp8_sdwa v[34:35], v23 src0_sel:WORD_1
	v_perm_b32 v20, v41, v40, s33
	v_perm_b32 v21, v45, v44, s33
	v_cvt_pk_f32_fp8_e32 v[38:39], v24
	v_cvt_pk_f32_fp8_sdwa v[36:37], v24 src0_sel:WORD_1
	v_cvt_pk_f32_fp8_e32 v[50:51], v19
	v_cvt_pk_f32_fp8_sdwa v[18:19], v19 src0_sel:WORD_1
	v_perm_b32 v44, v47, v46, s33
	v_perm_b32 v45, v49, v48, s33
	v_cvt_pk_f32_fp8_e32 v[22:23], v25
	s_waitcnt vmcnt(2)
	v_cvt_pk_f32_fp8_e32 v[40:41], v14
	v_cvt_pk_f32_fp8_sdwa v[46:47], v14 src0_sel:WORD_1
	v_perm_b32 v48, v33, v32, s33
	v_perm_b32 v49, v35, v34, s33
	v_or_b32_e32 v14, 64, v62
	v_or_b32_e32 v32, 0xc0, v62
	v_cvt_pk_f32_fp8_sdwa v[24:25], v25 src0_sel:WORD_1
	s_load_dword s11, s[0:1], 0x1c
	s_load_dwordx4 s[40:43], s[0:1], 0x80
	v_perm_b32 v38, v39, v38, s33
	v_perm_b32 v39, v37, v36, s33
	v_or_b32_e32 v65, 0x80, v62
	v_ashrrev_i32_e32 v62, 4, v14
	v_cmp_gt_i32_e32 vcc, s29, v32
	v_ashrrev_i32_e32 v66, 4, v32
	v_cmp_gt_i32_e64 s[4:5], s29, v14
	v_perm_b32 v36, v51, v50, s33
	v_perm_b32 v37, v19, v18, s33
	s_waitcnt lgkmcnt(0)
	v_mfma_f32_16x16x16_bf16 v[32:35], v[20:21], v[10:11], 0
	s_add_u32 s6, s6, s10
	v_lshlrev_b32_e32 v30, 4, v28
	v_cndmask_b32_e64 v50, v63, v62, s[4:5]
	v_perm_b32 v62, v23, v22, s33
	v_mfma_f32_16x16x16_bf16 v[20:23], v[44:45], v[10:11], 0
	v_lshl_or_b32 v30, v29, 8, v30
	s_addc_u32 s7, s7, 0
	v_ashrrev_i32_e32 v14, 4, v65
	v_lshl_add_u64 v[18:19], s[6:7], 0, v[30:31]
	v_cmp_gt_i32_e64 s[6:7], s29, v65
	v_mfma_f32_16x16x16_bf16 v[30:33], v[48:49], v[12:13], v[32:35]
	v_cndmask_b32_e32 v48, v63, v66, vcc
	s_load_dword s4, s[40:41], 0x0
	v_cvt_pk_f32_fp8_e32 v[60:61], v15
	v_cndmask_b32_e64 v34, v63, v14, s[6:7]
	v_perm_b32 v63, v25, v24, s33
	v_perm_b32 v24, v53, v52, s33
	;; [unrolled: 1-line block ×3, first 2 shown]
	v_mfma_f32_16x16x16_bf16 v[20:23], v[36:37], v[12:13], v[20:23]
	v_perm_b32 v40, v41, v40, s33
	v_perm_b32 v41, v47, v46, s33
	v_ashrrev_i32_e32 v51, 31, v50
	v_mfma_f32_16x16x16_bf16 v[20:23], v[24:25], v[2:3], v[20:23]
	v_mov_b32_e32 v24, s11
	s_waitcnt lgkmcnt(0)
	v_mul_f32_e32 v54, s4, v24
	v_cvt_pk_f32_fp8_sdwa v[24:25], v15 src0_sel:WORD_1
	v_mfma_f32_16x16x16_bf16 v[30:33], v[38:39], v[2:3], v[30:33]
	v_ashrrev_i32_e32 v35, 31, v34
	v_ashrrev_i32_e32 v49, 31, v48
	v_lshl_add_u64 v[36:37], v[50:51], 2, s[8:9]
	v_lshl_add_u64 v[34:35], v[34:35], 2, s[8:9]
	;; [unrolled: 1-line block ×3, first 2 shown]
	global_load_dword v14, v[36:37], off
	global_load_dword v44, v[34:35], off
	global_load_dword v45, v[48:49], off
	v_perm_b32 v46, v61, v60, s33
	v_cvt_pk_f32_fp8_e32 v[48:49], v16
	v_cvt_pk_f32_fp8_sdwa v[50:51], v16 src0_sel:WORD_1
	v_perm_b32 v47, v25, v24, s33
	v_mfma_f32_16x16x16_bf16 v[36:39], v[62:63], v[4:5], v[30:33]
	v_perm_b32 v24, v49, v48, s33
	v_perm_b32 v25, v51, v50, s33
	;; [unrolled: 1-line block ×3, first 2 shown]
	v_mfma_f32_16x16x16_bf16 v[30:33], v[40:41], v[10:11], 0
	v_cvt_pk_f32_fp8_e32 v[40:41], v17
	v_cvt_pk_f32_fp8_sdwa v[16:17], v17 src0_sel:WORD_1
	v_perm_b32 v53, v59, v58, s33
	v_mfma_f32_16x16x16_bf16 v[46:49], v[46:47], v[12:13], v[30:33]
	s_mov_b32 s44, 0xff7fffff
	s_waitcnt vmcnt(3)
	v_mad_i64_i32 v[34:35], s[4:5], v64, s45, v[18:19]
	v_perm_b32 v32, v41, v40, s33
	v_perm_b32 v33, v17, v16, s33
	v_mfma_f32_16x16x16_bf16 v[46:49], v[24:25], v[2:3], v[46:49]
	v_cvt_pk_f32_fp8_e32 v[16:17], v6
	v_cvt_pk_f32_fp8_sdwa v[24:25], v6 src0_sel:WORD_1
	v_pk_mul_f32 v[30:31], v[54:55], v[38:39] op_sel_hi:[0,1]
	v_mfma_f32_16x16x16_bf16 v[46:49], v[32:33], v[4:5], v[46:49]
	v_cvt_pk_f32_fp8_e32 v[32:33], v7
	v_perm_b32 v16, v17, v16, s33
	v_perm_b32 v17, v25, v24, s33
	v_cvt_pk_f32_fp8_sdwa v[6:7], v7 src0_sel:WORD_1
	v_pk_mul_f32 v[38:39], v[54:55], v[36:37] op_sel_hi:[0,1]
	v_perm_b32 v24, v33, v32, s33
	v_cvt_pk_f32_fp8_e32 v[32:33], v8
	v_cvt_pk_f32_fp8_sdwa v[36:37], v8 src0_sel:WORD_1
	v_perm_b32 v25, v7, v6, s33
	v_mfma_f32_16x16x16_bf16 v[20:23], v[52:53], v[4:5], v[20:23]
	v_mfma_f32_16x16x16_bf16 v[50:53], v[16:17], v[10:11], 0
	v_perm_b32 v10, v33, v32, s33
	v_perm_b32 v11, v37, v36, s33
	v_cvt_pk_f32_fp8_e32 v[16:17], v9
	v_cvt_pk_f32_fp8_sdwa v[32:33], v9 src0_sel:WORD_1
	v_mfma_f32_16x16x16_bf16 v[6:9], v[24:25], v[12:13], v[50:53]
	s_nop 0
	v_pk_mul_f32 v[36:37], v[54:55], v[22:23] op_sel_hi:[0,1]
	v_perm_b32 v12, v17, v16, s33
	v_perm_b32 v13, v33, v32, s33
	v_mfma_f32_16x16x16_bf16 v[6:9], v[10:11], v[2:3], v[6:9]
	v_pk_mul_f32 v[40:41], v[54:55], v[20:21] op_sel_hi:[0,1]
	v_pk_mul_f32 v[24:25], v[54:55], v[48:49] op_sel_hi:[0,1]
	;; [unrolled: 1-line block ×3, first 2 shown]
	v_mfma_f32_16x16x16_bf16 v[2:5], v[12:13], v[4:5], v[6:9]
	s_nop 6
	v_pk_mul_f32 v[22:23], v[54:55], v[2:3] op_sel_hi:[0,1]
	v_and_b32_e32 v2, 0xc0, v0
	v_add_u32_e32 v2, s16, v2
	v_lshl_or_b32 v2, v42, 2, v2
	v_or_b32_e32 v3, 1, v2
	v_pk_mul_f32 v[20:21], v[54:55], v[4:5] op_sel_hi:[0,1]
	v_subrev_u32_e32 v4, s29, v3
	v_add_u32_e32 v6, 1, v4
	v_add_u32_e32 v7, 2, v4
	;; [unrolled: 1-line block ×3, first 2 shown]
	v_cvt_f32_i32_e32 v6, v6
	v_cvt_f32_i32_e32 v7, v7
	v_cvt_f32_i32_e32 v8, v8
	v_add_u32_e32 v9, 19, v4
	v_fmac_f32_e32 v39, v43, v6
	v_fma_f32 v30, v43, v7, v30
	v_fmac_f32_e32 v31, v43, v8
	v_add_u32_e32 v6, 16, v4
	v_add_u32_e32 v7, 17, v4
	;; [unrolled: 1-line block ×3, first 2 shown]
	v_cvt_f32_i32_e32 v6, v6
	v_cvt_f32_i32_e32 v7, v7
	;; [unrolled: 1-line block ×4, first 2 shown]
	v_fma_f32 v40, v43, v6, v40
	v_fmac_f32_e32 v41, v43, v7
	v_fma_f32 v36, v43, v8, v36
	v_add_u32_e32 v6, 32, v4
	v_add_u32_e32 v7, 33, v4
	v_add_u32_e32 v8, 34, v4
	v_cvt_f32_i32_e32 v6, v6
	v_cvt_f32_i32_e32 v7, v7
	;; [unrolled: 1-line block ×4, first 2 shown]
	v_fmac_f32_e32 v37, v43, v9
	v_add_u32_e32 v9, 35, v4
	v_fma_f32 v32, v43, v6, v32
	v_fmac_f32_e32 v33, v43, v7
	v_fma_f32 v24, v43, v8, v24
	v_add_u32_e32 v6, 48, v4
	v_add_u32_e32 v7, 49, v4
	;; [unrolled: 1-line block ×4, first 2 shown]
	v_cvt_f32_i32_e32 v4, v4
	v_cvt_f32_i32_e32 v6, v6
	;; [unrolled: 1-line block ×3, first 2 shown]
	v_fma_f32 v5, v43, v5, v38
	v_fmac_f32_e32 v21, v43, v4
	v_mov_b32_e32 v4, 0xff7fffff
	v_cmp_gt_i32_e64 s[4:5], s29, v2
	v_cmp_gt_i32_e64 s[34:35], s29, v3
	v_fma_f32 v22, v43, v6, v22
	v_cndmask_b32_e64 v6, v4, v5, s[4:5]
	v_cndmask_b32_e64 v3, v4, v39, s[34:35]
	v_fmac_f32_e32 v23, v43, v7
	v_max3_f32 v3, v6, s44, v3
	v_or_b32_e32 v6, 2, v2
	v_or_b32_e32 v7, 3, v2
	v_cmp_gt_i32_e64 s[36:37], s29, v6
	v_cmp_gt_i32_e64 s[38:39], s29, v7
	v_cvt_f32_i32_e32 v9, v9
	v_cndmask_b32_e64 v6, v4, v30, s[36:37]
	v_cndmask_b32_e64 v7, v4, v31, s[38:39]
	v_max3_f32 v3, v3, v6, v7
	v_or_b32_e32 v6, 16, v2
	v_or_b32_e32 v7, 17, v2
	v_cmp_gt_i32_e64 s[24:25], s29, v6
	v_cmp_gt_i32_e64 s[26:27], s29, v7
	v_fmac_f32_e32 v25, v43, v9
	v_cndmask_b32_e64 v6, v4, v40, s[24:25]
	v_cndmask_b32_e64 v7, v4, v41, s[26:27]
	v_max3_f32 v3, v3, v6, v7
	v_or_b32_e32 v6, 18, v2
	v_or_b32_e32 v7, 19, v2
	v_cmp_gt_i32_e64 s[20:21], s29, v6
	v_cmp_gt_i32_e64 s[22:23], s29, v7
	v_cvt_f32_i32_e32 v8, v8
	v_cndmask_b32_e64 v6, v4, v36, s[20:21]
	v_cndmask_b32_e64 v7, v4, v37, s[22:23]
	v_max3_f32 v3, v3, v6, v7
	v_or_b32_e32 v6, 32, v2
	v_or_b32_e32 v7, 33, v2
	v_cmp_gt_i32_e64 s[16:17], s29, v6
	v_cmp_gt_i32_e64 s[18:19], s29, v7
	v_fma_f32 v20, v43, v8, v20
	v_cndmask_b32_e64 v6, v4, v32, s[16:17]
	v_cndmask_b32_e64 v7, v4, v33, s[18:19]
	v_max3_f32 v3, v3, v6, v7
	v_or_b32_e32 v6, 34, v2
	v_or_b32_e32 v7, 35, v2
	v_cmp_gt_i32_e64 s[12:13], s29, v6
	v_cmp_gt_i32_e64 s[14:15], s29, v7
	s_nop 0
	v_cndmask_b32_e64 v6, v4, v24, s[12:13]
	v_cndmask_b32_e64 v7, v4, v25, s[14:15]
	v_max3_f32 v3, v3, v6, v7
	v_or_b32_e32 v6, 48, v2
	v_or_b32_e32 v7, 49, v2
	v_cmp_gt_i32_e64 s[8:9], s29, v6
	v_cmp_gt_i32_e64 s[10:11], s29, v7
	s_nop 0
	v_cndmask_b32_e64 v6, v4, v22, s[8:9]
	v_cndmask_b32_e64 v7, v4, v23, s[10:11]
	v_max3_f32 v3, v3, v6, v7
	v_or_b32_e32 v6, 50, v2
	v_or_b32_e32 v2, 51, v2
	v_cmp_gt_i32_e32 vcc, s29, v6
	v_cmp_gt_i32_e64 s[6:7], s29, v2
	s_nop 0
	v_cndmask_b32_e32 v6, v4, v20, vcc
	v_cndmask_b32_e64 v2, v4, v21, s[6:7]
	v_max3_f32 v4, v3, v6, v2
	v_mbcnt_lo_u32_b32 v2, -1, 0
	v_mbcnt_hi_u32_b32 v6, -1, v2
	v_and_b32_e32 v2, 64, v6
	v_add_u32_e32 v7, 64, v2
	v_xor_b32_e32 v2, 32, v6
	v_cmp_lt_i32_e64 s[40:41], v2, v7
	s_nop 1
	v_cndmask_b32_e64 v2, v6, v2, s[40:41]
	v_lshlrev_b32_e32 v43, 2, v2
	ds_bpermute_b32 v8, v43, v4
	s_waitcnt vmcnt(2)
	v_mad_i64_i32 v[2:3], s[40:41], v14, s45, v[18:19]
	global_load_dwordx4 v[14:17], v[34:35], off
	global_load_dwordx4 v[10:13], v[2:3], off
	v_xor_b32_e32 v3, 16, v6
	v_cmp_lt_i32_e64 s[40:41], v3, v7
	s_waitcnt lgkmcnt(0)
	v_max_f32_e32 v2, v8, v8
	v_max_f32_e32 v2, v4, v2
	v_cndmask_b32_e64 v3, v6, v3, s[40:41]
	v_lshlrev_b32_e32 v46, 2, v3
	ds_bpermute_b32 v3, v46, v2
	s_waitcnt vmcnt(3)
	v_mad_i64_i32 v[34:35], s[40:41], v44, s45, v[18:19]
	s_waitcnt vmcnt(2)
	v_mad_i64_i32 v[18:19], s[40:41], v45, s45, v[18:19]
	s_waitcnt lgkmcnt(0)
	v_max_f32_e32 v3, v3, v3
	v_max_f32_e32 v38, v2, v3
	v_sub_f32_e32 v2, v5, v38
	v_mul_f32_e32 v2, 0x3fb8aa3b, v2
	v_exp_f32_e32 v44, v2
	v_sub_f32_e32 v2, v39, v38
	v_mul_f32_e32 v2, 0x3fb8aa3b, v2
	v_exp_f32_e32 v39, v2
	global_load_dwordx4 v[6:9], v[34:35], off
	global_load_dwordx4 v[2:5], v[18:19], off
	v_sub_f32_e32 v30, v30, v38
	v_mul_f32_e32 v30, 0x3fb8aa3b, v30
	v_sub_f32_e32 v31, v31, v38
	v_exp_f32_e32 v30, v30
	v_mul_f32_e32 v31, 0x3fb8aa3b, v31
	v_exp_f32_e32 v31, v31
	v_cndmask_b32_e64 v18, 0, v44, s[4:5]
	v_add_f32_e32 v34, 0, v18
	v_cndmask_b32_e64 v19, 0, v39, s[34:35]
	v_add_f32_e32 v35, v34, v19
	;; [unrolled: 2-line block ×3, first 2 shown]
	v_cndmask_b32_e64 v35, 0, v31, s[38:39]
	v_sub_f32_e32 v31, v40, v38
	v_mul_f32_e32 v31, 0x3fb8aa3b, v31
	v_sub_f32_e32 v39, v41, v38
	v_exp_f32_e32 v31, v31
	v_mul_f32_e32 v39, 0x3fb8aa3b, v39
	v_sub_f32_e32 v36, v36, v38
	v_exp_f32_e32 v39, v39
	;; [unrolled: 3-line block ×4, first 2 shown]
	v_mul_f32_e32 v32, 0x3fb8aa3b, v32
	v_sub_f32_e32 v33, v33, v38
	v_add_f32_e32 v40, v30, v35
	v_cndmask_b32_e64 v30, 0, v31, s[24:25]
	v_exp_f32_e32 v32, v32
	v_mul_f32_e32 v33, 0x3fb8aa3b, v33
	v_sub_f32_e32 v24, v24, v38
	v_add_f32_e32 v40, v40, v30
	v_cndmask_b32_e64 v31, 0, v39, s[26:27]
	v_exp_f32_e32 v33, v33
	;; [unrolled: 5-line block ×7, first 2 shown]
	v_mul_f32_e32 v21, 0x3fb8aa3b, v21
	v_add_f32_e32 v39, v39, v24
	v_cndmask_b32_e64 v25, 0, v25, s[14:15]
	v_exp_f32_e32 v21, v21
	v_add_f32_e32 v39, v39, v25
	v_cndmask_b32_e64 v22, 0, v22, s[8:9]
	v_add_f32_e32 v39, v39, v22
	v_cndmask_b32_e64 v23, 0, v23, s[10:11]
	v_add_f32_e32 v39, v39, v23
	v_cndmask_b32_e32 v20, 0, v20, vcc
	v_add_f32_e32 v39, v39, v20
	v_cndmask_b32_e64 v21, 0, v21, s[6:7]
	v_add_f32_e32 v39, v39, v21
	ds_bpermute_b32 v40, v43, v39
	s_load_dword s7, s[0:1], 0x98
	v_cmp_gt_u32_e32 vcc, 16, v27
	s_waitcnt lgkmcnt(0)
	s_barrier
	v_add_f32_e32 v40, v39, v40
	ds_bpermute_b32 v41, v46, v40
	v_lshlrev_b32_e32 v39, 2, v28
	s_waitcnt lgkmcnt(0)
	s_and_saveexec_b64 s[4:5], vcc
	s_cbranch_execz .LBB1101_15
; %bb.14:
	v_add_f32_e32 v27, v40, v41
	v_lshl_or_b32 v40, v29, 6, v39
	ds_write2st64_b32 v40, v38, v27 offset1:1
.LBB1101_15:
	s_or_b64 exec, exec, s[4:5]
	s_load_dword s6, s[0:1], 0x94
	s_waitcnt lgkmcnt(0)
	s_barrier
	ds_read2_b32 v[40:41], v39 offset1:16
	ds_read2_b32 v[44:45], v39 offset0:32 offset1:48
	ds_read2_b32 v[46:47], v39 offset0:64 offset1:80
	s_movk_i32 s8, 0x7fff
	s_mul_i32 s7, s7, 14
	s_waitcnt lgkmcnt(2)
	v_max3_f32 v27, v40, s44, v41
	s_waitcnt lgkmcnt(1)
	v_max3_f32 v27, v27, v44, v45
	v_sub_f32_e32 v38, v40, v27
	v_mul_f32_e32 v38, 0x3fb8aa3b, v38
	v_exp_f32_e32 v43, v38
	v_sub_f32_e32 v38, v41, v27
	v_mul_f32_e32 v38, 0x3fb8aa3b, v38
	v_exp_f32_e32 v48, v38
	;; [unrolled: 3-line block ×3, first 2 shown]
	ds_read2_b32 v[40:41], v39 offset0:96 offset1:112
	v_sub_f32_e32 v38, v45, v27
	v_mul_f32_e32 v38, 0x3fb8aa3b, v38
	v_exp_f32_e32 v39, v38
	s_waitcnt lgkmcnt(1)
	v_fma_f32 v38, v43, v46, 0
	v_fmac_f32_e32 v38, v48, v47
	s_waitcnt lgkmcnt(0)
	v_fmac_f32_e32 v38, v44, v40
	v_fmac_f32_e32 v38, v39, v41
	v_add_f32_e32 v40, 0x358637bd, v38
	v_div_scale_f32 v41, s[4:5], v40, v40, 1.0
	v_rcp_f32_e32 v45, v41
	s_barrier
	v_fma_f32 v46, -v41, v45, 1.0
	v_fmac_f32_e32 v45, v46, v45
	v_div_scale_f32 v46, vcc, 1.0, v40, 1.0
	v_mul_f32_e32 v47, v46, v45
	v_fma_f32 v49, -v41, v47, v46
	v_fmac_f32_e32 v47, v49, v45
	v_fma_f32 v41, -v41, v47, v46
	v_div_fmas_f32 v41, v41, v45, v47
	v_cmp_eq_u32_e32 vcc, 1, v29
	v_div_fixup_f32 v40, v41, v40, 1.0
	s_nop 0
	v_cndmask_b32_e32 v41, v43, v48, vcc
	v_cmp_eq_u32_e32 vcc, 2, v29
	s_nop 1
	v_cndmask_b32_e32 v41, v41, v44, vcc
	v_cmp_eq_u32_e32 vcc, 3, v29
	v_lshlrev_b32_e32 v29, 11, v29
	s_nop 0
	v_cndmask_b32_e32 v39, v41, v39, vcc
	v_mul_f32_e32 v40, v39, v40
	v_pk_mul_f32 v[18:19], v[40:41], v[18:19] op_sel_hi:[0,1]
	v_pk_mul_f32 v[34:35], v[40:41], v[34:35] op_sel_hi:[0,1]
	v_bfe_u32 v39, v19, 16, 1
	v_bfe_u32 v41, v18, 16, 1
	v_add3_u32 v18, v18, v41, s8
	v_add3_u32 v19, v19, v39, s8
	v_perm_b32 v44, v19, v18, s33
	v_bfe_u32 v18, v35, 16, 1
	v_bfe_u32 v19, v34, 16, 1
	v_add3_u32 v19, v34, v19, s8
	v_add3_u32 v18, v35, v18, s8
	v_perm_b32 v45, v18, v19, s33
	v_lshlrev_b32_e32 v18, 3, v42
	v_lshlrev_b32_e32 v19, 5, v28
	v_pk_mul_f32 v[30:31], v[40:41], v[30:31] op_sel_hi:[0,1]
	v_or3_b32 v18, v29, v19, v18
	v_pk_mul_f32 v[34:35], v[40:41], v[36:37] op_sel_hi:[0,1]
	v_bfe_u32 v29, v31, 16, 1
	v_bfe_u32 v36, v30, 16, 1
	v_add3_u32 v30, v30, v36, s8
	v_add3_u32 v29, v31, v29, s8
	v_perm_b32 v30, v29, v30, s33
	v_bfe_u32 v29, v35, 16, 1
	v_bfe_u32 v31, v34, 16, 1
	v_add3_u32 v31, v34, v31, s8
	v_add3_u32 v29, v35, v29, s8
	v_perm_b32 v31, v29, v31, s33
	ds_write2st64_b64 v18, v[44:45], v[30:31] offset1:1
	v_pk_mul_f32 v[30:31], v[40:41], v[32:33] op_sel_hi:[0,1]
	v_bfe_u32 v29, v31, 16, 1
	v_bfe_u32 v32, v30, 16, 1
	v_pk_mul_f32 v[24:25], v[40:41], v[24:25] op_sel_hi:[0,1]
	v_add3_u32 v30, v30, v32, s8
	v_add3_u32 v29, v31, v29, s8
	v_perm_b32 v30, v29, v30, s33
	v_bfe_u32 v29, v25, 16, 1
	v_bfe_u32 v31, v24, 16, 1
	v_add3_u32 v24, v24, v31, s8
	v_add3_u32 v25, v25, v29, s8
	v_pk_mul_f32 v[22:23], v[40:41], v[22:23] op_sel_hi:[0,1]
	v_perm_b32 v31, v25, v24, s33
	v_bfe_u32 v24, v23, 16, 1
	v_bfe_u32 v25, v22, 16, 1
	v_pk_mul_f32 v[20:21], v[40:41], v[20:21] op_sel_hi:[0,1]
	v_add3_u32 v22, v22, v25, s8
	v_add3_u32 v23, v23, v24, s8
	v_perm_b32 v22, v23, v22, s33
	v_bfe_u32 v23, v21, 16, 1
	v_bfe_u32 v24, v20, 16, 1
	v_add3_u32 v20, v20, v24, s8
	v_add3_u32 v21, v21, v23, s8
	v_perm_b32 v23, v21, v20, s33
	v_cmp_gt_u32_e32 vcc, 14, v0
	ds_write2st64_b64 v18, v[30:31], v[22:23] offset0:2 offset1:3
	s_and_saveexec_b64 s[4:5], vcc
	s_cbranch_execz .LBB1101_17
; %bb.16:
	s_mov_b32 s49, 0
	v_mov_b32_e32 v29, 0
	v_lshl_add_u64 v[20:21], s[48:49], 0, v[28:29]
	v_mov_b32_e32 v22, s7
	v_mad_u64_u32 v[20:21], s[10:11], s2, v22, v[20:21]
	s_mul_i32 s3, s3, s7
	v_mov_b32_e32 v28, s28
	s_load_dwordx4 s[12:15], s[0:1], 0x58
	v_add_u32_e32 v23, s3, v21
	v_mad_u64_u32 v[20:21], s[10:11], v20, s6, v[28:29]
	v_mov_b32_e32 v22, v21
	v_mad_u64_u32 v[22:23], s[10:11], v23, s6, v[22:23]
	v_mov_b32_e32 v21, v22
	v_lshlrev_b64 v[20:21], 2, v[20:21]
	s_waitcnt lgkmcnt(0)
	v_lshl_add_u64 v[22:23], s[14:15], 0, v[20:21]
	v_lshl_add_u64 v[20:21], s[12:13], 0, v[20:21]
	global_store_dword v[22:23], v27, off
	global_store_dword v[20:21], v38, off
.LBB1101_17:
	s_or_b64 exec, exec, s[4:5]
	s_waitcnt vmcnt(3)
	v_cvt_pk_f32_fp8_e32 v[20:21], v14
	v_cvt_pk_f32_fp8_sdwa v[22:23], v14 src0_sel:WORD_1
	s_mov_b32 s4, 0x7060302
	v_lshl_or_b32 v14, v42, 9, v19
	s_waitcnt lgkmcnt(0)
	s_barrier
	v_perm_b32 v24, v21, v20, s4
	v_perm_b32 v25, v23, v22, s4
	v_cvt_pk_f32_fp8_e32 v[28:29], v15
	ds_read_b128 v[20:23], v14
	v_cvt_pk_f32_fp8_sdwa v[36:37], v15 src0_sel:WORD_1
	s_load_dword s10, s[42:43], 0x0
	v_perm_b32 v38, v29, v28, s4
	ds_read_b128 v[28:31], v14 offset:16
	v_perm_b32 v39, v37, v36, s4
	s_waitcnt lgkmcnt(0)
	v_mfma_f32_16x16x16_bf16 v[32:35], v[24:25], v[20:21], 0
	v_cvt_pk_f32_fp8_e32 v[24:25], v16
	v_cvt_pk_f32_fp8_sdwa v[36:37], v16 src0_sel:WORD_1
	v_cmp_gt_u32_e32 vcc, 64, v0
	v_mfma_f32_16x16x16_bf16 v[20:23], v[38:39], v[22:23], v[32:35]
	v_perm_b32 v24, v25, v24, s4
	v_perm_b32 v25, v37, v36, s4
	s_mov_b32 s3, 0
	v_cvt_pk_f32_fp8_e32 v[32:33], v17
	v_cvt_pk_f32_fp8_sdwa v[16:17], v17 src0_sel:WORD_1
	s_waitcnt vmcnt(2)
	v_cvt_pk_f32_fp8_sdwa v[34:35], v10 src0_sel:WORD_1
	v_mfma_f32_16x16x16_bf16 v[20:23], v[24:25], v[28:29], v[20:23]
	v_perm_b32 v36, v33, v32, s4
	v_cvt_pk_f32_fp8_e32 v[32:33], v10
	v_perm_b32 v37, v17, v16, s4
	v_perm_b32 v17, v35, v34, s4
	v_cvt_pk_f32_fp8_e32 v[24:25], v11
	v_perm_b32 v16, v33, v32, s4
	ds_read_b128 v[32:35], v14 offset:2048
	v_cvt_pk_f32_fp8_sdwa v[10:11], v11 src0_sel:WORD_1
	v_mfma_f32_16x16x16_bf16 v[20:23], v[36:37], v[30:31], v[20:23]
	ds_read_b128 v[28:31], v14 offset:2064
	v_perm_b32 v24, v25, v24, s4
	v_perm_b32 v25, v11, v10, s4
	s_waitcnt lgkmcnt(1)
	v_mfma_f32_16x16x16_bf16 v[20:23], v[16:17], v[32:33], v[20:23]
	v_cvt_pk_f32_fp8_e32 v[10:11], v12
	v_cvt_pk_f32_fp8_sdwa v[16:17], v12 src0_sel:WORD_1
	s_waitcnt vmcnt(1)
	v_cvt_pk_f32_fp8_sdwa v[32:33], v6 src0_sel:WORD_1
	v_mfma_f32_16x16x16_bf16 v[20:23], v[24:25], v[34:35], v[20:23]
	v_cvt_pk_f32_fp8_e32 v[24:25], v13
	v_perm_b32 v10, v11, v10, s4
	v_perm_b32 v11, v17, v16, s4
	v_cvt_pk_f32_fp8_sdwa v[12:13], v13 src0_sel:WORD_1
	v_perm_b32 v16, v25, v24, s4
	v_cvt_pk_f32_fp8_e32 v[24:25], v6
	v_mov_b32_e32 v27, 0
	v_perm_b32 v17, v13, v12, s4
	s_waitcnt lgkmcnt(0)
	v_mfma_f32_16x16x16_bf16 v[10:13], v[10:11], v[28:29], v[20:23]
	v_perm_b32 v24, v25, v24, s4
	v_perm_b32 v25, v33, v32, s4
	v_cvt_pk_f32_fp8_e32 v[28:29], v7
	ds_read_b128 v[20:23], v14 offset:4096
	v_cvt_pk_f32_fp8_sdwa v[6:7], v7 src0_sel:WORD_1
	v_mfma_f32_16x16x16_bf16 v[10:13], v[16:17], v[30:31], v[10:13]
	v_perm_b32 v16, v29, v28, s4
	ds_read_b128 v[28:31], v14 offset:4112
	v_perm_b32 v17, v7, v6, s4
	s_waitcnt lgkmcnt(1)
	v_mfma_f32_16x16x16_bf16 v[10:13], v[24:25], v[20:21], v[10:13]
	v_cvt_pk_f32_fp8_e32 v[6:7], v8
	v_cvt_pk_f32_fp8_sdwa v[20:21], v8 src0_sel:WORD_1
	v_perm_b32 v6, v7, v6, s4
	v_mfma_f32_16x16x16_bf16 v[10:13], v[16:17], v[22:23], v[10:13]
	v_cvt_pk_f32_fp8_e32 v[16:17], v9
	v_perm_b32 v7, v21, v20, s4
	v_cvt_pk_f32_fp8_sdwa v[8:9], v9 src0_sel:WORD_1
	s_waitcnt vmcnt(0)
	v_cvt_pk_f32_fp8_e32 v[20:21], v2
	v_perm_b32 v16, v17, v16, s4
	v_cvt_pk_f32_fp8_sdwa v[22:23], v2 src0_sel:WORD_1
	v_perm_b32 v17, v9, v8, s4
	s_waitcnt lgkmcnt(0)
	v_mfma_f32_16x16x16_bf16 v[6:9], v[6:7], v[28:29], v[10:13]
	v_perm_b32 v20, v21, v20, s4
	v_perm_b32 v21, v23, v22, s4
	v_cvt_pk_f32_fp8_e32 v[22:23], v3
	ds_read_b128 v[10:13], v14 offset:6144
	v_cvt_pk_f32_fp8_sdwa v[2:3], v3 src0_sel:WORD_1
	v_mfma_f32_16x16x16_bf16 v[6:9], v[16:17], v[30:31], v[6:9]
	v_perm_b32 v22, v23, v22, s4
	ds_read_b128 v[14:17], v14 offset:6160
	v_perm_b32 v23, v3, v2, s4
	s_waitcnt lgkmcnt(1)
	v_mfma_f32_16x16x16_bf16 v[6:9], v[20:21], v[10:11], v[6:9]
	v_cvt_pk_f32_fp8_e32 v[2:3], v4
	v_cvt_pk_f32_fp8_sdwa v[10:11], v4 src0_sel:WORD_1
	s_waitcnt lgkmcnt(0)
	v_mfma_f32_16x16x16_bf16 v[6:9], v[22:23], v[12:13], v[6:9]
	v_perm_b32 v2, v3, v2, s4
	v_perm_b32 v3, v11, v10, s4
	v_cvt_pk_f32_fp8_e32 v[10:11], v5
	v_cvt_pk_f32_fp8_sdwa v[4:5], v5 src0_sel:WORD_1
	s_barrier
	v_perm_b32 v10, v11, v10, s4
	v_perm_b32 v11, v5, v4, s4
	v_mfma_f32_16x16x16_bf16 v[2:5], v[2:3], v[14:15], v[6:9]
	s_nop 0
	v_mfma_f32_16x16x16_bf16 v[2:5], v[10:11], v[16:17], v[2:5]
	s_nop 6
	v_pk_mul_f32 v[2:3], v[2:3], s[10:11] op_sel_hi:[1,0]
	v_pk_mul_f32 v[4:5], v[4:5], s[10:11] op_sel_hi:[1,0]
	v_bfe_u32 v6, v3, 16, 1
	v_bfe_u32 v7, v2, 16, 1
	v_add3_u32 v2, v2, v7, s8
	v_add3_u32 v3, v3, v6, s8
	v_perm_b32 v2, v3, v2, s4
	v_bfe_u32 v3, v5, 16, 1
	v_bfe_u32 v6, v4, 16, 1
	v_add3_u32 v4, v4, v6, s8
	v_add3_u32 v3, v5, v3, s8
	v_perm_b32 v3, v3, v4, s4
	s_and_b64 s[4:5], vcc, s[30:31]
	ds_write_b64 v18, v[2:3]
	s_waitcnt lgkmcnt(0)
	s_barrier
	s_and_saveexec_b64 s[8:9], s[4:5]
	s_cbranch_execz .LBB1101_20
; %bb.18:
	s_load_dwordx2 s[4:5], s[0:1], 0x68
	s_lshl_b32 s0, s6, 6
	s_mul_i32 s1, s7, s2
	s_mul_hi_u32 s7, s1, s0
	s_mul_i32 s6, s1, s0
	v_lshlrev_b32_e32 v0, 10, v0
	s_lshl_b64 s[6:7], s[6:7], 1
	v_and_b32_e32 v0, 0x1800, v0
	v_lshlrev_b32_e32 v2, 5, v42
	v_and_b32_e32 v1, 16, v1
	s_waitcnt lgkmcnt(0)
	s_add_u32 s1, s4, s6
	v_or3_b32 v2, v0, v2, v1
	s_addc_u32 s4, s5, s7
	s_lshl_b32 s2, s28, 6
	ds_read_b128 v[4:7], v2 offset:256
	s_lshl_b64 s[2:3], s[2:3], 1
	ds_read_b128 v[8:11], v2 offset:128
	ds_read_b128 v[12:15], v2
	s_add_u32 s2, s1, s2
	s_addc_u32 s3, s4, s3
	v_add_u32_e32 v18, s48, v42
	v_lshl_add_u64 v[0:1], s[2:3], 0, v[26:27]
	v_mad_u64_u32 v[16:17], s[2:3], v18, s0, 0
	v_lshl_add_u64 v[16:17], v[16:17], 1, v[0:1]
	s_waitcnt lgkmcnt(0)
	global_store_dwordx4 v[16:17], v[12:15], off
	v_or_b32_e32 v3, 12, v42
	v_cmp_gt_u32_e32 vcc, 14, v3
	v_add_u32_e32 v12, 4, v18
	v_mad_u64_u32 v[12:13], s[2:3], v12, s0, 0
	v_lshl_add_u64 v[12:13], v[12:13], 1, v[0:1]
	global_store_dwordx4 v[12:13], v[8:11], off
	s_nop 1
	v_add_u32_e32 v8, 8, v18
	v_mad_u64_u32 v[8:9], s[2:3], v8, s0, 0
	v_lshl_add_u64 v[8:9], v[8:9], 1, v[0:1]
	global_store_dwordx4 v[8:9], v[4:7], off
	s_and_b64 exec, exec, vcc
	s_cbranch_execz .LBB1101_20
; %bb.19:
	ds_read_b128 v[4:7], v2 offset:384
	v_add_u32_e32 v2, s48, v3
	v_mad_u64_u32 v[2:3], s[0:1], v2, s0, 0
	v_lshl_add_u64 v[0:1], v[2:3], 1, v[0:1]
	s_waitcnt lgkmcnt(0)
	global_store_dwordx4 v[0:1], v[4:7], off
.LBB1101_20:
	s_endpgm
	.section	.rodata,"a",@progbits
	.p2align	6, 0x0
	.amdhsa_kernel _Z39paged_attention_ll4mi_QKV_mfma16_kernelI14__hip_bfloat16hLN4vllm18Fp8KVCacheDataTypeE1EhLi16ELi64ELi256ELb1ELi14EEvPKT_PKT0_S8_ifPKiSA_SA_iPKfiiiPfSD_PS3_PT2_iSC_SC_
		.amdhsa_group_segment_fixed_size 8192
		.amdhsa_private_segment_fixed_size 0
		.amdhsa_kernarg_size 400
		.amdhsa_user_sgpr_count 2
		.amdhsa_user_sgpr_dispatch_ptr 0
		.amdhsa_user_sgpr_queue_ptr 0
		.amdhsa_user_sgpr_kernarg_segment_ptr 1
		.amdhsa_user_sgpr_dispatch_id 0
		.amdhsa_user_sgpr_kernarg_preload_length 0
		.amdhsa_user_sgpr_kernarg_preload_offset 0
		.amdhsa_user_sgpr_private_segment_size 0
		.amdhsa_uses_dynamic_stack 0
		.amdhsa_enable_private_segment 0
		.amdhsa_system_sgpr_workgroup_id_x 1
		.amdhsa_system_sgpr_workgroup_id_y 1
		.amdhsa_system_sgpr_workgroup_id_z 1
		.amdhsa_system_sgpr_workgroup_info 0
		.amdhsa_system_vgpr_workitem_id 0
		.amdhsa_next_free_vgpr 67
		.amdhsa_next_free_sgpr 50
		.amdhsa_accum_offset 68
		.amdhsa_reserve_vcc 1
		.amdhsa_float_round_mode_32 0
		.amdhsa_float_round_mode_16_64 0
		.amdhsa_float_denorm_mode_32 3
		.amdhsa_float_denorm_mode_16_64 3
		.amdhsa_dx10_clamp 1
		.amdhsa_ieee_mode 1
		.amdhsa_fp16_overflow 0
		.amdhsa_tg_split 0
		.amdhsa_exception_fp_ieee_invalid_op 0
		.amdhsa_exception_fp_denorm_src 0
		.amdhsa_exception_fp_ieee_div_zero 0
		.amdhsa_exception_fp_ieee_overflow 0
		.amdhsa_exception_fp_ieee_underflow 0
		.amdhsa_exception_fp_ieee_inexact 0
		.amdhsa_exception_int_div_zero 0
	.end_amdhsa_kernel
	.section	.text._Z39paged_attention_ll4mi_QKV_mfma16_kernelI14__hip_bfloat16hLN4vllm18Fp8KVCacheDataTypeE1EhLi16ELi64ELi256ELb1ELi14EEvPKT_PKT0_S8_ifPKiSA_SA_iPKfiiiPfSD_PS3_PT2_iSC_SC_,"axG",@progbits,_Z39paged_attention_ll4mi_QKV_mfma16_kernelI14__hip_bfloat16hLN4vllm18Fp8KVCacheDataTypeE1EhLi16ELi64ELi256ELb1ELi14EEvPKT_PKT0_S8_ifPKiSA_SA_iPKfiiiPfSD_PS3_PT2_iSC_SC_,comdat
.Lfunc_end1101:
	.size	_Z39paged_attention_ll4mi_QKV_mfma16_kernelI14__hip_bfloat16hLN4vllm18Fp8KVCacheDataTypeE1EhLi16ELi64ELi256ELb1ELi14EEvPKT_PKT0_S8_ifPKiSA_SA_iPKfiiiPfSD_PS3_PT2_iSC_SC_, .Lfunc_end1101-_Z39paged_attention_ll4mi_QKV_mfma16_kernelI14__hip_bfloat16hLN4vllm18Fp8KVCacheDataTypeE1EhLi16ELi64ELi256ELb1ELi14EEvPKT_PKT0_S8_ifPKiSA_SA_iPKfiiiPfSD_PS3_PT2_iSC_SC_
                                        ; -- End function
	.section	.AMDGPU.csdata,"",@progbits
; Kernel info:
; codeLenInByte = 5168
; NumSgprs: 56
; NumVgprs: 67
; NumAgprs: 0
; TotalNumVgprs: 67
; ScratchSize: 0
; MemoryBound: 0
; FloatMode: 240
; IeeeMode: 1
; LDSByteSize: 8192 bytes/workgroup (compile time only)
; SGPRBlocks: 6
; VGPRBlocks: 8
; NumSGPRsForWavesPerEU: 56
; NumVGPRsForWavesPerEU: 67
; AccumOffset: 68
; Occupancy: 7
; WaveLimiterHint : 1
; COMPUTE_PGM_RSRC2:SCRATCH_EN: 0
; COMPUTE_PGM_RSRC2:USER_SGPR: 2
; COMPUTE_PGM_RSRC2:TRAP_HANDLER: 0
; COMPUTE_PGM_RSRC2:TGID_X_EN: 1
; COMPUTE_PGM_RSRC2:TGID_Y_EN: 1
; COMPUTE_PGM_RSRC2:TGID_Z_EN: 1
; COMPUTE_PGM_RSRC2:TIDIG_COMP_CNT: 0
; COMPUTE_PGM_RSRC3_GFX90A:ACCUM_OFFSET: 16
; COMPUTE_PGM_RSRC3_GFX90A:TG_SPLIT: 0
	.section	.text._Z39paged_attention_ll4mi_QKV_mfma16_kernelI14__hip_bfloat16hLN4vllm18Fp8KVCacheDataTypeE1EhLi16ELi64ELi256ELb1ELi15EEvPKT_PKT0_S8_ifPKiSA_SA_iPKfiiiPfSD_PS3_PT2_iSC_SC_,"axG",@progbits,_Z39paged_attention_ll4mi_QKV_mfma16_kernelI14__hip_bfloat16hLN4vllm18Fp8KVCacheDataTypeE1EhLi16ELi64ELi256ELb1ELi15EEvPKT_PKT0_S8_ifPKiSA_SA_iPKfiiiPfSD_PS3_PT2_iSC_SC_,comdat
	.protected	_Z39paged_attention_ll4mi_QKV_mfma16_kernelI14__hip_bfloat16hLN4vllm18Fp8KVCacheDataTypeE1EhLi16ELi64ELi256ELb1ELi15EEvPKT_PKT0_S8_ifPKiSA_SA_iPKfiiiPfSD_PS3_PT2_iSC_SC_ ; -- Begin function _Z39paged_attention_ll4mi_QKV_mfma16_kernelI14__hip_bfloat16hLN4vllm18Fp8KVCacheDataTypeE1EhLi16ELi64ELi256ELb1ELi15EEvPKT_PKT0_S8_ifPKiSA_SA_iPKfiiiPfSD_PS3_PT2_iSC_SC_
	.globl	_Z39paged_attention_ll4mi_QKV_mfma16_kernelI14__hip_bfloat16hLN4vllm18Fp8KVCacheDataTypeE1EhLi16ELi64ELi256ELb1ELi15EEvPKT_PKT0_S8_ifPKiSA_SA_iPKfiiiPfSD_PS3_PT2_iSC_SC_
	.p2align	8
	.type	_Z39paged_attention_ll4mi_QKV_mfma16_kernelI14__hip_bfloat16hLN4vllm18Fp8KVCacheDataTypeE1EhLi16ELi64ELi256ELb1ELi15EEvPKT_PKT0_S8_ifPKiSA_SA_iPKfiiiPfSD_PS3_PT2_iSC_SC_,@function
_Z39paged_attention_ll4mi_QKV_mfma16_kernelI14__hip_bfloat16hLN4vllm18Fp8KVCacheDataTypeE1EhLi16ELi64ELi256ELb1ELi15EEvPKT_PKT0_S8_ifPKiSA_SA_iPKfiiiPfSD_PS3_PT2_iSC_SC_: ; @_Z39paged_attention_ll4mi_QKV_mfma16_kernelI14__hip_bfloat16hLN4vllm18Fp8KVCacheDataTypeE1EhLi16ELi64ELi256ELb1ELi15EEvPKT_PKT0_S8_ifPKiSA_SA_iPKfiiiPfSD_PS3_PT2_iSC_SC_
; %bb.0:
	s_load_dwordx2 s[6:7], s[0:1], 0x30
	s_mov_b32 s28, s3
	s_mov_b64 s[8:9], 0
	s_waitcnt lgkmcnt(0)
	s_cmp_lg_u64 s[6:7], 0
	s_cselect_b64 s[10:11], -1, 0
	s_and_b64 vcc, exec, s[10:11]
	s_cbranch_vccz .LBB1102_7
; %bb.1:
	s_add_i32 s12, s2, 1
	s_mov_b32 s13, 0
	s_lshl_b64 s[14:15], s[12:13], 2
	s_add_u32 s14, s6, s14
	s_mov_b32 s3, s13
	s_addc_u32 s15, s7, s15
	s_lshl_b64 s[12:13], s[2:3], 2
	s_add_u32 s12, s6, s12
	s_addc_u32 s13, s7, s13
	s_load_dword s5, s[14:15], 0x0
	s_load_dword s16, s[12:13], 0x0
	s_waitcnt lgkmcnt(0)
	s_sub_i32 s5, s5, s16
	s_cmp_eq_u32 s5, 1
	s_cselect_b64 s[12:13], -1, 0
	s_andn2_b64 vcc, exec, s[8:9]
	s_cbranch_vccnz .LBB1102_3
.LBB1102_2:
	s_mov_b32 s3, 0
	s_mov_b64 s[12:13], -1
.LBB1102_3:
	s_andn2_b64 vcc, exec, s[12:13]
	s_cbranch_vccnz .LBB1102_20
; %bb.4:
	s_load_dwordx2 s[8:9], s[0:1], 0x28
	s_lshl_b64 s[12:13], s[2:3], 2
	s_waitcnt lgkmcnt(0)
	s_add_u32 s8, s8, s12
	s_addc_u32 s9, s9, s13
	s_load_dword s29, s[8:9], 0x0
	s_lshl_b32 s16, s28, 8
	s_waitcnt lgkmcnt(0)
	s_cmp_ge_i32 s16, s29
	s_cbranch_scc1 .LBB1102_20
; %bb.5:
	s_load_dwordx2 s[8:9], s[0:1], 0x20
	s_load_dword s5, s[0:1], 0x38
	s_add_i32 s14, s29, 15
	s_ashr_i32 s15, s14, 31
	v_and_b32_e32 v1, 0xcf, v0
	s_lshr_b32 s15, s15, 28
	v_add_u32_e32 v1, s16, v1
	s_add_i32 s14, s14, s15
	v_ashrrev_i32_e32 v2, 31, v1
	s_ashr_i32 s17, s14, 4
	v_lshrrev_b32_e32 v4, 28, v2
	s_add_i32 s17, s17, -1
	s_waitcnt lgkmcnt(0)
	s_mul_i32 s14, s2, s5
	s_mov_b32 s15, 0
	v_add_u32_e32 v2, v1, v4
	s_lshl_b64 s[14:15], s[14:15], 2
	v_ashrrev_i32_e32 v2, 4, v2
	v_mov_b32_e32 v5, s17
	v_cmp_gt_i32_e32 vcc, s29, v1
	s_add_u32 s8, s8, s14
	s_addc_u32 s9, s9, s15
	v_cndmask_b32_e32 v2, v5, v2, vcc
	v_ashrrev_i32_e32 v3, 31, v2
	v_lshl_add_u64 v[6:7], v[2:3], 2, s[8:9]
	v_or_b32_e32 v2, 16, v1
	v_add_u32_e32 v3, v2, v4
	v_ashrrev_i32_e32 v3, 4, v3
	v_cmp_gt_i32_e32 vcc, s29, v2
	s_load_dwordx2 s[14:15], s[0:1], 0x8
	s_nop 0
	v_cndmask_b32_e32 v2, v5, v3, vcc
	v_ashrrev_i32_e32 v3, 31, v2
	v_lshl_add_u64 v[8:9], v[2:3], 2, s[8:9]
	v_or_b32_e32 v2, 32, v1
	v_add_u32_e32 v3, v2, v4
	v_ashrrev_i32_e32 v3, 4, v3
	v_cmp_gt_i32_e32 vcc, s29, v2
	v_or_b32_e32 v1, 48, v1
	s_nop 0
	v_cndmask_b32_e32 v2, v5, v3, vcc
	v_ashrrev_i32_e32 v3, 31, v2
	v_lshl_add_u64 v[10:11], v[2:3], 2, s[8:9]
	v_add_u32_e32 v2, v1, v4
	v_ashrrev_i32_e32 v2, 4, v2
	v_cmp_gt_i32_e32 vcc, s29, v1
	s_nop 1
	v_cndmask_b32_e32 v2, v5, v2, vcc
	v_ashrrev_i32_e32 v3, 31, v2
	v_lshl_add_u64 v[12:13], v[2:3], 2, s[8:9]
	global_load_dword v5, v[6:7], off
	global_load_dword v4, v[8:9], off
	;; [unrolled: 1-line block ×4, first 2 shown]
	s_andn2_b64 vcc, exec, s[10:11]
	s_cbranch_vccnz .LBB1102_8
; %bb.6:
	s_add_u32 s6, s6, s12
	s_addc_u32 s7, s7, s13
	s_load_dword s5, s[6:7], 0x0
	s_branch .LBB1102_9
.LBB1102_7:
	s_mov_b64 s[12:13], 0
	s_branch .LBB1102_2
.LBB1102_8:
	s_mov_b32 s5, s2
.LBB1102_9:
	s_load_dwordx2 s[6:7], s[0:1], 0x10
	s_load_dwordx4 s[44:47], s[0:1], 0x48
	v_lshrrev_b32_e32 v29, 6, v0
	v_bfe_u32 v42, v0, 4, 2
	v_lshl_or_b32 v6, v29, 2, v42
	v_and_b32_e32 v28, 15, v0
	v_lshlrev_b32_e32 v1, 3, v28
	v_cmp_gt_u32_e32 vcc, 15, v6
	v_cmp_gt_u32_e64 s[30:31], 8, v28
	s_mul_i32 s48, s4, 15
	s_and_b64 s[12:13], s[30:31], vcc
	v_lshlrev_b32_e32 v26, 1, v1
	v_lshlrev_b32_e32 v1, 4, v0
	s_and_saveexec_b64 s[10:11], s[12:13]
	s_cbranch_execz .LBB1102_11
; %bb.10:
	s_load_dwordx2 s[12:13], s[0:1], 0x0
	s_waitcnt lgkmcnt(0)
	s_ashr_i32 s18, s44, 31
	s_mul_hi_u32 s19, s5, s44
	s_mul_i32 s18, s5, s18
	s_add_i32 s19, s19, s18
	s_mul_i32 s18, s5, s44
	s_lshl_b64 s[18:19], s[18:19], 1
	s_add_u32 s12, s12, s18
	v_add_lshl_u32 v8, v6, s48, 6
	s_addc_u32 s13, s13, s19
	v_ashrrev_i32_e32 v9, 31, v8
	v_lshl_add_u64 v[8:9], v[8:9], 1, s[12:13]
	v_mov_b32_e32 v27, 0
	v_lshl_add_u64 v[8:9], v[8:9], 0, v[26:27]
	global_load_dwordx4 v[8:11], v[8:9], off
	v_lshlrev_b32_e32 v12, 8, v28
	v_lshlrev_b32_e32 v6, 5, v6
	v_and_b32_e32 v7, 16, v1
	v_and_b32_e32 v12, 0xe00, v12
	v_or3_b32 v6, v12, v6, v7
	s_waitcnt vmcnt(0)
	ds_write_b128 v6, v[8:11]
.LBB1102_11:
	s_or_b64 exec, exec, s[10:11]
	s_waitcnt lgkmcnt(0)
	s_mul_i32 s10, s4, s46
	s_add_u32 s4, s14, s10
	v_mov_b32_e32 v31, 0
	s_addc_u32 s5, s15, 0
	v_and_b32_e32 v32, 48, v0
	v_and_b32_e32 v30, 0xf0, v1
	v_lshl_add_u64 v[6:7], s[4:5], 0, v[30:31]
	v_lshlrev_b32_e32 v30, 4, v32
	v_lshl_add_u64 v[6:7], v[6:7], 0, v[30:31]
	s_waitcnt vmcnt(3)
	v_mad_i64_i32 v[8:9], s[4:5], v5, s45, v[6:7]
	s_waitcnt vmcnt(2)
	v_mad_i64_i32 v[4:5], s[4:5], v4, s45, v[6:7]
	s_barrier
	global_load_dwordx4 v[22:25], v[8:9], off
	global_load_dwordx4 v[18:21], v[4:5], off
	s_waitcnt vmcnt(3)
	v_mad_i64_i32 v[4:5], s[4:5], v3, s45, v[6:7]
	s_waitcnt vmcnt(2)
	v_mad_i64_i32 v[2:3], s[4:5], v2, s45, v[6:7]
	global_load_dwordx4 v[14:17], v[4:5], off
	global_load_dwordx4 v[6:9], v[2:3], off
	v_cmp_ne_u32_e32 vcc, 15, v28
	v_and_b32_e32 v27, 63, v0
	v_mov_b32_e32 v43, 0
	v_cndmask_b32_e32 v2, 0, v28, vcc
	v_lshlrev_b32_e32 v2, 5, v2
	v_lshl_or_b32 v2, v42, 9, v2
	ds_read_b128 v[10:13], v2
	ds_read_b128 v[2:5], v2 offset:16
	s_and_saveexec_b64 s[4:5], vcc
	s_cbranch_execz .LBB1102_13
; %bb.12:
	s_load_dwordx2 s[12:13], s[0:1], 0x40
	v_add_u32_e32 v34, s48, v28
	v_ashrrev_i32_e32 v35, 31, v34
	s_waitcnt lgkmcnt(0)
	v_lshl_add_u64 v[34:35], v[34:35], 2, s[12:13]
	global_load_dword v43, v[34:35], off
.LBB1102_13:
	s_or_b64 exec, exec, s[4:5]
	v_or_b32_e32 v62, s16, v32
	v_ashrrev_i32_e32 v30, 4, v62
	v_mov_b32_e32 v63, s17
	v_cmp_gt_i32_e32 vcc, s29, v62
	s_waitcnt vmcnt(2)
	v_cvt_pk_f32_fp8_e32 v[52:53], v20
	v_cvt_pk_f32_fp8_sdwa v[54:55], v20 src0_sel:WORD_1
	v_cndmask_b32_e32 v20, v63, v30, vcc
	v_cvt_pk_f32_fp8_e32 v[56:57], v21
	v_cvt_pk_f32_fp8_sdwa v[58:59], v21 src0_sel:WORD_1
	v_ashrrev_i32_e32 v21, 31, v20
	v_cvt_pk_f32_fp8_e32 v[40:41], v22
	v_cvt_pk_f32_fp8_sdwa v[44:45], v22 src0_sel:WORD_1
	v_lshl_add_u64 v[20:21], v[20:21], 2, s[8:9]
	v_cvt_pk_f32_fp8_e32 v[46:47], v18
	v_cvt_pk_f32_fp8_sdwa v[48:49], v18 src0_sel:WORD_1
	global_load_dword v64, v[20:21], off
	s_mov_b32 s33, 0x7060302
	v_cvt_pk_f32_fp8_e32 v[32:33], v23
	v_cvt_pk_f32_fp8_sdwa v[34:35], v23 src0_sel:WORD_1
	v_perm_b32 v20, v41, v40, s33
	v_perm_b32 v21, v45, v44, s33
	v_cvt_pk_f32_fp8_e32 v[38:39], v24
	v_cvt_pk_f32_fp8_sdwa v[36:37], v24 src0_sel:WORD_1
	v_cvt_pk_f32_fp8_e32 v[50:51], v19
	v_cvt_pk_f32_fp8_sdwa v[18:19], v19 src0_sel:WORD_1
	v_perm_b32 v44, v47, v46, s33
	v_perm_b32 v45, v49, v48, s33
	v_cvt_pk_f32_fp8_e32 v[22:23], v25
	s_waitcnt vmcnt(2)
	v_cvt_pk_f32_fp8_e32 v[40:41], v14
	v_cvt_pk_f32_fp8_sdwa v[46:47], v14 src0_sel:WORD_1
	v_perm_b32 v48, v33, v32, s33
	v_perm_b32 v49, v35, v34, s33
	v_or_b32_e32 v14, 64, v62
	v_or_b32_e32 v32, 0xc0, v62
	v_cvt_pk_f32_fp8_sdwa v[24:25], v25 src0_sel:WORD_1
	s_load_dword s11, s[0:1], 0x1c
	s_load_dwordx4 s[40:43], s[0:1], 0x80
	v_perm_b32 v38, v39, v38, s33
	v_perm_b32 v39, v37, v36, s33
	v_or_b32_e32 v65, 0x80, v62
	v_ashrrev_i32_e32 v62, 4, v14
	v_cmp_gt_i32_e32 vcc, s29, v32
	v_ashrrev_i32_e32 v66, 4, v32
	v_cmp_gt_i32_e64 s[4:5], s29, v14
	v_perm_b32 v36, v51, v50, s33
	v_perm_b32 v37, v19, v18, s33
	s_waitcnt lgkmcnt(0)
	v_mfma_f32_16x16x16_bf16 v[32:35], v[20:21], v[10:11], 0
	s_add_u32 s6, s6, s10
	v_lshlrev_b32_e32 v30, 4, v28
	v_cndmask_b32_e64 v50, v63, v62, s[4:5]
	v_perm_b32 v62, v23, v22, s33
	v_mfma_f32_16x16x16_bf16 v[20:23], v[44:45], v[10:11], 0
	v_lshl_or_b32 v30, v29, 8, v30
	s_addc_u32 s7, s7, 0
	v_ashrrev_i32_e32 v14, 4, v65
	v_lshl_add_u64 v[18:19], s[6:7], 0, v[30:31]
	v_cmp_gt_i32_e64 s[6:7], s29, v65
	v_mfma_f32_16x16x16_bf16 v[30:33], v[48:49], v[12:13], v[32:35]
	v_cndmask_b32_e32 v48, v63, v66, vcc
	s_load_dword s4, s[40:41], 0x0
	v_cvt_pk_f32_fp8_e32 v[60:61], v15
	v_cndmask_b32_e64 v34, v63, v14, s[6:7]
	v_perm_b32 v63, v25, v24, s33
	v_perm_b32 v24, v53, v52, s33
	;; [unrolled: 1-line block ×3, first 2 shown]
	v_mfma_f32_16x16x16_bf16 v[20:23], v[36:37], v[12:13], v[20:23]
	v_perm_b32 v40, v41, v40, s33
	v_perm_b32 v41, v47, v46, s33
	v_ashrrev_i32_e32 v51, 31, v50
	v_mfma_f32_16x16x16_bf16 v[20:23], v[24:25], v[2:3], v[20:23]
	v_mov_b32_e32 v24, s11
	s_waitcnt lgkmcnt(0)
	v_mul_f32_e32 v54, s4, v24
	v_cvt_pk_f32_fp8_sdwa v[24:25], v15 src0_sel:WORD_1
	v_mfma_f32_16x16x16_bf16 v[30:33], v[38:39], v[2:3], v[30:33]
	v_ashrrev_i32_e32 v35, 31, v34
	v_ashrrev_i32_e32 v49, 31, v48
	v_lshl_add_u64 v[36:37], v[50:51], 2, s[8:9]
	v_lshl_add_u64 v[34:35], v[34:35], 2, s[8:9]
	;; [unrolled: 1-line block ×3, first 2 shown]
	global_load_dword v14, v[36:37], off
	global_load_dword v44, v[34:35], off
	;; [unrolled: 1-line block ×3, first 2 shown]
	v_perm_b32 v46, v61, v60, s33
	v_cvt_pk_f32_fp8_e32 v[48:49], v16
	v_cvt_pk_f32_fp8_sdwa v[50:51], v16 src0_sel:WORD_1
	v_perm_b32 v47, v25, v24, s33
	v_mfma_f32_16x16x16_bf16 v[36:39], v[62:63], v[4:5], v[30:33]
	v_perm_b32 v24, v49, v48, s33
	v_perm_b32 v25, v51, v50, s33
	;; [unrolled: 1-line block ×3, first 2 shown]
	v_mfma_f32_16x16x16_bf16 v[30:33], v[40:41], v[10:11], 0
	v_cvt_pk_f32_fp8_e32 v[40:41], v17
	v_cvt_pk_f32_fp8_sdwa v[16:17], v17 src0_sel:WORD_1
	v_perm_b32 v53, v59, v58, s33
	v_mfma_f32_16x16x16_bf16 v[46:49], v[46:47], v[12:13], v[30:33]
	s_mov_b32 s44, 0xff7fffff
	s_waitcnt vmcnt(3)
	v_mad_i64_i32 v[34:35], s[4:5], v64, s45, v[18:19]
	v_perm_b32 v32, v41, v40, s33
	v_perm_b32 v33, v17, v16, s33
	v_mfma_f32_16x16x16_bf16 v[46:49], v[24:25], v[2:3], v[46:49]
	v_cvt_pk_f32_fp8_e32 v[16:17], v6
	v_cvt_pk_f32_fp8_sdwa v[24:25], v6 src0_sel:WORD_1
	v_pk_mul_f32 v[30:31], v[54:55], v[38:39] op_sel_hi:[0,1]
	v_mfma_f32_16x16x16_bf16 v[46:49], v[32:33], v[4:5], v[46:49]
	v_cvt_pk_f32_fp8_e32 v[32:33], v7
	v_perm_b32 v16, v17, v16, s33
	v_perm_b32 v17, v25, v24, s33
	v_cvt_pk_f32_fp8_sdwa v[6:7], v7 src0_sel:WORD_1
	v_pk_mul_f32 v[38:39], v[54:55], v[36:37] op_sel_hi:[0,1]
	v_perm_b32 v24, v33, v32, s33
	v_cvt_pk_f32_fp8_e32 v[32:33], v8
	v_cvt_pk_f32_fp8_sdwa v[36:37], v8 src0_sel:WORD_1
	v_perm_b32 v25, v7, v6, s33
	v_mfma_f32_16x16x16_bf16 v[20:23], v[52:53], v[4:5], v[20:23]
	v_mfma_f32_16x16x16_bf16 v[50:53], v[16:17], v[10:11], 0
	v_perm_b32 v10, v33, v32, s33
	v_perm_b32 v11, v37, v36, s33
	v_cvt_pk_f32_fp8_e32 v[16:17], v9
	v_cvt_pk_f32_fp8_sdwa v[32:33], v9 src0_sel:WORD_1
	v_mfma_f32_16x16x16_bf16 v[6:9], v[24:25], v[12:13], v[50:53]
	s_nop 0
	v_pk_mul_f32 v[36:37], v[54:55], v[22:23] op_sel_hi:[0,1]
	v_perm_b32 v12, v17, v16, s33
	v_perm_b32 v13, v33, v32, s33
	v_mfma_f32_16x16x16_bf16 v[6:9], v[10:11], v[2:3], v[6:9]
	v_pk_mul_f32 v[40:41], v[54:55], v[20:21] op_sel_hi:[0,1]
	v_pk_mul_f32 v[24:25], v[54:55], v[48:49] op_sel_hi:[0,1]
	;; [unrolled: 1-line block ×3, first 2 shown]
	v_mfma_f32_16x16x16_bf16 v[2:5], v[12:13], v[4:5], v[6:9]
	s_nop 6
	v_pk_mul_f32 v[22:23], v[54:55], v[2:3] op_sel_hi:[0,1]
	v_and_b32_e32 v2, 0xc0, v0
	v_add_u32_e32 v2, s16, v2
	v_lshl_or_b32 v2, v42, 2, v2
	v_or_b32_e32 v3, 1, v2
	v_pk_mul_f32 v[20:21], v[54:55], v[4:5] op_sel_hi:[0,1]
	v_subrev_u32_e32 v4, s29, v3
	v_add_u32_e32 v6, 1, v4
	v_add_u32_e32 v7, 2, v4
	;; [unrolled: 1-line block ×3, first 2 shown]
	v_cvt_f32_i32_e32 v6, v6
	v_cvt_f32_i32_e32 v7, v7
	;; [unrolled: 1-line block ×3, first 2 shown]
	v_add_u32_e32 v9, 19, v4
	v_fmac_f32_e32 v39, v43, v6
	v_fma_f32 v30, v43, v7, v30
	v_fmac_f32_e32 v31, v43, v8
	v_add_u32_e32 v6, 16, v4
	v_add_u32_e32 v7, 17, v4
	;; [unrolled: 1-line block ×3, first 2 shown]
	v_cvt_f32_i32_e32 v6, v6
	v_cvt_f32_i32_e32 v7, v7
	;; [unrolled: 1-line block ×4, first 2 shown]
	v_fma_f32 v40, v43, v6, v40
	v_fmac_f32_e32 v41, v43, v7
	v_fma_f32 v36, v43, v8, v36
	v_add_u32_e32 v6, 32, v4
	v_add_u32_e32 v7, 33, v4
	;; [unrolled: 1-line block ×3, first 2 shown]
	v_cvt_f32_i32_e32 v6, v6
	v_cvt_f32_i32_e32 v7, v7
	;; [unrolled: 1-line block ×4, first 2 shown]
	v_fmac_f32_e32 v37, v43, v9
	v_add_u32_e32 v9, 35, v4
	v_fma_f32 v32, v43, v6, v32
	v_fmac_f32_e32 v33, v43, v7
	v_fma_f32 v24, v43, v8, v24
	v_add_u32_e32 v6, 48, v4
	v_add_u32_e32 v7, 49, v4
	;; [unrolled: 1-line block ×4, first 2 shown]
	v_cvt_f32_i32_e32 v4, v4
	v_cvt_f32_i32_e32 v6, v6
	;; [unrolled: 1-line block ×3, first 2 shown]
	v_fma_f32 v5, v43, v5, v38
	v_fmac_f32_e32 v21, v43, v4
	v_mov_b32_e32 v4, 0xff7fffff
	v_cmp_gt_i32_e64 s[4:5], s29, v2
	v_cmp_gt_i32_e64 s[34:35], s29, v3
	v_fma_f32 v22, v43, v6, v22
	v_cndmask_b32_e64 v6, v4, v5, s[4:5]
	v_cndmask_b32_e64 v3, v4, v39, s[34:35]
	v_fmac_f32_e32 v23, v43, v7
	v_max3_f32 v3, v6, s44, v3
	v_or_b32_e32 v6, 2, v2
	v_or_b32_e32 v7, 3, v2
	v_cmp_gt_i32_e64 s[36:37], s29, v6
	v_cmp_gt_i32_e64 s[38:39], s29, v7
	v_cvt_f32_i32_e32 v9, v9
	v_cndmask_b32_e64 v6, v4, v30, s[36:37]
	v_cndmask_b32_e64 v7, v4, v31, s[38:39]
	v_max3_f32 v3, v3, v6, v7
	v_or_b32_e32 v6, 16, v2
	v_or_b32_e32 v7, 17, v2
	v_cmp_gt_i32_e64 s[24:25], s29, v6
	v_cmp_gt_i32_e64 s[26:27], s29, v7
	v_fmac_f32_e32 v25, v43, v9
	v_cndmask_b32_e64 v6, v4, v40, s[24:25]
	v_cndmask_b32_e64 v7, v4, v41, s[26:27]
	v_max3_f32 v3, v3, v6, v7
	v_or_b32_e32 v6, 18, v2
	v_or_b32_e32 v7, 19, v2
	v_cmp_gt_i32_e64 s[20:21], s29, v6
	v_cmp_gt_i32_e64 s[22:23], s29, v7
	v_cvt_f32_i32_e32 v8, v8
	v_cndmask_b32_e64 v6, v4, v36, s[20:21]
	v_cndmask_b32_e64 v7, v4, v37, s[22:23]
	v_max3_f32 v3, v3, v6, v7
	v_or_b32_e32 v6, 32, v2
	v_or_b32_e32 v7, 33, v2
	v_cmp_gt_i32_e64 s[16:17], s29, v6
	v_cmp_gt_i32_e64 s[18:19], s29, v7
	v_fma_f32 v20, v43, v8, v20
	v_cndmask_b32_e64 v6, v4, v32, s[16:17]
	v_cndmask_b32_e64 v7, v4, v33, s[18:19]
	v_max3_f32 v3, v3, v6, v7
	v_or_b32_e32 v6, 34, v2
	v_or_b32_e32 v7, 35, v2
	v_cmp_gt_i32_e64 s[12:13], s29, v6
	v_cmp_gt_i32_e64 s[14:15], s29, v7
	s_nop 0
	v_cndmask_b32_e64 v6, v4, v24, s[12:13]
	v_cndmask_b32_e64 v7, v4, v25, s[14:15]
	v_max3_f32 v3, v3, v6, v7
	v_or_b32_e32 v6, 48, v2
	v_or_b32_e32 v7, 49, v2
	v_cmp_gt_i32_e64 s[8:9], s29, v6
	v_cmp_gt_i32_e64 s[10:11], s29, v7
	s_nop 0
	v_cndmask_b32_e64 v6, v4, v22, s[8:9]
	v_cndmask_b32_e64 v7, v4, v23, s[10:11]
	v_max3_f32 v3, v3, v6, v7
	v_or_b32_e32 v6, 50, v2
	v_or_b32_e32 v2, 51, v2
	v_cmp_gt_i32_e32 vcc, s29, v6
	v_cmp_gt_i32_e64 s[6:7], s29, v2
	s_nop 0
	v_cndmask_b32_e32 v6, v4, v20, vcc
	v_cndmask_b32_e64 v2, v4, v21, s[6:7]
	v_max3_f32 v4, v3, v6, v2
	v_mbcnt_lo_u32_b32 v2, -1, 0
	v_mbcnt_hi_u32_b32 v6, -1, v2
	v_and_b32_e32 v2, 64, v6
	v_add_u32_e32 v7, 64, v2
	v_xor_b32_e32 v2, 32, v6
	v_cmp_lt_i32_e64 s[40:41], v2, v7
	s_nop 1
	v_cndmask_b32_e64 v2, v6, v2, s[40:41]
	v_lshlrev_b32_e32 v43, 2, v2
	ds_bpermute_b32 v8, v43, v4
	s_waitcnt vmcnt(2)
	v_mad_i64_i32 v[2:3], s[40:41], v14, s45, v[18:19]
	global_load_dwordx4 v[14:17], v[34:35], off
	global_load_dwordx4 v[10:13], v[2:3], off
	v_xor_b32_e32 v3, 16, v6
	v_cmp_lt_i32_e64 s[40:41], v3, v7
	s_waitcnt lgkmcnt(0)
	v_max_f32_e32 v2, v8, v8
	v_max_f32_e32 v2, v4, v2
	v_cndmask_b32_e64 v3, v6, v3, s[40:41]
	v_lshlrev_b32_e32 v46, 2, v3
	ds_bpermute_b32 v3, v46, v2
	s_waitcnt vmcnt(3)
	v_mad_i64_i32 v[34:35], s[40:41], v44, s45, v[18:19]
	s_waitcnt vmcnt(2)
	v_mad_i64_i32 v[18:19], s[40:41], v45, s45, v[18:19]
	s_waitcnt lgkmcnt(0)
	v_max_f32_e32 v3, v3, v3
	v_max_f32_e32 v38, v2, v3
	v_sub_f32_e32 v2, v5, v38
	v_mul_f32_e32 v2, 0x3fb8aa3b, v2
	v_exp_f32_e32 v44, v2
	v_sub_f32_e32 v2, v39, v38
	v_mul_f32_e32 v2, 0x3fb8aa3b, v2
	v_exp_f32_e32 v39, v2
	global_load_dwordx4 v[6:9], v[34:35], off
	global_load_dwordx4 v[2:5], v[18:19], off
	v_sub_f32_e32 v30, v30, v38
	v_mul_f32_e32 v30, 0x3fb8aa3b, v30
	v_sub_f32_e32 v31, v31, v38
	v_exp_f32_e32 v30, v30
	v_mul_f32_e32 v31, 0x3fb8aa3b, v31
	v_exp_f32_e32 v31, v31
	v_cndmask_b32_e64 v18, 0, v44, s[4:5]
	v_add_f32_e32 v34, 0, v18
	v_cndmask_b32_e64 v19, 0, v39, s[34:35]
	v_add_f32_e32 v35, v34, v19
	;; [unrolled: 2-line block ×3, first 2 shown]
	v_cndmask_b32_e64 v35, 0, v31, s[38:39]
	v_sub_f32_e32 v31, v40, v38
	v_mul_f32_e32 v31, 0x3fb8aa3b, v31
	v_sub_f32_e32 v39, v41, v38
	v_exp_f32_e32 v31, v31
	v_mul_f32_e32 v39, 0x3fb8aa3b, v39
	v_sub_f32_e32 v36, v36, v38
	v_exp_f32_e32 v39, v39
	;; [unrolled: 3-line block ×4, first 2 shown]
	v_mul_f32_e32 v32, 0x3fb8aa3b, v32
	v_sub_f32_e32 v33, v33, v38
	v_add_f32_e32 v40, v30, v35
	v_cndmask_b32_e64 v30, 0, v31, s[24:25]
	v_exp_f32_e32 v32, v32
	v_mul_f32_e32 v33, 0x3fb8aa3b, v33
	v_sub_f32_e32 v24, v24, v38
	v_add_f32_e32 v40, v40, v30
	v_cndmask_b32_e64 v31, 0, v39, s[26:27]
	v_exp_f32_e32 v33, v33
	;; [unrolled: 5-line block ×7, first 2 shown]
	v_mul_f32_e32 v21, 0x3fb8aa3b, v21
	v_add_f32_e32 v39, v39, v24
	v_cndmask_b32_e64 v25, 0, v25, s[14:15]
	v_exp_f32_e32 v21, v21
	v_add_f32_e32 v39, v39, v25
	v_cndmask_b32_e64 v22, 0, v22, s[8:9]
	v_add_f32_e32 v39, v39, v22
	v_cndmask_b32_e64 v23, 0, v23, s[10:11]
	v_add_f32_e32 v39, v39, v23
	v_cndmask_b32_e32 v20, 0, v20, vcc
	v_add_f32_e32 v39, v39, v20
	v_cndmask_b32_e64 v21, 0, v21, s[6:7]
	v_add_f32_e32 v39, v39, v21
	ds_bpermute_b32 v40, v43, v39
	s_load_dword s7, s[0:1], 0x98
	v_cmp_gt_u32_e32 vcc, 16, v27
	s_waitcnt lgkmcnt(0)
	s_barrier
	v_add_f32_e32 v40, v39, v40
	ds_bpermute_b32 v41, v46, v40
	v_lshlrev_b32_e32 v39, 2, v28
	s_waitcnt lgkmcnt(0)
	s_and_saveexec_b64 s[4:5], vcc
	s_cbranch_execz .LBB1102_15
; %bb.14:
	v_add_f32_e32 v27, v40, v41
	v_lshl_or_b32 v40, v29, 6, v39
	ds_write2st64_b32 v40, v38, v27 offset1:1
.LBB1102_15:
	s_or_b64 exec, exec, s[4:5]
	s_load_dword s6, s[0:1], 0x94
	s_waitcnt lgkmcnt(0)
	s_barrier
	ds_read2_b32 v[40:41], v39 offset1:16
	ds_read2_b32 v[44:45], v39 offset0:32 offset1:48
	ds_read2_b32 v[46:47], v39 offset0:64 offset1:80
	s_movk_i32 s8, 0x7fff
	s_mul_i32 s7, s7, 15
	s_waitcnt lgkmcnt(2)
	v_max3_f32 v27, v40, s44, v41
	s_waitcnt lgkmcnt(1)
	v_max3_f32 v27, v27, v44, v45
	v_sub_f32_e32 v38, v40, v27
	v_mul_f32_e32 v38, 0x3fb8aa3b, v38
	v_exp_f32_e32 v43, v38
	v_sub_f32_e32 v38, v41, v27
	v_mul_f32_e32 v38, 0x3fb8aa3b, v38
	v_exp_f32_e32 v48, v38
	;; [unrolled: 3-line block ×3, first 2 shown]
	ds_read2_b32 v[40:41], v39 offset0:96 offset1:112
	v_sub_f32_e32 v38, v45, v27
	v_mul_f32_e32 v38, 0x3fb8aa3b, v38
	v_exp_f32_e32 v39, v38
	s_waitcnt lgkmcnt(1)
	v_fma_f32 v38, v43, v46, 0
	v_fmac_f32_e32 v38, v48, v47
	s_waitcnt lgkmcnt(0)
	v_fmac_f32_e32 v38, v44, v40
	v_fmac_f32_e32 v38, v39, v41
	v_add_f32_e32 v40, 0x358637bd, v38
	v_div_scale_f32 v41, s[4:5], v40, v40, 1.0
	v_rcp_f32_e32 v45, v41
	s_barrier
	v_fma_f32 v46, -v41, v45, 1.0
	v_fmac_f32_e32 v45, v46, v45
	v_div_scale_f32 v46, vcc, 1.0, v40, 1.0
	v_mul_f32_e32 v47, v46, v45
	v_fma_f32 v49, -v41, v47, v46
	v_fmac_f32_e32 v47, v49, v45
	v_fma_f32 v41, -v41, v47, v46
	v_div_fmas_f32 v41, v41, v45, v47
	v_cmp_eq_u32_e32 vcc, 1, v29
	v_div_fixup_f32 v40, v41, v40, 1.0
	s_nop 0
	v_cndmask_b32_e32 v41, v43, v48, vcc
	v_cmp_eq_u32_e32 vcc, 2, v29
	s_nop 1
	v_cndmask_b32_e32 v41, v41, v44, vcc
	v_cmp_eq_u32_e32 vcc, 3, v29
	v_lshlrev_b32_e32 v29, 11, v29
	s_nop 0
	v_cndmask_b32_e32 v39, v41, v39, vcc
	v_mul_f32_e32 v40, v39, v40
	v_pk_mul_f32 v[18:19], v[40:41], v[18:19] op_sel_hi:[0,1]
	v_pk_mul_f32 v[34:35], v[40:41], v[34:35] op_sel_hi:[0,1]
	v_bfe_u32 v39, v19, 16, 1
	v_bfe_u32 v41, v18, 16, 1
	v_add3_u32 v18, v18, v41, s8
	v_add3_u32 v19, v19, v39, s8
	v_perm_b32 v44, v19, v18, s33
	v_bfe_u32 v18, v35, 16, 1
	v_bfe_u32 v19, v34, 16, 1
	v_add3_u32 v19, v34, v19, s8
	v_add3_u32 v18, v35, v18, s8
	v_perm_b32 v45, v18, v19, s33
	v_lshlrev_b32_e32 v18, 3, v42
	v_lshlrev_b32_e32 v19, 5, v28
	v_pk_mul_f32 v[30:31], v[40:41], v[30:31] op_sel_hi:[0,1]
	v_or3_b32 v18, v29, v19, v18
	v_pk_mul_f32 v[34:35], v[40:41], v[36:37] op_sel_hi:[0,1]
	v_bfe_u32 v29, v31, 16, 1
	v_bfe_u32 v36, v30, 16, 1
	v_add3_u32 v30, v30, v36, s8
	v_add3_u32 v29, v31, v29, s8
	v_perm_b32 v30, v29, v30, s33
	v_bfe_u32 v29, v35, 16, 1
	v_bfe_u32 v31, v34, 16, 1
	v_add3_u32 v31, v34, v31, s8
	v_add3_u32 v29, v35, v29, s8
	v_perm_b32 v31, v29, v31, s33
	ds_write2st64_b64 v18, v[44:45], v[30:31] offset1:1
	v_pk_mul_f32 v[30:31], v[40:41], v[32:33] op_sel_hi:[0,1]
	v_bfe_u32 v29, v31, 16, 1
	v_bfe_u32 v32, v30, 16, 1
	v_pk_mul_f32 v[24:25], v[40:41], v[24:25] op_sel_hi:[0,1]
	v_add3_u32 v30, v30, v32, s8
	v_add3_u32 v29, v31, v29, s8
	v_perm_b32 v30, v29, v30, s33
	v_bfe_u32 v29, v25, 16, 1
	v_bfe_u32 v31, v24, 16, 1
	v_add3_u32 v24, v24, v31, s8
	v_add3_u32 v25, v25, v29, s8
	v_pk_mul_f32 v[22:23], v[40:41], v[22:23] op_sel_hi:[0,1]
	v_perm_b32 v31, v25, v24, s33
	v_bfe_u32 v24, v23, 16, 1
	v_bfe_u32 v25, v22, 16, 1
	v_pk_mul_f32 v[20:21], v[40:41], v[20:21] op_sel_hi:[0,1]
	v_add3_u32 v22, v22, v25, s8
	v_add3_u32 v23, v23, v24, s8
	v_perm_b32 v22, v23, v22, s33
	v_bfe_u32 v23, v21, 16, 1
	v_bfe_u32 v24, v20, 16, 1
	v_add3_u32 v20, v20, v24, s8
	v_add3_u32 v21, v21, v23, s8
	v_perm_b32 v23, v21, v20, s33
	v_cmp_gt_u32_e32 vcc, 15, v0
	ds_write2st64_b64 v18, v[30:31], v[22:23] offset0:2 offset1:3
	s_and_saveexec_b64 s[4:5], vcc
	s_cbranch_execz .LBB1102_17
; %bb.16:
	s_mov_b32 s49, 0
	v_mov_b32_e32 v29, 0
	v_lshl_add_u64 v[20:21], s[48:49], 0, v[28:29]
	v_mov_b32_e32 v22, s7
	v_mad_u64_u32 v[20:21], s[10:11], s2, v22, v[20:21]
	s_mul_i32 s3, s3, s7
	v_mov_b32_e32 v28, s28
	s_load_dwordx4 s[12:15], s[0:1], 0x58
	v_add_u32_e32 v23, s3, v21
	v_mad_u64_u32 v[20:21], s[10:11], v20, s6, v[28:29]
	v_mov_b32_e32 v22, v21
	v_mad_u64_u32 v[22:23], s[10:11], v23, s6, v[22:23]
	v_mov_b32_e32 v21, v22
	v_lshlrev_b64 v[20:21], 2, v[20:21]
	s_waitcnt lgkmcnt(0)
	v_lshl_add_u64 v[22:23], s[14:15], 0, v[20:21]
	v_lshl_add_u64 v[20:21], s[12:13], 0, v[20:21]
	global_store_dword v[22:23], v27, off
	global_store_dword v[20:21], v38, off
.LBB1102_17:
	s_or_b64 exec, exec, s[4:5]
	s_waitcnt vmcnt(3)
	v_cvt_pk_f32_fp8_e32 v[20:21], v14
	v_cvt_pk_f32_fp8_sdwa v[22:23], v14 src0_sel:WORD_1
	s_mov_b32 s4, 0x7060302
	v_lshl_or_b32 v14, v42, 9, v19
	s_waitcnt lgkmcnt(0)
	s_barrier
	v_perm_b32 v24, v21, v20, s4
	v_perm_b32 v25, v23, v22, s4
	v_cvt_pk_f32_fp8_e32 v[28:29], v15
	ds_read_b128 v[20:23], v14
	v_cvt_pk_f32_fp8_sdwa v[36:37], v15 src0_sel:WORD_1
	s_load_dword s10, s[42:43], 0x0
	v_perm_b32 v38, v29, v28, s4
	ds_read_b128 v[28:31], v14 offset:16
	v_perm_b32 v39, v37, v36, s4
	s_waitcnt lgkmcnt(0)
	v_mfma_f32_16x16x16_bf16 v[32:35], v[24:25], v[20:21], 0
	v_cvt_pk_f32_fp8_e32 v[24:25], v16
	v_cvt_pk_f32_fp8_sdwa v[36:37], v16 src0_sel:WORD_1
	v_cmp_gt_u32_e32 vcc, 64, v0
	v_mfma_f32_16x16x16_bf16 v[20:23], v[38:39], v[22:23], v[32:35]
	v_perm_b32 v24, v25, v24, s4
	v_perm_b32 v25, v37, v36, s4
	s_mov_b32 s3, 0
	v_cvt_pk_f32_fp8_e32 v[32:33], v17
	v_cvt_pk_f32_fp8_sdwa v[16:17], v17 src0_sel:WORD_1
	s_waitcnt vmcnt(2)
	v_cvt_pk_f32_fp8_sdwa v[34:35], v10 src0_sel:WORD_1
	v_mfma_f32_16x16x16_bf16 v[20:23], v[24:25], v[28:29], v[20:23]
	v_perm_b32 v36, v33, v32, s4
	v_cvt_pk_f32_fp8_e32 v[32:33], v10
	v_perm_b32 v37, v17, v16, s4
	v_perm_b32 v17, v35, v34, s4
	v_cvt_pk_f32_fp8_e32 v[24:25], v11
	v_perm_b32 v16, v33, v32, s4
	ds_read_b128 v[32:35], v14 offset:2048
	v_cvt_pk_f32_fp8_sdwa v[10:11], v11 src0_sel:WORD_1
	v_mfma_f32_16x16x16_bf16 v[20:23], v[36:37], v[30:31], v[20:23]
	ds_read_b128 v[28:31], v14 offset:2064
	v_perm_b32 v24, v25, v24, s4
	v_perm_b32 v25, v11, v10, s4
	s_waitcnt lgkmcnt(1)
	v_mfma_f32_16x16x16_bf16 v[20:23], v[16:17], v[32:33], v[20:23]
	v_cvt_pk_f32_fp8_e32 v[10:11], v12
	v_cvt_pk_f32_fp8_sdwa v[16:17], v12 src0_sel:WORD_1
	s_waitcnt vmcnt(1)
	v_cvt_pk_f32_fp8_sdwa v[32:33], v6 src0_sel:WORD_1
	v_mfma_f32_16x16x16_bf16 v[20:23], v[24:25], v[34:35], v[20:23]
	v_cvt_pk_f32_fp8_e32 v[24:25], v13
	v_perm_b32 v10, v11, v10, s4
	v_perm_b32 v11, v17, v16, s4
	v_cvt_pk_f32_fp8_sdwa v[12:13], v13 src0_sel:WORD_1
	v_perm_b32 v16, v25, v24, s4
	v_cvt_pk_f32_fp8_e32 v[24:25], v6
	v_mov_b32_e32 v27, 0
	v_perm_b32 v17, v13, v12, s4
	s_waitcnt lgkmcnt(0)
	v_mfma_f32_16x16x16_bf16 v[10:13], v[10:11], v[28:29], v[20:23]
	v_perm_b32 v24, v25, v24, s4
	v_perm_b32 v25, v33, v32, s4
	v_cvt_pk_f32_fp8_e32 v[28:29], v7
	ds_read_b128 v[20:23], v14 offset:4096
	v_cvt_pk_f32_fp8_sdwa v[6:7], v7 src0_sel:WORD_1
	v_mfma_f32_16x16x16_bf16 v[10:13], v[16:17], v[30:31], v[10:13]
	v_perm_b32 v16, v29, v28, s4
	ds_read_b128 v[28:31], v14 offset:4112
	v_perm_b32 v17, v7, v6, s4
	s_waitcnt lgkmcnt(1)
	v_mfma_f32_16x16x16_bf16 v[10:13], v[24:25], v[20:21], v[10:13]
	v_cvt_pk_f32_fp8_e32 v[6:7], v8
	v_cvt_pk_f32_fp8_sdwa v[20:21], v8 src0_sel:WORD_1
	v_perm_b32 v6, v7, v6, s4
	v_mfma_f32_16x16x16_bf16 v[10:13], v[16:17], v[22:23], v[10:13]
	v_cvt_pk_f32_fp8_e32 v[16:17], v9
	v_perm_b32 v7, v21, v20, s4
	v_cvt_pk_f32_fp8_sdwa v[8:9], v9 src0_sel:WORD_1
	s_waitcnt vmcnt(0)
	v_cvt_pk_f32_fp8_e32 v[20:21], v2
	v_perm_b32 v16, v17, v16, s4
	v_cvt_pk_f32_fp8_sdwa v[22:23], v2 src0_sel:WORD_1
	v_perm_b32 v17, v9, v8, s4
	s_waitcnt lgkmcnt(0)
	v_mfma_f32_16x16x16_bf16 v[6:9], v[6:7], v[28:29], v[10:13]
	v_perm_b32 v20, v21, v20, s4
	v_perm_b32 v21, v23, v22, s4
	v_cvt_pk_f32_fp8_e32 v[22:23], v3
	ds_read_b128 v[10:13], v14 offset:6144
	v_cvt_pk_f32_fp8_sdwa v[2:3], v3 src0_sel:WORD_1
	v_mfma_f32_16x16x16_bf16 v[6:9], v[16:17], v[30:31], v[6:9]
	v_perm_b32 v22, v23, v22, s4
	ds_read_b128 v[14:17], v14 offset:6160
	v_perm_b32 v23, v3, v2, s4
	s_waitcnt lgkmcnt(1)
	v_mfma_f32_16x16x16_bf16 v[6:9], v[20:21], v[10:11], v[6:9]
	v_cvt_pk_f32_fp8_e32 v[2:3], v4
	v_cvt_pk_f32_fp8_sdwa v[10:11], v4 src0_sel:WORD_1
	s_waitcnt lgkmcnt(0)
	v_mfma_f32_16x16x16_bf16 v[6:9], v[22:23], v[12:13], v[6:9]
	v_perm_b32 v2, v3, v2, s4
	v_perm_b32 v3, v11, v10, s4
	v_cvt_pk_f32_fp8_e32 v[10:11], v5
	v_cvt_pk_f32_fp8_sdwa v[4:5], v5 src0_sel:WORD_1
	s_barrier
	v_perm_b32 v10, v11, v10, s4
	v_perm_b32 v11, v5, v4, s4
	v_mfma_f32_16x16x16_bf16 v[2:5], v[2:3], v[14:15], v[6:9]
	s_nop 0
	v_mfma_f32_16x16x16_bf16 v[2:5], v[10:11], v[16:17], v[2:5]
	s_nop 6
	v_pk_mul_f32 v[2:3], v[2:3], s[10:11] op_sel_hi:[1,0]
	v_pk_mul_f32 v[4:5], v[4:5], s[10:11] op_sel_hi:[1,0]
	v_bfe_u32 v6, v3, 16, 1
	v_bfe_u32 v7, v2, 16, 1
	v_add3_u32 v2, v2, v7, s8
	v_add3_u32 v3, v3, v6, s8
	v_perm_b32 v2, v3, v2, s4
	v_bfe_u32 v3, v5, 16, 1
	v_bfe_u32 v6, v4, 16, 1
	v_add3_u32 v4, v4, v6, s8
	v_add3_u32 v3, v5, v3, s8
	v_perm_b32 v3, v3, v4, s4
	s_and_b64 s[4:5], vcc, s[30:31]
	ds_write_b64 v18, v[2:3]
	s_waitcnt lgkmcnt(0)
	s_barrier
	s_and_saveexec_b64 s[8:9], s[4:5]
	s_cbranch_execz .LBB1102_20
; %bb.18:
	s_load_dwordx2 s[4:5], s[0:1], 0x68
	s_lshl_b32 s0, s6, 6
	s_mul_i32 s1, s7, s2
	s_mul_hi_u32 s7, s1, s0
	s_mul_i32 s6, s1, s0
	v_lshlrev_b32_e32 v0, 10, v0
	s_lshl_b64 s[6:7], s[6:7], 1
	v_and_b32_e32 v0, 0x1800, v0
	v_lshlrev_b32_e32 v2, 5, v42
	v_and_b32_e32 v1, 16, v1
	s_waitcnt lgkmcnt(0)
	s_add_u32 s1, s4, s6
	v_or3_b32 v2, v0, v2, v1
	s_addc_u32 s4, s5, s7
	s_lshl_b32 s2, s28, 6
	ds_read_b128 v[4:7], v2 offset:256
	s_lshl_b64 s[2:3], s[2:3], 1
	ds_read_b128 v[8:11], v2 offset:128
	ds_read_b128 v[12:15], v2
	s_add_u32 s2, s1, s2
	s_addc_u32 s3, s4, s3
	v_add_u32_e32 v3, s48, v42
	v_lshl_add_u64 v[0:1], s[2:3], 0, v[26:27]
	v_mad_u64_u32 v[16:17], s[2:3], v3, s0, 0
	v_lshl_add_u64 v[16:17], v[16:17], 1, v[0:1]
	s_waitcnt lgkmcnt(0)
	global_store_dwordx4 v[16:17], v[12:15], off
	v_cmp_ne_u32_e32 vcc, 3, v42
	s_nop 0
	v_add_u32_e32 v12, 4, v3
	v_mad_u64_u32 v[12:13], s[2:3], v12, s0, 0
	v_lshl_add_u64 v[12:13], v[12:13], 1, v[0:1]
	v_add_u32_e32 v3, 8, v3
	global_store_dwordx4 v[12:13], v[8:11], off
	s_nop 1
	v_mad_u64_u32 v[8:9], s[2:3], v3, s0, 0
	v_lshl_add_u64 v[8:9], v[8:9], 1, v[0:1]
	global_store_dwordx4 v[8:9], v[4:7], off
	s_and_b64 exec, exec, vcc
	s_cbranch_execz .LBB1102_20
; %bb.19:
	ds_read_b128 v[2:5], v2 offset:384
	v_add3_u32 v6, s48, v42, 12
	v_mad_u64_u32 v[6:7], s[0:1], v6, s0, 0
	v_lshl_add_u64 v[0:1], v[6:7], 1, v[0:1]
	s_waitcnt lgkmcnt(0)
	global_store_dwordx4 v[0:1], v[2:5], off
.LBB1102_20:
	s_endpgm
	.section	.rodata,"a",@progbits
	.p2align	6, 0x0
	.amdhsa_kernel _Z39paged_attention_ll4mi_QKV_mfma16_kernelI14__hip_bfloat16hLN4vllm18Fp8KVCacheDataTypeE1EhLi16ELi64ELi256ELb1ELi15EEvPKT_PKT0_S8_ifPKiSA_SA_iPKfiiiPfSD_PS3_PT2_iSC_SC_
		.amdhsa_group_segment_fixed_size 8192
		.amdhsa_private_segment_fixed_size 0
		.amdhsa_kernarg_size 400
		.amdhsa_user_sgpr_count 2
		.amdhsa_user_sgpr_dispatch_ptr 0
		.amdhsa_user_sgpr_queue_ptr 0
		.amdhsa_user_sgpr_kernarg_segment_ptr 1
		.amdhsa_user_sgpr_dispatch_id 0
		.amdhsa_user_sgpr_kernarg_preload_length 0
		.amdhsa_user_sgpr_kernarg_preload_offset 0
		.amdhsa_user_sgpr_private_segment_size 0
		.amdhsa_uses_dynamic_stack 0
		.amdhsa_enable_private_segment 0
		.amdhsa_system_sgpr_workgroup_id_x 1
		.amdhsa_system_sgpr_workgroup_id_y 1
		.amdhsa_system_sgpr_workgroup_id_z 1
		.amdhsa_system_sgpr_workgroup_info 0
		.amdhsa_system_vgpr_workitem_id 0
		.amdhsa_next_free_vgpr 67
		.amdhsa_next_free_sgpr 50
		.amdhsa_accum_offset 68
		.amdhsa_reserve_vcc 1
		.amdhsa_float_round_mode_32 0
		.amdhsa_float_round_mode_16_64 0
		.amdhsa_float_denorm_mode_32 3
		.amdhsa_float_denorm_mode_16_64 3
		.amdhsa_dx10_clamp 1
		.amdhsa_ieee_mode 1
		.amdhsa_fp16_overflow 0
		.amdhsa_tg_split 0
		.amdhsa_exception_fp_ieee_invalid_op 0
		.amdhsa_exception_fp_denorm_src 0
		.amdhsa_exception_fp_ieee_div_zero 0
		.amdhsa_exception_fp_ieee_overflow 0
		.amdhsa_exception_fp_ieee_underflow 0
		.amdhsa_exception_fp_ieee_inexact 0
		.amdhsa_exception_int_div_zero 0
	.end_amdhsa_kernel
	.section	.text._Z39paged_attention_ll4mi_QKV_mfma16_kernelI14__hip_bfloat16hLN4vllm18Fp8KVCacheDataTypeE1EhLi16ELi64ELi256ELb1ELi15EEvPKT_PKT0_S8_ifPKiSA_SA_iPKfiiiPfSD_PS3_PT2_iSC_SC_,"axG",@progbits,_Z39paged_attention_ll4mi_QKV_mfma16_kernelI14__hip_bfloat16hLN4vllm18Fp8KVCacheDataTypeE1EhLi16ELi64ELi256ELb1ELi15EEvPKT_PKT0_S8_ifPKiSA_SA_iPKfiiiPfSD_PS3_PT2_iSC_SC_,comdat
.Lfunc_end1102:
	.size	_Z39paged_attention_ll4mi_QKV_mfma16_kernelI14__hip_bfloat16hLN4vllm18Fp8KVCacheDataTypeE1EhLi16ELi64ELi256ELb1ELi15EEvPKT_PKT0_S8_ifPKiSA_SA_iPKfiiiPfSD_PS3_PT2_iSC_SC_, .Lfunc_end1102-_Z39paged_attention_ll4mi_QKV_mfma16_kernelI14__hip_bfloat16hLN4vllm18Fp8KVCacheDataTypeE1EhLi16ELi64ELi256ELb1ELi15EEvPKT_PKT0_S8_ifPKiSA_SA_iPKfiiiPfSD_PS3_PT2_iSC_SC_
                                        ; -- End function
	.section	.AMDGPU.csdata,"",@progbits
; Kernel info:
; codeLenInByte = 5168
; NumSgprs: 56
; NumVgprs: 67
; NumAgprs: 0
; TotalNumVgprs: 67
; ScratchSize: 0
; MemoryBound: 0
; FloatMode: 240
; IeeeMode: 1
; LDSByteSize: 8192 bytes/workgroup (compile time only)
; SGPRBlocks: 6
; VGPRBlocks: 8
; NumSGPRsForWavesPerEU: 56
; NumVGPRsForWavesPerEU: 67
; AccumOffset: 68
; Occupancy: 7
; WaveLimiterHint : 1
; COMPUTE_PGM_RSRC2:SCRATCH_EN: 0
; COMPUTE_PGM_RSRC2:USER_SGPR: 2
; COMPUTE_PGM_RSRC2:TRAP_HANDLER: 0
; COMPUTE_PGM_RSRC2:TGID_X_EN: 1
; COMPUTE_PGM_RSRC2:TGID_Y_EN: 1
; COMPUTE_PGM_RSRC2:TGID_Z_EN: 1
; COMPUTE_PGM_RSRC2:TIDIG_COMP_CNT: 0
; COMPUTE_PGM_RSRC3_GFX90A:ACCUM_OFFSET: 16
; COMPUTE_PGM_RSRC3_GFX90A:TG_SPLIT: 0
	.section	.text._Z39paged_attention_ll4mi_QKV_mfma16_kernelI14__hip_bfloat16hLN4vllm18Fp8KVCacheDataTypeE1EhLi16ELi64ELi256ELb1ELi16EEvPKT_PKT0_S8_ifPKiSA_SA_iPKfiiiPfSD_PS3_PT2_iSC_SC_,"axG",@progbits,_Z39paged_attention_ll4mi_QKV_mfma16_kernelI14__hip_bfloat16hLN4vllm18Fp8KVCacheDataTypeE1EhLi16ELi64ELi256ELb1ELi16EEvPKT_PKT0_S8_ifPKiSA_SA_iPKfiiiPfSD_PS3_PT2_iSC_SC_,comdat
	.protected	_Z39paged_attention_ll4mi_QKV_mfma16_kernelI14__hip_bfloat16hLN4vllm18Fp8KVCacheDataTypeE1EhLi16ELi64ELi256ELb1ELi16EEvPKT_PKT0_S8_ifPKiSA_SA_iPKfiiiPfSD_PS3_PT2_iSC_SC_ ; -- Begin function _Z39paged_attention_ll4mi_QKV_mfma16_kernelI14__hip_bfloat16hLN4vllm18Fp8KVCacheDataTypeE1EhLi16ELi64ELi256ELb1ELi16EEvPKT_PKT0_S8_ifPKiSA_SA_iPKfiiiPfSD_PS3_PT2_iSC_SC_
	.globl	_Z39paged_attention_ll4mi_QKV_mfma16_kernelI14__hip_bfloat16hLN4vllm18Fp8KVCacheDataTypeE1EhLi16ELi64ELi256ELb1ELi16EEvPKT_PKT0_S8_ifPKiSA_SA_iPKfiiiPfSD_PS3_PT2_iSC_SC_
	.p2align	8
	.type	_Z39paged_attention_ll4mi_QKV_mfma16_kernelI14__hip_bfloat16hLN4vllm18Fp8KVCacheDataTypeE1EhLi16ELi64ELi256ELb1ELi16EEvPKT_PKT0_S8_ifPKiSA_SA_iPKfiiiPfSD_PS3_PT2_iSC_SC_,@function
_Z39paged_attention_ll4mi_QKV_mfma16_kernelI14__hip_bfloat16hLN4vllm18Fp8KVCacheDataTypeE1EhLi16ELi64ELi256ELb1ELi16EEvPKT_PKT0_S8_ifPKiSA_SA_iPKfiiiPfSD_PS3_PT2_iSC_SC_: ; @_Z39paged_attention_ll4mi_QKV_mfma16_kernelI14__hip_bfloat16hLN4vllm18Fp8KVCacheDataTypeE1EhLi16ELi64ELi256ELb1ELi16EEvPKT_PKT0_S8_ifPKiSA_SA_iPKfiiiPfSD_PS3_PT2_iSC_SC_
; %bb.0:
	s_load_dwordx2 s[14:15], s[0:1], 0x30
	s_mov_b32 s24, s3
	s_mov_b64 s[6:7], 0
	s_waitcnt lgkmcnt(0)
	s_cmp_lg_u64 s[14:15], 0
	s_cselect_b64 s[16:17], -1, 0
	s_and_b64 vcc, exec, s[16:17]
	s_cbranch_vccz .LBB1103_7
; %bb.1:
	s_add_i32 s8, s2, 1
	s_mov_b32 s9, 0
	s_lshl_b64 s[10:11], s[8:9], 2
	s_add_u32 s10, s14, s10
	s_mov_b32 s3, s9
	s_addc_u32 s11, s15, s11
	s_lshl_b64 s[8:9], s[2:3], 2
	s_add_u32 s8, s14, s8
	s_addc_u32 s9, s15, s9
	s_load_dword s5, s[10:11], 0x0
	s_load_dword s12, s[8:9], 0x0
	s_waitcnt lgkmcnt(0)
	s_sub_i32 s5, s5, s12
	s_cmp_eq_u32 s5, 1
	s_cselect_b64 s[8:9], -1, 0
	s_andn2_b64 vcc, exec, s[6:7]
	s_cbranch_vccnz .LBB1103_3
.LBB1103_2:
	s_mov_b32 s3, 0
	s_mov_b64 s[8:9], -1
.LBB1103_3:
	s_andn2_b64 vcc, exec, s[8:9]
	s_cbranch_vccnz .LBB1103_17
; %bb.4:
	s_load_dwordx2 s[6:7], s[0:1], 0x28
	s_lshl_b64 s[18:19], s[2:3], 2
	s_waitcnt lgkmcnt(0)
	s_add_u32 s6, s6, s18
	s_addc_u32 s7, s7, s19
	s_load_dword s48, s[6:7], 0x0
	s_lshl_b32 s5, s24, 8
	s_waitcnt lgkmcnt(0)
	s_cmp_ge_i32 s5, s48
	s_cbranch_scc1 .LBB1103_17
; %bb.5:
	s_load_dwordx2 s[6:7], s[0:1], 0x20
	s_load_dword s8, s[0:1], 0x38
	s_add_i32 s9, s48, 15
	s_ashr_i32 s10, s9, 31
	v_and_b32_e32 v1, 0xcf, v0
	s_lshr_b32 s10, s10, 28
	v_add_u32_e32 v1, s5, v1
	s_add_i32 s9, s9, s10
	v_ashrrev_i32_e32 v2, 31, v1
	s_ashr_i32 s20, s9, 4
	v_lshrrev_b32_e32 v4, 28, v2
	s_add_i32 s20, s20, -1
	s_waitcnt lgkmcnt(0)
	s_mul_i32 s8, s2, s8
	s_mov_b32 s9, 0
	v_add_u32_e32 v2, v1, v4
	s_lshl_b64 s[8:9], s[8:9], 2
	v_ashrrev_i32_e32 v2, 4, v2
	v_mov_b32_e32 v5, s20
	v_cmp_gt_i32_e32 vcc, s48, v1
	s_add_u32 s6, s6, s8
	s_addc_u32 s7, s7, s9
	v_cndmask_b32_e32 v2, v5, v2, vcc
	v_ashrrev_i32_e32 v3, 31, v2
	v_lshl_add_u64 v[6:7], v[2:3], 2, s[6:7]
	v_or_b32_e32 v2, 16, v1
	v_add_u32_e32 v3, v2, v4
	v_ashrrev_i32_e32 v3, 4, v3
	v_cmp_gt_i32_e32 vcc, s48, v2
	s_nop 1
	v_cndmask_b32_e32 v2, v5, v3, vcc
	v_ashrrev_i32_e32 v3, 31, v2
	v_lshl_add_u64 v[8:9], v[2:3], 2, s[6:7]
	v_or_b32_e32 v2, 32, v1
	v_add_u32_e32 v3, v2, v4
	v_ashrrev_i32_e32 v3, 4, v3
	v_cmp_gt_i32_e32 vcc, s48, v2
	v_or_b32_e32 v1, 48, v1
	s_nop 0
	v_cndmask_b32_e32 v2, v5, v3, vcc
	v_ashrrev_i32_e32 v3, 31, v2
	v_lshl_add_u64 v[10:11], v[2:3], 2, s[6:7]
	v_add_u32_e32 v2, v1, v4
	v_ashrrev_i32_e32 v2, 4, v2
	v_cmp_gt_i32_e32 vcc, s48, v1
	s_nop 1
	v_cndmask_b32_e32 v2, v5, v2, vcc
	v_ashrrev_i32_e32 v3, 31, v2
	v_lshl_add_u64 v[14:15], v[2:3], 2, s[6:7]
	global_load_dword v4, v[6:7], off
	global_load_dword v3, v[8:9], off
	global_load_dword v2, v[10:11], off
	global_load_dword v12, v[14:15], off
	s_load_dwordx2 s[12:13], s[0:1], 0x40
	s_load_dwordx4 s[8:11], s[0:1], 0x8
	s_andn2_b64 vcc, exec, s[16:17]
	s_cbranch_vccnz .LBB1103_8
; %bb.6:
	s_add_u32 s14, s14, s18
	s_addc_u32 s15, s15, s19
	s_load_dword s16, s[14:15], 0x0
	s_branch .LBB1103_9
.LBB1103_7:
	s_mov_b64 s[8:9], 0
	s_branch .LBB1103_2
.LBB1103_8:
	s_mov_b32 s16, s2
.LBB1103_9:
	s_load_dwordx4 s[44:47], s[0:1], 0x48
	v_and_b32_e32 v45, 15, v0
	s_movk_i32 s14, 0x100
	v_lshlrev_b32_e32 v5, 3, v45
	v_cmp_gt_u32_e32 vcc, s14, v0
	v_cmp_gt_u32_e64 s[26:27], 8, v45
	v_lshrrev_b32_e32 v43, 6, v0
	v_and_b32_e32 v44, 63, v0
	v_bfe_u32 v1, v0, 4, 2
	s_lshl_b32 s25, s4, 4
	s_and_b64 s[18:19], vcc, s[26:27]
	v_lshlrev_b32_e32 v26, 1, v5
	v_lshlrev_b32_e32 v42, 4, v0
	s_and_saveexec_b64 s[14:15], s[18:19]
	s_cbranch_execz .LBB1103_11
; %bb.10:
	s_load_dwordx2 s[18:19], s[0:1], 0x0
	s_waitcnt lgkmcnt(0)
	s_ashr_i32 s17, s44, 31
	s_mul_hi_u32 s21, s16, s44
	s_mul_i32 s17, s16, s17
	s_add_i32 s17, s21, s17
	s_mul_i32 s16, s16, s44
	v_lshl_or_b32 v5, v43, 2, v1
	s_lshl_b64 s[16:17], s[16:17], 1
	s_add_u32 s16, s18, s16
	v_add_lshl_u32 v6, v5, s25, 6
	s_addc_u32 s17, s19, s17
	v_ashrrev_i32_e32 v7, 31, v6
	v_lshl_add_u64 v[6:7], v[6:7], 1, s[16:17]
	v_mov_b32_e32 v27, 0
	v_lshl_add_u64 v[6:7], v[6:7], 0, v[26:27]
	global_load_dwordx4 v[6:9], v[6:7], off
	v_lshlrev_b32_e32 v11, 8, v45
	v_lshlrev_b32_e32 v5, 5, v5
	v_and_b32_e32 v10, 16, v42
	v_and_b32_e32 v11, 0xe00, v11
	v_or3_b32 v5, v11, v5, v10
	s_waitcnt vmcnt(0)
	ds_write_b128 v5, v[6:9]
.LBB1103_11:
	s_or_b64 exec, exec, s[14:15]
	s_waitcnt lgkmcnt(0)
	s_mul_i32 s4, s4, s46
	s_add_u32 s8, s8, s4
	s_addc_u32 s9, s9, 0
	v_and_b32_e32 v8, 48, v0
	v_and_b32_e32 v30, 0xf0, v42
	v_mov_b32_e32 v31, 0
	v_lshl_add_u64 v[6:7], s[8:9], 0, v[30:31]
	v_lshlrev_b32_e32 v30, 4, v8
	v_or_b32_e32 v13, s5, v8
	v_lshl_add_u64 v[10:11], v[6:7], 0, v[30:31]
	v_ashrrev_i32_e32 v6, 4, v13
	v_mov_b32_e32 v30, s20
	v_cmp_gt_i32_e32 vcc, s48, v13
	s_load_dword s33, s[0:1], 0x98
	s_load_dwordx4 s[40:43], s[0:1], 0x80
	v_cndmask_b32_e32 v6, v30, v6, vcc
	v_ashrrev_i32_e32 v7, 31, v6
	v_lshl_add_u64 v[6:7], v[6:7], 2, s[6:7]
	s_waitcnt lgkmcnt(0)
	s_barrier
	s_waitcnt vmcnt(3)
	v_mad_i64_i32 v[4:5], s[8:9], v4, s45, v[10:11]
	global_load_dword v38, v[6:7], off
	global_load_dwordx4 v[22:25], v[4:5], off
	s_waitcnt vmcnt(4)
	v_mad_i64_i32 v[4:5], s[8:9], v3, s45, v[10:11]
	global_load_dwordx4 v[18:21], v[4:5], off
	s_waitcnt vmcnt(4)
	v_mad_i64_i32 v[2:3], s[8:9], v2, s45, v[10:11]
	global_load_dwordx4 v[14:17], v[2:3], off
	v_or_b32_e32 v28, s25, v45
	v_ashrrev_i32_e32 v29, 31, v28
	v_lshlrev_b32_e32 v46, 5, v45
	v_lshl_add_u64 v[32:33], v[28:29], 2, s[12:13]
	v_or_b32_e32 v29, 64, v13
	v_lshl_or_b32 v27, v1, 9, v46
	v_or_b32_e32 v34, 0x80, v13
	v_or_b32_e32 v36, 0xc0, v13
	v_ashrrev_i32_e32 v13, 4, v29
	v_cmp_gt_i32_e32 vcc, s48, v29
	s_waitcnt vmcnt(4)
	v_mad_i64_i32 v[10:11], s[12:13], v12, s45, v[10:11]
	ds_read_b128 v[6:9], v27
	ds_read_b128 v[2:5], v27 offset:16
	global_load_dword v49, v[32:33], off
	v_cndmask_b32_e32 v32, v30, v13, vcc
	global_load_dwordx4 v[10:13], v[10:11], off
	v_ashrrev_i32_e32 v33, 4, v34
	v_cmp_gt_i32_e32 vcc, s48, v34
	v_ashrrev_i32_e32 v37, 4, v36
	v_lshlrev_b32_e32 v35, 4, v45
	v_cndmask_b32_e32 v34, v30, v33, vcc
	v_cmp_gt_i32_e32 vcc, s48, v36
	v_ashrrev_i32_e32 v33, 31, v32
	v_lshl_add_u64 v[32:33], v[32:33], 2, s[6:7]
	v_cndmask_b32_e32 v36, v30, v37, vcc
	v_lshl_or_b32 v30, v43, 8, v35
	v_ashrrev_i32_e32 v35, 31, v34
	v_ashrrev_i32_e32 v37, 31, v36
	v_lshl_add_u64 v[34:35], v[34:35], 2, s[6:7]
	v_lshl_add_u64 v[36:37], v[36:37], 2, s[6:7]
	s_add_u32 s8, s10, s4
	s_load_dword s4, s[40:41], 0x0
	global_load_dword v48, v[32:33], off
	global_load_dword v29, v[34:35], off
	;; [unrolled: 1-line block ×3, first 2 shown]
	s_addc_u32 s9, s11, 0
	s_mov_b32 s44, 0x7060302
	v_lshl_add_u64 v[30:31], s[8:9], 0, v[30:31]
	s_load_dword s14, s[0:1], 0x1c
	s_mov_b32 s46, 0xff7fffff
	s_waitcnt vmcnt(8)
	v_mad_i64_i32 v[32:33], s[6:7], v38, s45, v[30:31]
	s_waitcnt vmcnt(7)
	v_cvt_pk_f32_fp8_e32 v[34:35], v22
	v_cvt_pk_f32_fp8_sdwa v[36:37], v22 src0_sel:WORD_1
	v_cvt_pk_f32_fp8_e32 v[38:39], v23
	v_cvt_pk_f32_fp8_sdwa v[40:41], v23 src0_sel:WORD_1
	v_perm_b32 v34, v35, v34, s44
	v_perm_b32 v35, v37, v36, s44
	s_waitcnt vmcnt(6)
	v_cvt_pk_f32_fp8_e32 v[22:23], v18
	v_cvt_pk_f32_fp8_e32 v[50:51], v24
	v_cvt_pk_f32_fp8_sdwa v[52:53], v24 src0_sel:WORD_1
	v_perm_b32 v38, v39, v38, s44
	v_perm_b32 v39, v41, v40, s44
	v_cvt_pk_f32_fp8_e32 v[54:55], v25
	v_cvt_pk_f32_fp8_sdwa v[56:57], v18 src0_sel:WORD_1
	v_cvt_pk_f32_fp8_sdwa v[58:59], v25 src0_sel:WORD_1
	v_perm_b32 v36, v23, v22, s44
	s_waitcnt lgkmcnt(0)
	v_mfma_f32_16x16x16_bf16 v[22:25], v[34:35], v[6:7], 0
	v_perm_b32 v50, v51, v50, s44
	v_perm_b32 v51, v53, v52, s44
	v_cvt_pk_f32_fp8_e32 v[60:61], v19
	v_perm_b32 v37, v57, v56, s44
	v_cvt_pk_f32_fp8_sdwa v[18:19], v19 src0_sel:WORD_1
	v_mfma_f32_16x16x16_bf16 v[22:25], v[38:39], v[8:9], v[22:25]
	v_perm_b32 v52, v55, v54, s44
	v_perm_b32 v53, v59, v58, s44
	v_cvt_pk_f32_fp8_e32 v[40:41], v20
	v_cvt_pk_f32_fp8_sdwa v[38:39], v20 src0_sel:WORD_1
	v_mfma_f32_16x16x16_bf16 v[22:25], v[50:51], v[2:3], v[22:25]
	v_perm_b32 v54, v61, v60, s44
	v_perm_b32 v55, v19, v18, s44
	v_cvt_pk_f32_fp8_e32 v[50:51], v21
	v_mfma_f32_16x16x16_bf16 v[34:37], v[36:37], v[6:7], 0
	v_perm_b32 v40, v41, v40, s44
	v_perm_b32 v41, v39, v38, s44
	s_waitcnt vmcnt(5)
	v_cvt_pk_f32_fp8_sdwa v[38:39], v14 src0_sel:WORD_1
	v_mfma_f32_16x16x16_bf16 v[22:25], v[52:53], v[4:5], v[22:25]
	v_cvt_pk_f32_fp8_sdwa v[52:53], v21 src0_sel:WORD_1
	v_mfma_f32_16x16x16_bf16 v[18:21], v[54:55], v[8:9], v[34:37]
	v_cvt_pk_f32_fp8_sdwa v[54:55], v17 src0_sel:WORD_1
	s_nop 1
	v_mov_b32_e32 v36, s14
	v_perm_b32 v34, v51, v50, s44
	v_perm_b32 v35, v53, v52, s44
	v_mfma_f32_16x16x16_bf16 v[18:21], v[40:41], v[2:3], v[18:21]
	v_mul_f32_e32 v50, s4, v36
	v_cvt_pk_f32_fp8_e32 v[36:37], v14
	v_cvt_pk_f32_fp8_e32 v[40:41], v16
	v_mfma_f32_16x16x16_bf16 v[18:21], v[34:35], v[4:5], v[18:21]
	v_cvt_pk_f32_fp8_e32 v[34:35], v15
	v_perm_b32 v36, v37, v36, s44
	v_perm_b32 v37, v39, v38, s44
	v_cvt_pk_f32_fp8_sdwa v[14:15], v15 src0_sel:WORD_1
	v_perm_b32 v38, v35, v34, s44
	v_cvt_pk_f32_fp8_sdwa v[52:53], v16 src0_sel:WORD_1
	v_mfma_f32_16x16x16_bf16 v[34:37], v[36:37], v[6:7], 0
	v_perm_b32 v39, v15, v14, s44
	v_perm_b32 v40, v41, v40, s44
	v_perm_b32 v41, v53, v52, s44
	v_cvt_pk_f32_fp8_e32 v[52:53], v17
	v_mfma_f32_16x16x16_bf16 v[14:17], v[38:39], v[8:9], v[34:37]
	v_pk_mul_f32 v[38:39], v[50:51], v[22:23] op_sel_hi:[0,1]
	s_waitcnt vmcnt(3)
	v_cvt_pk_f32_fp8_e32 v[22:23], v10
	v_perm_b32 v34, v53, v52, s44
	v_perm_b32 v35, v55, v54, s44
	v_mfma_f32_16x16x16_bf16 v[14:17], v[40:41], v[2:3], v[14:17]
	v_cvt_pk_f32_fp8_sdwa v[36:37], v10 src0_sel:WORD_1
	v_perm_b32 v22, v23, v22, s44
	v_cvt_pk_f32_fp8_e32 v[52:53], v12
	v_mfma_f32_16x16x16_bf16 v[14:17], v[34:35], v[4:5], v[14:17]
	v_cvt_pk_f32_fp8_e32 v[34:35], v11
	v_perm_b32 v23, v37, v36, s44
	v_cvt_pk_f32_fp8_sdwa v[10:11], v11 src0_sel:WORD_1
	v_cvt_pk_f32_fp8_sdwa v[54:55], v12 src0_sel:WORD_1
	v_perm_b32 v40, v35, v34, s44
	v_mfma_f32_16x16x16_bf16 v[34:37], v[22:23], v[6:7], 0
	v_perm_b32 v41, v11, v10, s44
	v_perm_b32 v10, v53, v52, s44
	;; [unrolled: 1-line block ×3, first 2 shown]
	v_cvt_pk_f32_fp8_e32 v[22:23], v13
	v_cvt_pk_f32_fp8_sdwa v[12:13], v13 src0_sel:WORD_1
	v_mfma_f32_16x16x16_bf16 v[6:9], v[40:41], v[8:9], v[34:37]
	v_pk_mul_f32 v[40:41], v[50:51], v[18:19] op_sel_hi:[0,1]
	v_pk_mul_f32 v[24:25], v[50:51], v[24:25] op_sel_hi:[0,1]
	s_nop 0
	v_pk_mul_f32 v[36:37], v[50:51], v[20:21] op_sel_hi:[0,1]
	v_perm_b32 v20, v23, v22, s44
	v_perm_b32 v21, v13, v12, s44
	v_mfma_f32_16x16x16_bf16 v[6:9], v[10:11], v[2:3], v[6:9]
	v_pk_mul_f32 v[22:23], v[50:51], v[16:17] op_sel_hi:[0,1]
	v_pk_mul_f32 v[34:35], v[50:51], v[14:15] op_sel_hi:[0,1]
	v_mfma_f32_16x16x16_bf16 v[2:5], v[20:21], v[4:5], v[6:9]
	s_nop 6
	v_pk_mul_f32 v[20:21], v[50:51], v[2:3] op_sel_hi:[0,1]
	v_and_b32_e32 v2, 0xc0, v0
	v_add_u32_e32 v2, s5, v2
	v_lshl_or_b32 v2, v1, 2, v2
	v_or_b32_e32 v3, 1, v2
	v_pk_mul_f32 v[18:19], v[50:51], v[4:5] op_sel_hi:[0,1]
	v_subrev_u32_e32 v4, s48, v3
	v_add_u32_e32 v6, 1, v4
	v_add_u32_e32 v7, 2, v4
	v_cvt_f32_i32_e32 v5, v4
	v_cvt_f32_i32_e32 v6, v6
	;; [unrolled: 1-line block ×3, first 2 shown]
	v_add_u32_e32 v8, 3, v4
	v_fma_f32 v9, v49, v5, v38
	v_fmac_f32_e32 v39, v49, v6
	v_fma_f32 v24, v49, v7, v24
	v_add_u32_e32 v5, 16, v4
	v_add_u32_e32 v6, 17, v4
	;; [unrolled: 1-line block ×3, first 2 shown]
	v_cvt_f32_i32_e32 v8, v8
	v_cvt_f32_i32_e32 v5, v5
	v_cvt_f32_i32_e32 v6, v6
	v_cvt_f32_i32_e32 v7, v7
	v_fmac_f32_e32 v25, v49, v8
	v_add_u32_e32 v8, 19, v4
	v_fma_f32 v40, v49, v5, v40
	v_fmac_f32_e32 v41, v49, v6
	v_fma_f32 v36, v49, v7, v36
	v_add_u32_e32 v5, 32, v4
	v_add_u32_e32 v6, 33, v4
	v_add_u32_e32 v7, 34, v4
	v_cvt_f32_i32_e32 v8, v8
	v_cvt_f32_i32_e32 v5, v5
	v_cvt_f32_i32_e32 v6, v6
	v_cvt_f32_i32_e32 v7, v7
	v_fmac_f32_e32 v37, v49, v8
	v_add_u32_e32 v8, 35, v4
	v_fma_f32 v34, v49, v5, v34
	v_fmac_f32_e32 v35, v49, v6
	v_fma_f32 v22, v49, v7, v22
	v_add_u32_e32 v5, 48, v4
	v_add_u32_e32 v6, 49, v4
	;; [unrolled: 1-line block ×4, first 2 shown]
	v_cvt_f32_i32_e32 v4, v4
	v_cvt_f32_i32_e32 v5, v5
	;; [unrolled: 1-line block ×3, first 2 shown]
	v_cmp_gt_i32_e64 s[4:5], s48, v2
	v_fmac_f32_e32 v19, v49, v4
	v_mov_b32_e32 v4, 0xff7fffff
	v_cmp_gt_i32_e64 s[28:29], s48, v3
	v_fma_f32 v20, v49, v5, v20
	v_cndmask_b32_e64 v5, v4, v9, s[4:5]
	v_cndmask_b32_e64 v3, v4, v39, s[28:29]
	v_fmac_f32_e32 v21, v49, v6
	v_max3_f32 v3, v5, s46, v3
	v_or_b32_e32 v5, 2, v2
	v_or_b32_e32 v6, 3, v2
	v_cmp_gt_i32_e64 s[30:31], s48, v5
	v_cmp_gt_i32_e64 s[34:35], s48, v6
	v_cvt_f32_i32_e32 v8, v8
	v_cndmask_b32_e64 v5, v4, v24, s[30:31]
	v_cndmask_b32_e64 v6, v4, v25, s[34:35]
	v_max3_f32 v3, v3, v5, v6
	v_or_b32_e32 v5, 16, v2
	v_or_b32_e32 v6, 17, v2
	v_cmp_gt_i32_e64 s[36:37], s48, v5
	v_cmp_gt_i32_e64 s[38:39], s48, v6
	v_fmac_f32_e32 v23, v49, v8
	v_cndmask_b32_e64 v5, v4, v40, s[36:37]
	v_cndmask_b32_e64 v6, v4, v41, s[38:39]
	v_max3_f32 v3, v3, v5, v6
	v_or_b32_e32 v5, 18, v2
	v_or_b32_e32 v6, 19, v2
	v_cmp_gt_i32_e64 s[20:21], s48, v5
	v_cmp_gt_i32_e64 s[22:23], s48, v6
	v_cvt_f32_i32_e32 v7, v7
	v_cndmask_b32_e64 v5, v4, v36, s[20:21]
	v_cndmask_b32_e64 v6, v4, v37, s[22:23]
	v_max3_f32 v3, v3, v5, v6
	v_or_b32_e32 v5, 32, v2
	v_or_b32_e32 v6, 33, v2
	v_cmp_gt_i32_e64 s[16:17], s48, v5
	v_cmp_gt_i32_e64 s[18:19], s48, v6
	v_fma_f32 v18, v49, v7, v18
	v_cndmask_b32_e64 v5, v4, v34, s[16:17]
	v_cndmask_b32_e64 v6, v4, v35, s[18:19]
	v_max3_f32 v3, v3, v5, v6
	v_or_b32_e32 v5, 34, v2
	v_or_b32_e32 v6, 35, v2
	v_cmp_gt_i32_e64 s[12:13], s48, v5
	v_cmp_gt_i32_e64 s[14:15], s48, v6
	s_nop 0
	v_cndmask_b32_e64 v5, v4, v22, s[12:13]
	v_cndmask_b32_e64 v6, v4, v23, s[14:15]
	v_max3_f32 v3, v3, v5, v6
	v_or_b32_e32 v5, 48, v2
	v_or_b32_e32 v6, 49, v2
	v_cmp_gt_i32_e64 s[8:9], s48, v5
	v_cmp_gt_i32_e64 s[10:11], s48, v6
	s_nop 0
	v_cndmask_b32_e64 v5, v4, v20, s[8:9]
	v_cndmask_b32_e64 v6, v4, v21, s[10:11]
	v_max3_f32 v3, v3, v5, v6
	v_or_b32_e32 v5, 50, v2
	v_or_b32_e32 v2, 51, v2
	v_cmp_gt_i32_e32 vcc, s48, v5
	v_cmp_gt_i32_e64 s[6:7], s48, v2
	s_nop 0
	v_cndmask_b32_e32 v5, v4, v18, vcc
	v_cndmask_b32_e64 v2, v4, v19, s[6:7]
	v_max3_f32 v4, v3, v5, v2
	v_mbcnt_lo_u32_b32 v2, -1, 0
	v_mbcnt_hi_u32_b32 v5, -1, v2
	v_and_b32_e32 v2, 64, v5
	v_add_u32_e32 v6, 64, v2
	v_xor_b32_e32 v2, 32, v5
	v_cmp_lt_i32_e64 s[40:41], v2, v6
	s_nop 1
	v_cndmask_b32_e64 v2, v5, v2, s[40:41]
	v_lshlrev_b32_e32 v49, 2, v2
	ds_bpermute_b32 v7, v49, v4
	s_waitcnt vmcnt(2)
	v_mad_i64_i32 v[2:3], s[40:41], v48, s45, v[30:31]
	global_load_dwordx4 v[14:17], v[32:33], off
	global_load_dwordx4 v[10:13], v[2:3], off
	s_waitcnt lgkmcnt(0)
	v_max_f32_e32 v2, v7, v7
	v_max_f32_e32 v7, v4, v2
	v_xor_b32_e32 v2, 16, v5
	v_cmp_lt_i32_e64 s[40:41], v2, v6
	s_nop 1
	v_cndmask_b32_e64 v2, v5, v2, s[40:41]
	v_lshlrev_b32_e32 v48, 2, v2
	ds_bpermute_b32 v6, v48, v7
	s_waitcnt vmcnt(3)
	v_mad_i64_i32 v[2:3], s[40:41], v29, s45, v[30:31]
	s_waitcnt vmcnt(2)
	v_mad_i64_i32 v[4:5], s[40:41], v47, s45, v[30:31]
	s_waitcnt lgkmcnt(0)
	v_max_f32_e32 v6, v6, v6
	v_max_f32_e32 v29, v7, v6
	v_sub_f32_e32 v6, v9, v29
	v_mul_f32_e32 v6, 0x3fb8aa3b, v6
	v_exp_f32_e32 v30, v6
	v_sub_f32_e32 v6, v39, v29
	v_mul_f32_e32 v6, 0x3fb8aa3b, v6
	v_exp_f32_e32 v31, v6
	global_load_dwordx4 v[6:9], v[2:3], off
	s_nop 0
	global_load_dwordx4 v[2:5], v[4:5], off
	v_sub_f32_e32 v24, v24, v29
	v_mul_f32_e32 v24, 0x3fb8aa3b, v24
	v_sub_f32_e32 v25, v25, v29
	v_exp_f32_e32 v24, v24
	v_mul_f32_e32 v25, 0x3fb8aa3b, v25
	v_exp_f32_e32 v25, v25
	v_cndmask_b32_e64 v30, 0, v30, s[4:5]
	v_add_f32_e32 v32, 0, v30
	v_cndmask_b32_e64 v31, 0, v31, s[28:29]
	v_add_f32_e32 v32, v32, v31
	;; [unrolled: 2-line block ×3, first 2 shown]
	v_cndmask_b32_e64 v39, 0, v25, s[34:35]
	v_sub_f32_e32 v25, v40, v29
	v_sub_f32_e32 v32, v41, v29
	v_mul_f32_e32 v25, 0x3fb8aa3b, v25
	v_mul_f32_e32 v32, 0x3fb8aa3b, v32
	v_exp_f32_e32 v25, v25
	v_exp_f32_e32 v32, v32
	v_add_f32_e32 v33, v24, v39
	v_sub_f32_e32 v22, v22, v29
	v_cndmask_b32_e64 v24, 0, v25, s[36:37]
	v_cndmask_b32_e64 v25, 0, v32, s[38:39]
	v_sub_f32_e32 v32, v36, v29
	v_mul_f32_e32 v32, 0x3fb8aa3b, v32
	v_exp_f32_e32 v32, v32
	v_sub_f32_e32 v36, v37, v29
	v_add_f32_e32 v33, v33, v24
	v_mul_f32_e32 v36, 0x3fb8aa3b, v36
	v_exp_f32_e32 v37, v36
	v_add_f32_e32 v33, v33, v25
	v_cndmask_b32_e64 v36, 0, v32, s[20:21]
	v_add_f32_e32 v32, v33, v36
	v_sub_f32_e32 v33, v34, v29
	v_mul_f32_e32 v33, 0x3fb8aa3b, v33
	v_sub_f32_e32 v34, v35, v29
	v_exp_f32_e32 v33, v33
	v_mul_f32_e32 v34, 0x3fb8aa3b, v34
	v_exp_f32_e32 v34, v34
	v_mul_f32_e32 v22, 0x3fb8aa3b, v22
	v_sub_f32_e32 v23, v23, v29
	v_exp_f32_e32 v22, v22
	v_mul_f32_e32 v23, 0x3fb8aa3b, v23
	v_sub_f32_e32 v20, v20, v29
	v_cndmask_b32_e64 v37, 0, v37, s[22:23]
	v_exp_f32_e32 v23, v23
	v_mul_f32_e32 v20, 0x3fb8aa3b, v20
	v_sub_f32_e32 v21, v21, v29
	v_add_f32_e32 v35, v32, v37
	v_cndmask_b32_e64 v32, 0, v33, s[16:17]
	v_exp_f32_e32 v20, v20
	v_mul_f32_e32 v21, 0x3fb8aa3b, v21
	v_sub_f32_e32 v18, v18, v29
	v_add_f32_e32 v35, v35, v32
	;; [unrolled: 5-line block ×3, first 2 shown]
	v_cndmask_b32_e64 v22, 0, v22, s[12:13]
	v_exp_f32_e32 v18, v18
	v_mul_f32_e32 v19, 0x3fb8aa3b, v19
	v_add_f32_e32 v34, v34, v22
	v_cndmask_b32_e64 v23, 0, v23, s[14:15]
	v_exp_f32_e32 v19, v19
	v_add_f32_e32 v34, v34, v23
	v_cndmask_b32_e64 v20, 0, v20, s[8:9]
	v_add_f32_e32 v34, v34, v20
	v_cndmask_b32_e64 v21, 0, v21, s[10:11]
	v_add_f32_e32 v34, v34, v21
	v_cndmask_b32_e32 v18, 0, v18, vcc
	v_add_f32_e32 v34, v34, v18
	v_cndmask_b32_e64 v19, 0, v19, s[6:7]
	v_add_f32_e32 v34, v34, v19
	ds_bpermute_b32 v35, v49, v34
	v_cmp_gt_u32_e32 vcc, 16, v44
	s_waitcnt lgkmcnt(0)
	s_barrier
	v_add_f32_e32 v34, v34, v35
	ds_bpermute_b32 v40, v48, v34
	v_lshlrev_b32_e32 v35, 2, v45
	s_and_saveexec_b64 s[4:5], vcc
	s_cbranch_execz .LBB1103_13
; %bb.12:
	s_waitcnt lgkmcnt(0)
	v_add_f32_e32 v34, v34, v40
	v_lshl_or_b32 v40, v43, 6, v35
	ds_write2st64_b32 v40, v29, v34 offset1:1
.LBB1103_13:
	s_or_b64 exec, exec, s[4:5]
	s_load_dword s6, s[0:1], 0x94
	s_waitcnt lgkmcnt(0)
	s_barrier
	ds_read2_b32 v[40:41], v35 offset1:16
	ds_read2_b32 v[44:45], v35 offset0:32 offset1:48
	ds_read2_b32 v[48:49], v35 offset0:64 offset1:80
	s_movk_i32 s8, 0x7fff
	s_lshl_b32 s7, s33, 4
	s_waitcnt lgkmcnt(2)
	v_max3_f32 v29, v40, s46, v41
	s_waitcnt lgkmcnt(1)
	v_max3_f32 v34, v29, v44, v45
	v_sub_f32_e32 v29, v40, v34
	v_sub_f32_e32 v40, v41, v34
	v_mul_f32_e32 v40, 0x3fb8aa3b, v40
	v_mul_f32_e32 v29, 0x3fb8aa3b, v29
	v_exp_f32_e32 v47, v40
	v_sub_f32_e32 v40, v44, v34
	v_exp_f32_e32 v29, v29
	v_mul_f32_e32 v40, 0x3fb8aa3b, v40
	v_exp_f32_e32 v44, v40
	ds_read2_b32 v[40:41], v35 offset0:96 offset1:112
	v_sub_f32_e32 v35, v45, v34
	v_mul_f32_e32 v35, 0x3fb8aa3b, v35
	v_exp_f32_e32 v45, v35
	s_waitcnt lgkmcnt(1)
	v_fma_f32 v35, v29, v48, 0
	v_fmac_f32_e32 v35, v47, v49
	s_waitcnt lgkmcnt(0)
	v_fmac_f32_e32 v35, v44, v40
	v_fmac_f32_e32 v35, v45, v41
	v_add_f32_e32 v40, 0x358637bd, v35
	v_div_scale_f32 v41, s[4:5], v40, v40, 1.0
	v_rcp_f32_e32 v48, v41
	s_barrier
	v_fma_f32 v49, -v41, v48, 1.0
	v_fmac_f32_e32 v48, v49, v48
	v_div_scale_f32 v49, vcc, 1.0, v40, 1.0
	v_mul_f32_e32 v50, v49, v48
	v_fma_f32 v51, -v41, v50, v49
	v_fmac_f32_e32 v50, v51, v48
	v_fma_f32 v41, -v41, v50, v49
	v_div_fmas_f32 v41, v41, v48, v50
	v_cmp_eq_u32_e32 vcc, 1, v43
	v_div_fixup_f32 v40, v41, v40, 1.0
	s_nop 0
	v_cndmask_b32_e32 v29, v29, v47, vcc
	v_cmp_eq_u32_e32 vcc, 2, v43
	s_nop 1
	v_cndmask_b32_e32 v29, v29, v44, vcc
	v_cmp_eq_u32_e32 vcc, 3, v43
	s_nop 1
	v_cndmask_b32_e32 v29, v29, v45, vcc
	v_mul_f32_e32 v40, v29, v40
	v_pk_mul_f32 v[30:31], v[40:41], v[30:31] op_sel_hi:[0,1]
	v_pk_mul_f32 v[38:39], v[40:41], v[38:39] op_sel_hi:[0,1]
	v_bfe_u32 v29, v31, 16, 1
	v_bfe_u32 v41, v30, 16, 1
	v_add3_u32 v30, v30, v41, s8
	v_add3_u32 v29, v31, v29, s8
	v_perm_b32 v44, v29, v30, s44
	v_bfe_u32 v29, v39, 16, 1
	v_bfe_u32 v30, v38, 16, 1
	v_add3_u32 v30, v38, v30, s8
	v_add3_u32 v29, v39, v29, s8
	v_perm_b32 v45, v29, v30, s44
	v_lshlrev_b32_e32 v29, 3, v1
	v_lshlrev_b32_e32 v30, 11, v43
	v_pk_mul_f32 v[24:25], v[40:41], v[24:25] op_sel_hi:[0,1]
	v_or3_b32 v30, v30, v46, v29
	v_bfe_u32 v29, v25, 16, 1
	v_bfe_u32 v31, v24, 16, 1
	v_pk_mul_f32 v[36:37], v[40:41], v[36:37] op_sel_hi:[0,1]
	v_add3_u32 v24, v24, v31, s8
	v_add3_u32 v25, v25, v29, s8
	v_perm_b32 v24, v25, v24, s44
	v_bfe_u32 v25, v37, 16, 1
	v_bfe_u32 v29, v36, 16, 1
	v_add3_u32 v29, v36, v29, s8
	v_add3_u32 v25, v37, v25, s8
	v_perm_b32 v25, v25, v29, s44
	ds_write2st64_b64 v30, v[44:45], v[24:25] offset1:1
	v_pk_mul_f32 v[24:25], v[40:41], v[32:33] op_sel_hi:[0,1]
	v_bfe_u32 v29, v25, 16, 1
	v_bfe_u32 v31, v24, 16, 1
	v_pk_mul_f32 v[22:23], v[40:41], v[22:23] op_sel_hi:[0,1]
	v_add3_u32 v24, v24, v31, s8
	v_add3_u32 v25, v25, v29, s8
	v_perm_b32 v24, v25, v24, s44
	v_bfe_u32 v25, v23, 16, 1
	v_bfe_u32 v29, v22, 16, 1
	v_add3_u32 v22, v22, v29, s8
	v_add3_u32 v23, v23, v25, s8
	v_pk_mul_f32 v[20:21], v[40:41], v[20:21] op_sel_hi:[0,1]
	v_perm_b32 v25, v23, v22, s44
	v_bfe_u32 v22, v21, 16, 1
	v_bfe_u32 v23, v20, 16, 1
	v_pk_mul_f32 v[18:19], v[40:41], v[18:19] op_sel_hi:[0,1]
	v_add3_u32 v20, v20, v23, s8
	v_add3_u32 v21, v21, v22, s8
	v_perm_b32 v20, v21, v20, s44
	v_bfe_u32 v21, v19, 16, 1
	v_bfe_u32 v22, v18, 16, 1
	v_add3_u32 v18, v18, v22, s8
	v_add3_u32 v19, v19, v21, s8
	v_perm_b32 v21, v19, v18, s44
	v_cmp_gt_u32_e32 vcc, 16, v0
	ds_write2st64_b64 v30, v[24:25], v[20:21] offset0:2 offset1:3
	s_and_saveexec_b64 s[4:5], vcc
	s_cbranch_execz .LBB1103_15
; %bb.14:
	v_mov_b32_e32 v29, 0
	v_mov_b32_e32 v18, s7
	s_mul_i32 s3, s3, s7
	v_mad_u64_u32 v[18:19], s[10:11], s2, v18, v[28:29]
	v_mov_b32_e32 v28, s24
	s_load_dwordx4 s[12:15], s[0:1], 0x58
	v_add_u32_e32 v21, s3, v19
	v_mad_u64_u32 v[18:19], s[10:11], v18, s6, v[28:29]
	v_mov_b32_e32 v20, v19
	v_mad_u64_u32 v[20:21], s[10:11], v21, s6, v[20:21]
	v_mov_b32_e32 v19, v20
	v_lshlrev_b64 v[18:19], 2, v[18:19]
	s_waitcnt lgkmcnt(0)
	v_lshl_add_u64 v[20:21], s[14:15], 0, v[18:19]
	v_lshl_add_u64 v[18:19], s[12:13], 0, v[18:19]
	global_store_dword v[20:21], v34, off
	global_store_dword v[18:19], v35, off
.LBB1103_15:
	s_or_b64 exec, exec, s[4:5]
	s_waitcnt vmcnt(3)
	v_cvt_pk_f32_fp8_e32 v[18:19], v14
	v_cvt_pk_f32_fp8_sdwa v[20:21], v14 src0_sel:WORD_1
	s_mov_b32 s4, 0x7060302
	s_waitcnt lgkmcnt(0)
	s_barrier
	v_perm_b32 v28, v19, v18, s4
	v_perm_b32 v29, v21, v20, s4
	v_cvt_pk_f32_fp8_e32 v[22:23], v15
	ds_read_b128 v[18:21], v27
	v_cvt_pk_f32_fp8_sdwa v[14:15], v15 src0_sel:WORD_1
	s_load_dword s10, s[42:43], 0x0
	v_perm_b32 v36, v23, v22, s4
	ds_read_b128 v[22:25], v27 offset:16
	v_perm_b32 v37, v15, v14, s4
	s_waitcnt lgkmcnt(0)
	v_mfma_f32_16x16x16_bf16 v[32:35], v[28:29], v[18:19], 0
	v_cvt_pk_f32_fp8_e32 v[14:15], v16
	v_cvt_pk_f32_fp8_sdwa v[28:29], v16 src0_sel:WORD_1
	v_cmp_gt_u32_e32 vcc, 64, v0
	v_mfma_f32_16x16x16_bf16 v[18:21], v[36:37], v[20:21], v[32:35]
	v_perm_b32 v14, v15, v14, s4
	v_perm_b32 v15, v29, v28, s4
	s_mov_b32 s3, 0
	v_cvt_pk_f32_fp8_e32 v[32:33], v17
	v_cvt_pk_f32_fp8_sdwa v[16:17], v17 src0_sel:WORD_1
	s_waitcnt vmcnt(2)
	v_cvt_pk_f32_fp8_sdwa v[34:35], v10 src0_sel:WORD_1
	v_perm_b32 v28, v33, v32, s4
	v_cvt_pk_f32_fp8_e32 v[32:33], v10
	v_perm_b32 v29, v17, v16, s4
	v_mfma_f32_16x16x16_bf16 v[14:17], v[14:15], v[22:23], v[18:21]
	v_cvt_pk_f32_fp8_e32 v[22:23], v11
	v_perm_b32 v32, v33, v32, s4
	v_perm_b32 v33, v35, v34, s4
	ds_read_b128 v[18:21], v27 offset:2048
	v_cvt_pk_f32_fp8_sdwa v[10:11], v11 src0_sel:WORD_1
	v_mfma_f32_16x16x16_bf16 v[14:17], v[28:29], v[24:25], v[14:17]
	v_perm_b32 v28, v23, v22, s4
	ds_read_b128 v[22:25], v27 offset:2064
	v_perm_b32 v29, v11, v10, s4
	s_waitcnt lgkmcnt(1)
	v_mfma_f32_16x16x16_bf16 v[14:17], v[32:33], v[18:19], v[14:17]
	v_cvt_pk_f32_fp8_e32 v[10:11], v12
	v_cvt_pk_f32_fp8_sdwa v[18:19], v12 src0_sel:WORD_1
	v_perm_b32 v10, v11, v10, s4
	v_mfma_f32_16x16x16_bf16 v[14:17], v[28:29], v[20:21], v[14:17]
	v_cvt_pk_f32_fp8_e32 v[20:21], v13
	v_perm_b32 v11, v19, v18, s4
	v_cvt_pk_f32_fp8_sdwa v[12:13], v13 src0_sel:WORD_1
	s_waitcnt vmcnt(1)
	v_cvt_pk_f32_fp8_sdwa v[28:29], v6 src0_sel:WORD_1
	v_perm_b32 v18, v21, v20, s4
	v_cvt_pk_f32_fp8_e32 v[20:21], v6
	v_perm_b32 v19, v13, v12, s4
	s_waitcnt lgkmcnt(0)
	v_mfma_f32_16x16x16_bf16 v[10:13], v[10:11], v[22:23], v[14:17]
	v_perm_b32 v23, v29, v28, s4
	v_perm_b32 v22, v21, v20, s4
	v_cvt_pk_f32_fp8_e32 v[20:21], v7
	ds_read_b128 v[14:17], v27 offset:4096
	v_cvt_pk_f32_fp8_sdwa v[6:7], v7 src0_sel:WORD_1
	v_mfma_f32_16x16x16_bf16 v[10:13], v[18:19], v[24:25], v[10:13]
	v_perm_b32 v24, v21, v20, s4
	ds_read_b128 v[18:21], v27 offset:4112
	v_perm_b32 v25, v7, v6, s4
	s_waitcnt lgkmcnt(1)
	v_mfma_f32_16x16x16_bf16 v[10:13], v[22:23], v[14:15], v[10:13]
	v_cvt_pk_f32_fp8_e32 v[6:7], v8
	v_cvt_pk_f32_fp8_sdwa v[14:15], v8 src0_sel:WORD_1
	s_waitcnt vmcnt(0)
	v_cvt_pk_f32_fp8_sdwa v[22:23], v2 src0_sel:WORD_1
	v_mfma_f32_16x16x16_bf16 v[10:13], v[24:25], v[16:17], v[10:13]
	v_cvt_pk_f32_fp8_e32 v[16:17], v9
	v_perm_b32 v6, v7, v6, s4
	v_perm_b32 v7, v15, v14, s4
	v_cvt_pk_f32_fp8_sdwa v[8:9], v9 src0_sel:WORD_1
	v_perm_b32 v14, v17, v16, s4
	v_cvt_pk_f32_fp8_e32 v[16:17], v2
	v_perm_b32 v15, v9, v8, s4
	s_waitcnt lgkmcnt(0)
	v_mfma_f32_16x16x16_bf16 v[6:9], v[6:7], v[18:19], v[10:13]
	v_perm_b32 v18, v17, v16, s4
	v_perm_b32 v19, v23, v22, s4
	v_cvt_pk_f32_fp8_e32 v[16:17], v3
	ds_read_b128 v[10:13], v27 offset:6144
	v_cvt_pk_f32_fp8_sdwa v[2:3], v3 src0_sel:WORD_1
	v_mfma_f32_16x16x16_bf16 v[6:9], v[14:15], v[20:21], v[6:9]
	v_perm_b32 v20, v17, v16, s4
	ds_read_b128 v[14:17], v27 offset:6160
	v_perm_b32 v21, v3, v2, s4
	s_waitcnt lgkmcnt(1)
	v_mfma_f32_16x16x16_bf16 v[6:9], v[18:19], v[10:11], v[6:9]
	v_cvt_pk_f32_fp8_e32 v[2:3], v4
	v_cvt_pk_f32_fp8_sdwa v[10:11], v4 src0_sel:WORD_1
	v_mov_b32_e32 v27, 0
	v_mfma_f32_16x16x16_bf16 v[6:9], v[20:21], v[12:13], v[6:9]
	v_perm_b32 v2, v3, v2, s4
	v_perm_b32 v3, v11, v10, s4
	v_cvt_pk_f32_fp8_e32 v[10:11], v5
	v_cvt_pk_f32_fp8_sdwa v[4:5], v5 src0_sel:WORD_1
	s_waitcnt lgkmcnt(0)
	s_barrier
	v_perm_b32 v10, v11, v10, s4
	v_perm_b32 v11, v5, v4, s4
	v_mfma_f32_16x16x16_bf16 v[2:5], v[2:3], v[14:15], v[6:9]
	s_nop 0
	v_mfma_f32_16x16x16_bf16 v[2:5], v[10:11], v[16:17], v[2:5]
	s_nop 6
	v_pk_mul_f32 v[2:3], v[2:3], s[10:11] op_sel_hi:[1,0]
	v_pk_mul_f32 v[4:5], v[4:5], s[10:11] op_sel_hi:[1,0]
	v_bfe_u32 v6, v3, 16, 1
	v_bfe_u32 v7, v2, 16, 1
	v_add3_u32 v2, v2, v7, s8
	v_add3_u32 v3, v3, v6, s8
	v_perm_b32 v2, v3, v2, s4
	v_bfe_u32 v3, v5, 16, 1
	v_bfe_u32 v6, v4, 16, 1
	v_add3_u32 v4, v4, v6, s8
	v_add3_u32 v3, v5, v3, s8
	v_perm_b32 v3, v3, v4, s4
	s_and_b64 s[4:5], vcc, s[26:27]
	ds_write_b64 v30, v[2:3]
	s_waitcnt lgkmcnt(0)
	s_barrier
	s_and_saveexec_b64 s[8:9], s[4:5]
	s_cbranch_execz .LBB1103_17
; %bb.16:
	s_load_dwordx2 s[0:1], s[0:1], 0x68
	s_lshl_b32 s6, s6, 6
	s_mul_i32 s2, s7, s2
	s_mul_hi_u32 s5, s2, s6
	s_mul_i32 s4, s2, s6
	s_lshl_b64 s[4:5], s[4:5], 1
	s_waitcnt lgkmcnt(0)
	s_add_u32 s4, s0, s4
	s_addc_u32 s5, s1, s5
	s_lshl_b32 s2, s24, 6
	v_lshlrev_b32_e32 v0, 10, v0
	s_lshl_b64 s[0:1], s[2:3], 1
	v_and_b32_e32 v0, 0x1800, v0
	v_lshlrev_b32_e32 v2, 5, v1
	v_and_b32_e32 v3, 16, v42
	s_add_u32 s0, s4, s0
	v_or3_b32 v0, v0, v2, v3
	s_addc_u32 s1, s5, s1
	v_or_b32_e32 v20, s25, v1
	ds_read_b128 v[2:5], v0
	ds_read_b128 v[6:9], v0 offset:128
	ds_read_b128 v[10:13], v0 offset:256
	;; [unrolled: 1-line block ×3, first 2 shown]
	v_lshl_add_u64 v[18:19], s[0:1], 0, v[26:27]
	v_mad_u64_u32 v[0:1], s[0:1], v20, s6, 0
	v_lshl_add_u64 v[0:1], v[0:1], 1, v[18:19]
	s_waitcnt lgkmcnt(3)
	global_store_dwordx4 v[0:1], v[2:5], off
	v_or_b32_e32 v0, 4, v20
	v_mad_u64_u32 v[0:1], s[0:1], v0, s6, 0
	v_lshl_add_u64 v[0:1], v[0:1], 1, v[18:19]
	s_waitcnt lgkmcnt(2)
	global_store_dwordx4 v[0:1], v[6:9], off
	v_or_b32_e32 v0, 8, v20
	;; [unrolled: 5-line block ×3, first 2 shown]
	v_mad_u64_u32 v[0:1], s[0:1], v0, s6, 0
	v_lshl_add_u64 v[0:1], v[0:1], 1, v[18:19]
	s_waitcnt lgkmcnt(0)
	global_store_dwordx4 v[0:1], v[14:17], off
.LBB1103_17:
	s_endpgm
	.section	.rodata,"a",@progbits
	.p2align	6, 0x0
	.amdhsa_kernel _Z39paged_attention_ll4mi_QKV_mfma16_kernelI14__hip_bfloat16hLN4vllm18Fp8KVCacheDataTypeE1EhLi16ELi64ELi256ELb1ELi16EEvPKT_PKT0_S8_ifPKiSA_SA_iPKfiiiPfSD_PS3_PT2_iSC_SC_
		.amdhsa_group_segment_fixed_size 8192
		.amdhsa_private_segment_fixed_size 0
		.amdhsa_kernarg_size 400
		.amdhsa_user_sgpr_count 2
		.amdhsa_user_sgpr_dispatch_ptr 0
		.amdhsa_user_sgpr_queue_ptr 0
		.amdhsa_user_sgpr_kernarg_segment_ptr 1
		.amdhsa_user_sgpr_dispatch_id 0
		.amdhsa_user_sgpr_kernarg_preload_length 0
		.amdhsa_user_sgpr_kernarg_preload_offset 0
		.amdhsa_user_sgpr_private_segment_size 0
		.amdhsa_uses_dynamic_stack 0
		.amdhsa_enable_private_segment 0
		.amdhsa_system_sgpr_workgroup_id_x 1
		.amdhsa_system_sgpr_workgroup_id_y 1
		.amdhsa_system_sgpr_workgroup_id_z 1
		.amdhsa_system_sgpr_workgroup_info 0
		.amdhsa_system_vgpr_workitem_id 0
		.amdhsa_next_free_vgpr 62
		.amdhsa_next_free_sgpr 49
		.amdhsa_accum_offset 64
		.amdhsa_reserve_vcc 1
		.amdhsa_float_round_mode_32 0
		.amdhsa_float_round_mode_16_64 0
		.amdhsa_float_denorm_mode_32 3
		.amdhsa_float_denorm_mode_16_64 3
		.amdhsa_dx10_clamp 1
		.amdhsa_ieee_mode 1
		.amdhsa_fp16_overflow 0
		.amdhsa_tg_split 0
		.amdhsa_exception_fp_ieee_invalid_op 0
		.amdhsa_exception_fp_denorm_src 0
		.amdhsa_exception_fp_ieee_div_zero 0
		.amdhsa_exception_fp_ieee_overflow 0
		.amdhsa_exception_fp_ieee_underflow 0
		.amdhsa_exception_fp_ieee_inexact 0
		.amdhsa_exception_int_div_zero 0
	.end_amdhsa_kernel
	.section	.text._Z39paged_attention_ll4mi_QKV_mfma16_kernelI14__hip_bfloat16hLN4vllm18Fp8KVCacheDataTypeE1EhLi16ELi64ELi256ELb1ELi16EEvPKT_PKT0_S8_ifPKiSA_SA_iPKfiiiPfSD_PS3_PT2_iSC_SC_,"axG",@progbits,_Z39paged_attention_ll4mi_QKV_mfma16_kernelI14__hip_bfloat16hLN4vllm18Fp8KVCacheDataTypeE1EhLi16ELi64ELi256ELb1ELi16EEvPKT_PKT0_S8_ifPKiSA_SA_iPKfiiiPfSD_PS3_PT2_iSC_SC_,comdat
.Lfunc_end1103:
	.size	_Z39paged_attention_ll4mi_QKV_mfma16_kernelI14__hip_bfloat16hLN4vllm18Fp8KVCacheDataTypeE1EhLi16ELi64ELi256ELb1ELi16EEvPKT_PKT0_S8_ifPKiSA_SA_iPKfiiiPfSD_PS3_PT2_iSC_SC_, .Lfunc_end1103-_Z39paged_attention_ll4mi_QKV_mfma16_kernelI14__hip_bfloat16hLN4vllm18Fp8KVCacheDataTypeE1EhLi16ELi64ELi256ELb1ELi16EEvPKT_PKT0_S8_ifPKiSA_SA_iPKfiiiPfSD_PS3_PT2_iSC_SC_
                                        ; -- End function
	.section	.AMDGPU.csdata,"",@progbits
; Kernel info:
; codeLenInByte = 5100
; NumSgprs: 55
; NumVgprs: 62
; NumAgprs: 0
; TotalNumVgprs: 62
; ScratchSize: 0
; MemoryBound: 0
; FloatMode: 240
; IeeeMode: 1
; LDSByteSize: 8192 bytes/workgroup (compile time only)
; SGPRBlocks: 6
; VGPRBlocks: 7
; NumSGPRsForWavesPerEU: 55
; NumVGPRsForWavesPerEU: 62
; AccumOffset: 64
; Occupancy: 8
; WaveLimiterHint : 1
; COMPUTE_PGM_RSRC2:SCRATCH_EN: 0
; COMPUTE_PGM_RSRC2:USER_SGPR: 2
; COMPUTE_PGM_RSRC2:TRAP_HANDLER: 0
; COMPUTE_PGM_RSRC2:TGID_X_EN: 1
; COMPUTE_PGM_RSRC2:TGID_Y_EN: 1
; COMPUTE_PGM_RSRC2:TGID_Z_EN: 1
; COMPUTE_PGM_RSRC2:TIDIG_COMP_CNT: 0
; COMPUTE_PGM_RSRC3_GFX90A:ACCUM_OFFSET: 15
; COMPUTE_PGM_RSRC3_GFX90A:TG_SPLIT: 0
	.section	.text._Z39paged_attention_ll4mi_QKV_mfma16_kernelI14__hip_bfloat16hLN4vllm18Fp8KVCacheDataTypeE1EhLi16ELi64ELi256ELb1ELi1EEvPKT_PKT0_S8_ifPKiSA_SA_iPKfiiiPfSD_PS3_PT2_iSC_SC_,"axG",@progbits,_Z39paged_attention_ll4mi_QKV_mfma16_kernelI14__hip_bfloat16hLN4vllm18Fp8KVCacheDataTypeE1EhLi16ELi64ELi256ELb1ELi1EEvPKT_PKT0_S8_ifPKiSA_SA_iPKfiiiPfSD_PS3_PT2_iSC_SC_,comdat
	.protected	_Z39paged_attention_ll4mi_QKV_mfma16_kernelI14__hip_bfloat16hLN4vllm18Fp8KVCacheDataTypeE1EhLi16ELi64ELi256ELb1ELi1EEvPKT_PKT0_S8_ifPKiSA_SA_iPKfiiiPfSD_PS3_PT2_iSC_SC_ ; -- Begin function _Z39paged_attention_ll4mi_QKV_mfma16_kernelI14__hip_bfloat16hLN4vllm18Fp8KVCacheDataTypeE1EhLi16ELi64ELi256ELb1ELi1EEvPKT_PKT0_S8_ifPKiSA_SA_iPKfiiiPfSD_PS3_PT2_iSC_SC_
	.globl	_Z39paged_attention_ll4mi_QKV_mfma16_kernelI14__hip_bfloat16hLN4vllm18Fp8KVCacheDataTypeE1EhLi16ELi64ELi256ELb1ELi1EEvPKT_PKT0_S8_ifPKiSA_SA_iPKfiiiPfSD_PS3_PT2_iSC_SC_
	.p2align	8
	.type	_Z39paged_attention_ll4mi_QKV_mfma16_kernelI14__hip_bfloat16hLN4vllm18Fp8KVCacheDataTypeE1EhLi16ELi64ELi256ELb1ELi1EEvPKT_PKT0_S8_ifPKiSA_SA_iPKfiiiPfSD_PS3_PT2_iSC_SC_,@function
_Z39paged_attention_ll4mi_QKV_mfma16_kernelI14__hip_bfloat16hLN4vllm18Fp8KVCacheDataTypeE1EhLi16ELi64ELi256ELb1ELi1EEvPKT_PKT0_S8_ifPKiSA_SA_iPKfiiiPfSD_PS3_PT2_iSC_SC_: ; @_Z39paged_attention_ll4mi_QKV_mfma16_kernelI14__hip_bfloat16hLN4vllm18Fp8KVCacheDataTypeE1EhLi16ELi64ELi256ELb1ELi1EEvPKT_PKT0_S8_ifPKiSA_SA_iPKfiiiPfSD_PS3_PT2_iSC_SC_
; %bb.0:
	s_load_dwordx2 s[6:7], s[0:1], 0x30
	s_mov_b32 s30, s3
	s_mov_b64 s[8:9], 0
	s_waitcnt lgkmcnt(0)
	s_cmp_lg_u64 s[6:7], 0
	s_cselect_b64 s[10:11], -1, 0
	s_and_b64 vcc, exec, s[10:11]
	s_cbranch_vccz .LBB1104_7
; %bb.1:
	s_add_i32 s12, s2, 1
	s_mov_b32 s13, 0
	s_lshl_b64 s[14:15], s[12:13], 2
	s_add_u32 s14, s6, s14
	s_mov_b32 s3, s13
	s_addc_u32 s15, s7, s15
	s_lshl_b64 s[12:13], s[2:3], 2
	s_add_u32 s12, s6, s12
	s_addc_u32 s13, s7, s13
	s_load_dword s5, s[14:15], 0x0
	s_load_dword s16, s[12:13], 0x0
	s_waitcnt lgkmcnt(0)
	s_sub_i32 s5, s5, s16
	s_cmp_eq_u32 s5, 1
	s_cselect_b64 s[12:13], -1, 0
	s_andn2_b64 vcc, exec, s[8:9]
	s_cbranch_vccnz .LBB1104_3
.LBB1104_2:
	s_mov_b32 s3, 0
	s_mov_b64 s[12:13], -1
.LBB1104_3:
	s_andn2_b64 vcc, exec, s[12:13]
	s_cbranch_vccnz .LBB1104_19
; %bb.4:
	s_load_dwordx2 s[8:9], s[0:1], 0x28
	s_lshl_b64 s[12:13], s[2:3], 2
	s_waitcnt lgkmcnt(0)
	s_add_u32 s8, s8, s12
	s_addc_u32 s9, s9, s13
	s_load_dword s31, s[8:9], 0x0
	s_lshl_b32 s16, s30, 8
	s_waitcnt lgkmcnt(0)
	s_cmp_ge_i32 s16, s31
	s_cbranch_scc1 .LBB1104_19
; %bb.5:
	s_load_dwordx2 s[8:9], s[0:1], 0x20
	s_load_dword s5, s[0:1], 0x38
	s_add_i32 s14, s31, 15
	s_ashr_i32 s15, s14, 31
	v_and_b32_e32 v1, 0xcf, v0
	s_lshr_b32 s15, s15, 28
	v_add_u32_e32 v1, s16, v1
	s_add_i32 s14, s14, s15
	v_ashrrev_i32_e32 v2, 31, v1
	s_ashr_i32 s17, s14, 4
	v_lshrrev_b32_e32 v4, 28, v2
	s_add_i32 s17, s17, -1
	s_waitcnt lgkmcnt(0)
	s_mul_i32 s14, s2, s5
	s_mov_b32 s15, 0
	v_add_u32_e32 v2, v1, v4
	s_lshl_b64 s[14:15], s[14:15], 2
	v_ashrrev_i32_e32 v2, 4, v2
	v_mov_b32_e32 v5, s17
	v_cmp_gt_i32_e32 vcc, s31, v1
	s_add_u32 s8, s8, s14
	s_addc_u32 s9, s9, s15
	v_cndmask_b32_e32 v2, v5, v2, vcc
	v_ashrrev_i32_e32 v3, 31, v2
	v_lshl_add_u64 v[6:7], v[2:3], 2, s[8:9]
	v_or_b32_e32 v2, 16, v1
	v_add_u32_e32 v3, v2, v4
	v_ashrrev_i32_e32 v3, 4, v3
	v_cmp_gt_i32_e32 vcc, s31, v2
	s_load_dwordx2 s[14:15], s[0:1], 0x8
	s_nop 0
	v_cndmask_b32_e32 v2, v5, v3, vcc
	v_ashrrev_i32_e32 v3, 31, v2
	v_lshl_add_u64 v[8:9], v[2:3], 2, s[8:9]
	v_or_b32_e32 v2, 32, v1
	v_add_u32_e32 v3, v2, v4
	v_ashrrev_i32_e32 v3, 4, v3
	v_cmp_gt_i32_e32 vcc, s31, v2
	v_or_b32_e32 v1, 48, v1
	s_nop 0
	v_cndmask_b32_e32 v2, v5, v3, vcc
	v_ashrrev_i32_e32 v3, 31, v2
	v_lshl_add_u64 v[10:11], v[2:3], 2, s[8:9]
	v_add_u32_e32 v2, v1, v4
	v_ashrrev_i32_e32 v2, 4, v2
	v_cmp_gt_i32_e32 vcc, s31, v1
	s_nop 1
	v_cndmask_b32_e32 v2, v5, v2, vcc
	v_ashrrev_i32_e32 v3, 31, v2
	v_lshl_add_u64 v[12:13], v[2:3], 2, s[8:9]
	global_load_dword v5, v[6:7], off
	global_load_dword v4, v[8:9], off
	;; [unrolled: 1-line block ×4, first 2 shown]
	s_andn2_b64 vcc, exec, s[10:11]
	s_cbranch_vccnz .LBB1104_8
; %bb.6:
	s_add_u32 s6, s6, s12
	s_addc_u32 s7, s7, s13
	s_load_dword s5, s[6:7], 0x0
	s_branch .LBB1104_9
.LBB1104_7:
	s_mov_b64 s[12:13], 0
	s_branch .LBB1104_2
.LBB1104_8:
	s_mov_b32 s5, s2
.LBB1104_9:
	s_load_dwordx2 s[10:11], s[0:1], 0x10
	s_load_dwordx4 s[48:51], s[0:1], 0x48
	v_lshrrev_b32_e32 v56, 6, v0
	v_bfe_u32 v54, v0, 4, 2
	v_lshl_or_b32 v1, v56, 2, v54
	v_and_b32_e32 v57, 15, v0
	v_lshlrev_b32_e32 v6, 3, v57
	v_cmp_eq_u32_e32 vcc, 0, v1
	v_cmp_gt_u32_e64 s[6:7], 8, v57
	s_and_b64 s[18:19], s[6:7], vcc
	v_lshlrev_b32_e32 v1, 1, v6
	v_lshlrev_b32_e32 v55, 4, v0
	s_and_saveexec_b64 s[12:13], s[18:19]
	s_cbranch_execz .LBB1104_11
; %bb.10:
	s_load_dwordx2 s[18:19], s[0:1], 0x0
	s_waitcnt lgkmcnt(0)
	s_ashr_i32 s20, s48, 31
	s_mul_hi_u32 s21, s5, s48
	s_mul_i32 s20, s5, s20
	s_add_i32 s21, s21, s20
	s_mul_i32 s20, s5, s48
	s_lshl_b64 s[20:21], s[20:21], 1
	s_add_u32 s5, s18, s20
	s_addc_u32 s20, s19, s21
	s_lshl_b32 s18, s4, 6
	s_ashr_i32 s19, s18, 31
	s_lshl_b64 s[18:19], s[18:19], 1
	s_add_u32 s18, s5, s18
	s_addc_u32 s19, s20, s19
	global_load_dwordx4 v[6:9], v1, s[18:19]
	v_lshlrev_b32_e32 v10, 8, v57
	v_and_b32_e32 v11, 16, v55
	s_movk_i32 s5, 0xe00
	v_and_or_b32 v10, v10, s5, v11
	s_waitcnt vmcnt(0)
	ds_write_b128 v10, v[6:9]
.LBB1104_11:
	s_or_b64 exec, exec, s[12:13]
	s_waitcnt lgkmcnt(0)
	s_mul_i32 s18, s4, s50
	s_add_u32 s12, s14, s18
	s_addc_u32 s13, s15, 0
	v_and_b32_e32 v28, 48, v0
	v_and_b32_e32 v26, 0xf0, v55
	v_mov_b32_e32 v27, 0
	v_lshl_add_u64 v[6:7], s[12:13], 0, v[26:27]
	v_lshlrev_b32_e32 v26, 4, v28
	v_lshl_add_u64 v[6:7], v[6:7], 0, v[26:27]
	s_waitcnt vmcnt(3)
	v_mad_i64_i32 v[8:9], s[12:13], v5, s49, v[6:7]
	s_waitcnt vmcnt(2)
	v_mad_i64_i32 v[4:5], s[12:13], v4, s49, v[6:7]
	s_barrier
	global_load_dwordx4 v[22:25], v[8:9], off
	global_load_dwordx4 v[18:21], v[4:5], off
	s_waitcnt vmcnt(3)
	v_mad_i64_i32 v[4:5], s[12:13], v3, s49, v[6:7]
	s_waitcnt vmcnt(2)
	v_mad_i64_i32 v[2:3], s[12:13], v2, s49, v[6:7]
	global_load_dwordx4 v[14:17], v[4:5], off
	global_load_dwordx4 v[6:9], v[2:3], off
	v_lshlrev_b32_e32 v2, 9, v54
	ds_read_b128 v[10:13], v2
	ds_read_b128 v[2:5], v2 offset:16
	v_and_b32_e32 v58, 63, v0
	v_cmp_eq_u32_e32 vcc, 0, v57
	v_mov_b32_e32 v59, 0
	s_and_saveexec_b64 s[12:13], vcc
	s_cbranch_execz .LBB1104_13
; %bb.12:
	s_load_dwordx2 s[14:15], s[0:1], 0x40
	s_ashr_i32 s5, s4, 31
	s_lshl_b64 s[20:21], s[4:5], 2
	s_waitcnt lgkmcnt(0)
	s_add_u32 s14, s14, s20
	s_addc_u32 s15, s15, s21
	s_load_dword s5, s[14:15], 0x0
	s_waitcnt lgkmcnt(0)
	v_mov_b32_e32 v59, s5
.LBB1104_13:
	s_or_b64 exec, exec, s[12:13]
	v_or_b32_e32 v61, s16, v28
	v_ashrrev_i32_e32 v26, 4, v61
	v_mov_b32_e32 v69, s17
	v_cmp_gt_i32_e32 vcc, s31, v61
	s_waitcnt vmcnt(3)
	v_cvt_pk_f32_fp8_sdwa v[30:31], v22 src0_sel:WORD_1
	s_waitcnt vmcnt(2)
	v_cvt_pk_f32_fp8_e32 v[50:51], v18
	v_cndmask_b32_e32 v28, v69, v26, vcc
	v_ashrrev_i32_e32 v29, 31, v28
	v_lshl_add_u64 v[28:29], v[28:29], 2, s[8:9]
	global_load_dword v60, v[28:29], off
	v_cvt_pk_f32_fp8_e32 v[28:29], v22
	v_cvt_pk_f32_fp8_sdwa v[52:53], v18 src0_sel:WORD_1
	s_add_u32 s10, s10, s18
	v_lshlrev_b32_e32 v18, 4, v57
	s_mov_b32 s5, 0x7060302
	v_lshl_or_b32 v26, v56, 8, v18
	s_addc_u32 s11, s11, 0
	v_cvt_pk_f32_fp8_e32 v[32:33], v23
	v_cvt_pk_f32_fp8_sdwa v[34:35], v23 src0_sel:WORD_1
	v_cvt_pk_f32_fp8_sdwa v[36:37], v24 src0_sel:WORD_1
	v_cvt_pk_f32_fp8_e32 v[40:41], v19
	v_cvt_pk_f32_fp8_sdwa v[42:43], v19 src0_sel:WORD_1
	v_lshl_add_u64 v[18:19], s[10:11], 0, v[26:27]
	v_perm_b32 v26, v29, v28, s5
	v_perm_b32 v27, v31, v30, s5
	;; [unrolled: 1-line block ×4, first 2 shown]
	v_cvt_pk_f32_fp8_e32 v[38:39], v24
	v_cvt_pk_f32_fp8_e32 v[46:47], v20
	v_cvt_pk_f32_fp8_sdwa v[44:45], v20 src0_sel:WORD_1
	v_perm_b32 v50, v33, v32, s5
	v_perm_b32 v51, v35, v34, s5
	;; [unrolled: 1-line block ×5, first 2 shown]
	v_cvt_pk_f32_fp8_e32 v[22:23], v25
	v_cvt_pk_f32_fp8_sdwa v[24:25], v25 src0_sel:WORD_1
	s_waitcnt lgkmcnt(1)
	v_mfma_f32_16x16x16_bf16 v[26:29], v[26:27], v[10:11], 0
	s_waitcnt vmcnt(2)
	v_cvt_pk_f32_fp8_e32 v[62:63], v14
	v_cvt_pk_f32_fp8_sdwa v[64:65], v14 src0_sel:WORD_1
	v_or_b32_e32 v14, 64, v61
	v_mfma_f32_16x16x16_bf16 v[30:33], v[30:31], v[10:11], 0
	s_load_dword s12, s[0:1], 0x1c
	s_load_dwordx4 s[44:47], s[0:1], 0x80
	v_or_b32_e32 v70, 0x80, v61
	v_ashrrev_i32_e32 v68, 4, v14
	v_cmp_gt_i32_e32 vcc, s31, v14
	v_perm_b32 v34, v39, v38, s5
	v_perm_b32 v40, v47, v46, s5
	;; [unrolled: 1-line block ×3, first 2 shown]
	v_cvt_pk_f32_fp8_e32 v[48:49], v21
	v_cvt_pk_f32_fp8_sdwa v[20:21], v21 src0_sel:WORD_1
	v_or_b32_e32 v61, 0xc0, v61
	v_ashrrev_i32_e32 v71, 4, v70
	v_cndmask_b32_e32 v68, v69, v68, vcc
	v_cmp_gt_i32_e32 vcc, s31, v70
	v_mfma_f32_16x16x16_bf16 v[26:29], v[50:51], v[12:13], v[26:29]
	v_perm_b32 v38, v23, v22, s5
	v_perm_b32 v39, v25, v24, s5
	v_ashrrev_i32_e32 v72, 4, v61
	v_mfma_f32_16x16x16_bf16 v[22:25], v[36:37], v[12:13], v[30:33]
	v_cndmask_b32_e32 v70, v69, v71, vcc
	v_cmp_gt_i32_e32 vcc, s31, v61
	v_ashrrev_i32_e32 v71, 31, v70
	v_perm_b32 v31, v21, v20, s5
	v_cndmask_b32_e32 v72, v69, v72, vcc
	v_ashrrev_i32_e32 v69, 31, v68
	v_ashrrev_i32_e32 v73, 31, v72
	s_waitcnt lgkmcnt(0)
	v_mfma_f32_16x16x16_bf16 v[26:29], v[34:35], v[2:3], v[26:29]
	v_lshl_add_u64 v[34:35], v[68:69], 2, s[8:9]
	v_lshl_add_u64 v[36:37], v[70:71], 2, s[8:9]
	v_mov_b32_e32 v33, s12
	v_mfma_f32_16x16x16_bf16 v[20:23], v[40:41], v[2:3], v[22:25]
	v_lshl_add_u64 v[40:41], v[72:73], 2, s[8:9]
	s_load_dword s8, s[44:45], 0x0
	v_cvt_pk_f32_fp8_e32 v[66:67], v15
	v_perm_b32 v30, v49, v48, s5
	v_perm_b32 v32, v63, v62, s5
	v_mfma_f32_16x16x16_bf16 v[24:27], v[38:39], v[4:5], v[26:29]
	s_waitcnt lgkmcnt(0)
	v_mul_f32_e32 v48, s8, v33
	v_perm_b32 v33, v65, v64, s5
	global_load_dword v14, v[34:35], off
	global_load_dword v38, v[36:37], off
	;; [unrolled: 1-line block ×3, first 2 shown]
	v_cvt_pk_f32_fp8_sdwa v[28:29], v15 src0_sel:WORD_1
	v_perm_b32 v36, v67, v66, s5
	v_cvt_pk_f32_fp8_e32 v[40:41], v16
	v_cvt_pk_f32_fp8_sdwa v[42:43], v16 src0_sel:WORD_1
	v_perm_b32 v37, v29, v28, s5
	v_mfma_f32_16x16x16_bf16 v[32:35], v[32:33], v[10:11], 0
	v_perm_b32 v28, v41, v40, s5
	v_perm_b32 v29, v43, v42, s5
	v_cvt_pk_f32_fp8_e32 v[40:41], v17
	v_cvt_pk_f32_fp8_sdwa v[16:17], v17 src0_sel:WORD_1
	v_mfma_f32_16x16x16_bf16 v[32:35], v[36:37], v[12:13], v[32:35]
	v_pk_mul_f32 v[26:27], v[48:49], v[26:27] op_sel_hi:[0,1]
	v_perm_b32 v36, v41, v40, s5
	v_perm_b32 v37, v17, v16, s5
	v_mfma_f32_16x16x16_bf16 v[40:43], v[28:29], v[2:3], v[32:35]
	s_waitcnt vmcnt(4)
	v_cvt_pk_f32_fp8_e32 v[16:17], v6
	v_cvt_pk_f32_fp8_e32 v[28:29], v7
	s_mov_b32 s33, 0xff7fffff
	v_pk_mul_f32 v[34:35], v[48:49], v[24:25] op_sel_hi:[0,1]
	v_cvt_pk_f32_fp8_sdwa v[24:25], v6 src0_sel:WORD_1
	v_perm_b32 v16, v17, v16, s5
	v_cvt_pk_f32_fp8_sdwa v[6:7], v7 src0_sel:WORD_1
	v_cvt_pk_f32_fp8_sdwa v[32:33], v8 src0_sel:WORD_1
	v_perm_b32 v17, v25, v24, s5
	v_perm_b32 v24, v29, v28, s5
	v_cvt_pk_f32_fp8_e32 v[28:29], v8
	v_perm_b32 v25, v7, v6, s5
	v_mfma_f32_16x16x16_bf16 v[44:47], v[16:17], v[10:11], 0
	v_perm_b32 v10, v29, v28, s5
	v_perm_b32 v11, v33, v32, s5
	v_cvt_pk_f32_fp8_e32 v[16:17], v9
	v_cvt_pk_f32_fp8_sdwa v[28:29], v9 src0_sel:WORD_1
	v_mfma_f32_16x16x16_bf16 v[6:9], v[24:25], v[12:13], v[44:47]
	v_perm_b32 v12, v17, v16, s5
	v_perm_b32 v13, v29, v28, s5
	v_mfma_f32_16x16x16_bf16 v[6:9], v[10:11], v[2:3], v[6:9]
	v_mfma_f32_16x16x16_bf16 v[20:23], v[30:31], v[4:5], v[20:23]
	s_waitcnt vmcnt(3)
	v_mad_i64_i32 v[30:31], s[8:9], v60, s49, v[18:19]
	v_mfma_f32_16x16x16_bf16 v[40:43], v[36:37], v[4:5], v[40:43]
	v_mfma_f32_16x16x16_bf16 v[2:5], v[12:13], v[4:5], v[6:9]
	s_nop 2
	v_pk_mul_f32 v[32:33], v[48:49], v[22:23] op_sel_hi:[0,1]
	v_pk_mul_f32 v[36:37], v[48:49], v[20:21] op_sel_hi:[0,1]
	s_nop 0
	v_pk_mul_f32 v[24:25], v[48:49], v[42:43] op_sel_hi:[0,1]
	v_pk_mul_f32 v[28:29], v[48:49], v[40:41] op_sel_hi:[0,1]
	;; [unrolled: 1-line block ×3, first 2 shown]
	v_and_b32_e32 v2, 0xc0, v0
	v_add_u32_e32 v2, s16, v2
	v_lshl_or_b32 v2, v54, 2, v2
	v_or_b32_e32 v3, 1, v2
	v_pk_mul_f32 v[20:21], v[48:49], v[4:5] op_sel_hi:[0,1]
	v_subrev_u32_e32 v4, s31, v3
	v_add_u32_e32 v6, 1, v4
	v_add_u32_e32 v7, 2, v4
	;; [unrolled: 1-line block ×3, first 2 shown]
	v_cvt_f32_i32_e32 v6, v6
	v_cvt_f32_i32_e32 v7, v7
	;; [unrolled: 1-line block ×3, first 2 shown]
	v_add_u32_e32 v9, 19, v4
	v_fmac_f32_e32 v35, v59, v6
	v_fma_f32 v26, v59, v7, v26
	v_fmac_f32_e32 v27, v59, v8
	v_add_u32_e32 v6, 16, v4
	v_add_u32_e32 v7, 17, v4
	;; [unrolled: 1-line block ×3, first 2 shown]
	v_cvt_f32_i32_e32 v6, v6
	v_cvt_f32_i32_e32 v7, v7
	;; [unrolled: 1-line block ×4, first 2 shown]
	v_fma_f32 v36, v59, v6, v36
	v_fmac_f32_e32 v37, v59, v7
	v_fma_f32 v32, v59, v8, v32
	v_add_u32_e32 v6, 32, v4
	v_add_u32_e32 v7, 33, v4
	;; [unrolled: 1-line block ×3, first 2 shown]
	v_cvt_f32_i32_e32 v6, v6
	v_cvt_f32_i32_e32 v7, v7
	;; [unrolled: 1-line block ×4, first 2 shown]
	v_fmac_f32_e32 v33, v59, v9
	v_add_u32_e32 v9, 35, v4
	v_fma_f32 v28, v59, v6, v28
	v_fmac_f32_e32 v29, v59, v7
	v_fma_f32 v24, v59, v8, v24
	v_add_u32_e32 v6, 48, v4
	v_add_u32_e32 v7, 49, v4
	;; [unrolled: 1-line block ×4, first 2 shown]
	v_cvt_f32_i32_e32 v4, v4
	v_cvt_f32_i32_e32 v6, v6
	v_cvt_f32_i32_e32 v7, v7
	v_fma_f32 v5, v59, v5, v34
	v_fmac_f32_e32 v21, v59, v4
	v_mov_b32_e32 v4, 0xff7fffff
	v_cmp_gt_i32_e64 s[34:35], s31, v2
	v_cmp_gt_i32_e64 s[36:37], s31, v3
	v_fma_f32 v22, v59, v6, v22
	v_cndmask_b32_e64 v6, v4, v5, s[34:35]
	v_cndmask_b32_e64 v3, v4, v35, s[36:37]
	v_fmac_f32_e32 v23, v59, v7
	v_max3_f32 v3, v6, s33, v3
	v_or_b32_e32 v6, 2, v2
	v_or_b32_e32 v7, 3, v2
	v_cmp_gt_i32_e64 s[38:39], s31, v6
	v_cmp_gt_i32_e64 s[40:41], s31, v7
	v_cvt_f32_i32_e32 v9, v9
	v_cndmask_b32_e64 v6, v4, v26, s[38:39]
	v_cndmask_b32_e64 v7, v4, v27, s[40:41]
	v_max3_f32 v3, v3, v6, v7
	v_or_b32_e32 v6, 16, v2
	v_or_b32_e32 v7, 17, v2
	v_cmp_gt_i32_e64 s[26:27], s31, v6
	v_cmp_gt_i32_e64 s[28:29], s31, v7
	v_fmac_f32_e32 v25, v59, v9
	v_cndmask_b32_e64 v6, v4, v36, s[26:27]
	v_cndmask_b32_e64 v7, v4, v37, s[28:29]
	v_max3_f32 v3, v3, v6, v7
	v_or_b32_e32 v6, 18, v2
	v_or_b32_e32 v7, 19, v2
	v_cmp_gt_i32_e64 s[22:23], s31, v6
	v_cmp_gt_i32_e64 s[24:25], s31, v7
	v_cvt_f32_i32_e32 v8, v8
	v_cndmask_b32_e64 v6, v4, v32, s[22:23]
	v_cndmask_b32_e64 v7, v4, v33, s[24:25]
	v_max3_f32 v3, v3, v6, v7
	v_or_b32_e32 v6, 32, v2
	v_or_b32_e32 v7, 33, v2
	v_cmp_gt_i32_e64 s[18:19], s31, v6
	v_cmp_gt_i32_e64 s[20:21], s31, v7
	v_fma_f32 v20, v59, v8, v20
	v_cndmask_b32_e64 v6, v4, v28, s[18:19]
	v_cndmask_b32_e64 v7, v4, v29, s[20:21]
	v_max3_f32 v3, v3, v6, v7
	v_or_b32_e32 v6, 34, v2
	v_or_b32_e32 v7, 35, v2
	v_cmp_gt_i32_e64 s[14:15], s31, v6
	v_cmp_gt_i32_e64 s[16:17], s31, v7
	s_nop 0
	v_cndmask_b32_e64 v6, v4, v24, s[14:15]
	v_cndmask_b32_e64 v7, v4, v25, s[16:17]
	v_max3_f32 v3, v3, v6, v7
	v_or_b32_e32 v6, 48, v2
	v_or_b32_e32 v7, 49, v2
	v_cmp_gt_i32_e64 s[10:11], s31, v6
	v_cmp_gt_i32_e64 s[12:13], s31, v7
	s_nop 0
	v_cndmask_b32_e64 v6, v4, v22, s[10:11]
	v_cndmask_b32_e64 v7, v4, v23, s[12:13]
	v_max3_f32 v3, v3, v6, v7
	v_or_b32_e32 v6, 50, v2
	v_or_b32_e32 v2, 51, v2
	v_cmp_gt_i32_e32 vcc, s31, v6
	v_cmp_gt_i32_e64 s[8:9], s31, v2
	s_nop 0
	v_cndmask_b32_e32 v6, v4, v20, vcc
	v_cndmask_b32_e64 v2, v4, v21, s[8:9]
	v_max3_f32 v4, v3, v6, v2
	v_mbcnt_lo_u32_b32 v2, -1, 0
	v_mbcnt_hi_u32_b32 v6, -1, v2
	v_and_b32_e32 v2, 64, v6
	v_add_u32_e32 v7, 64, v2
	v_xor_b32_e32 v2, 32, v6
	v_cmp_lt_i32_e64 s[42:43], v2, v7
	s_nop 1
	v_cndmask_b32_e64 v2, v6, v2, s[42:43]
	v_lshlrev_b32_e32 v40, 2, v2
	ds_bpermute_b32 v8, v40, v4
	s_waitcnt vmcnt(2)
	v_mad_i64_i32 v[2:3], s[42:43], v14, s49, v[18:19]
	global_load_dwordx4 v[14:17], v[30:31], off
	global_load_dwordx4 v[10:13], v[2:3], off
	v_xor_b32_e32 v3, 16, v6
	v_cmp_lt_i32_e64 s[42:43], v3, v7
	s_waitcnt lgkmcnt(0)
	v_max_f32_e32 v2, v8, v8
	v_max_f32_e32 v2, v4, v2
	v_cndmask_b32_e64 v3, v6, v3, s[42:43]
	v_lshlrev_b32_e32 v41, 2, v3
	ds_bpermute_b32 v3, v41, v2
	s_waitcnt vmcnt(3)
	v_mad_i64_i32 v[30:31], s[42:43], v38, s49, v[18:19]
	s_waitcnt vmcnt(2)
	v_mad_i64_i32 v[18:19], s[42:43], v39, s49, v[18:19]
	s_waitcnt lgkmcnt(0)
	v_max_f32_e32 v3, v3, v3
	v_max_f32_e32 v34, v2, v3
	v_sub_f32_e32 v2, v5, v34
	v_mul_f32_e32 v2, 0x3fb8aa3b, v2
	v_exp_f32_e32 v38, v2
	v_sub_f32_e32 v2, v35, v34
	v_mul_f32_e32 v2, 0x3fb8aa3b, v2
	v_exp_f32_e32 v35, v2
	global_load_dwordx4 v[6:9], v[30:31], off
	global_load_dwordx4 v[2:5], v[18:19], off
	v_sub_f32_e32 v26, v26, v34
	v_mul_f32_e32 v26, 0x3fb8aa3b, v26
	v_sub_f32_e32 v27, v27, v34
	v_exp_f32_e32 v26, v26
	v_mul_f32_e32 v27, 0x3fb8aa3b, v27
	v_exp_f32_e32 v27, v27
	v_cndmask_b32_e64 v18, 0, v38, s[34:35]
	v_add_f32_e32 v30, 0, v18
	v_cndmask_b32_e64 v19, 0, v35, s[36:37]
	v_add_f32_e32 v31, v30, v19
	;; [unrolled: 2-line block ×3, first 2 shown]
	v_cndmask_b32_e64 v31, 0, v27, s[40:41]
	v_sub_f32_e32 v27, v36, v34
	v_mul_f32_e32 v27, 0x3fb8aa3b, v27
	v_sub_f32_e32 v35, v37, v34
	v_exp_f32_e32 v27, v27
	v_mul_f32_e32 v35, 0x3fb8aa3b, v35
	v_sub_f32_e32 v32, v32, v34
	v_exp_f32_e32 v35, v35
	;; [unrolled: 3-line block ×4, first 2 shown]
	v_mul_f32_e32 v28, 0x3fb8aa3b, v28
	v_sub_f32_e32 v29, v29, v34
	v_add_f32_e32 v36, v26, v31
	v_cndmask_b32_e64 v26, 0, v27, s[26:27]
	v_exp_f32_e32 v28, v28
	v_mul_f32_e32 v29, 0x3fb8aa3b, v29
	v_sub_f32_e32 v24, v24, v34
	v_add_f32_e32 v36, v36, v26
	v_cndmask_b32_e64 v27, 0, v35, s[28:29]
	v_exp_f32_e32 v29, v29
	;; [unrolled: 5-line block ×7, first 2 shown]
	v_mul_f32_e32 v21, 0x3fb8aa3b, v21
	v_add_f32_e32 v35, v35, v24
	v_cndmask_b32_e64 v25, 0, v25, s[16:17]
	v_exp_f32_e32 v21, v21
	v_add_f32_e32 v35, v35, v25
	v_cndmask_b32_e64 v22, 0, v22, s[10:11]
	v_add_f32_e32 v35, v35, v22
	v_cndmask_b32_e64 v23, 0, v23, s[12:13]
	v_add_f32_e32 v35, v35, v23
	v_cndmask_b32_e32 v20, 0, v20, vcc
	v_add_f32_e32 v35, v35, v20
	v_cndmask_b32_e64 v21, 0, v21, s[8:9]
	v_add_f32_e32 v35, v35, v21
	ds_bpermute_b32 v36, v40, v35
	v_cmp_gt_u32_e64 s[8:9], 16, v58
	s_waitcnt lgkmcnt(0)
	s_barrier
	v_add_f32_e32 v36, v35, v36
	ds_bpermute_b32 v37, v41, v36
	v_lshlrev_b32_e32 v35, 2, v57
	s_and_saveexec_b64 s[10:11], s[8:9]
	s_cbranch_execz .LBB1104_15
; %bb.14:
	s_waitcnt lgkmcnt(0)
	v_add_f32_e32 v36, v36, v37
	v_lshl_or_b32 v37, v56, 6, v35
	ds_write2st64_b32 v37, v34, v36 offset1:1
.LBB1104_15:
	s_or_b64 exec, exec, s[10:11]
	s_load_dwordx2 s[10:11], s[0:1], 0x94
	s_waitcnt lgkmcnt(0)
	s_barrier
	ds_read2_b32 v[36:37], v35 offset1:16
	ds_read2_b32 v[38:39], v35 offset0:32 offset1:48
	ds_read2_b32 v[40:41], v35 offset0:64 offset1:80
	s_movk_i32 s14, 0x7fff
	s_waitcnt lgkmcnt(2)
	v_max3_f32 v34, v36, s33, v37
	s_waitcnt lgkmcnt(1)
	v_max3_f32 v34, v34, v38, v39
	v_sub_f32_e32 v36, v36, v34
	v_mul_f32_e32 v36, 0x3fb8aa3b, v36
	v_exp_f32_e32 v42, v36
	v_sub_f32_e32 v36, v37, v34
	v_mul_f32_e32 v36, 0x3fb8aa3b, v36
	v_exp_f32_e32 v43, v36
	;; [unrolled: 3-line block ×3, first 2 shown]
	ds_read2_b32 v[36:37], v35 offset0:96 offset1:112
	v_sub_f32_e32 v35, v39, v34
	v_mul_f32_e32 v35, 0x3fb8aa3b, v35
	v_exp_f32_e32 v39, v35
	s_waitcnt lgkmcnt(1)
	v_fma_f32 v35, v42, v40, 0
	v_fmac_f32_e32 v35, v43, v41
	s_waitcnt lgkmcnt(0)
	v_fmac_f32_e32 v35, v38, v36
	v_fmac_f32_e32 v35, v39, v37
	v_add_f32_e32 v37, 0x358637bd, v35
	v_div_scale_f32 v40, s[12:13], v37, v37, 1.0
	v_rcp_f32_e32 v41, v40
	s_barrier
	v_fma_f32 v44, -v40, v41, 1.0
	v_fmac_f32_e32 v41, v44, v41
	v_div_scale_f32 v44, vcc, 1.0, v37, 1.0
	v_mul_f32_e32 v45, v44, v41
	v_fma_f32 v46, -v40, v45, v44
	v_fmac_f32_e32 v45, v46, v41
	v_fma_f32 v40, -v40, v45, v44
	v_div_fmas_f32 v40, v40, v41, v45
	v_cmp_eq_u32_e32 vcc, 1, v56
	v_div_fixup_f32 v37, v40, v37, 1.0
	v_mov_b32_e32 v36, 0
	v_cndmask_b32_e32 v40, v42, v43, vcc
	v_cmp_eq_u32_e32 vcc, 2, v56
	s_nop 1
	v_cndmask_b32_e32 v38, v40, v38, vcc
	v_cmp_eq_u32_e32 vcc, 3, v56
	s_nop 1
	v_cndmask_b32_e32 v38, v38, v39, vcc
	v_mul_f32_e32 v38, v38, v37
	v_pk_mul_f32 v[18:19], v[38:39], v[18:19] op_sel_hi:[0,1]
	v_pk_mul_f32 v[30:31], v[38:39], v[30:31] op_sel_hi:[0,1]
	v_bfe_u32 v37, v19, 16, 1
	v_bfe_u32 v39, v18, 16, 1
	v_add3_u32 v18, v18, v39, s14
	v_add3_u32 v19, v19, v37, s14
	v_perm_b32 v40, v19, v18, s5
	v_bfe_u32 v18, v31, 16, 1
	v_bfe_u32 v19, v30, 16, 1
	v_add3_u32 v19, v30, v19, s14
	v_add3_u32 v18, v31, v18, s14
	v_perm_b32 v41, v18, v19, s5
	v_lshlrev_b32_e32 v18, 3, v54
	v_lshlrev_b32_e32 v19, 5, v57
	;; [unrolled: 1-line block ×3, first 2 shown]
	v_pk_mul_f32 v[26:27], v[38:39], v[26:27] op_sel_hi:[0,1]
	v_or3_b32 v18, v30, v19, v18
	v_pk_mul_f32 v[30:31], v[38:39], v[32:33] op_sel_hi:[0,1]
	v_bfe_u32 v32, v27, 16, 1
	v_bfe_u32 v33, v26, 16, 1
	v_add3_u32 v26, v26, v33, s14
	v_add3_u32 v27, v27, v32, s14
	v_perm_b32 v26, v27, v26, s5
	v_bfe_u32 v27, v31, 16, 1
	v_bfe_u32 v32, v30, 16, 1
	v_add3_u32 v30, v30, v32, s14
	v_add3_u32 v27, v31, v27, s14
	v_perm_b32 v27, v27, v30, s5
	ds_write2st64_b64 v18, v[40:41], v[26:27] offset1:1
	v_pk_mul_f32 v[26:27], v[38:39], v[28:29] op_sel_hi:[0,1]
	v_bfe_u32 v28, v27, 16, 1
	v_bfe_u32 v29, v26, 16, 1
	v_pk_mul_f32 v[24:25], v[38:39], v[24:25] op_sel_hi:[0,1]
	v_add3_u32 v26, v26, v29, s14
	v_add3_u32 v27, v27, v28, s14
	v_perm_b32 v26, v27, v26, s5
	v_bfe_u32 v27, v25, 16, 1
	v_bfe_u32 v28, v24, 16, 1
	v_add3_u32 v24, v24, v28, s14
	v_add3_u32 v25, v25, v27, s14
	v_pk_mul_f32 v[22:23], v[38:39], v[22:23] op_sel_hi:[0,1]
	v_perm_b32 v27, v25, v24, s5
	v_bfe_u32 v24, v23, 16, 1
	v_bfe_u32 v25, v22, 16, 1
	v_pk_mul_f32 v[20:21], v[38:39], v[20:21] op_sel_hi:[0,1]
	v_add3_u32 v22, v22, v25, s14
	v_add3_u32 v23, v23, v24, s14
	v_perm_b32 v22, v23, v22, s5
	v_bfe_u32 v23, v21, 16, 1
	v_bfe_u32 v24, v20, 16, 1
	v_add3_u32 v20, v20, v24, s14
	v_add3_u32 v21, v21, v23, s14
	v_perm_b32 v23, v21, v20, s5
	v_cmp_eq_u32_e32 vcc, 0, v0
	ds_write2st64_b64 v18, v[26:27], v[22:23] offset0:2 offset1:3
	s_and_saveexec_b64 s[12:13], vcc
	s_cbranch_execz .LBB1104_17
; %bb.16:
	s_mul_i32 s3, s3, s11
	s_mul_hi_u32 s5, s2, s11
	s_add_i32 s5, s5, s3
	s_mul_i32 s3, s2, s11
	s_add_u32 s3, s3, s4
	s_addc_u32 s5, s5, 0
	s_load_dwordx4 s[16:19], s[0:1], 0x58
	s_mul_i32 s5, s5, s10
	s_mul_hi_u32 s15, s3, s10
	s_add_i32 s15, s15, s5
	s_mul_i32 s3, s3, s10
	s_add_u32 s20, s3, s30
	s_addc_u32 s21, s15, 0
	s_lshl_b64 s[20:21], s[20:21], 2
	s_waitcnt lgkmcnt(0)
	s_add_u32 s18, s18, s20
	s_addc_u32 s19, s19, s21
	s_add_u32 s16, s16, s20
	s_addc_u32 s17, s17, s21
	global_store_dword v36, v34, s[18:19]
	global_store_dword v36, v35, s[16:17]
.LBB1104_17:
	s_or_b64 exec, exec, s[12:13]
	s_waitcnt vmcnt(3)
	v_cvt_pk_f32_fp8_e32 v[20:21], v14
	v_cvt_pk_f32_fp8_sdwa v[22:23], v14 src0_sel:WORD_1
	s_mov_b32 s5, 0x7060302
	v_lshl_or_b32 v14, v54, 9, v19
	s_waitcnt lgkmcnt(0)
	s_barrier
	v_cvt_pk_f32_fp8_e32 v[24:25], v15
	v_perm_b32 v28, v21, v20, s5
	v_perm_b32 v29, v23, v22, s5
	v_cvt_pk_f32_fp8_sdwa v[26:27], v15 src0_sel:WORD_1
	ds_read_b128 v[20:23], v14
	v_perm_b32 v32, v25, v24, s5
	v_cvt_pk_f32_fp8_e32 v[34:35], v16
	v_perm_b32 v33, v27, v26, s5
	ds_read_b128 v[24:27], v14 offset:16
	v_cvt_pk_f32_fp8_sdwa v[36:37], v16 src0_sel:WORD_1
	s_waitcnt lgkmcnt(1)
	v_mfma_f32_16x16x16_bf16 v[28:31], v[28:29], v[20:21], 0
	v_perm_b32 v34, v35, v34, s5
	s_load_dword s12, s[46:47], 0x0
	v_perm_b32 v35, v37, v36, s5
	v_cvt_pk_f32_fp8_e32 v[36:37], v17
	v_cvt_pk_f32_fp8_sdwa v[16:17], v17 src0_sel:WORD_1
	v_mfma_f32_16x16x16_bf16 v[20:23], v[32:33], v[22:23], v[28:31]
	v_cmp_gt_u32_e32 vcc, 64, v0
	s_and_b64 s[6:7], s[6:7], vcc
	s_mov_b32 s3, 0
	v_perm_b32 v28, v37, v36, s5
	v_perm_b32 v29, v17, v16, s5
	s_waitcnt lgkmcnt(0)
	v_mfma_f32_16x16x16_bf16 v[20:23], v[34:35], v[24:25], v[20:23]
	s_waitcnt vmcnt(2)
	v_cvt_pk_f32_fp8_e32 v[16:17], v10
	v_cvt_pk_f32_fp8_sdwa v[24:25], v10 src0_sel:WORD_1
	v_cvt_pk_f32_fp8_sdwa v[34:35], v12 src0_sel:WORD_1
	v_mfma_f32_16x16x16_bf16 v[20:23], v[28:29], v[26:27], v[20:23]
	v_cvt_pk_f32_fp8_e32 v[26:27], v11
	v_perm_b32 v10, v17, v16, s5
	v_cvt_pk_f32_fp8_sdwa v[16:17], v11 src0_sel:WORD_1
	v_perm_b32 v11, v25, v24, s5
	v_perm_b32 v32, v27, v26, s5
	ds_read_b128 v[24:27], v14 offset:2048
	ds_read_b128 v[28:31], v14 offset:2064
	v_perm_b32 v33, v17, v16, s5
	v_cvt_pk_f32_fp8_e32 v[16:17], v12
	s_waitcnt lgkmcnt(1)
	v_mfma_f32_16x16x16_bf16 v[20:23], v[10:11], v[24:25], v[20:23]
	v_perm_b32 v11, v35, v34, s5
	v_perm_b32 v10, v17, v16, s5
	v_cvt_pk_f32_fp8_e32 v[16:17], v13
	v_cvt_pk_f32_fp8_sdwa v[24:25], v13 src0_sel:WORD_1
	v_mfma_f32_16x16x16_bf16 v[20:23], v[32:33], v[26:27], v[20:23]
	s_and_b64 s[6:7], s[6:7], s[8:9]
	v_perm_b32 v16, v17, v16, s5
	v_perm_b32 v17, v25, v24, s5
	s_waitcnt lgkmcnt(0)
	v_mfma_f32_16x16x16_bf16 v[10:13], v[10:11], v[28:29], v[20:23]
	s_waitcnt vmcnt(1)
	v_cvt_pk_f32_fp8_sdwa v[24:25], v7 src0_sel:WORD_1
	v_cvt_pk_f32_fp8_e32 v[28:29], v8
	v_cvt_pk_f32_fp8_e32 v[20:21], v6
	v_mfma_f32_16x16x16_bf16 v[10:13], v[16:17], v[30:31], v[10:13]
	v_cvt_pk_f32_fp8_sdwa v[16:17], v6 src0_sel:WORD_1
	v_cvt_pk_f32_fp8_e32 v[22:23], v7
	v_perm_b32 v6, v21, v20, s5
	v_cvt_pk_f32_fp8_sdwa v[30:31], v8 src0_sel:WORD_1
	v_perm_b32 v7, v17, v16, s5
	v_perm_b32 v16, v23, v22, s5
	ds_read_b128 v[20:23], v14 offset:4096
	v_perm_b32 v17, v25, v24, s5
	ds_read_b128 v[24:27], v14 offset:4112
	s_waitcnt lgkmcnt(1)
	v_mfma_f32_16x16x16_bf16 v[10:13], v[6:7], v[20:21], v[10:13]
	v_perm_b32 v6, v29, v28, s5
	v_perm_b32 v7, v31, v30, s5
	v_cvt_pk_f32_fp8_e32 v[20:21], v9
	v_mfma_f32_16x16x16_bf16 v[10:13], v[16:17], v[22:23], v[10:13]
	v_cvt_pk_f32_fp8_sdwa v[16:17], v9 src0_sel:WORD_1
	v_perm_b32 v20, v21, v20, s5
	s_waitcnt lgkmcnt(0)
	v_mfma_f32_16x16x16_bf16 v[6:9], v[6:7], v[24:25], v[10:13]
	v_perm_b32 v21, v17, v16, s5
	s_waitcnt vmcnt(0)
	v_cvt_pk_f32_fp8_e32 v[16:17], v3
	v_cvt_pk_f32_fp8_sdwa v[24:25], v4 src0_sel:WORD_1
	v_cvt_pk_f32_fp8_e32 v[10:11], v2
	v_cvt_pk_f32_fp8_sdwa v[12:13], v2 src0_sel:WORD_1
	v_mfma_f32_16x16x16_bf16 v[6:9], v[20:21], v[26:27], v[6:9]
	v_cvt_pk_f32_fp8_sdwa v[20:21], v3 src0_sel:WORD_1
	v_perm_b32 v2, v11, v10, s5
	v_perm_b32 v3, v13, v12, s5
	ds_read_b128 v[10:13], v14 offset:6144
	v_perm_b32 v22, v17, v16, s5
	v_perm_b32 v23, v21, v20, s5
	v_cvt_pk_f32_fp8_e32 v[20:21], v4
	s_waitcnt lgkmcnt(0)
	v_mfma_f32_16x16x16_bf16 v[6:9], v[2:3], v[10:11], v[6:9]
	ds_read_b128 v[14:17], v14 offset:6160
	v_perm_b32 v2, v21, v20, s5
	v_perm_b32 v3, v25, v24, s5
	v_cvt_pk_f32_fp8_e32 v[10:11], v5
	v_mfma_f32_16x16x16_bf16 v[6:9], v[22:23], v[12:13], v[6:9]
	v_cvt_pk_f32_fp8_sdwa v[12:13], v5 src0_sel:WORD_1
	s_waitcnt lgkmcnt(0)
	v_perm_b32 v10, v11, v10, s5
	v_mfma_f32_16x16x16_bf16 v[2:5], v[2:3], v[14:15], v[6:9]
	v_perm_b32 v11, v13, v12, s5
	s_barrier
	s_nop 0
	v_mfma_f32_16x16x16_bf16 v[2:5], v[10:11], v[16:17], v[2:5]
	s_nop 6
	v_pk_mul_f32 v[2:3], v[2:3], s[12:13] op_sel_hi:[1,0]
	v_pk_mul_f32 v[4:5], v[4:5], s[12:13] op_sel_hi:[1,0]
	v_bfe_u32 v6, v3, 16, 1
	v_bfe_u32 v7, v2, 16, 1
	v_add3_u32 v2, v2, v7, s14
	v_add3_u32 v3, v3, v6, s14
	v_perm_b32 v2, v3, v2, s5
	v_bfe_u32 v3, v5, 16, 1
	v_bfe_u32 v6, v4, 16, 1
	v_add3_u32 v4, v4, v6, s14
	v_add3_u32 v3, v5, v3, s14
	v_perm_b32 v3, v3, v4, s5
	ds_write_b64 v18, v[2:3]
	s_waitcnt lgkmcnt(0)
	s_barrier
	s_and_saveexec_b64 s[8:9], s[6:7]
	s_cbranch_execz .LBB1104_19
; %bb.18:
	s_load_dwordx2 s[0:1], s[0:1], 0x68
	s_mul_i32 s2, s11, s2
	s_lshl_b32 s5, s10, 6
	s_mul_hi_u32 s7, s2, s5
	s_mul_i32 s6, s2, s5
	s_lshl_b64 s[6:7], s[6:7], 1
	v_lshlrev_b32_e32 v0, 10, v0
	s_waitcnt lgkmcnt(0)
	s_add_u32 s6, s0, s6
	v_and_b32_e32 v0, 0x1800, v0
	v_lshlrev_b32_e32 v2, 5, v54
	v_and_b32_e32 v3, 16, v55
	s_addc_u32 s7, s1, s7
	s_lshl_b32 s2, s30, 6
	v_or3_b32 v0, v0, v2, v3
	s_lshl_b64 s[0:1], s[2:3], 1
	ds_read_b128 v[2:5], v0
	s_add_u32 s2, s6, s0
	s_addc_u32 s3, s7, s1
	s_mul_hi_u32 s1, s5, s4
	s_mul_i32 s0, s5, s4
	s_lshl_b64 s[0:1], s[0:1], 1
	s_add_u32 s0, s2, s0
	s_addc_u32 s1, s3, s1
	s_waitcnt lgkmcnt(0)
	global_store_dwordx4 v1, v[2:5], s[0:1]
.LBB1104_19:
	s_endpgm
	.section	.rodata,"a",@progbits
	.p2align	6, 0x0
	.amdhsa_kernel _Z39paged_attention_ll4mi_QKV_mfma16_kernelI14__hip_bfloat16hLN4vllm18Fp8KVCacheDataTypeE1EhLi16ELi64ELi256ELb1ELi1EEvPKT_PKT0_S8_ifPKiSA_SA_iPKfiiiPfSD_PS3_PT2_iSC_SC_
		.amdhsa_group_segment_fixed_size 8192
		.amdhsa_private_segment_fixed_size 0
		.amdhsa_kernarg_size 400
		.amdhsa_user_sgpr_count 2
		.amdhsa_user_sgpr_dispatch_ptr 0
		.amdhsa_user_sgpr_queue_ptr 0
		.amdhsa_user_sgpr_kernarg_segment_ptr 1
		.amdhsa_user_sgpr_dispatch_id 0
		.amdhsa_user_sgpr_kernarg_preload_length 0
		.amdhsa_user_sgpr_kernarg_preload_offset 0
		.amdhsa_user_sgpr_private_segment_size 0
		.amdhsa_uses_dynamic_stack 0
		.amdhsa_enable_private_segment 0
		.amdhsa_system_sgpr_workgroup_id_x 1
		.amdhsa_system_sgpr_workgroup_id_y 1
		.amdhsa_system_sgpr_workgroup_id_z 1
		.amdhsa_system_sgpr_workgroup_info 0
		.amdhsa_system_vgpr_workitem_id 0
		.amdhsa_next_free_vgpr 74
		.amdhsa_next_free_sgpr 52
		.amdhsa_accum_offset 76
		.amdhsa_reserve_vcc 1
		.amdhsa_float_round_mode_32 0
		.amdhsa_float_round_mode_16_64 0
		.amdhsa_float_denorm_mode_32 3
		.amdhsa_float_denorm_mode_16_64 3
		.amdhsa_dx10_clamp 1
		.amdhsa_ieee_mode 1
		.amdhsa_fp16_overflow 0
		.amdhsa_tg_split 0
		.amdhsa_exception_fp_ieee_invalid_op 0
		.amdhsa_exception_fp_denorm_src 0
		.amdhsa_exception_fp_ieee_div_zero 0
		.amdhsa_exception_fp_ieee_overflow 0
		.amdhsa_exception_fp_ieee_underflow 0
		.amdhsa_exception_fp_ieee_inexact 0
		.amdhsa_exception_int_div_zero 0
	.end_amdhsa_kernel
	.section	.text._Z39paged_attention_ll4mi_QKV_mfma16_kernelI14__hip_bfloat16hLN4vllm18Fp8KVCacheDataTypeE1EhLi16ELi64ELi256ELb1ELi1EEvPKT_PKT0_S8_ifPKiSA_SA_iPKfiiiPfSD_PS3_PT2_iSC_SC_,"axG",@progbits,_Z39paged_attention_ll4mi_QKV_mfma16_kernelI14__hip_bfloat16hLN4vllm18Fp8KVCacheDataTypeE1EhLi16ELi64ELi256ELb1ELi1EEvPKT_PKT0_S8_ifPKiSA_SA_iPKfiiiPfSD_PS3_PT2_iSC_SC_,comdat
.Lfunc_end1104:
	.size	_Z39paged_attention_ll4mi_QKV_mfma16_kernelI14__hip_bfloat16hLN4vllm18Fp8KVCacheDataTypeE1EhLi16ELi64ELi256ELb1ELi1EEvPKT_PKT0_S8_ifPKiSA_SA_iPKfiiiPfSD_PS3_PT2_iSC_SC_, .Lfunc_end1104-_Z39paged_attention_ll4mi_QKV_mfma16_kernelI14__hip_bfloat16hLN4vllm18Fp8KVCacheDataTypeE1EhLi16ELi64ELi256ELb1ELi1EEvPKT_PKT0_S8_ifPKiSA_SA_iPKfiiiPfSD_PS3_PT2_iSC_SC_
                                        ; -- End function
	.section	.AMDGPU.csdata,"",@progbits
; Kernel info:
; codeLenInByte = 4968
; NumSgprs: 58
; NumVgprs: 74
; NumAgprs: 0
; TotalNumVgprs: 74
; ScratchSize: 0
; MemoryBound: 0
; FloatMode: 240
; IeeeMode: 1
; LDSByteSize: 8192 bytes/workgroup (compile time only)
; SGPRBlocks: 7
; VGPRBlocks: 9
; NumSGPRsForWavesPerEU: 58
; NumVGPRsForWavesPerEU: 74
; AccumOffset: 76
; Occupancy: 6
; WaveLimiterHint : 1
; COMPUTE_PGM_RSRC2:SCRATCH_EN: 0
; COMPUTE_PGM_RSRC2:USER_SGPR: 2
; COMPUTE_PGM_RSRC2:TRAP_HANDLER: 0
; COMPUTE_PGM_RSRC2:TGID_X_EN: 1
; COMPUTE_PGM_RSRC2:TGID_Y_EN: 1
; COMPUTE_PGM_RSRC2:TGID_Z_EN: 1
; COMPUTE_PGM_RSRC2:TIDIG_COMP_CNT: 0
; COMPUTE_PGM_RSRC3_GFX90A:ACCUM_OFFSET: 18
; COMPUTE_PGM_RSRC3_GFX90A:TG_SPLIT: 0
	.section	.text._Z39paged_attention_ll4mi_QKV_mfma16_kernelI14__hip_bfloat16hLN4vllm18Fp8KVCacheDataTypeE1EhLi16ELi64ELi256ELb1ELi2EEvPKT_PKT0_S8_ifPKiSA_SA_iPKfiiiPfSD_PS3_PT2_iSC_SC_,"axG",@progbits,_Z39paged_attention_ll4mi_QKV_mfma16_kernelI14__hip_bfloat16hLN4vllm18Fp8KVCacheDataTypeE1EhLi16ELi64ELi256ELb1ELi2EEvPKT_PKT0_S8_ifPKiSA_SA_iPKfiiiPfSD_PS3_PT2_iSC_SC_,comdat
	.protected	_Z39paged_attention_ll4mi_QKV_mfma16_kernelI14__hip_bfloat16hLN4vllm18Fp8KVCacheDataTypeE1EhLi16ELi64ELi256ELb1ELi2EEvPKT_PKT0_S8_ifPKiSA_SA_iPKfiiiPfSD_PS3_PT2_iSC_SC_ ; -- Begin function _Z39paged_attention_ll4mi_QKV_mfma16_kernelI14__hip_bfloat16hLN4vllm18Fp8KVCacheDataTypeE1EhLi16ELi64ELi256ELb1ELi2EEvPKT_PKT0_S8_ifPKiSA_SA_iPKfiiiPfSD_PS3_PT2_iSC_SC_
	.globl	_Z39paged_attention_ll4mi_QKV_mfma16_kernelI14__hip_bfloat16hLN4vllm18Fp8KVCacheDataTypeE1EhLi16ELi64ELi256ELb1ELi2EEvPKT_PKT0_S8_ifPKiSA_SA_iPKfiiiPfSD_PS3_PT2_iSC_SC_
	.p2align	8
	.type	_Z39paged_attention_ll4mi_QKV_mfma16_kernelI14__hip_bfloat16hLN4vllm18Fp8KVCacheDataTypeE1EhLi16ELi64ELi256ELb1ELi2EEvPKT_PKT0_S8_ifPKiSA_SA_iPKfiiiPfSD_PS3_PT2_iSC_SC_,@function
_Z39paged_attention_ll4mi_QKV_mfma16_kernelI14__hip_bfloat16hLN4vllm18Fp8KVCacheDataTypeE1EhLi16ELi64ELi256ELb1ELi2EEvPKT_PKT0_S8_ifPKiSA_SA_iPKfiiiPfSD_PS3_PT2_iSC_SC_: ; @_Z39paged_attention_ll4mi_QKV_mfma16_kernelI14__hip_bfloat16hLN4vllm18Fp8KVCacheDataTypeE1EhLi16ELi64ELi256ELb1ELi2EEvPKT_PKT0_S8_ifPKiSA_SA_iPKfiiiPfSD_PS3_PT2_iSC_SC_
; %bb.0:
	s_load_dwordx2 s[8:9], s[0:1], 0x30
	s_mov_b32 s16, s3
	s_mov_b64 s[6:7], 0
	s_waitcnt lgkmcnt(0)
	s_cmp_lg_u64 s[8:9], 0
	s_cselect_b64 s[10:11], -1, 0
	s_and_b64 vcc, exec, s[10:11]
	s_cbranch_vccz .LBB1105_7
; %bb.1:
	s_add_i32 s12, s2, 1
	s_mov_b32 s13, 0
	s_lshl_b64 s[14:15], s[12:13], 2
	s_add_u32 s14, s8, s14
	s_mov_b32 s3, s13
	s_addc_u32 s15, s9, s15
	s_lshl_b64 s[12:13], s[2:3], 2
	s_add_u32 s12, s8, s12
	s_addc_u32 s13, s9, s13
	s_load_dword s5, s[14:15], 0x0
	s_load_dword s17, s[12:13], 0x0
	s_waitcnt lgkmcnt(0)
	s_sub_i32 s5, s5, s17
	s_cmp_eq_u32 s5, 1
	s_cselect_b64 s[12:13], -1, 0
	s_andn2_b64 vcc, exec, s[6:7]
	s_cbranch_vccnz .LBB1105_3
.LBB1105_2:
	s_mov_b32 s3, 0
	s_mov_b64 s[12:13], -1
.LBB1105_3:
	s_andn2_b64 vcc, exec, s[12:13]
	s_cbranch_vccnz .LBB1105_19
; %bb.4:
	s_load_dwordx2 s[6:7], s[0:1], 0x28
	s_lshl_b64 s[12:13], s[2:3], 2
	s_waitcnt lgkmcnt(0)
	s_add_u32 s6, s6, s12
	s_addc_u32 s7, s7, s13
	s_load_dword s33, s[6:7], 0x0
	s_lshl_b32 s20, s16, 8
	s_waitcnt lgkmcnt(0)
	s_cmp_ge_i32 s20, s33
	s_cbranch_scc1 .LBB1105_19
; %bb.5:
	s_load_dwordx2 s[6:7], s[0:1], 0x20
	s_load_dword s5, s[0:1], 0x38
	s_add_i32 s14, s33, 15
	s_ashr_i32 s15, s14, 31
	v_and_b32_e32 v1, 0xcf, v0
	s_lshr_b32 s15, s15, 28
	v_add_u32_e32 v1, s20, v1
	s_add_i32 s14, s14, s15
	v_ashrrev_i32_e32 v2, 31, v1
	s_ashr_i32 s21, s14, 4
	v_lshrrev_b32_e32 v4, 28, v2
	s_add_i32 s21, s21, -1
	s_waitcnt lgkmcnt(0)
	s_mul_i32 s14, s2, s5
	s_mov_b32 s15, 0
	v_add_u32_e32 v2, v1, v4
	s_lshl_b64 s[14:15], s[14:15], 2
	v_ashrrev_i32_e32 v2, 4, v2
	v_mov_b32_e32 v5, s21
	v_cmp_gt_i32_e32 vcc, s33, v1
	s_add_u32 s6, s6, s14
	s_addc_u32 s7, s7, s15
	v_cndmask_b32_e32 v2, v5, v2, vcc
	v_ashrrev_i32_e32 v3, 31, v2
	v_lshl_add_u64 v[6:7], v[2:3], 2, s[6:7]
	v_or_b32_e32 v2, 16, v1
	v_add_u32_e32 v3, v2, v4
	v_ashrrev_i32_e32 v3, 4, v3
	v_cmp_gt_i32_e32 vcc, s33, v2
	s_load_dwordx2 s[14:15], s[0:1], 0x8
	s_nop 0
	v_cndmask_b32_e32 v2, v5, v3, vcc
	v_ashrrev_i32_e32 v3, 31, v2
	v_lshl_add_u64 v[8:9], v[2:3], 2, s[6:7]
	v_or_b32_e32 v2, 32, v1
	v_add_u32_e32 v3, v2, v4
	v_ashrrev_i32_e32 v3, 4, v3
	v_cmp_gt_i32_e32 vcc, s33, v2
	v_or_b32_e32 v1, 48, v1
	s_nop 0
	v_cndmask_b32_e32 v2, v5, v3, vcc
	v_ashrrev_i32_e32 v3, 31, v2
	v_lshl_add_u64 v[10:11], v[2:3], 2, s[6:7]
	v_add_u32_e32 v2, v1, v4
	v_ashrrev_i32_e32 v2, 4, v2
	v_cmp_gt_i32_e32 vcc, s33, v1
	s_nop 1
	v_cndmask_b32_e32 v2, v5, v2, vcc
	v_ashrrev_i32_e32 v3, 31, v2
	v_lshl_add_u64 v[12:13], v[2:3], 2, s[6:7]
	global_load_dword v5, v[6:7], off
	global_load_dword v4, v[8:9], off
	;; [unrolled: 1-line block ×4, first 2 shown]
	s_andn2_b64 vcc, exec, s[10:11]
	s_cbranch_vccnz .LBB1105_8
; %bb.6:
	s_add_u32 s8, s8, s12
	s_addc_u32 s9, s9, s13
	s_load_dword s5, s[8:9], 0x0
	s_branch .LBB1105_9
.LBB1105_7:
	s_mov_b64 s[12:13], 0
	s_branch .LBB1105_2
.LBB1105_8:
	s_mov_b32 s5, s2
.LBB1105_9:
	s_load_dwordx2 s[8:9], s[0:1], 0x10
	s_load_dwordx4 s[44:47], s[0:1], 0x48
	v_lshrrev_b32_e32 v48, 6, v0
	v_bfe_u32 v1, v0, 4, 2
	v_lshl_or_b32 v6, v48, 2, v1
	v_and_b32_e32 v49, 15, v0
	v_lshlrev_b32_e32 v7, 3, v49
	v_cmp_gt_u32_e32 vcc, 2, v6
	v_cmp_gt_u32_e64 s[18:19], 8, v49
	s_lshl_b32 s17, s4, 1
	s_and_b64 s[12:13], s[18:19], vcc
	v_lshlrev_b32_e32 v26, 1, v7
	v_lshlrev_b32_e32 v46, 4, v0
	s_and_saveexec_b64 s[10:11], s[12:13]
	s_cbranch_execz .LBB1105_11
; %bb.10:
	s_load_dwordx2 s[12:13], s[0:1], 0x0
	s_waitcnt lgkmcnt(0)
	s_ashr_i32 s22, s44, 31
	s_mul_hi_u32 s23, s5, s44
	s_mul_i32 s22, s5, s22
	s_add_i32 s23, s23, s22
	s_mul_i32 s22, s5, s44
	s_lshl_b64 s[22:23], s[22:23], 1
	s_add_u32 s12, s12, s22
	v_add_lshl_u32 v8, v1, s17, 6
	s_addc_u32 s13, s13, s23
	v_ashrrev_i32_e32 v9, 31, v8
	v_lshl_add_u64 v[8:9], v[8:9], 1, s[12:13]
	v_mov_b32_e32 v27, 0
	v_lshl_add_u64 v[8:9], v[8:9], 0, v[26:27]
	global_load_dwordx4 v[8:11], v[8:9], off
	v_lshlrev_b32_e32 v12, 8, v49
	v_lshlrev_b32_e32 v6, 5, v6
	v_and_b32_e32 v7, 16, v46
	v_and_b32_e32 v12, 0xe00, v12
	v_or3_b32 v6, v12, v6, v7
	s_waitcnt vmcnt(0)
	ds_write_b128 v6, v[8:11]
.LBB1105_11:
	s_or_b64 exec, exec, s[10:11]
	s_waitcnt lgkmcnt(0)
	s_mul_i32 s10, s4, s46
	s_add_u32 s4, s14, s10
	s_addc_u32 s5, s15, 0
	v_and_b32_e32 v30, 48, v0
	v_and_b32_e32 v28, 0xf0, v46
	v_mov_b32_e32 v29, 0
	v_lshl_add_u64 v[6:7], s[4:5], 0, v[28:29]
	v_lshlrev_b32_e32 v28, 4, v30
	v_lshl_add_u64 v[6:7], v[6:7], 0, v[28:29]
	s_waitcnt vmcnt(3)
	v_mad_i64_i32 v[8:9], s[4:5], v5, s45, v[6:7]
	s_waitcnt vmcnt(2)
	v_mad_i64_i32 v[4:5], s[4:5], v4, s45, v[6:7]
	s_barrier
	global_load_dwordx4 v[22:25], v[8:9], off
	global_load_dwordx4 v[18:21], v[4:5], off
	s_waitcnt vmcnt(3)
	v_mad_i64_i32 v[4:5], s[4:5], v3, s45, v[6:7]
	s_waitcnt vmcnt(2)
	v_mad_i64_i32 v[2:3], s[4:5], v2, s45, v[6:7]
	global_load_dwordx4 v[14:17], v[4:5], off
	global_load_dwordx4 v[6:9], v[2:3], off
	v_and_b32_e32 v2, 1, v0
	v_lshlrev_b32_e32 v2, 5, v2
	v_lshl_or_b32 v2, v1, 9, v2
	ds_read_b128 v[10:13], v2
	ds_read_b128 v[2:5], v2 offset:16
	v_and_b32_e32 v47, 63, v0
	v_cmp_gt_u32_e32 vcc, 2, v49
	v_mov_b32_e32 v27, 0
	s_and_saveexec_b64 s[4:5], vcc
	s_cbranch_execz .LBB1105_13
; %bb.12:
	s_load_dwordx2 s[12:13], s[0:1], 0x40
	v_or_b32_e32 v32, s17, v49
	v_ashrrev_i32_e32 v33, 31, v32
	s_waitcnt lgkmcnt(0)
	v_lshl_add_u64 v[32:33], v[32:33], 2, s[12:13]
	global_load_dword v27, v[32:33], off
.LBB1105_13:
	s_or_b64 exec, exec, s[4:5]
	v_or_b32_e32 v51, s20, v30
	v_ashrrev_i32_e32 v28, 4, v51
	v_mov_b32_e32 v67, s21
	v_cmp_gt_i32_e32 vcc, s33, v51
	s_waitcnt vmcnt(3)
	v_cvt_pk_f32_fp8_sdwa v[42:43], v22 src0_sel:WORD_1
	s_mov_b32 s44, 0x7060302
	v_cndmask_b32_e32 v30, v67, v28, vcc
	v_ashrrev_i32_e32 v31, 31, v30
	v_lshl_add_u64 v[30:31], v[30:31], 2, s[6:7]
	global_load_dword v50, v[30:31], off
	v_cvt_pk_f32_fp8_e32 v[30:31], v22
	v_cvt_pk_f32_fp8_e32 v[32:33], v23
	v_cvt_pk_f32_fp8_sdwa v[40:41], v23 src0_sel:WORD_1
	v_cvt_pk_f32_fp8_e32 v[38:39], v24
	v_cvt_pk_f32_fp8_sdwa v[36:37], v24 src0_sel:WORD_1
	;; [unrolled: 2-line block ×3, first 2 shown]
	s_waitcnt vmcnt(3)
	v_cvt_pk_f32_fp8_e32 v[24:25], v18
	v_cvt_pk_f32_fp8_sdwa v[44:45], v18 src0_sel:WORD_1
	v_cvt_pk_f32_fp8_e32 v[52:53], v19
	v_cvt_pk_f32_fp8_sdwa v[54:55], v19 src0_sel:WORD_1
	v_perm_b32 v18, v31, v30, s44
	v_perm_b32 v19, v43, v42, s44
	v_cvt_pk_f32_fp8_e32 v[56:57], v20
	v_cvt_pk_f32_fp8_sdwa v[58:59], v20 src0_sel:WORD_1
	v_lshlrev_b32_e32 v20, 4, v49
	v_perm_b32 v24, v25, v24, s44
	v_perm_b32 v25, v45, v44, s44
	;; [unrolled: 1-line block ×4, first 2 shown]
	v_cvt_pk_f32_fp8_e32 v[60:61], v21
	v_cvt_pk_f32_fp8_sdwa v[62:63], v21 src0_sel:WORD_1
	v_lshl_or_b32 v28, v48, 8, v20
	s_waitcnt lgkmcnt(1)
	v_mfma_f32_16x16x16_bf16 v[18:21], v[18:19], v[10:11], 0
	s_waitcnt vmcnt(2)
	v_cvt_pk_f32_fp8_e32 v[42:43], v14
	v_cvt_pk_f32_fp8_sdwa v[30:31], v14 src0_sel:WORD_1
	v_or_b32_e32 v14, 64, v51
	s_add_u32 s4, s8, s10
	v_or_b32_e32 v40, 0x80, v51
	v_or_b32_e32 v41, 0xc0, v51
	v_ashrrev_i32_e32 v51, 4, v14
	v_cmp_gt_i32_e32 vcc, s33, v14
	s_addc_u32 s5, s9, 0
	v_ashrrev_i32_e32 v66, 4, v40
	v_mfma_f32_16x16x16_bf16 v[18:21], v[44:45], v[12:13], v[18:21]
	v_cndmask_b32_e32 v44, v67, v51, vcc
	v_cmp_gt_i32_e32 vcc, s33, v40
	v_perm_b32 v52, v53, v52, s44
	v_perm_b32 v53, v55, v54, s44
	;; [unrolled: 1-line block ×4, first 2 shown]
	v_ashrrev_i32_e32 v36, 4, v41
	v_lshl_add_u64 v[28:29], s[4:5], 0, v[28:29]
	v_cndmask_b32_e32 v66, v67, v66, vcc
	v_cmp_gt_i32_e32 vcc, s33, v41
	v_mfma_f32_16x16x16_bf16 v[38:41], v[24:25], v[10:11], 0
	s_load_dword s4, s[0:1], 0x1c
	s_load_dwordx4 s[40:43], s[0:1], 0x80
	v_cndmask_b32_e32 v68, v67, v36, vcc
	v_ashrrev_i32_e32 v45, 31, v44
	v_ashrrev_i32_e32 v67, 31, v66
	;; [unrolled: 1-line block ×3, first 2 shown]
	v_perm_b32 v37, v23, v22, s44
	v_mfma_f32_16x16x16_bf16 v[22:25], v[52:53], v[12:13], v[38:41]
	v_perm_b32 v36, v35, v34, s44
	v_perm_b32 v34, v43, v42, s44
	v_lshl_add_u64 v[42:43], v[66:67], 2, s[6:7]
	v_lshl_add_u64 v[40:41], v[44:45], 2, s[6:7]
	;; [unrolled: 1-line block ×3, first 2 shown]
	s_load_dword s46, s[0:1], 0x98
	s_waitcnt lgkmcnt(0)
	s_load_dword s5, s[40:41], 0x0
	global_load_dword v41, v[40:41], off
	s_nop 0
	global_load_dword v51, v[42:43], off
	global_load_dword v52, v[44:45], off
	v_perm_b32 v54, v57, v56, s44
	v_perm_b32 v55, v59, v58, s44
	;; [unrolled: 1-line block ×4, first 2 shown]
	v_mov_b32_e32 v14, s4
	v_cvt_pk_f32_fp8_e32 v[32:33], v15
	v_mfma_f32_16x16x16_bf16 v[22:25], v[54:55], v[2:3], v[22:25]
	s_waitcnt lgkmcnt(0)
	v_mul_f32_e32 v40, s5, v14
	v_perm_b32 v35, v31, v30, s44
	v_cvt_pk_f32_fp8_sdwa v[14:15], v15 src0_sel:WORD_1
	v_mfma_f32_16x16x16_bf16 v[18:21], v[64:65], v[2:3], v[18:21]
	v_cvt_pk_f32_fp8_e32 v[42:43], v16
	v_cvt_pk_f32_fp8_sdwa v[44:45], v16 src0_sel:WORD_1
	s_mov_b32 s47, 0xff7fffff
	v_mfma_f32_16x16x16_bf16 v[22:25], v[38:39], v[4:5], v[22:25]
	v_perm_b32 v38, v33, v32, s44
	v_perm_b32 v39, v15, v14, s44
	v_mfma_f32_16x16x16_bf16 v[30:33], v[34:35], v[10:11], 0
	v_perm_b32 v34, v43, v42, s44
	v_perm_b32 v35, v45, v44, s44
	v_cvt_pk_f32_fp8_e32 v[42:43], v17
	v_mfma_f32_16x16x16_bf16 v[18:21], v[36:37], v[4:5], v[18:21]
	v_cvt_pk_f32_fp8_sdwa v[44:45], v17 src0_sel:WORD_1
	s_waitcnt vmcnt(3)
	v_mad_i64_i32 v[36:37], s[4:5], v50, s45, v[28:29]
	v_mfma_f32_16x16x16_bf16 v[14:17], v[38:39], v[12:13], v[30:33]
	v_mfma_f32_16x16x16_bf16 v[14:17], v[34:35], v[2:3], v[14:17]
	s_nop 1
	v_cvt_pk_f32_fp8_sdwa v[32:33], v6 src0_sel:WORD_1
	v_cvt_pk_f32_fp8_e32 v[34:35], v8
	s_waitcnt vmcnt(2)
	v_pk_mul_f32 v[30:31], v[40:41], v[20:21] op_sel_hi:[0,1]
	v_perm_b32 v20, v43, v42, s44
	v_perm_b32 v21, v45, v44, s44
	v_pk_mul_f32 v[38:39], v[40:41], v[18:19] op_sel_hi:[0,1]
	v_cvt_pk_f32_fp8_e32 v[18:19], v6
	v_mfma_f32_16x16x16_bf16 v[14:17], v[20:21], v[4:5], v[14:17]
	v_cvt_pk_f32_fp8_e32 v[20:21], v7
	v_perm_b32 v18, v19, v18, s44
	v_perm_b32 v19, v33, v32, s44
	v_cvt_pk_f32_fp8_sdwa v[6:7], v7 src0_sel:WORD_1
	v_perm_b32 v32, v21, v20, s44
	v_cvt_pk_f32_fp8_sdwa v[42:43], v8 src0_sel:WORD_1
	v_mfma_f32_16x16x16_bf16 v[18:21], v[18:19], v[10:11], 0
	v_perm_b32 v33, v7, v6, s44
	v_perm_b32 v10, v35, v34, s44
	;; [unrolled: 1-line block ×3, first 2 shown]
	v_cvt_pk_f32_fp8_e32 v[34:35], v9
	v_cvt_pk_f32_fp8_sdwa v[42:43], v9 src0_sel:WORD_1
	v_mfma_f32_16x16x16_bf16 v[6:9], v[32:33], v[12:13], v[18:21]
	v_pk_mul_f32 v[32:33], v[40:41], v[24:25] op_sel_hi:[0,1]
	v_perm_b32 v12, v35, v34, s44
	v_perm_b32 v13, v43, v42, s44
	v_mfma_f32_16x16x16_bf16 v[6:9], v[10:11], v[2:3], v[6:9]
	v_pk_mul_f32 v[34:35], v[40:41], v[22:23] op_sel_hi:[0,1]
	v_pk_mul_f32 v[22:23], v[40:41], v[16:17] op_sel_hi:[0,1]
	;; [unrolled: 1-line block ×3, first 2 shown]
	v_mfma_f32_16x16x16_bf16 v[2:5], v[12:13], v[4:5], v[6:9]
	s_nop 6
	v_pk_mul_f32 v[20:21], v[40:41], v[2:3] op_sel_hi:[0,1]
	v_and_b32_e32 v2, 0xc0, v0
	v_add_u32_e32 v2, s20, v2
	v_lshl_or_b32 v2, v1, 2, v2
	v_or_b32_e32 v3, 1, v2
	v_pk_mul_f32 v[18:19], v[40:41], v[4:5] op_sel_hi:[0,1]
	v_subrev_u32_e32 v4, s33, v3
	v_add_u32_e32 v6, 1, v4
	v_add_u32_e32 v7, 2, v4
	v_add_u32_e32 v8, 3, v4
	v_cvt_f32_i32_e32 v6, v6
	v_cvt_f32_i32_e32 v7, v7
	;; [unrolled: 1-line block ×3, first 2 shown]
	v_add_u32_e32 v9, 19, v4
	v_fmac_f32_e32 v39, v27, v6
	v_fma_f32 v30, v27, v7, v30
	v_fmac_f32_e32 v31, v27, v8
	v_add_u32_e32 v6, 16, v4
	v_add_u32_e32 v7, 17, v4
	;; [unrolled: 1-line block ×3, first 2 shown]
	v_cvt_f32_i32_e32 v6, v6
	v_cvt_f32_i32_e32 v7, v7
	;; [unrolled: 1-line block ×4, first 2 shown]
	v_fma_f32 v34, v27, v6, v34
	v_fmac_f32_e32 v35, v27, v7
	v_fma_f32 v32, v27, v8, v32
	v_add_u32_e32 v6, 32, v4
	v_add_u32_e32 v7, 33, v4
	;; [unrolled: 1-line block ×3, first 2 shown]
	v_cvt_f32_i32_e32 v6, v6
	v_cvt_f32_i32_e32 v7, v7
	;; [unrolled: 1-line block ×4, first 2 shown]
	v_fmac_f32_e32 v33, v27, v9
	v_add_u32_e32 v9, 35, v4
	v_fma_f32 v24, v27, v6, v24
	v_fmac_f32_e32 v25, v27, v7
	v_fma_f32 v22, v27, v8, v22
	v_add_u32_e32 v6, 48, v4
	v_add_u32_e32 v7, 49, v4
	;; [unrolled: 1-line block ×4, first 2 shown]
	v_cvt_f32_i32_e32 v4, v4
	v_cvt_f32_i32_e32 v6, v6
	;; [unrolled: 1-line block ×3, first 2 shown]
	v_fma_f32 v5, v27, v5, v38
	v_fmac_f32_e32 v19, v27, v4
	v_mov_b32_e32 v4, 0xff7fffff
	v_cmp_gt_i32_e64 s[4:5], s33, v2
	v_cmp_gt_i32_e64 s[20:21], s33, v3
	v_fma_f32 v20, v27, v6, v20
	v_cndmask_b32_e64 v6, v4, v5, s[4:5]
	v_cndmask_b32_e64 v3, v4, v39, s[20:21]
	v_fmac_f32_e32 v21, v27, v7
	v_max3_f32 v3, v6, s47, v3
	v_or_b32_e32 v6, 2, v2
	v_or_b32_e32 v7, 3, v2
	v_cmp_gt_i32_e64 s[22:23], s33, v6
	v_cmp_gt_i32_e64 s[24:25], s33, v7
	v_cvt_f32_i32_e32 v9, v9
	v_cndmask_b32_e64 v6, v4, v30, s[22:23]
	v_cndmask_b32_e64 v7, v4, v31, s[24:25]
	v_max3_f32 v3, v3, v6, v7
	v_or_b32_e32 v6, 16, v2
	v_or_b32_e32 v7, 17, v2
	v_cmp_gt_i32_e64 s[26:27], s33, v6
	v_cmp_gt_i32_e64 s[28:29], s33, v7
	v_fmac_f32_e32 v23, v27, v9
	v_cndmask_b32_e64 v6, v4, v34, s[26:27]
	v_cndmask_b32_e64 v7, v4, v35, s[28:29]
	v_max3_f32 v3, v3, v6, v7
	v_or_b32_e32 v6, 18, v2
	v_or_b32_e32 v7, 19, v2
	v_cmp_gt_i32_e64 s[30:31], s33, v6
	v_cmp_gt_i32_e64 s[34:35], s33, v7
	v_cvt_f32_i32_e32 v8, v8
	v_cndmask_b32_e64 v6, v4, v32, s[30:31]
	v_cndmask_b32_e64 v7, v4, v33, s[34:35]
	v_max3_f32 v3, v3, v6, v7
	v_or_b32_e32 v6, 32, v2
	v_or_b32_e32 v7, 33, v2
	v_cmp_gt_i32_e64 s[36:37], s33, v6
	v_cmp_gt_i32_e64 s[38:39], s33, v7
	v_fma_f32 v18, v27, v8, v18
	v_cndmask_b32_e64 v6, v4, v24, s[36:37]
	v_cndmask_b32_e64 v7, v4, v25, s[38:39]
	v_max3_f32 v3, v3, v6, v7
	v_or_b32_e32 v6, 34, v2
	v_or_b32_e32 v7, 35, v2
	v_cmp_gt_i32_e64 s[12:13], s33, v6
	v_cmp_gt_i32_e64 s[14:15], s33, v7
	s_nop 0
	v_cndmask_b32_e64 v6, v4, v22, s[12:13]
	v_cndmask_b32_e64 v7, v4, v23, s[14:15]
	v_max3_f32 v3, v3, v6, v7
	v_or_b32_e32 v6, 48, v2
	v_or_b32_e32 v7, 49, v2
	v_cmp_gt_i32_e64 s[8:9], s33, v6
	v_cmp_gt_i32_e64 s[10:11], s33, v7
	s_nop 0
	v_cndmask_b32_e64 v6, v4, v20, s[8:9]
	v_cndmask_b32_e64 v7, v4, v21, s[10:11]
	v_max3_f32 v3, v3, v6, v7
	v_or_b32_e32 v6, 50, v2
	v_or_b32_e32 v2, 51, v2
	v_cmp_gt_i32_e32 vcc, s33, v6
	v_cmp_gt_i32_e64 s[6:7], s33, v2
	s_nop 0
	v_cndmask_b32_e32 v6, v4, v18, vcc
	v_cndmask_b32_e64 v2, v4, v19, s[6:7]
	v_max3_f32 v4, v3, v6, v2
	v_mbcnt_lo_u32_b32 v2, -1, 0
	v_mbcnt_hi_u32_b32 v6, -1, v2
	v_and_b32_e32 v2, 64, v6
	v_add_u32_e32 v7, 64, v2
	v_xor_b32_e32 v2, 32, v6
	v_cmp_lt_i32_e64 s[40:41], v2, v7
	s_nop 1
	v_cndmask_b32_e64 v2, v6, v2, s[40:41]
	v_lshlrev_b32_e32 v40, 2, v2
	ds_bpermute_b32 v8, v40, v4
	v_mad_i64_i32 v[2:3], s[40:41], v41, s45, v[28:29]
	global_load_dwordx4 v[14:17], v[36:37], off
	global_load_dwordx4 v[10:13], v[2:3], off
	v_xor_b32_e32 v3, 16, v6
	v_cmp_lt_i32_e64 s[40:41], v3, v7
	s_waitcnt lgkmcnt(0)
	v_max_f32_e32 v2, v8, v8
	v_max_f32_e32 v2, v4, v2
	v_cndmask_b32_e64 v3, v6, v3, s[40:41]
	v_lshlrev_b32_e32 v41, 2, v3
	ds_bpermute_b32 v3, v41, v2
	s_waitcnt vmcnt(3)
	v_mad_i64_i32 v[36:37], s[40:41], v51, s45, v[28:29]
	s_waitcnt vmcnt(2)
	v_mad_i64_i32 v[28:29], s[40:41], v52, s45, v[28:29]
	s_waitcnt lgkmcnt(0)
	v_max_f32_e32 v3, v3, v3
	v_max_f32_e32 v27, v2, v3
	v_sub_f32_e32 v2, v5, v27
	v_mul_f32_e32 v2, 0x3fb8aa3b, v2
	v_exp_f32_e32 v38, v2
	v_sub_f32_e32 v2, v39, v27
	v_mul_f32_e32 v2, 0x3fb8aa3b, v2
	v_exp_f32_e32 v39, v2
	global_load_dwordx4 v[6:9], v[36:37], off
	global_load_dwordx4 v[2:5], v[28:29], off
	v_sub_f32_e32 v29, v30, v27
	v_sub_f32_e32 v30, v31, v27
	v_mul_f32_e32 v29, 0x3fb8aa3b, v29
	v_mul_f32_e32 v30, 0x3fb8aa3b, v30
	v_exp_f32_e32 v29, v29
	v_exp_f32_e32 v30, v30
	v_cndmask_b32_e64 v36, 0, v38, s[4:5]
	v_cndmask_b32_e64 v37, 0, v39, s[20:21]
	;; [unrolled: 1-line block ×4, first 2 shown]
	v_sub_f32_e32 v29, v34, v27
	v_sub_f32_e32 v30, v35, v27
	v_mul_f32_e32 v29, 0x3fb8aa3b, v29
	v_mul_f32_e32 v30, 0x3fb8aa3b, v30
	v_exp_f32_e32 v29, v29
	v_exp_f32_e32 v30, v30
	v_add_f32_e32 v28, 0, v36
	v_add_f32_e32 v28, v28, v37
	;; [unrolled: 1-line block ×4, first 2 shown]
	v_cndmask_b32_e64 v28, 0, v29, s[26:27]
	v_cndmask_b32_e64 v29, 0, v30, s[28:29]
	v_sub_f32_e32 v30, v32, v27
	v_mul_f32_e32 v30, 0x3fb8aa3b, v30
	v_sub_f32_e32 v32, v33, v27
	v_exp_f32_e32 v30, v30
	v_mul_f32_e32 v32, 0x3fb8aa3b, v32
	v_sub_f32_e32 v24, v24, v27
	v_exp_f32_e32 v32, v32
	;; [unrolled: 3-line block ×3, first 2 shown]
	v_mul_f32_e32 v25, 0x3fb8aa3b, v25
	v_sub_f32_e32 v22, v22, v27
	v_add_f32_e32 v31, v31, v28
	v_exp_f32_e32 v25, v25
	v_mul_f32_e32 v22, 0x3fb8aa3b, v22
	v_sub_f32_e32 v23, v23, v27
	v_add_f32_e32 v31, v31, v29
	v_cndmask_b32_e64 v30, 0, v30, s[30:31]
	v_exp_f32_e32 v22, v22
	v_mul_f32_e32 v23, 0x3fb8aa3b, v23
	v_sub_f32_e32 v20, v20, v27
	v_add_f32_e32 v33, v31, v30
	v_cndmask_b32_e64 v31, 0, v32, s[34:35]
	;; [unrolled: 5-line block ×5, first 2 shown]
	v_exp_f32_e32 v18, v18
	v_mul_f32_e32 v19, 0x3fb8aa3b, v19
	v_add_f32_e32 v32, v32, v22
	v_cndmask_b32_e64 v23, 0, v23, s[14:15]
	v_exp_f32_e32 v19, v19
	v_add_f32_e32 v32, v32, v23
	v_cndmask_b32_e64 v20, 0, v20, s[8:9]
	v_add_f32_e32 v32, v32, v20
	v_cndmask_b32_e64 v21, 0, v21, s[10:11]
	v_add_f32_e32 v32, v32, v21
	v_cndmask_b32_e32 v18, 0, v18, vcc
	v_add_f32_e32 v32, v32, v18
	v_cndmask_b32_e64 v19, 0, v19, s[6:7]
	v_add_f32_e32 v32, v32, v19
	ds_bpermute_b32 v33, v40, v32
	v_cmp_gt_u32_e32 vcc, 16, v47
	s_waitcnt lgkmcnt(0)
	s_barrier
	v_add_f32_e32 v33, v32, v33
	ds_bpermute_b32 v34, v41, v33
	v_lshlrev_b32_e32 v32, 2, v49
	s_and_saveexec_b64 s[4:5], vcc
	s_cbranch_execz .LBB1105_15
; %bb.14:
	s_waitcnt lgkmcnt(0)
	v_add_f32_e32 v33, v33, v34
	v_lshl_or_b32 v34, v48, 6, v32
	ds_write2st64_b32 v34, v27, v33 offset1:1
.LBB1105_15:
	s_or_b64 exec, exec, s[4:5]
	s_load_dword s6, s[0:1], 0x94
	s_waitcnt lgkmcnt(0)
	s_barrier
	ds_read2_b32 v[34:35], v32 offset1:16
	ds_read2_b32 v[40:41], v32 offset0:32 offset1:48
	ds_read2_b32 v[42:43], v32 offset0:64 offset1:80
	s_movk_i32 s8, 0x7fff
	s_lshl_b32 s7, s46, 1
	s_waitcnt lgkmcnt(2)
	v_max3_f32 v27, v34, s47, v35
	s_waitcnt lgkmcnt(1)
	v_max3_f32 v27, v27, v40, v41
	v_sub_f32_e32 v33, v34, v27
	v_mul_f32_e32 v33, 0x3fb8aa3b, v33
	v_exp_f32_e32 v44, v33
	v_sub_f32_e32 v33, v35, v27
	v_mul_f32_e32 v33, 0x3fb8aa3b, v33
	v_exp_f32_e32 v45, v33
	v_sub_f32_e32 v33, v40, v27
	v_mul_f32_e32 v33, 0x3fb8aa3b, v33
	ds_read2_b32 v[34:35], v32 offset0:96 offset1:112
	v_sub_f32_e32 v32, v41, v27
	v_exp_f32_e32 v40, v33
	v_mul_f32_e32 v32, 0x3fb8aa3b, v32
	v_exp_f32_e32 v32, v32
	s_waitcnt lgkmcnt(1)
	v_fma_f32 v33, v44, v42, 0
	v_fmac_f32_e32 v33, v45, v43
	s_waitcnt lgkmcnt(0)
	v_fmac_f32_e32 v33, v40, v34
	v_fmac_f32_e32 v33, v32, v35
	v_add_f32_e32 v34, 0x358637bd, v33
	v_div_scale_f32 v35, s[4:5], v34, v34, 1.0
	v_rcp_f32_e32 v41, v35
	s_barrier
	v_fma_f32 v42, -v35, v41, 1.0
	v_fmac_f32_e32 v41, v42, v41
	v_div_scale_f32 v42, vcc, 1.0, v34, 1.0
	v_mul_f32_e32 v43, v42, v41
	v_fma_f32 v50, -v35, v43, v42
	v_fmac_f32_e32 v43, v50, v41
	v_fma_f32 v35, -v35, v43, v42
	v_div_fmas_f32 v35, v35, v41, v43
	v_cmp_eq_u32_e32 vcc, 1, v48
	v_div_fixup_f32 v34, v35, v34, 1.0
	s_nop 0
	v_cndmask_b32_e32 v35, v44, v45, vcc
	v_cmp_eq_u32_e32 vcc, 2, v48
	s_nop 1
	v_cndmask_b32_e32 v35, v35, v40, vcc
	v_cmp_eq_u32_e32 vcc, 3, v48
	s_nop 1
	v_cndmask_b32_e32 v32, v35, v32, vcc
	v_mul_f32_e32 v40, v32, v34
	v_pk_mul_f32 v[36:37], v[40:41], v[36:37] op_sel_hi:[0,1]
	v_pk_mul_f32 v[34:35], v[40:41], v[38:39] op_sel_hi:[0,1]
	v_bfe_u32 v32, v37, 16, 1
	v_bfe_u32 v38, v36, 16, 1
	v_add3_u32 v36, v36, v38, s8
	v_add3_u32 v32, v37, v32, s8
	v_perm_b32 v36, v32, v36, s44
	v_bfe_u32 v32, v35, 16, 1
	v_bfe_u32 v37, v34, 16, 1
	v_add3_u32 v34, v34, v37, s8
	v_add3_u32 v32, v35, v32, s8
	v_perm_b32 v37, v32, v34, s44
	v_lshlrev_b32_e32 v32, 3, v1
	v_lshlrev_b32_e32 v34, 5, v49
	;; [unrolled: 1-line block ×3, first 2 shown]
	v_pk_mul_f32 v[28:29], v[40:41], v[28:29] op_sel_hi:[0,1]
	v_or3_b32 v32, v35, v34, v32
	v_bfe_u32 v35, v29, 16, 1
	v_bfe_u32 v38, v28, 16, 1
	v_pk_mul_f32 v[30:31], v[40:41], v[30:31] op_sel_hi:[0,1]
	v_add3_u32 v28, v28, v38, s8
	v_add3_u32 v29, v29, v35, s8
	v_perm_b32 v28, v29, v28, s44
	v_bfe_u32 v29, v31, 16, 1
	v_bfe_u32 v35, v30, 16, 1
	v_add3_u32 v30, v30, v35, s8
	v_add3_u32 v29, v31, v29, s8
	v_perm_b32 v29, v29, v30, s44
	v_pk_mul_f32 v[24:25], v[40:41], v[24:25] op_sel_hi:[0,1]
	ds_write2st64_b64 v32, v[36:37], v[28:29] offset1:1
	v_bfe_u32 v28, v25, 16, 1
	v_bfe_u32 v29, v24, 16, 1
	v_pk_mul_f32 v[22:23], v[40:41], v[22:23] op_sel_hi:[0,1]
	v_add3_u32 v24, v24, v29, s8
	v_add3_u32 v25, v25, v28, s8
	v_perm_b32 v24, v25, v24, s44
	v_bfe_u32 v25, v23, 16, 1
	v_bfe_u32 v28, v22, 16, 1
	v_add3_u32 v22, v22, v28, s8
	v_add3_u32 v23, v23, v25, s8
	v_pk_mul_f32 v[20:21], v[40:41], v[20:21] op_sel_hi:[0,1]
	v_perm_b32 v25, v23, v22, s44
	v_bfe_u32 v22, v21, 16, 1
	v_bfe_u32 v23, v20, 16, 1
	v_pk_mul_f32 v[18:19], v[40:41], v[18:19] op_sel_hi:[0,1]
	v_add3_u32 v20, v20, v23, s8
	v_add3_u32 v21, v21, v22, s8
	v_perm_b32 v20, v21, v20, s44
	v_bfe_u32 v21, v19, 16, 1
	v_bfe_u32 v22, v18, 16, 1
	v_add3_u32 v18, v18, v22, s8
	v_add3_u32 v19, v19, v21, s8
	v_perm_b32 v21, v19, v18, s44
	v_cmp_gt_u32_e32 vcc, 2, v0
	ds_write2st64_b64 v32, v[24:25], v[20:21] offset0:2 offset1:3
	s_and_saveexec_b64 s[4:5], vcc
	s_cbranch_execz .LBB1105_17
; %bb.16:
	v_or_b32_e32 v18, s17, v0
	v_mov_b32_e32 v19, 0
	v_mov_b32_e32 v20, s7
	v_mad_u64_u32 v[20:21], s[10:11], s2, v20, v[18:19]
	v_mov_b32_e32 v18, s16
	s_load_dwordx4 s[12:15], s[0:1], 0x58
	s_mul_i32 s3, s3, s7
	v_mad_u64_u32 v[18:19], s[10:11], v20, s6, v[18:19]
	v_add_u32_e32 v21, s3, v21
	v_mov_b32_e32 v20, v19
	v_mad_u64_u32 v[20:21], s[10:11], v21, s6, v[20:21]
	v_mov_b32_e32 v19, v20
	v_lshlrev_b64 v[18:19], 2, v[18:19]
	s_waitcnt lgkmcnt(0)
	v_lshl_add_u64 v[20:21], s[14:15], 0, v[18:19]
	v_lshl_add_u64 v[18:19], s[12:13], 0, v[18:19]
	global_store_dword v[20:21], v27, off
	global_store_dword v[18:19], v33, off
.LBB1105_17:
	s_or_b64 exec, exec, s[4:5]
	s_waitcnt vmcnt(3)
	v_cvt_pk_f32_fp8_e32 v[18:19], v14
	v_cvt_pk_f32_fp8_sdwa v[20:21], v14 src0_sel:WORD_1
	s_mov_b32 s4, 0x7060302
	v_lshl_or_b32 v14, v1, 9, v34
	s_waitcnt lgkmcnt(0)
	s_barrier
	v_perm_b32 v28, v19, v18, s4
	v_perm_b32 v29, v21, v20, s4
	v_cvt_pk_f32_fp8_e32 v[22:23], v15
	ds_read_b128 v[18:21], v14
	v_cvt_pk_f32_fp8_sdwa v[34:35], v15 src0_sel:WORD_1
	v_cvt_pk_f32_fp8_sdwa v[38:39], v16 src0_sel:WORD_1
	v_perm_b32 v36, v23, v22, s4
	ds_read_b128 v[22:25], v14 offset:16
	v_perm_b32 v37, v35, v34, s4
	s_waitcnt lgkmcnt(1)
	v_mfma_f32_16x16x16_bf16 v[28:31], v[28:29], v[18:19], 0
	v_cvt_pk_f32_fp8_e32 v[34:35], v16
	s_load_dword s10, s[42:43], 0x0
	v_cmp_gt_u32_e32 vcc, 64, v0
	v_mfma_f32_16x16x16_bf16 v[18:21], v[36:37], v[20:21], v[28:31]
	s_waitcnt vmcnt(2)
	v_cvt_pk_f32_fp8_sdwa v[36:37], v10 src0_sel:WORD_1
	s_mov_b32 s3, 0
	v_mov_b32_e32 v27, 0
	v_cvt_pk_f32_fp8_e32 v[28:29], v17
	v_perm_b32 v30, v35, v34, s4
	v_perm_b32 v31, v39, v38, s4
	v_cvt_pk_f32_fp8_sdwa v[16:17], v17 src0_sel:WORD_1
	v_perm_b32 v28, v29, v28, s4
	v_cvt_pk_f32_fp8_e32 v[34:35], v10
	v_perm_b32 v29, v17, v16, s4
	s_waitcnt lgkmcnt(0)
	v_mfma_f32_16x16x16_bf16 v[16:19], v[30:31], v[22:23], v[18:21]
	v_perm_b32 v34, v35, v34, s4
	v_perm_b32 v35, v37, v36, s4
	v_cvt_pk_f32_fp8_e32 v[30:31], v11
	ds_read_b128 v[20:23], v14 offset:2048
	v_cvt_pk_f32_fp8_sdwa v[10:11], v11 src0_sel:WORD_1
	v_mfma_f32_16x16x16_bf16 v[16:19], v[28:29], v[24:25], v[16:19]
	v_perm_b32 v24, v31, v30, s4
	ds_read_b128 v[28:31], v14 offset:2064
	v_perm_b32 v25, v11, v10, s4
	s_waitcnt lgkmcnt(1)
	v_mfma_f32_16x16x16_bf16 v[16:19], v[34:35], v[20:21], v[16:19]
	v_cvt_pk_f32_fp8_e32 v[10:11], v12
	v_cvt_pk_f32_fp8_sdwa v[20:21], v12 src0_sel:WORD_1
	v_perm_b32 v10, v11, v10, s4
	v_mfma_f32_16x16x16_bf16 v[16:19], v[24:25], v[22:23], v[16:19]
	v_cvt_pk_f32_fp8_e32 v[22:23], v13
	v_perm_b32 v11, v21, v20, s4
	v_cvt_pk_f32_fp8_sdwa v[12:13], v13 src0_sel:WORD_1
	s_waitcnt vmcnt(1)
	v_cvt_pk_f32_fp8_sdwa v[24:25], v6 src0_sel:WORD_1
	v_perm_b32 v20, v23, v22, s4
	v_cvt_pk_f32_fp8_e32 v[22:23], v6
	v_perm_b32 v21, v13, v12, s4
	s_waitcnt lgkmcnt(0)
	v_mfma_f32_16x16x16_bf16 v[10:13], v[10:11], v[28:29], v[16:19]
	v_perm_b32 v29, v25, v24, s4
	v_perm_b32 v28, v23, v22, s4
	v_cvt_pk_f32_fp8_e32 v[22:23], v7
	ds_read_b128 v[16:19], v14 offset:4096
	v_cvt_pk_f32_fp8_sdwa v[6:7], v7 src0_sel:WORD_1
	v_mfma_f32_16x16x16_bf16 v[10:13], v[20:21], v[30:31], v[10:13]
	v_perm_b32 v24, v23, v22, s4
	ds_read_b128 v[20:23], v14 offset:4112
	v_perm_b32 v25, v7, v6, s4
	s_waitcnt lgkmcnt(1)
	v_mfma_f32_16x16x16_bf16 v[10:13], v[28:29], v[16:17], v[10:13]
	v_cvt_pk_f32_fp8_e32 v[6:7], v8
	v_cvt_pk_f32_fp8_sdwa v[16:17], v8 src0_sel:WORD_1
	v_perm_b32 v6, v7, v6, s4
	v_mfma_f32_16x16x16_bf16 v[10:13], v[24:25], v[18:19], v[10:13]
	v_cvt_pk_f32_fp8_e32 v[18:19], v9
	v_perm_b32 v7, v17, v16, s4
	v_cvt_pk_f32_fp8_sdwa v[8:9], v9 src0_sel:WORD_1
	s_waitcnt vmcnt(0)
	v_cvt_pk_f32_fp8_sdwa v[24:25], v2 src0_sel:WORD_1
	v_perm_b32 v16, v19, v18, s4
	v_cvt_pk_f32_fp8_e32 v[18:19], v2
	v_perm_b32 v17, v9, v8, s4
	s_waitcnt lgkmcnt(0)
	v_mfma_f32_16x16x16_bf16 v[6:9], v[6:7], v[20:21], v[10:13]
	v_cvt_pk_f32_fp8_e32 v[20:21], v3
	v_perm_b32 v18, v19, v18, s4
	v_perm_b32 v19, v25, v24, s4
	ds_read_b128 v[10:13], v14 offset:6144
	v_cvt_pk_f32_fp8_sdwa v[2:3], v3 src0_sel:WORD_1
	v_mfma_f32_16x16x16_bf16 v[6:9], v[16:17], v[22:23], v[6:9]
	v_perm_b32 v20, v21, v20, s4
	ds_read_b128 v[14:17], v14 offset:6160
	v_perm_b32 v21, v3, v2, s4
	s_waitcnt lgkmcnt(1)
	v_mfma_f32_16x16x16_bf16 v[6:9], v[18:19], v[10:11], v[6:9]
	v_cvt_pk_f32_fp8_e32 v[2:3], v4
	v_cvt_pk_f32_fp8_sdwa v[10:11], v4 src0_sel:WORD_1
	s_waitcnt lgkmcnt(0)
	v_mfma_f32_16x16x16_bf16 v[6:9], v[20:21], v[12:13], v[6:9]
	v_perm_b32 v2, v3, v2, s4
	v_perm_b32 v3, v11, v10, s4
	v_cvt_pk_f32_fp8_e32 v[10:11], v5
	v_cvt_pk_f32_fp8_sdwa v[4:5], v5 src0_sel:WORD_1
	s_barrier
	v_perm_b32 v10, v11, v10, s4
	v_perm_b32 v11, v5, v4, s4
	v_mfma_f32_16x16x16_bf16 v[2:5], v[2:3], v[14:15], v[6:9]
	s_nop 0
	v_mfma_f32_16x16x16_bf16 v[2:5], v[10:11], v[16:17], v[2:5]
	s_nop 6
	v_pk_mul_f32 v[2:3], v[2:3], s[10:11] op_sel_hi:[1,0]
	v_pk_mul_f32 v[4:5], v[4:5], s[10:11] op_sel_hi:[1,0]
	v_bfe_u32 v6, v3, 16, 1
	v_bfe_u32 v7, v2, 16, 1
	v_add3_u32 v2, v2, v7, s8
	v_add3_u32 v3, v3, v6, s8
	v_perm_b32 v2, v3, v2, s4
	v_bfe_u32 v3, v5, 16, 1
	v_bfe_u32 v6, v4, 16, 1
	v_add3_u32 v4, v4, v6, s8
	v_add3_u32 v3, v5, v3, s8
	v_perm_b32 v3, v3, v4, s4
	v_cmp_gt_u32_e64 s[4:5], 32, v47
	s_and_b64 s[4:5], s[4:5], vcc
	s_and_b64 s[4:5], s[4:5], s[18:19]
	ds_write_b64 v32, v[2:3]
	s_waitcnt lgkmcnt(0)
	s_barrier
	s_and_saveexec_b64 s[8:9], s[4:5]
	s_cbranch_execz .LBB1105_19
; %bb.18:
	s_load_dwordx2 s[0:1], s[0:1], 0x68
	s_mul_i32 s2, s7, s2
	s_lshl_b32 s6, s6, 6
	s_mul_hi_u32 s5, s2, s6
	s_mul_i32 s4, s2, s6
	v_lshlrev_b32_e32 v0, 10, v0
	s_lshl_b64 s[4:5], s[4:5], 1
	v_and_b32_e32 v0, 0x1800, v0
	v_lshlrev_b32_e32 v2, 5, v1
	v_and_b32_e32 v3, 16, v46
	s_waitcnt lgkmcnt(0)
	s_add_u32 s4, s0, s4
	v_or3_b32 v0, v0, v2, v3
	s_addc_u32 s5, s1, s5
	s_lshl_b32 s2, s16, 6
	ds_read_b128 v[2:5], v0
	s_lshl_b64 s[0:1], s[2:3], 1
	s_add_u32 s0, s4, s0
	v_or_b32_e32 v0, s17, v1
	s_addc_u32 s1, s5, s1
	v_mad_u64_u32 v[0:1], s[2:3], s6, v0, 0
	v_lshl_add_u64 v[0:1], v[0:1], 1, s[0:1]
	v_lshl_add_u64 v[0:1], v[0:1], 0, v[26:27]
	s_waitcnt lgkmcnt(0)
	global_store_dwordx4 v[0:1], v[2:5], off
.LBB1105_19:
	s_endpgm
	.section	.rodata,"a",@progbits
	.p2align	6, 0x0
	.amdhsa_kernel _Z39paged_attention_ll4mi_QKV_mfma16_kernelI14__hip_bfloat16hLN4vllm18Fp8KVCacheDataTypeE1EhLi16ELi64ELi256ELb1ELi2EEvPKT_PKT0_S8_ifPKiSA_SA_iPKfiiiPfSD_PS3_PT2_iSC_SC_
		.amdhsa_group_segment_fixed_size 8192
		.amdhsa_private_segment_fixed_size 0
		.amdhsa_kernarg_size 400
		.amdhsa_user_sgpr_count 2
		.amdhsa_user_sgpr_dispatch_ptr 0
		.amdhsa_user_sgpr_queue_ptr 0
		.amdhsa_user_sgpr_kernarg_segment_ptr 1
		.amdhsa_user_sgpr_dispatch_id 0
		.amdhsa_user_sgpr_kernarg_preload_length 0
		.amdhsa_user_sgpr_kernarg_preload_offset 0
		.amdhsa_user_sgpr_private_segment_size 0
		.amdhsa_uses_dynamic_stack 0
		.amdhsa_enable_private_segment 0
		.amdhsa_system_sgpr_workgroup_id_x 1
		.amdhsa_system_sgpr_workgroup_id_y 1
		.amdhsa_system_sgpr_workgroup_id_z 1
		.amdhsa_system_sgpr_workgroup_info 0
		.amdhsa_system_vgpr_workitem_id 0
		.amdhsa_next_free_vgpr 70
		.amdhsa_next_free_sgpr 48
		.amdhsa_accum_offset 72
		.amdhsa_reserve_vcc 1
		.amdhsa_float_round_mode_32 0
		.amdhsa_float_round_mode_16_64 0
		.amdhsa_float_denorm_mode_32 3
		.amdhsa_float_denorm_mode_16_64 3
		.amdhsa_dx10_clamp 1
		.amdhsa_ieee_mode 1
		.amdhsa_fp16_overflow 0
		.amdhsa_tg_split 0
		.amdhsa_exception_fp_ieee_invalid_op 0
		.amdhsa_exception_fp_denorm_src 0
		.amdhsa_exception_fp_ieee_div_zero 0
		.amdhsa_exception_fp_ieee_overflow 0
		.amdhsa_exception_fp_ieee_underflow 0
		.amdhsa_exception_fp_ieee_inexact 0
		.amdhsa_exception_int_div_zero 0
	.end_amdhsa_kernel
	.section	.text._Z39paged_attention_ll4mi_QKV_mfma16_kernelI14__hip_bfloat16hLN4vllm18Fp8KVCacheDataTypeE1EhLi16ELi64ELi256ELb1ELi2EEvPKT_PKT0_S8_ifPKiSA_SA_iPKfiiiPfSD_PS3_PT2_iSC_SC_,"axG",@progbits,_Z39paged_attention_ll4mi_QKV_mfma16_kernelI14__hip_bfloat16hLN4vllm18Fp8KVCacheDataTypeE1EhLi16ELi64ELi256ELb1ELi2EEvPKT_PKT0_S8_ifPKiSA_SA_iPKfiiiPfSD_PS3_PT2_iSC_SC_,comdat
.Lfunc_end1105:
	.size	_Z39paged_attention_ll4mi_QKV_mfma16_kernelI14__hip_bfloat16hLN4vllm18Fp8KVCacheDataTypeE1EhLi16ELi64ELi256ELb1ELi2EEvPKT_PKT0_S8_ifPKiSA_SA_iPKfiiiPfSD_PS3_PT2_iSC_SC_, .Lfunc_end1105-_Z39paged_attention_ll4mi_QKV_mfma16_kernelI14__hip_bfloat16hLN4vllm18Fp8KVCacheDataTypeE1EhLi16ELi64ELi256ELb1ELi2EEvPKT_PKT0_S8_ifPKiSA_SA_iPKfiiiPfSD_PS3_PT2_iSC_SC_
                                        ; -- End function
	.section	.AMDGPU.csdata,"",@progbits
; Kernel info:
; codeLenInByte = 5036
; NumSgprs: 54
; NumVgprs: 70
; NumAgprs: 0
; TotalNumVgprs: 70
; ScratchSize: 0
; MemoryBound: 0
; FloatMode: 240
; IeeeMode: 1
; LDSByteSize: 8192 bytes/workgroup (compile time only)
; SGPRBlocks: 6
; VGPRBlocks: 8
; NumSGPRsForWavesPerEU: 54
; NumVGPRsForWavesPerEU: 70
; AccumOffset: 72
; Occupancy: 7
; WaveLimiterHint : 1
; COMPUTE_PGM_RSRC2:SCRATCH_EN: 0
; COMPUTE_PGM_RSRC2:USER_SGPR: 2
; COMPUTE_PGM_RSRC2:TRAP_HANDLER: 0
; COMPUTE_PGM_RSRC2:TGID_X_EN: 1
; COMPUTE_PGM_RSRC2:TGID_Y_EN: 1
; COMPUTE_PGM_RSRC2:TGID_Z_EN: 1
; COMPUTE_PGM_RSRC2:TIDIG_COMP_CNT: 0
; COMPUTE_PGM_RSRC3_GFX90A:ACCUM_OFFSET: 17
; COMPUTE_PGM_RSRC3_GFX90A:TG_SPLIT: 0
	.section	.text._Z39paged_attention_ll4mi_QKV_mfma16_kernelI14__hip_bfloat16hLN4vllm18Fp8KVCacheDataTypeE1EhLi16ELi64ELi256ELb1ELi3EEvPKT_PKT0_S8_ifPKiSA_SA_iPKfiiiPfSD_PS3_PT2_iSC_SC_,"axG",@progbits,_Z39paged_attention_ll4mi_QKV_mfma16_kernelI14__hip_bfloat16hLN4vllm18Fp8KVCacheDataTypeE1EhLi16ELi64ELi256ELb1ELi3EEvPKT_PKT0_S8_ifPKiSA_SA_iPKfiiiPfSD_PS3_PT2_iSC_SC_,comdat
	.protected	_Z39paged_attention_ll4mi_QKV_mfma16_kernelI14__hip_bfloat16hLN4vllm18Fp8KVCacheDataTypeE1EhLi16ELi64ELi256ELb1ELi3EEvPKT_PKT0_S8_ifPKiSA_SA_iPKfiiiPfSD_PS3_PT2_iSC_SC_ ; -- Begin function _Z39paged_attention_ll4mi_QKV_mfma16_kernelI14__hip_bfloat16hLN4vllm18Fp8KVCacheDataTypeE1EhLi16ELi64ELi256ELb1ELi3EEvPKT_PKT0_S8_ifPKiSA_SA_iPKfiiiPfSD_PS3_PT2_iSC_SC_
	.globl	_Z39paged_attention_ll4mi_QKV_mfma16_kernelI14__hip_bfloat16hLN4vllm18Fp8KVCacheDataTypeE1EhLi16ELi64ELi256ELb1ELi3EEvPKT_PKT0_S8_ifPKiSA_SA_iPKfiiiPfSD_PS3_PT2_iSC_SC_
	.p2align	8
	.type	_Z39paged_attention_ll4mi_QKV_mfma16_kernelI14__hip_bfloat16hLN4vllm18Fp8KVCacheDataTypeE1EhLi16ELi64ELi256ELb1ELi3EEvPKT_PKT0_S8_ifPKiSA_SA_iPKfiiiPfSD_PS3_PT2_iSC_SC_,@function
_Z39paged_attention_ll4mi_QKV_mfma16_kernelI14__hip_bfloat16hLN4vllm18Fp8KVCacheDataTypeE1EhLi16ELi64ELi256ELb1ELi3EEvPKT_PKT0_S8_ifPKiSA_SA_iPKfiiiPfSD_PS3_PT2_iSC_SC_: ; @_Z39paged_attention_ll4mi_QKV_mfma16_kernelI14__hip_bfloat16hLN4vllm18Fp8KVCacheDataTypeE1EhLi16ELi64ELi256ELb1ELi3EEvPKT_PKT0_S8_ifPKiSA_SA_iPKfiiiPfSD_PS3_PT2_iSC_SC_
; %bb.0:
	s_load_dwordx2 s[8:9], s[0:1], 0x30
	s_mov_b32 s16, s3
	s_mov_b64 s[6:7], 0
	s_waitcnt lgkmcnt(0)
	s_cmp_lg_u64 s[8:9], 0
	s_cselect_b64 s[10:11], -1, 0
	s_and_b64 vcc, exec, s[10:11]
	s_cbranch_vccz .LBB1106_7
; %bb.1:
	s_add_i32 s12, s2, 1
	s_mov_b32 s13, 0
	s_lshl_b64 s[14:15], s[12:13], 2
	s_add_u32 s14, s8, s14
	s_mov_b32 s3, s13
	s_addc_u32 s15, s9, s15
	s_lshl_b64 s[12:13], s[2:3], 2
	s_add_u32 s12, s8, s12
	s_addc_u32 s13, s9, s13
	s_load_dword s5, s[14:15], 0x0
	s_load_dword s17, s[12:13], 0x0
	s_waitcnt lgkmcnt(0)
	s_sub_i32 s5, s5, s17
	s_cmp_eq_u32 s5, 1
	s_cselect_b64 s[12:13], -1, 0
	s_andn2_b64 vcc, exec, s[6:7]
	s_cbranch_vccnz .LBB1106_3
.LBB1106_2:
	s_mov_b32 s3, 0
	s_mov_b64 s[12:13], -1
.LBB1106_3:
	s_andn2_b64 vcc, exec, s[12:13]
	s_cbranch_vccnz .LBB1106_19
; %bb.4:
	s_load_dwordx2 s[6:7], s[0:1], 0x28
	s_lshl_b64 s[12:13], s[2:3], 2
	s_waitcnt lgkmcnt(0)
	s_add_u32 s6, s6, s12
	s_addc_u32 s7, s7, s13
	s_load_dword s17, s[6:7], 0x0
	s_lshl_b32 s20, s16, 8
	s_waitcnt lgkmcnt(0)
	s_cmp_ge_i32 s20, s17
	s_cbranch_scc1 .LBB1106_19
; %bb.5:
	s_load_dwordx2 s[6:7], s[0:1], 0x20
	s_load_dword s5, s[0:1], 0x38
	s_add_i32 s14, s17, 15
	s_ashr_i32 s15, s14, 31
	v_and_b32_e32 v1, 0xcf, v0
	s_lshr_b32 s15, s15, 28
	v_add_u32_e32 v1, s20, v1
	s_add_i32 s14, s14, s15
	v_ashrrev_i32_e32 v2, 31, v1
	s_ashr_i32 s21, s14, 4
	v_lshrrev_b32_e32 v4, 28, v2
	s_add_i32 s21, s21, -1
	s_waitcnt lgkmcnt(0)
	s_mul_i32 s14, s2, s5
	s_mov_b32 s15, 0
	v_add_u32_e32 v2, v1, v4
	s_lshl_b64 s[14:15], s[14:15], 2
	v_ashrrev_i32_e32 v2, 4, v2
	v_mov_b32_e32 v5, s21
	v_cmp_gt_i32_e32 vcc, s17, v1
	s_add_u32 s6, s6, s14
	s_addc_u32 s7, s7, s15
	v_cndmask_b32_e32 v2, v5, v2, vcc
	v_ashrrev_i32_e32 v3, 31, v2
	v_lshl_add_u64 v[6:7], v[2:3], 2, s[6:7]
	v_or_b32_e32 v2, 16, v1
	v_add_u32_e32 v3, v2, v4
	v_ashrrev_i32_e32 v3, 4, v3
	v_cmp_gt_i32_e32 vcc, s17, v2
	s_load_dwordx2 s[14:15], s[0:1], 0x8
	s_nop 0
	v_cndmask_b32_e32 v2, v5, v3, vcc
	v_ashrrev_i32_e32 v3, 31, v2
	v_lshl_add_u64 v[8:9], v[2:3], 2, s[6:7]
	v_or_b32_e32 v2, 32, v1
	v_add_u32_e32 v3, v2, v4
	v_ashrrev_i32_e32 v3, 4, v3
	v_cmp_gt_i32_e32 vcc, s17, v2
	v_or_b32_e32 v1, 48, v1
	s_nop 0
	v_cndmask_b32_e32 v2, v5, v3, vcc
	v_ashrrev_i32_e32 v3, 31, v2
	v_lshl_add_u64 v[10:11], v[2:3], 2, s[6:7]
	v_add_u32_e32 v2, v1, v4
	v_ashrrev_i32_e32 v2, 4, v2
	v_cmp_gt_i32_e32 vcc, s17, v1
	s_nop 1
	v_cndmask_b32_e32 v2, v5, v2, vcc
	v_ashrrev_i32_e32 v3, 31, v2
	v_lshl_add_u64 v[12:13], v[2:3], 2, s[6:7]
	global_load_dword v5, v[6:7], off
	global_load_dword v4, v[8:9], off
	;; [unrolled: 1-line block ×4, first 2 shown]
	s_andn2_b64 vcc, exec, s[10:11]
	s_cbranch_vccnz .LBB1106_8
; %bb.6:
	s_add_u32 s8, s8, s12
	s_addc_u32 s9, s9, s13
	s_load_dword s5, s[8:9], 0x0
	s_branch .LBB1106_9
.LBB1106_7:
	s_mov_b64 s[12:13], 0
	s_branch .LBB1106_2
.LBB1106_8:
	s_mov_b32 s5, s2
.LBB1106_9:
	s_load_dwordx2 s[8:9], s[0:1], 0x10
	s_load_dwordx4 s[44:47], s[0:1], 0x48
	v_lshrrev_b32_e32 v29, 6, v0
	v_bfe_u32 v48, v0, 4, 2
	v_lshl_or_b32 v6, v29, 2, v48
	v_and_b32_e32 v28, 15, v0
	s_mul_i32 s48, s4, 3
	v_lshlrev_b32_e32 v7, 3, v28
	v_cmp_gt_u32_e32 vcc, 3, v6
	v_cmp_gt_u32_e64 s[18:19], 8, v28
	v_add_u32_e32 v1, s48, v48
	s_and_b64 s[12:13], s[18:19], vcc
	v_lshlrev_b32_e32 v26, 1, v7
	v_lshlrev_b32_e32 v49, 4, v0
	s_and_saveexec_b64 s[10:11], s[12:13]
	s_cbranch_execz .LBB1106_11
; %bb.10:
	s_load_dwordx2 s[12:13], s[0:1], 0x0
	s_waitcnt lgkmcnt(0)
	s_ashr_i32 s22, s44, 31
	s_mul_hi_u32 s23, s5, s44
	s_mul_i32 s22, s5, s22
	s_add_i32 s23, s23, s22
	s_mul_i32 s22, s5, s44
	s_lshl_b64 s[22:23], s[22:23], 1
	s_add_u32 s12, s12, s22
	v_lshlrev_b32_e32 v8, 6, v1
	s_addc_u32 s13, s13, s23
	v_ashrrev_i32_e32 v9, 31, v8
	v_lshl_add_u64 v[8:9], v[8:9], 1, s[12:13]
	v_mov_b32_e32 v27, 0
	v_lshl_add_u64 v[8:9], v[8:9], 0, v[26:27]
	global_load_dwordx4 v[8:11], v[8:9], off
	v_lshlrev_b32_e32 v12, 8, v28
	v_lshlrev_b32_e32 v6, 5, v6
	v_and_b32_e32 v7, 16, v49
	v_and_b32_e32 v12, 0xe00, v12
	v_or3_b32 v6, v12, v6, v7
	s_waitcnt vmcnt(0)
	ds_write_b128 v6, v[8:11]
.LBB1106_11:
	s_or_b64 exec, exec, s[10:11]
	s_waitcnt lgkmcnt(0)
	s_mul_i32 s10, s4, s46
	s_add_u32 s4, s14, s10
	s_addc_u32 s5, s15, 0
	v_and_b32_e32 v32, 48, v0
	v_and_b32_e32 v30, 0xf0, v49
	v_mov_b32_e32 v31, 0
	v_lshl_add_u64 v[6:7], s[4:5], 0, v[30:31]
	v_lshlrev_b32_e32 v30, 4, v32
	v_lshl_add_u64 v[6:7], v[6:7], 0, v[30:31]
	s_waitcnt vmcnt(3)
	v_mad_i64_i32 v[8:9], s[4:5], v5, s45, v[6:7]
	s_barrier
	s_waitcnt vmcnt(2)
	v_mad_i64_i32 v[4:5], s[4:5], v4, s45, v[6:7]
	global_load_dwordx4 v[22:25], v[8:9], off
	global_load_dwordx4 v[18:21], v[4:5], off
	s_waitcnt vmcnt(3)
	v_mad_i64_i32 v[8:9], s[4:5], v3, s45, v[6:7]
	s_waitcnt vmcnt(2)
	v_mad_i64_i32 v[6:7], s[4:5], v2, s45, v[6:7]
	global_load_dwordx4 v[14:17], v[8:9], off
	global_load_dwordx4 v[2:5], v[6:7], off
	v_mul_lo_u16_e32 v6, 0x56, v28
	v_mov_b32_e32 v7, 3
	v_mul_lo_u16_sdwa v6, v6, v7 dst_sel:DWORD dst_unused:UNUSED_PAD src0_sel:BYTE_1 src1_sel:DWORD
	v_sub_u16_e32 v6, v28, v6
	v_mov_b32_e32 v7, 5
	v_lshlrev_b32_sdwa v6, v7, v6 dst_sel:DWORD dst_unused:UNUSED_PAD src0_sel:DWORD src1_sel:BYTE_0
	v_lshl_add_u32 v6, v48, 9, v6
	ds_read_b128 v[10:13], v6
	ds_read_b128 v[6:9], v6 offset:16
	v_and_b32_e32 v27, 63, v0
	v_cmp_gt_u32_e32 vcc, 3, v28
	v_mov_b32_e32 v50, 0
	s_and_saveexec_b64 s[4:5], vcc
	s_cbranch_execz .LBB1106_13
; %bb.12:
	s_load_dwordx2 s[12:13], s[0:1], 0x40
	v_add_u32_e32 v34, s48, v28
	v_ashrrev_i32_e32 v35, 31, v34
	s_waitcnt lgkmcnt(0)
	v_lshl_add_u64 v[34:35], v[34:35], 2, s[12:13]
	global_load_dword v50, v[34:35], off
.LBB1106_13:
	s_or_b64 exec, exec, s[4:5]
	v_or_b32_e32 v36, s20, v32
	v_ashrrev_i32_e32 v30, 4, v36
	v_mov_b32_e32 v51, s21
	v_cmp_gt_i32_e32 vcc, s17, v36
	s_waitcnt vmcnt(3)
	v_cvt_pk_f32_fp8_sdwa v[34:35], v22 src0_sel:WORD_1
	s_mov_b32 s33, 0x7060302
	v_cndmask_b32_e32 v32, v51, v30, vcc
	v_ashrrev_i32_e32 v33, 31, v32
	v_lshl_add_u64 v[32:33], v[32:33], 2, s[6:7]
	global_load_dword v37, v[32:33], off
	v_cvt_pk_f32_fp8_e32 v[32:33], v22
	v_cvt_pk_f32_fp8_e32 v[38:39], v23
	v_cvt_pk_f32_fp8_sdwa v[22:23], v23 src0_sel:WORD_1
	s_waitcnt vmcnt(3)
	v_cvt_pk_f32_fp8_e32 v[56:57], v20
	v_cvt_pk_f32_fp8_sdwa v[58:59], v20 src0_sel:WORD_1
	v_cvt_pk_f32_fp8_e32 v[60:61], v21
	v_cvt_pk_f32_fp8_sdwa v[62:63], v21 src0_sel:WORD_1
	v_perm_b32 v20, v33, v32, s33
	v_perm_b32 v21, v35, v34, s33
	v_cvt_pk_f32_fp8_e32 v[40:41], v24
	v_cvt_pk_f32_fp8_e32 v[46:47], v18
	v_cvt_pk_f32_fp8_sdwa v[52:53], v18 src0_sel:WORD_1
	v_cvt_pk_f32_fp8_e32 v[54:55], v19
	v_cvt_pk_f32_fp8_sdwa v[18:19], v19 src0_sel:WORD_1
	v_cvt_pk_f32_fp8_sdwa v[42:43], v24 src0_sel:WORD_1
	v_perm_b32 v38, v39, v38, s33
	v_perm_b32 v39, v23, v22, s33
	;; [unrolled: 1-line block ×6, first 2 shown]
	s_waitcnt lgkmcnt(1)
	v_mfma_f32_16x16x16_bf16 v[18:21], v[20:21], v[10:11], 0
	s_add_u32 s4, s8, s10
	v_lshlrev_b32_e32 v30, 4, v28
	s_waitcnt vmcnt(2)
	v_cvt_pk_f32_fp8_e32 v[64:65], v14
	v_cvt_pk_f32_fp8_sdwa v[32:33], v14 src0_sel:WORD_1
	v_lshl_or_b32 v30, v29, 8, v30
	v_or_b32_e32 v14, 64, v36
	s_addc_u32 s5, s9, 0
	v_perm_b32 v53, v43, v42, s33
	v_or_b32_e32 v22, 0x80, v36
	v_or_b32_e32 v23, 0xc0, v36
	v_ashrrev_i32_e32 v36, 4, v14
	v_lshl_add_u64 v[30:31], s[4:5], 0, v[30:31]
	v_cmp_gt_i32_e32 vcc, s17, v14
	s_load_dword s4, s[0:1], 0x1c
	s_load_dwordx4 s[40:43], s[0:1], 0x80
	v_cvt_pk_f32_fp8_e32 v[44:45], v25
	v_cvt_pk_f32_fp8_sdwa v[24:25], v25 src0_sel:WORD_1
	v_ashrrev_i32_e32 v66, 4, v22
	v_cndmask_b32_e32 v42, v51, v36, vcc
	v_mfma_f32_16x16x16_bf16 v[18:21], v[38:39], v[12:13], v[18:21]
	v_cmp_gt_i32_e32 vcc, s17, v22
	v_ashrrev_i32_e32 v43, 4, v23
	v_perm_b32 v40, v55, v54, s33
	v_cndmask_b32_e32 v54, v51, v66, vcc
	v_cmp_gt_i32_e32 vcc, s17, v23
	v_ashrrev_i32_e32 v55, 31, v54
	v_perm_b32 v38, v45, v44, s33
	v_cndmask_b32_e32 v66, v51, v43, vcc
	v_ashrrev_i32_e32 v43, 31, v42
	v_ashrrev_i32_e32 v67, 31, v66
	v_lshl_add_u64 v[42:43], v[42:43], 2, s[6:7]
	v_perm_b32 v39, v25, v24, s33
	v_mfma_f32_16x16x16_bf16 v[22:25], v[46:47], v[10:11], 0
	v_lshl_add_u64 v[44:45], v[54:55], 2, s[6:7]
	v_lshl_add_u64 v[46:47], v[66:67], 2, s[6:7]
	s_load_dword s44, s[0:1], 0x98
	s_waitcnt lgkmcnt(0)
	s_load_dword s5, s[40:41], 0x0
	v_mfma_f32_16x16x16_bf16 v[18:21], v[52:53], v[6:7], v[18:21]
	global_load_dword v43, v[42:43], off
	s_nop 0
	global_load_dword v51, v[44:45], off
	global_load_dword v52, v[46:47], off
	v_perm_b32 v56, v57, v56, s33
	v_perm_b32 v57, v59, v58, s33
	v_mfma_f32_16x16x16_bf16 v[22:25], v[40:41], v[12:13], v[22:25]
	v_perm_b32 v40, v61, v60, s33
	v_perm_b32 v41, v63, v62, s33
	v_mov_b32_e32 v14, s4
	v_cvt_pk_f32_fp8_e32 v[34:35], v15
	v_perm_b32 v36, v65, v64, s33
	v_mfma_f32_16x16x16_bf16 v[22:25], v[56:57], v[6:7], v[22:25]
	s_waitcnt lgkmcnt(0)
	v_mul_f32_e32 v42, s5, v14
	v_cvt_pk_f32_fp8_sdwa v[14:15], v15 src0_sel:WORD_1
	v_cvt_pk_f32_fp8_e32 v[44:45], v16
	v_mfma_f32_16x16x16_bf16 v[18:21], v[38:39], v[8:9], v[18:21]
	v_cvt_pk_f32_fp8_sdwa v[46:47], v16 src0_sel:WORD_1
	s_mov_b32 s46, 0xff7fffff
	s_waitcnt vmcnt(3)
	v_mad_i64_i32 v[38:39], s[4:5], v37, s45, v[30:31]
	v_perm_b32 v37, v33, v32, s33
	v_mfma_f32_16x16x16_bf16 v[22:25], v[40:41], v[8:9], v[22:25]
	v_perm_b32 v40, v35, v34, s33
	v_perm_b32 v41, v15, v14, s33
	v_mfma_f32_16x16x16_bf16 v[32:35], v[36:37], v[10:11], 0
	v_perm_b32 v36, v45, v44, s33
	v_perm_b32 v37, v47, v46, s33
	v_cvt_pk_f32_fp8_e32 v[44:45], v17
	v_cvt_pk_f32_fp8_sdwa v[46:47], v17 src0_sel:WORD_1
	v_mfma_f32_16x16x16_bf16 v[14:17], v[40:41], v[12:13], v[32:35]
	s_waitcnt vmcnt(2)
	v_pk_mul_f32 v[40:41], v[42:43], v[18:19] op_sel_hi:[0,1]
	s_nop 0
	v_pk_mul_f32 v[32:33], v[42:43], v[20:21] op_sel_hi:[0,1]
	v_perm_b32 v20, v45, v44, s33
	v_perm_b32 v21, v47, v46, s33
	v_mfma_f32_16x16x16_bf16 v[14:17], v[36:37], v[6:7], v[14:17]
	v_cvt_pk_f32_fp8_e32 v[18:19], v2
	v_cvt_pk_f32_fp8_sdwa v[34:35], v2 src0_sel:WORD_1
	v_cvt_pk_f32_fp8_e32 v[36:37], v4
	v_mfma_f32_16x16x16_bf16 v[14:17], v[20:21], v[8:9], v[14:17]
	v_cvt_pk_f32_fp8_e32 v[20:21], v3
	v_perm_b32 v18, v19, v18, s33
	v_perm_b32 v19, v35, v34, s33
	v_cvt_pk_f32_fp8_sdwa v[2:3], v3 src0_sel:WORD_1
	v_perm_b32 v34, v21, v20, s33
	v_cvt_pk_f32_fp8_sdwa v[44:45], v4 src0_sel:WORD_1
	v_mfma_f32_16x16x16_bf16 v[18:21], v[18:19], v[10:11], 0
	v_perm_b32 v35, v3, v2, s33
	v_perm_b32 v10, v37, v36, s33
	;; [unrolled: 1-line block ×3, first 2 shown]
	v_cvt_pk_f32_fp8_e32 v[36:37], v5
	v_cvt_pk_f32_fp8_sdwa v[44:45], v5 src0_sel:WORD_1
	v_mfma_f32_16x16x16_bf16 v[2:5], v[34:35], v[12:13], v[18:21]
	v_pk_mul_f32 v[34:35], v[42:43], v[24:25] op_sel_hi:[0,1]
	v_perm_b32 v12, v37, v36, s33
	v_perm_b32 v13, v45, v44, s33
	v_mfma_f32_16x16x16_bf16 v[2:5], v[10:11], v[6:7], v[2:5]
	v_pk_mul_f32 v[36:37], v[42:43], v[22:23] op_sel_hi:[0,1]
	v_pk_mul_f32 v[22:23], v[42:43], v[16:17] op_sel_hi:[0,1]
	;; [unrolled: 1-line block ×3, first 2 shown]
	v_mfma_f32_16x16x16_bf16 v[2:5], v[12:13], v[8:9], v[2:5]
	s_nop 6
	v_pk_mul_f32 v[20:21], v[42:43], v[2:3] op_sel_hi:[0,1]
	v_and_b32_e32 v2, 0xc0, v0
	v_add_u32_e32 v2, s20, v2
	v_lshl_or_b32 v2, v48, 2, v2
	v_or_b32_e32 v3, 1, v2
	v_pk_mul_f32 v[18:19], v[42:43], v[4:5] op_sel_hi:[0,1]
	v_subrev_u32_e32 v4, s17, v3
	v_add_u32_e32 v6, 1, v4
	v_add_u32_e32 v7, 2, v4
	;; [unrolled: 1-line block ×3, first 2 shown]
	v_cvt_f32_i32_e32 v6, v6
	v_cvt_f32_i32_e32 v7, v7
	;; [unrolled: 1-line block ×3, first 2 shown]
	v_add_u32_e32 v9, 19, v4
	v_fmac_f32_e32 v41, v50, v6
	v_fma_f32 v32, v50, v7, v32
	v_fmac_f32_e32 v33, v50, v8
	v_add_u32_e32 v6, 16, v4
	v_add_u32_e32 v7, 17, v4
	;; [unrolled: 1-line block ×3, first 2 shown]
	v_cvt_f32_i32_e32 v6, v6
	v_cvt_f32_i32_e32 v7, v7
	;; [unrolled: 1-line block ×4, first 2 shown]
	v_fma_f32 v36, v50, v6, v36
	v_fmac_f32_e32 v37, v50, v7
	v_fma_f32 v42, v50, v8, v34
	v_add_u32_e32 v6, 32, v4
	v_add_u32_e32 v7, 33, v4
	;; [unrolled: 1-line block ×3, first 2 shown]
	v_cvt_f32_i32_e32 v6, v6
	v_cvt_f32_i32_e32 v7, v7
	;; [unrolled: 1-line block ×4, first 2 shown]
	v_fmac_f32_e32 v35, v50, v9
	v_add_u32_e32 v9, 35, v4
	v_fma_f32 v24, v50, v6, v24
	v_fmac_f32_e32 v25, v50, v7
	v_fma_f32 v22, v50, v8, v22
	v_add_u32_e32 v6, 48, v4
	v_add_u32_e32 v7, 49, v4
	;; [unrolled: 1-line block ×4, first 2 shown]
	v_cvt_f32_i32_e32 v4, v4
	v_cvt_f32_i32_e32 v6, v6
	;; [unrolled: 1-line block ×3, first 2 shown]
	v_fma_f32 v5, v50, v5, v40
	v_fmac_f32_e32 v19, v50, v4
	v_mov_b32_e32 v4, 0xff7fffff
	v_cmp_gt_i32_e64 s[4:5], s17, v2
	v_cmp_gt_i32_e64 s[20:21], s17, v3
	v_fma_f32 v20, v50, v6, v20
	v_cndmask_b32_e64 v6, v4, v5, s[4:5]
	v_cndmask_b32_e64 v3, v4, v41, s[20:21]
	v_fmac_f32_e32 v21, v50, v7
	v_max3_f32 v3, v6, s46, v3
	v_or_b32_e32 v6, 2, v2
	v_or_b32_e32 v7, 3, v2
	v_cmp_gt_i32_e64 s[22:23], s17, v6
	v_cmp_gt_i32_e64 s[24:25], s17, v7
	v_cvt_f32_i32_e32 v9, v9
	v_cndmask_b32_e64 v6, v4, v32, s[22:23]
	v_cndmask_b32_e64 v7, v4, v33, s[24:25]
	v_max3_f32 v3, v3, v6, v7
	v_or_b32_e32 v6, 16, v2
	v_or_b32_e32 v7, 17, v2
	v_cmp_gt_i32_e64 s[26:27], s17, v6
	v_cmp_gt_i32_e64 s[28:29], s17, v7
	v_fmac_f32_e32 v23, v50, v9
	v_cndmask_b32_e64 v6, v4, v36, s[26:27]
	v_cndmask_b32_e64 v7, v4, v37, s[28:29]
	v_max3_f32 v3, v3, v6, v7
	v_or_b32_e32 v6, 18, v2
	v_or_b32_e32 v7, 19, v2
	v_cmp_gt_i32_e64 s[30:31], s17, v6
	v_cmp_gt_i32_e64 s[34:35], s17, v7
	v_cvt_f32_i32_e32 v8, v8
	v_cndmask_b32_e64 v6, v4, v42, s[30:31]
	v_cndmask_b32_e64 v7, v4, v35, s[34:35]
	v_max3_f32 v3, v3, v6, v7
	v_or_b32_e32 v6, 32, v2
	v_or_b32_e32 v7, 33, v2
	v_cmp_gt_i32_e64 s[36:37], s17, v6
	v_cmp_gt_i32_e64 s[38:39], s17, v7
	v_fma_f32 v18, v50, v8, v18
	v_cndmask_b32_e64 v6, v4, v24, s[36:37]
	v_cndmask_b32_e64 v7, v4, v25, s[38:39]
	v_max3_f32 v3, v3, v6, v7
	v_or_b32_e32 v6, 34, v2
	v_or_b32_e32 v7, 35, v2
	v_cmp_gt_i32_e64 s[12:13], s17, v6
	v_cmp_gt_i32_e64 s[14:15], s17, v7
	s_nop 0
	v_cndmask_b32_e64 v6, v4, v22, s[12:13]
	v_cndmask_b32_e64 v7, v4, v23, s[14:15]
	v_max3_f32 v3, v3, v6, v7
	v_or_b32_e32 v6, 48, v2
	v_or_b32_e32 v7, 49, v2
	v_cmp_gt_i32_e64 s[8:9], s17, v6
	v_cmp_gt_i32_e64 s[10:11], s17, v7
	s_nop 0
	v_cndmask_b32_e64 v6, v4, v20, s[8:9]
	v_cndmask_b32_e64 v7, v4, v21, s[10:11]
	v_max3_f32 v3, v3, v6, v7
	v_or_b32_e32 v6, 50, v2
	v_or_b32_e32 v2, 51, v2
	v_cmp_gt_i32_e32 vcc, s17, v6
	v_cmp_gt_i32_e64 s[6:7], s17, v2
	s_nop 0
	v_cndmask_b32_e32 v6, v4, v18, vcc
	v_cndmask_b32_e64 v2, v4, v19, s[6:7]
	v_max3_f32 v4, v3, v6, v2
	v_mbcnt_lo_u32_b32 v2, -1, 0
	v_mbcnt_hi_u32_b32 v6, -1, v2
	v_and_b32_e32 v2, 64, v6
	v_add_u32_e32 v7, 64, v2
	v_xor_b32_e32 v2, 32, v6
	v_cmp_lt_i32_e64 s[40:41], v2, v7
	s_nop 1
	v_cndmask_b32_e64 v2, v6, v2, s[40:41]
	v_lshlrev_b32_e32 v44, 2, v2
	ds_bpermute_b32 v8, v44, v4
	v_mad_i64_i32 v[2:3], s[40:41], v43, s45, v[30:31]
	global_load_dwordx4 v[14:17], v[38:39], off
	global_load_dwordx4 v[10:13], v[2:3], off
	v_xor_b32_e32 v3, 16, v6
	v_cmp_lt_i32_e64 s[40:41], v3, v7
	s_waitcnt lgkmcnt(0)
	v_max_f32_e32 v2, v8, v8
	v_max_f32_e32 v2, v4, v2
	v_cndmask_b32_e64 v3, v6, v3, s[40:41]
	v_lshlrev_b32_e32 v43, 2, v3
	ds_bpermute_b32 v3, v43, v2
	s_waitcnt vmcnt(3)
	v_mad_i64_i32 v[38:39], s[40:41], v51, s45, v[30:31]
	s_waitcnt vmcnt(2)
	v_mad_i64_i32 v[30:31], s[40:41], v52, s45, v[30:31]
	s_waitcnt lgkmcnt(0)
	v_max_f32_e32 v3, v3, v3
	v_max_f32_e32 v34, v2, v3
	v_sub_f32_e32 v2, v5, v34
	v_mul_f32_e32 v2, 0x3fb8aa3b, v2
	v_exp_f32_e32 v40, v2
	v_sub_f32_e32 v2, v41, v34
	v_mul_f32_e32 v2, 0x3fb8aa3b, v2
	v_exp_f32_e32 v41, v2
	global_load_dwordx4 v[6:9], v[38:39], off
	global_load_dwordx4 v[2:5], v[30:31], off
	v_sub_f32_e32 v31, v32, v34
	v_sub_f32_e32 v32, v33, v34
	v_mul_f32_e32 v31, 0x3fb8aa3b, v31
	v_mul_f32_e32 v32, 0x3fb8aa3b, v32
	v_exp_f32_e32 v31, v31
	v_exp_f32_e32 v32, v32
	v_cndmask_b32_e64 v38, 0, v40, s[4:5]
	v_cndmask_b32_e64 v39, 0, v41, s[20:21]
	;; [unrolled: 1-line block ×4, first 2 shown]
	v_sub_f32_e32 v31, v36, v34
	v_sub_f32_e32 v32, v37, v34
	v_mul_f32_e32 v31, 0x3fb8aa3b, v31
	v_mul_f32_e32 v32, 0x3fb8aa3b, v32
	v_exp_f32_e32 v31, v31
	v_exp_f32_e32 v32, v32
	v_add_f32_e32 v30, 0, v38
	v_add_f32_e32 v30, v30, v39
	;; [unrolled: 1-line block ×4, first 2 shown]
	v_cndmask_b32_e64 v30, 0, v31, s[26:27]
	v_cndmask_b32_e64 v31, 0, v32, s[28:29]
	v_sub_f32_e32 v32, v42, v34
	v_mul_f32_e32 v32, 0x3fb8aa3b, v32
	v_sub_f32_e32 v35, v35, v34
	v_exp_f32_e32 v32, v32
	v_mul_f32_e32 v35, 0x3fb8aa3b, v35
	v_sub_f32_e32 v24, v24, v34
	v_exp_f32_e32 v35, v35
	;; [unrolled: 3-line block ×3, first 2 shown]
	v_mul_f32_e32 v25, 0x3fb8aa3b, v25
	v_sub_f32_e32 v22, v22, v34
	v_add_f32_e32 v33, v33, v30
	v_exp_f32_e32 v25, v25
	v_mul_f32_e32 v22, 0x3fb8aa3b, v22
	v_sub_f32_e32 v23, v23, v34
	v_add_f32_e32 v33, v33, v31
	v_cndmask_b32_e64 v32, 0, v32, s[30:31]
	v_exp_f32_e32 v22, v22
	v_mul_f32_e32 v23, 0x3fb8aa3b, v23
	v_sub_f32_e32 v20, v20, v34
	v_add_f32_e32 v36, v33, v32
	v_cndmask_b32_e64 v33, 0, v35, s[34:35]
	;; [unrolled: 5-line block ×5, first 2 shown]
	v_exp_f32_e32 v18, v18
	v_mul_f32_e32 v19, 0x3fb8aa3b, v19
	v_add_f32_e32 v35, v35, v22
	v_cndmask_b32_e64 v23, 0, v23, s[14:15]
	v_exp_f32_e32 v19, v19
	v_add_f32_e32 v35, v35, v23
	v_cndmask_b32_e64 v20, 0, v20, s[8:9]
	v_add_f32_e32 v35, v35, v20
	v_cndmask_b32_e64 v21, 0, v21, s[10:11]
	v_add_f32_e32 v35, v35, v21
	v_cndmask_b32_e32 v18, 0, v18, vcc
	v_add_f32_e32 v35, v35, v18
	v_cndmask_b32_e64 v19, 0, v19, s[6:7]
	v_add_f32_e32 v35, v35, v19
	ds_bpermute_b32 v36, v44, v35
	v_cmp_gt_u32_e32 vcc, 16, v27
	s_waitcnt lgkmcnt(0)
	s_barrier
	v_add_f32_e32 v36, v35, v36
	ds_bpermute_b32 v37, v43, v36
	v_lshlrev_b32_e32 v35, 2, v28
	s_and_saveexec_b64 s[4:5], vcc
	s_cbranch_execz .LBB1106_15
; %bb.14:
	s_waitcnt lgkmcnt(0)
	v_add_f32_e32 v27, v36, v37
	v_lshl_or_b32 v36, v29, 6, v35
	ds_write2st64_b32 v36, v34, v27 offset1:1
.LBB1106_15:
	s_or_b64 exec, exec, s[4:5]
	s_load_dword s6, s[0:1], 0x94
	s_waitcnt lgkmcnt(0)
	s_barrier
	ds_read2_b32 v[36:37], v35 offset1:16
	ds_read2_b32 v[42:43], v35 offset0:32 offset1:48
	ds_read2_b32 v[44:45], v35 offset0:64 offset1:80
	s_movk_i32 s8, 0x7fff
	s_mul_i32 s7, s44, 3
	s_waitcnt lgkmcnt(2)
	v_max3_f32 v27, v36, s46, v37
	s_waitcnt lgkmcnt(1)
	v_max3_f32 v27, v27, v42, v43
	v_sub_f32_e32 v34, v36, v27
	v_sub_f32_e32 v36, v37, v27
	v_mul_f32_e32 v36, 0x3fb8aa3b, v36
	v_mul_f32_e32 v34, 0x3fb8aa3b, v34
	v_exp_f32_e32 v46, v36
	v_sub_f32_e32 v36, v42, v27
	v_exp_f32_e32 v34, v34
	v_mul_f32_e32 v36, 0x3fb8aa3b, v36
	v_exp_f32_e32 v42, v36
	ds_read2_b32 v[36:37], v35 offset0:96 offset1:112
	v_sub_f32_e32 v35, v43, v27
	v_mul_f32_e32 v35, 0x3fb8aa3b, v35
	v_exp_f32_e32 v43, v35
	s_waitcnt lgkmcnt(1)
	v_fma_f32 v35, v34, v44, 0
	v_fmac_f32_e32 v35, v46, v45
	s_waitcnt lgkmcnt(0)
	v_fmac_f32_e32 v35, v42, v36
	v_fmac_f32_e32 v35, v43, v37
	v_add_f32_e32 v36, 0x358637bd, v35
	v_div_scale_f32 v37, s[4:5], v36, v36, 1.0
	v_rcp_f32_e32 v44, v37
	s_barrier
	v_fma_f32 v45, -v37, v44, 1.0
	v_fmac_f32_e32 v44, v45, v44
	v_div_scale_f32 v45, vcc, 1.0, v36, 1.0
	v_mul_f32_e32 v47, v45, v44
	v_fma_f32 v50, -v37, v47, v45
	v_fmac_f32_e32 v47, v50, v44
	v_fma_f32 v37, -v37, v47, v45
	v_div_fmas_f32 v37, v37, v44, v47
	v_cmp_eq_u32_e32 vcc, 1, v29
	v_div_fixup_f32 v36, v37, v36, 1.0
	s_nop 0
	v_cndmask_b32_e32 v34, v34, v46, vcc
	v_cmp_eq_u32_e32 vcc, 2, v29
	s_nop 1
	v_cndmask_b32_e32 v34, v34, v42, vcc
	v_cmp_eq_u32_e32 vcc, 3, v29
	v_lshlrev_b32_e32 v29, 11, v29
	s_nop 0
	v_cndmask_b32_e32 v34, v34, v43, vcc
	v_mul_f32_e32 v42, v34, v36
	v_pk_mul_f32 v[38:39], v[42:43], v[38:39] op_sel_hi:[0,1]
	v_pk_mul_f32 v[36:37], v[42:43], v[40:41] op_sel_hi:[0,1]
	v_bfe_u32 v34, v39, 16, 1
	v_bfe_u32 v40, v38, 16, 1
	v_add3_u32 v38, v38, v40, s8
	v_add3_u32 v34, v39, v34, s8
	v_perm_b32 v38, v34, v38, s33
	v_bfe_u32 v34, v37, 16, 1
	v_bfe_u32 v39, v36, 16, 1
	v_add3_u32 v36, v36, v39, s8
	v_add3_u32 v34, v37, v34, s8
	v_perm_b32 v39, v34, v36, s33
	v_lshlrev_b32_e32 v34, 3, v48
	v_lshlrev_b32_e32 v36, 5, v28
	v_pk_mul_f32 v[30:31], v[42:43], v[30:31] op_sel_hi:[0,1]
	v_or3_b32 v34, v29, v36, v34
	v_bfe_u32 v29, v31, 16, 1
	v_bfe_u32 v37, v30, 16, 1
	v_pk_mul_f32 v[32:33], v[42:43], v[32:33] op_sel_hi:[0,1]
	v_add3_u32 v30, v30, v37, s8
	v_add3_u32 v29, v31, v29, s8
	v_perm_b32 v30, v29, v30, s33
	v_bfe_u32 v29, v33, 16, 1
	v_bfe_u32 v31, v32, 16, 1
	v_add3_u32 v31, v32, v31, s8
	v_add3_u32 v29, v33, v29, s8
	v_perm_b32 v31, v29, v31, s33
	v_pk_mul_f32 v[24:25], v[42:43], v[24:25] op_sel_hi:[0,1]
	ds_write2st64_b64 v34, v[38:39], v[30:31] offset1:1
	v_bfe_u32 v29, v25, 16, 1
	v_bfe_u32 v30, v24, 16, 1
	v_pk_mul_f32 v[22:23], v[42:43], v[22:23] op_sel_hi:[0,1]
	v_add3_u32 v24, v24, v30, s8
	v_add3_u32 v25, v25, v29, s8
	v_perm_b32 v24, v25, v24, s33
	v_bfe_u32 v25, v23, 16, 1
	v_bfe_u32 v29, v22, 16, 1
	v_add3_u32 v22, v22, v29, s8
	v_add3_u32 v23, v23, v25, s8
	v_pk_mul_f32 v[20:21], v[42:43], v[20:21] op_sel_hi:[0,1]
	v_perm_b32 v25, v23, v22, s33
	v_bfe_u32 v22, v21, 16, 1
	v_bfe_u32 v23, v20, 16, 1
	v_pk_mul_f32 v[18:19], v[42:43], v[18:19] op_sel_hi:[0,1]
	v_add3_u32 v20, v20, v23, s8
	v_add3_u32 v21, v21, v22, s8
	v_perm_b32 v20, v21, v20, s33
	v_bfe_u32 v21, v19, 16, 1
	v_bfe_u32 v22, v18, 16, 1
	v_add3_u32 v18, v18, v22, s8
	v_add3_u32 v19, v19, v21, s8
	v_perm_b32 v21, v19, v18, s33
	v_cmp_gt_u32_e32 vcc, 3, v0
	ds_write2st64_b64 v34, v[24:25], v[20:21] offset0:2 offset1:3
	s_and_saveexec_b64 s[4:5], vcc
	s_cbranch_execz .LBB1106_17
; %bb.16:
	s_mov_b32 s49, 0
	v_mov_b32_e32 v29, 0
	v_lshl_add_u64 v[18:19], s[48:49], 0, v[28:29]
	v_mov_b32_e32 v20, s7
	v_mad_u64_u32 v[18:19], s[10:11], s2, v20, v[18:19]
	s_mul_i32 s3, s3, s7
	v_mov_b32_e32 v28, s16
	s_load_dwordx4 s[12:15], s[0:1], 0x58
	v_add_u32_e32 v21, s3, v19
	v_mad_u64_u32 v[18:19], s[10:11], v18, s6, v[28:29]
	v_mov_b32_e32 v20, v19
	v_mad_u64_u32 v[20:21], s[10:11], v21, s6, v[20:21]
	v_mov_b32_e32 v19, v20
	v_lshlrev_b64 v[18:19], 2, v[18:19]
	s_waitcnt lgkmcnt(0)
	v_lshl_add_u64 v[20:21], s[14:15], 0, v[18:19]
	v_lshl_add_u64 v[18:19], s[12:13], 0, v[18:19]
	global_store_dword v[20:21], v27, off
	global_store_dword v[18:19], v35, off
.LBB1106_17:
	s_or_b64 exec, exec, s[4:5]
	s_waitcnt vmcnt(3)
	v_cvt_pk_f32_fp8_e32 v[18:19], v14
	v_cvt_pk_f32_fp8_sdwa v[20:21], v14 src0_sel:WORD_1
	s_mov_b32 s4, 0x7060302
	v_lshl_or_b32 v14, v48, 9, v36
	s_waitcnt lgkmcnt(0)
	s_barrier
	v_perm_b32 v28, v19, v18, s4
	v_perm_b32 v29, v21, v20, s4
	v_cvt_pk_f32_fp8_e32 v[22:23], v15
	ds_read_b128 v[18:21], v14
	v_cvt_pk_f32_fp8_sdwa v[32:33], v15 src0_sel:WORD_1
	v_cvt_pk_f32_fp8_sdwa v[38:39], v16 src0_sel:WORD_1
	v_perm_b32 v36, v23, v22, s4
	ds_read_b128 v[22:25], v14 offset:16
	v_perm_b32 v37, v33, v32, s4
	s_waitcnt lgkmcnt(1)
	v_mfma_f32_16x16x16_bf16 v[28:31], v[28:29], v[18:19], 0
	v_cvt_pk_f32_fp8_e32 v[32:33], v16
	s_load_dword s10, s[42:43], 0x0
	v_cmp_gt_u32_e32 vcc, 64, v0
	v_mfma_f32_16x16x16_bf16 v[18:21], v[36:37], v[20:21], v[28:31]
	s_waitcnt vmcnt(2)
	v_cvt_pk_f32_fp8_sdwa v[36:37], v10 src0_sel:WORD_1
	s_mov_b32 s3, 0
	v_mov_b32_e32 v27, 0
	v_cvt_pk_f32_fp8_e32 v[28:29], v17
	v_perm_b32 v30, v33, v32, s4
	v_perm_b32 v31, v39, v38, s4
	v_cvt_pk_f32_fp8_sdwa v[16:17], v17 src0_sel:WORD_1
	v_perm_b32 v28, v29, v28, s4
	v_cvt_pk_f32_fp8_e32 v[32:33], v10
	v_perm_b32 v29, v17, v16, s4
	s_waitcnt lgkmcnt(0)
	v_mfma_f32_16x16x16_bf16 v[16:19], v[30:31], v[22:23], v[18:21]
	v_perm_b32 v32, v33, v32, s4
	v_perm_b32 v33, v37, v36, s4
	v_cvt_pk_f32_fp8_e32 v[30:31], v11
	ds_read_b128 v[20:23], v14 offset:2048
	v_cvt_pk_f32_fp8_sdwa v[10:11], v11 src0_sel:WORD_1
	v_mfma_f32_16x16x16_bf16 v[16:19], v[28:29], v[24:25], v[16:19]
	v_perm_b32 v24, v31, v30, s4
	ds_read_b128 v[28:31], v14 offset:2064
	v_perm_b32 v25, v11, v10, s4
	s_waitcnt lgkmcnt(1)
	v_mfma_f32_16x16x16_bf16 v[16:19], v[32:33], v[20:21], v[16:19]
	v_cvt_pk_f32_fp8_e32 v[10:11], v12
	v_cvt_pk_f32_fp8_sdwa v[20:21], v12 src0_sel:WORD_1
	v_perm_b32 v10, v11, v10, s4
	v_mfma_f32_16x16x16_bf16 v[16:19], v[24:25], v[22:23], v[16:19]
	v_cvt_pk_f32_fp8_e32 v[22:23], v13
	v_perm_b32 v11, v21, v20, s4
	v_cvt_pk_f32_fp8_sdwa v[12:13], v13 src0_sel:WORD_1
	s_waitcnt vmcnt(1)
	v_cvt_pk_f32_fp8_sdwa v[24:25], v6 src0_sel:WORD_1
	v_perm_b32 v20, v23, v22, s4
	v_cvt_pk_f32_fp8_e32 v[22:23], v6
	v_perm_b32 v21, v13, v12, s4
	s_waitcnt lgkmcnt(0)
	v_mfma_f32_16x16x16_bf16 v[10:13], v[10:11], v[28:29], v[16:19]
	v_perm_b32 v29, v25, v24, s4
	v_perm_b32 v28, v23, v22, s4
	v_cvt_pk_f32_fp8_e32 v[22:23], v7
	ds_read_b128 v[16:19], v14 offset:4096
	v_cvt_pk_f32_fp8_sdwa v[6:7], v7 src0_sel:WORD_1
	v_mfma_f32_16x16x16_bf16 v[10:13], v[20:21], v[30:31], v[10:13]
	v_perm_b32 v24, v23, v22, s4
	ds_read_b128 v[20:23], v14 offset:4112
	v_perm_b32 v25, v7, v6, s4
	s_waitcnt lgkmcnt(1)
	v_mfma_f32_16x16x16_bf16 v[10:13], v[28:29], v[16:17], v[10:13]
	v_cvt_pk_f32_fp8_e32 v[6:7], v8
	v_cvt_pk_f32_fp8_sdwa v[16:17], v8 src0_sel:WORD_1
	v_perm_b32 v6, v7, v6, s4
	v_mfma_f32_16x16x16_bf16 v[10:13], v[24:25], v[18:19], v[10:13]
	v_cvt_pk_f32_fp8_e32 v[18:19], v9
	v_perm_b32 v7, v17, v16, s4
	v_cvt_pk_f32_fp8_sdwa v[8:9], v9 src0_sel:WORD_1
	s_waitcnt vmcnt(0)
	v_cvt_pk_f32_fp8_sdwa v[24:25], v2 src0_sel:WORD_1
	v_perm_b32 v16, v19, v18, s4
	v_cvt_pk_f32_fp8_e32 v[18:19], v2
	v_perm_b32 v17, v9, v8, s4
	s_waitcnt lgkmcnt(0)
	v_mfma_f32_16x16x16_bf16 v[6:9], v[6:7], v[20:21], v[10:13]
	v_cvt_pk_f32_fp8_e32 v[20:21], v3
	v_perm_b32 v18, v19, v18, s4
	v_perm_b32 v19, v25, v24, s4
	ds_read_b128 v[10:13], v14 offset:6144
	v_cvt_pk_f32_fp8_sdwa v[2:3], v3 src0_sel:WORD_1
	v_mfma_f32_16x16x16_bf16 v[6:9], v[16:17], v[22:23], v[6:9]
	v_perm_b32 v20, v21, v20, s4
	ds_read_b128 v[14:17], v14 offset:6160
	v_perm_b32 v21, v3, v2, s4
	s_waitcnt lgkmcnt(1)
	v_mfma_f32_16x16x16_bf16 v[6:9], v[18:19], v[10:11], v[6:9]
	v_cvt_pk_f32_fp8_e32 v[2:3], v4
	v_cvt_pk_f32_fp8_sdwa v[10:11], v4 src0_sel:WORD_1
	s_waitcnt lgkmcnt(0)
	v_mfma_f32_16x16x16_bf16 v[6:9], v[20:21], v[12:13], v[6:9]
	v_perm_b32 v2, v3, v2, s4
	v_perm_b32 v3, v11, v10, s4
	v_cvt_pk_f32_fp8_e32 v[10:11], v5
	v_cvt_pk_f32_fp8_sdwa v[4:5], v5 src0_sel:WORD_1
	s_barrier
	v_perm_b32 v10, v11, v10, s4
	v_perm_b32 v11, v5, v4, s4
	v_mfma_f32_16x16x16_bf16 v[2:5], v[2:3], v[14:15], v[6:9]
	s_nop 0
	v_mfma_f32_16x16x16_bf16 v[2:5], v[10:11], v[16:17], v[2:5]
	s_nop 6
	v_pk_mul_f32 v[2:3], v[2:3], s[10:11] op_sel_hi:[1,0]
	v_pk_mul_f32 v[4:5], v[4:5], s[10:11] op_sel_hi:[1,0]
	v_bfe_u32 v6, v3, 16, 1
	v_bfe_u32 v7, v2, 16, 1
	v_add3_u32 v2, v2, v7, s8
	v_add3_u32 v3, v3, v6, s8
	v_perm_b32 v2, v3, v2, s4
	v_bfe_u32 v3, v5, 16, 1
	v_bfe_u32 v6, v4, 16, 1
	v_add3_u32 v4, v4, v6, s8
	v_add3_u32 v3, v5, v3, s8
	v_perm_b32 v3, v3, v4, s4
	v_cmp_ne_u32_e64 s[4:5], 3, v48
	s_and_b64 s[4:5], s[4:5], vcc
	s_and_b64 s[4:5], s[4:5], s[18:19]
	ds_write_b64 v34, v[2:3]
	s_waitcnt lgkmcnt(0)
	s_barrier
	s_and_saveexec_b64 s[8:9], s[4:5]
	s_cbranch_execz .LBB1106_19
; %bb.18:
	s_load_dwordx2 s[0:1], s[0:1], 0x68
	s_mul_i32 s2, s7, s2
	s_lshl_b32 s6, s6, 6
	s_mul_hi_u32 s5, s2, s6
	s_mul_i32 s4, s2, s6
	v_lshlrev_b32_e32 v0, 10, v0
	s_lshl_b64 s[4:5], s[4:5], 1
	v_and_b32_e32 v0, 0x1800, v0
	v_lshlrev_b32_e32 v2, 5, v48
	v_and_b32_e32 v3, 16, v49
	s_waitcnt lgkmcnt(0)
	s_add_u32 s4, s0, s4
	v_or3_b32 v0, v0, v2, v3
	s_addc_u32 s5, s1, s5
	s_lshl_b32 s2, s16, 6
	ds_read_b128 v[2:5], v0
	s_lshl_b64 s[0:1], s[2:3], 1
	s_add_u32 s0, s4, s0
	s_addc_u32 s1, s5, s1
	v_mad_u64_u32 v[0:1], s[2:3], s6, v1, 0
	v_lshl_add_u64 v[0:1], v[0:1], 1, s[0:1]
	v_lshl_add_u64 v[0:1], v[0:1], 0, v[26:27]
	s_waitcnt lgkmcnt(0)
	global_store_dwordx4 v[0:1], v[2:5], off
.LBB1106_19:
	s_endpgm
	.section	.rodata,"a",@progbits
	.p2align	6, 0x0
	.amdhsa_kernel _Z39paged_attention_ll4mi_QKV_mfma16_kernelI14__hip_bfloat16hLN4vllm18Fp8KVCacheDataTypeE1EhLi16ELi64ELi256ELb1ELi3EEvPKT_PKT0_S8_ifPKiSA_SA_iPKfiiiPfSD_PS3_PT2_iSC_SC_
		.amdhsa_group_segment_fixed_size 8192
		.amdhsa_private_segment_fixed_size 0
		.amdhsa_kernarg_size 400
		.amdhsa_user_sgpr_count 2
		.amdhsa_user_sgpr_dispatch_ptr 0
		.amdhsa_user_sgpr_queue_ptr 0
		.amdhsa_user_sgpr_kernarg_segment_ptr 1
		.amdhsa_user_sgpr_dispatch_id 0
		.amdhsa_user_sgpr_kernarg_preload_length 0
		.amdhsa_user_sgpr_kernarg_preload_offset 0
		.amdhsa_user_sgpr_private_segment_size 0
		.amdhsa_uses_dynamic_stack 0
		.amdhsa_enable_private_segment 0
		.amdhsa_system_sgpr_workgroup_id_x 1
		.amdhsa_system_sgpr_workgroup_id_y 1
		.amdhsa_system_sgpr_workgroup_id_z 1
		.amdhsa_system_sgpr_workgroup_info 0
		.amdhsa_system_vgpr_workitem_id 0
		.amdhsa_next_free_vgpr 68
		.amdhsa_next_free_sgpr 50
		.amdhsa_accum_offset 68
		.amdhsa_reserve_vcc 1
		.amdhsa_float_round_mode_32 0
		.amdhsa_float_round_mode_16_64 0
		.amdhsa_float_denorm_mode_32 3
		.amdhsa_float_denorm_mode_16_64 3
		.amdhsa_dx10_clamp 1
		.amdhsa_ieee_mode 1
		.amdhsa_fp16_overflow 0
		.amdhsa_tg_split 0
		.amdhsa_exception_fp_ieee_invalid_op 0
		.amdhsa_exception_fp_denorm_src 0
		.amdhsa_exception_fp_ieee_div_zero 0
		.amdhsa_exception_fp_ieee_overflow 0
		.amdhsa_exception_fp_ieee_underflow 0
		.amdhsa_exception_fp_ieee_inexact 0
		.amdhsa_exception_int_div_zero 0
	.end_amdhsa_kernel
	.section	.text._Z39paged_attention_ll4mi_QKV_mfma16_kernelI14__hip_bfloat16hLN4vllm18Fp8KVCacheDataTypeE1EhLi16ELi64ELi256ELb1ELi3EEvPKT_PKT0_S8_ifPKiSA_SA_iPKfiiiPfSD_PS3_PT2_iSC_SC_,"axG",@progbits,_Z39paged_attention_ll4mi_QKV_mfma16_kernelI14__hip_bfloat16hLN4vllm18Fp8KVCacheDataTypeE1EhLi16ELi64ELi256ELb1ELi3EEvPKT_PKT0_S8_ifPKiSA_SA_iPKfiiiPfSD_PS3_PT2_iSC_SC_,comdat
.Lfunc_end1106:
	.size	_Z39paged_attention_ll4mi_QKV_mfma16_kernelI14__hip_bfloat16hLN4vllm18Fp8KVCacheDataTypeE1EhLi16ELi64ELi256ELb1ELi3EEvPKT_PKT0_S8_ifPKiSA_SA_iPKfiiiPfSD_PS3_PT2_iSC_SC_, .Lfunc_end1106-_Z39paged_attention_ll4mi_QKV_mfma16_kernelI14__hip_bfloat16hLN4vllm18Fp8KVCacheDataTypeE1EhLi16ELi64ELi256ELb1ELi3EEvPKT_PKT0_S8_ifPKiSA_SA_iPKfiiiPfSD_PS3_PT2_iSC_SC_
                                        ; -- End function
	.section	.AMDGPU.csdata,"",@progbits
; Kernel info:
; codeLenInByte = 5068
; NumSgprs: 56
; NumVgprs: 68
; NumAgprs: 0
; TotalNumVgprs: 68
; ScratchSize: 0
; MemoryBound: 0
; FloatMode: 240
; IeeeMode: 1
; LDSByteSize: 8192 bytes/workgroup (compile time only)
; SGPRBlocks: 6
; VGPRBlocks: 8
; NumSGPRsForWavesPerEU: 56
; NumVGPRsForWavesPerEU: 68
; AccumOffset: 68
; Occupancy: 7
; WaveLimiterHint : 1
; COMPUTE_PGM_RSRC2:SCRATCH_EN: 0
; COMPUTE_PGM_RSRC2:USER_SGPR: 2
; COMPUTE_PGM_RSRC2:TRAP_HANDLER: 0
; COMPUTE_PGM_RSRC2:TGID_X_EN: 1
; COMPUTE_PGM_RSRC2:TGID_Y_EN: 1
; COMPUTE_PGM_RSRC2:TGID_Z_EN: 1
; COMPUTE_PGM_RSRC2:TIDIG_COMP_CNT: 0
; COMPUTE_PGM_RSRC3_GFX90A:ACCUM_OFFSET: 16
; COMPUTE_PGM_RSRC3_GFX90A:TG_SPLIT: 0
	.section	.text._Z39paged_attention_ll4mi_QKV_mfma16_kernelI14__hip_bfloat16hLN4vllm18Fp8KVCacheDataTypeE1EhLi16ELi64ELi256ELb1ELi4EEvPKT_PKT0_S8_ifPKiSA_SA_iPKfiiiPfSD_PS3_PT2_iSC_SC_,"axG",@progbits,_Z39paged_attention_ll4mi_QKV_mfma16_kernelI14__hip_bfloat16hLN4vllm18Fp8KVCacheDataTypeE1EhLi16ELi64ELi256ELb1ELi4EEvPKT_PKT0_S8_ifPKiSA_SA_iPKfiiiPfSD_PS3_PT2_iSC_SC_,comdat
	.protected	_Z39paged_attention_ll4mi_QKV_mfma16_kernelI14__hip_bfloat16hLN4vllm18Fp8KVCacheDataTypeE1EhLi16ELi64ELi256ELb1ELi4EEvPKT_PKT0_S8_ifPKiSA_SA_iPKfiiiPfSD_PS3_PT2_iSC_SC_ ; -- Begin function _Z39paged_attention_ll4mi_QKV_mfma16_kernelI14__hip_bfloat16hLN4vllm18Fp8KVCacheDataTypeE1EhLi16ELi64ELi256ELb1ELi4EEvPKT_PKT0_S8_ifPKiSA_SA_iPKfiiiPfSD_PS3_PT2_iSC_SC_
	.globl	_Z39paged_attention_ll4mi_QKV_mfma16_kernelI14__hip_bfloat16hLN4vllm18Fp8KVCacheDataTypeE1EhLi16ELi64ELi256ELb1ELi4EEvPKT_PKT0_S8_ifPKiSA_SA_iPKfiiiPfSD_PS3_PT2_iSC_SC_
	.p2align	8
	.type	_Z39paged_attention_ll4mi_QKV_mfma16_kernelI14__hip_bfloat16hLN4vllm18Fp8KVCacheDataTypeE1EhLi16ELi64ELi256ELb1ELi4EEvPKT_PKT0_S8_ifPKiSA_SA_iPKfiiiPfSD_PS3_PT2_iSC_SC_,@function
_Z39paged_attention_ll4mi_QKV_mfma16_kernelI14__hip_bfloat16hLN4vllm18Fp8KVCacheDataTypeE1EhLi16ELi64ELi256ELb1ELi4EEvPKT_PKT0_S8_ifPKiSA_SA_iPKfiiiPfSD_PS3_PT2_iSC_SC_: ; @_Z39paged_attention_ll4mi_QKV_mfma16_kernelI14__hip_bfloat16hLN4vllm18Fp8KVCacheDataTypeE1EhLi16ELi64ELi256ELb1ELi4EEvPKT_PKT0_S8_ifPKiSA_SA_iPKfiiiPfSD_PS3_PT2_iSC_SC_
; %bb.0:
	s_load_dwordx2 s[6:7], s[0:1], 0x30
	s_mov_b32 s14, s3
	s_mov_b64 s[8:9], 0
	s_waitcnt lgkmcnt(0)
	s_cmp_lg_u64 s[6:7], 0
	s_cselect_b64 s[10:11], -1, 0
	s_and_b64 vcc, exec, s[10:11]
	s_cbranch_vccz .LBB1107_7
; %bb.1:
	s_add_i32 s12, s2, 1
	s_mov_b32 s13, 0
	s_lshl_b64 s[16:17], s[12:13], 2
	s_add_u32 s16, s6, s16
	s_mov_b32 s3, s13
	s_addc_u32 s17, s7, s17
	s_lshl_b64 s[12:13], s[2:3], 2
	s_add_u32 s12, s6, s12
	s_addc_u32 s13, s7, s13
	s_load_dword s5, s[16:17], 0x0
	s_load_dword s15, s[12:13], 0x0
	s_waitcnt lgkmcnt(0)
	s_sub_i32 s5, s5, s15
	s_cmp_eq_u32 s5, 1
	s_cselect_b64 s[12:13], -1, 0
	s_andn2_b64 vcc, exec, s[8:9]
	s_cbranch_vccnz .LBB1107_3
.LBB1107_2:
	s_mov_b32 s3, 0
	s_mov_b64 s[12:13], -1
.LBB1107_3:
	s_andn2_b64 vcc, exec, s[12:13]
	s_cbranch_vccnz .LBB1107_19
; %bb.4:
	s_load_dwordx2 s[8:9], s[0:1], 0x28
	s_lshl_b64 s[12:13], s[2:3], 2
	s_waitcnt lgkmcnt(0)
	s_add_u32 s8, s8, s12
	s_addc_u32 s9, s9, s13
	s_load_dword s33, s[8:9], 0x0
	s_lshl_b32 s18, s14, 8
	s_waitcnt lgkmcnt(0)
	s_cmp_ge_i32 s18, s33
	s_cbranch_scc1 .LBB1107_19
; %bb.5:
	s_load_dwordx2 s[8:9], s[0:1], 0x20
	s_load_dword s5, s[0:1], 0x38
	s_add_i32 s15, s33, 15
	s_ashr_i32 s16, s15, 31
	v_and_b32_e32 v1, 0xcf, v0
	s_lshr_b32 s16, s16, 28
	v_add_u32_e32 v1, s18, v1
	s_add_i32 s15, s15, s16
	v_ashrrev_i32_e32 v2, 31, v1
	s_ashr_i32 s19, s15, 4
	v_lshrrev_b32_e32 v4, 28, v2
	s_add_i32 s19, s19, -1
	s_waitcnt lgkmcnt(0)
	s_mul_i32 s16, s2, s5
	s_mov_b32 s17, 0
	v_add_u32_e32 v2, v1, v4
	s_lshl_b64 s[16:17], s[16:17], 2
	v_ashrrev_i32_e32 v2, 4, v2
	v_mov_b32_e32 v5, s19
	v_cmp_gt_i32_e32 vcc, s33, v1
	s_add_u32 s8, s8, s16
	s_addc_u32 s9, s9, s17
	v_cndmask_b32_e32 v2, v5, v2, vcc
	v_ashrrev_i32_e32 v3, 31, v2
	v_lshl_add_u64 v[6:7], v[2:3], 2, s[8:9]
	v_or_b32_e32 v2, 16, v1
	v_add_u32_e32 v3, v2, v4
	v_ashrrev_i32_e32 v3, 4, v3
	v_cmp_gt_i32_e32 vcc, s33, v2
	s_load_dwordx2 s[16:17], s[0:1], 0x8
	s_nop 0
	v_cndmask_b32_e32 v2, v5, v3, vcc
	v_ashrrev_i32_e32 v3, 31, v2
	v_lshl_add_u64 v[8:9], v[2:3], 2, s[8:9]
	v_or_b32_e32 v2, 32, v1
	v_add_u32_e32 v3, v2, v4
	v_ashrrev_i32_e32 v3, 4, v3
	v_cmp_gt_i32_e32 vcc, s33, v2
	v_or_b32_e32 v1, 48, v1
	s_nop 0
	v_cndmask_b32_e32 v2, v5, v3, vcc
	v_ashrrev_i32_e32 v3, 31, v2
	v_lshl_add_u64 v[10:11], v[2:3], 2, s[8:9]
	v_add_u32_e32 v2, v1, v4
	v_ashrrev_i32_e32 v2, 4, v2
	v_cmp_gt_i32_e32 vcc, s33, v1
	s_nop 1
	v_cndmask_b32_e32 v2, v5, v2, vcc
	v_ashrrev_i32_e32 v3, 31, v2
	v_lshl_add_u64 v[12:13], v[2:3], 2, s[8:9]
	global_load_dword v5, v[6:7], off
	global_load_dword v4, v[8:9], off
	;; [unrolled: 1-line block ×4, first 2 shown]
	s_andn2_b64 vcc, exec, s[10:11]
	s_cbranch_vccnz .LBB1107_8
; %bb.6:
	s_add_u32 s6, s6, s12
	s_addc_u32 s7, s7, s13
	s_load_dword s5, s[6:7], 0x0
	s_branch .LBB1107_9
.LBB1107_7:
	s_mov_b64 s[12:13], 0
	s_branch .LBB1107_2
.LBB1107_8:
	s_mov_b32 s5, s2
.LBB1107_9:
	s_load_dwordx2 s[10:11], s[0:1], 0x10
	s_load_dwordx4 s[44:47], s[0:1], 0x48
	v_and_b32_e32 v50, 15, v0
	v_bfe_u32 v48, v0, 4, 2
	s_lshl_b32 s15, s4, 2
	v_lshlrev_b32_e32 v6, 3, v50
	v_cmp_gt_u32_e32 vcc, 64, v0
	v_cmp_gt_u32_e64 s[6:7], 8, v50
	v_lshrrev_b32_e32 v49, 6, v0
	v_or_b32_e32 v1, s15, v48
	s_and_b64 s[48:49], vcc, s[6:7]
	v_lshlrev_b32_e32 v26, 1, v6
	v_lshlrev_b32_e32 v46, 5, v48
	;; [unrolled: 1-line block ×3, first 2 shown]
	s_and_saveexec_b64 s[6:7], s[48:49]
	s_cbranch_execz .LBB1107_11
; %bb.10:
	s_load_dwordx2 s[12:13], s[0:1], 0x0
	s_waitcnt lgkmcnt(0)
	s_ashr_i32 s20, s44, 31
	s_mul_hi_u32 s21, s5, s44
	s_mul_i32 s20, s5, s20
	s_add_i32 s21, s21, s20
	s_mul_i32 s20, s5, s44
	s_lshl_b64 s[20:21], s[20:21], 1
	s_add_u32 s12, s12, s20
	v_lshlrev_b32_e32 v6, 6, v1
	s_addc_u32 s13, s13, s21
	v_ashrrev_i32_e32 v7, 31, v6
	v_lshl_add_u64 v[6:7], v[6:7], 1, s[12:13]
	v_mov_b32_e32 v27, 0
	v_lshl_add_u64 v[6:7], v[6:7], 0, v[26:27]
	global_load_dwordx4 v[6:9], v[6:7], off
	v_lshlrev_b32_e32 v12, 8, v50
	v_lshl_or_b32 v10, v49, 7, v46
	v_and_b32_e32 v11, 16, v47
	v_and_b32_e32 v12, 0xe00, v12
	v_or3_b32 v10, v12, v10, v11
	s_waitcnt vmcnt(0)
	ds_write_b128 v10, v[6:9]
.LBB1107_11:
	s_or_b64 exec, exec, s[6:7]
	s_waitcnt lgkmcnt(0)
	s_mul_i32 s6, s4, s46
	s_add_u32 s4, s16, s6
	s_addc_u32 s5, s17, 0
	v_and_b32_e32 v30, 48, v0
	v_and_b32_e32 v28, 0xf0, v47
	v_mov_b32_e32 v29, 0
	v_lshl_add_u64 v[6:7], s[4:5], 0, v[28:29]
	v_lshlrev_b32_e32 v28, 4, v30
	v_lshl_add_u64 v[6:7], v[6:7], 0, v[28:29]
	s_waitcnt vmcnt(3)
	v_mad_i64_i32 v[8:9], s[4:5], v5, s45, v[6:7]
	s_waitcnt vmcnt(2)
	v_mad_i64_i32 v[4:5], s[4:5], v4, s45, v[6:7]
	s_barrier
	global_load_dwordx4 v[22:25], v[8:9], off
	global_load_dwordx4 v[18:21], v[4:5], off
	s_waitcnt vmcnt(3)
	v_mad_i64_i32 v[4:5], s[4:5], v3, s45, v[6:7]
	s_waitcnt vmcnt(2)
	v_mad_i64_i32 v[2:3], s[4:5], v2, s45, v[6:7]
	global_load_dwordx4 v[14:17], v[4:5], off
	global_load_dwordx4 v[6:9], v[2:3], off
	v_and_b32_e32 v2, 3, v0
	v_lshlrev_b32_e32 v2, 5, v2
	v_lshl_or_b32 v2, v48, 9, v2
	ds_read_b128 v[10:13], v2
	ds_read_b128 v[2:5], v2 offset:16
	v_and_b32_e32 v27, 63, v0
	v_cmp_gt_u32_e32 vcc, 4, v50
	v_mov_b32_e32 v51, 0
	s_and_saveexec_b64 s[4:5], vcc
	s_cbranch_execz .LBB1107_13
; %bb.12:
	s_load_dwordx2 s[12:13], s[0:1], 0x40
	v_or_b32_e32 v32, s15, v50
	v_ashrrev_i32_e32 v33, 31, v32
	s_waitcnt lgkmcnt(0)
	v_lshl_add_u64 v[32:33], v[32:33], 2, s[12:13]
	global_load_dword v51, v[32:33], off
.LBB1107_13:
	s_or_b64 exec, exec, s[4:5]
	v_or_b32_e32 v28, s18, v30
	v_ashrrev_i32_e32 v30, 4, v28
	v_mov_b32_e32 v53, s19
	v_cmp_gt_i32_e32 vcc, s33, v28
	s_waitcnt vmcnt(3)
	v_cvt_pk_f32_fp8_e32 v[36:37], v22
	v_cvt_pk_f32_fp8_sdwa v[38:39], v22 src0_sel:WORD_1
	v_cndmask_b32_e32 v30, v53, v30, vcc
	v_ashrrev_i32_e32 v31, 31, v30
	v_lshl_add_u64 v[30:31], v[30:31], 2, s[8:9]
	s_waitcnt vmcnt(2)
	v_cvt_pk_f32_fp8_e32 v[54:55], v18
	v_cvt_pk_f32_fp8_sdwa v[56:57], v18 src0_sel:WORD_1
	global_load_dword v52, v[30:31], off
	s_waitcnt vmcnt(2)
	v_cvt_pk_f32_fp8_e32 v[70:71], v14
	v_cvt_pk_f32_fp8_sdwa v[30:31], v14 src0_sel:WORD_1
	v_or_b32_e32 v14, 64, v28
	v_lshlrev_b32_e32 v72, 4, v50
	v_cvt_pk_f32_fp8_e32 v[62:63], v20
	v_cvt_pk_f32_fp8_sdwa v[64:65], v20 src0_sel:WORD_1
	v_or_b32_e32 v18, 0x80, v28
	v_ashrrev_i32_e32 v20, 4, v14
	v_cmp_gt_i32_e32 vcc, s33, v14
	s_mov_b32 s44, 0x7060302
	v_cvt_pk_f32_fp8_e32 v[58:59], v19
	v_cvt_pk_f32_fp8_sdwa v[60:61], v19 src0_sel:WORD_1
	v_cvt_pk_f32_fp8_e32 v[66:67], v21
	v_cvt_pk_f32_fp8_sdwa v[68:69], v21 src0_sel:WORD_1
	v_or_b32_e32 v19, 0xc0, v28
	v_lshl_or_b32 v28, v49, 8, v72
	v_ashrrev_i32_e32 v21, 4, v18
	v_cndmask_b32_e32 v72, v53, v20, vcc
	v_cmp_gt_i32_e32 vcc, s33, v18
	v_cvt_pk_f32_fp8_e32 v[34:35], v23
	v_cvt_pk_f32_fp8_sdwa v[22:23], v23 src0_sel:WORD_1
	v_ashrrev_i32_e32 v73, 4, v19
	v_cndmask_b32_e32 v74, v53, v21, vcc
	v_cmp_gt_i32_e32 vcc, s33, v19
	v_perm_b32 v18, v37, v36, s44
	v_perm_b32 v19, v39, v38, s44
	;; [unrolled: 1-line block ×4, first 2 shown]
	v_cvt_pk_f32_fp8_e32 v[44:45], v24
	v_cvt_pk_f32_fp8_sdwa v[40:41], v24 src0_sel:WORD_1
	v_perm_b32 v34, v35, v34, s44
	v_perm_b32 v35, v23, v22, s44
	;; [unrolled: 1-line block ×4, first 2 shown]
	v_cvt_pk_f32_fp8_e32 v[42:43], v25
	v_cvt_pk_f32_fp8_sdwa v[24:25], v25 src0_sel:WORD_1
	s_waitcnt lgkmcnt(1)
	v_mfma_f32_16x16x16_bf16 v[18:21], v[18:19], v[10:11], 0
	v_perm_b32 v44, v45, v44, s44
	v_perm_b32 v45, v41, v40, s44
	s_add_u32 s4, s10, s6
	v_mfma_f32_16x16x16_bf16 v[38:41], v[36:37], v[10:11], 0
	s_addc_u32 s5, s11, 0
	v_lshl_add_u64 v[28:29], s[4:5], 0, v[28:29]
	v_perm_b32 v54, v63, v62, s44
	v_perm_b32 v55, v65, v64, s44
	s_load_dword s4, s[0:1], 0x1c
	s_load_dwordx4 s[40:43], s[0:1], 0x80
	v_mfma_f32_16x16x16_bf16 v[18:21], v[34:35], v[12:13], v[18:21]
	v_perm_b32 v37, v25, v24, s44
	v_cndmask_b32_e32 v76, v53, v73, vcc
	v_ashrrev_i32_e32 v73, 31, v72
	v_mfma_f32_16x16x16_bf16 v[22:25], v[22:23], v[12:13], v[38:41]
	v_ashrrev_i32_e32 v75, 31, v74
	v_ashrrev_i32_e32 v77, 31, v76
	v_perm_b32 v36, v43, v42, s44
	v_lshl_add_u64 v[40:41], v[72:73], 2, s[8:9]
	s_waitcnt lgkmcnt(0)
	v_mfma_f32_16x16x16_bf16 v[18:21], v[44:45], v[2:3], v[18:21]
	v_lshl_add_u64 v[42:43], v[74:75], 2, s[8:9]
	v_lshl_add_u64 v[44:45], v[76:77], 2, s[8:9]
	s_load_dword s46, s[0:1], 0x98
	s_load_dword s5, s[40:41], 0x0
	v_mfma_f32_16x16x16_bf16 v[22:25], v[54:55], v[2:3], v[22:25]
	global_load_dword v41, v[40:41], off
	s_nop 0
	global_load_dword v53, v[42:43], off
	global_load_dword v54, v[44:45], off
	v_perm_b32 v38, v67, v66, s44
	v_perm_b32 v39, v69, v68, s44
	v_mov_b32_e32 v14, s4
	v_cvt_pk_f32_fp8_e32 v[32:33], v15
	v_perm_b32 v34, v71, v70, s44
	s_waitcnt lgkmcnt(0)
	v_mul_f32_e32 v40, s5, v14
	v_perm_b32 v35, v31, v30, s44
	v_cvt_pk_f32_fp8_sdwa v[14:15], v15 src0_sel:WORD_1
	v_mfma_f32_16x16x16_bf16 v[22:25], v[38:39], v[4:5], v[22:25]
	v_perm_b32 v38, v33, v32, s44
	v_cvt_pk_f32_fp8_e32 v[42:43], v16
	v_cvt_pk_f32_fp8_sdwa v[44:45], v16 src0_sel:WORD_1
	v_perm_b32 v39, v15, v14, s44
	v_mfma_f32_16x16x16_bf16 v[30:33], v[34:35], v[10:11], 0
	v_perm_b32 v34, v43, v42, s44
	v_perm_b32 v35, v45, v44, s44
	v_cvt_pk_f32_fp8_e32 v[42:43], v17
	v_mfma_f32_16x16x16_bf16 v[18:21], v[36:37], v[4:5], v[18:21]
	v_cvt_pk_f32_fp8_sdwa v[44:45], v17 src0_sel:WORD_1
	s_mov_b32 s40, 0xff7fffff
	s_waitcnt vmcnt(3)
	v_mad_i64_i32 v[36:37], s[4:5], v52, s45, v[28:29]
	v_mfma_f32_16x16x16_bf16 v[14:17], v[38:39], v[12:13], v[30:33]
	s_waitcnt vmcnt(2)
	s_nop 0
	v_pk_mul_f32 v[38:39], v[40:41], v[18:19] op_sel_hi:[0,1]
	v_pk_mul_f32 v[30:31], v[40:41], v[20:21] op_sel_hi:[0,1]
	v_perm_b32 v20, v43, v42, s44
	v_perm_b32 v21, v45, v44, s44
	v_mfma_f32_16x16x16_bf16 v[14:17], v[34:35], v[2:3], v[14:17]
	v_cvt_pk_f32_fp8_e32 v[18:19], v6
	v_cvt_pk_f32_fp8_sdwa v[32:33], v6 src0_sel:WORD_1
	v_cvt_pk_f32_fp8_e32 v[34:35], v8
	v_mfma_f32_16x16x16_bf16 v[14:17], v[20:21], v[4:5], v[14:17]
	v_cvt_pk_f32_fp8_e32 v[20:21], v7
	v_perm_b32 v18, v19, v18, s44
	v_perm_b32 v19, v33, v32, s44
	v_cvt_pk_f32_fp8_sdwa v[6:7], v7 src0_sel:WORD_1
	v_perm_b32 v32, v21, v20, s44
	v_cvt_pk_f32_fp8_sdwa v[42:43], v8 src0_sel:WORD_1
	v_mfma_f32_16x16x16_bf16 v[18:21], v[18:19], v[10:11], 0
	v_perm_b32 v33, v7, v6, s44
	v_perm_b32 v10, v35, v34, s44
	;; [unrolled: 1-line block ×3, first 2 shown]
	v_cvt_pk_f32_fp8_e32 v[34:35], v9
	v_cvt_pk_f32_fp8_sdwa v[42:43], v9 src0_sel:WORD_1
	v_mfma_f32_16x16x16_bf16 v[6:9], v[32:33], v[12:13], v[18:21]
	v_pk_mul_f32 v[32:33], v[40:41], v[24:25] op_sel_hi:[0,1]
	v_perm_b32 v12, v35, v34, s44
	v_perm_b32 v13, v43, v42, s44
	v_mfma_f32_16x16x16_bf16 v[6:9], v[10:11], v[2:3], v[6:9]
	v_pk_mul_f32 v[34:35], v[40:41], v[22:23] op_sel_hi:[0,1]
	v_pk_mul_f32 v[22:23], v[40:41], v[16:17] op_sel_hi:[0,1]
	;; [unrolled: 1-line block ×3, first 2 shown]
	v_mfma_f32_16x16x16_bf16 v[2:5], v[12:13], v[4:5], v[6:9]
	s_nop 6
	v_pk_mul_f32 v[20:21], v[40:41], v[2:3] op_sel_hi:[0,1]
	v_and_b32_e32 v2, 0xc0, v0
	v_add_u32_e32 v2, s18, v2
	v_lshl_or_b32 v2, v48, 2, v2
	v_or_b32_e32 v3, 1, v2
	v_pk_mul_f32 v[18:19], v[40:41], v[4:5] op_sel_hi:[0,1]
	v_subrev_u32_e32 v4, s33, v3
	v_add_u32_e32 v6, 1, v4
	v_add_u32_e32 v7, 2, v4
	;; [unrolled: 1-line block ×3, first 2 shown]
	v_cvt_f32_i32_e32 v6, v6
	v_cvt_f32_i32_e32 v7, v7
	;; [unrolled: 1-line block ×3, first 2 shown]
	v_add_u32_e32 v9, 19, v4
	v_fmac_f32_e32 v39, v51, v6
	v_fma_f32 v30, v51, v7, v30
	v_fmac_f32_e32 v31, v51, v8
	v_add_u32_e32 v6, 16, v4
	v_add_u32_e32 v7, 17, v4
	;; [unrolled: 1-line block ×3, first 2 shown]
	v_cvt_f32_i32_e32 v6, v6
	v_cvt_f32_i32_e32 v7, v7
	;; [unrolled: 1-line block ×4, first 2 shown]
	v_fma_f32 v34, v51, v6, v34
	v_fmac_f32_e32 v35, v51, v7
	v_fma_f32 v40, v51, v8, v32
	v_add_u32_e32 v6, 32, v4
	v_add_u32_e32 v7, 33, v4
	;; [unrolled: 1-line block ×3, first 2 shown]
	v_cvt_f32_i32_e32 v6, v6
	v_cvt_f32_i32_e32 v7, v7
	;; [unrolled: 1-line block ×4, first 2 shown]
	v_fmac_f32_e32 v33, v51, v9
	v_add_u32_e32 v9, 35, v4
	v_fma_f32 v24, v51, v6, v24
	v_fmac_f32_e32 v25, v51, v7
	v_fma_f32 v22, v51, v8, v22
	v_add_u32_e32 v6, 48, v4
	v_add_u32_e32 v7, 49, v4
	v_add_u32_e32 v8, 50, v4
	v_add_u32_e32 v4, 51, v4
	v_cvt_f32_i32_e32 v4, v4
	v_cvt_f32_i32_e32 v6, v6
	;; [unrolled: 1-line block ×3, first 2 shown]
	v_fma_f32 v5, v51, v5, v38
	v_fmac_f32_e32 v19, v51, v4
	v_mov_b32_e32 v4, 0xff7fffff
	v_cmp_gt_i32_e64 s[16:17], s33, v2
	v_cmp_gt_i32_e64 s[18:19], s33, v3
	v_fma_f32 v20, v51, v6, v20
	v_cndmask_b32_e64 v6, v4, v5, s[16:17]
	v_cndmask_b32_e64 v3, v4, v39, s[18:19]
	v_fmac_f32_e32 v21, v51, v7
	v_max3_f32 v3, v6, s40, v3
	v_or_b32_e32 v6, 2, v2
	v_or_b32_e32 v7, 3, v2
	v_cmp_gt_i32_e64 s[20:21], s33, v6
	v_cmp_gt_i32_e64 s[22:23], s33, v7
	v_cvt_f32_i32_e32 v9, v9
	v_cndmask_b32_e64 v6, v4, v30, s[20:21]
	v_cndmask_b32_e64 v7, v4, v31, s[22:23]
	v_max3_f32 v3, v3, v6, v7
	v_or_b32_e32 v6, 16, v2
	v_or_b32_e32 v7, 17, v2
	v_cmp_gt_i32_e64 s[24:25], s33, v6
	v_cmp_gt_i32_e64 s[26:27], s33, v7
	v_fmac_f32_e32 v23, v51, v9
	v_cndmask_b32_e64 v6, v4, v34, s[24:25]
	v_cndmask_b32_e64 v7, v4, v35, s[26:27]
	v_max3_f32 v3, v3, v6, v7
	v_or_b32_e32 v6, 18, v2
	v_or_b32_e32 v7, 19, v2
	v_cmp_gt_i32_e64 s[28:29], s33, v6
	v_cmp_gt_i32_e64 s[30:31], s33, v7
	v_cvt_f32_i32_e32 v8, v8
	v_cndmask_b32_e64 v6, v4, v40, s[28:29]
	v_cndmask_b32_e64 v7, v4, v33, s[30:31]
	v_max3_f32 v3, v3, v6, v7
	v_or_b32_e32 v6, 32, v2
	v_or_b32_e32 v7, 33, v2
	v_cmp_gt_i32_e64 s[34:35], s33, v6
	v_cmp_gt_i32_e64 s[36:37], s33, v7
	v_fma_f32 v18, v51, v8, v18
	v_cndmask_b32_e64 v6, v4, v24, s[34:35]
	v_cndmask_b32_e64 v7, v4, v25, s[36:37]
	v_max3_f32 v3, v3, v6, v7
	v_or_b32_e32 v6, 34, v2
	v_or_b32_e32 v7, 35, v2
	v_cmp_gt_i32_e64 s[10:11], s33, v6
	v_cmp_gt_i32_e64 s[12:13], s33, v7
	s_nop 0
	v_cndmask_b32_e64 v6, v4, v22, s[10:11]
	v_cndmask_b32_e64 v7, v4, v23, s[12:13]
	v_max3_f32 v3, v3, v6, v7
	v_or_b32_e32 v6, 48, v2
	v_or_b32_e32 v7, 49, v2
	v_cmp_gt_i32_e64 s[6:7], s33, v6
	v_cmp_gt_i32_e64 s[8:9], s33, v7
	s_nop 0
	v_cndmask_b32_e64 v6, v4, v20, s[6:7]
	v_cndmask_b32_e64 v7, v4, v21, s[8:9]
	v_max3_f32 v3, v3, v6, v7
	v_or_b32_e32 v6, 50, v2
	v_or_b32_e32 v2, 51, v2
	v_cmp_gt_i32_e32 vcc, s33, v6
	v_cmp_gt_i32_e64 s[4:5], s33, v2
	s_nop 0
	v_cndmask_b32_e32 v6, v4, v18, vcc
	v_cndmask_b32_e64 v2, v4, v19, s[4:5]
	v_max3_f32 v4, v3, v6, v2
	v_mbcnt_lo_u32_b32 v2, -1, 0
	v_mbcnt_hi_u32_b32 v6, -1, v2
	v_and_b32_e32 v2, 64, v6
	v_add_u32_e32 v7, 64, v2
	v_xor_b32_e32 v2, 32, v6
	v_cmp_lt_i32_e64 s[38:39], v2, v7
	s_nop 1
	v_cndmask_b32_e64 v2, v6, v2, s[38:39]
	v_lshlrev_b32_e32 v42, 2, v2
	ds_bpermute_b32 v8, v42, v4
	v_mad_i64_i32 v[2:3], s[38:39], v41, s45, v[28:29]
	global_load_dwordx4 v[14:17], v[36:37], off
	global_load_dwordx4 v[10:13], v[2:3], off
	v_xor_b32_e32 v3, 16, v6
	v_cmp_lt_i32_e64 s[38:39], v3, v7
	s_waitcnt lgkmcnt(0)
	v_max_f32_e32 v2, v8, v8
	v_max_f32_e32 v2, v4, v2
	v_cndmask_b32_e64 v3, v6, v3, s[38:39]
	v_lshlrev_b32_e32 v41, 2, v3
	ds_bpermute_b32 v3, v41, v2
	s_waitcnt vmcnt(3)
	v_mad_i64_i32 v[36:37], s[38:39], v53, s45, v[28:29]
	s_waitcnt vmcnt(2)
	v_mad_i64_i32 v[28:29], s[38:39], v54, s45, v[28:29]
	s_waitcnt lgkmcnt(0)
	v_max_f32_e32 v3, v3, v3
	v_max_f32_e32 v32, v2, v3
	v_sub_f32_e32 v2, v5, v32
	v_mul_f32_e32 v2, 0x3fb8aa3b, v2
	v_exp_f32_e32 v38, v2
	v_sub_f32_e32 v2, v39, v32
	v_mul_f32_e32 v2, 0x3fb8aa3b, v2
	v_exp_f32_e32 v39, v2
	global_load_dwordx4 v[6:9], v[36:37], off
	global_load_dwordx4 v[2:5], v[28:29], off
	v_sub_f32_e32 v29, v30, v32
	v_sub_f32_e32 v30, v31, v32
	v_mul_f32_e32 v29, 0x3fb8aa3b, v29
	v_mul_f32_e32 v30, 0x3fb8aa3b, v30
	v_exp_f32_e32 v29, v29
	v_exp_f32_e32 v30, v30
	v_cndmask_b32_e64 v36, 0, v38, s[16:17]
	v_cndmask_b32_e64 v37, 0, v39, s[18:19]
	;; [unrolled: 1-line block ×4, first 2 shown]
	v_sub_f32_e32 v29, v34, v32
	v_sub_f32_e32 v30, v35, v32
	v_mul_f32_e32 v29, 0x3fb8aa3b, v29
	v_mul_f32_e32 v30, 0x3fb8aa3b, v30
	v_exp_f32_e32 v29, v29
	v_exp_f32_e32 v30, v30
	v_add_f32_e32 v28, 0, v36
	v_add_f32_e32 v28, v28, v37
	;; [unrolled: 1-line block ×4, first 2 shown]
	v_cndmask_b32_e64 v28, 0, v29, s[24:25]
	v_cndmask_b32_e64 v29, 0, v30, s[26:27]
	v_sub_f32_e32 v30, v40, v32
	v_mul_f32_e32 v30, 0x3fb8aa3b, v30
	v_sub_f32_e32 v33, v33, v32
	v_exp_f32_e32 v30, v30
	v_mul_f32_e32 v33, 0x3fb8aa3b, v33
	v_sub_f32_e32 v24, v24, v32
	v_exp_f32_e32 v33, v33
	;; [unrolled: 3-line block ×3, first 2 shown]
	v_mul_f32_e32 v25, 0x3fb8aa3b, v25
	v_sub_f32_e32 v22, v22, v32
	v_add_f32_e32 v31, v31, v28
	v_exp_f32_e32 v25, v25
	v_mul_f32_e32 v22, 0x3fb8aa3b, v22
	v_sub_f32_e32 v23, v23, v32
	v_add_f32_e32 v31, v31, v29
	v_cndmask_b32_e64 v30, 0, v30, s[28:29]
	v_exp_f32_e32 v22, v22
	v_mul_f32_e32 v23, 0x3fb8aa3b, v23
	v_sub_f32_e32 v20, v20, v32
	v_add_f32_e32 v34, v31, v30
	v_cndmask_b32_e64 v31, 0, v33, s[30:31]
	;; [unrolled: 5-line block ×5, first 2 shown]
	v_exp_f32_e32 v18, v18
	v_mul_f32_e32 v19, 0x3fb8aa3b, v19
	v_add_f32_e32 v33, v33, v22
	v_cndmask_b32_e64 v23, 0, v23, s[12:13]
	v_exp_f32_e32 v19, v19
	v_add_f32_e32 v33, v33, v23
	v_cndmask_b32_e64 v20, 0, v20, s[6:7]
	v_add_f32_e32 v33, v33, v20
	v_cndmask_b32_e64 v21, 0, v21, s[8:9]
	v_add_f32_e32 v33, v33, v21
	v_cndmask_b32_e32 v18, 0, v18, vcc
	v_add_f32_e32 v33, v33, v18
	v_cndmask_b32_e64 v19, 0, v19, s[4:5]
	v_add_f32_e32 v33, v33, v19
	ds_bpermute_b32 v34, v42, v33
	v_cmp_gt_u32_e32 vcc, 16, v27
	s_waitcnt lgkmcnt(0)
	s_barrier
	v_add_f32_e32 v34, v33, v34
	ds_bpermute_b32 v35, v41, v34
	v_lshlrev_b32_e32 v33, 2, v50
	s_and_saveexec_b64 s[4:5], vcc
	s_cbranch_execz .LBB1107_15
; %bb.14:
	s_waitcnt lgkmcnt(0)
	v_add_f32_e32 v27, v34, v35
	v_lshl_or_b32 v34, v49, 6, v33
	ds_write2st64_b32 v34, v32, v27 offset1:1
.LBB1107_15:
	s_or_b64 exec, exec, s[4:5]
	s_load_dword s6, s[0:1], 0x94
	s_waitcnt lgkmcnt(0)
	s_barrier
	ds_read2_b32 v[34:35], v33 offset1:16
	ds_read2_b32 v[40:41], v33 offset0:32 offset1:48
	ds_read2_b32 v[42:43], v33 offset0:64 offset1:80
	s_movk_i32 s8, 0x7fff
	s_lshl_b32 s7, s46, 2
	s_waitcnt lgkmcnt(2)
	v_max3_f32 v27, v34, s40, v35
	s_waitcnt lgkmcnt(1)
	v_max3_f32 v27, v27, v40, v41
	v_sub_f32_e32 v32, v34, v27
	v_sub_f32_e32 v34, v35, v27
	v_mul_f32_e32 v34, 0x3fb8aa3b, v34
	v_mul_f32_e32 v32, 0x3fb8aa3b, v32
	v_exp_f32_e32 v44, v34
	v_sub_f32_e32 v34, v40, v27
	v_exp_f32_e32 v32, v32
	v_mul_f32_e32 v34, 0x3fb8aa3b, v34
	v_exp_f32_e32 v40, v34
	ds_read2_b32 v[34:35], v33 offset0:96 offset1:112
	v_sub_f32_e32 v33, v41, v27
	v_mul_f32_e32 v33, 0x3fb8aa3b, v33
	v_exp_f32_e32 v41, v33
	s_waitcnt lgkmcnt(1)
	v_fma_f32 v33, v32, v42, 0
	v_fmac_f32_e32 v33, v44, v43
	s_waitcnt lgkmcnt(0)
	v_fmac_f32_e32 v33, v40, v34
	v_fmac_f32_e32 v33, v41, v35
	v_add_f32_e32 v34, 0x358637bd, v33
	v_div_scale_f32 v35, s[4:5], v34, v34, 1.0
	v_rcp_f32_e32 v42, v35
	s_barrier
	v_fma_f32 v43, -v35, v42, 1.0
	v_fmac_f32_e32 v42, v43, v42
	v_div_scale_f32 v43, vcc, 1.0, v34, 1.0
	v_mul_f32_e32 v45, v43, v42
	v_fma_f32 v51, -v35, v45, v43
	v_fmac_f32_e32 v45, v51, v42
	v_fma_f32 v35, -v35, v45, v43
	v_div_fmas_f32 v35, v35, v42, v45
	v_cmp_eq_u32_e32 vcc, 1, v49
	v_div_fixup_f32 v34, v35, v34, 1.0
	s_nop 0
	v_cndmask_b32_e32 v32, v32, v44, vcc
	v_cmp_eq_u32_e32 vcc, 2, v49
	s_nop 1
	v_cndmask_b32_e32 v32, v32, v40, vcc
	v_cmp_eq_u32_e32 vcc, 3, v49
	s_nop 1
	v_cndmask_b32_e32 v32, v32, v41, vcc
	v_mul_f32_e32 v40, v32, v34
	v_pk_mul_f32 v[36:37], v[40:41], v[36:37] op_sel_hi:[0,1]
	v_pk_mul_f32 v[34:35], v[40:41], v[38:39] op_sel_hi:[0,1]
	v_bfe_u32 v32, v37, 16, 1
	v_bfe_u32 v38, v36, 16, 1
	v_add3_u32 v36, v36, v38, s8
	v_add3_u32 v32, v37, v32, s8
	v_perm_b32 v36, v32, v36, s44
	v_bfe_u32 v32, v35, 16, 1
	v_bfe_u32 v37, v34, 16, 1
	v_add3_u32 v34, v34, v37, s8
	v_add3_u32 v32, v35, v32, s8
	v_perm_b32 v37, v32, v34, s44
	v_lshlrev_b32_e32 v32, 3, v48
	v_lshlrev_b32_e32 v34, 5, v50
	;; [unrolled: 1-line block ×3, first 2 shown]
	v_pk_mul_f32 v[28:29], v[40:41], v[28:29] op_sel_hi:[0,1]
	v_or3_b32 v32, v35, v34, v32
	v_bfe_u32 v35, v29, 16, 1
	v_bfe_u32 v38, v28, 16, 1
	v_pk_mul_f32 v[30:31], v[40:41], v[30:31] op_sel_hi:[0,1]
	v_add3_u32 v28, v28, v38, s8
	v_add3_u32 v29, v29, v35, s8
	v_perm_b32 v28, v29, v28, s44
	v_bfe_u32 v29, v31, 16, 1
	v_bfe_u32 v35, v30, 16, 1
	v_add3_u32 v30, v30, v35, s8
	v_add3_u32 v29, v31, v29, s8
	v_perm_b32 v29, v29, v30, s44
	v_pk_mul_f32 v[24:25], v[40:41], v[24:25] op_sel_hi:[0,1]
	ds_write2st64_b64 v32, v[36:37], v[28:29] offset1:1
	v_bfe_u32 v28, v25, 16, 1
	v_bfe_u32 v29, v24, 16, 1
	v_pk_mul_f32 v[22:23], v[40:41], v[22:23] op_sel_hi:[0,1]
	v_add3_u32 v24, v24, v29, s8
	v_add3_u32 v25, v25, v28, s8
	v_perm_b32 v24, v25, v24, s44
	v_bfe_u32 v25, v23, 16, 1
	v_bfe_u32 v28, v22, 16, 1
	v_add3_u32 v22, v22, v28, s8
	v_add3_u32 v23, v23, v25, s8
	v_pk_mul_f32 v[20:21], v[40:41], v[20:21] op_sel_hi:[0,1]
	v_perm_b32 v25, v23, v22, s44
	v_bfe_u32 v22, v21, 16, 1
	v_bfe_u32 v23, v20, 16, 1
	v_pk_mul_f32 v[18:19], v[40:41], v[18:19] op_sel_hi:[0,1]
	v_add3_u32 v20, v20, v23, s8
	v_add3_u32 v21, v21, v22, s8
	v_perm_b32 v20, v21, v20, s44
	v_bfe_u32 v21, v19, 16, 1
	v_bfe_u32 v22, v18, 16, 1
	v_add3_u32 v18, v18, v22, s8
	v_add3_u32 v19, v19, v21, s8
	v_perm_b32 v21, v19, v18, s44
	v_cmp_gt_u32_e32 vcc, 4, v0
	ds_write2st64_b64 v32, v[24:25], v[20:21] offset0:2 offset1:3
	s_and_saveexec_b64 s[4:5], vcc
	s_cbranch_execz .LBB1107_17
; %bb.16:
	v_or_b32_e32 v18, s15, v0
	v_mov_b32_e32 v19, 0
	v_mov_b32_e32 v20, s7
	v_mad_u64_u32 v[20:21], s[10:11], s2, v20, v[18:19]
	v_mov_b32_e32 v18, s14
	s_load_dwordx4 s[16:19], s[0:1], 0x58
	s_mul_i32 s3, s3, s7
	v_mad_u64_u32 v[18:19], s[10:11], v20, s6, v[18:19]
	v_add_u32_e32 v21, s3, v21
	v_mov_b32_e32 v20, v19
	v_mad_u64_u32 v[20:21], s[10:11], v21, s6, v[20:21]
	v_mov_b32_e32 v19, v20
	v_lshlrev_b64 v[18:19], 2, v[18:19]
	s_waitcnt lgkmcnt(0)
	v_lshl_add_u64 v[20:21], s[18:19], 0, v[18:19]
	v_lshl_add_u64 v[18:19], s[16:17], 0, v[18:19]
	global_store_dword v[20:21], v27, off
	global_store_dword v[18:19], v33, off
.LBB1107_17:
	s_or_b64 exec, exec, s[4:5]
	s_waitcnt vmcnt(3)
	v_cvt_pk_f32_fp8_e32 v[18:19], v14
	v_cvt_pk_f32_fp8_sdwa v[20:21], v14 src0_sel:WORD_1
	s_mov_b32 s4, 0x7060302
	v_lshl_or_b32 v14, v48, 9, v34
	s_waitcnt lgkmcnt(0)
	s_barrier
	v_perm_b32 v28, v19, v18, s4
	v_perm_b32 v29, v21, v20, s4
	v_cvt_pk_f32_fp8_e32 v[22:23], v15
	ds_read_b128 v[18:21], v14
	v_cvt_pk_f32_fp8_sdwa v[34:35], v15 src0_sel:WORD_1
	v_cvt_pk_f32_fp8_sdwa v[38:39], v16 src0_sel:WORD_1
	v_perm_b32 v36, v23, v22, s4
	ds_read_b128 v[22:25], v14 offset:16
	v_perm_b32 v37, v35, v34, s4
	s_waitcnt lgkmcnt(1)
	v_mfma_f32_16x16x16_bf16 v[28:31], v[28:29], v[18:19], 0
	v_cvt_pk_f32_fp8_e32 v[34:35], v16
	s_load_dword s10, s[42:43], 0x0
	s_mov_b32 s3, 0
	v_mfma_f32_16x16x16_bf16 v[18:21], v[36:37], v[20:21], v[28:31]
	s_waitcnt vmcnt(2)
	v_cvt_pk_f32_fp8_sdwa v[36:37], v10 src0_sel:WORD_1
	v_mov_b32_e32 v27, 0
	v_cvt_pk_f32_fp8_e32 v[28:29], v17
	v_perm_b32 v30, v35, v34, s4
	v_perm_b32 v31, v39, v38, s4
	v_cvt_pk_f32_fp8_sdwa v[16:17], v17 src0_sel:WORD_1
	v_perm_b32 v28, v29, v28, s4
	v_cvt_pk_f32_fp8_e32 v[34:35], v10
	v_perm_b32 v29, v17, v16, s4
	s_waitcnt lgkmcnt(0)
	v_mfma_f32_16x16x16_bf16 v[16:19], v[30:31], v[22:23], v[18:21]
	v_perm_b32 v34, v35, v34, s4
	v_perm_b32 v35, v37, v36, s4
	v_cvt_pk_f32_fp8_e32 v[30:31], v11
	ds_read_b128 v[20:23], v14 offset:2048
	v_cvt_pk_f32_fp8_sdwa v[10:11], v11 src0_sel:WORD_1
	v_mfma_f32_16x16x16_bf16 v[16:19], v[28:29], v[24:25], v[16:19]
	v_perm_b32 v24, v31, v30, s4
	ds_read_b128 v[28:31], v14 offset:2064
	v_perm_b32 v25, v11, v10, s4
	s_waitcnt lgkmcnt(1)
	v_mfma_f32_16x16x16_bf16 v[16:19], v[34:35], v[20:21], v[16:19]
	v_cvt_pk_f32_fp8_e32 v[10:11], v12
	v_cvt_pk_f32_fp8_sdwa v[20:21], v12 src0_sel:WORD_1
	v_perm_b32 v10, v11, v10, s4
	v_mfma_f32_16x16x16_bf16 v[16:19], v[24:25], v[22:23], v[16:19]
	v_cvt_pk_f32_fp8_e32 v[22:23], v13
	v_perm_b32 v11, v21, v20, s4
	v_cvt_pk_f32_fp8_sdwa v[12:13], v13 src0_sel:WORD_1
	s_waitcnt vmcnt(1)
	v_cvt_pk_f32_fp8_sdwa v[24:25], v6 src0_sel:WORD_1
	v_perm_b32 v20, v23, v22, s4
	v_cvt_pk_f32_fp8_e32 v[22:23], v6
	v_perm_b32 v21, v13, v12, s4
	s_waitcnt lgkmcnt(0)
	v_mfma_f32_16x16x16_bf16 v[10:13], v[10:11], v[28:29], v[16:19]
	v_perm_b32 v29, v25, v24, s4
	v_perm_b32 v28, v23, v22, s4
	v_cvt_pk_f32_fp8_e32 v[22:23], v7
	ds_read_b128 v[16:19], v14 offset:4096
	v_cvt_pk_f32_fp8_sdwa v[6:7], v7 src0_sel:WORD_1
	v_mfma_f32_16x16x16_bf16 v[10:13], v[20:21], v[30:31], v[10:13]
	v_perm_b32 v24, v23, v22, s4
	ds_read_b128 v[20:23], v14 offset:4112
	v_perm_b32 v25, v7, v6, s4
	s_waitcnt lgkmcnt(1)
	v_mfma_f32_16x16x16_bf16 v[10:13], v[28:29], v[16:17], v[10:13]
	v_cvt_pk_f32_fp8_e32 v[6:7], v8
	v_cvt_pk_f32_fp8_sdwa v[16:17], v8 src0_sel:WORD_1
	v_perm_b32 v6, v7, v6, s4
	v_mfma_f32_16x16x16_bf16 v[10:13], v[24:25], v[18:19], v[10:13]
	v_cvt_pk_f32_fp8_e32 v[18:19], v9
	v_perm_b32 v7, v17, v16, s4
	v_cvt_pk_f32_fp8_sdwa v[8:9], v9 src0_sel:WORD_1
	s_waitcnt vmcnt(0)
	v_cvt_pk_f32_fp8_sdwa v[24:25], v2 src0_sel:WORD_1
	v_perm_b32 v16, v19, v18, s4
	v_cvt_pk_f32_fp8_e32 v[18:19], v2
	v_perm_b32 v17, v9, v8, s4
	s_waitcnt lgkmcnt(0)
	v_mfma_f32_16x16x16_bf16 v[6:9], v[6:7], v[20:21], v[10:13]
	v_cvt_pk_f32_fp8_e32 v[20:21], v3
	v_perm_b32 v18, v19, v18, s4
	v_perm_b32 v19, v25, v24, s4
	ds_read_b128 v[10:13], v14 offset:6144
	v_cvt_pk_f32_fp8_sdwa v[2:3], v3 src0_sel:WORD_1
	v_mfma_f32_16x16x16_bf16 v[6:9], v[16:17], v[22:23], v[6:9]
	v_perm_b32 v20, v21, v20, s4
	ds_read_b128 v[14:17], v14 offset:6160
	v_perm_b32 v21, v3, v2, s4
	s_waitcnt lgkmcnt(1)
	v_mfma_f32_16x16x16_bf16 v[6:9], v[18:19], v[10:11], v[6:9]
	v_cvt_pk_f32_fp8_e32 v[2:3], v4
	v_cvt_pk_f32_fp8_sdwa v[10:11], v4 src0_sel:WORD_1
	s_waitcnt lgkmcnt(0)
	v_mfma_f32_16x16x16_bf16 v[6:9], v[20:21], v[12:13], v[6:9]
	v_perm_b32 v2, v3, v2, s4
	v_perm_b32 v3, v11, v10, s4
	v_cvt_pk_f32_fp8_e32 v[10:11], v5
	v_cvt_pk_f32_fp8_sdwa v[4:5], v5 src0_sel:WORD_1
	s_barrier
	v_perm_b32 v10, v11, v10, s4
	v_perm_b32 v11, v5, v4, s4
	v_mfma_f32_16x16x16_bf16 v[2:5], v[2:3], v[14:15], v[6:9]
	s_nop 0
	v_mfma_f32_16x16x16_bf16 v[2:5], v[10:11], v[16:17], v[2:5]
	s_nop 6
	v_pk_mul_f32 v[2:3], v[2:3], s[10:11] op_sel_hi:[1,0]
	v_pk_mul_f32 v[4:5], v[4:5], s[10:11] op_sel_hi:[1,0]
	v_bfe_u32 v6, v3, 16, 1
	v_bfe_u32 v7, v2, 16, 1
	v_add3_u32 v2, v2, v7, s8
	v_add3_u32 v3, v3, v6, s8
	v_perm_b32 v2, v3, v2, s4
	v_bfe_u32 v3, v5, 16, 1
	v_bfe_u32 v6, v4, 16, 1
	v_add3_u32 v4, v4, v6, s8
	v_add3_u32 v3, v5, v3, s8
	v_perm_b32 v3, v3, v4, s4
	ds_write_b64 v32, v[2:3]
	s_waitcnt lgkmcnt(0)
	s_barrier
	s_and_saveexec_b64 s[4:5], s[48:49]
	s_cbranch_execz .LBB1107_19
; %bb.18:
	s_load_dwordx2 s[0:1], s[0:1], 0x68
	s_lshl_b32 s6, s6, 6
	s_mul_i32 s2, s7, s2
	s_mul_hi_u32 s5, s2, s6
	s_mul_i32 s4, s2, s6
	v_lshlrev_b32_e32 v0, 10, v0
	s_lshl_b64 s[4:5], s[4:5], 1
	v_and_b32_e32 v0, 0x1800, v0
	v_and_b32_e32 v2, 16, v47
	s_waitcnt lgkmcnt(0)
	s_add_u32 s4, s0, s4
	v_or3_b32 v0, v0, v46, v2
	s_addc_u32 s5, s1, s5
	s_lshl_b32 s2, s14, 6
	ds_read_b128 v[2:5], v0
	s_lshl_b64 s[0:1], s[2:3], 1
	s_add_u32 s0, s4, s0
	s_addc_u32 s1, s5, s1
	v_mad_u64_u32 v[0:1], s[2:3], s6, v1, 0
	v_lshl_add_u64 v[0:1], v[0:1], 1, s[0:1]
	v_lshl_add_u64 v[0:1], v[0:1], 0, v[26:27]
	s_waitcnt lgkmcnt(0)
	global_store_dwordx4 v[0:1], v[2:5], off
.LBB1107_19:
	s_endpgm
	.section	.rodata,"a",@progbits
	.p2align	6, 0x0
	.amdhsa_kernel _Z39paged_attention_ll4mi_QKV_mfma16_kernelI14__hip_bfloat16hLN4vllm18Fp8KVCacheDataTypeE1EhLi16ELi64ELi256ELb1ELi4EEvPKT_PKT0_S8_ifPKiSA_SA_iPKfiiiPfSD_PS3_PT2_iSC_SC_
		.amdhsa_group_segment_fixed_size 8192
		.amdhsa_private_segment_fixed_size 0
		.amdhsa_kernarg_size 400
		.amdhsa_user_sgpr_count 2
		.amdhsa_user_sgpr_dispatch_ptr 0
		.amdhsa_user_sgpr_queue_ptr 0
		.amdhsa_user_sgpr_kernarg_segment_ptr 1
		.amdhsa_user_sgpr_dispatch_id 0
		.amdhsa_user_sgpr_kernarg_preload_length 0
		.amdhsa_user_sgpr_kernarg_preload_offset 0
		.amdhsa_user_sgpr_private_segment_size 0
		.amdhsa_uses_dynamic_stack 0
		.amdhsa_enable_private_segment 0
		.amdhsa_system_sgpr_workgroup_id_x 1
		.amdhsa_system_sgpr_workgroup_id_y 1
		.amdhsa_system_sgpr_workgroup_id_z 1
		.amdhsa_system_sgpr_workgroup_info 0
		.amdhsa_system_vgpr_workitem_id 0
		.amdhsa_next_free_vgpr 78
		.amdhsa_next_free_sgpr 50
		.amdhsa_accum_offset 80
		.amdhsa_reserve_vcc 1
		.amdhsa_float_round_mode_32 0
		.amdhsa_float_round_mode_16_64 0
		.amdhsa_float_denorm_mode_32 3
		.amdhsa_float_denorm_mode_16_64 3
		.amdhsa_dx10_clamp 1
		.amdhsa_ieee_mode 1
		.amdhsa_fp16_overflow 0
		.amdhsa_tg_split 0
		.amdhsa_exception_fp_ieee_invalid_op 0
		.amdhsa_exception_fp_denorm_src 0
		.amdhsa_exception_fp_ieee_div_zero 0
		.amdhsa_exception_fp_ieee_overflow 0
		.amdhsa_exception_fp_ieee_underflow 0
		.amdhsa_exception_fp_ieee_inexact 0
		.amdhsa_exception_int_div_zero 0
	.end_amdhsa_kernel
	.section	.text._Z39paged_attention_ll4mi_QKV_mfma16_kernelI14__hip_bfloat16hLN4vllm18Fp8KVCacheDataTypeE1EhLi16ELi64ELi256ELb1ELi4EEvPKT_PKT0_S8_ifPKiSA_SA_iPKfiiiPfSD_PS3_PT2_iSC_SC_,"axG",@progbits,_Z39paged_attention_ll4mi_QKV_mfma16_kernelI14__hip_bfloat16hLN4vllm18Fp8KVCacheDataTypeE1EhLi16ELi64ELi256ELb1ELi4EEvPKT_PKT0_S8_ifPKiSA_SA_iPKfiiiPfSD_PS3_PT2_iSC_SC_,comdat
.Lfunc_end1107:
	.size	_Z39paged_attention_ll4mi_QKV_mfma16_kernelI14__hip_bfloat16hLN4vllm18Fp8KVCacheDataTypeE1EhLi16ELi64ELi256ELb1ELi4EEvPKT_PKT0_S8_ifPKiSA_SA_iPKfiiiPfSD_PS3_PT2_iSC_SC_, .Lfunc_end1107-_Z39paged_attention_ll4mi_QKV_mfma16_kernelI14__hip_bfloat16hLN4vllm18Fp8KVCacheDataTypeE1EhLi16ELi64ELi256ELb1ELi4EEvPKT_PKT0_S8_ifPKiSA_SA_iPKfiiiPfSD_PS3_PT2_iSC_SC_
                                        ; -- End function
	.section	.AMDGPU.csdata,"",@progbits
; Kernel info:
; codeLenInByte = 5008
; NumSgprs: 56
; NumVgprs: 78
; NumAgprs: 0
; TotalNumVgprs: 78
; ScratchSize: 0
; MemoryBound: 0
; FloatMode: 240
; IeeeMode: 1
; LDSByteSize: 8192 bytes/workgroup (compile time only)
; SGPRBlocks: 6
; VGPRBlocks: 9
; NumSGPRsForWavesPerEU: 56
; NumVGPRsForWavesPerEU: 78
; AccumOffset: 80
; Occupancy: 6
; WaveLimiterHint : 1
; COMPUTE_PGM_RSRC2:SCRATCH_EN: 0
; COMPUTE_PGM_RSRC2:USER_SGPR: 2
; COMPUTE_PGM_RSRC2:TRAP_HANDLER: 0
; COMPUTE_PGM_RSRC2:TGID_X_EN: 1
; COMPUTE_PGM_RSRC2:TGID_Y_EN: 1
; COMPUTE_PGM_RSRC2:TGID_Z_EN: 1
; COMPUTE_PGM_RSRC2:TIDIG_COMP_CNT: 0
; COMPUTE_PGM_RSRC3_GFX90A:ACCUM_OFFSET: 19
; COMPUTE_PGM_RSRC3_GFX90A:TG_SPLIT: 0
	.section	.text._Z38paged_attention_ll4mi_QKV_mfma4_kernelI14__hip_bfloat16hLN4vllm18Fp8KVCacheDataTypeE1EhLi16ELi64ELi256ELb0ELi1EEvPKT_PKT0_S8_ifPKiSA_SA_iPKfiiiPfSD_PS3_PT2_iSC_SC_,"axG",@progbits,_Z38paged_attention_ll4mi_QKV_mfma4_kernelI14__hip_bfloat16hLN4vllm18Fp8KVCacheDataTypeE1EhLi16ELi64ELi256ELb0ELi1EEvPKT_PKT0_S8_ifPKiSA_SA_iPKfiiiPfSD_PS3_PT2_iSC_SC_,comdat
	.protected	_Z38paged_attention_ll4mi_QKV_mfma4_kernelI14__hip_bfloat16hLN4vllm18Fp8KVCacheDataTypeE1EhLi16ELi64ELi256ELb0ELi1EEvPKT_PKT0_S8_ifPKiSA_SA_iPKfiiiPfSD_PS3_PT2_iSC_SC_ ; -- Begin function _Z38paged_attention_ll4mi_QKV_mfma4_kernelI14__hip_bfloat16hLN4vllm18Fp8KVCacheDataTypeE1EhLi16ELi64ELi256ELb0ELi1EEvPKT_PKT0_S8_ifPKiSA_SA_iPKfiiiPfSD_PS3_PT2_iSC_SC_
	.globl	_Z38paged_attention_ll4mi_QKV_mfma4_kernelI14__hip_bfloat16hLN4vllm18Fp8KVCacheDataTypeE1EhLi16ELi64ELi256ELb0ELi1EEvPKT_PKT0_S8_ifPKiSA_SA_iPKfiiiPfSD_PS3_PT2_iSC_SC_
	.p2align	8
	.type	_Z38paged_attention_ll4mi_QKV_mfma4_kernelI14__hip_bfloat16hLN4vllm18Fp8KVCacheDataTypeE1EhLi16ELi64ELi256ELb0ELi1EEvPKT_PKT0_S8_ifPKiSA_SA_iPKfiiiPfSD_PS3_PT2_iSC_SC_,@function
_Z38paged_attention_ll4mi_QKV_mfma4_kernelI14__hip_bfloat16hLN4vllm18Fp8KVCacheDataTypeE1EhLi16ELi64ELi256ELb0ELi1EEvPKT_PKT0_S8_ifPKiSA_SA_iPKfiiiPfSD_PS3_PT2_iSC_SC_: ; @_Z38paged_attention_ll4mi_QKV_mfma4_kernelI14__hip_bfloat16hLN4vllm18Fp8KVCacheDataTypeE1EhLi16ELi64ELi256ELb0ELi1EEvPKT_PKT0_S8_ifPKiSA_SA_iPKfiiiPfSD_PS3_PT2_iSC_SC_
; %bb.0:
	s_load_dwordx2 s[20:21], s[0:1], 0x30
	s_mov_b32 s24, s3
	s_mov_b64 s[6:7], 0
	s_waitcnt lgkmcnt(0)
	s_cmp_lg_u64 s[20:21], 0
	s_cselect_b64 s[22:23], -1, 0
	s_and_b64 vcc, exec, s[22:23]
	s_cbranch_vccz .LBB1108_10
; %bb.1:
	s_add_i32 s8, s2, 1
	s_mov_b32 s9, 0
	s_lshl_b64 s[10:11], s[8:9], 2
	s_add_u32 s10, s20, s10
	s_mov_b32 s3, s9
	s_addc_u32 s11, s21, s11
	s_lshl_b64 s[8:9], s[2:3], 2
	s_add_u32 s8, s20, s8
	s_addc_u32 s9, s21, s9
	s_load_dword s5, s[10:11], 0x0
	s_load_dword s12, s[8:9], 0x0
	s_waitcnt lgkmcnt(0)
	s_sub_i32 s5, s5, s12
	s_cmp_eq_u32 s5, 1
	s_cselect_b64 s[8:9], -1, 0
	s_andn2_b64 vcc, exec, s[6:7]
	s_cbranch_vccnz .LBB1108_3
.LBB1108_2:
	s_mov_b32 s3, 0
	s_mov_b64 s[8:9], -1
.LBB1108_3:
	s_andn2_b64 vcc, exec, s[8:9]
	s_cbranch_vccnz .LBB1108_23
; %bb.4:
	s_load_dword s5, s[0:1], 0x9c
	s_load_dwordx2 s[6:7], s[0:1], 0x28
	s_add_u32 s28, s0, 0x90
	s_addc_u32 s29, s1, 0
	s_lshl_b64 s[34:35], s[2:3], 2
	s_waitcnt lgkmcnt(0)
	s_and_b32 s5, s5, 0xffff
	s_add_u32 s6, s6, s34
	s_addc_u32 s7, s7, s35
	s_load_dword s3, s[6:7], 0x0
	s_mul_i32 s10, s24, s5
	s_waitcnt lgkmcnt(0)
	s_cmp_ge_i32 s10, s3
	s_cbranch_scc1 .LBB1108_23
; %bb.5:
	v_and_b32_e32 v2, 0xc0, v0
	v_add_u32_e32 v4, s10, v2
	v_lshrrev_b32_e32 v1, 6, v0
	v_cmp_gt_i32_e64 s[6:7], s3, v4
	v_cmp_le_i32_e32 vcc, s3, v4
                                        ; implicit-def: $sgpr25
                                        ; implicit-def: $sgpr11
	s_and_saveexec_b64 s[8:9], vcc
	s_xor_b64 s[8:9], exec, s[8:9]
	s_cbranch_execz .LBB1108_7
; %bb.6:
	v_mul_u32_u24_e32 v2, 20, v1
	v_or_b32_e32 v2, 0xa00, v2
	v_mov_b32_e32 v3, 0xa50
	v_mov_b32_e32 v4, 0xff7fffff
	v_mad_u32_u24 v3, v1, 20, v3
	ds_write2_b32 v2, v4, v4 offset1:1
	v_mov_b32_e32 v2, 0
	ds_write2_b32 v3, v2, v2 offset1:1
	v_mov_b32_e32 v3, 0xa08
	s_mov_b32 s11, 0xff7fffff
	s_mov_b32 s25, 0
	v_mad_u32_u24 v3, v1, 20, v3
	v_mov_b32_e32 v5, 0xa58
	v_mad_u32_u24 v5, v1, 20, v5
	ds_write2_b32 v3, v4, v4 offset1:1
	ds_write2_b32 v5, v2, v2 offset1:1
                                        ; implicit-def: $vgpr4
.LBB1108_7:
	s_or_saveexec_b64 s[30:31], s[8:9]
	s_load_dwordx2 s[26:27], s[0:1], 0x68
	s_load_dwordx4 s[16:19], s[0:1], 0x58
	s_load_dword s5, s[28:29], 0x4
	s_load_dwordx4 s[12:15], s[0:1], 0x80
	v_and_b32_e32 v24, 63, v0
	v_and_b32_e32 v23, 3, v0
	v_mov_b32_e32 v21, s25
	v_mov_b32_e32 v25, s11
	;; [unrolled: 1-line block ×5, first 2 shown]
                                        ; implicit-def: $vgpr6_vgpr7
                                        ; implicit-def: $vgpr2_vgpr3
                                        ; implicit-def: $vgpr14_vgpr15
                                        ; implicit-def: $vgpr10_vgpr11
	s_xor_b64 exec, exec, s[30:31]
	s_cbranch_execz .LBB1108_17
; %bb.8:
	s_load_dwordx2 s[8:9], s[0:1], 0x20
	s_load_dword s11, s[0:1], 0x38
	s_add_i32 s25, s3, 15
	s_ashr_i32 s33, s25, 31
	s_lshr_b32 s33, s33, 28
	v_add_u32_e32 v22, s10, v0
	s_add_i32 s25, s25, s33
	v_ashrrev_i32_e32 v2, 31, v22
	s_ashr_i32 s25, s25, 4
	v_lshrrev_b32_e32 v2, 28, v2
	s_add_i32 s25, s25, -1
	s_waitcnt lgkmcnt(0)
	s_mul_i32 s36, s2, s11
	s_mov_b32 s37, 0
	v_add_u32_e32 v2, v22, v2
	s_lshl_b64 s[36:37], s[36:37], 2
	v_ashrrev_i32_e32 v2, 4, v2
	v_mov_b32_e32 v3, s25
	v_cmp_gt_i32_e32 vcc, s3, v22
	s_add_u32 s8, s8, s36
	s_addc_u32 s9, s9, s37
	v_cndmask_b32_e32 v2, v3, v2, vcc
	v_ashrrev_i32_e32 v3, 31, v2
	v_lshl_add_u64 v[8:9], v[2:3], 2, s[8:9]
	v_ashrrev_i32_e32 v2, 31, v4
	v_lshrrev_b32_e32 v2, 28, v2
	v_add_u32_e32 v2, v4, v2
	v_ashrrev_i32_e32 v4, 4, v2
	v_min_i32_e32 v2, s25, v4
	v_ashrrev_i32_e32 v3, 31, v2
	v_lshl_add_u64 v[10:11], v[2:3], 2, s[8:9]
	v_add_u32_e32 v2, 1, v4
	v_min_i32_e32 v2, s25, v2
	v_ashrrev_i32_e32 v3, 31, v2
	v_lshl_add_u64 v[12:13], v[2:3], 2, s[8:9]
	v_add_u32_e32 v2, 2, v4
	;; [unrolled: 4-line block ×3, first 2 shown]
	v_min_i32_e32 v2, s25, v2
	v_ashrrev_i32_e32 v3, 31, v2
	v_lshl_add_u64 v[16:17], v[2:3], 2, s[8:9]
	global_load_dword v2, v[8:9], off
	global_load_dword v7, v[10:11], off
	;; [unrolled: 1-line block ×5, first 2 shown]
	s_load_dwordx4 s[8:11], s[0:1], 0x8
	s_andn2_b64 vcc, exec, s[22:23]
	s_cbranch_vccnz .LBB1108_11
; %bb.9:
	s_add_u32 s20, s20, s34
	s_addc_u32 s21, s21, s35
	s_load_dword s25, s[20:21], 0x0
	s_branch .LBB1108_12
.LBB1108_10:
	s_mov_b64 s[8:9], 0
	s_branch .LBB1108_2
.LBB1108_11:
	s_mov_b32 s25, s2
.LBB1108_12:
	s_load_dwordx4 s[20:23], s[0:1], 0x48
	v_cmp_eq_u32_e32 vcc, 0, v23
	s_mov_b32 s37, 0
	v_mov_b32_e32 v25, 0
	v_mov_b32_e32 v3, 0
	;; [unrolled: 1-line block ×6, first 2 shown]
	s_and_saveexec_b64 s[34:35], vcc
	s_cbranch_execz .LBB1108_14
; %bb.13:
	s_load_dwordx2 s[38:39], s[0:1], 0x0
	s_waitcnt lgkmcnt(0)
	s_ashr_i32 s23, s20, 31
	s_mul_hi_u32 s33, s25, s20
	s_mul_i32 s23, s25, s23
	s_add_i32 s41, s33, s23
	s_mul_i32 s40, s25, s20
	s_lshl_b64 s[40:41], s[40:41], 1
	s_add_u32 s20, s38, s40
	s_addc_u32 s23, s39, s41
	s_lshl_b32 s36, s4, 6
	s_lshl_b64 s[36:37], s[36:37], 1
	s_add_u32 s36, s20, s36
	s_addc_u32 s37, s23, s37
	v_lshlrev_b32_e32 v8, 2, v24
	global_load_dwordx4 v[10:13], v8, s[36:37]
	v_mov_b32_e32 v25, 1.0
.LBB1108_14:
	s_or_b64 exec, exec, s[34:35]
	s_waitcnt lgkmcnt(0)
	s_mul_i32 s20, s4, s22
	s_add_u32 s8, s20, s8
	s_addc_u32 s9, 0, s9
	v_mov_b64_e32 v[8:9], s[8:9]
	s_waitcnt vmcnt(4)
	v_mad_i64_i32 v[8:9], s[8:9], v2, s21, v[8:9]
	v_lshlrev_b32_e32 v2, 4, v0
	v_and_b32_e32 v2, 0xf0, v2
	v_lshl_add_u64 v[8:9], v[8:9], 0, v[2:3]
	global_load_dwordx4 v[26:29], v[8:9], off
	global_load_dwordx4 v[30:33], v[8:9], off offset:256
	global_load_dwordx4 v[18:21], v[8:9], off offset:512
	;; [unrolled: 1-line block ×3, first 2 shown]
	s_waitcnt vmcnt(7)
	v_mul_hi_i32 v2, v7, s21
	s_load_dword s9, s[0:1], 0x1c
	s_add_u32 s0, s10, s20
	s_waitcnt vmcnt(6)
	v_mul_hi_i32 v8, v6, s21
	s_waitcnt vmcnt(4)
	v_mul_hi_i32 v34, v4, s21
	v_ashrrev_i32_e32 v36, 31, v2
	s_addc_u32 s1, s11, 0
	v_lshlrev_b32_e32 v2, 4, v24
	v_mul_hi_i32 v9, v5, s21
	v_ashrrev_i32_e32 v37, 31, v8
	v_ashrrev_i32_e32 v39, 31, v34
	v_lshl_add_u64 v[34:35], s[0:1], 0, v[2:3]
	v_lshrrev_b32_e32 v2, 29, v36
	v_ashrrev_i32_e32 v38, 31, v9
	v_mad_i64_i32 v[8:9], s[0:1], v7, s21, v[2:3]
	v_lshrrev_b32_e32 v2, 29, v37
	v_and_b32_e32 v8, -8, v8
	v_mad_i64_i32 v[6:7], s[0:1], v6, s21, v[2:3]
	v_lshrrev_b32_e32 v2, 29, v38
	v_lshl_add_u64 v[36:37], v[34:35], 0, v[8:9]
	v_and_b32_e32 v6, -8, v6
	v_mad_i64_i32 v[8:9], s[0:1], v5, s21, v[2:3]
	v_lshrrev_b32_e32 v2, 29, v39
	v_lshl_add_u64 v[38:39], v[34:35], 0, v[6:7]
	v_and_b32_e32 v8, -8, v8
	v_mad_i64_i32 v[40:41], s[0:1], v4, s21, v[2:3]
	v_lshl_add_u64 v[42:43], v[34:35], 0, v[8:9]
	global_load_dwordx4 v[6:9], v[36:37], off
	global_load_dwordx4 v[2:5], v[38:39], off
	v_and_b32_e32 v40, -8, v40
	v_lshl_add_u64 v[34:35], v[34:35], 0, v[40:41]
	s_mov_b32 s8, 0x7060302
	s_load_dword s0, s[12:13], 0x0
	v_cmp_eq_u32_e32 vcc, 1, v23
	s_waitcnt vmcnt(5)
	v_cvt_pk_f32_fp8_e32 v[36:37], v26
	v_cvt_pk_f32_fp8_sdwa v[38:39], v26 src0_sel:WORD_1
	v_cvt_pk_f32_fp8_e32 v[40:41], v27
	v_cvt_pk_f32_fp8_sdwa v[26:27], v27 src0_sel:WORD_1
	;; [unrolled: 2-line block ×3, first 2 shown]
	v_perm_b32 v36, v37, v36, s8
	v_perm_b32 v37, v39, v38, s8
	v_cvt_pk_f32_fp8_e32 v[48:49], v29
	v_cvt_pk_f32_fp8_sdwa v[28:29], v29 src0_sel:WORD_1
	v_mfma_f32_4x4x4_16b_bf16 a[0:3], v[10:11], v[36:37], 0 cbsz:4
	v_perm_b32 v40, v41, v40, s8
	v_perm_b32 v41, v27, v26, s8
	s_waitcnt vmcnt(4)
	v_cvt_pk_f32_fp8_e32 v[50:51], v30
	v_cvt_pk_f32_fp8_sdwa v[52:53], v30 src0_sel:WORD_1
	v_mfma_f32_4x4x4_16b_bf16 a[0:3], v[12:13], v[40:41], a[0:3] cbsz:4
	v_perm_b32 v44, v45, v44, s8
	v_perm_b32 v45, v47, v46, s8
	v_cvt_pk_f32_fp8_e32 v[54:55], v31
	v_cvt_pk_f32_fp8_sdwa v[30:31], v31 src0_sel:WORD_1
	v_mfma_f32_4x4x4_16b_bf16 a[0:3], v[10:11], v[44:45], a[0:3] cbsz:4 abid:1
	v_perm_b32 v46, v49, v48, s8
	v_perm_b32 v47, v29, v28, s8
	v_cvt_pk_f32_fp8_e32 v[56:57], v32
	v_cvt_pk_f32_fp8_sdwa v[58:59], v32 src0_sel:WORD_1
	v_mfma_f32_4x4x4_16b_bf16 a[0:3], v[12:13], v[46:47], a[0:3] cbsz:4 abid:1
	v_perm_b32 v28, v51, v50, s8
	v_perm_b32 v29, v53, v52, s8
	v_cvt_pk_f32_fp8_e32 v[60:61], v33
	v_cvt_pk_f32_fp8_sdwa v[32:33], v33 src0_sel:WORD_1
	v_mfma_f32_4x4x4_16b_bf16 a[0:3], v[10:11], v[28:29], a[0:3] cbsz:4 abid:2
	v_perm_b32 v48, v55, v54, s8
	v_perm_b32 v49, v31, v30, s8
	s_waitcnt vmcnt(3)
	v_cvt_pk_f32_fp8_e32 v[62:63], v18
	v_cvt_pk_f32_fp8_sdwa v[64:65], v18 src0_sel:WORD_1
	v_mfma_f32_4x4x4_16b_bf16 a[0:3], v[12:13], v[48:49], a[0:3] cbsz:4 abid:2
	v_perm_b32 v30, v57, v56, s8
	v_perm_b32 v31, v59, v58, s8
	v_cvt_pk_f32_fp8_e32 v[66:67], v19
	v_cvt_pk_f32_fp8_sdwa v[18:19], v19 src0_sel:WORD_1
	v_mfma_f32_4x4x4_16b_bf16 a[0:3], v[10:11], v[30:31], a[0:3] cbsz:4 abid:3
	v_perm_b32 v36, v61, v60, s8
	v_perm_b32 v37, v33, v32, s8
	;; [unrolled: 5-line block ×4, first 2 shown]
	s_waitcnt vmcnt(2)
	v_cvt_pk_f32_fp8_e32 v[74:75], v14
	v_cvt_pk_f32_fp8_sdwa v[38:39], v14 src0_sel:WORD_1
	v_mfma_f32_4x4x4_16b_bf16 a[0:3], v[12:13], v[28:29], a[0:3] cbsz:4 abid:4
	v_perm_b32 v18, v69, v68, s8
	v_perm_b32 v19, v71, v70, s8
	v_cvt_pk_f32_fp8_e32 v[26:27], v15
	v_cvt_pk_f32_fp8_sdwa v[14:15], v15 src0_sel:WORD_1
	v_mfma_f32_4x4x4_16b_bf16 a[0:3], v[10:11], v[18:19], a[0:3] cbsz:4 abid:5
	v_perm_b32 v30, v73, v72, s8
	v_perm_b32 v31, v21, v20, s8
	;; [unrolled: 1-line block ×4, first 2 shown]
	v_mfma_f32_4x4x4_16b_bf16 a[0:3], v[12:13], v[30:31], a[0:3] cbsz:4 abid:5
	v_perm_b32 v21, v15, v14, s8
	v_cvt_pk_f32_fp8_e32 v[14:15], v16
	v_mfma_f32_4x4x4_16b_bf16 a[0:3], v[10:11], v[18:19], a[0:3] cbsz:4 abid:6
	v_cvt_pk_f32_fp8_sdwa v[18:19], v16 src0_sel:WORD_1
	v_perm_b32 v20, v27, v26, s8
	v_perm_b32 v14, v15, v14, s8
	;; [unrolled: 1-line block ×3, first 2 shown]
	v_mfma_f32_4x4x4_16b_bf16 a[0:3], v[12:13], v[20:21], a[0:3] cbsz:4 abid:6
	v_cvt_pk_f32_fp8_e32 v[20:21], v17
	v_cvt_pk_f32_fp8_sdwa v[16:17], v17 src0_sel:WORD_1
	v_mfma_f32_4x4x4_16b_bf16 a[0:3], v[10:11], v[14:15], a[0:3] cbsz:4 abid:7
	s_waitcnt lgkmcnt(0)
	v_mov_b32_e32 v10, s9
	v_perm_b32 v18, v21, v20, s8
	v_perm_b32 v19, v17, v16, s8
	s_nop 1
	v_mfma_f32_4x4x4_16b_bf16 a[0:3], v[12:13], v[18:19], a[0:3] cbsz:4 abid:7
	v_mul_f32_e32 v18, s0, v10
	s_nop 3
	v_accvgpr_read_b32 v11, a1
	v_accvgpr_read_b32 v10, a0
	v_pk_mul_f32 v[20:21], v[10:11], v[18:19] op_sel_hi:[1,0]
	global_load_dwordx4 v[14:17], v[42:43], off
	global_load_dwordx4 v[10:13], v[34:35], off
	v_accvgpr_read_b32 v27, a3
	v_accvgpr_read_b32 v26, a2
	v_pk_mul_f32 v[18:19], v[26:27], v[18:19] op_sel_hi:[1,0]
	v_mfma_f32_4x4x1_16b_f32 a[0:3], v20, v25, 0
	v_cndmask_b32_e64 v20, 0, 1.0, vcc
	v_cmp_eq_u32_e32 vcc, 2, v23
	v_mov_b32_e32 v25, 0xff7fffff
	v_mfma_f32_4x4x1_16b_f32 a[0:3], v21, v20, a[0:3]
	v_cndmask_b32_e64 v20, 0, 1.0, vcc
	v_cmp_eq_u32_e32 vcc, 3, v23
	s_nop 0
	v_mfma_f32_4x4x1_16b_f32 a[0:3], v18, v20, a[0:3]
	v_cndmask_b32_e64 v18, 0, 1.0, vcc
	s_nop 1
	v_mfma_f32_4x4x1_16b_f32 a[0:3], v19, v18, a[0:3]
	v_and_b32_e32 v18, -4, v22
	v_cmp_gt_i32_e32 vcc, s3, v18
	v_lshlrev_b32_e32 v19, 2, v0
	v_and_or_b32 v19, v19, 48, v23
	v_accvgpr_read_b32 v20, a0
	v_max_f32_e32 v21, v20, v20
	v_max_f32_e32 v21, 0xff7fffff, v21
	v_accvgpr_read_b32 v26, a1
	v_cndmask_b32_e32 v21, v25, v21, vcc
	v_or_b32_e32 v25, 1, v18
	v_max_f32_e32 v27, v26, v26
	v_max_f32_e32 v27, v21, v27
	v_cmp_gt_i32_e64 s[0:1], s3, v25
	v_or_b32_e32 v18, 2, v18
	v_cmp_gt_i32_e64 s[8:9], s3, v18
	v_cndmask_b32_e64 v21, v21, v27, s[0:1]
	v_accvgpr_read_b32 v27, a2
	v_max_f32_e32 v25, v27, v27
	v_max_f32_e32 v25, v21, v25
	v_cndmask_b32_e64 v18, v21, v25, s[8:9]
	v_or_b32_e32 v21, 3, v22
	v_accvgpr_read_b32 v22, a3
	v_max_f32_e32 v25, v22, v22
	v_max_f32_e32 v25, v18, v25
	v_cmp_gt_i32_e64 s[10:11], s3, v21
	v_lshlrev_b32_e32 v28, 2, v19
	s_nop 0
	v_cndmask_b32_e64 v18, v18, v25, s[10:11]
	;;#ASMSTART
	v_nop
 v_nop
 v_max_f32_dpp v18, v18, v18 row_ror:4
	;;#ASMEND
	s_nop 0
	;;#ASMSTART
	v_nop
 v_nop
 v_max_f32_dpp v18, v18, v18 row_ror:8
	;;#ASMEND
	ds_bpermute_b32 v18, v28, v18
	s_waitcnt lgkmcnt(0)
	;;#ASMSTART
	v_nop
 v_nop
 v_max_f32_dpp v18, v18, v18 row_ror:4
	;;#ASMEND
	s_nop 0
	;;#ASMSTART
	v_nop
 v_nop
 v_max_f32_dpp v25, v18, v18 row_ror:8
	;;#ASMEND
	s_nop 0
	v_sub_f32_e32 v18, v20, v25
	v_mul_f32_e32 v18, 0x3fb8aa3b, v18
	v_sub_f32_e32 v19, v26, v25
	v_exp_f32_e32 v18, v18
	v_mul_f32_e32 v19, 0x3fb8aa3b, v19
	v_sub_f32_e32 v21, v27, v25
	v_exp_f32_e32 v19, v19
	;; [unrolled: 3-line block ×3, first 2 shown]
	v_mul_f32_e32 v22, 0x3fb8aa3b, v22
	v_exp_f32_e32 v22, v22
	v_cndmask_b32_e32 v18, 0, v18, vcc
	v_add_f32_e32 v20, 0, v18
	v_cndmask_b32_e64 v19, 0, v19, s[0:1]
	v_add_f32_e32 v26, v20, v19
	v_cndmask_b32_e64 v20, 0, v21, s[8:9]
	;; [unrolled: 2-line block ×3, first 2 shown]
	v_add_f32_e32 v22, v26, v21
	;;#ASMSTART
	v_nop
 v_nop
 v_add_f32_dpp v22, v22, v22 row_ror:4
	;;#ASMEND
	v_cmp_gt_u32_e32 vcc, 4, v24
	;;#ASMSTART
	v_nop
 v_nop
 v_add_f32_dpp v22, v22, v22 row_ror:8
	;;#ASMEND
	ds_bpermute_b32 v22, v28, v22
	s_waitcnt lgkmcnt(0)
	;;#ASMSTART
	v_nop
 v_nop
 v_add_f32_dpp v22, v22, v22 row_ror:4
	;;#ASMEND
	s_nop 0
	;;#ASMSTART
	v_nop
 v_nop
 v_add_f32_dpp v22, v22, v22 row_ror:8
	;;#ASMEND
	s_and_saveexec_b64 s[0:1], vcc
	s_cbranch_execz .LBB1108_16
; %bb.15:
	v_mul_u32_u24_e32 v26, 20, v1
	v_lshl_add_u32 v26, v23, 2, v26
	v_add_u32_e32 v26, 0x800, v26
	ds_write2_b32 v26, v25, v22 offset0:128 offset1:148
.LBB1108_16:
	s_or_b64 exec, exec, s[0:1]
.LBB1108_17:
	s_or_b64 exec, exec, s[30:31]
	s_waitcnt lgkmcnt(0)
	s_barrier
	s_load_dword s0, s[28:29], 0x8
	v_lshlrev_b32_e32 v22, 2, v23
	v_add_u32_e32 v27, 0x800, v22
	ds_read2_b32 v[28:29], v27 offset0:128 offset1:133
	ds_read2_b32 v[30:31], v27 offset0:138 offset1:143
	s_mul_i32 s1, s5, s2
	s_waitcnt lgkmcnt(0)
	s_mul_i32 s0, s1, s0
	s_mov_b32 s1, 0xff7fffff
	v_max3_f32 v22, v28, s1, v29
	v_max3_f32 v26, v22, v30, v31
	v_sub_f32_e32 v22, v28, v26
	v_sub_f32_e32 v28, v29, v26
	v_mul_f32_e32 v28, 0x3fb8aa3b, v28
	ds_read2_b32 v[32:33], v27 offset0:148 offset1:153
	v_mul_f32_e32 v22, 0x3fb8aa3b, v22
	v_exp_f32_e32 v35, v28
	ds_read2_b32 v[28:29], v27 offset0:158 offset1:163
	v_sub_f32_e32 v27, v30, v26
	v_exp_f32_e32 v34, v22
	v_mul_f32_e32 v27, 0x3fb8aa3b, v27
	v_exp_f32_e32 v30, v27
	v_sub_f32_e32 v27, v31, v26
	v_mul_f32_e32 v27, 0x3fb8aa3b, v27
	v_exp_f32_e32 v31, v27
	s_waitcnt lgkmcnt(1)
	v_fma_f32 v27, v34, v32, 0
	v_fmac_f32_e32 v27, v35, v33
	s_waitcnt lgkmcnt(0)
	v_fmac_f32_e32 v27, v30, v28
	v_mov_b32_e32 v22, 0
	v_fmac_f32_e32 v27, v31, v29
	s_mov_b32 s1, 0
	v_cmp_eq_u32_e32 vcc, 0, v23
	s_and_saveexec_b64 s[2:3], vcc
	s_cbranch_execz .LBB1108_19
; %bb.18:
	s_lshl_b64 s[8:9], s[0:1], 2
	s_add_u32 s12, s16, s8
	s_mov_b32 s25, s1
	s_addc_u32 s13, s17, s9
	s_lshl_b64 s[10:11], s[24:25], 2
	s_add_u32 s12, s12, s10
	s_addc_u32 s13, s13, s11
	s_add_u32 s8, s18, s8
	s_addc_u32 s9, s19, s9
	;; [unrolled: 2-line block ×3, first 2 shown]
	s_mul_i32 s8, s5, s4
	s_mov_b32 s9, s1
	s_lshl_b64 s[8:9], s[8:9], 2
	s_add_u32 s10, s12, s8
	s_addc_u32 s11, s13, s9
	s_add_u32 s8, s16, s8
	s_addc_u32 s9, s17, s9
	global_store_dword v22, v26, s[8:9]
	global_store_dword v22, v27, s[10:11]
.LBB1108_19:
	s_or_b64 exec, exec, s[2:3]
	v_mov_b32_e32 v23, 0
	s_and_saveexec_b64 s[2:3], s[6:7]
	s_cbranch_execz .LBB1108_21
; %bb.20:
	v_add_f32_e32 v22, 0x358637bd, v27
	v_div_scale_f32 v23, s[6:7], v22, v22, 1.0
	v_rcp_f32_e32 v27, v23
	v_div_scale_f32 v28, vcc, 1.0, v22, 1.0
	v_sub_f32_e32 v25, v25, v26
	v_fma_f32 v29, -v23, v27, 1.0
	v_fmac_f32_e32 v27, v29, v27
	v_mul_f32_e32 v29, v28, v27
	v_fma_f32 v30, -v23, v29, v28
	v_mul_f32_e32 v25, 0x3fb8aa3b, v25
	v_fmac_f32_e32 v29, v30, v27
	v_exp_f32_e32 v25, v25
	v_fma_f32 v23, -v23, v29, v28
	v_div_fmas_f32 v23, v23, v27, v29
	v_div_fixup_f32 v22, v23, v22, 1.0
	v_mul_f32_e32 v22, v25, v22
	v_pk_mul_f32 v[18:19], v[18:19], v[22:23] op_sel_hi:[1,0]
	v_pk_mul_f32 v[20:21], v[20:21], v[22:23] op_sel_hi:[1,0]
	v_bfe_u32 v22, v19, 16, 1
	v_bfe_u32 v23, v18, 16, 1
	s_movk_i32 s1, 0x7fff
	v_add3_u32 v18, v18, v23, s1
	v_add3_u32 v19, v19, v22, s1
	s_mov_b32 s7, 0x7060302
	v_perm_b32 v18, v19, v18, s7
	v_bfe_u32 v19, v21, 16, 1
	v_bfe_u32 v22, v20, 16, 1
	v_add3_u32 v22, v20, v22, s1
	v_add3_u32 v19, v21, v19, s1
	s_waitcnt vmcnt(3)
	v_cvt_pk_f32_fp8_e32 v[20:21], v6
	v_perm_b32 v19, v19, v22, s7
	v_cvt_pk_f32_fp8_sdwa v[22:23], v6 src0_sel:WORD_1
	v_cvt_pk_f32_fp8_e32 v[26:27], v7
	v_perm_b32 v6, v21, v20, s7
	v_cvt_pk_f32_fp8_sdwa v[20:21], v7 src0_sel:WORD_1
	v_perm_b32 v7, v23, v22, s7
	v_perm_b32 v22, v27, v26, s7
	s_load_dword s6, s[14:15], 0x0
	v_mfma_f32_4x4x4_16b_bf16 a[0:3], v[18:19], v[6:7], 0 cbsz:4
	v_perm_b32 v23, v21, v20, s7
	v_cvt_pk_f32_fp8_e32 v[6:7], v8
	v_cvt_pk_f32_fp8_sdwa v[20:21], v8 src0_sel:WORD_1
	v_mfma_f32_4x4x4_16b_bf16 a[0:3], v[18:19], v[22:23], a[0:3] cbsz:4 abid:1
	v_cvt_pk_f32_fp8_e32 v[22:23], v9
	v_cvt_pk_f32_fp8_sdwa v[8:9], v9 src0_sel:WORD_1
	v_perm_b32 v6, v7, v6, s7
	v_perm_b32 v7, v21, v20, s7
	;; [unrolled: 1-line block ×4, first 2 shown]
	v_mfma_f32_4x4x4_16b_bf16 a[0:3], v[18:19], v[6:7], a[0:3] cbsz:4 abid:2
	s_waitcnt vmcnt(2)
	v_cvt_pk_f32_fp8_e32 v[6:7], v2
	v_cvt_pk_f32_fp8_sdwa v[8:9], v2 src0_sel:WORD_1
	v_mfma_f32_4x4x4_16b_bf16 a[0:3], v[18:19], v[20:21], a[0:3] cbsz:4 abid:3
	v_cvt_pk_f32_fp8_e32 v[20:21], v3
	v_perm_b32 v2, v7, v6, s7
	v_cvt_pk_f32_fp8_sdwa v[6:7], v3 src0_sel:WORD_1
	v_perm_b32 v3, v9, v8, s7
	v_perm_b32 v8, v21, v20, s7
	;; [unrolled: 1-line block ×3, first 2 shown]
	v_mfma_f32_4x4x4_16b_bf16 a[0:3], v[18:19], v[2:3], a[0:3] cbsz:4 abid:4
	v_cvt_pk_f32_fp8_e32 v[2:3], v4
	v_cvt_pk_f32_fp8_sdwa v[6:7], v4 src0_sel:WORD_1
	v_mfma_f32_4x4x4_16b_bf16 a[0:3], v[18:19], v[8:9], a[0:3] cbsz:4 abid:5
	v_cvt_pk_f32_fp8_e32 v[8:9], v5
	v_cvt_pk_f32_fp8_sdwa v[4:5], v5 src0_sel:WORD_1
	v_perm_b32 v2, v3, v2, s7
	v_perm_b32 v3, v7, v6, s7
	;; [unrolled: 1-line block ×4, first 2 shown]
	v_mfma_f32_4x4x4_16b_bf16 a[0:3], v[18:19], v[2:3], a[0:3] cbsz:4 abid:6
	s_waitcnt vmcnt(1)
	v_cvt_pk_f32_fp8_e32 v[2:3], v14
	v_cvt_pk_f32_fp8_sdwa v[4:5], v14 src0_sel:WORD_1
	v_mfma_f32_4x4x4_16b_bf16 a[0:3], v[18:19], v[6:7], a[0:3] cbsz:4 abid:7
	v_cvt_pk_f32_fp8_e32 v[6:7], v15
	v_cvt_pk_f32_fp8_sdwa v[8:9], v15 src0_sel:WORD_1
	v_perm_b32 v2, v3, v2, s7
	v_perm_b32 v3, v5, v4, s7
	;; [unrolled: 1-line block ×4, first 2 shown]
	v_mfma_f32_4x4x4_16b_bf16 a[0:3], v[18:19], v[2:3], a[0:3] cbsz:4 abid:8
	v_cvt_pk_f32_fp8_e32 v[2:3], v16
	v_cvt_pk_f32_fp8_e32 v[6:7], v17
	v_mfma_f32_4x4x4_16b_bf16 a[0:3], v[18:19], v[4:5], a[0:3] cbsz:4 abid:9
	v_cvt_pk_f32_fp8_sdwa v[4:5], v16 src0_sel:WORD_1
	v_cvt_pk_f32_fp8_sdwa v[8:9], v17 src0_sel:WORD_1
	v_perm_b32 v2, v3, v2, s7
	v_perm_b32 v3, v5, v4, s7
	v_perm_b32 v4, v7, v6, s7
	s_nop 0
	v_mfma_f32_4x4x4_16b_bf16 a[0:3], v[18:19], v[2:3], a[0:3] cbsz:4 abid:10
	v_perm_b32 v5, v9, v8, s7
	s_waitcnt vmcnt(0)
	v_cvt_pk_f32_fp8_e32 v[2:3], v10
	v_cvt_pk_f32_fp8_e32 v[6:7], v11
	v_mfma_f32_4x4x4_16b_bf16 a[0:3], v[18:19], v[4:5], a[0:3] cbsz:4 abid:11
	v_cvt_pk_f32_fp8_sdwa v[4:5], v10 src0_sel:WORD_1
	v_cvt_pk_f32_fp8_sdwa v[8:9], v11 src0_sel:WORD_1
	v_perm_b32 v2, v3, v2, s7
	v_perm_b32 v3, v5, v4, s7
	;; [unrolled: 1-line block ×3, first 2 shown]
	s_nop 0
	v_mfma_f32_4x4x4_16b_bf16 a[0:3], v[18:19], v[2:3], a[0:3] cbsz:4 abid:12
	v_perm_b32 v5, v9, v8, s7
	v_cvt_pk_f32_fp8_e32 v[2:3], v12
	v_cvt_pk_f32_fp8_e32 v[6:7], v13
	v_mfma_f32_4x4x4_16b_bf16 a[0:3], v[18:19], v[4:5], a[0:3] cbsz:4 abid:13
	v_cvt_pk_f32_fp8_sdwa v[4:5], v12 src0_sel:WORD_1
	v_cvt_pk_f32_fp8_sdwa v[8:9], v13 src0_sel:WORD_1
	v_perm_b32 v2, v3, v2, s7
	v_perm_b32 v3, v5, v4, s7
	;; [unrolled: 1-line block ×3, first 2 shown]
	s_nop 0
	v_mfma_f32_4x4x4_16b_bf16 a[0:3], v[18:19], v[2:3], a[0:3] cbsz:4 abid:14
	v_perm_b32 v5, v9, v8, s7
	s_nop 1
	v_mfma_f32_4x4x4_16b_bf16 a[0:3], v[18:19], v[4:5], a[0:3] cbsz:4 abid:15
	s_nop 4
	v_accvgpr_read_b32 v5, a1
	v_accvgpr_read_b32 v4, a0
	;; [unrolled: 1-line block ×4, first 2 shown]
	s_waitcnt lgkmcnt(0)
	v_pk_mul_f32 v[4:5], v[4:5], s[6:7] op_sel_hi:[1,0]
	v_pk_mul_f32 v[2:3], v[2:3], s[6:7] op_sel_hi:[1,0]
	v_bfe_u32 v6, v5, 16, 1
	v_bfe_u32 v7, v4, 16, 1
	v_add3_u32 v4, v4, v7, s1
	v_add3_u32 v5, v5, v6, s1
	v_bfe_u32 v6, v3, 16, 1
	v_bfe_u32 v7, v2, 16, 1
	v_add3_u32 v2, v2, v7, s1
	v_add3_u32 v3, v3, v6, s1
	v_perm_b32 v23, v3, v2, s7
	v_perm_b32 v22, v5, v4, s7
.LBB1108_21:
	s_or_b64 exec, exec, s[2:3]
	v_lshlrev_b32_e32 v1, 3, v1
	v_mad_u32_u24 v1, v24, 40, v1
	v_cmp_gt_u32_e32 vcc, 64, v0
	ds_write_b64 v1, v[22:23]
	s_waitcnt lgkmcnt(0)
	s_barrier
	s_and_saveexec_b64 s[2:3], vcc
	s_cbranch_execz .LBB1108_23
; %bb.22:
	s_waitcnt vmcnt(3)
	v_mul_u32_u24_e32 v6, 40, v24
	s_waitcnt vmcnt(2)
	ds_read2_b64 v[2:5], v6 offset1:1
	ds_read2_b64 v[6:9], v6 offset0:2 offset1:3
	s_lshl_b32 s0, s0, 6
	s_mov_b32 s1, 0
	s_lshl_b64 s[2:3], s[0:1], 1
	s_waitcnt lgkmcnt(1)
	v_lshlrev_b32_e32 v2, 16, v2
	v_add_f32_e32 v2, 0, v2
	s_add_u32 s2, s26, s2
	v_and_b32_e32 v2, 0xffff0000, v2
	v_lshlrev_b32_e32 v3, 16, v4
	s_addc_u32 s3, s27, s3
	s_lshl_b32 s0, s24, 6
	v_add_f32_e32 v2, v2, v3
	s_lshl_b64 s[0:1], s[0:1], 1
	v_and_b32_e32 v2, 0xffff0000, v2
	s_waitcnt lgkmcnt(0)
	v_lshlrev_b32_e32 v3, 16, v6
	s_add_u32 s0, s2, s0
	s_mul_i32 s4, s4, s5
	v_add_f32_e32 v2, v2, v3
	s_addc_u32 s1, s3, s1
	v_lshl_or_b32 v0, s4, 6, v0
	v_mov_b32_e32 v1, 0
	v_and_b32_e32 v2, 0xffff0000, v2
	v_lshlrev_b32_e32 v3, 16, v8
	v_lshl_add_u64 v[0:1], v[0:1], 1, s[0:1]
	v_add_f32_e32 v2, v2, v3
	global_store_short_d16_hi v[0:1], v2, off
.LBB1108_23:
	s_endpgm
	.section	.rodata,"a",@progbits
	.p2align	6, 0x0
	.amdhsa_kernel _Z38paged_attention_ll4mi_QKV_mfma4_kernelI14__hip_bfloat16hLN4vllm18Fp8KVCacheDataTypeE1EhLi16ELi64ELi256ELb0ELi1EEvPKT_PKT0_S8_ifPKiSA_SA_iPKfiiiPfSD_PS3_PT2_iSC_SC_
		.amdhsa_group_segment_fixed_size 2720
		.amdhsa_private_segment_fixed_size 0
		.amdhsa_kernarg_size 400
		.amdhsa_user_sgpr_count 2
		.amdhsa_user_sgpr_dispatch_ptr 0
		.amdhsa_user_sgpr_queue_ptr 0
		.amdhsa_user_sgpr_kernarg_segment_ptr 1
		.amdhsa_user_sgpr_dispatch_id 0
		.amdhsa_user_sgpr_kernarg_preload_length 0
		.amdhsa_user_sgpr_kernarg_preload_offset 0
		.amdhsa_user_sgpr_private_segment_size 0
		.amdhsa_uses_dynamic_stack 0
		.amdhsa_enable_private_segment 0
		.amdhsa_system_sgpr_workgroup_id_x 1
		.amdhsa_system_sgpr_workgroup_id_y 1
		.amdhsa_system_sgpr_workgroup_id_z 1
		.amdhsa_system_sgpr_workgroup_info 0
		.amdhsa_system_vgpr_workitem_id 0
		.amdhsa_next_free_vgpr 80
		.amdhsa_next_free_sgpr 42
		.amdhsa_accum_offset 76
		.amdhsa_reserve_vcc 1
		.amdhsa_float_round_mode_32 0
		.amdhsa_float_round_mode_16_64 0
		.amdhsa_float_denorm_mode_32 3
		.amdhsa_float_denorm_mode_16_64 3
		.amdhsa_dx10_clamp 1
		.amdhsa_ieee_mode 1
		.amdhsa_fp16_overflow 0
		.amdhsa_tg_split 0
		.amdhsa_exception_fp_ieee_invalid_op 0
		.amdhsa_exception_fp_denorm_src 0
		.amdhsa_exception_fp_ieee_div_zero 0
		.amdhsa_exception_fp_ieee_overflow 0
		.amdhsa_exception_fp_ieee_underflow 0
		.amdhsa_exception_fp_ieee_inexact 0
		.amdhsa_exception_int_div_zero 0
	.end_amdhsa_kernel
	.section	.text._Z38paged_attention_ll4mi_QKV_mfma4_kernelI14__hip_bfloat16hLN4vllm18Fp8KVCacheDataTypeE1EhLi16ELi64ELi256ELb0ELi1EEvPKT_PKT0_S8_ifPKiSA_SA_iPKfiiiPfSD_PS3_PT2_iSC_SC_,"axG",@progbits,_Z38paged_attention_ll4mi_QKV_mfma4_kernelI14__hip_bfloat16hLN4vllm18Fp8KVCacheDataTypeE1EhLi16ELi64ELi256ELb0ELi1EEvPKT_PKT0_S8_ifPKiSA_SA_iPKfiiiPfSD_PS3_PT2_iSC_SC_,comdat
.Lfunc_end1108:
	.size	_Z38paged_attention_ll4mi_QKV_mfma4_kernelI14__hip_bfloat16hLN4vllm18Fp8KVCacheDataTypeE1EhLi16ELi64ELi256ELb0ELi1EEvPKT_PKT0_S8_ifPKiSA_SA_iPKfiiiPfSD_PS3_PT2_iSC_SC_, .Lfunc_end1108-_Z38paged_attention_ll4mi_QKV_mfma4_kernelI14__hip_bfloat16hLN4vllm18Fp8KVCacheDataTypeE1EhLi16ELi64ELi256ELb0ELi1EEvPKT_PKT0_S8_ifPKiSA_SA_iPKfiiiPfSD_PS3_PT2_iSC_SC_
                                        ; -- End function
	.section	.AMDGPU.csdata,"",@progbits
; Kernel info:
; codeLenInByte = 3936
; NumSgprs: 48
; NumVgprs: 76
; NumAgprs: 4
; TotalNumVgprs: 80
; ScratchSize: 0
; MemoryBound: 0
; FloatMode: 240
; IeeeMode: 1
; LDSByteSize: 2720 bytes/workgroup (compile time only)
; SGPRBlocks: 5
; VGPRBlocks: 9
; NumSGPRsForWavesPerEU: 48
; NumVGPRsForWavesPerEU: 80
; AccumOffset: 76
; Occupancy: 6
; WaveLimiterHint : 1
; COMPUTE_PGM_RSRC2:SCRATCH_EN: 0
; COMPUTE_PGM_RSRC2:USER_SGPR: 2
; COMPUTE_PGM_RSRC2:TRAP_HANDLER: 0
; COMPUTE_PGM_RSRC2:TGID_X_EN: 1
; COMPUTE_PGM_RSRC2:TGID_Y_EN: 1
; COMPUTE_PGM_RSRC2:TGID_Z_EN: 1
; COMPUTE_PGM_RSRC2:TIDIG_COMP_CNT: 0
; COMPUTE_PGM_RSRC3_GFX90A:ACCUM_OFFSET: 18
; COMPUTE_PGM_RSRC3_GFX90A:TG_SPLIT: 0
	.section	.text._Z38paged_attention_ll4mi_QKV_mfma4_kernelI14__hip_bfloat16hLN4vllm18Fp8KVCacheDataTypeE1EhLi16ELi64ELi256ELb0ELi2EEvPKT_PKT0_S8_ifPKiSA_SA_iPKfiiiPfSD_PS3_PT2_iSC_SC_,"axG",@progbits,_Z38paged_attention_ll4mi_QKV_mfma4_kernelI14__hip_bfloat16hLN4vllm18Fp8KVCacheDataTypeE1EhLi16ELi64ELi256ELb0ELi2EEvPKT_PKT0_S8_ifPKiSA_SA_iPKfiiiPfSD_PS3_PT2_iSC_SC_,comdat
	.protected	_Z38paged_attention_ll4mi_QKV_mfma4_kernelI14__hip_bfloat16hLN4vllm18Fp8KVCacheDataTypeE1EhLi16ELi64ELi256ELb0ELi2EEvPKT_PKT0_S8_ifPKiSA_SA_iPKfiiiPfSD_PS3_PT2_iSC_SC_ ; -- Begin function _Z38paged_attention_ll4mi_QKV_mfma4_kernelI14__hip_bfloat16hLN4vllm18Fp8KVCacheDataTypeE1EhLi16ELi64ELi256ELb0ELi2EEvPKT_PKT0_S8_ifPKiSA_SA_iPKfiiiPfSD_PS3_PT2_iSC_SC_
	.globl	_Z38paged_attention_ll4mi_QKV_mfma4_kernelI14__hip_bfloat16hLN4vllm18Fp8KVCacheDataTypeE1EhLi16ELi64ELi256ELb0ELi2EEvPKT_PKT0_S8_ifPKiSA_SA_iPKfiiiPfSD_PS3_PT2_iSC_SC_
	.p2align	8
	.type	_Z38paged_attention_ll4mi_QKV_mfma4_kernelI14__hip_bfloat16hLN4vllm18Fp8KVCacheDataTypeE1EhLi16ELi64ELi256ELb0ELi2EEvPKT_PKT0_S8_ifPKiSA_SA_iPKfiiiPfSD_PS3_PT2_iSC_SC_,@function
_Z38paged_attention_ll4mi_QKV_mfma4_kernelI14__hip_bfloat16hLN4vllm18Fp8KVCacheDataTypeE1EhLi16ELi64ELi256ELb0ELi2EEvPKT_PKT0_S8_ifPKiSA_SA_iPKfiiiPfSD_PS3_PT2_iSC_SC_: ; @_Z38paged_attention_ll4mi_QKV_mfma4_kernelI14__hip_bfloat16hLN4vllm18Fp8KVCacheDataTypeE1EhLi16ELi64ELi256ELb0ELi2EEvPKT_PKT0_S8_ifPKiSA_SA_iPKfiiiPfSD_PS3_PT2_iSC_SC_
; %bb.0:
	s_load_dwordx2 s[20:21], s[0:1], 0x30
	s_mov_b32 s24, s3
	s_mov_b64 s[6:7], 0
	s_waitcnt lgkmcnt(0)
	s_cmp_lg_u64 s[20:21], 0
	s_cselect_b64 s[22:23], -1, 0
	s_and_b64 vcc, exec, s[22:23]
	s_cbranch_vccz .LBB1109_10
; %bb.1:
	s_add_i32 s8, s2, 1
	s_mov_b32 s9, 0
	s_lshl_b64 s[10:11], s[8:9], 2
	s_add_u32 s10, s20, s10
	s_mov_b32 s3, s9
	s_addc_u32 s11, s21, s11
	s_lshl_b64 s[8:9], s[2:3], 2
	s_add_u32 s8, s20, s8
	s_addc_u32 s9, s21, s9
	s_load_dword s5, s[10:11], 0x0
	s_load_dword s12, s[8:9], 0x0
	s_waitcnt lgkmcnt(0)
	s_sub_i32 s5, s5, s12
	s_cmp_eq_u32 s5, 1
	s_cselect_b64 s[8:9], -1, 0
	s_andn2_b64 vcc, exec, s[6:7]
	s_cbranch_vccnz .LBB1109_3
.LBB1109_2:
	s_mov_b32 s3, 0
	s_mov_b64 s[8:9], -1
.LBB1109_3:
	s_andn2_b64 vcc, exec, s[8:9]
	s_cbranch_vccnz .LBB1109_23
; %bb.4:
	s_load_dword s5, s[0:1], 0x9c
	s_load_dwordx2 s[6:7], s[0:1], 0x28
	s_add_u32 s28, s0, 0x90
	s_addc_u32 s29, s1, 0
	s_lshl_b64 s[34:35], s[2:3], 2
	s_waitcnt lgkmcnt(0)
	s_and_b32 s5, s5, 0xffff
	s_add_u32 s6, s6, s34
	s_addc_u32 s7, s7, s35
	s_load_dword s3, s[6:7], 0x0
	s_mul_i32 s10, s24, s5
	s_waitcnt lgkmcnt(0)
	s_cmp_ge_i32 s10, s3
	s_cbranch_scc1 .LBB1109_23
; %bb.5:
	v_and_b32_e32 v2, 0xc0, v0
	v_add_u32_e32 v4, s10, v2
	v_lshrrev_b32_e32 v1, 6, v0
	v_cmp_gt_i32_e64 s[6:7], s3, v4
	v_cmp_le_i32_e32 vcc, s3, v4
                                        ; implicit-def: $sgpr25
                                        ; implicit-def: $sgpr11
	s_and_saveexec_b64 s[8:9], vcc
	s_xor_b64 s[8:9], exec, s[8:9]
	s_cbranch_execz .LBB1109_7
; %bb.6:
	v_mul_u32_u24_e32 v2, 20, v1
	v_or_b32_e32 v2, 0xa00, v2
	v_mov_b32_e32 v3, 0xa50
	v_mov_b32_e32 v4, 0xff7fffff
	v_mad_u32_u24 v3, v1, 20, v3
	ds_write2_b32 v2, v4, v4 offset1:1
	v_mov_b32_e32 v2, 0
	ds_write2_b32 v3, v2, v2 offset1:1
	v_mov_b32_e32 v3, 0xa08
	s_mov_b32 s11, 0xff7fffff
	s_mov_b32 s25, 0
	v_mad_u32_u24 v3, v1, 20, v3
	v_mov_b32_e32 v5, 0xa58
	v_mad_u32_u24 v5, v1, 20, v5
	ds_write2_b32 v3, v4, v4 offset1:1
	ds_write2_b32 v5, v2, v2 offset1:1
                                        ; implicit-def: $vgpr4
.LBB1109_7:
	s_or_saveexec_b64 s[30:31], s[8:9]
	s_load_dwordx2 s[26:27], s[0:1], 0x68
	s_load_dwordx4 s[16:19], s[0:1], 0x58
	s_load_dword s5, s[28:29], 0x4
	s_load_dwordx4 s[12:15], s[0:1], 0x80
	v_and_b32_e32 v26, 63, v0
	v_and_b32_e32 v27, 3, v0
	v_mov_b32_e32 v21, s25
	v_mov_b32_e32 v24, s11
	;; [unrolled: 1-line block ×5, first 2 shown]
                                        ; implicit-def: $vgpr14_vgpr15
                                        ; implicit-def: $vgpr10_vgpr11
                                        ; implicit-def: $vgpr6_vgpr7
                                        ; implicit-def: $vgpr2_vgpr3
	s_xor_b64 exec, exec, s[30:31]
	s_cbranch_execz .LBB1109_17
; %bb.8:
	s_load_dwordx2 s[8:9], s[0:1], 0x20
	s_load_dword s11, s[0:1], 0x38
	s_add_i32 s25, s3, 15
	s_ashr_i32 s33, s25, 31
	s_lshr_b32 s33, s33, 28
	v_add_u32_e32 v28, s10, v0
	s_add_i32 s25, s25, s33
	v_ashrrev_i32_e32 v2, 31, v28
	s_ashr_i32 s25, s25, 4
	v_lshrrev_b32_e32 v2, 28, v2
	s_add_i32 s25, s25, -1
	s_waitcnt lgkmcnt(0)
	s_mul_i32 s36, s2, s11
	s_mov_b32 s37, 0
	v_add_u32_e32 v2, v28, v2
	s_lshl_b64 s[36:37], s[36:37], 2
	v_ashrrev_i32_e32 v2, 4, v2
	v_mov_b32_e32 v3, s25
	v_cmp_gt_i32_e32 vcc, s3, v28
	s_add_u32 s8, s8, s36
	s_addc_u32 s9, s9, s37
	v_cndmask_b32_e32 v2, v3, v2, vcc
	v_ashrrev_i32_e32 v3, 31, v2
	v_lshl_add_u64 v[8:9], v[2:3], 2, s[8:9]
	v_ashrrev_i32_e32 v2, 31, v4
	v_lshrrev_b32_e32 v2, 28, v2
	v_add_u32_e32 v2, v4, v2
	v_ashrrev_i32_e32 v4, 4, v2
	v_min_i32_e32 v2, s25, v4
	v_ashrrev_i32_e32 v3, 31, v2
	v_lshl_add_u64 v[10:11], v[2:3], 2, s[8:9]
	v_add_u32_e32 v2, 1, v4
	v_min_i32_e32 v2, s25, v2
	v_ashrrev_i32_e32 v3, 31, v2
	v_lshl_add_u64 v[12:13], v[2:3], 2, s[8:9]
	v_add_u32_e32 v2, 2, v4
	v_min_i32_e32 v2, s25, v2
	v_ashrrev_i32_e32 v3, 31, v2
	v_lshl_add_u64 v[14:15], v[2:3], 2, s[8:9]
	v_add_u32_e32 v2, 3, v4
	v_min_i32_e32 v2, s25, v2
	v_ashrrev_i32_e32 v3, 31, v2
	v_lshl_add_u64 v[16:17], v[2:3], 2, s[8:9]
	global_load_dword v2, v[8:9], off
	global_load_dword v7, v[10:11], off
	;; [unrolled: 1-line block ×5, first 2 shown]
	s_load_dwordx4 s[8:11], s[0:1], 0x8
	s_andn2_b64 vcc, exec, s[22:23]
	s_cbranch_vccnz .LBB1109_11
; %bb.9:
	s_add_u32 s20, s20, s34
	s_addc_u32 s21, s21, s35
	s_load_dword s25, s[20:21], 0x0
	s_branch .LBB1109_12
.LBB1109_10:
	s_mov_b64 s[8:9], 0
	s_branch .LBB1109_2
.LBB1109_11:
	s_mov_b32 s25, s2
.LBB1109_12:
	s_load_dwordx4 s[20:23], s[0:1], 0x48
	v_cmp_gt_u32_e32 vcc, 2, v27
	s_mov_b32 s37, 0
	v_mov_b32_e32 v3, 0
	v_mov_b32_e32 v18, 0
	;; [unrolled: 1-line block ×5, first 2 shown]
	s_and_saveexec_b64 s[34:35], vcc
	s_cbranch_execz .LBB1109_14
; %bb.13:
	s_load_dwordx2 s[38:39], s[0:1], 0x0
	s_waitcnt lgkmcnt(0)
	s_ashr_i32 s23, s20, 31
	s_mul_hi_u32 s33, s25, s20
	s_mul_i32 s23, s25, s23
	s_add_i32 s41, s33, s23
	s_mul_i32 s40, s25, s20
	s_lshl_b64 s[40:41], s[40:41], 1
	s_add_u32 s20, s38, s40
	s_addc_u32 s23, s39, s41
	s_lshl_b32 s36, s4, 7
	s_lshl_b64 s[36:37], s[36:37], 1
	s_add_u32 s36, s20, s36
	v_lshlrev_b32_e32 v8, 3, v27
	v_lshrrev_b32_e32 v9, 2, v26
	s_addc_u32 s37, s23, s37
	v_add_lshl_u32 v8, v8, v9, 4
	global_load_dwordx4 v[18:21], v8, s[36:37]
.LBB1109_14:
	s_or_b64 exec, exec, s[34:35]
	s_waitcnt lgkmcnt(0)
	s_mul_i32 s20, s4, s22
	s_add_u32 s8, s20, s8
	s_addc_u32 s9, 0, s9
	v_mov_b64_e32 v[8:9], s[8:9]
	s_waitcnt vmcnt(4)
	v_mad_i64_i32 v[8:9], s[8:9], v2, s21, v[8:9]
	v_lshlrev_b32_e32 v2, 4, v0
	v_and_b32_e32 v2, 0xf0, v2
	v_lshl_add_u64 v[8:9], v[8:9], 0, v[2:3]
	global_load_dwordx4 v[30:33], v[8:9], off
	global_load_dwordx4 v[34:37], v[8:9], off offset:256
	global_load_dwordx4 v[38:41], v[8:9], off offset:512
	;; [unrolled: 1-line block ×3, first 2 shown]
	s_waitcnt vmcnt(7)
	v_mul_hi_i32 v2, v7, s21
	s_load_dword s9, s[0:1], 0x1c
	s_add_u32 s0, s10, s20
	s_waitcnt vmcnt(6)
	v_mul_hi_i32 v8, v6, s21
	s_waitcnt vmcnt(5)
	v_mul_hi_i32 v9, v5, s21
	v_ashrrev_i32_e32 v11, 31, v2
	s_addc_u32 s1, s11, 0
	v_lshlrev_b32_e32 v2, 4, v26
	s_waitcnt vmcnt(4)
	v_mul_hi_i32 v10, v4, s21
	v_ashrrev_i32_e32 v12, 31, v8
	v_ashrrev_i32_e32 v13, 31, v9
	v_lshl_add_u64 v[8:9], s[0:1], 0, v[2:3]
	v_lshrrev_b32_e32 v2, 29, v11
	v_ashrrev_i32_e32 v14, 31, v10
	v_mad_i64_i32 v[10:11], s[0:1], v7, s21, v[2:3]
	v_lshrrev_b32_e32 v2, 29, v12
	v_and_b32_e32 v10, -8, v10
	v_mad_i64_i32 v[6:7], s[0:1], v6, s21, v[2:3]
	v_lshrrev_b32_e32 v2, 29, v13
	v_lshl_add_u64 v[42:43], v[8:9], 0, v[10:11]
	v_mad_i64_i32 v[10:11], s[0:1], v5, s21, v[2:3]
	v_lshrrev_b32_e32 v2, 29, v14
	v_mad_i64_i32 v[2:3], s[0:1], v4, s21, v[2:3]
	v_and_b32_e32 v6, -8, v6
	v_and_b32_e32 v10, -8, v10
	;; [unrolled: 1-line block ×3, first 2 shown]
	s_mov_b32 s8, 0x7060302
	v_lshl_add_u64 v[6:7], v[8:9], 0, v[6:7]
	v_lshl_add_u64 v[44:45], v[8:9], 0, v[10:11]
	global_load_dwordx4 v[14:17], v[42:43], off
	global_load_dwordx4 v[10:13], v[6:7], off
	v_lshl_add_u64 v[42:43], v[8:9], 0, v[2:3]
	global_load_dwordx4 v[6:9], v[44:45], off
	global_load_dwordx4 v[2:5], v[42:43], off
	s_load_dword s0, s[12:13], 0x0
	v_cmp_eq_u32_e32 vcc, 0, v27
	s_waitcnt vmcnt(7)
	v_cvt_pk_f32_fp8_e32 v[46:47], v30
	v_cvt_pk_f32_fp8_sdwa v[48:49], v30 src0_sel:WORD_1
	v_cvt_pk_f32_fp8_e32 v[50:51], v31
	v_cvt_pk_f32_fp8_sdwa v[30:31], v31 src0_sel:WORD_1
	;; [unrolled: 2-line block ×3, first 2 shown]
	v_perm_b32 v42, v47, v46, s8
	v_perm_b32 v43, v49, v48, s8
	v_cvt_pk_f32_fp8_e32 v[56:57], v33
	v_cvt_pk_f32_fp8_sdwa v[32:33], v33 src0_sel:WORD_1
	v_mfma_f32_4x4x4_16b_bf16 a[0:3], v[18:19], v[42:43], 0 cbsz:4
	v_perm_b32 v46, v51, v50, s8
	v_perm_b32 v47, v31, v30, s8
	s_waitcnt vmcnt(6)
	v_cvt_pk_f32_fp8_e32 v[58:59], v34
	v_cvt_pk_f32_fp8_sdwa v[60:61], v34 src0_sel:WORD_1
	v_mfma_f32_4x4x4_16b_bf16 a[0:3], v[20:21], v[46:47], a[0:3] cbsz:4
	v_perm_b32 v48, v53, v52, s8
	v_perm_b32 v49, v55, v54, s8
	v_cvt_pk_f32_fp8_e32 v[62:63], v35
	v_cvt_pk_f32_fp8_sdwa v[34:35], v35 src0_sel:WORD_1
	v_mfma_f32_4x4x4_16b_bf16 a[0:3], v[18:19], v[48:49], a[0:3] cbsz:4 abid:1
	v_perm_b32 v52, v57, v56, s8
	v_perm_b32 v53, v33, v32, s8
	v_cvt_pk_f32_fp8_e32 v[64:65], v36
	v_cvt_pk_f32_fp8_sdwa v[66:67], v36 src0_sel:WORD_1
	v_mfma_f32_4x4x4_16b_bf16 a[0:3], v[20:21], v[52:53], a[0:3] cbsz:4 abid:1
	;; [unrolled: 5-line block ×3, first 2 shown]
	v_perm_b32 v54, v63, v62, s8
	v_perm_b32 v55, v35, v34, s8
	s_waitcnt vmcnt(5)
	v_cvt_pk_f32_fp8_e32 v[70:71], v38
	v_cvt_pk_f32_fp8_sdwa v[72:73], v38 src0_sel:WORD_1
	v_mfma_f32_4x4x4_16b_bf16 a[0:3], v[20:21], v[54:55], a[0:3] cbsz:4 abid:2
	v_perm_b32 v34, v65, v64, s8
	v_perm_b32 v35, v67, v66, s8
	v_cvt_pk_f32_fp8_e32 v[74:75], v39
	v_cvt_pk_f32_fp8_sdwa v[38:39], v39 src0_sel:WORD_1
	v_mfma_f32_4x4x4_16b_bf16 a[0:3], v[18:19], v[34:35], a[0:3] cbsz:4 abid:3
	v_perm_b32 v42, v69, v68, s8
	v_perm_b32 v43, v37, v36, s8
	;; [unrolled: 5-line block ×4, first 2 shown]
	v_perm_b32 v34, v77, v76, s8
	v_perm_b32 v35, v79, v78, s8
	v_mfma_f32_4x4x4_16b_bf16 a[0:3], v[20:21], v[32:33], a[0:3] cbsz:4 abid:4
	s_waitcnt vmcnt(4)
	v_cvt_pk_f32_fp8_e32 v[44:45], v22
	v_cvt_pk_f32_fp8_sdwa v[30:31], v22 src0_sel:WORD_1
	v_mfma_f32_4x4x4_16b_bf16 a[0:3], v[18:19], v[34:35], a[0:3] cbsz:4 abid:5
	v_perm_b32 v32, v81, v80, s8
	v_perm_b32 v33, v41, v40, s8
	v_cvt_pk_f32_fp8_e32 v[50:51], v23
	v_perm_b32 v22, v45, v44, s8
	v_mfma_f32_4x4x4_16b_bf16 a[0:3], v[20:21], v[32:33], a[0:3] cbsz:4 abid:5
	v_cvt_pk_f32_fp8_sdwa v[32:33], v23 src0_sel:WORD_1
	v_perm_b32 v23, v31, v30, s8
	v_perm_b32 v30, v51, v50, s8
	;; [unrolled: 1-line block ×3, first 2 shown]
	v_mfma_f32_4x4x4_16b_bf16 a[0:3], v[18:19], v[22:23], a[0:3] cbsz:4 abid:6
	v_cvt_pk_f32_fp8_e32 v[22:23], v24
	v_cvt_pk_f32_fp8_e32 v[32:33], v25
	v_mfma_f32_4x4x4_16b_bf16 a[0:3], v[20:21], v[30:31], a[0:3] cbsz:4 abid:6
	v_cvt_pk_f32_fp8_sdwa v[30:31], v24 src0_sel:WORD_1
	v_cvt_pk_f32_fp8_sdwa v[24:25], v25 src0_sel:WORD_1
	v_perm_b32 v22, v23, v22, s8
	v_perm_b32 v23, v31, v30, s8
	;; [unrolled: 1-line block ×3, first 2 shown]
	s_nop 0
	v_mfma_f32_4x4x4_16b_bf16 a[0:3], v[18:19], v[22:23], a[0:3] cbsz:4 abid:7
	v_perm_b32 v31, v25, v24, s8
	s_waitcnt lgkmcnt(0)
	v_mov_b32_e32 v18, s9
	v_mfma_f32_4x4x4_16b_bf16 a[0:3], v[20:21], v[30:31], a[0:3] cbsz:4 abid:7
	v_mul_f32_e32 v20, s0, v18
	s_nop 3
	v_accvgpr_read_b32 v23, a1
	v_accvgpr_read_b32 v22, a0
	v_pk_mul_f32 v[22:23], v[22:23], v[20:21] op_sel_hi:[1,0]
	v_accvgpr_read_b32 v19, a3
	v_accvgpr_read_b32 v18, a2
	v_pk_mul_f32 v[18:19], v[18:19], v[20:21] op_sel_hi:[1,0]
	v_cndmask_b32_e64 v20, 0, 1.0, vcc
	v_cmp_eq_u32_e32 vcc, 1, v27
	s_nop 0
	v_mfma_f32_4x4x1_16b_f32 a[0:3], v22, v20, 0
	v_cndmask_b32_e64 v20, 0, 1.0, vcc
	v_cmp_eq_u32_e32 vcc, 2, v27
	v_mov_b32_e32 v22, 0xff7fffff
	v_mfma_f32_4x4x1_16b_f32 a[0:3], v23, v20, a[0:3]
	v_cndmask_b32_e64 v20, 0, 1.0, vcc
	v_cmp_eq_u32_e32 vcc, 3, v27
	s_nop 0
	v_mfma_f32_4x4x1_16b_f32 a[0:3], v18, v20, a[0:3]
	v_cndmask_b32_e64 v18, 0, 1.0, vcc
	s_nop 1
	v_mfma_f32_4x4x1_16b_f32 a[0:3], v19, v18, a[0:3]
	v_and_b32_e32 v18, -4, v28
	v_cmp_gt_i32_e32 vcc, s3, v18
	v_lshlrev_b32_e32 v19, 2, v0
	v_and_or_b32 v19, v19, 48, v27
	v_accvgpr_read_b32 v20, a0
	v_max_f32_e32 v21, v20, v20
	v_max_f32_e32 v21, 0xff7fffff, v21
	v_accvgpr_read_b32 v23, a1
	v_cndmask_b32_e32 v21, v22, v21, vcc
	v_or_b32_e32 v22, 1, v18
	v_max_f32_e32 v24, v23, v23
	v_max_f32_e32 v24, v21, v24
	v_cmp_gt_i32_e64 s[0:1], s3, v22
	v_accvgpr_read_b32 v22, a2
	v_or_b32_e32 v18, 2, v18
	v_cndmask_b32_e64 v21, v21, v24, s[0:1]
	v_max_f32_e32 v24, v22, v22
	v_max_f32_e32 v24, v21, v24
	v_cmp_gt_i32_e64 s[8:9], s3, v18
	v_accvgpr_read_b32 v25, a3
	s_nop 0
	v_cndmask_b32_e64 v18, v21, v24, s[8:9]
	v_or_b32_e32 v21, 3, v28
	v_max_f32_e32 v24, v25, v25
	v_max_f32_e32 v24, v18, v24
	v_cmp_gt_i32_e64 s[10:11], s3, v21
	v_lshlrev_b32_e32 v28, 2, v19
	s_nop 0
	v_cndmask_b32_e64 v18, v18, v24, s[10:11]
	;;#ASMSTART
	v_nop
 v_nop
 v_max_f32_dpp v18, v18, v18 row_ror:4
	;;#ASMEND
	s_nop 0
	;;#ASMSTART
	v_nop
 v_nop
 v_max_f32_dpp v18, v18, v18 row_ror:8
	;;#ASMEND
	ds_bpermute_b32 v18, v28, v18
	s_waitcnt lgkmcnt(0)
	;;#ASMSTART
	v_nop
 v_nop
 v_max_f32_dpp v18, v18, v18 row_ror:4
	;;#ASMEND
	s_nop 0
	;;#ASMSTART
	v_nop
 v_nop
 v_max_f32_dpp v24, v18, v18 row_ror:8
	;;#ASMEND
	s_nop 0
	v_sub_f32_e32 v18, v20, v24
	v_mul_f32_e32 v18, 0x3fb8aa3b, v18
	v_sub_f32_e32 v19, v23, v24
	v_exp_f32_e32 v18, v18
	v_mul_f32_e32 v19, 0x3fb8aa3b, v19
	v_sub_f32_e32 v21, v22, v24
	v_exp_f32_e32 v19, v19
	;; [unrolled: 3-line block ×3, first 2 shown]
	v_mul_f32_e32 v22, 0x3fb8aa3b, v22
	v_exp_f32_e32 v22, v22
	v_cndmask_b32_e32 v18, 0, v18, vcc
	v_add_f32_e32 v20, 0, v18
	v_cndmask_b32_e64 v19, 0, v19, s[0:1]
	v_add_f32_e32 v23, v20, v19
	v_cndmask_b32_e64 v20, 0, v21, s[8:9]
	;; [unrolled: 2-line block ×3, first 2 shown]
	v_add_f32_e32 v22, v23, v21
	;;#ASMSTART
	v_nop
 v_nop
 v_add_f32_dpp v22, v22, v22 row_ror:4
	;;#ASMEND
	v_cmp_gt_u32_e32 vcc, 4, v26
	;;#ASMSTART
	v_nop
 v_nop
 v_add_f32_dpp v22, v22, v22 row_ror:8
	;;#ASMEND
	ds_bpermute_b32 v22, v28, v22
	s_waitcnt lgkmcnt(0)
	;;#ASMSTART
	v_nop
 v_nop
 v_add_f32_dpp v22, v22, v22 row_ror:4
	;;#ASMEND
	s_nop 0
	;;#ASMSTART
	v_nop
 v_nop
 v_add_f32_dpp v22, v22, v22 row_ror:8
	;;#ASMEND
	s_and_saveexec_b64 s[0:1], vcc
	s_cbranch_execz .LBB1109_16
; %bb.15:
	v_mul_u32_u24_e32 v23, 20, v1
	v_lshl_add_u32 v23, v27, 2, v23
	v_add_u32_e32 v23, 0x800, v23
	ds_write2_b32 v23, v24, v22 offset0:128 offset1:148
.LBB1109_16:
	s_or_b64 exec, exec, s[0:1]
.LBB1109_17:
	s_or_b64 exec, exec, s[30:31]
	s_waitcnt lgkmcnt(0)
	s_barrier
	s_load_dword s0, s[28:29], 0x8
	v_lshlrev_b32_e32 v22, 2, v27
	v_add_u32_e32 v32, 0x800, v22
	ds_read2_b32 v[22:23], v32 offset0:128 offset1:133
	ds_read2_b32 v[28:29], v32 offset0:138 offset1:143
	s_mul_i32 s1, s2, s5
	s_waitcnt lgkmcnt(0)
	s_mul_i32 s1, s1, s0
	s_lshl_b32 s0, s1, 1
	s_mov_b32 s1, 0xff7fffff
	v_max3_f32 v25, v22, s1, v23
	v_max3_f32 v25, v25, v28, v29
	v_sub_f32_e32 v22, v22, v25
	v_mul_f32_e32 v22, 0x3fb8aa3b, v22
	ds_read2_b32 v[30:31], v32 offset0:148 offset1:153
	v_exp_f32_e32 v33, v22
	v_sub_f32_e32 v22, v23, v25
	v_sub_f32_e32 v28, v28, v25
	v_mul_f32_e32 v22, 0x3fb8aa3b, v22
	v_mul_f32_e32 v28, 0x3fb8aa3b, v28
	v_exp_f32_e32 v34, v22
	ds_read2_b32 v[22:23], v32 offset0:158 offset1:163
	v_exp_f32_e32 v32, v28
	v_sub_f32_e32 v28, v29, v25
	v_mul_f32_e32 v28, 0x3fb8aa3b, v28
	v_exp_f32_e32 v29, v28
	s_waitcnt lgkmcnt(1)
	v_fma_f32 v28, v33, v30, 0
	v_fmac_f32_e32 v28, v34, v31
	s_waitcnt lgkmcnt(0)
	v_fmac_f32_e32 v28, v32, v22
	s_lshl_b32 s4, s4, 1
	v_fmac_f32_e32 v28, v29, v23
	v_cmp_gt_u32_e32 vcc, 2, v27
	s_and_saveexec_b64 s[2:3], vcc
	s_cbranch_execz .LBB1109_19
; %bb.18:
	s_mov_b32 s1, 0
	s_lshl_b64 s[8:9], s[0:1], 2
	s_add_u32 s12, s16, s8
	s_mov_b32 s25, s1
	s_addc_u32 s13, s17, s9
	s_lshl_b64 s[10:11], s[24:25], 2
	s_add_u32 s12, s12, s10
	s_addc_u32 s13, s13, s11
	s_add_u32 s1, s18, s8
	s_addc_u32 s9, s19, s9
	v_or_b32_e32 v22, s4, v27
	s_add_u32 s8, s1, s10
	v_mul_lo_u32 v22, s5, v22
	v_mov_b32_e32 v23, 0
	s_addc_u32 s9, s9, s11
	v_lshlrev_b64 v[22:23], 2, v[22:23]
	v_lshl_add_u64 v[30:31], s[12:13], 0, v[22:23]
	v_lshl_add_u64 v[22:23], s[8:9], 0, v[22:23]
	global_store_dword v[22:23], v25, off
	global_store_dword v[30:31], v28, off
.LBB1109_19:
	s_or_b64 exec, exec, s[2:3]
	v_mov_b32_e32 v22, 0
	v_mov_b32_e32 v23, 0
	s_and_saveexec_b64 s[2:3], s[6:7]
	s_cbranch_execz .LBB1109_21
; %bb.20:
	v_add_f32_e32 v22, 0x358637bd, v28
	v_div_scale_f32 v23, s[6:7], v22, v22, 1.0
	v_rcp_f32_e32 v27, v23
	v_div_scale_f32 v28, vcc, 1.0, v22, 1.0
	v_sub_f32_e32 v24, v24, v25
	v_fma_f32 v29, -v23, v27, 1.0
	v_fmac_f32_e32 v27, v29, v27
	v_mul_f32_e32 v29, v28, v27
	v_fma_f32 v30, -v23, v29, v28
	v_mul_f32_e32 v24, 0x3fb8aa3b, v24
	v_fmac_f32_e32 v29, v30, v27
	v_exp_f32_e32 v24, v24
	v_fma_f32 v23, -v23, v29, v28
	v_div_fmas_f32 v23, v23, v27, v29
	v_div_fixup_f32 v22, v23, v22, 1.0
	v_mul_f32_e32 v22, v24, v22
	v_pk_mul_f32 v[18:19], v[18:19], v[22:23] op_sel_hi:[1,0]
	v_pk_mul_f32 v[20:21], v[20:21], v[22:23] op_sel_hi:[1,0]
	v_bfe_u32 v22, v19, 16, 1
	v_bfe_u32 v23, v18, 16, 1
	s_movk_i32 s1, 0x7fff
	v_add3_u32 v18, v18, v23, s1
	v_add3_u32 v19, v19, v22, s1
	s_mov_b32 s7, 0x7060302
	v_perm_b32 v18, v19, v18, s7
	v_bfe_u32 v19, v21, 16, 1
	v_bfe_u32 v22, v20, 16, 1
	v_add3_u32 v22, v20, v22, s1
	v_add3_u32 v19, v21, v19, s1
	s_waitcnt vmcnt(3)
	v_cvt_pk_f32_fp8_e32 v[20:21], v14
	v_perm_b32 v19, v19, v22, s7
	v_cvt_pk_f32_fp8_sdwa v[22:23], v14 src0_sel:WORD_1
	v_cvt_pk_f32_fp8_e32 v[24:25], v15
	v_perm_b32 v14, v21, v20, s7
	v_cvt_pk_f32_fp8_sdwa v[20:21], v15 src0_sel:WORD_1
	v_perm_b32 v15, v23, v22, s7
	v_perm_b32 v22, v25, v24, s7
	s_load_dword s6, s[14:15], 0x0
	v_mfma_f32_4x4x4_16b_bf16 a[0:3], v[18:19], v[14:15], 0 cbsz:4
	v_perm_b32 v23, v21, v20, s7
	v_cvt_pk_f32_fp8_e32 v[14:15], v16
	v_cvt_pk_f32_fp8_sdwa v[20:21], v16 src0_sel:WORD_1
	v_mfma_f32_4x4x4_16b_bf16 a[0:3], v[18:19], v[22:23], a[0:3] cbsz:4 abid:1
	v_cvt_pk_f32_fp8_e32 v[22:23], v17
	v_cvt_pk_f32_fp8_sdwa v[16:17], v17 src0_sel:WORD_1
	v_perm_b32 v14, v15, v14, s7
	v_perm_b32 v15, v21, v20, s7
	v_perm_b32 v20, v23, v22, s7
	v_perm_b32 v21, v17, v16, s7
	v_mfma_f32_4x4x4_16b_bf16 a[0:3], v[18:19], v[14:15], a[0:3] cbsz:4 abid:2
	s_waitcnt vmcnt(2)
	v_cvt_pk_f32_fp8_e32 v[14:15], v10
	v_cvt_pk_f32_fp8_sdwa v[16:17], v10 src0_sel:WORD_1
	v_mfma_f32_4x4x4_16b_bf16 a[0:3], v[18:19], v[20:21], a[0:3] cbsz:4 abid:3
	v_cvt_pk_f32_fp8_e32 v[20:21], v11
	v_perm_b32 v10, v15, v14, s7
	v_cvt_pk_f32_fp8_sdwa v[14:15], v11 src0_sel:WORD_1
	v_perm_b32 v11, v17, v16, s7
	v_perm_b32 v16, v21, v20, s7
	v_perm_b32 v17, v15, v14, s7
	v_mfma_f32_4x4x4_16b_bf16 a[0:3], v[18:19], v[10:11], a[0:3] cbsz:4 abid:4
	v_cvt_pk_f32_fp8_e32 v[10:11], v12
	v_cvt_pk_f32_fp8_sdwa v[14:15], v12 src0_sel:WORD_1
	v_mfma_f32_4x4x4_16b_bf16 a[0:3], v[18:19], v[16:17], a[0:3] cbsz:4 abid:5
	v_cvt_pk_f32_fp8_e32 v[16:17], v13
	v_cvt_pk_f32_fp8_sdwa v[12:13], v13 src0_sel:WORD_1
	v_perm_b32 v10, v11, v10, s7
	v_perm_b32 v11, v15, v14, s7
	v_perm_b32 v14, v17, v16, s7
	v_perm_b32 v15, v13, v12, s7
	v_mfma_f32_4x4x4_16b_bf16 a[0:3], v[18:19], v[10:11], a[0:3] cbsz:4 abid:6
	s_waitcnt vmcnt(1)
	v_cvt_pk_f32_fp8_e32 v[10:11], v6
	v_cvt_pk_f32_fp8_sdwa v[12:13], v6 src0_sel:WORD_1
	v_mfma_f32_4x4x4_16b_bf16 a[0:3], v[18:19], v[14:15], a[0:3] cbsz:4 abid:7
	v_cvt_pk_f32_fp8_e32 v[14:15], v7
	v_perm_b32 v6, v11, v10, s7
	v_cvt_pk_f32_fp8_sdwa v[10:11], v7 src0_sel:WORD_1
	v_perm_b32 v7, v13, v12, s7
	v_perm_b32 v12, v15, v14, s7
	v_perm_b32 v13, v11, v10, s7
	v_mfma_f32_4x4x4_16b_bf16 a[0:3], v[18:19], v[6:7], a[0:3] cbsz:4 abid:8
	;; [unrolled: 21-line block ×3, first 2 shown]
	v_cvt_pk_f32_fp8_e32 v[2:3], v4
	v_cvt_pk_f32_fp8_sdwa v[6:7], v4 src0_sel:WORD_1
	v_mfma_f32_4x4x4_16b_bf16 a[0:3], v[18:19], v[8:9], a[0:3] cbsz:4 abid:13
	v_cvt_pk_f32_fp8_e32 v[8:9], v5
	v_cvt_pk_f32_fp8_sdwa v[4:5], v5 src0_sel:WORD_1
	v_perm_b32 v2, v3, v2, s7
	v_perm_b32 v3, v7, v6, s7
	;; [unrolled: 1-line block ×4, first 2 shown]
	v_mfma_f32_4x4x4_16b_bf16 a[0:3], v[18:19], v[2:3], a[0:3] cbsz:4 abid:14
	s_nop 1
	v_mfma_f32_4x4x4_16b_bf16 a[0:3], v[18:19], v[6:7], a[0:3] cbsz:4 abid:15
	s_nop 4
	v_accvgpr_read_b32 v5, a1
	v_accvgpr_read_b32 v4, a0
	;; [unrolled: 1-line block ×4, first 2 shown]
	s_waitcnt lgkmcnt(0)
	v_pk_mul_f32 v[4:5], v[4:5], s[6:7] op_sel_hi:[1,0]
	v_pk_mul_f32 v[2:3], v[2:3], s[6:7] op_sel_hi:[1,0]
	v_bfe_u32 v6, v5, 16, 1
	v_bfe_u32 v7, v4, 16, 1
	v_add3_u32 v4, v4, v7, s1
	v_add3_u32 v5, v5, v6, s1
	v_bfe_u32 v6, v3, 16, 1
	v_bfe_u32 v7, v2, 16, 1
	v_add3_u32 v2, v2, v7, s1
	v_add3_u32 v3, v3, v6, s1
	v_perm_b32 v23, v3, v2, s7
	v_perm_b32 v22, v5, v4, s7
.LBB1109_21:
	s_or_b64 exec, exec, s[2:3]
	v_lshlrev_b32_e32 v1, 3, v1
	v_mad_u32_u24 v1, v26, 40, v1
	v_cmp_gt_u32_e32 vcc, 64, v0
	ds_write_b64 v1, v[22:23]
	s_waitcnt lgkmcnt(0)
	s_barrier
	s_and_saveexec_b64 s[2:3], vcc
	s_cbranch_execz .LBB1109_23
; %bb.22:
	v_mul_u32_u24_e32 v1, 40, v26
	s_waitcnt vmcnt(0)
	ds_read2_b64 v[2:5], v1 offset1:1
	ds_read2_b64 v[6:9], v1 offset0:2 offset1:3
	s_mov_b32 s1, 0
	s_lshl_b32 s0, s0, 6
	s_lshl_b64 s[2:3], s[0:1], 1
	s_waitcnt lgkmcnt(1)
	v_and_b32_e32 v1, 0xffff0000, v2
	v_add_f32_e32 v1, 0, v1
	v_and_b32_e32 v3, 0xffff0000, v4
	v_and_b32_e32 v1, 0xffff0000, v1
	v_add_f32_e32 v1, v1, v3
	s_waitcnt lgkmcnt(0)
	v_and_b32_e32 v5, 0xffff0000, v6
	v_and_b32_e32 v1, 0xffff0000, v1
	v_add_f32_e32 v1, v1, v5
	v_and_b32_e32 v1, 0xffff0000, v1
	v_and_b32_e32 v3, 0xffff0000, v8
	v_add_f32_e32 v7, v1, v3
	v_lshlrev_b32_e32 v1, 16, v2
	s_add_u32 s2, s26, s2
	v_add_f32_e32 v1, 0, v1
	s_addc_u32 s3, s27, s3
	s_lshl_b32 s0, s24, 6
	v_and_b32_e32 v1, 0xffff0000, v1
	v_lshlrev_b32_e32 v2, 16, v4
	s_lshl_b64 s[0:1], s[0:1], 1
	v_add_f32_e32 v1, v1, v2
	s_add_u32 s0, s2, s0
	v_and_b32_e32 v1, 0xffff0000, v1
	v_lshlrev_b32_e32 v2, 16, v6
	s_addc_u32 s1, s3, s1
	s_lshl_b32 s2, s5, 6
	v_add_f32_e32 v1, v1, v2
	v_and_b32_e32 v1, 0xffff0000, v1
	v_lshlrev_b32_e32 v2, 16, v8
	s_mul_i32 s3, s2, s4
	v_add_f32_e32 v1, v1, v2
	v_or_b32_e32 v2, s3, v0
	v_mov_b32_e32 v3, 0
	s_add_i32 s3, s3, s2
	v_lshl_add_u64 v[4:5], v[2:3], 1, s[0:1]
	v_or_b32_e32 v2, s3, v0
	global_store_short_d16_hi v[4:5], v1, off
	v_lshl_add_u64 v[0:1], v[2:3], 1, s[0:1]
	global_store_short_d16_hi v[0:1], v7, off
.LBB1109_23:
	s_endpgm
	.section	.rodata,"a",@progbits
	.p2align	6, 0x0
	.amdhsa_kernel _Z38paged_attention_ll4mi_QKV_mfma4_kernelI14__hip_bfloat16hLN4vllm18Fp8KVCacheDataTypeE1EhLi16ELi64ELi256ELb0ELi2EEvPKT_PKT0_S8_ifPKiSA_SA_iPKfiiiPfSD_PS3_PT2_iSC_SC_
		.amdhsa_group_segment_fixed_size 2720
		.amdhsa_private_segment_fixed_size 0
		.amdhsa_kernarg_size 400
		.amdhsa_user_sgpr_count 2
		.amdhsa_user_sgpr_dispatch_ptr 0
		.amdhsa_user_sgpr_queue_ptr 0
		.amdhsa_user_sgpr_kernarg_segment_ptr 1
		.amdhsa_user_sgpr_dispatch_id 0
		.amdhsa_user_sgpr_kernarg_preload_length 0
		.amdhsa_user_sgpr_kernarg_preload_offset 0
		.amdhsa_user_sgpr_private_segment_size 0
		.amdhsa_uses_dynamic_stack 0
		.amdhsa_enable_private_segment 0
		.amdhsa_system_sgpr_workgroup_id_x 1
		.amdhsa_system_sgpr_workgroup_id_y 1
		.amdhsa_system_sgpr_workgroup_id_z 1
		.amdhsa_system_sgpr_workgroup_info 0
		.amdhsa_system_vgpr_workitem_id 0
		.amdhsa_next_free_vgpr 88
		.amdhsa_next_free_sgpr 42
		.amdhsa_accum_offset 84
		.amdhsa_reserve_vcc 1
		.amdhsa_float_round_mode_32 0
		.amdhsa_float_round_mode_16_64 0
		.amdhsa_float_denorm_mode_32 3
		.amdhsa_float_denorm_mode_16_64 3
		.amdhsa_dx10_clamp 1
		.amdhsa_ieee_mode 1
		.amdhsa_fp16_overflow 0
		.amdhsa_tg_split 0
		.amdhsa_exception_fp_ieee_invalid_op 0
		.amdhsa_exception_fp_denorm_src 0
		.amdhsa_exception_fp_ieee_div_zero 0
		.amdhsa_exception_fp_ieee_overflow 0
		.amdhsa_exception_fp_ieee_underflow 0
		.amdhsa_exception_fp_ieee_inexact 0
		.amdhsa_exception_int_div_zero 0
	.end_amdhsa_kernel
	.section	.text._Z38paged_attention_ll4mi_QKV_mfma4_kernelI14__hip_bfloat16hLN4vllm18Fp8KVCacheDataTypeE1EhLi16ELi64ELi256ELb0ELi2EEvPKT_PKT0_S8_ifPKiSA_SA_iPKfiiiPfSD_PS3_PT2_iSC_SC_,"axG",@progbits,_Z38paged_attention_ll4mi_QKV_mfma4_kernelI14__hip_bfloat16hLN4vllm18Fp8KVCacheDataTypeE1EhLi16ELi64ELi256ELb0ELi2EEvPKT_PKT0_S8_ifPKiSA_SA_iPKfiiiPfSD_PS3_PT2_iSC_SC_,comdat
.Lfunc_end1109:
	.size	_Z38paged_attention_ll4mi_QKV_mfma4_kernelI14__hip_bfloat16hLN4vllm18Fp8KVCacheDataTypeE1EhLi16ELi64ELi256ELb0ELi2EEvPKT_PKT0_S8_ifPKiSA_SA_iPKfiiiPfSD_PS3_PT2_iSC_SC_, .Lfunc_end1109-_Z38paged_attention_ll4mi_QKV_mfma4_kernelI14__hip_bfloat16hLN4vllm18Fp8KVCacheDataTypeE1EhLi16ELi64ELi256ELb0ELi2EEvPKT_PKT0_S8_ifPKiSA_SA_iPKfiiiPfSD_PS3_PT2_iSC_SC_
                                        ; -- End function
	.section	.AMDGPU.csdata,"",@progbits
; Kernel info:
; codeLenInByte = 4064
; NumSgprs: 48
; NumVgprs: 82
; NumAgprs: 4
; TotalNumVgprs: 88
; ScratchSize: 0
; MemoryBound: 0
; FloatMode: 240
; IeeeMode: 1
; LDSByteSize: 2720 bytes/workgroup (compile time only)
; SGPRBlocks: 5
; VGPRBlocks: 10
; NumSGPRsForWavesPerEU: 48
; NumVGPRsForWavesPerEU: 88
; AccumOffset: 84
; Occupancy: 5
; WaveLimiterHint : 1
; COMPUTE_PGM_RSRC2:SCRATCH_EN: 0
; COMPUTE_PGM_RSRC2:USER_SGPR: 2
; COMPUTE_PGM_RSRC2:TRAP_HANDLER: 0
; COMPUTE_PGM_RSRC2:TGID_X_EN: 1
; COMPUTE_PGM_RSRC2:TGID_Y_EN: 1
; COMPUTE_PGM_RSRC2:TGID_Z_EN: 1
; COMPUTE_PGM_RSRC2:TIDIG_COMP_CNT: 0
; COMPUTE_PGM_RSRC3_GFX90A:ACCUM_OFFSET: 20
; COMPUTE_PGM_RSRC3_GFX90A:TG_SPLIT: 0
	.section	.text._Z38paged_attention_ll4mi_QKV_mfma4_kernelI14__hip_bfloat16hLN4vllm18Fp8KVCacheDataTypeE1EhLi16ELi64ELi256ELb0ELi3EEvPKT_PKT0_S8_ifPKiSA_SA_iPKfiiiPfSD_PS3_PT2_iSC_SC_,"axG",@progbits,_Z38paged_attention_ll4mi_QKV_mfma4_kernelI14__hip_bfloat16hLN4vllm18Fp8KVCacheDataTypeE1EhLi16ELi64ELi256ELb0ELi3EEvPKT_PKT0_S8_ifPKiSA_SA_iPKfiiiPfSD_PS3_PT2_iSC_SC_,comdat
	.protected	_Z38paged_attention_ll4mi_QKV_mfma4_kernelI14__hip_bfloat16hLN4vllm18Fp8KVCacheDataTypeE1EhLi16ELi64ELi256ELb0ELi3EEvPKT_PKT0_S8_ifPKiSA_SA_iPKfiiiPfSD_PS3_PT2_iSC_SC_ ; -- Begin function _Z38paged_attention_ll4mi_QKV_mfma4_kernelI14__hip_bfloat16hLN4vllm18Fp8KVCacheDataTypeE1EhLi16ELi64ELi256ELb0ELi3EEvPKT_PKT0_S8_ifPKiSA_SA_iPKfiiiPfSD_PS3_PT2_iSC_SC_
	.globl	_Z38paged_attention_ll4mi_QKV_mfma4_kernelI14__hip_bfloat16hLN4vllm18Fp8KVCacheDataTypeE1EhLi16ELi64ELi256ELb0ELi3EEvPKT_PKT0_S8_ifPKiSA_SA_iPKfiiiPfSD_PS3_PT2_iSC_SC_
	.p2align	8
	.type	_Z38paged_attention_ll4mi_QKV_mfma4_kernelI14__hip_bfloat16hLN4vllm18Fp8KVCacheDataTypeE1EhLi16ELi64ELi256ELb0ELi3EEvPKT_PKT0_S8_ifPKiSA_SA_iPKfiiiPfSD_PS3_PT2_iSC_SC_,@function
_Z38paged_attention_ll4mi_QKV_mfma4_kernelI14__hip_bfloat16hLN4vllm18Fp8KVCacheDataTypeE1EhLi16ELi64ELi256ELb0ELi3EEvPKT_PKT0_S8_ifPKiSA_SA_iPKfiiiPfSD_PS3_PT2_iSC_SC_: ; @_Z38paged_attention_ll4mi_QKV_mfma4_kernelI14__hip_bfloat16hLN4vllm18Fp8KVCacheDataTypeE1EhLi16ELi64ELi256ELb0ELi3EEvPKT_PKT0_S8_ifPKiSA_SA_iPKfiiiPfSD_PS3_PT2_iSC_SC_
; %bb.0:
	s_load_dwordx2 s[20:21], s[0:1], 0x30
	s_mov_b32 s24, s3
	s_mov_b64 s[6:7], 0
	s_waitcnt lgkmcnt(0)
	s_cmp_lg_u64 s[20:21], 0
	s_cselect_b64 s[22:23], -1, 0
	s_and_b64 vcc, exec, s[22:23]
	s_cbranch_vccz .LBB1110_10
; %bb.1:
	s_add_i32 s8, s2, 1
	s_mov_b32 s9, 0
	s_lshl_b64 s[10:11], s[8:9], 2
	s_add_u32 s10, s20, s10
	s_mov_b32 s3, s9
	s_addc_u32 s11, s21, s11
	s_lshl_b64 s[8:9], s[2:3], 2
	s_add_u32 s8, s20, s8
	s_addc_u32 s9, s21, s9
	s_load_dword s5, s[10:11], 0x0
	s_load_dword s12, s[8:9], 0x0
	s_waitcnt lgkmcnt(0)
	s_sub_i32 s5, s5, s12
	s_cmp_eq_u32 s5, 1
	s_cselect_b64 s[8:9], -1, 0
	s_andn2_b64 vcc, exec, s[6:7]
	s_cbranch_vccnz .LBB1110_3
.LBB1110_2:
	s_mov_b32 s3, 0
	s_mov_b64 s[8:9], -1
.LBB1110_3:
	s_andn2_b64 vcc, exec, s[8:9]
	s_cbranch_vccnz .LBB1110_23
; %bb.4:
	s_load_dword s5, s[0:1], 0x9c
	s_load_dwordx2 s[6:7], s[0:1], 0x28
	s_add_u32 s28, s0, 0x90
	s_addc_u32 s29, s1, 0
	s_lshl_b64 s[34:35], s[2:3], 2
	s_waitcnt lgkmcnt(0)
	s_and_b32 s5, s5, 0xffff
	s_add_u32 s6, s6, s34
	s_addc_u32 s7, s7, s35
	s_load_dword s3, s[6:7], 0x0
	s_mul_i32 s10, s24, s5
	s_waitcnt lgkmcnt(0)
	s_cmp_ge_i32 s10, s3
	s_cbranch_scc1 .LBB1110_23
; %bb.5:
	v_and_b32_e32 v2, 0xc0, v0
	v_add_u32_e32 v4, s10, v2
	v_lshrrev_b32_e32 v1, 6, v0
	v_cmp_gt_i32_e64 s[6:7], s3, v4
	v_cmp_le_i32_e32 vcc, s3, v4
                                        ; implicit-def: $sgpr25
                                        ; implicit-def: $sgpr11
	s_and_saveexec_b64 s[8:9], vcc
	s_xor_b64 s[8:9], exec, s[8:9]
	s_cbranch_execz .LBB1110_7
; %bb.6:
	v_mul_u32_u24_e32 v2, 20, v1
	v_or_b32_e32 v2, 0xa00, v2
	v_mov_b32_e32 v3, 0xa50
	v_mov_b32_e32 v4, 0xff7fffff
	v_mad_u32_u24 v3, v1, 20, v3
	ds_write2_b32 v2, v4, v4 offset1:1
	v_mov_b32_e32 v2, 0
	ds_write2_b32 v3, v2, v2 offset1:1
	v_mov_b32_e32 v3, 0xa08
	s_mov_b32 s11, 0xff7fffff
	s_mov_b32 s25, 0
	v_mad_u32_u24 v3, v1, 20, v3
	v_mov_b32_e32 v5, 0xa58
	v_mad_u32_u24 v5, v1, 20, v5
	ds_write2_b32 v3, v4, v4 offset1:1
	ds_write2_b32 v5, v2, v2 offset1:1
                                        ; implicit-def: $vgpr4
.LBB1110_7:
	s_or_saveexec_b64 s[30:31], s[8:9]
	s_load_dwordx2 s[26:27], s[0:1], 0x68
	s_load_dwordx4 s[16:19], s[0:1], 0x58
	s_load_dword s5, s[28:29], 0x4
	s_load_dwordx4 s[12:15], s[0:1], 0x80
	v_and_b32_e32 v24, 63, v0
	v_and_b32_e32 v22, 3, v0
	v_mov_b32_e32 v21, s25
	v_mov_b32_e32 v25, s11
	;; [unrolled: 1-line block ×5, first 2 shown]
                                        ; implicit-def: $vgpr6_vgpr7
                                        ; implicit-def: $vgpr2_vgpr3
                                        ; implicit-def: $vgpr14_vgpr15
                                        ; implicit-def: $vgpr10_vgpr11
	s_xor_b64 exec, exec, s[30:31]
	s_cbranch_execz .LBB1110_17
; %bb.8:
	s_load_dwordx2 s[8:9], s[0:1], 0x20
	s_load_dword s11, s[0:1], 0x38
	s_add_i32 s25, s3, 15
	s_ashr_i32 s33, s25, 31
	s_lshr_b32 s33, s33, 28
	v_add_u32_e32 v23, s10, v0
	s_add_i32 s25, s25, s33
	v_ashrrev_i32_e32 v2, 31, v23
	s_ashr_i32 s25, s25, 4
	v_lshrrev_b32_e32 v2, 28, v2
	s_add_i32 s25, s25, -1
	s_waitcnt lgkmcnt(0)
	s_mul_i32 s36, s2, s11
	s_mov_b32 s37, 0
	v_add_u32_e32 v2, v23, v2
	s_lshl_b64 s[36:37], s[36:37], 2
	v_ashrrev_i32_e32 v2, 4, v2
	v_mov_b32_e32 v3, s25
	v_cmp_gt_i32_e32 vcc, s3, v23
	s_add_u32 s8, s8, s36
	s_addc_u32 s9, s9, s37
	v_cndmask_b32_e32 v2, v3, v2, vcc
	v_ashrrev_i32_e32 v3, 31, v2
	v_lshl_add_u64 v[8:9], v[2:3], 2, s[8:9]
	v_ashrrev_i32_e32 v2, 31, v4
	v_lshrrev_b32_e32 v2, 28, v2
	v_add_u32_e32 v2, v4, v2
	v_ashrrev_i32_e32 v4, 4, v2
	v_min_i32_e32 v2, s25, v4
	v_ashrrev_i32_e32 v3, 31, v2
	v_lshl_add_u64 v[10:11], v[2:3], 2, s[8:9]
	v_add_u32_e32 v2, 1, v4
	v_min_i32_e32 v2, s25, v2
	v_ashrrev_i32_e32 v3, 31, v2
	v_lshl_add_u64 v[12:13], v[2:3], 2, s[8:9]
	v_add_u32_e32 v2, 2, v4
	;; [unrolled: 4-line block ×3, first 2 shown]
	v_min_i32_e32 v2, s25, v2
	v_ashrrev_i32_e32 v3, 31, v2
	v_lshl_add_u64 v[16:17], v[2:3], 2, s[8:9]
	global_load_dword v2, v[8:9], off
	global_load_dword v7, v[10:11], off
	;; [unrolled: 1-line block ×5, first 2 shown]
	s_load_dwordx4 s[8:11], s[0:1], 0x8
	s_andn2_b64 vcc, exec, s[22:23]
	s_cbranch_vccnz .LBB1110_11
; %bb.9:
	s_add_u32 s20, s20, s34
	s_addc_u32 s21, s21, s35
	s_load_dword s25, s[20:21], 0x0
	s_branch .LBB1110_12
.LBB1110_10:
	s_mov_b64 s[8:9], 0
	s_branch .LBB1110_2
.LBB1110_11:
	s_mov_b32 s25, s2
.LBB1110_12:
	s_load_dwordx4 s[20:23], s[0:1], 0x48
	v_cmp_ne_u32_e32 vcc, 3, v22
	s_mov_b32 s37, 0
	v_mov_b32_e32 v25, 1.0
	v_mov_b32_e32 v3, 0
	v_mov_b32_e32 v10, 0
	;; [unrolled: 1-line block ×5, first 2 shown]
	s_and_saveexec_b64 s[34:35], vcc
	s_cbranch_execz .LBB1110_14
; %bb.13:
	s_load_dwordx2 s[38:39], s[0:1], 0x0
	s_waitcnt lgkmcnt(0)
	s_ashr_i32 s23, s20, 31
	s_mul_hi_u32 s33, s25, s20
	s_mul_i32 s23, s25, s23
	s_add_i32 s41, s33, s23
	s_mul_i32 s40, s25, s20
	s_lshl_b64 s[40:41], s[40:41], 1
	s_add_u32 s20, s38, s40
	s_mul_i32 s36, s4, 0xc0
	s_addc_u32 s23, s39, s41
	s_lshl_b64 s[36:37], s[36:37], 1
	s_add_u32 s36, s20, s36
	v_lshlrev_b32_e32 v8, 3, v22
	v_lshrrev_b32_e32 v9, 2, v24
	s_addc_u32 s37, s23, s37
	v_add_lshl_u32 v8, v8, v9, 4
	global_load_dwordx4 v[10:13], v8, s[36:37]
	v_mov_b32_e32 v25, 0
.LBB1110_14:
	s_or_b64 exec, exec, s[34:35]
	s_waitcnt lgkmcnt(0)
	s_mul_i32 s20, s4, s22
	s_add_u32 s8, s20, s8
	s_addc_u32 s9, 0, s9
	v_mov_b64_e32 v[8:9], s[8:9]
	s_waitcnt vmcnt(4)
	v_mad_i64_i32 v[8:9], s[8:9], v2, s21, v[8:9]
	v_lshlrev_b32_e32 v2, 4, v0
	v_and_b32_e32 v2, 0xf0, v2
	v_lshl_add_u64 v[8:9], v[8:9], 0, v[2:3]
	global_load_dwordx4 v[26:29], v[8:9], off
	global_load_dwordx4 v[30:33], v[8:9], off offset:256
	global_load_dwordx4 v[18:21], v[8:9], off offset:512
	;; [unrolled: 1-line block ×3, first 2 shown]
	s_waitcnt vmcnt(7)
	v_mul_hi_i32 v2, v7, s21
	s_load_dword s9, s[0:1], 0x1c
	s_add_u32 s0, s10, s20
	s_waitcnt vmcnt(6)
	v_mul_hi_i32 v8, v6, s21
	s_waitcnt vmcnt(4)
	v_mul_hi_i32 v34, v4, s21
	v_ashrrev_i32_e32 v36, 31, v2
	s_addc_u32 s1, s11, 0
	v_lshlrev_b32_e32 v2, 4, v24
	v_mul_hi_i32 v9, v5, s21
	v_ashrrev_i32_e32 v37, 31, v8
	v_ashrrev_i32_e32 v39, 31, v34
	v_lshl_add_u64 v[34:35], s[0:1], 0, v[2:3]
	v_lshrrev_b32_e32 v2, 29, v36
	v_ashrrev_i32_e32 v38, 31, v9
	v_mad_i64_i32 v[8:9], s[0:1], v7, s21, v[2:3]
	v_lshrrev_b32_e32 v2, 29, v37
	v_and_b32_e32 v8, -8, v8
	v_mad_i64_i32 v[6:7], s[0:1], v6, s21, v[2:3]
	v_lshrrev_b32_e32 v2, 29, v38
	v_lshl_add_u64 v[36:37], v[34:35], 0, v[8:9]
	v_and_b32_e32 v6, -8, v6
	v_mad_i64_i32 v[8:9], s[0:1], v5, s21, v[2:3]
	v_lshrrev_b32_e32 v2, 29, v39
	v_lshl_add_u64 v[38:39], v[34:35], 0, v[6:7]
	v_and_b32_e32 v8, -8, v8
	v_mad_i64_i32 v[40:41], s[0:1], v4, s21, v[2:3]
	v_lshl_add_u64 v[42:43], v[34:35], 0, v[8:9]
	global_load_dwordx4 v[6:9], v[36:37], off
	global_load_dwordx4 v[2:5], v[38:39], off
	v_and_b32_e32 v40, -8, v40
	v_lshl_add_u64 v[34:35], v[34:35], 0, v[40:41]
	s_mov_b32 s8, 0x7060302
	s_load_dword s0, s[12:13], 0x0
	v_cmp_eq_u32_e32 vcc, 0, v22
	s_waitcnt vmcnt(5)
	v_cvt_pk_f32_fp8_e32 v[36:37], v26
	v_cvt_pk_f32_fp8_sdwa v[38:39], v26 src0_sel:WORD_1
	v_cvt_pk_f32_fp8_e32 v[40:41], v27
	v_cvt_pk_f32_fp8_sdwa v[26:27], v27 src0_sel:WORD_1
	;; [unrolled: 2-line block ×3, first 2 shown]
	v_perm_b32 v36, v37, v36, s8
	v_perm_b32 v37, v39, v38, s8
	v_cvt_pk_f32_fp8_e32 v[48:49], v29
	v_cvt_pk_f32_fp8_sdwa v[28:29], v29 src0_sel:WORD_1
	v_mfma_f32_4x4x4_16b_bf16 a[0:3], v[10:11], v[36:37], 0 cbsz:4
	v_perm_b32 v40, v41, v40, s8
	v_perm_b32 v41, v27, v26, s8
	s_waitcnt vmcnt(4)
	v_cvt_pk_f32_fp8_e32 v[50:51], v30
	v_cvt_pk_f32_fp8_sdwa v[52:53], v30 src0_sel:WORD_1
	v_mfma_f32_4x4x4_16b_bf16 a[0:3], v[12:13], v[40:41], a[0:3] cbsz:4
	v_perm_b32 v44, v45, v44, s8
	v_perm_b32 v45, v47, v46, s8
	v_cvt_pk_f32_fp8_e32 v[54:55], v31
	v_cvt_pk_f32_fp8_sdwa v[30:31], v31 src0_sel:WORD_1
	v_mfma_f32_4x4x4_16b_bf16 a[0:3], v[10:11], v[44:45], a[0:3] cbsz:4 abid:1
	v_perm_b32 v46, v49, v48, s8
	v_perm_b32 v47, v29, v28, s8
	v_cvt_pk_f32_fp8_e32 v[56:57], v32
	v_cvt_pk_f32_fp8_sdwa v[58:59], v32 src0_sel:WORD_1
	v_mfma_f32_4x4x4_16b_bf16 a[0:3], v[12:13], v[46:47], a[0:3] cbsz:4 abid:1
	;; [unrolled: 5-line block ×3, first 2 shown]
	v_perm_b32 v48, v55, v54, s8
	v_perm_b32 v49, v31, v30, s8
	s_waitcnt vmcnt(3)
	v_cvt_pk_f32_fp8_e32 v[62:63], v18
	v_cvt_pk_f32_fp8_sdwa v[64:65], v18 src0_sel:WORD_1
	v_mfma_f32_4x4x4_16b_bf16 a[0:3], v[12:13], v[48:49], a[0:3] cbsz:4 abid:2
	v_perm_b32 v30, v57, v56, s8
	v_perm_b32 v31, v59, v58, s8
	v_cvt_pk_f32_fp8_e32 v[66:67], v19
	v_cvt_pk_f32_fp8_sdwa v[18:19], v19 src0_sel:WORD_1
	v_mfma_f32_4x4x4_16b_bf16 a[0:3], v[10:11], v[30:31], a[0:3] cbsz:4 abid:3
	v_perm_b32 v36, v61, v60, s8
	v_perm_b32 v37, v33, v32, s8
	;; [unrolled: 5-line block ×4, first 2 shown]
	s_waitcnt vmcnt(2)
	v_cvt_pk_f32_fp8_e32 v[74:75], v14
	v_cvt_pk_f32_fp8_sdwa v[38:39], v14 src0_sel:WORD_1
	v_mfma_f32_4x4x4_16b_bf16 a[0:3], v[12:13], v[28:29], a[0:3] cbsz:4 abid:4
	v_perm_b32 v18, v69, v68, s8
	v_perm_b32 v19, v71, v70, s8
	v_cvt_pk_f32_fp8_e32 v[26:27], v15
	v_cvt_pk_f32_fp8_sdwa v[14:15], v15 src0_sel:WORD_1
	v_mfma_f32_4x4x4_16b_bf16 a[0:3], v[10:11], v[18:19], a[0:3] cbsz:4 abid:5
	v_perm_b32 v30, v73, v72, s8
	v_perm_b32 v31, v21, v20, s8
	v_perm_b32 v18, v75, v74, s8
	v_perm_b32 v19, v39, v38, s8
	v_mfma_f32_4x4x4_16b_bf16 a[0:3], v[12:13], v[30:31], a[0:3] cbsz:4 abid:5
	v_perm_b32 v21, v15, v14, s8
	v_cvt_pk_f32_fp8_e32 v[14:15], v16
	v_mfma_f32_4x4x4_16b_bf16 a[0:3], v[10:11], v[18:19], a[0:3] cbsz:4 abid:6
	v_cvt_pk_f32_fp8_sdwa v[18:19], v16 src0_sel:WORD_1
	v_perm_b32 v20, v27, v26, s8
	v_perm_b32 v14, v15, v14, s8
	;; [unrolled: 1-line block ×3, first 2 shown]
	v_mfma_f32_4x4x4_16b_bf16 a[0:3], v[12:13], v[20:21], a[0:3] cbsz:4 abid:6
	v_cvt_pk_f32_fp8_e32 v[20:21], v17
	v_cvt_pk_f32_fp8_sdwa v[16:17], v17 src0_sel:WORD_1
	v_mfma_f32_4x4x4_16b_bf16 a[0:3], v[10:11], v[14:15], a[0:3] cbsz:4 abid:7
	s_waitcnt lgkmcnt(0)
	v_mov_b32_e32 v10, s9
	v_perm_b32 v18, v21, v20, s8
	v_perm_b32 v19, v17, v16, s8
	s_nop 1
	v_mfma_f32_4x4x4_16b_bf16 a[0:3], v[12:13], v[18:19], a[0:3] cbsz:4 abid:7
	v_mul_f32_e32 v12, s0, v10
	s_nop 3
	v_accvgpr_read_b32 v15, a1
	v_accvgpr_read_b32 v14, a0
	v_pk_mul_f32 v[14:15], v[14:15], v[12:13] op_sel_hi:[1,0]
	v_accvgpr_read_b32 v11, a3
	v_accvgpr_read_b32 v10, a2
	v_pk_mul_f32 v[18:19], v[10:11], v[12:13] op_sel_hi:[1,0]
	v_cndmask_b32_e64 v10, 0, 1.0, vcc
	v_cmp_eq_u32_e32 vcc, 1, v22
	s_nop 0
	v_mfma_f32_4x4x1_16b_f32 a[0:3], v14, v10, 0
	v_cndmask_b32_e64 v10, 0, 1.0, vcc
	v_cmp_eq_u32_e32 vcc, 2, v22
	s_nop 0
	v_mfma_f32_4x4x1_16b_f32 a[0:3], v15, v10, a[0:3]
	v_cndmask_b32_e64 v10, 0, 1.0, vcc
	s_nop 1
	v_mfma_f32_4x4x1_16b_f32 a[0:3], v18, v10, a[0:3]
	global_load_dwordx4 v[14:17], v[42:43], off
	global_load_dwordx4 v[10:13], v[34:35], off
	v_mfma_f32_4x4x1_16b_f32 a[0:3], v19, v25, a[0:3]
	v_and_b32_e32 v18, -4, v23
	v_mov_b32_e32 v25, 0xff7fffff
	v_cmp_gt_i32_e32 vcc, s3, v18
	v_lshlrev_b32_e32 v19, 2, v0
	v_accvgpr_read_b32 v20, a0
	v_max_f32_e32 v21, v20, v20
	v_max_f32_e32 v21, 0xff7fffff, v21
	v_accvgpr_read_b32 v26, a1
	v_cndmask_b32_e32 v21, v25, v21, vcc
	v_or_b32_e32 v25, 1, v18
	v_max_f32_e32 v27, v26, v26
	v_max_f32_e32 v27, v21, v27
	v_cmp_gt_i32_e64 s[0:1], s3, v25
	v_or_b32_e32 v18, 2, v18
	v_cmp_gt_i32_e64 s[8:9], s3, v18
	v_cndmask_b32_e64 v21, v21, v27, s[0:1]
	v_accvgpr_read_b32 v27, a2
	v_max_f32_e32 v25, v27, v27
	v_max_f32_e32 v25, v21, v25
	v_cndmask_b32_e64 v18, v21, v25, s[8:9]
	v_or_b32_e32 v21, 3, v23
	v_accvgpr_read_b32 v23, a3
	v_max_f32_e32 v25, v23, v23
	v_max_f32_e32 v25, v18, v25
	v_cmp_gt_i32_e64 s[10:11], s3, v21
	v_and_or_b32 v19, v19, 48, v22
	v_lshlrev_b32_e32 v28, 2, v19
	v_cndmask_b32_e64 v18, v18, v25, s[10:11]
	;;#ASMSTART
	v_nop
 v_nop
 v_max_f32_dpp v18, v18, v18 row_ror:4
	;;#ASMEND
	s_nop 0
	;;#ASMSTART
	v_nop
 v_nop
 v_max_f32_dpp v18, v18, v18 row_ror:8
	;;#ASMEND
	ds_bpermute_b32 v18, v28, v18
	s_waitcnt lgkmcnt(0)
	;;#ASMSTART
	v_nop
 v_nop
 v_max_f32_dpp v18, v18, v18 row_ror:4
	;;#ASMEND
	s_nop 0
	;;#ASMSTART
	v_nop
 v_nop
 v_max_f32_dpp v25, v18, v18 row_ror:8
	;;#ASMEND
	s_nop 0
	v_sub_f32_e32 v18, v20, v25
	v_mul_f32_e32 v18, 0x3fb8aa3b, v18
	v_sub_f32_e32 v19, v26, v25
	v_exp_f32_e32 v18, v18
	v_mul_f32_e32 v19, 0x3fb8aa3b, v19
	v_sub_f32_e32 v21, v27, v25
	v_exp_f32_e32 v19, v19
	v_mul_f32_e32 v21, 0x3fb8aa3b, v21
	v_sub_f32_e32 v23, v23, v25
	v_exp_f32_e32 v21, v21
	v_mul_f32_e32 v23, 0x3fb8aa3b, v23
	v_exp_f32_e32 v23, v23
	v_cndmask_b32_e32 v18, 0, v18, vcc
	v_add_f32_e32 v20, 0, v18
	v_cndmask_b32_e64 v19, 0, v19, s[0:1]
	v_add_f32_e32 v26, v20, v19
	v_cndmask_b32_e64 v20, 0, v21, s[8:9]
	;; [unrolled: 2-line block ×3, first 2 shown]
	v_add_f32_e32 v23, v26, v21
	;;#ASMSTART
	v_nop
 v_nop
 v_add_f32_dpp v23, v23, v23 row_ror:4
	;;#ASMEND
	v_cmp_gt_u32_e32 vcc, 4, v24
	;;#ASMSTART
	v_nop
 v_nop
 v_add_f32_dpp v23, v23, v23 row_ror:8
	;;#ASMEND
	ds_bpermute_b32 v23, v28, v23
	s_waitcnt lgkmcnt(0)
	;;#ASMSTART
	v_nop
 v_nop
 v_add_f32_dpp v23, v23, v23 row_ror:4
	;;#ASMEND
	s_nop 0
	;;#ASMSTART
	v_nop
 v_nop
 v_add_f32_dpp v23, v23, v23 row_ror:8
	;;#ASMEND
	s_and_saveexec_b64 s[0:1], vcc
	s_cbranch_execz .LBB1110_16
; %bb.15:
	v_mul_u32_u24_e32 v26, 20, v1
	v_lshl_add_u32 v26, v22, 2, v26
	v_add_u32_e32 v26, 0x800, v26
	ds_write2_b32 v26, v25, v23 offset0:128 offset1:148
.LBB1110_16:
	s_or_b64 exec, exec, s[0:1]
.LBB1110_17:
	s_or_b64 exec, exec, s[30:31]
	s_waitcnt lgkmcnt(0)
	s_barrier
	s_load_dword s0, s[28:29], 0x8
	v_lshlrev_b32_e32 v23, 2, v22
	v_add_u32_e32 v23, 0x800, v23
	ds_read2_b32 v[28:29], v23 offset0:128 offset1:133
	ds_read2_b32 v[30:31], v23 offset0:138 offset1:143
	s_mul_i32 s1, s2, s5
	s_waitcnt lgkmcnt(0)
	s_mul_i32 s0, s1, s0
	s_mov_b32 s1, 0xff7fffff
	v_max3_f32 v26, v28, s1, v29
	v_max3_f32 v26, v26, v30, v31
	v_sub_f32_e32 v27, v28, v26
	v_sub_f32_e32 v28, v29, v26
	ds_read2_b32 v[32:33], v23 offset0:148 offset1:153
	v_mul_f32_e32 v27, 0x3fb8aa3b, v27
	v_mul_f32_e32 v28, 0x3fb8aa3b, v28
	v_exp_f32_e32 v27, v27
	v_exp_f32_e32 v34, v28
	ds_read2_b32 v[28:29], v23 offset0:158 offset1:163
	v_sub_f32_e32 v23, v30, v26
	v_mul_f32_e32 v23, 0x3fb8aa3b, v23
	v_sub_f32_e32 v30, v31, v26
	v_exp_f32_e32 v23, v23
	v_mul_f32_e32 v30, 0x3fb8aa3b, v30
	v_exp_f32_e32 v30, v30
	s_waitcnt lgkmcnt(1)
	v_fma_f32 v27, v27, v32, 0
	v_fmac_f32_e32 v27, v34, v33
	s_waitcnt lgkmcnt(0)
	v_fmac_f32_e32 v27, v23, v28
	s_mul_i32 s4, s4, 3
	s_mul_i32 s0, s0, 3
	v_fmac_f32_e32 v27, v30, v29
	v_cmp_ne_u32_e32 vcc, 3, v22
	s_and_saveexec_b64 s[2:3], vcc
	s_cbranch_execz .LBB1110_19
; %bb.18:
	s_mov_b32 s1, 0
	s_lshl_b64 s[8:9], s[0:1], 2
	s_add_u32 s12, s16, s8
	s_mov_b32 s25, s1
	s_addc_u32 s13, s17, s9
	s_lshl_b64 s[10:11], s[24:25], 2
	s_add_u32 s12, s12, s10
	s_addc_u32 s13, s13, s11
	s_add_u32 s1, s18, s8
	s_addc_u32 s9, s19, s9
	v_add_u32_e32 v22, s4, v22
	s_add_u32 s8, s1, s10
	v_mul_lo_u32 v22, s5, v22
	v_mov_b32_e32 v23, 0
	s_addc_u32 s9, s9, s11
	v_lshlrev_b64 v[22:23], 2, v[22:23]
	v_lshl_add_u64 v[28:29], s[12:13], 0, v[22:23]
	v_lshl_add_u64 v[22:23], s[8:9], 0, v[22:23]
	global_store_dword v[22:23], v26, off
	global_store_dword v[28:29], v27, off
.LBB1110_19:
	s_or_b64 exec, exec, s[2:3]
	v_mov_b32_e32 v22, 0
	v_mov_b32_e32 v23, 0
	s_and_saveexec_b64 s[2:3], s[6:7]
	s_cbranch_execz .LBB1110_21
; %bb.20:
	v_add_f32_e32 v22, 0x358637bd, v27
	v_div_scale_f32 v23, s[6:7], v22, v22, 1.0
	v_rcp_f32_e32 v27, v23
	v_div_scale_f32 v28, vcc, 1.0, v22, 1.0
	v_sub_f32_e32 v25, v25, v26
	v_fma_f32 v29, -v23, v27, 1.0
	v_fmac_f32_e32 v27, v29, v27
	v_mul_f32_e32 v29, v28, v27
	v_fma_f32 v30, -v23, v29, v28
	v_mul_f32_e32 v25, 0x3fb8aa3b, v25
	v_fmac_f32_e32 v29, v30, v27
	v_exp_f32_e32 v25, v25
	v_fma_f32 v23, -v23, v29, v28
	v_div_fmas_f32 v23, v23, v27, v29
	v_div_fixup_f32 v22, v23, v22, 1.0
	v_mul_f32_e32 v22, v25, v22
	v_pk_mul_f32 v[18:19], v[18:19], v[22:23] op_sel_hi:[1,0]
	v_pk_mul_f32 v[20:21], v[20:21], v[22:23] op_sel_hi:[1,0]
	v_bfe_u32 v22, v19, 16, 1
	v_bfe_u32 v23, v18, 16, 1
	s_movk_i32 s1, 0x7fff
	v_add3_u32 v18, v18, v23, s1
	v_add3_u32 v19, v19, v22, s1
	s_mov_b32 s7, 0x7060302
	v_perm_b32 v18, v19, v18, s7
	v_bfe_u32 v19, v21, 16, 1
	v_bfe_u32 v22, v20, 16, 1
	v_add3_u32 v22, v20, v22, s1
	v_add3_u32 v19, v21, v19, s1
	s_waitcnt vmcnt(3)
	v_cvt_pk_f32_fp8_e32 v[20:21], v6
	v_perm_b32 v19, v19, v22, s7
	v_cvt_pk_f32_fp8_sdwa v[22:23], v6 src0_sel:WORD_1
	v_cvt_pk_f32_fp8_e32 v[26:27], v7
	v_perm_b32 v6, v21, v20, s7
	v_cvt_pk_f32_fp8_sdwa v[20:21], v7 src0_sel:WORD_1
	v_perm_b32 v7, v23, v22, s7
	v_perm_b32 v22, v27, v26, s7
	s_load_dword s6, s[14:15], 0x0
	v_mfma_f32_4x4x4_16b_bf16 a[0:3], v[18:19], v[6:7], 0 cbsz:4
	v_perm_b32 v23, v21, v20, s7
	v_cvt_pk_f32_fp8_e32 v[6:7], v8
	v_cvt_pk_f32_fp8_sdwa v[20:21], v8 src0_sel:WORD_1
	v_mfma_f32_4x4x4_16b_bf16 a[0:3], v[18:19], v[22:23], a[0:3] cbsz:4 abid:1
	v_cvt_pk_f32_fp8_e32 v[22:23], v9
	v_cvt_pk_f32_fp8_sdwa v[8:9], v9 src0_sel:WORD_1
	v_perm_b32 v6, v7, v6, s7
	v_perm_b32 v7, v21, v20, s7
	;; [unrolled: 1-line block ×4, first 2 shown]
	v_mfma_f32_4x4x4_16b_bf16 a[0:3], v[18:19], v[6:7], a[0:3] cbsz:4 abid:2
	s_waitcnt vmcnt(2)
	v_cvt_pk_f32_fp8_e32 v[6:7], v2
	v_cvt_pk_f32_fp8_sdwa v[8:9], v2 src0_sel:WORD_1
	v_mfma_f32_4x4x4_16b_bf16 a[0:3], v[18:19], v[20:21], a[0:3] cbsz:4 abid:3
	v_cvt_pk_f32_fp8_e32 v[20:21], v3
	v_perm_b32 v2, v7, v6, s7
	v_cvt_pk_f32_fp8_sdwa v[6:7], v3 src0_sel:WORD_1
	v_perm_b32 v3, v9, v8, s7
	v_perm_b32 v8, v21, v20, s7
	v_perm_b32 v9, v7, v6, s7
	v_mfma_f32_4x4x4_16b_bf16 a[0:3], v[18:19], v[2:3], a[0:3] cbsz:4 abid:4
	v_cvt_pk_f32_fp8_e32 v[2:3], v4
	v_cvt_pk_f32_fp8_sdwa v[6:7], v4 src0_sel:WORD_1
	v_mfma_f32_4x4x4_16b_bf16 a[0:3], v[18:19], v[8:9], a[0:3] cbsz:4 abid:5
	v_cvt_pk_f32_fp8_e32 v[8:9], v5
	v_cvt_pk_f32_fp8_sdwa v[4:5], v5 src0_sel:WORD_1
	v_perm_b32 v2, v3, v2, s7
	v_perm_b32 v3, v7, v6, s7
	;; [unrolled: 1-line block ×4, first 2 shown]
	v_mfma_f32_4x4x4_16b_bf16 a[0:3], v[18:19], v[2:3], a[0:3] cbsz:4 abid:6
	s_waitcnt vmcnt(1)
	v_cvt_pk_f32_fp8_e32 v[2:3], v14
	v_cvt_pk_f32_fp8_sdwa v[4:5], v14 src0_sel:WORD_1
	v_mfma_f32_4x4x4_16b_bf16 a[0:3], v[18:19], v[6:7], a[0:3] cbsz:4 abid:7
	v_cvt_pk_f32_fp8_e32 v[6:7], v15
	v_cvt_pk_f32_fp8_sdwa v[8:9], v15 src0_sel:WORD_1
	v_perm_b32 v2, v3, v2, s7
	v_perm_b32 v3, v5, v4, s7
	v_perm_b32 v4, v7, v6, s7
	v_perm_b32 v5, v9, v8, s7
	v_mfma_f32_4x4x4_16b_bf16 a[0:3], v[18:19], v[2:3], a[0:3] cbsz:4 abid:8
	v_cvt_pk_f32_fp8_e32 v[2:3], v16
	v_cvt_pk_f32_fp8_e32 v[6:7], v17
	v_mfma_f32_4x4x4_16b_bf16 a[0:3], v[18:19], v[4:5], a[0:3] cbsz:4 abid:9
	v_cvt_pk_f32_fp8_sdwa v[4:5], v16 src0_sel:WORD_1
	v_cvt_pk_f32_fp8_sdwa v[8:9], v17 src0_sel:WORD_1
	v_perm_b32 v2, v3, v2, s7
	v_perm_b32 v3, v5, v4, s7
	;; [unrolled: 1-line block ×3, first 2 shown]
	s_nop 0
	v_mfma_f32_4x4x4_16b_bf16 a[0:3], v[18:19], v[2:3], a[0:3] cbsz:4 abid:10
	v_perm_b32 v5, v9, v8, s7
	s_waitcnt vmcnt(0)
	v_cvt_pk_f32_fp8_e32 v[2:3], v10
	v_cvt_pk_f32_fp8_e32 v[6:7], v11
	v_mfma_f32_4x4x4_16b_bf16 a[0:3], v[18:19], v[4:5], a[0:3] cbsz:4 abid:11
	v_cvt_pk_f32_fp8_sdwa v[4:5], v10 src0_sel:WORD_1
	v_cvt_pk_f32_fp8_sdwa v[8:9], v11 src0_sel:WORD_1
	v_perm_b32 v2, v3, v2, s7
	v_perm_b32 v3, v5, v4, s7
	;; [unrolled: 1-line block ×3, first 2 shown]
	s_nop 0
	v_mfma_f32_4x4x4_16b_bf16 a[0:3], v[18:19], v[2:3], a[0:3] cbsz:4 abid:12
	v_perm_b32 v5, v9, v8, s7
	v_cvt_pk_f32_fp8_e32 v[2:3], v12
	v_cvt_pk_f32_fp8_e32 v[6:7], v13
	v_mfma_f32_4x4x4_16b_bf16 a[0:3], v[18:19], v[4:5], a[0:3] cbsz:4 abid:13
	v_cvt_pk_f32_fp8_sdwa v[4:5], v12 src0_sel:WORD_1
	v_cvt_pk_f32_fp8_sdwa v[8:9], v13 src0_sel:WORD_1
	v_perm_b32 v2, v3, v2, s7
	v_perm_b32 v3, v5, v4, s7
	;; [unrolled: 1-line block ×3, first 2 shown]
	s_nop 0
	v_mfma_f32_4x4x4_16b_bf16 a[0:3], v[18:19], v[2:3], a[0:3] cbsz:4 abid:14
	v_perm_b32 v5, v9, v8, s7
	s_nop 1
	v_mfma_f32_4x4x4_16b_bf16 a[0:3], v[18:19], v[4:5], a[0:3] cbsz:4 abid:15
	s_nop 4
	v_accvgpr_read_b32 v5, a1
	v_accvgpr_read_b32 v4, a0
	;; [unrolled: 1-line block ×4, first 2 shown]
	s_waitcnt lgkmcnt(0)
	v_pk_mul_f32 v[4:5], v[4:5], s[6:7] op_sel_hi:[1,0]
	v_pk_mul_f32 v[2:3], v[2:3], s[6:7] op_sel_hi:[1,0]
	v_bfe_u32 v6, v5, 16, 1
	v_bfe_u32 v7, v4, 16, 1
	v_add3_u32 v4, v4, v7, s1
	v_add3_u32 v5, v5, v6, s1
	v_bfe_u32 v6, v3, 16, 1
	v_bfe_u32 v7, v2, 16, 1
	v_add3_u32 v2, v2, v7, s1
	v_add3_u32 v3, v3, v6, s1
	v_perm_b32 v23, v3, v2, s7
	v_perm_b32 v22, v5, v4, s7
.LBB1110_21:
	s_or_b64 exec, exec, s[2:3]
	v_lshlrev_b32_e32 v1, 3, v1
	v_mad_u32_u24 v1, v24, 40, v1
	v_cmp_gt_u32_e32 vcc, 64, v0
	ds_write_b64 v1, v[22:23]
	s_waitcnt lgkmcnt(0)
	s_barrier
	s_and_saveexec_b64 s[2:3], vcc
	s_cbranch_execz .LBB1110_23
; %bb.22:
	v_mul_u32_u24_e32 v1, 40, v24
	s_waitcnt vmcnt(2)
	ds_read2_b64 v[2:5], v1 offset1:1
	ds_read2_b64 v[6:9], v1 offset0:2 offset1:3
	s_mov_b32 s1, 0
	s_lshl_b32 s0, s0, 6
	s_lshl_b64 s[2:3], s[0:1], 1
	s_waitcnt lgkmcnt(1)
	v_and_b32_e32 v1, 0xffff0000, v2
	v_lshlrev_b32_e32 v3, 16, v3
	v_add_f32_e32 v1, 0, v1
	v_add_f32_e32 v3, 0, v3
	v_and_b32_e32 v1, 0xffff0000, v1
	s_waitcnt vmcnt(0)
	v_and_b32_e32 v10, 0xffff0000, v4
	v_and_b32_e32 v3, 0xffff0000, v3
	v_add_f32_e32 v1, v1, v10
	v_lshlrev_b32_e32 v5, 16, v5
	v_and_b32_e32 v1, 0xffff0000, v1
	v_add_f32_e32 v3, v3, v5
	s_waitcnt lgkmcnt(0)
	v_and_b32_e32 v5, 0xffff0000, v6
	v_and_b32_e32 v3, 0xffff0000, v3
	v_add_f32_e32 v1, v1, v5
	v_lshlrev_b32_e32 v5, 16, v7
	v_and_b32_e32 v1, 0xffff0000, v1
	v_add_f32_e32 v3, v3, v5
	v_and_b32_e32 v5, 0xffff0000, v8
	v_lshlrev_b32_e32 v2, 16, v2
	v_and_b32_e32 v3, 0xffff0000, v3
	v_add_f32_e32 v1, v1, v5
	v_lshlrev_b32_e32 v5, 16, v9
	s_add_u32 s2, s26, s2
	v_add_f32_e32 v2, 0, v2
	v_add_f32_e32 v7, v3, v5
	s_addc_u32 s3, s27, s3
	s_lshl_b32 s0, s24, 6
	v_and_b32_e32 v2, 0xffff0000, v2
	v_lshlrev_b32_e32 v3, 16, v4
	s_lshl_b64 s[0:1], s[0:1], 1
	v_add_f32_e32 v2, v2, v3
	s_add_u32 s0, s2, s0
	v_and_b32_e32 v2, 0xffff0000, v2
	v_lshlrev_b32_e32 v3, 16, v6
	s_addc_u32 s1, s3, s1
	s_lshl_b32 s2, s5, 6
	v_add_f32_e32 v2, v2, v3
	v_and_b32_e32 v2, 0xffff0000, v2
	v_lshlrev_b32_e32 v3, 16, v8
	s_mul_i32 s3, s2, s4
	v_add_f32_e32 v6, v2, v3
	v_or_b32_e32 v2, s3, v0
	v_mov_b32_e32 v3, 0
	s_add_i32 s3, s3, s2
	v_lshl_add_u64 v[4:5], v[2:3], 1, s[0:1]
	v_or_b32_e32 v2, s3, v0
	s_add_i32 s3, s3, s2
	global_store_short_d16_hi v[4:5], v6, off
	v_lshl_add_u64 v[4:5], v[2:3], 1, s[0:1]
	v_or_b32_e32 v2, s3, v0
	global_store_short_d16_hi v[4:5], v1, off
	v_lshl_add_u64 v[0:1], v[2:3], 1, s[0:1]
	global_store_short_d16_hi v[0:1], v7, off
.LBB1110_23:
	s_endpgm
	.section	.rodata,"a",@progbits
	.p2align	6, 0x0
	.amdhsa_kernel _Z38paged_attention_ll4mi_QKV_mfma4_kernelI14__hip_bfloat16hLN4vllm18Fp8KVCacheDataTypeE1EhLi16ELi64ELi256ELb0ELi3EEvPKT_PKT0_S8_ifPKiSA_SA_iPKfiiiPfSD_PS3_PT2_iSC_SC_
		.amdhsa_group_segment_fixed_size 2720
		.amdhsa_private_segment_fixed_size 0
		.amdhsa_kernarg_size 400
		.amdhsa_user_sgpr_count 2
		.amdhsa_user_sgpr_dispatch_ptr 0
		.amdhsa_user_sgpr_queue_ptr 0
		.amdhsa_user_sgpr_kernarg_segment_ptr 1
		.amdhsa_user_sgpr_dispatch_id 0
		.amdhsa_user_sgpr_kernarg_preload_length 0
		.amdhsa_user_sgpr_kernarg_preload_offset 0
		.amdhsa_user_sgpr_private_segment_size 0
		.amdhsa_uses_dynamic_stack 0
		.amdhsa_enable_private_segment 0
		.amdhsa_system_sgpr_workgroup_id_x 1
		.amdhsa_system_sgpr_workgroup_id_y 1
		.amdhsa_system_sgpr_workgroup_id_z 1
		.amdhsa_system_sgpr_workgroup_info 0
		.amdhsa_system_vgpr_workitem_id 0
		.amdhsa_next_free_vgpr 80
		.amdhsa_next_free_sgpr 42
		.amdhsa_accum_offset 76
		.amdhsa_reserve_vcc 1
		.amdhsa_float_round_mode_32 0
		.amdhsa_float_round_mode_16_64 0
		.amdhsa_float_denorm_mode_32 3
		.amdhsa_float_denorm_mode_16_64 3
		.amdhsa_dx10_clamp 1
		.amdhsa_ieee_mode 1
		.amdhsa_fp16_overflow 0
		.amdhsa_tg_split 0
		.amdhsa_exception_fp_ieee_invalid_op 0
		.amdhsa_exception_fp_denorm_src 0
		.amdhsa_exception_fp_ieee_div_zero 0
		.amdhsa_exception_fp_ieee_overflow 0
		.amdhsa_exception_fp_ieee_underflow 0
		.amdhsa_exception_fp_ieee_inexact 0
		.amdhsa_exception_int_div_zero 0
	.end_amdhsa_kernel
	.section	.text._Z38paged_attention_ll4mi_QKV_mfma4_kernelI14__hip_bfloat16hLN4vllm18Fp8KVCacheDataTypeE1EhLi16ELi64ELi256ELb0ELi3EEvPKT_PKT0_S8_ifPKiSA_SA_iPKfiiiPfSD_PS3_PT2_iSC_SC_,"axG",@progbits,_Z38paged_attention_ll4mi_QKV_mfma4_kernelI14__hip_bfloat16hLN4vllm18Fp8KVCacheDataTypeE1EhLi16ELi64ELi256ELb0ELi3EEvPKT_PKT0_S8_ifPKiSA_SA_iPKfiiiPfSD_PS3_PT2_iSC_SC_,comdat
.Lfunc_end1110:
	.size	_Z38paged_attention_ll4mi_QKV_mfma4_kernelI14__hip_bfloat16hLN4vllm18Fp8KVCacheDataTypeE1EhLi16ELi64ELi256ELb0ELi3EEvPKT_PKT0_S8_ifPKiSA_SA_iPKfiiiPfSD_PS3_PT2_iSC_SC_, .Lfunc_end1110-_Z38paged_attention_ll4mi_QKV_mfma4_kernelI14__hip_bfloat16hLN4vllm18Fp8KVCacheDataTypeE1EhLi16ELi64ELi256ELb0ELi3EEvPKT_PKT0_S8_ifPKiSA_SA_iPKfiiiPfSD_PS3_PT2_iSC_SC_
                                        ; -- End function
	.section	.AMDGPU.csdata,"",@progbits
; Kernel info:
; codeLenInByte = 4148
; NumSgprs: 48
; NumVgprs: 76
; NumAgprs: 4
; TotalNumVgprs: 80
; ScratchSize: 0
; MemoryBound: 0
; FloatMode: 240
; IeeeMode: 1
; LDSByteSize: 2720 bytes/workgroup (compile time only)
; SGPRBlocks: 5
; VGPRBlocks: 9
; NumSGPRsForWavesPerEU: 48
; NumVGPRsForWavesPerEU: 80
; AccumOffset: 76
; Occupancy: 6
; WaveLimiterHint : 1
; COMPUTE_PGM_RSRC2:SCRATCH_EN: 0
; COMPUTE_PGM_RSRC2:USER_SGPR: 2
; COMPUTE_PGM_RSRC2:TRAP_HANDLER: 0
; COMPUTE_PGM_RSRC2:TGID_X_EN: 1
; COMPUTE_PGM_RSRC2:TGID_Y_EN: 1
; COMPUTE_PGM_RSRC2:TGID_Z_EN: 1
; COMPUTE_PGM_RSRC2:TIDIG_COMP_CNT: 0
; COMPUTE_PGM_RSRC3_GFX90A:ACCUM_OFFSET: 18
; COMPUTE_PGM_RSRC3_GFX90A:TG_SPLIT: 0
	.section	.text._Z38paged_attention_ll4mi_QKV_mfma4_kernelI14__hip_bfloat16hLN4vllm18Fp8KVCacheDataTypeE1EhLi16ELi64ELi256ELb0ELi4EEvPKT_PKT0_S8_ifPKiSA_SA_iPKfiiiPfSD_PS3_PT2_iSC_SC_,"axG",@progbits,_Z38paged_attention_ll4mi_QKV_mfma4_kernelI14__hip_bfloat16hLN4vllm18Fp8KVCacheDataTypeE1EhLi16ELi64ELi256ELb0ELi4EEvPKT_PKT0_S8_ifPKiSA_SA_iPKfiiiPfSD_PS3_PT2_iSC_SC_,comdat
	.protected	_Z38paged_attention_ll4mi_QKV_mfma4_kernelI14__hip_bfloat16hLN4vllm18Fp8KVCacheDataTypeE1EhLi16ELi64ELi256ELb0ELi4EEvPKT_PKT0_S8_ifPKiSA_SA_iPKfiiiPfSD_PS3_PT2_iSC_SC_ ; -- Begin function _Z38paged_attention_ll4mi_QKV_mfma4_kernelI14__hip_bfloat16hLN4vllm18Fp8KVCacheDataTypeE1EhLi16ELi64ELi256ELb0ELi4EEvPKT_PKT0_S8_ifPKiSA_SA_iPKfiiiPfSD_PS3_PT2_iSC_SC_
	.globl	_Z38paged_attention_ll4mi_QKV_mfma4_kernelI14__hip_bfloat16hLN4vllm18Fp8KVCacheDataTypeE1EhLi16ELi64ELi256ELb0ELi4EEvPKT_PKT0_S8_ifPKiSA_SA_iPKfiiiPfSD_PS3_PT2_iSC_SC_
	.p2align	8
	.type	_Z38paged_attention_ll4mi_QKV_mfma4_kernelI14__hip_bfloat16hLN4vllm18Fp8KVCacheDataTypeE1EhLi16ELi64ELi256ELb0ELi4EEvPKT_PKT0_S8_ifPKiSA_SA_iPKfiiiPfSD_PS3_PT2_iSC_SC_,@function
_Z38paged_attention_ll4mi_QKV_mfma4_kernelI14__hip_bfloat16hLN4vllm18Fp8KVCacheDataTypeE1EhLi16ELi64ELi256ELb0ELi4EEvPKT_PKT0_S8_ifPKiSA_SA_iPKfiiiPfSD_PS3_PT2_iSC_SC_: ; @_Z38paged_attention_ll4mi_QKV_mfma4_kernelI14__hip_bfloat16hLN4vllm18Fp8KVCacheDataTypeE1EhLi16ELi64ELi256ELb0ELi4EEvPKT_PKT0_S8_ifPKiSA_SA_iPKfiiiPfSD_PS3_PT2_iSC_SC_
; %bb.0:
	s_load_dwordx2 s[8:9], s[0:1], 0x30
	s_mov_b32 s24, s3
	s_mov_b64 s[6:7], 0
	s_waitcnt lgkmcnt(0)
	s_cmp_lg_u64 s[8:9], 0
	s_cselect_b64 s[10:11], -1, 0
	s_and_b64 vcc, exec, s[10:11]
	s_cbranch_vccz .LBB1111_18
; %bb.1:
	s_add_i32 s12, s2, 1
	s_mov_b32 s13, 0
	s_lshl_b64 s[14:15], s[12:13], 2
	s_add_u32 s14, s8, s14
	s_mov_b32 s3, s13
	s_addc_u32 s15, s9, s15
	s_lshl_b64 s[12:13], s[2:3], 2
	s_add_u32 s12, s8, s12
	s_addc_u32 s13, s9, s13
	s_load_dword s5, s[14:15], 0x0
	s_load_dword s16, s[12:13], 0x0
	s_mov_b64 s[34:35], s[2:3]
	s_waitcnt lgkmcnt(0)
	s_sub_i32 s5, s5, s16
	s_cmp_eq_u32 s5, 1
	s_cselect_b64 s[12:13], -1, 0
	s_andn2_b64 vcc, exec, s[6:7]
	s_cbranch_vccnz .LBB1111_3
.LBB1111_2:
	s_mov_b32 s3, 0
	s_mov_b64 s[12:13], -1
	s_mov_b64 s[34:35], s[2:3]
.LBB1111_3:
	s_andn2_b64 vcc, exec, s[12:13]
	s_cbranch_vccnz .LBB1111_17
; %bb.4:
	s_load_dword s3, s[0:1], 0x9c
	s_load_dwordx2 s[6:7], s[0:1], 0x28
	s_add_u32 s28, s0, 0x90
	s_addc_u32 s29, s1, 0
	s_lshl_b64 s[38:39], s[34:35], 2
	s_waitcnt lgkmcnt(0)
	s_and_b32 s5, s3, 0xffff
	s_add_u32 s6, s6, s38
	s_addc_u32 s7, s7, s39
	s_load_dword s3, s[6:7], 0x0
	s_mul_i32 s20, s24, s5
	s_waitcnt lgkmcnt(0)
	s_cmp_ge_i32 s20, s3
	s_cbranch_scc1 .LBB1111_17
; %bb.5:
	v_and_b32_e32 v2, 0xc0, v0
	v_add_u32_e32 v4, s20, v2
	v_lshrrev_b32_e32 v1, 6, v0
	v_cmp_gt_i32_e64 s[6:7], s3, v4
	v_cmp_le_i32_e32 vcc, s3, v4
                                        ; implicit-def: $sgpr22
                                        ; implicit-def: $sgpr21
	s_and_saveexec_b64 s[12:13], vcc
	s_xor_b64 s[12:13], exec, s[12:13]
	s_cbranch_execz .LBB1111_7
; %bb.6:
	v_mul_u32_u24_e32 v2, 20, v1
	v_or_b32_e32 v2, 0xa00, v2
	v_mov_b32_e32 v3, 0xa50
	v_mov_b32_e32 v4, 0xff7fffff
	v_mad_u32_u24 v3, v1, 20, v3
	ds_write2_b32 v2, v4, v4 offset1:1
	v_mov_b32_e32 v2, 0
	ds_write2_b32 v3, v2, v2 offset1:1
	v_mov_b32_e32 v3, 0xa08
	s_mov_b32 s21, 0xff7fffff
	s_mov_b32 s22, 0
	v_mad_u32_u24 v3, v1, 20, v3
	v_mov_b32_e32 v5, 0xa58
	v_mad_u32_u24 v5, v1, 20, v5
	ds_write2_b32 v3, v4, v4 offset1:1
	ds_write2_b32 v5, v2, v2 offset1:1
                                        ; implicit-def: $vgpr4
.LBB1111_7:
	s_or_saveexec_b64 s[30:31], s[12:13]
	s_load_dwordx2 s[26:27], s[0:1], 0x68
	s_load_dwordx4 s[16:19], s[0:1], 0x58
	s_load_dword s5, s[28:29], 0x4
	s_load_dwordx4 s[12:15], s[0:1], 0x80
	v_and_b32_e32 v24, 63, v0
	v_and_b32_e32 v22, 3, v0
	v_mov_b32_e32 v21, s22
	v_mov_b32_e32 v25, s21
	;; [unrolled: 1-line block ×5, first 2 shown]
                                        ; implicit-def: $vgpr14_vgpr15
                                        ; implicit-def: $vgpr6_vgpr7
                                        ; implicit-def: $vgpr10_vgpr11
                                        ; implicit-def: $vgpr2_vgpr3
	s_xor_b64 exec, exec, s[30:31]
	s_cbranch_execz .LBB1111_13
; %bb.8:
	s_load_dwordx2 s[22:23], s[0:1], 0x20
	s_load_dword s21, s[0:1], 0x38
	s_add_i32 s25, s3, 15
	s_ashr_i32 s33, s25, 31
	s_lshr_b32 s33, s33, 28
	v_add_u32_e32 v23, s20, v0
	s_add_i32 s25, s25, s33
	v_ashrrev_i32_e32 v2, 31, v23
	s_ashr_i32 s25, s25, 4
	v_lshrrev_b32_e32 v2, 28, v2
	s_add_i32 s25, s25, -1
	s_waitcnt lgkmcnt(0)
	s_mul_i32 s40, s2, s21
	s_mov_b32 s41, 0
	v_add_u32_e32 v2, v23, v2
	s_lshl_b64 s[36:37], s[40:41], 2
	v_ashrrev_i32_e32 v2, 4, v2
	v_mov_b32_e32 v3, s25
	v_cmp_gt_i32_e32 vcc, s3, v23
	s_add_u32 s22, s22, s36
	s_addc_u32 s23, s23, s37
	v_cndmask_b32_e32 v2, v3, v2, vcc
	v_ashrrev_i32_e32 v3, 31, v2
	v_lshl_add_u64 v[8:9], v[2:3], 2, s[22:23]
	v_ashrrev_i32_e32 v2, 31, v4
	v_lshrrev_b32_e32 v2, 28, v2
	v_add_u32_e32 v2, v4, v2
	v_ashrrev_i32_e32 v4, 4, v2
	v_min_i32_e32 v2, s25, v4
	v_ashrrev_i32_e32 v3, 31, v2
	v_lshl_add_u64 v[10:11], v[2:3], 2, s[22:23]
	v_add_u32_e32 v2, 1, v4
	v_min_i32_e32 v2, s25, v2
	v_ashrrev_i32_e32 v3, 31, v2
	v_lshl_add_u64 v[12:13], v[2:3], 2, s[22:23]
	v_add_u32_e32 v2, 2, v4
	;; [unrolled: 4-line block ×3, first 2 shown]
	v_min_i32_e32 v2, s25, v2
	v_ashrrev_i32_e32 v3, 31, v2
	v_lshl_add_u64 v[16:17], v[2:3], 2, s[22:23]
	global_load_dword v6, v[8:9], off
	global_load_dword v5, v[10:11], off
	;; [unrolled: 1-line block ×5, first 2 shown]
	s_load_dwordx4 s[20:23], s[0:1], 0x0
	s_load_dwordx2 s[36:37], s[0:1], 0x10
	s_andn2_b64 vcc, exec, s[10:11]
	s_cbranch_vccnz .LBB1111_10
; %bb.9:
	s_add_u32 s8, s8, s38
	s_addc_u32 s9, s9, s39
	s_load_dword s40, s[8:9], 0x0
	s_waitcnt lgkmcnt(0)
	s_mov_b64 s[34:35], s[40:41]
.LBB1111_10:
	s_load_dwordx4 s[8:11], s[0:1], 0x48
	s_waitcnt lgkmcnt(0)
	s_load_dword s11, s[0:1], 0x1c
                                        ; kill: killed $sgpr0 killed $sgpr1
	v_lshlrev_b32_e32 v10, 3, v22
	v_cmp_eq_u32_e32 vcc, 0, v22
	v_mov_b32_e32 v25, 0xff7fffff
	s_ashr_i32 s1, s8, 31
	s_mul_hi_u32 s25, s34, s8
	s_mul_i32 s1, s34, s1
	s_mul_i32 s33, s35, s8
	s_add_i32 s1, s25, s1
	s_mul_i32 s0, s34, s8
	s_add_i32 s1, s1, s33
	s_lshl_b64 s[0:1], s[0:1], 1
	s_add_u32 s8, s20, s0
	s_addc_u32 s20, s21, s1
	s_lshl_b32 s40, s4, 8
	s_lshl_b64 s[0:1], s[40:41], 1
	s_add_u32 s0, s8, s0
	s_addc_u32 s1, s20, s1
	s_mul_i32 s8, s4, s10
	s_add_u32 s20, s8, s22
	s_addc_u32 s21, 0, s23
	v_mov_b64_e32 v[8:9], s[20:21]
	s_waitcnt vmcnt(4)
	v_mad_i64_i32 v[6:7], s[20:21], v6, s9, v[8:9]
	v_lshlrev_b32_e32 v8, 4, v0
	v_and_b32_e32 v8, 0xf0, v8
	v_mov_b32_e32 v9, 0
	v_lshl_add_u64 v[6:7], v[6:7], 0, v[8:9]
	v_lshrrev_b32_e32 v8, 2, v24
	v_add_lshl_u32 v8, v10, v8, 4
	global_load_dwordx4 v[26:29], v[6:7], off
	global_load_dwordx4 v[30:33], v[6:7], off offset:256
	global_load_dwordx4 v[18:21], v[6:7], off offset:512
	global_load_dwordx4 v[34:37], v8, s[0:1]
	global_load_dwordx4 v[38:41], v[6:7], off offset:768
	s_waitcnt vmcnt(8)
	v_mul_hi_i32 v8, v5, s9
	s_add_u32 s20, s36, s8
	s_waitcnt vmcnt(7)
	v_mul_hi_i32 v10, v4, s9
	s_waitcnt vmcnt(6)
	v_mul_hi_i32 v11, v3, s9
	v_ashrrev_i32_e32 v13, 31, v8
	s_addc_u32 s21, s37, 0
	v_lshlrev_b32_e32 v8, 4, v24
	v_ashrrev_i32_e32 v14, 31, v10
	v_ashrrev_i32_e32 v15, 31, v11
	v_lshl_add_u64 v[10:11], s[20:21], 0, v[8:9]
	v_lshrrev_b32_e32 v8, 29, v13
	s_waitcnt vmcnt(5)
	v_mul_hi_i32 v12, v2, s9
	v_mad_i64_i32 v[6:7], s[20:21], v5, s9, v[8:9]
	v_lshrrev_b32_e32 v8, 29, v14
	v_ashrrev_i32_e32 v16, 31, v12
	v_mad_i64_i32 v[4:5], s[20:21], v4, s9, v[8:9]
	v_lshrrev_b32_e32 v8, 29, v15
	v_mad_i64_i32 v[42:43], s[20:21], v3, s9, v[8:9]
	v_lshrrev_b32_e32 v8, 29, v16
	v_mad_i64_i32 v[2:3], s[8:9], v2, s9, v[8:9]
	v_and_b32_e32 v6, -8, v6
	v_and_b32_e32 v4, -8, v4
	;; [unrolled: 1-line block ×4, first 2 shown]
	v_lshl_add_u64 v[12:13], v[10:11], 0, v[6:7]
	v_lshl_add_u64 v[4:5], v[10:11], 0, v[4:5]
	;; [unrolled: 1-line block ×4, first 2 shown]
	global_load_dwordx4 v[14:17], v[12:13], off
	global_load_dwordx4 v[6:9], v[4:5], off
	s_nop 0
	global_load_dwordx4 v[10:13], v[42:43], off
	global_load_dwordx4 v[2:5], v[44:45], off
	s_mov_b32 s0, 0x7060302
	s_waitcnt vmcnt(8)
	v_cvt_pk_f32_fp8_e32 v[42:43], v26
	v_cvt_pk_f32_fp8_sdwa v[44:45], v26 src0_sel:WORD_1
	v_cvt_pk_f32_fp8_e32 v[46:47], v27
	v_cvt_pk_f32_fp8_sdwa v[26:27], v27 src0_sel:WORD_1
	;; [unrolled: 2-line block ×3, first 2 shown]
	v_perm_b32 v42, v43, v42, s0
	v_perm_b32 v43, v45, v44, s0
	v_cvt_pk_f32_fp8_e32 v[52:53], v29
	v_cvt_pk_f32_fp8_sdwa v[28:29], v29 src0_sel:WORD_1
	s_waitcnt vmcnt(5)
	v_mfma_f32_4x4x4_16b_bf16 a[0:3], v[34:35], v[42:43], 0 cbsz:4
	v_perm_b32 v44, v47, v46, s0
	v_perm_b32 v45, v27, v26, s0
	v_cvt_pk_f32_fp8_e32 v[54:55], v30
	v_cvt_pk_f32_fp8_sdwa v[56:57], v30 src0_sel:WORD_1
	v_mfma_f32_4x4x4_16b_bf16 a[0:3], v[36:37], v[44:45], a[0:3] cbsz:4
	v_perm_b32 v26, v49, v48, s0
	v_perm_b32 v27, v51, v50, s0
	v_cvt_pk_f32_fp8_e32 v[58:59], v31
	v_cvt_pk_f32_fp8_sdwa v[30:31], v31 src0_sel:WORD_1
	v_mfma_f32_4x4x4_16b_bf16 a[0:3], v[34:35], v[26:27], a[0:3] cbsz:4 abid:1
	v_perm_b32 v46, v53, v52, s0
	v_perm_b32 v47, v29, v28, s0
	v_cvt_pk_f32_fp8_e32 v[60:61], v32
	v_cvt_pk_f32_fp8_sdwa v[62:63], v32 src0_sel:WORD_1
	v_mfma_f32_4x4x4_16b_bf16 a[0:3], v[36:37], v[46:47], a[0:3] cbsz:4 abid:1
	;; [unrolled: 5-line block ×6, first 2 shown]
	v_perm_b32 v28, v67, v66, s0
	v_perm_b32 v29, v69, v68, s0
	;; [unrolled: 1-line block ×3, first 2 shown]
	v_cvt_pk_f32_fp8_sdwa v[18:19], v21 src0_sel:WORD_1
	v_mfma_f32_4x4x4_16b_bf16 a[0:3], v[34:35], v[28:29], a[0:3] cbsz:4 abid:4
	v_cvt_pk_f32_fp8_e32 v[76:77], v21
	v_perm_b32 v26, v71, v70, s0
	v_perm_b32 v20, v73, v72, s0
	;; [unrolled: 1-line block ×3, first 2 shown]
	v_mfma_f32_4x4x4_16b_bf16 a[0:3], v[36:37], v[26:27], a[0:3] cbsz:4 abid:4
	v_perm_b32 v27, v19, v18, s0
	s_waitcnt vmcnt(4)
	v_cvt_pk_f32_fp8_e32 v[18:19], v38
	v_mfma_f32_4x4x4_16b_bf16 a[0:3], v[34:35], v[20:21], a[0:3] cbsz:4 abid:5
	v_cvt_pk_f32_fp8_sdwa v[20:21], v38 src0_sel:WORD_1
	v_perm_b32 v26, v77, v76, s0
	v_cvt_pk_f32_fp8_sdwa v[28:29], v39 src0_sel:WORD_1
	v_perm_b32 v18, v19, v18, s0
	v_mfma_f32_4x4x4_16b_bf16 a[0:3], v[36:37], v[26:27], a[0:3] cbsz:4 abid:5
	v_cvt_pk_f32_fp8_e32 v[26:27], v39
	v_perm_b32 v19, v21, v20, s0
	v_perm_b32 v21, v29, v28, s0
	v_cvt_pk_f32_fp8_sdwa v[28:29], v41 src0_sel:WORD_1
	v_mfma_f32_4x4x4_16b_bf16 a[0:3], v[34:35], v[18:19], a[0:3] cbsz:4 abid:6
	v_perm_b32 v20, v27, v26, s0
	v_cvt_pk_f32_fp8_e32 v[18:19], v40
	v_cvt_pk_f32_fp8_e32 v[26:27], v41
	v_mfma_f32_4x4x4_16b_bf16 a[0:3], v[36:37], v[20:21], a[0:3] cbsz:4 abid:6
	v_cvt_pk_f32_fp8_sdwa v[20:21], v40 src0_sel:WORD_1
	v_perm_b32 v18, v19, v18, s0
	v_perm_b32 v19, v21, v20, s0
	;; [unrolled: 1-line block ×4, first 2 shown]
	v_mfma_f32_4x4x4_16b_bf16 a[0:3], v[34:35], v[18:19], a[0:3] cbsz:4 abid:7
	s_load_dword s0, s[12:13], 0x0
	s_waitcnt lgkmcnt(0)
	v_mov_b32_e32 v18, s11
	v_mfma_f32_4x4x4_16b_bf16 a[0:3], v[36:37], v[20:21], a[0:3] cbsz:4 abid:7
	v_mul_f32_e32 v20, s0, v18
	s_nop 3
	v_accvgpr_read_b32 v27, a1
	v_accvgpr_read_b32 v26, a0
	v_pk_mul_f32 v[26:27], v[26:27], v[20:21] op_sel_hi:[1,0]
	v_accvgpr_read_b32 v19, a3
	v_accvgpr_read_b32 v18, a2
	v_pk_mul_f32 v[18:19], v[18:19], v[20:21] op_sel_hi:[1,0]
	v_cndmask_b32_e64 v20, 0, 1.0, vcc
	v_cmp_eq_u32_e32 vcc, 1, v22
	s_nop 0
	v_mfma_f32_4x4x1_16b_f32 a[0:3], v26, v20, 0
	v_cndmask_b32_e64 v20, 0, 1.0, vcc
	v_cmp_eq_u32_e32 vcc, 2, v22
	s_nop 0
	v_mfma_f32_4x4x1_16b_f32 a[0:3], v27, v20, a[0:3]
	;; [unrolled: 4-line block ×3, first 2 shown]
	v_cndmask_b32_e64 v18, 0, 1.0, vcc
	s_nop 1
	v_mfma_f32_4x4x1_16b_f32 a[0:3], v19, v18, a[0:3]
	v_and_b32_e32 v18, -4, v23
	v_cmp_gt_i32_e32 vcc, s3, v18
	v_lshlrev_b32_e32 v19, 2, v0
	v_and_or_b32 v19, v19, 48, v22
	v_accvgpr_read_b32 v20, a0
	v_max_f32_e32 v21, v20, v20
	v_max_f32_e32 v21, 0xff7fffff, v21
	v_accvgpr_read_b32 v26, a1
	v_cndmask_b32_e32 v21, v25, v21, vcc
	v_or_b32_e32 v25, 1, v18
	v_max_f32_e32 v27, v26, v26
	v_max_f32_e32 v27, v21, v27
	v_cmp_gt_i32_e64 s[0:1], s3, v25
	v_or_b32_e32 v18, 2, v18
	v_cmp_gt_i32_e64 s[8:9], s3, v18
	v_cndmask_b32_e64 v21, v21, v27, s[0:1]
	v_accvgpr_read_b32 v27, a2
	v_max_f32_e32 v25, v27, v27
	v_max_f32_e32 v25, v21, v25
	v_cndmask_b32_e64 v18, v21, v25, s[8:9]
	v_or_b32_e32 v21, 3, v23
	v_accvgpr_read_b32 v23, a3
	v_max_f32_e32 v25, v23, v23
	v_max_f32_e32 v25, v18, v25
	v_cmp_gt_i32_e64 s[10:11], s3, v21
	v_lshlrev_b32_e32 v28, 2, v19
	s_nop 0
	v_cndmask_b32_e64 v18, v18, v25, s[10:11]
	;;#ASMSTART
	v_nop
 v_nop
 v_max_f32_dpp v18, v18, v18 row_ror:4
	;;#ASMEND
	s_nop 0
	;;#ASMSTART
	v_nop
 v_nop
 v_max_f32_dpp v18, v18, v18 row_ror:8
	;;#ASMEND
	ds_bpermute_b32 v18, v28, v18
	s_waitcnt lgkmcnt(0)
	;;#ASMSTART
	v_nop
 v_nop
 v_max_f32_dpp v18, v18, v18 row_ror:4
	;;#ASMEND
	s_nop 0
	;;#ASMSTART
	v_nop
 v_nop
 v_max_f32_dpp v25, v18, v18 row_ror:8
	;;#ASMEND
	s_nop 0
	v_sub_f32_e32 v18, v20, v25
	v_mul_f32_e32 v18, 0x3fb8aa3b, v18
	v_sub_f32_e32 v19, v26, v25
	v_exp_f32_e32 v18, v18
	v_mul_f32_e32 v19, 0x3fb8aa3b, v19
	v_sub_f32_e32 v21, v27, v25
	v_exp_f32_e32 v19, v19
	;; [unrolled: 3-line block ×3, first 2 shown]
	v_mul_f32_e32 v23, 0x3fb8aa3b, v23
	v_exp_f32_e32 v23, v23
	v_cndmask_b32_e32 v18, 0, v18, vcc
	v_add_f32_e32 v20, 0, v18
	v_cndmask_b32_e64 v19, 0, v19, s[0:1]
	v_add_f32_e32 v26, v20, v19
	v_cndmask_b32_e64 v20, 0, v21, s[8:9]
	;; [unrolled: 2-line block ×3, first 2 shown]
	v_add_f32_e32 v23, v26, v21
	;;#ASMSTART
	v_nop
 v_nop
 v_add_f32_dpp v23, v23, v23 row_ror:4
	;;#ASMEND
	v_cmp_gt_u32_e32 vcc, 4, v24
	;;#ASMSTART
	v_nop
 v_nop
 v_add_f32_dpp v23, v23, v23 row_ror:8
	;;#ASMEND
	ds_bpermute_b32 v23, v28, v23
	s_waitcnt lgkmcnt(0)
	;;#ASMSTART
	v_nop
 v_nop
 v_add_f32_dpp v23, v23, v23 row_ror:4
	;;#ASMEND
	s_nop 0
	;;#ASMSTART
	v_nop
 v_nop
 v_add_f32_dpp v23, v23, v23 row_ror:8
	;;#ASMEND
	s_and_saveexec_b64 s[0:1], vcc
	s_cbranch_execz .LBB1111_12
; %bb.11:
	v_mul_u32_u24_e32 v26, 20, v1
	v_lshl_add_u32 v26, v22, 2, v26
	v_add_u32_e32 v26, 0x800, v26
	ds_write2_b32 v26, v25, v23 offset0:128 offset1:148
.LBB1111_12:
	s_or_b64 exec, exec, s[0:1]
.LBB1111_13:
	s_or_b64 exec, exec, s[30:31]
	v_lshlrev_b32_e32 v23, 2, v22
	v_add_u32_e32 v23, 0x800, v23
	s_waitcnt lgkmcnt(0)
	s_barrier
	s_load_dword s0, s[28:29], 0x8
	ds_read2_b32 v[28:29], v23 offset0:128 offset1:133
	ds_read2_b32 v[30:31], v23 offset0:138 offset1:143
	s_mov_b32 s8, 0xff7fffff
	s_mul_i32 s1, s2, s5
	s_lshl_b32 s4, s4, 2
	s_waitcnt lgkmcnt(0)
	v_max3_f32 v26, v28, s8, v29
	s_mul_i32 s1, s1, s0
	v_max3_f32 v26, v26, v30, v31
	s_lshl_b32 s0, s1, 2
	s_mov_b32 s1, 0
	v_sub_f32_e32 v27, v28, v26
	v_sub_f32_e32 v28, v29, v26
	s_lshl_b64 s[2:3], s[0:1], 2
	ds_read2_b32 v[32:33], v23 offset0:148 offset1:153
	v_mul_f32_e32 v27, 0x3fb8aa3b, v27
	v_mul_f32_e32 v28, 0x3fb8aa3b, v28
	s_mov_b32 s25, s1
	s_add_u32 s1, s16, s2
	v_exp_f32_e32 v27, v27
	v_exp_f32_e32 v34, v28
	ds_read2_b32 v[28:29], v23 offset0:158 offset1:163
	v_sub_f32_e32 v23, v30, v26
	s_addc_u32 s10, s17, s3
	v_mul_f32_e32 v23, 0x3fb8aa3b, v23
	v_sub_f32_e32 v30, v31, v26
	s_add_u32 s8, s18, s2
	v_exp_f32_e32 v23, v23
	v_mul_f32_e32 v30, 0x3fb8aa3b, v30
	s_addc_u32 s9, s19, s3
	s_lshl_b64 s[2:3], s[24:25], 2
	v_exp_f32_e32 v30, v30
	s_add_u32 s8, s8, s2
	s_waitcnt lgkmcnt(1)
	v_fma_f32 v27, v27, v32, 0
	s_addc_u32 s9, s9, s3
	v_fmac_f32_e32 v27, v34, v33
	v_or_b32_e32 v22, s4, v22
	s_waitcnt lgkmcnt(0)
	v_fmac_f32_e32 v27, v23, v28
	s_add_u32 s2, s1, s2
	v_mul_lo_u32 v22, s5, v22
	v_mov_b32_e32 v23, 0
	v_fmac_f32_e32 v27, v30, v29
	s_addc_u32 s3, s10, s3
	v_lshlrev_b64 v[28:29], 2, v[22:23]
	v_lshl_add_u64 v[30:31], s[8:9], 0, v[28:29]
	v_lshl_add_u64 v[28:29], s[2:3], 0, v[28:29]
	v_mov_b32_e32 v22, v23
	global_store_dword v[30:31], v26, off
	global_store_dword v[28:29], v27, off
	s_and_saveexec_b64 s[2:3], s[6:7]
	s_cbranch_execz .LBB1111_15
; %bb.14:
	v_add_f32_e32 v22, 0x358637bd, v27
	v_div_scale_f32 v23, s[6:7], v22, v22, 1.0
	v_rcp_f32_e32 v27, v23
	v_div_scale_f32 v28, vcc, 1.0, v22, 1.0
	v_sub_f32_e32 v25, v25, v26
	v_fma_f32 v29, -v23, v27, 1.0
	v_fmac_f32_e32 v27, v29, v27
	v_mul_f32_e32 v29, v28, v27
	v_fma_f32 v30, -v23, v29, v28
	v_mul_f32_e32 v25, 0x3fb8aa3b, v25
	v_fmac_f32_e32 v29, v30, v27
	v_exp_f32_e32 v25, v25
	v_fma_f32 v23, -v23, v29, v28
	v_div_fmas_f32 v23, v23, v27, v29
	v_div_fixup_f32 v22, v23, v22, 1.0
	v_mul_f32_e32 v22, v25, v22
	v_pk_mul_f32 v[18:19], v[18:19], v[22:23] op_sel_hi:[1,0]
	v_pk_mul_f32 v[20:21], v[20:21], v[22:23] op_sel_hi:[1,0]
	v_bfe_u32 v22, v19, 16, 1
	v_bfe_u32 v23, v18, 16, 1
	s_movk_i32 s1, 0x7fff
	v_add3_u32 v18, v18, v23, s1
	v_add3_u32 v19, v19, v22, s1
	s_mov_b32 s7, 0x7060302
	v_perm_b32 v18, v19, v18, s7
	v_bfe_u32 v19, v21, 16, 1
	v_bfe_u32 v22, v20, 16, 1
	v_add3_u32 v22, v20, v22, s1
	v_add3_u32 v19, v21, v19, s1
	s_waitcnt vmcnt(5)
	v_cvt_pk_f32_fp8_e32 v[20:21], v14
	v_perm_b32 v19, v19, v22, s7
	v_cvt_pk_f32_fp8_sdwa v[22:23], v14 src0_sel:WORD_1
	v_cvt_pk_f32_fp8_e32 v[26:27], v15
	v_perm_b32 v14, v21, v20, s7
	v_cvt_pk_f32_fp8_sdwa v[20:21], v15 src0_sel:WORD_1
	v_perm_b32 v15, v23, v22, s7
	v_perm_b32 v22, v27, v26, s7
	s_load_dword s6, s[14:15], 0x0
	v_mfma_f32_4x4x4_16b_bf16 a[0:3], v[18:19], v[14:15], 0 cbsz:4
	v_perm_b32 v23, v21, v20, s7
	v_cvt_pk_f32_fp8_e32 v[14:15], v16
	v_cvt_pk_f32_fp8_sdwa v[20:21], v16 src0_sel:WORD_1
	v_mfma_f32_4x4x4_16b_bf16 a[0:3], v[18:19], v[22:23], a[0:3] cbsz:4 abid:1
	v_cvt_pk_f32_fp8_e32 v[22:23], v17
	v_cvt_pk_f32_fp8_sdwa v[16:17], v17 src0_sel:WORD_1
	v_perm_b32 v14, v15, v14, s7
	v_perm_b32 v15, v21, v20, s7
	v_perm_b32 v20, v23, v22, s7
	v_perm_b32 v21, v17, v16, s7
	v_mfma_f32_4x4x4_16b_bf16 a[0:3], v[18:19], v[14:15], a[0:3] cbsz:4 abid:2
	s_waitcnt vmcnt(4)
	v_cvt_pk_f32_fp8_e32 v[14:15], v6
	v_cvt_pk_f32_fp8_sdwa v[16:17], v6 src0_sel:WORD_1
	v_mfma_f32_4x4x4_16b_bf16 a[0:3], v[18:19], v[20:21], a[0:3] cbsz:4 abid:3
	v_cvt_pk_f32_fp8_e32 v[20:21], v7
	v_perm_b32 v6, v15, v14, s7
	v_cvt_pk_f32_fp8_sdwa v[14:15], v7 src0_sel:WORD_1
	v_perm_b32 v7, v17, v16, s7
	v_perm_b32 v16, v21, v20, s7
	v_perm_b32 v17, v15, v14, s7
	v_mfma_f32_4x4x4_16b_bf16 a[0:3], v[18:19], v[6:7], a[0:3] cbsz:4 abid:4
	v_cvt_pk_f32_fp8_e32 v[6:7], v8
	v_cvt_pk_f32_fp8_sdwa v[14:15], v8 src0_sel:WORD_1
	v_mfma_f32_4x4x4_16b_bf16 a[0:3], v[18:19], v[16:17], a[0:3] cbsz:4 abid:5
	v_cvt_pk_f32_fp8_e32 v[16:17], v9
	v_cvt_pk_f32_fp8_sdwa v[8:9], v9 src0_sel:WORD_1
	v_perm_b32 v6, v7, v6, s7
	v_perm_b32 v7, v15, v14, s7
	;; [unrolled: 1-line block ×4, first 2 shown]
	v_mfma_f32_4x4x4_16b_bf16 a[0:3], v[18:19], v[6:7], a[0:3] cbsz:4 abid:6
	s_waitcnt vmcnt(3)
	v_cvt_pk_f32_fp8_e32 v[6:7], v10
	v_cvt_pk_f32_fp8_sdwa v[8:9], v10 src0_sel:WORD_1
	v_mfma_f32_4x4x4_16b_bf16 a[0:3], v[18:19], v[14:15], a[0:3] cbsz:4 abid:7
	v_cvt_pk_f32_fp8_e32 v[14:15], v11
	v_cvt_pk_f32_fp8_sdwa v[10:11], v11 src0_sel:WORD_1
	v_perm_b32 v6, v7, v6, s7
	v_perm_b32 v7, v9, v8, s7
	;; [unrolled: 1-line block ×4, first 2 shown]
	v_mfma_f32_4x4x4_16b_bf16 a[0:3], v[18:19], v[6:7], a[0:3] cbsz:4 abid:8
	v_cvt_pk_f32_fp8_e32 v[6:7], v12
	v_cvt_pk_f32_fp8_e32 v[10:11], v13
	v_mfma_f32_4x4x4_16b_bf16 a[0:3], v[18:19], v[8:9], a[0:3] cbsz:4 abid:9
	v_cvt_pk_f32_fp8_sdwa v[8:9], v12 src0_sel:WORD_1
	v_cvt_pk_f32_fp8_sdwa v[12:13], v13 src0_sel:WORD_1
	v_perm_b32 v6, v7, v6, s7
	v_perm_b32 v7, v9, v8, s7
	;; [unrolled: 1-line block ×3, first 2 shown]
	s_nop 0
	v_mfma_f32_4x4x4_16b_bf16 a[0:3], v[18:19], v[6:7], a[0:3] cbsz:4 abid:10
	s_waitcnt vmcnt(2)
	v_cvt_pk_f32_fp8_e32 v[6:7], v2
	v_perm_b32 v9, v13, v12, s7
	v_cvt_pk_f32_fp8_e32 v[10:11], v3
	s_nop 0
	v_mfma_f32_4x4x4_16b_bf16 a[0:3], v[18:19], v[8:9], a[0:3] cbsz:4 abid:11
	v_cvt_pk_f32_fp8_sdwa v[8:9], v2 src0_sel:WORD_1
	v_perm_b32 v2, v7, v6, s7
	v_cvt_pk_f32_fp8_sdwa v[6:7], v3 src0_sel:WORD_1
	v_perm_b32 v3, v9, v8, s7
	v_perm_b32 v8, v11, v10, s7
	s_nop 0
	v_mfma_f32_4x4x4_16b_bf16 a[0:3], v[18:19], v[2:3], a[0:3] cbsz:4 abid:12
	v_perm_b32 v9, v7, v6, s7
	v_cvt_pk_f32_fp8_e32 v[2:3], v4
	v_cvt_pk_f32_fp8_sdwa v[6:7], v4 src0_sel:WORD_1
	v_mfma_f32_4x4x4_16b_bf16 a[0:3], v[18:19], v[8:9], a[0:3] cbsz:4 abid:13
	v_cvt_pk_f32_fp8_e32 v[8:9], v5
	v_cvt_pk_f32_fp8_sdwa v[4:5], v5 src0_sel:WORD_1
	v_perm_b32 v2, v3, v2, s7
	v_perm_b32 v3, v7, v6, s7
	;; [unrolled: 1-line block ×4, first 2 shown]
	v_mfma_f32_4x4x4_16b_bf16 a[0:3], v[18:19], v[2:3], a[0:3] cbsz:4 abid:14
	s_nop 1
	v_mfma_f32_4x4x4_16b_bf16 a[0:3], v[18:19], v[6:7], a[0:3] cbsz:4 abid:15
	s_nop 4
	v_accvgpr_read_b32 v5, a1
	v_accvgpr_read_b32 v4, a0
	;; [unrolled: 1-line block ×4, first 2 shown]
	s_waitcnt lgkmcnt(0)
	v_pk_mul_f32 v[4:5], v[4:5], s[6:7] op_sel_hi:[1,0]
	v_pk_mul_f32 v[2:3], v[2:3], s[6:7] op_sel_hi:[1,0]
	v_bfe_u32 v6, v5, 16, 1
	v_bfe_u32 v7, v4, 16, 1
	v_add3_u32 v4, v4, v7, s1
	v_add3_u32 v5, v5, v6, s1
	v_bfe_u32 v6, v3, 16, 1
	v_bfe_u32 v7, v2, 16, 1
	v_add3_u32 v2, v2, v7, s1
	v_add3_u32 v3, v3, v6, s1
	v_perm_b32 v23, v3, v2, s7
	v_perm_b32 v22, v5, v4, s7
.LBB1111_15:
	s_or_b64 exec, exec, s[2:3]
	v_lshlrev_b32_e32 v1, 3, v1
	v_mad_u32_u24 v1, v24, 40, v1
	v_cmp_gt_u32_e32 vcc, 64, v0
	ds_write_b64 v1, v[22:23]
	s_waitcnt lgkmcnt(0)
	s_barrier
	s_and_saveexec_b64 s[2:3], vcc
	s_cbranch_execz .LBB1111_17
; %bb.16:
	v_mul_u32_u24_e32 v1, 40, v24
	s_waitcnt vmcnt(2)
	ds_read2_b64 v[2:5], v1 offset1:1
	ds_read2_b64 v[6:9], v1 offset0:2 offset1:3
	s_mov_b32 s1, 0
	s_lshl_b32 s0, s0, 6
	s_lshl_b64 s[2:3], s[0:1], 1
	s_waitcnt lgkmcnt(1)
	v_lshlrev_b32_e32 v1, 16, v2
	v_and_b32_e32 v2, 0xffff0000, v2
	v_add_f32_e32 v1, 0, v1
	v_add_f32_e32 v2, 0, v2
	v_lshlrev_b32_e32 v10, 16, v3
	v_and_b32_e32 v3, 0xffff0000, v3
	v_and_b32_e32 v1, 0xffff0000, v1
	;; [unrolled: 1-line block ×3, first 2 shown]
	v_add_f32_e32 v3, 0, v3
	v_lshlrev_b32_e32 v11, 16, v4
	v_and_b32_e32 v4, 0xffff0000, v4
	v_add_f32_e32 v10, 0, v10
	v_and_b32_e32 v3, 0xffff0000, v3
	v_add_f32_e32 v1, v1, v11
	v_add_f32_e32 v2, v2, v4
	v_lshlrev_b32_e32 v4, 16, v5
	v_and_b32_e32 v5, 0xffff0000, v5
	v_and_b32_e32 v10, 0xffff0000, v10
	v_and_b32_e32 v1, 0xffff0000, v1
	v_add_f32_e32 v3, v3, v5
	s_waitcnt lgkmcnt(0)
	v_lshlrev_b32_e32 v5, 16, v6
	v_and_b32_e32 v2, 0xffff0000, v2
	v_add_f32_e32 v4, v10, v4
	v_add_f32_e32 v1, v1, v5
	v_and_b32_e32 v5, 0xffff0000, v6
	v_and_b32_e32 v4, 0xffff0000, v4
	v_add_f32_e32 v2, v2, v5
	v_lshlrev_b32_e32 v5, 16, v7
	s_add_u32 s2, s26, s2
	v_and_b32_e32 v3, 0xffff0000, v3
	v_add_f32_e32 v4, v4, v5
	v_and_b32_e32 v5, 0xffff0000, v7
	s_addc_u32 s3, s27, s3
	s_lshl_b32 s0, s24, 6
	v_and_b32_e32 v1, 0xffff0000, v1
	v_add_f32_e32 v3, v3, v5
	v_lshlrev_b32_e32 v5, 16, v8
	s_lshl_b64 s[0:1], s[0:1], 1
	v_and_b32_e32 v2, 0xffff0000, v2
	v_add_f32_e32 v1, v1, v5
	v_and_b32_e32 v5, 0xffff0000, v8
	s_add_u32 s0, s2, s0
	v_and_b32_e32 v4, 0xffff0000, v4
	v_add_f32_e32 v6, v2, v5
	v_lshlrev_b32_e32 v2, 16, v9
	s_addc_u32 s1, s3, s1
	s_lshl_b32 s2, s5, 6
	v_and_b32_e32 v3, 0xffff0000, v3
	v_add_f32_e32 v7, v4, v2
	v_and_b32_e32 v2, 0xffff0000, v9
	s_mul_i32 s3, s2, s4
	v_add_f32_e32 v8, v3, v2
	v_or_b32_e32 v2, s3, v0
	v_mov_b32_e32 v3, 0
	s_add_i32 s3, s3, s2
	v_lshl_add_u64 v[4:5], v[2:3], 1, s[0:1]
	v_or_b32_e32 v2, s3, v0
	s_add_i32 s3, s3, s2
	global_store_short_d16_hi v[4:5], v1, off
	v_lshl_add_u64 v[4:5], v[2:3], 1, s[0:1]
	v_or_b32_e32 v2, s3, v0
	s_add_i32 s3, s3, s2
	global_store_short_d16_hi v[4:5], v6, off
	v_lshl_add_u64 v[4:5], v[2:3], 1, s[0:1]
	v_or_b32_e32 v2, s3, v0
	v_lshl_add_u64 v[0:1], v[2:3], 1, s[0:1]
	global_store_short_d16_hi v[4:5], v7, off
	global_store_short_d16_hi v[0:1], v8, off
.LBB1111_17:
	s_endpgm
.LBB1111_18:
	s_mov_b64 s[12:13], 0
                                        ; implicit-def: $sgpr34_sgpr35
	s_branch .LBB1111_2
	.section	.rodata,"a",@progbits
	.p2align	6, 0x0
	.amdhsa_kernel _Z38paged_attention_ll4mi_QKV_mfma4_kernelI14__hip_bfloat16hLN4vllm18Fp8KVCacheDataTypeE1EhLi16ELi64ELi256ELb0ELi4EEvPKT_PKT0_S8_ifPKiSA_SA_iPKfiiiPfSD_PS3_PT2_iSC_SC_
		.amdhsa_group_segment_fixed_size 2720
		.amdhsa_private_segment_fixed_size 0
		.amdhsa_kernarg_size 400
		.amdhsa_user_sgpr_count 2
		.amdhsa_user_sgpr_dispatch_ptr 0
		.amdhsa_user_sgpr_queue_ptr 0
		.amdhsa_user_sgpr_kernarg_segment_ptr 1
		.amdhsa_user_sgpr_dispatch_id 0
		.amdhsa_user_sgpr_kernarg_preload_length 0
		.amdhsa_user_sgpr_kernarg_preload_offset 0
		.amdhsa_user_sgpr_private_segment_size 0
		.amdhsa_uses_dynamic_stack 0
		.amdhsa_enable_private_segment 0
		.amdhsa_system_sgpr_workgroup_id_x 1
		.amdhsa_system_sgpr_workgroup_id_y 1
		.amdhsa_system_sgpr_workgroup_id_z 1
		.amdhsa_system_sgpr_workgroup_info 0
		.amdhsa_system_vgpr_workitem_id 0
		.amdhsa_next_free_vgpr 84
		.amdhsa_next_free_sgpr 42
		.amdhsa_accum_offset 80
		.amdhsa_reserve_vcc 1
		.amdhsa_float_round_mode_32 0
		.amdhsa_float_round_mode_16_64 0
		.amdhsa_float_denorm_mode_32 3
		.amdhsa_float_denorm_mode_16_64 3
		.amdhsa_dx10_clamp 1
		.amdhsa_ieee_mode 1
		.amdhsa_fp16_overflow 0
		.amdhsa_tg_split 0
		.amdhsa_exception_fp_ieee_invalid_op 0
		.amdhsa_exception_fp_denorm_src 0
		.amdhsa_exception_fp_ieee_div_zero 0
		.amdhsa_exception_fp_ieee_overflow 0
		.amdhsa_exception_fp_ieee_underflow 0
		.amdhsa_exception_fp_ieee_inexact 0
		.amdhsa_exception_int_div_zero 0
	.end_amdhsa_kernel
	.section	.text._Z38paged_attention_ll4mi_QKV_mfma4_kernelI14__hip_bfloat16hLN4vllm18Fp8KVCacheDataTypeE1EhLi16ELi64ELi256ELb0ELi4EEvPKT_PKT0_S8_ifPKiSA_SA_iPKfiiiPfSD_PS3_PT2_iSC_SC_,"axG",@progbits,_Z38paged_attention_ll4mi_QKV_mfma4_kernelI14__hip_bfloat16hLN4vllm18Fp8KVCacheDataTypeE1EhLi16ELi64ELi256ELb0ELi4EEvPKT_PKT0_S8_ifPKiSA_SA_iPKfiiiPfSD_PS3_PT2_iSC_SC_,comdat
.Lfunc_end1111:
	.size	_Z38paged_attention_ll4mi_QKV_mfma4_kernelI14__hip_bfloat16hLN4vllm18Fp8KVCacheDataTypeE1EhLi16ELi64ELi256ELb0ELi4EEvPKT_PKT0_S8_ifPKiSA_SA_iPKfiiiPfSD_PS3_PT2_iSC_SC_, .Lfunc_end1111-_Z38paged_attention_ll4mi_QKV_mfma4_kernelI14__hip_bfloat16hLN4vllm18Fp8KVCacheDataTypeE1EhLi16ELi64ELi256ELb0ELi4EEvPKT_PKT0_S8_ifPKiSA_SA_iPKfiiiPfSD_PS3_PT2_iSC_SC_
                                        ; -- End function
	.section	.AMDGPU.csdata,"",@progbits
; Kernel info:
; codeLenInByte = 4204
; NumSgprs: 48
; NumVgprs: 78
; NumAgprs: 4
; TotalNumVgprs: 84
; ScratchSize: 0
; MemoryBound: 0
; FloatMode: 240
; IeeeMode: 1
; LDSByteSize: 2720 bytes/workgroup (compile time only)
; SGPRBlocks: 5
; VGPRBlocks: 10
; NumSGPRsForWavesPerEU: 48
; NumVGPRsForWavesPerEU: 84
; AccumOffset: 80
; Occupancy: 5
; WaveLimiterHint : 1
; COMPUTE_PGM_RSRC2:SCRATCH_EN: 0
; COMPUTE_PGM_RSRC2:USER_SGPR: 2
; COMPUTE_PGM_RSRC2:TRAP_HANDLER: 0
; COMPUTE_PGM_RSRC2:TGID_X_EN: 1
; COMPUTE_PGM_RSRC2:TGID_Y_EN: 1
; COMPUTE_PGM_RSRC2:TGID_Z_EN: 1
; COMPUTE_PGM_RSRC2:TIDIG_COMP_CNT: 0
; COMPUTE_PGM_RSRC3_GFX90A:ACCUM_OFFSET: 19
; COMPUTE_PGM_RSRC3_GFX90A:TG_SPLIT: 0
	.section	.text._Z39paged_attention_ll4mi_QKV_mfma16_kernelI14__hip_bfloat16hLN4vllm18Fp8KVCacheDataTypeE1EhLi16ELi64ELi256ELb0ELi5EEvPKT_PKT0_S8_ifPKiSA_SA_iPKfiiiPfSD_PS3_PT2_iSC_SC_,"axG",@progbits,_Z39paged_attention_ll4mi_QKV_mfma16_kernelI14__hip_bfloat16hLN4vllm18Fp8KVCacheDataTypeE1EhLi16ELi64ELi256ELb0ELi5EEvPKT_PKT0_S8_ifPKiSA_SA_iPKfiiiPfSD_PS3_PT2_iSC_SC_,comdat
	.protected	_Z39paged_attention_ll4mi_QKV_mfma16_kernelI14__hip_bfloat16hLN4vllm18Fp8KVCacheDataTypeE1EhLi16ELi64ELi256ELb0ELi5EEvPKT_PKT0_S8_ifPKiSA_SA_iPKfiiiPfSD_PS3_PT2_iSC_SC_ ; -- Begin function _Z39paged_attention_ll4mi_QKV_mfma16_kernelI14__hip_bfloat16hLN4vllm18Fp8KVCacheDataTypeE1EhLi16ELi64ELi256ELb0ELi5EEvPKT_PKT0_S8_ifPKiSA_SA_iPKfiiiPfSD_PS3_PT2_iSC_SC_
	.globl	_Z39paged_attention_ll4mi_QKV_mfma16_kernelI14__hip_bfloat16hLN4vllm18Fp8KVCacheDataTypeE1EhLi16ELi64ELi256ELb0ELi5EEvPKT_PKT0_S8_ifPKiSA_SA_iPKfiiiPfSD_PS3_PT2_iSC_SC_
	.p2align	8
	.type	_Z39paged_attention_ll4mi_QKV_mfma16_kernelI14__hip_bfloat16hLN4vllm18Fp8KVCacheDataTypeE1EhLi16ELi64ELi256ELb0ELi5EEvPKT_PKT0_S8_ifPKiSA_SA_iPKfiiiPfSD_PS3_PT2_iSC_SC_,@function
_Z39paged_attention_ll4mi_QKV_mfma16_kernelI14__hip_bfloat16hLN4vllm18Fp8KVCacheDataTypeE1EhLi16ELi64ELi256ELb0ELi5EEvPKT_PKT0_S8_ifPKiSA_SA_iPKfiiiPfSD_PS3_PT2_iSC_SC_: ; @_Z39paged_attention_ll4mi_QKV_mfma16_kernelI14__hip_bfloat16hLN4vllm18Fp8KVCacheDataTypeE1EhLi16ELi64ELi256ELb0ELi5EEvPKT_PKT0_S8_ifPKiSA_SA_iPKfiiiPfSD_PS3_PT2_iSC_SC_
; %bb.0:
	s_load_dwordx2 s[12:13], s[0:1], 0x30
	s_mov_b32 s28, s3
	s_mov_b64 s[6:7], 0
	s_waitcnt lgkmcnt(0)
	s_cmp_lg_u64 s[12:13], 0
	s_cselect_b64 s[14:15], -1, 0
	s_and_b64 vcc, exec, s[14:15]
	s_cbranch_vccz .LBB1112_7
; %bb.1:
	s_add_i32 s8, s2, 1
	s_mov_b32 s9, 0
	s_lshl_b64 s[10:11], s[8:9], 2
	s_add_u32 s10, s12, s10
	s_mov_b32 s3, s9
	s_addc_u32 s11, s13, s11
	s_lshl_b64 s[8:9], s[2:3], 2
	s_add_u32 s8, s12, s8
	s_addc_u32 s9, s13, s9
	s_load_dword s5, s[10:11], 0x0
	s_load_dword s16, s[8:9], 0x0
	s_waitcnt lgkmcnt(0)
	s_sub_i32 s5, s5, s16
	s_cmp_eq_u32 s5, 1
	s_cselect_b64 s[8:9], -1, 0
	s_andn2_b64 vcc, exec, s[6:7]
	s_cbranch_vccnz .LBB1112_3
.LBB1112_2:
	s_mov_b32 s3, 0
	s_mov_b64 s[8:9], -1
.LBB1112_3:
	s_andn2_b64 vcc, exec, s[8:9]
	s_cbranch_vccnz .LBB1112_18
; %bb.4:
	s_load_dwordx2 s[6:7], s[0:1], 0x28
	s_lshl_b64 s[16:17], s[2:3], 2
	s_waitcnt lgkmcnt(0)
	s_add_u32 s6, s6, s16
	s_addc_u32 s7, s7, s17
	s_load_dword s33, s[6:7], 0x0
	s_lshl_b32 s5, s28, 8
	s_waitcnt lgkmcnt(0)
	s_cmp_ge_i32 s5, s33
	s_cbranch_scc1 .LBB1112_18
; %bb.5:
	s_add_i32 s9, s33, 15
	s_load_dwordx2 s[6:7], s[0:1], 0x20
	s_load_dword s8, s[0:1], 0x38
	s_ashr_i32 s10, s9, 31
	v_and_b32_e32 v1, 0xcf, v0
	s_lshr_b32 s10, s10, 28
	v_add_u32_e32 v1, s5, v1
	s_add_i32 s9, s9, s10
	v_ashrrev_i32_e32 v2, 31, v1
	s_ashr_i32 s18, s9, 4
	v_lshrrev_b32_e32 v6, 28, v2
	s_add_i32 s18, s18, -1
	v_add_u32_e32 v2, v1, v6
	v_or_b32_e32 v4, 16, v1
	s_waitcnt lgkmcnt(0)
	s_mul_i32 s8, s2, s8
	s_mov_b32 s9, 0
	v_ashrrev_i32_e32 v2, 4, v2
	v_mov_b32_e32 v7, s18
	v_cmp_gt_i32_e32 vcc, s33, v1
	v_add_u32_e32 v5, v4, v6
	s_lshl_b64 s[8:9], s[8:9], 2
	v_cndmask_b32_e32 v2, v7, v2, vcc
	v_ashrrev_i32_e32 v5, 4, v5
	v_cmp_gt_i32_e32 vcc, s33, v4
	s_add_u32 s6, s6, s8
	s_addc_u32 s7, s7, s9
	v_cndmask_b32_e32 v4, v7, v5, vcc
	v_ashrrev_i32_e32 v5, 31, v4
	v_lshl_add_u64 v[8:9], v[4:5], 2, s[6:7]
	v_or_b32_e32 v4, 32, v1
	v_add_u32_e32 v5, v4, v6
	v_ashrrev_i32_e32 v5, 4, v5
	v_cmp_gt_i32_e32 vcc, s33, v4
	v_or_b32_e32 v1, 48, v1
	v_ashrrev_i32_e32 v3, 31, v2
	v_cndmask_b32_e32 v4, v7, v5, vcc
	v_ashrrev_i32_e32 v5, 31, v4
	v_lshl_add_u64 v[10:11], v[4:5], 2, s[6:7]
	v_add_u32_e32 v4, v1, v6
	v_ashrrev_i32_e32 v4, 4, v4
	v_cmp_gt_i32_e32 vcc, s33, v1
	v_lshl_add_u64 v[2:3], v[2:3], 2, s[6:7]
	s_load_dwordx4 s[8:11], s[0:1], 0x8
	v_cndmask_b32_e32 v4, v7, v4, vcc
	v_ashrrev_i32_e32 v5, 31, v4
	v_lshl_add_u64 v[12:13], v[4:5], 2, s[6:7]
	global_load_dword v7, v[2:3], off
	global_load_dword v6, v[8:9], off
	;; [unrolled: 1-line block ×4, first 2 shown]
	s_andn2_b64 vcc, exec, s[14:15]
	s_cbranch_vccnz .LBB1112_8
; %bb.6:
	s_add_u32 s12, s12, s16
	s_addc_u32 s13, s13, s17
	s_load_dword s14, s[12:13], 0x0
	s_branch .LBB1112_9
.LBB1112_7:
	s_mov_b64 s[8:9], 0
	s_branch .LBB1112_2
.LBB1112_8:
	s_mov_b32 s14, s2
.LBB1112_9:
	s_load_dwordx4 s[44:47], s[0:1], 0x48
	v_lshrrev_b32_e32 v29, 6, v0
	v_bfe_u32 v42, v0, 4, 2
	v_lshl_or_b32 v2, v29, 2, v42
	v_and_b32_e32 v28, 15, v0
	v_lshlrev_b32_e32 v1, 3, v28
	v_cmp_gt_u32_e32 vcc, 5, v2
	v_cmp_gt_u32_e64 s[30:31], 8, v28
	v_and_b32_e32 v43, 63, v0
	s_mul_i32 s48, s4, 5
	s_and_b64 s[16:17], s[30:31], vcc
	v_lshlrev_b32_e32 v26, 1, v1
	v_lshlrev_b32_e32 v1, 4, v0
	s_and_saveexec_b64 s[12:13], s[16:17]
	s_cbranch_execz .LBB1112_11
; %bb.10:
	s_load_dwordx2 s[16:17], s[0:1], 0x0
	s_waitcnt lgkmcnt(0)
	s_ashr_i32 s15, s44, 31
	s_mul_hi_u32 s19, s14, s44
	s_mul_i32 s15, s14, s15
	s_add_i32 s15, s19, s15
	s_mul_i32 s14, s14, s44
	s_lshl_b64 s[14:15], s[14:15], 1
	s_add_u32 s14, s16, s14
	v_add_lshl_u32 v8, v2, s48, 6
	s_addc_u32 s15, s17, s15
	v_ashrrev_i32_e32 v9, 31, v8
	v_lshl_add_u64 v[8:9], v[8:9], 1, s[14:15]
	v_mov_b32_e32 v27, 0
	v_lshl_add_u64 v[8:9], v[8:9], 0, v[26:27]
	global_load_dwordx4 v[8:11], v[8:9], off
	v_lshlrev_b32_e32 v12, 8, v28
	v_lshlrev_b32_e32 v2, 5, v2
	v_and_b32_e32 v3, 16, v1
	v_and_b32_e32 v12, 0xe00, v12
	v_or3_b32 v2, v12, v2, v3
	s_waitcnt vmcnt(0)
	ds_write_b128 v2, v[8:11]
.LBB1112_11:
	s_or_b64 exec, exec, s[12:13]
	s_waitcnt lgkmcnt(0)
	s_mul_i32 s4, s4, s46
	s_add_u32 s8, s8, s4
	s_addc_u32 s9, s9, 0
	v_and_b32_e32 v10, 48, v0
	v_and_b32_e32 v30, 0xf0, v1
	v_mov_b32_e32 v31, 0
	v_lshl_add_u64 v[2:3], s[8:9], 0, v[30:31]
	v_lshlrev_b32_e32 v30, 4, v10
	v_lshl_add_u64 v[2:3], v[2:3], 0, v[30:31]
	v_or_b32_e32 v12, s5, v10
	s_waitcnt vmcnt(3)
	v_mad_i64_i32 v[8:9], s[8:9], v7, s45, v[2:3]
	v_ashrrev_i32_e32 v7, 4, v12
	v_mov_b32_e32 v13, s18
	v_cmp_gt_i32_e32 vcc, s33, v12
	s_load_dword s29, s[0:1], 0x98
	s_load_dwordx4 s[40:43], s[0:1], 0x80
	v_cndmask_b32_e32 v10, v13, v7, vcc
	v_ashrrev_i32_e32 v11, 31, v10
	v_lshl_add_u64 v[10:11], v[10:11], 2, s[6:7]
	s_waitcnt lgkmcnt(0)
	s_barrier
	global_load_dword v38, v[10:11], off
	global_load_dwordx4 v[22:25], v[8:9], off
	s_waitcnt vmcnt(4)
	v_mad_i64_i32 v[6:7], s[8:9], v6, s45, v[2:3]
	global_load_dwordx4 v[18:21], v[6:7], off
	s_waitcnt vmcnt(4)
	v_mad_i64_i32 v[6:7], s[8:9], v5, s45, v[2:3]
	global_load_dwordx4 v[14:17], v[6:7], off
	v_mul_lo_u16_e32 v8, 52, v28
	v_mov_b32_e32 v9, 5
	v_mul_lo_u16_sdwa v5, v8, v9 dst_sel:DWORD dst_unused:UNUSED_PAD src0_sel:BYTE_1 src1_sel:DWORD
	v_sub_u16_e32 v5, v28, v5
	v_or_b32_e32 v6, 64, v12
	v_or_b32_e32 v7, 0x80, v12
	v_lshlrev_b32_sdwa v5, v9, v5 dst_sel:DWORD dst_unused:UNUSED_PAD src0_sel:DWORD src1_sel:BYTE_0
	v_ashrrev_i32_e32 v9, 4, v6
	s_add_u32 s8, s10, s4
	v_cmp_gt_i32_e32 vcc, s33, v6
	v_or_b32_e32 v8, 0xc0, v12
	v_ashrrev_i32_e32 v11, 4, v7
	v_cndmask_b32_e32 v32, v13, v9, vcc
	v_cmp_gt_i32_e32 vcc, s33, v7
	s_addc_u32 s9, s11, 0
	s_waitcnt vmcnt(4)
	v_mad_i64_i32 v[2:3], s[10:11], v4, s45, v[2:3]
	v_ashrrev_i32_e32 v12, 4, v8
	v_cndmask_b32_e32 v34, v13, v11, vcc
	v_cmp_gt_i32_e32 vcc, s33, v8
	global_load_dwordx4 v[6:9], v[2:3], off
	v_ashrrev_i32_e32 v33, 31, v32
	v_cndmask_b32_e32 v36, v13, v12, vcc
	v_ashrrev_i32_e32 v35, 31, v34
	v_ashrrev_i32_e32 v37, 31, v36
	v_lshlrev_b32_e32 v10, 4, v28
	v_lshl_add_u32 v5, v42, 9, v5
	v_lshl_add_u64 v[32:33], v[32:33], 2, s[6:7]
	v_lshl_add_u64 v[34:35], v[34:35], 2, s[6:7]
	;; [unrolled: 1-line block ×3, first 2 shown]
	v_lshl_or_b32 v30, v29, 8, v10
	ds_read_b128 v[10:13], v5
	ds_read_b128 v[2:5], v5 offset:16
	s_load_dword s4, s[40:41], 0x0
	global_load_dword v45, v[32:33], off
	global_load_dword v27, v[34:35], off
	;; [unrolled: 1-line block ×3, first 2 shown]
	s_mov_b32 s44, 0x7060302
	v_lshl_add_u64 v[30:31], s[8:9], 0, v[30:31]
	s_load_dword s12, s[0:1], 0x1c
	s_mov_b32 s46, 0xff7fffff
	s_waitcnt vmcnt(7)
	v_mad_i64_i32 v[32:33], s[6:7], v38, s45, v[30:31]
	s_waitcnt vmcnt(6)
	v_cvt_pk_f32_fp8_e32 v[34:35], v22
	v_cvt_pk_f32_fp8_sdwa v[36:37], v22 src0_sel:WORD_1
	v_cvt_pk_f32_fp8_e32 v[38:39], v23
	v_cvt_pk_f32_fp8_sdwa v[40:41], v23 src0_sel:WORD_1
	v_perm_b32 v34, v35, v34, s44
	v_perm_b32 v35, v37, v36, s44
	s_waitcnt vmcnt(5)
	v_cvt_pk_f32_fp8_e32 v[22:23], v18
	v_cvt_pk_f32_fp8_e32 v[46:47], v24
	v_cvt_pk_f32_fp8_sdwa v[48:49], v24 src0_sel:WORD_1
	v_perm_b32 v38, v39, v38, s44
	v_perm_b32 v39, v41, v40, s44
	v_cvt_pk_f32_fp8_e32 v[50:51], v25
	v_cvt_pk_f32_fp8_sdwa v[52:53], v18 src0_sel:WORD_1
	v_cvt_pk_f32_fp8_sdwa v[54:55], v25 src0_sel:WORD_1
	v_perm_b32 v36, v23, v22, s44
	s_waitcnt lgkmcnt(0)
	v_mfma_f32_16x16x16_bf16 v[22:25], v[34:35], v[10:11], 0
	v_perm_b32 v40, v47, v46, s44
	v_perm_b32 v41, v49, v48, s44
	v_cvt_pk_f32_fp8_e32 v[56:57], v19
	v_perm_b32 v37, v53, v52, s44
	v_cvt_pk_f32_fp8_sdwa v[18:19], v19 src0_sel:WORD_1
	v_mfma_f32_16x16x16_bf16 v[22:25], v[38:39], v[12:13], v[22:25]
	v_perm_b32 v38, v51, v50, s44
	v_perm_b32 v39, v55, v54, s44
	v_cvt_pk_f32_fp8_e32 v[52:53], v20
	v_cvt_pk_f32_fp8_sdwa v[46:47], v20 src0_sel:WORD_1
	v_mfma_f32_16x16x16_bf16 v[22:25], v[40:41], v[2:3], v[22:25]
	v_perm_b32 v50, v57, v56, s44
	v_perm_b32 v51, v19, v18, s44
	v_cvt_pk_f32_fp8_e32 v[48:49], v21
	v_mfma_f32_16x16x16_bf16 v[34:37], v[36:37], v[10:11], 0
	v_mfma_f32_16x16x16_bf16 v[38:41], v[38:39], v[4:5], v[22:25]
	s_nop 2
	v_cvt_pk_f32_fp8_sdwa v[22:23], v21 src0_sel:WORD_1
	v_perm_b32 v24, v53, v52, s44
	v_perm_b32 v25, v47, v46, s44
	v_mfma_f32_16x16x16_bf16 v[18:21], v[50:51], v[12:13], v[34:37]
	s_waitcnt vmcnt(4)
	v_cvt_pk_f32_fp8_sdwa v[46:47], v14 src0_sel:WORD_1
	v_cvt_pk_f32_fp8_sdwa v[50:51], v17 src0_sel:WORD_1
	v_perm_b32 v34, v49, v48, s44
	v_perm_b32 v35, v23, v22, s44
	v_mfma_f32_16x16x16_bf16 v[18:21], v[24:25], v[2:3], v[18:21]
	v_cvt_pk_f32_fp8_e32 v[22:23], v14
	v_mov_b32_e32 v36, s12
	v_mul_f32_e32 v24, s4, v36
	v_mfma_f32_16x16x16_bf16 v[34:37], v[34:35], v[4:5], v[18:21]
	v_cvt_pk_f32_fp8_sdwa v[48:49], v16 src0_sel:WORD_1
	s_nop 1
	v_cvt_pk_f32_fp8_e32 v[18:19], v15
	v_perm_b32 v20, v23, v22, s44
	v_perm_b32 v21, v47, v46, s44
	v_cvt_pk_f32_fp8_sdwa v[14:15], v15 src0_sel:WORD_1
	v_perm_b32 v22, v19, v18, s44
	v_cvt_pk_f32_fp8_e32 v[46:47], v16
	v_mfma_f32_16x16x16_bf16 v[18:21], v[20:21], v[10:11], 0
	v_perm_b32 v23, v15, v14, s44
	v_perm_b32 v46, v47, v46, s44
	;; [unrolled: 1-line block ×3, first 2 shown]
	v_cvt_pk_f32_fp8_e32 v[48:49], v17
	v_mfma_f32_16x16x16_bf16 v[14:17], v[22:23], v[12:13], v[18:21]
	v_pk_mul_f32 v[22:23], v[24:25], v[40:41] op_sel_hi:[0,1]
	s_waitcnt vmcnt(3)
	v_cvt_pk_f32_fp8_sdwa v[40:41], v6 src0_sel:WORD_1
	v_perm_b32 v18, v49, v48, s44
	v_perm_b32 v19, v51, v50, s44
	v_mfma_f32_16x16x16_bf16 v[14:17], v[46:47], v[2:3], v[14:17]
	v_pk_mul_f32 v[20:21], v[24:25], v[38:39] op_sel_hi:[0,1]
	v_cvt_pk_f32_fp8_e32 v[38:39], v6
	v_cvt_pk_f32_fp8_e32 v[46:47], v8
	v_mfma_f32_16x16x16_bf16 v[14:17], v[18:19], v[4:5], v[14:17]
	v_cvt_pk_f32_fp8_e32 v[18:19], v7
	v_perm_b32 v38, v39, v38, s44
	v_perm_b32 v39, v41, v40, s44
	v_cvt_pk_f32_fp8_sdwa v[6:7], v7 src0_sel:WORD_1
	v_perm_b32 v18, v19, v18, s44
	v_cvt_pk_f32_fp8_sdwa v[48:49], v8 src0_sel:WORD_1
	v_mfma_f32_16x16x16_bf16 v[38:41], v[38:39], v[10:11], 0
	v_perm_b32 v19, v7, v6, s44
	v_perm_b32 v10, v47, v46, s44
	;; [unrolled: 1-line block ×3, first 2 shown]
	v_cvt_pk_f32_fp8_e32 v[46:47], v9
	v_cvt_pk_f32_fp8_sdwa v[48:49], v9 src0_sel:WORD_1
	v_mfma_f32_16x16x16_bf16 v[6:9], v[18:19], v[12:13], v[38:41]
	v_pk_mul_f32 v[36:37], v[24:25], v[36:37] op_sel_hi:[0,1]
	v_perm_b32 v12, v47, v46, s44
	v_perm_b32 v13, v49, v48, s44
	v_mfma_f32_16x16x16_bf16 v[6:9], v[10:11], v[2:3], v[6:9]
	v_pk_mul_f32 v[40:41], v[24:25], v[34:35] op_sel_hi:[0,1]
	v_pk_mul_f32 v[34:35], v[24:25], v[16:17] op_sel_hi:[0,1]
	;; [unrolled: 1-line block ×3, first 2 shown]
	v_mfma_f32_16x16x16_bf16 v[2:5], v[12:13], v[4:5], v[6:9]
	s_nop 6
	v_pk_mul_f32 v[18:19], v[24:25], v[4:5] op_sel_hi:[0,1]
	v_pk_mul_f32 v[24:25], v[24:25], v[2:3] op_sel_hi:[0,1]
	v_and_b32_e32 v2, 0xc0, v0
	v_add_u32_e32 v2, s5, v2
	v_lshl_or_b32 v2, v42, 2, v2
	v_or_b32_e32 v5, 1, v2
	v_mov_b32_e32 v3, 0xff7fffff
	v_cmp_gt_i32_e64 s[4:5], s33, v2
	v_cmp_gt_i32_e64 s[34:35], s33, v5
	v_or_b32_e32 v6, 3, v2
	v_cndmask_b32_e64 v4, v3, v20, s[4:5]
	v_cndmask_b32_e64 v5, v3, v21, s[34:35]
	v_max3_f32 v4, v4, s46, v5
	v_or_b32_e32 v5, 2, v2
	v_cmp_gt_i32_e64 s[36:37], s33, v5
	v_cmp_gt_i32_e64 s[38:39], s33, v6
	s_nop 0
	v_cndmask_b32_e64 v5, v3, v22, s[36:37]
	v_cndmask_b32_e64 v6, v3, v23, s[38:39]
	v_max3_f32 v4, v4, v5, v6
	v_or_b32_e32 v5, 16, v2
	v_or_b32_e32 v6, 17, v2
	v_cmp_gt_i32_e64 s[24:25], s33, v5
	v_cmp_gt_i32_e64 s[26:27], s33, v6
	s_nop 0
	v_cndmask_b32_e64 v5, v3, v40, s[24:25]
	v_cndmask_b32_e64 v6, v3, v41, s[26:27]
	v_max3_f32 v4, v4, v5, v6
	v_or_b32_e32 v5, 18, v2
	;; [unrolled: 8-line block ×6, first 2 shown]
	v_or_b32_e32 v2, 51, v2
	v_cmp_gt_i32_e32 vcc, s33, v5
	v_cmp_gt_i32_e64 s[6:7], s33, v2
	s_nop 0
	v_cndmask_b32_e32 v5, v3, v18, vcc
	v_cndmask_b32_e64 v2, v3, v19, s[6:7]
	v_max3_f32 v4, v4, v5, v2
	v_mbcnt_lo_u32_b32 v2, -1, 0
	v_mbcnt_hi_u32_b32 v5, -1, v2
	v_and_b32_e32 v2, 64, v5
	v_add_u32_e32 v6, 64, v2
	v_xor_b32_e32 v2, 32, v5
	v_cmp_lt_i32_e64 s[40:41], v2, v6
	s_nop 1
	v_cndmask_b32_e64 v2, v5, v2, s[40:41]
	v_lshlrev_b32_e32 v46, 2, v2
	ds_bpermute_b32 v7, v46, v4
	s_waitcnt vmcnt(2)
	v_mad_i64_i32 v[2:3], s[40:41], v45, s45, v[30:31]
	global_load_dwordx4 v[14:17], v[32:33], off
	global_load_dwordx4 v[10:13], v[2:3], off
	v_xor_b32_e32 v3, 16, v5
	v_cmp_lt_i32_e64 s[40:41], v3, v6
	s_waitcnt lgkmcnt(0)
	v_max_f32_e32 v2, v7, v7
	v_max_f32_e32 v2, v4, v2
	v_cndmask_b32_e64 v3, v5, v3, s[40:41]
	v_lshlrev_b32_e32 v45, 2, v3
	ds_bpermute_b32 v3, v45, v2
	s_waitcnt vmcnt(3)
	v_mad_i64_i32 v[32:33], s[40:41], v27, s45, v[30:31]
	s_waitcnt vmcnt(2)
	v_mad_i64_i32 v[30:31], s[40:41], v44, s45, v[30:31]
	s_waitcnt lgkmcnt(0)
	v_max_f32_e32 v3, v3, v3
	v_max_f32_e32 v27, v2, v3
	v_sub_f32_e32 v2, v20, v27
	v_mul_f32_e32 v2, 0x3fb8aa3b, v2
	v_exp_f32_e32 v20, v2
	v_sub_f32_e32 v2, v21, v27
	v_mul_f32_e32 v2, 0x3fb8aa3b, v2
	v_exp_f32_e32 v21, v2
	global_load_dwordx4 v[6:9], v[32:33], off
	global_load_dwordx4 v[2:5], v[30:31], off
	v_sub_f32_e32 v22, v22, v27
	v_mul_f32_e32 v22, 0x3fb8aa3b, v22
	v_sub_f32_e32 v23, v23, v27
	v_exp_f32_e32 v22, v22
	v_mul_f32_e32 v23, 0x3fb8aa3b, v23
	v_exp_f32_e32 v23, v23
	v_cndmask_b32_e64 v20, 0, v20, s[4:5]
	v_add_f32_e32 v30, 0, v20
	v_cndmask_b32_e64 v21, 0, v21, s[34:35]
	v_add_f32_e32 v30, v30, v21
	;; [unrolled: 2-line block ×3, first 2 shown]
	v_cndmask_b32_e64 v33, 0, v23, s[38:39]
	v_sub_f32_e32 v23, v40, v27
	v_sub_f32_e32 v30, v41, v27
	v_mul_f32_e32 v23, 0x3fb8aa3b, v23
	v_mul_f32_e32 v30, 0x3fb8aa3b, v30
	v_exp_f32_e32 v23, v23
	v_exp_f32_e32 v30, v30
	v_add_f32_e32 v31, v22, v33
	v_sub_f32_e32 v34, v34, v27
	v_cndmask_b32_e64 v22, 0, v23, s[24:25]
	v_cndmask_b32_e64 v23, 0, v30, s[26:27]
	v_sub_f32_e32 v30, v36, v27
	v_mul_f32_e32 v30, 0x3fb8aa3b, v30
	v_exp_f32_e32 v30, v30
	v_sub_f32_e32 v36, v37, v27
	v_add_f32_e32 v31, v31, v22
	v_mul_f32_e32 v36, 0x3fb8aa3b, v36
	v_exp_f32_e32 v37, v36
	v_add_f32_e32 v31, v31, v23
	v_cndmask_b32_e64 v36, 0, v30, s[20:21]
	v_add_f32_e32 v30, v31, v36
	v_sub_f32_e32 v31, v38, v27
	v_mul_f32_e32 v31, 0x3fb8aa3b, v31
	v_sub_f32_e32 v38, v39, v27
	v_exp_f32_e32 v31, v31
	v_mul_f32_e32 v38, 0x3fb8aa3b, v38
	v_exp_f32_e32 v38, v38
	v_mul_f32_e32 v34, 0x3fb8aa3b, v34
	v_sub_f32_e32 v35, v35, v27
	v_exp_f32_e32 v34, v34
	v_mul_f32_e32 v35, 0x3fb8aa3b, v35
	v_sub_f32_e32 v24, v24, v27
	v_cndmask_b32_e64 v37, 0, v37, s[22:23]
	v_exp_f32_e32 v35, v35
	v_mul_f32_e32 v24, 0x3fb8aa3b, v24
	v_sub_f32_e32 v25, v25, v27
	v_add_f32_e32 v39, v30, v37
	v_cndmask_b32_e64 v30, 0, v31, s[16:17]
	v_exp_f32_e32 v24, v24
	v_mul_f32_e32 v25, 0x3fb8aa3b, v25
	v_sub_f32_e32 v18, v18, v27
	v_add_f32_e32 v39, v39, v30
	;; [unrolled: 5-line block ×3, first 2 shown]
	v_cndmask_b32_e64 v34, 0, v34, s[12:13]
	v_exp_f32_e32 v18, v18
	v_mul_f32_e32 v19, 0x3fb8aa3b, v19
	v_add_f32_e32 v38, v38, v34
	v_cndmask_b32_e64 v35, 0, v35, s[14:15]
	v_exp_f32_e32 v19, v19
	v_add_f32_e32 v38, v38, v35
	v_cndmask_b32_e64 v24, 0, v24, s[8:9]
	v_add_f32_e32 v38, v38, v24
	v_cndmask_b32_e64 v25, 0, v25, s[10:11]
	v_add_f32_e32 v38, v38, v25
	v_cndmask_b32_e32 v18, 0, v18, vcc
	v_add_f32_e32 v38, v38, v18
	v_cndmask_b32_e64 v19, 0, v19, s[6:7]
	v_add_f32_e32 v38, v38, v19
	ds_bpermute_b32 v39, v46, v38
	v_cmp_gt_u32_e64 s[6:7], 16, v43
	s_waitcnt lgkmcnt(0)
	s_barrier
	v_add_f32_e32 v39, v38, v39
	ds_bpermute_b32 v40, v45, v39
	v_lshlrev_b32_e32 v38, 2, v28
	s_and_saveexec_b64 s[4:5], s[6:7]
	s_cbranch_execz .LBB1112_13
; %bb.12:
	s_waitcnt lgkmcnt(0)
	v_add_f32_e32 v39, v39, v40
	v_lshl_or_b32 v40, v29, 6, v38
	ds_write2st64_b32 v40, v27, v39 offset1:1
.LBB1112_13:
	s_or_b64 exec, exec, s[4:5]
	s_load_dword s8, s[0:1], 0x94
	s_waitcnt lgkmcnt(0)
	s_barrier
	ds_read2_b32 v[40:41], v38 offset1:16
	ds_read2_b32 v[44:45], v38 offset0:32 offset1:48
	ds_read2_b32 v[46:47], v38 offset0:64 offset1:80
	s_movk_i32 s10, 0x7fff
	s_mul_i32 s9, s29, 5
	s_waitcnt lgkmcnt(2)
	v_max3_f32 v27, v40, s46, v41
	s_waitcnt lgkmcnt(1)
	v_max3_f32 v27, v27, v44, v45
	v_sub_f32_e32 v39, v40, v27
	v_sub_f32_e32 v40, v41, v27
	v_mul_f32_e32 v40, 0x3fb8aa3b, v40
	v_mul_f32_e32 v39, 0x3fb8aa3b, v39
	v_exp_f32_e32 v43, v40
	v_sub_f32_e32 v40, v44, v27
	v_exp_f32_e32 v39, v39
	v_mul_f32_e32 v40, 0x3fb8aa3b, v40
	v_exp_f32_e32 v44, v40
	ds_read2_b32 v[40:41], v38 offset0:96 offset1:112
	v_sub_f32_e32 v38, v45, v27
	v_mul_f32_e32 v38, 0x3fb8aa3b, v38
	v_exp_f32_e32 v45, v38
	s_waitcnt lgkmcnt(1)
	v_fma_f32 v38, v39, v46, 0
	v_fmac_f32_e32 v38, v43, v47
	s_waitcnt lgkmcnt(0)
	v_fmac_f32_e32 v38, v44, v40
	v_fmac_f32_e32 v38, v45, v41
	v_add_f32_e32 v40, 0x358637bd, v38
	v_div_scale_f32 v41, s[4:5], v40, v40, 1.0
	v_rcp_f32_e32 v46, v41
	s_barrier
	v_fma_f32 v47, -v41, v46, 1.0
	v_fmac_f32_e32 v46, v47, v46
	v_div_scale_f32 v47, vcc, 1.0, v40, 1.0
	v_mul_f32_e32 v48, v47, v46
	v_fma_f32 v49, -v41, v48, v47
	v_fmac_f32_e32 v48, v49, v46
	v_fma_f32 v41, -v41, v48, v47
	v_div_fmas_f32 v41, v41, v46, v48
	v_cmp_eq_u32_e32 vcc, 1, v29
	v_div_fixup_f32 v40, v41, v40, 1.0
	s_nop 0
	v_cndmask_b32_e32 v39, v39, v43, vcc
	v_cmp_eq_u32_e32 vcc, 2, v29
	s_nop 1
	v_cndmask_b32_e32 v39, v39, v44, vcc
	v_cmp_eq_u32_e32 vcc, 3, v29
	v_lshlrev_b32_e32 v29, 11, v29
	s_nop 0
	v_cndmask_b32_e32 v39, v39, v45, vcc
	v_mul_f32_e32 v40, v39, v40
	v_pk_mul_f32 v[20:21], v[40:41], v[20:21] op_sel_hi:[0,1]
	v_pk_mul_f32 v[32:33], v[40:41], v[32:33] op_sel_hi:[0,1]
	v_bfe_u32 v39, v21, 16, 1
	v_bfe_u32 v41, v20, 16, 1
	v_add3_u32 v20, v20, v41, s10
	v_add3_u32 v21, v21, v39, s10
	v_perm_b32 v44, v21, v20, s44
	v_bfe_u32 v20, v33, 16, 1
	v_bfe_u32 v21, v32, 16, 1
	v_add3_u32 v21, v32, v21, s10
	v_add3_u32 v20, v33, v20, s10
	v_perm_b32 v45, v20, v21, s44
	v_lshlrev_b32_e32 v20, 3, v42
	v_lshlrev_b32_e32 v21, 5, v28
	v_pk_mul_f32 v[22:23], v[40:41], v[22:23] op_sel_hi:[0,1]
	v_or3_b32 v20, v29, v21, v20
	v_pk_mul_f32 v[32:33], v[40:41], v[36:37] op_sel_hi:[0,1]
	v_bfe_u32 v29, v23, 16, 1
	v_bfe_u32 v36, v22, 16, 1
	v_add3_u32 v22, v22, v36, s10
	v_add3_u32 v23, v23, v29, s10
	v_perm_b32 v22, v23, v22, s44
	v_bfe_u32 v23, v33, 16, 1
	v_bfe_u32 v29, v32, 16, 1
	v_add3_u32 v29, v32, v29, s10
	v_add3_u32 v23, v33, v23, s10
	v_pk_mul_f32 v[30:31], v[40:41], v[30:31] op_sel_hi:[0,1]
	v_perm_b32 v23, v23, v29, s44
	v_bfe_u32 v29, v31, 16, 1
	v_bfe_u32 v32, v30, 16, 1
	ds_write2st64_b64 v20, v[44:45], v[22:23] offset1:1
	v_pk_mul_f32 v[22:23], v[40:41], v[34:35] op_sel_hi:[0,1]
	v_add3_u32 v30, v30, v32, s10
	v_add3_u32 v29, v31, v29, s10
	v_perm_b32 v30, v29, v30, s44
	v_bfe_u32 v29, v23, 16, 1
	v_bfe_u32 v31, v22, 16, 1
	v_add3_u32 v22, v22, v31, s10
	v_add3_u32 v23, v23, v29, s10
	v_perm_b32 v31, v23, v22, s44
	v_pk_mul_f32 v[22:23], v[40:41], v[24:25] op_sel_hi:[0,1]
	v_bfe_u32 v24, v23, 16, 1
	v_bfe_u32 v25, v22, 16, 1
	v_pk_mul_f32 v[18:19], v[40:41], v[18:19] op_sel_hi:[0,1]
	v_add3_u32 v22, v22, v25, s10
	v_add3_u32 v23, v23, v24, s10
	v_perm_b32 v22, v23, v22, s44
	v_bfe_u32 v23, v19, 16, 1
	v_bfe_u32 v24, v18, 16, 1
	v_add3_u32 v18, v18, v24, s10
	v_add3_u32 v19, v19, v23, s10
	v_perm_b32 v23, v19, v18, s44
	v_cmp_gt_u32_e32 vcc, 5, v0
	ds_write2st64_b64 v20, v[30:31], v[22:23] offset0:2 offset1:3
	s_and_saveexec_b64 s[4:5], vcc
	s_cbranch_execz .LBB1112_15
; %bb.14:
	s_mov_b32 s49, 0
	v_mov_b32_e32 v29, 0
	v_lshl_add_u64 v[18:19], s[48:49], 0, v[28:29]
	v_mov_b32_e32 v22, s9
	v_mad_u64_u32 v[18:19], s[16:17], s2, v22, v[18:19]
	s_mul_i32 s3, s3, s9
	v_mov_b32_e32 v28, s28
	s_load_dwordx4 s[12:15], s[0:1], 0x58
	v_add_u32_e32 v23, s3, v19
	v_mad_u64_u32 v[18:19], s[16:17], v18, s8, v[28:29]
	v_mov_b32_e32 v22, v19
	v_mad_u64_u32 v[22:23], s[16:17], v23, s8, v[22:23]
	v_mov_b32_e32 v19, v22
	v_lshlrev_b64 v[18:19], 2, v[18:19]
	s_waitcnt lgkmcnt(0)
	v_lshl_add_u64 v[22:23], s[14:15], 0, v[18:19]
	v_lshl_add_u64 v[18:19], s[12:13], 0, v[18:19]
	global_store_dword v[22:23], v27, off
	global_store_dword v[18:19], v38, off
.LBB1112_15:
	s_or_b64 exec, exec, s[4:5]
	s_waitcnt vmcnt(3)
	v_cvt_pk_f32_fp8_e32 v[18:19], v14
	v_cvt_pk_f32_fp8_sdwa v[22:23], v14 src0_sel:WORD_1
	s_mov_b32 s4, 0x7060302
	v_lshl_or_b32 v14, v42, 9, v21
	s_waitcnt lgkmcnt(0)
	s_barrier
	v_perm_b32 v18, v19, v18, s4
	v_perm_b32 v19, v23, v22, s4
	v_cvt_pk_f32_fp8_e32 v[28:29], v15
	ds_read_b128 v[22:25], v14
	v_cvt_pk_f32_fp8_sdwa v[36:37], v15 src0_sel:WORD_1
	s_load_dword s12, s[42:43], 0x0
	v_perm_b32 v38, v29, v28, s4
	ds_read_b128 v[28:31], v14 offset:16
	v_perm_b32 v39, v37, v36, s4
	s_waitcnt lgkmcnt(0)
	v_mfma_f32_16x16x16_bf16 v[32:35], v[18:19], v[22:23], 0
	v_cvt_pk_f32_fp8_e32 v[18:19], v16
	v_cvt_pk_f32_fp8_sdwa v[36:37], v16 src0_sel:WORD_1
	v_cmp_gt_u32_e32 vcc, 64, v0
	v_mfma_f32_16x16x16_bf16 v[22:25], v[38:39], v[24:25], v[32:35]
	v_perm_b32 v18, v19, v18, s4
	v_perm_b32 v19, v37, v36, s4
	s_waitcnt vmcnt(2)
	v_cvt_pk_f32_fp8_sdwa v[36:37], v10 src0_sel:WORD_1
	v_cvt_pk_f32_fp8_e32 v[32:33], v17
	v_cvt_pk_f32_fp8_sdwa v[16:17], v17 src0_sel:WORD_1
	v_cvt_pk_f32_fp8_e32 v[34:35], v10
	s_mov_b32 s3, 0
	v_perm_b32 v32, v33, v32, s4
	v_perm_b32 v33, v17, v16, s4
	v_mfma_f32_16x16x16_bf16 v[16:19], v[18:19], v[28:29], v[22:25]
	v_perm_b32 v34, v35, v34, s4
	v_perm_b32 v35, v37, v36, s4
	v_cvt_pk_f32_fp8_e32 v[28:29], v11
	ds_read_b128 v[22:25], v14 offset:2048
	v_cvt_pk_f32_fp8_sdwa v[10:11], v11 src0_sel:WORD_1
	v_mfma_f32_16x16x16_bf16 v[16:19], v[32:33], v[30:31], v[16:19]
	v_perm_b32 v32, v29, v28, s4
	ds_read_b128 v[28:31], v14 offset:2064
	v_perm_b32 v33, v11, v10, s4
	s_waitcnt lgkmcnt(1)
	v_mfma_f32_16x16x16_bf16 v[16:19], v[34:35], v[22:23], v[16:19]
	v_cvt_pk_f32_fp8_e32 v[10:11], v12
	v_cvt_pk_f32_fp8_sdwa v[22:23], v12 src0_sel:WORD_1
	v_mov_b32_e32 v27, 0
	v_mfma_f32_16x16x16_bf16 v[16:19], v[32:33], v[24:25], v[16:19]
	v_cvt_pk_f32_fp8_e32 v[24:25], v13
	v_perm_b32 v10, v11, v10, s4
	v_perm_b32 v11, v23, v22, s4
	v_cvt_pk_f32_fp8_sdwa v[12:13], v13 src0_sel:WORD_1
	v_perm_b32 v22, v25, v24, s4
	s_waitcnt vmcnt(1)
	v_cvt_pk_f32_fp8_e32 v[24:25], v6
	v_cvt_pk_f32_fp8_sdwa v[32:33], v6 src0_sel:WORD_1
	v_perm_b32 v23, v13, v12, s4
	s_waitcnt lgkmcnt(0)
	v_mfma_f32_16x16x16_bf16 v[10:13], v[10:11], v[28:29], v[16:19]
	v_perm_b32 v28, v25, v24, s4
	v_perm_b32 v29, v33, v32, s4
	v_cvt_pk_f32_fp8_e32 v[24:25], v7
	ds_read_b128 v[16:19], v14 offset:4096
	v_cvt_pk_f32_fp8_sdwa v[6:7], v7 src0_sel:WORD_1
	v_mfma_f32_16x16x16_bf16 v[10:13], v[22:23], v[30:31], v[10:13]
	v_perm_b32 v30, v25, v24, s4
	ds_read_b128 v[22:25], v14 offset:4112
	v_perm_b32 v31, v7, v6, s4
	s_waitcnt lgkmcnt(1)
	v_mfma_f32_16x16x16_bf16 v[10:13], v[28:29], v[16:17], v[10:13]
	v_cvt_pk_f32_fp8_e32 v[6:7], v8
	v_cvt_pk_f32_fp8_sdwa v[16:17], v8 src0_sel:WORD_1
	s_waitcnt vmcnt(0)
	v_cvt_pk_f32_fp8_sdwa v[28:29], v2 src0_sel:WORD_1
	v_mfma_f32_16x16x16_bf16 v[10:13], v[30:31], v[18:19], v[10:13]
	v_cvt_pk_f32_fp8_e32 v[18:19], v9
	v_perm_b32 v6, v7, v6, s4
	v_perm_b32 v7, v17, v16, s4
	v_cvt_pk_f32_fp8_sdwa v[8:9], v9 src0_sel:WORD_1
	v_perm_b32 v16, v19, v18, s4
	v_cvt_pk_f32_fp8_e32 v[18:19], v2
	v_perm_b32 v17, v9, v8, s4
	s_waitcnt lgkmcnt(0)
	v_mfma_f32_16x16x16_bf16 v[6:9], v[6:7], v[22:23], v[10:13]
	v_perm_b32 v18, v19, v18, s4
	v_perm_b32 v19, v29, v28, s4
	v_cvt_pk_f32_fp8_e32 v[22:23], v3
	ds_read_b128 v[10:13], v14 offset:6144
	v_cvt_pk_f32_fp8_sdwa v[2:3], v3 src0_sel:WORD_1
	v_mfma_f32_16x16x16_bf16 v[6:9], v[16:17], v[24:25], v[6:9]
	v_perm_b32 v22, v23, v22, s4
	ds_read_b128 v[14:17], v14 offset:6160
	v_perm_b32 v23, v3, v2, s4
	s_waitcnt lgkmcnt(1)
	v_mfma_f32_16x16x16_bf16 v[6:9], v[18:19], v[10:11], v[6:9]
	v_cvt_pk_f32_fp8_e32 v[2:3], v4
	v_cvt_pk_f32_fp8_sdwa v[10:11], v4 src0_sel:WORD_1
	s_waitcnt lgkmcnt(0)
	v_mfma_f32_16x16x16_bf16 v[6:9], v[22:23], v[12:13], v[6:9]
	v_perm_b32 v2, v3, v2, s4
	v_perm_b32 v3, v11, v10, s4
	v_cvt_pk_f32_fp8_e32 v[10:11], v5
	v_cvt_pk_f32_fp8_sdwa v[4:5], v5 src0_sel:WORD_1
	s_barrier
	v_perm_b32 v10, v11, v10, s4
	v_perm_b32 v11, v5, v4, s4
	v_mfma_f32_16x16x16_bf16 v[2:5], v[2:3], v[14:15], v[6:9]
	s_nop 0
	v_mfma_f32_16x16x16_bf16 v[2:5], v[10:11], v[16:17], v[2:5]
	s_nop 6
	v_pk_mul_f32 v[2:3], v[2:3], s[12:13] op_sel_hi:[1,0]
	v_pk_mul_f32 v[4:5], v[4:5], s[12:13] op_sel_hi:[1,0]
	v_bfe_u32 v6, v3, 16, 1
	v_bfe_u32 v7, v2, 16, 1
	v_add3_u32 v2, v2, v7, s10
	v_add3_u32 v3, v3, v6, s10
	v_perm_b32 v2, v3, v2, s4
	v_bfe_u32 v3, v5, 16, 1
	v_bfe_u32 v6, v4, 16, 1
	v_add3_u32 v4, v4, v6, s10
	v_add3_u32 v3, v5, v3, s10
	v_perm_b32 v3, v3, v4, s4
	s_and_b64 s[4:5], vcc, s[30:31]
	ds_write_b64 v20, v[2:3]
	s_waitcnt lgkmcnt(0)
	s_barrier
	s_and_saveexec_b64 s[10:11], s[4:5]
	s_cbranch_execz .LBB1112_18
; %bb.16:
	s_load_dwordx2 s[4:5], s[0:1], 0x68
	s_lshl_b32 s0, s8, 6
	s_mul_i32 s1, s9, s2
	s_mul_hi_u32 s9, s1, s0
	s_mul_i32 s8, s1, s0
	v_lshlrev_b32_e32 v0, 10, v0
	s_lshl_b64 s[8:9], s[8:9], 1
	v_and_b32_e32 v0, 0x1800, v0
	v_lshlrev_b32_e32 v2, 5, v42
	v_and_b32_e32 v1, 16, v1
	s_waitcnt lgkmcnt(0)
	s_add_u32 s1, s4, s8
	v_or3_b32 v2, v0, v2, v1
	s_addc_u32 s4, s5, s9
	s_lshl_b32 s2, s28, 6
	s_lshl_b64 s[2:3], s[2:3], 1
	ds_read_b128 v[4:7], v2
	s_add_u32 s2, s1, s2
	s_addc_u32 s3, s4, s3
	v_add_u32_e32 v3, s48, v42
	v_lshl_add_u64 v[0:1], s[2:3], 0, v[26:27]
	v_mad_u64_u32 v[8:9], s[2:3], v3, s0, 0
	v_lshl_add_u64 v[8:9], v[8:9], 1, v[0:1]
	s_waitcnt lgkmcnt(0)
	global_store_dwordx4 v[8:9], v[4:7], off
	s_and_b64 exec, exec, s[6:7]
	s_cbranch_execz .LBB1112_18
; %bb.17:
	ds_read_b128 v[2:5], v2 offset:128
	v_add3_u32 v6, s48, v42, 4
	v_mad_u64_u32 v[6:7], s[0:1], v6, s0, 0
	v_lshl_add_u64 v[0:1], v[6:7], 1, v[0:1]
	s_waitcnt lgkmcnt(0)
	global_store_dwordx4 v[0:1], v[2:5], off
.LBB1112_18:
	s_endpgm
	.section	.rodata,"a",@progbits
	.p2align	6, 0x0
	.amdhsa_kernel _Z39paged_attention_ll4mi_QKV_mfma16_kernelI14__hip_bfloat16hLN4vllm18Fp8KVCacheDataTypeE1EhLi16ELi64ELi256ELb0ELi5EEvPKT_PKT0_S8_ifPKiSA_SA_iPKfiiiPfSD_PS3_PT2_iSC_SC_
		.amdhsa_group_segment_fixed_size 8192
		.amdhsa_private_segment_fixed_size 0
		.amdhsa_kernarg_size 400
		.amdhsa_user_sgpr_count 2
		.amdhsa_user_sgpr_dispatch_ptr 0
		.amdhsa_user_sgpr_queue_ptr 0
		.amdhsa_user_sgpr_kernarg_segment_ptr 1
		.amdhsa_user_sgpr_dispatch_id 0
		.amdhsa_user_sgpr_kernarg_preload_length 0
		.amdhsa_user_sgpr_kernarg_preload_offset 0
		.amdhsa_user_sgpr_private_segment_size 0
		.amdhsa_uses_dynamic_stack 0
		.amdhsa_enable_private_segment 0
		.amdhsa_system_sgpr_workgroup_id_x 1
		.amdhsa_system_sgpr_workgroup_id_y 1
		.amdhsa_system_sgpr_workgroup_id_z 1
		.amdhsa_system_sgpr_workgroup_info 0
		.amdhsa_system_vgpr_workitem_id 0
		.amdhsa_next_free_vgpr 58
		.amdhsa_next_free_sgpr 50
		.amdhsa_accum_offset 60
		.amdhsa_reserve_vcc 1
		.amdhsa_float_round_mode_32 0
		.amdhsa_float_round_mode_16_64 0
		.amdhsa_float_denorm_mode_32 3
		.amdhsa_float_denorm_mode_16_64 3
		.amdhsa_dx10_clamp 1
		.amdhsa_ieee_mode 1
		.amdhsa_fp16_overflow 0
		.amdhsa_tg_split 0
		.amdhsa_exception_fp_ieee_invalid_op 0
		.amdhsa_exception_fp_denorm_src 0
		.amdhsa_exception_fp_ieee_div_zero 0
		.amdhsa_exception_fp_ieee_overflow 0
		.amdhsa_exception_fp_ieee_underflow 0
		.amdhsa_exception_fp_ieee_inexact 0
		.amdhsa_exception_int_div_zero 0
	.end_amdhsa_kernel
	.section	.text._Z39paged_attention_ll4mi_QKV_mfma16_kernelI14__hip_bfloat16hLN4vllm18Fp8KVCacheDataTypeE1EhLi16ELi64ELi256ELb0ELi5EEvPKT_PKT0_S8_ifPKiSA_SA_iPKfiiiPfSD_PS3_PT2_iSC_SC_,"axG",@progbits,_Z39paged_attention_ll4mi_QKV_mfma16_kernelI14__hip_bfloat16hLN4vllm18Fp8KVCacheDataTypeE1EhLi16ELi64ELi256ELb0ELi5EEvPKT_PKT0_S8_ifPKiSA_SA_iPKfiiiPfSD_PS3_PT2_iSC_SC_,comdat
.Lfunc_end1112:
	.size	_Z39paged_attention_ll4mi_QKV_mfma16_kernelI14__hip_bfloat16hLN4vllm18Fp8KVCacheDataTypeE1EhLi16ELi64ELi256ELb0ELi5EEvPKT_PKT0_S8_ifPKiSA_SA_iPKfiiiPfSD_PS3_PT2_iSC_SC_, .Lfunc_end1112-_Z39paged_attention_ll4mi_QKV_mfma16_kernelI14__hip_bfloat16hLN4vllm18Fp8KVCacheDataTypeE1EhLi16ELi64ELi256ELb0ELi5EEvPKT_PKT0_S8_ifPKiSA_SA_iPKfiiiPfSD_PS3_PT2_iSC_SC_
                                        ; -- End function
	.section	.AMDGPU.csdata,"",@progbits
; Kernel info:
; codeLenInByte = 4820
; NumSgprs: 56
; NumVgprs: 58
; NumAgprs: 0
; TotalNumVgprs: 58
; ScratchSize: 0
; MemoryBound: 0
; FloatMode: 240
; IeeeMode: 1
; LDSByteSize: 8192 bytes/workgroup (compile time only)
; SGPRBlocks: 6
; VGPRBlocks: 7
; NumSGPRsForWavesPerEU: 56
; NumVGPRsForWavesPerEU: 58
; AccumOffset: 60
; Occupancy: 8
; WaveLimiterHint : 1
; COMPUTE_PGM_RSRC2:SCRATCH_EN: 0
; COMPUTE_PGM_RSRC2:USER_SGPR: 2
; COMPUTE_PGM_RSRC2:TRAP_HANDLER: 0
; COMPUTE_PGM_RSRC2:TGID_X_EN: 1
; COMPUTE_PGM_RSRC2:TGID_Y_EN: 1
; COMPUTE_PGM_RSRC2:TGID_Z_EN: 1
; COMPUTE_PGM_RSRC2:TIDIG_COMP_CNT: 0
; COMPUTE_PGM_RSRC3_GFX90A:ACCUM_OFFSET: 14
; COMPUTE_PGM_RSRC3_GFX90A:TG_SPLIT: 0
	.section	.text._Z39paged_attention_ll4mi_QKV_mfma16_kernelI14__hip_bfloat16hLN4vllm18Fp8KVCacheDataTypeE1EhLi16ELi64ELi256ELb0ELi6EEvPKT_PKT0_S8_ifPKiSA_SA_iPKfiiiPfSD_PS3_PT2_iSC_SC_,"axG",@progbits,_Z39paged_attention_ll4mi_QKV_mfma16_kernelI14__hip_bfloat16hLN4vllm18Fp8KVCacheDataTypeE1EhLi16ELi64ELi256ELb0ELi6EEvPKT_PKT0_S8_ifPKiSA_SA_iPKfiiiPfSD_PS3_PT2_iSC_SC_,comdat
	.protected	_Z39paged_attention_ll4mi_QKV_mfma16_kernelI14__hip_bfloat16hLN4vllm18Fp8KVCacheDataTypeE1EhLi16ELi64ELi256ELb0ELi6EEvPKT_PKT0_S8_ifPKiSA_SA_iPKfiiiPfSD_PS3_PT2_iSC_SC_ ; -- Begin function _Z39paged_attention_ll4mi_QKV_mfma16_kernelI14__hip_bfloat16hLN4vllm18Fp8KVCacheDataTypeE1EhLi16ELi64ELi256ELb0ELi6EEvPKT_PKT0_S8_ifPKiSA_SA_iPKfiiiPfSD_PS3_PT2_iSC_SC_
	.globl	_Z39paged_attention_ll4mi_QKV_mfma16_kernelI14__hip_bfloat16hLN4vllm18Fp8KVCacheDataTypeE1EhLi16ELi64ELi256ELb0ELi6EEvPKT_PKT0_S8_ifPKiSA_SA_iPKfiiiPfSD_PS3_PT2_iSC_SC_
	.p2align	8
	.type	_Z39paged_attention_ll4mi_QKV_mfma16_kernelI14__hip_bfloat16hLN4vllm18Fp8KVCacheDataTypeE1EhLi16ELi64ELi256ELb0ELi6EEvPKT_PKT0_S8_ifPKiSA_SA_iPKfiiiPfSD_PS3_PT2_iSC_SC_,@function
_Z39paged_attention_ll4mi_QKV_mfma16_kernelI14__hip_bfloat16hLN4vllm18Fp8KVCacheDataTypeE1EhLi16ELi64ELi256ELb0ELi6EEvPKT_PKT0_S8_ifPKiSA_SA_iPKfiiiPfSD_PS3_PT2_iSC_SC_: ; @_Z39paged_attention_ll4mi_QKV_mfma16_kernelI14__hip_bfloat16hLN4vllm18Fp8KVCacheDataTypeE1EhLi16ELi64ELi256ELb0ELi6EEvPKT_PKT0_S8_ifPKiSA_SA_iPKfiiiPfSD_PS3_PT2_iSC_SC_
; %bb.0:
	s_load_dwordx2 s[12:13], s[0:1], 0x30
	s_mov_b32 s28, s3
	s_mov_b64 s[6:7], 0
	s_waitcnt lgkmcnt(0)
	s_cmp_lg_u64 s[12:13], 0
	s_cselect_b64 s[14:15], -1, 0
	s_and_b64 vcc, exec, s[14:15]
	s_cbranch_vccz .LBB1113_7
; %bb.1:
	s_add_i32 s8, s2, 1
	s_mov_b32 s9, 0
	s_lshl_b64 s[10:11], s[8:9], 2
	s_add_u32 s10, s12, s10
	s_mov_b32 s3, s9
	s_addc_u32 s11, s13, s11
	s_lshl_b64 s[8:9], s[2:3], 2
	s_add_u32 s8, s12, s8
	s_addc_u32 s9, s13, s9
	s_load_dword s5, s[10:11], 0x0
	s_load_dword s16, s[8:9], 0x0
	s_waitcnt lgkmcnt(0)
	s_sub_i32 s5, s5, s16
	s_cmp_eq_u32 s5, 1
	s_cselect_b64 s[8:9], -1, 0
	s_andn2_b64 vcc, exec, s[6:7]
	s_cbranch_vccnz .LBB1113_3
.LBB1113_2:
	s_mov_b32 s3, 0
	s_mov_b64 s[8:9], -1
.LBB1113_3:
	s_andn2_b64 vcc, exec, s[8:9]
	s_cbranch_vccnz .LBB1113_18
; %bb.4:
	s_load_dwordx2 s[6:7], s[0:1], 0x28
	s_lshl_b64 s[16:17], s[2:3], 2
	s_waitcnt lgkmcnt(0)
	s_add_u32 s6, s6, s16
	s_addc_u32 s7, s7, s17
	s_load_dword s33, s[6:7], 0x0
	s_lshl_b32 s5, s28, 8
	s_waitcnt lgkmcnt(0)
	s_cmp_ge_i32 s5, s33
	s_cbranch_scc1 .LBB1113_18
; %bb.5:
	s_add_i32 s9, s33, 15
	s_load_dwordx2 s[6:7], s[0:1], 0x20
	s_load_dword s8, s[0:1], 0x38
	s_ashr_i32 s10, s9, 31
	v_and_b32_e32 v1, 0xcf, v0
	s_lshr_b32 s10, s10, 28
	v_add_u32_e32 v1, s5, v1
	s_add_i32 s9, s9, s10
	v_ashrrev_i32_e32 v2, 31, v1
	s_ashr_i32 s18, s9, 4
	v_lshrrev_b32_e32 v6, 28, v2
	s_add_i32 s18, s18, -1
	v_add_u32_e32 v2, v1, v6
	v_or_b32_e32 v4, 16, v1
	s_waitcnt lgkmcnt(0)
	s_mul_i32 s8, s2, s8
	s_mov_b32 s9, 0
	v_ashrrev_i32_e32 v2, 4, v2
	v_mov_b32_e32 v7, s18
	v_cmp_gt_i32_e32 vcc, s33, v1
	v_add_u32_e32 v5, v4, v6
	s_lshl_b64 s[8:9], s[8:9], 2
	v_cndmask_b32_e32 v2, v7, v2, vcc
	v_ashrrev_i32_e32 v5, 4, v5
	v_cmp_gt_i32_e32 vcc, s33, v4
	s_add_u32 s6, s6, s8
	s_addc_u32 s7, s7, s9
	v_cndmask_b32_e32 v4, v7, v5, vcc
	v_ashrrev_i32_e32 v5, 31, v4
	v_lshl_add_u64 v[8:9], v[4:5], 2, s[6:7]
	v_or_b32_e32 v4, 32, v1
	v_add_u32_e32 v5, v4, v6
	v_ashrrev_i32_e32 v5, 4, v5
	v_cmp_gt_i32_e32 vcc, s33, v4
	v_or_b32_e32 v1, 48, v1
	v_ashrrev_i32_e32 v3, 31, v2
	v_cndmask_b32_e32 v4, v7, v5, vcc
	v_ashrrev_i32_e32 v5, 31, v4
	v_lshl_add_u64 v[10:11], v[4:5], 2, s[6:7]
	v_add_u32_e32 v4, v1, v6
	v_ashrrev_i32_e32 v4, 4, v4
	v_cmp_gt_i32_e32 vcc, s33, v1
	v_lshl_add_u64 v[2:3], v[2:3], 2, s[6:7]
	s_load_dwordx4 s[8:11], s[0:1], 0x8
	v_cndmask_b32_e32 v4, v7, v4, vcc
	v_ashrrev_i32_e32 v5, 31, v4
	v_lshl_add_u64 v[12:13], v[4:5], 2, s[6:7]
	global_load_dword v7, v[2:3], off
	global_load_dword v6, v[8:9], off
	;; [unrolled: 1-line block ×4, first 2 shown]
	s_andn2_b64 vcc, exec, s[14:15]
	s_cbranch_vccnz .LBB1113_8
; %bb.6:
	s_add_u32 s12, s12, s16
	s_addc_u32 s13, s13, s17
	s_load_dword s14, s[12:13], 0x0
	s_branch .LBB1113_9
.LBB1113_7:
	s_mov_b64 s[8:9], 0
	s_branch .LBB1113_2
.LBB1113_8:
	s_mov_b32 s14, s2
.LBB1113_9:
	s_load_dwordx4 s[44:47], s[0:1], 0x48
	v_lshrrev_b32_e32 v29, 6, v0
	v_bfe_u32 v42, v0, 4, 2
	v_lshl_or_b32 v2, v29, 2, v42
	v_and_b32_e32 v28, 15, v0
	v_lshlrev_b32_e32 v1, 3, v28
	v_cmp_gt_u32_e32 vcc, 6, v2
	v_cmp_gt_u32_e64 s[30:31], 8, v28
	v_and_b32_e32 v43, 63, v0
	s_mul_i32 s48, s4, 6
	s_and_b64 s[16:17], s[30:31], vcc
	v_lshlrev_b32_e32 v26, 1, v1
	v_lshlrev_b32_e32 v1, 4, v0
	s_and_saveexec_b64 s[12:13], s[16:17]
	s_cbranch_execz .LBB1113_11
; %bb.10:
	s_load_dwordx2 s[16:17], s[0:1], 0x0
	s_waitcnt lgkmcnt(0)
	s_ashr_i32 s15, s44, 31
	s_mul_hi_u32 s19, s14, s44
	s_mul_i32 s15, s14, s15
	s_add_i32 s15, s19, s15
	s_mul_i32 s14, s14, s44
	s_lshl_b64 s[14:15], s[14:15], 1
	s_add_u32 s14, s16, s14
	v_add_lshl_u32 v8, v2, s48, 6
	s_addc_u32 s15, s17, s15
	v_ashrrev_i32_e32 v9, 31, v8
	v_lshl_add_u64 v[8:9], v[8:9], 1, s[14:15]
	v_mov_b32_e32 v27, 0
	v_lshl_add_u64 v[8:9], v[8:9], 0, v[26:27]
	global_load_dwordx4 v[8:11], v[8:9], off
	v_lshlrev_b32_e32 v12, 8, v28
	v_lshlrev_b32_e32 v2, 5, v2
	v_and_b32_e32 v3, 16, v1
	v_and_b32_e32 v12, 0xe00, v12
	v_or3_b32 v2, v12, v2, v3
	s_waitcnt vmcnt(0)
	ds_write_b128 v2, v[8:11]
.LBB1113_11:
	s_or_b64 exec, exec, s[12:13]
	s_waitcnt lgkmcnt(0)
	s_mul_i32 s4, s4, s46
	s_add_u32 s8, s8, s4
	s_addc_u32 s9, s9, 0
	v_and_b32_e32 v10, 48, v0
	v_and_b32_e32 v30, 0xf0, v1
	v_mov_b32_e32 v31, 0
	v_lshl_add_u64 v[2:3], s[8:9], 0, v[30:31]
	v_lshlrev_b32_e32 v30, 4, v10
	v_lshl_add_u64 v[2:3], v[2:3], 0, v[30:31]
	v_or_b32_e32 v12, s5, v10
	s_waitcnt vmcnt(3)
	v_mad_i64_i32 v[8:9], s[8:9], v7, s45, v[2:3]
	v_ashrrev_i32_e32 v7, 4, v12
	v_mov_b32_e32 v13, s18
	v_cmp_gt_i32_e32 vcc, s33, v12
	s_load_dword s29, s[0:1], 0x98
	s_load_dwordx4 s[40:43], s[0:1], 0x80
	v_cndmask_b32_e32 v10, v13, v7, vcc
	v_ashrrev_i32_e32 v11, 31, v10
	v_lshl_add_u64 v[10:11], v[10:11], 2, s[6:7]
	s_waitcnt lgkmcnt(0)
	s_barrier
	global_load_dword v38, v[10:11], off
	global_load_dwordx4 v[22:25], v[8:9], off
	s_waitcnt vmcnt(4)
	v_mad_i64_i32 v[6:7], s[8:9], v6, s45, v[2:3]
	global_load_dwordx4 v[18:21], v[6:7], off
	s_waitcnt vmcnt(4)
	v_mad_i64_i32 v[6:7], s[8:9], v5, s45, v[2:3]
	global_load_dwordx4 v[14:17], v[6:7], off
	v_mul_lo_u16_e32 v8, 43, v28
	v_mov_b32_e32 v9, 6
	v_mul_lo_u16_sdwa v5, v8, v9 dst_sel:DWORD dst_unused:UNUSED_PAD src0_sel:BYTE_1 src1_sel:DWORD
	v_or_b32_e32 v6, 64, v12
	v_mov_b32_e32 v10, 5
	v_sub_u16_e32 v5, v28, v5
	v_or_b32_e32 v7, 0x80, v12
	v_ashrrev_i32_e32 v9, 4, v6
	s_add_u32 s8, s10, s4
	v_cmp_gt_i32_e32 vcc, s33, v6
	v_or_b32_e32 v8, 0xc0, v12
	v_lshlrev_b32_sdwa v5, v10, v5 dst_sel:DWORD dst_unused:UNUSED_PAD src0_sel:DWORD src1_sel:BYTE_0
	v_ashrrev_i32_e32 v10, 4, v7
	v_cndmask_b32_e32 v32, v13, v9, vcc
	v_cmp_gt_i32_e32 vcc, s33, v7
	s_addc_u32 s9, s11, 0
	s_waitcnt vmcnt(4)
	v_mad_i64_i32 v[2:3], s[10:11], v4, s45, v[2:3]
	v_ashrrev_i32_e32 v12, 4, v8
	v_cndmask_b32_e32 v34, v13, v10, vcc
	v_cmp_gt_i32_e32 vcc, s33, v8
	global_load_dwordx4 v[6:9], v[2:3], off
	v_ashrrev_i32_e32 v33, 31, v32
	v_cndmask_b32_e32 v36, v13, v12, vcc
	v_ashrrev_i32_e32 v35, 31, v34
	v_ashrrev_i32_e32 v37, 31, v36
	v_lshlrev_b32_e32 v11, 4, v28
	v_lshl_add_u32 v5, v42, 9, v5
	v_lshl_add_u64 v[32:33], v[32:33], 2, s[6:7]
	v_lshl_add_u64 v[34:35], v[34:35], 2, s[6:7]
	;; [unrolled: 1-line block ×3, first 2 shown]
	v_lshl_or_b32 v30, v29, 8, v11
	ds_read_b128 v[10:13], v5
	ds_read_b128 v[2:5], v5 offset:16
	s_load_dword s4, s[40:41], 0x0
	global_load_dword v45, v[32:33], off
	global_load_dword v27, v[34:35], off
	;; [unrolled: 1-line block ×3, first 2 shown]
	s_mov_b32 s44, 0x7060302
	v_lshl_add_u64 v[30:31], s[8:9], 0, v[30:31]
	s_load_dword s12, s[0:1], 0x1c
	s_mov_b32 s46, 0xff7fffff
	s_waitcnt vmcnt(7)
	v_mad_i64_i32 v[32:33], s[6:7], v38, s45, v[30:31]
	s_waitcnt vmcnt(6)
	v_cvt_pk_f32_fp8_e32 v[34:35], v22
	v_cvt_pk_f32_fp8_sdwa v[36:37], v22 src0_sel:WORD_1
	v_cvt_pk_f32_fp8_e32 v[38:39], v23
	v_cvt_pk_f32_fp8_sdwa v[40:41], v23 src0_sel:WORD_1
	v_perm_b32 v34, v35, v34, s44
	v_perm_b32 v35, v37, v36, s44
	s_waitcnt vmcnt(5)
	v_cvt_pk_f32_fp8_e32 v[22:23], v18
	v_cvt_pk_f32_fp8_e32 v[46:47], v24
	v_cvt_pk_f32_fp8_sdwa v[48:49], v24 src0_sel:WORD_1
	v_perm_b32 v38, v39, v38, s44
	v_perm_b32 v39, v41, v40, s44
	v_cvt_pk_f32_fp8_e32 v[50:51], v25
	v_cvt_pk_f32_fp8_sdwa v[52:53], v18 src0_sel:WORD_1
	v_cvt_pk_f32_fp8_sdwa v[54:55], v25 src0_sel:WORD_1
	v_perm_b32 v36, v23, v22, s44
	s_waitcnt lgkmcnt(0)
	v_mfma_f32_16x16x16_bf16 v[22:25], v[34:35], v[10:11], 0
	v_perm_b32 v40, v47, v46, s44
	v_perm_b32 v41, v49, v48, s44
	v_cvt_pk_f32_fp8_e32 v[56:57], v19
	v_perm_b32 v37, v53, v52, s44
	v_cvt_pk_f32_fp8_sdwa v[18:19], v19 src0_sel:WORD_1
	v_mfma_f32_16x16x16_bf16 v[22:25], v[38:39], v[12:13], v[22:25]
	v_perm_b32 v38, v51, v50, s44
	v_perm_b32 v39, v55, v54, s44
	v_cvt_pk_f32_fp8_e32 v[52:53], v20
	v_cvt_pk_f32_fp8_sdwa v[46:47], v20 src0_sel:WORD_1
	v_mfma_f32_16x16x16_bf16 v[22:25], v[40:41], v[2:3], v[22:25]
	v_perm_b32 v50, v57, v56, s44
	v_perm_b32 v51, v19, v18, s44
	v_cvt_pk_f32_fp8_e32 v[48:49], v21
	v_mfma_f32_16x16x16_bf16 v[34:37], v[36:37], v[10:11], 0
	v_mfma_f32_16x16x16_bf16 v[38:41], v[38:39], v[4:5], v[22:25]
	s_nop 2
	v_perm_b32 v22, v53, v52, s44
	v_perm_b32 v23, v47, v46, s44
	v_cvt_pk_f32_fp8_sdwa v[24:25], v21 src0_sel:WORD_1
	v_mfma_f32_16x16x16_bf16 v[18:21], v[50:51], v[12:13], v[34:37]
	s_waitcnt vmcnt(4)
	v_cvt_pk_f32_fp8_sdwa v[46:47], v14 src0_sel:WORD_1
	v_cvt_pk_f32_fp8_sdwa v[50:51], v17 src0_sel:WORD_1
	v_perm_b32 v34, v49, v48, s44
	v_perm_b32 v35, v25, v24, s44
	v_mfma_f32_16x16x16_bf16 v[18:21], v[22:23], v[2:3], v[18:21]
	v_cvt_pk_f32_fp8_e32 v[22:23], v14
	v_mov_b32_e32 v36, s12
	v_mul_f32_e32 v24, s4, v36
	v_mfma_f32_16x16x16_bf16 v[34:37], v[34:35], v[4:5], v[18:21]
	v_cvt_pk_f32_fp8_sdwa v[48:49], v16 src0_sel:WORD_1
	s_nop 1
	v_cvt_pk_f32_fp8_e32 v[18:19], v15
	v_perm_b32 v20, v23, v22, s44
	v_perm_b32 v21, v47, v46, s44
	v_cvt_pk_f32_fp8_sdwa v[14:15], v15 src0_sel:WORD_1
	v_perm_b32 v22, v19, v18, s44
	v_cvt_pk_f32_fp8_e32 v[46:47], v16
	v_mfma_f32_16x16x16_bf16 v[18:21], v[20:21], v[10:11], 0
	v_perm_b32 v23, v15, v14, s44
	v_perm_b32 v46, v47, v46, s44
	;; [unrolled: 1-line block ×3, first 2 shown]
	v_cvt_pk_f32_fp8_e32 v[48:49], v17
	v_mfma_f32_16x16x16_bf16 v[14:17], v[22:23], v[12:13], v[18:21]
	v_pk_mul_f32 v[22:23], v[24:25], v[40:41] op_sel_hi:[0,1]
	s_waitcnt vmcnt(3)
	v_cvt_pk_f32_fp8_sdwa v[40:41], v6 src0_sel:WORD_1
	v_perm_b32 v18, v49, v48, s44
	v_perm_b32 v19, v51, v50, s44
	v_mfma_f32_16x16x16_bf16 v[14:17], v[46:47], v[2:3], v[14:17]
	v_pk_mul_f32 v[20:21], v[24:25], v[38:39] op_sel_hi:[0,1]
	v_cvt_pk_f32_fp8_e32 v[38:39], v6
	v_cvt_pk_f32_fp8_e32 v[46:47], v8
	v_mfma_f32_16x16x16_bf16 v[14:17], v[18:19], v[4:5], v[14:17]
	v_cvt_pk_f32_fp8_e32 v[18:19], v7
	v_perm_b32 v38, v39, v38, s44
	v_perm_b32 v39, v41, v40, s44
	v_cvt_pk_f32_fp8_sdwa v[6:7], v7 src0_sel:WORD_1
	v_perm_b32 v18, v19, v18, s44
	v_cvt_pk_f32_fp8_sdwa v[48:49], v8 src0_sel:WORD_1
	v_mfma_f32_16x16x16_bf16 v[38:41], v[38:39], v[10:11], 0
	v_perm_b32 v19, v7, v6, s44
	v_perm_b32 v10, v47, v46, s44
	;; [unrolled: 1-line block ×3, first 2 shown]
	v_cvt_pk_f32_fp8_e32 v[46:47], v9
	v_cvt_pk_f32_fp8_sdwa v[48:49], v9 src0_sel:WORD_1
	v_mfma_f32_16x16x16_bf16 v[6:9], v[18:19], v[12:13], v[38:41]
	v_pk_mul_f32 v[36:37], v[24:25], v[36:37] op_sel_hi:[0,1]
	v_perm_b32 v12, v47, v46, s44
	v_perm_b32 v13, v49, v48, s44
	v_mfma_f32_16x16x16_bf16 v[6:9], v[10:11], v[2:3], v[6:9]
	v_pk_mul_f32 v[40:41], v[24:25], v[34:35] op_sel_hi:[0,1]
	v_pk_mul_f32 v[34:35], v[24:25], v[16:17] op_sel_hi:[0,1]
	;; [unrolled: 1-line block ×3, first 2 shown]
	v_mfma_f32_16x16x16_bf16 v[2:5], v[12:13], v[4:5], v[6:9]
	s_nop 6
	v_pk_mul_f32 v[18:19], v[24:25], v[4:5] op_sel_hi:[0,1]
	v_pk_mul_f32 v[24:25], v[24:25], v[2:3] op_sel_hi:[0,1]
	v_and_b32_e32 v2, 0xc0, v0
	v_add_u32_e32 v2, s5, v2
	v_lshl_or_b32 v2, v42, 2, v2
	v_or_b32_e32 v5, 1, v2
	v_mov_b32_e32 v3, 0xff7fffff
	v_cmp_gt_i32_e64 s[4:5], s33, v2
	v_cmp_gt_i32_e64 s[34:35], s33, v5
	v_or_b32_e32 v6, 3, v2
	v_cndmask_b32_e64 v4, v3, v20, s[4:5]
	v_cndmask_b32_e64 v5, v3, v21, s[34:35]
	v_max3_f32 v4, v4, s46, v5
	v_or_b32_e32 v5, 2, v2
	v_cmp_gt_i32_e64 s[36:37], s33, v5
	v_cmp_gt_i32_e64 s[38:39], s33, v6
	s_nop 0
	v_cndmask_b32_e64 v5, v3, v22, s[36:37]
	v_cndmask_b32_e64 v6, v3, v23, s[38:39]
	v_max3_f32 v4, v4, v5, v6
	v_or_b32_e32 v5, 16, v2
	v_or_b32_e32 v6, 17, v2
	v_cmp_gt_i32_e64 s[24:25], s33, v5
	v_cmp_gt_i32_e64 s[26:27], s33, v6
	s_nop 0
	v_cndmask_b32_e64 v5, v3, v40, s[24:25]
	v_cndmask_b32_e64 v6, v3, v41, s[26:27]
	v_max3_f32 v4, v4, v5, v6
	v_or_b32_e32 v5, 18, v2
	;; [unrolled: 8-line block ×6, first 2 shown]
	v_or_b32_e32 v2, 51, v2
	v_cmp_gt_i32_e32 vcc, s33, v5
	v_cmp_gt_i32_e64 s[6:7], s33, v2
	s_nop 0
	v_cndmask_b32_e32 v5, v3, v18, vcc
	v_cndmask_b32_e64 v2, v3, v19, s[6:7]
	v_max3_f32 v4, v4, v5, v2
	v_mbcnt_lo_u32_b32 v2, -1, 0
	v_mbcnt_hi_u32_b32 v5, -1, v2
	v_and_b32_e32 v2, 64, v5
	v_add_u32_e32 v6, 64, v2
	v_xor_b32_e32 v2, 32, v5
	v_cmp_lt_i32_e64 s[40:41], v2, v6
	s_nop 1
	v_cndmask_b32_e64 v2, v5, v2, s[40:41]
	v_lshlrev_b32_e32 v46, 2, v2
	ds_bpermute_b32 v7, v46, v4
	s_waitcnt vmcnt(2)
	v_mad_i64_i32 v[2:3], s[40:41], v45, s45, v[30:31]
	global_load_dwordx4 v[14:17], v[32:33], off
	global_load_dwordx4 v[10:13], v[2:3], off
	v_xor_b32_e32 v3, 16, v5
	v_cmp_lt_i32_e64 s[40:41], v3, v6
	s_waitcnt lgkmcnt(0)
	v_max_f32_e32 v2, v7, v7
	v_max_f32_e32 v2, v4, v2
	v_cndmask_b32_e64 v3, v5, v3, s[40:41]
	v_lshlrev_b32_e32 v45, 2, v3
	ds_bpermute_b32 v3, v45, v2
	s_waitcnt vmcnt(3)
	v_mad_i64_i32 v[32:33], s[40:41], v27, s45, v[30:31]
	s_waitcnt vmcnt(2)
	v_mad_i64_i32 v[30:31], s[40:41], v44, s45, v[30:31]
	s_waitcnt lgkmcnt(0)
	v_max_f32_e32 v3, v3, v3
	v_max_f32_e32 v27, v2, v3
	v_sub_f32_e32 v2, v20, v27
	v_mul_f32_e32 v2, 0x3fb8aa3b, v2
	v_exp_f32_e32 v20, v2
	v_sub_f32_e32 v2, v21, v27
	v_mul_f32_e32 v2, 0x3fb8aa3b, v2
	v_exp_f32_e32 v21, v2
	global_load_dwordx4 v[6:9], v[32:33], off
	global_load_dwordx4 v[2:5], v[30:31], off
	v_sub_f32_e32 v22, v22, v27
	v_mul_f32_e32 v22, 0x3fb8aa3b, v22
	v_sub_f32_e32 v23, v23, v27
	v_exp_f32_e32 v22, v22
	v_mul_f32_e32 v23, 0x3fb8aa3b, v23
	v_exp_f32_e32 v23, v23
	v_cndmask_b32_e64 v20, 0, v20, s[4:5]
	v_add_f32_e32 v30, 0, v20
	v_cndmask_b32_e64 v21, 0, v21, s[34:35]
	v_add_f32_e32 v30, v30, v21
	;; [unrolled: 2-line block ×3, first 2 shown]
	v_cndmask_b32_e64 v33, 0, v23, s[38:39]
	v_sub_f32_e32 v23, v40, v27
	v_sub_f32_e32 v30, v41, v27
	v_mul_f32_e32 v23, 0x3fb8aa3b, v23
	v_mul_f32_e32 v30, 0x3fb8aa3b, v30
	v_exp_f32_e32 v23, v23
	v_exp_f32_e32 v30, v30
	v_add_f32_e32 v31, v22, v33
	v_sub_f32_e32 v34, v34, v27
	v_cndmask_b32_e64 v22, 0, v23, s[24:25]
	v_cndmask_b32_e64 v23, 0, v30, s[26:27]
	v_sub_f32_e32 v30, v36, v27
	v_mul_f32_e32 v30, 0x3fb8aa3b, v30
	v_exp_f32_e32 v30, v30
	v_sub_f32_e32 v36, v37, v27
	v_add_f32_e32 v31, v31, v22
	v_mul_f32_e32 v36, 0x3fb8aa3b, v36
	v_exp_f32_e32 v37, v36
	v_add_f32_e32 v31, v31, v23
	v_cndmask_b32_e64 v36, 0, v30, s[20:21]
	v_add_f32_e32 v30, v31, v36
	v_sub_f32_e32 v31, v38, v27
	v_mul_f32_e32 v31, 0x3fb8aa3b, v31
	v_sub_f32_e32 v38, v39, v27
	v_exp_f32_e32 v31, v31
	v_mul_f32_e32 v38, 0x3fb8aa3b, v38
	v_exp_f32_e32 v38, v38
	v_mul_f32_e32 v34, 0x3fb8aa3b, v34
	v_sub_f32_e32 v35, v35, v27
	v_exp_f32_e32 v34, v34
	v_mul_f32_e32 v35, 0x3fb8aa3b, v35
	v_sub_f32_e32 v24, v24, v27
	v_cndmask_b32_e64 v37, 0, v37, s[22:23]
	v_exp_f32_e32 v35, v35
	v_mul_f32_e32 v24, 0x3fb8aa3b, v24
	v_sub_f32_e32 v25, v25, v27
	v_add_f32_e32 v39, v30, v37
	v_cndmask_b32_e64 v30, 0, v31, s[16:17]
	v_exp_f32_e32 v24, v24
	v_mul_f32_e32 v25, 0x3fb8aa3b, v25
	v_sub_f32_e32 v18, v18, v27
	v_add_f32_e32 v39, v39, v30
	;; [unrolled: 5-line block ×3, first 2 shown]
	v_cndmask_b32_e64 v34, 0, v34, s[12:13]
	v_exp_f32_e32 v18, v18
	v_mul_f32_e32 v19, 0x3fb8aa3b, v19
	v_add_f32_e32 v38, v38, v34
	v_cndmask_b32_e64 v35, 0, v35, s[14:15]
	v_exp_f32_e32 v19, v19
	v_add_f32_e32 v38, v38, v35
	v_cndmask_b32_e64 v24, 0, v24, s[8:9]
	v_add_f32_e32 v38, v38, v24
	v_cndmask_b32_e64 v25, 0, v25, s[10:11]
	v_add_f32_e32 v38, v38, v25
	v_cndmask_b32_e32 v18, 0, v18, vcc
	v_add_f32_e32 v38, v38, v18
	v_cndmask_b32_e64 v19, 0, v19, s[6:7]
	v_add_f32_e32 v38, v38, v19
	ds_bpermute_b32 v39, v46, v38
	v_cmp_gt_u32_e32 vcc, 16, v43
	s_waitcnt lgkmcnt(0)
	s_barrier
	v_add_f32_e32 v39, v38, v39
	ds_bpermute_b32 v40, v45, v39
	v_lshlrev_b32_e32 v38, 2, v28
	s_and_saveexec_b64 s[4:5], vcc
	s_cbranch_execz .LBB1113_13
; %bb.12:
	s_waitcnt lgkmcnt(0)
	v_add_f32_e32 v39, v39, v40
	v_lshl_or_b32 v40, v29, 6, v38
	ds_write2st64_b32 v40, v27, v39 offset1:1
.LBB1113_13:
	s_or_b64 exec, exec, s[4:5]
	s_load_dword s6, s[0:1], 0x94
	s_waitcnt lgkmcnt(0)
	s_barrier
	ds_read2_b32 v[40:41], v38 offset1:16
	ds_read2_b32 v[44:45], v38 offset0:32 offset1:48
	ds_read2_b32 v[46:47], v38 offset0:64 offset1:80
	s_movk_i32 s8, 0x7fff
	s_mul_i32 s7, s29, 6
	s_waitcnt lgkmcnt(2)
	v_max3_f32 v27, v40, s46, v41
	s_waitcnt lgkmcnt(1)
	v_max3_f32 v27, v27, v44, v45
	v_sub_f32_e32 v39, v40, v27
	v_sub_f32_e32 v40, v41, v27
	v_mul_f32_e32 v40, 0x3fb8aa3b, v40
	v_mul_f32_e32 v39, 0x3fb8aa3b, v39
	v_exp_f32_e32 v43, v40
	v_sub_f32_e32 v40, v44, v27
	v_exp_f32_e32 v39, v39
	v_mul_f32_e32 v40, 0x3fb8aa3b, v40
	v_exp_f32_e32 v44, v40
	ds_read2_b32 v[40:41], v38 offset0:96 offset1:112
	v_sub_f32_e32 v38, v45, v27
	v_mul_f32_e32 v38, 0x3fb8aa3b, v38
	v_exp_f32_e32 v45, v38
	s_waitcnt lgkmcnt(1)
	v_fma_f32 v38, v39, v46, 0
	v_fmac_f32_e32 v38, v43, v47
	s_waitcnt lgkmcnt(0)
	v_fmac_f32_e32 v38, v44, v40
	v_fmac_f32_e32 v38, v45, v41
	v_add_f32_e32 v40, 0x358637bd, v38
	v_div_scale_f32 v41, s[4:5], v40, v40, 1.0
	v_rcp_f32_e32 v46, v41
	s_barrier
	v_fma_f32 v47, -v41, v46, 1.0
	v_fmac_f32_e32 v46, v47, v46
	v_div_scale_f32 v47, vcc, 1.0, v40, 1.0
	v_mul_f32_e32 v48, v47, v46
	v_fma_f32 v49, -v41, v48, v47
	v_fmac_f32_e32 v48, v49, v46
	v_fma_f32 v41, -v41, v48, v47
	v_div_fmas_f32 v41, v41, v46, v48
	v_cmp_eq_u32_e32 vcc, 1, v29
	v_div_fixup_f32 v40, v41, v40, 1.0
	s_nop 0
	v_cndmask_b32_e32 v39, v39, v43, vcc
	v_cmp_eq_u32_e32 vcc, 2, v29
	s_nop 1
	v_cndmask_b32_e32 v39, v39, v44, vcc
	v_cmp_eq_u32_e32 vcc, 3, v29
	v_lshlrev_b32_e32 v29, 11, v29
	s_nop 0
	v_cndmask_b32_e32 v39, v39, v45, vcc
	v_mul_f32_e32 v40, v39, v40
	v_pk_mul_f32 v[20:21], v[40:41], v[20:21] op_sel_hi:[0,1]
	v_pk_mul_f32 v[32:33], v[40:41], v[32:33] op_sel_hi:[0,1]
	v_bfe_u32 v39, v21, 16, 1
	v_bfe_u32 v41, v20, 16, 1
	v_add3_u32 v20, v20, v41, s8
	v_add3_u32 v21, v21, v39, s8
	v_perm_b32 v44, v21, v20, s44
	v_bfe_u32 v20, v33, 16, 1
	v_bfe_u32 v21, v32, 16, 1
	v_add3_u32 v21, v32, v21, s8
	v_add3_u32 v20, v33, v20, s8
	v_perm_b32 v45, v20, v21, s44
	v_lshlrev_b32_e32 v20, 3, v42
	v_lshlrev_b32_e32 v21, 5, v28
	v_pk_mul_f32 v[22:23], v[40:41], v[22:23] op_sel_hi:[0,1]
	v_or3_b32 v20, v29, v21, v20
	v_pk_mul_f32 v[32:33], v[40:41], v[36:37] op_sel_hi:[0,1]
	v_bfe_u32 v29, v23, 16, 1
	v_bfe_u32 v36, v22, 16, 1
	v_add3_u32 v22, v22, v36, s8
	v_add3_u32 v23, v23, v29, s8
	v_perm_b32 v22, v23, v22, s44
	v_bfe_u32 v23, v33, 16, 1
	v_bfe_u32 v29, v32, 16, 1
	v_add3_u32 v29, v32, v29, s8
	v_add3_u32 v23, v33, v23, s8
	v_pk_mul_f32 v[30:31], v[40:41], v[30:31] op_sel_hi:[0,1]
	v_perm_b32 v23, v23, v29, s44
	v_bfe_u32 v29, v31, 16, 1
	v_bfe_u32 v32, v30, 16, 1
	ds_write2st64_b64 v20, v[44:45], v[22:23] offset1:1
	v_pk_mul_f32 v[22:23], v[40:41], v[34:35] op_sel_hi:[0,1]
	v_add3_u32 v30, v30, v32, s8
	v_add3_u32 v29, v31, v29, s8
	v_perm_b32 v30, v29, v30, s44
	v_bfe_u32 v29, v23, 16, 1
	v_bfe_u32 v31, v22, 16, 1
	v_add3_u32 v22, v22, v31, s8
	v_add3_u32 v23, v23, v29, s8
	v_perm_b32 v31, v23, v22, s44
	v_pk_mul_f32 v[22:23], v[40:41], v[24:25] op_sel_hi:[0,1]
	v_bfe_u32 v24, v23, 16, 1
	v_bfe_u32 v25, v22, 16, 1
	v_pk_mul_f32 v[18:19], v[40:41], v[18:19] op_sel_hi:[0,1]
	v_add3_u32 v22, v22, v25, s8
	v_add3_u32 v23, v23, v24, s8
	v_perm_b32 v22, v23, v22, s44
	v_bfe_u32 v23, v19, 16, 1
	v_bfe_u32 v24, v18, 16, 1
	v_add3_u32 v18, v18, v24, s8
	v_add3_u32 v19, v19, v23, s8
	v_perm_b32 v23, v19, v18, s44
	v_cmp_gt_u32_e32 vcc, 6, v0
	ds_write2st64_b64 v20, v[30:31], v[22:23] offset0:2 offset1:3
	s_and_saveexec_b64 s[4:5], vcc
	s_cbranch_execz .LBB1113_15
; %bb.14:
	s_mov_b32 s49, 0
	v_mov_b32_e32 v29, 0
	v_lshl_add_u64 v[18:19], s[48:49], 0, v[28:29]
	v_mov_b32_e32 v22, s7
	v_mad_u64_u32 v[18:19], s[10:11], s2, v22, v[18:19]
	s_mul_i32 s3, s3, s7
	v_mov_b32_e32 v28, s28
	s_load_dwordx4 s[12:15], s[0:1], 0x58
	v_add_u32_e32 v23, s3, v19
	v_mad_u64_u32 v[18:19], s[10:11], v18, s6, v[28:29]
	v_mov_b32_e32 v22, v19
	v_mad_u64_u32 v[22:23], s[10:11], v23, s6, v[22:23]
	v_mov_b32_e32 v19, v22
	v_lshlrev_b64 v[18:19], 2, v[18:19]
	s_waitcnt lgkmcnt(0)
	v_lshl_add_u64 v[22:23], s[14:15], 0, v[18:19]
	v_lshl_add_u64 v[18:19], s[12:13], 0, v[18:19]
	global_store_dword v[22:23], v27, off
	global_store_dword v[18:19], v38, off
.LBB1113_15:
	s_or_b64 exec, exec, s[4:5]
	s_waitcnt vmcnt(3)
	v_cvt_pk_f32_fp8_e32 v[18:19], v14
	v_cvt_pk_f32_fp8_sdwa v[22:23], v14 src0_sel:WORD_1
	s_mov_b32 s4, 0x7060302
	v_lshl_or_b32 v14, v42, 9, v21
	s_waitcnt lgkmcnt(0)
	s_barrier
	v_perm_b32 v18, v19, v18, s4
	v_perm_b32 v19, v23, v22, s4
	v_cvt_pk_f32_fp8_e32 v[28:29], v15
	ds_read_b128 v[22:25], v14
	v_cvt_pk_f32_fp8_sdwa v[36:37], v15 src0_sel:WORD_1
	s_load_dword s10, s[42:43], 0x0
	v_perm_b32 v38, v29, v28, s4
	ds_read_b128 v[28:31], v14 offset:16
	v_perm_b32 v39, v37, v36, s4
	s_waitcnt lgkmcnt(0)
	v_mfma_f32_16x16x16_bf16 v[32:35], v[18:19], v[22:23], 0
	v_cvt_pk_f32_fp8_e32 v[18:19], v16
	v_cvt_pk_f32_fp8_sdwa v[36:37], v16 src0_sel:WORD_1
	v_cmp_gt_u32_e32 vcc, 64, v0
	v_mfma_f32_16x16x16_bf16 v[22:25], v[38:39], v[24:25], v[32:35]
	v_perm_b32 v18, v19, v18, s4
	v_perm_b32 v19, v37, v36, s4
	s_waitcnt vmcnt(2)
	v_cvt_pk_f32_fp8_sdwa v[36:37], v10 src0_sel:WORD_1
	v_cvt_pk_f32_fp8_e32 v[32:33], v17
	v_cvt_pk_f32_fp8_sdwa v[16:17], v17 src0_sel:WORD_1
	v_cvt_pk_f32_fp8_e32 v[34:35], v10
	s_mov_b32 s3, 0
	v_perm_b32 v32, v33, v32, s4
	v_perm_b32 v33, v17, v16, s4
	v_mfma_f32_16x16x16_bf16 v[16:19], v[18:19], v[28:29], v[22:25]
	v_perm_b32 v34, v35, v34, s4
	v_perm_b32 v35, v37, v36, s4
	v_cvt_pk_f32_fp8_e32 v[28:29], v11
	ds_read_b128 v[22:25], v14 offset:2048
	v_cvt_pk_f32_fp8_sdwa v[10:11], v11 src0_sel:WORD_1
	v_mfma_f32_16x16x16_bf16 v[16:19], v[32:33], v[30:31], v[16:19]
	v_perm_b32 v32, v29, v28, s4
	ds_read_b128 v[28:31], v14 offset:2064
	v_perm_b32 v33, v11, v10, s4
	s_waitcnt lgkmcnt(1)
	v_mfma_f32_16x16x16_bf16 v[16:19], v[34:35], v[22:23], v[16:19]
	v_cvt_pk_f32_fp8_e32 v[10:11], v12
	v_cvt_pk_f32_fp8_sdwa v[22:23], v12 src0_sel:WORD_1
	v_mov_b32_e32 v27, 0
	v_mfma_f32_16x16x16_bf16 v[16:19], v[32:33], v[24:25], v[16:19]
	v_cvt_pk_f32_fp8_e32 v[24:25], v13
	v_perm_b32 v10, v11, v10, s4
	v_perm_b32 v11, v23, v22, s4
	v_cvt_pk_f32_fp8_sdwa v[12:13], v13 src0_sel:WORD_1
	v_perm_b32 v22, v25, v24, s4
	s_waitcnt vmcnt(1)
	v_cvt_pk_f32_fp8_e32 v[24:25], v6
	v_cvt_pk_f32_fp8_sdwa v[32:33], v6 src0_sel:WORD_1
	v_perm_b32 v23, v13, v12, s4
	s_waitcnt lgkmcnt(0)
	v_mfma_f32_16x16x16_bf16 v[10:13], v[10:11], v[28:29], v[16:19]
	v_perm_b32 v28, v25, v24, s4
	v_perm_b32 v29, v33, v32, s4
	v_cvt_pk_f32_fp8_e32 v[24:25], v7
	ds_read_b128 v[16:19], v14 offset:4096
	v_cvt_pk_f32_fp8_sdwa v[6:7], v7 src0_sel:WORD_1
	v_mfma_f32_16x16x16_bf16 v[10:13], v[22:23], v[30:31], v[10:13]
	v_perm_b32 v30, v25, v24, s4
	ds_read_b128 v[22:25], v14 offset:4112
	v_perm_b32 v31, v7, v6, s4
	s_waitcnt lgkmcnt(1)
	v_mfma_f32_16x16x16_bf16 v[10:13], v[28:29], v[16:17], v[10:13]
	v_cvt_pk_f32_fp8_e32 v[6:7], v8
	v_cvt_pk_f32_fp8_sdwa v[16:17], v8 src0_sel:WORD_1
	s_waitcnt vmcnt(0)
	v_cvt_pk_f32_fp8_sdwa v[28:29], v2 src0_sel:WORD_1
	v_mfma_f32_16x16x16_bf16 v[10:13], v[30:31], v[18:19], v[10:13]
	v_cvt_pk_f32_fp8_e32 v[18:19], v9
	v_perm_b32 v6, v7, v6, s4
	v_perm_b32 v7, v17, v16, s4
	v_cvt_pk_f32_fp8_sdwa v[8:9], v9 src0_sel:WORD_1
	v_perm_b32 v16, v19, v18, s4
	v_cvt_pk_f32_fp8_e32 v[18:19], v2
	v_perm_b32 v17, v9, v8, s4
	s_waitcnt lgkmcnt(0)
	v_mfma_f32_16x16x16_bf16 v[6:9], v[6:7], v[22:23], v[10:13]
	v_perm_b32 v18, v19, v18, s4
	v_perm_b32 v19, v29, v28, s4
	v_cvt_pk_f32_fp8_e32 v[22:23], v3
	ds_read_b128 v[10:13], v14 offset:6144
	v_cvt_pk_f32_fp8_sdwa v[2:3], v3 src0_sel:WORD_1
	v_mfma_f32_16x16x16_bf16 v[6:9], v[16:17], v[24:25], v[6:9]
	v_perm_b32 v22, v23, v22, s4
	ds_read_b128 v[14:17], v14 offset:6160
	v_perm_b32 v23, v3, v2, s4
	s_waitcnt lgkmcnt(1)
	v_mfma_f32_16x16x16_bf16 v[6:9], v[18:19], v[10:11], v[6:9]
	v_cvt_pk_f32_fp8_e32 v[2:3], v4
	v_cvt_pk_f32_fp8_sdwa v[10:11], v4 src0_sel:WORD_1
	s_waitcnt lgkmcnt(0)
	v_mfma_f32_16x16x16_bf16 v[6:9], v[22:23], v[12:13], v[6:9]
	v_perm_b32 v2, v3, v2, s4
	v_perm_b32 v3, v11, v10, s4
	v_cvt_pk_f32_fp8_e32 v[10:11], v5
	v_cvt_pk_f32_fp8_sdwa v[4:5], v5 src0_sel:WORD_1
	s_barrier
	v_perm_b32 v10, v11, v10, s4
	v_perm_b32 v11, v5, v4, s4
	v_mfma_f32_16x16x16_bf16 v[2:5], v[2:3], v[14:15], v[6:9]
	s_nop 0
	v_mfma_f32_16x16x16_bf16 v[2:5], v[10:11], v[16:17], v[2:5]
	s_nop 6
	v_pk_mul_f32 v[2:3], v[2:3], s[10:11] op_sel_hi:[1,0]
	v_pk_mul_f32 v[4:5], v[4:5], s[10:11] op_sel_hi:[1,0]
	v_bfe_u32 v6, v3, 16, 1
	v_bfe_u32 v7, v2, 16, 1
	v_add3_u32 v2, v2, v7, s8
	v_add3_u32 v3, v3, v6, s8
	v_perm_b32 v2, v3, v2, s4
	v_bfe_u32 v3, v5, 16, 1
	v_bfe_u32 v6, v4, 16, 1
	v_add3_u32 v4, v4, v6, s8
	v_add3_u32 v3, v5, v3, s8
	v_perm_b32 v3, v3, v4, s4
	s_and_b64 s[4:5], vcc, s[30:31]
	ds_write_b64 v20, v[2:3]
	s_waitcnt lgkmcnt(0)
	s_barrier
	s_and_saveexec_b64 s[8:9], s[4:5]
	s_cbranch_execz .LBB1113_18
; %bb.16:
	s_load_dwordx2 s[4:5], s[0:1], 0x68
	s_lshl_b32 s0, s6, 6
	s_mul_i32 s1, s7, s2
	s_mul_hi_u32 s7, s1, s0
	s_mul_i32 s6, s1, s0
	v_lshlrev_b32_e32 v0, 10, v0
	s_lshl_b64 s[6:7], s[6:7], 1
	v_and_b32_e32 v0, 0x1800, v0
	v_lshlrev_b32_e32 v3, 5, v42
	v_and_b32_e32 v1, 16, v1
	s_waitcnt lgkmcnt(0)
	s_add_u32 s1, s4, s6
	v_or3_b32 v3, v0, v3, v1
	s_addc_u32 s4, s5, s7
	s_lshl_b32 s2, s28, 6
	s_lshl_b64 s[2:3], s[2:3], 1
	ds_read_b128 v[4:7], v3
	s_add_u32 s2, s1, s2
	s_addc_u32 s3, s4, s3
	v_add_u32_e32 v8, s48, v42
	v_or_b32_e32 v2, 4, v42
	v_lshl_add_u64 v[0:1], s[2:3], 0, v[26:27]
	v_mad_u64_u32 v[8:9], s[2:3], v8, s0, 0
	v_lshl_add_u64 v[8:9], v[8:9], 1, v[0:1]
	v_cmp_gt_u32_e32 vcc, 6, v2
	s_waitcnt lgkmcnt(0)
	global_store_dwordx4 v[8:9], v[4:7], off
	s_and_b64 exec, exec, vcc
	s_cbranch_execz .LBB1113_18
; %bb.17:
	ds_read_b128 v[4:7], v3 offset:128
	v_add_u32_e32 v2, s48, v2
	v_mad_u64_u32 v[2:3], s[0:1], v2, s0, 0
	v_lshl_add_u64 v[0:1], v[2:3], 1, v[0:1]
	s_waitcnt lgkmcnt(0)
	global_store_dwordx4 v[0:1], v[4:7], off
.LBB1113_18:
	s_endpgm
	.section	.rodata,"a",@progbits
	.p2align	6, 0x0
	.amdhsa_kernel _Z39paged_attention_ll4mi_QKV_mfma16_kernelI14__hip_bfloat16hLN4vllm18Fp8KVCacheDataTypeE1EhLi16ELi64ELi256ELb0ELi6EEvPKT_PKT0_S8_ifPKiSA_SA_iPKfiiiPfSD_PS3_PT2_iSC_SC_
		.amdhsa_group_segment_fixed_size 8192
		.amdhsa_private_segment_fixed_size 0
		.amdhsa_kernarg_size 400
		.amdhsa_user_sgpr_count 2
		.amdhsa_user_sgpr_dispatch_ptr 0
		.amdhsa_user_sgpr_queue_ptr 0
		.amdhsa_user_sgpr_kernarg_segment_ptr 1
		.amdhsa_user_sgpr_dispatch_id 0
		.amdhsa_user_sgpr_kernarg_preload_length 0
		.amdhsa_user_sgpr_kernarg_preload_offset 0
		.amdhsa_user_sgpr_private_segment_size 0
		.amdhsa_uses_dynamic_stack 0
		.amdhsa_enable_private_segment 0
		.amdhsa_system_sgpr_workgroup_id_x 1
		.amdhsa_system_sgpr_workgroup_id_y 1
		.amdhsa_system_sgpr_workgroup_id_z 1
		.amdhsa_system_sgpr_workgroup_info 0
		.amdhsa_system_vgpr_workitem_id 0
		.amdhsa_next_free_vgpr 58
		.amdhsa_next_free_sgpr 50
		.amdhsa_accum_offset 60
		.amdhsa_reserve_vcc 1
		.amdhsa_float_round_mode_32 0
		.amdhsa_float_round_mode_16_64 0
		.amdhsa_float_denorm_mode_32 3
		.amdhsa_float_denorm_mode_16_64 3
		.amdhsa_dx10_clamp 1
		.amdhsa_ieee_mode 1
		.amdhsa_fp16_overflow 0
		.amdhsa_tg_split 0
		.amdhsa_exception_fp_ieee_invalid_op 0
		.amdhsa_exception_fp_denorm_src 0
		.amdhsa_exception_fp_ieee_div_zero 0
		.amdhsa_exception_fp_ieee_overflow 0
		.amdhsa_exception_fp_ieee_underflow 0
		.amdhsa_exception_fp_ieee_inexact 0
		.amdhsa_exception_int_div_zero 0
	.end_amdhsa_kernel
	.section	.text._Z39paged_attention_ll4mi_QKV_mfma16_kernelI14__hip_bfloat16hLN4vllm18Fp8KVCacheDataTypeE1EhLi16ELi64ELi256ELb0ELi6EEvPKT_PKT0_S8_ifPKiSA_SA_iPKfiiiPfSD_PS3_PT2_iSC_SC_,"axG",@progbits,_Z39paged_attention_ll4mi_QKV_mfma16_kernelI14__hip_bfloat16hLN4vllm18Fp8KVCacheDataTypeE1EhLi16ELi64ELi256ELb0ELi6EEvPKT_PKT0_S8_ifPKiSA_SA_iPKfiiiPfSD_PS3_PT2_iSC_SC_,comdat
.Lfunc_end1113:
	.size	_Z39paged_attention_ll4mi_QKV_mfma16_kernelI14__hip_bfloat16hLN4vllm18Fp8KVCacheDataTypeE1EhLi16ELi64ELi256ELb0ELi6EEvPKT_PKT0_S8_ifPKiSA_SA_iPKfiiiPfSD_PS3_PT2_iSC_SC_, .Lfunc_end1113-_Z39paged_attention_ll4mi_QKV_mfma16_kernelI14__hip_bfloat16hLN4vllm18Fp8KVCacheDataTypeE1EhLi16ELi64ELi256ELb0ELi6EEvPKT_PKT0_S8_ifPKiSA_SA_iPKfiiiPfSD_PS3_PT2_iSC_SC_
                                        ; -- End function
	.section	.AMDGPU.csdata,"",@progbits
; Kernel info:
; codeLenInByte = 4824
; NumSgprs: 56
; NumVgprs: 58
; NumAgprs: 0
; TotalNumVgprs: 58
; ScratchSize: 0
; MemoryBound: 0
; FloatMode: 240
; IeeeMode: 1
; LDSByteSize: 8192 bytes/workgroup (compile time only)
; SGPRBlocks: 6
; VGPRBlocks: 7
; NumSGPRsForWavesPerEU: 56
; NumVGPRsForWavesPerEU: 58
; AccumOffset: 60
; Occupancy: 8
; WaveLimiterHint : 1
; COMPUTE_PGM_RSRC2:SCRATCH_EN: 0
; COMPUTE_PGM_RSRC2:USER_SGPR: 2
; COMPUTE_PGM_RSRC2:TRAP_HANDLER: 0
; COMPUTE_PGM_RSRC2:TGID_X_EN: 1
; COMPUTE_PGM_RSRC2:TGID_Y_EN: 1
; COMPUTE_PGM_RSRC2:TGID_Z_EN: 1
; COMPUTE_PGM_RSRC2:TIDIG_COMP_CNT: 0
; COMPUTE_PGM_RSRC3_GFX90A:ACCUM_OFFSET: 14
; COMPUTE_PGM_RSRC3_GFX90A:TG_SPLIT: 0
	.section	.text._Z39paged_attention_ll4mi_QKV_mfma16_kernelI14__hip_bfloat16hLN4vllm18Fp8KVCacheDataTypeE1EhLi16ELi64ELi256ELb0ELi7EEvPKT_PKT0_S8_ifPKiSA_SA_iPKfiiiPfSD_PS3_PT2_iSC_SC_,"axG",@progbits,_Z39paged_attention_ll4mi_QKV_mfma16_kernelI14__hip_bfloat16hLN4vllm18Fp8KVCacheDataTypeE1EhLi16ELi64ELi256ELb0ELi7EEvPKT_PKT0_S8_ifPKiSA_SA_iPKfiiiPfSD_PS3_PT2_iSC_SC_,comdat
	.protected	_Z39paged_attention_ll4mi_QKV_mfma16_kernelI14__hip_bfloat16hLN4vllm18Fp8KVCacheDataTypeE1EhLi16ELi64ELi256ELb0ELi7EEvPKT_PKT0_S8_ifPKiSA_SA_iPKfiiiPfSD_PS3_PT2_iSC_SC_ ; -- Begin function _Z39paged_attention_ll4mi_QKV_mfma16_kernelI14__hip_bfloat16hLN4vllm18Fp8KVCacheDataTypeE1EhLi16ELi64ELi256ELb0ELi7EEvPKT_PKT0_S8_ifPKiSA_SA_iPKfiiiPfSD_PS3_PT2_iSC_SC_
	.globl	_Z39paged_attention_ll4mi_QKV_mfma16_kernelI14__hip_bfloat16hLN4vllm18Fp8KVCacheDataTypeE1EhLi16ELi64ELi256ELb0ELi7EEvPKT_PKT0_S8_ifPKiSA_SA_iPKfiiiPfSD_PS3_PT2_iSC_SC_
	.p2align	8
	.type	_Z39paged_attention_ll4mi_QKV_mfma16_kernelI14__hip_bfloat16hLN4vllm18Fp8KVCacheDataTypeE1EhLi16ELi64ELi256ELb0ELi7EEvPKT_PKT0_S8_ifPKiSA_SA_iPKfiiiPfSD_PS3_PT2_iSC_SC_,@function
_Z39paged_attention_ll4mi_QKV_mfma16_kernelI14__hip_bfloat16hLN4vllm18Fp8KVCacheDataTypeE1EhLi16ELi64ELi256ELb0ELi7EEvPKT_PKT0_S8_ifPKiSA_SA_iPKfiiiPfSD_PS3_PT2_iSC_SC_: ; @_Z39paged_attention_ll4mi_QKV_mfma16_kernelI14__hip_bfloat16hLN4vllm18Fp8KVCacheDataTypeE1EhLi16ELi64ELi256ELb0ELi7EEvPKT_PKT0_S8_ifPKiSA_SA_iPKfiiiPfSD_PS3_PT2_iSC_SC_
; %bb.0:
	s_load_dwordx2 s[12:13], s[0:1], 0x30
	s_mov_b32 s28, s3
	s_mov_b64 s[6:7], 0
	s_waitcnt lgkmcnt(0)
	s_cmp_lg_u64 s[12:13], 0
	s_cselect_b64 s[14:15], -1, 0
	s_and_b64 vcc, exec, s[14:15]
	s_cbranch_vccz .LBB1114_7
; %bb.1:
	s_add_i32 s8, s2, 1
	s_mov_b32 s9, 0
	s_lshl_b64 s[10:11], s[8:9], 2
	s_add_u32 s10, s12, s10
	s_mov_b32 s3, s9
	s_addc_u32 s11, s13, s11
	s_lshl_b64 s[8:9], s[2:3], 2
	s_add_u32 s8, s12, s8
	s_addc_u32 s9, s13, s9
	s_load_dword s5, s[10:11], 0x0
	s_load_dword s16, s[8:9], 0x0
	s_waitcnt lgkmcnt(0)
	s_sub_i32 s5, s5, s16
	s_cmp_eq_u32 s5, 1
	s_cselect_b64 s[8:9], -1, 0
	s_andn2_b64 vcc, exec, s[6:7]
	s_cbranch_vccnz .LBB1114_3
.LBB1114_2:
	s_mov_b32 s3, 0
	s_mov_b64 s[8:9], -1
.LBB1114_3:
	s_andn2_b64 vcc, exec, s[8:9]
	s_cbranch_vccnz .LBB1114_18
; %bb.4:
	s_load_dwordx2 s[6:7], s[0:1], 0x28
	s_lshl_b64 s[16:17], s[2:3], 2
	s_waitcnt lgkmcnt(0)
	s_add_u32 s6, s6, s16
	s_addc_u32 s7, s7, s17
	s_load_dword s33, s[6:7], 0x0
	s_lshl_b32 s5, s28, 8
	s_waitcnt lgkmcnt(0)
	s_cmp_ge_i32 s5, s33
	s_cbranch_scc1 .LBB1114_18
; %bb.5:
	s_add_i32 s9, s33, 15
	s_load_dwordx2 s[6:7], s[0:1], 0x20
	s_load_dword s8, s[0:1], 0x38
	s_ashr_i32 s10, s9, 31
	v_and_b32_e32 v1, 0xcf, v0
	s_lshr_b32 s10, s10, 28
	v_add_u32_e32 v1, s5, v1
	s_add_i32 s9, s9, s10
	v_ashrrev_i32_e32 v2, 31, v1
	s_ashr_i32 s18, s9, 4
	v_lshrrev_b32_e32 v6, 28, v2
	s_add_i32 s18, s18, -1
	v_add_u32_e32 v2, v1, v6
	v_or_b32_e32 v4, 16, v1
	s_waitcnt lgkmcnt(0)
	s_mul_i32 s8, s2, s8
	s_mov_b32 s9, 0
	v_ashrrev_i32_e32 v2, 4, v2
	v_mov_b32_e32 v7, s18
	v_cmp_gt_i32_e32 vcc, s33, v1
	v_add_u32_e32 v5, v4, v6
	s_lshl_b64 s[8:9], s[8:9], 2
	v_cndmask_b32_e32 v2, v7, v2, vcc
	v_ashrrev_i32_e32 v5, 4, v5
	v_cmp_gt_i32_e32 vcc, s33, v4
	s_add_u32 s6, s6, s8
	s_addc_u32 s7, s7, s9
	v_cndmask_b32_e32 v4, v7, v5, vcc
	v_ashrrev_i32_e32 v5, 31, v4
	v_lshl_add_u64 v[8:9], v[4:5], 2, s[6:7]
	v_or_b32_e32 v4, 32, v1
	v_add_u32_e32 v5, v4, v6
	v_ashrrev_i32_e32 v5, 4, v5
	v_cmp_gt_i32_e32 vcc, s33, v4
	v_or_b32_e32 v1, 48, v1
	v_ashrrev_i32_e32 v3, 31, v2
	v_cndmask_b32_e32 v4, v7, v5, vcc
	v_ashrrev_i32_e32 v5, 31, v4
	v_lshl_add_u64 v[10:11], v[4:5], 2, s[6:7]
	v_add_u32_e32 v4, v1, v6
	v_ashrrev_i32_e32 v4, 4, v4
	v_cmp_gt_i32_e32 vcc, s33, v1
	v_lshl_add_u64 v[2:3], v[2:3], 2, s[6:7]
	s_load_dwordx4 s[8:11], s[0:1], 0x8
	v_cndmask_b32_e32 v4, v7, v4, vcc
	v_ashrrev_i32_e32 v5, 31, v4
	v_lshl_add_u64 v[12:13], v[4:5], 2, s[6:7]
	global_load_dword v7, v[2:3], off
	global_load_dword v6, v[8:9], off
	;; [unrolled: 1-line block ×4, first 2 shown]
	s_andn2_b64 vcc, exec, s[14:15]
	s_cbranch_vccnz .LBB1114_8
; %bb.6:
	s_add_u32 s12, s12, s16
	s_addc_u32 s13, s13, s17
	s_load_dword s14, s[12:13], 0x0
	s_branch .LBB1114_9
.LBB1114_7:
	s_mov_b64 s[8:9], 0
	s_branch .LBB1114_2
.LBB1114_8:
	s_mov_b32 s14, s2
.LBB1114_9:
	s_load_dwordx4 s[44:47], s[0:1], 0x48
	v_lshrrev_b32_e32 v29, 6, v0
	v_bfe_u32 v42, v0, 4, 2
	v_lshl_or_b32 v2, v29, 2, v42
	v_and_b32_e32 v28, 15, v0
	v_lshlrev_b32_e32 v1, 3, v28
	v_cmp_gt_u32_e32 vcc, 7, v2
	v_cmp_gt_u32_e64 s[30:31], 8, v28
	v_and_b32_e32 v43, 63, v0
	s_mul_i32 s48, s4, 7
	s_and_b64 s[16:17], s[30:31], vcc
	v_lshlrev_b32_e32 v26, 1, v1
	v_lshlrev_b32_e32 v1, 4, v0
	s_and_saveexec_b64 s[12:13], s[16:17]
	s_cbranch_execz .LBB1114_11
; %bb.10:
	s_load_dwordx2 s[16:17], s[0:1], 0x0
	s_waitcnt lgkmcnt(0)
	s_ashr_i32 s15, s44, 31
	s_mul_hi_u32 s19, s14, s44
	s_mul_i32 s15, s14, s15
	s_add_i32 s15, s19, s15
	s_mul_i32 s14, s14, s44
	s_lshl_b64 s[14:15], s[14:15], 1
	s_add_u32 s14, s16, s14
	v_add_lshl_u32 v8, v2, s48, 6
	s_addc_u32 s15, s17, s15
	v_ashrrev_i32_e32 v9, 31, v8
	v_lshl_add_u64 v[8:9], v[8:9], 1, s[14:15]
	v_mov_b32_e32 v27, 0
	v_lshl_add_u64 v[8:9], v[8:9], 0, v[26:27]
	global_load_dwordx4 v[8:11], v[8:9], off
	v_lshlrev_b32_e32 v12, 8, v28
	v_lshlrev_b32_e32 v2, 5, v2
	v_and_b32_e32 v3, 16, v1
	v_and_b32_e32 v12, 0xe00, v12
	v_or3_b32 v2, v12, v2, v3
	s_waitcnt vmcnt(0)
	ds_write_b128 v2, v[8:11]
.LBB1114_11:
	s_or_b64 exec, exec, s[12:13]
	s_waitcnt lgkmcnt(0)
	s_mul_i32 s4, s4, s46
	s_add_u32 s8, s8, s4
	s_addc_u32 s9, s9, 0
	v_and_b32_e32 v10, 48, v0
	v_and_b32_e32 v30, 0xf0, v1
	v_mov_b32_e32 v31, 0
	v_lshl_add_u64 v[2:3], s[8:9], 0, v[30:31]
	v_lshlrev_b32_e32 v30, 4, v10
	v_lshl_add_u64 v[2:3], v[2:3], 0, v[30:31]
	v_or_b32_e32 v12, s5, v10
	s_waitcnt vmcnt(3)
	v_mad_i64_i32 v[8:9], s[8:9], v7, s45, v[2:3]
	v_ashrrev_i32_e32 v7, 4, v12
	v_mov_b32_e32 v13, s18
	v_cmp_gt_i32_e32 vcc, s33, v12
	s_load_dword s29, s[0:1], 0x98
	s_load_dwordx4 s[40:43], s[0:1], 0x80
	v_cndmask_b32_e32 v10, v13, v7, vcc
	v_ashrrev_i32_e32 v11, 31, v10
	v_lshl_add_u64 v[10:11], v[10:11], 2, s[6:7]
	s_waitcnt lgkmcnt(0)
	s_barrier
	global_load_dword v38, v[10:11], off
	global_load_dwordx4 v[22:25], v[8:9], off
	s_waitcnt vmcnt(4)
	v_mad_i64_i32 v[6:7], s[8:9], v6, s45, v[2:3]
	global_load_dwordx4 v[18:21], v[6:7], off
	s_waitcnt vmcnt(4)
	v_mad_i64_i32 v[6:7], s[8:9], v5, s45, v[2:3]
	global_load_dwordx4 v[14:17], v[6:7], off
	v_mul_lo_u16_e32 v8, 37, v28
	v_mov_b32_e32 v9, 7
	v_mul_lo_u16_sdwa v5, v8, v9 dst_sel:DWORD dst_unused:UNUSED_PAD src0_sel:BYTE_1 src1_sel:DWORD
	v_or_b32_e32 v6, 64, v12
	v_mov_b32_e32 v10, 5
	v_sub_u16_e32 v5, v28, v5
	v_or_b32_e32 v7, 0x80, v12
	v_ashrrev_i32_e32 v9, 4, v6
	s_add_u32 s8, s10, s4
	v_cmp_gt_i32_e32 vcc, s33, v6
	v_or_b32_e32 v8, 0xc0, v12
	v_lshlrev_b32_sdwa v5, v10, v5 dst_sel:DWORD dst_unused:UNUSED_PAD src0_sel:DWORD src1_sel:BYTE_0
	v_ashrrev_i32_e32 v10, 4, v7
	v_cndmask_b32_e32 v32, v13, v9, vcc
	v_cmp_gt_i32_e32 vcc, s33, v7
	s_addc_u32 s9, s11, 0
	s_waitcnt vmcnt(4)
	v_mad_i64_i32 v[2:3], s[10:11], v4, s45, v[2:3]
	v_ashrrev_i32_e32 v12, 4, v8
	v_cndmask_b32_e32 v34, v13, v10, vcc
	v_cmp_gt_i32_e32 vcc, s33, v8
	global_load_dwordx4 v[6:9], v[2:3], off
	v_ashrrev_i32_e32 v33, 31, v32
	v_cndmask_b32_e32 v36, v13, v12, vcc
	v_ashrrev_i32_e32 v35, 31, v34
	v_ashrrev_i32_e32 v37, 31, v36
	v_lshlrev_b32_e32 v11, 4, v28
	v_lshl_add_u32 v5, v42, 9, v5
	v_lshl_add_u64 v[32:33], v[32:33], 2, s[6:7]
	v_lshl_add_u64 v[34:35], v[34:35], 2, s[6:7]
	;; [unrolled: 1-line block ×3, first 2 shown]
	v_lshl_or_b32 v30, v29, 8, v11
	ds_read_b128 v[10:13], v5
	ds_read_b128 v[2:5], v5 offset:16
	s_load_dword s4, s[40:41], 0x0
	global_load_dword v45, v[32:33], off
	global_load_dword v27, v[34:35], off
	;; [unrolled: 1-line block ×3, first 2 shown]
	s_mov_b32 s44, 0x7060302
	v_lshl_add_u64 v[30:31], s[8:9], 0, v[30:31]
	s_load_dword s12, s[0:1], 0x1c
	s_mov_b32 s46, 0xff7fffff
	s_waitcnt vmcnt(7)
	v_mad_i64_i32 v[32:33], s[6:7], v38, s45, v[30:31]
	s_waitcnt vmcnt(6)
	v_cvt_pk_f32_fp8_e32 v[34:35], v22
	v_cvt_pk_f32_fp8_sdwa v[36:37], v22 src0_sel:WORD_1
	v_cvt_pk_f32_fp8_e32 v[38:39], v23
	v_cvt_pk_f32_fp8_sdwa v[40:41], v23 src0_sel:WORD_1
	v_perm_b32 v34, v35, v34, s44
	v_perm_b32 v35, v37, v36, s44
	s_waitcnt vmcnt(5)
	v_cvt_pk_f32_fp8_e32 v[22:23], v18
	v_cvt_pk_f32_fp8_e32 v[46:47], v24
	v_cvt_pk_f32_fp8_sdwa v[48:49], v24 src0_sel:WORD_1
	v_perm_b32 v38, v39, v38, s44
	v_perm_b32 v39, v41, v40, s44
	v_cvt_pk_f32_fp8_e32 v[50:51], v25
	v_cvt_pk_f32_fp8_sdwa v[52:53], v18 src0_sel:WORD_1
	v_cvt_pk_f32_fp8_sdwa v[54:55], v25 src0_sel:WORD_1
	v_perm_b32 v36, v23, v22, s44
	s_waitcnt lgkmcnt(0)
	v_mfma_f32_16x16x16_bf16 v[22:25], v[34:35], v[10:11], 0
	v_perm_b32 v40, v47, v46, s44
	v_perm_b32 v41, v49, v48, s44
	v_cvt_pk_f32_fp8_e32 v[56:57], v19
	v_perm_b32 v37, v53, v52, s44
	v_cvt_pk_f32_fp8_sdwa v[18:19], v19 src0_sel:WORD_1
	v_mfma_f32_16x16x16_bf16 v[22:25], v[38:39], v[12:13], v[22:25]
	v_perm_b32 v38, v51, v50, s44
	v_perm_b32 v39, v55, v54, s44
	v_cvt_pk_f32_fp8_e32 v[52:53], v20
	v_cvt_pk_f32_fp8_sdwa v[46:47], v20 src0_sel:WORD_1
	v_mfma_f32_16x16x16_bf16 v[22:25], v[40:41], v[2:3], v[22:25]
	v_perm_b32 v50, v57, v56, s44
	v_perm_b32 v51, v19, v18, s44
	v_cvt_pk_f32_fp8_e32 v[48:49], v21
	v_mfma_f32_16x16x16_bf16 v[34:37], v[36:37], v[10:11], 0
	v_mfma_f32_16x16x16_bf16 v[38:41], v[38:39], v[4:5], v[22:25]
	s_nop 2
	v_perm_b32 v22, v53, v52, s44
	v_perm_b32 v23, v47, v46, s44
	v_cvt_pk_f32_fp8_sdwa v[24:25], v21 src0_sel:WORD_1
	v_mfma_f32_16x16x16_bf16 v[18:21], v[50:51], v[12:13], v[34:37]
	s_waitcnt vmcnt(4)
	v_cvt_pk_f32_fp8_sdwa v[46:47], v14 src0_sel:WORD_1
	v_cvt_pk_f32_fp8_sdwa v[50:51], v17 src0_sel:WORD_1
	v_perm_b32 v34, v49, v48, s44
	v_perm_b32 v35, v25, v24, s44
	v_mfma_f32_16x16x16_bf16 v[18:21], v[22:23], v[2:3], v[18:21]
	v_cvt_pk_f32_fp8_e32 v[22:23], v14
	v_mov_b32_e32 v36, s12
	v_mul_f32_e32 v24, s4, v36
	v_mfma_f32_16x16x16_bf16 v[34:37], v[34:35], v[4:5], v[18:21]
	v_cvt_pk_f32_fp8_sdwa v[48:49], v16 src0_sel:WORD_1
	s_nop 1
	v_cvt_pk_f32_fp8_e32 v[18:19], v15
	v_perm_b32 v20, v23, v22, s44
	v_perm_b32 v21, v47, v46, s44
	v_cvt_pk_f32_fp8_sdwa v[14:15], v15 src0_sel:WORD_1
	v_perm_b32 v22, v19, v18, s44
	v_cvt_pk_f32_fp8_e32 v[46:47], v16
	v_mfma_f32_16x16x16_bf16 v[18:21], v[20:21], v[10:11], 0
	v_perm_b32 v23, v15, v14, s44
	v_perm_b32 v46, v47, v46, s44
	;; [unrolled: 1-line block ×3, first 2 shown]
	v_cvt_pk_f32_fp8_e32 v[48:49], v17
	v_mfma_f32_16x16x16_bf16 v[14:17], v[22:23], v[12:13], v[18:21]
	v_pk_mul_f32 v[22:23], v[24:25], v[40:41] op_sel_hi:[0,1]
	s_waitcnt vmcnt(3)
	v_cvt_pk_f32_fp8_sdwa v[40:41], v6 src0_sel:WORD_1
	v_perm_b32 v18, v49, v48, s44
	v_perm_b32 v19, v51, v50, s44
	v_mfma_f32_16x16x16_bf16 v[14:17], v[46:47], v[2:3], v[14:17]
	v_pk_mul_f32 v[20:21], v[24:25], v[38:39] op_sel_hi:[0,1]
	v_cvt_pk_f32_fp8_e32 v[38:39], v6
	v_cvt_pk_f32_fp8_e32 v[46:47], v8
	v_mfma_f32_16x16x16_bf16 v[14:17], v[18:19], v[4:5], v[14:17]
	v_cvt_pk_f32_fp8_e32 v[18:19], v7
	v_perm_b32 v38, v39, v38, s44
	v_perm_b32 v39, v41, v40, s44
	v_cvt_pk_f32_fp8_sdwa v[6:7], v7 src0_sel:WORD_1
	v_perm_b32 v18, v19, v18, s44
	v_cvt_pk_f32_fp8_sdwa v[48:49], v8 src0_sel:WORD_1
	v_mfma_f32_16x16x16_bf16 v[38:41], v[38:39], v[10:11], 0
	v_perm_b32 v19, v7, v6, s44
	v_perm_b32 v10, v47, v46, s44
	;; [unrolled: 1-line block ×3, first 2 shown]
	v_cvt_pk_f32_fp8_e32 v[46:47], v9
	v_cvt_pk_f32_fp8_sdwa v[48:49], v9 src0_sel:WORD_1
	v_mfma_f32_16x16x16_bf16 v[6:9], v[18:19], v[12:13], v[38:41]
	v_pk_mul_f32 v[36:37], v[24:25], v[36:37] op_sel_hi:[0,1]
	v_perm_b32 v12, v47, v46, s44
	v_perm_b32 v13, v49, v48, s44
	v_mfma_f32_16x16x16_bf16 v[6:9], v[10:11], v[2:3], v[6:9]
	v_pk_mul_f32 v[40:41], v[24:25], v[34:35] op_sel_hi:[0,1]
	v_pk_mul_f32 v[34:35], v[24:25], v[16:17] op_sel_hi:[0,1]
	;; [unrolled: 1-line block ×3, first 2 shown]
	v_mfma_f32_16x16x16_bf16 v[2:5], v[12:13], v[4:5], v[6:9]
	s_nop 6
	v_pk_mul_f32 v[18:19], v[24:25], v[4:5] op_sel_hi:[0,1]
	v_pk_mul_f32 v[24:25], v[24:25], v[2:3] op_sel_hi:[0,1]
	v_and_b32_e32 v2, 0xc0, v0
	v_add_u32_e32 v2, s5, v2
	v_lshl_or_b32 v2, v42, 2, v2
	v_or_b32_e32 v5, 1, v2
	v_mov_b32_e32 v3, 0xff7fffff
	v_cmp_gt_i32_e64 s[4:5], s33, v2
	v_cmp_gt_i32_e64 s[34:35], s33, v5
	v_or_b32_e32 v6, 3, v2
	v_cndmask_b32_e64 v4, v3, v20, s[4:5]
	v_cndmask_b32_e64 v5, v3, v21, s[34:35]
	v_max3_f32 v4, v4, s46, v5
	v_or_b32_e32 v5, 2, v2
	v_cmp_gt_i32_e64 s[36:37], s33, v5
	v_cmp_gt_i32_e64 s[38:39], s33, v6
	s_nop 0
	v_cndmask_b32_e64 v5, v3, v22, s[36:37]
	v_cndmask_b32_e64 v6, v3, v23, s[38:39]
	v_max3_f32 v4, v4, v5, v6
	v_or_b32_e32 v5, 16, v2
	v_or_b32_e32 v6, 17, v2
	v_cmp_gt_i32_e64 s[24:25], s33, v5
	v_cmp_gt_i32_e64 s[26:27], s33, v6
	s_nop 0
	v_cndmask_b32_e64 v5, v3, v40, s[24:25]
	v_cndmask_b32_e64 v6, v3, v41, s[26:27]
	v_max3_f32 v4, v4, v5, v6
	v_or_b32_e32 v5, 18, v2
	;; [unrolled: 8-line block ×6, first 2 shown]
	v_or_b32_e32 v2, 51, v2
	v_cmp_gt_i32_e32 vcc, s33, v5
	v_cmp_gt_i32_e64 s[6:7], s33, v2
	s_nop 0
	v_cndmask_b32_e32 v5, v3, v18, vcc
	v_cndmask_b32_e64 v2, v3, v19, s[6:7]
	v_max3_f32 v4, v4, v5, v2
	v_mbcnt_lo_u32_b32 v2, -1, 0
	v_mbcnt_hi_u32_b32 v5, -1, v2
	v_and_b32_e32 v2, 64, v5
	v_add_u32_e32 v6, 64, v2
	v_xor_b32_e32 v2, 32, v5
	v_cmp_lt_i32_e64 s[40:41], v2, v6
	s_nop 1
	v_cndmask_b32_e64 v2, v5, v2, s[40:41]
	v_lshlrev_b32_e32 v46, 2, v2
	ds_bpermute_b32 v7, v46, v4
	s_waitcnt vmcnt(2)
	v_mad_i64_i32 v[2:3], s[40:41], v45, s45, v[30:31]
	global_load_dwordx4 v[14:17], v[32:33], off
	global_load_dwordx4 v[10:13], v[2:3], off
	v_xor_b32_e32 v3, 16, v5
	v_cmp_lt_i32_e64 s[40:41], v3, v6
	s_waitcnt lgkmcnt(0)
	v_max_f32_e32 v2, v7, v7
	v_max_f32_e32 v2, v4, v2
	v_cndmask_b32_e64 v3, v5, v3, s[40:41]
	v_lshlrev_b32_e32 v45, 2, v3
	ds_bpermute_b32 v3, v45, v2
	s_waitcnt vmcnt(3)
	v_mad_i64_i32 v[32:33], s[40:41], v27, s45, v[30:31]
	s_waitcnt vmcnt(2)
	v_mad_i64_i32 v[30:31], s[40:41], v44, s45, v[30:31]
	s_waitcnt lgkmcnt(0)
	v_max_f32_e32 v3, v3, v3
	v_max_f32_e32 v27, v2, v3
	v_sub_f32_e32 v2, v20, v27
	v_mul_f32_e32 v2, 0x3fb8aa3b, v2
	v_exp_f32_e32 v20, v2
	v_sub_f32_e32 v2, v21, v27
	v_mul_f32_e32 v2, 0x3fb8aa3b, v2
	v_exp_f32_e32 v21, v2
	global_load_dwordx4 v[6:9], v[32:33], off
	global_load_dwordx4 v[2:5], v[30:31], off
	v_sub_f32_e32 v22, v22, v27
	v_mul_f32_e32 v22, 0x3fb8aa3b, v22
	v_sub_f32_e32 v23, v23, v27
	v_exp_f32_e32 v22, v22
	v_mul_f32_e32 v23, 0x3fb8aa3b, v23
	v_exp_f32_e32 v23, v23
	v_cndmask_b32_e64 v20, 0, v20, s[4:5]
	v_add_f32_e32 v30, 0, v20
	v_cndmask_b32_e64 v21, 0, v21, s[34:35]
	v_add_f32_e32 v30, v30, v21
	;; [unrolled: 2-line block ×3, first 2 shown]
	v_cndmask_b32_e64 v33, 0, v23, s[38:39]
	v_sub_f32_e32 v23, v40, v27
	v_sub_f32_e32 v30, v41, v27
	v_mul_f32_e32 v23, 0x3fb8aa3b, v23
	v_mul_f32_e32 v30, 0x3fb8aa3b, v30
	v_exp_f32_e32 v23, v23
	v_exp_f32_e32 v30, v30
	v_add_f32_e32 v31, v22, v33
	v_sub_f32_e32 v34, v34, v27
	v_cndmask_b32_e64 v22, 0, v23, s[24:25]
	v_cndmask_b32_e64 v23, 0, v30, s[26:27]
	v_sub_f32_e32 v30, v36, v27
	v_mul_f32_e32 v30, 0x3fb8aa3b, v30
	v_exp_f32_e32 v30, v30
	v_sub_f32_e32 v36, v37, v27
	v_add_f32_e32 v31, v31, v22
	v_mul_f32_e32 v36, 0x3fb8aa3b, v36
	v_exp_f32_e32 v37, v36
	v_add_f32_e32 v31, v31, v23
	v_cndmask_b32_e64 v36, 0, v30, s[20:21]
	v_add_f32_e32 v30, v31, v36
	v_sub_f32_e32 v31, v38, v27
	v_mul_f32_e32 v31, 0x3fb8aa3b, v31
	v_sub_f32_e32 v38, v39, v27
	v_exp_f32_e32 v31, v31
	v_mul_f32_e32 v38, 0x3fb8aa3b, v38
	v_exp_f32_e32 v38, v38
	v_mul_f32_e32 v34, 0x3fb8aa3b, v34
	v_sub_f32_e32 v35, v35, v27
	v_exp_f32_e32 v34, v34
	v_mul_f32_e32 v35, 0x3fb8aa3b, v35
	v_sub_f32_e32 v24, v24, v27
	v_cndmask_b32_e64 v37, 0, v37, s[22:23]
	v_exp_f32_e32 v35, v35
	v_mul_f32_e32 v24, 0x3fb8aa3b, v24
	v_sub_f32_e32 v25, v25, v27
	v_add_f32_e32 v39, v30, v37
	v_cndmask_b32_e64 v30, 0, v31, s[16:17]
	v_exp_f32_e32 v24, v24
	v_mul_f32_e32 v25, 0x3fb8aa3b, v25
	v_sub_f32_e32 v18, v18, v27
	v_add_f32_e32 v39, v39, v30
	;; [unrolled: 5-line block ×3, first 2 shown]
	v_cndmask_b32_e64 v34, 0, v34, s[12:13]
	v_exp_f32_e32 v18, v18
	v_mul_f32_e32 v19, 0x3fb8aa3b, v19
	v_add_f32_e32 v38, v38, v34
	v_cndmask_b32_e64 v35, 0, v35, s[14:15]
	v_exp_f32_e32 v19, v19
	v_add_f32_e32 v38, v38, v35
	v_cndmask_b32_e64 v24, 0, v24, s[8:9]
	v_add_f32_e32 v38, v38, v24
	v_cndmask_b32_e64 v25, 0, v25, s[10:11]
	v_add_f32_e32 v38, v38, v25
	v_cndmask_b32_e32 v18, 0, v18, vcc
	v_add_f32_e32 v38, v38, v18
	v_cndmask_b32_e64 v19, 0, v19, s[6:7]
	v_add_f32_e32 v38, v38, v19
	ds_bpermute_b32 v39, v46, v38
	v_cmp_gt_u32_e32 vcc, 16, v43
	s_waitcnt lgkmcnt(0)
	s_barrier
	v_add_f32_e32 v39, v38, v39
	ds_bpermute_b32 v40, v45, v39
	v_lshlrev_b32_e32 v38, 2, v28
	s_and_saveexec_b64 s[4:5], vcc
	s_cbranch_execz .LBB1114_13
; %bb.12:
	s_waitcnt lgkmcnt(0)
	v_add_f32_e32 v39, v39, v40
	v_lshl_or_b32 v40, v29, 6, v38
	ds_write2st64_b32 v40, v27, v39 offset1:1
.LBB1114_13:
	s_or_b64 exec, exec, s[4:5]
	s_load_dword s6, s[0:1], 0x94
	s_waitcnt lgkmcnt(0)
	s_barrier
	ds_read2_b32 v[40:41], v38 offset1:16
	ds_read2_b32 v[44:45], v38 offset0:32 offset1:48
	ds_read2_b32 v[46:47], v38 offset0:64 offset1:80
	s_movk_i32 s8, 0x7fff
	s_mul_i32 s7, s29, 7
	s_waitcnt lgkmcnt(2)
	v_max3_f32 v27, v40, s46, v41
	s_waitcnt lgkmcnt(1)
	v_max3_f32 v27, v27, v44, v45
	v_sub_f32_e32 v39, v40, v27
	v_sub_f32_e32 v40, v41, v27
	v_mul_f32_e32 v40, 0x3fb8aa3b, v40
	v_mul_f32_e32 v39, 0x3fb8aa3b, v39
	v_exp_f32_e32 v43, v40
	v_sub_f32_e32 v40, v44, v27
	v_exp_f32_e32 v39, v39
	v_mul_f32_e32 v40, 0x3fb8aa3b, v40
	v_exp_f32_e32 v44, v40
	ds_read2_b32 v[40:41], v38 offset0:96 offset1:112
	v_sub_f32_e32 v38, v45, v27
	v_mul_f32_e32 v38, 0x3fb8aa3b, v38
	v_exp_f32_e32 v45, v38
	s_waitcnt lgkmcnt(1)
	v_fma_f32 v38, v39, v46, 0
	v_fmac_f32_e32 v38, v43, v47
	s_waitcnt lgkmcnt(0)
	v_fmac_f32_e32 v38, v44, v40
	v_fmac_f32_e32 v38, v45, v41
	v_add_f32_e32 v40, 0x358637bd, v38
	v_div_scale_f32 v41, s[4:5], v40, v40, 1.0
	v_rcp_f32_e32 v46, v41
	s_barrier
	v_fma_f32 v47, -v41, v46, 1.0
	v_fmac_f32_e32 v46, v47, v46
	v_div_scale_f32 v47, vcc, 1.0, v40, 1.0
	v_mul_f32_e32 v48, v47, v46
	v_fma_f32 v49, -v41, v48, v47
	v_fmac_f32_e32 v48, v49, v46
	v_fma_f32 v41, -v41, v48, v47
	v_div_fmas_f32 v41, v41, v46, v48
	v_cmp_eq_u32_e32 vcc, 1, v29
	v_div_fixup_f32 v40, v41, v40, 1.0
	s_nop 0
	v_cndmask_b32_e32 v39, v39, v43, vcc
	v_cmp_eq_u32_e32 vcc, 2, v29
	s_nop 1
	v_cndmask_b32_e32 v39, v39, v44, vcc
	v_cmp_eq_u32_e32 vcc, 3, v29
	v_lshlrev_b32_e32 v29, 11, v29
	s_nop 0
	v_cndmask_b32_e32 v39, v39, v45, vcc
	v_mul_f32_e32 v40, v39, v40
	v_pk_mul_f32 v[20:21], v[40:41], v[20:21] op_sel_hi:[0,1]
	v_pk_mul_f32 v[32:33], v[40:41], v[32:33] op_sel_hi:[0,1]
	v_bfe_u32 v39, v21, 16, 1
	v_bfe_u32 v41, v20, 16, 1
	v_add3_u32 v20, v20, v41, s8
	v_add3_u32 v21, v21, v39, s8
	v_perm_b32 v44, v21, v20, s44
	v_bfe_u32 v20, v33, 16, 1
	v_bfe_u32 v21, v32, 16, 1
	v_add3_u32 v21, v32, v21, s8
	v_add3_u32 v20, v33, v20, s8
	v_perm_b32 v45, v20, v21, s44
	v_lshlrev_b32_e32 v20, 3, v42
	v_lshlrev_b32_e32 v21, 5, v28
	v_pk_mul_f32 v[22:23], v[40:41], v[22:23] op_sel_hi:[0,1]
	v_or3_b32 v20, v29, v21, v20
	v_pk_mul_f32 v[32:33], v[40:41], v[36:37] op_sel_hi:[0,1]
	v_bfe_u32 v29, v23, 16, 1
	v_bfe_u32 v36, v22, 16, 1
	v_add3_u32 v22, v22, v36, s8
	v_add3_u32 v23, v23, v29, s8
	v_perm_b32 v22, v23, v22, s44
	v_bfe_u32 v23, v33, 16, 1
	v_bfe_u32 v29, v32, 16, 1
	v_add3_u32 v29, v32, v29, s8
	v_add3_u32 v23, v33, v23, s8
	v_pk_mul_f32 v[30:31], v[40:41], v[30:31] op_sel_hi:[0,1]
	v_perm_b32 v23, v23, v29, s44
	v_bfe_u32 v29, v31, 16, 1
	v_bfe_u32 v32, v30, 16, 1
	ds_write2st64_b64 v20, v[44:45], v[22:23] offset1:1
	v_pk_mul_f32 v[22:23], v[40:41], v[34:35] op_sel_hi:[0,1]
	v_add3_u32 v30, v30, v32, s8
	v_add3_u32 v29, v31, v29, s8
	v_perm_b32 v30, v29, v30, s44
	v_bfe_u32 v29, v23, 16, 1
	v_bfe_u32 v31, v22, 16, 1
	v_add3_u32 v22, v22, v31, s8
	v_add3_u32 v23, v23, v29, s8
	v_perm_b32 v31, v23, v22, s44
	v_pk_mul_f32 v[22:23], v[40:41], v[24:25] op_sel_hi:[0,1]
	v_bfe_u32 v24, v23, 16, 1
	v_bfe_u32 v25, v22, 16, 1
	v_pk_mul_f32 v[18:19], v[40:41], v[18:19] op_sel_hi:[0,1]
	v_add3_u32 v22, v22, v25, s8
	v_add3_u32 v23, v23, v24, s8
	v_perm_b32 v22, v23, v22, s44
	v_bfe_u32 v23, v19, 16, 1
	v_bfe_u32 v24, v18, 16, 1
	v_add3_u32 v18, v18, v24, s8
	v_add3_u32 v19, v19, v23, s8
	v_perm_b32 v23, v19, v18, s44
	v_cmp_gt_u32_e32 vcc, 7, v0
	ds_write2st64_b64 v20, v[30:31], v[22:23] offset0:2 offset1:3
	s_and_saveexec_b64 s[4:5], vcc
	s_cbranch_execz .LBB1114_15
; %bb.14:
	s_mov_b32 s49, 0
	v_mov_b32_e32 v29, 0
	v_lshl_add_u64 v[18:19], s[48:49], 0, v[28:29]
	v_mov_b32_e32 v22, s7
	v_mad_u64_u32 v[18:19], s[10:11], s2, v22, v[18:19]
	s_mul_i32 s3, s3, s7
	v_mov_b32_e32 v28, s28
	s_load_dwordx4 s[12:15], s[0:1], 0x58
	v_add_u32_e32 v23, s3, v19
	v_mad_u64_u32 v[18:19], s[10:11], v18, s6, v[28:29]
	v_mov_b32_e32 v22, v19
	v_mad_u64_u32 v[22:23], s[10:11], v23, s6, v[22:23]
	v_mov_b32_e32 v19, v22
	v_lshlrev_b64 v[18:19], 2, v[18:19]
	s_waitcnt lgkmcnt(0)
	v_lshl_add_u64 v[22:23], s[14:15], 0, v[18:19]
	v_lshl_add_u64 v[18:19], s[12:13], 0, v[18:19]
	global_store_dword v[22:23], v27, off
	global_store_dword v[18:19], v38, off
.LBB1114_15:
	s_or_b64 exec, exec, s[4:5]
	s_waitcnt vmcnt(3)
	v_cvt_pk_f32_fp8_e32 v[18:19], v14
	v_cvt_pk_f32_fp8_sdwa v[22:23], v14 src0_sel:WORD_1
	s_mov_b32 s4, 0x7060302
	v_lshl_or_b32 v14, v42, 9, v21
	s_waitcnt lgkmcnt(0)
	s_barrier
	v_perm_b32 v18, v19, v18, s4
	v_perm_b32 v19, v23, v22, s4
	v_cvt_pk_f32_fp8_e32 v[28:29], v15
	ds_read_b128 v[22:25], v14
	v_cvt_pk_f32_fp8_sdwa v[36:37], v15 src0_sel:WORD_1
	s_load_dword s10, s[42:43], 0x0
	v_perm_b32 v38, v29, v28, s4
	ds_read_b128 v[28:31], v14 offset:16
	v_perm_b32 v39, v37, v36, s4
	s_waitcnt lgkmcnt(0)
	v_mfma_f32_16x16x16_bf16 v[32:35], v[18:19], v[22:23], 0
	v_cvt_pk_f32_fp8_e32 v[18:19], v16
	v_cvt_pk_f32_fp8_sdwa v[36:37], v16 src0_sel:WORD_1
	v_cmp_gt_u32_e32 vcc, 64, v0
	v_mfma_f32_16x16x16_bf16 v[22:25], v[38:39], v[24:25], v[32:35]
	v_perm_b32 v18, v19, v18, s4
	v_perm_b32 v19, v37, v36, s4
	s_waitcnt vmcnt(2)
	v_cvt_pk_f32_fp8_sdwa v[36:37], v10 src0_sel:WORD_1
	v_cvt_pk_f32_fp8_e32 v[32:33], v17
	v_cvt_pk_f32_fp8_sdwa v[16:17], v17 src0_sel:WORD_1
	v_cvt_pk_f32_fp8_e32 v[34:35], v10
	s_mov_b32 s3, 0
	v_perm_b32 v32, v33, v32, s4
	v_perm_b32 v33, v17, v16, s4
	v_mfma_f32_16x16x16_bf16 v[16:19], v[18:19], v[28:29], v[22:25]
	v_perm_b32 v34, v35, v34, s4
	v_perm_b32 v35, v37, v36, s4
	v_cvt_pk_f32_fp8_e32 v[28:29], v11
	ds_read_b128 v[22:25], v14 offset:2048
	v_cvt_pk_f32_fp8_sdwa v[10:11], v11 src0_sel:WORD_1
	v_mfma_f32_16x16x16_bf16 v[16:19], v[32:33], v[30:31], v[16:19]
	v_perm_b32 v32, v29, v28, s4
	ds_read_b128 v[28:31], v14 offset:2064
	v_perm_b32 v33, v11, v10, s4
	s_waitcnt lgkmcnt(1)
	v_mfma_f32_16x16x16_bf16 v[16:19], v[34:35], v[22:23], v[16:19]
	v_cvt_pk_f32_fp8_e32 v[10:11], v12
	v_cvt_pk_f32_fp8_sdwa v[22:23], v12 src0_sel:WORD_1
	v_mov_b32_e32 v27, 0
	v_mfma_f32_16x16x16_bf16 v[16:19], v[32:33], v[24:25], v[16:19]
	v_cvt_pk_f32_fp8_e32 v[24:25], v13
	v_perm_b32 v10, v11, v10, s4
	v_perm_b32 v11, v23, v22, s4
	v_cvt_pk_f32_fp8_sdwa v[12:13], v13 src0_sel:WORD_1
	v_perm_b32 v22, v25, v24, s4
	s_waitcnt vmcnt(1)
	v_cvt_pk_f32_fp8_e32 v[24:25], v6
	v_cvt_pk_f32_fp8_sdwa v[32:33], v6 src0_sel:WORD_1
	v_perm_b32 v23, v13, v12, s4
	s_waitcnt lgkmcnt(0)
	v_mfma_f32_16x16x16_bf16 v[10:13], v[10:11], v[28:29], v[16:19]
	v_perm_b32 v28, v25, v24, s4
	v_perm_b32 v29, v33, v32, s4
	v_cvt_pk_f32_fp8_e32 v[24:25], v7
	ds_read_b128 v[16:19], v14 offset:4096
	v_cvt_pk_f32_fp8_sdwa v[6:7], v7 src0_sel:WORD_1
	v_mfma_f32_16x16x16_bf16 v[10:13], v[22:23], v[30:31], v[10:13]
	v_perm_b32 v30, v25, v24, s4
	ds_read_b128 v[22:25], v14 offset:4112
	v_perm_b32 v31, v7, v6, s4
	s_waitcnt lgkmcnt(1)
	v_mfma_f32_16x16x16_bf16 v[10:13], v[28:29], v[16:17], v[10:13]
	v_cvt_pk_f32_fp8_e32 v[6:7], v8
	v_cvt_pk_f32_fp8_sdwa v[16:17], v8 src0_sel:WORD_1
	s_waitcnt vmcnt(0)
	v_cvt_pk_f32_fp8_sdwa v[28:29], v2 src0_sel:WORD_1
	v_mfma_f32_16x16x16_bf16 v[10:13], v[30:31], v[18:19], v[10:13]
	v_cvt_pk_f32_fp8_e32 v[18:19], v9
	v_perm_b32 v6, v7, v6, s4
	v_perm_b32 v7, v17, v16, s4
	v_cvt_pk_f32_fp8_sdwa v[8:9], v9 src0_sel:WORD_1
	v_perm_b32 v16, v19, v18, s4
	v_cvt_pk_f32_fp8_e32 v[18:19], v2
	v_perm_b32 v17, v9, v8, s4
	s_waitcnt lgkmcnt(0)
	v_mfma_f32_16x16x16_bf16 v[6:9], v[6:7], v[22:23], v[10:13]
	v_perm_b32 v18, v19, v18, s4
	v_perm_b32 v19, v29, v28, s4
	v_cvt_pk_f32_fp8_e32 v[22:23], v3
	ds_read_b128 v[10:13], v14 offset:6144
	v_cvt_pk_f32_fp8_sdwa v[2:3], v3 src0_sel:WORD_1
	v_mfma_f32_16x16x16_bf16 v[6:9], v[16:17], v[24:25], v[6:9]
	v_perm_b32 v22, v23, v22, s4
	ds_read_b128 v[14:17], v14 offset:6160
	v_perm_b32 v23, v3, v2, s4
	s_waitcnt lgkmcnt(1)
	v_mfma_f32_16x16x16_bf16 v[6:9], v[18:19], v[10:11], v[6:9]
	v_cvt_pk_f32_fp8_e32 v[2:3], v4
	v_cvt_pk_f32_fp8_sdwa v[10:11], v4 src0_sel:WORD_1
	s_waitcnt lgkmcnt(0)
	v_mfma_f32_16x16x16_bf16 v[6:9], v[22:23], v[12:13], v[6:9]
	v_perm_b32 v2, v3, v2, s4
	v_perm_b32 v3, v11, v10, s4
	v_cvt_pk_f32_fp8_e32 v[10:11], v5
	v_cvt_pk_f32_fp8_sdwa v[4:5], v5 src0_sel:WORD_1
	s_barrier
	v_perm_b32 v10, v11, v10, s4
	v_perm_b32 v11, v5, v4, s4
	v_mfma_f32_16x16x16_bf16 v[2:5], v[2:3], v[14:15], v[6:9]
	s_nop 0
	v_mfma_f32_16x16x16_bf16 v[2:5], v[10:11], v[16:17], v[2:5]
	s_nop 6
	v_pk_mul_f32 v[2:3], v[2:3], s[10:11] op_sel_hi:[1,0]
	v_pk_mul_f32 v[4:5], v[4:5], s[10:11] op_sel_hi:[1,0]
	v_bfe_u32 v6, v3, 16, 1
	v_bfe_u32 v7, v2, 16, 1
	v_add3_u32 v2, v2, v7, s8
	v_add3_u32 v3, v3, v6, s8
	v_perm_b32 v2, v3, v2, s4
	v_bfe_u32 v3, v5, 16, 1
	v_bfe_u32 v6, v4, 16, 1
	v_add3_u32 v4, v4, v6, s8
	v_add3_u32 v3, v5, v3, s8
	v_perm_b32 v3, v3, v4, s4
	s_and_b64 s[4:5], vcc, s[30:31]
	ds_write_b64 v20, v[2:3]
	s_waitcnt lgkmcnt(0)
	s_barrier
	s_and_saveexec_b64 s[8:9], s[4:5]
	s_cbranch_execz .LBB1114_18
; %bb.16:
	s_load_dwordx2 s[4:5], s[0:1], 0x68
	s_lshl_b32 s0, s6, 6
	s_mul_i32 s1, s7, s2
	s_mul_hi_u32 s7, s1, s0
	s_mul_i32 s6, s1, s0
	v_lshlrev_b32_e32 v0, 10, v0
	s_lshl_b64 s[6:7], s[6:7], 1
	v_and_b32_e32 v0, 0x1800, v0
	v_lshlrev_b32_e32 v2, 5, v42
	v_and_b32_e32 v1, 16, v1
	s_waitcnt lgkmcnt(0)
	s_add_u32 s1, s4, s6
	v_or3_b32 v2, v0, v2, v1
	s_addc_u32 s4, s5, s7
	s_lshl_b32 s2, s28, 6
	s_lshl_b64 s[2:3], s[2:3], 1
	ds_read_b128 v[4:7], v2
	s_add_u32 s2, s1, s2
	s_addc_u32 s3, s4, s3
	v_add_u32_e32 v3, s48, v42
	v_lshl_add_u64 v[0:1], s[2:3], 0, v[26:27]
	v_mad_u64_u32 v[8:9], s[2:3], v3, s0, 0
	v_lshl_add_u64 v[8:9], v[8:9], 1, v[0:1]
	v_cmp_ne_u32_e32 vcc, 3, v42
	s_waitcnt lgkmcnt(0)
	global_store_dwordx4 v[8:9], v[4:7], off
	s_and_b64 exec, exec, vcc
	s_cbranch_execz .LBB1114_18
; %bb.17:
	ds_read_b128 v[2:5], v2 offset:128
	v_add3_u32 v6, s48, v42, 4
	v_mad_u64_u32 v[6:7], s[0:1], v6, s0, 0
	v_lshl_add_u64 v[0:1], v[6:7], 1, v[0:1]
	s_waitcnt lgkmcnt(0)
	global_store_dwordx4 v[0:1], v[2:5], off
.LBB1114_18:
	s_endpgm
	.section	.rodata,"a",@progbits
	.p2align	6, 0x0
	.amdhsa_kernel _Z39paged_attention_ll4mi_QKV_mfma16_kernelI14__hip_bfloat16hLN4vllm18Fp8KVCacheDataTypeE1EhLi16ELi64ELi256ELb0ELi7EEvPKT_PKT0_S8_ifPKiSA_SA_iPKfiiiPfSD_PS3_PT2_iSC_SC_
		.amdhsa_group_segment_fixed_size 8192
		.amdhsa_private_segment_fixed_size 0
		.amdhsa_kernarg_size 400
		.amdhsa_user_sgpr_count 2
		.amdhsa_user_sgpr_dispatch_ptr 0
		.amdhsa_user_sgpr_queue_ptr 0
		.amdhsa_user_sgpr_kernarg_segment_ptr 1
		.amdhsa_user_sgpr_dispatch_id 0
		.amdhsa_user_sgpr_kernarg_preload_length 0
		.amdhsa_user_sgpr_kernarg_preload_offset 0
		.amdhsa_user_sgpr_private_segment_size 0
		.amdhsa_uses_dynamic_stack 0
		.amdhsa_enable_private_segment 0
		.amdhsa_system_sgpr_workgroup_id_x 1
		.amdhsa_system_sgpr_workgroup_id_y 1
		.amdhsa_system_sgpr_workgroup_id_z 1
		.amdhsa_system_sgpr_workgroup_info 0
		.amdhsa_system_vgpr_workitem_id 0
		.amdhsa_next_free_vgpr 58
		.amdhsa_next_free_sgpr 50
		.amdhsa_accum_offset 60
		.amdhsa_reserve_vcc 1
		.amdhsa_float_round_mode_32 0
		.amdhsa_float_round_mode_16_64 0
		.amdhsa_float_denorm_mode_32 3
		.amdhsa_float_denorm_mode_16_64 3
		.amdhsa_dx10_clamp 1
		.amdhsa_ieee_mode 1
		.amdhsa_fp16_overflow 0
		.amdhsa_tg_split 0
		.amdhsa_exception_fp_ieee_invalid_op 0
		.amdhsa_exception_fp_denorm_src 0
		.amdhsa_exception_fp_ieee_div_zero 0
		.amdhsa_exception_fp_ieee_overflow 0
		.amdhsa_exception_fp_ieee_underflow 0
		.amdhsa_exception_fp_ieee_inexact 0
		.amdhsa_exception_int_div_zero 0
	.end_amdhsa_kernel
	.section	.text._Z39paged_attention_ll4mi_QKV_mfma16_kernelI14__hip_bfloat16hLN4vllm18Fp8KVCacheDataTypeE1EhLi16ELi64ELi256ELb0ELi7EEvPKT_PKT0_S8_ifPKiSA_SA_iPKfiiiPfSD_PS3_PT2_iSC_SC_,"axG",@progbits,_Z39paged_attention_ll4mi_QKV_mfma16_kernelI14__hip_bfloat16hLN4vllm18Fp8KVCacheDataTypeE1EhLi16ELi64ELi256ELb0ELi7EEvPKT_PKT0_S8_ifPKiSA_SA_iPKfiiiPfSD_PS3_PT2_iSC_SC_,comdat
.Lfunc_end1114:
	.size	_Z39paged_attention_ll4mi_QKV_mfma16_kernelI14__hip_bfloat16hLN4vllm18Fp8KVCacheDataTypeE1EhLi16ELi64ELi256ELb0ELi7EEvPKT_PKT0_S8_ifPKiSA_SA_iPKfiiiPfSD_PS3_PT2_iSC_SC_, .Lfunc_end1114-_Z39paged_attention_ll4mi_QKV_mfma16_kernelI14__hip_bfloat16hLN4vllm18Fp8KVCacheDataTypeE1EhLi16ELi64ELi256ELb0ELi7EEvPKT_PKT0_S8_ifPKiSA_SA_iPKfiiiPfSD_PS3_PT2_iSC_SC_
                                        ; -- End function
	.section	.AMDGPU.csdata,"",@progbits
; Kernel info:
; codeLenInByte = 4824
; NumSgprs: 56
; NumVgprs: 58
; NumAgprs: 0
; TotalNumVgprs: 58
; ScratchSize: 0
; MemoryBound: 0
; FloatMode: 240
; IeeeMode: 1
; LDSByteSize: 8192 bytes/workgroup (compile time only)
; SGPRBlocks: 6
; VGPRBlocks: 7
; NumSGPRsForWavesPerEU: 56
; NumVGPRsForWavesPerEU: 58
; AccumOffset: 60
; Occupancy: 8
; WaveLimiterHint : 1
; COMPUTE_PGM_RSRC2:SCRATCH_EN: 0
; COMPUTE_PGM_RSRC2:USER_SGPR: 2
; COMPUTE_PGM_RSRC2:TRAP_HANDLER: 0
; COMPUTE_PGM_RSRC2:TGID_X_EN: 1
; COMPUTE_PGM_RSRC2:TGID_Y_EN: 1
; COMPUTE_PGM_RSRC2:TGID_Z_EN: 1
; COMPUTE_PGM_RSRC2:TIDIG_COMP_CNT: 0
; COMPUTE_PGM_RSRC3_GFX90A:ACCUM_OFFSET: 14
; COMPUTE_PGM_RSRC3_GFX90A:TG_SPLIT: 0
	.section	.text._Z39paged_attention_ll4mi_QKV_mfma16_kernelI14__hip_bfloat16hLN4vllm18Fp8KVCacheDataTypeE1EhLi16ELi64ELi256ELb0ELi8EEvPKT_PKT0_S8_ifPKiSA_SA_iPKfiiiPfSD_PS3_PT2_iSC_SC_,"axG",@progbits,_Z39paged_attention_ll4mi_QKV_mfma16_kernelI14__hip_bfloat16hLN4vllm18Fp8KVCacheDataTypeE1EhLi16ELi64ELi256ELb0ELi8EEvPKT_PKT0_S8_ifPKiSA_SA_iPKfiiiPfSD_PS3_PT2_iSC_SC_,comdat
	.protected	_Z39paged_attention_ll4mi_QKV_mfma16_kernelI14__hip_bfloat16hLN4vllm18Fp8KVCacheDataTypeE1EhLi16ELi64ELi256ELb0ELi8EEvPKT_PKT0_S8_ifPKiSA_SA_iPKfiiiPfSD_PS3_PT2_iSC_SC_ ; -- Begin function _Z39paged_attention_ll4mi_QKV_mfma16_kernelI14__hip_bfloat16hLN4vllm18Fp8KVCacheDataTypeE1EhLi16ELi64ELi256ELb0ELi8EEvPKT_PKT0_S8_ifPKiSA_SA_iPKfiiiPfSD_PS3_PT2_iSC_SC_
	.globl	_Z39paged_attention_ll4mi_QKV_mfma16_kernelI14__hip_bfloat16hLN4vllm18Fp8KVCacheDataTypeE1EhLi16ELi64ELi256ELb0ELi8EEvPKT_PKT0_S8_ifPKiSA_SA_iPKfiiiPfSD_PS3_PT2_iSC_SC_
	.p2align	8
	.type	_Z39paged_attention_ll4mi_QKV_mfma16_kernelI14__hip_bfloat16hLN4vllm18Fp8KVCacheDataTypeE1EhLi16ELi64ELi256ELb0ELi8EEvPKT_PKT0_S8_ifPKiSA_SA_iPKfiiiPfSD_PS3_PT2_iSC_SC_,@function
_Z39paged_attention_ll4mi_QKV_mfma16_kernelI14__hip_bfloat16hLN4vllm18Fp8KVCacheDataTypeE1EhLi16ELi64ELi256ELb0ELi8EEvPKT_PKT0_S8_ifPKiSA_SA_iPKfiiiPfSD_PS3_PT2_iSC_SC_: ; @_Z39paged_attention_ll4mi_QKV_mfma16_kernelI14__hip_bfloat16hLN4vllm18Fp8KVCacheDataTypeE1EhLi16ELi64ELi256ELb0ELi8EEvPKT_PKT0_S8_ifPKiSA_SA_iPKfiiiPfSD_PS3_PT2_iSC_SC_
; %bb.0:
	s_load_dwordx2 s[12:13], s[0:1], 0x30
	s_mov_b32 s28, s3
	s_mov_b64 s[6:7], 0
	s_waitcnt lgkmcnt(0)
	s_cmp_lg_u64 s[12:13], 0
	s_cselect_b64 s[14:15], -1, 0
	s_and_b64 vcc, exec, s[14:15]
	s_cbranch_vccz .LBB1115_7
; %bb.1:
	s_add_i32 s8, s2, 1
	s_mov_b32 s9, 0
	s_lshl_b64 s[10:11], s[8:9], 2
	s_add_u32 s10, s12, s10
	s_mov_b32 s3, s9
	s_addc_u32 s11, s13, s11
	s_lshl_b64 s[8:9], s[2:3], 2
	s_add_u32 s8, s12, s8
	s_addc_u32 s9, s13, s9
	s_load_dword s5, s[10:11], 0x0
	s_load_dword s16, s[8:9], 0x0
	s_waitcnt lgkmcnt(0)
	s_sub_i32 s5, s5, s16
	s_cmp_eq_u32 s5, 1
	s_cselect_b64 s[8:9], -1, 0
	s_andn2_b64 vcc, exec, s[6:7]
	s_cbranch_vccnz .LBB1115_3
.LBB1115_2:
	s_mov_b32 s3, 0
	s_mov_b64 s[8:9], -1
.LBB1115_3:
	s_andn2_b64 vcc, exec, s[8:9]
	s_cbranch_vccnz .LBB1115_17
; %bb.4:
	s_load_dwordx2 s[6:7], s[0:1], 0x28
	s_lshl_b64 s[16:17], s[2:3], 2
	s_waitcnt lgkmcnt(0)
	s_add_u32 s6, s6, s16
	s_addc_u32 s7, s7, s17
	s_load_dword s48, s[6:7], 0x0
	s_lshl_b32 s5, s28, 8
	s_waitcnt lgkmcnt(0)
	s_cmp_ge_i32 s5, s48
	s_cbranch_scc1 .LBB1115_17
; %bb.5:
	s_load_dwordx2 s[6:7], s[0:1], 0x20
	s_load_dword s8, s[0:1], 0x38
	s_add_i32 s9, s48, 15
	s_ashr_i32 s10, s9, 31
	v_and_b32_e32 v1, 0xcf, v0
	s_lshr_b32 s10, s10, 28
	v_add_u32_e32 v1, s5, v1
	s_add_i32 s9, s9, s10
	v_ashrrev_i32_e32 v2, 31, v1
	s_ashr_i32 s18, s9, 4
	v_lshrrev_b32_e32 v4, 28, v2
	s_add_i32 s18, s18, -1
	s_waitcnt lgkmcnt(0)
	s_mul_i32 s8, s2, s8
	s_mov_b32 s9, 0
	v_add_u32_e32 v2, v1, v4
	s_lshl_b64 s[8:9], s[8:9], 2
	v_ashrrev_i32_e32 v2, 4, v2
	v_mov_b32_e32 v5, s18
	v_cmp_gt_i32_e32 vcc, s48, v1
	s_add_u32 s6, s6, s8
	s_addc_u32 s7, s7, s9
	v_cndmask_b32_e32 v2, v5, v2, vcc
	v_ashrrev_i32_e32 v3, 31, v2
	v_lshl_add_u64 v[6:7], v[2:3], 2, s[6:7]
	v_or_b32_e32 v2, 16, v1
	v_add_u32_e32 v3, v2, v4
	v_ashrrev_i32_e32 v3, 4, v3
	v_cmp_gt_i32_e32 vcc, s48, v2
	s_load_dwordx4 s[8:11], s[0:1], 0x8
	s_nop 0
	v_cndmask_b32_e32 v2, v5, v3, vcc
	v_ashrrev_i32_e32 v3, 31, v2
	v_lshl_add_u64 v[8:9], v[2:3], 2, s[6:7]
	v_or_b32_e32 v2, 32, v1
	v_add_u32_e32 v3, v2, v4
	v_ashrrev_i32_e32 v3, 4, v3
	v_cmp_gt_i32_e32 vcc, s48, v2
	v_or_b32_e32 v1, 48, v1
	s_nop 0
	v_cndmask_b32_e32 v2, v5, v3, vcc
	v_ashrrev_i32_e32 v3, 31, v2
	v_lshl_add_u64 v[10:11], v[2:3], 2, s[6:7]
	v_add_u32_e32 v2, v1, v4
	v_ashrrev_i32_e32 v2, 4, v2
	v_cmp_gt_i32_e32 vcc, s48, v1
	s_nop 1
	v_cndmask_b32_e32 v2, v5, v2, vcc
	v_ashrrev_i32_e32 v3, 31, v2
	v_lshl_add_u64 v[12:13], v[2:3], 2, s[6:7]
	global_load_dword v4, v[6:7], off
	global_load_dword v3, v[8:9], off
	;; [unrolled: 1-line block ×4, first 2 shown]
	s_andn2_b64 vcc, exec, s[14:15]
	s_cbranch_vccnz .LBB1115_8
; %bb.6:
	s_add_u32 s12, s12, s16
	s_addc_u32 s13, s13, s17
	s_load_dword s14, s[12:13], 0x0
	s_branch .LBB1115_9
.LBB1115_7:
	s_mov_b64 s[8:9], 0
	s_branch .LBB1115_2
.LBB1115_8:
	s_mov_b32 s14, s2
.LBB1115_9:
	s_load_dwordx4 s[44:47], s[0:1], 0x48
	v_and_b32_e32 v42, 15, v0
	s_movk_i32 s12, 0x80
	v_lshlrev_b32_e32 v5, 3, v42
	v_cmp_gt_u32_e32 vcc, s12, v0
	v_cmp_gt_u32_e64 s[30:31], 8, v42
	v_lshrrev_b32_e32 v41, 6, v0
	v_and_b32_e32 v43, 63, v0
	v_bfe_u32 v1, v0, 4, 2
	s_lshl_b32 s29, s4, 3
	s_and_b64 s[16:17], vcc, s[30:31]
	v_lshlrev_b32_e32 v26, 1, v5
	v_lshlrev_b32_e32 v40, 4, v0
	s_and_saveexec_b64 s[12:13], s[16:17]
	s_cbranch_execz .LBB1115_11
; %bb.10:
	s_load_dwordx2 s[16:17], s[0:1], 0x0
	s_waitcnt lgkmcnt(0)
	s_ashr_i32 s15, s44, 31
	s_mul_hi_u32 s19, s14, s44
	s_mul_i32 s15, s14, s15
	s_add_i32 s15, s19, s15
	s_mul_i32 s14, s14, s44
	v_lshl_or_b32 v5, v41, 2, v1
	s_lshl_b64 s[14:15], s[14:15], 1
	s_add_u32 s14, s16, s14
	v_add_lshl_u32 v6, v5, s29, 6
	s_addc_u32 s15, s17, s15
	v_ashrrev_i32_e32 v7, 31, v6
	v_lshl_add_u64 v[6:7], v[6:7], 1, s[14:15]
	v_mov_b32_e32 v27, 0
	v_lshl_add_u64 v[6:7], v[6:7], 0, v[26:27]
	global_load_dwordx4 v[6:9], v[6:7], off
	v_lshlrev_b32_e32 v11, 8, v42
	v_lshlrev_b32_e32 v5, 5, v5
	v_and_b32_e32 v10, 16, v40
	v_and_b32_e32 v11, 0xe00, v11
	v_or3_b32 v5, v11, v5, v10
	s_waitcnt vmcnt(0)
	ds_write_b128 v5, v[6:9]
.LBB1115_11:
	s_or_b64 exec, exec, s[12:13]
	s_waitcnt lgkmcnt(0)
	s_mul_i32 s4, s4, s46
	s_add_u32 s8, s8, s4
	s_addc_u32 s9, s9, 0
	v_and_b32_e32 v8, 48, v0
	v_and_b32_e32 v28, 0xf0, v40
	v_mov_b32_e32 v29, 0
	v_lshl_add_u64 v[6:7], s[8:9], 0, v[28:29]
	v_lshlrev_b32_e32 v28, 4, v8
	v_lshl_add_u64 v[18:19], v[6:7], 0, v[28:29]
	s_waitcnt vmcnt(3)
	v_mad_i64_i32 v[4:5], s[8:9], v4, s45, v[18:19]
	s_load_dword s33, s[0:1], 0x98
	s_load_dwordx4 s[40:43], s[0:1], 0x80
	s_waitcnt lgkmcnt(0)
	s_barrier
	global_load_dwordx4 v[22:25], v[4:5], off
	s_waitcnt vmcnt(3)
	v_mad_i64_i32 v[4:5], s[8:9], v3, s45, v[18:19]
	global_load_dwordx4 v[10:13], v[4:5], off
	v_or_b32_e32 v6, s5, v8
	v_mov_b32_e32 v27, s18
	v_ashrrev_i32_e32 v3, 4, v6
	v_cmp_gt_i32_e32 vcc, s48, v6
	v_and_b32_e32 v7, 7, v0
	v_lshlrev_b32_e32 v7, 5, v7
	v_cndmask_b32_e32 v4, v27, v3, vcc
	v_ashrrev_i32_e32 v5, 31, v4
	v_lshl_add_u64 v[4:5], v[4:5], 2, s[6:7]
	s_waitcnt vmcnt(3)
	v_mad_i64_i32 v[2:3], s[8:9], v2, s45, v[18:19]
	global_load_dword v56, v[4:5], off
	v_lshl_or_b32 v7, v1, 9, v7
	global_load_dwordx4 v[2:5], v[2:3], off
	v_or_b32_e32 v21, 64, v6
	s_waitcnt vmcnt(4)
	v_mad_i64_i32 v[18:19], s[12:13], v20, s45, v[18:19]
	v_or_b32_e32 v31, 0x80, v6
	v_or_b32_e32 v33, 0xc0, v6
	ds_read_b128 v[14:17], v7
	ds_read_b128 v[6:9], v7 offset:16
	v_ashrrev_i32_e32 v30, 4, v21
	v_cmp_gt_i32_e32 vcc, s48, v21
	global_load_dwordx4 v[18:21], v[18:19], off
	v_ashrrev_i32_e32 v32, 4, v31
	v_cndmask_b32_e32 v30, v27, v30, vcc
	v_cmp_gt_i32_e32 vcc, s48, v31
	v_ashrrev_i32_e32 v34, 4, v33
	v_ashrrev_i32_e32 v31, 31, v30
	v_cndmask_b32_e32 v32, v27, v32, vcc
	v_cmp_gt_i32_e32 vcc, s48, v33
	v_ashrrev_i32_e32 v33, 31, v32
	v_lshl_add_u64 v[30:31], v[30:31], 2, s[6:7]
	v_cndmask_b32_e32 v34, v27, v34, vcc
	v_ashrrev_i32_e32 v35, 31, v34
	v_lshl_add_u64 v[34:35], v[34:35], 2, s[6:7]
	s_add_u32 s8, s10, s4
	s_load_dword s4, s[40:41], 0x0
	v_lshl_add_u64 v[36:37], v[32:33], 2, s[6:7]
	global_load_dword v33, v[30:31], off
	global_load_dword v27, v[36:37], off
	;; [unrolled: 1-line block ×3, first 2 shown]
	s_mov_b32 s44, 0x7060302
	s_load_dword s14, s[0:1], 0x1c
	s_mov_b32 s46, 0xff7fffff
	v_lshlrev_b32_e32 v28, 4, v42
	s_addc_u32 s9, s11, 0
	v_lshl_or_b32 v28, v41, 8, v28
	s_waitcnt lgkmcnt(0)
	v_mov_b32_e32 v57, s14
	v_lshl_add_u64 v[28:29], s[8:9], 0, v[28:29]
	s_waitcnt vmcnt(7)
	v_cvt_pk_f32_fp8_e32 v[30:31], v22
	v_cvt_pk_f32_fp8_sdwa v[34:35], v22 src0_sel:WORD_1
	v_cvt_pk_f32_fp8_e32 v[36:37], v23
	v_cvt_pk_f32_fp8_sdwa v[38:39], v23 src0_sel:WORD_1
	v_perm_b32 v30, v31, v30, s44
	v_perm_b32 v31, v35, v34, s44
	s_waitcnt vmcnt(6)
	v_cvt_pk_f32_fp8_e32 v[22:23], v10
	v_cvt_pk_f32_fp8_sdwa v[50:51], v10 src0_sel:WORD_1
	v_cvt_pk_f32_fp8_e32 v[44:45], v24
	v_cvt_pk_f32_fp8_sdwa v[46:47], v24 src0_sel:WORD_1
	;; [unrolled: 2-line block ×3, first 2 shown]
	v_perm_b32 v34, v23, v22, s44
	v_mfma_f32_16x16x16_bf16 v[22:25], v[30:31], v[14:15], 0
	v_perm_b32 v30, v37, v36, s44
	v_perm_b32 v31, v39, v38, s44
	v_cvt_pk_f32_fp8_e32 v[54:55], v11
	v_perm_b32 v35, v51, v50, s44
	v_cvt_pk_f32_fp8_sdwa v[10:11], v11 src0_sel:WORD_1
	v_mfma_f32_16x16x16_bf16 v[22:25], v[30:31], v[16:17], v[22:25]
	v_perm_b32 v50, v55, v54, s44
	v_perm_b32 v51, v11, v10, s44
	;; [unrolled: 1-line block ×4, first 2 shown]
	v_mfma_f32_16x16x16_bf16 v[34:37], v[34:35], v[14:15], 0
	v_cvt_pk_f32_fp8_e32 v[38:39], v12
	v_cvt_pk_f32_fp8_sdwa v[10:11], v12 src0_sel:WORD_1
	v_perm_b32 v44, v49, v48, s44
	v_mfma_f32_16x16x16_bf16 v[34:37], v[50:51], v[16:17], v[34:37]
	v_cvt_pk_f32_fp8_e32 v[50:51], v13
	v_perm_b32 v45, v53, v52, s44
	v_cvt_pk_f32_fp8_sdwa v[12:13], v13 src0_sel:WORD_1
	v_mfma_f32_16x16x16_bf16 v[22:25], v[30:31], v[6:7], v[22:25]
	v_perm_b32 v30, v39, v38, s44
	v_perm_b32 v31, v11, v10, s44
	v_perm_b32 v38, v51, v50, s44
	v_perm_b32 v39, v13, v12, s44
	v_mfma_f32_16x16x16_bf16 v[44:47], v[44:45], v[8:9], v[22:25]
	s_waitcnt vmcnt(4)
	v_cvt_pk_f32_fp8_e32 v[12:13], v2
	v_cvt_pk_f32_fp8_sdwa v[48:49], v4 src0_sel:WORD_1
	v_mul_f32_e32 v50, s4, v57
	v_mfma_f32_16x16x16_bf16 v[22:25], v[30:31], v[6:7], v[34:37]
	v_cvt_pk_f32_fp8_sdwa v[30:31], v2 src0_sel:WORD_1
	v_perm_b32 v12, v13, v12, s44
	v_mad_i64_i32 v[10:11], s[6:7], v56, s45, v[28:29]
	v_mfma_f32_16x16x16_bf16 v[36:39], v[38:39], v[8:9], v[22:25]
	v_perm_b32 v13, v31, v30, s44
	v_cvt_pk_f32_fp8_e32 v[34:35], v4
	s_nop 0
	v_cvt_pk_f32_fp8_e32 v[22:23], v3
	v_cvt_pk_f32_fp8_sdwa v[2:3], v3 src0_sel:WORD_1
	v_perm_b32 v30, v23, v22, s44
	v_perm_b32 v31, v3, v2, s44
	v_mfma_f32_16x16x16_bf16 v[22:25], v[12:13], v[14:15], 0
	v_perm_b32 v12, v35, v34, s44
	v_perm_b32 v13, v49, v48, s44
	v_cvt_pk_f32_fp8_e32 v[34:35], v5
	v_cvt_pk_f32_fp8_sdwa v[48:49], v5 src0_sel:WORD_1
	v_mfma_f32_16x16x16_bf16 v[2:5], v[30:31], v[16:17], v[22:25]
	s_waitcnt vmcnt(3)
	v_cvt_pk_f32_fp8_sdwa v[30:31], v20 src0_sel:WORD_1
	s_nop 0
	v_perm_b32 v24, v35, v34, s44
	v_perm_b32 v25, v49, v48, s44
	v_pk_mul_f32 v[22:23], v[50:51], v[46:47] op_sel_hi:[0,1]
	v_mfma_f32_16x16x16_bf16 v[46:49], v[12:13], v[6:7], v[2:5]
	v_cvt_pk_f32_fp8_sdwa v[12:13], v18 src0_sel:WORD_1
	v_pk_mul_f32 v[34:35], v[50:51], v[38:39] op_sel_hi:[0,1]
	v_pk_mul_f32 v[38:39], v[50:51], v[36:37] op_sel_hi:[0,1]
	v_cvt_pk_f32_fp8_e32 v[4:5], v18
	v_pk_mul_f32 v[2:3], v[50:51], v[44:45] op_sel_hi:[0,1]
	v_mfma_f32_16x16x16_bf16 v[44:47], v[24:25], v[8:9], v[46:49]
	v_cvt_pk_f32_fp8_e32 v[24:25], v19
	v_perm_b32 v4, v5, v4, s44
	v_perm_b32 v5, v13, v12, s44
	v_cvt_pk_f32_fp8_sdwa v[12:13], v19 src0_sel:WORD_1
	v_perm_b32 v18, v25, v24, s44
	v_cvt_pk_f32_fp8_e32 v[24:25], v20
	s_nop 0
	v_pk_mul_f32 v[36:37], v[50:51], v[44:45] op_sel_hi:[0,1]
	v_perm_b32 v19, v13, v12, s44
	v_mfma_f32_16x16x16_bf16 v[12:15], v[4:5], v[14:15], 0
	v_perm_b32 v4, v25, v24, s44
	v_perm_b32 v5, v31, v30, s44
	v_cvt_pk_f32_fp8_e32 v[24:25], v21
	v_cvt_pk_f32_fp8_sdwa v[20:21], v21 src0_sel:WORD_1
	v_mfma_f32_16x16x16_bf16 v[12:15], v[18:19], v[16:17], v[12:15]
	v_pk_mul_f32 v[30:31], v[50:51], v[46:47] op_sel_hi:[0,1]
	v_perm_b32 v16, v25, v24, s44
	v_perm_b32 v17, v21, v20, s44
	v_mfma_f32_16x16x16_bf16 v[4:7], v[4:5], v[6:7], v[12:15]
	s_nop 0
	v_mfma_f32_16x16x16_bf16 v[4:7], v[16:17], v[8:9], v[4:7]
	s_nop 6
	v_pk_mul_f32 v[24:25], v[50:51], v[4:5] op_sel_hi:[0,1]
	v_and_b32_e32 v4, 0xc0, v0
	v_add_u32_e32 v4, s5, v4
	v_lshl_or_b32 v4, v1, 2, v4
	v_pk_mul_f32 v[18:19], v[50:51], v[6:7] op_sel_hi:[0,1]
	v_or_b32_e32 v7, 1, v4
	v_mov_b32_e32 v5, 0xff7fffff
	v_cmp_gt_i32_e64 s[4:5], s48, v4
	v_cmp_gt_i32_e64 s[34:35], s48, v7
	v_or_b32_e32 v8, 3, v4
	v_cndmask_b32_e64 v6, v5, v2, s[4:5]
	v_cndmask_b32_e64 v7, v5, v3, s[34:35]
	v_max3_f32 v6, v6, s46, v7
	v_or_b32_e32 v7, 2, v4
	v_cmp_gt_i32_e64 s[36:37], s48, v7
	v_cmp_gt_i32_e64 s[38:39], s48, v8
	s_nop 0
	v_cndmask_b32_e64 v7, v5, v22, s[36:37]
	v_cndmask_b32_e64 v8, v5, v23, s[38:39]
	v_max3_f32 v6, v6, v7, v8
	v_or_b32_e32 v7, 16, v4
	v_or_b32_e32 v8, 17, v4
	v_cmp_gt_i32_e64 s[24:25], s48, v7
	v_cmp_gt_i32_e64 s[26:27], s48, v8
	s_nop 0
	v_cndmask_b32_e64 v7, v5, v38, s[24:25]
	v_cndmask_b32_e64 v8, v5, v39, s[26:27]
	v_max3_f32 v6, v6, v7, v8
	v_or_b32_e32 v7, 18, v4
	;; [unrolled: 8-line block ×6, first 2 shown]
	v_or_b32_e32 v4, 51, v4
	v_cmp_gt_i32_e32 vcc, s48, v7
	v_cmp_gt_i32_e64 s[6:7], s48, v4
	s_nop 0
	v_cndmask_b32_e32 v7, v5, v18, vcc
	v_cndmask_b32_e64 v4, v5, v19, s[6:7]
	v_max3_f32 v6, v6, v7, v4
	v_mbcnt_lo_u32_b32 v4, -1, 0
	v_mbcnt_hi_u32_b32 v7, -1, v4
	v_and_b32_e32 v4, 64, v7
	v_add_u32_e32 v8, 64, v4
	v_xor_b32_e32 v4, 32, v7
	v_cmp_lt_i32_e64 s[40:41], v4, v8
	s_nop 1
	v_cndmask_b32_e64 v4, v7, v4, s[40:41]
	v_lshlrev_b32_e32 v44, 2, v4
	ds_bpermute_b32 v9, v44, v6
	s_waitcnt vmcnt(2)
	v_mad_i64_i32 v[4:5], s[40:41], v33, s45, v[28:29]
	global_load_dwordx4 v[14:17], v[10:11], off
	s_nop 0
	global_load_dwordx4 v[10:13], v[4:5], off
	v_xor_b32_e32 v5, 16, v7
	v_cmp_lt_i32_e64 s[40:41], v5, v8
	s_waitcnt lgkmcnt(0)
	v_max_f32_e32 v4, v9, v9
	v_max_f32_e32 v4, v6, v4
	v_cndmask_b32_e64 v5, v7, v5, s[40:41]
	v_lshlrev_b32_e32 v45, 2, v5
	ds_bpermute_b32 v5, v45, v4
	s_waitcnt vmcnt(3)
	v_mad_i64_i32 v[20:21], s[40:41], v27, s45, v[28:29]
	s_waitcnt vmcnt(2)
	v_mad_i64_i32 v[28:29], s[40:41], v32, s45, v[28:29]
	s_waitcnt lgkmcnt(0)
	v_max_f32_e32 v5, v5, v5
	v_max_f32_e32 v27, v4, v5
	v_sub_f32_e32 v2, v2, v27
	v_mul_f32_e32 v2, 0x3fb8aa3b, v2
	v_exp_f32_e32 v32, v2
	v_sub_f32_e32 v2, v3, v27
	v_mul_f32_e32 v2, 0x3fb8aa3b, v2
	v_exp_f32_e32 v33, v2
	global_load_dwordx4 v[6:9], v[20:21], off
	global_load_dwordx4 v[2:5], v[28:29], off
	v_sub_f32_e32 v22, v22, v27
	v_mul_f32_e32 v22, 0x3fb8aa3b, v22
	v_sub_f32_e32 v23, v23, v27
	v_exp_f32_e32 v22, v22
	v_mul_f32_e32 v23, 0x3fb8aa3b, v23
	v_exp_f32_e32 v23, v23
	v_cndmask_b32_e64 v20, 0, v32, s[4:5]
	v_add_f32_e32 v28, 0, v20
	v_cndmask_b32_e64 v21, 0, v33, s[34:35]
	v_add_f32_e32 v28, v28, v21
	;; [unrolled: 2-line block ×3, first 2 shown]
	v_cndmask_b32_e64 v33, 0, v23, s[38:39]
	v_sub_f32_e32 v23, v38, v27
	v_sub_f32_e32 v28, v39, v27
	v_mul_f32_e32 v23, 0x3fb8aa3b, v23
	v_mul_f32_e32 v28, 0x3fb8aa3b, v28
	v_exp_f32_e32 v23, v23
	v_exp_f32_e32 v28, v28
	v_add_f32_e32 v29, v22, v33
	v_sub_f32_e32 v30, v30, v27
	v_cndmask_b32_e64 v22, 0, v23, s[24:25]
	v_cndmask_b32_e64 v23, 0, v28, s[26:27]
	v_sub_f32_e32 v28, v34, v27
	v_mul_f32_e32 v28, 0x3fb8aa3b, v28
	v_exp_f32_e32 v28, v28
	v_sub_f32_e32 v34, v35, v27
	v_add_f32_e32 v29, v29, v22
	v_mul_f32_e32 v34, 0x3fb8aa3b, v34
	v_exp_f32_e32 v35, v34
	v_add_f32_e32 v29, v29, v23
	v_cndmask_b32_e64 v34, 0, v28, s[20:21]
	v_add_f32_e32 v28, v29, v34
	v_sub_f32_e32 v29, v36, v27
	v_mul_f32_e32 v29, 0x3fb8aa3b, v29
	v_sub_f32_e32 v36, v37, v27
	v_exp_f32_e32 v29, v29
	v_mul_f32_e32 v36, 0x3fb8aa3b, v36
	v_exp_f32_e32 v36, v36
	v_mul_f32_e32 v30, 0x3fb8aa3b, v30
	v_sub_f32_e32 v31, v31, v27
	v_exp_f32_e32 v30, v30
	v_mul_f32_e32 v31, 0x3fb8aa3b, v31
	v_sub_f32_e32 v24, v24, v27
	v_cndmask_b32_e64 v35, 0, v35, s[22:23]
	v_exp_f32_e32 v31, v31
	v_mul_f32_e32 v24, 0x3fb8aa3b, v24
	v_sub_f32_e32 v25, v25, v27
	v_add_f32_e32 v37, v28, v35
	v_cndmask_b32_e64 v28, 0, v29, s[16:17]
	v_exp_f32_e32 v24, v24
	v_mul_f32_e32 v25, 0x3fb8aa3b, v25
	v_sub_f32_e32 v18, v18, v27
	v_add_f32_e32 v37, v37, v28
	;; [unrolled: 5-line block ×3, first 2 shown]
	v_cndmask_b32_e64 v30, 0, v30, s[12:13]
	v_exp_f32_e32 v18, v18
	v_mul_f32_e32 v19, 0x3fb8aa3b, v19
	v_add_f32_e32 v36, v36, v30
	v_cndmask_b32_e64 v31, 0, v31, s[14:15]
	v_exp_f32_e32 v19, v19
	v_add_f32_e32 v36, v36, v31
	v_cndmask_b32_e64 v24, 0, v24, s[8:9]
	v_add_f32_e32 v36, v36, v24
	v_cndmask_b32_e64 v25, 0, v25, s[10:11]
	v_add_f32_e32 v36, v36, v25
	v_cndmask_b32_e32 v18, 0, v18, vcc
	v_add_f32_e32 v36, v36, v18
	v_cndmask_b32_e64 v19, 0, v19, s[6:7]
	v_add_f32_e32 v36, v36, v19
	ds_bpermute_b32 v37, v44, v36
	v_cmp_gt_u32_e32 vcc, 16, v43
	s_waitcnt lgkmcnt(0)
	s_barrier
	v_add_f32_e32 v37, v36, v37
	ds_bpermute_b32 v38, v45, v37
	v_lshlrev_b32_e32 v36, 2, v42
	s_and_saveexec_b64 s[4:5], vcc
	s_cbranch_execz .LBB1115_13
; %bb.12:
	s_waitcnt lgkmcnt(0)
	v_add_f32_e32 v37, v37, v38
	v_lshl_or_b32 v38, v41, 6, v36
	ds_write2st64_b32 v38, v27, v37 offset1:1
.LBB1115_13:
	s_or_b64 exec, exec, s[4:5]
	s_load_dword s6, s[0:1], 0x94
	s_waitcnt lgkmcnt(0)
	s_barrier
	ds_read2_b32 v[38:39], v36 offset1:16
	ds_read2_b32 v[44:45], v36 offset0:32 offset1:48
	ds_read2_b32 v[46:47], v36 offset0:64 offset1:80
	s_movk_i32 s8, 0x7fff
	s_lshl_b32 s7, s33, 3
	s_waitcnt lgkmcnt(2)
	v_max3_f32 v27, v38, s46, v39
	s_waitcnt lgkmcnt(1)
	v_max3_f32 v27, v27, v44, v45
	v_sub_f32_e32 v37, v38, v27
	v_sub_f32_e32 v38, v39, v27
	v_mul_f32_e32 v38, 0x3fb8aa3b, v38
	v_mul_f32_e32 v37, 0x3fb8aa3b, v37
	v_exp_f32_e32 v43, v38
	v_sub_f32_e32 v38, v44, v27
	v_exp_f32_e32 v37, v37
	v_mul_f32_e32 v38, 0x3fb8aa3b, v38
	v_exp_f32_e32 v44, v38
	ds_read2_b32 v[38:39], v36 offset0:96 offset1:112
	v_sub_f32_e32 v36, v45, v27
	v_mul_f32_e32 v36, 0x3fb8aa3b, v36
	v_exp_f32_e32 v45, v36
	s_waitcnt lgkmcnt(1)
	v_fma_f32 v36, v37, v46, 0
	v_fmac_f32_e32 v36, v43, v47
	s_waitcnt lgkmcnt(0)
	v_fmac_f32_e32 v36, v44, v38
	v_fmac_f32_e32 v36, v45, v39
	v_add_f32_e32 v38, 0x358637bd, v36
	v_div_scale_f32 v39, s[4:5], v38, v38, 1.0
	v_rcp_f32_e32 v46, v39
	s_barrier
	v_fma_f32 v47, -v39, v46, 1.0
	v_fmac_f32_e32 v46, v47, v46
	v_div_scale_f32 v47, vcc, 1.0, v38, 1.0
	v_mul_f32_e32 v48, v47, v46
	v_fma_f32 v49, -v39, v48, v47
	v_fmac_f32_e32 v48, v49, v46
	v_fma_f32 v39, -v39, v48, v47
	v_div_fmas_f32 v39, v39, v46, v48
	v_cmp_eq_u32_e32 vcc, 1, v41
	v_div_fixup_f32 v38, v39, v38, 1.0
	s_nop 0
	v_cndmask_b32_e32 v37, v37, v43, vcc
	v_cmp_eq_u32_e32 vcc, 2, v41
	s_nop 1
	v_cndmask_b32_e32 v37, v37, v44, vcc
	v_cmp_eq_u32_e32 vcc, 3, v41
	s_nop 1
	v_cndmask_b32_e32 v37, v37, v45, vcc
	v_mul_f32_e32 v38, v37, v38
	v_pk_mul_f32 v[20:21], v[38:39], v[20:21] op_sel_hi:[0,1]
	v_pk_mul_f32 v[32:33], v[38:39], v[32:33] op_sel_hi:[0,1]
	v_bfe_u32 v37, v21, 16, 1
	v_bfe_u32 v39, v20, 16, 1
	v_add3_u32 v20, v20, v39, s8
	v_add3_u32 v21, v21, v37, s8
	v_perm_b32 v44, v21, v20, s44
	v_bfe_u32 v20, v33, 16, 1
	v_bfe_u32 v21, v32, 16, 1
	v_add3_u32 v21, v32, v21, s8
	v_add3_u32 v20, v33, v20, s8
	v_perm_b32 v45, v20, v21, s44
	v_lshlrev_b32_e32 v20, 3, v1
	v_lshlrev_b32_e32 v21, 5, v42
	;; [unrolled: 1-line block ×3, first 2 shown]
	v_pk_mul_f32 v[22:23], v[38:39], v[22:23] op_sel_hi:[0,1]
	v_or3_b32 v20, v32, v21, v20
	v_pk_mul_f32 v[32:33], v[38:39], v[34:35] op_sel_hi:[0,1]
	v_bfe_u32 v34, v23, 16, 1
	v_bfe_u32 v35, v22, 16, 1
	v_add3_u32 v22, v22, v35, s8
	v_add3_u32 v23, v23, v34, s8
	v_perm_b32 v22, v23, v22, s44
	v_bfe_u32 v23, v33, 16, 1
	v_bfe_u32 v34, v32, 16, 1
	v_add3_u32 v32, v32, v34, s8
	v_add3_u32 v23, v33, v23, s8
	v_perm_b32 v23, v23, v32, s44
	v_pk_mul_f32 v[28:29], v[38:39], v[28:29] op_sel_hi:[0,1]
	ds_write2st64_b64 v20, v[44:45], v[22:23] offset1:1
	v_pk_mul_f32 v[22:23], v[38:39], v[30:31] op_sel_hi:[0,1]
	v_bfe_u32 v30, v29, 16, 1
	v_bfe_u32 v31, v28, 16, 1
	v_add3_u32 v28, v28, v31, s8
	v_add3_u32 v29, v29, v30, s8
	v_perm_b32 v28, v29, v28, s44
	v_bfe_u32 v29, v23, 16, 1
	v_bfe_u32 v30, v22, 16, 1
	v_add3_u32 v22, v22, v30, s8
	v_add3_u32 v23, v23, v29, s8
	v_perm_b32 v29, v23, v22, s44
	v_pk_mul_f32 v[22:23], v[38:39], v[24:25] op_sel_hi:[0,1]
	v_bfe_u32 v24, v23, 16, 1
	v_bfe_u32 v25, v22, 16, 1
	v_pk_mul_f32 v[18:19], v[38:39], v[18:19] op_sel_hi:[0,1]
	v_add3_u32 v22, v22, v25, s8
	v_add3_u32 v23, v23, v24, s8
	v_perm_b32 v22, v23, v22, s44
	v_bfe_u32 v23, v19, 16, 1
	v_bfe_u32 v24, v18, 16, 1
	v_add3_u32 v18, v18, v24, s8
	v_add3_u32 v19, v19, v23, s8
	v_perm_b32 v23, v19, v18, s44
	v_cmp_gt_u32_e32 vcc, 8, v0
	ds_write2st64_b64 v20, v[28:29], v[22:23] offset0:2 offset1:3
	s_and_saveexec_b64 s[4:5], vcc
	s_cbranch_execz .LBB1115_15
; %bb.14:
	v_or_b32_e32 v18, s29, v0
	v_mov_b32_e32 v19, 0
	v_mov_b32_e32 v22, s7
	v_mad_u64_u32 v[22:23], s[10:11], s2, v22, v[18:19]
	v_mov_b32_e32 v18, s28
	s_load_dwordx4 s[12:15], s[0:1], 0x58
	s_mul_i32 s3, s3, s7
	v_mad_u64_u32 v[18:19], s[10:11], v22, s6, v[18:19]
	v_add_u32_e32 v23, s3, v23
	v_mov_b32_e32 v22, v19
	v_mad_u64_u32 v[22:23], s[10:11], v23, s6, v[22:23]
	v_mov_b32_e32 v19, v22
	v_lshlrev_b64 v[18:19], 2, v[18:19]
	s_waitcnt lgkmcnt(0)
	v_lshl_add_u64 v[22:23], s[14:15], 0, v[18:19]
	v_lshl_add_u64 v[18:19], s[12:13], 0, v[18:19]
	global_store_dword v[22:23], v27, off
	global_store_dword v[18:19], v36, off
.LBB1115_15:
	s_or_b64 exec, exec, s[4:5]
	s_waitcnt vmcnt(3)
	v_cvt_pk_f32_fp8_e32 v[18:19], v14
	v_cvt_pk_f32_fp8_sdwa v[22:23], v14 src0_sel:WORD_1
	s_mov_b32 s4, 0x7060302
	v_lshl_or_b32 v14, v1, 9, v21
	s_waitcnt lgkmcnt(0)
	s_barrier
	v_perm_b32 v18, v19, v18, s4
	v_perm_b32 v19, v23, v22, s4
	v_cvt_pk_f32_fp8_e32 v[28:29], v15
	ds_read_b128 v[22:25], v14
	v_cvt_pk_f32_fp8_sdwa v[36:37], v15 src0_sel:WORD_1
	s_load_dword s10, s[42:43], 0x0
	v_perm_b32 v38, v29, v28, s4
	ds_read_b128 v[28:31], v14 offset:16
	v_perm_b32 v39, v37, v36, s4
	s_waitcnt lgkmcnt(0)
	v_mfma_f32_16x16x16_bf16 v[32:35], v[18:19], v[22:23], 0
	v_cvt_pk_f32_fp8_e32 v[18:19], v16
	v_cvt_pk_f32_fp8_sdwa v[36:37], v16 src0_sel:WORD_1
	v_cmp_gt_u32_e32 vcc, 64, v0
	v_mfma_f32_16x16x16_bf16 v[22:25], v[38:39], v[24:25], v[32:35]
	v_perm_b32 v18, v19, v18, s4
	v_perm_b32 v19, v37, v36, s4
	s_waitcnt vmcnt(2)
	v_cvt_pk_f32_fp8_sdwa v[36:37], v10 src0_sel:WORD_1
	v_cvt_pk_f32_fp8_e32 v[32:33], v17
	v_cvt_pk_f32_fp8_sdwa v[16:17], v17 src0_sel:WORD_1
	v_cvt_pk_f32_fp8_e32 v[34:35], v10
	s_mov_b32 s3, 0
	v_perm_b32 v32, v33, v32, s4
	v_perm_b32 v33, v17, v16, s4
	v_mfma_f32_16x16x16_bf16 v[16:19], v[18:19], v[28:29], v[22:25]
	v_perm_b32 v34, v35, v34, s4
	v_perm_b32 v35, v37, v36, s4
	v_cvt_pk_f32_fp8_e32 v[28:29], v11
	ds_read_b128 v[22:25], v14 offset:2048
	v_cvt_pk_f32_fp8_sdwa v[10:11], v11 src0_sel:WORD_1
	v_mfma_f32_16x16x16_bf16 v[16:19], v[32:33], v[30:31], v[16:19]
	v_perm_b32 v32, v29, v28, s4
	ds_read_b128 v[28:31], v14 offset:2064
	v_perm_b32 v33, v11, v10, s4
	s_waitcnt lgkmcnt(1)
	v_mfma_f32_16x16x16_bf16 v[16:19], v[34:35], v[22:23], v[16:19]
	v_cvt_pk_f32_fp8_e32 v[10:11], v12
	v_cvt_pk_f32_fp8_sdwa v[22:23], v12 src0_sel:WORD_1
	v_mov_b32_e32 v27, 0
	v_mfma_f32_16x16x16_bf16 v[16:19], v[32:33], v[24:25], v[16:19]
	v_cvt_pk_f32_fp8_e32 v[24:25], v13
	v_perm_b32 v10, v11, v10, s4
	v_perm_b32 v11, v23, v22, s4
	v_cvt_pk_f32_fp8_sdwa v[12:13], v13 src0_sel:WORD_1
	v_perm_b32 v22, v25, v24, s4
	s_waitcnt vmcnt(1)
	v_cvt_pk_f32_fp8_e32 v[24:25], v6
	v_cvt_pk_f32_fp8_sdwa v[32:33], v6 src0_sel:WORD_1
	v_perm_b32 v23, v13, v12, s4
	s_waitcnt lgkmcnt(0)
	v_mfma_f32_16x16x16_bf16 v[10:13], v[10:11], v[28:29], v[16:19]
	v_perm_b32 v28, v25, v24, s4
	v_perm_b32 v29, v33, v32, s4
	v_cvt_pk_f32_fp8_e32 v[24:25], v7
	ds_read_b128 v[16:19], v14 offset:4096
	v_cvt_pk_f32_fp8_sdwa v[6:7], v7 src0_sel:WORD_1
	v_mfma_f32_16x16x16_bf16 v[10:13], v[22:23], v[30:31], v[10:13]
	v_perm_b32 v30, v25, v24, s4
	ds_read_b128 v[22:25], v14 offset:4112
	v_perm_b32 v31, v7, v6, s4
	s_waitcnt lgkmcnt(1)
	v_mfma_f32_16x16x16_bf16 v[10:13], v[28:29], v[16:17], v[10:13]
	v_cvt_pk_f32_fp8_e32 v[6:7], v8
	v_cvt_pk_f32_fp8_sdwa v[16:17], v8 src0_sel:WORD_1
	s_waitcnt vmcnt(0)
	v_cvt_pk_f32_fp8_sdwa v[28:29], v2 src0_sel:WORD_1
	v_mfma_f32_16x16x16_bf16 v[10:13], v[30:31], v[18:19], v[10:13]
	v_cvt_pk_f32_fp8_e32 v[18:19], v9
	v_perm_b32 v6, v7, v6, s4
	v_perm_b32 v7, v17, v16, s4
	v_cvt_pk_f32_fp8_sdwa v[8:9], v9 src0_sel:WORD_1
	v_perm_b32 v16, v19, v18, s4
	v_cvt_pk_f32_fp8_e32 v[18:19], v2
	v_perm_b32 v17, v9, v8, s4
	s_waitcnt lgkmcnt(0)
	v_mfma_f32_16x16x16_bf16 v[6:9], v[6:7], v[22:23], v[10:13]
	v_perm_b32 v18, v19, v18, s4
	v_perm_b32 v19, v29, v28, s4
	v_cvt_pk_f32_fp8_e32 v[22:23], v3
	ds_read_b128 v[10:13], v14 offset:6144
	v_cvt_pk_f32_fp8_sdwa v[2:3], v3 src0_sel:WORD_1
	v_mfma_f32_16x16x16_bf16 v[6:9], v[16:17], v[24:25], v[6:9]
	v_perm_b32 v22, v23, v22, s4
	ds_read_b128 v[14:17], v14 offset:6160
	v_perm_b32 v23, v3, v2, s4
	s_waitcnt lgkmcnt(1)
	v_mfma_f32_16x16x16_bf16 v[6:9], v[18:19], v[10:11], v[6:9]
	v_cvt_pk_f32_fp8_e32 v[2:3], v4
	v_cvt_pk_f32_fp8_sdwa v[10:11], v4 src0_sel:WORD_1
	s_waitcnt lgkmcnt(0)
	v_mfma_f32_16x16x16_bf16 v[6:9], v[22:23], v[12:13], v[6:9]
	v_perm_b32 v2, v3, v2, s4
	v_perm_b32 v3, v11, v10, s4
	v_cvt_pk_f32_fp8_e32 v[10:11], v5
	v_cvt_pk_f32_fp8_sdwa v[4:5], v5 src0_sel:WORD_1
	s_barrier
	v_perm_b32 v10, v11, v10, s4
	v_perm_b32 v11, v5, v4, s4
	v_mfma_f32_16x16x16_bf16 v[2:5], v[2:3], v[14:15], v[6:9]
	s_nop 0
	v_mfma_f32_16x16x16_bf16 v[2:5], v[10:11], v[16:17], v[2:5]
	s_nop 6
	v_pk_mul_f32 v[2:3], v[2:3], s[10:11] op_sel_hi:[1,0]
	v_pk_mul_f32 v[4:5], v[4:5], s[10:11] op_sel_hi:[1,0]
	v_bfe_u32 v6, v3, 16, 1
	v_bfe_u32 v7, v2, 16, 1
	v_add3_u32 v2, v2, v7, s8
	v_add3_u32 v3, v3, v6, s8
	v_perm_b32 v2, v3, v2, s4
	v_bfe_u32 v3, v5, 16, 1
	v_bfe_u32 v6, v4, 16, 1
	v_add3_u32 v4, v4, v6, s8
	v_add3_u32 v3, v5, v3, s8
	v_perm_b32 v3, v3, v4, s4
	s_and_b64 s[4:5], vcc, s[30:31]
	ds_write_b64 v20, v[2:3]
	s_waitcnt lgkmcnt(0)
	s_barrier
	s_and_saveexec_b64 s[8:9], s[4:5]
	s_cbranch_execz .LBB1115_17
; %bb.16:
	s_load_dwordx2 s[0:1], s[0:1], 0x68
	s_lshl_b32 s6, s6, 6
	s_mul_i32 s2, s7, s2
	s_mul_hi_u32 s5, s2, s6
	s_mul_i32 s4, s2, s6
	s_lshl_b64 s[4:5], s[4:5], 1
	v_lshlrev_b32_e32 v0, 10, v0
	s_waitcnt lgkmcnt(0)
	s_add_u32 s4, s0, s4
	v_and_b32_e32 v0, 0x1800, v0
	v_lshlrev_b32_e32 v2, 5, v1
	v_and_b32_e32 v3, 16, v40
	s_addc_u32 s5, s1, s5
	s_lshl_b32 s2, s28, 6
	v_or3_b32 v0, v0, v2, v3
	s_lshl_b64 s[0:1], s[2:3], 1
	ds_read_b128 v[2:5], v0
	ds_read_b128 v[6:9], v0 offset:128
	s_add_u32 s0, s4, s0
	s_addc_u32 s1, s5, s1
	v_or_b32_e32 v12, s29, v1
	v_lshl_add_u64 v[10:11], s[0:1], 0, v[26:27]
	v_mad_u64_u32 v[0:1], s[0:1], v12, s6, 0
	v_lshl_add_u64 v[0:1], v[0:1], 1, v[10:11]
	s_waitcnt lgkmcnt(1)
	global_store_dwordx4 v[0:1], v[2:5], off
	v_or_b32_e32 v0, 4, v12
	v_mad_u64_u32 v[0:1], s[0:1], v0, s6, 0
	v_lshl_add_u64 v[0:1], v[0:1], 1, v[10:11]
	s_waitcnt lgkmcnt(0)
	global_store_dwordx4 v[0:1], v[6:9], off
.LBB1115_17:
	s_endpgm
	.section	.rodata,"a",@progbits
	.p2align	6, 0x0
	.amdhsa_kernel _Z39paged_attention_ll4mi_QKV_mfma16_kernelI14__hip_bfloat16hLN4vllm18Fp8KVCacheDataTypeE1EhLi16ELi64ELi256ELb0ELi8EEvPKT_PKT0_S8_ifPKiSA_SA_iPKfiiiPfSD_PS3_PT2_iSC_SC_
		.amdhsa_group_segment_fixed_size 8192
		.amdhsa_private_segment_fixed_size 0
		.amdhsa_kernarg_size 400
		.amdhsa_user_sgpr_count 2
		.amdhsa_user_sgpr_dispatch_ptr 0
		.amdhsa_user_sgpr_queue_ptr 0
		.amdhsa_user_sgpr_kernarg_segment_ptr 1
		.amdhsa_user_sgpr_dispatch_id 0
		.amdhsa_user_sgpr_kernarg_preload_length 0
		.amdhsa_user_sgpr_kernarg_preload_offset 0
		.amdhsa_user_sgpr_private_segment_size 0
		.amdhsa_uses_dynamic_stack 0
		.amdhsa_enable_private_segment 0
		.amdhsa_system_sgpr_workgroup_id_x 1
		.amdhsa_system_sgpr_workgroup_id_y 1
		.amdhsa_system_sgpr_workgroup_id_z 1
		.amdhsa_system_sgpr_workgroup_info 0
		.amdhsa_system_vgpr_workitem_id 0
		.amdhsa_next_free_vgpr 58
		.amdhsa_next_free_sgpr 49
		.amdhsa_accum_offset 60
		.amdhsa_reserve_vcc 1
		.amdhsa_float_round_mode_32 0
		.amdhsa_float_round_mode_16_64 0
		.amdhsa_float_denorm_mode_32 3
		.amdhsa_float_denorm_mode_16_64 3
		.amdhsa_dx10_clamp 1
		.amdhsa_ieee_mode 1
		.amdhsa_fp16_overflow 0
		.amdhsa_tg_split 0
		.amdhsa_exception_fp_ieee_invalid_op 0
		.amdhsa_exception_fp_denorm_src 0
		.amdhsa_exception_fp_ieee_div_zero 0
		.amdhsa_exception_fp_ieee_overflow 0
		.amdhsa_exception_fp_ieee_underflow 0
		.amdhsa_exception_fp_ieee_inexact 0
		.amdhsa_exception_int_div_zero 0
	.end_amdhsa_kernel
	.section	.text._Z39paged_attention_ll4mi_QKV_mfma16_kernelI14__hip_bfloat16hLN4vllm18Fp8KVCacheDataTypeE1EhLi16ELi64ELi256ELb0ELi8EEvPKT_PKT0_S8_ifPKiSA_SA_iPKfiiiPfSD_PS3_PT2_iSC_SC_,"axG",@progbits,_Z39paged_attention_ll4mi_QKV_mfma16_kernelI14__hip_bfloat16hLN4vllm18Fp8KVCacheDataTypeE1EhLi16ELi64ELi256ELb0ELi8EEvPKT_PKT0_S8_ifPKiSA_SA_iPKfiiiPfSD_PS3_PT2_iSC_SC_,comdat
.Lfunc_end1115:
	.size	_Z39paged_attention_ll4mi_QKV_mfma16_kernelI14__hip_bfloat16hLN4vllm18Fp8KVCacheDataTypeE1EhLi16ELi64ELi256ELb0ELi8EEvPKT_PKT0_S8_ifPKiSA_SA_iPKfiiiPfSD_PS3_PT2_iSC_SC_, .Lfunc_end1115-_Z39paged_attention_ll4mi_QKV_mfma16_kernelI14__hip_bfloat16hLN4vllm18Fp8KVCacheDataTypeE1EhLi16ELi64ELi256ELb0ELi8EEvPKT_PKT0_S8_ifPKiSA_SA_iPKfiiiPfSD_PS3_PT2_iSC_SC_
                                        ; -- End function
	.section	.AMDGPU.csdata,"",@progbits
; Kernel info:
; codeLenInByte = 4800
; NumSgprs: 55
; NumVgprs: 58
; NumAgprs: 0
; TotalNumVgprs: 58
; ScratchSize: 0
; MemoryBound: 0
; FloatMode: 240
; IeeeMode: 1
; LDSByteSize: 8192 bytes/workgroup (compile time only)
; SGPRBlocks: 6
; VGPRBlocks: 7
; NumSGPRsForWavesPerEU: 55
; NumVGPRsForWavesPerEU: 58
; AccumOffset: 60
; Occupancy: 8
; WaveLimiterHint : 1
; COMPUTE_PGM_RSRC2:SCRATCH_EN: 0
; COMPUTE_PGM_RSRC2:USER_SGPR: 2
; COMPUTE_PGM_RSRC2:TRAP_HANDLER: 0
; COMPUTE_PGM_RSRC2:TGID_X_EN: 1
; COMPUTE_PGM_RSRC2:TGID_Y_EN: 1
; COMPUTE_PGM_RSRC2:TGID_Z_EN: 1
; COMPUTE_PGM_RSRC2:TIDIG_COMP_CNT: 0
; COMPUTE_PGM_RSRC3_GFX90A:ACCUM_OFFSET: 14
; COMPUTE_PGM_RSRC3_GFX90A:TG_SPLIT: 0
	.section	.text._Z39paged_attention_ll4mi_QKV_mfma16_kernelI14__hip_bfloat16hLN4vllm18Fp8KVCacheDataTypeE1EhLi16ELi64ELi256ELb0ELi9EEvPKT_PKT0_S8_ifPKiSA_SA_iPKfiiiPfSD_PS3_PT2_iSC_SC_,"axG",@progbits,_Z39paged_attention_ll4mi_QKV_mfma16_kernelI14__hip_bfloat16hLN4vllm18Fp8KVCacheDataTypeE1EhLi16ELi64ELi256ELb0ELi9EEvPKT_PKT0_S8_ifPKiSA_SA_iPKfiiiPfSD_PS3_PT2_iSC_SC_,comdat
	.protected	_Z39paged_attention_ll4mi_QKV_mfma16_kernelI14__hip_bfloat16hLN4vllm18Fp8KVCacheDataTypeE1EhLi16ELi64ELi256ELb0ELi9EEvPKT_PKT0_S8_ifPKiSA_SA_iPKfiiiPfSD_PS3_PT2_iSC_SC_ ; -- Begin function _Z39paged_attention_ll4mi_QKV_mfma16_kernelI14__hip_bfloat16hLN4vllm18Fp8KVCacheDataTypeE1EhLi16ELi64ELi256ELb0ELi9EEvPKT_PKT0_S8_ifPKiSA_SA_iPKfiiiPfSD_PS3_PT2_iSC_SC_
	.globl	_Z39paged_attention_ll4mi_QKV_mfma16_kernelI14__hip_bfloat16hLN4vllm18Fp8KVCacheDataTypeE1EhLi16ELi64ELi256ELb0ELi9EEvPKT_PKT0_S8_ifPKiSA_SA_iPKfiiiPfSD_PS3_PT2_iSC_SC_
	.p2align	8
	.type	_Z39paged_attention_ll4mi_QKV_mfma16_kernelI14__hip_bfloat16hLN4vllm18Fp8KVCacheDataTypeE1EhLi16ELi64ELi256ELb0ELi9EEvPKT_PKT0_S8_ifPKiSA_SA_iPKfiiiPfSD_PS3_PT2_iSC_SC_,@function
_Z39paged_attention_ll4mi_QKV_mfma16_kernelI14__hip_bfloat16hLN4vllm18Fp8KVCacheDataTypeE1EhLi16ELi64ELi256ELb0ELi9EEvPKT_PKT0_S8_ifPKiSA_SA_iPKfiiiPfSD_PS3_PT2_iSC_SC_: ; @_Z39paged_attention_ll4mi_QKV_mfma16_kernelI14__hip_bfloat16hLN4vllm18Fp8KVCacheDataTypeE1EhLi16ELi64ELi256ELb0ELi9EEvPKT_PKT0_S8_ifPKiSA_SA_iPKfiiiPfSD_PS3_PT2_iSC_SC_
; %bb.0:
	s_load_dwordx2 s[12:13], s[0:1], 0x30
	s_mov_b32 s28, s3
	s_mov_b64 s[6:7], 0
	s_waitcnt lgkmcnt(0)
	s_cmp_lg_u64 s[12:13], 0
	s_cselect_b64 s[14:15], -1, 0
	s_and_b64 vcc, exec, s[14:15]
	s_cbranch_vccz .LBB1116_7
; %bb.1:
	s_add_i32 s8, s2, 1
	s_mov_b32 s9, 0
	s_lshl_b64 s[10:11], s[8:9], 2
	s_add_u32 s10, s12, s10
	s_mov_b32 s3, s9
	s_addc_u32 s11, s13, s11
	s_lshl_b64 s[8:9], s[2:3], 2
	s_add_u32 s8, s12, s8
	s_addc_u32 s9, s13, s9
	s_load_dword s5, s[10:11], 0x0
	s_load_dword s16, s[8:9], 0x0
	s_waitcnt lgkmcnt(0)
	s_sub_i32 s5, s5, s16
	s_cmp_eq_u32 s5, 1
	s_cselect_b64 s[8:9], -1, 0
	s_andn2_b64 vcc, exec, s[6:7]
	s_cbranch_vccnz .LBB1116_3
.LBB1116_2:
	s_mov_b32 s3, 0
	s_mov_b64 s[8:9], -1
.LBB1116_3:
	s_andn2_b64 vcc, exec, s[8:9]
	s_cbranch_vccnz .LBB1116_18
; %bb.4:
	s_load_dwordx2 s[6:7], s[0:1], 0x28
	s_lshl_b64 s[16:17], s[2:3], 2
	s_waitcnt lgkmcnt(0)
	s_add_u32 s6, s6, s16
	s_addc_u32 s7, s7, s17
	s_load_dword s33, s[6:7], 0x0
	s_lshl_b32 s5, s28, 8
	s_waitcnt lgkmcnt(0)
	s_cmp_ge_i32 s5, s33
	s_cbranch_scc1 .LBB1116_18
; %bb.5:
	s_load_dwordx2 s[6:7], s[0:1], 0x20
	s_load_dword s8, s[0:1], 0x38
	s_add_i32 s9, s33, 15
	s_ashr_i32 s10, s9, 31
	v_and_b32_e32 v1, 0xcf, v0
	s_lshr_b32 s10, s10, 28
	v_add_u32_e32 v1, s5, v1
	s_add_i32 s9, s9, s10
	v_ashrrev_i32_e32 v2, 31, v1
	s_ashr_i32 s18, s9, 4
	v_lshrrev_b32_e32 v4, 28, v2
	s_add_i32 s18, s18, -1
	s_waitcnt lgkmcnt(0)
	s_mul_i32 s8, s2, s8
	s_mov_b32 s9, 0
	v_add_u32_e32 v2, v1, v4
	s_lshl_b64 s[8:9], s[8:9], 2
	v_ashrrev_i32_e32 v2, 4, v2
	v_mov_b32_e32 v5, s18
	v_cmp_gt_i32_e32 vcc, s33, v1
	s_add_u32 s6, s6, s8
	s_addc_u32 s7, s7, s9
	v_cndmask_b32_e32 v2, v5, v2, vcc
	v_ashrrev_i32_e32 v3, 31, v2
	v_lshl_add_u64 v[6:7], v[2:3], 2, s[6:7]
	v_or_b32_e32 v2, 16, v1
	v_add_u32_e32 v3, v2, v4
	v_ashrrev_i32_e32 v3, 4, v3
	v_cmp_gt_i32_e32 vcc, s33, v2
	s_load_dwordx4 s[8:11], s[0:1], 0x8
	s_nop 0
	v_cndmask_b32_e32 v2, v5, v3, vcc
	v_ashrrev_i32_e32 v3, 31, v2
	v_lshl_add_u64 v[8:9], v[2:3], 2, s[6:7]
	v_or_b32_e32 v2, 32, v1
	v_add_u32_e32 v3, v2, v4
	v_ashrrev_i32_e32 v3, 4, v3
	v_cmp_gt_i32_e32 vcc, s33, v2
	v_or_b32_e32 v1, 48, v1
	s_nop 0
	v_cndmask_b32_e32 v2, v5, v3, vcc
	v_ashrrev_i32_e32 v3, 31, v2
	v_lshl_add_u64 v[10:11], v[2:3], 2, s[6:7]
	v_add_u32_e32 v2, v1, v4
	v_ashrrev_i32_e32 v2, 4, v2
	v_cmp_gt_i32_e32 vcc, s33, v1
	s_nop 1
	v_cndmask_b32_e32 v2, v5, v2, vcc
	v_ashrrev_i32_e32 v3, 31, v2
	v_lshl_add_u64 v[14:15], v[2:3], 2, s[6:7]
	global_load_dword v4, v[6:7], off
	global_load_dword v3, v[8:9], off
	;; [unrolled: 1-line block ×4, first 2 shown]
	s_andn2_b64 vcc, exec, s[14:15]
	s_cbranch_vccnz .LBB1116_8
; %bb.6:
	s_add_u32 s12, s12, s16
	s_addc_u32 s13, s13, s17
	s_load_dword s14, s[12:13], 0x0
	s_branch .LBB1116_9
.LBB1116_7:
	s_mov_b64 s[8:9], 0
	s_branch .LBB1116_2
.LBB1116_8:
	s_mov_b32 s14, s2
.LBB1116_9:
	s_load_dwordx4 s[44:47], s[0:1], 0x48
	v_lshrrev_b32_e32 v29, 6, v0
	v_bfe_u32 v42, v0, 4, 2
	v_lshl_or_b32 v5, v29, 2, v42
	v_and_b32_e32 v28, 15, v0
	v_lshlrev_b32_e32 v1, 3, v28
	v_cmp_gt_u32_e32 vcc, 9, v5
	v_cmp_gt_u32_e64 s[30:31], 8, v28
	v_and_b32_e32 v43, 63, v0
	s_mul_i32 s48, s4, 9
	s_and_b64 s[16:17], s[30:31], vcc
	v_lshlrev_b32_e32 v26, 1, v1
	v_lshlrev_b32_e32 v1, 4, v0
	s_and_saveexec_b64 s[12:13], s[16:17]
	s_cbranch_execz .LBB1116_11
; %bb.10:
	s_load_dwordx2 s[16:17], s[0:1], 0x0
	s_waitcnt lgkmcnt(0)
	s_ashr_i32 s15, s44, 31
	s_mul_hi_u32 s19, s14, s44
	s_mul_i32 s15, s14, s15
	s_add_i32 s15, s19, s15
	s_mul_i32 s14, s14, s44
	s_lshl_b64 s[14:15], s[14:15], 1
	s_add_u32 s14, s16, s14
	v_add_lshl_u32 v6, v5, s48, 6
	s_addc_u32 s15, s17, s15
	v_ashrrev_i32_e32 v7, 31, v6
	v_lshl_add_u64 v[6:7], v[6:7], 1, s[14:15]
	v_mov_b32_e32 v27, 0
	v_lshl_add_u64 v[6:7], v[6:7], 0, v[26:27]
	global_load_dwordx4 v[6:9], v[6:7], off
	v_lshlrev_b32_e32 v11, 8, v28
	v_lshlrev_b32_e32 v5, 5, v5
	v_and_b32_e32 v10, 16, v1
	v_and_b32_e32 v11, 0xe00, v11
	v_or3_b32 v5, v11, v5, v10
	s_waitcnt vmcnt(0)
	ds_write_b128 v5, v[6:9]
.LBB1116_11:
	s_or_b64 exec, exec, s[12:13]
	s_waitcnt lgkmcnt(0)
	s_mul_i32 s4, s4, s46
	s_add_u32 s8, s8, s4
	s_addc_u32 s9, s9, 0
	v_and_b32_e32 v8, 48, v0
	v_and_b32_e32 v30, 0xf0, v1
	v_mov_b32_e32 v31, 0
	v_lshl_add_u64 v[6:7], s[8:9], 0, v[30:31]
	v_lshlrev_b32_e32 v30, 4, v8
	v_or_b32_e32 v8, s5, v8
	v_lshl_add_u64 v[10:11], v[6:7], 0, v[30:31]
	v_ashrrev_i32_e32 v6, 4, v8
	v_mov_b32_e32 v27, s18
	v_cmp_gt_i32_e32 vcc, s33, v8
	s_load_dword s29, s[0:1], 0x98
	s_load_dwordx4 s[40:43], s[0:1], 0x80
	v_cndmask_b32_e32 v6, v27, v6, vcc
	v_ashrrev_i32_e32 v7, 31, v6
	v_lshl_add_u64 v[6:7], v[6:7], 2, s[6:7]
	s_waitcnt lgkmcnt(0)
	s_barrier
	s_waitcnt vmcnt(3)
	v_mad_i64_i32 v[4:5], s[8:9], v4, s45, v[10:11]
	global_load_dword v38, v[6:7], off
	global_load_dwordx4 v[22:25], v[4:5], off
	s_waitcnt vmcnt(4)
	v_mad_i64_i32 v[4:5], s[8:9], v3, s45, v[10:11]
	global_load_dwordx4 v[18:21], v[4:5], off
	s_waitcnt vmcnt(4)
	v_mad_i64_i32 v[2:3], s[8:9], v2, s45, v[10:11]
	global_load_dwordx4 v[14:17], v[2:3], off
	v_add_u32_e32 v4, -9, v28
	v_cmp_gt_u32_e32 vcc, 9, v28
	v_or_b32_e32 v13, 64, v8
	s_waitcnt vmcnt(4)
	v_mad_i64_i32 v[10:11], s[12:13], v12, s45, v[10:11]
	v_cndmask_b32_e32 v2, v4, v28, vcc
	v_lshlrev_b32_e32 v2, 5, v2
	v_lshl_add_u32 v2, v42, 9, v2
	v_or_b32_e32 v33, 0x80, v8
	v_or_b32_e32 v35, 0xc0, v8
	v_ashrrev_i32_e32 v32, 4, v13
	ds_read_b128 v[6:9], v2
	ds_read_b128 v[2:5], v2 offset:16
	v_cmp_gt_i32_e32 vcc, s33, v13
	global_load_dwordx4 v[10:13], v[10:11], off
	v_ashrrev_i32_e32 v34, 4, v33
	v_cndmask_b32_e32 v32, v27, v32, vcc
	v_cmp_gt_i32_e32 vcc, s33, v33
	v_ashrrev_i32_e32 v36, 4, v35
	v_ashrrev_i32_e32 v33, 31, v32
	v_cndmask_b32_e32 v34, v27, v34, vcc
	v_cmp_gt_i32_e32 vcc, s33, v35
	v_ashrrev_i32_e32 v35, 31, v34
	v_lshl_add_u64 v[32:33], v[32:33], 2, s[6:7]
	v_cndmask_b32_e32 v36, v27, v36, vcc
	v_ashrrev_i32_e32 v37, 31, v36
	v_lshl_add_u64 v[34:35], v[34:35], 2, s[6:7]
	v_lshl_add_u64 v[36:37], v[36:37], 2, s[6:7]
	s_add_u32 s8, s10, s4
	s_load_dword s4, s[40:41], 0x0
	global_load_dword v45, v[32:33], off
	global_load_dword v27, v[34:35], off
	;; [unrolled: 1-line block ×3, first 2 shown]
	v_lshlrev_b32_e32 v30, 4, v28
	s_addc_u32 s9, s11, 0
	v_lshl_or_b32 v30, v29, 8, v30
	s_mov_b32 s44, 0x7060302
	v_lshl_add_u64 v[30:31], s[8:9], 0, v[30:31]
	s_load_dword s14, s[0:1], 0x1c
	s_mov_b32 s46, 0xff7fffff
	s_waitcnt vmcnt(7)
	v_mad_i64_i32 v[32:33], s[6:7], v38, s45, v[30:31]
	s_waitcnt vmcnt(6)
	v_cvt_pk_f32_fp8_e32 v[34:35], v22
	v_cvt_pk_f32_fp8_sdwa v[36:37], v22 src0_sel:WORD_1
	v_cvt_pk_f32_fp8_e32 v[38:39], v23
	v_cvt_pk_f32_fp8_sdwa v[40:41], v23 src0_sel:WORD_1
	v_perm_b32 v34, v35, v34, s44
	v_perm_b32 v35, v37, v36, s44
	s_waitcnt vmcnt(5)
	v_cvt_pk_f32_fp8_e32 v[22:23], v18
	v_cvt_pk_f32_fp8_sdwa v[52:53], v18 src0_sel:WORD_1
	v_perm_b32 v38, v39, v38, s44
	v_perm_b32 v39, v41, v40, s44
	v_cvt_pk_f32_fp8_e32 v[46:47], v24
	v_cvt_pk_f32_fp8_sdwa v[48:49], v24 src0_sel:WORD_1
	v_cvt_pk_f32_fp8_e32 v[50:51], v25
	v_cvt_pk_f32_fp8_sdwa v[54:55], v25 src0_sel:WORD_1
	v_perm_b32 v36, v23, v22, s44
	s_waitcnt lgkmcnt(0)
	v_mfma_f32_16x16x16_bf16 v[22:25], v[34:35], v[6:7], 0
	v_cvt_pk_f32_fp8_e32 v[56:57], v19
	v_perm_b32 v37, v53, v52, s44
	v_cvt_pk_f32_fp8_sdwa v[18:19], v19 src0_sel:WORD_1
	v_mfma_f32_16x16x16_bf16 v[22:25], v[38:39], v[8:9], v[22:25]
	v_perm_b32 v38, v47, v46, s44
	v_perm_b32 v39, v49, v48, s44
	v_cvt_pk_f32_fp8_e32 v[40:41], v20
	v_perm_b32 v52, v57, v56, s44
	v_perm_b32 v53, v19, v18, s44
	v_cvt_pk_f32_fp8_sdwa v[18:19], v20 src0_sel:WORD_1
	v_mfma_f32_16x16x16_bf16 v[34:37], v[36:37], v[6:7], 0
	v_cvt_pk_f32_fp8_e32 v[46:47], v21
	v_perm_b32 v48, v51, v50, s44
	v_perm_b32 v49, v55, v54, s44
	v_mfma_f32_16x16x16_bf16 v[22:25], v[38:39], v[2:3], v[22:25]
	v_cvt_pk_f32_fp8_sdwa v[38:39], v21 src0_sel:WORD_1
	v_perm_b32 v40, v41, v40, s44
	v_perm_b32 v41, v19, v18, s44
	v_mfma_f32_16x16x16_bf16 v[34:37], v[52:53], v[8:9], v[34:37]
	v_perm_b32 v46, v47, v46, s44
	v_perm_b32 v47, v39, v38, s44
	s_waitcnt vmcnt(4)
	v_cvt_pk_f32_fp8_e32 v[38:39], v14
	v_mfma_f32_16x16x16_bf16 v[18:21], v[48:49], v[4:5], v[22:25]
	v_cvt_pk_f32_fp8_sdwa v[50:51], v17 src0_sel:WORD_1
	v_mov_b32_e32 v48, s14
	v_mul_f32_e32 v48, s4, v48
	v_mfma_f32_16x16x16_bf16 v[22:25], v[40:41], v[2:3], v[34:37]
	v_cvt_pk_f32_fp8_sdwa v[40:41], v14 src0_sel:WORD_1
	v_mfma_f32_16x16x16_bf16 v[34:37], v[46:47], v[4:5], v[22:25]
	v_cvt_pk_f32_fp8_sdwa v[46:47], v16 src0_sel:WORD_1
	s_nop 3
	v_cvt_pk_f32_fp8_e32 v[22:23], v15
	v_perm_b32 v24, v39, v38, s44
	v_perm_b32 v25, v41, v40, s44
	v_cvt_pk_f32_fp8_sdwa v[14:15], v15 src0_sel:WORD_1
	v_perm_b32 v38, v23, v22, s44
	v_cvt_pk_f32_fp8_e32 v[40:41], v16
	v_mfma_f32_16x16x16_bf16 v[22:25], v[24:25], v[6:7], 0
	v_perm_b32 v39, v15, v14, s44
	v_perm_b32 v40, v41, v40, s44
	v_perm_b32 v41, v47, v46, s44
	v_cvt_pk_f32_fp8_e32 v[46:47], v17
	v_mfma_f32_16x16x16_bf16 v[14:17], v[38:39], v[8:9], v[22:25]
	s_waitcnt vmcnt(3)
	v_cvt_pk_f32_fp8_sdwa v[38:39], v10 src0_sel:WORD_1
	v_pk_mul_f32 v[36:37], v[48:49], v[36:37] op_sel_hi:[0,1]
	v_perm_b32 v24, v47, v46, s44
	v_perm_b32 v25, v51, v50, s44
	v_pk_mul_f32 v[22:23], v[48:49], v[20:21] op_sel_hi:[0,1]
	v_mfma_f32_16x16x16_bf16 v[14:17], v[40:41], v[2:3], v[14:17]
	v_pk_mul_f32 v[20:21], v[48:49], v[18:19] op_sel_hi:[0,1]
	v_cvt_pk_f32_fp8_e32 v[18:19], v10
	v_cvt_pk_f32_fp8_e32 v[46:47], v12
	v_mfma_f32_16x16x16_bf16 v[14:17], v[24:25], v[4:5], v[14:17]
	v_cvt_pk_f32_fp8_e32 v[24:25], v11
	v_perm_b32 v18, v19, v18, s44
	v_perm_b32 v19, v39, v38, s44
	v_cvt_pk_f32_fp8_sdwa v[10:11], v11 src0_sel:WORD_1
	v_perm_b32 v24, v25, v24, s44
	v_cvt_pk_f32_fp8_sdwa v[50:51], v12 src0_sel:WORD_1
	v_mfma_f32_16x16x16_bf16 v[38:41], v[18:19], v[6:7], 0
	v_perm_b32 v25, v11, v10, s44
	v_perm_b32 v10, v47, v46, s44
	;; [unrolled: 1-line block ×3, first 2 shown]
	v_cvt_pk_f32_fp8_e32 v[18:19], v13
	v_cvt_pk_f32_fp8_sdwa v[12:13], v13 src0_sel:WORD_1
	v_mfma_f32_16x16x16_bf16 v[6:9], v[24:25], v[8:9], v[38:41]
	v_perm_b32 v18, v19, v18, s44
	v_perm_b32 v19, v13, v12, s44
	v_mfma_f32_16x16x16_bf16 v[6:9], v[10:11], v[2:3], v[6:9]
	v_pk_mul_f32 v[40:41], v[48:49], v[34:35] op_sel_hi:[0,1]
	v_pk_mul_f32 v[38:39], v[48:49], v[14:15] op_sel_hi:[0,1]
	;; [unrolled: 1-line block ×3, first 2 shown]
	v_mfma_f32_16x16x16_bf16 v[2:5], v[18:19], v[4:5], v[6:9]
	s_nop 6
	v_pk_mul_f32 v[24:25], v[48:49], v[2:3] op_sel_hi:[0,1]
	v_and_b32_e32 v2, 0xc0, v0
	v_add_u32_e32 v2, s5, v2
	v_lshl_or_b32 v2, v42, 2, v2
	v_pk_mul_f32 v[18:19], v[48:49], v[4:5] op_sel_hi:[0,1]
	v_or_b32_e32 v5, 1, v2
	v_mov_b32_e32 v3, 0xff7fffff
	v_cmp_gt_i32_e64 s[4:5], s33, v2
	v_cmp_gt_i32_e64 s[34:35], s33, v5
	v_or_b32_e32 v6, 3, v2
	v_cndmask_b32_e64 v4, v3, v20, s[4:5]
	v_cndmask_b32_e64 v5, v3, v21, s[34:35]
	v_max3_f32 v4, v4, s46, v5
	v_or_b32_e32 v5, 2, v2
	v_cmp_gt_i32_e64 s[36:37], s33, v5
	v_cmp_gt_i32_e64 s[38:39], s33, v6
	s_nop 0
	v_cndmask_b32_e64 v5, v3, v22, s[36:37]
	v_cndmask_b32_e64 v6, v3, v23, s[38:39]
	v_max3_f32 v4, v4, v5, v6
	v_or_b32_e32 v5, 16, v2
	v_or_b32_e32 v6, 17, v2
	v_cmp_gt_i32_e64 s[24:25], s33, v5
	v_cmp_gt_i32_e64 s[26:27], s33, v6
	s_nop 0
	v_cndmask_b32_e64 v5, v3, v40, s[24:25]
	v_cndmask_b32_e64 v6, v3, v41, s[26:27]
	v_max3_f32 v4, v4, v5, v6
	v_or_b32_e32 v5, 18, v2
	;; [unrolled: 8-line block ×6, first 2 shown]
	v_or_b32_e32 v2, 51, v2
	v_cmp_gt_i32_e32 vcc, s33, v5
	v_cmp_gt_i32_e64 s[6:7], s33, v2
	s_nop 0
	v_cndmask_b32_e32 v5, v3, v18, vcc
	v_cndmask_b32_e64 v2, v3, v19, s[6:7]
	v_max3_f32 v4, v4, v5, v2
	v_mbcnt_lo_u32_b32 v2, -1, 0
	v_mbcnt_hi_u32_b32 v5, -1, v2
	v_and_b32_e32 v2, 64, v5
	v_add_u32_e32 v6, 64, v2
	v_xor_b32_e32 v2, 32, v5
	v_cmp_lt_i32_e64 s[40:41], v2, v6
	s_nop 1
	v_cndmask_b32_e64 v2, v5, v2, s[40:41]
	v_lshlrev_b32_e32 v46, 2, v2
	ds_bpermute_b32 v7, v46, v4
	s_waitcnt vmcnt(2)
	v_mad_i64_i32 v[2:3], s[40:41], v45, s45, v[30:31]
	global_load_dwordx4 v[14:17], v[32:33], off
	global_load_dwordx4 v[10:13], v[2:3], off
	v_xor_b32_e32 v3, 16, v5
	v_cmp_lt_i32_e64 s[40:41], v3, v6
	s_waitcnt lgkmcnt(0)
	v_max_f32_e32 v2, v7, v7
	v_max_f32_e32 v2, v4, v2
	v_cndmask_b32_e64 v3, v5, v3, s[40:41]
	v_lshlrev_b32_e32 v45, 2, v3
	ds_bpermute_b32 v3, v45, v2
	s_waitcnt vmcnt(3)
	v_mad_i64_i32 v[32:33], s[40:41], v27, s45, v[30:31]
	s_waitcnt vmcnt(2)
	v_mad_i64_i32 v[30:31], s[40:41], v44, s45, v[30:31]
	s_waitcnt lgkmcnt(0)
	v_max_f32_e32 v3, v3, v3
	v_max_f32_e32 v27, v2, v3
	v_sub_f32_e32 v2, v20, v27
	v_mul_f32_e32 v2, 0x3fb8aa3b, v2
	v_exp_f32_e32 v20, v2
	v_sub_f32_e32 v2, v21, v27
	v_mul_f32_e32 v2, 0x3fb8aa3b, v2
	v_exp_f32_e32 v21, v2
	global_load_dwordx4 v[6:9], v[32:33], off
	global_load_dwordx4 v[2:5], v[30:31], off
	v_sub_f32_e32 v22, v22, v27
	v_mul_f32_e32 v22, 0x3fb8aa3b, v22
	v_sub_f32_e32 v23, v23, v27
	v_exp_f32_e32 v22, v22
	v_mul_f32_e32 v23, 0x3fb8aa3b, v23
	v_exp_f32_e32 v23, v23
	v_cndmask_b32_e64 v20, 0, v20, s[4:5]
	v_add_f32_e32 v30, 0, v20
	v_cndmask_b32_e64 v21, 0, v21, s[34:35]
	v_add_f32_e32 v30, v30, v21
	;; [unrolled: 2-line block ×3, first 2 shown]
	v_cndmask_b32_e64 v33, 0, v23, s[38:39]
	v_sub_f32_e32 v23, v40, v27
	v_sub_f32_e32 v30, v41, v27
	v_mul_f32_e32 v23, 0x3fb8aa3b, v23
	v_mul_f32_e32 v30, 0x3fb8aa3b, v30
	v_exp_f32_e32 v23, v23
	v_exp_f32_e32 v30, v30
	v_add_f32_e32 v31, v22, v33
	v_sub_f32_e32 v34, v34, v27
	v_cndmask_b32_e64 v22, 0, v23, s[24:25]
	v_cndmask_b32_e64 v23, 0, v30, s[26:27]
	v_sub_f32_e32 v30, v36, v27
	v_mul_f32_e32 v30, 0x3fb8aa3b, v30
	v_exp_f32_e32 v30, v30
	v_sub_f32_e32 v36, v37, v27
	v_add_f32_e32 v31, v31, v22
	v_mul_f32_e32 v36, 0x3fb8aa3b, v36
	v_exp_f32_e32 v37, v36
	v_add_f32_e32 v31, v31, v23
	v_cndmask_b32_e64 v36, 0, v30, s[20:21]
	v_add_f32_e32 v30, v31, v36
	v_sub_f32_e32 v31, v38, v27
	v_mul_f32_e32 v31, 0x3fb8aa3b, v31
	v_sub_f32_e32 v38, v39, v27
	v_exp_f32_e32 v31, v31
	v_mul_f32_e32 v38, 0x3fb8aa3b, v38
	v_exp_f32_e32 v38, v38
	v_mul_f32_e32 v34, 0x3fb8aa3b, v34
	v_sub_f32_e32 v35, v35, v27
	v_exp_f32_e32 v34, v34
	v_mul_f32_e32 v35, 0x3fb8aa3b, v35
	v_sub_f32_e32 v24, v24, v27
	v_cndmask_b32_e64 v37, 0, v37, s[22:23]
	v_exp_f32_e32 v35, v35
	v_mul_f32_e32 v24, 0x3fb8aa3b, v24
	v_sub_f32_e32 v25, v25, v27
	v_add_f32_e32 v39, v30, v37
	v_cndmask_b32_e64 v30, 0, v31, s[16:17]
	v_exp_f32_e32 v24, v24
	v_mul_f32_e32 v25, 0x3fb8aa3b, v25
	v_sub_f32_e32 v18, v18, v27
	v_add_f32_e32 v39, v39, v30
	;; [unrolled: 5-line block ×3, first 2 shown]
	v_cndmask_b32_e64 v34, 0, v34, s[12:13]
	v_exp_f32_e32 v18, v18
	v_mul_f32_e32 v19, 0x3fb8aa3b, v19
	v_add_f32_e32 v38, v38, v34
	v_cndmask_b32_e64 v35, 0, v35, s[14:15]
	v_exp_f32_e32 v19, v19
	v_add_f32_e32 v38, v38, v35
	v_cndmask_b32_e64 v24, 0, v24, s[8:9]
	v_add_f32_e32 v38, v38, v24
	v_cndmask_b32_e64 v25, 0, v25, s[10:11]
	v_add_f32_e32 v38, v38, v25
	v_cndmask_b32_e32 v18, 0, v18, vcc
	v_add_f32_e32 v38, v38, v18
	v_cndmask_b32_e64 v19, 0, v19, s[6:7]
	v_add_f32_e32 v38, v38, v19
	ds_bpermute_b32 v39, v46, v38
	v_cmp_gt_u32_e64 s[6:7], 16, v43
	s_waitcnt lgkmcnt(0)
	s_barrier
	v_add_f32_e32 v39, v38, v39
	ds_bpermute_b32 v40, v45, v39
	v_lshlrev_b32_e32 v38, 2, v28
	s_and_saveexec_b64 s[4:5], s[6:7]
	s_cbranch_execz .LBB1116_13
; %bb.12:
	s_waitcnt lgkmcnt(0)
	v_add_f32_e32 v39, v39, v40
	v_lshl_or_b32 v40, v29, 6, v38
	ds_write2st64_b32 v40, v27, v39 offset1:1
.LBB1116_13:
	s_or_b64 exec, exec, s[4:5]
	s_load_dword s8, s[0:1], 0x94
	s_waitcnt lgkmcnt(0)
	s_barrier
	ds_read2_b32 v[40:41], v38 offset1:16
	ds_read2_b32 v[44:45], v38 offset0:32 offset1:48
	ds_read2_b32 v[46:47], v38 offset0:64 offset1:80
	s_movk_i32 s10, 0x7fff
	s_mul_i32 s9, s29, 9
	s_waitcnt lgkmcnt(2)
	v_max3_f32 v27, v40, s46, v41
	s_waitcnt lgkmcnt(1)
	v_max3_f32 v27, v27, v44, v45
	v_sub_f32_e32 v39, v40, v27
	v_sub_f32_e32 v40, v41, v27
	v_mul_f32_e32 v40, 0x3fb8aa3b, v40
	v_mul_f32_e32 v39, 0x3fb8aa3b, v39
	v_exp_f32_e32 v43, v40
	v_sub_f32_e32 v40, v44, v27
	v_exp_f32_e32 v39, v39
	v_mul_f32_e32 v40, 0x3fb8aa3b, v40
	v_exp_f32_e32 v44, v40
	ds_read2_b32 v[40:41], v38 offset0:96 offset1:112
	v_sub_f32_e32 v38, v45, v27
	v_mul_f32_e32 v38, 0x3fb8aa3b, v38
	v_exp_f32_e32 v45, v38
	s_waitcnt lgkmcnt(1)
	v_fma_f32 v38, v39, v46, 0
	v_fmac_f32_e32 v38, v43, v47
	s_waitcnt lgkmcnt(0)
	v_fmac_f32_e32 v38, v44, v40
	v_fmac_f32_e32 v38, v45, v41
	v_add_f32_e32 v40, 0x358637bd, v38
	v_div_scale_f32 v41, s[4:5], v40, v40, 1.0
	v_rcp_f32_e32 v46, v41
	s_barrier
	v_fma_f32 v47, -v41, v46, 1.0
	v_fmac_f32_e32 v46, v47, v46
	v_div_scale_f32 v47, vcc, 1.0, v40, 1.0
	v_mul_f32_e32 v48, v47, v46
	v_fma_f32 v49, -v41, v48, v47
	v_fmac_f32_e32 v48, v49, v46
	v_fma_f32 v41, -v41, v48, v47
	v_div_fmas_f32 v41, v41, v46, v48
	v_cmp_eq_u32_e32 vcc, 1, v29
	v_div_fixup_f32 v40, v41, v40, 1.0
	s_nop 0
	v_cndmask_b32_e32 v39, v39, v43, vcc
	v_cmp_eq_u32_e32 vcc, 2, v29
	s_nop 1
	v_cndmask_b32_e32 v39, v39, v44, vcc
	v_cmp_eq_u32_e32 vcc, 3, v29
	v_lshlrev_b32_e32 v29, 11, v29
	s_nop 0
	v_cndmask_b32_e32 v39, v39, v45, vcc
	v_mul_f32_e32 v40, v39, v40
	v_pk_mul_f32 v[20:21], v[40:41], v[20:21] op_sel_hi:[0,1]
	v_pk_mul_f32 v[32:33], v[40:41], v[32:33] op_sel_hi:[0,1]
	v_bfe_u32 v39, v21, 16, 1
	v_bfe_u32 v41, v20, 16, 1
	v_add3_u32 v20, v20, v41, s10
	v_add3_u32 v21, v21, v39, s10
	v_perm_b32 v44, v21, v20, s44
	v_bfe_u32 v20, v33, 16, 1
	v_bfe_u32 v21, v32, 16, 1
	v_add3_u32 v21, v32, v21, s10
	v_add3_u32 v20, v33, v20, s10
	v_perm_b32 v45, v20, v21, s44
	v_lshlrev_b32_e32 v20, 3, v42
	v_lshlrev_b32_e32 v21, 5, v28
	v_pk_mul_f32 v[22:23], v[40:41], v[22:23] op_sel_hi:[0,1]
	v_or3_b32 v20, v29, v21, v20
	v_pk_mul_f32 v[32:33], v[40:41], v[36:37] op_sel_hi:[0,1]
	v_bfe_u32 v29, v23, 16, 1
	v_bfe_u32 v36, v22, 16, 1
	v_add3_u32 v22, v22, v36, s10
	v_add3_u32 v23, v23, v29, s10
	v_perm_b32 v22, v23, v22, s44
	v_bfe_u32 v23, v33, 16, 1
	v_bfe_u32 v29, v32, 16, 1
	v_add3_u32 v29, v32, v29, s10
	v_add3_u32 v23, v33, v23, s10
	v_pk_mul_f32 v[30:31], v[40:41], v[30:31] op_sel_hi:[0,1]
	v_perm_b32 v23, v23, v29, s44
	v_bfe_u32 v29, v31, 16, 1
	v_bfe_u32 v32, v30, 16, 1
	ds_write2st64_b64 v20, v[44:45], v[22:23] offset1:1
	v_pk_mul_f32 v[22:23], v[40:41], v[34:35] op_sel_hi:[0,1]
	v_add3_u32 v30, v30, v32, s10
	v_add3_u32 v29, v31, v29, s10
	v_perm_b32 v30, v29, v30, s44
	v_bfe_u32 v29, v23, 16, 1
	v_bfe_u32 v31, v22, 16, 1
	v_add3_u32 v22, v22, v31, s10
	v_add3_u32 v23, v23, v29, s10
	v_perm_b32 v31, v23, v22, s44
	v_pk_mul_f32 v[22:23], v[40:41], v[24:25] op_sel_hi:[0,1]
	v_bfe_u32 v24, v23, 16, 1
	v_bfe_u32 v25, v22, 16, 1
	v_pk_mul_f32 v[18:19], v[40:41], v[18:19] op_sel_hi:[0,1]
	v_add3_u32 v22, v22, v25, s10
	v_add3_u32 v23, v23, v24, s10
	v_perm_b32 v22, v23, v22, s44
	v_bfe_u32 v23, v19, 16, 1
	v_bfe_u32 v24, v18, 16, 1
	v_add3_u32 v18, v18, v24, s10
	v_add3_u32 v19, v19, v23, s10
	v_perm_b32 v23, v19, v18, s44
	v_cmp_gt_u32_e32 vcc, 9, v0
	ds_write2st64_b64 v20, v[30:31], v[22:23] offset0:2 offset1:3
	s_and_saveexec_b64 s[4:5], vcc
	s_cbranch_execz .LBB1116_15
; %bb.14:
	s_mov_b32 s49, 0
	v_mov_b32_e32 v29, 0
	v_lshl_add_u64 v[18:19], s[48:49], 0, v[28:29]
	v_mov_b32_e32 v22, s9
	v_mad_u64_u32 v[18:19], s[16:17], s2, v22, v[18:19]
	s_mul_i32 s3, s3, s9
	v_mov_b32_e32 v28, s28
	s_load_dwordx4 s[12:15], s[0:1], 0x58
	v_add_u32_e32 v23, s3, v19
	v_mad_u64_u32 v[18:19], s[16:17], v18, s8, v[28:29]
	v_mov_b32_e32 v22, v19
	v_mad_u64_u32 v[22:23], s[16:17], v23, s8, v[22:23]
	v_mov_b32_e32 v19, v22
	v_lshlrev_b64 v[18:19], 2, v[18:19]
	s_waitcnt lgkmcnt(0)
	v_lshl_add_u64 v[22:23], s[14:15], 0, v[18:19]
	v_lshl_add_u64 v[18:19], s[12:13], 0, v[18:19]
	global_store_dword v[22:23], v27, off
	global_store_dword v[18:19], v38, off
.LBB1116_15:
	s_or_b64 exec, exec, s[4:5]
	s_waitcnt vmcnt(3)
	v_cvt_pk_f32_fp8_e32 v[18:19], v14
	v_cvt_pk_f32_fp8_sdwa v[22:23], v14 src0_sel:WORD_1
	s_mov_b32 s4, 0x7060302
	v_lshl_or_b32 v14, v42, 9, v21
	s_waitcnt lgkmcnt(0)
	s_barrier
	v_perm_b32 v18, v19, v18, s4
	v_perm_b32 v19, v23, v22, s4
	v_cvt_pk_f32_fp8_e32 v[28:29], v15
	ds_read_b128 v[22:25], v14
	v_cvt_pk_f32_fp8_sdwa v[36:37], v15 src0_sel:WORD_1
	s_load_dword s12, s[42:43], 0x0
	v_perm_b32 v38, v29, v28, s4
	ds_read_b128 v[28:31], v14 offset:16
	v_perm_b32 v39, v37, v36, s4
	s_waitcnt lgkmcnt(0)
	v_mfma_f32_16x16x16_bf16 v[32:35], v[18:19], v[22:23], 0
	v_cvt_pk_f32_fp8_e32 v[18:19], v16
	v_cvt_pk_f32_fp8_sdwa v[36:37], v16 src0_sel:WORD_1
	v_cmp_gt_u32_e32 vcc, 64, v0
	v_mfma_f32_16x16x16_bf16 v[22:25], v[38:39], v[24:25], v[32:35]
	v_perm_b32 v18, v19, v18, s4
	v_perm_b32 v19, v37, v36, s4
	s_waitcnt vmcnt(2)
	v_cvt_pk_f32_fp8_sdwa v[36:37], v10 src0_sel:WORD_1
	v_cvt_pk_f32_fp8_e32 v[32:33], v17
	v_cvt_pk_f32_fp8_sdwa v[16:17], v17 src0_sel:WORD_1
	v_cvt_pk_f32_fp8_e32 v[34:35], v10
	s_mov_b32 s3, 0
	v_perm_b32 v32, v33, v32, s4
	v_perm_b32 v33, v17, v16, s4
	v_mfma_f32_16x16x16_bf16 v[16:19], v[18:19], v[28:29], v[22:25]
	v_perm_b32 v34, v35, v34, s4
	v_perm_b32 v35, v37, v36, s4
	v_cvt_pk_f32_fp8_e32 v[28:29], v11
	ds_read_b128 v[22:25], v14 offset:2048
	v_cvt_pk_f32_fp8_sdwa v[10:11], v11 src0_sel:WORD_1
	v_mfma_f32_16x16x16_bf16 v[16:19], v[32:33], v[30:31], v[16:19]
	v_perm_b32 v32, v29, v28, s4
	ds_read_b128 v[28:31], v14 offset:2064
	v_perm_b32 v33, v11, v10, s4
	s_waitcnt lgkmcnt(1)
	v_mfma_f32_16x16x16_bf16 v[16:19], v[34:35], v[22:23], v[16:19]
	v_cvt_pk_f32_fp8_e32 v[10:11], v12
	v_cvt_pk_f32_fp8_sdwa v[22:23], v12 src0_sel:WORD_1
	v_mov_b32_e32 v27, 0
	v_mfma_f32_16x16x16_bf16 v[16:19], v[32:33], v[24:25], v[16:19]
	v_cvt_pk_f32_fp8_e32 v[24:25], v13
	v_perm_b32 v10, v11, v10, s4
	v_perm_b32 v11, v23, v22, s4
	v_cvt_pk_f32_fp8_sdwa v[12:13], v13 src0_sel:WORD_1
	v_perm_b32 v22, v25, v24, s4
	s_waitcnt vmcnt(1)
	v_cvt_pk_f32_fp8_e32 v[24:25], v6
	v_cvt_pk_f32_fp8_sdwa v[32:33], v6 src0_sel:WORD_1
	v_perm_b32 v23, v13, v12, s4
	s_waitcnt lgkmcnt(0)
	v_mfma_f32_16x16x16_bf16 v[10:13], v[10:11], v[28:29], v[16:19]
	v_perm_b32 v28, v25, v24, s4
	v_perm_b32 v29, v33, v32, s4
	v_cvt_pk_f32_fp8_e32 v[24:25], v7
	ds_read_b128 v[16:19], v14 offset:4096
	v_cvt_pk_f32_fp8_sdwa v[6:7], v7 src0_sel:WORD_1
	v_mfma_f32_16x16x16_bf16 v[10:13], v[22:23], v[30:31], v[10:13]
	v_perm_b32 v30, v25, v24, s4
	ds_read_b128 v[22:25], v14 offset:4112
	v_perm_b32 v31, v7, v6, s4
	s_waitcnt lgkmcnt(1)
	v_mfma_f32_16x16x16_bf16 v[10:13], v[28:29], v[16:17], v[10:13]
	v_cvt_pk_f32_fp8_e32 v[6:7], v8
	v_cvt_pk_f32_fp8_sdwa v[16:17], v8 src0_sel:WORD_1
	s_waitcnt vmcnt(0)
	v_cvt_pk_f32_fp8_sdwa v[28:29], v2 src0_sel:WORD_1
	v_mfma_f32_16x16x16_bf16 v[10:13], v[30:31], v[18:19], v[10:13]
	v_cvt_pk_f32_fp8_e32 v[18:19], v9
	v_perm_b32 v6, v7, v6, s4
	v_perm_b32 v7, v17, v16, s4
	v_cvt_pk_f32_fp8_sdwa v[8:9], v9 src0_sel:WORD_1
	v_perm_b32 v16, v19, v18, s4
	v_cvt_pk_f32_fp8_e32 v[18:19], v2
	v_perm_b32 v17, v9, v8, s4
	s_waitcnt lgkmcnt(0)
	v_mfma_f32_16x16x16_bf16 v[6:9], v[6:7], v[22:23], v[10:13]
	v_perm_b32 v18, v19, v18, s4
	v_perm_b32 v19, v29, v28, s4
	v_cvt_pk_f32_fp8_e32 v[22:23], v3
	ds_read_b128 v[10:13], v14 offset:6144
	v_cvt_pk_f32_fp8_sdwa v[2:3], v3 src0_sel:WORD_1
	v_mfma_f32_16x16x16_bf16 v[6:9], v[16:17], v[24:25], v[6:9]
	v_perm_b32 v22, v23, v22, s4
	ds_read_b128 v[14:17], v14 offset:6160
	v_perm_b32 v23, v3, v2, s4
	s_waitcnt lgkmcnt(1)
	v_mfma_f32_16x16x16_bf16 v[6:9], v[18:19], v[10:11], v[6:9]
	v_cvt_pk_f32_fp8_e32 v[2:3], v4
	v_cvt_pk_f32_fp8_sdwa v[10:11], v4 src0_sel:WORD_1
	s_waitcnt lgkmcnt(0)
	v_mfma_f32_16x16x16_bf16 v[6:9], v[22:23], v[12:13], v[6:9]
	v_perm_b32 v2, v3, v2, s4
	v_perm_b32 v3, v11, v10, s4
	v_cvt_pk_f32_fp8_e32 v[10:11], v5
	v_cvt_pk_f32_fp8_sdwa v[4:5], v5 src0_sel:WORD_1
	s_barrier
	v_perm_b32 v10, v11, v10, s4
	v_perm_b32 v11, v5, v4, s4
	v_mfma_f32_16x16x16_bf16 v[2:5], v[2:3], v[14:15], v[6:9]
	s_nop 0
	v_mfma_f32_16x16x16_bf16 v[2:5], v[10:11], v[16:17], v[2:5]
	s_nop 6
	v_pk_mul_f32 v[2:3], v[2:3], s[12:13] op_sel_hi:[1,0]
	v_pk_mul_f32 v[4:5], v[4:5], s[12:13] op_sel_hi:[1,0]
	v_bfe_u32 v6, v3, 16, 1
	v_bfe_u32 v7, v2, 16, 1
	v_add3_u32 v2, v2, v7, s10
	v_add3_u32 v3, v3, v6, s10
	v_perm_b32 v2, v3, v2, s4
	v_bfe_u32 v3, v5, 16, 1
	v_bfe_u32 v6, v4, 16, 1
	v_add3_u32 v4, v4, v6, s10
	v_add3_u32 v3, v5, v3, s10
	v_perm_b32 v3, v3, v4, s4
	s_and_b64 s[4:5], vcc, s[30:31]
	ds_write_b64 v20, v[2:3]
	s_waitcnt lgkmcnt(0)
	s_barrier
	s_and_saveexec_b64 s[10:11], s[4:5]
	s_cbranch_execz .LBB1116_18
; %bb.16:
	s_load_dwordx2 s[4:5], s[0:1], 0x68
	s_lshl_b32 s0, s8, 6
	s_mul_i32 s1, s9, s2
	s_mul_hi_u32 s9, s1, s0
	s_mul_i32 s8, s1, s0
	v_lshlrev_b32_e32 v0, 10, v0
	s_lshl_b64 s[8:9], s[8:9], 1
	v_and_b32_e32 v0, 0x1800, v0
	v_lshlrev_b32_e32 v2, 5, v42
	v_and_b32_e32 v1, 16, v1
	s_waitcnt lgkmcnt(0)
	s_add_u32 s1, s4, s8
	v_or3_b32 v2, v0, v2, v1
	s_addc_u32 s4, s5, s9
	s_lshl_b32 s2, s28, 6
	s_lshl_b64 s[2:3], s[2:3], 1
	ds_read_b128 v[4:7], v2 offset:128
	ds_read_b128 v[8:11], v2
	s_add_u32 s2, s1, s2
	s_addc_u32 s3, s4, s3
	v_add_u32_e32 v3, s48, v42
	v_lshl_add_u64 v[0:1], s[2:3], 0, v[26:27]
	v_mad_u64_u32 v[12:13], s[2:3], v3, s0, 0
	v_lshl_add_u64 v[12:13], v[12:13], 1, v[0:1]
	v_add_u32_e32 v3, 4, v3
	s_waitcnt lgkmcnt(0)
	global_store_dwordx4 v[12:13], v[8:11], off
	s_nop 1
	v_mad_u64_u32 v[8:9], s[2:3], v3, s0, 0
	v_lshl_add_u64 v[8:9], v[8:9], 1, v[0:1]
	global_store_dwordx4 v[8:9], v[4:7], off
	s_and_b64 exec, exec, s[6:7]
	s_cbranch_execz .LBB1116_18
; %bb.17:
	ds_read_b128 v[2:5], v2 offset:256
	v_add3_u32 v6, s48, v42, 8
	v_mad_u64_u32 v[6:7], s[0:1], v6, s0, 0
	v_lshl_add_u64 v[0:1], v[6:7], 1, v[0:1]
	s_waitcnt lgkmcnt(0)
	global_store_dwordx4 v[0:1], v[2:5], off
.LBB1116_18:
	s_endpgm
	.section	.rodata,"a",@progbits
	.p2align	6, 0x0
	.amdhsa_kernel _Z39paged_attention_ll4mi_QKV_mfma16_kernelI14__hip_bfloat16hLN4vllm18Fp8KVCacheDataTypeE1EhLi16ELi64ELi256ELb0ELi9EEvPKT_PKT0_S8_ifPKiSA_SA_iPKfiiiPfSD_PS3_PT2_iSC_SC_
		.amdhsa_group_segment_fixed_size 8192
		.amdhsa_private_segment_fixed_size 0
		.amdhsa_kernarg_size 400
		.amdhsa_user_sgpr_count 2
		.amdhsa_user_sgpr_dispatch_ptr 0
		.amdhsa_user_sgpr_queue_ptr 0
		.amdhsa_user_sgpr_kernarg_segment_ptr 1
		.amdhsa_user_sgpr_dispatch_id 0
		.amdhsa_user_sgpr_kernarg_preload_length 0
		.amdhsa_user_sgpr_kernarg_preload_offset 0
		.amdhsa_user_sgpr_private_segment_size 0
		.amdhsa_uses_dynamic_stack 0
		.amdhsa_enable_private_segment 0
		.amdhsa_system_sgpr_workgroup_id_x 1
		.amdhsa_system_sgpr_workgroup_id_y 1
		.amdhsa_system_sgpr_workgroup_id_z 1
		.amdhsa_system_sgpr_workgroup_info 0
		.amdhsa_system_vgpr_workitem_id 0
		.amdhsa_next_free_vgpr 58
		.amdhsa_next_free_sgpr 50
		.amdhsa_accum_offset 60
		.amdhsa_reserve_vcc 1
		.amdhsa_float_round_mode_32 0
		.amdhsa_float_round_mode_16_64 0
		.amdhsa_float_denorm_mode_32 3
		.amdhsa_float_denorm_mode_16_64 3
		.amdhsa_dx10_clamp 1
		.amdhsa_ieee_mode 1
		.amdhsa_fp16_overflow 0
		.amdhsa_tg_split 0
		.amdhsa_exception_fp_ieee_invalid_op 0
		.amdhsa_exception_fp_denorm_src 0
		.amdhsa_exception_fp_ieee_div_zero 0
		.amdhsa_exception_fp_ieee_overflow 0
		.amdhsa_exception_fp_ieee_underflow 0
		.amdhsa_exception_fp_ieee_inexact 0
		.amdhsa_exception_int_div_zero 0
	.end_amdhsa_kernel
	.section	.text._Z39paged_attention_ll4mi_QKV_mfma16_kernelI14__hip_bfloat16hLN4vllm18Fp8KVCacheDataTypeE1EhLi16ELi64ELi256ELb0ELi9EEvPKT_PKT0_S8_ifPKiSA_SA_iPKfiiiPfSD_PS3_PT2_iSC_SC_,"axG",@progbits,_Z39paged_attention_ll4mi_QKV_mfma16_kernelI14__hip_bfloat16hLN4vllm18Fp8KVCacheDataTypeE1EhLi16ELi64ELi256ELb0ELi9EEvPKT_PKT0_S8_ifPKiSA_SA_iPKfiiiPfSD_PS3_PT2_iSC_SC_,comdat
.Lfunc_end1116:
	.size	_Z39paged_attention_ll4mi_QKV_mfma16_kernelI14__hip_bfloat16hLN4vllm18Fp8KVCacheDataTypeE1EhLi16ELi64ELi256ELb0ELi9EEvPKT_PKT0_S8_ifPKiSA_SA_iPKfiiiPfSD_PS3_PT2_iSC_SC_, .Lfunc_end1116-_Z39paged_attention_ll4mi_QKV_mfma16_kernelI14__hip_bfloat16hLN4vllm18Fp8KVCacheDataTypeE1EhLi16ELi64ELi256ELb0ELi9EEvPKT_PKT0_S8_ifPKiSA_SA_iPKfiiiPfSD_PS3_PT2_iSC_SC_
                                        ; -- End function
	.section	.AMDGPU.csdata,"",@progbits
; Kernel info:
; codeLenInByte = 4856
; NumSgprs: 56
; NumVgprs: 58
; NumAgprs: 0
; TotalNumVgprs: 58
; ScratchSize: 0
; MemoryBound: 0
; FloatMode: 240
; IeeeMode: 1
; LDSByteSize: 8192 bytes/workgroup (compile time only)
; SGPRBlocks: 6
; VGPRBlocks: 7
; NumSGPRsForWavesPerEU: 56
; NumVGPRsForWavesPerEU: 58
; AccumOffset: 60
; Occupancy: 8
; WaveLimiterHint : 1
; COMPUTE_PGM_RSRC2:SCRATCH_EN: 0
; COMPUTE_PGM_RSRC2:USER_SGPR: 2
; COMPUTE_PGM_RSRC2:TRAP_HANDLER: 0
; COMPUTE_PGM_RSRC2:TGID_X_EN: 1
; COMPUTE_PGM_RSRC2:TGID_Y_EN: 1
; COMPUTE_PGM_RSRC2:TGID_Z_EN: 1
; COMPUTE_PGM_RSRC2:TIDIG_COMP_CNT: 0
; COMPUTE_PGM_RSRC3_GFX90A:ACCUM_OFFSET: 14
; COMPUTE_PGM_RSRC3_GFX90A:TG_SPLIT: 0
	.section	.text._Z39paged_attention_ll4mi_QKV_mfma16_kernelI14__hip_bfloat16hLN4vllm18Fp8KVCacheDataTypeE1EhLi16ELi64ELi256ELb0ELi10EEvPKT_PKT0_S8_ifPKiSA_SA_iPKfiiiPfSD_PS3_PT2_iSC_SC_,"axG",@progbits,_Z39paged_attention_ll4mi_QKV_mfma16_kernelI14__hip_bfloat16hLN4vllm18Fp8KVCacheDataTypeE1EhLi16ELi64ELi256ELb0ELi10EEvPKT_PKT0_S8_ifPKiSA_SA_iPKfiiiPfSD_PS3_PT2_iSC_SC_,comdat
	.protected	_Z39paged_attention_ll4mi_QKV_mfma16_kernelI14__hip_bfloat16hLN4vllm18Fp8KVCacheDataTypeE1EhLi16ELi64ELi256ELb0ELi10EEvPKT_PKT0_S8_ifPKiSA_SA_iPKfiiiPfSD_PS3_PT2_iSC_SC_ ; -- Begin function _Z39paged_attention_ll4mi_QKV_mfma16_kernelI14__hip_bfloat16hLN4vllm18Fp8KVCacheDataTypeE1EhLi16ELi64ELi256ELb0ELi10EEvPKT_PKT0_S8_ifPKiSA_SA_iPKfiiiPfSD_PS3_PT2_iSC_SC_
	.globl	_Z39paged_attention_ll4mi_QKV_mfma16_kernelI14__hip_bfloat16hLN4vllm18Fp8KVCacheDataTypeE1EhLi16ELi64ELi256ELb0ELi10EEvPKT_PKT0_S8_ifPKiSA_SA_iPKfiiiPfSD_PS3_PT2_iSC_SC_
	.p2align	8
	.type	_Z39paged_attention_ll4mi_QKV_mfma16_kernelI14__hip_bfloat16hLN4vllm18Fp8KVCacheDataTypeE1EhLi16ELi64ELi256ELb0ELi10EEvPKT_PKT0_S8_ifPKiSA_SA_iPKfiiiPfSD_PS3_PT2_iSC_SC_,@function
_Z39paged_attention_ll4mi_QKV_mfma16_kernelI14__hip_bfloat16hLN4vllm18Fp8KVCacheDataTypeE1EhLi16ELi64ELi256ELb0ELi10EEvPKT_PKT0_S8_ifPKiSA_SA_iPKfiiiPfSD_PS3_PT2_iSC_SC_: ; @_Z39paged_attention_ll4mi_QKV_mfma16_kernelI14__hip_bfloat16hLN4vllm18Fp8KVCacheDataTypeE1EhLi16ELi64ELi256ELb0ELi10EEvPKT_PKT0_S8_ifPKiSA_SA_iPKfiiiPfSD_PS3_PT2_iSC_SC_
; %bb.0:
	s_load_dwordx2 s[12:13], s[0:1], 0x30
	s_mov_b32 s28, s3
	s_mov_b64 s[6:7], 0
	s_waitcnt lgkmcnt(0)
	s_cmp_lg_u64 s[12:13], 0
	s_cselect_b64 s[14:15], -1, 0
	s_and_b64 vcc, exec, s[14:15]
	s_cbranch_vccz .LBB1117_7
; %bb.1:
	s_add_i32 s8, s2, 1
	s_mov_b32 s9, 0
	s_lshl_b64 s[10:11], s[8:9], 2
	s_add_u32 s10, s12, s10
	s_mov_b32 s3, s9
	s_addc_u32 s11, s13, s11
	s_lshl_b64 s[8:9], s[2:3], 2
	s_add_u32 s8, s12, s8
	s_addc_u32 s9, s13, s9
	s_load_dword s5, s[10:11], 0x0
	s_load_dword s16, s[8:9], 0x0
	s_waitcnt lgkmcnt(0)
	s_sub_i32 s5, s5, s16
	s_cmp_eq_u32 s5, 1
	s_cselect_b64 s[8:9], -1, 0
	s_andn2_b64 vcc, exec, s[6:7]
	s_cbranch_vccnz .LBB1117_3
.LBB1117_2:
	s_mov_b32 s3, 0
	s_mov_b64 s[8:9], -1
.LBB1117_3:
	s_andn2_b64 vcc, exec, s[8:9]
	s_cbranch_vccnz .LBB1117_18
; %bb.4:
	s_load_dwordx2 s[6:7], s[0:1], 0x28
	s_lshl_b64 s[16:17], s[2:3], 2
	s_waitcnt lgkmcnt(0)
	s_add_u32 s6, s6, s16
	s_addc_u32 s7, s7, s17
	s_load_dword s33, s[6:7], 0x0
	s_lshl_b32 s5, s28, 8
	s_waitcnt lgkmcnt(0)
	s_cmp_ge_i32 s5, s33
	s_cbranch_scc1 .LBB1117_18
; %bb.5:
	s_load_dwordx2 s[6:7], s[0:1], 0x20
	s_load_dword s8, s[0:1], 0x38
	s_add_i32 s9, s33, 15
	s_ashr_i32 s10, s9, 31
	v_and_b32_e32 v1, 0xcf, v0
	s_lshr_b32 s10, s10, 28
	v_add_u32_e32 v1, s5, v1
	s_add_i32 s9, s9, s10
	v_ashrrev_i32_e32 v2, 31, v1
	s_ashr_i32 s18, s9, 4
	v_lshrrev_b32_e32 v4, 28, v2
	s_add_i32 s18, s18, -1
	s_waitcnt lgkmcnt(0)
	s_mul_i32 s8, s2, s8
	s_mov_b32 s9, 0
	v_add_u32_e32 v2, v1, v4
	s_lshl_b64 s[8:9], s[8:9], 2
	v_ashrrev_i32_e32 v2, 4, v2
	v_mov_b32_e32 v5, s18
	v_cmp_gt_i32_e32 vcc, s33, v1
	s_add_u32 s6, s6, s8
	s_addc_u32 s7, s7, s9
	v_cndmask_b32_e32 v2, v5, v2, vcc
	v_ashrrev_i32_e32 v3, 31, v2
	v_lshl_add_u64 v[6:7], v[2:3], 2, s[6:7]
	v_or_b32_e32 v2, 16, v1
	v_add_u32_e32 v3, v2, v4
	v_ashrrev_i32_e32 v3, 4, v3
	v_cmp_gt_i32_e32 vcc, s33, v2
	s_load_dwordx4 s[8:11], s[0:1], 0x8
	s_nop 0
	v_cndmask_b32_e32 v2, v5, v3, vcc
	v_ashrrev_i32_e32 v3, 31, v2
	v_lshl_add_u64 v[8:9], v[2:3], 2, s[6:7]
	v_or_b32_e32 v2, 32, v1
	v_add_u32_e32 v3, v2, v4
	v_ashrrev_i32_e32 v3, 4, v3
	v_cmp_gt_i32_e32 vcc, s33, v2
	v_or_b32_e32 v1, 48, v1
	s_nop 0
	v_cndmask_b32_e32 v2, v5, v3, vcc
	v_ashrrev_i32_e32 v3, 31, v2
	v_lshl_add_u64 v[10:11], v[2:3], 2, s[6:7]
	v_add_u32_e32 v2, v1, v4
	v_ashrrev_i32_e32 v2, 4, v2
	v_cmp_gt_i32_e32 vcc, s33, v1
	s_nop 1
	v_cndmask_b32_e32 v2, v5, v2, vcc
	v_ashrrev_i32_e32 v3, 31, v2
	v_lshl_add_u64 v[14:15], v[2:3], 2, s[6:7]
	global_load_dword v4, v[6:7], off
	global_load_dword v3, v[8:9], off
	;; [unrolled: 1-line block ×4, first 2 shown]
	s_andn2_b64 vcc, exec, s[14:15]
	s_cbranch_vccnz .LBB1117_8
; %bb.6:
	s_add_u32 s12, s12, s16
	s_addc_u32 s13, s13, s17
	s_load_dword s14, s[12:13], 0x0
	s_branch .LBB1117_9
.LBB1117_7:
	s_mov_b64 s[8:9], 0
	s_branch .LBB1117_2
.LBB1117_8:
	s_mov_b32 s14, s2
.LBB1117_9:
	s_load_dwordx4 s[44:47], s[0:1], 0x48
	v_lshrrev_b32_e32 v29, 6, v0
	v_bfe_u32 v42, v0, 4, 2
	v_lshl_or_b32 v5, v29, 2, v42
	v_and_b32_e32 v28, 15, v0
	v_lshlrev_b32_e32 v1, 3, v28
	v_cmp_gt_u32_e32 vcc, 10, v5
	v_cmp_gt_u32_e64 s[30:31], 8, v28
	v_and_b32_e32 v43, 63, v0
	s_mul_i32 s48, s4, 10
	s_and_b64 s[16:17], s[30:31], vcc
	v_lshlrev_b32_e32 v26, 1, v1
	v_lshlrev_b32_e32 v1, 4, v0
	s_and_saveexec_b64 s[12:13], s[16:17]
	s_cbranch_execz .LBB1117_11
; %bb.10:
	s_load_dwordx2 s[16:17], s[0:1], 0x0
	s_waitcnt lgkmcnt(0)
	s_ashr_i32 s15, s44, 31
	s_mul_hi_u32 s19, s14, s44
	s_mul_i32 s15, s14, s15
	s_add_i32 s15, s19, s15
	s_mul_i32 s14, s14, s44
	s_lshl_b64 s[14:15], s[14:15], 1
	s_add_u32 s14, s16, s14
	v_add_lshl_u32 v6, v5, s48, 6
	s_addc_u32 s15, s17, s15
	v_ashrrev_i32_e32 v7, 31, v6
	v_lshl_add_u64 v[6:7], v[6:7], 1, s[14:15]
	v_mov_b32_e32 v27, 0
	v_lshl_add_u64 v[6:7], v[6:7], 0, v[26:27]
	global_load_dwordx4 v[6:9], v[6:7], off
	v_lshlrev_b32_e32 v11, 8, v28
	v_lshlrev_b32_e32 v5, 5, v5
	v_and_b32_e32 v10, 16, v1
	v_and_b32_e32 v11, 0xe00, v11
	v_or3_b32 v5, v11, v5, v10
	s_waitcnt vmcnt(0)
	ds_write_b128 v5, v[6:9]
.LBB1117_11:
	s_or_b64 exec, exec, s[12:13]
	s_waitcnt lgkmcnt(0)
	s_mul_i32 s4, s4, s46
	s_add_u32 s8, s8, s4
	s_addc_u32 s9, s9, 0
	v_and_b32_e32 v8, 48, v0
	v_and_b32_e32 v30, 0xf0, v1
	v_mov_b32_e32 v31, 0
	v_lshl_add_u64 v[6:7], s[8:9], 0, v[30:31]
	v_lshlrev_b32_e32 v30, 4, v8
	v_or_b32_e32 v8, s5, v8
	v_lshl_add_u64 v[10:11], v[6:7], 0, v[30:31]
	v_ashrrev_i32_e32 v6, 4, v8
	v_mov_b32_e32 v27, s18
	v_cmp_gt_i32_e32 vcc, s33, v8
	s_load_dword s29, s[0:1], 0x98
	s_load_dwordx4 s[40:43], s[0:1], 0x80
	v_cndmask_b32_e32 v6, v27, v6, vcc
	v_ashrrev_i32_e32 v7, 31, v6
	v_lshl_add_u64 v[6:7], v[6:7], 2, s[6:7]
	s_waitcnt lgkmcnt(0)
	s_barrier
	s_waitcnt vmcnt(3)
	v_mad_i64_i32 v[4:5], s[8:9], v4, s45, v[10:11]
	global_load_dword v38, v[6:7], off
	global_load_dwordx4 v[22:25], v[4:5], off
	s_waitcnt vmcnt(4)
	v_mad_i64_i32 v[4:5], s[8:9], v3, s45, v[10:11]
	global_load_dwordx4 v[18:21], v[4:5], off
	s_waitcnt vmcnt(4)
	v_mad_i64_i32 v[2:3], s[8:9], v2, s45, v[10:11]
	global_load_dwordx4 v[14:17], v[2:3], off
	v_add_u32_e32 v4, -10, v28
	v_cmp_gt_u32_e32 vcc, 10, v28
	v_or_b32_e32 v13, 64, v8
	s_waitcnt vmcnt(4)
	v_mad_i64_i32 v[10:11], s[12:13], v12, s45, v[10:11]
	v_cndmask_b32_e32 v2, v4, v28, vcc
	v_lshlrev_b32_e32 v2, 5, v2
	v_lshl_add_u32 v2, v42, 9, v2
	v_or_b32_e32 v33, 0x80, v8
	v_or_b32_e32 v35, 0xc0, v8
	v_ashrrev_i32_e32 v32, 4, v13
	ds_read_b128 v[6:9], v2
	ds_read_b128 v[2:5], v2 offset:16
	v_cmp_gt_i32_e32 vcc, s33, v13
	global_load_dwordx4 v[10:13], v[10:11], off
	v_ashrrev_i32_e32 v34, 4, v33
	v_cndmask_b32_e32 v32, v27, v32, vcc
	v_cmp_gt_i32_e32 vcc, s33, v33
	v_ashrrev_i32_e32 v36, 4, v35
	v_ashrrev_i32_e32 v33, 31, v32
	v_cndmask_b32_e32 v34, v27, v34, vcc
	v_cmp_gt_i32_e32 vcc, s33, v35
	v_ashrrev_i32_e32 v35, 31, v34
	v_lshl_add_u64 v[32:33], v[32:33], 2, s[6:7]
	v_cndmask_b32_e32 v36, v27, v36, vcc
	v_ashrrev_i32_e32 v37, 31, v36
	v_lshl_add_u64 v[34:35], v[34:35], 2, s[6:7]
	v_lshl_add_u64 v[36:37], v[36:37], 2, s[6:7]
	s_add_u32 s8, s10, s4
	s_load_dword s4, s[40:41], 0x0
	global_load_dword v45, v[32:33], off
	global_load_dword v27, v[34:35], off
	;; [unrolled: 1-line block ×3, first 2 shown]
	v_lshlrev_b32_e32 v30, 4, v28
	s_addc_u32 s9, s11, 0
	v_lshl_or_b32 v30, v29, 8, v30
	s_mov_b32 s44, 0x7060302
	v_lshl_add_u64 v[30:31], s[8:9], 0, v[30:31]
	s_load_dword s14, s[0:1], 0x1c
	s_mov_b32 s46, 0xff7fffff
	s_waitcnt vmcnt(7)
	v_mad_i64_i32 v[32:33], s[6:7], v38, s45, v[30:31]
	s_waitcnt vmcnt(6)
	v_cvt_pk_f32_fp8_e32 v[34:35], v22
	v_cvt_pk_f32_fp8_sdwa v[36:37], v22 src0_sel:WORD_1
	v_cvt_pk_f32_fp8_e32 v[38:39], v23
	v_cvt_pk_f32_fp8_sdwa v[40:41], v23 src0_sel:WORD_1
	v_perm_b32 v34, v35, v34, s44
	v_perm_b32 v35, v37, v36, s44
	s_waitcnt vmcnt(5)
	v_cvt_pk_f32_fp8_e32 v[22:23], v18
	v_cvt_pk_f32_fp8_sdwa v[52:53], v18 src0_sel:WORD_1
	v_perm_b32 v38, v39, v38, s44
	v_perm_b32 v39, v41, v40, s44
	v_cvt_pk_f32_fp8_e32 v[46:47], v24
	v_cvt_pk_f32_fp8_sdwa v[48:49], v24 src0_sel:WORD_1
	v_cvt_pk_f32_fp8_e32 v[50:51], v25
	v_cvt_pk_f32_fp8_sdwa v[54:55], v25 src0_sel:WORD_1
	v_perm_b32 v36, v23, v22, s44
	s_waitcnt lgkmcnt(0)
	v_mfma_f32_16x16x16_bf16 v[22:25], v[34:35], v[6:7], 0
	v_cvt_pk_f32_fp8_e32 v[56:57], v19
	v_perm_b32 v37, v53, v52, s44
	v_cvt_pk_f32_fp8_sdwa v[18:19], v19 src0_sel:WORD_1
	v_mfma_f32_16x16x16_bf16 v[22:25], v[38:39], v[8:9], v[22:25]
	v_perm_b32 v38, v47, v46, s44
	v_perm_b32 v39, v49, v48, s44
	v_cvt_pk_f32_fp8_e32 v[40:41], v20
	v_perm_b32 v52, v57, v56, s44
	v_perm_b32 v53, v19, v18, s44
	v_cvt_pk_f32_fp8_sdwa v[18:19], v20 src0_sel:WORD_1
	v_mfma_f32_16x16x16_bf16 v[34:37], v[36:37], v[6:7], 0
	v_cvt_pk_f32_fp8_e32 v[46:47], v21
	v_perm_b32 v48, v51, v50, s44
	v_perm_b32 v49, v55, v54, s44
	v_mfma_f32_16x16x16_bf16 v[22:25], v[38:39], v[2:3], v[22:25]
	v_cvt_pk_f32_fp8_sdwa v[38:39], v21 src0_sel:WORD_1
	v_perm_b32 v40, v41, v40, s44
	v_perm_b32 v41, v19, v18, s44
	v_mfma_f32_16x16x16_bf16 v[34:37], v[52:53], v[8:9], v[34:37]
	v_perm_b32 v46, v47, v46, s44
	v_perm_b32 v47, v39, v38, s44
	s_waitcnt vmcnt(4)
	v_cvt_pk_f32_fp8_e32 v[38:39], v14
	v_mfma_f32_16x16x16_bf16 v[18:21], v[48:49], v[4:5], v[22:25]
	v_cvt_pk_f32_fp8_sdwa v[50:51], v17 src0_sel:WORD_1
	v_mov_b32_e32 v48, s14
	v_mul_f32_e32 v48, s4, v48
	v_mfma_f32_16x16x16_bf16 v[22:25], v[40:41], v[2:3], v[34:37]
	v_cvt_pk_f32_fp8_sdwa v[40:41], v14 src0_sel:WORD_1
	v_mfma_f32_16x16x16_bf16 v[34:37], v[46:47], v[4:5], v[22:25]
	v_cvt_pk_f32_fp8_sdwa v[46:47], v16 src0_sel:WORD_1
	s_nop 3
	v_cvt_pk_f32_fp8_e32 v[22:23], v15
	v_perm_b32 v24, v39, v38, s44
	v_perm_b32 v25, v41, v40, s44
	v_cvt_pk_f32_fp8_sdwa v[14:15], v15 src0_sel:WORD_1
	v_perm_b32 v38, v23, v22, s44
	v_cvt_pk_f32_fp8_e32 v[40:41], v16
	v_mfma_f32_16x16x16_bf16 v[22:25], v[24:25], v[6:7], 0
	v_perm_b32 v39, v15, v14, s44
	v_perm_b32 v40, v41, v40, s44
	;; [unrolled: 1-line block ×3, first 2 shown]
	v_cvt_pk_f32_fp8_e32 v[46:47], v17
	v_mfma_f32_16x16x16_bf16 v[14:17], v[38:39], v[8:9], v[22:25]
	s_waitcnt vmcnt(3)
	v_cvt_pk_f32_fp8_sdwa v[38:39], v10 src0_sel:WORD_1
	v_pk_mul_f32 v[36:37], v[48:49], v[36:37] op_sel_hi:[0,1]
	v_perm_b32 v24, v47, v46, s44
	v_perm_b32 v25, v51, v50, s44
	v_pk_mul_f32 v[22:23], v[48:49], v[20:21] op_sel_hi:[0,1]
	v_mfma_f32_16x16x16_bf16 v[14:17], v[40:41], v[2:3], v[14:17]
	v_pk_mul_f32 v[20:21], v[48:49], v[18:19] op_sel_hi:[0,1]
	v_cvt_pk_f32_fp8_e32 v[18:19], v10
	v_cvt_pk_f32_fp8_e32 v[46:47], v12
	v_mfma_f32_16x16x16_bf16 v[14:17], v[24:25], v[4:5], v[14:17]
	v_cvt_pk_f32_fp8_e32 v[24:25], v11
	v_perm_b32 v18, v19, v18, s44
	v_perm_b32 v19, v39, v38, s44
	v_cvt_pk_f32_fp8_sdwa v[10:11], v11 src0_sel:WORD_1
	v_perm_b32 v24, v25, v24, s44
	v_cvt_pk_f32_fp8_sdwa v[50:51], v12 src0_sel:WORD_1
	v_mfma_f32_16x16x16_bf16 v[38:41], v[18:19], v[6:7], 0
	v_perm_b32 v25, v11, v10, s44
	v_perm_b32 v10, v47, v46, s44
	;; [unrolled: 1-line block ×3, first 2 shown]
	v_cvt_pk_f32_fp8_e32 v[18:19], v13
	v_cvt_pk_f32_fp8_sdwa v[12:13], v13 src0_sel:WORD_1
	v_mfma_f32_16x16x16_bf16 v[6:9], v[24:25], v[8:9], v[38:41]
	v_perm_b32 v18, v19, v18, s44
	v_perm_b32 v19, v13, v12, s44
	v_mfma_f32_16x16x16_bf16 v[6:9], v[10:11], v[2:3], v[6:9]
	v_pk_mul_f32 v[40:41], v[48:49], v[34:35] op_sel_hi:[0,1]
	v_pk_mul_f32 v[38:39], v[48:49], v[14:15] op_sel_hi:[0,1]
	;; [unrolled: 1-line block ×3, first 2 shown]
	v_mfma_f32_16x16x16_bf16 v[2:5], v[18:19], v[4:5], v[6:9]
	s_nop 6
	v_pk_mul_f32 v[24:25], v[48:49], v[2:3] op_sel_hi:[0,1]
	v_and_b32_e32 v2, 0xc0, v0
	v_add_u32_e32 v2, s5, v2
	v_lshl_or_b32 v2, v42, 2, v2
	v_pk_mul_f32 v[18:19], v[48:49], v[4:5] op_sel_hi:[0,1]
	v_or_b32_e32 v5, 1, v2
	v_mov_b32_e32 v3, 0xff7fffff
	v_cmp_gt_i32_e64 s[4:5], s33, v2
	v_cmp_gt_i32_e64 s[34:35], s33, v5
	v_or_b32_e32 v6, 3, v2
	v_cndmask_b32_e64 v4, v3, v20, s[4:5]
	v_cndmask_b32_e64 v5, v3, v21, s[34:35]
	v_max3_f32 v4, v4, s46, v5
	v_or_b32_e32 v5, 2, v2
	v_cmp_gt_i32_e64 s[36:37], s33, v5
	v_cmp_gt_i32_e64 s[38:39], s33, v6
	s_nop 0
	v_cndmask_b32_e64 v5, v3, v22, s[36:37]
	v_cndmask_b32_e64 v6, v3, v23, s[38:39]
	v_max3_f32 v4, v4, v5, v6
	v_or_b32_e32 v5, 16, v2
	v_or_b32_e32 v6, 17, v2
	v_cmp_gt_i32_e64 s[24:25], s33, v5
	v_cmp_gt_i32_e64 s[26:27], s33, v6
	s_nop 0
	v_cndmask_b32_e64 v5, v3, v40, s[24:25]
	v_cndmask_b32_e64 v6, v3, v41, s[26:27]
	v_max3_f32 v4, v4, v5, v6
	v_or_b32_e32 v5, 18, v2
	;; [unrolled: 8-line block ×6, first 2 shown]
	v_or_b32_e32 v2, 51, v2
	v_cmp_gt_i32_e32 vcc, s33, v5
	v_cmp_gt_i32_e64 s[6:7], s33, v2
	s_nop 0
	v_cndmask_b32_e32 v5, v3, v18, vcc
	v_cndmask_b32_e64 v2, v3, v19, s[6:7]
	v_max3_f32 v4, v4, v5, v2
	v_mbcnt_lo_u32_b32 v2, -1, 0
	v_mbcnt_hi_u32_b32 v5, -1, v2
	v_and_b32_e32 v2, 64, v5
	v_add_u32_e32 v6, 64, v2
	v_xor_b32_e32 v2, 32, v5
	v_cmp_lt_i32_e64 s[40:41], v2, v6
	s_nop 1
	v_cndmask_b32_e64 v2, v5, v2, s[40:41]
	v_lshlrev_b32_e32 v46, 2, v2
	ds_bpermute_b32 v7, v46, v4
	s_waitcnt vmcnt(2)
	v_mad_i64_i32 v[2:3], s[40:41], v45, s45, v[30:31]
	global_load_dwordx4 v[14:17], v[32:33], off
	global_load_dwordx4 v[10:13], v[2:3], off
	v_xor_b32_e32 v3, 16, v5
	v_cmp_lt_i32_e64 s[40:41], v3, v6
	s_waitcnt lgkmcnt(0)
	v_max_f32_e32 v2, v7, v7
	v_max_f32_e32 v2, v4, v2
	v_cndmask_b32_e64 v3, v5, v3, s[40:41]
	v_lshlrev_b32_e32 v45, 2, v3
	ds_bpermute_b32 v3, v45, v2
	s_waitcnt vmcnt(3)
	v_mad_i64_i32 v[32:33], s[40:41], v27, s45, v[30:31]
	s_waitcnt vmcnt(2)
	v_mad_i64_i32 v[30:31], s[40:41], v44, s45, v[30:31]
	s_waitcnt lgkmcnt(0)
	v_max_f32_e32 v3, v3, v3
	v_max_f32_e32 v27, v2, v3
	v_sub_f32_e32 v2, v20, v27
	v_mul_f32_e32 v2, 0x3fb8aa3b, v2
	v_exp_f32_e32 v20, v2
	v_sub_f32_e32 v2, v21, v27
	v_mul_f32_e32 v2, 0x3fb8aa3b, v2
	v_exp_f32_e32 v21, v2
	global_load_dwordx4 v[6:9], v[32:33], off
	global_load_dwordx4 v[2:5], v[30:31], off
	v_sub_f32_e32 v22, v22, v27
	v_mul_f32_e32 v22, 0x3fb8aa3b, v22
	v_sub_f32_e32 v23, v23, v27
	v_exp_f32_e32 v22, v22
	v_mul_f32_e32 v23, 0x3fb8aa3b, v23
	v_exp_f32_e32 v23, v23
	v_cndmask_b32_e64 v20, 0, v20, s[4:5]
	v_add_f32_e32 v30, 0, v20
	v_cndmask_b32_e64 v21, 0, v21, s[34:35]
	v_add_f32_e32 v30, v30, v21
	;; [unrolled: 2-line block ×3, first 2 shown]
	v_cndmask_b32_e64 v33, 0, v23, s[38:39]
	v_sub_f32_e32 v23, v40, v27
	v_sub_f32_e32 v30, v41, v27
	v_mul_f32_e32 v23, 0x3fb8aa3b, v23
	v_mul_f32_e32 v30, 0x3fb8aa3b, v30
	v_exp_f32_e32 v23, v23
	v_exp_f32_e32 v30, v30
	v_add_f32_e32 v31, v22, v33
	v_sub_f32_e32 v34, v34, v27
	v_cndmask_b32_e64 v22, 0, v23, s[24:25]
	v_cndmask_b32_e64 v23, 0, v30, s[26:27]
	v_sub_f32_e32 v30, v36, v27
	v_mul_f32_e32 v30, 0x3fb8aa3b, v30
	v_exp_f32_e32 v30, v30
	v_sub_f32_e32 v36, v37, v27
	v_add_f32_e32 v31, v31, v22
	v_mul_f32_e32 v36, 0x3fb8aa3b, v36
	v_exp_f32_e32 v37, v36
	v_add_f32_e32 v31, v31, v23
	v_cndmask_b32_e64 v36, 0, v30, s[20:21]
	v_add_f32_e32 v30, v31, v36
	v_sub_f32_e32 v31, v38, v27
	v_mul_f32_e32 v31, 0x3fb8aa3b, v31
	v_sub_f32_e32 v38, v39, v27
	v_exp_f32_e32 v31, v31
	v_mul_f32_e32 v38, 0x3fb8aa3b, v38
	v_exp_f32_e32 v38, v38
	v_mul_f32_e32 v34, 0x3fb8aa3b, v34
	v_sub_f32_e32 v35, v35, v27
	v_exp_f32_e32 v34, v34
	v_mul_f32_e32 v35, 0x3fb8aa3b, v35
	v_sub_f32_e32 v24, v24, v27
	v_cndmask_b32_e64 v37, 0, v37, s[22:23]
	v_exp_f32_e32 v35, v35
	v_mul_f32_e32 v24, 0x3fb8aa3b, v24
	v_sub_f32_e32 v25, v25, v27
	v_add_f32_e32 v39, v30, v37
	v_cndmask_b32_e64 v30, 0, v31, s[16:17]
	v_exp_f32_e32 v24, v24
	v_mul_f32_e32 v25, 0x3fb8aa3b, v25
	v_sub_f32_e32 v18, v18, v27
	v_add_f32_e32 v39, v39, v30
	v_cndmask_b32_e64 v31, 0, v38, s[18:19]
	v_exp_f32_e32 v25, v25
	v_mul_f32_e32 v18, 0x3fb8aa3b, v18
	v_sub_f32_e32 v19, v19, v27
	v_add_f32_e32 v38, v39, v31
	v_cndmask_b32_e64 v34, 0, v34, s[12:13]
	v_exp_f32_e32 v18, v18
	v_mul_f32_e32 v19, 0x3fb8aa3b, v19
	v_add_f32_e32 v38, v38, v34
	v_cndmask_b32_e64 v35, 0, v35, s[14:15]
	v_exp_f32_e32 v19, v19
	v_add_f32_e32 v38, v38, v35
	v_cndmask_b32_e64 v24, 0, v24, s[8:9]
	v_add_f32_e32 v38, v38, v24
	v_cndmask_b32_e64 v25, 0, v25, s[10:11]
	v_add_f32_e32 v38, v38, v25
	v_cndmask_b32_e32 v18, 0, v18, vcc
	v_add_f32_e32 v38, v38, v18
	v_cndmask_b32_e64 v19, 0, v19, s[6:7]
	v_add_f32_e32 v38, v38, v19
	ds_bpermute_b32 v39, v46, v38
	v_cmp_gt_u32_e32 vcc, 16, v43
	s_waitcnt lgkmcnt(0)
	s_barrier
	v_add_f32_e32 v39, v38, v39
	ds_bpermute_b32 v40, v45, v39
	v_lshlrev_b32_e32 v38, 2, v28
	s_and_saveexec_b64 s[4:5], vcc
	s_cbranch_execz .LBB1117_13
; %bb.12:
	s_waitcnt lgkmcnt(0)
	v_add_f32_e32 v39, v39, v40
	v_lshl_or_b32 v40, v29, 6, v38
	ds_write2st64_b32 v40, v27, v39 offset1:1
.LBB1117_13:
	s_or_b64 exec, exec, s[4:5]
	s_load_dword s6, s[0:1], 0x94
	s_waitcnt lgkmcnt(0)
	s_barrier
	ds_read2_b32 v[40:41], v38 offset1:16
	ds_read2_b32 v[44:45], v38 offset0:32 offset1:48
	ds_read2_b32 v[46:47], v38 offset0:64 offset1:80
	s_movk_i32 s8, 0x7fff
	s_mul_i32 s7, s29, 10
	s_waitcnt lgkmcnt(2)
	v_max3_f32 v27, v40, s46, v41
	s_waitcnt lgkmcnt(1)
	v_max3_f32 v27, v27, v44, v45
	v_sub_f32_e32 v39, v40, v27
	v_sub_f32_e32 v40, v41, v27
	v_mul_f32_e32 v40, 0x3fb8aa3b, v40
	v_mul_f32_e32 v39, 0x3fb8aa3b, v39
	v_exp_f32_e32 v43, v40
	v_sub_f32_e32 v40, v44, v27
	v_exp_f32_e32 v39, v39
	v_mul_f32_e32 v40, 0x3fb8aa3b, v40
	v_exp_f32_e32 v44, v40
	ds_read2_b32 v[40:41], v38 offset0:96 offset1:112
	v_sub_f32_e32 v38, v45, v27
	v_mul_f32_e32 v38, 0x3fb8aa3b, v38
	v_exp_f32_e32 v45, v38
	s_waitcnt lgkmcnt(1)
	v_fma_f32 v38, v39, v46, 0
	v_fmac_f32_e32 v38, v43, v47
	s_waitcnt lgkmcnt(0)
	v_fmac_f32_e32 v38, v44, v40
	v_fmac_f32_e32 v38, v45, v41
	v_add_f32_e32 v40, 0x358637bd, v38
	v_div_scale_f32 v41, s[4:5], v40, v40, 1.0
	v_rcp_f32_e32 v46, v41
	s_barrier
	v_fma_f32 v47, -v41, v46, 1.0
	v_fmac_f32_e32 v46, v47, v46
	v_div_scale_f32 v47, vcc, 1.0, v40, 1.0
	v_mul_f32_e32 v48, v47, v46
	v_fma_f32 v49, -v41, v48, v47
	v_fmac_f32_e32 v48, v49, v46
	v_fma_f32 v41, -v41, v48, v47
	v_div_fmas_f32 v41, v41, v46, v48
	v_cmp_eq_u32_e32 vcc, 1, v29
	v_div_fixup_f32 v40, v41, v40, 1.0
	s_nop 0
	v_cndmask_b32_e32 v39, v39, v43, vcc
	v_cmp_eq_u32_e32 vcc, 2, v29
	s_nop 1
	v_cndmask_b32_e32 v39, v39, v44, vcc
	v_cmp_eq_u32_e32 vcc, 3, v29
	v_lshlrev_b32_e32 v29, 11, v29
	s_nop 0
	v_cndmask_b32_e32 v39, v39, v45, vcc
	v_mul_f32_e32 v40, v39, v40
	v_pk_mul_f32 v[20:21], v[40:41], v[20:21] op_sel_hi:[0,1]
	v_pk_mul_f32 v[32:33], v[40:41], v[32:33] op_sel_hi:[0,1]
	v_bfe_u32 v39, v21, 16, 1
	v_bfe_u32 v41, v20, 16, 1
	v_add3_u32 v20, v20, v41, s8
	v_add3_u32 v21, v21, v39, s8
	v_perm_b32 v44, v21, v20, s44
	v_bfe_u32 v20, v33, 16, 1
	v_bfe_u32 v21, v32, 16, 1
	v_add3_u32 v21, v32, v21, s8
	v_add3_u32 v20, v33, v20, s8
	v_perm_b32 v45, v20, v21, s44
	v_lshlrev_b32_e32 v20, 3, v42
	v_lshlrev_b32_e32 v21, 5, v28
	v_pk_mul_f32 v[22:23], v[40:41], v[22:23] op_sel_hi:[0,1]
	v_or3_b32 v20, v29, v21, v20
	v_pk_mul_f32 v[32:33], v[40:41], v[36:37] op_sel_hi:[0,1]
	v_bfe_u32 v29, v23, 16, 1
	v_bfe_u32 v36, v22, 16, 1
	v_add3_u32 v22, v22, v36, s8
	v_add3_u32 v23, v23, v29, s8
	v_perm_b32 v22, v23, v22, s44
	v_bfe_u32 v23, v33, 16, 1
	v_bfe_u32 v29, v32, 16, 1
	v_add3_u32 v29, v32, v29, s8
	v_add3_u32 v23, v33, v23, s8
	v_pk_mul_f32 v[30:31], v[40:41], v[30:31] op_sel_hi:[0,1]
	v_perm_b32 v23, v23, v29, s44
	v_bfe_u32 v29, v31, 16, 1
	v_bfe_u32 v32, v30, 16, 1
	ds_write2st64_b64 v20, v[44:45], v[22:23] offset1:1
	v_pk_mul_f32 v[22:23], v[40:41], v[34:35] op_sel_hi:[0,1]
	v_add3_u32 v30, v30, v32, s8
	v_add3_u32 v29, v31, v29, s8
	v_perm_b32 v30, v29, v30, s44
	v_bfe_u32 v29, v23, 16, 1
	v_bfe_u32 v31, v22, 16, 1
	v_add3_u32 v22, v22, v31, s8
	v_add3_u32 v23, v23, v29, s8
	v_perm_b32 v31, v23, v22, s44
	v_pk_mul_f32 v[22:23], v[40:41], v[24:25] op_sel_hi:[0,1]
	v_bfe_u32 v24, v23, 16, 1
	v_bfe_u32 v25, v22, 16, 1
	v_pk_mul_f32 v[18:19], v[40:41], v[18:19] op_sel_hi:[0,1]
	v_add3_u32 v22, v22, v25, s8
	v_add3_u32 v23, v23, v24, s8
	v_perm_b32 v22, v23, v22, s44
	v_bfe_u32 v23, v19, 16, 1
	v_bfe_u32 v24, v18, 16, 1
	v_add3_u32 v18, v18, v24, s8
	v_add3_u32 v19, v19, v23, s8
	v_perm_b32 v23, v19, v18, s44
	v_cmp_gt_u32_e32 vcc, 10, v0
	ds_write2st64_b64 v20, v[30:31], v[22:23] offset0:2 offset1:3
	s_and_saveexec_b64 s[4:5], vcc
	s_cbranch_execz .LBB1117_15
; %bb.14:
	s_mov_b32 s49, 0
	v_mov_b32_e32 v29, 0
	v_lshl_add_u64 v[18:19], s[48:49], 0, v[28:29]
	v_mov_b32_e32 v22, s7
	v_mad_u64_u32 v[18:19], s[10:11], s2, v22, v[18:19]
	s_mul_i32 s3, s3, s7
	v_mov_b32_e32 v28, s28
	s_load_dwordx4 s[12:15], s[0:1], 0x58
	v_add_u32_e32 v23, s3, v19
	v_mad_u64_u32 v[18:19], s[10:11], v18, s6, v[28:29]
	v_mov_b32_e32 v22, v19
	v_mad_u64_u32 v[22:23], s[10:11], v23, s6, v[22:23]
	v_mov_b32_e32 v19, v22
	v_lshlrev_b64 v[18:19], 2, v[18:19]
	s_waitcnt lgkmcnt(0)
	v_lshl_add_u64 v[22:23], s[14:15], 0, v[18:19]
	v_lshl_add_u64 v[18:19], s[12:13], 0, v[18:19]
	global_store_dword v[22:23], v27, off
	global_store_dword v[18:19], v38, off
.LBB1117_15:
	s_or_b64 exec, exec, s[4:5]
	s_waitcnt vmcnt(3)
	v_cvt_pk_f32_fp8_e32 v[18:19], v14
	v_cvt_pk_f32_fp8_sdwa v[22:23], v14 src0_sel:WORD_1
	s_mov_b32 s4, 0x7060302
	v_lshl_or_b32 v14, v42, 9, v21
	s_waitcnt lgkmcnt(0)
	s_barrier
	v_perm_b32 v18, v19, v18, s4
	v_perm_b32 v19, v23, v22, s4
	v_cvt_pk_f32_fp8_e32 v[28:29], v15
	ds_read_b128 v[22:25], v14
	v_cvt_pk_f32_fp8_sdwa v[36:37], v15 src0_sel:WORD_1
	s_load_dword s10, s[42:43], 0x0
	v_perm_b32 v38, v29, v28, s4
	ds_read_b128 v[28:31], v14 offset:16
	v_perm_b32 v39, v37, v36, s4
	s_waitcnt lgkmcnt(0)
	v_mfma_f32_16x16x16_bf16 v[32:35], v[18:19], v[22:23], 0
	v_cvt_pk_f32_fp8_e32 v[18:19], v16
	v_cvt_pk_f32_fp8_sdwa v[36:37], v16 src0_sel:WORD_1
	v_cmp_gt_u32_e32 vcc, 64, v0
	v_mfma_f32_16x16x16_bf16 v[22:25], v[38:39], v[24:25], v[32:35]
	v_perm_b32 v18, v19, v18, s4
	v_perm_b32 v19, v37, v36, s4
	s_waitcnt vmcnt(2)
	v_cvt_pk_f32_fp8_sdwa v[36:37], v10 src0_sel:WORD_1
	v_cvt_pk_f32_fp8_e32 v[32:33], v17
	v_cvt_pk_f32_fp8_sdwa v[16:17], v17 src0_sel:WORD_1
	v_cvt_pk_f32_fp8_e32 v[34:35], v10
	s_mov_b32 s3, 0
	v_perm_b32 v32, v33, v32, s4
	v_perm_b32 v33, v17, v16, s4
	v_mfma_f32_16x16x16_bf16 v[16:19], v[18:19], v[28:29], v[22:25]
	v_perm_b32 v34, v35, v34, s4
	v_perm_b32 v35, v37, v36, s4
	v_cvt_pk_f32_fp8_e32 v[28:29], v11
	ds_read_b128 v[22:25], v14 offset:2048
	v_cvt_pk_f32_fp8_sdwa v[10:11], v11 src0_sel:WORD_1
	v_mfma_f32_16x16x16_bf16 v[16:19], v[32:33], v[30:31], v[16:19]
	v_perm_b32 v32, v29, v28, s4
	ds_read_b128 v[28:31], v14 offset:2064
	v_perm_b32 v33, v11, v10, s4
	s_waitcnt lgkmcnt(1)
	v_mfma_f32_16x16x16_bf16 v[16:19], v[34:35], v[22:23], v[16:19]
	v_cvt_pk_f32_fp8_e32 v[10:11], v12
	v_cvt_pk_f32_fp8_sdwa v[22:23], v12 src0_sel:WORD_1
	v_mov_b32_e32 v27, 0
	v_mfma_f32_16x16x16_bf16 v[16:19], v[32:33], v[24:25], v[16:19]
	v_cvt_pk_f32_fp8_e32 v[24:25], v13
	v_perm_b32 v10, v11, v10, s4
	v_perm_b32 v11, v23, v22, s4
	v_cvt_pk_f32_fp8_sdwa v[12:13], v13 src0_sel:WORD_1
	v_perm_b32 v22, v25, v24, s4
	s_waitcnt vmcnt(1)
	v_cvt_pk_f32_fp8_e32 v[24:25], v6
	v_cvt_pk_f32_fp8_sdwa v[32:33], v6 src0_sel:WORD_1
	v_perm_b32 v23, v13, v12, s4
	s_waitcnt lgkmcnt(0)
	v_mfma_f32_16x16x16_bf16 v[10:13], v[10:11], v[28:29], v[16:19]
	v_perm_b32 v28, v25, v24, s4
	v_perm_b32 v29, v33, v32, s4
	v_cvt_pk_f32_fp8_e32 v[24:25], v7
	ds_read_b128 v[16:19], v14 offset:4096
	v_cvt_pk_f32_fp8_sdwa v[6:7], v7 src0_sel:WORD_1
	v_mfma_f32_16x16x16_bf16 v[10:13], v[22:23], v[30:31], v[10:13]
	v_perm_b32 v30, v25, v24, s4
	ds_read_b128 v[22:25], v14 offset:4112
	v_perm_b32 v31, v7, v6, s4
	s_waitcnt lgkmcnt(1)
	v_mfma_f32_16x16x16_bf16 v[10:13], v[28:29], v[16:17], v[10:13]
	v_cvt_pk_f32_fp8_e32 v[6:7], v8
	v_cvt_pk_f32_fp8_sdwa v[16:17], v8 src0_sel:WORD_1
	s_waitcnt vmcnt(0)
	v_cvt_pk_f32_fp8_sdwa v[28:29], v2 src0_sel:WORD_1
	v_mfma_f32_16x16x16_bf16 v[10:13], v[30:31], v[18:19], v[10:13]
	v_cvt_pk_f32_fp8_e32 v[18:19], v9
	v_perm_b32 v6, v7, v6, s4
	v_perm_b32 v7, v17, v16, s4
	v_cvt_pk_f32_fp8_sdwa v[8:9], v9 src0_sel:WORD_1
	v_perm_b32 v16, v19, v18, s4
	v_cvt_pk_f32_fp8_e32 v[18:19], v2
	v_perm_b32 v17, v9, v8, s4
	s_waitcnt lgkmcnt(0)
	v_mfma_f32_16x16x16_bf16 v[6:9], v[6:7], v[22:23], v[10:13]
	v_perm_b32 v18, v19, v18, s4
	v_perm_b32 v19, v29, v28, s4
	v_cvt_pk_f32_fp8_e32 v[22:23], v3
	ds_read_b128 v[10:13], v14 offset:6144
	v_cvt_pk_f32_fp8_sdwa v[2:3], v3 src0_sel:WORD_1
	v_mfma_f32_16x16x16_bf16 v[6:9], v[16:17], v[24:25], v[6:9]
	v_perm_b32 v22, v23, v22, s4
	ds_read_b128 v[14:17], v14 offset:6160
	v_perm_b32 v23, v3, v2, s4
	s_waitcnt lgkmcnt(1)
	v_mfma_f32_16x16x16_bf16 v[6:9], v[18:19], v[10:11], v[6:9]
	v_cvt_pk_f32_fp8_e32 v[2:3], v4
	v_cvt_pk_f32_fp8_sdwa v[10:11], v4 src0_sel:WORD_1
	s_waitcnt lgkmcnt(0)
	v_mfma_f32_16x16x16_bf16 v[6:9], v[22:23], v[12:13], v[6:9]
	v_perm_b32 v2, v3, v2, s4
	v_perm_b32 v3, v11, v10, s4
	v_cvt_pk_f32_fp8_e32 v[10:11], v5
	v_cvt_pk_f32_fp8_sdwa v[4:5], v5 src0_sel:WORD_1
	s_barrier
	v_perm_b32 v10, v11, v10, s4
	v_perm_b32 v11, v5, v4, s4
	v_mfma_f32_16x16x16_bf16 v[2:5], v[2:3], v[14:15], v[6:9]
	s_nop 0
	v_mfma_f32_16x16x16_bf16 v[2:5], v[10:11], v[16:17], v[2:5]
	s_nop 6
	v_pk_mul_f32 v[2:3], v[2:3], s[10:11] op_sel_hi:[1,0]
	v_pk_mul_f32 v[4:5], v[4:5], s[10:11] op_sel_hi:[1,0]
	v_bfe_u32 v6, v3, 16, 1
	v_bfe_u32 v7, v2, 16, 1
	v_add3_u32 v2, v2, v7, s8
	v_add3_u32 v3, v3, v6, s8
	v_perm_b32 v2, v3, v2, s4
	v_bfe_u32 v3, v5, 16, 1
	v_bfe_u32 v6, v4, 16, 1
	v_add3_u32 v4, v4, v6, s8
	v_add3_u32 v3, v5, v3, s8
	v_perm_b32 v3, v3, v4, s4
	s_and_b64 s[4:5], vcc, s[30:31]
	ds_write_b64 v20, v[2:3]
	s_waitcnt lgkmcnt(0)
	s_barrier
	s_and_saveexec_b64 s[8:9], s[4:5]
	s_cbranch_execz .LBB1117_18
; %bb.16:
	s_load_dwordx2 s[4:5], s[0:1], 0x68
	s_lshl_b32 s0, s6, 6
	s_mul_i32 s1, s7, s2
	s_mul_hi_u32 s7, s1, s0
	s_mul_i32 s6, s1, s0
	v_lshlrev_b32_e32 v0, 10, v0
	s_lshl_b64 s[6:7], s[6:7], 1
	v_and_b32_e32 v0, 0x1800, v0
	v_lshlrev_b32_e32 v2, 5, v42
	v_and_b32_e32 v1, 16, v1
	s_waitcnt lgkmcnt(0)
	s_add_u32 s1, s4, s6
	v_or3_b32 v2, v0, v2, v1
	s_addc_u32 s4, s5, s7
	s_lshl_b32 s2, s28, 6
	s_lshl_b64 s[2:3], s[2:3], 1
	ds_read_b128 v[4:7], v2 offset:128
	ds_read_b128 v[8:11], v2
	s_add_u32 s2, s1, s2
	s_addc_u32 s3, s4, s3
	v_add_u32_e32 v14, s48, v42
	v_lshl_add_u64 v[0:1], s[2:3], 0, v[26:27]
	v_mad_u64_u32 v[12:13], s[2:3], v14, s0, 0
	v_lshl_add_u64 v[12:13], v[12:13], 1, v[0:1]
	s_waitcnt lgkmcnt(0)
	global_store_dwordx4 v[12:13], v[8:11], off
	v_or_b32_e32 v3, 8, v42
	v_cmp_gt_u32_e32 vcc, 10, v3
	v_add_u32_e32 v8, 4, v14
	v_mad_u64_u32 v[8:9], s[2:3], v8, s0, 0
	v_lshl_add_u64 v[8:9], v[8:9], 1, v[0:1]
	global_store_dwordx4 v[8:9], v[4:7], off
	s_and_b64 exec, exec, vcc
	s_cbranch_execz .LBB1117_18
; %bb.17:
	ds_read_b128 v[4:7], v2 offset:256
	v_add_u32_e32 v2, s48, v3
	v_mad_u64_u32 v[2:3], s[0:1], v2, s0, 0
	v_lshl_add_u64 v[0:1], v[2:3], 1, v[0:1]
	s_waitcnt lgkmcnt(0)
	global_store_dwordx4 v[0:1], v[4:7], off
.LBB1117_18:
	s_endpgm
	.section	.rodata,"a",@progbits
	.p2align	6, 0x0
	.amdhsa_kernel _Z39paged_attention_ll4mi_QKV_mfma16_kernelI14__hip_bfloat16hLN4vllm18Fp8KVCacheDataTypeE1EhLi16ELi64ELi256ELb0ELi10EEvPKT_PKT0_S8_ifPKiSA_SA_iPKfiiiPfSD_PS3_PT2_iSC_SC_
		.amdhsa_group_segment_fixed_size 8192
		.amdhsa_private_segment_fixed_size 0
		.amdhsa_kernarg_size 400
		.amdhsa_user_sgpr_count 2
		.amdhsa_user_sgpr_dispatch_ptr 0
		.amdhsa_user_sgpr_queue_ptr 0
		.amdhsa_user_sgpr_kernarg_segment_ptr 1
		.amdhsa_user_sgpr_dispatch_id 0
		.amdhsa_user_sgpr_kernarg_preload_length 0
		.amdhsa_user_sgpr_kernarg_preload_offset 0
		.amdhsa_user_sgpr_private_segment_size 0
		.amdhsa_uses_dynamic_stack 0
		.amdhsa_enable_private_segment 0
		.amdhsa_system_sgpr_workgroup_id_x 1
		.amdhsa_system_sgpr_workgroup_id_y 1
		.amdhsa_system_sgpr_workgroup_id_z 1
		.amdhsa_system_sgpr_workgroup_info 0
		.amdhsa_system_vgpr_workitem_id 0
		.amdhsa_next_free_vgpr 58
		.amdhsa_next_free_sgpr 50
		.amdhsa_accum_offset 60
		.amdhsa_reserve_vcc 1
		.amdhsa_float_round_mode_32 0
		.amdhsa_float_round_mode_16_64 0
		.amdhsa_float_denorm_mode_32 3
		.amdhsa_float_denorm_mode_16_64 3
		.amdhsa_dx10_clamp 1
		.amdhsa_ieee_mode 1
		.amdhsa_fp16_overflow 0
		.amdhsa_tg_split 0
		.amdhsa_exception_fp_ieee_invalid_op 0
		.amdhsa_exception_fp_denorm_src 0
		.amdhsa_exception_fp_ieee_div_zero 0
		.amdhsa_exception_fp_ieee_overflow 0
		.amdhsa_exception_fp_ieee_underflow 0
		.amdhsa_exception_fp_ieee_inexact 0
		.amdhsa_exception_int_div_zero 0
	.end_amdhsa_kernel
	.section	.text._Z39paged_attention_ll4mi_QKV_mfma16_kernelI14__hip_bfloat16hLN4vllm18Fp8KVCacheDataTypeE1EhLi16ELi64ELi256ELb0ELi10EEvPKT_PKT0_S8_ifPKiSA_SA_iPKfiiiPfSD_PS3_PT2_iSC_SC_,"axG",@progbits,_Z39paged_attention_ll4mi_QKV_mfma16_kernelI14__hip_bfloat16hLN4vllm18Fp8KVCacheDataTypeE1EhLi16ELi64ELi256ELb0ELi10EEvPKT_PKT0_S8_ifPKiSA_SA_iPKfiiiPfSD_PS3_PT2_iSC_SC_,comdat
.Lfunc_end1117:
	.size	_Z39paged_attention_ll4mi_QKV_mfma16_kernelI14__hip_bfloat16hLN4vllm18Fp8KVCacheDataTypeE1EhLi16ELi64ELi256ELb0ELi10EEvPKT_PKT0_S8_ifPKiSA_SA_iPKfiiiPfSD_PS3_PT2_iSC_SC_, .Lfunc_end1117-_Z39paged_attention_ll4mi_QKV_mfma16_kernelI14__hip_bfloat16hLN4vllm18Fp8KVCacheDataTypeE1EhLi16ELi64ELi256ELb0ELi10EEvPKT_PKT0_S8_ifPKiSA_SA_iPKfiiiPfSD_PS3_PT2_iSC_SC_
                                        ; -- End function
	.section	.AMDGPU.csdata,"",@progbits
; Kernel info:
; codeLenInByte = 4852
; NumSgprs: 56
; NumVgprs: 58
; NumAgprs: 0
; TotalNumVgprs: 58
; ScratchSize: 0
; MemoryBound: 0
; FloatMode: 240
; IeeeMode: 1
; LDSByteSize: 8192 bytes/workgroup (compile time only)
; SGPRBlocks: 6
; VGPRBlocks: 7
; NumSGPRsForWavesPerEU: 56
; NumVGPRsForWavesPerEU: 58
; AccumOffset: 60
; Occupancy: 8
; WaveLimiterHint : 1
; COMPUTE_PGM_RSRC2:SCRATCH_EN: 0
; COMPUTE_PGM_RSRC2:USER_SGPR: 2
; COMPUTE_PGM_RSRC2:TRAP_HANDLER: 0
; COMPUTE_PGM_RSRC2:TGID_X_EN: 1
; COMPUTE_PGM_RSRC2:TGID_Y_EN: 1
; COMPUTE_PGM_RSRC2:TGID_Z_EN: 1
; COMPUTE_PGM_RSRC2:TIDIG_COMP_CNT: 0
; COMPUTE_PGM_RSRC3_GFX90A:ACCUM_OFFSET: 14
; COMPUTE_PGM_RSRC3_GFX90A:TG_SPLIT: 0
	.section	.text._Z39paged_attention_ll4mi_QKV_mfma16_kernelI14__hip_bfloat16hLN4vllm18Fp8KVCacheDataTypeE1EhLi16ELi64ELi256ELb0ELi11EEvPKT_PKT0_S8_ifPKiSA_SA_iPKfiiiPfSD_PS3_PT2_iSC_SC_,"axG",@progbits,_Z39paged_attention_ll4mi_QKV_mfma16_kernelI14__hip_bfloat16hLN4vllm18Fp8KVCacheDataTypeE1EhLi16ELi64ELi256ELb0ELi11EEvPKT_PKT0_S8_ifPKiSA_SA_iPKfiiiPfSD_PS3_PT2_iSC_SC_,comdat
	.protected	_Z39paged_attention_ll4mi_QKV_mfma16_kernelI14__hip_bfloat16hLN4vllm18Fp8KVCacheDataTypeE1EhLi16ELi64ELi256ELb0ELi11EEvPKT_PKT0_S8_ifPKiSA_SA_iPKfiiiPfSD_PS3_PT2_iSC_SC_ ; -- Begin function _Z39paged_attention_ll4mi_QKV_mfma16_kernelI14__hip_bfloat16hLN4vllm18Fp8KVCacheDataTypeE1EhLi16ELi64ELi256ELb0ELi11EEvPKT_PKT0_S8_ifPKiSA_SA_iPKfiiiPfSD_PS3_PT2_iSC_SC_
	.globl	_Z39paged_attention_ll4mi_QKV_mfma16_kernelI14__hip_bfloat16hLN4vllm18Fp8KVCacheDataTypeE1EhLi16ELi64ELi256ELb0ELi11EEvPKT_PKT0_S8_ifPKiSA_SA_iPKfiiiPfSD_PS3_PT2_iSC_SC_
	.p2align	8
	.type	_Z39paged_attention_ll4mi_QKV_mfma16_kernelI14__hip_bfloat16hLN4vllm18Fp8KVCacheDataTypeE1EhLi16ELi64ELi256ELb0ELi11EEvPKT_PKT0_S8_ifPKiSA_SA_iPKfiiiPfSD_PS3_PT2_iSC_SC_,@function
_Z39paged_attention_ll4mi_QKV_mfma16_kernelI14__hip_bfloat16hLN4vllm18Fp8KVCacheDataTypeE1EhLi16ELi64ELi256ELb0ELi11EEvPKT_PKT0_S8_ifPKiSA_SA_iPKfiiiPfSD_PS3_PT2_iSC_SC_: ; @_Z39paged_attention_ll4mi_QKV_mfma16_kernelI14__hip_bfloat16hLN4vllm18Fp8KVCacheDataTypeE1EhLi16ELi64ELi256ELb0ELi11EEvPKT_PKT0_S8_ifPKiSA_SA_iPKfiiiPfSD_PS3_PT2_iSC_SC_
; %bb.0:
	s_load_dwordx2 s[12:13], s[0:1], 0x30
	s_mov_b32 s28, s3
	s_mov_b64 s[6:7], 0
	s_waitcnt lgkmcnt(0)
	s_cmp_lg_u64 s[12:13], 0
	s_cselect_b64 s[14:15], -1, 0
	s_and_b64 vcc, exec, s[14:15]
	s_cbranch_vccz .LBB1118_7
; %bb.1:
	s_add_i32 s8, s2, 1
	s_mov_b32 s9, 0
	s_lshl_b64 s[10:11], s[8:9], 2
	s_add_u32 s10, s12, s10
	s_mov_b32 s3, s9
	s_addc_u32 s11, s13, s11
	s_lshl_b64 s[8:9], s[2:3], 2
	s_add_u32 s8, s12, s8
	s_addc_u32 s9, s13, s9
	s_load_dword s5, s[10:11], 0x0
	s_load_dword s16, s[8:9], 0x0
	s_waitcnt lgkmcnt(0)
	s_sub_i32 s5, s5, s16
	s_cmp_eq_u32 s5, 1
	s_cselect_b64 s[8:9], -1, 0
	s_andn2_b64 vcc, exec, s[6:7]
	s_cbranch_vccnz .LBB1118_3
.LBB1118_2:
	s_mov_b32 s3, 0
	s_mov_b64 s[8:9], -1
.LBB1118_3:
	s_andn2_b64 vcc, exec, s[8:9]
	s_cbranch_vccnz .LBB1118_18
; %bb.4:
	s_load_dwordx2 s[6:7], s[0:1], 0x28
	s_lshl_b64 s[16:17], s[2:3], 2
	s_waitcnt lgkmcnt(0)
	s_add_u32 s6, s6, s16
	s_addc_u32 s7, s7, s17
	s_load_dword s33, s[6:7], 0x0
	s_lshl_b32 s5, s28, 8
	s_waitcnt lgkmcnt(0)
	s_cmp_ge_i32 s5, s33
	s_cbranch_scc1 .LBB1118_18
; %bb.5:
	s_load_dwordx2 s[6:7], s[0:1], 0x20
	s_load_dword s8, s[0:1], 0x38
	s_add_i32 s9, s33, 15
	s_ashr_i32 s10, s9, 31
	v_and_b32_e32 v1, 0xcf, v0
	s_lshr_b32 s10, s10, 28
	v_add_u32_e32 v1, s5, v1
	s_add_i32 s9, s9, s10
	v_ashrrev_i32_e32 v2, 31, v1
	s_ashr_i32 s18, s9, 4
	v_lshrrev_b32_e32 v4, 28, v2
	s_add_i32 s18, s18, -1
	s_waitcnt lgkmcnt(0)
	s_mul_i32 s8, s2, s8
	s_mov_b32 s9, 0
	v_add_u32_e32 v2, v1, v4
	s_lshl_b64 s[8:9], s[8:9], 2
	v_ashrrev_i32_e32 v2, 4, v2
	v_mov_b32_e32 v5, s18
	v_cmp_gt_i32_e32 vcc, s33, v1
	s_add_u32 s6, s6, s8
	s_addc_u32 s7, s7, s9
	v_cndmask_b32_e32 v2, v5, v2, vcc
	v_ashrrev_i32_e32 v3, 31, v2
	v_lshl_add_u64 v[6:7], v[2:3], 2, s[6:7]
	v_or_b32_e32 v2, 16, v1
	v_add_u32_e32 v3, v2, v4
	v_ashrrev_i32_e32 v3, 4, v3
	v_cmp_gt_i32_e32 vcc, s33, v2
	s_load_dwordx4 s[8:11], s[0:1], 0x8
	s_nop 0
	v_cndmask_b32_e32 v2, v5, v3, vcc
	v_ashrrev_i32_e32 v3, 31, v2
	v_lshl_add_u64 v[8:9], v[2:3], 2, s[6:7]
	v_or_b32_e32 v2, 32, v1
	v_add_u32_e32 v3, v2, v4
	v_ashrrev_i32_e32 v3, 4, v3
	v_cmp_gt_i32_e32 vcc, s33, v2
	v_or_b32_e32 v1, 48, v1
	s_nop 0
	v_cndmask_b32_e32 v2, v5, v3, vcc
	v_ashrrev_i32_e32 v3, 31, v2
	v_lshl_add_u64 v[10:11], v[2:3], 2, s[6:7]
	v_add_u32_e32 v2, v1, v4
	v_ashrrev_i32_e32 v2, 4, v2
	v_cmp_gt_i32_e32 vcc, s33, v1
	s_nop 1
	v_cndmask_b32_e32 v2, v5, v2, vcc
	v_ashrrev_i32_e32 v3, 31, v2
	v_lshl_add_u64 v[14:15], v[2:3], 2, s[6:7]
	global_load_dword v4, v[6:7], off
	global_load_dword v3, v[8:9], off
	;; [unrolled: 1-line block ×4, first 2 shown]
	s_andn2_b64 vcc, exec, s[14:15]
	s_cbranch_vccnz .LBB1118_8
; %bb.6:
	s_add_u32 s12, s12, s16
	s_addc_u32 s13, s13, s17
	s_load_dword s14, s[12:13], 0x0
	s_branch .LBB1118_9
.LBB1118_7:
	s_mov_b64 s[8:9], 0
	s_branch .LBB1118_2
.LBB1118_8:
	s_mov_b32 s14, s2
.LBB1118_9:
	s_load_dwordx4 s[44:47], s[0:1], 0x48
	v_lshrrev_b32_e32 v29, 6, v0
	v_bfe_u32 v42, v0, 4, 2
	v_lshl_or_b32 v5, v29, 2, v42
	v_and_b32_e32 v28, 15, v0
	v_lshlrev_b32_e32 v1, 3, v28
	v_cmp_gt_u32_e32 vcc, 11, v5
	v_cmp_gt_u32_e64 s[30:31], 8, v28
	v_and_b32_e32 v43, 63, v0
	s_mul_i32 s48, s4, 11
	s_and_b64 s[16:17], s[30:31], vcc
	v_lshlrev_b32_e32 v26, 1, v1
	v_lshlrev_b32_e32 v1, 4, v0
	s_and_saveexec_b64 s[12:13], s[16:17]
	s_cbranch_execz .LBB1118_11
; %bb.10:
	s_load_dwordx2 s[16:17], s[0:1], 0x0
	s_waitcnt lgkmcnt(0)
	s_ashr_i32 s15, s44, 31
	s_mul_hi_u32 s19, s14, s44
	s_mul_i32 s15, s14, s15
	s_add_i32 s15, s19, s15
	s_mul_i32 s14, s14, s44
	s_lshl_b64 s[14:15], s[14:15], 1
	s_add_u32 s14, s16, s14
	v_add_lshl_u32 v6, v5, s48, 6
	s_addc_u32 s15, s17, s15
	v_ashrrev_i32_e32 v7, 31, v6
	v_lshl_add_u64 v[6:7], v[6:7], 1, s[14:15]
	v_mov_b32_e32 v27, 0
	v_lshl_add_u64 v[6:7], v[6:7], 0, v[26:27]
	global_load_dwordx4 v[6:9], v[6:7], off
	v_lshlrev_b32_e32 v11, 8, v28
	v_lshlrev_b32_e32 v5, 5, v5
	v_and_b32_e32 v10, 16, v1
	v_and_b32_e32 v11, 0xe00, v11
	v_or3_b32 v5, v11, v5, v10
	s_waitcnt vmcnt(0)
	ds_write_b128 v5, v[6:9]
.LBB1118_11:
	s_or_b64 exec, exec, s[12:13]
	s_waitcnt lgkmcnt(0)
	s_mul_i32 s4, s4, s46
	s_add_u32 s8, s8, s4
	s_addc_u32 s9, s9, 0
	v_and_b32_e32 v8, 48, v0
	v_and_b32_e32 v30, 0xf0, v1
	v_mov_b32_e32 v31, 0
	v_lshl_add_u64 v[6:7], s[8:9], 0, v[30:31]
	v_lshlrev_b32_e32 v30, 4, v8
	v_or_b32_e32 v8, s5, v8
	v_lshl_add_u64 v[10:11], v[6:7], 0, v[30:31]
	v_ashrrev_i32_e32 v6, 4, v8
	v_mov_b32_e32 v27, s18
	v_cmp_gt_i32_e32 vcc, s33, v8
	s_load_dword s29, s[0:1], 0x98
	s_load_dwordx4 s[40:43], s[0:1], 0x80
	v_cndmask_b32_e32 v6, v27, v6, vcc
	v_ashrrev_i32_e32 v7, 31, v6
	v_lshl_add_u64 v[6:7], v[6:7], 2, s[6:7]
	s_waitcnt lgkmcnt(0)
	s_barrier
	s_waitcnt vmcnt(3)
	v_mad_i64_i32 v[4:5], s[8:9], v4, s45, v[10:11]
	global_load_dword v38, v[6:7], off
	global_load_dwordx4 v[22:25], v[4:5], off
	s_waitcnt vmcnt(4)
	v_mad_i64_i32 v[4:5], s[8:9], v3, s45, v[10:11]
	global_load_dwordx4 v[18:21], v[4:5], off
	s_waitcnt vmcnt(4)
	v_mad_i64_i32 v[2:3], s[8:9], v2, s45, v[10:11]
	global_load_dwordx4 v[14:17], v[2:3], off
	v_add_u32_e32 v4, -11, v28
	v_cmp_gt_u32_e32 vcc, 11, v28
	v_or_b32_e32 v13, 64, v8
	s_waitcnt vmcnt(4)
	v_mad_i64_i32 v[10:11], s[12:13], v12, s45, v[10:11]
	v_cndmask_b32_e32 v2, v4, v28, vcc
	v_lshlrev_b32_e32 v2, 5, v2
	v_lshl_add_u32 v2, v42, 9, v2
	v_or_b32_e32 v33, 0x80, v8
	v_or_b32_e32 v35, 0xc0, v8
	v_ashrrev_i32_e32 v32, 4, v13
	ds_read_b128 v[6:9], v2
	ds_read_b128 v[2:5], v2 offset:16
	v_cmp_gt_i32_e32 vcc, s33, v13
	global_load_dwordx4 v[10:13], v[10:11], off
	v_ashrrev_i32_e32 v34, 4, v33
	v_cndmask_b32_e32 v32, v27, v32, vcc
	v_cmp_gt_i32_e32 vcc, s33, v33
	v_ashrrev_i32_e32 v36, 4, v35
	v_ashrrev_i32_e32 v33, 31, v32
	v_cndmask_b32_e32 v34, v27, v34, vcc
	v_cmp_gt_i32_e32 vcc, s33, v35
	v_ashrrev_i32_e32 v35, 31, v34
	v_lshl_add_u64 v[32:33], v[32:33], 2, s[6:7]
	v_cndmask_b32_e32 v36, v27, v36, vcc
	v_ashrrev_i32_e32 v37, 31, v36
	v_lshl_add_u64 v[34:35], v[34:35], 2, s[6:7]
	v_lshl_add_u64 v[36:37], v[36:37], 2, s[6:7]
	s_add_u32 s8, s10, s4
	s_load_dword s4, s[40:41], 0x0
	global_load_dword v45, v[32:33], off
	global_load_dword v27, v[34:35], off
	;; [unrolled: 1-line block ×3, first 2 shown]
	v_lshlrev_b32_e32 v30, 4, v28
	s_addc_u32 s9, s11, 0
	v_lshl_or_b32 v30, v29, 8, v30
	s_mov_b32 s44, 0x7060302
	v_lshl_add_u64 v[30:31], s[8:9], 0, v[30:31]
	s_load_dword s14, s[0:1], 0x1c
	s_mov_b32 s46, 0xff7fffff
	s_waitcnt vmcnt(7)
	v_mad_i64_i32 v[32:33], s[6:7], v38, s45, v[30:31]
	s_waitcnt vmcnt(6)
	v_cvt_pk_f32_fp8_e32 v[34:35], v22
	v_cvt_pk_f32_fp8_sdwa v[36:37], v22 src0_sel:WORD_1
	v_cvt_pk_f32_fp8_e32 v[38:39], v23
	v_cvt_pk_f32_fp8_sdwa v[40:41], v23 src0_sel:WORD_1
	v_perm_b32 v34, v35, v34, s44
	v_perm_b32 v35, v37, v36, s44
	s_waitcnt vmcnt(5)
	v_cvt_pk_f32_fp8_e32 v[22:23], v18
	v_cvt_pk_f32_fp8_sdwa v[52:53], v18 src0_sel:WORD_1
	v_perm_b32 v38, v39, v38, s44
	v_perm_b32 v39, v41, v40, s44
	v_cvt_pk_f32_fp8_e32 v[46:47], v24
	v_cvt_pk_f32_fp8_sdwa v[48:49], v24 src0_sel:WORD_1
	v_cvt_pk_f32_fp8_e32 v[50:51], v25
	v_cvt_pk_f32_fp8_sdwa v[54:55], v25 src0_sel:WORD_1
	v_perm_b32 v36, v23, v22, s44
	s_waitcnt lgkmcnt(0)
	v_mfma_f32_16x16x16_bf16 v[22:25], v[34:35], v[6:7], 0
	v_cvt_pk_f32_fp8_e32 v[56:57], v19
	v_perm_b32 v37, v53, v52, s44
	v_cvt_pk_f32_fp8_sdwa v[18:19], v19 src0_sel:WORD_1
	v_mfma_f32_16x16x16_bf16 v[22:25], v[38:39], v[8:9], v[22:25]
	v_perm_b32 v38, v47, v46, s44
	v_perm_b32 v39, v49, v48, s44
	v_cvt_pk_f32_fp8_e32 v[40:41], v20
	v_perm_b32 v52, v57, v56, s44
	v_perm_b32 v53, v19, v18, s44
	v_cvt_pk_f32_fp8_sdwa v[18:19], v20 src0_sel:WORD_1
	v_mfma_f32_16x16x16_bf16 v[34:37], v[36:37], v[6:7], 0
	v_cvt_pk_f32_fp8_e32 v[46:47], v21
	v_perm_b32 v48, v51, v50, s44
	v_perm_b32 v49, v55, v54, s44
	v_mfma_f32_16x16x16_bf16 v[22:25], v[38:39], v[2:3], v[22:25]
	v_cvt_pk_f32_fp8_sdwa v[38:39], v21 src0_sel:WORD_1
	v_perm_b32 v40, v41, v40, s44
	v_perm_b32 v41, v19, v18, s44
	v_mfma_f32_16x16x16_bf16 v[34:37], v[52:53], v[8:9], v[34:37]
	v_perm_b32 v46, v47, v46, s44
	v_perm_b32 v47, v39, v38, s44
	s_waitcnt vmcnt(4)
	v_cvt_pk_f32_fp8_e32 v[38:39], v14
	v_mfma_f32_16x16x16_bf16 v[18:21], v[48:49], v[4:5], v[22:25]
	v_cvt_pk_f32_fp8_sdwa v[50:51], v17 src0_sel:WORD_1
	v_mov_b32_e32 v48, s14
	v_mul_f32_e32 v48, s4, v48
	v_mfma_f32_16x16x16_bf16 v[22:25], v[40:41], v[2:3], v[34:37]
	v_cvt_pk_f32_fp8_sdwa v[40:41], v14 src0_sel:WORD_1
	v_mfma_f32_16x16x16_bf16 v[34:37], v[46:47], v[4:5], v[22:25]
	v_cvt_pk_f32_fp8_sdwa v[46:47], v16 src0_sel:WORD_1
	s_nop 3
	v_cvt_pk_f32_fp8_e32 v[22:23], v15
	v_perm_b32 v24, v39, v38, s44
	v_perm_b32 v25, v41, v40, s44
	v_cvt_pk_f32_fp8_sdwa v[14:15], v15 src0_sel:WORD_1
	v_perm_b32 v38, v23, v22, s44
	v_cvt_pk_f32_fp8_e32 v[40:41], v16
	v_mfma_f32_16x16x16_bf16 v[22:25], v[24:25], v[6:7], 0
	v_perm_b32 v39, v15, v14, s44
	v_perm_b32 v40, v41, v40, s44
	v_perm_b32 v41, v47, v46, s44
	v_cvt_pk_f32_fp8_e32 v[46:47], v17
	v_mfma_f32_16x16x16_bf16 v[14:17], v[38:39], v[8:9], v[22:25]
	s_waitcnt vmcnt(3)
	v_cvt_pk_f32_fp8_sdwa v[38:39], v10 src0_sel:WORD_1
	v_pk_mul_f32 v[36:37], v[48:49], v[36:37] op_sel_hi:[0,1]
	v_perm_b32 v24, v47, v46, s44
	v_perm_b32 v25, v51, v50, s44
	v_pk_mul_f32 v[22:23], v[48:49], v[20:21] op_sel_hi:[0,1]
	v_mfma_f32_16x16x16_bf16 v[14:17], v[40:41], v[2:3], v[14:17]
	v_pk_mul_f32 v[20:21], v[48:49], v[18:19] op_sel_hi:[0,1]
	v_cvt_pk_f32_fp8_e32 v[18:19], v10
	v_cvt_pk_f32_fp8_e32 v[46:47], v12
	v_mfma_f32_16x16x16_bf16 v[14:17], v[24:25], v[4:5], v[14:17]
	v_cvt_pk_f32_fp8_e32 v[24:25], v11
	v_perm_b32 v18, v19, v18, s44
	v_perm_b32 v19, v39, v38, s44
	v_cvt_pk_f32_fp8_sdwa v[10:11], v11 src0_sel:WORD_1
	v_perm_b32 v24, v25, v24, s44
	v_cvt_pk_f32_fp8_sdwa v[50:51], v12 src0_sel:WORD_1
	v_mfma_f32_16x16x16_bf16 v[38:41], v[18:19], v[6:7], 0
	v_perm_b32 v25, v11, v10, s44
	v_perm_b32 v10, v47, v46, s44
	;; [unrolled: 1-line block ×3, first 2 shown]
	v_cvt_pk_f32_fp8_e32 v[18:19], v13
	v_cvt_pk_f32_fp8_sdwa v[12:13], v13 src0_sel:WORD_1
	v_mfma_f32_16x16x16_bf16 v[6:9], v[24:25], v[8:9], v[38:41]
	v_perm_b32 v18, v19, v18, s44
	v_perm_b32 v19, v13, v12, s44
	v_mfma_f32_16x16x16_bf16 v[6:9], v[10:11], v[2:3], v[6:9]
	v_pk_mul_f32 v[40:41], v[48:49], v[34:35] op_sel_hi:[0,1]
	v_pk_mul_f32 v[38:39], v[48:49], v[14:15] op_sel_hi:[0,1]
	v_pk_mul_f32 v[34:35], v[48:49], v[16:17] op_sel_hi:[0,1]
	v_mfma_f32_16x16x16_bf16 v[2:5], v[18:19], v[4:5], v[6:9]
	s_nop 6
	v_pk_mul_f32 v[24:25], v[48:49], v[2:3] op_sel_hi:[0,1]
	v_and_b32_e32 v2, 0xc0, v0
	v_add_u32_e32 v2, s5, v2
	v_lshl_or_b32 v2, v42, 2, v2
	v_pk_mul_f32 v[18:19], v[48:49], v[4:5] op_sel_hi:[0,1]
	v_or_b32_e32 v5, 1, v2
	v_mov_b32_e32 v3, 0xff7fffff
	v_cmp_gt_i32_e64 s[4:5], s33, v2
	v_cmp_gt_i32_e64 s[34:35], s33, v5
	v_or_b32_e32 v6, 3, v2
	v_cndmask_b32_e64 v4, v3, v20, s[4:5]
	v_cndmask_b32_e64 v5, v3, v21, s[34:35]
	v_max3_f32 v4, v4, s46, v5
	v_or_b32_e32 v5, 2, v2
	v_cmp_gt_i32_e64 s[36:37], s33, v5
	v_cmp_gt_i32_e64 s[38:39], s33, v6
	s_nop 0
	v_cndmask_b32_e64 v5, v3, v22, s[36:37]
	v_cndmask_b32_e64 v6, v3, v23, s[38:39]
	v_max3_f32 v4, v4, v5, v6
	v_or_b32_e32 v5, 16, v2
	v_or_b32_e32 v6, 17, v2
	v_cmp_gt_i32_e64 s[24:25], s33, v5
	v_cmp_gt_i32_e64 s[26:27], s33, v6
	s_nop 0
	v_cndmask_b32_e64 v5, v3, v40, s[24:25]
	v_cndmask_b32_e64 v6, v3, v41, s[26:27]
	v_max3_f32 v4, v4, v5, v6
	v_or_b32_e32 v5, 18, v2
	;; [unrolled: 8-line block ×6, first 2 shown]
	v_or_b32_e32 v2, 51, v2
	v_cmp_gt_i32_e32 vcc, s33, v5
	v_cmp_gt_i32_e64 s[6:7], s33, v2
	s_nop 0
	v_cndmask_b32_e32 v5, v3, v18, vcc
	v_cndmask_b32_e64 v2, v3, v19, s[6:7]
	v_max3_f32 v4, v4, v5, v2
	v_mbcnt_lo_u32_b32 v2, -1, 0
	v_mbcnt_hi_u32_b32 v5, -1, v2
	v_and_b32_e32 v2, 64, v5
	v_add_u32_e32 v6, 64, v2
	v_xor_b32_e32 v2, 32, v5
	v_cmp_lt_i32_e64 s[40:41], v2, v6
	s_nop 1
	v_cndmask_b32_e64 v2, v5, v2, s[40:41]
	v_lshlrev_b32_e32 v46, 2, v2
	ds_bpermute_b32 v7, v46, v4
	s_waitcnt vmcnt(2)
	v_mad_i64_i32 v[2:3], s[40:41], v45, s45, v[30:31]
	global_load_dwordx4 v[14:17], v[32:33], off
	global_load_dwordx4 v[10:13], v[2:3], off
	v_xor_b32_e32 v3, 16, v5
	v_cmp_lt_i32_e64 s[40:41], v3, v6
	s_waitcnt lgkmcnt(0)
	v_max_f32_e32 v2, v7, v7
	v_max_f32_e32 v2, v4, v2
	v_cndmask_b32_e64 v3, v5, v3, s[40:41]
	v_lshlrev_b32_e32 v45, 2, v3
	ds_bpermute_b32 v3, v45, v2
	s_waitcnt vmcnt(3)
	v_mad_i64_i32 v[32:33], s[40:41], v27, s45, v[30:31]
	s_waitcnt vmcnt(2)
	v_mad_i64_i32 v[30:31], s[40:41], v44, s45, v[30:31]
	s_waitcnt lgkmcnt(0)
	v_max_f32_e32 v3, v3, v3
	v_max_f32_e32 v27, v2, v3
	v_sub_f32_e32 v2, v20, v27
	v_mul_f32_e32 v2, 0x3fb8aa3b, v2
	v_exp_f32_e32 v20, v2
	v_sub_f32_e32 v2, v21, v27
	v_mul_f32_e32 v2, 0x3fb8aa3b, v2
	v_exp_f32_e32 v21, v2
	global_load_dwordx4 v[6:9], v[32:33], off
	global_load_dwordx4 v[2:5], v[30:31], off
	v_sub_f32_e32 v22, v22, v27
	v_mul_f32_e32 v22, 0x3fb8aa3b, v22
	v_sub_f32_e32 v23, v23, v27
	v_exp_f32_e32 v22, v22
	v_mul_f32_e32 v23, 0x3fb8aa3b, v23
	v_exp_f32_e32 v23, v23
	v_cndmask_b32_e64 v20, 0, v20, s[4:5]
	v_add_f32_e32 v30, 0, v20
	v_cndmask_b32_e64 v21, 0, v21, s[34:35]
	v_add_f32_e32 v30, v30, v21
	;; [unrolled: 2-line block ×3, first 2 shown]
	v_cndmask_b32_e64 v33, 0, v23, s[38:39]
	v_sub_f32_e32 v23, v40, v27
	v_sub_f32_e32 v30, v41, v27
	v_mul_f32_e32 v23, 0x3fb8aa3b, v23
	v_mul_f32_e32 v30, 0x3fb8aa3b, v30
	v_exp_f32_e32 v23, v23
	v_exp_f32_e32 v30, v30
	v_add_f32_e32 v31, v22, v33
	v_sub_f32_e32 v34, v34, v27
	v_cndmask_b32_e64 v22, 0, v23, s[24:25]
	v_cndmask_b32_e64 v23, 0, v30, s[26:27]
	v_sub_f32_e32 v30, v36, v27
	v_mul_f32_e32 v30, 0x3fb8aa3b, v30
	v_exp_f32_e32 v30, v30
	v_sub_f32_e32 v36, v37, v27
	v_add_f32_e32 v31, v31, v22
	v_mul_f32_e32 v36, 0x3fb8aa3b, v36
	v_exp_f32_e32 v37, v36
	v_add_f32_e32 v31, v31, v23
	v_cndmask_b32_e64 v36, 0, v30, s[20:21]
	v_add_f32_e32 v30, v31, v36
	v_sub_f32_e32 v31, v38, v27
	v_mul_f32_e32 v31, 0x3fb8aa3b, v31
	v_sub_f32_e32 v38, v39, v27
	v_exp_f32_e32 v31, v31
	v_mul_f32_e32 v38, 0x3fb8aa3b, v38
	v_exp_f32_e32 v38, v38
	v_mul_f32_e32 v34, 0x3fb8aa3b, v34
	v_sub_f32_e32 v35, v35, v27
	v_exp_f32_e32 v34, v34
	v_mul_f32_e32 v35, 0x3fb8aa3b, v35
	v_sub_f32_e32 v24, v24, v27
	v_cndmask_b32_e64 v37, 0, v37, s[22:23]
	v_exp_f32_e32 v35, v35
	v_mul_f32_e32 v24, 0x3fb8aa3b, v24
	v_sub_f32_e32 v25, v25, v27
	v_add_f32_e32 v39, v30, v37
	v_cndmask_b32_e64 v30, 0, v31, s[16:17]
	v_exp_f32_e32 v24, v24
	v_mul_f32_e32 v25, 0x3fb8aa3b, v25
	v_sub_f32_e32 v18, v18, v27
	v_add_f32_e32 v39, v39, v30
	;; [unrolled: 5-line block ×3, first 2 shown]
	v_cndmask_b32_e64 v34, 0, v34, s[12:13]
	v_exp_f32_e32 v18, v18
	v_mul_f32_e32 v19, 0x3fb8aa3b, v19
	v_add_f32_e32 v38, v38, v34
	v_cndmask_b32_e64 v35, 0, v35, s[14:15]
	v_exp_f32_e32 v19, v19
	v_add_f32_e32 v38, v38, v35
	v_cndmask_b32_e64 v24, 0, v24, s[8:9]
	v_add_f32_e32 v38, v38, v24
	v_cndmask_b32_e64 v25, 0, v25, s[10:11]
	v_add_f32_e32 v38, v38, v25
	v_cndmask_b32_e32 v18, 0, v18, vcc
	v_add_f32_e32 v38, v38, v18
	v_cndmask_b32_e64 v19, 0, v19, s[6:7]
	v_add_f32_e32 v38, v38, v19
	ds_bpermute_b32 v39, v46, v38
	v_cmp_gt_u32_e32 vcc, 16, v43
	s_waitcnt lgkmcnt(0)
	s_barrier
	v_add_f32_e32 v39, v38, v39
	ds_bpermute_b32 v40, v45, v39
	v_lshlrev_b32_e32 v38, 2, v28
	s_and_saveexec_b64 s[4:5], vcc
	s_cbranch_execz .LBB1118_13
; %bb.12:
	s_waitcnt lgkmcnt(0)
	v_add_f32_e32 v39, v39, v40
	v_lshl_or_b32 v40, v29, 6, v38
	ds_write2st64_b32 v40, v27, v39 offset1:1
.LBB1118_13:
	s_or_b64 exec, exec, s[4:5]
	s_load_dword s6, s[0:1], 0x94
	s_waitcnt lgkmcnt(0)
	s_barrier
	ds_read2_b32 v[40:41], v38 offset1:16
	ds_read2_b32 v[44:45], v38 offset0:32 offset1:48
	ds_read2_b32 v[46:47], v38 offset0:64 offset1:80
	s_movk_i32 s8, 0x7fff
	s_mul_i32 s7, s29, 11
	s_waitcnt lgkmcnt(2)
	v_max3_f32 v27, v40, s46, v41
	s_waitcnt lgkmcnt(1)
	v_max3_f32 v27, v27, v44, v45
	v_sub_f32_e32 v39, v40, v27
	v_sub_f32_e32 v40, v41, v27
	v_mul_f32_e32 v40, 0x3fb8aa3b, v40
	v_mul_f32_e32 v39, 0x3fb8aa3b, v39
	v_exp_f32_e32 v43, v40
	v_sub_f32_e32 v40, v44, v27
	v_exp_f32_e32 v39, v39
	v_mul_f32_e32 v40, 0x3fb8aa3b, v40
	v_exp_f32_e32 v44, v40
	ds_read2_b32 v[40:41], v38 offset0:96 offset1:112
	v_sub_f32_e32 v38, v45, v27
	v_mul_f32_e32 v38, 0x3fb8aa3b, v38
	v_exp_f32_e32 v45, v38
	s_waitcnt lgkmcnt(1)
	v_fma_f32 v38, v39, v46, 0
	v_fmac_f32_e32 v38, v43, v47
	s_waitcnt lgkmcnt(0)
	v_fmac_f32_e32 v38, v44, v40
	v_fmac_f32_e32 v38, v45, v41
	v_add_f32_e32 v40, 0x358637bd, v38
	v_div_scale_f32 v41, s[4:5], v40, v40, 1.0
	v_rcp_f32_e32 v46, v41
	s_barrier
	v_fma_f32 v47, -v41, v46, 1.0
	v_fmac_f32_e32 v46, v47, v46
	v_div_scale_f32 v47, vcc, 1.0, v40, 1.0
	v_mul_f32_e32 v48, v47, v46
	v_fma_f32 v49, -v41, v48, v47
	v_fmac_f32_e32 v48, v49, v46
	v_fma_f32 v41, -v41, v48, v47
	v_div_fmas_f32 v41, v41, v46, v48
	v_cmp_eq_u32_e32 vcc, 1, v29
	v_div_fixup_f32 v40, v41, v40, 1.0
	s_nop 0
	v_cndmask_b32_e32 v39, v39, v43, vcc
	v_cmp_eq_u32_e32 vcc, 2, v29
	s_nop 1
	v_cndmask_b32_e32 v39, v39, v44, vcc
	v_cmp_eq_u32_e32 vcc, 3, v29
	v_lshlrev_b32_e32 v29, 11, v29
	s_nop 0
	v_cndmask_b32_e32 v39, v39, v45, vcc
	v_mul_f32_e32 v40, v39, v40
	v_pk_mul_f32 v[20:21], v[40:41], v[20:21] op_sel_hi:[0,1]
	v_pk_mul_f32 v[32:33], v[40:41], v[32:33] op_sel_hi:[0,1]
	v_bfe_u32 v39, v21, 16, 1
	v_bfe_u32 v41, v20, 16, 1
	v_add3_u32 v20, v20, v41, s8
	v_add3_u32 v21, v21, v39, s8
	v_perm_b32 v44, v21, v20, s44
	v_bfe_u32 v20, v33, 16, 1
	v_bfe_u32 v21, v32, 16, 1
	v_add3_u32 v21, v32, v21, s8
	v_add3_u32 v20, v33, v20, s8
	v_perm_b32 v45, v20, v21, s44
	v_lshlrev_b32_e32 v20, 3, v42
	v_lshlrev_b32_e32 v21, 5, v28
	v_pk_mul_f32 v[22:23], v[40:41], v[22:23] op_sel_hi:[0,1]
	v_or3_b32 v20, v29, v21, v20
	v_pk_mul_f32 v[32:33], v[40:41], v[36:37] op_sel_hi:[0,1]
	v_bfe_u32 v29, v23, 16, 1
	v_bfe_u32 v36, v22, 16, 1
	v_add3_u32 v22, v22, v36, s8
	v_add3_u32 v23, v23, v29, s8
	v_perm_b32 v22, v23, v22, s44
	v_bfe_u32 v23, v33, 16, 1
	v_bfe_u32 v29, v32, 16, 1
	v_add3_u32 v29, v32, v29, s8
	v_add3_u32 v23, v33, v23, s8
	v_pk_mul_f32 v[30:31], v[40:41], v[30:31] op_sel_hi:[0,1]
	v_perm_b32 v23, v23, v29, s44
	v_bfe_u32 v29, v31, 16, 1
	v_bfe_u32 v32, v30, 16, 1
	ds_write2st64_b64 v20, v[44:45], v[22:23] offset1:1
	v_pk_mul_f32 v[22:23], v[40:41], v[34:35] op_sel_hi:[0,1]
	v_add3_u32 v30, v30, v32, s8
	v_add3_u32 v29, v31, v29, s8
	v_perm_b32 v30, v29, v30, s44
	v_bfe_u32 v29, v23, 16, 1
	v_bfe_u32 v31, v22, 16, 1
	v_add3_u32 v22, v22, v31, s8
	v_add3_u32 v23, v23, v29, s8
	v_perm_b32 v31, v23, v22, s44
	v_pk_mul_f32 v[22:23], v[40:41], v[24:25] op_sel_hi:[0,1]
	v_bfe_u32 v24, v23, 16, 1
	v_bfe_u32 v25, v22, 16, 1
	v_pk_mul_f32 v[18:19], v[40:41], v[18:19] op_sel_hi:[0,1]
	v_add3_u32 v22, v22, v25, s8
	v_add3_u32 v23, v23, v24, s8
	v_perm_b32 v22, v23, v22, s44
	v_bfe_u32 v23, v19, 16, 1
	v_bfe_u32 v24, v18, 16, 1
	v_add3_u32 v18, v18, v24, s8
	v_add3_u32 v19, v19, v23, s8
	v_perm_b32 v23, v19, v18, s44
	v_cmp_gt_u32_e32 vcc, 11, v0
	ds_write2st64_b64 v20, v[30:31], v[22:23] offset0:2 offset1:3
	s_and_saveexec_b64 s[4:5], vcc
	s_cbranch_execz .LBB1118_15
; %bb.14:
	s_mov_b32 s49, 0
	v_mov_b32_e32 v29, 0
	v_lshl_add_u64 v[18:19], s[48:49], 0, v[28:29]
	v_mov_b32_e32 v22, s7
	v_mad_u64_u32 v[18:19], s[10:11], s2, v22, v[18:19]
	s_mul_i32 s3, s3, s7
	v_mov_b32_e32 v28, s28
	s_load_dwordx4 s[12:15], s[0:1], 0x58
	v_add_u32_e32 v23, s3, v19
	v_mad_u64_u32 v[18:19], s[10:11], v18, s6, v[28:29]
	v_mov_b32_e32 v22, v19
	v_mad_u64_u32 v[22:23], s[10:11], v23, s6, v[22:23]
	v_mov_b32_e32 v19, v22
	v_lshlrev_b64 v[18:19], 2, v[18:19]
	s_waitcnt lgkmcnt(0)
	v_lshl_add_u64 v[22:23], s[14:15], 0, v[18:19]
	v_lshl_add_u64 v[18:19], s[12:13], 0, v[18:19]
	global_store_dword v[22:23], v27, off
	global_store_dword v[18:19], v38, off
.LBB1118_15:
	s_or_b64 exec, exec, s[4:5]
	s_waitcnt vmcnt(3)
	v_cvt_pk_f32_fp8_e32 v[18:19], v14
	v_cvt_pk_f32_fp8_sdwa v[22:23], v14 src0_sel:WORD_1
	s_mov_b32 s4, 0x7060302
	v_lshl_or_b32 v14, v42, 9, v21
	s_waitcnt lgkmcnt(0)
	s_barrier
	v_perm_b32 v18, v19, v18, s4
	v_perm_b32 v19, v23, v22, s4
	v_cvt_pk_f32_fp8_e32 v[28:29], v15
	ds_read_b128 v[22:25], v14
	v_cvt_pk_f32_fp8_sdwa v[36:37], v15 src0_sel:WORD_1
	s_load_dword s10, s[42:43], 0x0
	v_perm_b32 v38, v29, v28, s4
	ds_read_b128 v[28:31], v14 offset:16
	v_perm_b32 v39, v37, v36, s4
	s_waitcnt lgkmcnt(0)
	v_mfma_f32_16x16x16_bf16 v[32:35], v[18:19], v[22:23], 0
	v_cvt_pk_f32_fp8_e32 v[18:19], v16
	v_cvt_pk_f32_fp8_sdwa v[36:37], v16 src0_sel:WORD_1
	v_cmp_gt_u32_e32 vcc, 64, v0
	v_mfma_f32_16x16x16_bf16 v[22:25], v[38:39], v[24:25], v[32:35]
	v_perm_b32 v18, v19, v18, s4
	v_perm_b32 v19, v37, v36, s4
	s_waitcnt vmcnt(2)
	v_cvt_pk_f32_fp8_sdwa v[36:37], v10 src0_sel:WORD_1
	v_cvt_pk_f32_fp8_e32 v[32:33], v17
	v_cvt_pk_f32_fp8_sdwa v[16:17], v17 src0_sel:WORD_1
	v_cvt_pk_f32_fp8_e32 v[34:35], v10
	s_mov_b32 s3, 0
	v_perm_b32 v32, v33, v32, s4
	v_perm_b32 v33, v17, v16, s4
	v_mfma_f32_16x16x16_bf16 v[16:19], v[18:19], v[28:29], v[22:25]
	v_perm_b32 v34, v35, v34, s4
	v_perm_b32 v35, v37, v36, s4
	v_cvt_pk_f32_fp8_e32 v[28:29], v11
	ds_read_b128 v[22:25], v14 offset:2048
	v_cvt_pk_f32_fp8_sdwa v[10:11], v11 src0_sel:WORD_1
	v_mfma_f32_16x16x16_bf16 v[16:19], v[32:33], v[30:31], v[16:19]
	v_perm_b32 v32, v29, v28, s4
	ds_read_b128 v[28:31], v14 offset:2064
	v_perm_b32 v33, v11, v10, s4
	s_waitcnt lgkmcnt(1)
	v_mfma_f32_16x16x16_bf16 v[16:19], v[34:35], v[22:23], v[16:19]
	v_cvt_pk_f32_fp8_e32 v[10:11], v12
	v_cvt_pk_f32_fp8_sdwa v[22:23], v12 src0_sel:WORD_1
	v_mov_b32_e32 v27, 0
	v_mfma_f32_16x16x16_bf16 v[16:19], v[32:33], v[24:25], v[16:19]
	v_cvt_pk_f32_fp8_e32 v[24:25], v13
	v_perm_b32 v10, v11, v10, s4
	v_perm_b32 v11, v23, v22, s4
	v_cvt_pk_f32_fp8_sdwa v[12:13], v13 src0_sel:WORD_1
	v_perm_b32 v22, v25, v24, s4
	s_waitcnt vmcnt(1)
	v_cvt_pk_f32_fp8_e32 v[24:25], v6
	v_cvt_pk_f32_fp8_sdwa v[32:33], v6 src0_sel:WORD_1
	v_perm_b32 v23, v13, v12, s4
	s_waitcnt lgkmcnt(0)
	v_mfma_f32_16x16x16_bf16 v[10:13], v[10:11], v[28:29], v[16:19]
	v_perm_b32 v28, v25, v24, s4
	v_perm_b32 v29, v33, v32, s4
	v_cvt_pk_f32_fp8_e32 v[24:25], v7
	ds_read_b128 v[16:19], v14 offset:4096
	v_cvt_pk_f32_fp8_sdwa v[6:7], v7 src0_sel:WORD_1
	v_mfma_f32_16x16x16_bf16 v[10:13], v[22:23], v[30:31], v[10:13]
	v_perm_b32 v30, v25, v24, s4
	ds_read_b128 v[22:25], v14 offset:4112
	v_perm_b32 v31, v7, v6, s4
	s_waitcnt lgkmcnt(1)
	v_mfma_f32_16x16x16_bf16 v[10:13], v[28:29], v[16:17], v[10:13]
	v_cvt_pk_f32_fp8_e32 v[6:7], v8
	v_cvt_pk_f32_fp8_sdwa v[16:17], v8 src0_sel:WORD_1
	s_waitcnt vmcnt(0)
	v_cvt_pk_f32_fp8_sdwa v[28:29], v2 src0_sel:WORD_1
	v_mfma_f32_16x16x16_bf16 v[10:13], v[30:31], v[18:19], v[10:13]
	v_cvt_pk_f32_fp8_e32 v[18:19], v9
	v_perm_b32 v6, v7, v6, s4
	v_perm_b32 v7, v17, v16, s4
	v_cvt_pk_f32_fp8_sdwa v[8:9], v9 src0_sel:WORD_1
	v_perm_b32 v16, v19, v18, s4
	v_cvt_pk_f32_fp8_e32 v[18:19], v2
	v_perm_b32 v17, v9, v8, s4
	s_waitcnt lgkmcnt(0)
	v_mfma_f32_16x16x16_bf16 v[6:9], v[6:7], v[22:23], v[10:13]
	v_perm_b32 v18, v19, v18, s4
	v_perm_b32 v19, v29, v28, s4
	v_cvt_pk_f32_fp8_e32 v[22:23], v3
	ds_read_b128 v[10:13], v14 offset:6144
	v_cvt_pk_f32_fp8_sdwa v[2:3], v3 src0_sel:WORD_1
	v_mfma_f32_16x16x16_bf16 v[6:9], v[16:17], v[24:25], v[6:9]
	v_perm_b32 v22, v23, v22, s4
	ds_read_b128 v[14:17], v14 offset:6160
	v_perm_b32 v23, v3, v2, s4
	s_waitcnt lgkmcnt(1)
	v_mfma_f32_16x16x16_bf16 v[6:9], v[18:19], v[10:11], v[6:9]
	v_cvt_pk_f32_fp8_e32 v[2:3], v4
	v_cvt_pk_f32_fp8_sdwa v[10:11], v4 src0_sel:WORD_1
	s_waitcnt lgkmcnt(0)
	v_mfma_f32_16x16x16_bf16 v[6:9], v[22:23], v[12:13], v[6:9]
	v_perm_b32 v2, v3, v2, s4
	v_perm_b32 v3, v11, v10, s4
	v_cvt_pk_f32_fp8_e32 v[10:11], v5
	v_cvt_pk_f32_fp8_sdwa v[4:5], v5 src0_sel:WORD_1
	s_barrier
	v_perm_b32 v10, v11, v10, s4
	v_perm_b32 v11, v5, v4, s4
	v_mfma_f32_16x16x16_bf16 v[2:5], v[2:3], v[14:15], v[6:9]
	s_nop 0
	v_mfma_f32_16x16x16_bf16 v[2:5], v[10:11], v[16:17], v[2:5]
	s_nop 6
	v_pk_mul_f32 v[2:3], v[2:3], s[10:11] op_sel_hi:[1,0]
	v_pk_mul_f32 v[4:5], v[4:5], s[10:11] op_sel_hi:[1,0]
	v_bfe_u32 v6, v3, 16, 1
	v_bfe_u32 v7, v2, 16, 1
	v_add3_u32 v2, v2, v7, s8
	v_add3_u32 v3, v3, v6, s8
	v_perm_b32 v2, v3, v2, s4
	v_bfe_u32 v3, v5, 16, 1
	v_bfe_u32 v6, v4, 16, 1
	v_add3_u32 v4, v4, v6, s8
	v_add3_u32 v3, v5, v3, s8
	v_perm_b32 v3, v3, v4, s4
	s_and_b64 s[4:5], vcc, s[30:31]
	ds_write_b64 v20, v[2:3]
	s_waitcnt lgkmcnt(0)
	s_barrier
	s_and_saveexec_b64 s[8:9], s[4:5]
	s_cbranch_execz .LBB1118_18
; %bb.16:
	s_load_dwordx2 s[4:5], s[0:1], 0x68
	s_lshl_b32 s0, s6, 6
	s_mul_i32 s1, s7, s2
	s_mul_hi_u32 s7, s1, s0
	s_mul_i32 s6, s1, s0
	v_lshlrev_b32_e32 v0, 10, v0
	s_lshl_b64 s[6:7], s[6:7], 1
	v_and_b32_e32 v0, 0x1800, v0
	v_lshlrev_b32_e32 v2, 5, v42
	v_and_b32_e32 v1, 16, v1
	s_waitcnt lgkmcnt(0)
	s_add_u32 s1, s4, s6
	v_or3_b32 v2, v0, v2, v1
	s_addc_u32 s4, s5, s7
	s_lshl_b32 s2, s28, 6
	s_lshl_b64 s[2:3], s[2:3], 1
	ds_read_b128 v[4:7], v2 offset:128
	ds_read_b128 v[8:11], v2
	s_add_u32 s2, s1, s2
	s_addc_u32 s3, s4, s3
	v_add_u32_e32 v3, s48, v42
	v_lshl_add_u64 v[0:1], s[2:3], 0, v[26:27]
	v_mad_u64_u32 v[12:13], s[2:3], v3, s0, 0
	v_lshl_add_u64 v[12:13], v[12:13], 1, v[0:1]
	v_add_u32_e32 v3, 4, v3
	s_waitcnt lgkmcnt(0)
	global_store_dwordx4 v[12:13], v[8:11], off
	v_cmp_ne_u32_e32 vcc, 3, v42
	s_nop 0
	v_mad_u64_u32 v[8:9], s[2:3], v3, s0, 0
	v_lshl_add_u64 v[8:9], v[8:9], 1, v[0:1]
	global_store_dwordx4 v[8:9], v[4:7], off
	s_and_b64 exec, exec, vcc
	s_cbranch_execz .LBB1118_18
; %bb.17:
	ds_read_b128 v[2:5], v2 offset:256
	v_add3_u32 v6, s48, v42, 8
	v_mad_u64_u32 v[6:7], s[0:1], v6, s0, 0
	v_lshl_add_u64 v[0:1], v[6:7], 1, v[0:1]
	s_waitcnt lgkmcnt(0)
	global_store_dwordx4 v[0:1], v[2:5], off
.LBB1118_18:
	s_endpgm
	.section	.rodata,"a",@progbits
	.p2align	6, 0x0
	.amdhsa_kernel _Z39paged_attention_ll4mi_QKV_mfma16_kernelI14__hip_bfloat16hLN4vllm18Fp8KVCacheDataTypeE1EhLi16ELi64ELi256ELb0ELi11EEvPKT_PKT0_S8_ifPKiSA_SA_iPKfiiiPfSD_PS3_PT2_iSC_SC_
		.amdhsa_group_segment_fixed_size 8192
		.amdhsa_private_segment_fixed_size 0
		.amdhsa_kernarg_size 400
		.amdhsa_user_sgpr_count 2
		.amdhsa_user_sgpr_dispatch_ptr 0
		.amdhsa_user_sgpr_queue_ptr 0
		.amdhsa_user_sgpr_kernarg_segment_ptr 1
		.amdhsa_user_sgpr_dispatch_id 0
		.amdhsa_user_sgpr_kernarg_preload_length 0
		.amdhsa_user_sgpr_kernarg_preload_offset 0
		.amdhsa_user_sgpr_private_segment_size 0
		.amdhsa_uses_dynamic_stack 0
		.amdhsa_enable_private_segment 0
		.amdhsa_system_sgpr_workgroup_id_x 1
		.amdhsa_system_sgpr_workgroup_id_y 1
		.amdhsa_system_sgpr_workgroup_id_z 1
		.amdhsa_system_sgpr_workgroup_info 0
		.amdhsa_system_vgpr_workitem_id 0
		.amdhsa_next_free_vgpr 58
		.amdhsa_next_free_sgpr 50
		.amdhsa_accum_offset 60
		.amdhsa_reserve_vcc 1
		.amdhsa_float_round_mode_32 0
		.amdhsa_float_round_mode_16_64 0
		.amdhsa_float_denorm_mode_32 3
		.amdhsa_float_denorm_mode_16_64 3
		.amdhsa_dx10_clamp 1
		.amdhsa_ieee_mode 1
		.amdhsa_fp16_overflow 0
		.amdhsa_tg_split 0
		.amdhsa_exception_fp_ieee_invalid_op 0
		.amdhsa_exception_fp_denorm_src 0
		.amdhsa_exception_fp_ieee_div_zero 0
		.amdhsa_exception_fp_ieee_overflow 0
		.amdhsa_exception_fp_ieee_underflow 0
		.amdhsa_exception_fp_ieee_inexact 0
		.amdhsa_exception_int_div_zero 0
	.end_amdhsa_kernel
	.section	.text._Z39paged_attention_ll4mi_QKV_mfma16_kernelI14__hip_bfloat16hLN4vllm18Fp8KVCacheDataTypeE1EhLi16ELi64ELi256ELb0ELi11EEvPKT_PKT0_S8_ifPKiSA_SA_iPKfiiiPfSD_PS3_PT2_iSC_SC_,"axG",@progbits,_Z39paged_attention_ll4mi_QKV_mfma16_kernelI14__hip_bfloat16hLN4vllm18Fp8KVCacheDataTypeE1EhLi16ELi64ELi256ELb0ELi11EEvPKT_PKT0_S8_ifPKiSA_SA_iPKfiiiPfSD_PS3_PT2_iSC_SC_,comdat
.Lfunc_end1118:
	.size	_Z39paged_attention_ll4mi_QKV_mfma16_kernelI14__hip_bfloat16hLN4vllm18Fp8KVCacheDataTypeE1EhLi16ELi64ELi256ELb0ELi11EEvPKT_PKT0_S8_ifPKiSA_SA_iPKfiiiPfSD_PS3_PT2_iSC_SC_, .Lfunc_end1118-_Z39paged_attention_ll4mi_QKV_mfma16_kernelI14__hip_bfloat16hLN4vllm18Fp8KVCacheDataTypeE1EhLi16ELi64ELi256ELb0ELi11EEvPKT_PKT0_S8_ifPKiSA_SA_iPKfiiiPfSD_PS3_PT2_iSC_SC_
                                        ; -- End function
	.section	.AMDGPU.csdata,"",@progbits
; Kernel info:
; codeLenInByte = 4856
; NumSgprs: 56
; NumVgprs: 58
; NumAgprs: 0
; TotalNumVgprs: 58
; ScratchSize: 0
; MemoryBound: 0
; FloatMode: 240
; IeeeMode: 1
; LDSByteSize: 8192 bytes/workgroup (compile time only)
; SGPRBlocks: 6
; VGPRBlocks: 7
; NumSGPRsForWavesPerEU: 56
; NumVGPRsForWavesPerEU: 58
; AccumOffset: 60
; Occupancy: 8
; WaveLimiterHint : 1
; COMPUTE_PGM_RSRC2:SCRATCH_EN: 0
; COMPUTE_PGM_RSRC2:USER_SGPR: 2
; COMPUTE_PGM_RSRC2:TRAP_HANDLER: 0
; COMPUTE_PGM_RSRC2:TGID_X_EN: 1
; COMPUTE_PGM_RSRC2:TGID_Y_EN: 1
; COMPUTE_PGM_RSRC2:TGID_Z_EN: 1
; COMPUTE_PGM_RSRC2:TIDIG_COMP_CNT: 0
; COMPUTE_PGM_RSRC3_GFX90A:ACCUM_OFFSET: 14
; COMPUTE_PGM_RSRC3_GFX90A:TG_SPLIT: 0
	.section	.text._Z39paged_attention_ll4mi_QKV_mfma16_kernelI14__hip_bfloat16hLN4vllm18Fp8KVCacheDataTypeE1EhLi16ELi64ELi256ELb0ELi12EEvPKT_PKT0_S8_ifPKiSA_SA_iPKfiiiPfSD_PS3_PT2_iSC_SC_,"axG",@progbits,_Z39paged_attention_ll4mi_QKV_mfma16_kernelI14__hip_bfloat16hLN4vllm18Fp8KVCacheDataTypeE1EhLi16ELi64ELi256ELb0ELi12EEvPKT_PKT0_S8_ifPKiSA_SA_iPKfiiiPfSD_PS3_PT2_iSC_SC_,comdat
	.protected	_Z39paged_attention_ll4mi_QKV_mfma16_kernelI14__hip_bfloat16hLN4vllm18Fp8KVCacheDataTypeE1EhLi16ELi64ELi256ELb0ELi12EEvPKT_PKT0_S8_ifPKiSA_SA_iPKfiiiPfSD_PS3_PT2_iSC_SC_ ; -- Begin function _Z39paged_attention_ll4mi_QKV_mfma16_kernelI14__hip_bfloat16hLN4vllm18Fp8KVCacheDataTypeE1EhLi16ELi64ELi256ELb0ELi12EEvPKT_PKT0_S8_ifPKiSA_SA_iPKfiiiPfSD_PS3_PT2_iSC_SC_
	.globl	_Z39paged_attention_ll4mi_QKV_mfma16_kernelI14__hip_bfloat16hLN4vllm18Fp8KVCacheDataTypeE1EhLi16ELi64ELi256ELb0ELi12EEvPKT_PKT0_S8_ifPKiSA_SA_iPKfiiiPfSD_PS3_PT2_iSC_SC_
	.p2align	8
	.type	_Z39paged_attention_ll4mi_QKV_mfma16_kernelI14__hip_bfloat16hLN4vllm18Fp8KVCacheDataTypeE1EhLi16ELi64ELi256ELb0ELi12EEvPKT_PKT0_S8_ifPKiSA_SA_iPKfiiiPfSD_PS3_PT2_iSC_SC_,@function
_Z39paged_attention_ll4mi_QKV_mfma16_kernelI14__hip_bfloat16hLN4vllm18Fp8KVCacheDataTypeE1EhLi16ELi64ELi256ELb0ELi12EEvPKT_PKT0_S8_ifPKiSA_SA_iPKfiiiPfSD_PS3_PT2_iSC_SC_: ; @_Z39paged_attention_ll4mi_QKV_mfma16_kernelI14__hip_bfloat16hLN4vllm18Fp8KVCacheDataTypeE1EhLi16ELi64ELi256ELb0ELi12EEvPKT_PKT0_S8_ifPKiSA_SA_iPKfiiiPfSD_PS3_PT2_iSC_SC_
; %bb.0:
	s_load_dwordx2 s[12:13], s[0:1], 0x30
	s_mov_b32 s28, s3
	s_mov_b64 s[6:7], 0
	s_waitcnt lgkmcnt(0)
	s_cmp_lg_u64 s[12:13], 0
	s_cselect_b64 s[14:15], -1, 0
	s_and_b64 vcc, exec, s[14:15]
	s_cbranch_vccz .LBB1119_7
; %bb.1:
	s_add_i32 s8, s2, 1
	s_mov_b32 s9, 0
	s_lshl_b64 s[10:11], s[8:9], 2
	s_add_u32 s10, s12, s10
	s_mov_b32 s3, s9
	s_addc_u32 s11, s13, s11
	s_lshl_b64 s[8:9], s[2:3], 2
	s_add_u32 s8, s12, s8
	s_addc_u32 s9, s13, s9
	s_load_dword s5, s[10:11], 0x0
	s_load_dword s16, s[8:9], 0x0
	s_waitcnt lgkmcnt(0)
	s_sub_i32 s5, s5, s16
	s_cmp_eq_u32 s5, 1
	s_cselect_b64 s[8:9], -1, 0
	s_andn2_b64 vcc, exec, s[6:7]
	s_cbranch_vccnz .LBB1119_3
.LBB1119_2:
	s_mov_b32 s3, 0
	s_mov_b64 s[8:9], -1
.LBB1119_3:
	s_andn2_b64 vcc, exec, s[8:9]
	s_cbranch_vccnz .LBB1119_17
; %bb.4:
	s_load_dwordx2 s[6:7], s[0:1], 0x28
	s_lshl_b64 s[16:17], s[2:3], 2
	s_waitcnt lgkmcnt(0)
	s_add_u32 s6, s6, s16
	s_addc_u32 s7, s7, s17
	s_load_dword s33, s[6:7], 0x0
	s_lshl_b32 s5, s28, 8
	s_waitcnt lgkmcnt(0)
	s_cmp_ge_i32 s5, s33
	s_cbranch_scc1 .LBB1119_17
; %bb.5:
	s_load_dwordx2 s[6:7], s[0:1], 0x20
	s_load_dword s8, s[0:1], 0x38
	s_add_i32 s9, s33, 15
	s_ashr_i32 s10, s9, 31
	v_and_b32_e32 v1, 0xcf, v0
	s_lshr_b32 s10, s10, 28
	v_add_u32_e32 v1, s5, v1
	s_add_i32 s9, s9, s10
	v_ashrrev_i32_e32 v2, 31, v1
	s_ashr_i32 s18, s9, 4
	v_lshrrev_b32_e32 v4, 28, v2
	s_add_i32 s18, s18, -1
	s_waitcnt lgkmcnt(0)
	s_mul_i32 s8, s2, s8
	s_mov_b32 s9, 0
	v_add_u32_e32 v2, v1, v4
	s_lshl_b64 s[8:9], s[8:9], 2
	v_ashrrev_i32_e32 v2, 4, v2
	v_mov_b32_e32 v5, s18
	v_cmp_gt_i32_e32 vcc, s33, v1
	s_add_u32 s6, s6, s8
	s_addc_u32 s7, s7, s9
	v_cndmask_b32_e32 v2, v5, v2, vcc
	v_ashrrev_i32_e32 v3, 31, v2
	v_lshl_add_u64 v[6:7], v[2:3], 2, s[6:7]
	v_or_b32_e32 v2, 16, v1
	v_add_u32_e32 v3, v2, v4
	v_ashrrev_i32_e32 v3, 4, v3
	v_cmp_gt_i32_e32 vcc, s33, v2
	s_load_dwordx4 s[8:11], s[0:1], 0x8
	s_nop 0
	v_cndmask_b32_e32 v2, v5, v3, vcc
	v_ashrrev_i32_e32 v3, 31, v2
	v_lshl_add_u64 v[8:9], v[2:3], 2, s[6:7]
	v_or_b32_e32 v2, 32, v1
	v_add_u32_e32 v3, v2, v4
	v_ashrrev_i32_e32 v3, 4, v3
	v_cmp_gt_i32_e32 vcc, s33, v2
	v_or_b32_e32 v1, 48, v1
	s_nop 0
	v_cndmask_b32_e32 v2, v5, v3, vcc
	v_ashrrev_i32_e32 v3, 31, v2
	v_lshl_add_u64 v[10:11], v[2:3], 2, s[6:7]
	v_add_u32_e32 v2, v1, v4
	v_ashrrev_i32_e32 v2, 4, v2
	v_cmp_gt_i32_e32 vcc, s33, v1
	s_nop 1
	v_cndmask_b32_e32 v2, v5, v2, vcc
	v_ashrrev_i32_e32 v3, 31, v2
	v_lshl_add_u64 v[14:15], v[2:3], 2, s[6:7]
	global_load_dword v4, v[6:7], off
	global_load_dword v3, v[8:9], off
	;; [unrolled: 1-line block ×4, first 2 shown]
	s_andn2_b64 vcc, exec, s[14:15]
	s_cbranch_vccnz .LBB1119_8
; %bb.6:
	s_add_u32 s12, s12, s16
	s_addc_u32 s13, s13, s17
	s_load_dword s14, s[12:13], 0x0
	s_branch .LBB1119_9
.LBB1119_7:
	s_mov_b64 s[8:9], 0
	s_branch .LBB1119_2
.LBB1119_8:
	s_mov_b32 s14, s2
.LBB1119_9:
	s_load_dwordx4 s[44:47], s[0:1], 0x48
	v_and_b32_e32 v28, 15, v0
	s_movk_i32 s12, 0xc0
	v_lshlrev_b32_e32 v5, 3, v28
	v_cmp_gt_u32_e32 vcc, s12, v0
	v_cmp_gt_u32_e64 s[30:31], 8, v28
	v_lshrrev_b32_e32 v29, 6, v0
	v_and_b32_e32 v43, 63, v0
	v_bfe_u32 v1, v0, 4, 2
	s_mul_i32 s48, s4, 12
	s_and_b64 s[16:17], vcc, s[30:31]
	v_lshlrev_b32_e32 v26, 1, v5
	v_lshlrev_b32_e32 v42, 4, v0
	s_and_saveexec_b64 s[12:13], s[16:17]
	s_cbranch_execz .LBB1119_11
; %bb.10:
	s_load_dwordx2 s[16:17], s[0:1], 0x0
	s_waitcnt lgkmcnt(0)
	s_ashr_i32 s15, s44, 31
	s_mul_hi_u32 s19, s14, s44
	s_mul_i32 s15, s14, s15
	s_add_i32 s15, s19, s15
	s_mul_i32 s14, s14, s44
	v_lshl_or_b32 v5, v29, 2, v1
	s_lshl_b64 s[14:15], s[14:15], 1
	s_add_u32 s14, s16, s14
	v_add_lshl_u32 v6, v5, s48, 6
	s_addc_u32 s15, s17, s15
	v_ashrrev_i32_e32 v7, 31, v6
	v_lshl_add_u64 v[6:7], v[6:7], 1, s[14:15]
	v_mov_b32_e32 v27, 0
	v_lshl_add_u64 v[6:7], v[6:7], 0, v[26:27]
	global_load_dwordx4 v[6:9], v[6:7], off
	v_lshlrev_b32_e32 v11, 8, v28
	v_lshlrev_b32_e32 v5, 5, v5
	v_and_b32_e32 v10, 16, v42
	v_and_b32_e32 v11, 0xe00, v11
	v_or3_b32 v5, v11, v5, v10
	s_waitcnt vmcnt(0)
	ds_write_b128 v5, v[6:9]
.LBB1119_11:
	s_or_b64 exec, exec, s[12:13]
	s_waitcnt lgkmcnt(0)
	s_mul_i32 s4, s4, s46
	s_add_u32 s8, s8, s4
	s_addc_u32 s9, s9, 0
	v_and_b32_e32 v8, 48, v0
	v_and_b32_e32 v30, 0xf0, v42
	v_mov_b32_e32 v31, 0
	v_lshl_add_u64 v[6:7], s[8:9], 0, v[30:31]
	v_lshlrev_b32_e32 v30, 4, v8
	v_or_b32_e32 v8, s5, v8
	v_lshl_add_u64 v[10:11], v[6:7], 0, v[30:31]
	v_ashrrev_i32_e32 v6, 4, v8
	v_mov_b32_e32 v27, s18
	v_cmp_gt_i32_e32 vcc, s33, v8
	s_load_dword s29, s[0:1], 0x98
	s_load_dwordx4 s[40:43], s[0:1], 0x80
	v_cndmask_b32_e32 v6, v27, v6, vcc
	v_ashrrev_i32_e32 v7, 31, v6
	v_lshl_add_u64 v[6:7], v[6:7], 2, s[6:7]
	s_waitcnt lgkmcnt(0)
	s_barrier
	s_waitcnt vmcnt(3)
	v_mad_i64_i32 v[4:5], s[8:9], v4, s45, v[10:11]
	global_load_dword v38, v[6:7], off
	global_load_dwordx4 v[22:25], v[4:5], off
	s_waitcnt vmcnt(4)
	v_mad_i64_i32 v[4:5], s[8:9], v3, s45, v[10:11]
	global_load_dwordx4 v[18:21], v[4:5], off
	s_waitcnt vmcnt(4)
	v_mad_i64_i32 v[2:3], s[8:9], v2, s45, v[10:11]
	global_load_dwordx4 v[14:17], v[2:3], off
	v_add_u32_e32 v4, -12, v28
	v_cmp_gt_u32_e32 vcc, 12, v28
	v_or_b32_e32 v13, 64, v8
	s_waitcnt vmcnt(4)
	v_mad_i64_i32 v[10:11], s[12:13], v12, s45, v[10:11]
	v_cndmask_b32_e32 v2, v4, v28, vcc
	v_lshlrev_b32_e32 v2, 5, v2
	v_lshl_add_u32 v2, v1, 9, v2
	v_or_b32_e32 v33, 0x80, v8
	v_or_b32_e32 v35, 0xc0, v8
	v_ashrrev_i32_e32 v32, 4, v13
	ds_read_b128 v[6:9], v2
	ds_read_b128 v[2:5], v2 offset:16
	v_cmp_gt_i32_e32 vcc, s33, v13
	global_load_dwordx4 v[10:13], v[10:11], off
	v_ashrrev_i32_e32 v34, 4, v33
	v_cndmask_b32_e32 v32, v27, v32, vcc
	v_cmp_gt_i32_e32 vcc, s33, v33
	v_ashrrev_i32_e32 v36, 4, v35
	v_ashrrev_i32_e32 v33, 31, v32
	v_cndmask_b32_e32 v34, v27, v34, vcc
	v_cmp_gt_i32_e32 vcc, s33, v35
	v_ashrrev_i32_e32 v35, 31, v34
	v_lshl_add_u64 v[32:33], v[32:33], 2, s[6:7]
	v_cndmask_b32_e32 v36, v27, v36, vcc
	v_ashrrev_i32_e32 v37, 31, v36
	v_lshl_add_u64 v[34:35], v[34:35], 2, s[6:7]
	v_lshl_add_u64 v[36:37], v[36:37], 2, s[6:7]
	s_add_u32 s8, s10, s4
	s_load_dword s4, s[40:41], 0x0
	global_load_dword v45, v[32:33], off
	global_load_dword v27, v[34:35], off
	;; [unrolled: 1-line block ×3, first 2 shown]
	v_lshlrev_b32_e32 v30, 4, v28
	s_addc_u32 s9, s11, 0
	v_lshl_or_b32 v30, v29, 8, v30
	s_mov_b32 s44, 0x7060302
	v_lshl_add_u64 v[30:31], s[8:9], 0, v[30:31]
	s_load_dword s14, s[0:1], 0x1c
	s_mov_b32 s46, 0xff7fffff
	s_waitcnt vmcnt(7)
	v_mad_i64_i32 v[32:33], s[6:7], v38, s45, v[30:31]
	s_waitcnt vmcnt(6)
	v_cvt_pk_f32_fp8_e32 v[34:35], v22
	v_cvt_pk_f32_fp8_sdwa v[36:37], v22 src0_sel:WORD_1
	v_cvt_pk_f32_fp8_e32 v[38:39], v23
	v_cvt_pk_f32_fp8_sdwa v[40:41], v23 src0_sel:WORD_1
	v_perm_b32 v34, v35, v34, s44
	v_perm_b32 v35, v37, v36, s44
	s_waitcnt vmcnt(5)
	v_cvt_pk_f32_fp8_e32 v[22:23], v18
	v_cvt_pk_f32_fp8_sdwa v[52:53], v18 src0_sel:WORD_1
	v_perm_b32 v38, v39, v38, s44
	v_perm_b32 v39, v41, v40, s44
	v_cvt_pk_f32_fp8_e32 v[46:47], v24
	v_cvt_pk_f32_fp8_sdwa v[48:49], v24 src0_sel:WORD_1
	v_cvt_pk_f32_fp8_e32 v[50:51], v25
	v_cvt_pk_f32_fp8_sdwa v[54:55], v25 src0_sel:WORD_1
	v_perm_b32 v36, v23, v22, s44
	s_waitcnt lgkmcnt(0)
	v_mfma_f32_16x16x16_bf16 v[22:25], v[34:35], v[6:7], 0
	v_cvt_pk_f32_fp8_e32 v[56:57], v19
	v_perm_b32 v37, v53, v52, s44
	v_cvt_pk_f32_fp8_sdwa v[18:19], v19 src0_sel:WORD_1
	v_mfma_f32_16x16x16_bf16 v[22:25], v[38:39], v[8:9], v[22:25]
	v_perm_b32 v38, v47, v46, s44
	v_perm_b32 v39, v49, v48, s44
	v_cvt_pk_f32_fp8_e32 v[40:41], v20
	v_perm_b32 v52, v57, v56, s44
	v_perm_b32 v53, v19, v18, s44
	v_cvt_pk_f32_fp8_sdwa v[18:19], v20 src0_sel:WORD_1
	v_mfma_f32_16x16x16_bf16 v[34:37], v[36:37], v[6:7], 0
	v_cvt_pk_f32_fp8_e32 v[46:47], v21
	v_perm_b32 v48, v51, v50, s44
	v_perm_b32 v49, v55, v54, s44
	v_mfma_f32_16x16x16_bf16 v[22:25], v[38:39], v[2:3], v[22:25]
	v_cvt_pk_f32_fp8_sdwa v[38:39], v21 src0_sel:WORD_1
	v_perm_b32 v40, v41, v40, s44
	v_perm_b32 v41, v19, v18, s44
	v_mfma_f32_16x16x16_bf16 v[34:37], v[52:53], v[8:9], v[34:37]
	v_perm_b32 v46, v47, v46, s44
	v_perm_b32 v47, v39, v38, s44
	s_waitcnt vmcnt(4)
	v_cvt_pk_f32_fp8_e32 v[38:39], v14
	v_mfma_f32_16x16x16_bf16 v[18:21], v[48:49], v[4:5], v[22:25]
	v_cvt_pk_f32_fp8_sdwa v[50:51], v17 src0_sel:WORD_1
	v_mov_b32_e32 v48, s14
	v_mul_f32_e32 v48, s4, v48
	v_mfma_f32_16x16x16_bf16 v[22:25], v[40:41], v[2:3], v[34:37]
	v_cvt_pk_f32_fp8_sdwa v[40:41], v14 src0_sel:WORD_1
	v_mfma_f32_16x16x16_bf16 v[34:37], v[46:47], v[4:5], v[22:25]
	v_cvt_pk_f32_fp8_sdwa v[46:47], v16 src0_sel:WORD_1
	s_nop 3
	v_cvt_pk_f32_fp8_e32 v[22:23], v15
	v_perm_b32 v24, v39, v38, s44
	v_perm_b32 v25, v41, v40, s44
	v_cvt_pk_f32_fp8_sdwa v[14:15], v15 src0_sel:WORD_1
	v_perm_b32 v38, v23, v22, s44
	v_cvt_pk_f32_fp8_e32 v[40:41], v16
	v_mfma_f32_16x16x16_bf16 v[22:25], v[24:25], v[6:7], 0
	v_perm_b32 v39, v15, v14, s44
	v_perm_b32 v40, v41, v40, s44
	;; [unrolled: 1-line block ×3, first 2 shown]
	v_cvt_pk_f32_fp8_e32 v[46:47], v17
	v_mfma_f32_16x16x16_bf16 v[14:17], v[38:39], v[8:9], v[22:25]
	s_waitcnt vmcnt(3)
	v_cvt_pk_f32_fp8_sdwa v[38:39], v10 src0_sel:WORD_1
	v_pk_mul_f32 v[36:37], v[48:49], v[36:37] op_sel_hi:[0,1]
	v_perm_b32 v24, v47, v46, s44
	v_perm_b32 v25, v51, v50, s44
	v_pk_mul_f32 v[22:23], v[48:49], v[20:21] op_sel_hi:[0,1]
	v_mfma_f32_16x16x16_bf16 v[14:17], v[40:41], v[2:3], v[14:17]
	v_pk_mul_f32 v[20:21], v[48:49], v[18:19] op_sel_hi:[0,1]
	v_cvt_pk_f32_fp8_e32 v[18:19], v10
	v_cvt_pk_f32_fp8_e32 v[46:47], v12
	v_mfma_f32_16x16x16_bf16 v[14:17], v[24:25], v[4:5], v[14:17]
	v_cvt_pk_f32_fp8_e32 v[24:25], v11
	v_perm_b32 v18, v19, v18, s44
	v_perm_b32 v19, v39, v38, s44
	v_cvt_pk_f32_fp8_sdwa v[10:11], v11 src0_sel:WORD_1
	v_perm_b32 v24, v25, v24, s44
	v_cvt_pk_f32_fp8_sdwa v[50:51], v12 src0_sel:WORD_1
	v_mfma_f32_16x16x16_bf16 v[38:41], v[18:19], v[6:7], 0
	v_perm_b32 v25, v11, v10, s44
	v_perm_b32 v10, v47, v46, s44
	;; [unrolled: 1-line block ×3, first 2 shown]
	v_cvt_pk_f32_fp8_e32 v[18:19], v13
	v_cvt_pk_f32_fp8_sdwa v[12:13], v13 src0_sel:WORD_1
	v_mfma_f32_16x16x16_bf16 v[6:9], v[24:25], v[8:9], v[38:41]
	v_perm_b32 v18, v19, v18, s44
	v_perm_b32 v19, v13, v12, s44
	v_mfma_f32_16x16x16_bf16 v[6:9], v[10:11], v[2:3], v[6:9]
	v_pk_mul_f32 v[40:41], v[48:49], v[34:35] op_sel_hi:[0,1]
	v_pk_mul_f32 v[38:39], v[48:49], v[14:15] op_sel_hi:[0,1]
	v_pk_mul_f32 v[34:35], v[48:49], v[16:17] op_sel_hi:[0,1]
	v_mfma_f32_16x16x16_bf16 v[2:5], v[18:19], v[4:5], v[6:9]
	s_nop 6
	v_pk_mul_f32 v[24:25], v[48:49], v[2:3] op_sel_hi:[0,1]
	v_and_b32_e32 v2, 0xc0, v0
	v_add_u32_e32 v2, s5, v2
	v_lshl_or_b32 v2, v1, 2, v2
	v_pk_mul_f32 v[18:19], v[48:49], v[4:5] op_sel_hi:[0,1]
	v_or_b32_e32 v5, 1, v2
	v_mov_b32_e32 v3, 0xff7fffff
	v_cmp_gt_i32_e64 s[4:5], s33, v2
	v_cmp_gt_i32_e64 s[34:35], s33, v5
	v_or_b32_e32 v6, 3, v2
	v_cndmask_b32_e64 v4, v3, v20, s[4:5]
	v_cndmask_b32_e64 v5, v3, v21, s[34:35]
	v_max3_f32 v4, v4, s46, v5
	v_or_b32_e32 v5, 2, v2
	v_cmp_gt_i32_e64 s[36:37], s33, v5
	v_cmp_gt_i32_e64 s[38:39], s33, v6
	s_nop 0
	v_cndmask_b32_e64 v5, v3, v22, s[36:37]
	v_cndmask_b32_e64 v6, v3, v23, s[38:39]
	v_max3_f32 v4, v4, v5, v6
	v_or_b32_e32 v5, 16, v2
	v_or_b32_e32 v6, 17, v2
	v_cmp_gt_i32_e64 s[24:25], s33, v5
	v_cmp_gt_i32_e64 s[26:27], s33, v6
	s_nop 0
	v_cndmask_b32_e64 v5, v3, v40, s[24:25]
	v_cndmask_b32_e64 v6, v3, v41, s[26:27]
	v_max3_f32 v4, v4, v5, v6
	v_or_b32_e32 v5, 18, v2
	;; [unrolled: 8-line block ×6, first 2 shown]
	v_or_b32_e32 v2, 51, v2
	v_cmp_gt_i32_e32 vcc, s33, v5
	v_cmp_gt_i32_e64 s[6:7], s33, v2
	s_nop 0
	v_cndmask_b32_e32 v5, v3, v18, vcc
	v_cndmask_b32_e64 v2, v3, v19, s[6:7]
	v_max3_f32 v4, v4, v5, v2
	v_mbcnt_lo_u32_b32 v2, -1, 0
	v_mbcnt_hi_u32_b32 v5, -1, v2
	v_and_b32_e32 v2, 64, v5
	v_add_u32_e32 v6, 64, v2
	v_xor_b32_e32 v2, 32, v5
	v_cmp_lt_i32_e64 s[40:41], v2, v6
	s_nop 1
	v_cndmask_b32_e64 v2, v5, v2, s[40:41]
	v_lshlrev_b32_e32 v46, 2, v2
	ds_bpermute_b32 v7, v46, v4
	s_waitcnt vmcnt(2)
	v_mad_i64_i32 v[2:3], s[40:41], v45, s45, v[30:31]
	global_load_dwordx4 v[14:17], v[32:33], off
	global_load_dwordx4 v[10:13], v[2:3], off
	v_xor_b32_e32 v3, 16, v5
	v_cmp_lt_i32_e64 s[40:41], v3, v6
	s_waitcnt lgkmcnt(0)
	v_max_f32_e32 v2, v7, v7
	v_max_f32_e32 v2, v4, v2
	v_cndmask_b32_e64 v3, v5, v3, s[40:41]
	v_lshlrev_b32_e32 v45, 2, v3
	ds_bpermute_b32 v3, v45, v2
	s_waitcnt vmcnt(3)
	v_mad_i64_i32 v[32:33], s[40:41], v27, s45, v[30:31]
	s_waitcnt vmcnt(2)
	v_mad_i64_i32 v[30:31], s[40:41], v44, s45, v[30:31]
	s_waitcnt lgkmcnt(0)
	v_max_f32_e32 v3, v3, v3
	v_max_f32_e32 v27, v2, v3
	v_sub_f32_e32 v2, v20, v27
	v_mul_f32_e32 v2, 0x3fb8aa3b, v2
	v_exp_f32_e32 v20, v2
	v_sub_f32_e32 v2, v21, v27
	v_mul_f32_e32 v2, 0x3fb8aa3b, v2
	v_exp_f32_e32 v21, v2
	global_load_dwordx4 v[6:9], v[32:33], off
	global_load_dwordx4 v[2:5], v[30:31], off
	v_sub_f32_e32 v22, v22, v27
	v_mul_f32_e32 v22, 0x3fb8aa3b, v22
	v_sub_f32_e32 v23, v23, v27
	v_exp_f32_e32 v22, v22
	v_mul_f32_e32 v23, 0x3fb8aa3b, v23
	v_exp_f32_e32 v23, v23
	v_cndmask_b32_e64 v20, 0, v20, s[4:5]
	v_add_f32_e32 v30, 0, v20
	v_cndmask_b32_e64 v21, 0, v21, s[34:35]
	v_add_f32_e32 v30, v30, v21
	v_cndmask_b32_e64 v32, 0, v22, s[36:37]
	v_add_f32_e32 v22, v30, v32
	v_cndmask_b32_e64 v33, 0, v23, s[38:39]
	v_sub_f32_e32 v23, v40, v27
	v_sub_f32_e32 v30, v41, v27
	v_mul_f32_e32 v23, 0x3fb8aa3b, v23
	v_mul_f32_e32 v30, 0x3fb8aa3b, v30
	v_exp_f32_e32 v23, v23
	v_exp_f32_e32 v30, v30
	v_add_f32_e32 v31, v22, v33
	v_sub_f32_e32 v34, v34, v27
	v_cndmask_b32_e64 v22, 0, v23, s[24:25]
	v_cndmask_b32_e64 v23, 0, v30, s[26:27]
	v_sub_f32_e32 v30, v36, v27
	v_mul_f32_e32 v30, 0x3fb8aa3b, v30
	v_exp_f32_e32 v30, v30
	v_sub_f32_e32 v36, v37, v27
	v_add_f32_e32 v31, v31, v22
	v_mul_f32_e32 v36, 0x3fb8aa3b, v36
	v_exp_f32_e32 v37, v36
	v_add_f32_e32 v31, v31, v23
	v_cndmask_b32_e64 v36, 0, v30, s[20:21]
	v_add_f32_e32 v30, v31, v36
	v_sub_f32_e32 v31, v38, v27
	v_mul_f32_e32 v31, 0x3fb8aa3b, v31
	v_sub_f32_e32 v38, v39, v27
	v_exp_f32_e32 v31, v31
	v_mul_f32_e32 v38, 0x3fb8aa3b, v38
	v_exp_f32_e32 v38, v38
	v_mul_f32_e32 v34, 0x3fb8aa3b, v34
	v_sub_f32_e32 v35, v35, v27
	v_exp_f32_e32 v34, v34
	v_mul_f32_e32 v35, 0x3fb8aa3b, v35
	v_sub_f32_e32 v24, v24, v27
	v_cndmask_b32_e64 v37, 0, v37, s[22:23]
	v_exp_f32_e32 v35, v35
	v_mul_f32_e32 v24, 0x3fb8aa3b, v24
	v_sub_f32_e32 v25, v25, v27
	v_add_f32_e32 v39, v30, v37
	v_cndmask_b32_e64 v30, 0, v31, s[16:17]
	v_exp_f32_e32 v24, v24
	v_mul_f32_e32 v25, 0x3fb8aa3b, v25
	v_sub_f32_e32 v18, v18, v27
	v_add_f32_e32 v39, v39, v30
	;; [unrolled: 5-line block ×3, first 2 shown]
	v_cndmask_b32_e64 v34, 0, v34, s[12:13]
	v_exp_f32_e32 v18, v18
	v_mul_f32_e32 v19, 0x3fb8aa3b, v19
	v_add_f32_e32 v38, v38, v34
	v_cndmask_b32_e64 v35, 0, v35, s[14:15]
	v_exp_f32_e32 v19, v19
	v_add_f32_e32 v38, v38, v35
	v_cndmask_b32_e64 v24, 0, v24, s[8:9]
	v_add_f32_e32 v38, v38, v24
	v_cndmask_b32_e64 v25, 0, v25, s[10:11]
	v_add_f32_e32 v38, v38, v25
	v_cndmask_b32_e32 v18, 0, v18, vcc
	v_add_f32_e32 v38, v38, v18
	v_cndmask_b32_e64 v19, 0, v19, s[6:7]
	v_add_f32_e32 v38, v38, v19
	ds_bpermute_b32 v39, v46, v38
	v_cmp_gt_u32_e32 vcc, 16, v43
	s_waitcnt lgkmcnt(0)
	s_barrier
	v_add_f32_e32 v39, v38, v39
	ds_bpermute_b32 v40, v45, v39
	v_lshlrev_b32_e32 v38, 2, v28
	s_and_saveexec_b64 s[4:5], vcc
	s_cbranch_execz .LBB1119_13
; %bb.12:
	s_waitcnt lgkmcnt(0)
	v_add_f32_e32 v39, v39, v40
	v_lshl_or_b32 v40, v29, 6, v38
	ds_write2st64_b32 v40, v27, v39 offset1:1
.LBB1119_13:
	s_or_b64 exec, exec, s[4:5]
	s_load_dword s6, s[0:1], 0x94
	s_waitcnt lgkmcnt(0)
	s_barrier
	ds_read2_b32 v[40:41], v38 offset1:16
	ds_read2_b32 v[44:45], v38 offset0:32 offset1:48
	ds_read2_b32 v[46:47], v38 offset0:64 offset1:80
	s_movk_i32 s8, 0x7fff
	s_mul_i32 s7, s29, 12
	s_waitcnt lgkmcnt(2)
	v_max3_f32 v27, v40, s46, v41
	s_waitcnt lgkmcnt(1)
	v_max3_f32 v27, v27, v44, v45
	v_sub_f32_e32 v39, v40, v27
	v_sub_f32_e32 v40, v41, v27
	v_mul_f32_e32 v40, 0x3fb8aa3b, v40
	v_mul_f32_e32 v39, 0x3fb8aa3b, v39
	v_exp_f32_e32 v43, v40
	v_sub_f32_e32 v40, v44, v27
	v_exp_f32_e32 v39, v39
	v_mul_f32_e32 v40, 0x3fb8aa3b, v40
	v_exp_f32_e32 v44, v40
	ds_read2_b32 v[40:41], v38 offset0:96 offset1:112
	v_sub_f32_e32 v38, v45, v27
	v_mul_f32_e32 v38, 0x3fb8aa3b, v38
	v_exp_f32_e32 v45, v38
	s_waitcnt lgkmcnt(1)
	v_fma_f32 v38, v39, v46, 0
	v_fmac_f32_e32 v38, v43, v47
	s_waitcnt lgkmcnt(0)
	v_fmac_f32_e32 v38, v44, v40
	v_fmac_f32_e32 v38, v45, v41
	v_add_f32_e32 v40, 0x358637bd, v38
	v_div_scale_f32 v41, s[4:5], v40, v40, 1.0
	v_rcp_f32_e32 v46, v41
	s_barrier
	v_fma_f32 v47, -v41, v46, 1.0
	v_fmac_f32_e32 v46, v47, v46
	v_div_scale_f32 v47, vcc, 1.0, v40, 1.0
	v_mul_f32_e32 v48, v47, v46
	v_fma_f32 v49, -v41, v48, v47
	v_fmac_f32_e32 v48, v49, v46
	v_fma_f32 v41, -v41, v48, v47
	v_div_fmas_f32 v41, v41, v46, v48
	v_cmp_eq_u32_e32 vcc, 1, v29
	v_div_fixup_f32 v40, v41, v40, 1.0
	s_nop 0
	v_cndmask_b32_e32 v39, v39, v43, vcc
	v_cmp_eq_u32_e32 vcc, 2, v29
	s_nop 1
	v_cndmask_b32_e32 v39, v39, v44, vcc
	v_cmp_eq_u32_e32 vcc, 3, v29
	v_lshlrev_b32_e32 v29, 11, v29
	s_nop 0
	v_cndmask_b32_e32 v39, v39, v45, vcc
	v_mul_f32_e32 v40, v39, v40
	v_pk_mul_f32 v[20:21], v[40:41], v[20:21] op_sel_hi:[0,1]
	v_pk_mul_f32 v[32:33], v[40:41], v[32:33] op_sel_hi:[0,1]
	v_bfe_u32 v39, v21, 16, 1
	v_bfe_u32 v41, v20, 16, 1
	v_add3_u32 v20, v20, v41, s8
	v_add3_u32 v21, v21, v39, s8
	v_perm_b32 v44, v21, v20, s44
	v_bfe_u32 v20, v33, 16, 1
	v_bfe_u32 v21, v32, 16, 1
	v_add3_u32 v21, v32, v21, s8
	v_add3_u32 v20, v33, v20, s8
	v_perm_b32 v45, v20, v21, s44
	v_lshlrev_b32_e32 v20, 3, v1
	v_lshlrev_b32_e32 v21, 5, v28
	v_pk_mul_f32 v[22:23], v[40:41], v[22:23] op_sel_hi:[0,1]
	v_or3_b32 v20, v29, v21, v20
	v_pk_mul_f32 v[32:33], v[40:41], v[36:37] op_sel_hi:[0,1]
	v_bfe_u32 v29, v23, 16, 1
	v_bfe_u32 v36, v22, 16, 1
	v_add3_u32 v22, v22, v36, s8
	v_add3_u32 v23, v23, v29, s8
	v_perm_b32 v22, v23, v22, s44
	v_bfe_u32 v23, v33, 16, 1
	v_bfe_u32 v29, v32, 16, 1
	v_add3_u32 v29, v32, v29, s8
	v_add3_u32 v23, v33, v23, s8
	v_pk_mul_f32 v[30:31], v[40:41], v[30:31] op_sel_hi:[0,1]
	v_perm_b32 v23, v23, v29, s44
	v_bfe_u32 v29, v31, 16, 1
	v_bfe_u32 v32, v30, 16, 1
	ds_write2st64_b64 v20, v[44:45], v[22:23] offset1:1
	v_pk_mul_f32 v[22:23], v[40:41], v[34:35] op_sel_hi:[0,1]
	v_add3_u32 v30, v30, v32, s8
	v_add3_u32 v29, v31, v29, s8
	v_perm_b32 v30, v29, v30, s44
	v_bfe_u32 v29, v23, 16, 1
	v_bfe_u32 v31, v22, 16, 1
	v_add3_u32 v22, v22, v31, s8
	v_add3_u32 v23, v23, v29, s8
	v_perm_b32 v31, v23, v22, s44
	v_pk_mul_f32 v[22:23], v[40:41], v[24:25] op_sel_hi:[0,1]
	v_bfe_u32 v24, v23, 16, 1
	v_bfe_u32 v25, v22, 16, 1
	v_pk_mul_f32 v[18:19], v[40:41], v[18:19] op_sel_hi:[0,1]
	v_add3_u32 v22, v22, v25, s8
	v_add3_u32 v23, v23, v24, s8
	v_perm_b32 v22, v23, v22, s44
	v_bfe_u32 v23, v19, 16, 1
	v_bfe_u32 v24, v18, 16, 1
	v_add3_u32 v18, v18, v24, s8
	v_add3_u32 v19, v19, v23, s8
	v_perm_b32 v23, v19, v18, s44
	v_cmp_gt_u32_e32 vcc, 12, v0
	ds_write2st64_b64 v20, v[30:31], v[22:23] offset0:2 offset1:3
	s_and_saveexec_b64 s[4:5], vcc
	s_cbranch_execz .LBB1119_15
; %bb.14:
	s_mov_b32 s49, 0
	v_mov_b32_e32 v29, 0
	v_lshl_add_u64 v[18:19], s[48:49], 0, v[28:29]
	v_mov_b32_e32 v22, s7
	v_mad_u64_u32 v[18:19], s[10:11], s2, v22, v[18:19]
	s_mul_i32 s3, s3, s7
	v_mov_b32_e32 v28, s28
	s_load_dwordx4 s[12:15], s[0:1], 0x58
	v_add_u32_e32 v23, s3, v19
	v_mad_u64_u32 v[18:19], s[10:11], v18, s6, v[28:29]
	v_mov_b32_e32 v22, v19
	v_mad_u64_u32 v[22:23], s[10:11], v23, s6, v[22:23]
	v_mov_b32_e32 v19, v22
	v_lshlrev_b64 v[18:19], 2, v[18:19]
	s_waitcnt lgkmcnt(0)
	v_lshl_add_u64 v[22:23], s[14:15], 0, v[18:19]
	v_lshl_add_u64 v[18:19], s[12:13], 0, v[18:19]
	global_store_dword v[22:23], v27, off
	global_store_dword v[18:19], v38, off
.LBB1119_15:
	s_or_b64 exec, exec, s[4:5]
	s_waitcnt vmcnt(3)
	v_cvt_pk_f32_fp8_e32 v[18:19], v14
	v_cvt_pk_f32_fp8_sdwa v[22:23], v14 src0_sel:WORD_1
	s_mov_b32 s4, 0x7060302
	v_lshl_or_b32 v14, v1, 9, v21
	s_waitcnt lgkmcnt(0)
	s_barrier
	v_perm_b32 v18, v19, v18, s4
	v_perm_b32 v19, v23, v22, s4
	v_cvt_pk_f32_fp8_e32 v[28:29], v15
	ds_read_b128 v[22:25], v14
	v_cvt_pk_f32_fp8_sdwa v[36:37], v15 src0_sel:WORD_1
	s_load_dword s10, s[42:43], 0x0
	v_perm_b32 v38, v29, v28, s4
	ds_read_b128 v[28:31], v14 offset:16
	v_perm_b32 v39, v37, v36, s4
	s_waitcnt lgkmcnt(0)
	v_mfma_f32_16x16x16_bf16 v[32:35], v[18:19], v[22:23], 0
	v_cvt_pk_f32_fp8_e32 v[18:19], v16
	v_cvt_pk_f32_fp8_sdwa v[36:37], v16 src0_sel:WORD_1
	v_cmp_gt_u32_e32 vcc, 64, v0
	v_mfma_f32_16x16x16_bf16 v[22:25], v[38:39], v[24:25], v[32:35]
	v_perm_b32 v18, v19, v18, s4
	v_perm_b32 v19, v37, v36, s4
	s_waitcnt vmcnt(2)
	v_cvt_pk_f32_fp8_sdwa v[36:37], v10 src0_sel:WORD_1
	v_cvt_pk_f32_fp8_e32 v[32:33], v17
	v_cvt_pk_f32_fp8_sdwa v[16:17], v17 src0_sel:WORD_1
	v_cvt_pk_f32_fp8_e32 v[34:35], v10
	s_mov_b32 s3, 0
	v_perm_b32 v32, v33, v32, s4
	v_perm_b32 v33, v17, v16, s4
	v_mfma_f32_16x16x16_bf16 v[16:19], v[18:19], v[28:29], v[22:25]
	v_perm_b32 v34, v35, v34, s4
	v_perm_b32 v35, v37, v36, s4
	v_cvt_pk_f32_fp8_e32 v[28:29], v11
	ds_read_b128 v[22:25], v14 offset:2048
	v_cvt_pk_f32_fp8_sdwa v[10:11], v11 src0_sel:WORD_1
	v_mfma_f32_16x16x16_bf16 v[16:19], v[32:33], v[30:31], v[16:19]
	v_perm_b32 v32, v29, v28, s4
	ds_read_b128 v[28:31], v14 offset:2064
	v_perm_b32 v33, v11, v10, s4
	s_waitcnt lgkmcnt(1)
	v_mfma_f32_16x16x16_bf16 v[16:19], v[34:35], v[22:23], v[16:19]
	v_cvt_pk_f32_fp8_e32 v[10:11], v12
	v_cvt_pk_f32_fp8_sdwa v[22:23], v12 src0_sel:WORD_1
	v_mov_b32_e32 v27, 0
	v_mfma_f32_16x16x16_bf16 v[16:19], v[32:33], v[24:25], v[16:19]
	v_cvt_pk_f32_fp8_e32 v[24:25], v13
	v_perm_b32 v10, v11, v10, s4
	v_perm_b32 v11, v23, v22, s4
	v_cvt_pk_f32_fp8_sdwa v[12:13], v13 src0_sel:WORD_1
	v_perm_b32 v22, v25, v24, s4
	s_waitcnt vmcnt(1)
	v_cvt_pk_f32_fp8_e32 v[24:25], v6
	v_cvt_pk_f32_fp8_sdwa v[32:33], v6 src0_sel:WORD_1
	v_perm_b32 v23, v13, v12, s4
	s_waitcnt lgkmcnt(0)
	v_mfma_f32_16x16x16_bf16 v[10:13], v[10:11], v[28:29], v[16:19]
	v_perm_b32 v28, v25, v24, s4
	v_perm_b32 v29, v33, v32, s4
	v_cvt_pk_f32_fp8_e32 v[24:25], v7
	ds_read_b128 v[16:19], v14 offset:4096
	v_cvt_pk_f32_fp8_sdwa v[6:7], v7 src0_sel:WORD_1
	v_mfma_f32_16x16x16_bf16 v[10:13], v[22:23], v[30:31], v[10:13]
	v_perm_b32 v30, v25, v24, s4
	ds_read_b128 v[22:25], v14 offset:4112
	v_perm_b32 v31, v7, v6, s4
	s_waitcnt lgkmcnt(1)
	v_mfma_f32_16x16x16_bf16 v[10:13], v[28:29], v[16:17], v[10:13]
	v_cvt_pk_f32_fp8_e32 v[6:7], v8
	v_cvt_pk_f32_fp8_sdwa v[16:17], v8 src0_sel:WORD_1
	s_waitcnt vmcnt(0)
	v_cvt_pk_f32_fp8_sdwa v[28:29], v2 src0_sel:WORD_1
	v_mfma_f32_16x16x16_bf16 v[10:13], v[30:31], v[18:19], v[10:13]
	v_cvt_pk_f32_fp8_e32 v[18:19], v9
	v_perm_b32 v6, v7, v6, s4
	v_perm_b32 v7, v17, v16, s4
	v_cvt_pk_f32_fp8_sdwa v[8:9], v9 src0_sel:WORD_1
	v_perm_b32 v16, v19, v18, s4
	v_cvt_pk_f32_fp8_e32 v[18:19], v2
	v_perm_b32 v17, v9, v8, s4
	s_waitcnt lgkmcnt(0)
	v_mfma_f32_16x16x16_bf16 v[6:9], v[6:7], v[22:23], v[10:13]
	v_perm_b32 v18, v19, v18, s4
	v_perm_b32 v19, v29, v28, s4
	v_cvt_pk_f32_fp8_e32 v[22:23], v3
	ds_read_b128 v[10:13], v14 offset:6144
	v_cvt_pk_f32_fp8_sdwa v[2:3], v3 src0_sel:WORD_1
	v_mfma_f32_16x16x16_bf16 v[6:9], v[16:17], v[24:25], v[6:9]
	v_perm_b32 v22, v23, v22, s4
	ds_read_b128 v[14:17], v14 offset:6160
	v_perm_b32 v23, v3, v2, s4
	s_waitcnt lgkmcnt(1)
	v_mfma_f32_16x16x16_bf16 v[6:9], v[18:19], v[10:11], v[6:9]
	v_cvt_pk_f32_fp8_e32 v[2:3], v4
	v_cvt_pk_f32_fp8_sdwa v[10:11], v4 src0_sel:WORD_1
	s_waitcnt lgkmcnt(0)
	v_mfma_f32_16x16x16_bf16 v[6:9], v[22:23], v[12:13], v[6:9]
	v_perm_b32 v2, v3, v2, s4
	v_perm_b32 v3, v11, v10, s4
	v_cvt_pk_f32_fp8_e32 v[10:11], v5
	v_cvt_pk_f32_fp8_sdwa v[4:5], v5 src0_sel:WORD_1
	s_barrier
	v_perm_b32 v10, v11, v10, s4
	v_perm_b32 v11, v5, v4, s4
	v_mfma_f32_16x16x16_bf16 v[2:5], v[2:3], v[14:15], v[6:9]
	s_nop 0
	v_mfma_f32_16x16x16_bf16 v[2:5], v[10:11], v[16:17], v[2:5]
	s_nop 6
	v_pk_mul_f32 v[2:3], v[2:3], s[10:11] op_sel_hi:[1,0]
	v_pk_mul_f32 v[4:5], v[4:5], s[10:11] op_sel_hi:[1,0]
	v_bfe_u32 v6, v3, 16, 1
	v_bfe_u32 v7, v2, 16, 1
	v_add3_u32 v2, v2, v7, s8
	v_add3_u32 v3, v3, v6, s8
	v_perm_b32 v2, v3, v2, s4
	v_bfe_u32 v3, v5, 16, 1
	v_bfe_u32 v6, v4, 16, 1
	v_add3_u32 v4, v4, v6, s8
	v_add3_u32 v3, v5, v3, s8
	v_perm_b32 v3, v3, v4, s4
	s_and_b64 s[4:5], vcc, s[30:31]
	ds_write_b64 v20, v[2:3]
	s_waitcnt lgkmcnt(0)
	s_barrier
	s_and_saveexec_b64 s[8:9], s[4:5]
	s_cbranch_execz .LBB1119_17
; %bb.16:
	s_load_dwordx2 s[0:1], s[0:1], 0x68
	s_lshl_b32 s6, s6, 6
	s_mul_i32 s2, s7, s2
	s_mul_hi_u32 s5, s2, s6
	s_mul_i32 s4, s2, s6
	s_lshl_b64 s[4:5], s[4:5], 1
	s_waitcnt lgkmcnt(0)
	s_add_u32 s4, s0, s4
	v_lshlrev_b32_e32 v0, 10, v0
	s_addc_u32 s5, s1, s5
	s_lshl_b32 s2, s28, 6
	v_and_b32_e32 v0, 0x1800, v0
	v_lshlrev_b32_e32 v2, 5, v1
	v_and_b32_e32 v3, 16, v42
	s_lshl_b64 s[0:1], s[2:3], 1
	v_or3_b32 v0, v0, v2, v3
	s_add_u32 s0, s4, s0
	ds_read_b128 v[2:5], v0
	ds_read_b128 v[6:9], v0 offset:128
	ds_read_b128 v[10:13], v0 offset:256
	s_addc_u32 s1, s5, s1
	v_or_b32_e32 v16, s48, v1
	v_lshl_add_u64 v[0:1], s[0:1], 0, v[26:27]
	v_mad_u64_u32 v[14:15], s[0:1], v16, s6, 0
	v_lshl_add_u64 v[14:15], v[14:15], 1, v[0:1]
	s_waitcnt lgkmcnt(2)
	global_store_dwordx4 v[14:15], v[2:5], off
	s_nop 1
	v_add_u32_e32 v2, 4, v16
	v_mad_u64_u32 v[2:3], s[0:1], v2, s6, 0
	v_lshl_add_u64 v[2:3], v[2:3], 1, v[0:1]
	s_waitcnt lgkmcnt(1)
	global_store_dwordx4 v[2:3], v[6:9], off
	v_add_u32_e32 v2, 8, v16
	v_mad_u64_u32 v[2:3], s[0:1], v2, s6, 0
	v_lshl_add_u64 v[0:1], v[2:3], 1, v[0:1]
	s_waitcnt lgkmcnt(0)
	global_store_dwordx4 v[0:1], v[10:13], off
.LBB1119_17:
	s_endpgm
	.section	.rodata,"a",@progbits
	.p2align	6, 0x0
	.amdhsa_kernel _Z39paged_attention_ll4mi_QKV_mfma16_kernelI14__hip_bfloat16hLN4vllm18Fp8KVCacheDataTypeE1EhLi16ELi64ELi256ELb0ELi12EEvPKT_PKT0_S8_ifPKiSA_SA_iPKfiiiPfSD_PS3_PT2_iSC_SC_
		.amdhsa_group_segment_fixed_size 8192
		.amdhsa_private_segment_fixed_size 0
		.amdhsa_kernarg_size 400
		.amdhsa_user_sgpr_count 2
		.amdhsa_user_sgpr_dispatch_ptr 0
		.amdhsa_user_sgpr_queue_ptr 0
		.amdhsa_user_sgpr_kernarg_segment_ptr 1
		.amdhsa_user_sgpr_dispatch_id 0
		.amdhsa_user_sgpr_kernarg_preload_length 0
		.amdhsa_user_sgpr_kernarg_preload_offset 0
		.amdhsa_user_sgpr_private_segment_size 0
		.amdhsa_uses_dynamic_stack 0
		.amdhsa_enable_private_segment 0
		.amdhsa_system_sgpr_workgroup_id_x 1
		.amdhsa_system_sgpr_workgroup_id_y 1
		.amdhsa_system_sgpr_workgroup_id_z 1
		.amdhsa_system_sgpr_workgroup_info 0
		.amdhsa_system_vgpr_workitem_id 0
		.amdhsa_next_free_vgpr 58
		.amdhsa_next_free_sgpr 50
		.amdhsa_accum_offset 60
		.amdhsa_reserve_vcc 1
		.amdhsa_float_round_mode_32 0
		.amdhsa_float_round_mode_16_64 0
		.amdhsa_float_denorm_mode_32 3
		.amdhsa_float_denorm_mode_16_64 3
		.amdhsa_dx10_clamp 1
		.amdhsa_ieee_mode 1
		.amdhsa_fp16_overflow 0
		.amdhsa_tg_split 0
		.amdhsa_exception_fp_ieee_invalid_op 0
		.amdhsa_exception_fp_denorm_src 0
		.amdhsa_exception_fp_ieee_div_zero 0
		.amdhsa_exception_fp_ieee_overflow 0
		.amdhsa_exception_fp_ieee_underflow 0
		.amdhsa_exception_fp_ieee_inexact 0
		.amdhsa_exception_int_div_zero 0
	.end_amdhsa_kernel
	.section	.text._Z39paged_attention_ll4mi_QKV_mfma16_kernelI14__hip_bfloat16hLN4vllm18Fp8KVCacheDataTypeE1EhLi16ELi64ELi256ELb0ELi12EEvPKT_PKT0_S8_ifPKiSA_SA_iPKfiiiPfSD_PS3_PT2_iSC_SC_,"axG",@progbits,_Z39paged_attention_ll4mi_QKV_mfma16_kernelI14__hip_bfloat16hLN4vllm18Fp8KVCacheDataTypeE1EhLi16ELi64ELi256ELb0ELi12EEvPKT_PKT0_S8_ifPKiSA_SA_iPKfiiiPfSD_PS3_PT2_iSC_SC_,comdat
.Lfunc_end1119:
	.size	_Z39paged_attention_ll4mi_QKV_mfma16_kernelI14__hip_bfloat16hLN4vllm18Fp8KVCacheDataTypeE1EhLi16ELi64ELi256ELb0ELi12EEvPKT_PKT0_S8_ifPKiSA_SA_iPKfiiiPfSD_PS3_PT2_iSC_SC_, .Lfunc_end1119-_Z39paged_attention_ll4mi_QKV_mfma16_kernelI14__hip_bfloat16hLN4vllm18Fp8KVCacheDataTypeE1EhLi16ELi64ELi256ELb0ELi12EEvPKT_PKT0_S8_ifPKiSA_SA_iPKfiiiPfSD_PS3_PT2_iSC_SC_
                                        ; -- End function
	.section	.AMDGPU.csdata,"",@progbits
; Kernel info:
; codeLenInByte = 4848
; NumSgprs: 56
; NumVgprs: 58
; NumAgprs: 0
; TotalNumVgprs: 58
; ScratchSize: 0
; MemoryBound: 0
; FloatMode: 240
; IeeeMode: 1
; LDSByteSize: 8192 bytes/workgroup (compile time only)
; SGPRBlocks: 6
; VGPRBlocks: 7
; NumSGPRsForWavesPerEU: 56
; NumVGPRsForWavesPerEU: 58
; AccumOffset: 60
; Occupancy: 8
; WaveLimiterHint : 1
; COMPUTE_PGM_RSRC2:SCRATCH_EN: 0
; COMPUTE_PGM_RSRC2:USER_SGPR: 2
; COMPUTE_PGM_RSRC2:TRAP_HANDLER: 0
; COMPUTE_PGM_RSRC2:TGID_X_EN: 1
; COMPUTE_PGM_RSRC2:TGID_Y_EN: 1
; COMPUTE_PGM_RSRC2:TGID_Z_EN: 1
; COMPUTE_PGM_RSRC2:TIDIG_COMP_CNT: 0
; COMPUTE_PGM_RSRC3_GFX90A:ACCUM_OFFSET: 14
; COMPUTE_PGM_RSRC3_GFX90A:TG_SPLIT: 0
	.section	.text._Z39paged_attention_ll4mi_QKV_mfma16_kernelI14__hip_bfloat16hLN4vllm18Fp8KVCacheDataTypeE1EhLi16ELi64ELi256ELb0ELi13EEvPKT_PKT0_S8_ifPKiSA_SA_iPKfiiiPfSD_PS3_PT2_iSC_SC_,"axG",@progbits,_Z39paged_attention_ll4mi_QKV_mfma16_kernelI14__hip_bfloat16hLN4vllm18Fp8KVCacheDataTypeE1EhLi16ELi64ELi256ELb0ELi13EEvPKT_PKT0_S8_ifPKiSA_SA_iPKfiiiPfSD_PS3_PT2_iSC_SC_,comdat
	.protected	_Z39paged_attention_ll4mi_QKV_mfma16_kernelI14__hip_bfloat16hLN4vllm18Fp8KVCacheDataTypeE1EhLi16ELi64ELi256ELb0ELi13EEvPKT_PKT0_S8_ifPKiSA_SA_iPKfiiiPfSD_PS3_PT2_iSC_SC_ ; -- Begin function _Z39paged_attention_ll4mi_QKV_mfma16_kernelI14__hip_bfloat16hLN4vllm18Fp8KVCacheDataTypeE1EhLi16ELi64ELi256ELb0ELi13EEvPKT_PKT0_S8_ifPKiSA_SA_iPKfiiiPfSD_PS3_PT2_iSC_SC_
	.globl	_Z39paged_attention_ll4mi_QKV_mfma16_kernelI14__hip_bfloat16hLN4vllm18Fp8KVCacheDataTypeE1EhLi16ELi64ELi256ELb0ELi13EEvPKT_PKT0_S8_ifPKiSA_SA_iPKfiiiPfSD_PS3_PT2_iSC_SC_
	.p2align	8
	.type	_Z39paged_attention_ll4mi_QKV_mfma16_kernelI14__hip_bfloat16hLN4vllm18Fp8KVCacheDataTypeE1EhLi16ELi64ELi256ELb0ELi13EEvPKT_PKT0_S8_ifPKiSA_SA_iPKfiiiPfSD_PS3_PT2_iSC_SC_,@function
_Z39paged_attention_ll4mi_QKV_mfma16_kernelI14__hip_bfloat16hLN4vllm18Fp8KVCacheDataTypeE1EhLi16ELi64ELi256ELb0ELi13EEvPKT_PKT0_S8_ifPKiSA_SA_iPKfiiiPfSD_PS3_PT2_iSC_SC_: ; @_Z39paged_attention_ll4mi_QKV_mfma16_kernelI14__hip_bfloat16hLN4vllm18Fp8KVCacheDataTypeE1EhLi16ELi64ELi256ELb0ELi13EEvPKT_PKT0_S8_ifPKiSA_SA_iPKfiiiPfSD_PS3_PT2_iSC_SC_
; %bb.0:
	s_load_dwordx2 s[12:13], s[0:1], 0x30
	s_mov_b32 s28, s3
	s_mov_b64 s[6:7], 0
	s_waitcnt lgkmcnt(0)
	s_cmp_lg_u64 s[12:13], 0
	s_cselect_b64 s[14:15], -1, 0
	s_and_b64 vcc, exec, s[14:15]
	s_cbranch_vccz .LBB1120_7
; %bb.1:
	s_add_i32 s8, s2, 1
	s_mov_b32 s9, 0
	s_lshl_b64 s[10:11], s[8:9], 2
	s_add_u32 s10, s12, s10
	s_mov_b32 s3, s9
	s_addc_u32 s11, s13, s11
	s_lshl_b64 s[8:9], s[2:3], 2
	s_add_u32 s8, s12, s8
	s_addc_u32 s9, s13, s9
	s_load_dword s5, s[10:11], 0x0
	s_load_dword s16, s[8:9], 0x0
	s_waitcnt lgkmcnt(0)
	s_sub_i32 s5, s5, s16
	s_cmp_eq_u32 s5, 1
	s_cselect_b64 s[8:9], -1, 0
	s_andn2_b64 vcc, exec, s[6:7]
	s_cbranch_vccnz .LBB1120_3
.LBB1120_2:
	s_mov_b32 s3, 0
	s_mov_b64 s[8:9], -1
.LBB1120_3:
	s_andn2_b64 vcc, exec, s[8:9]
	s_cbranch_vccnz .LBB1120_18
; %bb.4:
	s_load_dwordx2 s[6:7], s[0:1], 0x28
	s_lshl_b64 s[16:17], s[2:3], 2
	s_waitcnt lgkmcnt(0)
	s_add_u32 s6, s6, s16
	s_addc_u32 s7, s7, s17
	s_load_dword s33, s[6:7], 0x0
	s_lshl_b32 s5, s28, 8
	s_waitcnt lgkmcnt(0)
	s_cmp_ge_i32 s5, s33
	s_cbranch_scc1 .LBB1120_18
; %bb.5:
	s_load_dwordx2 s[6:7], s[0:1], 0x20
	s_load_dword s8, s[0:1], 0x38
	s_add_i32 s9, s33, 15
	s_ashr_i32 s10, s9, 31
	v_and_b32_e32 v1, 0xcf, v0
	s_lshr_b32 s10, s10, 28
	v_add_u32_e32 v1, s5, v1
	s_add_i32 s9, s9, s10
	v_ashrrev_i32_e32 v2, 31, v1
	s_ashr_i32 s18, s9, 4
	v_lshrrev_b32_e32 v4, 28, v2
	s_add_i32 s18, s18, -1
	s_waitcnt lgkmcnt(0)
	s_mul_i32 s8, s2, s8
	s_mov_b32 s9, 0
	v_add_u32_e32 v2, v1, v4
	s_lshl_b64 s[8:9], s[8:9], 2
	v_ashrrev_i32_e32 v2, 4, v2
	v_mov_b32_e32 v5, s18
	v_cmp_gt_i32_e32 vcc, s33, v1
	s_add_u32 s6, s6, s8
	s_addc_u32 s7, s7, s9
	v_cndmask_b32_e32 v2, v5, v2, vcc
	v_ashrrev_i32_e32 v3, 31, v2
	v_lshl_add_u64 v[6:7], v[2:3], 2, s[6:7]
	v_or_b32_e32 v2, 16, v1
	v_add_u32_e32 v3, v2, v4
	v_ashrrev_i32_e32 v3, 4, v3
	v_cmp_gt_i32_e32 vcc, s33, v2
	s_load_dwordx4 s[8:11], s[0:1], 0x8
	s_nop 0
	v_cndmask_b32_e32 v2, v5, v3, vcc
	v_ashrrev_i32_e32 v3, 31, v2
	v_lshl_add_u64 v[8:9], v[2:3], 2, s[6:7]
	v_or_b32_e32 v2, 32, v1
	v_add_u32_e32 v3, v2, v4
	v_ashrrev_i32_e32 v3, 4, v3
	v_cmp_gt_i32_e32 vcc, s33, v2
	v_or_b32_e32 v1, 48, v1
	s_nop 0
	v_cndmask_b32_e32 v2, v5, v3, vcc
	v_ashrrev_i32_e32 v3, 31, v2
	v_lshl_add_u64 v[10:11], v[2:3], 2, s[6:7]
	v_add_u32_e32 v2, v1, v4
	v_ashrrev_i32_e32 v2, 4, v2
	v_cmp_gt_i32_e32 vcc, s33, v1
	s_nop 1
	v_cndmask_b32_e32 v2, v5, v2, vcc
	v_ashrrev_i32_e32 v3, 31, v2
	v_lshl_add_u64 v[14:15], v[2:3], 2, s[6:7]
	global_load_dword v4, v[6:7], off
	global_load_dword v3, v[8:9], off
	;; [unrolled: 1-line block ×4, first 2 shown]
	s_andn2_b64 vcc, exec, s[14:15]
	s_cbranch_vccnz .LBB1120_8
; %bb.6:
	s_add_u32 s12, s12, s16
	s_addc_u32 s13, s13, s17
	s_load_dword s14, s[12:13], 0x0
	s_branch .LBB1120_9
.LBB1120_7:
	s_mov_b64 s[8:9], 0
	s_branch .LBB1120_2
.LBB1120_8:
	s_mov_b32 s14, s2
.LBB1120_9:
	s_load_dwordx4 s[44:47], s[0:1], 0x48
	v_lshrrev_b32_e32 v29, 6, v0
	v_bfe_u32 v42, v0, 4, 2
	v_lshl_or_b32 v5, v29, 2, v42
	v_and_b32_e32 v28, 15, v0
	v_lshlrev_b32_e32 v1, 3, v28
	v_cmp_gt_u32_e32 vcc, 13, v5
	v_cmp_gt_u32_e64 s[30:31], 8, v28
	v_and_b32_e32 v43, 63, v0
	s_mul_i32 s48, s4, 13
	s_and_b64 s[16:17], s[30:31], vcc
	v_lshlrev_b32_e32 v26, 1, v1
	v_lshlrev_b32_e32 v1, 4, v0
	s_and_saveexec_b64 s[12:13], s[16:17]
	s_cbranch_execz .LBB1120_11
; %bb.10:
	s_load_dwordx2 s[16:17], s[0:1], 0x0
	s_waitcnt lgkmcnt(0)
	s_ashr_i32 s15, s44, 31
	s_mul_hi_u32 s19, s14, s44
	s_mul_i32 s15, s14, s15
	s_add_i32 s15, s19, s15
	s_mul_i32 s14, s14, s44
	s_lshl_b64 s[14:15], s[14:15], 1
	s_add_u32 s14, s16, s14
	v_add_lshl_u32 v6, v5, s48, 6
	s_addc_u32 s15, s17, s15
	v_ashrrev_i32_e32 v7, 31, v6
	v_lshl_add_u64 v[6:7], v[6:7], 1, s[14:15]
	v_mov_b32_e32 v27, 0
	v_lshl_add_u64 v[6:7], v[6:7], 0, v[26:27]
	global_load_dwordx4 v[6:9], v[6:7], off
	v_lshlrev_b32_e32 v11, 8, v28
	v_lshlrev_b32_e32 v5, 5, v5
	v_and_b32_e32 v10, 16, v1
	v_and_b32_e32 v11, 0xe00, v11
	v_or3_b32 v5, v11, v5, v10
	s_waitcnt vmcnt(0)
	ds_write_b128 v5, v[6:9]
.LBB1120_11:
	s_or_b64 exec, exec, s[12:13]
	s_waitcnt lgkmcnt(0)
	s_mul_i32 s4, s4, s46
	s_add_u32 s8, s8, s4
	s_addc_u32 s9, s9, 0
	v_and_b32_e32 v8, 48, v0
	v_and_b32_e32 v30, 0xf0, v1
	v_mov_b32_e32 v31, 0
	v_lshl_add_u64 v[6:7], s[8:9], 0, v[30:31]
	v_lshlrev_b32_e32 v30, 4, v8
	v_or_b32_e32 v8, s5, v8
	v_lshl_add_u64 v[10:11], v[6:7], 0, v[30:31]
	v_ashrrev_i32_e32 v6, 4, v8
	v_mov_b32_e32 v27, s18
	v_cmp_gt_i32_e32 vcc, s33, v8
	s_load_dword s29, s[0:1], 0x98
	s_load_dwordx4 s[40:43], s[0:1], 0x80
	v_cndmask_b32_e32 v6, v27, v6, vcc
	v_ashrrev_i32_e32 v7, 31, v6
	v_lshl_add_u64 v[6:7], v[6:7], 2, s[6:7]
	s_waitcnt lgkmcnt(0)
	s_barrier
	s_waitcnt vmcnt(3)
	v_mad_i64_i32 v[4:5], s[8:9], v4, s45, v[10:11]
	global_load_dword v38, v[6:7], off
	global_load_dwordx4 v[22:25], v[4:5], off
	s_waitcnt vmcnt(4)
	v_mad_i64_i32 v[4:5], s[8:9], v3, s45, v[10:11]
	global_load_dwordx4 v[18:21], v[4:5], off
	s_waitcnt vmcnt(4)
	v_mad_i64_i32 v[2:3], s[8:9], v2, s45, v[10:11]
	global_load_dwordx4 v[14:17], v[2:3], off
	v_add_u32_e32 v4, -13, v28
	v_cmp_gt_u32_e32 vcc, 13, v28
	v_or_b32_e32 v13, 64, v8
	s_waitcnt vmcnt(4)
	v_mad_i64_i32 v[10:11], s[12:13], v12, s45, v[10:11]
	v_cndmask_b32_e32 v2, v4, v28, vcc
	v_lshlrev_b32_e32 v2, 5, v2
	v_lshl_add_u32 v2, v42, 9, v2
	v_or_b32_e32 v33, 0x80, v8
	v_or_b32_e32 v35, 0xc0, v8
	v_ashrrev_i32_e32 v32, 4, v13
	ds_read_b128 v[6:9], v2
	ds_read_b128 v[2:5], v2 offset:16
	v_cmp_gt_i32_e32 vcc, s33, v13
	global_load_dwordx4 v[10:13], v[10:11], off
	v_ashrrev_i32_e32 v34, 4, v33
	v_cndmask_b32_e32 v32, v27, v32, vcc
	v_cmp_gt_i32_e32 vcc, s33, v33
	v_ashrrev_i32_e32 v36, 4, v35
	v_ashrrev_i32_e32 v33, 31, v32
	v_cndmask_b32_e32 v34, v27, v34, vcc
	v_cmp_gt_i32_e32 vcc, s33, v35
	v_ashrrev_i32_e32 v35, 31, v34
	v_lshl_add_u64 v[32:33], v[32:33], 2, s[6:7]
	v_cndmask_b32_e32 v36, v27, v36, vcc
	v_ashrrev_i32_e32 v37, 31, v36
	v_lshl_add_u64 v[34:35], v[34:35], 2, s[6:7]
	v_lshl_add_u64 v[36:37], v[36:37], 2, s[6:7]
	s_add_u32 s8, s10, s4
	s_load_dword s4, s[40:41], 0x0
	global_load_dword v45, v[32:33], off
	global_load_dword v27, v[34:35], off
	;; [unrolled: 1-line block ×3, first 2 shown]
	v_lshlrev_b32_e32 v30, 4, v28
	s_addc_u32 s9, s11, 0
	v_lshl_or_b32 v30, v29, 8, v30
	s_mov_b32 s44, 0x7060302
	v_lshl_add_u64 v[30:31], s[8:9], 0, v[30:31]
	s_load_dword s14, s[0:1], 0x1c
	s_mov_b32 s46, 0xff7fffff
	s_waitcnt vmcnt(7)
	v_mad_i64_i32 v[32:33], s[6:7], v38, s45, v[30:31]
	s_waitcnt vmcnt(6)
	v_cvt_pk_f32_fp8_e32 v[34:35], v22
	v_cvt_pk_f32_fp8_sdwa v[36:37], v22 src0_sel:WORD_1
	v_cvt_pk_f32_fp8_e32 v[38:39], v23
	v_cvt_pk_f32_fp8_sdwa v[40:41], v23 src0_sel:WORD_1
	v_perm_b32 v34, v35, v34, s44
	v_perm_b32 v35, v37, v36, s44
	s_waitcnt vmcnt(5)
	v_cvt_pk_f32_fp8_e32 v[22:23], v18
	v_cvt_pk_f32_fp8_sdwa v[52:53], v18 src0_sel:WORD_1
	v_perm_b32 v38, v39, v38, s44
	v_perm_b32 v39, v41, v40, s44
	v_cvt_pk_f32_fp8_e32 v[46:47], v24
	v_cvt_pk_f32_fp8_sdwa v[48:49], v24 src0_sel:WORD_1
	v_cvt_pk_f32_fp8_e32 v[50:51], v25
	v_cvt_pk_f32_fp8_sdwa v[54:55], v25 src0_sel:WORD_1
	v_perm_b32 v36, v23, v22, s44
	s_waitcnt lgkmcnt(0)
	v_mfma_f32_16x16x16_bf16 v[22:25], v[34:35], v[6:7], 0
	v_cvt_pk_f32_fp8_e32 v[56:57], v19
	v_perm_b32 v37, v53, v52, s44
	v_cvt_pk_f32_fp8_sdwa v[18:19], v19 src0_sel:WORD_1
	v_mfma_f32_16x16x16_bf16 v[22:25], v[38:39], v[8:9], v[22:25]
	v_perm_b32 v38, v47, v46, s44
	v_perm_b32 v39, v49, v48, s44
	v_cvt_pk_f32_fp8_e32 v[40:41], v20
	v_perm_b32 v52, v57, v56, s44
	v_perm_b32 v53, v19, v18, s44
	v_cvt_pk_f32_fp8_sdwa v[18:19], v20 src0_sel:WORD_1
	v_mfma_f32_16x16x16_bf16 v[34:37], v[36:37], v[6:7], 0
	v_cvt_pk_f32_fp8_e32 v[46:47], v21
	v_perm_b32 v48, v51, v50, s44
	v_perm_b32 v49, v55, v54, s44
	v_mfma_f32_16x16x16_bf16 v[22:25], v[38:39], v[2:3], v[22:25]
	v_cvt_pk_f32_fp8_sdwa v[38:39], v21 src0_sel:WORD_1
	v_perm_b32 v40, v41, v40, s44
	v_perm_b32 v41, v19, v18, s44
	v_mfma_f32_16x16x16_bf16 v[34:37], v[52:53], v[8:9], v[34:37]
	v_perm_b32 v46, v47, v46, s44
	v_perm_b32 v47, v39, v38, s44
	s_waitcnt vmcnt(4)
	v_cvt_pk_f32_fp8_e32 v[38:39], v14
	v_mfma_f32_16x16x16_bf16 v[18:21], v[48:49], v[4:5], v[22:25]
	v_cvt_pk_f32_fp8_sdwa v[50:51], v17 src0_sel:WORD_1
	v_mov_b32_e32 v48, s14
	v_mul_f32_e32 v48, s4, v48
	v_mfma_f32_16x16x16_bf16 v[22:25], v[40:41], v[2:3], v[34:37]
	v_cvt_pk_f32_fp8_sdwa v[40:41], v14 src0_sel:WORD_1
	v_mfma_f32_16x16x16_bf16 v[34:37], v[46:47], v[4:5], v[22:25]
	v_cvt_pk_f32_fp8_sdwa v[46:47], v16 src0_sel:WORD_1
	s_nop 3
	v_cvt_pk_f32_fp8_e32 v[22:23], v15
	v_perm_b32 v24, v39, v38, s44
	v_perm_b32 v25, v41, v40, s44
	v_cvt_pk_f32_fp8_sdwa v[14:15], v15 src0_sel:WORD_1
	v_perm_b32 v38, v23, v22, s44
	v_cvt_pk_f32_fp8_e32 v[40:41], v16
	v_mfma_f32_16x16x16_bf16 v[22:25], v[24:25], v[6:7], 0
	v_perm_b32 v39, v15, v14, s44
	v_perm_b32 v40, v41, v40, s44
	;; [unrolled: 1-line block ×3, first 2 shown]
	v_cvt_pk_f32_fp8_e32 v[46:47], v17
	v_mfma_f32_16x16x16_bf16 v[14:17], v[38:39], v[8:9], v[22:25]
	s_waitcnt vmcnt(3)
	v_cvt_pk_f32_fp8_sdwa v[38:39], v10 src0_sel:WORD_1
	v_pk_mul_f32 v[36:37], v[48:49], v[36:37] op_sel_hi:[0,1]
	v_perm_b32 v24, v47, v46, s44
	v_perm_b32 v25, v51, v50, s44
	v_pk_mul_f32 v[22:23], v[48:49], v[20:21] op_sel_hi:[0,1]
	v_mfma_f32_16x16x16_bf16 v[14:17], v[40:41], v[2:3], v[14:17]
	v_pk_mul_f32 v[20:21], v[48:49], v[18:19] op_sel_hi:[0,1]
	v_cvt_pk_f32_fp8_e32 v[18:19], v10
	v_cvt_pk_f32_fp8_e32 v[46:47], v12
	v_mfma_f32_16x16x16_bf16 v[14:17], v[24:25], v[4:5], v[14:17]
	v_cvt_pk_f32_fp8_e32 v[24:25], v11
	v_perm_b32 v18, v19, v18, s44
	v_perm_b32 v19, v39, v38, s44
	v_cvt_pk_f32_fp8_sdwa v[10:11], v11 src0_sel:WORD_1
	v_perm_b32 v24, v25, v24, s44
	v_cvt_pk_f32_fp8_sdwa v[50:51], v12 src0_sel:WORD_1
	v_mfma_f32_16x16x16_bf16 v[38:41], v[18:19], v[6:7], 0
	v_perm_b32 v25, v11, v10, s44
	v_perm_b32 v10, v47, v46, s44
	;; [unrolled: 1-line block ×3, first 2 shown]
	v_cvt_pk_f32_fp8_e32 v[18:19], v13
	v_cvt_pk_f32_fp8_sdwa v[12:13], v13 src0_sel:WORD_1
	v_mfma_f32_16x16x16_bf16 v[6:9], v[24:25], v[8:9], v[38:41]
	v_perm_b32 v18, v19, v18, s44
	v_perm_b32 v19, v13, v12, s44
	v_mfma_f32_16x16x16_bf16 v[6:9], v[10:11], v[2:3], v[6:9]
	v_pk_mul_f32 v[40:41], v[48:49], v[34:35] op_sel_hi:[0,1]
	v_pk_mul_f32 v[38:39], v[48:49], v[14:15] op_sel_hi:[0,1]
	;; [unrolled: 1-line block ×3, first 2 shown]
	v_mfma_f32_16x16x16_bf16 v[2:5], v[18:19], v[4:5], v[6:9]
	s_nop 6
	v_pk_mul_f32 v[24:25], v[48:49], v[2:3] op_sel_hi:[0,1]
	v_and_b32_e32 v2, 0xc0, v0
	v_add_u32_e32 v2, s5, v2
	v_lshl_or_b32 v2, v42, 2, v2
	v_pk_mul_f32 v[18:19], v[48:49], v[4:5] op_sel_hi:[0,1]
	v_or_b32_e32 v5, 1, v2
	v_mov_b32_e32 v3, 0xff7fffff
	v_cmp_gt_i32_e64 s[4:5], s33, v2
	v_cmp_gt_i32_e64 s[34:35], s33, v5
	v_or_b32_e32 v6, 3, v2
	v_cndmask_b32_e64 v4, v3, v20, s[4:5]
	v_cndmask_b32_e64 v5, v3, v21, s[34:35]
	v_max3_f32 v4, v4, s46, v5
	v_or_b32_e32 v5, 2, v2
	v_cmp_gt_i32_e64 s[36:37], s33, v5
	v_cmp_gt_i32_e64 s[38:39], s33, v6
	s_nop 0
	v_cndmask_b32_e64 v5, v3, v22, s[36:37]
	v_cndmask_b32_e64 v6, v3, v23, s[38:39]
	v_max3_f32 v4, v4, v5, v6
	v_or_b32_e32 v5, 16, v2
	v_or_b32_e32 v6, 17, v2
	v_cmp_gt_i32_e64 s[24:25], s33, v5
	v_cmp_gt_i32_e64 s[26:27], s33, v6
	s_nop 0
	v_cndmask_b32_e64 v5, v3, v40, s[24:25]
	v_cndmask_b32_e64 v6, v3, v41, s[26:27]
	v_max3_f32 v4, v4, v5, v6
	v_or_b32_e32 v5, 18, v2
	;; [unrolled: 8-line block ×6, first 2 shown]
	v_or_b32_e32 v2, 51, v2
	v_cmp_gt_i32_e32 vcc, s33, v5
	v_cmp_gt_i32_e64 s[6:7], s33, v2
	s_nop 0
	v_cndmask_b32_e32 v5, v3, v18, vcc
	v_cndmask_b32_e64 v2, v3, v19, s[6:7]
	v_max3_f32 v4, v4, v5, v2
	v_mbcnt_lo_u32_b32 v2, -1, 0
	v_mbcnt_hi_u32_b32 v5, -1, v2
	v_and_b32_e32 v2, 64, v5
	v_add_u32_e32 v6, 64, v2
	v_xor_b32_e32 v2, 32, v5
	v_cmp_lt_i32_e64 s[40:41], v2, v6
	s_nop 1
	v_cndmask_b32_e64 v2, v5, v2, s[40:41]
	v_lshlrev_b32_e32 v46, 2, v2
	ds_bpermute_b32 v7, v46, v4
	s_waitcnt vmcnt(2)
	v_mad_i64_i32 v[2:3], s[40:41], v45, s45, v[30:31]
	global_load_dwordx4 v[14:17], v[32:33], off
	global_load_dwordx4 v[10:13], v[2:3], off
	v_xor_b32_e32 v3, 16, v5
	v_cmp_lt_i32_e64 s[40:41], v3, v6
	s_waitcnt lgkmcnt(0)
	v_max_f32_e32 v2, v7, v7
	v_max_f32_e32 v2, v4, v2
	v_cndmask_b32_e64 v3, v5, v3, s[40:41]
	v_lshlrev_b32_e32 v45, 2, v3
	ds_bpermute_b32 v3, v45, v2
	s_waitcnt vmcnt(3)
	v_mad_i64_i32 v[32:33], s[40:41], v27, s45, v[30:31]
	s_waitcnt vmcnt(2)
	v_mad_i64_i32 v[30:31], s[40:41], v44, s45, v[30:31]
	s_waitcnt lgkmcnt(0)
	v_max_f32_e32 v3, v3, v3
	v_max_f32_e32 v27, v2, v3
	v_sub_f32_e32 v2, v20, v27
	v_mul_f32_e32 v2, 0x3fb8aa3b, v2
	v_exp_f32_e32 v20, v2
	v_sub_f32_e32 v2, v21, v27
	v_mul_f32_e32 v2, 0x3fb8aa3b, v2
	v_exp_f32_e32 v21, v2
	global_load_dwordx4 v[6:9], v[32:33], off
	global_load_dwordx4 v[2:5], v[30:31], off
	v_sub_f32_e32 v22, v22, v27
	v_mul_f32_e32 v22, 0x3fb8aa3b, v22
	v_sub_f32_e32 v23, v23, v27
	v_exp_f32_e32 v22, v22
	v_mul_f32_e32 v23, 0x3fb8aa3b, v23
	v_exp_f32_e32 v23, v23
	v_cndmask_b32_e64 v20, 0, v20, s[4:5]
	v_add_f32_e32 v30, 0, v20
	v_cndmask_b32_e64 v21, 0, v21, s[34:35]
	v_add_f32_e32 v30, v30, v21
	;; [unrolled: 2-line block ×3, first 2 shown]
	v_cndmask_b32_e64 v33, 0, v23, s[38:39]
	v_sub_f32_e32 v23, v40, v27
	v_sub_f32_e32 v30, v41, v27
	v_mul_f32_e32 v23, 0x3fb8aa3b, v23
	v_mul_f32_e32 v30, 0x3fb8aa3b, v30
	v_exp_f32_e32 v23, v23
	v_exp_f32_e32 v30, v30
	v_add_f32_e32 v31, v22, v33
	v_sub_f32_e32 v34, v34, v27
	v_cndmask_b32_e64 v22, 0, v23, s[24:25]
	v_cndmask_b32_e64 v23, 0, v30, s[26:27]
	v_sub_f32_e32 v30, v36, v27
	v_mul_f32_e32 v30, 0x3fb8aa3b, v30
	v_exp_f32_e32 v30, v30
	v_sub_f32_e32 v36, v37, v27
	v_add_f32_e32 v31, v31, v22
	v_mul_f32_e32 v36, 0x3fb8aa3b, v36
	v_exp_f32_e32 v37, v36
	v_add_f32_e32 v31, v31, v23
	v_cndmask_b32_e64 v36, 0, v30, s[20:21]
	v_add_f32_e32 v30, v31, v36
	v_sub_f32_e32 v31, v38, v27
	v_mul_f32_e32 v31, 0x3fb8aa3b, v31
	v_sub_f32_e32 v38, v39, v27
	v_exp_f32_e32 v31, v31
	v_mul_f32_e32 v38, 0x3fb8aa3b, v38
	v_exp_f32_e32 v38, v38
	v_mul_f32_e32 v34, 0x3fb8aa3b, v34
	v_sub_f32_e32 v35, v35, v27
	v_exp_f32_e32 v34, v34
	v_mul_f32_e32 v35, 0x3fb8aa3b, v35
	v_sub_f32_e32 v24, v24, v27
	v_cndmask_b32_e64 v37, 0, v37, s[22:23]
	v_exp_f32_e32 v35, v35
	v_mul_f32_e32 v24, 0x3fb8aa3b, v24
	v_sub_f32_e32 v25, v25, v27
	v_add_f32_e32 v39, v30, v37
	v_cndmask_b32_e64 v30, 0, v31, s[16:17]
	v_exp_f32_e32 v24, v24
	v_mul_f32_e32 v25, 0x3fb8aa3b, v25
	v_sub_f32_e32 v18, v18, v27
	v_add_f32_e32 v39, v39, v30
	;; [unrolled: 5-line block ×3, first 2 shown]
	v_cndmask_b32_e64 v34, 0, v34, s[12:13]
	v_exp_f32_e32 v18, v18
	v_mul_f32_e32 v19, 0x3fb8aa3b, v19
	v_add_f32_e32 v38, v38, v34
	v_cndmask_b32_e64 v35, 0, v35, s[14:15]
	v_exp_f32_e32 v19, v19
	v_add_f32_e32 v38, v38, v35
	v_cndmask_b32_e64 v24, 0, v24, s[8:9]
	v_add_f32_e32 v38, v38, v24
	v_cndmask_b32_e64 v25, 0, v25, s[10:11]
	v_add_f32_e32 v38, v38, v25
	v_cndmask_b32_e32 v18, 0, v18, vcc
	v_add_f32_e32 v38, v38, v18
	v_cndmask_b32_e64 v19, 0, v19, s[6:7]
	v_add_f32_e32 v38, v38, v19
	ds_bpermute_b32 v39, v46, v38
	v_cmp_gt_u32_e64 s[6:7], 16, v43
	s_waitcnt lgkmcnt(0)
	s_barrier
	v_add_f32_e32 v39, v38, v39
	ds_bpermute_b32 v40, v45, v39
	v_lshlrev_b32_e32 v38, 2, v28
	s_and_saveexec_b64 s[4:5], s[6:7]
	s_cbranch_execz .LBB1120_13
; %bb.12:
	s_waitcnt lgkmcnt(0)
	v_add_f32_e32 v39, v39, v40
	v_lshl_or_b32 v40, v29, 6, v38
	ds_write2st64_b32 v40, v27, v39 offset1:1
.LBB1120_13:
	s_or_b64 exec, exec, s[4:5]
	s_load_dword s8, s[0:1], 0x94
	s_waitcnt lgkmcnt(0)
	s_barrier
	ds_read2_b32 v[40:41], v38 offset1:16
	ds_read2_b32 v[44:45], v38 offset0:32 offset1:48
	ds_read2_b32 v[46:47], v38 offset0:64 offset1:80
	s_movk_i32 s10, 0x7fff
	s_mul_i32 s9, s29, 13
	s_waitcnt lgkmcnt(2)
	v_max3_f32 v27, v40, s46, v41
	s_waitcnt lgkmcnt(1)
	v_max3_f32 v27, v27, v44, v45
	v_sub_f32_e32 v39, v40, v27
	v_sub_f32_e32 v40, v41, v27
	v_mul_f32_e32 v40, 0x3fb8aa3b, v40
	v_mul_f32_e32 v39, 0x3fb8aa3b, v39
	v_exp_f32_e32 v43, v40
	v_sub_f32_e32 v40, v44, v27
	v_exp_f32_e32 v39, v39
	v_mul_f32_e32 v40, 0x3fb8aa3b, v40
	v_exp_f32_e32 v44, v40
	ds_read2_b32 v[40:41], v38 offset0:96 offset1:112
	v_sub_f32_e32 v38, v45, v27
	v_mul_f32_e32 v38, 0x3fb8aa3b, v38
	v_exp_f32_e32 v45, v38
	s_waitcnt lgkmcnt(1)
	v_fma_f32 v38, v39, v46, 0
	v_fmac_f32_e32 v38, v43, v47
	s_waitcnt lgkmcnt(0)
	v_fmac_f32_e32 v38, v44, v40
	v_fmac_f32_e32 v38, v45, v41
	v_add_f32_e32 v40, 0x358637bd, v38
	v_div_scale_f32 v41, s[4:5], v40, v40, 1.0
	v_rcp_f32_e32 v46, v41
	s_barrier
	v_fma_f32 v47, -v41, v46, 1.0
	v_fmac_f32_e32 v46, v47, v46
	v_div_scale_f32 v47, vcc, 1.0, v40, 1.0
	v_mul_f32_e32 v48, v47, v46
	v_fma_f32 v49, -v41, v48, v47
	v_fmac_f32_e32 v48, v49, v46
	v_fma_f32 v41, -v41, v48, v47
	v_div_fmas_f32 v41, v41, v46, v48
	v_cmp_eq_u32_e32 vcc, 1, v29
	v_div_fixup_f32 v40, v41, v40, 1.0
	s_nop 0
	v_cndmask_b32_e32 v39, v39, v43, vcc
	v_cmp_eq_u32_e32 vcc, 2, v29
	s_nop 1
	v_cndmask_b32_e32 v39, v39, v44, vcc
	v_cmp_eq_u32_e32 vcc, 3, v29
	v_lshlrev_b32_e32 v29, 11, v29
	s_nop 0
	v_cndmask_b32_e32 v39, v39, v45, vcc
	v_mul_f32_e32 v40, v39, v40
	v_pk_mul_f32 v[20:21], v[40:41], v[20:21] op_sel_hi:[0,1]
	v_pk_mul_f32 v[32:33], v[40:41], v[32:33] op_sel_hi:[0,1]
	v_bfe_u32 v39, v21, 16, 1
	v_bfe_u32 v41, v20, 16, 1
	v_add3_u32 v20, v20, v41, s10
	v_add3_u32 v21, v21, v39, s10
	v_perm_b32 v44, v21, v20, s44
	v_bfe_u32 v20, v33, 16, 1
	v_bfe_u32 v21, v32, 16, 1
	v_add3_u32 v21, v32, v21, s10
	v_add3_u32 v20, v33, v20, s10
	v_perm_b32 v45, v20, v21, s44
	v_lshlrev_b32_e32 v20, 3, v42
	v_lshlrev_b32_e32 v21, 5, v28
	v_pk_mul_f32 v[22:23], v[40:41], v[22:23] op_sel_hi:[0,1]
	v_or3_b32 v20, v29, v21, v20
	v_pk_mul_f32 v[32:33], v[40:41], v[36:37] op_sel_hi:[0,1]
	v_bfe_u32 v29, v23, 16, 1
	v_bfe_u32 v36, v22, 16, 1
	v_add3_u32 v22, v22, v36, s10
	v_add3_u32 v23, v23, v29, s10
	v_perm_b32 v22, v23, v22, s44
	v_bfe_u32 v23, v33, 16, 1
	v_bfe_u32 v29, v32, 16, 1
	v_add3_u32 v29, v32, v29, s10
	v_add3_u32 v23, v33, v23, s10
	v_pk_mul_f32 v[30:31], v[40:41], v[30:31] op_sel_hi:[0,1]
	v_perm_b32 v23, v23, v29, s44
	v_bfe_u32 v29, v31, 16, 1
	v_bfe_u32 v32, v30, 16, 1
	ds_write2st64_b64 v20, v[44:45], v[22:23] offset1:1
	v_pk_mul_f32 v[22:23], v[40:41], v[34:35] op_sel_hi:[0,1]
	v_add3_u32 v30, v30, v32, s10
	v_add3_u32 v29, v31, v29, s10
	v_perm_b32 v30, v29, v30, s44
	v_bfe_u32 v29, v23, 16, 1
	v_bfe_u32 v31, v22, 16, 1
	v_add3_u32 v22, v22, v31, s10
	v_add3_u32 v23, v23, v29, s10
	v_perm_b32 v31, v23, v22, s44
	v_pk_mul_f32 v[22:23], v[40:41], v[24:25] op_sel_hi:[0,1]
	v_bfe_u32 v24, v23, 16, 1
	v_bfe_u32 v25, v22, 16, 1
	v_pk_mul_f32 v[18:19], v[40:41], v[18:19] op_sel_hi:[0,1]
	v_add3_u32 v22, v22, v25, s10
	v_add3_u32 v23, v23, v24, s10
	v_perm_b32 v22, v23, v22, s44
	v_bfe_u32 v23, v19, 16, 1
	v_bfe_u32 v24, v18, 16, 1
	v_add3_u32 v18, v18, v24, s10
	v_add3_u32 v19, v19, v23, s10
	v_perm_b32 v23, v19, v18, s44
	v_cmp_gt_u32_e32 vcc, 13, v0
	ds_write2st64_b64 v20, v[30:31], v[22:23] offset0:2 offset1:3
	s_and_saveexec_b64 s[4:5], vcc
	s_cbranch_execz .LBB1120_15
; %bb.14:
	s_mov_b32 s49, 0
	v_mov_b32_e32 v29, 0
	v_lshl_add_u64 v[18:19], s[48:49], 0, v[28:29]
	v_mov_b32_e32 v22, s9
	v_mad_u64_u32 v[18:19], s[16:17], s2, v22, v[18:19]
	s_mul_i32 s3, s3, s9
	v_mov_b32_e32 v28, s28
	s_load_dwordx4 s[12:15], s[0:1], 0x58
	v_add_u32_e32 v23, s3, v19
	v_mad_u64_u32 v[18:19], s[16:17], v18, s8, v[28:29]
	v_mov_b32_e32 v22, v19
	v_mad_u64_u32 v[22:23], s[16:17], v23, s8, v[22:23]
	v_mov_b32_e32 v19, v22
	v_lshlrev_b64 v[18:19], 2, v[18:19]
	s_waitcnt lgkmcnt(0)
	v_lshl_add_u64 v[22:23], s[14:15], 0, v[18:19]
	v_lshl_add_u64 v[18:19], s[12:13], 0, v[18:19]
	global_store_dword v[22:23], v27, off
	global_store_dword v[18:19], v38, off
.LBB1120_15:
	s_or_b64 exec, exec, s[4:5]
	s_waitcnt vmcnt(3)
	v_cvt_pk_f32_fp8_e32 v[18:19], v14
	v_cvt_pk_f32_fp8_sdwa v[22:23], v14 src0_sel:WORD_1
	s_mov_b32 s4, 0x7060302
	v_lshl_or_b32 v14, v42, 9, v21
	s_waitcnt lgkmcnt(0)
	s_barrier
	v_perm_b32 v18, v19, v18, s4
	v_perm_b32 v19, v23, v22, s4
	v_cvt_pk_f32_fp8_e32 v[28:29], v15
	ds_read_b128 v[22:25], v14
	v_cvt_pk_f32_fp8_sdwa v[36:37], v15 src0_sel:WORD_1
	s_load_dword s12, s[42:43], 0x0
	v_perm_b32 v38, v29, v28, s4
	ds_read_b128 v[28:31], v14 offset:16
	v_perm_b32 v39, v37, v36, s4
	s_waitcnt lgkmcnt(0)
	v_mfma_f32_16x16x16_bf16 v[32:35], v[18:19], v[22:23], 0
	v_cvt_pk_f32_fp8_e32 v[18:19], v16
	v_cvt_pk_f32_fp8_sdwa v[36:37], v16 src0_sel:WORD_1
	v_cmp_gt_u32_e32 vcc, 64, v0
	v_mfma_f32_16x16x16_bf16 v[22:25], v[38:39], v[24:25], v[32:35]
	v_perm_b32 v18, v19, v18, s4
	v_perm_b32 v19, v37, v36, s4
	s_waitcnt vmcnt(2)
	v_cvt_pk_f32_fp8_sdwa v[36:37], v10 src0_sel:WORD_1
	v_cvt_pk_f32_fp8_e32 v[32:33], v17
	v_cvt_pk_f32_fp8_sdwa v[16:17], v17 src0_sel:WORD_1
	v_cvt_pk_f32_fp8_e32 v[34:35], v10
	s_mov_b32 s3, 0
	v_perm_b32 v32, v33, v32, s4
	v_perm_b32 v33, v17, v16, s4
	v_mfma_f32_16x16x16_bf16 v[16:19], v[18:19], v[28:29], v[22:25]
	v_perm_b32 v34, v35, v34, s4
	v_perm_b32 v35, v37, v36, s4
	v_cvt_pk_f32_fp8_e32 v[28:29], v11
	ds_read_b128 v[22:25], v14 offset:2048
	v_cvt_pk_f32_fp8_sdwa v[10:11], v11 src0_sel:WORD_1
	v_mfma_f32_16x16x16_bf16 v[16:19], v[32:33], v[30:31], v[16:19]
	v_perm_b32 v32, v29, v28, s4
	ds_read_b128 v[28:31], v14 offset:2064
	v_perm_b32 v33, v11, v10, s4
	s_waitcnt lgkmcnt(1)
	v_mfma_f32_16x16x16_bf16 v[16:19], v[34:35], v[22:23], v[16:19]
	v_cvt_pk_f32_fp8_e32 v[10:11], v12
	v_cvt_pk_f32_fp8_sdwa v[22:23], v12 src0_sel:WORD_1
	v_mov_b32_e32 v27, 0
	v_mfma_f32_16x16x16_bf16 v[16:19], v[32:33], v[24:25], v[16:19]
	v_cvt_pk_f32_fp8_e32 v[24:25], v13
	v_perm_b32 v10, v11, v10, s4
	v_perm_b32 v11, v23, v22, s4
	v_cvt_pk_f32_fp8_sdwa v[12:13], v13 src0_sel:WORD_1
	v_perm_b32 v22, v25, v24, s4
	s_waitcnt vmcnt(1)
	v_cvt_pk_f32_fp8_e32 v[24:25], v6
	v_cvt_pk_f32_fp8_sdwa v[32:33], v6 src0_sel:WORD_1
	v_perm_b32 v23, v13, v12, s4
	s_waitcnt lgkmcnt(0)
	v_mfma_f32_16x16x16_bf16 v[10:13], v[10:11], v[28:29], v[16:19]
	v_perm_b32 v28, v25, v24, s4
	v_perm_b32 v29, v33, v32, s4
	v_cvt_pk_f32_fp8_e32 v[24:25], v7
	ds_read_b128 v[16:19], v14 offset:4096
	v_cvt_pk_f32_fp8_sdwa v[6:7], v7 src0_sel:WORD_1
	v_mfma_f32_16x16x16_bf16 v[10:13], v[22:23], v[30:31], v[10:13]
	v_perm_b32 v30, v25, v24, s4
	ds_read_b128 v[22:25], v14 offset:4112
	v_perm_b32 v31, v7, v6, s4
	s_waitcnt lgkmcnt(1)
	v_mfma_f32_16x16x16_bf16 v[10:13], v[28:29], v[16:17], v[10:13]
	v_cvt_pk_f32_fp8_e32 v[6:7], v8
	v_cvt_pk_f32_fp8_sdwa v[16:17], v8 src0_sel:WORD_1
	s_waitcnt vmcnt(0)
	v_cvt_pk_f32_fp8_sdwa v[28:29], v2 src0_sel:WORD_1
	v_mfma_f32_16x16x16_bf16 v[10:13], v[30:31], v[18:19], v[10:13]
	v_cvt_pk_f32_fp8_e32 v[18:19], v9
	v_perm_b32 v6, v7, v6, s4
	v_perm_b32 v7, v17, v16, s4
	v_cvt_pk_f32_fp8_sdwa v[8:9], v9 src0_sel:WORD_1
	v_perm_b32 v16, v19, v18, s4
	v_cvt_pk_f32_fp8_e32 v[18:19], v2
	v_perm_b32 v17, v9, v8, s4
	s_waitcnt lgkmcnt(0)
	v_mfma_f32_16x16x16_bf16 v[6:9], v[6:7], v[22:23], v[10:13]
	v_perm_b32 v18, v19, v18, s4
	v_perm_b32 v19, v29, v28, s4
	v_cvt_pk_f32_fp8_e32 v[22:23], v3
	ds_read_b128 v[10:13], v14 offset:6144
	v_cvt_pk_f32_fp8_sdwa v[2:3], v3 src0_sel:WORD_1
	v_mfma_f32_16x16x16_bf16 v[6:9], v[16:17], v[24:25], v[6:9]
	v_perm_b32 v22, v23, v22, s4
	ds_read_b128 v[14:17], v14 offset:6160
	v_perm_b32 v23, v3, v2, s4
	s_waitcnt lgkmcnt(1)
	v_mfma_f32_16x16x16_bf16 v[6:9], v[18:19], v[10:11], v[6:9]
	v_cvt_pk_f32_fp8_e32 v[2:3], v4
	v_cvt_pk_f32_fp8_sdwa v[10:11], v4 src0_sel:WORD_1
	s_waitcnt lgkmcnt(0)
	v_mfma_f32_16x16x16_bf16 v[6:9], v[22:23], v[12:13], v[6:9]
	v_perm_b32 v2, v3, v2, s4
	v_perm_b32 v3, v11, v10, s4
	v_cvt_pk_f32_fp8_e32 v[10:11], v5
	v_cvt_pk_f32_fp8_sdwa v[4:5], v5 src0_sel:WORD_1
	s_barrier
	v_perm_b32 v10, v11, v10, s4
	v_perm_b32 v11, v5, v4, s4
	v_mfma_f32_16x16x16_bf16 v[2:5], v[2:3], v[14:15], v[6:9]
	s_nop 0
	v_mfma_f32_16x16x16_bf16 v[2:5], v[10:11], v[16:17], v[2:5]
	s_nop 6
	v_pk_mul_f32 v[2:3], v[2:3], s[12:13] op_sel_hi:[1,0]
	v_pk_mul_f32 v[4:5], v[4:5], s[12:13] op_sel_hi:[1,0]
	v_bfe_u32 v6, v3, 16, 1
	v_bfe_u32 v7, v2, 16, 1
	v_add3_u32 v2, v2, v7, s10
	v_add3_u32 v3, v3, v6, s10
	v_perm_b32 v2, v3, v2, s4
	v_bfe_u32 v3, v5, 16, 1
	v_bfe_u32 v6, v4, 16, 1
	v_add3_u32 v4, v4, v6, s10
	v_add3_u32 v3, v5, v3, s10
	v_perm_b32 v3, v3, v4, s4
	s_and_b64 s[4:5], vcc, s[30:31]
	ds_write_b64 v20, v[2:3]
	s_waitcnt lgkmcnt(0)
	s_barrier
	s_and_saveexec_b64 s[10:11], s[4:5]
	s_cbranch_execz .LBB1120_18
; %bb.16:
	s_load_dwordx2 s[4:5], s[0:1], 0x68
	s_lshl_b32 s0, s8, 6
	s_mul_i32 s1, s9, s2
	s_mul_hi_u32 s9, s1, s0
	s_mul_i32 s8, s1, s0
	v_lshlrev_b32_e32 v0, 10, v0
	s_lshl_b64 s[8:9], s[8:9], 1
	v_and_b32_e32 v0, 0x1800, v0
	v_lshlrev_b32_e32 v2, 5, v42
	v_and_b32_e32 v1, 16, v1
	s_waitcnt lgkmcnt(0)
	s_add_u32 s1, s4, s8
	v_or3_b32 v2, v0, v2, v1
	s_addc_u32 s4, s5, s9
	s_lshl_b32 s2, s28, 6
	ds_read_b128 v[4:7], v2 offset:256
	s_lshl_b64 s[2:3], s[2:3], 1
	ds_read_b128 v[8:11], v2 offset:128
	ds_read_b128 v[12:15], v2
	s_add_u32 s2, s1, s2
	s_addc_u32 s3, s4, s3
	v_add_u32_e32 v3, s48, v42
	v_lshl_add_u64 v[0:1], s[2:3], 0, v[26:27]
	v_mad_u64_u32 v[16:17], s[2:3], v3, s0, 0
	v_lshl_add_u64 v[16:17], v[16:17], 1, v[0:1]
	s_waitcnt lgkmcnt(0)
	global_store_dwordx4 v[16:17], v[12:15], off
	s_nop 1
	v_add_u32_e32 v12, 4, v3
	v_mad_u64_u32 v[12:13], s[2:3], v12, s0, 0
	v_lshl_add_u64 v[12:13], v[12:13], 1, v[0:1]
	v_add_u32_e32 v3, 8, v3
	global_store_dwordx4 v[12:13], v[8:11], off
	s_nop 1
	v_mad_u64_u32 v[8:9], s[2:3], v3, s0, 0
	v_lshl_add_u64 v[8:9], v[8:9], 1, v[0:1]
	global_store_dwordx4 v[8:9], v[4:7], off
	s_and_b64 exec, exec, s[6:7]
	s_cbranch_execz .LBB1120_18
; %bb.17:
	ds_read_b128 v[2:5], v2 offset:384
	v_add3_u32 v6, s48, v42, 12
	v_mad_u64_u32 v[6:7], s[0:1], v6, s0, 0
	v_lshl_add_u64 v[0:1], v[6:7], 1, v[0:1]
	s_waitcnt lgkmcnt(0)
	global_store_dwordx4 v[0:1], v[2:5], off
.LBB1120_18:
	s_endpgm
	.section	.rodata,"a",@progbits
	.p2align	6, 0x0
	.amdhsa_kernel _Z39paged_attention_ll4mi_QKV_mfma16_kernelI14__hip_bfloat16hLN4vllm18Fp8KVCacheDataTypeE1EhLi16ELi64ELi256ELb0ELi13EEvPKT_PKT0_S8_ifPKiSA_SA_iPKfiiiPfSD_PS3_PT2_iSC_SC_
		.amdhsa_group_segment_fixed_size 8192
		.amdhsa_private_segment_fixed_size 0
		.amdhsa_kernarg_size 400
		.amdhsa_user_sgpr_count 2
		.amdhsa_user_sgpr_dispatch_ptr 0
		.amdhsa_user_sgpr_queue_ptr 0
		.amdhsa_user_sgpr_kernarg_segment_ptr 1
		.amdhsa_user_sgpr_dispatch_id 0
		.amdhsa_user_sgpr_kernarg_preload_length 0
		.amdhsa_user_sgpr_kernarg_preload_offset 0
		.amdhsa_user_sgpr_private_segment_size 0
		.amdhsa_uses_dynamic_stack 0
		.amdhsa_enable_private_segment 0
		.amdhsa_system_sgpr_workgroup_id_x 1
		.amdhsa_system_sgpr_workgroup_id_y 1
		.amdhsa_system_sgpr_workgroup_id_z 1
		.amdhsa_system_sgpr_workgroup_info 0
		.amdhsa_system_vgpr_workitem_id 0
		.amdhsa_next_free_vgpr 58
		.amdhsa_next_free_sgpr 50
		.amdhsa_accum_offset 60
		.amdhsa_reserve_vcc 1
		.amdhsa_float_round_mode_32 0
		.amdhsa_float_round_mode_16_64 0
		.amdhsa_float_denorm_mode_32 3
		.amdhsa_float_denorm_mode_16_64 3
		.amdhsa_dx10_clamp 1
		.amdhsa_ieee_mode 1
		.amdhsa_fp16_overflow 0
		.amdhsa_tg_split 0
		.amdhsa_exception_fp_ieee_invalid_op 0
		.amdhsa_exception_fp_denorm_src 0
		.amdhsa_exception_fp_ieee_div_zero 0
		.amdhsa_exception_fp_ieee_overflow 0
		.amdhsa_exception_fp_ieee_underflow 0
		.amdhsa_exception_fp_ieee_inexact 0
		.amdhsa_exception_int_div_zero 0
	.end_amdhsa_kernel
	.section	.text._Z39paged_attention_ll4mi_QKV_mfma16_kernelI14__hip_bfloat16hLN4vllm18Fp8KVCacheDataTypeE1EhLi16ELi64ELi256ELb0ELi13EEvPKT_PKT0_S8_ifPKiSA_SA_iPKfiiiPfSD_PS3_PT2_iSC_SC_,"axG",@progbits,_Z39paged_attention_ll4mi_QKV_mfma16_kernelI14__hip_bfloat16hLN4vllm18Fp8KVCacheDataTypeE1EhLi16ELi64ELi256ELb0ELi13EEvPKT_PKT0_S8_ifPKiSA_SA_iPKfiiiPfSD_PS3_PT2_iSC_SC_,comdat
.Lfunc_end1120:
	.size	_Z39paged_attention_ll4mi_QKV_mfma16_kernelI14__hip_bfloat16hLN4vllm18Fp8KVCacheDataTypeE1EhLi16ELi64ELi256ELb0ELi13EEvPKT_PKT0_S8_ifPKiSA_SA_iPKfiiiPfSD_PS3_PT2_iSC_SC_, .Lfunc_end1120-_Z39paged_attention_ll4mi_QKV_mfma16_kernelI14__hip_bfloat16hLN4vllm18Fp8KVCacheDataTypeE1EhLi16ELi64ELi256ELb0ELi13EEvPKT_PKT0_S8_ifPKiSA_SA_iPKfiiiPfSD_PS3_PT2_iSC_SC_
                                        ; -- End function
	.section	.AMDGPU.csdata,"",@progbits
; Kernel info:
; codeLenInByte = 4896
; NumSgprs: 56
; NumVgprs: 58
; NumAgprs: 0
; TotalNumVgprs: 58
; ScratchSize: 0
; MemoryBound: 0
; FloatMode: 240
; IeeeMode: 1
; LDSByteSize: 8192 bytes/workgroup (compile time only)
; SGPRBlocks: 6
; VGPRBlocks: 7
; NumSGPRsForWavesPerEU: 56
; NumVGPRsForWavesPerEU: 58
; AccumOffset: 60
; Occupancy: 8
; WaveLimiterHint : 1
; COMPUTE_PGM_RSRC2:SCRATCH_EN: 0
; COMPUTE_PGM_RSRC2:USER_SGPR: 2
; COMPUTE_PGM_RSRC2:TRAP_HANDLER: 0
; COMPUTE_PGM_RSRC2:TGID_X_EN: 1
; COMPUTE_PGM_RSRC2:TGID_Y_EN: 1
; COMPUTE_PGM_RSRC2:TGID_Z_EN: 1
; COMPUTE_PGM_RSRC2:TIDIG_COMP_CNT: 0
; COMPUTE_PGM_RSRC3_GFX90A:ACCUM_OFFSET: 14
; COMPUTE_PGM_RSRC3_GFX90A:TG_SPLIT: 0
	.section	.text._Z39paged_attention_ll4mi_QKV_mfma16_kernelI14__hip_bfloat16hLN4vllm18Fp8KVCacheDataTypeE1EhLi16ELi64ELi256ELb0ELi14EEvPKT_PKT0_S8_ifPKiSA_SA_iPKfiiiPfSD_PS3_PT2_iSC_SC_,"axG",@progbits,_Z39paged_attention_ll4mi_QKV_mfma16_kernelI14__hip_bfloat16hLN4vllm18Fp8KVCacheDataTypeE1EhLi16ELi64ELi256ELb0ELi14EEvPKT_PKT0_S8_ifPKiSA_SA_iPKfiiiPfSD_PS3_PT2_iSC_SC_,comdat
	.protected	_Z39paged_attention_ll4mi_QKV_mfma16_kernelI14__hip_bfloat16hLN4vllm18Fp8KVCacheDataTypeE1EhLi16ELi64ELi256ELb0ELi14EEvPKT_PKT0_S8_ifPKiSA_SA_iPKfiiiPfSD_PS3_PT2_iSC_SC_ ; -- Begin function _Z39paged_attention_ll4mi_QKV_mfma16_kernelI14__hip_bfloat16hLN4vllm18Fp8KVCacheDataTypeE1EhLi16ELi64ELi256ELb0ELi14EEvPKT_PKT0_S8_ifPKiSA_SA_iPKfiiiPfSD_PS3_PT2_iSC_SC_
	.globl	_Z39paged_attention_ll4mi_QKV_mfma16_kernelI14__hip_bfloat16hLN4vllm18Fp8KVCacheDataTypeE1EhLi16ELi64ELi256ELb0ELi14EEvPKT_PKT0_S8_ifPKiSA_SA_iPKfiiiPfSD_PS3_PT2_iSC_SC_
	.p2align	8
	.type	_Z39paged_attention_ll4mi_QKV_mfma16_kernelI14__hip_bfloat16hLN4vllm18Fp8KVCacheDataTypeE1EhLi16ELi64ELi256ELb0ELi14EEvPKT_PKT0_S8_ifPKiSA_SA_iPKfiiiPfSD_PS3_PT2_iSC_SC_,@function
_Z39paged_attention_ll4mi_QKV_mfma16_kernelI14__hip_bfloat16hLN4vllm18Fp8KVCacheDataTypeE1EhLi16ELi64ELi256ELb0ELi14EEvPKT_PKT0_S8_ifPKiSA_SA_iPKfiiiPfSD_PS3_PT2_iSC_SC_: ; @_Z39paged_attention_ll4mi_QKV_mfma16_kernelI14__hip_bfloat16hLN4vllm18Fp8KVCacheDataTypeE1EhLi16ELi64ELi256ELb0ELi14EEvPKT_PKT0_S8_ifPKiSA_SA_iPKfiiiPfSD_PS3_PT2_iSC_SC_
; %bb.0:
	s_load_dwordx2 s[12:13], s[0:1], 0x30
	s_mov_b32 s28, s3
	s_mov_b64 s[6:7], 0
	s_waitcnt lgkmcnt(0)
	s_cmp_lg_u64 s[12:13], 0
	s_cselect_b64 s[14:15], -1, 0
	s_and_b64 vcc, exec, s[14:15]
	s_cbranch_vccz .LBB1121_7
; %bb.1:
	s_add_i32 s8, s2, 1
	s_mov_b32 s9, 0
	s_lshl_b64 s[10:11], s[8:9], 2
	s_add_u32 s10, s12, s10
	s_mov_b32 s3, s9
	s_addc_u32 s11, s13, s11
	s_lshl_b64 s[8:9], s[2:3], 2
	s_add_u32 s8, s12, s8
	s_addc_u32 s9, s13, s9
	s_load_dword s5, s[10:11], 0x0
	s_load_dword s16, s[8:9], 0x0
	s_waitcnt lgkmcnt(0)
	s_sub_i32 s5, s5, s16
	s_cmp_eq_u32 s5, 1
	s_cselect_b64 s[8:9], -1, 0
	s_andn2_b64 vcc, exec, s[6:7]
	s_cbranch_vccnz .LBB1121_3
.LBB1121_2:
	s_mov_b32 s3, 0
	s_mov_b64 s[8:9], -1
.LBB1121_3:
	s_andn2_b64 vcc, exec, s[8:9]
	s_cbranch_vccnz .LBB1121_18
; %bb.4:
	s_load_dwordx2 s[6:7], s[0:1], 0x28
	s_lshl_b64 s[16:17], s[2:3], 2
	s_waitcnt lgkmcnt(0)
	s_add_u32 s6, s6, s16
	s_addc_u32 s7, s7, s17
	s_load_dword s33, s[6:7], 0x0
	s_lshl_b32 s5, s28, 8
	s_waitcnt lgkmcnt(0)
	s_cmp_ge_i32 s5, s33
	s_cbranch_scc1 .LBB1121_18
; %bb.5:
	s_load_dwordx2 s[6:7], s[0:1], 0x20
	s_load_dword s8, s[0:1], 0x38
	s_add_i32 s9, s33, 15
	s_ashr_i32 s10, s9, 31
	v_and_b32_e32 v1, 0xcf, v0
	s_lshr_b32 s10, s10, 28
	v_add_u32_e32 v1, s5, v1
	s_add_i32 s9, s9, s10
	v_ashrrev_i32_e32 v2, 31, v1
	s_ashr_i32 s18, s9, 4
	v_lshrrev_b32_e32 v4, 28, v2
	s_add_i32 s18, s18, -1
	s_waitcnt lgkmcnt(0)
	s_mul_i32 s8, s2, s8
	s_mov_b32 s9, 0
	v_add_u32_e32 v2, v1, v4
	s_lshl_b64 s[8:9], s[8:9], 2
	v_ashrrev_i32_e32 v2, 4, v2
	v_mov_b32_e32 v5, s18
	v_cmp_gt_i32_e32 vcc, s33, v1
	s_add_u32 s6, s6, s8
	s_addc_u32 s7, s7, s9
	v_cndmask_b32_e32 v2, v5, v2, vcc
	v_ashrrev_i32_e32 v3, 31, v2
	v_lshl_add_u64 v[6:7], v[2:3], 2, s[6:7]
	v_or_b32_e32 v2, 16, v1
	v_add_u32_e32 v3, v2, v4
	v_ashrrev_i32_e32 v3, 4, v3
	v_cmp_gt_i32_e32 vcc, s33, v2
	s_load_dwordx4 s[8:11], s[0:1], 0x8
	s_nop 0
	v_cndmask_b32_e32 v2, v5, v3, vcc
	v_ashrrev_i32_e32 v3, 31, v2
	v_lshl_add_u64 v[8:9], v[2:3], 2, s[6:7]
	v_or_b32_e32 v2, 32, v1
	v_add_u32_e32 v3, v2, v4
	v_ashrrev_i32_e32 v3, 4, v3
	v_cmp_gt_i32_e32 vcc, s33, v2
	v_or_b32_e32 v1, 48, v1
	s_nop 0
	v_cndmask_b32_e32 v2, v5, v3, vcc
	v_ashrrev_i32_e32 v3, 31, v2
	v_lshl_add_u64 v[10:11], v[2:3], 2, s[6:7]
	v_add_u32_e32 v2, v1, v4
	v_ashrrev_i32_e32 v2, 4, v2
	v_cmp_gt_i32_e32 vcc, s33, v1
	s_nop 1
	v_cndmask_b32_e32 v2, v5, v2, vcc
	v_ashrrev_i32_e32 v3, 31, v2
	v_lshl_add_u64 v[14:15], v[2:3], 2, s[6:7]
	global_load_dword v4, v[6:7], off
	global_load_dword v3, v[8:9], off
	;; [unrolled: 1-line block ×4, first 2 shown]
	s_andn2_b64 vcc, exec, s[14:15]
	s_cbranch_vccnz .LBB1121_8
; %bb.6:
	s_add_u32 s12, s12, s16
	s_addc_u32 s13, s13, s17
	s_load_dword s14, s[12:13], 0x0
	s_branch .LBB1121_9
.LBB1121_7:
	s_mov_b64 s[8:9], 0
	s_branch .LBB1121_2
.LBB1121_8:
	s_mov_b32 s14, s2
.LBB1121_9:
	s_load_dwordx4 s[44:47], s[0:1], 0x48
	v_lshrrev_b32_e32 v29, 6, v0
	v_bfe_u32 v42, v0, 4, 2
	v_lshl_or_b32 v5, v29, 2, v42
	v_and_b32_e32 v28, 15, v0
	v_lshlrev_b32_e32 v1, 3, v28
	v_cmp_gt_u32_e32 vcc, 14, v5
	v_cmp_gt_u32_e64 s[30:31], 8, v28
	v_and_b32_e32 v43, 63, v0
	s_mul_i32 s48, s4, 14
	s_and_b64 s[16:17], s[30:31], vcc
	v_lshlrev_b32_e32 v26, 1, v1
	v_lshlrev_b32_e32 v1, 4, v0
	s_and_saveexec_b64 s[12:13], s[16:17]
	s_cbranch_execz .LBB1121_11
; %bb.10:
	s_load_dwordx2 s[16:17], s[0:1], 0x0
	s_waitcnt lgkmcnt(0)
	s_ashr_i32 s15, s44, 31
	s_mul_hi_u32 s19, s14, s44
	s_mul_i32 s15, s14, s15
	s_add_i32 s15, s19, s15
	s_mul_i32 s14, s14, s44
	s_lshl_b64 s[14:15], s[14:15], 1
	s_add_u32 s14, s16, s14
	v_add_lshl_u32 v6, v5, s48, 6
	s_addc_u32 s15, s17, s15
	v_ashrrev_i32_e32 v7, 31, v6
	v_lshl_add_u64 v[6:7], v[6:7], 1, s[14:15]
	v_mov_b32_e32 v27, 0
	v_lshl_add_u64 v[6:7], v[6:7], 0, v[26:27]
	global_load_dwordx4 v[6:9], v[6:7], off
	v_lshlrev_b32_e32 v11, 8, v28
	v_lshlrev_b32_e32 v5, 5, v5
	v_and_b32_e32 v10, 16, v1
	v_and_b32_e32 v11, 0xe00, v11
	v_or3_b32 v5, v11, v5, v10
	s_waitcnt vmcnt(0)
	ds_write_b128 v5, v[6:9]
.LBB1121_11:
	s_or_b64 exec, exec, s[12:13]
	s_waitcnt lgkmcnt(0)
	s_mul_i32 s4, s4, s46
	s_add_u32 s8, s8, s4
	s_addc_u32 s9, s9, 0
	v_and_b32_e32 v8, 48, v0
	v_and_b32_e32 v30, 0xf0, v1
	v_mov_b32_e32 v31, 0
	v_lshl_add_u64 v[6:7], s[8:9], 0, v[30:31]
	v_lshlrev_b32_e32 v30, 4, v8
	v_or_b32_e32 v8, s5, v8
	v_lshl_add_u64 v[10:11], v[6:7], 0, v[30:31]
	v_ashrrev_i32_e32 v6, 4, v8
	v_mov_b32_e32 v27, s18
	v_cmp_gt_i32_e32 vcc, s33, v8
	s_load_dword s29, s[0:1], 0x98
	s_load_dwordx4 s[40:43], s[0:1], 0x80
	v_cndmask_b32_e32 v6, v27, v6, vcc
	v_ashrrev_i32_e32 v7, 31, v6
	v_lshl_add_u64 v[6:7], v[6:7], 2, s[6:7]
	s_waitcnt lgkmcnt(0)
	s_barrier
	s_waitcnt vmcnt(3)
	v_mad_i64_i32 v[4:5], s[8:9], v4, s45, v[10:11]
	global_load_dword v38, v[6:7], off
	global_load_dwordx4 v[22:25], v[4:5], off
	s_waitcnt vmcnt(4)
	v_mad_i64_i32 v[4:5], s[8:9], v3, s45, v[10:11]
	global_load_dwordx4 v[18:21], v[4:5], off
	s_waitcnt vmcnt(4)
	v_mad_i64_i32 v[2:3], s[8:9], v2, s45, v[10:11]
	global_load_dwordx4 v[14:17], v[2:3], off
	v_add_u32_e32 v4, -14, v28
	v_cmp_gt_u32_e32 vcc, 14, v28
	v_or_b32_e32 v13, 64, v8
	s_waitcnt vmcnt(4)
	v_mad_i64_i32 v[10:11], s[12:13], v12, s45, v[10:11]
	v_cndmask_b32_e32 v2, v4, v28, vcc
	v_lshlrev_b32_e32 v2, 5, v2
	v_lshl_add_u32 v2, v42, 9, v2
	v_or_b32_e32 v33, 0x80, v8
	v_or_b32_e32 v35, 0xc0, v8
	v_ashrrev_i32_e32 v32, 4, v13
	ds_read_b128 v[6:9], v2
	ds_read_b128 v[2:5], v2 offset:16
	v_cmp_gt_i32_e32 vcc, s33, v13
	global_load_dwordx4 v[10:13], v[10:11], off
	v_ashrrev_i32_e32 v34, 4, v33
	v_cndmask_b32_e32 v32, v27, v32, vcc
	v_cmp_gt_i32_e32 vcc, s33, v33
	v_ashrrev_i32_e32 v36, 4, v35
	v_ashrrev_i32_e32 v33, 31, v32
	v_cndmask_b32_e32 v34, v27, v34, vcc
	v_cmp_gt_i32_e32 vcc, s33, v35
	v_ashrrev_i32_e32 v35, 31, v34
	v_lshl_add_u64 v[32:33], v[32:33], 2, s[6:7]
	v_cndmask_b32_e32 v36, v27, v36, vcc
	v_ashrrev_i32_e32 v37, 31, v36
	v_lshl_add_u64 v[34:35], v[34:35], 2, s[6:7]
	v_lshl_add_u64 v[36:37], v[36:37], 2, s[6:7]
	s_add_u32 s8, s10, s4
	s_load_dword s4, s[40:41], 0x0
	global_load_dword v45, v[32:33], off
	global_load_dword v27, v[34:35], off
	;; [unrolled: 1-line block ×3, first 2 shown]
	v_lshlrev_b32_e32 v30, 4, v28
	s_addc_u32 s9, s11, 0
	v_lshl_or_b32 v30, v29, 8, v30
	s_mov_b32 s44, 0x7060302
	v_lshl_add_u64 v[30:31], s[8:9], 0, v[30:31]
	s_load_dword s14, s[0:1], 0x1c
	s_mov_b32 s46, 0xff7fffff
	s_waitcnt vmcnt(7)
	v_mad_i64_i32 v[32:33], s[6:7], v38, s45, v[30:31]
	s_waitcnt vmcnt(6)
	v_cvt_pk_f32_fp8_e32 v[34:35], v22
	v_cvt_pk_f32_fp8_sdwa v[36:37], v22 src0_sel:WORD_1
	v_cvt_pk_f32_fp8_e32 v[38:39], v23
	v_cvt_pk_f32_fp8_sdwa v[40:41], v23 src0_sel:WORD_1
	v_perm_b32 v34, v35, v34, s44
	v_perm_b32 v35, v37, v36, s44
	s_waitcnt vmcnt(5)
	v_cvt_pk_f32_fp8_e32 v[22:23], v18
	v_cvt_pk_f32_fp8_sdwa v[52:53], v18 src0_sel:WORD_1
	v_perm_b32 v38, v39, v38, s44
	v_perm_b32 v39, v41, v40, s44
	v_cvt_pk_f32_fp8_e32 v[46:47], v24
	v_cvt_pk_f32_fp8_sdwa v[48:49], v24 src0_sel:WORD_1
	v_cvt_pk_f32_fp8_e32 v[50:51], v25
	v_cvt_pk_f32_fp8_sdwa v[54:55], v25 src0_sel:WORD_1
	v_perm_b32 v36, v23, v22, s44
	s_waitcnt lgkmcnt(0)
	v_mfma_f32_16x16x16_bf16 v[22:25], v[34:35], v[6:7], 0
	v_cvt_pk_f32_fp8_e32 v[56:57], v19
	v_perm_b32 v37, v53, v52, s44
	v_cvt_pk_f32_fp8_sdwa v[18:19], v19 src0_sel:WORD_1
	v_mfma_f32_16x16x16_bf16 v[22:25], v[38:39], v[8:9], v[22:25]
	v_perm_b32 v38, v47, v46, s44
	v_perm_b32 v39, v49, v48, s44
	v_cvt_pk_f32_fp8_e32 v[40:41], v20
	v_perm_b32 v52, v57, v56, s44
	v_perm_b32 v53, v19, v18, s44
	v_cvt_pk_f32_fp8_sdwa v[18:19], v20 src0_sel:WORD_1
	v_mfma_f32_16x16x16_bf16 v[34:37], v[36:37], v[6:7], 0
	v_cvt_pk_f32_fp8_e32 v[46:47], v21
	v_perm_b32 v48, v51, v50, s44
	v_perm_b32 v49, v55, v54, s44
	v_mfma_f32_16x16x16_bf16 v[22:25], v[38:39], v[2:3], v[22:25]
	v_cvt_pk_f32_fp8_sdwa v[38:39], v21 src0_sel:WORD_1
	v_perm_b32 v40, v41, v40, s44
	v_perm_b32 v41, v19, v18, s44
	v_mfma_f32_16x16x16_bf16 v[34:37], v[52:53], v[8:9], v[34:37]
	v_perm_b32 v46, v47, v46, s44
	v_perm_b32 v47, v39, v38, s44
	s_waitcnt vmcnt(4)
	v_cvt_pk_f32_fp8_e32 v[38:39], v14
	v_mfma_f32_16x16x16_bf16 v[18:21], v[48:49], v[4:5], v[22:25]
	v_cvt_pk_f32_fp8_sdwa v[50:51], v17 src0_sel:WORD_1
	v_mov_b32_e32 v48, s14
	v_mul_f32_e32 v48, s4, v48
	v_mfma_f32_16x16x16_bf16 v[22:25], v[40:41], v[2:3], v[34:37]
	v_cvt_pk_f32_fp8_sdwa v[40:41], v14 src0_sel:WORD_1
	v_mfma_f32_16x16x16_bf16 v[34:37], v[46:47], v[4:5], v[22:25]
	v_cvt_pk_f32_fp8_sdwa v[46:47], v16 src0_sel:WORD_1
	s_nop 3
	v_cvt_pk_f32_fp8_e32 v[22:23], v15
	v_perm_b32 v24, v39, v38, s44
	v_perm_b32 v25, v41, v40, s44
	v_cvt_pk_f32_fp8_sdwa v[14:15], v15 src0_sel:WORD_1
	v_perm_b32 v38, v23, v22, s44
	v_cvt_pk_f32_fp8_e32 v[40:41], v16
	v_mfma_f32_16x16x16_bf16 v[22:25], v[24:25], v[6:7], 0
	v_perm_b32 v39, v15, v14, s44
	v_perm_b32 v40, v41, v40, s44
	;; [unrolled: 1-line block ×3, first 2 shown]
	v_cvt_pk_f32_fp8_e32 v[46:47], v17
	v_mfma_f32_16x16x16_bf16 v[14:17], v[38:39], v[8:9], v[22:25]
	s_waitcnt vmcnt(3)
	v_cvt_pk_f32_fp8_sdwa v[38:39], v10 src0_sel:WORD_1
	v_pk_mul_f32 v[36:37], v[48:49], v[36:37] op_sel_hi:[0,1]
	v_perm_b32 v24, v47, v46, s44
	v_perm_b32 v25, v51, v50, s44
	v_pk_mul_f32 v[22:23], v[48:49], v[20:21] op_sel_hi:[0,1]
	v_mfma_f32_16x16x16_bf16 v[14:17], v[40:41], v[2:3], v[14:17]
	v_pk_mul_f32 v[20:21], v[48:49], v[18:19] op_sel_hi:[0,1]
	v_cvt_pk_f32_fp8_e32 v[18:19], v10
	v_cvt_pk_f32_fp8_e32 v[46:47], v12
	v_mfma_f32_16x16x16_bf16 v[14:17], v[24:25], v[4:5], v[14:17]
	v_cvt_pk_f32_fp8_e32 v[24:25], v11
	v_perm_b32 v18, v19, v18, s44
	v_perm_b32 v19, v39, v38, s44
	v_cvt_pk_f32_fp8_sdwa v[10:11], v11 src0_sel:WORD_1
	v_perm_b32 v24, v25, v24, s44
	v_cvt_pk_f32_fp8_sdwa v[50:51], v12 src0_sel:WORD_1
	v_mfma_f32_16x16x16_bf16 v[38:41], v[18:19], v[6:7], 0
	v_perm_b32 v25, v11, v10, s44
	v_perm_b32 v10, v47, v46, s44
	;; [unrolled: 1-line block ×3, first 2 shown]
	v_cvt_pk_f32_fp8_e32 v[18:19], v13
	v_cvt_pk_f32_fp8_sdwa v[12:13], v13 src0_sel:WORD_1
	v_mfma_f32_16x16x16_bf16 v[6:9], v[24:25], v[8:9], v[38:41]
	v_perm_b32 v18, v19, v18, s44
	v_perm_b32 v19, v13, v12, s44
	v_mfma_f32_16x16x16_bf16 v[6:9], v[10:11], v[2:3], v[6:9]
	v_pk_mul_f32 v[40:41], v[48:49], v[34:35] op_sel_hi:[0,1]
	v_pk_mul_f32 v[38:39], v[48:49], v[14:15] op_sel_hi:[0,1]
	;; [unrolled: 1-line block ×3, first 2 shown]
	v_mfma_f32_16x16x16_bf16 v[2:5], v[18:19], v[4:5], v[6:9]
	s_nop 6
	v_pk_mul_f32 v[24:25], v[48:49], v[2:3] op_sel_hi:[0,1]
	v_and_b32_e32 v2, 0xc0, v0
	v_add_u32_e32 v2, s5, v2
	v_lshl_or_b32 v2, v42, 2, v2
	v_pk_mul_f32 v[18:19], v[48:49], v[4:5] op_sel_hi:[0,1]
	v_or_b32_e32 v5, 1, v2
	v_mov_b32_e32 v3, 0xff7fffff
	v_cmp_gt_i32_e64 s[4:5], s33, v2
	v_cmp_gt_i32_e64 s[34:35], s33, v5
	v_or_b32_e32 v6, 3, v2
	v_cndmask_b32_e64 v4, v3, v20, s[4:5]
	v_cndmask_b32_e64 v5, v3, v21, s[34:35]
	v_max3_f32 v4, v4, s46, v5
	v_or_b32_e32 v5, 2, v2
	v_cmp_gt_i32_e64 s[36:37], s33, v5
	v_cmp_gt_i32_e64 s[38:39], s33, v6
	s_nop 0
	v_cndmask_b32_e64 v5, v3, v22, s[36:37]
	v_cndmask_b32_e64 v6, v3, v23, s[38:39]
	v_max3_f32 v4, v4, v5, v6
	v_or_b32_e32 v5, 16, v2
	v_or_b32_e32 v6, 17, v2
	v_cmp_gt_i32_e64 s[24:25], s33, v5
	v_cmp_gt_i32_e64 s[26:27], s33, v6
	s_nop 0
	v_cndmask_b32_e64 v5, v3, v40, s[24:25]
	v_cndmask_b32_e64 v6, v3, v41, s[26:27]
	v_max3_f32 v4, v4, v5, v6
	v_or_b32_e32 v5, 18, v2
	;; [unrolled: 8-line block ×6, first 2 shown]
	v_or_b32_e32 v2, 51, v2
	v_cmp_gt_i32_e32 vcc, s33, v5
	v_cmp_gt_i32_e64 s[6:7], s33, v2
	s_nop 0
	v_cndmask_b32_e32 v5, v3, v18, vcc
	v_cndmask_b32_e64 v2, v3, v19, s[6:7]
	v_max3_f32 v4, v4, v5, v2
	v_mbcnt_lo_u32_b32 v2, -1, 0
	v_mbcnt_hi_u32_b32 v5, -1, v2
	v_and_b32_e32 v2, 64, v5
	v_add_u32_e32 v6, 64, v2
	v_xor_b32_e32 v2, 32, v5
	v_cmp_lt_i32_e64 s[40:41], v2, v6
	s_nop 1
	v_cndmask_b32_e64 v2, v5, v2, s[40:41]
	v_lshlrev_b32_e32 v46, 2, v2
	ds_bpermute_b32 v7, v46, v4
	s_waitcnt vmcnt(2)
	v_mad_i64_i32 v[2:3], s[40:41], v45, s45, v[30:31]
	global_load_dwordx4 v[14:17], v[32:33], off
	global_load_dwordx4 v[10:13], v[2:3], off
	v_xor_b32_e32 v3, 16, v5
	v_cmp_lt_i32_e64 s[40:41], v3, v6
	s_waitcnt lgkmcnt(0)
	v_max_f32_e32 v2, v7, v7
	v_max_f32_e32 v2, v4, v2
	v_cndmask_b32_e64 v3, v5, v3, s[40:41]
	v_lshlrev_b32_e32 v45, 2, v3
	ds_bpermute_b32 v3, v45, v2
	s_waitcnt vmcnt(3)
	v_mad_i64_i32 v[32:33], s[40:41], v27, s45, v[30:31]
	s_waitcnt vmcnt(2)
	v_mad_i64_i32 v[30:31], s[40:41], v44, s45, v[30:31]
	s_waitcnt lgkmcnt(0)
	v_max_f32_e32 v3, v3, v3
	v_max_f32_e32 v27, v2, v3
	v_sub_f32_e32 v2, v20, v27
	v_mul_f32_e32 v2, 0x3fb8aa3b, v2
	v_exp_f32_e32 v20, v2
	v_sub_f32_e32 v2, v21, v27
	v_mul_f32_e32 v2, 0x3fb8aa3b, v2
	v_exp_f32_e32 v21, v2
	global_load_dwordx4 v[6:9], v[32:33], off
	global_load_dwordx4 v[2:5], v[30:31], off
	v_sub_f32_e32 v22, v22, v27
	v_mul_f32_e32 v22, 0x3fb8aa3b, v22
	v_sub_f32_e32 v23, v23, v27
	v_exp_f32_e32 v22, v22
	v_mul_f32_e32 v23, 0x3fb8aa3b, v23
	v_exp_f32_e32 v23, v23
	v_cndmask_b32_e64 v20, 0, v20, s[4:5]
	v_add_f32_e32 v30, 0, v20
	v_cndmask_b32_e64 v21, 0, v21, s[34:35]
	v_add_f32_e32 v30, v30, v21
	v_cndmask_b32_e64 v32, 0, v22, s[36:37]
	v_add_f32_e32 v22, v30, v32
	v_cndmask_b32_e64 v33, 0, v23, s[38:39]
	v_sub_f32_e32 v23, v40, v27
	v_sub_f32_e32 v30, v41, v27
	v_mul_f32_e32 v23, 0x3fb8aa3b, v23
	v_mul_f32_e32 v30, 0x3fb8aa3b, v30
	v_exp_f32_e32 v23, v23
	v_exp_f32_e32 v30, v30
	v_add_f32_e32 v31, v22, v33
	v_sub_f32_e32 v34, v34, v27
	v_cndmask_b32_e64 v22, 0, v23, s[24:25]
	v_cndmask_b32_e64 v23, 0, v30, s[26:27]
	v_sub_f32_e32 v30, v36, v27
	v_mul_f32_e32 v30, 0x3fb8aa3b, v30
	v_exp_f32_e32 v30, v30
	v_sub_f32_e32 v36, v37, v27
	v_add_f32_e32 v31, v31, v22
	v_mul_f32_e32 v36, 0x3fb8aa3b, v36
	v_exp_f32_e32 v37, v36
	v_add_f32_e32 v31, v31, v23
	v_cndmask_b32_e64 v36, 0, v30, s[20:21]
	v_add_f32_e32 v30, v31, v36
	v_sub_f32_e32 v31, v38, v27
	v_mul_f32_e32 v31, 0x3fb8aa3b, v31
	v_sub_f32_e32 v38, v39, v27
	v_exp_f32_e32 v31, v31
	v_mul_f32_e32 v38, 0x3fb8aa3b, v38
	v_exp_f32_e32 v38, v38
	v_mul_f32_e32 v34, 0x3fb8aa3b, v34
	v_sub_f32_e32 v35, v35, v27
	v_exp_f32_e32 v34, v34
	v_mul_f32_e32 v35, 0x3fb8aa3b, v35
	v_sub_f32_e32 v24, v24, v27
	v_cndmask_b32_e64 v37, 0, v37, s[22:23]
	v_exp_f32_e32 v35, v35
	v_mul_f32_e32 v24, 0x3fb8aa3b, v24
	v_sub_f32_e32 v25, v25, v27
	v_add_f32_e32 v39, v30, v37
	v_cndmask_b32_e64 v30, 0, v31, s[16:17]
	v_exp_f32_e32 v24, v24
	v_mul_f32_e32 v25, 0x3fb8aa3b, v25
	v_sub_f32_e32 v18, v18, v27
	v_add_f32_e32 v39, v39, v30
	v_cndmask_b32_e64 v31, 0, v38, s[18:19]
	v_exp_f32_e32 v25, v25
	v_mul_f32_e32 v18, 0x3fb8aa3b, v18
	v_sub_f32_e32 v19, v19, v27
	v_add_f32_e32 v38, v39, v31
	v_cndmask_b32_e64 v34, 0, v34, s[12:13]
	v_exp_f32_e32 v18, v18
	v_mul_f32_e32 v19, 0x3fb8aa3b, v19
	v_add_f32_e32 v38, v38, v34
	v_cndmask_b32_e64 v35, 0, v35, s[14:15]
	v_exp_f32_e32 v19, v19
	v_add_f32_e32 v38, v38, v35
	v_cndmask_b32_e64 v24, 0, v24, s[8:9]
	v_add_f32_e32 v38, v38, v24
	v_cndmask_b32_e64 v25, 0, v25, s[10:11]
	v_add_f32_e32 v38, v38, v25
	v_cndmask_b32_e32 v18, 0, v18, vcc
	v_add_f32_e32 v38, v38, v18
	v_cndmask_b32_e64 v19, 0, v19, s[6:7]
	v_add_f32_e32 v38, v38, v19
	ds_bpermute_b32 v39, v46, v38
	v_cmp_gt_u32_e32 vcc, 16, v43
	s_waitcnt lgkmcnt(0)
	s_barrier
	v_add_f32_e32 v39, v38, v39
	ds_bpermute_b32 v40, v45, v39
	v_lshlrev_b32_e32 v38, 2, v28
	s_and_saveexec_b64 s[4:5], vcc
	s_cbranch_execz .LBB1121_13
; %bb.12:
	s_waitcnt lgkmcnt(0)
	v_add_f32_e32 v39, v39, v40
	v_lshl_or_b32 v40, v29, 6, v38
	ds_write2st64_b32 v40, v27, v39 offset1:1
.LBB1121_13:
	s_or_b64 exec, exec, s[4:5]
	s_load_dword s6, s[0:1], 0x94
	s_waitcnt lgkmcnt(0)
	s_barrier
	ds_read2_b32 v[40:41], v38 offset1:16
	ds_read2_b32 v[44:45], v38 offset0:32 offset1:48
	ds_read2_b32 v[46:47], v38 offset0:64 offset1:80
	s_movk_i32 s8, 0x7fff
	s_mul_i32 s7, s29, 14
	s_waitcnt lgkmcnt(2)
	v_max3_f32 v27, v40, s46, v41
	s_waitcnt lgkmcnt(1)
	v_max3_f32 v27, v27, v44, v45
	v_sub_f32_e32 v39, v40, v27
	v_sub_f32_e32 v40, v41, v27
	v_mul_f32_e32 v40, 0x3fb8aa3b, v40
	v_mul_f32_e32 v39, 0x3fb8aa3b, v39
	v_exp_f32_e32 v43, v40
	v_sub_f32_e32 v40, v44, v27
	v_exp_f32_e32 v39, v39
	v_mul_f32_e32 v40, 0x3fb8aa3b, v40
	v_exp_f32_e32 v44, v40
	ds_read2_b32 v[40:41], v38 offset0:96 offset1:112
	v_sub_f32_e32 v38, v45, v27
	v_mul_f32_e32 v38, 0x3fb8aa3b, v38
	v_exp_f32_e32 v45, v38
	s_waitcnt lgkmcnt(1)
	v_fma_f32 v38, v39, v46, 0
	v_fmac_f32_e32 v38, v43, v47
	s_waitcnt lgkmcnt(0)
	v_fmac_f32_e32 v38, v44, v40
	v_fmac_f32_e32 v38, v45, v41
	v_add_f32_e32 v40, 0x358637bd, v38
	v_div_scale_f32 v41, s[4:5], v40, v40, 1.0
	v_rcp_f32_e32 v46, v41
	s_barrier
	v_fma_f32 v47, -v41, v46, 1.0
	v_fmac_f32_e32 v46, v47, v46
	v_div_scale_f32 v47, vcc, 1.0, v40, 1.0
	v_mul_f32_e32 v48, v47, v46
	v_fma_f32 v49, -v41, v48, v47
	v_fmac_f32_e32 v48, v49, v46
	v_fma_f32 v41, -v41, v48, v47
	v_div_fmas_f32 v41, v41, v46, v48
	v_cmp_eq_u32_e32 vcc, 1, v29
	v_div_fixup_f32 v40, v41, v40, 1.0
	s_nop 0
	v_cndmask_b32_e32 v39, v39, v43, vcc
	v_cmp_eq_u32_e32 vcc, 2, v29
	s_nop 1
	v_cndmask_b32_e32 v39, v39, v44, vcc
	v_cmp_eq_u32_e32 vcc, 3, v29
	v_lshlrev_b32_e32 v29, 11, v29
	s_nop 0
	v_cndmask_b32_e32 v39, v39, v45, vcc
	v_mul_f32_e32 v40, v39, v40
	v_pk_mul_f32 v[20:21], v[40:41], v[20:21] op_sel_hi:[0,1]
	v_pk_mul_f32 v[32:33], v[40:41], v[32:33] op_sel_hi:[0,1]
	v_bfe_u32 v39, v21, 16, 1
	v_bfe_u32 v41, v20, 16, 1
	v_add3_u32 v20, v20, v41, s8
	v_add3_u32 v21, v21, v39, s8
	v_perm_b32 v44, v21, v20, s44
	v_bfe_u32 v20, v33, 16, 1
	v_bfe_u32 v21, v32, 16, 1
	v_add3_u32 v21, v32, v21, s8
	v_add3_u32 v20, v33, v20, s8
	v_perm_b32 v45, v20, v21, s44
	v_lshlrev_b32_e32 v20, 3, v42
	v_lshlrev_b32_e32 v21, 5, v28
	v_pk_mul_f32 v[22:23], v[40:41], v[22:23] op_sel_hi:[0,1]
	v_or3_b32 v20, v29, v21, v20
	v_pk_mul_f32 v[32:33], v[40:41], v[36:37] op_sel_hi:[0,1]
	v_bfe_u32 v29, v23, 16, 1
	v_bfe_u32 v36, v22, 16, 1
	v_add3_u32 v22, v22, v36, s8
	v_add3_u32 v23, v23, v29, s8
	v_perm_b32 v22, v23, v22, s44
	v_bfe_u32 v23, v33, 16, 1
	v_bfe_u32 v29, v32, 16, 1
	v_add3_u32 v29, v32, v29, s8
	v_add3_u32 v23, v33, v23, s8
	v_pk_mul_f32 v[30:31], v[40:41], v[30:31] op_sel_hi:[0,1]
	v_perm_b32 v23, v23, v29, s44
	v_bfe_u32 v29, v31, 16, 1
	v_bfe_u32 v32, v30, 16, 1
	ds_write2st64_b64 v20, v[44:45], v[22:23] offset1:1
	v_pk_mul_f32 v[22:23], v[40:41], v[34:35] op_sel_hi:[0,1]
	v_add3_u32 v30, v30, v32, s8
	v_add3_u32 v29, v31, v29, s8
	v_perm_b32 v30, v29, v30, s44
	v_bfe_u32 v29, v23, 16, 1
	v_bfe_u32 v31, v22, 16, 1
	v_add3_u32 v22, v22, v31, s8
	v_add3_u32 v23, v23, v29, s8
	v_perm_b32 v31, v23, v22, s44
	v_pk_mul_f32 v[22:23], v[40:41], v[24:25] op_sel_hi:[0,1]
	v_bfe_u32 v24, v23, 16, 1
	v_bfe_u32 v25, v22, 16, 1
	v_pk_mul_f32 v[18:19], v[40:41], v[18:19] op_sel_hi:[0,1]
	v_add3_u32 v22, v22, v25, s8
	v_add3_u32 v23, v23, v24, s8
	v_perm_b32 v22, v23, v22, s44
	v_bfe_u32 v23, v19, 16, 1
	v_bfe_u32 v24, v18, 16, 1
	v_add3_u32 v18, v18, v24, s8
	v_add3_u32 v19, v19, v23, s8
	v_perm_b32 v23, v19, v18, s44
	v_cmp_gt_u32_e32 vcc, 14, v0
	ds_write2st64_b64 v20, v[30:31], v[22:23] offset0:2 offset1:3
	s_and_saveexec_b64 s[4:5], vcc
	s_cbranch_execz .LBB1121_15
; %bb.14:
	s_mov_b32 s49, 0
	v_mov_b32_e32 v29, 0
	v_lshl_add_u64 v[18:19], s[48:49], 0, v[28:29]
	v_mov_b32_e32 v22, s7
	v_mad_u64_u32 v[18:19], s[10:11], s2, v22, v[18:19]
	s_mul_i32 s3, s3, s7
	v_mov_b32_e32 v28, s28
	s_load_dwordx4 s[12:15], s[0:1], 0x58
	v_add_u32_e32 v23, s3, v19
	v_mad_u64_u32 v[18:19], s[10:11], v18, s6, v[28:29]
	v_mov_b32_e32 v22, v19
	v_mad_u64_u32 v[22:23], s[10:11], v23, s6, v[22:23]
	v_mov_b32_e32 v19, v22
	v_lshlrev_b64 v[18:19], 2, v[18:19]
	s_waitcnt lgkmcnt(0)
	v_lshl_add_u64 v[22:23], s[14:15], 0, v[18:19]
	v_lshl_add_u64 v[18:19], s[12:13], 0, v[18:19]
	global_store_dword v[22:23], v27, off
	global_store_dword v[18:19], v38, off
.LBB1121_15:
	s_or_b64 exec, exec, s[4:5]
	s_waitcnt vmcnt(3)
	v_cvt_pk_f32_fp8_e32 v[18:19], v14
	v_cvt_pk_f32_fp8_sdwa v[22:23], v14 src0_sel:WORD_1
	s_mov_b32 s4, 0x7060302
	v_lshl_or_b32 v14, v42, 9, v21
	s_waitcnt lgkmcnt(0)
	s_barrier
	v_perm_b32 v18, v19, v18, s4
	v_perm_b32 v19, v23, v22, s4
	v_cvt_pk_f32_fp8_e32 v[28:29], v15
	ds_read_b128 v[22:25], v14
	v_cvt_pk_f32_fp8_sdwa v[36:37], v15 src0_sel:WORD_1
	s_load_dword s10, s[42:43], 0x0
	v_perm_b32 v38, v29, v28, s4
	ds_read_b128 v[28:31], v14 offset:16
	v_perm_b32 v39, v37, v36, s4
	s_waitcnt lgkmcnt(0)
	v_mfma_f32_16x16x16_bf16 v[32:35], v[18:19], v[22:23], 0
	v_cvt_pk_f32_fp8_e32 v[18:19], v16
	v_cvt_pk_f32_fp8_sdwa v[36:37], v16 src0_sel:WORD_1
	v_cmp_gt_u32_e32 vcc, 64, v0
	v_mfma_f32_16x16x16_bf16 v[22:25], v[38:39], v[24:25], v[32:35]
	v_perm_b32 v18, v19, v18, s4
	v_perm_b32 v19, v37, v36, s4
	s_waitcnt vmcnt(2)
	v_cvt_pk_f32_fp8_sdwa v[36:37], v10 src0_sel:WORD_1
	v_cvt_pk_f32_fp8_e32 v[32:33], v17
	v_cvt_pk_f32_fp8_sdwa v[16:17], v17 src0_sel:WORD_1
	v_cvt_pk_f32_fp8_e32 v[34:35], v10
	s_mov_b32 s3, 0
	v_perm_b32 v32, v33, v32, s4
	v_perm_b32 v33, v17, v16, s4
	v_mfma_f32_16x16x16_bf16 v[16:19], v[18:19], v[28:29], v[22:25]
	v_perm_b32 v34, v35, v34, s4
	v_perm_b32 v35, v37, v36, s4
	v_cvt_pk_f32_fp8_e32 v[28:29], v11
	ds_read_b128 v[22:25], v14 offset:2048
	v_cvt_pk_f32_fp8_sdwa v[10:11], v11 src0_sel:WORD_1
	v_mfma_f32_16x16x16_bf16 v[16:19], v[32:33], v[30:31], v[16:19]
	v_perm_b32 v32, v29, v28, s4
	ds_read_b128 v[28:31], v14 offset:2064
	v_perm_b32 v33, v11, v10, s4
	s_waitcnt lgkmcnt(1)
	v_mfma_f32_16x16x16_bf16 v[16:19], v[34:35], v[22:23], v[16:19]
	v_cvt_pk_f32_fp8_e32 v[10:11], v12
	v_cvt_pk_f32_fp8_sdwa v[22:23], v12 src0_sel:WORD_1
	v_mov_b32_e32 v27, 0
	v_mfma_f32_16x16x16_bf16 v[16:19], v[32:33], v[24:25], v[16:19]
	v_cvt_pk_f32_fp8_e32 v[24:25], v13
	v_perm_b32 v10, v11, v10, s4
	v_perm_b32 v11, v23, v22, s4
	v_cvt_pk_f32_fp8_sdwa v[12:13], v13 src0_sel:WORD_1
	v_perm_b32 v22, v25, v24, s4
	s_waitcnt vmcnt(1)
	v_cvt_pk_f32_fp8_e32 v[24:25], v6
	v_cvt_pk_f32_fp8_sdwa v[32:33], v6 src0_sel:WORD_1
	v_perm_b32 v23, v13, v12, s4
	s_waitcnt lgkmcnt(0)
	v_mfma_f32_16x16x16_bf16 v[10:13], v[10:11], v[28:29], v[16:19]
	v_perm_b32 v28, v25, v24, s4
	v_perm_b32 v29, v33, v32, s4
	v_cvt_pk_f32_fp8_e32 v[24:25], v7
	ds_read_b128 v[16:19], v14 offset:4096
	v_cvt_pk_f32_fp8_sdwa v[6:7], v7 src0_sel:WORD_1
	v_mfma_f32_16x16x16_bf16 v[10:13], v[22:23], v[30:31], v[10:13]
	v_perm_b32 v30, v25, v24, s4
	ds_read_b128 v[22:25], v14 offset:4112
	v_perm_b32 v31, v7, v6, s4
	s_waitcnt lgkmcnt(1)
	v_mfma_f32_16x16x16_bf16 v[10:13], v[28:29], v[16:17], v[10:13]
	v_cvt_pk_f32_fp8_e32 v[6:7], v8
	v_cvt_pk_f32_fp8_sdwa v[16:17], v8 src0_sel:WORD_1
	s_waitcnt vmcnt(0)
	v_cvt_pk_f32_fp8_sdwa v[28:29], v2 src0_sel:WORD_1
	v_mfma_f32_16x16x16_bf16 v[10:13], v[30:31], v[18:19], v[10:13]
	v_cvt_pk_f32_fp8_e32 v[18:19], v9
	v_perm_b32 v6, v7, v6, s4
	v_perm_b32 v7, v17, v16, s4
	v_cvt_pk_f32_fp8_sdwa v[8:9], v9 src0_sel:WORD_1
	v_perm_b32 v16, v19, v18, s4
	v_cvt_pk_f32_fp8_e32 v[18:19], v2
	v_perm_b32 v17, v9, v8, s4
	s_waitcnt lgkmcnt(0)
	v_mfma_f32_16x16x16_bf16 v[6:9], v[6:7], v[22:23], v[10:13]
	v_perm_b32 v18, v19, v18, s4
	v_perm_b32 v19, v29, v28, s4
	v_cvt_pk_f32_fp8_e32 v[22:23], v3
	ds_read_b128 v[10:13], v14 offset:6144
	v_cvt_pk_f32_fp8_sdwa v[2:3], v3 src0_sel:WORD_1
	v_mfma_f32_16x16x16_bf16 v[6:9], v[16:17], v[24:25], v[6:9]
	v_perm_b32 v22, v23, v22, s4
	ds_read_b128 v[14:17], v14 offset:6160
	v_perm_b32 v23, v3, v2, s4
	s_waitcnt lgkmcnt(1)
	v_mfma_f32_16x16x16_bf16 v[6:9], v[18:19], v[10:11], v[6:9]
	v_cvt_pk_f32_fp8_e32 v[2:3], v4
	v_cvt_pk_f32_fp8_sdwa v[10:11], v4 src0_sel:WORD_1
	s_waitcnt lgkmcnt(0)
	v_mfma_f32_16x16x16_bf16 v[6:9], v[22:23], v[12:13], v[6:9]
	v_perm_b32 v2, v3, v2, s4
	v_perm_b32 v3, v11, v10, s4
	v_cvt_pk_f32_fp8_e32 v[10:11], v5
	v_cvt_pk_f32_fp8_sdwa v[4:5], v5 src0_sel:WORD_1
	s_barrier
	v_perm_b32 v10, v11, v10, s4
	v_perm_b32 v11, v5, v4, s4
	v_mfma_f32_16x16x16_bf16 v[2:5], v[2:3], v[14:15], v[6:9]
	s_nop 0
	v_mfma_f32_16x16x16_bf16 v[2:5], v[10:11], v[16:17], v[2:5]
	s_nop 6
	v_pk_mul_f32 v[2:3], v[2:3], s[10:11] op_sel_hi:[1,0]
	v_pk_mul_f32 v[4:5], v[4:5], s[10:11] op_sel_hi:[1,0]
	v_bfe_u32 v6, v3, 16, 1
	v_bfe_u32 v7, v2, 16, 1
	v_add3_u32 v2, v2, v7, s8
	v_add3_u32 v3, v3, v6, s8
	v_perm_b32 v2, v3, v2, s4
	v_bfe_u32 v3, v5, 16, 1
	v_bfe_u32 v6, v4, 16, 1
	v_add3_u32 v4, v4, v6, s8
	v_add3_u32 v3, v5, v3, s8
	v_perm_b32 v3, v3, v4, s4
	s_and_b64 s[4:5], vcc, s[30:31]
	ds_write_b64 v20, v[2:3]
	s_waitcnt lgkmcnt(0)
	s_barrier
	s_and_saveexec_b64 s[8:9], s[4:5]
	s_cbranch_execz .LBB1121_18
; %bb.16:
	s_load_dwordx2 s[4:5], s[0:1], 0x68
	s_lshl_b32 s0, s6, 6
	s_mul_i32 s1, s7, s2
	s_mul_hi_u32 s7, s1, s0
	s_mul_i32 s6, s1, s0
	v_lshlrev_b32_e32 v0, 10, v0
	s_lshl_b64 s[6:7], s[6:7], 1
	v_and_b32_e32 v0, 0x1800, v0
	v_lshlrev_b32_e32 v2, 5, v42
	v_and_b32_e32 v1, 16, v1
	s_waitcnt lgkmcnt(0)
	s_add_u32 s1, s4, s6
	v_or3_b32 v2, v0, v2, v1
	s_addc_u32 s4, s5, s7
	s_lshl_b32 s2, s28, 6
	ds_read_b128 v[4:7], v2 offset:256
	s_lshl_b64 s[2:3], s[2:3], 1
	ds_read_b128 v[8:11], v2 offset:128
	ds_read_b128 v[12:15], v2
	s_add_u32 s2, s1, s2
	s_addc_u32 s3, s4, s3
	v_add_u32_e32 v18, s48, v42
	v_lshl_add_u64 v[0:1], s[2:3], 0, v[26:27]
	v_mad_u64_u32 v[16:17], s[2:3], v18, s0, 0
	v_lshl_add_u64 v[16:17], v[16:17], 1, v[0:1]
	s_waitcnt lgkmcnt(0)
	global_store_dwordx4 v[16:17], v[12:15], off
	v_or_b32_e32 v3, 12, v42
	v_cmp_gt_u32_e32 vcc, 14, v3
	v_add_u32_e32 v12, 4, v18
	v_mad_u64_u32 v[12:13], s[2:3], v12, s0, 0
	v_lshl_add_u64 v[12:13], v[12:13], 1, v[0:1]
	global_store_dwordx4 v[12:13], v[8:11], off
	s_nop 1
	v_add_u32_e32 v8, 8, v18
	v_mad_u64_u32 v[8:9], s[2:3], v8, s0, 0
	v_lshl_add_u64 v[8:9], v[8:9], 1, v[0:1]
	global_store_dwordx4 v[8:9], v[4:7], off
	s_and_b64 exec, exec, vcc
	s_cbranch_execz .LBB1121_18
; %bb.17:
	ds_read_b128 v[4:7], v2 offset:384
	v_add_u32_e32 v2, s48, v3
	v_mad_u64_u32 v[2:3], s[0:1], v2, s0, 0
	v_lshl_add_u64 v[0:1], v[2:3], 1, v[0:1]
	s_waitcnt lgkmcnt(0)
	global_store_dwordx4 v[0:1], v[4:7], off
.LBB1121_18:
	s_endpgm
	.section	.rodata,"a",@progbits
	.p2align	6, 0x0
	.amdhsa_kernel _Z39paged_attention_ll4mi_QKV_mfma16_kernelI14__hip_bfloat16hLN4vllm18Fp8KVCacheDataTypeE1EhLi16ELi64ELi256ELb0ELi14EEvPKT_PKT0_S8_ifPKiSA_SA_iPKfiiiPfSD_PS3_PT2_iSC_SC_
		.amdhsa_group_segment_fixed_size 8192
		.amdhsa_private_segment_fixed_size 0
		.amdhsa_kernarg_size 400
		.amdhsa_user_sgpr_count 2
		.amdhsa_user_sgpr_dispatch_ptr 0
		.amdhsa_user_sgpr_queue_ptr 0
		.amdhsa_user_sgpr_kernarg_segment_ptr 1
		.amdhsa_user_sgpr_dispatch_id 0
		.amdhsa_user_sgpr_kernarg_preload_length 0
		.amdhsa_user_sgpr_kernarg_preload_offset 0
		.amdhsa_user_sgpr_private_segment_size 0
		.amdhsa_uses_dynamic_stack 0
		.amdhsa_enable_private_segment 0
		.amdhsa_system_sgpr_workgroup_id_x 1
		.amdhsa_system_sgpr_workgroup_id_y 1
		.amdhsa_system_sgpr_workgroup_id_z 1
		.amdhsa_system_sgpr_workgroup_info 0
		.amdhsa_system_vgpr_workitem_id 0
		.amdhsa_next_free_vgpr 58
		.amdhsa_next_free_sgpr 50
		.amdhsa_accum_offset 60
		.amdhsa_reserve_vcc 1
		.amdhsa_float_round_mode_32 0
		.amdhsa_float_round_mode_16_64 0
		.amdhsa_float_denorm_mode_32 3
		.amdhsa_float_denorm_mode_16_64 3
		.amdhsa_dx10_clamp 1
		.amdhsa_ieee_mode 1
		.amdhsa_fp16_overflow 0
		.amdhsa_tg_split 0
		.amdhsa_exception_fp_ieee_invalid_op 0
		.amdhsa_exception_fp_denorm_src 0
		.amdhsa_exception_fp_ieee_div_zero 0
		.amdhsa_exception_fp_ieee_overflow 0
		.amdhsa_exception_fp_ieee_underflow 0
		.amdhsa_exception_fp_ieee_inexact 0
		.amdhsa_exception_int_div_zero 0
	.end_amdhsa_kernel
	.section	.text._Z39paged_attention_ll4mi_QKV_mfma16_kernelI14__hip_bfloat16hLN4vllm18Fp8KVCacheDataTypeE1EhLi16ELi64ELi256ELb0ELi14EEvPKT_PKT0_S8_ifPKiSA_SA_iPKfiiiPfSD_PS3_PT2_iSC_SC_,"axG",@progbits,_Z39paged_attention_ll4mi_QKV_mfma16_kernelI14__hip_bfloat16hLN4vllm18Fp8KVCacheDataTypeE1EhLi16ELi64ELi256ELb0ELi14EEvPKT_PKT0_S8_ifPKiSA_SA_iPKfiiiPfSD_PS3_PT2_iSC_SC_,comdat
.Lfunc_end1121:
	.size	_Z39paged_attention_ll4mi_QKV_mfma16_kernelI14__hip_bfloat16hLN4vllm18Fp8KVCacheDataTypeE1EhLi16ELi64ELi256ELb0ELi14EEvPKT_PKT0_S8_ifPKiSA_SA_iPKfiiiPfSD_PS3_PT2_iSC_SC_, .Lfunc_end1121-_Z39paged_attention_ll4mi_QKV_mfma16_kernelI14__hip_bfloat16hLN4vllm18Fp8KVCacheDataTypeE1EhLi16ELi64ELi256ELb0ELi14EEvPKT_PKT0_S8_ifPKiSA_SA_iPKfiiiPfSD_PS3_PT2_iSC_SC_
                                        ; -- End function
	.section	.AMDGPU.csdata,"",@progbits
; Kernel info:
; codeLenInByte = 4892
; NumSgprs: 56
; NumVgprs: 58
; NumAgprs: 0
; TotalNumVgprs: 58
; ScratchSize: 0
; MemoryBound: 0
; FloatMode: 240
; IeeeMode: 1
; LDSByteSize: 8192 bytes/workgroup (compile time only)
; SGPRBlocks: 6
; VGPRBlocks: 7
; NumSGPRsForWavesPerEU: 56
; NumVGPRsForWavesPerEU: 58
; AccumOffset: 60
; Occupancy: 8
; WaveLimiterHint : 1
; COMPUTE_PGM_RSRC2:SCRATCH_EN: 0
; COMPUTE_PGM_RSRC2:USER_SGPR: 2
; COMPUTE_PGM_RSRC2:TRAP_HANDLER: 0
; COMPUTE_PGM_RSRC2:TGID_X_EN: 1
; COMPUTE_PGM_RSRC2:TGID_Y_EN: 1
; COMPUTE_PGM_RSRC2:TGID_Z_EN: 1
; COMPUTE_PGM_RSRC2:TIDIG_COMP_CNT: 0
; COMPUTE_PGM_RSRC3_GFX90A:ACCUM_OFFSET: 14
; COMPUTE_PGM_RSRC3_GFX90A:TG_SPLIT: 0
	.section	.text._Z39paged_attention_ll4mi_QKV_mfma16_kernelI14__hip_bfloat16hLN4vllm18Fp8KVCacheDataTypeE1EhLi16ELi64ELi256ELb0ELi15EEvPKT_PKT0_S8_ifPKiSA_SA_iPKfiiiPfSD_PS3_PT2_iSC_SC_,"axG",@progbits,_Z39paged_attention_ll4mi_QKV_mfma16_kernelI14__hip_bfloat16hLN4vllm18Fp8KVCacheDataTypeE1EhLi16ELi64ELi256ELb0ELi15EEvPKT_PKT0_S8_ifPKiSA_SA_iPKfiiiPfSD_PS3_PT2_iSC_SC_,comdat
	.protected	_Z39paged_attention_ll4mi_QKV_mfma16_kernelI14__hip_bfloat16hLN4vllm18Fp8KVCacheDataTypeE1EhLi16ELi64ELi256ELb0ELi15EEvPKT_PKT0_S8_ifPKiSA_SA_iPKfiiiPfSD_PS3_PT2_iSC_SC_ ; -- Begin function _Z39paged_attention_ll4mi_QKV_mfma16_kernelI14__hip_bfloat16hLN4vllm18Fp8KVCacheDataTypeE1EhLi16ELi64ELi256ELb0ELi15EEvPKT_PKT0_S8_ifPKiSA_SA_iPKfiiiPfSD_PS3_PT2_iSC_SC_
	.globl	_Z39paged_attention_ll4mi_QKV_mfma16_kernelI14__hip_bfloat16hLN4vllm18Fp8KVCacheDataTypeE1EhLi16ELi64ELi256ELb0ELi15EEvPKT_PKT0_S8_ifPKiSA_SA_iPKfiiiPfSD_PS3_PT2_iSC_SC_
	.p2align	8
	.type	_Z39paged_attention_ll4mi_QKV_mfma16_kernelI14__hip_bfloat16hLN4vllm18Fp8KVCacheDataTypeE1EhLi16ELi64ELi256ELb0ELi15EEvPKT_PKT0_S8_ifPKiSA_SA_iPKfiiiPfSD_PS3_PT2_iSC_SC_,@function
_Z39paged_attention_ll4mi_QKV_mfma16_kernelI14__hip_bfloat16hLN4vllm18Fp8KVCacheDataTypeE1EhLi16ELi64ELi256ELb0ELi15EEvPKT_PKT0_S8_ifPKiSA_SA_iPKfiiiPfSD_PS3_PT2_iSC_SC_: ; @_Z39paged_attention_ll4mi_QKV_mfma16_kernelI14__hip_bfloat16hLN4vllm18Fp8KVCacheDataTypeE1EhLi16ELi64ELi256ELb0ELi15EEvPKT_PKT0_S8_ifPKiSA_SA_iPKfiiiPfSD_PS3_PT2_iSC_SC_
; %bb.0:
	s_load_dwordx2 s[12:13], s[0:1], 0x30
	s_mov_b32 s28, s3
	s_mov_b64 s[6:7], 0
	s_waitcnt lgkmcnt(0)
	s_cmp_lg_u64 s[12:13], 0
	s_cselect_b64 s[14:15], -1, 0
	s_and_b64 vcc, exec, s[14:15]
	s_cbranch_vccz .LBB1122_7
; %bb.1:
	s_add_i32 s8, s2, 1
	s_mov_b32 s9, 0
	s_lshl_b64 s[10:11], s[8:9], 2
	s_add_u32 s10, s12, s10
	s_mov_b32 s3, s9
	s_addc_u32 s11, s13, s11
	s_lshl_b64 s[8:9], s[2:3], 2
	s_add_u32 s8, s12, s8
	s_addc_u32 s9, s13, s9
	s_load_dword s5, s[10:11], 0x0
	s_load_dword s16, s[8:9], 0x0
	s_waitcnt lgkmcnt(0)
	s_sub_i32 s5, s5, s16
	s_cmp_eq_u32 s5, 1
	s_cselect_b64 s[8:9], -1, 0
	s_andn2_b64 vcc, exec, s[6:7]
	s_cbranch_vccnz .LBB1122_3
.LBB1122_2:
	s_mov_b32 s3, 0
	s_mov_b64 s[8:9], -1
.LBB1122_3:
	s_andn2_b64 vcc, exec, s[8:9]
	s_cbranch_vccnz .LBB1122_18
; %bb.4:
	s_load_dwordx2 s[6:7], s[0:1], 0x28
	s_lshl_b64 s[16:17], s[2:3], 2
	s_waitcnt lgkmcnt(0)
	s_add_u32 s6, s6, s16
	s_addc_u32 s7, s7, s17
	s_load_dword s33, s[6:7], 0x0
	s_lshl_b32 s5, s28, 8
	s_waitcnt lgkmcnt(0)
	s_cmp_ge_i32 s5, s33
	s_cbranch_scc1 .LBB1122_18
; %bb.5:
	s_load_dwordx2 s[6:7], s[0:1], 0x20
	s_load_dword s8, s[0:1], 0x38
	s_add_i32 s9, s33, 15
	s_ashr_i32 s10, s9, 31
	v_and_b32_e32 v1, 0xcf, v0
	s_lshr_b32 s10, s10, 28
	v_add_u32_e32 v1, s5, v1
	s_add_i32 s9, s9, s10
	v_ashrrev_i32_e32 v2, 31, v1
	s_ashr_i32 s18, s9, 4
	v_lshrrev_b32_e32 v4, 28, v2
	s_add_i32 s18, s18, -1
	s_waitcnt lgkmcnt(0)
	s_mul_i32 s8, s2, s8
	s_mov_b32 s9, 0
	v_add_u32_e32 v2, v1, v4
	s_lshl_b64 s[8:9], s[8:9], 2
	v_ashrrev_i32_e32 v2, 4, v2
	v_mov_b32_e32 v5, s18
	v_cmp_gt_i32_e32 vcc, s33, v1
	s_add_u32 s6, s6, s8
	s_addc_u32 s7, s7, s9
	v_cndmask_b32_e32 v2, v5, v2, vcc
	v_ashrrev_i32_e32 v3, 31, v2
	v_lshl_add_u64 v[6:7], v[2:3], 2, s[6:7]
	v_or_b32_e32 v2, 16, v1
	v_add_u32_e32 v3, v2, v4
	v_ashrrev_i32_e32 v3, 4, v3
	v_cmp_gt_i32_e32 vcc, s33, v2
	s_load_dwordx4 s[8:11], s[0:1], 0x8
	s_nop 0
	v_cndmask_b32_e32 v2, v5, v3, vcc
	v_ashrrev_i32_e32 v3, 31, v2
	v_lshl_add_u64 v[8:9], v[2:3], 2, s[6:7]
	v_or_b32_e32 v2, 32, v1
	v_add_u32_e32 v3, v2, v4
	v_ashrrev_i32_e32 v3, 4, v3
	v_cmp_gt_i32_e32 vcc, s33, v2
	v_or_b32_e32 v1, 48, v1
	s_nop 0
	v_cndmask_b32_e32 v2, v5, v3, vcc
	v_ashrrev_i32_e32 v3, 31, v2
	v_lshl_add_u64 v[10:11], v[2:3], 2, s[6:7]
	v_add_u32_e32 v2, v1, v4
	v_ashrrev_i32_e32 v2, 4, v2
	v_cmp_gt_i32_e32 vcc, s33, v1
	s_nop 1
	v_cndmask_b32_e32 v2, v5, v2, vcc
	v_ashrrev_i32_e32 v3, 31, v2
	v_lshl_add_u64 v[12:13], v[2:3], 2, s[6:7]
	global_load_dword v4, v[6:7], off
	global_load_dword v3, v[8:9], off
	;; [unrolled: 1-line block ×4, first 2 shown]
	s_andn2_b64 vcc, exec, s[14:15]
	s_cbranch_vccnz .LBB1122_8
; %bb.6:
	s_add_u32 s12, s12, s16
	s_addc_u32 s13, s13, s17
	s_load_dword s14, s[12:13], 0x0
	s_branch .LBB1122_9
.LBB1122_7:
	s_mov_b64 s[8:9], 0
	s_branch .LBB1122_2
.LBB1122_8:
	s_mov_b32 s14, s2
.LBB1122_9:
	s_load_dwordx4 s[44:47], s[0:1], 0x48
	v_lshrrev_b32_e32 v29, 6, v0
	v_bfe_u32 v42, v0, 4, 2
	v_lshl_or_b32 v5, v29, 2, v42
	v_and_b32_e32 v28, 15, v0
	v_lshlrev_b32_e32 v1, 3, v28
	v_cmp_gt_u32_e32 vcc, 15, v5
	v_cmp_gt_u32_e64 s[30:31], 8, v28
	v_and_b32_e32 v43, 63, v0
	s_mul_i32 s48, s4, 15
	s_and_b64 s[16:17], s[30:31], vcc
	v_lshlrev_b32_e32 v26, 1, v1
	v_lshlrev_b32_e32 v1, 4, v0
	s_and_saveexec_b64 s[12:13], s[16:17]
	s_cbranch_execz .LBB1122_11
; %bb.10:
	s_load_dwordx2 s[16:17], s[0:1], 0x0
	s_waitcnt lgkmcnt(0)
	s_ashr_i32 s15, s44, 31
	s_mul_hi_u32 s19, s14, s44
	s_mul_i32 s15, s14, s15
	s_add_i32 s15, s19, s15
	s_mul_i32 s14, s14, s44
	s_lshl_b64 s[14:15], s[14:15], 1
	s_add_u32 s14, s16, s14
	v_add_lshl_u32 v6, v5, s48, 6
	s_addc_u32 s15, s17, s15
	v_ashrrev_i32_e32 v7, 31, v6
	v_lshl_add_u64 v[6:7], v[6:7], 1, s[14:15]
	v_mov_b32_e32 v27, 0
	v_lshl_add_u64 v[6:7], v[6:7], 0, v[26:27]
	global_load_dwordx4 v[6:9], v[6:7], off
	v_lshlrev_b32_e32 v11, 8, v28
	v_lshlrev_b32_e32 v5, 5, v5
	v_and_b32_e32 v10, 16, v1
	v_and_b32_e32 v11, 0xe00, v11
	v_or3_b32 v5, v11, v5, v10
	s_waitcnt vmcnt(0)
	ds_write_b128 v5, v[6:9]
.LBB1122_11:
	s_or_b64 exec, exec, s[12:13]
	s_waitcnt lgkmcnt(0)
	s_mul_i32 s4, s4, s46
	s_add_u32 s8, s8, s4
	v_mov_b32_e32 v31, 0
	s_addc_u32 s9, s9, 0
	v_and_b32_e32 v8, 48, v0
	v_and_b32_e32 v30, 0xf0, v1
	v_lshl_add_u64 v[6:7], s[8:9], 0, v[30:31]
	v_lshlrev_b32_e32 v30, 4, v8
	v_lshl_add_u64 v[18:19], v[6:7], 0, v[30:31]
	s_waitcnt vmcnt(3)
	v_mad_i64_i32 v[4:5], s[8:9], v4, s45, v[18:19]
	s_load_dword s29, s[0:1], 0x98
	s_load_dwordx4 s[40:43], s[0:1], 0x80
	s_waitcnt lgkmcnt(0)
	s_barrier
	global_load_dwordx4 v[22:25], v[4:5], off
	s_waitcnt vmcnt(3)
	v_mad_i64_i32 v[4:5], s[8:9], v3, s45, v[18:19]
	global_load_dwordx4 v[10:13], v[4:5], off
	v_or_b32_e32 v6, s5, v8
	v_mov_b32_e32 v27, s18
	v_ashrrev_i32_e32 v3, 4, v6
	v_cmp_gt_i32_e32 vcc, s33, v6
	v_or_b32_e32 v21, 64, v6
	v_or_b32_e32 v33, 0x80, v6
	v_cndmask_b32_e32 v4, v27, v3, vcc
	v_ashrrev_i32_e32 v5, 31, v4
	v_lshl_add_u64 v[4:5], v[4:5], 2, s[6:7]
	s_waitcnt vmcnt(3)
	v_mad_i64_i32 v[2:3], s[8:9], v2, s45, v[18:19]
	global_load_dword v56, v[4:5], off
	v_cmp_ne_u32_e32 vcc, 15, v28
	global_load_dwordx4 v[2:5], v[2:3], off
	s_waitcnt vmcnt(4)
	v_mad_i64_i32 v[18:19], s[12:13], v20, s45, v[18:19]
	v_cndmask_b32_e32 v7, 0, v28, vcc
	v_lshlrev_b32_e32 v7, 5, v7
	v_lshl_or_b32 v7, v42, 9, v7
	v_or_b32_e32 v35, 0xc0, v6
	ds_read_b128 v[14:17], v7
	ds_read_b128 v[6:9], v7 offset:16
	v_ashrrev_i32_e32 v32, 4, v21
	v_cmp_gt_i32_e32 vcc, s33, v21
	global_load_dwordx4 v[18:21], v[18:19], off
	v_ashrrev_i32_e32 v34, 4, v33
	v_cndmask_b32_e32 v32, v27, v32, vcc
	v_cmp_gt_i32_e32 vcc, s33, v33
	v_ashrrev_i32_e32 v36, 4, v35
	v_ashrrev_i32_e32 v33, 31, v32
	v_cndmask_b32_e32 v34, v27, v34, vcc
	v_cmp_gt_i32_e32 vcc, s33, v35
	v_ashrrev_i32_e32 v35, 31, v34
	v_lshl_add_u64 v[32:33], v[32:33], 2, s[6:7]
	v_cndmask_b32_e32 v36, v27, v36, vcc
	v_ashrrev_i32_e32 v37, 31, v36
	v_lshl_add_u64 v[36:37], v[36:37], 2, s[6:7]
	s_add_u32 s8, s10, s4
	s_load_dword s4, s[40:41], 0x0
	v_lshl_add_u64 v[38:39], v[34:35], 2, s[6:7]
	global_load_dword v35, v[32:33], off
	global_load_dword v27, v[38:39], off
	;; [unrolled: 1-line block ×3, first 2 shown]
	s_mov_b32 s44, 0x7060302
	s_load_dword s14, s[0:1], 0x1c
	s_mov_b32 s46, 0xff7fffff
	v_lshlrev_b32_e32 v30, 4, v28
	s_addc_u32 s9, s11, 0
	v_lshl_or_b32 v30, v29, 8, v30
	s_waitcnt lgkmcnt(0)
	v_mov_b32_e32 v57, s14
	v_lshl_add_u64 v[30:31], s[8:9], 0, v[30:31]
	s_waitcnt vmcnt(7)
	v_cvt_pk_f32_fp8_e32 v[32:33], v22
	v_cvt_pk_f32_fp8_sdwa v[36:37], v22 src0_sel:WORD_1
	v_cvt_pk_f32_fp8_e32 v[38:39], v23
	v_cvt_pk_f32_fp8_sdwa v[40:41], v23 src0_sel:WORD_1
	v_perm_b32 v32, v33, v32, s44
	v_perm_b32 v33, v37, v36, s44
	s_waitcnt vmcnt(6)
	v_cvt_pk_f32_fp8_e32 v[22:23], v10
	v_cvt_pk_f32_fp8_sdwa v[50:51], v10 src0_sel:WORD_1
	v_cvt_pk_f32_fp8_e32 v[44:45], v24
	v_cvt_pk_f32_fp8_sdwa v[46:47], v24 src0_sel:WORD_1
	;; [unrolled: 2-line block ×3, first 2 shown]
	v_perm_b32 v36, v23, v22, s44
	v_mfma_f32_16x16x16_bf16 v[22:25], v[32:33], v[14:15], 0
	v_perm_b32 v32, v39, v38, s44
	v_perm_b32 v33, v41, v40, s44
	v_cvt_pk_f32_fp8_e32 v[54:55], v11
	v_perm_b32 v37, v51, v50, s44
	v_cvt_pk_f32_fp8_sdwa v[10:11], v11 src0_sel:WORD_1
	v_mfma_f32_16x16x16_bf16 v[22:25], v[32:33], v[16:17], v[22:25]
	v_perm_b32 v50, v55, v54, s44
	v_perm_b32 v51, v11, v10, s44
	;; [unrolled: 1-line block ×4, first 2 shown]
	v_mfma_f32_16x16x16_bf16 v[36:39], v[36:37], v[14:15], 0
	v_cvt_pk_f32_fp8_e32 v[40:41], v12
	v_cvt_pk_f32_fp8_sdwa v[10:11], v12 src0_sel:WORD_1
	v_perm_b32 v44, v49, v48, s44
	v_mfma_f32_16x16x16_bf16 v[36:39], v[50:51], v[16:17], v[36:39]
	v_cvt_pk_f32_fp8_e32 v[50:51], v13
	v_perm_b32 v45, v53, v52, s44
	v_cvt_pk_f32_fp8_sdwa v[12:13], v13 src0_sel:WORD_1
	v_mfma_f32_16x16x16_bf16 v[22:25], v[32:33], v[6:7], v[22:25]
	v_perm_b32 v32, v41, v40, s44
	v_perm_b32 v33, v11, v10, s44
	v_perm_b32 v40, v51, v50, s44
	v_perm_b32 v41, v13, v12, s44
	v_mfma_f32_16x16x16_bf16 v[44:47], v[44:45], v[8:9], v[22:25]
	s_waitcnt vmcnt(4)
	v_cvt_pk_f32_fp8_e32 v[12:13], v2
	v_cvt_pk_f32_fp8_sdwa v[48:49], v4 src0_sel:WORD_1
	v_mul_f32_e32 v50, s4, v57
	v_mfma_f32_16x16x16_bf16 v[22:25], v[32:33], v[6:7], v[36:39]
	v_cvt_pk_f32_fp8_sdwa v[32:33], v2 src0_sel:WORD_1
	v_perm_b32 v12, v13, v12, s44
	v_mad_i64_i32 v[10:11], s[6:7], v56, s45, v[30:31]
	v_mfma_f32_16x16x16_bf16 v[38:41], v[40:41], v[8:9], v[22:25]
	v_perm_b32 v13, v33, v32, s44
	v_cvt_pk_f32_fp8_e32 v[36:37], v4
	s_nop 0
	v_cvt_pk_f32_fp8_e32 v[22:23], v3
	v_cvt_pk_f32_fp8_sdwa v[2:3], v3 src0_sel:WORD_1
	v_perm_b32 v32, v23, v22, s44
	v_perm_b32 v33, v3, v2, s44
	v_mfma_f32_16x16x16_bf16 v[22:25], v[12:13], v[14:15], 0
	v_perm_b32 v12, v37, v36, s44
	v_perm_b32 v13, v49, v48, s44
	v_cvt_pk_f32_fp8_e32 v[36:37], v5
	v_cvt_pk_f32_fp8_sdwa v[48:49], v5 src0_sel:WORD_1
	v_mfma_f32_16x16x16_bf16 v[2:5], v[32:33], v[16:17], v[22:25]
	s_waitcnt vmcnt(3)
	v_cvt_pk_f32_fp8_sdwa v[32:33], v20 src0_sel:WORD_1
	s_nop 0
	v_perm_b32 v24, v37, v36, s44
	v_perm_b32 v25, v49, v48, s44
	v_pk_mul_f32 v[22:23], v[50:51], v[46:47] op_sel_hi:[0,1]
	v_mfma_f32_16x16x16_bf16 v[46:49], v[12:13], v[6:7], v[2:5]
	v_cvt_pk_f32_fp8_sdwa v[12:13], v18 src0_sel:WORD_1
	v_pk_mul_f32 v[36:37], v[50:51], v[40:41] op_sel_hi:[0,1]
	v_pk_mul_f32 v[40:41], v[50:51], v[38:39] op_sel_hi:[0,1]
	v_cvt_pk_f32_fp8_e32 v[4:5], v18
	v_pk_mul_f32 v[2:3], v[50:51], v[44:45] op_sel_hi:[0,1]
	v_mfma_f32_16x16x16_bf16 v[44:47], v[24:25], v[8:9], v[46:49]
	v_cvt_pk_f32_fp8_e32 v[24:25], v19
	v_perm_b32 v4, v5, v4, s44
	v_perm_b32 v5, v13, v12, s44
	v_cvt_pk_f32_fp8_sdwa v[12:13], v19 src0_sel:WORD_1
	v_perm_b32 v18, v25, v24, s44
	v_cvt_pk_f32_fp8_e32 v[24:25], v20
	s_nop 0
	v_pk_mul_f32 v[38:39], v[50:51], v[44:45] op_sel_hi:[0,1]
	v_perm_b32 v19, v13, v12, s44
	v_mfma_f32_16x16x16_bf16 v[12:15], v[4:5], v[14:15], 0
	v_perm_b32 v4, v25, v24, s44
	v_perm_b32 v5, v33, v32, s44
	v_cvt_pk_f32_fp8_e32 v[24:25], v21
	v_cvt_pk_f32_fp8_sdwa v[20:21], v21 src0_sel:WORD_1
	v_mfma_f32_16x16x16_bf16 v[12:15], v[18:19], v[16:17], v[12:15]
	v_pk_mul_f32 v[32:33], v[50:51], v[46:47] op_sel_hi:[0,1]
	v_perm_b32 v16, v25, v24, s44
	v_perm_b32 v17, v21, v20, s44
	v_mfma_f32_16x16x16_bf16 v[4:7], v[4:5], v[6:7], v[12:15]
	s_nop 0
	v_mfma_f32_16x16x16_bf16 v[4:7], v[16:17], v[8:9], v[4:7]
	s_nop 6
	v_pk_mul_f32 v[24:25], v[50:51], v[4:5] op_sel_hi:[0,1]
	v_and_b32_e32 v4, 0xc0, v0
	v_add_u32_e32 v4, s5, v4
	v_lshl_or_b32 v4, v42, 2, v4
	v_pk_mul_f32 v[18:19], v[50:51], v[6:7] op_sel_hi:[0,1]
	v_or_b32_e32 v7, 1, v4
	v_mov_b32_e32 v5, 0xff7fffff
	v_cmp_gt_i32_e64 s[4:5], s33, v4
	v_cmp_gt_i32_e64 s[34:35], s33, v7
	v_or_b32_e32 v8, 3, v4
	v_cndmask_b32_e64 v6, v5, v2, s[4:5]
	v_cndmask_b32_e64 v7, v5, v3, s[34:35]
	v_max3_f32 v6, v6, s46, v7
	v_or_b32_e32 v7, 2, v4
	v_cmp_gt_i32_e64 s[36:37], s33, v7
	v_cmp_gt_i32_e64 s[38:39], s33, v8
	s_nop 0
	v_cndmask_b32_e64 v7, v5, v22, s[36:37]
	v_cndmask_b32_e64 v8, v5, v23, s[38:39]
	v_max3_f32 v6, v6, v7, v8
	v_or_b32_e32 v7, 16, v4
	v_or_b32_e32 v8, 17, v4
	v_cmp_gt_i32_e64 s[24:25], s33, v7
	v_cmp_gt_i32_e64 s[26:27], s33, v8
	s_nop 0
	v_cndmask_b32_e64 v7, v5, v40, s[24:25]
	v_cndmask_b32_e64 v8, v5, v41, s[26:27]
	v_max3_f32 v6, v6, v7, v8
	v_or_b32_e32 v7, 18, v4
	;; [unrolled: 8-line block ×6, first 2 shown]
	v_or_b32_e32 v4, 51, v4
	v_cmp_gt_i32_e32 vcc, s33, v7
	v_cmp_gt_i32_e64 s[6:7], s33, v4
	s_nop 0
	v_cndmask_b32_e32 v7, v5, v18, vcc
	v_cndmask_b32_e64 v4, v5, v19, s[6:7]
	v_max3_f32 v6, v6, v7, v4
	v_mbcnt_lo_u32_b32 v4, -1, 0
	v_mbcnt_hi_u32_b32 v7, -1, v4
	v_and_b32_e32 v4, 64, v7
	v_add_u32_e32 v8, 64, v4
	v_xor_b32_e32 v4, 32, v7
	v_cmp_lt_i32_e64 s[40:41], v4, v8
	s_nop 1
	v_cndmask_b32_e64 v4, v7, v4, s[40:41]
	v_lshlrev_b32_e32 v44, 2, v4
	ds_bpermute_b32 v9, v44, v6
	s_waitcnt vmcnt(2)
	v_mad_i64_i32 v[4:5], s[40:41], v35, s45, v[30:31]
	global_load_dwordx4 v[14:17], v[10:11], off
	s_nop 0
	global_load_dwordx4 v[10:13], v[4:5], off
	v_xor_b32_e32 v5, 16, v7
	v_cmp_lt_i32_e64 s[40:41], v5, v8
	s_waitcnt lgkmcnt(0)
	v_max_f32_e32 v4, v9, v9
	v_max_f32_e32 v4, v6, v4
	v_cndmask_b32_e64 v5, v7, v5, s[40:41]
	v_lshlrev_b32_e32 v45, 2, v5
	ds_bpermute_b32 v5, v45, v4
	s_waitcnt vmcnt(3)
	v_mad_i64_i32 v[20:21], s[40:41], v27, s45, v[30:31]
	s_waitcnt vmcnt(2)
	v_mad_i64_i32 v[30:31], s[40:41], v34, s45, v[30:31]
	s_waitcnt lgkmcnt(0)
	v_max_f32_e32 v5, v5, v5
	v_max_f32_e32 v27, v4, v5
	v_sub_f32_e32 v2, v2, v27
	v_mul_f32_e32 v2, 0x3fb8aa3b, v2
	v_exp_f32_e32 v34, v2
	v_sub_f32_e32 v2, v3, v27
	v_mul_f32_e32 v2, 0x3fb8aa3b, v2
	v_exp_f32_e32 v35, v2
	global_load_dwordx4 v[6:9], v[20:21], off
	global_load_dwordx4 v[2:5], v[30:31], off
	v_sub_f32_e32 v22, v22, v27
	v_mul_f32_e32 v22, 0x3fb8aa3b, v22
	v_sub_f32_e32 v23, v23, v27
	v_exp_f32_e32 v22, v22
	v_mul_f32_e32 v23, 0x3fb8aa3b, v23
	v_exp_f32_e32 v23, v23
	v_cndmask_b32_e64 v20, 0, v34, s[4:5]
	v_add_f32_e32 v30, 0, v20
	v_cndmask_b32_e64 v21, 0, v35, s[34:35]
	v_add_f32_e32 v30, v30, v21
	v_cndmask_b32_e64 v34, 0, v22, s[36:37]
	v_add_f32_e32 v22, v30, v34
	v_cndmask_b32_e64 v35, 0, v23, s[38:39]
	v_sub_f32_e32 v23, v40, v27
	v_sub_f32_e32 v30, v41, v27
	v_mul_f32_e32 v23, 0x3fb8aa3b, v23
	v_mul_f32_e32 v30, 0x3fb8aa3b, v30
	v_exp_f32_e32 v23, v23
	v_exp_f32_e32 v30, v30
	v_add_f32_e32 v31, v22, v35
	v_sub_f32_e32 v32, v32, v27
	v_cndmask_b32_e64 v22, 0, v23, s[24:25]
	v_cndmask_b32_e64 v23, 0, v30, s[26:27]
	v_sub_f32_e32 v30, v36, v27
	v_mul_f32_e32 v30, 0x3fb8aa3b, v30
	v_exp_f32_e32 v30, v30
	v_sub_f32_e32 v36, v37, v27
	v_add_f32_e32 v31, v31, v22
	v_mul_f32_e32 v36, 0x3fb8aa3b, v36
	v_exp_f32_e32 v37, v36
	v_add_f32_e32 v31, v31, v23
	v_cndmask_b32_e64 v36, 0, v30, s[20:21]
	v_add_f32_e32 v30, v31, v36
	v_sub_f32_e32 v31, v38, v27
	v_mul_f32_e32 v31, 0x3fb8aa3b, v31
	v_sub_f32_e32 v38, v39, v27
	v_exp_f32_e32 v31, v31
	v_mul_f32_e32 v38, 0x3fb8aa3b, v38
	v_exp_f32_e32 v38, v38
	v_mul_f32_e32 v32, 0x3fb8aa3b, v32
	v_sub_f32_e32 v33, v33, v27
	v_exp_f32_e32 v32, v32
	v_mul_f32_e32 v33, 0x3fb8aa3b, v33
	v_sub_f32_e32 v24, v24, v27
	v_cndmask_b32_e64 v37, 0, v37, s[22:23]
	v_exp_f32_e32 v33, v33
	v_mul_f32_e32 v24, 0x3fb8aa3b, v24
	v_sub_f32_e32 v25, v25, v27
	v_add_f32_e32 v39, v30, v37
	v_cndmask_b32_e64 v30, 0, v31, s[16:17]
	v_exp_f32_e32 v24, v24
	v_mul_f32_e32 v25, 0x3fb8aa3b, v25
	v_sub_f32_e32 v18, v18, v27
	v_add_f32_e32 v39, v39, v30
	;; [unrolled: 5-line block ×3, first 2 shown]
	v_cndmask_b32_e64 v32, 0, v32, s[12:13]
	v_exp_f32_e32 v18, v18
	v_mul_f32_e32 v19, 0x3fb8aa3b, v19
	v_add_f32_e32 v38, v38, v32
	v_cndmask_b32_e64 v33, 0, v33, s[14:15]
	v_exp_f32_e32 v19, v19
	v_add_f32_e32 v38, v38, v33
	v_cndmask_b32_e64 v24, 0, v24, s[8:9]
	v_add_f32_e32 v38, v38, v24
	v_cndmask_b32_e64 v25, 0, v25, s[10:11]
	v_add_f32_e32 v38, v38, v25
	v_cndmask_b32_e32 v18, 0, v18, vcc
	v_add_f32_e32 v38, v38, v18
	v_cndmask_b32_e64 v19, 0, v19, s[6:7]
	v_add_f32_e32 v38, v38, v19
	ds_bpermute_b32 v39, v44, v38
	v_cmp_gt_u32_e32 vcc, 16, v43
	s_waitcnt lgkmcnt(0)
	s_barrier
	v_add_f32_e32 v39, v38, v39
	ds_bpermute_b32 v40, v45, v39
	v_lshlrev_b32_e32 v38, 2, v28
	s_and_saveexec_b64 s[4:5], vcc
	s_cbranch_execz .LBB1122_13
; %bb.12:
	s_waitcnt lgkmcnt(0)
	v_add_f32_e32 v39, v39, v40
	v_lshl_or_b32 v40, v29, 6, v38
	ds_write2st64_b32 v40, v27, v39 offset1:1
.LBB1122_13:
	s_or_b64 exec, exec, s[4:5]
	s_load_dword s6, s[0:1], 0x94
	s_waitcnt lgkmcnt(0)
	s_barrier
	ds_read2_b32 v[40:41], v38 offset1:16
	ds_read2_b32 v[44:45], v38 offset0:32 offset1:48
	ds_read2_b32 v[46:47], v38 offset0:64 offset1:80
	s_movk_i32 s8, 0x7fff
	s_mul_i32 s7, s29, 15
	s_waitcnt lgkmcnt(2)
	v_max3_f32 v27, v40, s46, v41
	s_waitcnt lgkmcnt(1)
	v_max3_f32 v27, v27, v44, v45
	v_sub_f32_e32 v39, v40, v27
	v_sub_f32_e32 v40, v41, v27
	v_mul_f32_e32 v40, 0x3fb8aa3b, v40
	v_mul_f32_e32 v39, 0x3fb8aa3b, v39
	v_exp_f32_e32 v43, v40
	v_sub_f32_e32 v40, v44, v27
	v_exp_f32_e32 v39, v39
	v_mul_f32_e32 v40, 0x3fb8aa3b, v40
	v_exp_f32_e32 v44, v40
	ds_read2_b32 v[40:41], v38 offset0:96 offset1:112
	v_sub_f32_e32 v38, v45, v27
	v_mul_f32_e32 v38, 0x3fb8aa3b, v38
	v_exp_f32_e32 v45, v38
	s_waitcnt lgkmcnt(1)
	v_fma_f32 v38, v39, v46, 0
	v_fmac_f32_e32 v38, v43, v47
	s_waitcnt lgkmcnt(0)
	v_fmac_f32_e32 v38, v44, v40
	v_fmac_f32_e32 v38, v45, v41
	v_add_f32_e32 v40, 0x358637bd, v38
	v_div_scale_f32 v41, s[4:5], v40, v40, 1.0
	v_rcp_f32_e32 v46, v41
	s_barrier
	v_fma_f32 v47, -v41, v46, 1.0
	v_fmac_f32_e32 v46, v47, v46
	v_div_scale_f32 v47, vcc, 1.0, v40, 1.0
	v_mul_f32_e32 v48, v47, v46
	v_fma_f32 v49, -v41, v48, v47
	v_fmac_f32_e32 v48, v49, v46
	v_fma_f32 v41, -v41, v48, v47
	v_div_fmas_f32 v41, v41, v46, v48
	v_cmp_eq_u32_e32 vcc, 1, v29
	v_div_fixup_f32 v40, v41, v40, 1.0
	s_nop 0
	v_cndmask_b32_e32 v39, v39, v43, vcc
	v_cmp_eq_u32_e32 vcc, 2, v29
	s_nop 1
	v_cndmask_b32_e32 v39, v39, v44, vcc
	v_cmp_eq_u32_e32 vcc, 3, v29
	v_lshlrev_b32_e32 v29, 11, v29
	s_nop 0
	v_cndmask_b32_e32 v39, v39, v45, vcc
	v_mul_f32_e32 v40, v39, v40
	v_pk_mul_f32 v[20:21], v[40:41], v[20:21] op_sel_hi:[0,1]
	v_pk_mul_f32 v[34:35], v[40:41], v[34:35] op_sel_hi:[0,1]
	v_bfe_u32 v39, v21, 16, 1
	v_bfe_u32 v41, v20, 16, 1
	v_add3_u32 v20, v20, v41, s8
	v_add3_u32 v21, v21, v39, s8
	v_perm_b32 v44, v21, v20, s44
	v_bfe_u32 v20, v35, 16, 1
	v_bfe_u32 v21, v34, 16, 1
	v_add3_u32 v21, v34, v21, s8
	v_add3_u32 v20, v35, v20, s8
	v_perm_b32 v45, v20, v21, s44
	v_lshlrev_b32_e32 v20, 3, v42
	v_lshlrev_b32_e32 v21, 5, v28
	v_pk_mul_f32 v[22:23], v[40:41], v[22:23] op_sel_hi:[0,1]
	v_or3_b32 v20, v29, v21, v20
	v_pk_mul_f32 v[34:35], v[40:41], v[36:37] op_sel_hi:[0,1]
	v_bfe_u32 v29, v23, 16, 1
	v_bfe_u32 v36, v22, 16, 1
	v_add3_u32 v22, v22, v36, s8
	v_add3_u32 v23, v23, v29, s8
	v_perm_b32 v22, v23, v22, s44
	v_bfe_u32 v23, v35, 16, 1
	v_bfe_u32 v29, v34, 16, 1
	v_add3_u32 v29, v34, v29, s8
	v_add3_u32 v23, v35, v23, s8
	v_perm_b32 v23, v23, v29, s44
	v_pk_mul_f32 v[30:31], v[40:41], v[30:31] op_sel_hi:[0,1]
	ds_write2st64_b64 v20, v[44:45], v[22:23] offset1:1
	v_pk_mul_f32 v[22:23], v[40:41], v[32:33] op_sel_hi:[0,1]
	v_bfe_u32 v29, v31, 16, 1
	v_bfe_u32 v32, v30, 16, 1
	v_add3_u32 v30, v30, v32, s8
	v_add3_u32 v29, v31, v29, s8
	v_perm_b32 v30, v29, v30, s44
	v_bfe_u32 v29, v23, 16, 1
	v_bfe_u32 v31, v22, 16, 1
	v_add3_u32 v22, v22, v31, s8
	v_add3_u32 v23, v23, v29, s8
	v_perm_b32 v31, v23, v22, s44
	v_pk_mul_f32 v[22:23], v[40:41], v[24:25] op_sel_hi:[0,1]
	v_bfe_u32 v24, v23, 16, 1
	v_bfe_u32 v25, v22, 16, 1
	v_pk_mul_f32 v[18:19], v[40:41], v[18:19] op_sel_hi:[0,1]
	v_add3_u32 v22, v22, v25, s8
	v_add3_u32 v23, v23, v24, s8
	v_perm_b32 v22, v23, v22, s44
	v_bfe_u32 v23, v19, 16, 1
	v_bfe_u32 v24, v18, 16, 1
	v_add3_u32 v18, v18, v24, s8
	v_add3_u32 v19, v19, v23, s8
	v_perm_b32 v23, v19, v18, s44
	v_cmp_gt_u32_e32 vcc, 15, v0
	ds_write2st64_b64 v20, v[30:31], v[22:23] offset0:2 offset1:3
	s_and_saveexec_b64 s[4:5], vcc
	s_cbranch_execz .LBB1122_15
; %bb.14:
	s_mov_b32 s49, 0
	v_mov_b32_e32 v29, 0
	v_lshl_add_u64 v[18:19], s[48:49], 0, v[28:29]
	v_mov_b32_e32 v22, s7
	v_mad_u64_u32 v[18:19], s[10:11], s2, v22, v[18:19]
	s_mul_i32 s3, s3, s7
	v_mov_b32_e32 v28, s28
	s_load_dwordx4 s[12:15], s[0:1], 0x58
	v_add_u32_e32 v23, s3, v19
	v_mad_u64_u32 v[18:19], s[10:11], v18, s6, v[28:29]
	v_mov_b32_e32 v22, v19
	v_mad_u64_u32 v[22:23], s[10:11], v23, s6, v[22:23]
	v_mov_b32_e32 v19, v22
	v_lshlrev_b64 v[18:19], 2, v[18:19]
	s_waitcnt lgkmcnt(0)
	v_lshl_add_u64 v[22:23], s[14:15], 0, v[18:19]
	v_lshl_add_u64 v[18:19], s[12:13], 0, v[18:19]
	global_store_dword v[22:23], v27, off
	global_store_dword v[18:19], v38, off
.LBB1122_15:
	s_or_b64 exec, exec, s[4:5]
	s_waitcnt vmcnt(3)
	v_cvt_pk_f32_fp8_e32 v[18:19], v14
	v_cvt_pk_f32_fp8_sdwa v[22:23], v14 src0_sel:WORD_1
	s_mov_b32 s4, 0x7060302
	v_lshl_or_b32 v14, v42, 9, v21
	s_waitcnt lgkmcnt(0)
	s_barrier
	v_perm_b32 v18, v19, v18, s4
	v_perm_b32 v19, v23, v22, s4
	v_cvt_pk_f32_fp8_e32 v[28:29], v15
	ds_read_b128 v[22:25], v14
	v_cvt_pk_f32_fp8_sdwa v[36:37], v15 src0_sel:WORD_1
	s_load_dword s10, s[42:43], 0x0
	v_perm_b32 v38, v29, v28, s4
	ds_read_b128 v[28:31], v14 offset:16
	v_perm_b32 v39, v37, v36, s4
	s_waitcnt lgkmcnt(0)
	v_mfma_f32_16x16x16_bf16 v[32:35], v[18:19], v[22:23], 0
	v_cvt_pk_f32_fp8_e32 v[18:19], v16
	v_cvt_pk_f32_fp8_sdwa v[36:37], v16 src0_sel:WORD_1
	v_cmp_gt_u32_e32 vcc, 64, v0
	v_mfma_f32_16x16x16_bf16 v[22:25], v[38:39], v[24:25], v[32:35]
	v_perm_b32 v18, v19, v18, s4
	v_perm_b32 v19, v37, v36, s4
	s_waitcnt vmcnt(2)
	v_cvt_pk_f32_fp8_sdwa v[36:37], v10 src0_sel:WORD_1
	v_cvt_pk_f32_fp8_e32 v[32:33], v17
	v_cvt_pk_f32_fp8_sdwa v[16:17], v17 src0_sel:WORD_1
	v_cvt_pk_f32_fp8_e32 v[34:35], v10
	s_mov_b32 s3, 0
	v_perm_b32 v32, v33, v32, s4
	v_perm_b32 v33, v17, v16, s4
	v_mfma_f32_16x16x16_bf16 v[16:19], v[18:19], v[28:29], v[22:25]
	v_perm_b32 v34, v35, v34, s4
	v_perm_b32 v35, v37, v36, s4
	v_cvt_pk_f32_fp8_e32 v[28:29], v11
	ds_read_b128 v[22:25], v14 offset:2048
	v_cvt_pk_f32_fp8_sdwa v[10:11], v11 src0_sel:WORD_1
	v_mfma_f32_16x16x16_bf16 v[16:19], v[32:33], v[30:31], v[16:19]
	v_perm_b32 v32, v29, v28, s4
	ds_read_b128 v[28:31], v14 offset:2064
	v_perm_b32 v33, v11, v10, s4
	s_waitcnt lgkmcnt(1)
	v_mfma_f32_16x16x16_bf16 v[16:19], v[34:35], v[22:23], v[16:19]
	v_cvt_pk_f32_fp8_e32 v[10:11], v12
	v_cvt_pk_f32_fp8_sdwa v[22:23], v12 src0_sel:WORD_1
	v_mov_b32_e32 v27, 0
	v_mfma_f32_16x16x16_bf16 v[16:19], v[32:33], v[24:25], v[16:19]
	v_cvt_pk_f32_fp8_e32 v[24:25], v13
	v_perm_b32 v10, v11, v10, s4
	v_perm_b32 v11, v23, v22, s4
	v_cvt_pk_f32_fp8_sdwa v[12:13], v13 src0_sel:WORD_1
	v_perm_b32 v22, v25, v24, s4
	s_waitcnt vmcnt(1)
	v_cvt_pk_f32_fp8_e32 v[24:25], v6
	v_cvt_pk_f32_fp8_sdwa v[32:33], v6 src0_sel:WORD_1
	v_perm_b32 v23, v13, v12, s4
	s_waitcnt lgkmcnt(0)
	v_mfma_f32_16x16x16_bf16 v[10:13], v[10:11], v[28:29], v[16:19]
	v_perm_b32 v28, v25, v24, s4
	v_perm_b32 v29, v33, v32, s4
	v_cvt_pk_f32_fp8_e32 v[24:25], v7
	ds_read_b128 v[16:19], v14 offset:4096
	v_cvt_pk_f32_fp8_sdwa v[6:7], v7 src0_sel:WORD_1
	v_mfma_f32_16x16x16_bf16 v[10:13], v[22:23], v[30:31], v[10:13]
	v_perm_b32 v30, v25, v24, s4
	ds_read_b128 v[22:25], v14 offset:4112
	v_perm_b32 v31, v7, v6, s4
	s_waitcnt lgkmcnt(1)
	v_mfma_f32_16x16x16_bf16 v[10:13], v[28:29], v[16:17], v[10:13]
	v_cvt_pk_f32_fp8_e32 v[6:7], v8
	v_cvt_pk_f32_fp8_sdwa v[16:17], v8 src0_sel:WORD_1
	s_waitcnt vmcnt(0)
	v_cvt_pk_f32_fp8_sdwa v[28:29], v2 src0_sel:WORD_1
	v_mfma_f32_16x16x16_bf16 v[10:13], v[30:31], v[18:19], v[10:13]
	v_cvt_pk_f32_fp8_e32 v[18:19], v9
	v_perm_b32 v6, v7, v6, s4
	v_perm_b32 v7, v17, v16, s4
	v_cvt_pk_f32_fp8_sdwa v[8:9], v9 src0_sel:WORD_1
	v_perm_b32 v16, v19, v18, s4
	v_cvt_pk_f32_fp8_e32 v[18:19], v2
	v_perm_b32 v17, v9, v8, s4
	s_waitcnt lgkmcnt(0)
	v_mfma_f32_16x16x16_bf16 v[6:9], v[6:7], v[22:23], v[10:13]
	v_perm_b32 v18, v19, v18, s4
	v_perm_b32 v19, v29, v28, s4
	v_cvt_pk_f32_fp8_e32 v[22:23], v3
	ds_read_b128 v[10:13], v14 offset:6144
	v_cvt_pk_f32_fp8_sdwa v[2:3], v3 src0_sel:WORD_1
	v_mfma_f32_16x16x16_bf16 v[6:9], v[16:17], v[24:25], v[6:9]
	v_perm_b32 v22, v23, v22, s4
	ds_read_b128 v[14:17], v14 offset:6160
	v_perm_b32 v23, v3, v2, s4
	s_waitcnt lgkmcnt(1)
	v_mfma_f32_16x16x16_bf16 v[6:9], v[18:19], v[10:11], v[6:9]
	v_cvt_pk_f32_fp8_e32 v[2:3], v4
	v_cvt_pk_f32_fp8_sdwa v[10:11], v4 src0_sel:WORD_1
	s_waitcnt lgkmcnt(0)
	v_mfma_f32_16x16x16_bf16 v[6:9], v[22:23], v[12:13], v[6:9]
	v_perm_b32 v2, v3, v2, s4
	v_perm_b32 v3, v11, v10, s4
	v_cvt_pk_f32_fp8_e32 v[10:11], v5
	v_cvt_pk_f32_fp8_sdwa v[4:5], v5 src0_sel:WORD_1
	s_barrier
	v_perm_b32 v10, v11, v10, s4
	v_perm_b32 v11, v5, v4, s4
	v_mfma_f32_16x16x16_bf16 v[2:5], v[2:3], v[14:15], v[6:9]
	s_nop 0
	v_mfma_f32_16x16x16_bf16 v[2:5], v[10:11], v[16:17], v[2:5]
	s_nop 6
	v_pk_mul_f32 v[2:3], v[2:3], s[10:11] op_sel_hi:[1,0]
	v_pk_mul_f32 v[4:5], v[4:5], s[10:11] op_sel_hi:[1,0]
	v_bfe_u32 v6, v3, 16, 1
	v_bfe_u32 v7, v2, 16, 1
	v_add3_u32 v2, v2, v7, s8
	v_add3_u32 v3, v3, v6, s8
	v_perm_b32 v2, v3, v2, s4
	v_bfe_u32 v3, v5, 16, 1
	v_bfe_u32 v6, v4, 16, 1
	v_add3_u32 v4, v4, v6, s8
	v_add3_u32 v3, v5, v3, s8
	v_perm_b32 v3, v3, v4, s4
	s_and_b64 s[4:5], vcc, s[30:31]
	ds_write_b64 v20, v[2:3]
	s_waitcnt lgkmcnt(0)
	s_barrier
	s_and_saveexec_b64 s[8:9], s[4:5]
	s_cbranch_execz .LBB1122_18
; %bb.16:
	s_load_dwordx2 s[4:5], s[0:1], 0x68
	s_lshl_b32 s0, s6, 6
	s_mul_i32 s1, s7, s2
	s_mul_hi_u32 s7, s1, s0
	s_mul_i32 s6, s1, s0
	v_lshlrev_b32_e32 v0, 10, v0
	s_lshl_b64 s[6:7], s[6:7], 1
	v_and_b32_e32 v0, 0x1800, v0
	v_lshlrev_b32_e32 v2, 5, v42
	v_and_b32_e32 v1, 16, v1
	s_waitcnt lgkmcnt(0)
	s_add_u32 s1, s4, s6
	v_or3_b32 v2, v0, v2, v1
	s_addc_u32 s4, s5, s7
	s_lshl_b32 s2, s28, 6
	ds_read_b128 v[4:7], v2 offset:256
	s_lshl_b64 s[2:3], s[2:3], 1
	ds_read_b128 v[8:11], v2 offset:128
	ds_read_b128 v[12:15], v2
	s_add_u32 s2, s1, s2
	s_addc_u32 s3, s4, s3
	v_add_u32_e32 v3, s48, v42
	v_lshl_add_u64 v[0:1], s[2:3], 0, v[26:27]
	v_mad_u64_u32 v[16:17], s[2:3], v3, s0, 0
	v_lshl_add_u64 v[16:17], v[16:17], 1, v[0:1]
	s_waitcnt lgkmcnt(0)
	global_store_dwordx4 v[16:17], v[12:15], off
	v_cmp_ne_u32_e32 vcc, 3, v42
	s_nop 0
	v_add_u32_e32 v12, 4, v3
	v_mad_u64_u32 v[12:13], s[2:3], v12, s0, 0
	v_lshl_add_u64 v[12:13], v[12:13], 1, v[0:1]
	v_add_u32_e32 v3, 8, v3
	global_store_dwordx4 v[12:13], v[8:11], off
	s_nop 1
	v_mad_u64_u32 v[8:9], s[2:3], v3, s0, 0
	v_lshl_add_u64 v[8:9], v[8:9], 1, v[0:1]
	global_store_dwordx4 v[8:9], v[4:7], off
	s_and_b64 exec, exec, vcc
	s_cbranch_execz .LBB1122_18
; %bb.17:
	ds_read_b128 v[2:5], v2 offset:384
	v_add3_u32 v6, s48, v42, 12
	v_mad_u64_u32 v[6:7], s[0:1], v6, s0, 0
	v_lshl_add_u64 v[0:1], v[6:7], 1, v[0:1]
	s_waitcnt lgkmcnt(0)
	global_store_dwordx4 v[0:1], v[2:5], off
.LBB1122_18:
	s_endpgm
	.section	.rodata,"a",@progbits
	.p2align	6, 0x0
	.amdhsa_kernel _Z39paged_attention_ll4mi_QKV_mfma16_kernelI14__hip_bfloat16hLN4vllm18Fp8KVCacheDataTypeE1EhLi16ELi64ELi256ELb0ELi15EEvPKT_PKT0_S8_ifPKiSA_SA_iPKfiiiPfSD_PS3_PT2_iSC_SC_
		.amdhsa_group_segment_fixed_size 8192
		.amdhsa_private_segment_fixed_size 0
		.amdhsa_kernarg_size 400
		.amdhsa_user_sgpr_count 2
		.amdhsa_user_sgpr_dispatch_ptr 0
		.amdhsa_user_sgpr_queue_ptr 0
		.amdhsa_user_sgpr_kernarg_segment_ptr 1
		.amdhsa_user_sgpr_dispatch_id 0
		.amdhsa_user_sgpr_kernarg_preload_length 0
		.amdhsa_user_sgpr_kernarg_preload_offset 0
		.amdhsa_user_sgpr_private_segment_size 0
		.amdhsa_uses_dynamic_stack 0
		.amdhsa_enable_private_segment 0
		.amdhsa_system_sgpr_workgroup_id_x 1
		.amdhsa_system_sgpr_workgroup_id_y 1
		.amdhsa_system_sgpr_workgroup_id_z 1
		.amdhsa_system_sgpr_workgroup_info 0
		.amdhsa_system_vgpr_workitem_id 0
		.amdhsa_next_free_vgpr 58
		.amdhsa_next_free_sgpr 50
		.amdhsa_accum_offset 60
		.amdhsa_reserve_vcc 1
		.amdhsa_float_round_mode_32 0
		.amdhsa_float_round_mode_16_64 0
		.amdhsa_float_denorm_mode_32 3
		.amdhsa_float_denorm_mode_16_64 3
		.amdhsa_dx10_clamp 1
		.amdhsa_ieee_mode 1
		.amdhsa_fp16_overflow 0
		.amdhsa_tg_split 0
		.amdhsa_exception_fp_ieee_invalid_op 0
		.amdhsa_exception_fp_denorm_src 0
		.amdhsa_exception_fp_ieee_div_zero 0
		.amdhsa_exception_fp_ieee_overflow 0
		.amdhsa_exception_fp_ieee_underflow 0
		.amdhsa_exception_fp_ieee_inexact 0
		.amdhsa_exception_int_div_zero 0
	.end_amdhsa_kernel
	.section	.text._Z39paged_attention_ll4mi_QKV_mfma16_kernelI14__hip_bfloat16hLN4vllm18Fp8KVCacheDataTypeE1EhLi16ELi64ELi256ELb0ELi15EEvPKT_PKT0_S8_ifPKiSA_SA_iPKfiiiPfSD_PS3_PT2_iSC_SC_,"axG",@progbits,_Z39paged_attention_ll4mi_QKV_mfma16_kernelI14__hip_bfloat16hLN4vllm18Fp8KVCacheDataTypeE1EhLi16ELi64ELi256ELb0ELi15EEvPKT_PKT0_S8_ifPKiSA_SA_iPKfiiiPfSD_PS3_PT2_iSC_SC_,comdat
.Lfunc_end1122:
	.size	_Z39paged_attention_ll4mi_QKV_mfma16_kernelI14__hip_bfloat16hLN4vllm18Fp8KVCacheDataTypeE1EhLi16ELi64ELi256ELb0ELi15EEvPKT_PKT0_S8_ifPKiSA_SA_iPKfiiiPfSD_PS3_PT2_iSC_SC_, .Lfunc_end1122-_Z39paged_attention_ll4mi_QKV_mfma16_kernelI14__hip_bfloat16hLN4vllm18Fp8KVCacheDataTypeE1EhLi16ELi64ELi256ELb0ELi15EEvPKT_PKT0_S8_ifPKiSA_SA_iPKfiiiPfSD_PS3_PT2_iSC_SC_
                                        ; -- End function
	.section	.AMDGPU.csdata,"",@progbits
; Kernel info:
; codeLenInByte = 4904
; NumSgprs: 56
; NumVgprs: 58
; NumAgprs: 0
; TotalNumVgprs: 58
; ScratchSize: 0
; MemoryBound: 0
; FloatMode: 240
; IeeeMode: 1
; LDSByteSize: 8192 bytes/workgroup (compile time only)
; SGPRBlocks: 6
; VGPRBlocks: 7
; NumSGPRsForWavesPerEU: 56
; NumVGPRsForWavesPerEU: 58
; AccumOffset: 60
; Occupancy: 8
; WaveLimiterHint : 1
; COMPUTE_PGM_RSRC2:SCRATCH_EN: 0
; COMPUTE_PGM_RSRC2:USER_SGPR: 2
; COMPUTE_PGM_RSRC2:TRAP_HANDLER: 0
; COMPUTE_PGM_RSRC2:TGID_X_EN: 1
; COMPUTE_PGM_RSRC2:TGID_Y_EN: 1
; COMPUTE_PGM_RSRC2:TGID_Z_EN: 1
; COMPUTE_PGM_RSRC2:TIDIG_COMP_CNT: 0
; COMPUTE_PGM_RSRC3_GFX90A:ACCUM_OFFSET: 14
; COMPUTE_PGM_RSRC3_GFX90A:TG_SPLIT: 0
	.section	.text._Z39paged_attention_ll4mi_QKV_mfma16_kernelI14__hip_bfloat16hLN4vllm18Fp8KVCacheDataTypeE1EhLi16ELi64ELi256ELb0ELi16EEvPKT_PKT0_S8_ifPKiSA_SA_iPKfiiiPfSD_PS3_PT2_iSC_SC_,"axG",@progbits,_Z39paged_attention_ll4mi_QKV_mfma16_kernelI14__hip_bfloat16hLN4vllm18Fp8KVCacheDataTypeE1EhLi16ELi64ELi256ELb0ELi16EEvPKT_PKT0_S8_ifPKiSA_SA_iPKfiiiPfSD_PS3_PT2_iSC_SC_,comdat
	.protected	_Z39paged_attention_ll4mi_QKV_mfma16_kernelI14__hip_bfloat16hLN4vllm18Fp8KVCacheDataTypeE1EhLi16ELi64ELi256ELb0ELi16EEvPKT_PKT0_S8_ifPKiSA_SA_iPKfiiiPfSD_PS3_PT2_iSC_SC_ ; -- Begin function _Z39paged_attention_ll4mi_QKV_mfma16_kernelI14__hip_bfloat16hLN4vllm18Fp8KVCacheDataTypeE1EhLi16ELi64ELi256ELb0ELi16EEvPKT_PKT0_S8_ifPKiSA_SA_iPKfiiiPfSD_PS3_PT2_iSC_SC_
	.globl	_Z39paged_attention_ll4mi_QKV_mfma16_kernelI14__hip_bfloat16hLN4vllm18Fp8KVCacheDataTypeE1EhLi16ELi64ELi256ELb0ELi16EEvPKT_PKT0_S8_ifPKiSA_SA_iPKfiiiPfSD_PS3_PT2_iSC_SC_
	.p2align	8
	.type	_Z39paged_attention_ll4mi_QKV_mfma16_kernelI14__hip_bfloat16hLN4vllm18Fp8KVCacheDataTypeE1EhLi16ELi64ELi256ELb0ELi16EEvPKT_PKT0_S8_ifPKiSA_SA_iPKfiiiPfSD_PS3_PT2_iSC_SC_,@function
_Z39paged_attention_ll4mi_QKV_mfma16_kernelI14__hip_bfloat16hLN4vllm18Fp8KVCacheDataTypeE1EhLi16ELi64ELi256ELb0ELi16EEvPKT_PKT0_S8_ifPKiSA_SA_iPKfiiiPfSD_PS3_PT2_iSC_SC_: ; @_Z39paged_attention_ll4mi_QKV_mfma16_kernelI14__hip_bfloat16hLN4vllm18Fp8KVCacheDataTypeE1EhLi16ELi64ELi256ELb0ELi16EEvPKT_PKT0_S8_ifPKiSA_SA_iPKfiiiPfSD_PS3_PT2_iSC_SC_
; %bb.0:
	s_load_dwordx2 s[12:13], s[0:1], 0x30
	s_mov_b32 s28, s3
	s_mov_b64 s[6:7], 0
	s_waitcnt lgkmcnt(0)
	s_cmp_lg_u64 s[12:13], 0
	s_cselect_b64 s[14:15], -1, 0
	s_and_b64 vcc, exec, s[14:15]
	s_cbranch_vccz .LBB1123_7
; %bb.1:
	s_add_i32 s8, s2, 1
	s_mov_b32 s9, 0
	s_lshl_b64 s[10:11], s[8:9], 2
	s_add_u32 s10, s12, s10
	s_mov_b32 s3, s9
	s_addc_u32 s11, s13, s11
	s_lshl_b64 s[8:9], s[2:3], 2
	s_add_u32 s8, s12, s8
	s_addc_u32 s9, s13, s9
	s_load_dword s5, s[10:11], 0x0
	s_load_dword s16, s[8:9], 0x0
	s_waitcnt lgkmcnt(0)
	s_sub_i32 s5, s5, s16
	s_cmp_eq_u32 s5, 1
	s_cselect_b64 s[8:9], -1, 0
	s_andn2_b64 vcc, exec, s[6:7]
	s_cbranch_vccnz .LBB1123_3
.LBB1123_2:
	s_mov_b32 s3, 0
	s_mov_b64 s[8:9], -1
.LBB1123_3:
	s_andn2_b64 vcc, exec, s[8:9]
	s_cbranch_vccnz .LBB1123_17
; %bb.4:
	s_load_dwordx2 s[6:7], s[0:1], 0x28
	s_lshl_b64 s[16:17], s[2:3], 2
	s_waitcnt lgkmcnt(0)
	s_add_u32 s6, s6, s16
	s_addc_u32 s7, s7, s17
	s_load_dword s48, s[6:7], 0x0
	s_lshl_b32 s5, s28, 8
	s_waitcnt lgkmcnt(0)
	s_cmp_ge_i32 s5, s48
	s_cbranch_scc1 .LBB1123_17
; %bb.5:
	s_load_dwordx2 s[6:7], s[0:1], 0x20
	s_load_dword s8, s[0:1], 0x38
	s_add_i32 s9, s48, 15
	s_ashr_i32 s10, s9, 31
	v_and_b32_e32 v1, 0xcf, v0
	s_lshr_b32 s10, s10, 28
	v_add_u32_e32 v1, s5, v1
	s_add_i32 s9, s9, s10
	v_ashrrev_i32_e32 v2, 31, v1
	s_ashr_i32 s18, s9, 4
	v_lshrrev_b32_e32 v4, 28, v2
	s_add_i32 s18, s18, -1
	s_waitcnt lgkmcnt(0)
	s_mul_i32 s8, s2, s8
	s_mov_b32 s9, 0
	v_add_u32_e32 v2, v1, v4
	s_lshl_b64 s[8:9], s[8:9], 2
	v_ashrrev_i32_e32 v2, 4, v2
	v_mov_b32_e32 v5, s18
	v_cmp_gt_i32_e32 vcc, s48, v1
	s_add_u32 s6, s6, s8
	s_addc_u32 s7, s7, s9
	v_cndmask_b32_e32 v2, v5, v2, vcc
	v_ashrrev_i32_e32 v3, 31, v2
	v_lshl_add_u64 v[6:7], v[2:3], 2, s[6:7]
	v_or_b32_e32 v2, 16, v1
	v_add_u32_e32 v3, v2, v4
	v_ashrrev_i32_e32 v3, 4, v3
	v_cmp_gt_i32_e32 vcc, s48, v2
	s_load_dwordx4 s[8:11], s[0:1], 0x8
	s_nop 0
	v_cndmask_b32_e32 v2, v5, v3, vcc
	v_ashrrev_i32_e32 v3, 31, v2
	v_lshl_add_u64 v[8:9], v[2:3], 2, s[6:7]
	v_or_b32_e32 v2, 32, v1
	v_add_u32_e32 v3, v2, v4
	v_ashrrev_i32_e32 v3, 4, v3
	v_cmp_gt_i32_e32 vcc, s48, v2
	v_or_b32_e32 v1, 48, v1
	s_nop 0
	v_cndmask_b32_e32 v2, v5, v3, vcc
	v_ashrrev_i32_e32 v3, 31, v2
	v_lshl_add_u64 v[10:11], v[2:3], 2, s[6:7]
	v_add_u32_e32 v2, v1, v4
	v_ashrrev_i32_e32 v2, 4, v2
	v_cmp_gt_i32_e32 vcc, s48, v1
	s_nop 1
	v_cndmask_b32_e32 v2, v5, v2, vcc
	v_ashrrev_i32_e32 v3, 31, v2
	v_lshl_add_u64 v[12:13], v[2:3], 2, s[6:7]
	global_load_dword v4, v[6:7], off
	global_load_dword v3, v[8:9], off
	global_load_dword v2, v[10:11], off
	global_load_dword v20, v[12:13], off
	s_andn2_b64 vcc, exec, s[14:15]
	s_cbranch_vccnz .LBB1123_8
; %bb.6:
	s_add_u32 s12, s12, s16
	s_addc_u32 s13, s13, s17
	s_load_dword s14, s[12:13], 0x0
	s_branch .LBB1123_9
.LBB1123_7:
	s_mov_b64 s[8:9], 0
	s_branch .LBB1123_2
.LBB1123_8:
	s_mov_b32 s14, s2
.LBB1123_9:
	s_load_dwordx4 s[44:47], s[0:1], 0x48
	v_and_b32_e32 v43, 15, v0
	s_movk_i32 s12, 0x100
	v_lshlrev_b32_e32 v5, 3, v43
	v_cmp_gt_u32_e32 vcc, s12, v0
	v_cmp_gt_u32_e64 s[30:31], 8, v43
	v_lshrrev_b32_e32 v41, 6, v0
	v_and_b32_e32 v42, 63, v0
	v_bfe_u32 v1, v0, 4, 2
	s_lshl_b32 s29, s4, 4
	s_and_b64 s[16:17], vcc, s[30:31]
	v_lshlrev_b32_e32 v26, 1, v5
	v_lshlrev_b32_e32 v40, 4, v0
	s_and_saveexec_b64 s[12:13], s[16:17]
	s_cbranch_execz .LBB1123_11
; %bb.10:
	s_load_dwordx2 s[16:17], s[0:1], 0x0
	s_waitcnt lgkmcnt(0)
	s_ashr_i32 s15, s44, 31
	s_mul_hi_u32 s19, s14, s44
	s_mul_i32 s15, s14, s15
	s_add_i32 s15, s19, s15
	s_mul_i32 s14, s14, s44
	v_lshl_or_b32 v5, v41, 2, v1
	s_lshl_b64 s[14:15], s[14:15], 1
	s_add_u32 s14, s16, s14
	v_add_lshl_u32 v6, v5, s29, 6
	s_addc_u32 s15, s17, s15
	v_ashrrev_i32_e32 v7, 31, v6
	v_lshl_add_u64 v[6:7], v[6:7], 1, s[14:15]
	v_mov_b32_e32 v27, 0
	v_lshl_add_u64 v[6:7], v[6:7], 0, v[26:27]
	global_load_dwordx4 v[6:9], v[6:7], off
	v_lshlrev_b32_e32 v11, 8, v43
	v_lshlrev_b32_e32 v5, 5, v5
	v_and_b32_e32 v10, 16, v40
	v_and_b32_e32 v11, 0xe00, v11
	v_or3_b32 v5, v11, v5, v10
	s_waitcnt vmcnt(0)
	ds_write_b128 v5, v[6:9]
.LBB1123_11:
	s_or_b64 exec, exec, s[12:13]
	s_waitcnt lgkmcnt(0)
	s_mul_i32 s4, s4, s46
	s_add_u32 s8, s8, s4
	s_addc_u32 s9, s9, 0
	v_and_b32_e32 v8, 48, v0
	v_and_b32_e32 v28, 0xf0, v40
	v_mov_b32_e32 v29, 0
	v_lshl_add_u64 v[6:7], s[8:9], 0, v[28:29]
	v_lshlrev_b32_e32 v28, 4, v8
	v_lshl_add_u64 v[18:19], v[6:7], 0, v[28:29]
	s_waitcnt vmcnt(3)
	v_mad_i64_i32 v[4:5], s[8:9], v4, s45, v[18:19]
	s_load_dword s33, s[0:1], 0x98
	s_load_dwordx4 s[40:43], s[0:1], 0x80
	s_waitcnt lgkmcnt(0)
	s_barrier
	global_load_dwordx4 v[22:25], v[4:5], off
	s_waitcnt vmcnt(3)
	v_mad_i64_i32 v[4:5], s[8:9], v3, s45, v[18:19]
	global_load_dwordx4 v[14:17], v[4:5], off
	v_or_b32_e32 v21, s5, v8
	v_mov_b32_e32 v28, s18
	v_ashrrev_i32_e32 v3, 4, v21
	v_cmp_gt_i32_e32 vcc, s48, v21
	v_lshlrev_b32_e32 v44, 5, v43
	v_or_b32_e32 v30, 64, v21
	v_cndmask_b32_e32 v4, v28, v3, vcc
	v_ashrrev_i32_e32 v5, 31, v4
	v_lshl_add_u64 v[4:5], v[4:5], 2, s[6:7]
	s_waitcnt vmcnt(3)
	v_mad_i64_i32 v[2:3], s[8:9], v2, s45, v[18:19]
	global_load_dword v58, v[4:5], off
	v_lshl_or_b32 v27, v1, 9, v44
	global_load_dwordx4 v[2:5], v[2:3], off
	v_or_b32_e32 v32, 0x80, v21
	v_or_b32_e32 v33, 0xc0, v21
	v_ashrrev_i32_e32 v21, 4, v30
	v_cmp_gt_i32_e32 vcc, s48, v30
	s_waitcnt vmcnt(4)
	v_mad_i64_i32 v[18:19], s[12:13], v20, s45, v[18:19]
	ds_read_b128 v[10:13], v27
	ds_read_b128 v[6:9], v27 offset:16
	v_cndmask_b32_e32 v30, v28, v21, vcc
	global_load_dwordx4 v[18:21], v[18:19], off
	v_ashrrev_i32_e32 v34, 4, v32
	v_cmp_gt_i32_e32 vcc, s48, v32
	v_ashrrev_i32_e32 v35, 4, v33
	v_lshlrev_b32_e32 v31, 4, v43
	v_cndmask_b32_e32 v32, v28, v34, vcc
	v_cmp_gt_i32_e32 vcc, s48, v33
	v_ashrrev_i32_e32 v33, 31, v32
	s_add_u32 s8, s10, s4
	v_cndmask_b32_e32 v34, v28, v35, vcc
	v_lshl_or_b32 v28, v41, 8, v31
	v_ashrrev_i32_e32 v31, 31, v30
	v_ashrrev_i32_e32 v35, 31, v34
	v_lshl_add_u64 v[30:31], v[30:31], 2, s[6:7]
	v_lshl_add_u64 v[34:35], v[34:35], 2, s[6:7]
	s_load_dword s4, s[40:41], 0x0
	v_lshl_add_u64 v[36:37], v[32:33], 2, s[6:7]
	global_load_dword v45, v[30:31], off
	global_load_dword v32, v[36:37], off
	;; [unrolled: 1-line block ×3, first 2 shown]
	s_mov_b32 s44, 0x7060302
	s_load_dword s14, s[0:1], 0x1c
	s_mov_b32 s46, 0xff7fffff
	s_addc_u32 s9, s11, 0
	v_lshl_add_u64 v[28:29], s[8:9], 0, v[28:29]
	s_waitcnt lgkmcnt(0)
	v_mov_b32_e32 v59, s14
	s_waitcnt vmcnt(7)
	v_cvt_pk_f32_fp8_e32 v[30:31], v22
	v_cvt_pk_f32_fp8_sdwa v[34:35], v22 src0_sel:WORD_1
	v_cvt_pk_f32_fp8_e32 v[36:37], v23
	v_cvt_pk_f32_fp8_sdwa v[38:39], v23 src0_sel:WORD_1
	v_perm_b32 v30, v31, v30, s44
	v_perm_b32 v31, v35, v34, s44
	s_waitcnt vmcnt(6)
	v_cvt_pk_f32_fp8_e32 v[22:23], v14
	v_cvt_pk_f32_fp8_sdwa v[52:53], v14 src0_sel:WORD_1
	v_cvt_pk_f32_fp8_e32 v[46:47], v24
	v_cvt_pk_f32_fp8_sdwa v[48:49], v24 src0_sel:WORD_1
	v_cvt_pk_f32_fp8_e32 v[50:51], v25
	v_cvt_pk_f32_fp8_sdwa v[54:55], v25 src0_sel:WORD_1
	v_perm_b32 v34, v23, v22, s44
	v_mfma_f32_16x16x16_bf16 v[22:25], v[30:31], v[10:11], 0
	v_perm_b32 v30, v37, v36, s44
	v_perm_b32 v31, v39, v38, s44
	v_cvt_pk_f32_fp8_e32 v[56:57], v15
	v_perm_b32 v35, v53, v52, s44
	v_cvt_pk_f32_fp8_sdwa v[14:15], v15 src0_sel:WORD_1
	v_mfma_f32_16x16x16_bf16 v[22:25], v[30:31], v[12:13], v[22:25]
	v_perm_b32 v52, v57, v56, s44
	v_perm_b32 v53, v15, v14, s44
	v_perm_b32 v30, v47, v46, s44
	v_perm_b32 v31, v49, v48, s44
	v_mfma_f32_16x16x16_bf16 v[34:37], v[34:35], v[10:11], 0
	v_cvt_pk_f32_fp8_e32 v[38:39], v16
	v_cvt_pk_f32_fp8_sdwa v[14:15], v16 src0_sel:WORD_1
	v_perm_b32 v46, v51, v50, s44
	v_mfma_f32_16x16x16_bf16 v[34:37], v[52:53], v[12:13], v[34:37]
	v_cvt_pk_f32_fp8_e32 v[52:53], v17
	v_perm_b32 v47, v55, v54, s44
	v_cvt_pk_f32_fp8_sdwa v[16:17], v17 src0_sel:WORD_1
	v_mfma_f32_16x16x16_bf16 v[22:25], v[30:31], v[6:7], v[22:25]
	v_perm_b32 v30, v39, v38, s44
	v_perm_b32 v31, v15, v14, s44
	;; [unrolled: 1-line block ×4, first 2 shown]
	v_mfma_f32_16x16x16_bf16 v[46:49], v[46:47], v[8:9], v[22:25]
	s_waitcnt vmcnt(4)
	v_cvt_pk_f32_fp8_e32 v[16:17], v2
	v_cvt_pk_f32_fp8_sdwa v[50:51], v4 src0_sel:WORD_1
	v_mul_f32_e32 v52, s4, v59
	v_mfma_f32_16x16x16_bf16 v[22:25], v[30:31], v[6:7], v[34:37]
	v_cvt_pk_f32_fp8_sdwa v[30:31], v2 src0_sel:WORD_1
	v_perm_b32 v16, v17, v16, s44
	v_mad_i64_i32 v[14:15], s[6:7], v58, s45, v[28:29]
	v_mfma_f32_16x16x16_bf16 v[36:39], v[38:39], v[8:9], v[22:25]
	v_perm_b32 v17, v31, v30, s44
	v_cvt_pk_f32_fp8_e32 v[34:35], v4
	s_nop 0
	v_cvt_pk_f32_fp8_e32 v[22:23], v3
	v_cvt_pk_f32_fp8_sdwa v[2:3], v3 src0_sel:WORD_1
	v_perm_b32 v30, v23, v22, s44
	v_perm_b32 v31, v3, v2, s44
	v_mfma_f32_16x16x16_bf16 v[22:25], v[16:17], v[10:11], 0
	v_perm_b32 v16, v35, v34, s44
	v_perm_b32 v17, v51, v50, s44
	v_cvt_pk_f32_fp8_e32 v[34:35], v5
	v_cvt_pk_f32_fp8_sdwa v[50:51], v5 src0_sel:WORD_1
	v_mfma_f32_16x16x16_bf16 v[2:5], v[30:31], v[12:13], v[22:25]
	s_waitcnt vmcnt(3)
	v_cvt_pk_f32_fp8_e32 v[30:31], v20
	s_nop 0
	v_perm_b32 v24, v35, v34, s44
	v_perm_b32 v25, v51, v50, s44
	v_pk_mul_f32 v[22:23], v[52:53], v[48:49] op_sel_hi:[0,1]
	v_mfma_f32_16x16x16_bf16 v[48:51], v[16:17], v[6:7], v[2:5]
	v_cvt_pk_f32_fp8_sdwa v[16:17], v18 src0_sel:WORD_1
	v_cvt_pk_f32_fp8_sdwa v[34:35], v20 src0_sel:WORD_1
	s_nop 0
	v_cvt_pk_f32_fp8_e32 v[4:5], v18
	v_pk_mul_f32 v[2:3], v[52:53], v[46:47] op_sel_hi:[0,1]
	v_mfma_f32_16x16x16_bf16 v[46:49], v[24:25], v[8:9], v[48:51]
	v_cvt_pk_f32_fp8_e32 v[24:25], v19
	v_perm_b32 v4, v5, v4, s44
	v_perm_b32 v5, v17, v16, s44
	v_cvt_pk_f32_fp8_sdwa v[16:17], v19 src0_sel:WORD_1
	v_perm_b32 v24, v25, v24, s44
	v_perm_b32 v25, v17, v16, s44
	v_mfma_f32_16x16x16_bf16 v[16:19], v[4:5], v[10:11], 0
	v_perm_b32 v4, v31, v30, s44
	v_perm_b32 v5, v35, v34, s44
	v_cvt_pk_f32_fp8_e32 v[30:31], v21
	v_cvt_pk_f32_fp8_sdwa v[20:21], v21 src0_sel:WORD_1
	v_mfma_f32_16x16x16_bf16 v[10:13], v[24:25], v[12:13], v[16:19]
	v_pk_mul_f32 v[34:35], v[52:53], v[38:39] op_sel_hi:[0,1]
	v_pk_mul_f32 v[38:39], v[52:53], v[36:37] op_sel_hi:[0,1]
	;; [unrolled: 1-line block ×3, first 2 shown]
	v_perm_b32 v16, v31, v30, s44
	v_perm_b32 v17, v21, v20, s44
	v_mfma_f32_16x16x16_bf16 v[4:7], v[4:5], v[6:7], v[10:13]
	v_pk_mul_f32 v[30:31], v[52:53], v[48:49] op_sel_hi:[0,1]
	v_mfma_f32_16x16x16_bf16 v[4:7], v[16:17], v[8:9], v[4:7]
	s_nop 6
	v_pk_mul_f32 v[24:25], v[52:53], v[4:5] op_sel_hi:[0,1]
	v_and_b32_e32 v4, 0xc0, v0
	v_add_u32_e32 v4, s5, v4
	v_lshl_or_b32 v4, v1, 2, v4
	v_pk_mul_f32 v[18:19], v[52:53], v[6:7] op_sel_hi:[0,1]
	v_or_b32_e32 v7, 1, v4
	v_mov_b32_e32 v5, 0xff7fffff
	v_cmp_gt_i32_e64 s[4:5], s48, v4
	v_cmp_gt_i32_e64 s[34:35], s48, v7
	v_or_b32_e32 v8, 3, v4
	v_cndmask_b32_e64 v6, v5, v2, s[4:5]
	v_cndmask_b32_e64 v7, v5, v3, s[34:35]
	v_max3_f32 v6, v6, s46, v7
	v_or_b32_e32 v7, 2, v4
	v_cmp_gt_i32_e64 s[36:37], s48, v7
	v_cmp_gt_i32_e64 s[38:39], s48, v8
	s_nop 0
	v_cndmask_b32_e64 v7, v5, v22, s[36:37]
	v_cndmask_b32_e64 v8, v5, v23, s[38:39]
	v_max3_f32 v6, v6, v7, v8
	v_or_b32_e32 v7, 16, v4
	v_or_b32_e32 v8, 17, v4
	v_cmp_gt_i32_e64 s[24:25], s48, v7
	v_cmp_gt_i32_e64 s[26:27], s48, v8
	s_nop 0
	v_cndmask_b32_e64 v7, v5, v38, s[24:25]
	v_cndmask_b32_e64 v8, v5, v39, s[26:27]
	v_max3_f32 v6, v6, v7, v8
	v_or_b32_e32 v7, 18, v4
	;; [unrolled: 8-line block ×6, first 2 shown]
	v_or_b32_e32 v4, 51, v4
	v_cmp_gt_i32_e32 vcc, s48, v7
	v_cmp_gt_i32_e64 s[6:7], s48, v4
	s_nop 0
	v_cndmask_b32_e32 v7, v5, v18, vcc
	v_cndmask_b32_e64 v4, v5, v19, s[6:7]
	v_max3_f32 v6, v6, v7, v4
	v_mbcnt_lo_u32_b32 v4, -1, 0
	v_mbcnt_hi_u32_b32 v7, -1, v4
	v_and_b32_e32 v4, 64, v7
	v_add_u32_e32 v8, 64, v4
	v_xor_b32_e32 v4, 32, v7
	v_cmp_lt_i32_e64 s[40:41], v4, v8
	s_nop 1
	v_cndmask_b32_e64 v4, v7, v4, s[40:41]
	v_lshlrev_b32_e32 v46, 2, v4
	ds_bpermute_b32 v9, v46, v6
	s_waitcnt vmcnt(2)
	v_mad_i64_i32 v[4:5], s[40:41], v45, s45, v[28:29]
	global_load_dwordx4 v[14:17], v[14:15], off
	s_nop 0
	global_load_dwordx4 v[10:13], v[4:5], off
	v_xor_b32_e32 v5, 16, v7
	v_cmp_lt_i32_e64 s[40:41], v5, v8
	s_waitcnt lgkmcnt(0)
	v_max_f32_e32 v4, v9, v9
	v_max_f32_e32 v4, v6, v4
	v_cndmask_b32_e64 v5, v7, v5, s[40:41]
	v_lshlrev_b32_e32 v47, 2, v5
	ds_bpermute_b32 v5, v47, v4
	s_waitcnt vmcnt(3)
	v_mad_i64_i32 v[20:21], s[40:41], v32, s45, v[28:29]
	s_waitcnt vmcnt(2)
	v_mad_i64_i32 v[28:29], s[40:41], v33, s45, v[28:29]
	s_waitcnt lgkmcnt(0)
	v_max_f32_e32 v5, v5, v5
	v_max_f32_e32 v45, v4, v5
	v_sub_f32_e32 v2, v2, v45
	v_mul_f32_e32 v2, 0x3fb8aa3b, v2
	v_exp_f32_e32 v32, v2
	v_sub_f32_e32 v2, v3, v45
	v_mul_f32_e32 v2, 0x3fb8aa3b, v2
	v_exp_f32_e32 v33, v2
	global_load_dwordx4 v[6:9], v[20:21], off
	global_load_dwordx4 v[2:5], v[28:29], off
	v_sub_f32_e32 v22, v22, v45
	v_mul_f32_e32 v22, 0x3fb8aa3b, v22
	v_sub_f32_e32 v23, v23, v45
	v_exp_f32_e32 v22, v22
	v_mul_f32_e32 v23, 0x3fb8aa3b, v23
	v_exp_f32_e32 v23, v23
	v_cndmask_b32_e64 v20, 0, v32, s[4:5]
	v_add_f32_e32 v28, 0, v20
	v_cndmask_b32_e64 v21, 0, v33, s[34:35]
	v_add_f32_e32 v28, v28, v21
	;; [unrolled: 2-line block ×3, first 2 shown]
	v_cndmask_b32_e64 v33, 0, v23, s[38:39]
	v_sub_f32_e32 v23, v38, v45
	v_sub_f32_e32 v28, v39, v45
	v_mul_f32_e32 v23, 0x3fb8aa3b, v23
	v_mul_f32_e32 v28, 0x3fb8aa3b, v28
	v_exp_f32_e32 v23, v23
	v_exp_f32_e32 v28, v28
	v_add_f32_e32 v29, v22, v33
	v_sub_f32_e32 v30, v30, v45
	v_cndmask_b32_e64 v22, 0, v23, s[24:25]
	v_cndmask_b32_e64 v23, 0, v28, s[26:27]
	v_sub_f32_e32 v28, v34, v45
	v_mul_f32_e32 v28, 0x3fb8aa3b, v28
	v_exp_f32_e32 v28, v28
	v_sub_f32_e32 v34, v35, v45
	v_add_f32_e32 v29, v29, v22
	v_mul_f32_e32 v34, 0x3fb8aa3b, v34
	v_exp_f32_e32 v35, v34
	v_add_f32_e32 v29, v29, v23
	v_cndmask_b32_e64 v34, 0, v28, s[20:21]
	v_add_f32_e32 v28, v29, v34
	v_sub_f32_e32 v29, v36, v45
	v_mul_f32_e32 v29, 0x3fb8aa3b, v29
	v_sub_f32_e32 v36, v37, v45
	v_exp_f32_e32 v29, v29
	v_mul_f32_e32 v36, 0x3fb8aa3b, v36
	v_exp_f32_e32 v36, v36
	v_mul_f32_e32 v30, 0x3fb8aa3b, v30
	v_sub_f32_e32 v31, v31, v45
	v_exp_f32_e32 v30, v30
	v_mul_f32_e32 v31, 0x3fb8aa3b, v31
	v_sub_f32_e32 v24, v24, v45
	v_cndmask_b32_e64 v35, 0, v35, s[22:23]
	v_exp_f32_e32 v31, v31
	v_mul_f32_e32 v24, 0x3fb8aa3b, v24
	v_sub_f32_e32 v25, v25, v45
	v_add_f32_e32 v37, v28, v35
	v_cndmask_b32_e64 v28, 0, v29, s[16:17]
	v_exp_f32_e32 v24, v24
	v_mul_f32_e32 v25, 0x3fb8aa3b, v25
	v_sub_f32_e32 v18, v18, v45
	v_add_f32_e32 v37, v37, v28
	;; [unrolled: 5-line block ×3, first 2 shown]
	v_cndmask_b32_e64 v30, 0, v30, s[12:13]
	v_exp_f32_e32 v18, v18
	v_mul_f32_e32 v19, 0x3fb8aa3b, v19
	v_add_f32_e32 v36, v36, v30
	v_cndmask_b32_e64 v31, 0, v31, s[14:15]
	v_exp_f32_e32 v19, v19
	v_add_f32_e32 v36, v36, v31
	v_cndmask_b32_e64 v24, 0, v24, s[8:9]
	v_add_f32_e32 v36, v36, v24
	v_cndmask_b32_e64 v25, 0, v25, s[10:11]
	v_add_f32_e32 v36, v36, v25
	v_cndmask_b32_e32 v18, 0, v18, vcc
	v_add_f32_e32 v36, v36, v18
	v_cndmask_b32_e64 v19, 0, v19, s[6:7]
	v_add_f32_e32 v36, v36, v19
	ds_bpermute_b32 v37, v46, v36
	v_cmp_gt_u32_e32 vcc, 16, v42
	s_waitcnt lgkmcnt(0)
	s_barrier
	v_add_f32_e32 v36, v36, v37
	ds_bpermute_b32 v38, v47, v36
	v_lshlrev_b32_e32 v37, 2, v43
	s_and_saveexec_b64 s[4:5], vcc
	s_cbranch_execz .LBB1123_13
; %bb.12:
	s_waitcnt lgkmcnt(0)
	v_add_f32_e32 v36, v36, v38
	v_lshl_or_b32 v38, v41, 6, v37
	ds_write2st64_b32 v38, v45, v36 offset1:1
.LBB1123_13:
	s_or_b64 exec, exec, s[4:5]
	s_load_dword s6, s[0:1], 0x94
	s_waitcnt lgkmcnt(0)
	s_barrier
	ds_read2_b32 v[38:39], v37 offset1:16
	ds_read2_b32 v[42:43], v37 offset0:32 offset1:48
	ds_read2_b32 v[46:47], v37 offset0:64 offset1:80
	s_movk_i32 s8, 0x7fff
	s_lshl_b32 s7, s33, 4
	s_waitcnt lgkmcnt(2)
	v_max3_f32 v36, v38, s46, v39
	s_waitcnt lgkmcnt(1)
	v_max3_f32 v36, v36, v42, v43
	v_sub_f32_e32 v38, v38, v36
	v_mul_f32_e32 v38, 0x3fb8aa3b, v38
	v_exp_f32_e32 v45, v38
	v_sub_f32_e32 v38, v39, v36
	v_mul_f32_e32 v38, 0x3fb8aa3b, v38
	v_exp_f32_e32 v48, v38
	;; [unrolled: 3-line block ×3, first 2 shown]
	ds_read2_b32 v[38:39], v37 offset0:96 offset1:112
	v_sub_f32_e32 v37, v43, v36
	v_mul_f32_e32 v37, 0x3fb8aa3b, v37
	v_exp_f32_e32 v43, v37
	s_waitcnt lgkmcnt(1)
	v_fma_f32 v37, v45, v46, 0
	v_fmac_f32_e32 v37, v48, v47
	s_waitcnt lgkmcnt(0)
	v_fmac_f32_e32 v37, v42, v38
	v_fmac_f32_e32 v37, v43, v39
	v_add_f32_e32 v38, 0x358637bd, v37
	v_div_scale_f32 v39, s[4:5], v38, v38, 1.0
	v_rcp_f32_e32 v46, v39
	s_barrier
	v_fma_f32 v47, -v39, v46, 1.0
	v_fmac_f32_e32 v46, v47, v46
	v_div_scale_f32 v47, vcc, 1.0, v38, 1.0
	v_mul_f32_e32 v49, v47, v46
	v_fma_f32 v50, -v39, v49, v47
	v_fmac_f32_e32 v49, v50, v46
	v_fma_f32 v39, -v39, v49, v47
	v_div_fmas_f32 v39, v39, v46, v49
	v_cmp_eq_u32_e32 vcc, 1, v41
	v_div_fixup_f32 v38, v39, v38, 1.0
	s_nop 0
	v_cndmask_b32_e32 v39, v45, v48, vcc
	v_cmp_eq_u32_e32 vcc, 2, v41
	s_nop 1
	v_cndmask_b32_e32 v39, v39, v42, vcc
	v_cmp_eq_u32_e32 vcc, 3, v41
	s_nop 1
	v_cndmask_b32_e32 v39, v39, v43, vcc
	v_mul_f32_e32 v38, v39, v38
	v_pk_mul_f32 v[20:21], v[38:39], v[20:21] op_sel_hi:[0,1]
	v_pk_mul_f32 v[32:33], v[38:39], v[32:33] op_sel_hi:[0,1]
	v_bfe_u32 v39, v21, 16, 1
	v_bfe_u32 v42, v20, 16, 1
	v_add3_u32 v20, v20, v42, s8
	v_add3_u32 v21, v21, v39, s8
	v_perm_b32 v42, v21, v20, s44
	v_bfe_u32 v20, v33, 16, 1
	v_bfe_u32 v21, v32, 16, 1
	v_add3_u32 v21, v32, v21, s8
	v_add3_u32 v20, v33, v20, s8
	v_perm_b32 v43, v20, v21, s44
	v_lshlrev_b32_e32 v20, 3, v1
	v_lshlrev_b32_e32 v21, 11, v41
	v_pk_mul_f32 v[22:23], v[38:39], v[22:23] op_sel_hi:[0,1]
	v_or3_b32 v20, v21, v44, v20
	v_pk_mul_f32 v[32:33], v[38:39], v[34:35] op_sel_hi:[0,1]
	v_bfe_u32 v21, v23, 16, 1
	v_bfe_u32 v34, v22, 16, 1
	v_add3_u32 v22, v22, v34, s8
	v_add3_u32 v21, v23, v21, s8
	v_perm_b32 v22, v21, v22, s44
	v_bfe_u32 v21, v33, 16, 1
	v_bfe_u32 v23, v32, 16, 1
	v_add3_u32 v23, v32, v23, s8
	v_add3_u32 v21, v33, v21, s8
	v_perm_b32 v23, v21, v23, s44
	v_pk_mul_f32 v[28:29], v[38:39], v[28:29] op_sel_hi:[0,1]
	ds_write2st64_b64 v20, v[42:43], v[22:23] offset1:1
	v_pk_mul_f32 v[22:23], v[38:39], v[30:31] op_sel_hi:[0,1]
	v_bfe_u32 v21, v29, 16, 1
	v_bfe_u32 v30, v28, 16, 1
	v_add3_u32 v28, v28, v30, s8
	v_add3_u32 v21, v29, v21, s8
	v_perm_b32 v28, v21, v28, s44
	v_bfe_u32 v21, v23, 16, 1
	v_bfe_u32 v29, v22, 16, 1
	v_add3_u32 v22, v22, v29, s8
	v_add3_u32 v21, v23, v21, s8
	v_perm_b32 v29, v21, v22, s44
	v_pk_mul_f32 v[22:23], v[38:39], v[24:25] op_sel_hi:[0,1]
	v_bfe_u32 v21, v23, 16, 1
	v_bfe_u32 v24, v22, 16, 1
	v_pk_mul_f32 v[18:19], v[38:39], v[18:19] op_sel_hi:[0,1]
	v_add3_u32 v22, v22, v24, s8
	v_add3_u32 v21, v23, v21, s8
	v_perm_b32 v22, v21, v22, s44
	v_bfe_u32 v21, v19, 16, 1
	v_bfe_u32 v23, v18, 16, 1
	v_add3_u32 v18, v18, v23, s8
	v_add3_u32 v19, v19, v21, s8
	v_perm_b32 v23, v19, v18, s44
	v_cmp_gt_u32_e32 vcc, 16, v0
	ds_write2st64_b64 v20, v[28:29], v[22:23] offset0:2 offset1:3
	s_and_saveexec_b64 s[4:5], vcc
	s_cbranch_execz .LBB1123_15
; %bb.14:
	v_or_b32_e32 v18, s29, v0
	v_mov_b32_e32 v19, 0
	v_mov_b32_e32 v21, s7
	v_mad_u64_u32 v[22:23], s[10:11], s2, v21, v[18:19]
	v_mov_b32_e32 v18, s28
	s_load_dwordx4 s[12:15], s[0:1], 0x58
	s_mul_i32 s3, s3, s7
	v_mad_u64_u32 v[18:19], s[10:11], v22, s6, v[18:19]
	v_add_u32_e32 v21, s3, v23
	v_mov_b32_e32 v22, v19
	v_mad_u64_u32 v[22:23], s[10:11], v21, s6, v[22:23]
	v_mov_b32_e32 v19, v22
	v_lshlrev_b64 v[18:19], 2, v[18:19]
	s_waitcnt lgkmcnt(0)
	v_lshl_add_u64 v[22:23], s[14:15], 0, v[18:19]
	v_lshl_add_u64 v[18:19], s[12:13], 0, v[18:19]
	global_store_dword v[22:23], v36, off
	global_store_dword v[18:19], v37, off
.LBB1123_15:
	s_or_b64 exec, exec, s[4:5]
	s_waitcnt vmcnt(3)
	v_cvt_pk_f32_fp8_e32 v[18:19], v14
	v_cvt_pk_f32_fp8_sdwa v[22:23], v14 src0_sel:WORD_1
	s_mov_b32 s4, 0x7060302
	s_waitcnt lgkmcnt(0)
	s_barrier
	v_perm_b32 v18, v19, v18, s4
	v_perm_b32 v19, v23, v22, s4
	v_cvt_pk_f32_fp8_e32 v[28:29], v15
	ds_read_b128 v[22:25], v27
	v_cvt_pk_f32_fp8_sdwa v[14:15], v15 src0_sel:WORD_1
	s_load_dword s10, s[42:43], 0x0
	v_perm_b32 v36, v29, v28, s4
	ds_read_b128 v[28:31], v27 offset:16
	v_perm_b32 v37, v15, v14, s4
	s_waitcnt lgkmcnt(0)
	v_mfma_f32_16x16x16_bf16 v[32:35], v[18:19], v[22:23], 0
	v_cvt_pk_f32_fp8_e32 v[14:15], v16
	v_cvt_pk_f32_fp8_sdwa v[18:19], v16 src0_sel:WORD_1
	v_cmp_gt_u32_e32 vcc, 64, v0
	v_mfma_f32_16x16x16_bf16 v[22:25], v[36:37], v[24:25], v[32:35]
	v_perm_b32 v14, v15, v14, s4
	v_perm_b32 v15, v19, v18, s4
	s_mov_b32 s3, 0
	v_cvt_pk_f32_fp8_e32 v[32:33], v17
	v_cvt_pk_f32_fp8_sdwa v[16:17], v17 src0_sel:WORD_1
	s_waitcnt vmcnt(2)
	v_cvt_pk_f32_fp8_sdwa v[34:35], v10 src0_sel:WORD_1
	v_perm_b32 v18, v33, v32, s4
	v_cvt_pk_f32_fp8_e32 v[32:33], v10
	v_perm_b32 v19, v17, v16, s4
	v_mfma_f32_16x16x16_bf16 v[14:17], v[14:15], v[28:29], v[22:25]
	v_cvt_pk_f32_fp8_e32 v[28:29], v11
	v_perm_b32 v32, v33, v32, s4
	v_perm_b32 v33, v35, v34, s4
	ds_read_b128 v[22:25], v27 offset:2048
	v_cvt_pk_f32_fp8_sdwa v[10:11], v11 src0_sel:WORD_1
	v_mfma_f32_16x16x16_bf16 v[14:17], v[18:19], v[30:31], v[14:17]
	v_perm_b32 v18, v29, v28, s4
	ds_read_b128 v[28:31], v27 offset:2064
	v_perm_b32 v19, v11, v10, s4
	s_waitcnt lgkmcnt(1)
	v_mfma_f32_16x16x16_bf16 v[14:17], v[32:33], v[22:23], v[14:17]
	v_cvt_pk_f32_fp8_e32 v[10:11], v12
	v_cvt_pk_f32_fp8_sdwa v[22:23], v12 src0_sel:WORD_1
	v_perm_b32 v10, v11, v10, s4
	v_mfma_f32_16x16x16_bf16 v[14:17], v[18:19], v[24:25], v[14:17]
	v_cvt_pk_f32_fp8_e32 v[18:19], v13
	v_perm_b32 v11, v23, v22, s4
	v_cvt_pk_f32_fp8_sdwa v[12:13], v13 src0_sel:WORD_1
	s_waitcnt vmcnt(1)
	v_cvt_pk_f32_fp8_e32 v[22:23], v6
	v_perm_b32 v18, v19, v18, s4
	v_cvt_pk_f32_fp8_sdwa v[24:25], v6 src0_sel:WORD_1
	v_perm_b32 v19, v13, v12, s4
	s_waitcnt lgkmcnt(0)
	v_mfma_f32_16x16x16_bf16 v[10:13], v[10:11], v[28:29], v[14:17]
	v_perm_b32 v28, v23, v22, s4
	v_perm_b32 v29, v25, v24, s4
	v_cvt_pk_f32_fp8_e32 v[22:23], v7
	ds_read_b128 v[14:17], v27 offset:4096
	v_cvt_pk_f32_fp8_sdwa v[6:7], v7 src0_sel:WORD_1
	v_mfma_f32_16x16x16_bf16 v[10:13], v[18:19], v[30:31], v[10:13]
	v_perm_b32 v18, v23, v22, s4
	ds_read_b128 v[22:25], v27 offset:4112
	v_perm_b32 v19, v7, v6, s4
	s_waitcnt lgkmcnt(1)
	v_mfma_f32_16x16x16_bf16 v[10:13], v[28:29], v[14:15], v[10:13]
	v_cvt_pk_f32_fp8_e32 v[6:7], v8
	v_cvt_pk_f32_fp8_sdwa v[14:15], v8 src0_sel:WORD_1
	v_perm_b32 v6, v7, v6, s4
	v_mfma_f32_16x16x16_bf16 v[10:13], v[18:19], v[16:17], v[10:13]
	v_cvt_pk_f32_fp8_e32 v[16:17], v9
	v_perm_b32 v7, v15, v14, s4
	v_cvt_pk_f32_fp8_sdwa v[8:9], v9 src0_sel:WORD_1
	s_waitcnt vmcnt(0)
	v_cvt_pk_f32_fp8_sdwa v[18:19], v2 src0_sel:WORD_1
	v_perm_b32 v14, v17, v16, s4
	v_cvt_pk_f32_fp8_e32 v[16:17], v2
	v_perm_b32 v15, v9, v8, s4
	s_waitcnt lgkmcnt(0)
	v_mfma_f32_16x16x16_bf16 v[6:9], v[6:7], v[22:23], v[10:13]
	v_perm_b32 v23, v19, v18, s4
	v_perm_b32 v22, v17, v16, s4
	v_cvt_pk_f32_fp8_e32 v[16:17], v3
	ds_read_b128 v[10:13], v27 offset:6144
	v_cvt_pk_f32_fp8_sdwa v[2:3], v3 src0_sel:WORD_1
	v_mfma_f32_16x16x16_bf16 v[6:9], v[14:15], v[24:25], v[6:9]
	v_perm_b32 v18, v17, v16, s4
	ds_read_b128 v[14:17], v27 offset:6160
	v_perm_b32 v19, v3, v2, s4
	s_waitcnt lgkmcnt(1)
	v_mfma_f32_16x16x16_bf16 v[6:9], v[22:23], v[10:11], v[6:9]
	v_cvt_pk_f32_fp8_e32 v[2:3], v4
	v_cvt_pk_f32_fp8_sdwa v[10:11], v4 src0_sel:WORD_1
	v_mov_b32_e32 v27, 0
	v_mfma_f32_16x16x16_bf16 v[6:9], v[18:19], v[12:13], v[6:9]
	v_perm_b32 v2, v3, v2, s4
	v_perm_b32 v3, v11, v10, s4
	v_cvt_pk_f32_fp8_e32 v[10:11], v5
	v_cvt_pk_f32_fp8_sdwa v[4:5], v5 src0_sel:WORD_1
	s_waitcnt lgkmcnt(0)
	s_barrier
	v_perm_b32 v10, v11, v10, s4
	v_perm_b32 v11, v5, v4, s4
	v_mfma_f32_16x16x16_bf16 v[2:5], v[2:3], v[14:15], v[6:9]
	s_nop 0
	v_mfma_f32_16x16x16_bf16 v[2:5], v[10:11], v[16:17], v[2:5]
	s_nop 6
	v_pk_mul_f32 v[2:3], v[2:3], s[10:11] op_sel_hi:[1,0]
	v_pk_mul_f32 v[4:5], v[4:5], s[10:11] op_sel_hi:[1,0]
	v_bfe_u32 v6, v3, 16, 1
	v_bfe_u32 v7, v2, 16, 1
	v_add3_u32 v2, v2, v7, s8
	v_add3_u32 v3, v3, v6, s8
	v_perm_b32 v2, v3, v2, s4
	v_bfe_u32 v3, v5, 16, 1
	v_bfe_u32 v6, v4, 16, 1
	v_add3_u32 v4, v4, v6, s8
	v_add3_u32 v3, v5, v3, s8
	v_perm_b32 v3, v3, v4, s4
	s_and_b64 s[4:5], vcc, s[30:31]
	ds_write_b64 v20, v[2:3]
	s_waitcnt lgkmcnt(0)
	s_barrier
	s_and_saveexec_b64 s[8:9], s[4:5]
	s_cbranch_execz .LBB1123_17
; %bb.16:
	s_load_dwordx2 s[0:1], s[0:1], 0x68
	s_lshl_b32 s6, s6, 6
	s_mul_i32 s2, s7, s2
	s_mul_hi_u32 s5, s2, s6
	s_mul_i32 s4, s2, s6
	s_lshl_b64 s[4:5], s[4:5], 1
	s_waitcnt lgkmcnt(0)
	s_add_u32 s4, s0, s4
	s_addc_u32 s5, s1, s5
	s_lshl_b32 s2, s28, 6
	v_lshlrev_b32_e32 v0, 10, v0
	s_lshl_b64 s[0:1], s[2:3], 1
	v_and_b32_e32 v0, 0x1800, v0
	v_lshlrev_b32_e32 v2, 5, v1
	v_and_b32_e32 v3, 16, v40
	s_add_u32 s0, s4, s0
	v_or3_b32 v0, v0, v2, v3
	s_addc_u32 s1, s5, s1
	v_or_b32_e32 v20, s29, v1
	ds_read_b128 v[2:5], v0
	ds_read_b128 v[6:9], v0 offset:128
	ds_read_b128 v[10:13], v0 offset:256
	;; [unrolled: 1-line block ×3, first 2 shown]
	v_lshl_add_u64 v[18:19], s[0:1], 0, v[26:27]
	v_mad_u64_u32 v[0:1], s[0:1], v20, s6, 0
	v_lshl_add_u64 v[0:1], v[0:1], 1, v[18:19]
	s_waitcnt lgkmcnt(3)
	global_store_dwordx4 v[0:1], v[2:5], off
	v_or_b32_e32 v0, 4, v20
	v_mad_u64_u32 v[0:1], s[0:1], v0, s6, 0
	v_lshl_add_u64 v[0:1], v[0:1], 1, v[18:19]
	s_waitcnt lgkmcnt(2)
	global_store_dwordx4 v[0:1], v[6:9], off
	v_or_b32_e32 v0, 8, v20
	;; [unrolled: 5-line block ×3, first 2 shown]
	v_mad_u64_u32 v[0:1], s[0:1], v0, s6, 0
	v_lshl_add_u64 v[0:1], v[0:1], 1, v[18:19]
	s_waitcnt lgkmcnt(0)
	global_store_dwordx4 v[0:1], v[14:17], off
.LBB1123_17:
	s_endpgm
	.section	.rodata,"a",@progbits
	.p2align	6, 0x0
	.amdhsa_kernel _Z39paged_attention_ll4mi_QKV_mfma16_kernelI14__hip_bfloat16hLN4vllm18Fp8KVCacheDataTypeE1EhLi16ELi64ELi256ELb0ELi16EEvPKT_PKT0_S8_ifPKiSA_SA_iPKfiiiPfSD_PS3_PT2_iSC_SC_
		.amdhsa_group_segment_fixed_size 8192
		.amdhsa_private_segment_fixed_size 0
		.amdhsa_kernarg_size 400
		.amdhsa_user_sgpr_count 2
		.amdhsa_user_sgpr_dispatch_ptr 0
		.amdhsa_user_sgpr_queue_ptr 0
		.amdhsa_user_sgpr_kernarg_segment_ptr 1
		.amdhsa_user_sgpr_dispatch_id 0
		.amdhsa_user_sgpr_kernarg_preload_length 0
		.amdhsa_user_sgpr_kernarg_preload_offset 0
		.amdhsa_user_sgpr_private_segment_size 0
		.amdhsa_uses_dynamic_stack 0
		.amdhsa_enable_private_segment 0
		.amdhsa_system_sgpr_workgroup_id_x 1
		.amdhsa_system_sgpr_workgroup_id_y 1
		.amdhsa_system_sgpr_workgroup_id_z 1
		.amdhsa_system_sgpr_workgroup_info 0
		.amdhsa_system_vgpr_workitem_id 0
		.amdhsa_next_free_vgpr 60
		.amdhsa_next_free_sgpr 49
		.amdhsa_accum_offset 60
		.amdhsa_reserve_vcc 1
		.amdhsa_float_round_mode_32 0
		.amdhsa_float_round_mode_16_64 0
		.amdhsa_float_denorm_mode_32 3
		.amdhsa_float_denorm_mode_16_64 3
		.amdhsa_dx10_clamp 1
		.amdhsa_ieee_mode 1
		.amdhsa_fp16_overflow 0
		.amdhsa_tg_split 0
		.amdhsa_exception_fp_ieee_invalid_op 0
		.amdhsa_exception_fp_denorm_src 0
		.amdhsa_exception_fp_ieee_div_zero 0
		.amdhsa_exception_fp_ieee_overflow 0
		.amdhsa_exception_fp_ieee_underflow 0
		.amdhsa_exception_fp_ieee_inexact 0
		.amdhsa_exception_int_div_zero 0
	.end_amdhsa_kernel
	.section	.text._Z39paged_attention_ll4mi_QKV_mfma16_kernelI14__hip_bfloat16hLN4vllm18Fp8KVCacheDataTypeE1EhLi16ELi64ELi256ELb0ELi16EEvPKT_PKT0_S8_ifPKiSA_SA_iPKfiiiPfSD_PS3_PT2_iSC_SC_,"axG",@progbits,_Z39paged_attention_ll4mi_QKV_mfma16_kernelI14__hip_bfloat16hLN4vllm18Fp8KVCacheDataTypeE1EhLi16ELi64ELi256ELb0ELi16EEvPKT_PKT0_S8_ifPKiSA_SA_iPKfiiiPfSD_PS3_PT2_iSC_SC_,comdat
.Lfunc_end1123:
	.size	_Z39paged_attention_ll4mi_QKV_mfma16_kernelI14__hip_bfloat16hLN4vllm18Fp8KVCacheDataTypeE1EhLi16ELi64ELi256ELb0ELi16EEvPKT_PKT0_S8_ifPKiSA_SA_iPKfiiiPfSD_PS3_PT2_iSC_SC_, .Lfunc_end1123-_Z39paged_attention_ll4mi_QKV_mfma16_kernelI14__hip_bfloat16hLN4vllm18Fp8KVCacheDataTypeE1EhLi16ELi64ELi256ELb0ELi16EEvPKT_PKT0_S8_ifPKiSA_SA_iPKfiiiPfSD_PS3_PT2_iSC_SC_
                                        ; -- End function
	.section	.AMDGPU.csdata,"",@progbits
; Kernel info:
; codeLenInByte = 4860
; NumSgprs: 55
; NumVgprs: 60
; NumAgprs: 0
; TotalNumVgprs: 60
; ScratchSize: 0
; MemoryBound: 0
; FloatMode: 240
; IeeeMode: 1
; LDSByteSize: 8192 bytes/workgroup (compile time only)
; SGPRBlocks: 6
; VGPRBlocks: 7
; NumSGPRsForWavesPerEU: 55
; NumVGPRsForWavesPerEU: 60
; AccumOffset: 60
; Occupancy: 8
; WaveLimiterHint : 1
; COMPUTE_PGM_RSRC2:SCRATCH_EN: 0
; COMPUTE_PGM_RSRC2:USER_SGPR: 2
; COMPUTE_PGM_RSRC2:TRAP_HANDLER: 0
; COMPUTE_PGM_RSRC2:TGID_X_EN: 1
; COMPUTE_PGM_RSRC2:TGID_Y_EN: 1
; COMPUTE_PGM_RSRC2:TGID_Z_EN: 1
; COMPUTE_PGM_RSRC2:TIDIG_COMP_CNT: 0
; COMPUTE_PGM_RSRC3_GFX90A:ACCUM_OFFSET: 14
; COMPUTE_PGM_RSRC3_GFX90A:TG_SPLIT: 0
	.section	.text._Z39paged_attention_ll4mi_QKV_mfma16_kernelI14__hip_bfloat16hLN4vllm18Fp8KVCacheDataTypeE1EhLi16ELi64ELi256ELb0ELi1EEvPKT_PKT0_S8_ifPKiSA_SA_iPKfiiiPfSD_PS3_PT2_iSC_SC_,"axG",@progbits,_Z39paged_attention_ll4mi_QKV_mfma16_kernelI14__hip_bfloat16hLN4vllm18Fp8KVCacheDataTypeE1EhLi16ELi64ELi256ELb0ELi1EEvPKT_PKT0_S8_ifPKiSA_SA_iPKfiiiPfSD_PS3_PT2_iSC_SC_,comdat
	.protected	_Z39paged_attention_ll4mi_QKV_mfma16_kernelI14__hip_bfloat16hLN4vllm18Fp8KVCacheDataTypeE1EhLi16ELi64ELi256ELb0ELi1EEvPKT_PKT0_S8_ifPKiSA_SA_iPKfiiiPfSD_PS3_PT2_iSC_SC_ ; -- Begin function _Z39paged_attention_ll4mi_QKV_mfma16_kernelI14__hip_bfloat16hLN4vllm18Fp8KVCacheDataTypeE1EhLi16ELi64ELi256ELb0ELi1EEvPKT_PKT0_S8_ifPKiSA_SA_iPKfiiiPfSD_PS3_PT2_iSC_SC_
	.globl	_Z39paged_attention_ll4mi_QKV_mfma16_kernelI14__hip_bfloat16hLN4vllm18Fp8KVCacheDataTypeE1EhLi16ELi64ELi256ELb0ELi1EEvPKT_PKT0_S8_ifPKiSA_SA_iPKfiiiPfSD_PS3_PT2_iSC_SC_
	.p2align	8
	.type	_Z39paged_attention_ll4mi_QKV_mfma16_kernelI14__hip_bfloat16hLN4vllm18Fp8KVCacheDataTypeE1EhLi16ELi64ELi256ELb0ELi1EEvPKT_PKT0_S8_ifPKiSA_SA_iPKfiiiPfSD_PS3_PT2_iSC_SC_,@function
_Z39paged_attention_ll4mi_QKV_mfma16_kernelI14__hip_bfloat16hLN4vllm18Fp8KVCacheDataTypeE1EhLi16ELi64ELi256ELb0ELi1EEvPKT_PKT0_S8_ifPKiSA_SA_iPKfiiiPfSD_PS3_PT2_iSC_SC_: ; @_Z39paged_attention_ll4mi_QKV_mfma16_kernelI14__hip_bfloat16hLN4vllm18Fp8KVCacheDataTypeE1EhLi16ELi64ELi256ELb0ELi1EEvPKT_PKT0_S8_ifPKiSA_SA_iPKfiiiPfSD_PS3_PT2_iSC_SC_
; %bb.0:
	s_load_dwordx2 s[12:13], s[0:1], 0x30
	s_mov_b32 s5, s3
	s_mov_b64 s[6:7], 0
	s_waitcnt lgkmcnt(0)
	s_cmp_lg_u64 s[12:13], 0
	s_cselect_b64 s[14:15], -1, 0
	s_and_b64 vcc, exec, s[14:15]
	s_cbranch_vccz .LBB1124_7
; %bb.1:
	s_add_i32 s8, s2, 1
	s_mov_b32 s9, 0
	s_lshl_b64 s[10:11], s[8:9], 2
	s_add_u32 s10, s12, s10
	s_mov_b32 s3, s9
	s_addc_u32 s11, s13, s11
	s_lshl_b64 s[8:9], s[2:3], 2
	s_add_u32 s8, s12, s8
	s_addc_u32 s9, s13, s9
	s_load_dword s16, s[10:11], 0x0
	s_load_dword s17, s[8:9], 0x0
	s_waitcnt lgkmcnt(0)
	s_sub_i32 s8, s16, s17
	s_cmp_eq_u32 s8, 1
	s_cselect_b64 s[8:9], -1, 0
	s_andn2_b64 vcc, exec, s[6:7]
	s_cbranch_vccnz .LBB1124_3
.LBB1124_2:
	s_mov_b32 s3, 0
	s_mov_b64 s[8:9], -1
.LBB1124_3:
	s_andn2_b64 vcc, exec, s[8:9]
	s_cbranch_vccnz .LBB1124_17
; %bb.4:
	s_load_dwordx2 s[6:7], s[0:1], 0x28
	s_lshl_b64 s[16:17], s[2:3], 2
	s_waitcnt lgkmcnt(0)
	s_add_u32 s6, s6, s16
	s_addc_u32 s7, s7, s17
	s_load_dword s48, s[6:7], 0x0
	s_lshl_b32 s18, s5, 8
	s_waitcnt lgkmcnt(0)
	s_cmp_ge_i32 s18, s48
	s_cbranch_scc1 .LBB1124_17
; %bb.5:
	s_load_dwordx2 s[6:7], s[0:1], 0x20
	s_load_dword s8, s[0:1], 0x38
	s_add_i32 s9, s48, 15
	s_ashr_i32 s10, s9, 31
	v_and_b32_e32 v1, 0xcf, v0
	s_lshr_b32 s10, s10, 28
	v_add_u32_e32 v1, s18, v1
	s_add_i32 s9, s9, s10
	v_ashrrev_i32_e32 v2, 31, v1
	s_ashr_i32 s19, s9, 4
	v_lshrrev_b32_e32 v4, 28, v2
	s_add_i32 s19, s19, -1
	s_waitcnt lgkmcnt(0)
	s_mul_i32 s8, s2, s8
	s_mov_b32 s9, 0
	v_add_u32_e32 v2, v1, v4
	s_lshl_b64 s[8:9], s[8:9], 2
	v_ashrrev_i32_e32 v2, 4, v2
	v_mov_b32_e32 v5, s19
	v_cmp_gt_i32_e32 vcc, s48, v1
	s_add_u32 s6, s6, s8
	s_addc_u32 s7, s7, s9
	v_cndmask_b32_e32 v2, v5, v2, vcc
	v_ashrrev_i32_e32 v3, 31, v2
	v_lshl_add_u64 v[6:7], v[2:3], 2, s[6:7]
	v_or_b32_e32 v2, 16, v1
	v_add_u32_e32 v3, v2, v4
	v_ashrrev_i32_e32 v3, 4, v3
	v_cmp_gt_i32_e32 vcc, s48, v2
	s_load_dwordx4 s[8:11], s[0:1], 0x8
	s_nop 0
	v_cndmask_b32_e32 v2, v5, v3, vcc
	v_ashrrev_i32_e32 v3, 31, v2
	v_lshl_add_u64 v[8:9], v[2:3], 2, s[6:7]
	v_or_b32_e32 v2, 32, v1
	v_add_u32_e32 v3, v2, v4
	v_ashrrev_i32_e32 v3, 4, v3
	v_cmp_gt_i32_e32 vcc, s48, v2
	v_or_b32_e32 v1, 48, v1
	s_nop 0
	v_cndmask_b32_e32 v2, v5, v3, vcc
	v_ashrrev_i32_e32 v3, 31, v2
	v_lshl_add_u64 v[10:11], v[2:3], 2, s[6:7]
	v_add_u32_e32 v2, v1, v4
	v_ashrrev_i32_e32 v2, 4, v2
	v_cmp_gt_i32_e32 vcc, s48, v1
	s_nop 1
	v_cndmask_b32_e32 v2, v5, v2, vcc
	v_ashrrev_i32_e32 v3, 31, v2
	v_lshl_add_u64 v[12:13], v[2:3], 2, s[6:7]
	global_load_dword v4, v[6:7], off
	global_load_dword v3, v[8:9], off
	;; [unrolled: 1-line block ×4, first 2 shown]
	s_andn2_b64 vcc, exec, s[14:15]
	s_cbranch_vccnz .LBB1124_8
; %bb.6:
	s_add_u32 s12, s12, s16
	s_addc_u32 s13, s13, s17
	s_load_dword s14, s[12:13], 0x0
	s_branch .LBB1124_9
.LBB1124_7:
	s_mov_b64 s[8:9], 0
	s_branch .LBB1124_2
.LBB1124_8:
	s_mov_b32 s14, s2
.LBB1124_9:
	s_load_dwordx4 s[44:47], s[0:1], 0x48
	v_lshrrev_b32_e32 v42, 6, v0
	v_bfe_u32 v40, v0, 4, 2
	v_lshl_or_b32 v1, v42, 2, v40
	v_and_b32_e32 v43, 15, v0
	v_lshlrev_b32_e32 v5, 3, v43
	v_cmp_eq_u32_e32 vcc, 0, v1
	v_cmp_gt_u32_e64 s[28:29], 8, v43
	v_and_b32_e32 v44, 63, v0
	s_and_b64 s[16:17], s[28:29], vcc
	v_lshlrev_b32_e32 v1, 1, v5
	v_lshlrev_b32_e32 v41, 4, v0
	s_and_saveexec_b64 s[12:13], s[16:17]
	s_cbranch_execz .LBB1124_11
; %bb.10:
	s_load_dwordx2 s[16:17], s[0:1], 0x0
	s_waitcnt lgkmcnt(0)
	s_ashr_i32 s15, s44, 31
	s_mul_hi_u32 s20, s14, s44
	s_mul_i32 s15, s14, s15
	s_add_i32 s15, s20, s15
	s_mul_i32 s14, s14, s44
	s_lshl_b64 s[14:15], s[14:15], 1
	s_add_u32 s16, s16, s14
	s_addc_u32 s17, s17, s15
	s_lshl_b32 s14, s4, 6
	s_ashr_i32 s15, s14, 31
	s_lshl_b64 s[14:15], s[14:15], 1
	s_add_u32 s14, s16, s14
	s_addc_u32 s15, s17, s15
	global_load_dwordx4 v[6:9], v1, s[14:15]
	v_lshlrev_b32_e32 v5, 8, v43
	v_and_b32_e32 v10, 16, v41
	s_movk_i32 s14, 0xe00
	v_and_or_b32 v5, v5, s14, v10
	s_waitcnt vmcnt(0)
	ds_write_b128 v5, v[6:9]
.LBB1124_11:
	s_or_b64 exec, exec, s[12:13]
	s_waitcnt lgkmcnt(0)
	s_mul_i32 s12, s4, s46
	s_add_u32 s8, s8, s12
	s_addc_u32 s9, s9, 0
	v_and_b32_e32 v8, 48, v0
	v_and_b32_e32 v26, 0xf0, v41
	v_mov_b32_e32 v27, 0
	v_lshl_add_u64 v[6:7], s[8:9], 0, v[26:27]
	v_lshlrev_b32_e32 v26, 4, v8
	v_lshl_add_u64 v[18:19], v[6:7], 0, v[26:27]
	s_waitcnt vmcnt(3)
	v_mad_i64_i32 v[4:5], s[8:9], v4, s45, v[18:19]
	s_barrier
	global_load_dwordx4 v[22:25], v[4:5], off
	s_waitcnt vmcnt(3)
	v_mad_i64_i32 v[4:5], s[8:9], v3, s45, v[18:19]
	global_load_dwordx4 v[14:17], v[4:5], off
	v_or_b32_e32 v21, s18, v8
	v_mov_b32_e32 v26, s19
	v_ashrrev_i32_e32 v3, 4, v21
	v_cmp_gt_i32_e32 vcc, s48, v21
	s_waitcnt vmcnt(3)
	v_mad_i64_i32 v[6:7], s[8:9], v2, s45, v[18:19]
	v_cndmask_b32_e32 v4, v26, v3, vcc
	v_ashrrev_i32_e32 v5, 31, v4
	v_lshl_add_u64 v[8:9], v[4:5], 2, s[6:7]
	global_load_dword v45, v[8:9], off
	global_load_dwordx4 v[2:5], v[6:7], off
	v_or_b32_e32 v29, 64, v21
	v_lshlrev_b32_e32 v6, 9, v40
	v_or_b32_e32 v31, 0x80, v21
	v_or_b32_e32 v33, 0xc0, v21
	v_ashrrev_i32_e32 v21, 4, v29
	s_add_u32 s8, s10, s12
	v_cmp_gt_i32_e32 vcc, s48, v29
	s_waitcnt vmcnt(4)
	v_mad_i64_i32 v[18:19], s[12:13], v20, s45, v[18:19]
	s_load_dword s14, s[0:1], 0x1c
	s_load_dwordx4 s[40:43], s[0:1], 0x80
	ds_read_b128 v[10:13], v6
	ds_read_b128 v[6:9], v6 offset:16
	v_cndmask_b32_e32 v30, v26, v21, vcc
	global_load_dwordx4 v[18:21], v[18:19], off
	v_ashrrev_i32_e32 v32, 4, v31
	v_cmp_gt_i32_e32 vcc, s48, v31
	v_ashrrev_i32_e32 v34, 4, v33
	v_lshlrev_b32_e32 v28, 4, v43
	v_cndmask_b32_e32 v32, v26, v32, vcc
	v_cmp_gt_i32_e32 vcc, s48, v33
	v_ashrrev_i32_e32 v31, 31, v30
	s_addc_u32 s9, s11, 0
	v_cndmask_b32_e32 v34, v26, v34, vcc
	v_ashrrev_i32_e32 v35, 31, v34
	v_lshl_or_b32 v26, v42, 8, v28
	v_ashrrev_i32_e32 v33, 31, v32
	v_lshl_add_u64 v[30:31], v[30:31], 2, s[6:7]
	v_lshl_add_u64 v[34:35], v[34:35], 2, s[6:7]
	;; [unrolled: 1-line block ×3, first 2 shown]
	s_waitcnt lgkmcnt(0)
	s_load_dword s8, s[40:41], 0x0
	v_lshl_add_u64 v[36:37], v[32:33], 2, s[6:7]
	global_load_dword v33, v[30:31], off
	global_load_dword v26, v[36:37], off
	;; [unrolled: 1-line block ×3, first 2 shown]
	s_mov_b32 s33, 0x7060302
	v_mov_b32_e32 v58, s14
	s_mov_b32 s44, 0xff7fffff
	s_waitcnt vmcnt(7)
	v_cvt_pk_f32_fp8_e32 v[30:31], v22
	v_cvt_pk_f32_fp8_sdwa v[34:35], v22 src0_sel:WORD_1
	v_cvt_pk_f32_fp8_e32 v[36:37], v23
	v_cvt_pk_f32_fp8_sdwa v[38:39], v23 src0_sel:WORD_1
	v_perm_b32 v30, v31, v30, s33
	v_perm_b32 v31, v35, v34, s33
	s_waitcnt vmcnt(6)
	v_cvt_pk_f32_fp8_e32 v[22:23], v14
	v_cvt_pk_f32_fp8_sdwa v[52:53], v14 src0_sel:WORD_1
	v_cvt_pk_f32_fp8_e32 v[46:47], v24
	v_cvt_pk_f32_fp8_sdwa v[48:49], v24 src0_sel:WORD_1
	v_cvt_pk_f32_fp8_e32 v[50:51], v25
	v_cvt_pk_f32_fp8_sdwa v[54:55], v25 src0_sel:WORD_1
	v_perm_b32 v34, v23, v22, s33
	v_mfma_f32_16x16x16_bf16 v[22:25], v[30:31], v[10:11], 0
	v_perm_b32 v30, v37, v36, s33
	v_perm_b32 v31, v39, v38, s33
	v_cvt_pk_f32_fp8_e32 v[56:57], v15
	v_perm_b32 v35, v53, v52, s33
	v_cvt_pk_f32_fp8_sdwa v[14:15], v15 src0_sel:WORD_1
	v_mfma_f32_16x16x16_bf16 v[22:25], v[30:31], v[12:13], v[22:25]
	v_perm_b32 v30, v47, v46, s33
	v_perm_b32 v31, v49, v48, s33
	v_cvt_pk_f32_fp8_e32 v[38:39], v16
	v_perm_b32 v52, v57, v56, s33
	v_perm_b32 v53, v15, v14, s33
	v_cvt_pk_f32_fp8_sdwa v[14:15], v16 src0_sel:WORD_1
	v_mfma_f32_16x16x16_bf16 v[34:37], v[34:35], v[10:11], 0
	v_perm_b32 v38, v39, v38, s33
	v_cvt_pk_f32_fp8_e32 v[46:47], v17
	v_perm_b32 v39, v15, v14, s33
	v_mfma_f32_16x16x16_bf16 v[22:25], v[30:31], v[6:7], v[22:25]
	v_perm_b32 v30, v51, v50, s33
	v_perm_b32 v31, v55, v54, s33
	v_cvt_pk_f32_fp8_sdwa v[14:15], v17 src0_sel:WORD_1
	v_mfma_f32_16x16x16_bf16 v[34:37], v[52:53], v[12:13], v[34:37]
	s_waitcnt vmcnt(4)
	v_cvt_pk_f32_fp8_sdwa v[50:51], v4 src0_sel:WORD_1
	v_cvt_pk_f32_fp8_sdwa v[52:53], v5 src0_sel:WORD_1
	s_waitcnt lgkmcnt(0)
	v_mul_f32_e32 v16, s8, v58
	v_mfma_f32_16x16x16_bf16 v[34:37], v[38:39], v[6:7], v[34:37]
	v_perm_b32 v38, v47, v46, s33
	v_perm_b32 v39, v15, v14, s33
	v_mad_i64_i32 v[14:15], s[6:7], v45, s45, v[28:29]
	v_mfma_f32_16x16x16_bf16 v[46:49], v[30:31], v[8:9], v[22:25]
	v_cvt_pk_f32_fp8_e32 v[30:31], v3
	v_perm_b32 v30, v31, v30, s33
	s_nop 0
	v_cvt_pk_f32_fp8_e32 v[22:23], v2
	v_cvt_pk_f32_fp8_sdwa v[24:25], v2 src0_sel:WORD_1
	v_cvt_pk_f32_fp8_sdwa v[2:3], v3 src0_sel:WORD_1
	v_mfma_f32_16x16x16_bf16 v[36:39], v[38:39], v[8:9], v[34:37]
	v_perm_b32 v22, v23, v22, s33
	v_perm_b32 v23, v25, v24, s33
	;; [unrolled: 1-line block ×3, first 2 shown]
	v_cvt_pk_f32_fp8_e32 v[34:35], v4
	v_mfma_f32_16x16x16_bf16 v[22:25], v[22:23], v[10:11], 0
	v_perm_b32 v34, v35, v34, s33
	v_perm_b32 v35, v51, v50, s33
	v_cvt_pk_f32_fp8_e32 v[50:51], v5
	v_mfma_f32_16x16x16_bf16 v[2:5], v[30:31], v[12:13], v[22:25]
	s_waitcnt vmcnt(3)
	v_cvt_pk_f32_fp8_sdwa v[30:31], v18 src0_sel:WORD_1
	s_nop 0
	v_perm_b32 v24, v51, v50, s33
	v_perm_b32 v25, v53, v52, s33
	v_pk_mul_f32 v[22:23], v[16:17], v[48:49] op_sel_hi:[0,1]
	v_mfma_f32_16x16x16_bf16 v[48:51], v[34:35], v[6:7], v[2:5]
	v_cvt_pk_f32_fp8_sdwa v[34:35], v20 src0_sel:WORD_1
	s_nop 1
	v_cvt_pk_f32_fp8_e32 v[4:5], v18
	v_pk_mul_f32 v[2:3], v[16:17], v[46:47] op_sel_hi:[0,1]
	v_mfma_f32_16x16x16_bf16 v[46:49], v[24:25], v[8:9], v[48:51]
	v_cvt_pk_f32_fp8_e32 v[24:25], v19
	v_perm_b32 v4, v5, v4, s33
	v_perm_b32 v5, v31, v30, s33
	v_cvt_pk_f32_fp8_sdwa v[18:19], v19 src0_sel:WORD_1
	v_perm_b32 v24, v25, v24, s33
	v_cvt_pk_f32_fp8_e32 v[30:31], v20
	v_mfma_f32_16x16x16_bf16 v[50:53], v[4:5], v[10:11], 0
	v_perm_b32 v25, v19, v18, s33
	v_perm_b32 v4, v31, v30, s33
	;; [unrolled: 1-line block ×3, first 2 shown]
	v_cvt_pk_f32_fp8_e32 v[18:19], v21
	v_cvt_pk_f32_fp8_sdwa v[20:21], v21 src0_sel:WORD_1
	v_mfma_f32_16x16x16_bf16 v[10:13], v[24:25], v[12:13], v[50:53]
	v_pk_mul_f32 v[34:35], v[16:17], v[38:39] op_sel_hi:[0,1]
	v_perm_b32 v18, v19, v18, s33
	v_perm_b32 v19, v21, v20, s33
	v_mfma_f32_16x16x16_bf16 v[4:7], v[4:5], v[6:7], v[10:13]
	v_pk_mul_f32 v[38:39], v[16:17], v[36:37] op_sel_hi:[0,1]
	v_pk_mul_f32 v[36:37], v[16:17], v[46:47] op_sel_hi:[0,1]
	;; [unrolled: 1-line block ×3, first 2 shown]
	v_mfma_f32_16x16x16_bf16 v[4:7], v[18:19], v[8:9], v[4:7]
	s_nop 6
	v_pk_mul_f32 v[24:25], v[16:17], v[4:5] op_sel_hi:[0,1]
	v_and_b32_e32 v4, 0xc0, v0
	v_add_u32_e32 v4, s18, v4
	v_lshl_or_b32 v4, v40, 2, v4
	v_pk_mul_f32 v[18:19], v[16:17], v[6:7] op_sel_hi:[0,1]
	v_or_b32_e32 v7, 1, v4
	v_mov_b32_e32 v5, 0xff7fffff
	v_cmp_gt_i32_e64 s[30:31], s48, v4
	v_cmp_gt_i32_e64 s[34:35], s48, v7
	v_or_b32_e32 v8, 3, v4
	v_cndmask_b32_e64 v6, v5, v2, s[30:31]
	v_cndmask_b32_e64 v7, v5, v3, s[34:35]
	v_max3_f32 v6, v6, s44, v7
	v_or_b32_e32 v7, 2, v4
	v_cmp_gt_i32_e64 s[36:37], s48, v7
	v_cmp_gt_i32_e64 s[38:39], s48, v8
	s_nop 0
	v_cndmask_b32_e64 v7, v5, v22, s[36:37]
	v_cndmask_b32_e64 v8, v5, v23, s[38:39]
	v_max3_f32 v6, v6, v7, v8
	v_or_b32_e32 v7, 16, v4
	v_or_b32_e32 v8, 17, v4
	v_cmp_gt_i32_e64 s[24:25], s48, v7
	v_cmp_gt_i32_e64 s[26:27], s48, v8
	s_nop 0
	v_cndmask_b32_e64 v7, v5, v38, s[24:25]
	v_cndmask_b32_e64 v8, v5, v39, s[26:27]
	v_max3_f32 v6, v6, v7, v8
	v_or_b32_e32 v7, 18, v4
	;; [unrolled: 8-line block ×6, first 2 shown]
	v_or_b32_e32 v4, 51, v4
	v_cmp_gt_i32_e32 vcc, s48, v7
	v_cmp_gt_i32_e64 s[6:7], s48, v4
	s_nop 0
	v_cndmask_b32_e32 v7, v5, v18, vcc
	v_cndmask_b32_e64 v4, v5, v19, s[6:7]
	v_max3_f32 v6, v6, v7, v4
	v_mbcnt_lo_u32_b32 v4, -1, 0
	v_mbcnt_hi_u32_b32 v7, -1, v4
	v_and_b32_e32 v4, 64, v7
	v_add_u32_e32 v8, 64, v4
	v_xor_b32_e32 v4, 32, v7
	v_cmp_lt_i32_e64 s[40:41], v4, v8
	s_nop 1
	v_cndmask_b32_e64 v4, v7, v4, s[40:41]
	v_lshlrev_b32_e32 v45, 2, v4
	ds_bpermute_b32 v9, v45, v6
	s_waitcnt vmcnt(2)
	v_mad_i64_i32 v[4:5], s[40:41], v33, s45, v[28:29]
	global_load_dwordx4 v[14:17], v[14:15], off
	s_nop 0
	global_load_dwordx4 v[10:13], v[4:5], off
	v_xor_b32_e32 v5, 16, v7
	v_cmp_lt_i32_e64 s[40:41], v5, v8
	s_waitcnt lgkmcnt(0)
	v_max_f32_e32 v4, v9, v9
	v_max_f32_e32 v4, v6, v4
	v_cndmask_b32_e64 v5, v7, v5, s[40:41]
	v_lshlrev_b32_e32 v46, 2, v5
	ds_bpermute_b32 v5, v46, v4
	s_waitcnt vmcnt(3)
	v_mad_i64_i32 v[20:21], s[40:41], v26, s45, v[28:29]
	s_waitcnt vmcnt(2)
	v_mad_i64_i32 v[28:29], s[40:41], v32, s45, v[28:29]
	s_waitcnt lgkmcnt(0)
	v_max_f32_e32 v5, v5, v5
	v_max_f32_e32 v26, v4, v5
	v_sub_f32_e32 v2, v2, v26
	v_mul_f32_e32 v2, 0x3fb8aa3b, v2
	v_exp_f32_e32 v32, v2
	v_sub_f32_e32 v2, v3, v26
	v_mul_f32_e32 v2, 0x3fb8aa3b, v2
	v_exp_f32_e32 v33, v2
	global_load_dwordx4 v[6:9], v[20:21], off
	global_load_dwordx4 v[2:5], v[28:29], off
	v_sub_f32_e32 v22, v22, v26
	v_mul_f32_e32 v22, 0x3fb8aa3b, v22
	v_sub_f32_e32 v23, v23, v26
	v_exp_f32_e32 v22, v22
	v_mul_f32_e32 v23, 0x3fb8aa3b, v23
	v_exp_f32_e32 v23, v23
	v_cndmask_b32_e64 v20, 0, v32, s[30:31]
	v_add_f32_e32 v28, 0, v20
	v_cndmask_b32_e64 v21, 0, v33, s[34:35]
	v_add_f32_e32 v28, v28, v21
	;; [unrolled: 2-line block ×3, first 2 shown]
	v_cndmask_b32_e64 v33, 0, v23, s[38:39]
	v_sub_f32_e32 v23, v38, v26
	v_sub_f32_e32 v28, v39, v26
	v_mul_f32_e32 v23, 0x3fb8aa3b, v23
	v_mul_f32_e32 v28, 0x3fb8aa3b, v28
	v_exp_f32_e32 v23, v23
	v_exp_f32_e32 v28, v28
	v_add_f32_e32 v29, v22, v33
	v_sub_f32_e32 v30, v30, v26
	v_cndmask_b32_e64 v22, 0, v23, s[24:25]
	v_cndmask_b32_e64 v23, 0, v28, s[26:27]
	v_sub_f32_e32 v28, v34, v26
	v_mul_f32_e32 v28, 0x3fb8aa3b, v28
	v_exp_f32_e32 v28, v28
	v_sub_f32_e32 v34, v35, v26
	v_add_f32_e32 v29, v29, v22
	v_mul_f32_e32 v34, 0x3fb8aa3b, v34
	v_exp_f32_e32 v35, v34
	v_add_f32_e32 v29, v29, v23
	v_cndmask_b32_e64 v34, 0, v28, s[20:21]
	v_add_f32_e32 v28, v29, v34
	v_sub_f32_e32 v29, v36, v26
	v_mul_f32_e32 v29, 0x3fb8aa3b, v29
	v_sub_f32_e32 v36, v37, v26
	v_exp_f32_e32 v29, v29
	v_mul_f32_e32 v36, 0x3fb8aa3b, v36
	v_exp_f32_e32 v36, v36
	v_mul_f32_e32 v30, 0x3fb8aa3b, v30
	v_sub_f32_e32 v31, v31, v26
	v_exp_f32_e32 v30, v30
	v_mul_f32_e32 v31, 0x3fb8aa3b, v31
	v_sub_f32_e32 v24, v24, v26
	v_cndmask_b32_e64 v35, 0, v35, s[22:23]
	v_exp_f32_e32 v31, v31
	v_mul_f32_e32 v24, 0x3fb8aa3b, v24
	v_sub_f32_e32 v25, v25, v26
	v_add_f32_e32 v37, v28, v35
	v_cndmask_b32_e64 v28, 0, v29, s[16:17]
	v_exp_f32_e32 v24, v24
	v_mul_f32_e32 v25, 0x3fb8aa3b, v25
	v_sub_f32_e32 v18, v18, v26
	v_add_f32_e32 v37, v37, v28
	;; [unrolled: 5-line block ×3, first 2 shown]
	v_cndmask_b32_e64 v30, 0, v30, s[12:13]
	v_exp_f32_e32 v18, v18
	v_mul_f32_e32 v19, 0x3fb8aa3b, v19
	v_add_f32_e32 v36, v36, v30
	v_cndmask_b32_e64 v31, 0, v31, s[14:15]
	v_exp_f32_e32 v19, v19
	v_add_f32_e32 v36, v36, v31
	v_cndmask_b32_e64 v24, 0, v24, s[8:9]
	v_add_f32_e32 v36, v36, v24
	v_cndmask_b32_e64 v25, 0, v25, s[10:11]
	v_add_f32_e32 v36, v36, v25
	v_cndmask_b32_e32 v18, 0, v18, vcc
	v_add_f32_e32 v36, v36, v18
	v_cndmask_b32_e64 v19, 0, v19, s[6:7]
	v_add_f32_e32 v36, v36, v19
	ds_bpermute_b32 v37, v45, v36
	v_cmp_gt_u32_e64 s[6:7], 16, v44
	s_waitcnt lgkmcnt(0)
	s_barrier
	v_add_f32_e32 v37, v36, v37
	ds_bpermute_b32 v38, v46, v37
	v_lshlrev_b32_e32 v36, 2, v43
	s_and_saveexec_b64 s[8:9], s[6:7]
	s_cbranch_execz .LBB1124_13
; %bb.12:
	s_waitcnt lgkmcnt(0)
	v_add_f32_e32 v37, v37, v38
	v_lshl_or_b32 v38, v42, 6, v36
	ds_write2st64_b32 v38, v26, v37 offset1:1
.LBB1124_13:
	s_or_b64 exec, exec, s[8:9]
	s_load_dwordx2 s[8:9], s[0:1], 0x94
	s_waitcnt lgkmcnt(0)
	s_barrier
	ds_read2_b32 v[38:39], v36 offset1:16
	ds_read2_b32 v[44:45], v36 offset0:32 offset1:48
	ds_read2_b32 v[46:47], v36 offset0:64 offset1:80
	s_movk_i32 s12, 0x7fff
	s_waitcnt lgkmcnt(2)
	v_max3_f32 v26, v38, s44, v39
	s_waitcnt lgkmcnt(1)
	v_max3_f32 v26, v26, v44, v45
	v_sub_f32_e32 v37, v38, v26
	v_sub_f32_e32 v38, v39, v26
	v_mul_f32_e32 v38, 0x3fb8aa3b, v38
	v_mul_f32_e32 v37, 0x3fb8aa3b, v37
	v_exp_f32_e32 v48, v38
	v_sub_f32_e32 v38, v44, v26
	v_exp_f32_e32 v37, v37
	v_mul_f32_e32 v38, 0x3fb8aa3b, v38
	v_exp_f32_e32 v44, v38
	ds_read2_b32 v[38:39], v36 offset0:96 offset1:112
	v_sub_f32_e32 v36, v45, v26
	v_mul_f32_e32 v36, 0x3fb8aa3b, v36
	v_exp_f32_e32 v45, v36
	s_waitcnt lgkmcnt(1)
	v_fma_f32 v36, v37, v46, 0
	v_fmac_f32_e32 v36, v48, v47
	s_waitcnt lgkmcnt(0)
	v_fmac_f32_e32 v36, v44, v38
	v_fmac_f32_e32 v36, v45, v39
	v_add_f32_e32 v38, 0x358637bd, v36
	v_div_scale_f32 v39, s[10:11], v38, v38, 1.0
	v_rcp_f32_e32 v46, v39
	s_barrier
	v_fma_f32 v47, -v39, v46, 1.0
	v_fmac_f32_e32 v46, v47, v46
	v_div_scale_f32 v47, vcc, 1.0, v38, 1.0
	v_mul_f32_e32 v49, v47, v46
	v_fma_f32 v50, -v39, v49, v47
	v_fmac_f32_e32 v49, v50, v46
	v_fma_f32 v39, -v39, v49, v47
	v_div_fmas_f32 v39, v39, v46, v49
	v_cmp_eq_u32_e32 vcc, 1, v42
	v_div_fixup_f32 v38, v39, v38, 1.0
	s_nop 0
	v_cndmask_b32_e32 v37, v37, v48, vcc
	v_cmp_eq_u32_e32 vcc, 2, v42
	s_nop 1
	v_cndmask_b32_e32 v37, v37, v44, vcc
	v_cmp_eq_u32_e32 vcc, 3, v42
	s_nop 1
	v_cndmask_b32_e32 v37, v37, v45, vcc
	v_mul_f32_e32 v38, v37, v38
	v_pk_mul_f32 v[20:21], v[38:39], v[20:21] op_sel_hi:[0,1]
	v_pk_mul_f32 v[32:33], v[38:39], v[32:33] op_sel_hi:[0,1]
	v_bfe_u32 v37, v21, 16, 1
	v_bfe_u32 v39, v20, 16, 1
	v_add3_u32 v20, v20, v39, s12
	v_add3_u32 v21, v21, v37, s12
	v_perm_b32 v44, v21, v20, s33
	v_bfe_u32 v20, v33, 16, 1
	v_bfe_u32 v21, v32, 16, 1
	v_add3_u32 v21, v32, v21, s12
	v_add3_u32 v20, v33, v20, s12
	v_perm_b32 v45, v20, v21, s33
	v_lshlrev_b32_e32 v20, 3, v40
	v_lshlrev_b32_e32 v21, 5, v43
	;; [unrolled: 1-line block ×3, first 2 shown]
	v_pk_mul_f32 v[22:23], v[38:39], v[22:23] op_sel_hi:[0,1]
	v_or3_b32 v20, v32, v21, v20
	v_pk_mul_f32 v[32:33], v[38:39], v[34:35] op_sel_hi:[0,1]
	v_bfe_u32 v34, v23, 16, 1
	v_bfe_u32 v35, v22, 16, 1
	v_add3_u32 v22, v22, v35, s12
	v_add3_u32 v23, v23, v34, s12
	v_perm_b32 v22, v23, v22, s33
	v_bfe_u32 v23, v33, 16, 1
	v_bfe_u32 v34, v32, 16, 1
	v_add3_u32 v32, v32, v34, s12
	v_add3_u32 v23, v33, v23, s12
	v_perm_b32 v23, v23, v32, s33
	v_pk_mul_f32 v[28:29], v[38:39], v[28:29] op_sel_hi:[0,1]
	ds_write2st64_b64 v20, v[44:45], v[22:23] offset1:1
	v_pk_mul_f32 v[22:23], v[38:39], v[30:31] op_sel_hi:[0,1]
	v_bfe_u32 v30, v29, 16, 1
	v_bfe_u32 v31, v28, 16, 1
	v_add3_u32 v28, v28, v31, s12
	v_add3_u32 v29, v29, v30, s12
	v_perm_b32 v28, v29, v28, s33
	v_bfe_u32 v29, v23, 16, 1
	v_bfe_u32 v30, v22, 16, 1
	v_add3_u32 v22, v22, v30, s12
	v_add3_u32 v23, v23, v29, s12
	v_perm_b32 v29, v23, v22, s33
	v_pk_mul_f32 v[22:23], v[38:39], v[24:25] op_sel_hi:[0,1]
	v_bfe_u32 v24, v23, 16, 1
	v_bfe_u32 v25, v22, 16, 1
	v_pk_mul_f32 v[18:19], v[38:39], v[18:19] op_sel_hi:[0,1]
	v_add3_u32 v22, v22, v25, s12
	v_add3_u32 v23, v23, v24, s12
	v_perm_b32 v22, v23, v22, s33
	v_bfe_u32 v23, v19, 16, 1
	v_bfe_u32 v24, v18, 16, 1
	v_add3_u32 v18, v18, v24, s12
	v_add3_u32 v19, v19, v23, s12
	v_perm_b32 v23, v19, v18, s33
	v_cmp_eq_u32_e32 vcc, 0, v0
	ds_write2st64_b64 v20, v[28:29], v[22:23] offset0:2 offset1:3
	s_and_saveexec_b64 s[10:11], vcc
	s_cbranch_execz .LBB1124_15
; %bb.14:
	s_mul_i32 s3, s3, s9
	s_mul_hi_u32 s13, s2, s9
	s_add_i32 s13, s13, s3
	s_mul_i32 s3, s2, s9
	s_add_u32 s3, s3, s4
	s_addc_u32 s13, s13, 0
	s_load_dwordx4 s[16:19], s[0:1], 0x58
	s_mul_i32 s13, s13, s8
	s_mul_hi_u32 s14, s3, s8
	s_add_i32 s13, s14, s13
	s_mul_i32 s3, s3, s8
	s_add_u32 s14, s3, s5
	s_addc_u32 s15, s13, 0
	s_lshl_b64 s[14:15], s[14:15], 2
	s_waitcnt lgkmcnt(0)
	s_add_u32 s18, s18, s14
	s_addc_u32 s19, s19, s15
	s_add_u32 s14, s16, s14
	s_addc_u32 s15, s17, s15
	global_store_dword v27, v26, s[18:19]
	global_store_dword v27, v36, s[14:15]
.LBB1124_15:
	s_or_b64 exec, exec, s[10:11]
	s_waitcnt vmcnt(3)
	v_cvt_pk_f32_fp8_e32 v[18:19], v14
	v_cvt_pk_f32_fp8_sdwa v[22:23], v14 src0_sel:WORD_1
	v_cvt_pk_f32_fp8_e32 v[24:25], v15
	s_mov_b32 s10, 0x7060302
	v_lshl_or_b32 v14, v40, 9, v21
	s_waitcnt lgkmcnt(0)
	s_barrier
	v_perm_b32 v18, v19, v18, s10
	v_perm_b32 v19, v23, v22, s10
	v_cvt_pk_f32_fp8_sdwa v[26:27], v15 src0_sel:WORD_1
	v_perm_b32 v34, v25, v24, s10
	ds_read_b128 v[22:25], v14
	v_cvt_pk_f32_fp8_e32 v[36:37], v16
	v_perm_b32 v35, v27, v26, s10
	ds_read_b128 v[26:29], v14 offset:16
	v_cvt_pk_f32_fp8_sdwa v[38:39], v16 src0_sel:WORD_1
	s_waitcnt lgkmcnt(1)
	v_mfma_f32_16x16x16_bf16 v[30:33], v[18:19], v[22:23], 0
	v_perm_b32 v18, v37, v36, s10
	v_cvt_pk_f32_fp8_e32 v[36:37], v17
	v_perm_b32 v19, v39, v38, s10
	v_mfma_f32_16x16x16_bf16 v[22:25], v[34:35], v[24:25], v[30:33]
	s_waitcnt vmcnt(2)
	v_cvt_pk_f32_fp8_sdwa v[34:35], v12 src0_sel:WORD_1
	s_load_dword s14, s[42:43], 0x0
	v_cmp_gt_u32_e32 vcc, 64, v0
	v_cvt_pk_f32_fp8_sdwa v[30:31], v17 src0_sel:WORD_1
	v_perm_b32 v32, v37, v36, s10
	s_waitcnt lgkmcnt(0)
	v_mfma_f32_16x16x16_bf16 v[16:19], v[18:19], v[26:27], v[22:25]
	v_cvt_pk_f32_fp8_e32 v[26:27], v11
	v_perm_b32 v33, v31, v30, s10
	s_mov_b32 s3, 0
	v_cvt_pk_f32_fp8_e32 v[22:23], v10
	v_cvt_pk_f32_fp8_sdwa v[24:25], v10 src0_sel:WORD_1
	v_mfma_f32_16x16x16_bf16 v[16:19], v[32:33], v[28:29], v[16:19]
	v_perm_b32 v10, v23, v22, s10
	v_cvt_pk_f32_fp8_sdwa v[28:29], v11 src0_sel:WORD_1
	v_perm_b32 v11, v25, v24, s10
	ds_read_b128 v[22:25], v14 offset:2048
	v_perm_b32 v30, v27, v26, s10
	v_perm_b32 v31, v29, v28, s10
	ds_read_b128 v[26:29], v14 offset:2064
	v_cvt_pk_f32_fp8_e32 v[32:33], v12
	s_waitcnt lgkmcnt(1)
	v_mfma_f32_16x16x16_bf16 v[16:19], v[10:11], v[22:23], v[16:19]
	v_perm_b32 v11, v35, v34, s10
	v_cvt_pk_f32_fp8_e32 v[22:23], v13
	v_perm_b32 v10, v33, v32, s10
	v_mfma_f32_16x16x16_bf16 v[16:19], v[30:31], v[24:25], v[16:19]
	v_cvt_pk_f32_fp8_sdwa v[24:25], v13 src0_sel:WORD_1
	v_perm_b32 v22, v23, v22, s10
	s_waitcnt vmcnt(1)
	v_cvt_pk_f32_fp8_sdwa v[30:31], v8 src0_sel:WORD_1
	s_waitcnt lgkmcnt(0)
	v_mfma_f32_16x16x16_bf16 v[10:13], v[10:11], v[26:27], v[16:19]
	v_perm_b32 v23, v25, v24, s10
	v_cvt_pk_f32_fp8_sdwa v[24:25], v7 src0_sel:WORD_1
	s_nop 0
	v_cvt_pk_f32_fp8_e32 v[16:17], v6
	v_cvt_pk_f32_fp8_sdwa v[18:19], v6 src0_sel:WORD_1
	v_mfma_f32_16x16x16_bf16 v[10:13], v[22:23], v[28:29], v[10:13]
	v_cvt_pk_f32_fp8_e32 v[22:23], v7
	v_perm_b32 v6, v17, v16, s10
	v_perm_b32 v7, v19, v18, s10
	ds_read_b128 v[16:19], v14 offset:4096
	v_perm_b32 v26, v23, v22, s10
	v_perm_b32 v27, v25, v24, s10
	ds_read_b128 v[22:25], v14 offset:4112
	v_cvt_pk_f32_fp8_e32 v[28:29], v8
	s_waitcnt lgkmcnt(1)
	v_mfma_f32_16x16x16_bf16 v[10:13], v[6:7], v[16:17], v[10:13]
	v_perm_b32 v7, v31, v30, s10
	v_cvt_pk_f32_fp8_e32 v[16:17], v9
	v_perm_b32 v6, v29, v28, s10
	v_mfma_f32_16x16x16_bf16 v[10:13], v[26:27], v[18:19], v[10:13]
	v_cvt_pk_f32_fp8_sdwa v[18:19], v9 src0_sel:WORD_1
	v_perm_b32 v16, v17, v16, s10
	v_perm_b32 v17, v19, v18, s10
	s_waitcnt lgkmcnt(0)
	v_mfma_f32_16x16x16_bf16 v[6:9], v[6:7], v[22:23], v[10:13]
	s_waitcnt vmcnt(0)
	v_cvt_pk_f32_fp8_sdwa v[18:19], v3 src0_sel:WORD_1
	s_nop 0
	v_perm_b32 v23, v19, v18, s10
	v_cvt_pk_f32_fp8_e32 v[10:11], v2
	v_cvt_pk_f32_fp8_sdwa v[12:13], v2 src0_sel:WORD_1
	v_mfma_f32_16x16x16_bf16 v[6:9], v[16:17], v[24:25], v[6:9]
	v_cvt_pk_f32_fp8_e32 v[16:17], v3
	v_perm_b32 v2, v11, v10, s10
	v_perm_b32 v3, v13, v12, s10
	ds_read_b128 v[10:13], v14 offset:6144
	v_perm_b32 v22, v17, v16, s10
	v_cvt_pk_f32_fp8_e32 v[18:19], v4
	v_cvt_pk_f32_fp8_sdwa v[24:25], v4 src0_sel:WORD_1
	s_waitcnt lgkmcnt(0)
	v_mfma_f32_16x16x16_bf16 v[6:9], v[2:3], v[10:11], v[6:9]
	ds_read_b128 v[14:17], v14 offset:6160
	v_perm_b32 v2, v19, v18, s10
	v_perm_b32 v3, v25, v24, s10
	v_cvt_pk_f32_fp8_e32 v[10:11], v5
	v_mfma_f32_16x16x16_bf16 v[6:9], v[22:23], v[12:13], v[6:9]
	v_cvt_pk_f32_fp8_sdwa v[12:13], v5 src0_sel:WORD_1
	s_waitcnt lgkmcnt(0)
	v_perm_b32 v10, v11, v10, s10
	v_mfma_f32_16x16x16_bf16 v[2:5], v[2:3], v[14:15], v[6:9]
	v_perm_b32 v11, v13, v12, s10
	s_barrier
	s_nop 0
	v_mfma_f32_16x16x16_bf16 v[2:5], v[10:11], v[16:17], v[2:5]
	s_nop 6
	v_pk_mul_f32 v[2:3], v[2:3], s[14:15] op_sel_hi:[1,0]
	v_pk_mul_f32 v[4:5], v[4:5], s[14:15] op_sel_hi:[1,0]
	v_bfe_u32 v6, v3, 16, 1
	v_bfe_u32 v7, v2, 16, 1
	v_add3_u32 v2, v2, v7, s12
	v_add3_u32 v3, v3, v6, s12
	v_perm_b32 v2, v3, v2, s10
	v_bfe_u32 v3, v5, 16, 1
	v_bfe_u32 v6, v4, 16, 1
	v_add3_u32 v4, v4, v6, s12
	v_add3_u32 v3, v5, v3, s12
	v_perm_b32 v3, v3, v4, s10
	s_and_b64 s[10:11], s[28:29], vcc
	s_and_b64 s[6:7], s[10:11], s[6:7]
	ds_write_b64 v20, v[2:3]
	s_waitcnt lgkmcnt(0)
	s_barrier
	s_and_saveexec_b64 s[10:11], s[6:7]
	s_cbranch_execz .LBB1124_17
; %bb.16:
	s_load_dwordx2 s[0:1], s[0:1], 0x68
	s_mul_i32 s2, s9, s2
	s_lshl_b32 s8, s8, 6
	s_mul_hi_u32 s7, s2, s8
	s_mul_i32 s6, s2, s8
	s_lshl_b64 s[6:7], s[6:7], 1
	v_lshlrev_b32_e32 v0, 10, v0
	s_waitcnt lgkmcnt(0)
	s_add_u32 s6, s0, s6
	v_and_b32_e32 v0, 0x1800, v0
	v_lshlrev_b32_e32 v2, 5, v40
	v_and_b32_e32 v3, 16, v41
	s_addc_u32 s7, s1, s7
	s_lshl_b32 s2, s5, 6
	v_or3_b32 v0, v0, v2, v3
	s_lshl_b64 s[0:1], s[2:3], 1
	ds_read_b128 v[2:5], v0
	s_add_u32 s2, s6, s0
	s_addc_u32 s3, s7, s1
	s_mul_hi_u32 s1, s8, s4
	s_mul_i32 s0, s8, s4
	s_lshl_b64 s[0:1], s[0:1], 1
	s_add_u32 s0, s2, s0
	s_addc_u32 s1, s3, s1
	s_waitcnt lgkmcnt(0)
	global_store_dwordx4 v1, v[2:5], s[0:1]
.LBB1124_17:
	s_endpgm
	.section	.rodata,"a",@progbits
	.p2align	6, 0x0
	.amdhsa_kernel _Z39paged_attention_ll4mi_QKV_mfma16_kernelI14__hip_bfloat16hLN4vllm18Fp8KVCacheDataTypeE1EhLi16ELi64ELi256ELb0ELi1EEvPKT_PKT0_S8_ifPKiSA_SA_iPKfiiiPfSD_PS3_PT2_iSC_SC_
		.amdhsa_group_segment_fixed_size 8192
		.amdhsa_private_segment_fixed_size 0
		.amdhsa_kernarg_size 400
		.amdhsa_user_sgpr_count 2
		.amdhsa_user_sgpr_dispatch_ptr 0
		.amdhsa_user_sgpr_queue_ptr 0
		.amdhsa_user_sgpr_kernarg_segment_ptr 1
		.amdhsa_user_sgpr_dispatch_id 0
		.amdhsa_user_sgpr_kernarg_preload_length 0
		.amdhsa_user_sgpr_kernarg_preload_offset 0
		.amdhsa_user_sgpr_private_segment_size 0
		.amdhsa_uses_dynamic_stack 0
		.amdhsa_enable_private_segment 0
		.amdhsa_system_sgpr_workgroup_id_x 1
		.amdhsa_system_sgpr_workgroup_id_y 1
		.amdhsa_system_sgpr_workgroup_id_z 1
		.amdhsa_system_sgpr_workgroup_info 0
		.amdhsa_system_vgpr_workitem_id 0
		.amdhsa_next_free_vgpr 59
		.amdhsa_next_free_sgpr 49
		.amdhsa_accum_offset 60
		.amdhsa_reserve_vcc 1
		.amdhsa_float_round_mode_32 0
		.amdhsa_float_round_mode_16_64 0
		.amdhsa_float_denorm_mode_32 3
		.amdhsa_float_denorm_mode_16_64 3
		.amdhsa_dx10_clamp 1
		.amdhsa_ieee_mode 1
		.amdhsa_fp16_overflow 0
		.amdhsa_tg_split 0
		.amdhsa_exception_fp_ieee_invalid_op 0
		.amdhsa_exception_fp_denorm_src 0
		.amdhsa_exception_fp_ieee_div_zero 0
		.amdhsa_exception_fp_ieee_overflow 0
		.amdhsa_exception_fp_ieee_underflow 0
		.amdhsa_exception_fp_ieee_inexact 0
		.amdhsa_exception_int_div_zero 0
	.end_amdhsa_kernel
	.section	.text._Z39paged_attention_ll4mi_QKV_mfma16_kernelI14__hip_bfloat16hLN4vllm18Fp8KVCacheDataTypeE1EhLi16ELi64ELi256ELb0ELi1EEvPKT_PKT0_S8_ifPKiSA_SA_iPKfiiiPfSD_PS3_PT2_iSC_SC_,"axG",@progbits,_Z39paged_attention_ll4mi_QKV_mfma16_kernelI14__hip_bfloat16hLN4vllm18Fp8KVCacheDataTypeE1EhLi16ELi64ELi256ELb0ELi1EEvPKT_PKT0_S8_ifPKiSA_SA_iPKfiiiPfSD_PS3_PT2_iSC_SC_,comdat
.Lfunc_end1124:
	.size	_Z39paged_attention_ll4mi_QKV_mfma16_kernelI14__hip_bfloat16hLN4vllm18Fp8KVCacheDataTypeE1EhLi16ELi64ELi256ELb0ELi1EEvPKT_PKT0_S8_ifPKiSA_SA_iPKfiiiPfSD_PS3_PT2_iSC_SC_, .Lfunc_end1124-_Z39paged_attention_ll4mi_QKV_mfma16_kernelI14__hip_bfloat16hLN4vllm18Fp8KVCacheDataTypeE1EhLi16ELi64ELi256ELb0ELi1EEvPKT_PKT0_S8_ifPKiSA_SA_iPKfiiiPfSD_PS3_PT2_iSC_SC_
                                        ; -- End function
	.section	.AMDGPU.csdata,"",@progbits
; Kernel info:
; codeLenInByte = 4700
; NumSgprs: 55
; NumVgprs: 59
; NumAgprs: 0
; TotalNumVgprs: 59
; ScratchSize: 0
; MemoryBound: 0
; FloatMode: 240
; IeeeMode: 1
; LDSByteSize: 8192 bytes/workgroup (compile time only)
; SGPRBlocks: 6
; VGPRBlocks: 7
; NumSGPRsForWavesPerEU: 55
; NumVGPRsForWavesPerEU: 59
; AccumOffset: 60
; Occupancy: 8
; WaveLimiterHint : 1
; COMPUTE_PGM_RSRC2:SCRATCH_EN: 0
; COMPUTE_PGM_RSRC2:USER_SGPR: 2
; COMPUTE_PGM_RSRC2:TRAP_HANDLER: 0
; COMPUTE_PGM_RSRC2:TGID_X_EN: 1
; COMPUTE_PGM_RSRC2:TGID_Y_EN: 1
; COMPUTE_PGM_RSRC2:TGID_Z_EN: 1
; COMPUTE_PGM_RSRC2:TIDIG_COMP_CNT: 0
; COMPUTE_PGM_RSRC3_GFX90A:ACCUM_OFFSET: 14
; COMPUTE_PGM_RSRC3_GFX90A:TG_SPLIT: 0
	.section	.text._Z39paged_attention_ll4mi_QKV_mfma16_kernelI14__hip_bfloat16hLN4vllm18Fp8KVCacheDataTypeE1EhLi16ELi64ELi256ELb0ELi2EEvPKT_PKT0_S8_ifPKiSA_SA_iPKfiiiPfSD_PS3_PT2_iSC_SC_,"axG",@progbits,_Z39paged_attention_ll4mi_QKV_mfma16_kernelI14__hip_bfloat16hLN4vllm18Fp8KVCacheDataTypeE1EhLi16ELi64ELi256ELb0ELi2EEvPKT_PKT0_S8_ifPKiSA_SA_iPKfiiiPfSD_PS3_PT2_iSC_SC_,comdat
	.protected	_Z39paged_attention_ll4mi_QKV_mfma16_kernelI14__hip_bfloat16hLN4vllm18Fp8KVCacheDataTypeE1EhLi16ELi64ELi256ELb0ELi2EEvPKT_PKT0_S8_ifPKiSA_SA_iPKfiiiPfSD_PS3_PT2_iSC_SC_ ; -- Begin function _Z39paged_attention_ll4mi_QKV_mfma16_kernelI14__hip_bfloat16hLN4vllm18Fp8KVCacheDataTypeE1EhLi16ELi64ELi256ELb0ELi2EEvPKT_PKT0_S8_ifPKiSA_SA_iPKfiiiPfSD_PS3_PT2_iSC_SC_
	.globl	_Z39paged_attention_ll4mi_QKV_mfma16_kernelI14__hip_bfloat16hLN4vllm18Fp8KVCacheDataTypeE1EhLi16ELi64ELi256ELb0ELi2EEvPKT_PKT0_S8_ifPKiSA_SA_iPKfiiiPfSD_PS3_PT2_iSC_SC_
	.p2align	8
	.type	_Z39paged_attention_ll4mi_QKV_mfma16_kernelI14__hip_bfloat16hLN4vllm18Fp8KVCacheDataTypeE1EhLi16ELi64ELi256ELb0ELi2EEvPKT_PKT0_S8_ifPKiSA_SA_iPKfiiiPfSD_PS3_PT2_iSC_SC_,@function
_Z39paged_attention_ll4mi_QKV_mfma16_kernelI14__hip_bfloat16hLN4vllm18Fp8KVCacheDataTypeE1EhLi16ELi64ELi256ELb0ELi2EEvPKT_PKT0_S8_ifPKiSA_SA_iPKfiiiPfSD_PS3_PT2_iSC_SC_: ; @_Z39paged_attention_ll4mi_QKV_mfma16_kernelI14__hip_bfloat16hLN4vllm18Fp8KVCacheDataTypeE1EhLi16ELi64ELi256ELb0ELi2EEvPKT_PKT0_S8_ifPKiSA_SA_iPKfiiiPfSD_PS3_PT2_iSC_SC_
; %bb.0:
	s_load_dwordx2 s[12:13], s[0:1], 0x30
	s_mov_b32 s28, s3
	s_mov_b64 s[6:7], 0
	s_waitcnt lgkmcnt(0)
	s_cmp_lg_u64 s[12:13], 0
	s_cselect_b64 s[14:15], -1, 0
	s_and_b64 vcc, exec, s[14:15]
	s_cbranch_vccz .LBB1125_7
; %bb.1:
	s_add_i32 s8, s2, 1
	s_mov_b32 s9, 0
	s_lshl_b64 s[10:11], s[8:9], 2
	s_add_u32 s10, s12, s10
	s_mov_b32 s3, s9
	s_addc_u32 s11, s13, s11
	s_lshl_b64 s[8:9], s[2:3], 2
	s_add_u32 s8, s12, s8
	s_addc_u32 s9, s13, s9
	s_load_dword s5, s[10:11], 0x0
	s_load_dword s16, s[8:9], 0x0
	s_waitcnt lgkmcnt(0)
	s_sub_i32 s5, s5, s16
	s_cmp_eq_u32 s5, 1
	s_cselect_b64 s[8:9], -1, 0
	s_andn2_b64 vcc, exec, s[6:7]
	s_cbranch_vccnz .LBB1125_3
.LBB1125_2:
	s_mov_b32 s3, 0
	s_mov_b64 s[8:9], -1
.LBB1125_3:
	s_andn2_b64 vcc, exec, s[8:9]
	s_cbranch_vccnz .LBB1125_17
; %bb.4:
	s_load_dwordx2 s[6:7], s[0:1], 0x28
	s_lshl_b64 s[16:17], s[2:3], 2
	s_waitcnt lgkmcnt(0)
	s_add_u32 s6, s6, s16
	s_addc_u32 s7, s7, s17
	s_load_dword s48, s[6:7], 0x0
	s_lshl_b32 s5, s28, 8
	s_waitcnt lgkmcnt(0)
	s_cmp_ge_i32 s5, s48
	s_cbranch_scc1 .LBB1125_17
; %bb.5:
	s_load_dwordx2 s[6:7], s[0:1], 0x20
	s_load_dword s8, s[0:1], 0x38
	s_add_i32 s9, s48, 15
	s_ashr_i32 s10, s9, 31
	v_and_b32_e32 v1, 0xcf, v0
	s_lshr_b32 s10, s10, 28
	v_add_u32_e32 v1, s5, v1
	s_add_i32 s9, s9, s10
	v_ashrrev_i32_e32 v2, 31, v1
	s_ashr_i32 s18, s9, 4
	v_lshrrev_b32_e32 v4, 28, v2
	s_add_i32 s18, s18, -1
	s_waitcnt lgkmcnt(0)
	s_mul_i32 s8, s2, s8
	s_mov_b32 s9, 0
	v_add_u32_e32 v2, v1, v4
	s_lshl_b64 s[8:9], s[8:9], 2
	v_ashrrev_i32_e32 v2, 4, v2
	v_mov_b32_e32 v5, s18
	v_cmp_gt_i32_e32 vcc, s48, v1
	s_add_u32 s6, s6, s8
	s_addc_u32 s7, s7, s9
	v_cndmask_b32_e32 v2, v5, v2, vcc
	v_ashrrev_i32_e32 v3, 31, v2
	v_lshl_add_u64 v[6:7], v[2:3], 2, s[6:7]
	v_or_b32_e32 v2, 16, v1
	v_add_u32_e32 v3, v2, v4
	v_ashrrev_i32_e32 v3, 4, v3
	v_cmp_gt_i32_e32 vcc, s48, v2
	s_load_dwordx4 s[8:11], s[0:1], 0x8
	s_nop 0
	v_cndmask_b32_e32 v2, v5, v3, vcc
	v_ashrrev_i32_e32 v3, 31, v2
	v_lshl_add_u64 v[8:9], v[2:3], 2, s[6:7]
	v_or_b32_e32 v2, 32, v1
	v_add_u32_e32 v3, v2, v4
	v_ashrrev_i32_e32 v3, 4, v3
	v_cmp_gt_i32_e32 vcc, s48, v2
	v_or_b32_e32 v1, 48, v1
	s_nop 0
	v_cndmask_b32_e32 v2, v5, v3, vcc
	v_ashrrev_i32_e32 v3, 31, v2
	v_lshl_add_u64 v[10:11], v[2:3], 2, s[6:7]
	v_add_u32_e32 v2, v1, v4
	v_ashrrev_i32_e32 v2, 4, v2
	v_cmp_gt_i32_e32 vcc, s48, v1
	s_nop 1
	v_cndmask_b32_e32 v2, v5, v2, vcc
	v_ashrrev_i32_e32 v3, 31, v2
	v_lshl_add_u64 v[12:13], v[2:3], 2, s[6:7]
	global_load_dword v4, v[6:7], off
	global_load_dword v3, v[8:9], off
	;; [unrolled: 1-line block ×4, first 2 shown]
	s_andn2_b64 vcc, exec, s[14:15]
	s_cbranch_vccnz .LBB1125_8
; %bb.6:
	s_add_u32 s12, s12, s16
	s_addc_u32 s13, s13, s17
	s_load_dword s14, s[12:13], 0x0
	s_branch .LBB1125_9
.LBB1125_7:
	s_mov_b64 s[8:9], 0
	s_branch .LBB1125_2
.LBB1125_8:
	s_mov_b32 s14, s2
.LBB1125_9:
	s_load_dwordx4 s[44:47], s[0:1], 0x48
	v_lshrrev_b32_e32 v42, 6, v0
	v_bfe_u32 v1, v0, 4, 2
	v_lshl_or_b32 v5, v42, 2, v1
	v_and_b32_e32 v43, 15, v0
	v_lshlrev_b32_e32 v6, 3, v43
	v_cmp_gt_u32_e32 vcc, 2, v5
	v_cmp_gt_u32_e64 s[30:31], 8, v43
	v_and_b32_e32 v41, 63, v0
	s_lshl_b32 s29, s4, 1
	s_and_b64 s[16:17], s[30:31], vcc
	v_lshlrev_b32_e32 v26, 1, v6
	v_lshlrev_b32_e32 v40, 4, v0
	s_and_saveexec_b64 s[12:13], s[16:17]
	s_cbranch_execz .LBB1125_11
; %bb.10:
	s_load_dwordx2 s[16:17], s[0:1], 0x0
	s_waitcnt lgkmcnt(0)
	s_ashr_i32 s15, s44, 31
	s_mul_hi_u32 s19, s14, s44
	s_mul_i32 s15, s14, s15
	s_add_i32 s15, s19, s15
	s_mul_i32 s14, s14, s44
	s_lshl_b64 s[14:15], s[14:15], 1
	s_add_u32 s14, s16, s14
	v_add_lshl_u32 v6, v1, s29, 6
	s_addc_u32 s15, s17, s15
	v_ashrrev_i32_e32 v7, 31, v6
	v_lshl_add_u64 v[6:7], v[6:7], 1, s[14:15]
	v_mov_b32_e32 v27, 0
	v_lshl_add_u64 v[6:7], v[6:7], 0, v[26:27]
	global_load_dwordx4 v[6:9], v[6:7], off
	v_lshlrev_b32_e32 v11, 8, v43
	v_lshlrev_b32_e32 v5, 5, v5
	v_and_b32_e32 v10, 16, v40
	v_and_b32_e32 v11, 0xe00, v11
	v_or3_b32 v5, v11, v5, v10
	s_waitcnt vmcnt(0)
	ds_write_b128 v5, v[6:9]
.LBB1125_11:
	s_or_b64 exec, exec, s[12:13]
	s_waitcnt lgkmcnt(0)
	s_mul_i32 s4, s4, s46
	s_add_u32 s8, s8, s4
	s_addc_u32 s9, s9, 0
	v_and_b32_e32 v8, 48, v0
	v_and_b32_e32 v28, 0xf0, v40
	v_mov_b32_e32 v29, 0
	v_lshl_add_u64 v[6:7], s[8:9], 0, v[28:29]
	v_lshlrev_b32_e32 v28, 4, v8
	v_lshl_add_u64 v[18:19], v[6:7], 0, v[28:29]
	s_waitcnt vmcnt(3)
	v_mad_i64_i32 v[4:5], s[8:9], v4, s45, v[18:19]
	s_load_dword s33, s[0:1], 0x98
	s_load_dwordx4 s[40:43], s[0:1], 0x80
	s_waitcnt lgkmcnt(0)
	s_barrier
	global_load_dwordx4 v[22:25], v[4:5], off
	s_waitcnt vmcnt(3)
	v_mad_i64_i32 v[4:5], s[8:9], v3, s45, v[18:19]
	global_load_dwordx4 v[10:13], v[4:5], off
	v_or_b32_e32 v6, s5, v8
	v_mov_b32_e32 v27, s18
	v_ashrrev_i32_e32 v3, 4, v6
	v_cmp_gt_i32_e32 vcc, s48, v6
	v_and_b32_e32 v7, 1, v0
	v_lshlrev_b32_e32 v7, 5, v7
	v_cndmask_b32_e32 v4, v27, v3, vcc
	v_ashrrev_i32_e32 v5, 31, v4
	v_lshl_add_u64 v[4:5], v[4:5], 2, s[6:7]
	s_waitcnt vmcnt(3)
	v_mad_i64_i32 v[2:3], s[8:9], v2, s45, v[18:19]
	global_load_dword v56, v[4:5], off
	v_lshl_or_b32 v7, v1, 9, v7
	global_load_dwordx4 v[2:5], v[2:3], off
	v_or_b32_e32 v21, 64, v6
	s_waitcnt vmcnt(4)
	v_mad_i64_i32 v[18:19], s[12:13], v20, s45, v[18:19]
	v_or_b32_e32 v31, 0x80, v6
	v_or_b32_e32 v33, 0xc0, v6
	ds_read_b128 v[14:17], v7
	ds_read_b128 v[6:9], v7 offset:16
	v_ashrrev_i32_e32 v30, 4, v21
	v_cmp_gt_i32_e32 vcc, s48, v21
	global_load_dwordx4 v[18:21], v[18:19], off
	v_ashrrev_i32_e32 v32, 4, v31
	v_cndmask_b32_e32 v30, v27, v30, vcc
	v_cmp_gt_i32_e32 vcc, s48, v31
	v_ashrrev_i32_e32 v34, 4, v33
	v_ashrrev_i32_e32 v31, 31, v30
	v_cndmask_b32_e32 v32, v27, v32, vcc
	v_cmp_gt_i32_e32 vcc, s48, v33
	v_ashrrev_i32_e32 v33, 31, v32
	v_lshl_add_u64 v[30:31], v[30:31], 2, s[6:7]
	v_cndmask_b32_e32 v34, v27, v34, vcc
	v_ashrrev_i32_e32 v35, 31, v34
	v_lshl_add_u64 v[34:35], v[34:35], 2, s[6:7]
	s_add_u32 s8, s10, s4
	s_load_dword s4, s[40:41], 0x0
	v_lshl_add_u64 v[36:37], v[32:33], 2, s[6:7]
	global_load_dword v33, v[30:31], off
	global_load_dword v27, v[36:37], off
	;; [unrolled: 1-line block ×3, first 2 shown]
	s_mov_b32 s44, 0x7060302
	s_load_dword s14, s[0:1], 0x1c
	s_mov_b32 s46, 0xff7fffff
	v_lshlrev_b32_e32 v28, 4, v43
	s_addc_u32 s9, s11, 0
	v_lshl_or_b32 v28, v42, 8, v28
	s_waitcnt lgkmcnt(0)
	v_mov_b32_e32 v57, s14
	v_lshl_add_u64 v[28:29], s[8:9], 0, v[28:29]
	s_waitcnt vmcnt(7)
	v_cvt_pk_f32_fp8_e32 v[30:31], v22
	v_cvt_pk_f32_fp8_sdwa v[34:35], v22 src0_sel:WORD_1
	v_cvt_pk_f32_fp8_e32 v[36:37], v23
	v_cvt_pk_f32_fp8_sdwa v[38:39], v23 src0_sel:WORD_1
	v_perm_b32 v30, v31, v30, s44
	v_perm_b32 v31, v35, v34, s44
	s_waitcnt vmcnt(6)
	v_cvt_pk_f32_fp8_e32 v[22:23], v10
	v_cvt_pk_f32_fp8_sdwa v[50:51], v10 src0_sel:WORD_1
	v_cvt_pk_f32_fp8_e32 v[44:45], v24
	v_cvt_pk_f32_fp8_sdwa v[46:47], v24 src0_sel:WORD_1
	;; [unrolled: 2-line block ×3, first 2 shown]
	v_perm_b32 v34, v23, v22, s44
	v_mfma_f32_16x16x16_bf16 v[22:25], v[30:31], v[14:15], 0
	v_perm_b32 v30, v37, v36, s44
	v_perm_b32 v31, v39, v38, s44
	v_cvt_pk_f32_fp8_e32 v[54:55], v11
	v_perm_b32 v35, v51, v50, s44
	v_cvt_pk_f32_fp8_sdwa v[10:11], v11 src0_sel:WORD_1
	v_mfma_f32_16x16x16_bf16 v[22:25], v[30:31], v[16:17], v[22:25]
	v_perm_b32 v50, v55, v54, s44
	v_perm_b32 v51, v11, v10, s44
	;; [unrolled: 1-line block ×4, first 2 shown]
	v_mfma_f32_16x16x16_bf16 v[34:37], v[34:35], v[14:15], 0
	v_cvt_pk_f32_fp8_e32 v[38:39], v12
	v_cvt_pk_f32_fp8_sdwa v[10:11], v12 src0_sel:WORD_1
	v_perm_b32 v44, v49, v48, s44
	v_mfma_f32_16x16x16_bf16 v[34:37], v[50:51], v[16:17], v[34:37]
	v_cvt_pk_f32_fp8_e32 v[50:51], v13
	v_perm_b32 v45, v53, v52, s44
	v_cvt_pk_f32_fp8_sdwa v[12:13], v13 src0_sel:WORD_1
	v_mfma_f32_16x16x16_bf16 v[22:25], v[30:31], v[6:7], v[22:25]
	v_perm_b32 v30, v39, v38, s44
	v_perm_b32 v31, v11, v10, s44
	;; [unrolled: 1-line block ×4, first 2 shown]
	v_mfma_f32_16x16x16_bf16 v[44:47], v[44:45], v[8:9], v[22:25]
	s_waitcnt vmcnt(4)
	v_cvt_pk_f32_fp8_e32 v[12:13], v2
	v_cvt_pk_f32_fp8_sdwa v[48:49], v4 src0_sel:WORD_1
	v_mul_f32_e32 v50, s4, v57
	v_mfma_f32_16x16x16_bf16 v[22:25], v[30:31], v[6:7], v[34:37]
	v_cvt_pk_f32_fp8_sdwa v[30:31], v2 src0_sel:WORD_1
	v_perm_b32 v12, v13, v12, s44
	v_mad_i64_i32 v[10:11], s[6:7], v56, s45, v[28:29]
	v_mfma_f32_16x16x16_bf16 v[36:39], v[38:39], v[8:9], v[22:25]
	v_perm_b32 v13, v31, v30, s44
	v_cvt_pk_f32_fp8_e32 v[34:35], v4
	s_nop 0
	v_cvt_pk_f32_fp8_e32 v[22:23], v3
	v_cvt_pk_f32_fp8_sdwa v[2:3], v3 src0_sel:WORD_1
	v_perm_b32 v30, v23, v22, s44
	v_perm_b32 v31, v3, v2, s44
	v_mfma_f32_16x16x16_bf16 v[22:25], v[12:13], v[14:15], 0
	v_perm_b32 v12, v35, v34, s44
	v_perm_b32 v13, v49, v48, s44
	v_cvt_pk_f32_fp8_e32 v[34:35], v5
	v_cvt_pk_f32_fp8_sdwa v[48:49], v5 src0_sel:WORD_1
	v_mfma_f32_16x16x16_bf16 v[2:5], v[30:31], v[16:17], v[22:25]
	s_waitcnt vmcnt(3)
	v_cvt_pk_f32_fp8_sdwa v[30:31], v20 src0_sel:WORD_1
	s_nop 0
	v_perm_b32 v24, v35, v34, s44
	v_perm_b32 v25, v49, v48, s44
	v_pk_mul_f32 v[22:23], v[50:51], v[46:47] op_sel_hi:[0,1]
	v_mfma_f32_16x16x16_bf16 v[46:49], v[12:13], v[6:7], v[2:5]
	v_cvt_pk_f32_fp8_sdwa v[12:13], v18 src0_sel:WORD_1
	v_pk_mul_f32 v[34:35], v[50:51], v[38:39] op_sel_hi:[0,1]
	v_pk_mul_f32 v[38:39], v[50:51], v[36:37] op_sel_hi:[0,1]
	v_cvt_pk_f32_fp8_e32 v[4:5], v18
	v_pk_mul_f32 v[2:3], v[50:51], v[44:45] op_sel_hi:[0,1]
	v_mfma_f32_16x16x16_bf16 v[44:47], v[24:25], v[8:9], v[46:49]
	v_cvt_pk_f32_fp8_e32 v[24:25], v19
	v_perm_b32 v4, v5, v4, s44
	v_perm_b32 v5, v13, v12, s44
	v_cvt_pk_f32_fp8_sdwa v[12:13], v19 src0_sel:WORD_1
	v_perm_b32 v18, v25, v24, s44
	v_cvt_pk_f32_fp8_e32 v[24:25], v20
	s_nop 0
	v_pk_mul_f32 v[36:37], v[50:51], v[44:45] op_sel_hi:[0,1]
	v_perm_b32 v19, v13, v12, s44
	v_mfma_f32_16x16x16_bf16 v[12:15], v[4:5], v[14:15], 0
	v_perm_b32 v4, v25, v24, s44
	v_perm_b32 v5, v31, v30, s44
	v_cvt_pk_f32_fp8_e32 v[24:25], v21
	v_cvt_pk_f32_fp8_sdwa v[20:21], v21 src0_sel:WORD_1
	v_mfma_f32_16x16x16_bf16 v[12:15], v[18:19], v[16:17], v[12:15]
	v_pk_mul_f32 v[30:31], v[50:51], v[46:47] op_sel_hi:[0,1]
	v_perm_b32 v16, v25, v24, s44
	v_perm_b32 v17, v21, v20, s44
	v_mfma_f32_16x16x16_bf16 v[4:7], v[4:5], v[6:7], v[12:15]
	s_nop 0
	v_mfma_f32_16x16x16_bf16 v[4:7], v[16:17], v[8:9], v[4:7]
	s_nop 6
	v_pk_mul_f32 v[24:25], v[50:51], v[4:5] op_sel_hi:[0,1]
	v_and_b32_e32 v4, 0xc0, v0
	v_add_u32_e32 v4, s5, v4
	v_lshl_or_b32 v4, v1, 2, v4
	v_pk_mul_f32 v[18:19], v[50:51], v[6:7] op_sel_hi:[0,1]
	v_or_b32_e32 v7, 1, v4
	v_mov_b32_e32 v5, 0xff7fffff
	v_cmp_gt_i32_e64 s[4:5], s48, v4
	v_cmp_gt_i32_e64 s[34:35], s48, v7
	v_or_b32_e32 v8, 3, v4
	v_cndmask_b32_e64 v6, v5, v2, s[4:5]
	v_cndmask_b32_e64 v7, v5, v3, s[34:35]
	v_max3_f32 v6, v6, s46, v7
	v_or_b32_e32 v7, 2, v4
	v_cmp_gt_i32_e64 s[36:37], s48, v7
	v_cmp_gt_i32_e64 s[38:39], s48, v8
	s_nop 0
	v_cndmask_b32_e64 v7, v5, v22, s[36:37]
	v_cndmask_b32_e64 v8, v5, v23, s[38:39]
	v_max3_f32 v6, v6, v7, v8
	v_or_b32_e32 v7, 16, v4
	v_or_b32_e32 v8, 17, v4
	v_cmp_gt_i32_e64 s[24:25], s48, v7
	v_cmp_gt_i32_e64 s[26:27], s48, v8
	s_nop 0
	v_cndmask_b32_e64 v7, v5, v38, s[24:25]
	v_cndmask_b32_e64 v8, v5, v39, s[26:27]
	v_max3_f32 v6, v6, v7, v8
	v_or_b32_e32 v7, 18, v4
	;; [unrolled: 8-line block ×6, first 2 shown]
	v_or_b32_e32 v4, 51, v4
	v_cmp_gt_i32_e32 vcc, s48, v7
	v_cmp_gt_i32_e64 s[6:7], s48, v4
	s_nop 0
	v_cndmask_b32_e32 v7, v5, v18, vcc
	v_cndmask_b32_e64 v4, v5, v19, s[6:7]
	v_max3_f32 v6, v6, v7, v4
	v_mbcnt_lo_u32_b32 v4, -1, 0
	v_mbcnt_hi_u32_b32 v7, -1, v4
	v_and_b32_e32 v4, 64, v7
	v_add_u32_e32 v8, 64, v4
	v_xor_b32_e32 v4, 32, v7
	v_cmp_lt_i32_e64 s[40:41], v4, v8
	s_nop 1
	v_cndmask_b32_e64 v4, v7, v4, s[40:41]
	v_lshlrev_b32_e32 v44, 2, v4
	ds_bpermute_b32 v9, v44, v6
	s_waitcnt vmcnt(2)
	v_mad_i64_i32 v[4:5], s[40:41], v33, s45, v[28:29]
	global_load_dwordx4 v[14:17], v[10:11], off
	s_nop 0
	global_load_dwordx4 v[10:13], v[4:5], off
	v_xor_b32_e32 v5, 16, v7
	v_cmp_lt_i32_e64 s[40:41], v5, v8
	s_waitcnt lgkmcnt(0)
	v_max_f32_e32 v4, v9, v9
	v_max_f32_e32 v4, v6, v4
	v_cndmask_b32_e64 v5, v7, v5, s[40:41]
	v_lshlrev_b32_e32 v45, 2, v5
	ds_bpermute_b32 v5, v45, v4
	s_waitcnt vmcnt(3)
	v_mad_i64_i32 v[20:21], s[40:41], v27, s45, v[28:29]
	s_waitcnt vmcnt(2)
	v_mad_i64_i32 v[28:29], s[40:41], v32, s45, v[28:29]
	s_waitcnt lgkmcnt(0)
	v_max_f32_e32 v5, v5, v5
	v_max_f32_e32 v27, v4, v5
	v_sub_f32_e32 v2, v2, v27
	v_mul_f32_e32 v2, 0x3fb8aa3b, v2
	v_exp_f32_e32 v32, v2
	v_sub_f32_e32 v2, v3, v27
	v_mul_f32_e32 v2, 0x3fb8aa3b, v2
	v_exp_f32_e32 v33, v2
	global_load_dwordx4 v[6:9], v[20:21], off
	global_load_dwordx4 v[2:5], v[28:29], off
	v_sub_f32_e32 v22, v22, v27
	v_mul_f32_e32 v22, 0x3fb8aa3b, v22
	v_sub_f32_e32 v23, v23, v27
	v_exp_f32_e32 v22, v22
	v_mul_f32_e32 v23, 0x3fb8aa3b, v23
	v_exp_f32_e32 v23, v23
	v_cndmask_b32_e64 v20, 0, v32, s[4:5]
	v_add_f32_e32 v28, 0, v20
	v_cndmask_b32_e64 v21, 0, v33, s[34:35]
	v_add_f32_e32 v28, v28, v21
	;; [unrolled: 2-line block ×3, first 2 shown]
	v_cndmask_b32_e64 v33, 0, v23, s[38:39]
	v_sub_f32_e32 v23, v38, v27
	v_sub_f32_e32 v28, v39, v27
	v_mul_f32_e32 v23, 0x3fb8aa3b, v23
	v_mul_f32_e32 v28, 0x3fb8aa3b, v28
	v_exp_f32_e32 v23, v23
	v_exp_f32_e32 v28, v28
	v_add_f32_e32 v29, v22, v33
	v_sub_f32_e32 v30, v30, v27
	v_cndmask_b32_e64 v22, 0, v23, s[24:25]
	v_cndmask_b32_e64 v23, 0, v28, s[26:27]
	v_sub_f32_e32 v28, v34, v27
	v_mul_f32_e32 v28, 0x3fb8aa3b, v28
	v_exp_f32_e32 v28, v28
	v_sub_f32_e32 v34, v35, v27
	v_add_f32_e32 v29, v29, v22
	v_mul_f32_e32 v34, 0x3fb8aa3b, v34
	v_exp_f32_e32 v35, v34
	v_add_f32_e32 v29, v29, v23
	v_cndmask_b32_e64 v34, 0, v28, s[20:21]
	v_add_f32_e32 v28, v29, v34
	v_sub_f32_e32 v29, v36, v27
	v_mul_f32_e32 v29, 0x3fb8aa3b, v29
	v_sub_f32_e32 v36, v37, v27
	v_exp_f32_e32 v29, v29
	v_mul_f32_e32 v36, 0x3fb8aa3b, v36
	v_exp_f32_e32 v36, v36
	v_mul_f32_e32 v30, 0x3fb8aa3b, v30
	v_sub_f32_e32 v31, v31, v27
	v_exp_f32_e32 v30, v30
	v_mul_f32_e32 v31, 0x3fb8aa3b, v31
	v_sub_f32_e32 v24, v24, v27
	v_cndmask_b32_e64 v35, 0, v35, s[22:23]
	v_exp_f32_e32 v31, v31
	v_mul_f32_e32 v24, 0x3fb8aa3b, v24
	v_sub_f32_e32 v25, v25, v27
	v_add_f32_e32 v37, v28, v35
	v_cndmask_b32_e64 v28, 0, v29, s[16:17]
	v_exp_f32_e32 v24, v24
	v_mul_f32_e32 v25, 0x3fb8aa3b, v25
	v_sub_f32_e32 v18, v18, v27
	v_add_f32_e32 v37, v37, v28
	;; [unrolled: 5-line block ×3, first 2 shown]
	v_cndmask_b32_e64 v30, 0, v30, s[12:13]
	v_exp_f32_e32 v18, v18
	v_mul_f32_e32 v19, 0x3fb8aa3b, v19
	v_add_f32_e32 v36, v36, v30
	v_cndmask_b32_e64 v31, 0, v31, s[14:15]
	v_exp_f32_e32 v19, v19
	v_add_f32_e32 v36, v36, v31
	v_cndmask_b32_e64 v24, 0, v24, s[8:9]
	v_add_f32_e32 v36, v36, v24
	v_cndmask_b32_e64 v25, 0, v25, s[10:11]
	v_add_f32_e32 v36, v36, v25
	v_cndmask_b32_e32 v18, 0, v18, vcc
	v_add_f32_e32 v36, v36, v18
	v_cndmask_b32_e64 v19, 0, v19, s[6:7]
	v_add_f32_e32 v36, v36, v19
	ds_bpermute_b32 v37, v44, v36
	v_cmp_gt_u32_e32 vcc, 16, v41
	s_waitcnt lgkmcnt(0)
	s_barrier
	v_add_f32_e32 v37, v36, v37
	ds_bpermute_b32 v38, v45, v37
	v_lshlrev_b32_e32 v36, 2, v43
	s_and_saveexec_b64 s[4:5], vcc
	s_cbranch_execz .LBB1125_13
; %bb.12:
	s_waitcnt lgkmcnt(0)
	v_add_f32_e32 v37, v37, v38
	v_lshl_or_b32 v38, v42, 6, v36
	ds_write2st64_b32 v38, v27, v37 offset1:1
.LBB1125_13:
	s_or_b64 exec, exec, s[4:5]
	s_load_dword s6, s[0:1], 0x94
	s_waitcnt lgkmcnt(0)
	s_barrier
	ds_read2_b32 v[38:39], v36 offset1:16
	ds_read2_b32 v[44:45], v36 offset0:32 offset1:48
	ds_read2_b32 v[46:47], v36 offset0:64 offset1:80
	s_movk_i32 s8, 0x7fff
	s_lshl_b32 s7, s33, 1
	s_waitcnt lgkmcnt(2)
	v_max3_f32 v27, v38, s46, v39
	s_waitcnt lgkmcnt(1)
	v_max3_f32 v27, v27, v44, v45
	v_sub_f32_e32 v37, v38, v27
	v_sub_f32_e32 v38, v39, v27
	v_mul_f32_e32 v38, 0x3fb8aa3b, v38
	v_mul_f32_e32 v37, 0x3fb8aa3b, v37
	v_exp_f32_e32 v48, v38
	v_sub_f32_e32 v38, v44, v27
	v_exp_f32_e32 v37, v37
	v_mul_f32_e32 v38, 0x3fb8aa3b, v38
	v_exp_f32_e32 v44, v38
	ds_read2_b32 v[38:39], v36 offset0:96 offset1:112
	v_sub_f32_e32 v36, v45, v27
	v_mul_f32_e32 v36, 0x3fb8aa3b, v36
	v_exp_f32_e32 v45, v36
	s_waitcnt lgkmcnt(1)
	v_fma_f32 v36, v37, v46, 0
	v_fmac_f32_e32 v36, v48, v47
	s_waitcnt lgkmcnt(0)
	v_fmac_f32_e32 v36, v44, v38
	v_fmac_f32_e32 v36, v45, v39
	v_add_f32_e32 v38, 0x358637bd, v36
	v_div_scale_f32 v39, s[4:5], v38, v38, 1.0
	v_rcp_f32_e32 v46, v39
	s_barrier
	v_fma_f32 v47, -v39, v46, 1.0
	v_fmac_f32_e32 v46, v47, v46
	v_div_scale_f32 v47, vcc, 1.0, v38, 1.0
	v_mul_f32_e32 v49, v47, v46
	v_fma_f32 v50, -v39, v49, v47
	v_fmac_f32_e32 v49, v50, v46
	v_fma_f32 v39, -v39, v49, v47
	v_div_fmas_f32 v39, v39, v46, v49
	v_cmp_eq_u32_e32 vcc, 1, v42
	v_div_fixup_f32 v38, v39, v38, 1.0
	s_nop 0
	v_cndmask_b32_e32 v37, v37, v48, vcc
	v_cmp_eq_u32_e32 vcc, 2, v42
	s_nop 1
	v_cndmask_b32_e32 v37, v37, v44, vcc
	v_cmp_eq_u32_e32 vcc, 3, v42
	s_nop 1
	v_cndmask_b32_e32 v37, v37, v45, vcc
	v_mul_f32_e32 v38, v37, v38
	v_pk_mul_f32 v[20:21], v[38:39], v[20:21] op_sel_hi:[0,1]
	v_pk_mul_f32 v[32:33], v[38:39], v[32:33] op_sel_hi:[0,1]
	v_bfe_u32 v37, v21, 16, 1
	v_bfe_u32 v39, v20, 16, 1
	v_add3_u32 v20, v20, v39, s8
	v_add3_u32 v21, v21, v37, s8
	v_perm_b32 v44, v21, v20, s44
	v_bfe_u32 v20, v33, 16, 1
	v_bfe_u32 v21, v32, 16, 1
	v_add3_u32 v21, v32, v21, s8
	v_add3_u32 v20, v33, v20, s8
	v_perm_b32 v45, v20, v21, s44
	v_lshlrev_b32_e32 v20, 3, v1
	v_lshlrev_b32_e32 v21, 5, v43
	;; [unrolled: 1-line block ×3, first 2 shown]
	v_pk_mul_f32 v[22:23], v[38:39], v[22:23] op_sel_hi:[0,1]
	v_or3_b32 v20, v32, v21, v20
	v_pk_mul_f32 v[32:33], v[38:39], v[34:35] op_sel_hi:[0,1]
	v_bfe_u32 v34, v23, 16, 1
	v_bfe_u32 v35, v22, 16, 1
	v_add3_u32 v22, v22, v35, s8
	v_add3_u32 v23, v23, v34, s8
	v_perm_b32 v22, v23, v22, s44
	v_bfe_u32 v23, v33, 16, 1
	v_bfe_u32 v34, v32, 16, 1
	v_add3_u32 v32, v32, v34, s8
	v_add3_u32 v23, v33, v23, s8
	v_perm_b32 v23, v23, v32, s44
	v_pk_mul_f32 v[28:29], v[38:39], v[28:29] op_sel_hi:[0,1]
	ds_write2st64_b64 v20, v[44:45], v[22:23] offset1:1
	v_pk_mul_f32 v[22:23], v[38:39], v[30:31] op_sel_hi:[0,1]
	v_bfe_u32 v30, v29, 16, 1
	v_bfe_u32 v31, v28, 16, 1
	v_add3_u32 v28, v28, v31, s8
	v_add3_u32 v29, v29, v30, s8
	v_perm_b32 v28, v29, v28, s44
	v_bfe_u32 v29, v23, 16, 1
	v_bfe_u32 v30, v22, 16, 1
	v_add3_u32 v22, v22, v30, s8
	v_add3_u32 v23, v23, v29, s8
	v_perm_b32 v29, v23, v22, s44
	v_pk_mul_f32 v[22:23], v[38:39], v[24:25] op_sel_hi:[0,1]
	v_bfe_u32 v24, v23, 16, 1
	v_bfe_u32 v25, v22, 16, 1
	v_pk_mul_f32 v[18:19], v[38:39], v[18:19] op_sel_hi:[0,1]
	v_add3_u32 v22, v22, v25, s8
	v_add3_u32 v23, v23, v24, s8
	v_perm_b32 v22, v23, v22, s44
	v_bfe_u32 v23, v19, 16, 1
	v_bfe_u32 v24, v18, 16, 1
	v_add3_u32 v18, v18, v24, s8
	v_add3_u32 v19, v19, v23, s8
	v_perm_b32 v23, v19, v18, s44
	v_cmp_gt_u32_e32 vcc, 2, v0
	ds_write2st64_b64 v20, v[28:29], v[22:23] offset0:2 offset1:3
	s_and_saveexec_b64 s[4:5], vcc
	s_cbranch_execz .LBB1125_15
; %bb.14:
	v_or_b32_e32 v18, s29, v0
	v_mov_b32_e32 v19, 0
	v_mov_b32_e32 v22, s7
	v_mad_u64_u32 v[22:23], s[10:11], s2, v22, v[18:19]
	v_mov_b32_e32 v18, s28
	s_load_dwordx4 s[12:15], s[0:1], 0x58
	s_mul_i32 s3, s3, s7
	v_mad_u64_u32 v[18:19], s[10:11], v22, s6, v[18:19]
	v_add_u32_e32 v23, s3, v23
	v_mov_b32_e32 v22, v19
	v_mad_u64_u32 v[22:23], s[10:11], v23, s6, v[22:23]
	v_mov_b32_e32 v19, v22
	v_lshlrev_b64 v[18:19], 2, v[18:19]
	s_waitcnt lgkmcnt(0)
	v_lshl_add_u64 v[22:23], s[14:15], 0, v[18:19]
	v_lshl_add_u64 v[18:19], s[12:13], 0, v[18:19]
	global_store_dword v[22:23], v27, off
	global_store_dword v[18:19], v36, off
.LBB1125_15:
	s_or_b64 exec, exec, s[4:5]
	s_waitcnt vmcnt(3)
	v_cvt_pk_f32_fp8_e32 v[18:19], v14
	v_cvt_pk_f32_fp8_sdwa v[22:23], v14 src0_sel:WORD_1
	s_mov_b32 s4, 0x7060302
	v_lshl_or_b32 v14, v1, 9, v21
	s_waitcnt lgkmcnt(0)
	s_barrier
	v_perm_b32 v18, v19, v18, s4
	v_perm_b32 v19, v23, v22, s4
	v_cvt_pk_f32_fp8_e32 v[28:29], v15
	ds_read_b128 v[22:25], v14
	v_cvt_pk_f32_fp8_sdwa v[36:37], v15 src0_sel:WORD_1
	s_load_dword s10, s[42:43], 0x0
	v_perm_b32 v38, v29, v28, s4
	ds_read_b128 v[28:31], v14 offset:16
	v_perm_b32 v39, v37, v36, s4
	s_waitcnt lgkmcnt(0)
	v_mfma_f32_16x16x16_bf16 v[32:35], v[18:19], v[22:23], 0
	v_cvt_pk_f32_fp8_e32 v[18:19], v16
	v_cvt_pk_f32_fp8_sdwa v[36:37], v16 src0_sel:WORD_1
	v_cmp_gt_u32_e32 vcc, 64, v0
	v_mfma_f32_16x16x16_bf16 v[22:25], v[38:39], v[24:25], v[32:35]
	v_perm_b32 v18, v19, v18, s4
	v_perm_b32 v19, v37, v36, s4
	s_waitcnt vmcnt(2)
	v_cvt_pk_f32_fp8_sdwa v[36:37], v10 src0_sel:WORD_1
	v_cvt_pk_f32_fp8_e32 v[32:33], v17
	v_cvt_pk_f32_fp8_sdwa v[16:17], v17 src0_sel:WORD_1
	v_cvt_pk_f32_fp8_e32 v[34:35], v10
	s_mov_b32 s3, 0
	v_perm_b32 v32, v33, v32, s4
	v_perm_b32 v33, v17, v16, s4
	v_mfma_f32_16x16x16_bf16 v[16:19], v[18:19], v[28:29], v[22:25]
	v_perm_b32 v34, v35, v34, s4
	v_perm_b32 v35, v37, v36, s4
	v_cvt_pk_f32_fp8_e32 v[28:29], v11
	ds_read_b128 v[22:25], v14 offset:2048
	v_cvt_pk_f32_fp8_sdwa v[10:11], v11 src0_sel:WORD_1
	v_mfma_f32_16x16x16_bf16 v[16:19], v[32:33], v[30:31], v[16:19]
	v_perm_b32 v32, v29, v28, s4
	ds_read_b128 v[28:31], v14 offset:2064
	v_perm_b32 v33, v11, v10, s4
	s_waitcnt lgkmcnt(1)
	v_mfma_f32_16x16x16_bf16 v[16:19], v[34:35], v[22:23], v[16:19]
	v_cvt_pk_f32_fp8_e32 v[10:11], v12
	v_cvt_pk_f32_fp8_sdwa v[22:23], v12 src0_sel:WORD_1
	v_mov_b32_e32 v27, 0
	v_mfma_f32_16x16x16_bf16 v[16:19], v[32:33], v[24:25], v[16:19]
	v_cvt_pk_f32_fp8_e32 v[24:25], v13
	v_perm_b32 v10, v11, v10, s4
	v_perm_b32 v11, v23, v22, s4
	v_cvt_pk_f32_fp8_sdwa v[12:13], v13 src0_sel:WORD_1
	v_perm_b32 v22, v25, v24, s4
	s_waitcnt vmcnt(1)
	v_cvt_pk_f32_fp8_e32 v[24:25], v6
	v_cvt_pk_f32_fp8_sdwa v[32:33], v6 src0_sel:WORD_1
	v_perm_b32 v23, v13, v12, s4
	s_waitcnt lgkmcnt(0)
	v_mfma_f32_16x16x16_bf16 v[10:13], v[10:11], v[28:29], v[16:19]
	v_perm_b32 v28, v25, v24, s4
	v_perm_b32 v29, v33, v32, s4
	v_cvt_pk_f32_fp8_e32 v[24:25], v7
	ds_read_b128 v[16:19], v14 offset:4096
	v_cvt_pk_f32_fp8_sdwa v[6:7], v7 src0_sel:WORD_1
	v_mfma_f32_16x16x16_bf16 v[10:13], v[22:23], v[30:31], v[10:13]
	v_perm_b32 v30, v25, v24, s4
	ds_read_b128 v[22:25], v14 offset:4112
	v_perm_b32 v31, v7, v6, s4
	s_waitcnt lgkmcnt(1)
	v_mfma_f32_16x16x16_bf16 v[10:13], v[28:29], v[16:17], v[10:13]
	v_cvt_pk_f32_fp8_e32 v[6:7], v8
	v_cvt_pk_f32_fp8_sdwa v[16:17], v8 src0_sel:WORD_1
	s_waitcnt vmcnt(0)
	v_cvt_pk_f32_fp8_sdwa v[28:29], v2 src0_sel:WORD_1
	v_mfma_f32_16x16x16_bf16 v[10:13], v[30:31], v[18:19], v[10:13]
	v_cvt_pk_f32_fp8_e32 v[18:19], v9
	v_perm_b32 v6, v7, v6, s4
	v_perm_b32 v7, v17, v16, s4
	v_cvt_pk_f32_fp8_sdwa v[8:9], v9 src0_sel:WORD_1
	v_perm_b32 v16, v19, v18, s4
	v_cvt_pk_f32_fp8_e32 v[18:19], v2
	v_perm_b32 v17, v9, v8, s4
	s_waitcnt lgkmcnt(0)
	v_mfma_f32_16x16x16_bf16 v[6:9], v[6:7], v[22:23], v[10:13]
	v_perm_b32 v18, v19, v18, s4
	v_perm_b32 v19, v29, v28, s4
	v_cvt_pk_f32_fp8_e32 v[22:23], v3
	ds_read_b128 v[10:13], v14 offset:6144
	v_cvt_pk_f32_fp8_sdwa v[2:3], v3 src0_sel:WORD_1
	v_mfma_f32_16x16x16_bf16 v[6:9], v[16:17], v[24:25], v[6:9]
	v_perm_b32 v22, v23, v22, s4
	ds_read_b128 v[14:17], v14 offset:6160
	v_perm_b32 v23, v3, v2, s4
	s_waitcnt lgkmcnt(1)
	v_mfma_f32_16x16x16_bf16 v[6:9], v[18:19], v[10:11], v[6:9]
	v_cvt_pk_f32_fp8_e32 v[2:3], v4
	v_cvt_pk_f32_fp8_sdwa v[10:11], v4 src0_sel:WORD_1
	s_waitcnt lgkmcnt(0)
	v_mfma_f32_16x16x16_bf16 v[6:9], v[22:23], v[12:13], v[6:9]
	v_perm_b32 v2, v3, v2, s4
	v_perm_b32 v3, v11, v10, s4
	v_cvt_pk_f32_fp8_e32 v[10:11], v5
	v_cvt_pk_f32_fp8_sdwa v[4:5], v5 src0_sel:WORD_1
	s_barrier
	v_perm_b32 v10, v11, v10, s4
	v_perm_b32 v11, v5, v4, s4
	v_mfma_f32_16x16x16_bf16 v[2:5], v[2:3], v[14:15], v[6:9]
	s_nop 0
	v_mfma_f32_16x16x16_bf16 v[2:5], v[10:11], v[16:17], v[2:5]
	s_nop 6
	v_pk_mul_f32 v[2:3], v[2:3], s[10:11] op_sel_hi:[1,0]
	v_pk_mul_f32 v[4:5], v[4:5], s[10:11] op_sel_hi:[1,0]
	v_bfe_u32 v6, v3, 16, 1
	v_bfe_u32 v7, v2, 16, 1
	v_add3_u32 v2, v2, v7, s8
	v_add3_u32 v3, v3, v6, s8
	v_perm_b32 v2, v3, v2, s4
	v_bfe_u32 v3, v5, 16, 1
	v_bfe_u32 v6, v4, 16, 1
	v_add3_u32 v4, v4, v6, s8
	v_add3_u32 v3, v5, v3, s8
	v_perm_b32 v3, v3, v4, s4
	v_cmp_gt_u32_e64 s[4:5], 32, v41
	s_and_b64 s[4:5], s[4:5], vcc
	s_and_b64 s[4:5], s[4:5], s[30:31]
	ds_write_b64 v20, v[2:3]
	s_waitcnt lgkmcnt(0)
	s_barrier
	s_and_saveexec_b64 s[8:9], s[4:5]
	s_cbranch_execz .LBB1125_17
; %bb.16:
	s_load_dwordx2 s[0:1], s[0:1], 0x68
	s_mul_i32 s2, s7, s2
	s_lshl_b32 s6, s6, 6
	s_mul_hi_u32 s5, s2, s6
	s_mul_i32 s4, s2, s6
	v_lshlrev_b32_e32 v0, 10, v0
	s_lshl_b64 s[4:5], s[4:5], 1
	v_and_b32_e32 v0, 0x1800, v0
	v_lshlrev_b32_e32 v2, 5, v1
	v_and_b32_e32 v3, 16, v40
	s_waitcnt lgkmcnt(0)
	s_add_u32 s4, s0, s4
	v_or3_b32 v0, v0, v2, v3
	s_addc_u32 s5, s1, s5
	s_lshl_b32 s2, s28, 6
	ds_read_b128 v[2:5], v0
	s_lshl_b64 s[0:1], s[2:3], 1
	s_add_u32 s0, s4, s0
	v_or_b32_e32 v0, s29, v1
	s_addc_u32 s1, s5, s1
	v_mad_u64_u32 v[0:1], s[2:3], s6, v0, 0
	v_lshl_add_u64 v[0:1], v[0:1], 1, s[0:1]
	v_lshl_add_u64 v[0:1], v[0:1], 0, v[26:27]
	s_waitcnt lgkmcnt(0)
	global_store_dwordx4 v[0:1], v[2:5], off
.LBB1125_17:
	s_endpgm
	.section	.rodata,"a",@progbits
	.p2align	6, 0x0
	.amdhsa_kernel _Z39paged_attention_ll4mi_QKV_mfma16_kernelI14__hip_bfloat16hLN4vllm18Fp8KVCacheDataTypeE1EhLi16ELi64ELi256ELb0ELi2EEvPKT_PKT0_S8_ifPKiSA_SA_iPKfiiiPfSD_PS3_PT2_iSC_SC_
		.amdhsa_group_segment_fixed_size 8192
		.amdhsa_private_segment_fixed_size 0
		.amdhsa_kernarg_size 400
		.amdhsa_user_sgpr_count 2
		.amdhsa_user_sgpr_dispatch_ptr 0
		.amdhsa_user_sgpr_queue_ptr 0
		.amdhsa_user_sgpr_kernarg_segment_ptr 1
		.amdhsa_user_sgpr_dispatch_id 0
		.amdhsa_user_sgpr_kernarg_preload_length 0
		.amdhsa_user_sgpr_kernarg_preload_offset 0
		.amdhsa_user_sgpr_private_segment_size 0
		.amdhsa_uses_dynamic_stack 0
		.amdhsa_enable_private_segment 0
		.amdhsa_system_sgpr_workgroup_id_x 1
		.amdhsa_system_sgpr_workgroup_id_y 1
		.amdhsa_system_sgpr_workgroup_id_z 1
		.amdhsa_system_sgpr_workgroup_info 0
		.amdhsa_system_vgpr_workitem_id 0
		.amdhsa_next_free_vgpr 58
		.amdhsa_next_free_sgpr 49
		.amdhsa_accum_offset 60
		.amdhsa_reserve_vcc 1
		.amdhsa_float_round_mode_32 0
		.amdhsa_float_round_mode_16_64 0
		.amdhsa_float_denorm_mode_32 3
		.amdhsa_float_denorm_mode_16_64 3
		.amdhsa_dx10_clamp 1
		.amdhsa_ieee_mode 1
		.amdhsa_fp16_overflow 0
		.amdhsa_tg_split 0
		.amdhsa_exception_fp_ieee_invalid_op 0
		.amdhsa_exception_fp_denorm_src 0
		.amdhsa_exception_fp_ieee_div_zero 0
		.amdhsa_exception_fp_ieee_overflow 0
		.amdhsa_exception_fp_ieee_underflow 0
		.amdhsa_exception_fp_ieee_inexact 0
		.amdhsa_exception_int_div_zero 0
	.end_amdhsa_kernel
	.section	.text._Z39paged_attention_ll4mi_QKV_mfma16_kernelI14__hip_bfloat16hLN4vllm18Fp8KVCacheDataTypeE1EhLi16ELi64ELi256ELb0ELi2EEvPKT_PKT0_S8_ifPKiSA_SA_iPKfiiiPfSD_PS3_PT2_iSC_SC_,"axG",@progbits,_Z39paged_attention_ll4mi_QKV_mfma16_kernelI14__hip_bfloat16hLN4vllm18Fp8KVCacheDataTypeE1EhLi16ELi64ELi256ELb0ELi2EEvPKT_PKT0_S8_ifPKiSA_SA_iPKfiiiPfSD_PS3_PT2_iSC_SC_,comdat
.Lfunc_end1125:
	.size	_Z39paged_attention_ll4mi_QKV_mfma16_kernelI14__hip_bfloat16hLN4vllm18Fp8KVCacheDataTypeE1EhLi16ELi64ELi256ELb0ELi2EEvPKT_PKT0_S8_ifPKiSA_SA_iPKfiiiPfSD_PS3_PT2_iSC_SC_, .Lfunc_end1125-_Z39paged_attention_ll4mi_QKV_mfma16_kernelI14__hip_bfloat16hLN4vllm18Fp8KVCacheDataTypeE1EhLi16ELi64ELi256ELb0ELi2EEvPKT_PKT0_S8_ifPKiSA_SA_iPKfiiiPfSD_PS3_PT2_iSC_SC_
                                        ; -- End function
	.section	.AMDGPU.csdata,"",@progbits
; Kernel info:
; codeLenInByte = 4768
; NumSgprs: 55
; NumVgprs: 58
; NumAgprs: 0
; TotalNumVgprs: 58
; ScratchSize: 0
; MemoryBound: 0
; FloatMode: 240
; IeeeMode: 1
; LDSByteSize: 8192 bytes/workgroup (compile time only)
; SGPRBlocks: 6
; VGPRBlocks: 7
; NumSGPRsForWavesPerEU: 55
; NumVGPRsForWavesPerEU: 58
; AccumOffset: 60
; Occupancy: 8
; WaveLimiterHint : 1
; COMPUTE_PGM_RSRC2:SCRATCH_EN: 0
; COMPUTE_PGM_RSRC2:USER_SGPR: 2
; COMPUTE_PGM_RSRC2:TRAP_HANDLER: 0
; COMPUTE_PGM_RSRC2:TGID_X_EN: 1
; COMPUTE_PGM_RSRC2:TGID_Y_EN: 1
; COMPUTE_PGM_RSRC2:TGID_Z_EN: 1
; COMPUTE_PGM_RSRC2:TIDIG_COMP_CNT: 0
; COMPUTE_PGM_RSRC3_GFX90A:ACCUM_OFFSET: 14
; COMPUTE_PGM_RSRC3_GFX90A:TG_SPLIT: 0
	.section	.text._Z39paged_attention_ll4mi_QKV_mfma16_kernelI14__hip_bfloat16hLN4vllm18Fp8KVCacheDataTypeE1EhLi16ELi64ELi256ELb0ELi3EEvPKT_PKT0_S8_ifPKiSA_SA_iPKfiiiPfSD_PS3_PT2_iSC_SC_,"axG",@progbits,_Z39paged_attention_ll4mi_QKV_mfma16_kernelI14__hip_bfloat16hLN4vllm18Fp8KVCacheDataTypeE1EhLi16ELi64ELi256ELb0ELi3EEvPKT_PKT0_S8_ifPKiSA_SA_iPKfiiiPfSD_PS3_PT2_iSC_SC_,comdat
	.protected	_Z39paged_attention_ll4mi_QKV_mfma16_kernelI14__hip_bfloat16hLN4vllm18Fp8KVCacheDataTypeE1EhLi16ELi64ELi256ELb0ELi3EEvPKT_PKT0_S8_ifPKiSA_SA_iPKfiiiPfSD_PS3_PT2_iSC_SC_ ; -- Begin function _Z39paged_attention_ll4mi_QKV_mfma16_kernelI14__hip_bfloat16hLN4vllm18Fp8KVCacheDataTypeE1EhLi16ELi64ELi256ELb0ELi3EEvPKT_PKT0_S8_ifPKiSA_SA_iPKfiiiPfSD_PS3_PT2_iSC_SC_
	.globl	_Z39paged_attention_ll4mi_QKV_mfma16_kernelI14__hip_bfloat16hLN4vllm18Fp8KVCacheDataTypeE1EhLi16ELi64ELi256ELb0ELi3EEvPKT_PKT0_S8_ifPKiSA_SA_iPKfiiiPfSD_PS3_PT2_iSC_SC_
	.p2align	8
	.type	_Z39paged_attention_ll4mi_QKV_mfma16_kernelI14__hip_bfloat16hLN4vllm18Fp8KVCacheDataTypeE1EhLi16ELi64ELi256ELb0ELi3EEvPKT_PKT0_S8_ifPKiSA_SA_iPKfiiiPfSD_PS3_PT2_iSC_SC_,@function
_Z39paged_attention_ll4mi_QKV_mfma16_kernelI14__hip_bfloat16hLN4vllm18Fp8KVCacheDataTypeE1EhLi16ELi64ELi256ELb0ELi3EEvPKT_PKT0_S8_ifPKiSA_SA_iPKfiiiPfSD_PS3_PT2_iSC_SC_: ; @_Z39paged_attention_ll4mi_QKV_mfma16_kernelI14__hip_bfloat16hLN4vllm18Fp8KVCacheDataTypeE1EhLi16ELi64ELi256ELb0ELi3EEvPKT_PKT0_S8_ifPKiSA_SA_iPKfiiiPfSD_PS3_PT2_iSC_SC_
; %bb.0:
	s_load_dwordx2 s[12:13], s[0:1], 0x30
	s_mov_b32 s28, s3
	s_mov_b64 s[6:7], 0
	s_waitcnt lgkmcnt(0)
	s_cmp_lg_u64 s[12:13], 0
	s_cselect_b64 s[14:15], -1, 0
	s_and_b64 vcc, exec, s[14:15]
	s_cbranch_vccz .LBB1126_7
; %bb.1:
	s_add_i32 s8, s2, 1
	s_mov_b32 s9, 0
	s_lshl_b64 s[10:11], s[8:9], 2
	s_add_u32 s10, s12, s10
	s_mov_b32 s3, s9
	s_addc_u32 s11, s13, s11
	s_lshl_b64 s[8:9], s[2:3], 2
	s_add_u32 s8, s12, s8
	s_addc_u32 s9, s13, s9
	s_load_dword s5, s[10:11], 0x0
	s_load_dword s16, s[8:9], 0x0
	s_waitcnt lgkmcnt(0)
	s_sub_i32 s5, s5, s16
	s_cmp_eq_u32 s5, 1
	s_cselect_b64 s[8:9], -1, 0
	s_andn2_b64 vcc, exec, s[6:7]
	s_cbranch_vccnz .LBB1126_3
.LBB1126_2:
	s_mov_b32 s3, 0
	s_mov_b64 s[8:9], -1
.LBB1126_3:
	s_andn2_b64 vcc, exec, s[8:9]
	s_cbranch_vccnz .LBB1126_17
; %bb.4:
	s_load_dwordx2 s[6:7], s[0:1], 0x28
	s_lshl_b64 s[16:17], s[2:3], 2
	s_waitcnt lgkmcnt(0)
	s_add_u32 s6, s6, s16
	s_addc_u32 s7, s7, s17
	s_load_dword s33, s[6:7], 0x0
	s_lshl_b32 s5, s28, 8
	s_waitcnt lgkmcnt(0)
	s_cmp_ge_i32 s5, s33
	s_cbranch_scc1 .LBB1126_17
; %bb.5:
	s_add_i32 s9, s33, 15
	s_load_dwordx2 s[6:7], s[0:1], 0x20
	s_load_dword s8, s[0:1], 0x38
	s_ashr_i32 s10, s9, 31
	v_and_b32_e32 v1, 0xcf, v0
	s_lshr_b32 s10, s10, 28
	v_add_u32_e32 v1, s5, v1
	s_add_i32 s9, s9, s10
	v_ashrrev_i32_e32 v2, 31, v1
	s_ashr_i32 s18, s9, 4
	v_lshrrev_b32_e32 v6, 28, v2
	s_add_i32 s18, s18, -1
	v_add_u32_e32 v2, v1, v6
	v_or_b32_e32 v4, 16, v1
	s_waitcnt lgkmcnt(0)
	s_mul_i32 s8, s2, s8
	s_mov_b32 s9, 0
	v_ashrrev_i32_e32 v2, 4, v2
	v_mov_b32_e32 v7, s18
	v_cmp_gt_i32_e32 vcc, s33, v1
	v_add_u32_e32 v5, v4, v6
	s_lshl_b64 s[8:9], s[8:9], 2
	v_cndmask_b32_e32 v2, v7, v2, vcc
	v_ashrrev_i32_e32 v5, 4, v5
	v_cmp_gt_i32_e32 vcc, s33, v4
	s_add_u32 s6, s6, s8
	s_addc_u32 s7, s7, s9
	v_cndmask_b32_e32 v4, v7, v5, vcc
	v_ashrrev_i32_e32 v5, 31, v4
	v_lshl_add_u64 v[8:9], v[4:5], 2, s[6:7]
	v_or_b32_e32 v4, 32, v1
	v_add_u32_e32 v5, v4, v6
	v_ashrrev_i32_e32 v5, 4, v5
	v_cmp_gt_i32_e32 vcc, s33, v4
	v_or_b32_e32 v1, 48, v1
	v_ashrrev_i32_e32 v3, 31, v2
	v_cndmask_b32_e32 v4, v7, v5, vcc
	v_ashrrev_i32_e32 v5, 31, v4
	v_lshl_add_u64 v[10:11], v[4:5], 2, s[6:7]
	v_add_u32_e32 v4, v1, v6
	v_ashrrev_i32_e32 v4, 4, v4
	v_cmp_gt_i32_e32 vcc, s33, v1
	v_lshl_add_u64 v[2:3], v[2:3], 2, s[6:7]
	s_load_dwordx4 s[8:11], s[0:1], 0x8
	v_cndmask_b32_e32 v4, v7, v4, vcc
	v_ashrrev_i32_e32 v5, 31, v4
	v_lshl_add_u64 v[12:13], v[4:5], 2, s[6:7]
	global_load_dword v7, v[2:3], off
	global_load_dword v6, v[8:9], off
	;; [unrolled: 1-line block ×4, first 2 shown]
	s_andn2_b64 vcc, exec, s[14:15]
	s_cbranch_vccnz .LBB1126_8
; %bb.6:
	s_add_u32 s12, s12, s16
	s_addc_u32 s13, s13, s17
	s_load_dword s14, s[12:13], 0x0
	s_branch .LBB1126_9
.LBB1126_7:
	s_mov_b64 s[8:9], 0
	s_branch .LBB1126_2
.LBB1126_8:
	s_mov_b32 s14, s2
.LBB1126_9:
	s_load_dwordx4 s[44:47], s[0:1], 0x48
	v_lshrrev_b32_e32 v29, 6, v0
	v_bfe_u32 v42, v0, 4, 2
	v_lshl_or_b32 v2, v29, 2, v42
	v_and_b32_e32 v28, 15, v0
	s_mul_i32 s48, s4, 3
	v_lshlrev_b32_e32 v3, 3, v28
	v_cmp_gt_u32_e32 vcc, 3, v2
	v_cmp_gt_u32_e64 s[30:31], 8, v28
	v_and_b32_e32 v44, 63, v0
	v_add_u32_e32 v1, s48, v42
	s_and_b64 s[16:17], s[30:31], vcc
	v_lshlrev_b32_e32 v26, 1, v3
	v_lshlrev_b32_e32 v43, 4, v0
	s_and_saveexec_b64 s[12:13], s[16:17]
	s_cbranch_execz .LBB1126_11
; %bb.10:
	s_load_dwordx2 s[16:17], s[0:1], 0x0
	s_waitcnt lgkmcnt(0)
	s_ashr_i32 s15, s44, 31
	s_mul_hi_u32 s19, s14, s44
	s_mul_i32 s15, s14, s15
	s_add_i32 s15, s19, s15
	s_mul_i32 s14, s14, s44
	s_lshl_b64 s[14:15], s[14:15], 1
	s_add_u32 s14, s16, s14
	v_lshlrev_b32_e32 v8, 6, v1
	s_addc_u32 s15, s17, s15
	v_ashrrev_i32_e32 v9, 31, v8
	v_lshl_add_u64 v[8:9], v[8:9], 1, s[14:15]
	v_mov_b32_e32 v27, 0
	v_lshl_add_u64 v[8:9], v[8:9], 0, v[26:27]
	global_load_dwordx4 v[8:11], v[8:9], off
	v_lshlrev_b32_e32 v12, 8, v28
	v_lshlrev_b32_e32 v2, 5, v2
	v_and_b32_e32 v3, 16, v43
	v_and_b32_e32 v12, 0xe00, v12
	v_or3_b32 v2, v12, v2, v3
	s_waitcnt vmcnt(0)
	ds_write_b128 v2, v[8:11]
.LBB1126_11:
	s_or_b64 exec, exec, s[12:13]
	s_waitcnt lgkmcnt(0)
	s_mul_i32 s4, s4, s46
	s_add_u32 s8, s8, s4
	s_addc_u32 s9, s9, 0
	v_and_b32_e32 v10, 48, v0
	v_and_b32_e32 v30, 0xf0, v43
	v_mov_b32_e32 v31, 0
	v_lshl_add_u64 v[2:3], s[8:9], 0, v[30:31]
	v_lshlrev_b32_e32 v30, 4, v10
	v_lshl_add_u64 v[2:3], v[2:3], 0, v[30:31]
	v_or_b32_e32 v12, s5, v10
	s_waitcnt vmcnt(3)
	v_mad_i64_i32 v[8:9], s[8:9], v7, s45, v[2:3]
	v_ashrrev_i32_e32 v7, 4, v12
	v_mov_b32_e32 v13, s18
	v_cmp_gt_i32_e32 vcc, s33, v12
	s_load_dword s29, s[0:1], 0x98
	s_load_dwordx4 s[40:43], s[0:1], 0x80
	v_cndmask_b32_e32 v10, v13, v7, vcc
	v_ashrrev_i32_e32 v11, 31, v10
	v_lshl_add_u64 v[10:11], v[10:11], 2, s[6:7]
	s_waitcnt lgkmcnt(0)
	s_barrier
	global_load_dword v38, v[10:11], off
	global_load_dwordx4 v[22:25], v[8:9], off
	s_waitcnt vmcnt(4)
	v_mad_i64_i32 v[6:7], s[8:9], v6, s45, v[2:3]
	global_load_dwordx4 v[18:21], v[6:7], off
	s_waitcnt vmcnt(4)
	v_mad_i64_i32 v[6:7], s[8:9], v5, s45, v[2:3]
	global_load_dwordx4 v[14:17], v[6:7], off
	v_mul_lo_u16_e32 v8, 0x56, v28
	v_mov_b32_e32 v9, 3
	v_mul_lo_u16_sdwa v5, v8, v9 dst_sel:DWORD dst_unused:UNUSED_PAD src0_sel:BYTE_1 src1_sel:DWORD
	v_or_b32_e32 v6, 64, v12
	v_mov_b32_e32 v10, 5
	v_sub_u16_e32 v5, v28, v5
	v_or_b32_e32 v7, 0x80, v12
	v_ashrrev_i32_e32 v9, 4, v6
	s_add_u32 s8, s10, s4
	v_cmp_gt_i32_e32 vcc, s33, v6
	v_or_b32_e32 v8, 0xc0, v12
	v_lshlrev_b32_sdwa v5, v10, v5 dst_sel:DWORD dst_unused:UNUSED_PAD src0_sel:DWORD src1_sel:BYTE_0
	v_ashrrev_i32_e32 v10, 4, v7
	v_cndmask_b32_e32 v32, v13, v9, vcc
	v_cmp_gt_i32_e32 vcc, s33, v7
	s_addc_u32 s9, s11, 0
	s_waitcnt vmcnt(4)
	v_mad_i64_i32 v[2:3], s[10:11], v4, s45, v[2:3]
	v_ashrrev_i32_e32 v12, 4, v8
	v_cndmask_b32_e32 v34, v13, v10, vcc
	v_cmp_gt_i32_e32 vcc, s33, v8
	global_load_dwordx4 v[6:9], v[2:3], off
	v_ashrrev_i32_e32 v33, 31, v32
	v_cndmask_b32_e32 v36, v13, v12, vcc
	v_ashrrev_i32_e32 v35, 31, v34
	v_ashrrev_i32_e32 v37, 31, v36
	v_lshlrev_b32_e32 v11, 4, v28
	v_lshl_add_u32 v5, v42, 9, v5
	v_lshl_add_u64 v[32:33], v[32:33], 2, s[6:7]
	v_lshl_add_u64 v[34:35], v[34:35], 2, s[6:7]
	;; [unrolled: 1-line block ×3, first 2 shown]
	v_lshl_or_b32 v30, v29, 8, v11
	ds_read_b128 v[10:13], v5
	ds_read_b128 v[2:5], v5 offset:16
	s_load_dword s4, s[40:41], 0x0
	global_load_dword v46, v[32:33], off
	global_load_dword v27, v[34:35], off
	;; [unrolled: 1-line block ×3, first 2 shown]
	s_mov_b32 s44, 0x7060302
	v_lshl_add_u64 v[30:31], s[8:9], 0, v[30:31]
	s_load_dword s12, s[0:1], 0x1c
	s_mov_b32 s46, 0xff7fffff
	s_waitcnt vmcnt(7)
	v_mad_i64_i32 v[32:33], s[6:7], v38, s45, v[30:31]
	s_waitcnt vmcnt(6)
	v_cvt_pk_f32_fp8_e32 v[34:35], v22
	v_cvt_pk_f32_fp8_sdwa v[36:37], v22 src0_sel:WORD_1
	v_cvt_pk_f32_fp8_e32 v[38:39], v23
	v_cvt_pk_f32_fp8_sdwa v[40:41], v23 src0_sel:WORD_1
	v_perm_b32 v34, v35, v34, s44
	v_perm_b32 v35, v37, v36, s44
	s_waitcnt vmcnt(5)
	v_cvt_pk_f32_fp8_e32 v[22:23], v18
	v_cvt_pk_f32_fp8_e32 v[48:49], v24
	v_cvt_pk_f32_fp8_sdwa v[50:51], v24 src0_sel:WORD_1
	v_perm_b32 v38, v39, v38, s44
	v_perm_b32 v39, v41, v40, s44
	v_cvt_pk_f32_fp8_e32 v[52:53], v25
	v_cvt_pk_f32_fp8_sdwa v[54:55], v18 src0_sel:WORD_1
	v_cvt_pk_f32_fp8_sdwa v[56:57], v25 src0_sel:WORD_1
	v_perm_b32 v36, v23, v22, s44
	s_waitcnt lgkmcnt(0)
	v_mfma_f32_16x16x16_bf16 v[22:25], v[34:35], v[10:11], 0
	v_perm_b32 v40, v49, v48, s44
	v_perm_b32 v41, v51, v50, s44
	v_cvt_pk_f32_fp8_e32 v[58:59], v19
	v_perm_b32 v37, v55, v54, s44
	v_cvt_pk_f32_fp8_sdwa v[18:19], v19 src0_sel:WORD_1
	v_mfma_f32_16x16x16_bf16 v[22:25], v[38:39], v[12:13], v[22:25]
	v_perm_b32 v38, v53, v52, s44
	v_perm_b32 v39, v57, v56, s44
	v_cvt_pk_f32_fp8_e32 v[54:55], v20
	v_cvt_pk_f32_fp8_sdwa v[48:49], v20 src0_sel:WORD_1
	v_mfma_f32_16x16x16_bf16 v[22:25], v[40:41], v[2:3], v[22:25]
	v_perm_b32 v52, v59, v58, s44
	v_perm_b32 v53, v19, v18, s44
	v_cvt_pk_f32_fp8_e32 v[50:51], v21
	v_mfma_f32_16x16x16_bf16 v[34:37], v[36:37], v[10:11], 0
	v_mfma_f32_16x16x16_bf16 v[38:41], v[38:39], v[4:5], v[22:25]
	s_nop 2
	v_perm_b32 v22, v55, v54, s44
	v_perm_b32 v23, v49, v48, s44
	v_cvt_pk_f32_fp8_sdwa v[24:25], v21 src0_sel:WORD_1
	v_mfma_f32_16x16x16_bf16 v[18:21], v[52:53], v[12:13], v[34:37]
	s_waitcnt vmcnt(4)
	v_cvt_pk_f32_fp8_sdwa v[48:49], v14 src0_sel:WORD_1
	v_cvt_pk_f32_fp8_sdwa v[52:53], v17 src0_sel:WORD_1
	v_perm_b32 v34, v51, v50, s44
	v_perm_b32 v35, v25, v24, s44
	v_mfma_f32_16x16x16_bf16 v[18:21], v[22:23], v[2:3], v[18:21]
	v_cvt_pk_f32_fp8_e32 v[22:23], v14
	v_mov_b32_e32 v36, s12
	v_mul_f32_e32 v24, s4, v36
	v_mfma_f32_16x16x16_bf16 v[34:37], v[34:35], v[4:5], v[18:21]
	v_cvt_pk_f32_fp8_sdwa v[50:51], v16 src0_sel:WORD_1
	s_nop 1
	v_cvt_pk_f32_fp8_e32 v[18:19], v15
	v_perm_b32 v20, v23, v22, s44
	v_perm_b32 v21, v49, v48, s44
	v_cvt_pk_f32_fp8_sdwa v[14:15], v15 src0_sel:WORD_1
	v_perm_b32 v22, v19, v18, s44
	v_cvt_pk_f32_fp8_e32 v[48:49], v16
	v_mfma_f32_16x16x16_bf16 v[18:21], v[20:21], v[10:11], 0
	v_perm_b32 v23, v15, v14, s44
	v_perm_b32 v48, v49, v48, s44
	;; [unrolled: 1-line block ×3, first 2 shown]
	v_cvt_pk_f32_fp8_e32 v[50:51], v17
	v_mfma_f32_16x16x16_bf16 v[14:17], v[22:23], v[12:13], v[18:21]
	v_pk_mul_f32 v[22:23], v[24:25], v[40:41] op_sel_hi:[0,1]
	s_waitcnt vmcnt(3)
	v_cvt_pk_f32_fp8_sdwa v[40:41], v6 src0_sel:WORD_1
	v_perm_b32 v18, v51, v50, s44
	v_perm_b32 v19, v53, v52, s44
	v_mfma_f32_16x16x16_bf16 v[14:17], v[48:49], v[2:3], v[14:17]
	v_pk_mul_f32 v[20:21], v[24:25], v[38:39] op_sel_hi:[0,1]
	v_cvt_pk_f32_fp8_e32 v[38:39], v6
	v_cvt_pk_f32_fp8_e32 v[48:49], v8
	v_mfma_f32_16x16x16_bf16 v[14:17], v[18:19], v[4:5], v[14:17]
	v_cvt_pk_f32_fp8_e32 v[18:19], v7
	v_perm_b32 v38, v39, v38, s44
	v_perm_b32 v39, v41, v40, s44
	v_cvt_pk_f32_fp8_sdwa v[6:7], v7 src0_sel:WORD_1
	v_perm_b32 v18, v19, v18, s44
	v_cvt_pk_f32_fp8_sdwa v[50:51], v8 src0_sel:WORD_1
	v_mfma_f32_16x16x16_bf16 v[38:41], v[38:39], v[10:11], 0
	v_perm_b32 v19, v7, v6, s44
	v_perm_b32 v10, v49, v48, s44
	;; [unrolled: 1-line block ×3, first 2 shown]
	v_cvt_pk_f32_fp8_e32 v[48:49], v9
	v_cvt_pk_f32_fp8_sdwa v[50:51], v9 src0_sel:WORD_1
	v_mfma_f32_16x16x16_bf16 v[6:9], v[18:19], v[12:13], v[38:41]
	v_pk_mul_f32 v[36:37], v[24:25], v[36:37] op_sel_hi:[0,1]
	v_perm_b32 v12, v49, v48, s44
	v_perm_b32 v13, v51, v50, s44
	v_mfma_f32_16x16x16_bf16 v[6:9], v[10:11], v[2:3], v[6:9]
	v_pk_mul_f32 v[40:41], v[24:25], v[34:35] op_sel_hi:[0,1]
	v_pk_mul_f32 v[34:35], v[24:25], v[16:17] op_sel_hi:[0,1]
	;; [unrolled: 1-line block ×3, first 2 shown]
	v_mfma_f32_16x16x16_bf16 v[2:5], v[12:13], v[4:5], v[6:9]
	s_nop 6
	v_pk_mul_f32 v[18:19], v[24:25], v[4:5] op_sel_hi:[0,1]
	v_pk_mul_f32 v[24:25], v[24:25], v[2:3] op_sel_hi:[0,1]
	v_and_b32_e32 v2, 0xc0, v0
	v_add_u32_e32 v2, s5, v2
	v_lshl_or_b32 v2, v42, 2, v2
	v_or_b32_e32 v5, 1, v2
	v_mov_b32_e32 v3, 0xff7fffff
	v_cmp_gt_i32_e64 s[4:5], s33, v2
	v_cmp_gt_i32_e64 s[34:35], s33, v5
	v_or_b32_e32 v6, 3, v2
	v_cndmask_b32_e64 v4, v3, v20, s[4:5]
	v_cndmask_b32_e64 v5, v3, v21, s[34:35]
	v_max3_f32 v4, v4, s46, v5
	v_or_b32_e32 v5, 2, v2
	v_cmp_gt_i32_e64 s[36:37], s33, v5
	v_cmp_gt_i32_e64 s[38:39], s33, v6
	s_nop 0
	v_cndmask_b32_e64 v5, v3, v22, s[36:37]
	v_cndmask_b32_e64 v6, v3, v23, s[38:39]
	v_max3_f32 v4, v4, v5, v6
	v_or_b32_e32 v5, 16, v2
	v_or_b32_e32 v6, 17, v2
	v_cmp_gt_i32_e64 s[24:25], s33, v5
	v_cmp_gt_i32_e64 s[26:27], s33, v6
	s_nop 0
	v_cndmask_b32_e64 v5, v3, v40, s[24:25]
	v_cndmask_b32_e64 v6, v3, v41, s[26:27]
	v_max3_f32 v4, v4, v5, v6
	v_or_b32_e32 v5, 18, v2
	;; [unrolled: 8-line block ×6, first 2 shown]
	v_or_b32_e32 v2, 51, v2
	v_cmp_gt_i32_e32 vcc, s33, v5
	v_cmp_gt_i32_e64 s[6:7], s33, v2
	s_nop 0
	v_cndmask_b32_e32 v5, v3, v18, vcc
	v_cndmask_b32_e64 v2, v3, v19, s[6:7]
	v_max3_f32 v4, v4, v5, v2
	v_mbcnt_lo_u32_b32 v2, -1, 0
	v_mbcnt_hi_u32_b32 v5, -1, v2
	v_and_b32_e32 v2, 64, v5
	v_add_u32_e32 v6, 64, v2
	v_xor_b32_e32 v2, 32, v5
	v_cmp_lt_i32_e64 s[40:41], v2, v6
	s_nop 1
	v_cndmask_b32_e64 v2, v5, v2, s[40:41]
	v_lshlrev_b32_e32 v47, 2, v2
	ds_bpermute_b32 v7, v47, v4
	s_waitcnt vmcnt(2)
	v_mad_i64_i32 v[2:3], s[40:41], v46, s45, v[30:31]
	global_load_dwordx4 v[14:17], v[32:33], off
	global_load_dwordx4 v[10:13], v[2:3], off
	v_xor_b32_e32 v3, 16, v5
	v_cmp_lt_i32_e64 s[40:41], v3, v6
	s_waitcnt lgkmcnt(0)
	v_max_f32_e32 v2, v7, v7
	v_max_f32_e32 v2, v4, v2
	v_cndmask_b32_e64 v3, v5, v3, s[40:41]
	v_lshlrev_b32_e32 v46, 2, v3
	ds_bpermute_b32 v3, v46, v2
	s_waitcnt vmcnt(3)
	v_mad_i64_i32 v[32:33], s[40:41], v27, s45, v[30:31]
	s_waitcnt vmcnt(2)
	v_mad_i64_i32 v[30:31], s[40:41], v45, s45, v[30:31]
	s_waitcnt lgkmcnt(0)
	v_max_f32_e32 v3, v3, v3
	v_max_f32_e32 v27, v2, v3
	v_sub_f32_e32 v2, v20, v27
	v_mul_f32_e32 v2, 0x3fb8aa3b, v2
	v_exp_f32_e32 v20, v2
	v_sub_f32_e32 v2, v21, v27
	v_mul_f32_e32 v2, 0x3fb8aa3b, v2
	v_exp_f32_e32 v21, v2
	global_load_dwordx4 v[6:9], v[32:33], off
	global_load_dwordx4 v[2:5], v[30:31], off
	v_sub_f32_e32 v22, v22, v27
	v_mul_f32_e32 v22, 0x3fb8aa3b, v22
	v_sub_f32_e32 v23, v23, v27
	v_exp_f32_e32 v22, v22
	v_mul_f32_e32 v23, 0x3fb8aa3b, v23
	v_exp_f32_e32 v23, v23
	v_cndmask_b32_e64 v20, 0, v20, s[4:5]
	v_add_f32_e32 v30, 0, v20
	v_cndmask_b32_e64 v21, 0, v21, s[34:35]
	v_add_f32_e32 v30, v30, v21
	;; [unrolled: 2-line block ×3, first 2 shown]
	v_cndmask_b32_e64 v33, 0, v23, s[38:39]
	v_sub_f32_e32 v23, v40, v27
	v_sub_f32_e32 v30, v41, v27
	v_mul_f32_e32 v23, 0x3fb8aa3b, v23
	v_mul_f32_e32 v30, 0x3fb8aa3b, v30
	v_exp_f32_e32 v23, v23
	v_exp_f32_e32 v30, v30
	v_add_f32_e32 v31, v22, v33
	v_sub_f32_e32 v34, v34, v27
	v_cndmask_b32_e64 v22, 0, v23, s[24:25]
	v_cndmask_b32_e64 v23, 0, v30, s[26:27]
	v_sub_f32_e32 v30, v36, v27
	v_mul_f32_e32 v30, 0x3fb8aa3b, v30
	v_exp_f32_e32 v30, v30
	v_sub_f32_e32 v36, v37, v27
	v_add_f32_e32 v31, v31, v22
	v_mul_f32_e32 v36, 0x3fb8aa3b, v36
	v_exp_f32_e32 v37, v36
	v_add_f32_e32 v31, v31, v23
	v_cndmask_b32_e64 v36, 0, v30, s[20:21]
	v_add_f32_e32 v30, v31, v36
	v_sub_f32_e32 v31, v38, v27
	v_mul_f32_e32 v31, 0x3fb8aa3b, v31
	v_sub_f32_e32 v38, v39, v27
	v_exp_f32_e32 v31, v31
	v_mul_f32_e32 v38, 0x3fb8aa3b, v38
	v_exp_f32_e32 v38, v38
	v_mul_f32_e32 v34, 0x3fb8aa3b, v34
	v_sub_f32_e32 v35, v35, v27
	v_exp_f32_e32 v34, v34
	v_mul_f32_e32 v35, 0x3fb8aa3b, v35
	v_sub_f32_e32 v24, v24, v27
	v_cndmask_b32_e64 v37, 0, v37, s[22:23]
	v_exp_f32_e32 v35, v35
	v_mul_f32_e32 v24, 0x3fb8aa3b, v24
	v_sub_f32_e32 v25, v25, v27
	v_add_f32_e32 v39, v30, v37
	v_cndmask_b32_e64 v30, 0, v31, s[16:17]
	v_exp_f32_e32 v24, v24
	v_mul_f32_e32 v25, 0x3fb8aa3b, v25
	v_sub_f32_e32 v18, v18, v27
	v_add_f32_e32 v39, v39, v30
	;; [unrolled: 5-line block ×3, first 2 shown]
	v_cndmask_b32_e64 v34, 0, v34, s[12:13]
	v_exp_f32_e32 v18, v18
	v_mul_f32_e32 v19, 0x3fb8aa3b, v19
	v_add_f32_e32 v38, v38, v34
	v_cndmask_b32_e64 v35, 0, v35, s[14:15]
	v_exp_f32_e32 v19, v19
	v_add_f32_e32 v38, v38, v35
	v_cndmask_b32_e64 v24, 0, v24, s[8:9]
	v_add_f32_e32 v38, v38, v24
	v_cndmask_b32_e64 v25, 0, v25, s[10:11]
	v_add_f32_e32 v38, v38, v25
	v_cndmask_b32_e32 v18, 0, v18, vcc
	v_add_f32_e32 v38, v38, v18
	v_cndmask_b32_e64 v19, 0, v19, s[6:7]
	v_add_f32_e32 v38, v38, v19
	ds_bpermute_b32 v39, v47, v38
	v_cmp_gt_u32_e32 vcc, 16, v44
	s_waitcnt lgkmcnt(0)
	s_barrier
	v_add_f32_e32 v39, v38, v39
	ds_bpermute_b32 v40, v46, v39
	v_lshlrev_b32_e32 v38, 2, v28
	s_and_saveexec_b64 s[4:5], vcc
	s_cbranch_execz .LBB1126_13
; %bb.12:
	s_waitcnt lgkmcnt(0)
	v_add_f32_e32 v39, v39, v40
	v_lshl_or_b32 v40, v29, 6, v38
	ds_write2st64_b32 v40, v27, v39 offset1:1
.LBB1126_13:
	s_or_b64 exec, exec, s[4:5]
	s_load_dword s6, s[0:1], 0x94
	s_waitcnt lgkmcnt(0)
	s_barrier
	ds_read2_b32 v[40:41], v38 offset1:16
	ds_read2_b32 v[44:45], v38 offset0:32 offset1:48
	ds_read2_b32 v[46:47], v38 offset0:64 offset1:80
	s_movk_i32 s8, 0x7fff
	s_mul_i32 s7, s29, 3
	s_waitcnt lgkmcnt(2)
	v_max3_f32 v27, v40, s46, v41
	s_waitcnt lgkmcnt(1)
	v_max3_f32 v27, v27, v44, v45
	v_sub_f32_e32 v39, v40, v27
	v_sub_f32_e32 v40, v41, v27
	v_mul_f32_e32 v40, 0x3fb8aa3b, v40
	v_mul_f32_e32 v39, 0x3fb8aa3b, v39
	v_exp_f32_e32 v48, v40
	v_sub_f32_e32 v40, v44, v27
	v_exp_f32_e32 v39, v39
	v_mul_f32_e32 v40, 0x3fb8aa3b, v40
	v_exp_f32_e32 v44, v40
	ds_read2_b32 v[40:41], v38 offset0:96 offset1:112
	v_sub_f32_e32 v38, v45, v27
	v_mul_f32_e32 v38, 0x3fb8aa3b, v38
	v_exp_f32_e32 v45, v38
	s_waitcnt lgkmcnt(1)
	v_fma_f32 v38, v39, v46, 0
	v_fmac_f32_e32 v38, v48, v47
	s_waitcnt lgkmcnt(0)
	v_fmac_f32_e32 v38, v44, v40
	v_fmac_f32_e32 v38, v45, v41
	v_add_f32_e32 v40, 0x358637bd, v38
	v_div_scale_f32 v41, s[4:5], v40, v40, 1.0
	v_rcp_f32_e32 v46, v41
	s_barrier
	v_fma_f32 v47, -v41, v46, 1.0
	v_fmac_f32_e32 v46, v47, v46
	v_div_scale_f32 v47, vcc, 1.0, v40, 1.0
	v_mul_f32_e32 v49, v47, v46
	v_fma_f32 v50, -v41, v49, v47
	v_fmac_f32_e32 v49, v50, v46
	v_fma_f32 v41, -v41, v49, v47
	v_div_fmas_f32 v41, v41, v46, v49
	v_cmp_eq_u32_e32 vcc, 1, v29
	v_div_fixup_f32 v40, v41, v40, 1.0
	s_nop 0
	v_cndmask_b32_e32 v39, v39, v48, vcc
	v_cmp_eq_u32_e32 vcc, 2, v29
	s_nop 1
	v_cndmask_b32_e32 v39, v39, v44, vcc
	v_cmp_eq_u32_e32 vcc, 3, v29
	v_lshlrev_b32_e32 v29, 11, v29
	s_nop 0
	v_cndmask_b32_e32 v39, v39, v45, vcc
	v_mul_f32_e32 v40, v39, v40
	v_pk_mul_f32 v[20:21], v[40:41], v[20:21] op_sel_hi:[0,1]
	v_pk_mul_f32 v[32:33], v[40:41], v[32:33] op_sel_hi:[0,1]
	v_bfe_u32 v39, v21, 16, 1
	v_bfe_u32 v41, v20, 16, 1
	v_add3_u32 v20, v20, v41, s8
	v_add3_u32 v21, v21, v39, s8
	v_perm_b32 v44, v21, v20, s44
	v_bfe_u32 v20, v33, 16, 1
	v_bfe_u32 v21, v32, 16, 1
	v_add3_u32 v21, v32, v21, s8
	v_add3_u32 v20, v33, v20, s8
	v_perm_b32 v45, v20, v21, s44
	v_lshlrev_b32_e32 v20, 3, v42
	v_lshlrev_b32_e32 v21, 5, v28
	v_pk_mul_f32 v[22:23], v[40:41], v[22:23] op_sel_hi:[0,1]
	v_or3_b32 v20, v29, v21, v20
	v_pk_mul_f32 v[32:33], v[40:41], v[36:37] op_sel_hi:[0,1]
	v_bfe_u32 v29, v23, 16, 1
	v_bfe_u32 v36, v22, 16, 1
	v_add3_u32 v22, v22, v36, s8
	v_add3_u32 v23, v23, v29, s8
	v_perm_b32 v22, v23, v22, s44
	v_bfe_u32 v23, v33, 16, 1
	v_bfe_u32 v29, v32, 16, 1
	v_add3_u32 v29, v32, v29, s8
	v_add3_u32 v23, v33, v23, s8
	v_pk_mul_f32 v[30:31], v[40:41], v[30:31] op_sel_hi:[0,1]
	v_perm_b32 v23, v23, v29, s44
	v_bfe_u32 v29, v31, 16, 1
	v_bfe_u32 v32, v30, 16, 1
	ds_write2st64_b64 v20, v[44:45], v[22:23] offset1:1
	v_pk_mul_f32 v[22:23], v[40:41], v[34:35] op_sel_hi:[0,1]
	v_add3_u32 v30, v30, v32, s8
	v_add3_u32 v29, v31, v29, s8
	v_perm_b32 v30, v29, v30, s44
	v_bfe_u32 v29, v23, 16, 1
	v_bfe_u32 v31, v22, 16, 1
	v_add3_u32 v22, v22, v31, s8
	v_add3_u32 v23, v23, v29, s8
	v_perm_b32 v31, v23, v22, s44
	v_pk_mul_f32 v[22:23], v[40:41], v[24:25] op_sel_hi:[0,1]
	v_bfe_u32 v24, v23, 16, 1
	v_bfe_u32 v25, v22, 16, 1
	v_pk_mul_f32 v[18:19], v[40:41], v[18:19] op_sel_hi:[0,1]
	v_add3_u32 v22, v22, v25, s8
	v_add3_u32 v23, v23, v24, s8
	v_perm_b32 v22, v23, v22, s44
	v_bfe_u32 v23, v19, 16, 1
	v_bfe_u32 v24, v18, 16, 1
	v_add3_u32 v18, v18, v24, s8
	v_add3_u32 v19, v19, v23, s8
	v_perm_b32 v23, v19, v18, s44
	v_cmp_gt_u32_e32 vcc, 3, v0
	ds_write2st64_b64 v20, v[30:31], v[22:23] offset0:2 offset1:3
	s_and_saveexec_b64 s[4:5], vcc
	s_cbranch_execz .LBB1126_15
; %bb.14:
	s_mov_b32 s49, 0
	v_mov_b32_e32 v29, 0
	v_lshl_add_u64 v[18:19], s[48:49], 0, v[28:29]
	v_mov_b32_e32 v22, s7
	v_mad_u64_u32 v[18:19], s[10:11], s2, v22, v[18:19]
	s_mul_i32 s3, s3, s7
	v_mov_b32_e32 v28, s28
	s_load_dwordx4 s[12:15], s[0:1], 0x58
	v_add_u32_e32 v23, s3, v19
	v_mad_u64_u32 v[18:19], s[10:11], v18, s6, v[28:29]
	v_mov_b32_e32 v22, v19
	v_mad_u64_u32 v[22:23], s[10:11], v23, s6, v[22:23]
	v_mov_b32_e32 v19, v22
	v_lshlrev_b64 v[18:19], 2, v[18:19]
	s_waitcnt lgkmcnt(0)
	v_lshl_add_u64 v[22:23], s[14:15], 0, v[18:19]
	v_lshl_add_u64 v[18:19], s[12:13], 0, v[18:19]
	global_store_dword v[22:23], v27, off
	global_store_dword v[18:19], v38, off
.LBB1126_15:
	s_or_b64 exec, exec, s[4:5]
	s_waitcnt vmcnt(3)
	v_cvt_pk_f32_fp8_e32 v[18:19], v14
	v_cvt_pk_f32_fp8_sdwa v[22:23], v14 src0_sel:WORD_1
	s_mov_b32 s4, 0x7060302
	v_lshl_or_b32 v14, v42, 9, v21
	s_waitcnt lgkmcnt(0)
	s_barrier
	v_perm_b32 v18, v19, v18, s4
	v_perm_b32 v19, v23, v22, s4
	v_cvt_pk_f32_fp8_e32 v[28:29], v15
	ds_read_b128 v[22:25], v14
	v_cvt_pk_f32_fp8_sdwa v[36:37], v15 src0_sel:WORD_1
	s_load_dword s10, s[42:43], 0x0
	v_perm_b32 v38, v29, v28, s4
	ds_read_b128 v[28:31], v14 offset:16
	v_perm_b32 v39, v37, v36, s4
	s_waitcnt lgkmcnt(0)
	v_mfma_f32_16x16x16_bf16 v[32:35], v[18:19], v[22:23], 0
	v_cvt_pk_f32_fp8_e32 v[18:19], v16
	v_cvt_pk_f32_fp8_sdwa v[36:37], v16 src0_sel:WORD_1
	v_cmp_gt_u32_e32 vcc, 64, v0
	v_mfma_f32_16x16x16_bf16 v[22:25], v[38:39], v[24:25], v[32:35]
	v_perm_b32 v18, v19, v18, s4
	v_perm_b32 v19, v37, v36, s4
	s_waitcnt vmcnt(2)
	v_cvt_pk_f32_fp8_sdwa v[36:37], v10 src0_sel:WORD_1
	v_cvt_pk_f32_fp8_e32 v[32:33], v17
	v_cvt_pk_f32_fp8_sdwa v[16:17], v17 src0_sel:WORD_1
	v_cvt_pk_f32_fp8_e32 v[34:35], v10
	s_mov_b32 s3, 0
	v_perm_b32 v32, v33, v32, s4
	v_perm_b32 v33, v17, v16, s4
	v_mfma_f32_16x16x16_bf16 v[16:19], v[18:19], v[28:29], v[22:25]
	v_perm_b32 v34, v35, v34, s4
	v_perm_b32 v35, v37, v36, s4
	v_cvt_pk_f32_fp8_e32 v[28:29], v11
	ds_read_b128 v[22:25], v14 offset:2048
	v_cvt_pk_f32_fp8_sdwa v[10:11], v11 src0_sel:WORD_1
	v_mfma_f32_16x16x16_bf16 v[16:19], v[32:33], v[30:31], v[16:19]
	v_perm_b32 v32, v29, v28, s4
	ds_read_b128 v[28:31], v14 offset:2064
	v_perm_b32 v33, v11, v10, s4
	s_waitcnt lgkmcnt(1)
	v_mfma_f32_16x16x16_bf16 v[16:19], v[34:35], v[22:23], v[16:19]
	v_cvt_pk_f32_fp8_e32 v[10:11], v12
	v_cvt_pk_f32_fp8_sdwa v[22:23], v12 src0_sel:WORD_1
	v_mov_b32_e32 v27, 0
	v_mfma_f32_16x16x16_bf16 v[16:19], v[32:33], v[24:25], v[16:19]
	v_cvt_pk_f32_fp8_e32 v[24:25], v13
	v_perm_b32 v10, v11, v10, s4
	v_perm_b32 v11, v23, v22, s4
	v_cvt_pk_f32_fp8_sdwa v[12:13], v13 src0_sel:WORD_1
	v_perm_b32 v22, v25, v24, s4
	s_waitcnt vmcnt(1)
	v_cvt_pk_f32_fp8_e32 v[24:25], v6
	v_cvt_pk_f32_fp8_sdwa v[32:33], v6 src0_sel:WORD_1
	v_perm_b32 v23, v13, v12, s4
	s_waitcnt lgkmcnt(0)
	v_mfma_f32_16x16x16_bf16 v[10:13], v[10:11], v[28:29], v[16:19]
	v_perm_b32 v28, v25, v24, s4
	v_perm_b32 v29, v33, v32, s4
	v_cvt_pk_f32_fp8_e32 v[24:25], v7
	ds_read_b128 v[16:19], v14 offset:4096
	v_cvt_pk_f32_fp8_sdwa v[6:7], v7 src0_sel:WORD_1
	v_mfma_f32_16x16x16_bf16 v[10:13], v[22:23], v[30:31], v[10:13]
	v_perm_b32 v30, v25, v24, s4
	ds_read_b128 v[22:25], v14 offset:4112
	v_perm_b32 v31, v7, v6, s4
	s_waitcnt lgkmcnt(1)
	v_mfma_f32_16x16x16_bf16 v[10:13], v[28:29], v[16:17], v[10:13]
	v_cvt_pk_f32_fp8_e32 v[6:7], v8
	v_cvt_pk_f32_fp8_sdwa v[16:17], v8 src0_sel:WORD_1
	s_waitcnt vmcnt(0)
	v_cvt_pk_f32_fp8_sdwa v[28:29], v2 src0_sel:WORD_1
	v_mfma_f32_16x16x16_bf16 v[10:13], v[30:31], v[18:19], v[10:13]
	v_cvt_pk_f32_fp8_e32 v[18:19], v9
	v_perm_b32 v6, v7, v6, s4
	v_perm_b32 v7, v17, v16, s4
	v_cvt_pk_f32_fp8_sdwa v[8:9], v9 src0_sel:WORD_1
	v_perm_b32 v16, v19, v18, s4
	v_cvt_pk_f32_fp8_e32 v[18:19], v2
	v_perm_b32 v17, v9, v8, s4
	s_waitcnt lgkmcnt(0)
	v_mfma_f32_16x16x16_bf16 v[6:9], v[6:7], v[22:23], v[10:13]
	v_perm_b32 v18, v19, v18, s4
	v_perm_b32 v19, v29, v28, s4
	v_cvt_pk_f32_fp8_e32 v[22:23], v3
	ds_read_b128 v[10:13], v14 offset:6144
	v_cvt_pk_f32_fp8_sdwa v[2:3], v3 src0_sel:WORD_1
	v_mfma_f32_16x16x16_bf16 v[6:9], v[16:17], v[24:25], v[6:9]
	v_perm_b32 v22, v23, v22, s4
	ds_read_b128 v[14:17], v14 offset:6160
	v_perm_b32 v23, v3, v2, s4
	s_waitcnt lgkmcnt(1)
	v_mfma_f32_16x16x16_bf16 v[6:9], v[18:19], v[10:11], v[6:9]
	v_cvt_pk_f32_fp8_e32 v[2:3], v4
	v_cvt_pk_f32_fp8_sdwa v[10:11], v4 src0_sel:WORD_1
	s_waitcnt lgkmcnt(0)
	v_mfma_f32_16x16x16_bf16 v[6:9], v[22:23], v[12:13], v[6:9]
	v_perm_b32 v2, v3, v2, s4
	v_perm_b32 v3, v11, v10, s4
	v_cvt_pk_f32_fp8_e32 v[10:11], v5
	v_cvt_pk_f32_fp8_sdwa v[4:5], v5 src0_sel:WORD_1
	s_barrier
	v_perm_b32 v10, v11, v10, s4
	v_perm_b32 v11, v5, v4, s4
	v_mfma_f32_16x16x16_bf16 v[2:5], v[2:3], v[14:15], v[6:9]
	s_nop 0
	v_mfma_f32_16x16x16_bf16 v[2:5], v[10:11], v[16:17], v[2:5]
	s_nop 6
	v_pk_mul_f32 v[2:3], v[2:3], s[10:11] op_sel_hi:[1,0]
	v_pk_mul_f32 v[4:5], v[4:5], s[10:11] op_sel_hi:[1,0]
	v_bfe_u32 v6, v3, 16, 1
	v_bfe_u32 v7, v2, 16, 1
	v_add3_u32 v2, v2, v7, s8
	v_add3_u32 v3, v3, v6, s8
	v_perm_b32 v2, v3, v2, s4
	v_bfe_u32 v3, v5, 16, 1
	v_bfe_u32 v6, v4, 16, 1
	v_add3_u32 v4, v4, v6, s8
	v_add3_u32 v3, v5, v3, s8
	v_perm_b32 v3, v3, v4, s4
	v_cmp_ne_u32_e64 s[4:5], 3, v42
	s_and_b64 s[4:5], s[4:5], vcc
	s_and_b64 s[4:5], s[4:5], s[30:31]
	ds_write_b64 v20, v[2:3]
	s_waitcnt lgkmcnt(0)
	s_barrier
	s_and_saveexec_b64 s[8:9], s[4:5]
	s_cbranch_execz .LBB1126_17
; %bb.16:
	s_load_dwordx2 s[0:1], s[0:1], 0x68
	s_mul_i32 s2, s7, s2
	s_lshl_b32 s6, s6, 6
	s_mul_hi_u32 s5, s2, s6
	s_mul_i32 s4, s2, s6
	v_lshlrev_b32_e32 v0, 10, v0
	s_lshl_b64 s[4:5], s[4:5], 1
	v_and_b32_e32 v0, 0x1800, v0
	v_lshlrev_b32_e32 v2, 5, v42
	v_and_b32_e32 v3, 16, v43
	s_waitcnt lgkmcnt(0)
	s_add_u32 s4, s0, s4
	v_or3_b32 v0, v0, v2, v3
	s_addc_u32 s5, s1, s5
	s_lshl_b32 s2, s28, 6
	ds_read_b128 v[2:5], v0
	s_lshl_b64 s[0:1], s[2:3], 1
	s_add_u32 s0, s4, s0
	s_addc_u32 s1, s5, s1
	v_mad_u64_u32 v[0:1], s[2:3], s6, v1, 0
	v_lshl_add_u64 v[0:1], v[0:1], 1, s[0:1]
	v_lshl_add_u64 v[0:1], v[0:1], 0, v[26:27]
	s_waitcnt lgkmcnt(0)
	global_store_dwordx4 v[0:1], v[2:5], off
.LBB1126_17:
	s_endpgm
	.section	.rodata,"a",@progbits
	.p2align	6, 0x0
	.amdhsa_kernel _Z39paged_attention_ll4mi_QKV_mfma16_kernelI14__hip_bfloat16hLN4vllm18Fp8KVCacheDataTypeE1EhLi16ELi64ELi256ELb0ELi3EEvPKT_PKT0_S8_ifPKiSA_SA_iPKfiiiPfSD_PS3_PT2_iSC_SC_
		.amdhsa_group_segment_fixed_size 8192
		.amdhsa_private_segment_fixed_size 0
		.amdhsa_kernarg_size 400
		.amdhsa_user_sgpr_count 2
		.amdhsa_user_sgpr_dispatch_ptr 0
		.amdhsa_user_sgpr_queue_ptr 0
		.amdhsa_user_sgpr_kernarg_segment_ptr 1
		.amdhsa_user_sgpr_dispatch_id 0
		.amdhsa_user_sgpr_kernarg_preload_length 0
		.amdhsa_user_sgpr_kernarg_preload_offset 0
		.amdhsa_user_sgpr_private_segment_size 0
		.amdhsa_uses_dynamic_stack 0
		.amdhsa_enable_private_segment 0
		.amdhsa_system_sgpr_workgroup_id_x 1
		.amdhsa_system_sgpr_workgroup_id_y 1
		.amdhsa_system_sgpr_workgroup_id_z 1
		.amdhsa_system_sgpr_workgroup_info 0
		.amdhsa_system_vgpr_workitem_id 0
		.amdhsa_next_free_vgpr 60
		.amdhsa_next_free_sgpr 50
		.amdhsa_accum_offset 60
		.amdhsa_reserve_vcc 1
		.amdhsa_float_round_mode_32 0
		.amdhsa_float_round_mode_16_64 0
		.amdhsa_float_denorm_mode_32 3
		.amdhsa_float_denorm_mode_16_64 3
		.amdhsa_dx10_clamp 1
		.amdhsa_ieee_mode 1
		.amdhsa_fp16_overflow 0
		.amdhsa_tg_split 0
		.amdhsa_exception_fp_ieee_invalid_op 0
		.amdhsa_exception_fp_denorm_src 0
		.amdhsa_exception_fp_ieee_div_zero 0
		.amdhsa_exception_fp_ieee_overflow 0
		.amdhsa_exception_fp_ieee_underflow 0
		.amdhsa_exception_fp_ieee_inexact 0
		.amdhsa_exception_int_div_zero 0
	.end_amdhsa_kernel
	.section	.text._Z39paged_attention_ll4mi_QKV_mfma16_kernelI14__hip_bfloat16hLN4vllm18Fp8KVCacheDataTypeE1EhLi16ELi64ELi256ELb0ELi3EEvPKT_PKT0_S8_ifPKiSA_SA_iPKfiiiPfSD_PS3_PT2_iSC_SC_,"axG",@progbits,_Z39paged_attention_ll4mi_QKV_mfma16_kernelI14__hip_bfloat16hLN4vllm18Fp8KVCacheDataTypeE1EhLi16ELi64ELi256ELb0ELi3EEvPKT_PKT0_S8_ifPKiSA_SA_iPKfiiiPfSD_PS3_PT2_iSC_SC_,comdat
.Lfunc_end1126:
	.size	_Z39paged_attention_ll4mi_QKV_mfma16_kernelI14__hip_bfloat16hLN4vllm18Fp8KVCacheDataTypeE1EhLi16ELi64ELi256ELb0ELi3EEvPKT_PKT0_S8_ifPKiSA_SA_iPKfiiiPfSD_PS3_PT2_iSC_SC_, .Lfunc_end1126-_Z39paged_attention_ll4mi_QKV_mfma16_kernelI14__hip_bfloat16hLN4vllm18Fp8KVCacheDataTypeE1EhLi16ELi64ELi256ELb0ELi3EEvPKT_PKT0_S8_ifPKiSA_SA_iPKfiiiPfSD_PS3_PT2_iSC_SC_
                                        ; -- End function
	.section	.AMDGPU.csdata,"",@progbits
; Kernel info:
; codeLenInByte = 4780
; NumSgprs: 56
; NumVgprs: 60
; NumAgprs: 0
; TotalNumVgprs: 60
; ScratchSize: 0
; MemoryBound: 0
; FloatMode: 240
; IeeeMode: 1
; LDSByteSize: 8192 bytes/workgroup (compile time only)
; SGPRBlocks: 6
; VGPRBlocks: 7
; NumSGPRsForWavesPerEU: 56
; NumVGPRsForWavesPerEU: 60
; AccumOffset: 60
; Occupancy: 8
; WaveLimiterHint : 1
; COMPUTE_PGM_RSRC2:SCRATCH_EN: 0
; COMPUTE_PGM_RSRC2:USER_SGPR: 2
; COMPUTE_PGM_RSRC2:TRAP_HANDLER: 0
; COMPUTE_PGM_RSRC2:TGID_X_EN: 1
; COMPUTE_PGM_RSRC2:TGID_Y_EN: 1
; COMPUTE_PGM_RSRC2:TGID_Z_EN: 1
; COMPUTE_PGM_RSRC2:TIDIG_COMP_CNT: 0
; COMPUTE_PGM_RSRC3_GFX90A:ACCUM_OFFSET: 14
; COMPUTE_PGM_RSRC3_GFX90A:TG_SPLIT: 0
	.section	.text._Z39paged_attention_ll4mi_QKV_mfma16_kernelI14__hip_bfloat16hLN4vllm18Fp8KVCacheDataTypeE1EhLi16ELi64ELi256ELb0ELi4EEvPKT_PKT0_S8_ifPKiSA_SA_iPKfiiiPfSD_PS3_PT2_iSC_SC_,"axG",@progbits,_Z39paged_attention_ll4mi_QKV_mfma16_kernelI14__hip_bfloat16hLN4vllm18Fp8KVCacheDataTypeE1EhLi16ELi64ELi256ELb0ELi4EEvPKT_PKT0_S8_ifPKiSA_SA_iPKfiiiPfSD_PS3_PT2_iSC_SC_,comdat
	.protected	_Z39paged_attention_ll4mi_QKV_mfma16_kernelI14__hip_bfloat16hLN4vllm18Fp8KVCacheDataTypeE1EhLi16ELi64ELi256ELb0ELi4EEvPKT_PKT0_S8_ifPKiSA_SA_iPKfiiiPfSD_PS3_PT2_iSC_SC_ ; -- Begin function _Z39paged_attention_ll4mi_QKV_mfma16_kernelI14__hip_bfloat16hLN4vllm18Fp8KVCacheDataTypeE1EhLi16ELi64ELi256ELb0ELi4EEvPKT_PKT0_S8_ifPKiSA_SA_iPKfiiiPfSD_PS3_PT2_iSC_SC_
	.globl	_Z39paged_attention_ll4mi_QKV_mfma16_kernelI14__hip_bfloat16hLN4vllm18Fp8KVCacheDataTypeE1EhLi16ELi64ELi256ELb0ELi4EEvPKT_PKT0_S8_ifPKiSA_SA_iPKfiiiPfSD_PS3_PT2_iSC_SC_
	.p2align	8
	.type	_Z39paged_attention_ll4mi_QKV_mfma16_kernelI14__hip_bfloat16hLN4vllm18Fp8KVCacheDataTypeE1EhLi16ELi64ELi256ELb0ELi4EEvPKT_PKT0_S8_ifPKiSA_SA_iPKfiiiPfSD_PS3_PT2_iSC_SC_,@function
_Z39paged_attention_ll4mi_QKV_mfma16_kernelI14__hip_bfloat16hLN4vllm18Fp8KVCacheDataTypeE1EhLi16ELi64ELi256ELb0ELi4EEvPKT_PKT0_S8_ifPKiSA_SA_iPKfiiiPfSD_PS3_PT2_iSC_SC_: ; @_Z39paged_attention_ll4mi_QKV_mfma16_kernelI14__hip_bfloat16hLN4vllm18Fp8KVCacheDataTypeE1EhLi16ELi64ELi256ELb0ELi4EEvPKT_PKT0_S8_ifPKiSA_SA_iPKfiiiPfSD_PS3_PT2_iSC_SC_
; %bb.0:
	s_load_dwordx2 s[6:7], s[0:1], 0x30
	s_mov_b32 s26, s3
	s_mov_b64 s[8:9], 0
	s_waitcnt lgkmcnt(0)
	s_cmp_lg_u64 s[6:7], 0
	s_cselect_b64 s[14:15], -1, 0
	s_and_b64 vcc, exec, s[14:15]
	s_cbranch_vccz .LBB1127_7
; %bb.1:
	s_add_i32 s10, s2, 1
	s_mov_b32 s11, 0
	s_lshl_b64 s[12:13], s[10:11], 2
	s_add_u32 s12, s6, s12
	s_mov_b32 s3, s11
	s_addc_u32 s13, s7, s13
	s_lshl_b64 s[10:11], s[2:3], 2
	s_add_u32 s10, s6, s10
	s_addc_u32 s11, s7, s11
	s_load_dword s5, s[12:13], 0x0
	s_load_dword s16, s[10:11], 0x0
	s_waitcnt lgkmcnt(0)
	s_sub_i32 s5, s5, s16
	s_cmp_eq_u32 s5, 1
	s_cselect_b64 s[10:11], -1, 0
	s_andn2_b64 vcc, exec, s[8:9]
	s_cbranch_vccnz .LBB1127_3
.LBB1127_2:
	s_mov_b32 s3, 0
	s_mov_b64 s[10:11], -1
.LBB1127_3:
	s_andn2_b64 vcc, exec, s[10:11]
	s_cbranch_vccnz .LBB1127_17
; %bb.4:
	s_load_dwordx2 s[8:9], s[0:1], 0x28
	s_lshl_b64 s[16:17], s[2:3], 2
	s_waitcnt lgkmcnt(0)
	s_add_u32 s8, s8, s16
	s_addc_u32 s9, s9, s17
	s_load_dword s5, s[8:9], 0x0
	s_lshl_b32 s18, s26, 8
	s_waitcnt lgkmcnt(0)
	s_cmp_ge_i32 s18, s5
	s_cbranch_scc1 .LBB1127_17
; %bb.5:
	s_load_dwordx2 s[8:9], s[0:1], 0x20
	s_load_dword s10, s[0:1], 0x38
	s_add_i32 s11, s5, 15
	s_ashr_i32 s12, s11, 31
	v_and_b32_e32 v1, 0xcf, v0
	s_lshr_b32 s12, s12, 28
	v_add_u32_e32 v1, s18, v1
	s_add_i32 s11, s11, s12
	v_ashrrev_i32_e32 v2, 31, v1
	s_ashr_i32 s19, s11, 4
	v_lshrrev_b32_e32 v4, 28, v2
	s_add_i32 s19, s19, -1
	s_waitcnt lgkmcnt(0)
	s_mul_i32 s10, s2, s10
	s_mov_b32 s11, 0
	v_add_u32_e32 v2, v1, v4
	s_lshl_b64 s[10:11], s[10:11], 2
	v_ashrrev_i32_e32 v2, 4, v2
	v_mov_b32_e32 v5, s19
	v_cmp_gt_i32_e32 vcc, s5, v1
	s_add_u32 s12, s8, s10
	s_addc_u32 s13, s9, s11
	v_cndmask_b32_e32 v2, v5, v2, vcc
	v_ashrrev_i32_e32 v3, 31, v2
	v_lshl_add_u64 v[6:7], v[2:3], 2, s[12:13]
	v_or_b32_e32 v2, 16, v1
	v_add_u32_e32 v3, v2, v4
	v_ashrrev_i32_e32 v3, 4, v3
	v_cmp_gt_i32_e32 vcc, s5, v2
	s_load_dwordx4 s[8:11], s[0:1], 0x8
	s_nop 0
	v_cndmask_b32_e32 v2, v5, v3, vcc
	v_ashrrev_i32_e32 v3, 31, v2
	v_lshl_add_u64 v[8:9], v[2:3], 2, s[12:13]
	v_or_b32_e32 v2, 32, v1
	v_add_u32_e32 v3, v2, v4
	v_ashrrev_i32_e32 v3, 4, v3
	v_cmp_gt_i32_e32 vcc, s5, v2
	v_or_b32_e32 v1, 48, v1
	s_nop 0
	v_cndmask_b32_e32 v2, v5, v3, vcc
	v_ashrrev_i32_e32 v3, 31, v2
	v_lshl_add_u64 v[10:11], v[2:3], 2, s[12:13]
	v_add_u32_e32 v2, v1, v4
	v_ashrrev_i32_e32 v2, 4, v2
	v_cmp_gt_i32_e32 vcc, s5, v1
	s_nop 1
	v_cndmask_b32_e32 v2, v5, v2, vcc
	v_ashrrev_i32_e32 v3, 31, v2
	v_lshl_add_u64 v[12:13], v[2:3], 2, s[12:13]
	global_load_dword v4, v[6:7], off
	global_load_dword v3, v[8:9], off
	;; [unrolled: 1-line block ×4, first 2 shown]
	s_andn2_b64 vcc, exec, s[14:15]
	s_cbranch_vccnz .LBB1127_8
; %bb.6:
	s_add_u32 s6, s6, s16
	s_addc_u32 s7, s7, s17
	s_load_dword s14, s[6:7], 0x0
	s_branch .LBB1127_9
.LBB1127_7:
	s_mov_b64 s[10:11], 0
	s_branch .LBB1127_2
.LBB1127_8:
	s_mov_b32 s14, s2
.LBB1127_9:
	s_load_dwordx4 s[44:47], s[0:1], 0x48
	v_and_b32_e32 v44, 15, v0
	v_bfe_u32 v42, v0, 4, 2
	s_lshl_b32 s27, s4, 2
	v_lshlrev_b32_e32 v5, 3, v44
	v_cmp_gt_u32_e32 vcc, 64, v0
	v_cmp_gt_u32_e64 s[6:7], 8, v44
	v_lshrrev_b32_e32 v43, 6, v0
	v_and_b32_e32 v45, 63, v0
	v_or_b32_e32 v1, s27, v42
	s_and_b64 s[48:49], vcc, s[6:7]
	v_lshlrev_b32_e32 v26, 1, v5
	v_lshlrev_b32_e32 v40, 5, v42
	;; [unrolled: 1-line block ×3, first 2 shown]
	s_and_saveexec_b64 s[6:7], s[48:49]
	s_cbranch_execz .LBB1127_11
; %bb.10:
	s_load_dwordx2 s[16:17], s[0:1], 0x0
	s_waitcnt lgkmcnt(0)
	s_ashr_i32 s15, s44, 31
	s_mul_hi_u32 s20, s14, s44
	s_mul_i32 s15, s14, s15
	s_add_i32 s15, s20, s15
	s_mul_i32 s14, s14, s44
	s_lshl_b64 s[14:15], s[14:15], 1
	s_add_u32 s14, s16, s14
	v_lshlrev_b32_e32 v6, 6, v1
	s_addc_u32 s15, s17, s15
	v_ashrrev_i32_e32 v7, 31, v6
	v_lshl_add_u64 v[6:7], v[6:7], 1, s[14:15]
	v_mov_b32_e32 v27, 0
	v_lshl_add_u64 v[6:7], v[6:7], 0, v[26:27]
	global_load_dwordx4 v[6:9], v[6:7], off
	v_lshlrev_b32_e32 v11, 8, v44
	v_lshl_or_b32 v5, v43, 7, v40
	v_and_b32_e32 v10, 16, v41
	v_and_b32_e32 v11, 0xe00, v11
	v_or3_b32 v5, v11, v5, v10
	s_waitcnt vmcnt(0)
	ds_write_b128 v5, v[6:9]
.LBB1127_11:
	s_or_b64 exec, exec, s[6:7]
	s_waitcnt lgkmcnt(0)
	s_mul_i32 s4, s4, s46
	s_add_u32 s6, s8, s4
	s_addc_u32 s7, s9, 0
	v_and_b32_e32 v8, 48, v0
	v_and_b32_e32 v28, 0xf0, v41
	v_mov_b32_e32 v29, 0
	v_lshl_add_u64 v[6:7], s[6:7], 0, v[28:29]
	v_lshlrev_b32_e32 v28, 4, v8
	v_lshl_add_u64 v[18:19], v[6:7], 0, v[28:29]
	s_waitcnt vmcnt(3)
	v_mad_i64_i32 v[4:5], s[6:7], v4, s45, v[18:19]
	s_load_dword s33, s[0:1], 0x98
	s_load_dwordx4 s[40:43], s[0:1], 0x80
	s_waitcnt lgkmcnt(0)
	s_barrier
	global_load_dwordx4 v[22:25], v[4:5], off
	s_waitcnt vmcnt(3)
	v_mad_i64_i32 v[4:5], s[6:7], v3, s45, v[18:19]
	global_load_dwordx4 v[10:13], v[4:5], off
	v_or_b32_e32 v6, s18, v8
	v_mov_b32_e32 v27, s19
	v_ashrrev_i32_e32 v3, 4, v6
	v_cmp_gt_i32_e32 vcc, s5, v6
	v_and_b32_e32 v7, 3, v0
	v_lshlrev_b32_e32 v7, 5, v7
	v_cndmask_b32_e32 v4, v27, v3, vcc
	v_ashrrev_i32_e32 v5, 31, v4
	v_lshl_add_u64 v[4:5], v[4:5], 2, s[12:13]
	s_waitcnt vmcnt(3)
	v_mad_i64_i32 v[2:3], s[6:7], v2, s45, v[18:19]
	global_load_dword v58, v[4:5], off
	v_lshl_or_b32 v7, v42, 9, v7
	global_load_dwordx4 v[2:5], v[2:3], off
	v_or_b32_e32 v21, 64, v6
	s_waitcnt vmcnt(4)
	v_mad_i64_i32 v[18:19], s[8:9], v20, s45, v[18:19]
	v_or_b32_e32 v31, 0x80, v6
	v_or_b32_e32 v33, 0xc0, v6
	ds_read_b128 v[14:17], v7
	ds_read_b128 v[6:9], v7 offset:16
	v_ashrrev_i32_e32 v30, 4, v21
	v_cmp_gt_i32_e32 vcc, s5, v21
	global_load_dwordx4 v[18:21], v[18:19], off
	v_ashrrev_i32_e32 v32, 4, v31
	v_cndmask_b32_e32 v30, v27, v30, vcc
	v_cmp_gt_i32_e32 vcc, s5, v31
	v_ashrrev_i32_e32 v34, 4, v33
	v_ashrrev_i32_e32 v31, 31, v30
	v_cndmask_b32_e32 v32, v27, v32, vcc
	v_cmp_gt_i32_e32 vcc, s5, v33
	v_ashrrev_i32_e32 v33, 31, v32
	v_lshl_add_u64 v[30:31], v[30:31], 2, s[12:13]
	v_cndmask_b32_e32 v34, v27, v34, vcc
	v_ashrrev_i32_e32 v35, 31, v34
	v_lshl_add_u64 v[34:35], v[34:35], 2, s[12:13]
	s_add_u32 s6, s10, s4
	s_load_dword s4, s[40:41], 0x0
	v_lshl_add_u64 v[36:37], v[32:33], 2, s[12:13]
	global_load_dword v33, v[30:31], off
	global_load_dword v27, v[36:37], off
	;; [unrolled: 1-line block ×3, first 2 shown]
	s_mov_b32 s44, 0x7060302
	s_load_dword s14, s[0:1], 0x1c
	s_mov_b32 s40, 0xff7fffff
	v_lshlrev_b32_e32 v28, 4, v44
	s_addc_u32 s7, s11, 0
	v_lshl_or_b32 v28, v43, 8, v28
	s_waitcnt lgkmcnt(0)
	v_mov_b32_e32 v59, s14
	v_lshl_add_u64 v[28:29], s[6:7], 0, v[28:29]
	s_waitcnt vmcnt(7)
	v_cvt_pk_f32_fp8_e32 v[30:31], v22
	v_cvt_pk_f32_fp8_sdwa v[34:35], v22 src0_sel:WORD_1
	v_cvt_pk_f32_fp8_e32 v[36:37], v23
	v_cvt_pk_f32_fp8_sdwa v[38:39], v23 src0_sel:WORD_1
	v_perm_b32 v30, v31, v30, s44
	v_perm_b32 v31, v35, v34, s44
	s_waitcnt vmcnt(6)
	v_cvt_pk_f32_fp8_e32 v[22:23], v10
	v_cvt_pk_f32_fp8_sdwa v[52:53], v10 src0_sel:WORD_1
	v_cvt_pk_f32_fp8_e32 v[46:47], v24
	v_cvt_pk_f32_fp8_sdwa v[48:49], v24 src0_sel:WORD_1
	;; [unrolled: 2-line block ×3, first 2 shown]
	v_perm_b32 v34, v23, v22, s44
	v_mfma_f32_16x16x16_bf16 v[22:25], v[30:31], v[14:15], 0
	v_perm_b32 v30, v37, v36, s44
	v_perm_b32 v31, v39, v38, s44
	v_cvt_pk_f32_fp8_e32 v[56:57], v11
	v_perm_b32 v35, v53, v52, s44
	v_cvt_pk_f32_fp8_sdwa v[10:11], v11 src0_sel:WORD_1
	v_mfma_f32_16x16x16_bf16 v[22:25], v[30:31], v[16:17], v[22:25]
	v_perm_b32 v52, v57, v56, s44
	v_perm_b32 v53, v11, v10, s44
	;; [unrolled: 1-line block ×4, first 2 shown]
	v_mfma_f32_16x16x16_bf16 v[34:37], v[34:35], v[14:15], 0
	v_cvt_pk_f32_fp8_e32 v[38:39], v12
	v_cvt_pk_f32_fp8_sdwa v[10:11], v12 src0_sel:WORD_1
	v_perm_b32 v46, v51, v50, s44
	v_mfma_f32_16x16x16_bf16 v[34:37], v[52:53], v[16:17], v[34:37]
	v_cvt_pk_f32_fp8_e32 v[52:53], v13
	v_perm_b32 v47, v55, v54, s44
	v_cvt_pk_f32_fp8_sdwa v[12:13], v13 src0_sel:WORD_1
	v_mfma_f32_16x16x16_bf16 v[22:25], v[30:31], v[6:7], v[22:25]
	v_perm_b32 v30, v39, v38, s44
	v_perm_b32 v31, v11, v10, s44
	;; [unrolled: 1-line block ×4, first 2 shown]
	v_mfma_f32_16x16x16_bf16 v[46:49], v[46:47], v[8:9], v[22:25]
	s_waitcnt vmcnt(4)
	v_cvt_pk_f32_fp8_e32 v[12:13], v2
	v_cvt_pk_f32_fp8_sdwa v[50:51], v4 src0_sel:WORD_1
	v_mul_f32_e32 v52, s4, v59
	v_mfma_f32_16x16x16_bf16 v[22:25], v[30:31], v[6:7], v[34:37]
	v_cvt_pk_f32_fp8_sdwa v[30:31], v2 src0_sel:WORD_1
	v_perm_b32 v12, v13, v12, s44
	v_mad_i64_i32 v[10:11], s[6:7], v58, s45, v[28:29]
	v_mfma_f32_16x16x16_bf16 v[36:39], v[38:39], v[8:9], v[22:25]
	v_perm_b32 v13, v31, v30, s44
	v_cvt_pk_f32_fp8_e32 v[34:35], v4
	s_nop 0
	v_cvt_pk_f32_fp8_e32 v[22:23], v3
	v_cvt_pk_f32_fp8_sdwa v[2:3], v3 src0_sel:WORD_1
	v_perm_b32 v30, v23, v22, s44
	v_perm_b32 v31, v3, v2, s44
	v_mfma_f32_16x16x16_bf16 v[22:25], v[12:13], v[14:15], 0
	v_perm_b32 v12, v35, v34, s44
	v_perm_b32 v13, v51, v50, s44
	v_cvt_pk_f32_fp8_e32 v[34:35], v5
	v_cvt_pk_f32_fp8_sdwa v[50:51], v5 src0_sel:WORD_1
	v_mfma_f32_16x16x16_bf16 v[2:5], v[30:31], v[16:17], v[22:25]
	s_waitcnt vmcnt(3)
	v_cvt_pk_f32_fp8_sdwa v[30:31], v20 src0_sel:WORD_1
	s_nop 0
	v_perm_b32 v24, v35, v34, s44
	v_perm_b32 v25, v51, v50, s44
	v_pk_mul_f32 v[22:23], v[52:53], v[48:49] op_sel_hi:[0,1]
	v_mfma_f32_16x16x16_bf16 v[48:51], v[12:13], v[6:7], v[2:5]
	v_cvt_pk_f32_fp8_sdwa v[12:13], v18 src0_sel:WORD_1
	v_pk_mul_f32 v[34:35], v[52:53], v[38:39] op_sel_hi:[0,1]
	v_pk_mul_f32 v[38:39], v[52:53], v[36:37] op_sel_hi:[0,1]
	v_cvt_pk_f32_fp8_e32 v[4:5], v18
	v_pk_mul_f32 v[2:3], v[52:53], v[46:47] op_sel_hi:[0,1]
	v_mfma_f32_16x16x16_bf16 v[46:49], v[24:25], v[8:9], v[48:51]
	v_cvt_pk_f32_fp8_e32 v[24:25], v19
	v_perm_b32 v4, v5, v4, s44
	v_perm_b32 v5, v13, v12, s44
	v_cvt_pk_f32_fp8_sdwa v[12:13], v19 src0_sel:WORD_1
	v_perm_b32 v18, v25, v24, s44
	v_cvt_pk_f32_fp8_e32 v[24:25], v20
	s_nop 0
	v_pk_mul_f32 v[36:37], v[52:53], v[46:47] op_sel_hi:[0,1]
	v_perm_b32 v19, v13, v12, s44
	v_mfma_f32_16x16x16_bf16 v[12:15], v[4:5], v[14:15], 0
	v_perm_b32 v4, v25, v24, s44
	v_perm_b32 v5, v31, v30, s44
	v_cvt_pk_f32_fp8_e32 v[24:25], v21
	v_cvt_pk_f32_fp8_sdwa v[20:21], v21 src0_sel:WORD_1
	v_mfma_f32_16x16x16_bf16 v[12:15], v[18:19], v[16:17], v[12:15]
	v_pk_mul_f32 v[30:31], v[52:53], v[48:49] op_sel_hi:[0,1]
	v_perm_b32 v16, v25, v24, s44
	v_perm_b32 v17, v21, v20, s44
	v_mfma_f32_16x16x16_bf16 v[4:7], v[4:5], v[6:7], v[12:15]
	s_nop 0
	v_mfma_f32_16x16x16_bf16 v[4:7], v[16:17], v[8:9], v[4:7]
	s_nop 6
	v_pk_mul_f32 v[24:25], v[52:53], v[4:5] op_sel_hi:[0,1]
	v_and_b32_e32 v4, 0xc0, v0
	v_add_u32_e32 v4, s18, v4
	v_lshl_or_b32 v4, v42, 2, v4
	v_pk_mul_f32 v[18:19], v[52:53], v[6:7] op_sel_hi:[0,1]
	v_or_b32_e32 v7, 1, v4
	v_mov_b32_e32 v5, 0xff7fffff
	v_cmp_gt_i32_e64 s[28:29], s5, v4
	v_cmp_gt_i32_e64 s[30:31], s5, v7
	v_or_b32_e32 v8, 3, v4
	v_cndmask_b32_e64 v6, v5, v2, s[28:29]
	v_cndmask_b32_e64 v7, v5, v3, s[30:31]
	v_max3_f32 v6, v6, s40, v7
	v_or_b32_e32 v7, 2, v4
	v_cmp_gt_i32_e64 s[34:35], s5, v7
	v_cmp_gt_i32_e64 s[36:37], s5, v8
	s_nop 0
	v_cndmask_b32_e64 v7, v5, v22, s[34:35]
	v_cndmask_b32_e64 v8, v5, v23, s[36:37]
	v_max3_f32 v6, v6, v7, v8
	v_or_b32_e32 v7, 16, v4
	v_or_b32_e32 v8, 17, v4
	v_cmp_gt_i32_e64 s[22:23], s5, v7
	v_cmp_gt_i32_e64 s[24:25], s5, v8
	s_nop 0
	v_cndmask_b32_e64 v7, v5, v38, s[22:23]
	v_cndmask_b32_e64 v8, v5, v39, s[24:25]
	v_max3_f32 v6, v6, v7, v8
	v_or_b32_e32 v7, 18, v4
	;; [unrolled: 8-line block ×6, first 2 shown]
	v_or_b32_e32 v4, 51, v4
	v_cmp_gt_i32_e32 vcc, s5, v7
	v_cmp_gt_i32_e64 s[4:5], s5, v4
	s_nop 0
	v_cndmask_b32_e32 v7, v5, v18, vcc
	v_cndmask_b32_e64 v4, v5, v19, s[4:5]
	v_max3_f32 v6, v6, v7, v4
	v_mbcnt_lo_u32_b32 v4, -1, 0
	v_mbcnt_hi_u32_b32 v7, -1, v4
	v_and_b32_e32 v4, 64, v7
	v_add_u32_e32 v8, 64, v4
	v_xor_b32_e32 v4, 32, v7
	v_cmp_lt_i32_e64 s[38:39], v4, v8
	s_nop 1
	v_cndmask_b32_e64 v4, v7, v4, s[38:39]
	v_lshlrev_b32_e32 v46, 2, v4
	ds_bpermute_b32 v9, v46, v6
	s_waitcnt vmcnt(2)
	v_mad_i64_i32 v[4:5], s[38:39], v33, s45, v[28:29]
	global_load_dwordx4 v[14:17], v[10:11], off
	s_nop 0
	global_load_dwordx4 v[10:13], v[4:5], off
	v_xor_b32_e32 v5, 16, v7
	v_cmp_lt_i32_e64 s[38:39], v5, v8
	s_waitcnt lgkmcnt(0)
	v_max_f32_e32 v4, v9, v9
	v_max_f32_e32 v4, v6, v4
	v_cndmask_b32_e64 v5, v7, v5, s[38:39]
	v_lshlrev_b32_e32 v47, 2, v5
	ds_bpermute_b32 v5, v47, v4
	s_waitcnt vmcnt(3)
	v_mad_i64_i32 v[20:21], s[38:39], v27, s45, v[28:29]
	s_waitcnt vmcnt(2)
	v_mad_i64_i32 v[28:29], s[38:39], v32, s45, v[28:29]
	s_waitcnt lgkmcnt(0)
	v_max_f32_e32 v5, v5, v5
	v_max_f32_e32 v27, v4, v5
	v_sub_f32_e32 v2, v2, v27
	v_mul_f32_e32 v2, 0x3fb8aa3b, v2
	v_exp_f32_e32 v32, v2
	v_sub_f32_e32 v2, v3, v27
	v_mul_f32_e32 v2, 0x3fb8aa3b, v2
	v_exp_f32_e32 v33, v2
	global_load_dwordx4 v[6:9], v[20:21], off
	global_load_dwordx4 v[2:5], v[28:29], off
	v_sub_f32_e32 v22, v22, v27
	v_mul_f32_e32 v22, 0x3fb8aa3b, v22
	v_sub_f32_e32 v23, v23, v27
	v_exp_f32_e32 v22, v22
	v_mul_f32_e32 v23, 0x3fb8aa3b, v23
	v_exp_f32_e32 v23, v23
	v_cndmask_b32_e64 v20, 0, v32, s[28:29]
	v_add_f32_e32 v28, 0, v20
	v_cndmask_b32_e64 v21, 0, v33, s[30:31]
	v_add_f32_e32 v28, v28, v21
	;; [unrolled: 2-line block ×3, first 2 shown]
	v_cndmask_b32_e64 v33, 0, v23, s[36:37]
	v_sub_f32_e32 v23, v38, v27
	v_sub_f32_e32 v28, v39, v27
	v_mul_f32_e32 v23, 0x3fb8aa3b, v23
	v_mul_f32_e32 v28, 0x3fb8aa3b, v28
	v_exp_f32_e32 v23, v23
	v_exp_f32_e32 v28, v28
	v_add_f32_e32 v29, v22, v33
	v_sub_f32_e32 v30, v30, v27
	v_cndmask_b32_e64 v22, 0, v23, s[22:23]
	v_cndmask_b32_e64 v23, 0, v28, s[24:25]
	v_sub_f32_e32 v28, v34, v27
	v_mul_f32_e32 v28, 0x3fb8aa3b, v28
	v_exp_f32_e32 v28, v28
	v_sub_f32_e32 v34, v35, v27
	v_add_f32_e32 v29, v29, v22
	v_mul_f32_e32 v34, 0x3fb8aa3b, v34
	v_exp_f32_e32 v35, v34
	v_add_f32_e32 v29, v29, v23
	v_cndmask_b32_e64 v34, 0, v28, s[18:19]
	v_add_f32_e32 v28, v29, v34
	v_sub_f32_e32 v29, v36, v27
	v_mul_f32_e32 v29, 0x3fb8aa3b, v29
	v_sub_f32_e32 v36, v37, v27
	v_exp_f32_e32 v29, v29
	v_mul_f32_e32 v36, 0x3fb8aa3b, v36
	v_exp_f32_e32 v36, v36
	v_mul_f32_e32 v30, 0x3fb8aa3b, v30
	v_sub_f32_e32 v31, v31, v27
	v_exp_f32_e32 v30, v30
	v_mul_f32_e32 v31, 0x3fb8aa3b, v31
	v_sub_f32_e32 v24, v24, v27
	v_cndmask_b32_e64 v35, 0, v35, s[20:21]
	v_exp_f32_e32 v31, v31
	v_mul_f32_e32 v24, 0x3fb8aa3b, v24
	v_sub_f32_e32 v25, v25, v27
	v_add_f32_e32 v37, v28, v35
	v_cndmask_b32_e64 v28, 0, v29, s[14:15]
	v_exp_f32_e32 v24, v24
	v_mul_f32_e32 v25, 0x3fb8aa3b, v25
	v_sub_f32_e32 v18, v18, v27
	v_add_f32_e32 v37, v37, v28
	;; [unrolled: 5-line block ×3, first 2 shown]
	v_cndmask_b32_e64 v30, 0, v30, s[10:11]
	v_exp_f32_e32 v18, v18
	v_mul_f32_e32 v19, 0x3fb8aa3b, v19
	v_add_f32_e32 v36, v36, v30
	v_cndmask_b32_e64 v31, 0, v31, s[12:13]
	v_exp_f32_e32 v19, v19
	v_add_f32_e32 v36, v36, v31
	v_cndmask_b32_e64 v24, 0, v24, s[6:7]
	v_add_f32_e32 v36, v36, v24
	v_cndmask_b32_e64 v25, 0, v25, s[8:9]
	v_add_f32_e32 v36, v36, v25
	v_cndmask_b32_e32 v18, 0, v18, vcc
	v_add_f32_e32 v36, v36, v18
	v_cndmask_b32_e64 v19, 0, v19, s[4:5]
	v_add_f32_e32 v36, v36, v19
	ds_bpermute_b32 v37, v46, v36
	v_cmp_gt_u32_e32 vcc, 16, v45
	s_waitcnt lgkmcnt(0)
	s_barrier
	v_add_f32_e32 v37, v36, v37
	ds_bpermute_b32 v38, v47, v37
	v_lshlrev_b32_e32 v36, 2, v44
	s_and_saveexec_b64 s[4:5], vcc
	s_cbranch_execz .LBB1127_13
; %bb.12:
	s_waitcnt lgkmcnt(0)
	v_add_f32_e32 v37, v37, v38
	v_lshl_or_b32 v38, v43, 6, v36
	ds_write2st64_b32 v38, v27, v37 offset1:1
.LBB1127_13:
	s_or_b64 exec, exec, s[4:5]
	s_load_dword s6, s[0:1], 0x94
	s_waitcnt lgkmcnt(0)
	s_barrier
	ds_read2_b32 v[38:39], v36 offset1:16
	ds_read2_b32 v[46:47], v36 offset0:32 offset1:48
	ds_read2_b32 v[48:49], v36 offset0:64 offset1:80
	s_movk_i32 s8, 0x7fff
	s_lshl_b32 s7, s33, 2
	s_waitcnt lgkmcnt(2)
	v_max3_f32 v27, v38, s40, v39
	s_waitcnt lgkmcnt(1)
	v_max3_f32 v27, v27, v46, v47
	v_sub_f32_e32 v37, v38, v27
	v_sub_f32_e32 v38, v39, v27
	v_mul_f32_e32 v38, 0x3fb8aa3b, v38
	v_mul_f32_e32 v37, 0x3fb8aa3b, v37
	v_exp_f32_e32 v45, v38
	v_sub_f32_e32 v38, v46, v27
	v_exp_f32_e32 v37, v37
	v_mul_f32_e32 v38, 0x3fb8aa3b, v38
	v_exp_f32_e32 v46, v38
	ds_read2_b32 v[38:39], v36 offset0:96 offset1:112
	v_sub_f32_e32 v36, v47, v27
	v_mul_f32_e32 v36, 0x3fb8aa3b, v36
	v_exp_f32_e32 v47, v36
	s_waitcnt lgkmcnt(1)
	v_fma_f32 v36, v37, v48, 0
	v_fmac_f32_e32 v36, v45, v49
	s_waitcnt lgkmcnt(0)
	v_fmac_f32_e32 v36, v46, v38
	v_fmac_f32_e32 v36, v47, v39
	v_add_f32_e32 v38, 0x358637bd, v36
	v_div_scale_f32 v39, s[4:5], v38, v38, 1.0
	v_rcp_f32_e32 v48, v39
	s_barrier
	v_fma_f32 v49, -v39, v48, 1.0
	v_fmac_f32_e32 v48, v49, v48
	v_div_scale_f32 v49, vcc, 1.0, v38, 1.0
	v_mul_f32_e32 v50, v49, v48
	v_fma_f32 v51, -v39, v50, v49
	v_fmac_f32_e32 v50, v51, v48
	v_fma_f32 v39, -v39, v50, v49
	v_div_fmas_f32 v39, v39, v48, v50
	v_cmp_eq_u32_e32 vcc, 1, v43
	v_div_fixup_f32 v38, v39, v38, 1.0
	s_nop 0
	v_cndmask_b32_e32 v37, v37, v45, vcc
	v_cmp_eq_u32_e32 vcc, 2, v43
	s_nop 1
	v_cndmask_b32_e32 v37, v37, v46, vcc
	v_cmp_eq_u32_e32 vcc, 3, v43
	s_nop 1
	v_cndmask_b32_e32 v37, v37, v47, vcc
	v_mul_f32_e32 v38, v37, v38
	v_pk_mul_f32 v[20:21], v[38:39], v[20:21] op_sel_hi:[0,1]
	v_pk_mul_f32 v[32:33], v[38:39], v[32:33] op_sel_hi:[0,1]
	v_bfe_u32 v37, v21, 16, 1
	v_bfe_u32 v39, v20, 16, 1
	v_add3_u32 v20, v20, v39, s8
	v_add3_u32 v21, v21, v37, s8
	v_perm_b32 v46, v21, v20, s44
	v_bfe_u32 v20, v33, 16, 1
	v_bfe_u32 v21, v32, 16, 1
	v_add3_u32 v21, v32, v21, s8
	v_add3_u32 v20, v33, v20, s8
	v_perm_b32 v47, v20, v21, s44
	v_lshlrev_b32_e32 v20, 3, v42
	v_lshlrev_b32_e32 v21, 5, v44
	;; [unrolled: 1-line block ×3, first 2 shown]
	v_pk_mul_f32 v[22:23], v[38:39], v[22:23] op_sel_hi:[0,1]
	v_or3_b32 v20, v32, v21, v20
	v_pk_mul_f32 v[32:33], v[38:39], v[34:35] op_sel_hi:[0,1]
	v_bfe_u32 v34, v23, 16, 1
	v_bfe_u32 v35, v22, 16, 1
	v_add3_u32 v22, v22, v35, s8
	v_add3_u32 v23, v23, v34, s8
	v_perm_b32 v22, v23, v22, s44
	v_bfe_u32 v23, v33, 16, 1
	v_bfe_u32 v34, v32, 16, 1
	v_add3_u32 v32, v32, v34, s8
	v_add3_u32 v23, v33, v23, s8
	v_perm_b32 v23, v23, v32, s44
	v_pk_mul_f32 v[28:29], v[38:39], v[28:29] op_sel_hi:[0,1]
	ds_write2st64_b64 v20, v[46:47], v[22:23] offset1:1
	v_pk_mul_f32 v[22:23], v[38:39], v[30:31] op_sel_hi:[0,1]
	v_bfe_u32 v30, v29, 16, 1
	v_bfe_u32 v31, v28, 16, 1
	v_add3_u32 v28, v28, v31, s8
	v_add3_u32 v29, v29, v30, s8
	v_perm_b32 v28, v29, v28, s44
	v_bfe_u32 v29, v23, 16, 1
	v_bfe_u32 v30, v22, 16, 1
	v_add3_u32 v22, v22, v30, s8
	v_add3_u32 v23, v23, v29, s8
	v_perm_b32 v29, v23, v22, s44
	v_pk_mul_f32 v[22:23], v[38:39], v[24:25] op_sel_hi:[0,1]
	v_bfe_u32 v24, v23, 16, 1
	v_bfe_u32 v25, v22, 16, 1
	v_pk_mul_f32 v[18:19], v[38:39], v[18:19] op_sel_hi:[0,1]
	v_add3_u32 v22, v22, v25, s8
	v_add3_u32 v23, v23, v24, s8
	v_perm_b32 v22, v23, v22, s44
	v_bfe_u32 v23, v19, 16, 1
	v_bfe_u32 v24, v18, 16, 1
	v_add3_u32 v18, v18, v24, s8
	v_add3_u32 v19, v19, v23, s8
	v_perm_b32 v23, v19, v18, s44
	v_cmp_gt_u32_e32 vcc, 4, v0
	ds_write2st64_b64 v20, v[28:29], v[22:23] offset0:2 offset1:3
	s_and_saveexec_b64 s[4:5], vcc
	s_cbranch_execz .LBB1127_15
; %bb.14:
	v_or_b32_e32 v18, s27, v0
	v_mov_b32_e32 v19, 0
	v_mov_b32_e32 v22, s7
	v_mad_u64_u32 v[22:23], s[10:11], s2, v22, v[18:19]
	v_mov_b32_e32 v18, s26
	s_load_dwordx4 s[12:15], s[0:1], 0x58
	s_mul_i32 s3, s3, s7
	v_mad_u64_u32 v[18:19], s[10:11], v22, s6, v[18:19]
	v_add_u32_e32 v23, s3, v23
	v_mov_b32_e32 v22, v19
	v_mad_u64_u32 v[22:23], s[10:11], v23, s6, v[22:23]
	v_mov_b32_e32 v19, v22
	v_lshlrev_b64 v[18:19], 2, v[18:19]
	s_waitcnt lgkmcnt(0)
	v_lshl_add_u64 v[22:23], s[14:15], 0, v[18:19]
	v_lshl_add_u64 v[18:19], s[12:13], 0, v[18:19]
	global_store_dword v[22:23], v27, off
	global_store_dword v[18:19], v36, off
.LBB1127_15:
	s_or_b64 exec, exec, s[4:5]
	s_waitcnt vmcnt(3)
	v_cvt_pk_f32_fp8_e32 v[18:19], v14
	v_cvt_pk_f32_fp8_sdwa v[22:23], v14 src0_sel:WORD_1
	s_mov_b32 s4, 0x7060302
	v_lshl_or_b32 v14, v42, 9, v21
	s_waitcnt lgkmcnt(0)
	s_barrier
	v_perm_b32 v18, v19, v18, s4
	v_perm_b32 v19, v23, v22, s4
	v_cvt_pk_f32_fp8_e32 v[28:29], v15
	ds_read_b128 v[22:25], v14
	v_cvt_pk_f32_fp8_sdwa v[36:37], v15 src0_sel:WORD_1
	s_load_dword s10, s[42:43], 0x0
	v_perm_b32 v38, v29, v28, s4
	ds_read_b128 v[28:31], v14 offset:16
	v_perm_b32 v39, v37, v36, s4
	s_waitcnt lgkmcnt(0)
	v_mfma_f32_16x16x16_bf16 v[32:35], v[18:19], v[22:23], 0
	v_cvt_pk_f32_fp8_e32 v[18:19], v16
	v_cvt_pk_f32_fp8_sdwa v[36:37], v16 src0_sel:WORD_1
	s_mov_b32 s3, 0
	v_mfma_f32_16x16x16_bf16 v[22:25], v[38:39], v[24:25], v[32:35]
	v_perm_b32 v18, v19, v18, s4
	v_perm_b32 v19, v37, v36, s4
	s_waitcnt vmcnt(2)
	v_cvt_pk_f32_fp8_sdwa v[36:37], v10 src0_sel:WORD_1
	v_cvt_pk_f32_fp8_e32 v[32:33], v17
	v_cvt_pk_f32_fp8_sdwa v[16:17], v17 src0_sel:WORD_1
	v_cvt_pk_f32_fp8_e32 v[34:35], v10
	v_mov_b32_e32 v27, 0
	v_perm_b32 v32, v33, v32, s4
	v_perm_b32 v33, v17, v16, s4
	v_mfma_f32_16x16x16_bf16 v[16:19], v[18:19], v[28:29], v[22:25]
	v_perm_b32 v34, v35, v34, s4
	v_perm_b32 v35, v37, v36, s4
	v_cvt_pk_f32_fp8_e32 v[28:29], v11
	ds_read_b128 v[22:25], v14 offset:2048
	v_cvt_pk_f32_fp8_sdwa v[10:11], v11 src0_sel:WORD_1
	v_mfma_f32_16x16x16_bf16 v[16:19], v[32:33], v[30:31], v[16:19]
	v_perm_b32 v32, v29, v28, s4
	ds_read_b128 v[28:31], v14 offset:2064
	v_perm_b32 v33, v11, v10, s4
	s_waitcnt lgkmcnt(1)
	v_mfma_f32_16x16x16_bf16 v[16:19], v[34:35], v[22:23], v[16:19]
	v_cvt_pk_f32_fp8_e32 v[10:11], v12
	v_cvt_pk_f32_fp8_sdwa v[22:23], v12 src0_sel:WORD_1
	v_perm_b32 v10, v11, v10, s4
	v_mfma_f32_16x16x16_bf16 v[16:19], v[32:33], v[24:25], v[16:19]
	v_cvt_pk_f32_fp8_e32 v[24:25], v13
	v_perm_b32 v11, v23, v22, s4
	v_cvt_pk_f32_fp8_sdwa v[12:13], v13 src0_sel:WORD_1
	s_waitcnt vmcnt(1)
	v_cvt_pk_f32_fp8_sdwa v[32:33], v6 src0_sel:WORD_1
	v_perm_b32 v22, v25, v24, s4
	v_cvt_pk_f32_fp8_e32 v[24:25], v6
	v_perm_b32 v23, v13, v12, s4
	s_waitcnt lgkmcnt(0)
	v_mfma_f32_16x16x16_bf16 v[10:13], v[10:11], v[28:29], v[16:19]
	v_perm_b32 v29, v33, v32, s4
	v_perm_b32 v28, v25, v24, s4
	v_cvt_pk_f32_fp8_e32 v[24:25], v7
	ds_read_b128 v[16:19], v14 offset:4096
	v_cvt_pk_f32_fp8_sdwa v[6:7], v7 src0_sel:WORD_1
	v_mfma_f32_16x16x16_bf16 v[10:13], v[22:23], v[30:31], v[10:13]
	v_perm_b32 v30, v25, v24, s4
	ds_read_b128 v[22:25], v14 offset:4112
	v_perm_b32 v31, v7, v6, s4
	s_waitcnt lgkmcnt(1)
	v_mfma_f32_16x16x16_bf16 v[10:13], v[28:29], v[16:17], v[10:13]
	v_cvt_pk_f32_fp8_e32 v[6:7], v8
	v_cvt_pk_f32_fp8_sdwa v[16:17], v8 src0_sel:WORD_1
	s_waitcnt vmcnt(0)
	v_cvt_pk_f32_fp8_sdwa v[28:29], v2 src0_sel:WORD_1
	v_mfma_f32_16x16x16_bf16 v[10:13], v[30:31], v[18:19], v[10:13]
	v_cvt_pk_f32_fp8_e32 v[18:19], v9
	v_perm_b32 v6, v7, v6, s4
	v_perm_b32 v7, v17, v16, s4
	v_cvt_pk_f32_fp8_sdwa v[8:9], v9 src0_sel:WORD_1
	v_perm_b32 v16, v19, v18, s4
	v_cvt_pk_f32_fp8_e32 v[18:19], v2
	v_perm_b32 v17, v9, v8, s4
	s_waitcnt lgkmcnt(0)
	v_mfma_f32_16x16x16_bf16 v[6:9], v[6:7], v[22:23], v[10:13]
	v_perm_b32 v18, v19, v18, s4
	v_perm_b32 v19, v29, v28, s4
	v_cvt_pk_f32_fp8_e32 v[22:23], v3
	ds_read_b128 v[10:13], v14 offset:6144
	v_cvt_pk_f32_fp8_sdwa v[2:3], v3 src0_sel:WORD_1
	v_mfma_f32_16x16x16_bf16 v[6:9], v[16:17], v[24:25], v[6:9]
	v_perm_b32 v22, v23, v22, s4
	ds_read_b128 v[14:17], v14 offset:6160
	v_perm_b32 v23, v3, v2, s4
	s_waitcnt lgkmcnt(1)
	v_mfma_f32_16x16x16_bf16 v[6:9], v[18:19], v[10:11], v[6:9]
	v_cvt_pk_f32_fp8_e32 v[2:3], v4
	v_cvt_pk_f32_fp8_sdwa v[10:11], v4 src0_sel:WORD_1
	s_waitcnt lgkmcnt(0)
	v_mfma_f32_16x16x16_bf16 v[6:9], v[22:23], v[12:13], v[6:9]
	v_perm_b32 v2, v3, v2, s4
	v_perm_b32 v3, v11, v10, s4
	v_cvt_pk_f32_fp8_e32 v[10:11], v5
	v_cvt_pk_f32_fp8_sdwa v[4:5], v5 src0_sel:WORD_1
	s_barrier
	v_perm_b32 v10, v11, v10, s4
	v_perm_b32 v11, v5, v4, s4
	v_mfma_f32_16x16x16_bf16 v[2:5], v[2:3], v[14:15], v[6:9]
	s_nop 0
	v_mfma_f32_16x16x16_bf16 v[2:5], v[10:11], v[16:17], v[2:5]
	s_nop 6
	v_pk_mul_f32 v[2:3], v[2:3], s[10:11] op_sel_hi:[1,0]
	v_pk_mul_f32 v[4:5], v[4:5], s[10:11] op_sel_hi:[1,0]
	v_bfe_u32 v6, v3, 16, 1
	v_bfe_u32 v7, v2, 16, 1
	v_add3_u32 v2, v2, v7, s8
	v_add3_u32 v3, v3, v6, s8
	v_perm_b32 v2, v3, v2, s4
	v_bfe_u32 v3, v5, 16, 1
	v_bfe_u32 v6, v4, 16, 1
	v_add3_u32 v4, v4, v6, s8
	v_add3_u32 v3, v5, v3, s8
	v_perm_b32 v3, v3, v4, s4
	ds_write_b64 v20, v[2:3]
	s_waitcnt lgkmcnt(0)
	s_barrier
	s_and_saveexec_b64 s[4:5], s[48:49]
	s_cbranch_execz .LBB1127_17
; %bb.16:
	s_load_dwordx2 s[0:1], s[0:1], 0x68
	s_lshl_b32 s6, s6, 6
	s_mul_i32 s2, s7, s2
	s_mul_hi_u32 s5, s2, s6
	s_mul_i32 s4, s2, s6
	v_lshlrev_b32_e32 v0, 10, v0
	s_lshl_b64 s[4:5], s[4:5], 1
	v_and_b32_e32 v0, 0x1800, v0
	v_and_b32_e32 v2, 16, v41
	s_waitcnt lgkmcnt(0)
	s_add_u32 s4, s0, s4
	v_or3_b32 v0, v0, v40, v2
	s_addc_u32 s5, s1, s5
	s_lshl_b32 s2, s26, 6
	ds_read_b128 v[2:5], v0
	s_lshl_b64 s[0:1], s[2:3], 1
	s_add_u32 s0, s4, s0
	s_addc_u32 s1, s5, s1
	v_mad_u64_u32 v[0:1], s[2:3], s6, v1, 0
	v_lshl_add_u64 v[0:1], v[0:1], 1, s[0:1]
	v_lshl_add_u64 v[0:1], v[0:1], 0, v[26:27]
	s_waitcnt lgkmcnt(0)
	global_store_dwordx4 v[0:1], v[2:5], off
.LBB1127_17:
	s_endpgm
	.section	.rodata,"a",@progbits
	.p2align	6, 0x0
	.amdhsa_kernel _Z39paged_attention_ll4mi_QKV_mfma16_kernelI14__hip_bfloat16hLN4vllm18Fp8KVCacheDataTypeE1EhLi16ELi64ELi256ELb0ELi4EEvPKT_PKT0_S8_ifPKiSA_SA_iPKfiiiPfSD_PS3_PT2_iSC_SC_
		.amdhsa_group_segment_fixed_size 8192
		.amdhsa_private_segment_fixed_size 0
		.amdhsa_kernarg_size 400
		.amdhsa_user_sgpr_count 2
		.amdhsa_user_sgpr_dispatch_ptr 0
		.amdhsa_user_sgpr_queue_ptr 0
		.amdhsa_user_sgpr_kernarg_segment_ptr 1
		.amdhsa_user_sgpr_dispatch_id 0
		.amdhsa_user_sgpr_kernarg_preload_length 0
		.amdhsa_user_sgpr_kernarg_preload_offset 0
		.amdhsa_user_sgpr_private_segment_size 0
		.amdhsa_uses_dynamic_stack 0
		.amdhsa_enable_private_segment 0
		.amdhsa_system_sgpr_workgroup_id_x 1
		.amdhsa_system_sgpr_workgroup_id_y 1
		.amdhsa_system_sgpr_workgroup_id_z 1
		.amdhsa_system_sgpr_workgroup_info 0
		.amdhsa_system_vgpr_workitem_id 0
		.amdhsa_next_free_vgpr 60
		.amdhsa_next_free_sgpr 50
		.amdhsa_accum_offset 60
		.amdhsa_reserve_vcc 1
		.amdhsa_float_round_mode_32 0
		.amdhsa_float_round_mode_16_64 0
		.amdhsa_float_denorm_mode_32 3
		.amdhsa_float_denorm_mode_16_64 3
		.amdhsa_dx10_clamp 1
		.amdhsa_ieee_mode 1
		.amdhsa_fp16_overflow 0
		.amdhsa_tg_split 0
		.amdhsa_exception_fp_ieee_invalid_op 0
		.amdhsa_exception_fp_denorm_src 0
		.amdhsa_exception_fp_ieee_div_zero 0
		.amdhsa_exception_fp_ieee_overflow 0
		.amdhsa_exception_fp_ieee_underflow 0
		.amdhsa_exception_fp_ieee_inexact 0
		.amdhsa_exception_int_div_zero 0
	.end_amdhsa_kernel
	.section	.text._Z39paged_attention_ll4mi_QKV_mfma16_kernelI14__hip_bfloat16hLN4vllm18Fp8KVCacheDataTypeE1EhLi16ELi64ELi256ELb0ELi4EEvPKT_PKT0_S8_ifPKiSA_SA_iPKfiiiPfSD_PS3_PT2_iSC_SC_,"axG",@progbits,_Z39paged_attention_ll4mi_QKV_mfma16_kernelI14__hip_bfloat16hLN4vllm18Fp8KVCacheDataTypeE1EhLi16ELi64ELi256ELb0ELi4EEvPKT_PKT0_S8_ifPKiSA_SA_iPKfiiiPfSD_PS3_PT2_iSC_SC_,comdat
.Lfunc_end1127:
	.size	_Z39paged_attention_ll4mi_QKV_mfma16_kernelI14__hip_bfloat16hLN4vllm18Fp8KVCacheDataTypeE1EhLi16ELi64ELi256ELb0ELi4EEvPKT_PKT0_S8_ifPKiSA_SA_iPKfiiiPfSD_PS3_PT2_iSC_SC_, .Lfunc_end1127-_Z39paged_attention_ll4mi_QKV_mfma16_kernelI14__hip_bfloat16hLN4vllm18Fp8KVCacheDataTypeE1EhLi16ELi64ELi256ELb0ELi4EEvPKT_PKT0_S8_ifPKiSA_SA_iPKfiiiPfSD_PS3_PT2_iSC_SC_
                                        ; -- End function
	.section	.AMDGPU.csdata,"",@progbits
; Kernel info:
; codeLenInByte = 4740
; NumSgprs: 56
; NumVgprs: 60
; NumAgprs: 0
; TotalNumVgprs: 60
; ScratchSize: 0
; MemoryBound: 0
; FloatMode: 240
; IeeeMode: 1
; LDSByteSize: 8192 bytes/workgroup (compile time only)
; SGPRBlocks: 6
; VGPRBlocks: 7
; NumSGPRsForWavesPerEU: 56
; NumVGPRsForWavesPerEU: 60
; AccumOffset: 60
; Occupancy: 8
; WaveLimiterHint : 1
; COMPUTE_PGM_RSRC2:SCRATCH_EN: 0
; COMPUTE_PGM_RSRC2:USER_SGPR: 2
; COMPUTE_PGM_RSRC2:TRAP_HANDLER: 0
; COMPUTE_PGM_RSRC2:TGID_X_EN: 1
; COMPUTE_PGM_RSRC2:TGID_Y_EN: 1
; COMPUTE_PGM_RSRC2:TGID_Z_EN: 1
; COMPUTE_PGM_RSRC2:TIDIG_COMP_CNT: 0
; COMPUTE_PGM_RSRC3_GFX90A:ACCUM_OFFSET: 14
; COMPUTE_PGM_RSRC3_GFX90A:TG_SPLIT: 0
	.section	.text._Z38paged_attention_ll4mi_QKV_mfma4_kernelI14__hip_bfloat16hLN4vllm18Fp8KVCacheDataTypeE1ES0_Li16ELi64ELi256ELb1ELi1EEvPKT_PKT0_S8_ifPKiSA_SA_iPKfiiiPfSD_PS3_PT2_iSC_SC_,"axG",@progbits,_Z38paged_attention_ll4mi_QKV_mfma4_kernelI14__hip_bfloat16hLN4vllm18Fp8KVCacheDataTypeE1ES0_Li16ELi64ELi256ELb1ELi1EEvPKT_PKT0_S8_ifPKiSA_SA_iPKfiiiPfSD_PS3_PT2_iSC_SC_,comdat
	.protected	_Z38paged_attention_ll4mi_QKV_mfma4_kernelI14__hip_bfloat16hLN4vllm18Fp8KVCacheDataTypeE1ES0_Li16ELi64ELi256ELb1ELi1EEvPKT_PKT0_S8_ifPKiSA_SA_iPKfiiiPfSD_PS3_PT2_iSC_SC_ ; -- Begin function _Z38paged_attention_ll4mi_QKV_mfma4_kernelI14__hip_bfloat16hLN4vllm18Fp8KVCacheDataTypeE1ES0_Li16ELi64ELi256ELb1ELi1EEvPKT_PKT0_S8_ifPKiSA_SA_iPKfiiiPfSD_PS3_PT2_iSC_SC_
	.globl	_Z38paged_attention_ll4mi_QKV_mfma4_kernelI14__hip_bfloat16hLN4vllm18Fp8KVCacheDataTypeE1ES0_Li16ELi64ELi256ELb1ELi1EEvPKT_PKT0_S8_ifPKiSA_SA_iPKfiiiPfSD_PS3_PT2_iSC_SC_
	.p2align	8
	.type	_Z38paged_attention_ll4mi_QKV_mfma4_kernelI14__hip_bfloat16hLN4vllm18Fp8KVCacheDataTypeE1ES0_Li16ELi64ELi256ELb1ELi1EEvPKT_PKT0_S8_ifPKiSA_SA_iPKfiiiPfSD_PS3_PT2_iSC_SC_,@function
_Z38paged_attention_ll4mi_QKV_mfma4_kernelI14__hip_bfloat16hLN4vllm18Fp8KVCacheDataTypeE1ES0_Li16ELi64ELi256ELb1ELi1EEvPKT_PKT0_S8_ifPKiSA_SA_iPKfiiiPfSD_PS3_PT2_iSC_SC_: ; @_Z38paged_attention_ll4mi_QKV_mfma4_kernelI14__hip_bfloat16hLN4vllm18Fp8KVCacheDataTypeE1ES0_Li16ELi64ELi256ELb1ELi1EEvPKT_PKT0_S8_ifPKiSA_SA_iPKfiiiPfSD_PS3_PT2_iSC_SC_
; %bb.0:
	s_load_dwordx2 s[8:9], s[0:1], 0x30
	s_mov_b32 s20, s3
	s_mov_b64 s[6:7], 0
	s_waitcnt lgkmcnt(0)
	s_cmp_lg_u64 s[8:9], 0
	s_cselect_b64 s[10:11], -1, 0
	s_and_b64 vcc, exec, s[10:11]
	s_cbranch_vccz .LBB1128_10
; %bb.1:
	s_add_i32 s12, s2, 1
	s_mov_b32 s13, 0
	s_lshl_b64 s[14:15], s[12:13], 2
	s_add_u32 s14, s8, s14
	s_mov_b32 s3, s13
	s_addc_u32 s15, s9, s15
	s_lshl_b64 s[12:13], s[2:3], 2
	s_add_u32 s12, s8, s12
	s_addc_u32 s13, s9, s13
	s_load_dword s5, s[14:15], 0x0
	s_load_dword s16, s[12:13], 0x0
	s_waitcnt lgkmcnt(0)
	s_sub_i32 s5, s5, s16
	s_cmp_eq_u32 s5, 1
	s_cselect_b64 s[12:13], -1, 0
	s_andn2_b64 vcc, exec, s[6:7]
	s_cbranch_vccnz .LBB1128_3
.LBB1128_2:
	s_mov_b32 s3, 0
	s_mov_b64 s[12:13], -1
.LBB1128_3:
	s_andn2_b64 vcc, exec, s[12:13]
	s_cbranch_vccnz .LBB1128_25
; %bb.4:
	s_load_dword s5, s[0:1], 0x9c
	s_load_dwordx2 s[6:7], s[0:1], 0x28
	s_add_u32 s24, s0, 0x90
	s_addc_u32 s25, s1, 0
	s_lshl_b64 s[28:29], s[2:3], 2
	s_waitcnt lgkmcnt(0)
	s_and_b32 s5, s5, 0xffff
	s_add_u32 s6, s6, s28
	s_addc_u32 s7, s7, s29
	s_load_dword s3, s[6:7], 0x0
	s_mul_i32 s5, s20, s5
	s_waitcnt lgkmcnt(0)
	s_cmp_ge_i32 s5, s3
	s_cbranch_scc1 .LBB1128_25
; %bb.5:
	v_and_b32_e32 v2, 0xc0, v0
	v_add_u32_e32 v4, s5, v2
	v_lshrrev_b32_e32 v1, 6, v0
	v_cmp_gt_i32_e64 s[6:7], s3, v4
	v_cmp_le_i32_e32 vcc, s3, v4
                                        ; implicit-def: $sgpr30
                                        ; implicit-def: $sgpr21
	s_and_saveexec_b64 s[12:13], vcc
	s_xor_b64 s[12:13], exec, s[12:13]
	s_cbranch_execz .LBB1128_7
; %bb.6:
	v_mul_u32_u24_e32 v2, 20, v1
	v_or_b32_e32 v2, 0xa00, v2
	v_mov_b32_e32 v3, 0xa50
	v_mov_b32_e32 v4, 0xff7fffff
	v_mad_u32_u24 v3, v1, 20, v3
	ds_write2_b32 v2, v4, v4 offset1:1
	v_mov_b32_e32 v2, 0
	ds_write2_b32 v3, v2, v2 offset1:1
	v_mov_b32_e32 v3, 0xa08
	s_mov_b32 s21, 0xff7fffff
	s_mov_b32 s30, 0
	v_mad_u32_u24 v3, v1, 20, v3
	v_mov_b32_e32 v5, 0xa58
	v_mad_u32_u24 v5, v1, 20, v5
	ds_write2_b32 v3, v4, v4 offset1:1
	ds_write2_b32 v5, v2, v2 offset1:1
                                        ; implicit-def: $vgpr4
.LBB1128_7:
	s_or_saveexec_b64 s[26:27], s[12:13]
	s_load_dwordx2 s[22:23], s[0:1], 0x68
	s_load_dwordx4 s[16:19], s[0:1], 0x58
	s_load_dword s33, s[24:25], 0x4
	s_load_dwordx4 s[12:15], s[0:1], 0x80
	v_and_b32_e32 v32, 63, v0
	v_and_b32_e32 v33, 3, v0
	v_mov_b32_e32 v21, s30
	v_mov_b32_e32 v24, s21
	;; [unrolled: 1-line block ×5, first 2 shown]
                                        ; implicit-def: $vgpr6_vgpr7
                                        ; implicit-def: $vgpr2_vgpr3
                                        ; implicit-def: $vgpr14_vgpr15
                                        ; implicit-def: $vgpr10_vgpr11
	s_xor_b64 exec, exec, s[26:27]
	s_cbranch_execz .LBB1128_19
; %bb.8:
	s_load_dwordx2 s[30:31], s[0:1], 0x20
	s_load_dword s21, s[0:1], 0x38
	s_add_i32 s34, s3, 15
	s_ashr_i32 s35, s34, 31
	s_lshr_b32 s35, s35, 28
	v_add_u32_e32 v34, s5, v0
	s_add_i32 s34, s34, s35
	v_ashrrev_i32_e32 v2, 31, v34
	s_ashr_i32 s34, s34, 4
	v_lshrrev_b32_e32 v2, 28, v2
	s_add_i32 s36, s34, -1
	s_waitcnt lgkmcnt(0)
	s_mul_i32 s34, s2, s21
	s_mov_b32 s35, 0
	v_add_u32_e32 v2, v34, v2
	s_lshl_b64 s[34:35], s[34:35], 2
	v_ashrrev_i32_e32 v2, 4, v2
	v_mov_b32_e32 v3, s36
	v_cmp_gt_i32_e32 vcc, s3, v34
	s_add_u32 s30, s30, s34
	s_addc_u32 s31, s31, s35
	v_cndmask_b32_e32 v2, v3, v2, vcc
	v_ashrrev_i32_e32 v3, 31, v2
	v_lshl_add_u64 v[6:7], v[2:3], 2, s[30:31]
	v_ashrrev_i32_e32 v2, 31, v4
	v_lshrrev_b32_e32 v2, 28, v2
	v_add_u32_e32 v2, v4, v2
	v_ashrrev_i32_e32 v4, 4, v2
	v_min_i32_e32 v2, s36, v4
	v_ashrrev_i32_e32 v3, 31, v2
	v_lshl_add_u64 v[8:9], v[2:3], 2, s[30:31]
	v_add_u32_e32 v2, 1, v4
	v_min_i32_e32 v2, s36, v2
	v_ashrrev_i32_e32 v3, 31, v2
	v_lshl_add_u64 v[10:11], v[2:3], 2, s[30:31]
	v_add_u32_e32 v2, 2, v4
	;; [unrolled: 4-line block ×3, first 2 shown]
	v_min_i32_e32 v2, s36, v2
	v_ashrrev_i32_e32 v3, 31, v2
	v_lshl_add_u64 v[14:15], v[2:3], 2, s[30:31]
	global_load_dword v4, v[6:7], off
	global_load_dword v3, v[8:9], off
	;; [unrolled: 1-line block ×5, first 2 shown]
	s_load_dwordx2 s[34:35], s[0:1], 0x8
	s_andn2_b64 vcc, exec, s[10:11]
	s_cbranch_vccnz .LBB1128_11
; %bb.9:
	s_add_u32 s8, s8, s28
	s_addc_u32 s9, s9, s29
	s_load_dword s5, s[8:9], 0x0
	s_branch .LBB1128_12
.LBB1128_10:
	s_mov_b64 s[12:13], 0
	s_branch .LBB1128_2
.LBB1128_11:
	s_mov_b32 s5, s2
.LBB1128_12:
	s_load_dwordx2 s[28:29], s[0:1], 0x10
	s_load_dwordx4 s[8:11], s[0:1], 0x48
	v_cmp_eq_u32_e32 vcc, 0, v33
	s_mov_b32 s31, 0
	v_mov_b32_e32 v31, 0
	v_mov_b32_e32 v10, 0
	;; [unrolled: 1-line block ×5, first 2 shown]
	s_and_saveexec_b64 s[36:37], vcc
	s_cbranch_execz .LBB1128_14
; %bb.13:
	s_load_dwordx2 s[38:39], s[0:1], 0x0
	s_waitcnt lgkmcnt(0)
	s_ashr_i32 s11, s8, 31
	s_mul_hi_u32 s21, s5, s8
	s_mul_i32 s11, s5, s11
	s_add_i32 s41, s21, s11
	s_mul_i32 s40, s5, s8
	s_lshl_b64 s[40:41], s[40:41], 1
	s_add_u32 s5, s38, s40
	s_addc_u32 s8, s39, s41
	s_lshl_b32 s30, s4, 6
	s_lshl_b64 s[38:39], s[30:31], 1
	s_add_u32 s38, s5, s38
	s_addc_u32 s39, s8, s39
	v_lshlrev_b32_e32 v5, 2, v32
	global_load_dwordx4 v[10:13], v5, s[38:39]
.LBB1128_14:
	s_or_b64 exec, exec, s[36:37]
	s_waitcnt lgkmcnt(0)
	s_mul_i32 s8, s4, s10
	s_add_u32 s10, s8, s34
	s_addc_u32 s11, 0, s35
	v_mov_b64_e32 v[6:7], s[10:11]
	s_waitcnt vmcnt(4)
	v_mad_i64_i32 v[4:5], s[10:11], v4, s9, v[6:7]
	v_lshlrev_b32_e32 v6, 4, v0
	v_and_b32_e32 v30, 0xf0, v6
	v_lshl_add_u64 v[4:5], v[4:5], 0, v[30:31]
	global_load_dwordx4 v[26:29], v[4:5], off
	global_load_dwordx4 v[22:25], v[4:5], off offset:256
	global_load_dwordx4 v[18:21], v[4:5], off offset:512
	;; [unrolled: 1-line block ×3, first 2 shown]
	v_mov_b32_e32 v30, 0
	s_and_saveexec_b64 s[10:11], vcc
	s_cbranch_execz .LBB1128_16
; %bb.15:
	s_load_dwordx2 s[34:35], s[0:1], 0x40
	s_mov_b32 s5, s31
	s_lshl_b64 s[30:31], s[4:5], 2
	v_mov_b32_e32 v31, 1.0
	s_waitcnt lgkmcnt(0)
	s_add_u32 s30, s34, s30
	s_addc_u32 s31, s35, s31
	s_load_dword s5, s[30:31], 0x0
	s_waitcnt lgkmcnt(0)
	v_mov_b32_e32 v30, s5
.LBB1128_16:
	s_or_b64 exec, exec, s[10:11]
	s_add_u32 s10, s28, s8
	s_waitcnt vmcnt(7)
	v_mul_hi_i32 v4, v3, s9
	s_addc_u32 s11, s29, 0
	v_lshlrev_b32_e32 v38, 4, v32
	v_mov_b32_e32 v39, 0
	v_ashrrev_i32_e32 v4, 31, v4
	v_lshl_add_u64 v[40:41], s[10:11], 0, v[38:39]
	v_lshrrev_b32_e32 v38, 29, v4
	v_mad_i64_i32 v[4:5], s[10:11], v3, s9, v[38:39]
	s_waitcnt vmcnt(6)
	v_mul_hi_i32 v3, v2, s9
	v_ashrrev_i32_e32 v3, 31, v3
	s_waitcnt vmcnt(5)
	v_mul_hi_i32 v37, v36, s9
	v_lshrrev_b32_e32 v38, 29, v3
	v_ashrrev_i32_e32 v37, 31, v37
	v_mad_i64_i32 v[2:3], s[10:11], v2, s9, v[38:39]
	v_lshrrev_b32_e32 v38, 29, v37
	v_mad_i64_i32 v[36:37], s[10:11], v36, s9, v[38:39]
	s_waitcnt vmcnt(4)
	v_mul_hi_i32 v38, v35, s9
	v_ashrrev_i32_e32 v38, 31, v38
	v_lshrrev_b32_e32 v38, 29, v38
	v_and_b32_e32 v4, -8, v4
	v_mad_i64_i32 v[38:39], s[8:9], v35, s9, v[38:39]
	v_lshl_add_u64 v[42:43], v[40:41], 0, v[4:5]
	v_and_b32_e32 v2, -8, v2
	v_and_b32_e32 v36, -8, v36
	;; [unrolled: 1-line block ×3, first 2 shown]
	v_lshl_add_u64 v[44:45], v[40:41], 0, v[2:3]
	global_load_dwordx4 v[6:9], v[42:43], off
	global_load_dwordx4 v[2:5], v[44:45], off
	v_lshl_add_u64 v[36:37], v[40:41], 0, v[36:37]
	v_lshl_add_u64 v[38:39], v[40:41], 0, v[38:39]
	s_waitcnt vmcnt(5)
	v_cvt_pk_f32_fp8_e32 v[40:41], v26
	v_cvt_pk_f32_fp8_sdwa v[42:43], v26 src0_sel:WORD_1
	v_cvt_pk_f32_fp8_e32 v[44:45], v27
	v_cvt_pk_f32_fp8_sdwa v[26:27], v27 src0_sel:WORD_1
	s_load_dword s0, s[0:1], 0x1c
	s_mov_b32 s1, 0x7060302
	v_perm_b32 v40, v41, v40, s1
	v_perm_b32 v41, v43, v42, s1
	;; [unrolled: 1-line block ×3, first 2 shown]
	v_cvt_pk_f32_fp8_e32 v[26:27], v28
	v_mfma_f32_4x4x4_16b_bf16 a[0:3], v[10:11], v[40:41], 0 cbsz:4
	v_cvt_pk_f32_fp8_sdwa v[40:41], v28 src0_sel:WORD_1
	v_perm_b32 v42, v45, v44, s1
	v_perm_b32 v26, v27, v26, s1
	s_load_dword s5, s[12:13], 0x0
	v_mfma_f32_4x4x4_16b_bf16 a[0:3], v[12:13], v[42:43], a[0:3] cbsz:4
	v_cvt_pk_f32_fp8_e32 v[42:43], v29
	v_cvt_pk_f32_fp8_sdwa v[28:29], v29 src0_sel:WORD_1
	v_perm_b32 v27, v41, v40, s1
	v_cmp_eq_u32_e32 vcc, 1, v33
	v_perm_b32 v40, v43, v42, s1
	v_mfma_f32_4x4x4_16b_bf16 a[0:3], v[10:11], v[26:27], a[0:3] cbsz:4 abid:1
	v_perm_b32 v41, v29, v28, s1
	s_waitcnt vmcnt(4)
	v_cvt_pk_f32_fp8_e32 v[26:27], v22
	v_cvt_pk_f32_fp8_sdwa v[28:29], v22 src0_sel:WORD_1
	v_mfma_f32_4x4x4_16b_bf16 a[0:3], v[12:13], v[40:41], a[0:3] cbsz:4 abid:1
	v_cvt_pk_f32_fp8_e32 v[40:41], v23
	v_cvt_pk_f32_fp8_sdwa v[22:23], v23 src0_sel:WORD_1
	v_perm_b32 v26, v27, v26, s1
	v_perm_b32 v27, v29, v28, s1
	v_perm_b32 v28, v41, v40, s1
	v_perm_b32 v29, v23, v22, s1
	v_mfma_f32_4x4x4_16b_bf16 a[0:3], v[10:11], v[26:27], a[0:3] cbsz:4 abid:2
	v_cvt_pk_f32_fp8_e32 v[22:23], v24
	v_cvt_pk_f32_fp8_sdwa v[26:27], v24 src0_sel:WORD_1
	v_mfma_f32_4x4x4_16b_bf16 a[0:3], v[12:13], v[28:29], a[0:3] cbsz:4 abid:2
	v_cvt_pk_f32_fp8_e32 v[28:29], v25
	v_cvt_pk_f32_fp8_sdwa v[24:25], v25 src0_sel:WORD_1
	v_perm_b32 v22, v23, v22, s1
	v_perm_b32 v23, v27, v26, s1
	v_perm_b32 v26, v29, v28, s1
	v_perm_b32 v27, v25, v24, s1
	v_mfma_f32_4x4x4_16b_bf16 a[0:3], v[10:11], v[22:23], a[0:3] cbsz:4 abid:3
	s_waitcnt vmcnt(3)
	v_cvt_pk_f32_fp8_e32 v[22:23], v18
	v_cvt_pk_f32_fp8_sdwa v[24:25], v18 src0_sel:WORD_1
	v_mfma_f32_4x4x4_16b_bf16 a[0:3], v[12:13], v[26:27], a[0:3] cbsz:4 abid:3
	v_cvt_pk_f32_fp8_e32 v[26:27], v19
	v_cvt_pk_f32_fp8_sdwa v[18:19], v19 src0_sel:WORD_1
	v_perm_b32 v22, v23, v22, s1
	v_perm_b32 v23, v25, v24, s1
	v_perm_b32 v24, v27, v26, s1
	v_perm_b32 v25, v19, v18, s1
	v_mfma_f32_4x4x4_16b_bf16 a[0:3], v[10:11], v[22:23], a[0:3] cbsz:4 abid:4
	v_cvt_pk_f32_fp8_e32 v[18:19], v20
	v_cvt_pk_f32_fp8_sdwa v[22:23], v20 src0_sel:WORD_1
	v_mfma_f32_4x4x4_16b_bf16 a[0:3], v[12:13], v[24:25], a[0:3] cbsz:4 abid:4
	v_cvt_pk_f32_fp8_e32 v[24:25], v21
	v_cvt_pk_f32_fp8_sdwa v[20:21], v21 src0_sel:WORD_1
	v_perm_b32 v18, v19, v18, s1
	v_perm_b32 v19, v23, v22, s1
	v_perm_b32 v22, v25, v24, s1
	v_perm_b32 v23, v21, v20, s1
	v_mfma_f32_4x4x4_16b_bf16 a[0:3], v[10:11], v[18:19], a[0:3] cbsz:4 abid:5
	;; [unrolled: 21-line block ×3, first 2 shown]
	s_waitcnt lgkmcnt(0)
	v_mov_b32_e32 v10, s0
	v_mov_b32_e32 v25, 0xff7fffff
	v_mfma_f32_4x4x4_16b_bf16 a[0:3], v[12:13], v[18:19], a[0:3] cbsz:4 abid:7
	v_mul_f32_e32 v18, s5, v10
	s_nop 3
	v_accvgpr_read_b32 v11, a1
	v_accvgpr_read_b32 v10, a0
	v_pk_mul_f32 v[20:21], v[10:11], v[18:19] op_sel_hi:[1,0]
	global_load_dwordx4 v[14:17], v[36:37], off
	global_load_dwordx4 v[10:13], v[38:39], off
	v_accvgpr_read_b32 v23, a3
	v_accvgpr_read_b32 v22, a2
	v_pk_mul_f32 v[18:19], v[22:23], v[18:19] op_sel_hi:[1,0]
	v_mfma_f32_4x4x1_16b_f32 a[0:3], v20, v31, 0
	v_cndmask_b32_e64 v20, 0, 1.0, vcc
	v_cmp_eq_u32_e32 vcc, 2, v33
	s_nop 0
	v_mfma_f32_4x4x1_16b_f32 a[0:3], v21, v20, a[0:3]
	v_cndmask_b32_e64 v20, 0, 1.0, vcc
	v_cmp_eq_u32_e32 vcc, 3, v33
	s_nop 0
	v_mfma_f32_4x4x1_16b_f32 a[0:3], v18, v20, a[0:3]
	v_cndmask_b32_e64 v18, 0, 1.0, vcc
	s_nop 1
	v_mfma_f32_4x4x1_16b_f32 a[0:3], v19, v18, a[0:3]
	v_and_b32_e32 v18, -4, v34
	v_subrev_u32_e32 v19, s3, v18
	v_add_u32_e32 v20, 1, v19
	v_cvt_f32_i32_e32 v20, v20
	v_add_u32_e32 v21, 2, v19
	v_cvt_f32_i32_e32 v21, v21
	v_accvgpr_read_b32 v22, a0
	v_fma_f32 v20, v30, v20, v22
	v_accvgpr_read_b32 v22, a1
	v_fma_f32 v21, v30, v21, v22
	v_add_u32_e32 v22, 3, v19
	v_cvt_f32_i32_e32 v22, v22
	v_add_u32_e32 v19, 4, v19
	v_max_f32_e32 v24, 0xff7fffff, v20
	v_cmp_gt_i32_e32 vcc, s3, v18
	v_cvt_f32_i32_e32 v19, v19
	v_accvgpr_read_b32 v23, a2
	v_cndmask_b32_e32 v24, v25, v24, vcc
	v_or_b32_e32 v25, 1, v18
	v_max_f32_e32 v26, v24, v21
	v_cmp_gt_i32_e64 s[0:1], s3, v25
	v_fma_f32 v22, v30, v22, v23
	v_or_b32_e32 v18, 2, v18
	v_cndmask_b32_e64 v24, v24, v26, s[0:1]
	v_accvgpr_read_b32 v23, a3
	v_max_f32_e32 v25, v24, v22
	v_cmp_gt_i32_e64 s[8:9], s3, v18
	v_fmac_f32_e32 v23, v30, v19
	v_lshlrev_b32_e32 v19, 2, v0
	v_cndmask_b32_e64 v18, v24, v25, s[8:9]
	v_or_b32_e32 v24, 3, v34
	v_max_f32_e32 v25, v18, v23
	v_cmp_gt_i32_e64 s[10:11], s3, v24
	v_and_or_b32 v19, v19, 48, v33
	s_nop 0
	v_cndmask_b32_e64 v18, v18, v25, s[10:11]
	;;#ASMSTART
	v_nop
 v_nop
 v_max_f32_dpp v18, v18, v18 row_ror:4
	;;#ASMEND
	v_lshlrev_b32_e32 v25, 2, v19
	;;#ASMSTART
	v_nop
 v_nop
 v_max_f32_dpp v18, v18, v18 row_ror:8
	;;#ASMEND
	ds_bpermute_b32 v18, v25, v18
	s_waitcnt lgkmcnt(0)
	;;#ASMSTART
	v_nop
 v_nop
 v_max_f32_dpp v18, v18, v18 row_ror:4
	;;#ASMEND
	s_nop 0
	;;#ASMSTART
	v_nop
 v_nop
 v_max_f32_dpp v24, v18, v18 row_ror:8
	;;#ASMEND
	s_nop 0
	v_sub_f32_e32 v18, v20, v24
	v_mul_f32_e32 v18, 0x3fb8aa3b, v18
	v_sub_f32_e32 v19, v21, v24
	v_exp_f32_e32 v18, v18
	v_mul_f32_e32 v19, 0x3fb8aa3b, v19
	v_sub_f32_e32 v21, v22, v24
	v_exp_f32_e32 v19, v19
	;; [unrolled: 3-line block ×3, first 2 shown]
	v_mul_f32_e32 v22, 0x3fb8aa3b, v22
	v_exp_f32_e32 v22, v22
	v_cndmask_b32_e32 v18, 0, v18, vcc
	v_add_f32_e32 v20, 0, v18
	v_cndmask_b32_e64 v19, 0, v19, s[0:1]
	v_add_f32_e32 v23, v20, v19
	v_cndmask_b32_e64 v20, 0, v21, s[8:9]
	;; [unrolled: 2-line block ×3, first 2 shown]
	v_add_f32_e32 v22, v23, v21
	;;#ASMSTART
	v_nop
 v_nop
 v_add_f32_dpp v22, v22, v22 row_ror:4
	;;#ASMEND
	v_cmp_gt_u32_e32 vcc, 4, v32
	;;#ASMSTART
	v_nop
 v_nop
 v_add_f32_dpp v22, v22, v22 row_ror:8
	;;#ASMEND
	ds_bpermute_b32 v22, v25, v22
	s_waitcnt lgkmcnt(0)
	;;#ASMSTART
	v_nop
 v_nop
 v_add_f32_dpp v22, v22, v22 row_ror:4
	;;#ASMEND
	s_nop 0
	;;#ASMSTART
	v_nop
 v_nop
 v_add_f32_dpp v22, v22, v22 row_ror:8
	;;#ASMEND
	s_and_saveexec_b64 s[0:1], vcc
	s_cbranch_execz .LBB1128_18
; %bb.17:
	v_mul_u32_u24_e32 v23, 20, v1
	v_lshl_add_u32 v23, v33, 2, v23
	v_add_u32_e32 v23, 0x800, v23
	ds_write2_b32 v23, v24, v22 offset0:128 offset1:148
.LBB1128_18:
	s_or_b64 exec, exec, s[0:1]
.LBB1128_19:
	s_or_b64 exec, exec, s[26:27]
	s_waitcnt lgkmcnt(0)
	s_barrier
	s_load_dword s0, s[24:25], 0x8
	v_lshlrev_b32_e32 v22, 2, v33
	v_add_u32_e32 v30, 0x800, v22
	ds_read2_b32 v[22:23], v30 offset0:128 offset1:133
	ds_read2_b32 v[26:27], v30 offset0:138 offset1:143
	s_mul_i32 s1, s33, s2
	s_waitcnt lgkmcnt(0)
	s_mul_i32 s0, s1, s0
	s_mov_b32 s1, 0xff7fffff
	v_max3_f32 v25, v22, s1, v23
	v_max3_f32 v25, v25, v26, v27
	v_sub_f32_e32 v22, v22, v25
	ds_read2_b32 v[28:29], v30 offset0:148 offset1:153
	v_mul_f32_e32 v22, 0x3fb8aa3b, v22
	v_sub_f32_e32 v23, v23, v25
	v_sub_f32_e32 v26, v26, v25
	v_exp_f32_e32 v34, v22
	v_mul_f32_e32 v23, 0x3fb8aa3b, v23
	v_mul_f32_e32 v26, 0x3fb8aa3b, v26
	v_exp_f32_e32 v23, v23
	ds_read2_b32 v[30:31], v30 offset0:158 offset1:163
	v_exp_f32_e32 v35, v26
	v_sub_f32_e32 v26, v27, v25
	v_mul_f32_e32 v26, 0x3fb8aa3b, v26
	v_exp_f32_e32 v27, v26
	s_waitcnt lgkmcnt(1)
	v_fma_f32 v26, v34, v28, 0
	v_fmac_f32_e32 v26, v23, v29
	s_waitcnt lgkmcnt(0)
	v_fmac_f32_e32 v26, v35, v30
	v_mov_b32_e32 v22, 0
	v_fmac_f32_e32 v26, v27, v31
	s_mov_b32 s1, 0
	v_cmp_eq_u32_e32 vcc, 0, v33
	s_and_saveexec_b64 s[2:3], vcc
	s_cbranch_execz .LBB1128_21
; %bb.20:
	s_lshl_b64 s[8:9], s[0:1], 2
	s_add_u32 s5, s16, s8
	s_mov_b32 s21, s1
	s_addc_u32 s12, s17, s9
	s_lshl_b64 s[10:11], s[20:21], 2
	s_add_u32 s5, s5, s10
	s_addc_u32 s12, s12, s11
	s_add_u32 s8, s18, s8
	s_addc_u32 s9, s19, s9
	;; [unrolled: 2-line block ×3, first 2 shown]
	s_mul_i32 s8, s33, s4
	s_mov_b32 s9, s1
	s_lshl_b64 s[8:9], s[8:9], 2
	s_add_u32 s10, s5, s8
	s_addc_u32 s11, s12, s9
	s_add_u32 s8, s13, s8
	s_addc_u32 s9, s16, s9
	global_store_dword v22, v25, s[8:9]
	global_store_dword v22, v26, s[10:11]
.LBB1128_21:
	s_or_b64 exec, exec, s[2:3]
	v_mov_b32_e32 v23, 0
	s_and_saveexec_b64 s[2:3], s[6:7]
	s_cbranch_execz .LBB1128_23
; %bb.22:
	v_add_f32_e32 v22, 0x358637bd, v26
	v_div_scale_f32 v23, s[6:7], v22, v22, 1.0
	v_rcp_f32_e32 v26, v23
	v_div_scale_f32 v27, vcc, 1.0, v22, 1.0
	v_sub_f32_e32 v24, v24, v25
	v_fma_f32 v28, -v23, v26, 1.0
	v_fmac_f32_e32 v26, v28, v26
	v_mul_f32_e32 v28, v27, v26
	v_fma_f32 v29, -v23, v28, v27
	v_mul_f32_e32 v24, 0x3fb8aa3b, v24
	v_fmac_f32_e32 v28, v29, v26
	v_exp_f32_e32 v24, v24
	v_fma_f32 v23, -v23, v28, v27
	v_div_fmas_f32 v23, v23, v26, v28
	v_div_fixup_f32 v22, v23, v22, 1.0
	v_mul_f32_e32 v22, v24, v22
	v_pk_mul_f32 v[18:19], v[18:19], v[22:23] op_sel_hi:[1,0]
	v_pk_mul_f32 v[20:21], v[20:21], v[22:23] op_sel_hi:[1,0]
	v_bfe_u32 v22, v19, 16, 1
	v_bfe_u32 v23, v18, 16, 1
	s_movk_i32 s1, 0x7fff
	v_add3_u32 v18, v18, v23, s1
	v_add3_u32 v19, v19, v22, s1
	s_mov_b32 s5, 0x7060302
	v_perm_b32 v18, v19, v18, s5
	v_bfe_u32 v19, v21, 16, 1
	v_bfe_u32 v22, v20, 16, 1
	v_add3_u32 v22, v20, v22, s1
	v_add3_u32 v19, v21, v19, s1
	s_waitcnt vmcnt(3)
	v_cvt_pk_f32_fp8_e32 v[20:21], v6
	v_perm_b32 v19, v19, v22, s5
	v_cvt_pk_f32_fp8_sdwa v[22:23], v6 src0_sel:WORD_1
	v_cvt_pk_f32_fp8_e32 v[24:25], v7
	v_perm_b32 v6, v21, v20, s5
	v_cvt_pk_f32_fp8_sdwa v[20:21], v7 src0_sel:WORD_1
	v_perm_b32 v7, v23, v22, s5
	v_perm_b32 v22, v25, v24, s5
	s_load_dword s6, s[14:15], 0x0
	v_mfma_f32_4x4x4_16b_bf16 a[0:3], v[18:19], v[6:7], 0 cbsz:4
	v_perm_b32 v23, v21, v20, s5
	v_cvt_pk_f32_fp8_e32 v[6:7], v8
	v_cvt_pk_f32_fp8_sdwa v[20:21], v8 src0_sel:WORD_1
	v_mfma_f32_4x4x4_16b_bf16 a[0:3], v[18:19], v[22:23], a[0:3] cbsz:4 abid:1
	v_cvt_pk_f32_fp8_e32 v[22:23], v9
	v_cvt_pk_f32_fp8_sdwa v[8:9], v9 src0_sel:WORD_1
	v_perm_b32 v6, v7, v6, s5
	v_perm_b32 v7, v21, v20, s5
	;; [unrolled: 1-line block ×4, first 2 shown]
	v_mfma_f32_4x4x4_16b_bf16 a[0:3], v[18:19], v[6:7], a[0:3] cbsz:4 abid:2
	s_waitcnt vmcnt(2)
	v_cvt_pk_f32_fp8_e32 v[6:7], v2
	v_cvt_pk_f32_fp8_sdwa v[8:9], v2 src0_sel:WORD_1
	v_mfma_f32_4x4x4_16b_bf16 a[0:3], v[18:19], v[20:21], a[0:3] cbsz:4 abid:3
	v_cvt_pk_f32_fp8_e32 v[20:21], v3
	v_perm_b32 v2, v7, v6, s5
	v_cvt_pk_f32_fp8_sdwa v[6:7], v3 src0_sel:WORD_1
	v_perm_b32 v3, v9, v8, s5
	v_perm_b32 v8, v21, v20, s5
	;; [unrolled: 1-line block ×3, first 2 shown]
	v_mfma_f32_4x4x4_16b_bf16 a[0:3], v[18:19], v[2:3], a[0:3] cbsz:4 abid:4
	v_cvt_pk_f32_fp8_e32 v[2:3], v4
	v_cvt_pk_f32_fp8_sdwa v[6:7], v4 src0_sel:WORD_1
	v_mfma_f32_4x4x4_16b_bf16 a[0:3], v[18:19], v[8:9], a[0:3] cbsz:4 abid:5
	v_cvt_pk_f32_fp8_e32 v[8:9], v5
	v_cvt_pk_f32_fp8_sdwa v[4:5], v5 src0_sel:WORD_1
	v_perm_b32 v2, v3, v2, s5
	v_perm_b32 v3, v7, v6, s5
	v_perm_b32 v6, v9, v8, s5
	v_perm_b32 v7, v5, v4, s5
	v_mfma_f32_4x4x4_16b_bf16 a[0:3], v[18:19], v[2:3], a[0:3] cbsz:4 abid:6
	s_waitcnt vmcnt(1)
	v_cvt_pk_f32_fp8_e32 v[2:3], v14
	v_cvt_pk_f32_fp8_sdwa v[4:5], v14 src0_sel:WORD_1
	v_mfma_f32_4x4x4_16b_bf16 a[0:3], v[18:19], v[6:7], a[0:3] cbsz:4 abid:7
	v_cvt_pk_f32_fp8_e32 v[6:7], v15
	v_cvt_pk_f32_fp8_sdwa v[8:9], v15 src0_sel:WORD_1
	v_perm_b32 v2, v3, v2, s5
	v_perm_b32 v3, v5, v4, s5
	v_perm_b32 v4, v7, v6, s5
	v_perm_b32 v5, v9, v8, s5
	v_mfma_f32_4x4x4_16b_bf16 a[0:3], v[18:19], v[2:3], a[0:3] cbsz:4 abid:8
	v_cvt_pk_f32_fp8_e32 v[2:3], v16
	v_cvt_pk_f32_fp8_e32 v[6:7], v17
	v_mfma_f32_4x4x4_16b_bf16 a[0:3], v[18:19], v[4:5], a[0:3] cbsz:4 abid:9
	v_cvt_pk_f32_fp8_sdwa v[4:5], v16 src0_sel:WORD_1
	v_cvt_pk_f32_fp8_sdwa v[8:9], v17 src0_sel:WORD_1
	v_perm_b32 v2, v3, v2, s5
	v_perm_b32 v3, v5, v4, s5
	;; [unrolled: 1-line block ×3, first 2 shown]
	s_nop 0
	v_mfma_f32_4x4x4_16b_bf16 a[0:3], v[18:19], v[2:3], a[0:3] cbsz:4 abid:10
	v_perm_b32 v5, v9, v8, s5
	s_waitcnt vmcnt(0)
	v_cvt_pk_f32_fp8_e32 v[2:3], v10
	v_cvt_pk_f32_fp8_e32 v[6:7], v11
	v_mfma_f32_4x4x4_16b_bf16 a[0:3], v[18:19], v[4:5], a[0:3] cbsz:4 abid:11
	v_cvt_pk_f32_fp8_sdwa v[4:5], v10 src0_sel:WORD_1
	v_cvt_pk_f32_fp8_sdwa v[8:9], v11 src0_sel:WORD_1
	v_perm_b32 v2, v3, v2, s5
	v_perm_b32 v3, v5, v4, s5
	;; [unrolled: 1-line block ×3, first 2 shown]
	s_nop 0
	v_mfma_f32_4x4x4_16b_bf16 a[0:3], v[18:19], v[2:3], a[0:3] cbsz:4 abid:12
	v_perm_b32 v5, v9, v8, s5
	v_cvt_pk_f32_fp8_e32 v[2:3], v12
	v_cvt_pk_f32_fp8_e32 v[6:7], v13
	v_mfma_f32_4x4x4_16b_bf16 a[0:3], v[18:19], v[4:5], a[0:3] cbsz:4 abid:13
	v_cvt_pk_f32_fp8_sdwa v[4:5], v12 src0_sel:WORD_1
	v_cvt_pk_f32_fp8_sdwa v[8:9], v13 src0_sel:WORD_1
	v_perm_b32 v2, v3, v2, s5
	v_perm_b32 v3, v5, v4, s5
	;; [unrolled: 1-line block ×3, first 2 shown]
	s_nop 0
	v_mfma_f32_4x4x4_16b_bf16 a[0:3], v[18:19], v[2:3], a[0:3] cbsz:4 abid:14
	v_perm_b32 v5, v9, v8, s5
	s_nop 1
	v_mfma_f32_4x4x4_16b_bf16 a[0:3], v[18:19], v[4:5], a[0:3] cbsz:4 abid:15
	s_nop 4
	v_accvgpr_read_b32 v5, a1
	v_accvgpr_read_b32 v4, a0
	;; [unrolled: 1-line block ×4, first 2 shown]
	s_waitcnt lgkmcnt(0)
	v_pk_mul_f32 v[4:5], v[4:5], s[6:7] op_sel_hi:[1,0]
	v_pk_mul_f32 v[2:3], v[2:3], s[6:7] op_sel_hi:[1,0]
	v_bfe_u32 v6, v5, 16, 1
	v_bfe_u32 v7, v4, 16, 1
	v_add3_u32 v4, v4, v7, s1
	v_add3_u32 v5, v5, v6, s1
	v_bfe_u32 v6, v3, 16, 1
	v_bfe_u32 v7, v2, 16, 1
	v_add3_u32 v2, v2, v7, s1
	v_add3_u32 v3, v3, v6, s1
	v_perm_b32 v23, v3, v2, s5
	v_perm_b32 v22, v5, v4, s5
.LBB1128_23:
	s_or_b64 exec, exec, s[2:3]
	v_lshlrev_b32_e32 v1, 3, v1
	v_mad_u32_u24 v1, v32, 40, v1
	v_cmp_gt_u32_e32 vcc, 64, v0
	ds_write_b64 v1, v[22:23]
	s_waitcnt lgkmcnt(0)
	s_barrier
	s_and_saveexec_b64 s[2:3], vcc
	s_cbranch_execz .LBB1128_25
; %bb.24:
	s_waitcnt vmcnt(3)
	v_mul_u32_u24_e32 v6, 40, v32
	s_waitcnt vmcnt(2)
	ds_read2_b64 v[2:5], v6 offset1:1
	ds_read2_b64 v[6:9], v6 offset0:2 offset1:3
	s_lshl_b32 s0, s0, 6
	s_mov_b32 s1, 0
	s_lshl_b64 s[2:3], s[0:1], 1
	s_waitcnt lgkmcnt(1)
	v_lshlrev_b32_e32 v2, 16, v2
	v_add_f32_e32 v2, 0, v2
	s_add_u32 s2, s22, s2
	v_and_b32_e32 v2, 0xffff0000, v2
	v_lshlrev_b32_e32 v3, 16, v4
	s_addc_u32 s3, s23, s3
	s_lshl_b32 s0, s20, 6
	v_add_f32_e32 v2, v2, v3
	s_lshl_b64 s[0:1], s[0:1], 1
	v_and_b32_e32 v2, 0xffff0000, v2
	s_waitcnt lgkmcnt(0)
	v_lshlrev_b32_e32 v3, 16, v6
	s_add_u32 s0, s2, s0
	s_mul_i32 s2, s4, s33
	v_add_f32_e32 v2, v2, v3
	s_addc_u32 s1, s3, s1
	v_lshl_or_b32 v0, s2, 6, v0
	v_mov_b32_e32 v1, 0
	v_and_b32_e32 v2, 0xffff0000, v2
	v_lshlrev_b32_e32 v3, 16, v8
	v_lshl_add_u64 v[0:1], v[0:1], 1, s[0:1]
	v_add_f32_e32 v2, v2, v3
	global_store_short_d16_hi v[0:1], v2, off
.LBB1128_25:
	s_endpgm
	.section	.rodata,"a",@progbits
	.p2align	6, 0x0
	.amdhsa_kernel _Z38paged_attention_ll4mi_QKV_mfma4_kernelI14__hip_bfloat16hLN4vllm18Fp8KVCacheDataTypeE1ES0_Li16ELi64ELi256ELb1ELi1EEvPKT_PKT0_S8_ifPKiSA_SA_iPKfiiiPfSD_PS3_PT2_iSC_SC_
		.amdhsa_group_segment_fixed_size 2720
		.amdhsa_private_segment_fixed_size 0
		.amdhsa_kernarg_size 400
		.amdhsa_user_sgpr_count 2
		.amdhsa_user_sgpr_dispatch_ptr 0
		.amdhsa_user_sgpr_queue_ptr 0
		.amdhsa_user_sgpr_kernarg_segment_ptr 1
		.amdhsa_user_sgpr_dispatch_id 0
		.amdhsa_user_sgpr_kernarg_preload_length 0
		.amdhsa_user_sgpr_kernarg_preload_offset 0
		.amdhsa_user_sgpr_private_segment_size 0
		.amdhsa_uses_dynamic_stack 0
		.amdhsa_enable_private_segment 0
		.amdhsa_system_sgpr_workgroup_id_x 1
		.amdhsa_system_sgpr_workgroup_id_y 1
		.amdhsa_system_sgpr_workgroup_id_z 1
		.amdhsa_system_sgpr_workgroup_info 0
		.amdhsa_system_vgpr_workitem_id 0
		.amdhsa_next_free_vgpr 52
		.amdhsa_next_free_sgpr 42
		.amdhsa_accum_offset 48
		.amdhsa_reserve_vcc 1
		.amdhsa_float_round_mode_32 0
		.amdhsa_float_round_mode_16_64 0
		.amdhsa_float_denorm_mode_32 3
		.amdhsa_float_denorm_mode_16_64 3
		.amdhsa_dx10_clamp 1
		.amdhsa_ieee_mode 1
		.amdhsa_fp16_overflow 0
		.amdhsa_tg_split 0
		.amdhsa_exception_fp_ieee_invalid_op 0
		.amdhsa_exception_fp_denorm_src 0
		.amdhsa_exception_fp_ieee_div_zero 0
		.amdhsa_exception_fp_ieee_overflow 0
		.amdhsa_exception_fp_ieee_underflow 0
		.amdhsa_exception_fp_ieee_inexact 0
		.amdhsa_exception_int_div_zero 0
	.end_amdhsa_kernel
	.section	.text._Z38paged_attention_ll4mi_QKV_mfma4_kernelI14__hip_bfloat16hLN4vllm18Fp8KVCacheDataTypeE1ES0_Li16ELi64ELi256ELb1ELi1EEvPKT_PKT0_S8_ifPKiSA_SA_iPKfiiiPfSD_PS3_PT2_iSC_SC_,"axG",@progbits,_Z38paged_attention_ll4mi_QKV_mfma4_kernelI14__hip_bfloat16hLN4vllm18Fp8KVCacheDataTypeE1ES0_Li16ELi64ELi256ELb1ELi1EEvPKT_PKT0_S8_ifPKiSA_SA_iPKfiiiPfSD_PS3_PT2_iSC_SC_,comdat
.Lfunc_end1128:
	.size	_Z38paged_attention_ll4mi_QKV_mfma4_kernelI14__hip_bfloat16hLN4vllm18Fp8KVCacheDataTypeE1ES0_Li16ELi64ELi256ELb1ELi1EEvPKT_PKT0_S8_ifPKiSA_SA_iPKfiiiPfSD_PS3_PT2_iSC_SC_, .Lfunc_end1128-_Z38paged_attention_ll4mi_QKV_mfma4_kernelI14__hip_bfloat16hLN4vllm18Fp8KVCacheDataTypeE1ES0_Li16ELi64ELi256ELb1ELi1EEvPKT_PKT0_S8_ifPKiSA_SA_iPKfiiiPfSD_PS3_PT2_iSC_SC_
                                        ; -- End function
	.section	.AMDGPU.csdata,"",@progbits
; Kernel info:
; codeLenInByte = 4052
; NumSgprs: 48
; NumVgprs: 46
; NumAgprs: 4
; TotalNumVgprs: 52
; ScratchSize: 0
; MemoryBound: 0
; FloatMode: 240
; IeeeMode: 1
; LDSByteSize: 2720 bytes/workgroup (compile time only)
; SGPRBlocks: 5
; VGPRBlocks: 6
; NumSGPRsForWavesPerEU: 48
; NumVGPRsForWavesPerEU: 52
; AccumOffset: 48
; Occupancy: 8
; WaveLimiterHint : 1
; COMPUTE_PGM_RSRC2:SCRATCH_EN: 0
; COMPUTE_PGM_RSRC2:USER_SGPR: 2
; COMPUTE_PGM_RSRC2:TRAP_HANDLER: 0
; COMPUTE_PGM_RSRC2:TGID_X_EN: 1
; COMPUTE_PGM_RSRC2:TGID_Y_EN: 1
; COMPUTE_PGM_RSRC2:TGID_Z_EN: 1
; COMPUTE_PGM_RSRC2:TIDIG_COMP_CNT: 0
; COMPUTE_PGM_RSRC3_GFX90A:ACCUM_OFFSET: 11
; COMPUTE_PGM_RSRC3_GFX90A:TG_SPLIT: 0
	.section	.text._Z38paged_attention_ll4mi_QKV_mfma4_kernelI14__hip_bfloat16hLN4vllm18Fp8KVCacheDataTypeE1ES0_Li16ELi64ELi256ELb1ELi2EEvPKT_PKT0_S8_ifPKiSA_SA_iPKfiiiPfSD_PS3_PT2_iSC_SC_,"axG",@progbits,_Z38paged_attention_ll4mi_QKV_mfma4_kernelI14__hip_bfloat16hLN4vllm18Fp8KVCacheDataTypeE1ES0_Li16ELi64ELi256ELb1ELi2EEvPKT_PKT0_S8_ifPKiSA_SA_iPKfiiiPfSD_PS3_PT2_iSC_SC_,comdat
	.protected	_Z38paged_attention_ll4mi_QKV_mfma4_kernelI14__hip_bfloat16hLN4vllm18Fp8KVCacheDataTypeE1ES0_Li16ELi64ELi256ELb1ELi2EEvPKT_PKT0_S8_ifPKiSA_SA_iPKfiiiPfSD_PS3_PT2_iSC_SC_ ; -- Begin function _Z38paged_attention_ll4mi_QKV_mfma4_kernelI14__hip_bfloat16hLN4vllm18Fp8KVCacheDataTypeE1ES0_Li16ELi64ELi256ELb1ELi2EEvPKT_PKT0_S8_ifPKiSA_SA_iPKfiiiPfSD_PS3_PT2_iSC_SC_
	.globl	_Z38paged_attention_ll4mi_QKV_mfma4_kernelI14__hip_bfloat16hLN4vllm18Fp8KVCacheDataTypeE1ES0_Li16ELi64ELi256ELb1ELi2EEvPKT_PKT0_S8_ifPKiSA_SA_iPKfiiiPfSD_PS3_PT2_iSC_SC_
	.p2align	8
	.type	_Z38paged_attention_ll4mi_QKV_mfma4_kernelI14__hip_bfloat16hLN4vllm18Fp8KVCacheDataTypeE1ES0_Li16ELi64ELi256ELb1ELi2EEvPKT_PKT0_S8_ifPKiSA_SA_iPKfiiiPfSD_PS3_PT2_iSC_SC_,@function
_Z38paged_attention_ll4mi_QKV_mfma4_kernelI14__hip_bfloat16hLN4vllm18Fp8KVCacheDataTypeE1ES0_Li16ELi64ELi256ELb1ELi2EEvPKT_PKT0_S8_ifPKiSA_SA_iPKfiiiPfSD_PS3_PT2_iSC_SC_: ; @_Z38paged_attention_ll4mi_QKV_mfma4_kernelI14__hip_bfloat16hLN4vllm18Fp8KVCacheDataTypeE1ES0_Li16ELi64ELi256ELb1ELi2EEvPKT_PKT0_S8_ifPKiSA_SA_iPKfiiiPfSD_PS3_PT2_iSC_SC_
; %bb.0:
	s_load_dwordx2 s[16:17], s[0:1], 0x30
	s_mov_b32 s20, s3
	s_mov_b64 s[6:7], 0
	s_waitcnt lgkmcnt(0)
	s_cmp_lg_u64 s[16:17], 0
	s_cselect_b64 s[18:19], -1, 0
	s_and_b64 vcc, exec, s[18:19]
	s_cbranch_vccz .LBB1129_10
; %bb.1:
	s_add_i32 s8, s2, 1
	s_mov_b32 s9, 0
	s_lshl_b64 s[10:11], s[8:9], 2
	s_add_u32 s10, s16, s10
	s_mov_b32 s3, s9
	s_addc_u32 s11, s17, s11
	s_lshl_b64 s[8:9], s[2:3], 2
	s_add_u32 s8, s16, s8
	s_addc_u32 s9, s17, s9
	s_load_dword s5, s[10:11], 0x0
	s_load_dword s12, s[8:9], 0x0
	s_waitcnt lgkmcnt(0)
	s_sub_i32 s5, s5, s12
	s_cmp_eq_u32 s5, 1
	s_cselect_b64 s[8:9], -1, 0
	s_andn2_b64 vcc, exec, s[6:7]
	s_cbranch_vccnz .LBB1129_3
.LBB1129_2:
	s_mov_b32 s3, 0
	s_mov_b64 s[8:9], -1
.LBB1129_3:
	s_andn2_b64 vcc, exec, s[8:9]
	s_cbranch_vccnz .LBB1129_25
; %bb.4:
	s_load_dword s5, s[0:1], 0x9c
	s_load_dwordx2 s[6:7], s[0:1], 0x28
	s_add_u32 s24, s0, 0x90
	s_addc_u32 s25, s1, 0
	s_lshl_b64 s[28:29], s[2:3], 2
	s_waitcnt lgkmcnt(0)
	s_and_b32 s5, s5, 0xffff
	s_add_u32 s6, s6, s28
	s_addc_u32 s7, s7, s29
	s_load_dword s3, s[6:7], 0x0
	s_mul_i32 s5, s20, s5
	s_waitcnt lgkmcnt(0)
	s_cmp_ge_i32 s5, s3
	s_cbranch_scc1 .LBB1129_25
; %bb.5:
	v_and_b32_e32 v2, 0xc0, v0
	v_add_u32_e32 v4, s5, v2
	v_lshrrev_b32_e32 v1, 6, v0
	v_cmp_gt_i32_e64 s[6:7], s3, v4
	v_cmp_le_i32_e32 vcc, s3, v4
                                        ; implicit-def: $sgpr30
                                        ; implicit-def: $sgpr21
	s_and_saveexec_b64 s[8:9], vcc
	s_xor_b64 s[8:9], exec, s[8:9]
	s_cbranch_execz .LBB1129_7
; %bb.6:
	v_mul_u32_u24_e32 v2, 20, v1
	v_or_b32_e32 v2, 0xa00, v2
	v_mov_b32_e32 v3, 0xa50
	v_mov_b32_e32 v4, 0xff7fffff
	v_mad_u32_u24 v3, v1, 20, v3
	ds_write2_b32 v2, v4, v4 offset1:1
	v_mov_b32_e32 v2, 0
	ds_write2_b32 v3, v2, v2 offset1:1
	v_mov_b32_e32 v3, 0xa08
	s_mov_b32 s21, 0xff7fffff
	s_mov_b32 s30, 0
	v_mad_u32_u24 v3, v1, 20, v3
	v_mov_b32_e32 v5, 0xa58
	v_mad_u32_u24 v5, v1, 20, v5
	ds_write2_b32 v3, v4, v4 offset1:1
	ds_write2_b32 v5, v2, v2 offset1:1
                                        ; implicit-def: $vgpr4
.LBB1129_7:
	s_or_saveexec_b64 s[26:27], s[8:9]
	s_load_dwordx2 s[22:23], s[0:1], 0x68
	s_load_dwordx4 s[12:15], s[0:1], 0x58
	s_load_dword s38, s[24:25], 0x4
	s_load_dwordx4 s[8:11], s[0:1], 0x80
	v_and_b32_e32 v38, 63, v0
	v_and_b32_e32 v39, 3, v0
	s_lshl_b32 s33, s4, 1
	v_mov_b32_e32 v21, s30
	v_mov_b32_e32 v24, s21
	;; [unrolled: 1-line block ×5, first 2 shown]
                                        ; implicit-def: $vgpr14_vgpr15
                                        ; implicit-def: $vgpr10_vgpr11
                                        ; implicit-def: $vgpr6_vgpr7
                                        ; implicit-def: $vgpr2_vgpr3
	s_xor_b64 exec, exec, s[26:27]
	s_cbranch_execz .LBB1129_19
; %bb.8:
	s_load_dwordx2 s[30:31], s[0:1], 0x20
	s_load_dword s21, s[0:1], 0x38
	s_add_i32 s34, s3, 15
	s_ashr_i32 s35, s34, 31
	s_lshr_b32 s35, s35, 28
	v_add_u32_e32 v40, s5, v0
	s_add_i32 s34, s34, s35
	v_ashrrev_i32_e32 v2, 31, v40
	s_ashr_i32 s34, s34, 4
	v_lshrrev_b32_e32 v2, 28, v2
	s_add_i32 s36, s34, -1
	s_waitcnt lgkmcnt(0)
	s_mul_i32 s34, s2, s21
	s_mov_b32 s35, 0
	v_add_u32_e32 v2, v40, v2
	s_lshl_b64 s[34:35], s[34:35], 2
	v_ashrrev_i32_e32 v2, 4, v2
	v_mov_b32_e32 v3, s36
	v_cmp_gt_i32_e32 vcc, s3, v40
	s_add_u32 s30, s30, s34
	s_addc_u32 s31, s31, s35
	v_cndmask_b32_e32 v2, v3, v2, vcc
	v_ashrrev_i32_e32 v3, 31, v2
	v_lshl_add_u64 v[8:9], v[2:3], 2, s[30:31]
	v_ashrrev_i32_e32 v2, 31, v4
	v_lshrrev_b32_e32 v2, 28, v2
	v_add_u32_e32 v2, v4, v2
	v_ashrrev_i32_e32 v4, 4, v2
	v_min_i32_e32 v2, s36, v4
	v_ashrrev_i32_e32 v3, 31, v2
	v_lshl_add_u64 v[10:11], v[2:3], 2, s[30:31]
	v_add_u32_e32 v2, 1, v4
	v_min_i32_e32 v2, s36, v2
	v_ashrrev_i32_e32 v3, 31, v2
	v_lshl_add_u64 v[12:13], v[2:3], 2, s[30:31]
	v_add_u32_e32 v2, 2, v4
	;; [unrolled: 4-line block ×3, first 2 shown]
	v_min_i32_e32 v2, s36, v2
	v_ashrrev_i32_e32 v3, 31, v2
	v_lshl_add_u64 v[16:17], v[2:3], 2, s[30:31]
	global_load_dword v2, v[8:9], off
	global_load_dword v7, v[10:11], off
	;; [unrolled: 1-line block ×5, first 2 shown]
	s_load_dwordx2 s[30:31], s[0:1], 0x8
	s_andn2_b64 vcc, exec, s[18:19]
	s_cbranch_vccnz .LBB1129_11
; %bb.9:
	s_add_u32 s16, s16, s28
	s_addc_u32 s17, s17, s29
	s_load_dword s5, s[16:17], 0x0
	s_branch .LBB1129_12
.LBB1129_10:
	s_mov_b64 s[8:9], 0
	s_branch .LBB1129_2
.LBB1129_11:
	s_mov_b32 s5, s2
.LBB1129_12:
	s_load_dwordx2 s[28:29], s[0:1], 0x10
	s_load_dwordx4 s[16:19], s[0:1], 0x48
	v_cmp_gt_u32_e32 vcc, 2, v39
	s_mov_b32 s37, 0
	v_mov_b32_e32 v3, 0
	v_mov_b32_e32 v18, 0
	;; [unrolled: 1-line block ×5, first 2 shown]
	s_and_saveexec_b64 s[34:35], vcc
	s_cbranch_execz .LBB1129_14
; %bb.13:
	s_load_dwordx2 s[40:41], s[0:1], 0x0
	s_waitcnt lgkmcnt(0)
	s_ashr_i32 s19, s16, 31
	s_mul_hi_u32 s21, s5, s16
	s_mul_i32 s19, s5, s19
	s_add_i32 s43, s21, s19
	s_mul_i32 s42, s5, s16
	s_lshl_b64 s[42:43], s[42:43], 1
	s_add_u32 s5, s40, s42
	s_addc_u32 s16, s41, s43
	s_lshl_b32 s36, s4, 7
	s_lshl_b64 s[36:37], s[36:37], 1
	s_add_u32 s36, s5, s36
	v_lshlrev_b32_e32 v8, 3, v39
	v_lshrrev_b32_e32 v9, 2, v38
	s_addc_u32 s37, s16, s37
	v_add_lshl_u32 v8, v8, v9, 4
	global_load_dwordx4 v[18:21], v8, s[36:37]
.LBB1129_14:
	s_or_b64 exec, exec, s[34:35]
	s_waitcnt lgkmcnt(0)
	s_mul_i32 s16, s4, s18
	s_add_u32 s4, s16, s30
	s_addc_u32 s5, 0, s31
	v_mov_b64_e32 v[8:9], s[4:5]
	s_waitcnt vmcnt(4)
	v_mad_i64_i32 v[8:9], s[4:5], v2, s17, v[8:9]
	v_lshlrev_b32_e32 v2, 4, v0
	v_and_b32_e32 v2, 0xf0, v2
	v_lshl_add_u64 v[8:9], v[8:9], 0, v[2:3]
	global_load_dwordx4 v[34:37], v[8:9], off
	global_load_dwordx4 v[30:33], v[8:9], off offset:256
	global_load_dwordx4 v[26:29], v[8:9], off offset:512
	;; [unrolled: 1-line block ×3, first 2 shown]
	v_mov_b32_e32 v41, 0
	s_and_saveexec_b64 s[4:5], vcc
	s_cbranch_execz .LBB1129_16
; %bb.15:
	s_load_dwordx2 s[18:19], s[0:1], 0x40
	v_or_b32_e32 v8, s33, v39
	v_mov_b32_e32 v9, 0
	s_waitcnt lgkmcnt(0)
	v_lshl_add_u64 v[8:9], v[8:9], 2, s[18:19]
	global_load_dword v41, v[8:9], off
.LBB1129_16:
	s_or_b64 exec, exec, s[4:5]
	s_waitcnt vmcnt(7)
	v_mul_hi_i32 v8, v7, s17
	s_add_u32 s4, s28, s16
	v_ashrrev_i32_e32 v8, 31, v8
	s_addc_u32 s5, s29, 0
	v_lshlrev_b32_e32 v2, 4, v38
	v_lshrrev_b32_e32 v8, 29, v8
	v_mov_b32_e32 v9, 0
	v_lshl_add_u64 v[2:3], s[4:5], 0, v[2:3]
	v_mad_i64_i32 v[10:11], s[4:5], v7, s17, v[8:9]
	s_waitcnt vmcnt(6)
	v_mul_hi_i32 v7, v6, s17
	v_ashrrev_i32_e32 v7, 31, v7
	v_lshrrev_b32_e32 v8, 29, v7
	v_mad_i64_i32 v[6:7], s[4:5], v6, s17, v[8:9]
	v_and_b32_e32 v10, -8, v10
	v_and_b32_e32 v6, -8, v6
	v_lshl_add_u64 v[42:43], v[2:3], 0, v[10:11]
	v_lshl_add_u64 v[6:7], v[2:3], 0, v[6:7]
	global_load_dwordx4 v[14:17], v[42:43], off
	global_load_dwordx4 v[10:13], v[6:7], off
	s_waitcnt vmcnt(7)
	v_mul_hi_i32 v6, v5, s17
	v_ashrrev_i32_e32 v6, 31, v6
	v_lshrrev_b32_e32 v8, 29, v6
	v_mad_i64_i32 v[6:7], s[4:5], v5, s17, v[8:9]
	s_waitcnt vmcnt(6)
	v_mul_hi_i32 v5, v4, s17
	v_ashrrev_i32_e32 v5, 31, v5
	v_lshrrev_b32_e32 v8, 29, v5
	v_and_b32_e32 v6, -8, v6
	v_mad_i64_i32 v[4:5], s[4:5], v4, s17, v[8:9]
	v_lshl_add_u64 v[42:43], v[2:3], 0, v[6:7]
	v_and_b32_e32 v4, -8, v4
	v_lshl_add_u64 v[44:45], v[2:3], 0, v[4:5]
	global_load_dwordx4 v[6:9], v[42:43], off
	global_load_dwordx4 v[2:5], v[44:45], off
	s_waitcnt vmcnt(7)
	v_cvt_pk_f32_fp8_e32 v[42:43], v34
	s_load_dword s0, s[0:1], 0x1c
	v_cvt_pk_f32_fp8_sdwa v[44:45], v34 src0_sel:WORD_1
	s_mov_b32 s1, 0x7060302
	v_perm_b32 v34, v43, v42, s1
	v_cvt_pk_f32_fp8_sdwa v[42:43], v35 src0_sel:WORD_1
	v_cvt_pk_f32_fp8_e32 v[46:47], v35
	v_perm_b32 v35, v45, v44, s1
	v_cmp_eq_u32_e32 vcc, 0, v39
	v_perm_b32 v45, v43, v42, s1
	v_mfma_f32_4x4x4_16b_bf16 a[0:3], v[18:19], v[34:35], 0 cbsz:4
	v_cvt_pk_f32_fp8_e32 v[34:35], v36
	v_cvt_pk_f32_fp8_sdwa v[42:43], v36 src0_sel:WORD_1
	v_perm_b32 v44, v47, v46, s1
	v_perm_b32 v34, v35, v34, s1
	s_nop 0
	v_mfma_f32_4x4x4_16b_bf16 a[0:3], v[20:21], v[44:45], a[0:3] cbsz:4
	v_cvt_pk_f32_fp8_e32 v[44:45], v37
	v_cvt_pk_f32_fp8_sdwa v[36:37], v37 src0_sel:WORD_1
	v_perm_b32 v35, v43, v42, s1
	v_perm_b32 v42, v45, v44, s1
	s_nop 0
	v_mfma_f32_4x4x4_16b_bf16 a[0:3], v[18:19], v[34:35], a[0:3] cbsz:4 abid:1
	s_waitcnt vmcnt(6)
	v_cvt_pk_f32_fp8_e32 v[34:35], v30
	v_perm_b32 v43, v37, v36, s1
	v_cvt_pk_f32_fp8_sdwa v[36:37], v30 src0_sel:WORD_1
	v_perm_b32 v30, v35, v34, s1
	v_cvt_pk_f32_fp8_sdwa v[34:35], v31 src0_sel:WORD_1
	v_mfma_f32_4x4x4_16b_bf16 a[0:3], v[20:21], v[42:43], a[0:3] cbsz:4 abid:1
	v_cvt_pk_f32_fp8_e32 v[42:43], v31
	v_perm_b32 v31, v37, v36, s1
	v_perm_b32 v37, v35, v34, s1
	v_cvt_pk_f32_fp8_sdwa v[34:35], v32 src0_sel:WORD_1
	v_mfma_f32_4x4x4_16b_bf16 a[0:3], v[18:19], v[30:31], a[0:3] cbsz:4 abid:2
	v_cvt_pk_f32_fp8_e32 v[30:31], v32
	v_perm_b32 v36, v43, v42, s1
	v_perm_b32 v30, v31, v30, s1
	s_nop 0
	v_mfma_f32_4x4x4_16b_bf16 a[0:3], v[20:21], v[36:37], a[0:3] cbsz:4 abid:2
	v_cvt_pk_f32_fp8_e32 v[36:37], v33
	v_cvt_pk_f32_fp8_sdwa v[32:33], v33 src0_sel:WORD_1
	v_perm_b32 v31, v35, v34, s1
	v_perm_b32 v34, v37, v36, s1
	s_nop 0
	v_mfma_f32_4x4x4_16b_bf16 a[0:3], v[18:19], v[30:31], a[0:3] cbsz:4 abid:3
	s_waitcnt vmcnt(5)
	v_cvt_pk_f32_fp8_e32 v[30:31], v26
	v_perm_b32 v35, v33, v32, s1
	v_cvt_pk_f32_fp8_sdwa v[32:33], v26 src0_sel:WORD_1
	v_perm_b32 v26, v31, v30, s1
	v_cvt_pk_f32_fp8_sdwa v[30:31], v27 src0_sel:WORD_1
	v_mfma_f32_4x4x4_16b_bf16 a[0:3], v[20:21], v[34:35], a[0:3] cbsz:4 abid:3
	v_cvt_pk_f32_fp8_e32 v[34:35], v27
	v_perm_b32 v27, v33, v32, s1
	v_perm_b32 v33, v31, v30, s1
	v_cvt_pk_f32_fp8_sdwa v[30:31], v28 src0_sel:WORD_1
	v_mfma_f32_4x4x4_16b_bf16 a[0:3], v[18:19], v[26:27], a[0:3] cbsz:4 abid:4
	v_cvt_pk_f32_fp8_e32 v[26:27], v28
	v_perm_b32 v32, v35, v34, s1
	v_perm_b32 v26, v27, v26, s1
	s_nop 0
	v_mfma_f32_4x4x4_16b_bf16 a[0:3], v[20:21], v[32:33], a[0:3] cbsz:4 abid:4
	v_cvt_pk_f32_fp8_e32 v[32:33], v29
	v_cvt_pk_f32_fp8_sdwa v[28:29], v29 src0_sel:WORD_1
	v_perm_b32 v27, v31, v30, s1
	v_perm_b32 v30, v33, v32, s1
	s_nop 0
	v_mfma_f32_4x4x4_16b_bf16 a[0:3], v[18:19], v[26:27], a[0:3] cbsz:4 abid:5
	s_waitcnt vmcnt(4)
	v_cvt_pk_f32_fp8_e32 v[26:27], v22
	v_perm_b32 v31, v29, v28, s1
	v_cvt_pk_f32_fp8_sdwa v[28:29], v22 src0_sel:WORD_1
	v_perm_b32 v22, v27, v26, s1
	v_mfma_f32_4x4x4_16b_bf16 a[0:3], v[20:21], v[30:31], a[0:3] cbsz:4 abid:5
	v_cvt_pk_f32_fp8_e32 v[30:31], v23
	v_cvt_pk_f32_fp8_sdwa v[26:27], v23 src0_sel:WORD_1
	v_perm_b32 v23, v29, v28, s1
	v_perm_b32 v28, v31, v30, s1
	s_nop 0
	v_mfma_f32_4x4x4_16b_bf16 a[0:3], v[18:19], v[22:23], a[0:3] cbsz:4 abid:6
	v_perm_b32 v29, v27, v26, s1
	v_cvt_pk_f32_fp8_e32 v[22:23], v24
	v_cvt_pk_f32_fp8_sdwa v[26:27], v24 src0_sel:WORD_1
	v_mfma_f32_4x4x4_16b_bf16 a[0:3], v[20:21], v[28:29], a[0:3] cbsz:4 abid:6
	v_cvt_pk_f32_fp8_e32 v[28:29], v25
	v_cvt_pk_f32_fp8_sdwa v[24:25], v25 src0_sel:WORD_1
	v_perm_b32 v22, v23, v22, s1
	v_perm_b32 v23, v27, v26, s1
	v_perm_b32 v26, v29, v28, s1
	v_perm_b32 v27, v25, v24, s1
	v_mfma_f32_4x4x4_16b_bf16 a[0:3], v[18:19], v[22:23], a[0:3] cbsz:4 abid:7
	s_load_dword s1, s[8:9], 0x0
	s_waitcnt lgkmcnt(0)
	v_mov_b32_e32 v18, s0
	v_mfma_f32_4x4x4_16b_bf16 a[0:3], v[20:21], v[26:27], a[0:3] cbsz:4 abid:7
	v_mov_b32_e32 v25, 0xff7fffff
	v_mul_f32_e32 v20, s1, v18
	s_nop 2
	v_accvgpr_read_b32 v23, a1
	v_accvgpr_read_b32 v22, a0
	v_pk_mul_f32 v[22:23], v[22:23], v[20:21] op_sel_hi:[1,0]
	v_accvgpr_read_b32 v19, a3
	v_accvgpr_read_b32 v18, a2
	v_pk_mul_f32 v[18:19], v[18:19], v[20:21] op_sel_hi:[1,0]
	v_cndmask_b32_e64 v20, 0, 1.0, vcc
	v_cmp_eq_u32_e32 vcc, 1, v39
	s_nop 0
	v_mfma_f32_4x4x1_16b_f32 a[0:3], v22, v20, 0
	v_cndmask_b32_e64 v20, 0, 1.0, vcc
	v_cmp_eq_u32_e32 vcc, 2, v39
	s_nop 0
	v_mfma_f32_4x4x1_16b_f32 a[0:3], v23, v20, a[0:3]
	;; [unrolled: 4-line block ×3, first 2 shown]
	v_cndmask_b32_e64 v18, 0, 1.0, vcc
	s_nop 1
	v_mfma_f32_4x4x1_16b_f32 a[0:3], v19, v18, a[0:3]
	v_and_b32_e32 v18, -4, v40
	v_subrev_u32_e32 v19, s3, v18
	v_add_u32_e32 v20, 1, v19
	v_cvt_f32_i32_e32 v20, v20
	v_add_u32_e32 v21, 2, v19
	v_cvt_f32_i32_e32 v21, v21
	v_accvgpr_read_b32 v22, a0
	v_fma_f32 v20, v41, v20, v22
	v_accvgpr_read_b32 v22, a1
	v_fma_f32 v21, v41, v21, v22
	v_add_u32_e32 v22, 3, v19
	v_cvt_f32_i32_e32 v22, v22
	v_add_u32_e32 v19, 4, v19
	v_max_f32_e32 v24, 0xff7fffff, v20
	v_cmp_gt_i32_e32 vcc, s3, v18
	v_cvt_f32_i32_e32 v19, v19
	v_accvgpr_read_b32 v23, a2
	v_cndmask_b32_e32 v24, v25, v24, vcc
	v_or_b32_e32 v25, 1, v18
	v_max_f32_e32 v26, v24, v21
	v_cmp_gt_i32_e64 s[0:1], s3, v25
	v_fma_f32 v22, v41, v22, v23
	v_or_b32_e32 v18, 2, v18
	v_cndmask_b32_e64 v24, v24, v26, s[0:1]
	v_accvgpr_read_b32 v23, a3
	v_max_f32_e32 v25, v24, v22
	v_cmp_gt_i32_e64 s[4:5], s3, v18
	v_fmac_f32_e32 v23, v41, v19
	v_lshlrev_b32_e32 v19, 2, v0
	v_cndmask_b32_e64 v18, v24, v25, s[4:5]
	v_or_b32_e32 v24, 3, v40
	v_max_f32_e32 v25, v18, v23
	v_cmp_gt_i32_e64 s[8:9], s3, v24
	v_and_or_b32 v19, v19, 48, v39
	s_nop 0
	v_cndmask_b32_e64 v18, v18, v25, s[8:9]
	;;#ASMSTART
	v_nop
 v_nop
 v_max_f32_dpp v18, v18, v18 row_ror:4
	;;#ASMEND
	v_lshlrev_b32_e32 v25, 2, v19
	;;#ASMSTART
	v_nop
 v_nop
 v_max_f32_dpp v18, v18, v18 row_ror:8
	;;#ASMEND
	ds_bpermute_b32 v18, v25, v18
	s_waitcnt lgkmcnt(0)
	;;#ASMSTART
	v_nop
 v_nop
 v_max_f32_dpp v18, v18, v18 row_ror:4
	;;#ASMEND
	s_nop 0
	;;#ASMSTART
	v_nop
 v_nop
 v_max_f32_dpp v24, v18, v18 row_ror:8
	;;#ASMEND
	s_nop 0
	v_sub_f32_e32 v18, v20, v24
	v_mul_f32_e32 v18, 0x3fb8aa3b, v18
	v_sub_f32_e32 v19, v21, v24
	v_exp_f32_e32 v18, v18
	v_mul_f32_e32 v19, 0x3fb8aa3b, v19
	v_sub_f32_e32 v21, v22, v24
	v_exp_f32_e32 v19, v19
	;; [unrolled: 3-line block ×3, first 2 shown]
	v_mul_f32_e32 v22, 0x3fb8aa3b, v22
	v_exp_f32_e32 v22, v22
	v_cndmask_b32_e32 v18, 0, v18, vcc
	v_add_f32_e32 v20, 0, v18
	v_cndmask_b32_e64 v19, 0, v19, s[0:1]
	v_add_f32_e32 v23, v20, v19
	v_cndmask_b32_e64 v20, 0, v21, s[4:5]
	;; [unrolled: 2-line block ×3, first 2 shown]
	v_add_f32_e32 v22, v23, v21
	;;#ASMSTART
	v_nop
 v_nop
 v_add_f32_dpp v22, v22, v22 row_ror:4
	;;#ASMEND
	v_cmp_gt_u32_e32 vcc, 4, v38
	;;#ASMSTART
	v_nop
 v_nop
 v_add_f32_dpp v22, v22, v22 row_ror:8
	;;#ASMEND
	ds_bpermute_b32 v22, v25, v22
	s_waitcnt lgkmcnt(0)
	;;#ASMSTART
	v_nop
 v_nop
 v_add_f32_dpp v22, v22, v22 row_ror:4
	;;#ASMEND
	s_nop 0
	;;#ASMSTART
	v_nop
 v_nop
 v_add_f32_dpp v22, v22, v22 row_ror:8
	;;#ASMEND
	s_and_saveexec_b64 s[0:1], vcc
	s_cbranch_execz .LBB1129_18
; %bb.17:
	v_mul_u32_u24_e32 v23, 20, v1
	v_lshl_add_u32 v23, v39, 2, v23
	v_add_u32_e32 v23, 0x800, v23
	ds_write2_b32 v23, v24, v22 offset0:128 offset1:148
.LBB1129_18:
	s_or_b64 exec, exec, s[0:1]
.LBB1129_19:
	s_or_b64 exec, exec, s[26:27]
	s_waitcnt lgkmcnt(0)
	s_barrier
	s_load_dword s0, s[24:25], 0x8
	v_lshlrev_b32_e32 v22, 2, v39
	v_add_u32_e32 v30, 0x800, v22
	ds_read2_b32 v[22:23], v30 offset0:128 offset1:133
	ds_read2_b32 v[26:27], v30 offset0:138 offset1:143
	s_mul_i32 s1, s2, s38
	s_waitcnt lgkmcnt(0)
	s_mul_i32 s1, s1, s0
	s_lshl_b32 s0, s1, 1
	s_mov_b32 s1, 0xff7fffff
	v_max3_f32 v25, v22, s1, v23
	v_max3_f32 v25, v25, v26, v27
	v_sub_f32_e32 v22, v22, v25
	v_mul_f32_e32 v22, 0x3fb8aa3b, v22
	ds_read2_b32 v[28:29], v30 offset0:148 offset1:153
	v_exp_f32_e32 v31, v22
	v_sub_f32_e32 v22, v23, v25
	v_sub_f32_e32 v26, v26, v25
	v_mul_f32_e32 v22, 0x3fb8aa3b, v22
	v_mul_f32_e32 v26, 0x3fb8aa3b, v26
	v_exp_f32_e32 v32, v22
	ds_read2_b32 v[22:23], v30 offset0:158 offset1:163
	v_exp_f32_e32 v30, v26
	v_sub_f32_e32 v26, v27, v25
	v_mul_f32_e32 v26, 0x3fb8aa3b, v26
	v_exp_f32_e32 v27, v26
	s_waitcnt lgkmcnt(1)
	v_fma_f32 v26, v31, v28, 0
	v_fmac_f32_e32 v26, v32, v29
	s_waitcnt lgkmcnt(0)
	v_fmac_f32_e32 v26, v30, v22
	v_fmac_f32_e32 v26, v27, v23
	v_cmp_gt_u32_e32 vcc, 2, v39
	s_and_saveexec_b64 s[2:3], vcc
	s_cbranch_execz .LBB1129_21
; %bb.20:
	s_mov_b32 s1, 0
	s_lshl_b64 s[4:5], s[0:1], 2
	s_add_u32 s12, s12, s4
	s_mov_b32 s21, s1
	s_addc_u32 s13, s13, s5
	s_lshl_b64 s[8:9], s[20:21], 2
	s_add_u32 s12, s12, s8
	s_addc_u32 s13, s13, s9
	s_add_u32 s1, s14, s4
	s_addc_u32 s5, s15, s5
	v_or_b32_e32 v22, s33, v39
	s_add_u32 s4, s1, s8
	v_mul_lo_u32 v22, s38, v22
	v_mov_b32_e32 v23, 0
	s_addc_u32 s5, s5, s9
	v_lshlrev_b64 v[22:23], 2, v[22:23]
	v_lshl_add_u64 v[28:29], s[12:13], 0, v[22:23]
	v_lshl_add_u64 v[22:23], s[4:5], 0, v[22:23]
	global_store_dword v[22:23], v25, off
	global_store_dword v[28:29], v26, off
.LBB1129_21:
	s_or_b64 exec, exec, s[2:3]
	v_mov_b32_e32 v22, 0
	v_mov_b32_e32 v23, 0
	s_and_saveexec_b64 s[2:3], s[6:7]
	s_cbranch_execz .LBB1129_23
; %bb.22:
	v_add_f32_e32 v22, 0x358637bd, v26
	v_div_scale_f32 v23, s[4:5], v22, v22, 1.0
	v_rcp_f32_e32 v26, v23
	v_div_scale_f32 v27, vcc, 1.0, v22, 1.0
	v_sub_f32_e32 v24, v24, v25
	v_fma_f32 v28, -v23, v26, 1.0
	v_fmac_f32_e32 v26, v28, v26
	v_mul_f32_e32 v28, v27, v26
	v_fma_f32 v29, -v23, v28, v27
	v_mul_f32_e32 v24, 0x3fb8aa3b, v24
	v_fmac_f32_e32 v28, v29, v26
	v_exp_f32_e32 v24, v24
	v_fma_f32 v23, -v23, v28, v27
	v_div_fmas_f32 v23, v23, v26, v28
	v_div_fixup_f32 v22, v23, v22, 1.0
	v_mul_f32_e32 v22, v24, v22
	v_pk_mul_f32 v[18:19], v[18:19], v[22:23] op_sel_hi:[1,0]
	v_pk_mul_f32 v[20:21], v[20:21], v[22:23] op_sel_hi:[1,0]
	v_bfe_u32 v22, v19, 16, 1
	v_bfe_u32 v23, v18, 16, 1
	s_movk_i32 s1, 0x7fff
	v_add3_u32 v18, v18, v23, s1
	v_add3_u32 v19, v19, v22, s1
	s_mov_b32 s5, 0x7060302
	v_perm_b32 v18, v19, v18, s5
	v_bfe_u32 v19, v21, 16, 1
	v_bfe_u32 v22, v20, 16, 1
	v_add3_u32 v22, v20, v22, s1
	v_add3_u32 v19, v21, v19, s1
	s_waitcnt vmcnt(3)
	v_cvt_pk_f32_fp8_e32 v[20:21], v14
	v_perm_b32 v19, v19, v22, s5
	v_cvt_pk_f32_fp8_sdwa v[22:23], v14 src0_sel:WORD_1
	v_cvt_pk_f32_fp8_e32 v[24:25], v15
	v_perm_b32 v14, v21, v20, s5
	v_cvt_pk_f32_fp8_sdwa v[20:21], v15 src0_sel:WORD_1
	v_perm_b32 v15, v23, v22, s5
	v_perm_b32 v22, v25, v24, s5
	s_load_dword s4, s[10:11], 0x0
	v_mfma_f32_4x4x4_16b_bf16 a[0:3], v[18:19], v[14:15], 0 cbsz:4
	v_perm_b32 v23, v21, v20, s5
	v_cvt_pk_f32_fp8_e32 v[14:15], v16
	v_cvt_pk_f32_fp8_sdwa v[20:21], v16 src0_sel:WORD_1
	v_mfma_f32_4x4x4_16b_bf16 a[0:3], v[18:19], v[22:23], a[0:3] cbsz:4 abid:1
	v_cvt_pk_f32_fp8_e32 v[22:23], v17
	v_cvt_pk_f32_fp8_sdwa v[16:17], v17 src0_sel:WORD_1
	v_perm_b32 v14, v15, v14, s5
	v_perm_b32 v15, v21, v20, s5
	v_perm_b32 v20, v23, v22, s5
	v_perm_b32 v21, v17, v16, s5
	v_mfma_f32_4x4x4_16b_bf16 a[0:3], v[18:19], v[14:15], a[0:3] cbsz:4 abid:2
	s_waitcnt vmcnt(2)
	v_cvt_pk_f32_fp8_e32 v[14:15], v10
	v_cvt_pk_f32_fp8_sdwa v[16:17], v10 src0_sel:WORD_1
	v_mfma_f32_4x4x4_16b_bf16 a[0:3], v[18:19], v[20:21], a[0:3] cbsz:4 abid:3
	v_cvt_pk_f32_fp8_e32 v[20:21], v11
	v_perm_b32 v10, v15, v14, s5
	v_cvt_pk_f32_fp8_sdwa v[14:15], v11 src0_sel:WORD_1
	v_perm_b32 v11, v17, v16, s5
	v_perm_b32 v16, v21, v20, s5
	v_perm_b32 v17, v15, v14, s5
	v_mfma_f32_4x4x4_16b_bf16 a[0:3], v[18:19], v[10:11], a[0:3] cbsz:4 abid:4
	v_cvt_pk_f32_fp8_e32 v[10:11], v12
	v_cvt_pk_f32_fp8_sdwa v[14:15], v12 src0_sel:WORD_1
	v_mfma_f32_4x4x4_16b_bf16 a[0:3], v[18:19], v[16:17], a[0:3] cbsz:4 abid:5
	v_cvt_pk_f32_fp8_e32 v[16:17], v13
	v_cvt_pk_f32_fp8_sdwa v[12:13], v13 src0_sel:WORD_1
	v_perm_b32 v10, v11, v10, s5
	v_perm_b32 v11, v15, v14, s5
	v_perm_b32 v14, v17, v16, s5
	v_perm_b32 v15, v13, v12, s5
	v_mfma_f32_4x4x4_16b_bf16 a[0:3], v[18:19], v[10:11], a[0:3] cbsz:4 abid:6
	s_waitcnt vmcnt(1)
	v_cvt_pk_f32_fp8_e32 v[10:11], v6
	v_cvt_pk_f32_fp8_sdwa v[12:13], v6 src0_sel:WORD_1
	v_mfma_f32_4x4x4_16b_bf16 a[0:3], v[18:19], v[14:15], a[0:3] cbsz:4 abid:7
	v_cvt_pk_f32_fp8_e32 v[14:15], v7
	v_perm_b32 v6, v11, v10, s5
	v_cvt_pk_f32_fp8_sdwa v[10:11], v7 src0_sel:WORD_1
	v_perm_b32 v7, v13, v12, s5
	v_perm_b32 v12, v15, v14, s5
	v_perm_b32 v13, v11, v10, s5
	v_mfma_f32_4x4x4_16b_bf16 a[0:3], v[18:19], v[6:7], a[0:3] cbsz:4 abid:8
	;; [unrolled: 21-line block ×3, first 2 shown]
	v_cvt_pk_f32_fp8_e32 v[2:3], v4
	v_cvt_pk_f32_fp8_sdwa v[6:7], v4 src0_sel:WORD_1
	v_mfma_f32_4x4x4_16b_bf16 a[0:3], v[18:19], v[8:9], a[0:3] cbsz:4 abid:13
	v_cvt_pk_f32_fp8_e32 v[8:9], v5
	v_cvt_pk_f32_fp8_sdwa v[4:5], v5 src0_sel:WORD_1
	v_perm_b32 v2, v3, v2, s5
	v_perm_b32 v3, v7, v6, s5
	;; [unrolled: 1-line block ×4, first 2 shown]
	v_mfma_f32_4x4x4_16b_bf16 a[0:3], v[18:19], v[2:3], a[0:3] cbsz:4 abid:14
	s_nop 1
	v_mfma_f32_4x4x4_16b_bf16 a[0:3], v[18:19], v[6:7], a[0:3] cbsz:4 abid:15
	s_nop 4
	v_accvgpr_read_b32 v5, a1
	v_accvgpr_read_b32 v4, a0
	;; [unrolled: 1-line block ×4, first 2 shown]
	s_waitcnt lgkmcnt(0)
	v_pk_mul_f32 v[4:5], v[4:5], s[4:5] op_sel_hi:[1,0]
	v_pk_mul_f32 v[2:3], v[2:3], s[4:5] op_sel_hi:[1,0]
	v_bfe_u32 v6, v5, 16, 1
	v_bfe_u32 v7, v4, 16, 1
	v_add3_u32 v4, v4, v7, s1
	v_add3_u32 v5, v5, v6, s1
	v_bfe_u32 v6, v3, 16, 1
	v_bfe_u32 v7, v2, 16, 1
	v_add3_u32 v2, v2, v7, s1
	v_add3_u32 v3, v3, v6, s1
	v_perm_b32 v23, v3, v2, s5
	v_perm_b32 v22, v5, v4, s5
.LBB1129_23:
	s_or_b64 exec, exec, s[2:3]
	v_lshlrev_b32_e32 v1, 3, v1
	v_mad_u32_u24 v1, v38, 40, v1
	v_cmp_gt_u32_e32 vcc, 64, v0
	ds_write_b64 v1, v[22:23]
	s_waitcnt lgkmcnt(0)
	s_barrier
	s_and_saveexec_b64 s[2:3], vcc
	s_cbranch_execz .LBB1129_25
; %bb.24:
	v_mul_u32_u24_e32 v1, 40, v38
	s_waitcnt vmcnt(0)
	ds_read2_b64 v[2:5], v1 offset1:1
	ds_read2_b64 v[6:9], v1 offset0:2 offset1:3
	s_mov_b32 s1, 0
	s_lshl_b32 s0, s0, 6
	s_lshl_b64 s[2:3], s[0:1], 1
	s_waitcnt lgkmcnt(1)
	v_and_b32_e32 v1, 0xffff0000, v2
	v_add_f32_e32 v1, 0, v1
	v_and_b32_e32 v3, 0xffff0000, v4
	v_and_b32_e32 v1, 0xffff0000, v1
	v_add_f32_e32 v1, v1, v3
	s_waitcnt lgkmcnt(0)
	v_and_b32_e32 v5, 0xffff0000, v6
	v_and_b32_e32 v1, 0xffff0000, v1
	v_add_f32_e32 v1, v1, v5
	v_and_b32_e32 v1, 0xffff0000, v1
	v_and_b32_e32 v3, 0xffff0000, v8
	v_add_f32_e32 v7, v1, v3
	v_lshlrev_b32_e32 v1, 16, v2
	s_add_u32 s2, s22, s2
	v_add_f32_e32 v1, 0, v1
	s_addc_u32 s3, s23, s3
	s_lshl_b32 s0, s20, 6
	v_and_b32_e32 v1, 0xffff0000, v1
	v_lshlrev_b32_e32 v2, 16, v4
	s_lshl_b64 s[0:1], s[0:1], 1
	v_add_f32_e32 v1, v1, v2
	s_add_u32 s0, s2, s0
	v_and_b32_e32 v1, 0xffff0000, v1
	v_lshlrev_b32_e32 v2, 16, v6
	s_addc_u32 s1, s3, s1
	s_lshl_b32 s2, s38, 6
	v_add_f32_e32 v1, v1, v2
	v_and_b32_e32 v1, 0xffff0000, v1
	v_lshlrev_b32_e32 v2, 16, v8
	s_mul_i32 s3, s2, s33
	v_add_f32_e32 v1, v1, v2
	v_or_b32_e32 v2, s3, v0
	v_mov_b32_e32 v3, 0
	s_add_i32 s3, s3, s2
	v_lshl_add_u64 v[4:5], v[2:3], 1, s[0:1]
	v_or_b32_e32 v2, s3, v0
	global_store_short_d16_hi v[4:5], v1, off
	v_lshl_add_u64 v[0:1], v[2:3], 1, s[0:1]
	global_store_short_d16_hi v[0:1], v7, off
.LBB1129_25:
	s_endpgm
	.section	.rodata,"a",@progbits
	.p2align	6, 0x0
	.amdhsa_kernel _Z38paged_attention_ll4mi_QKV_mfma4_kernelI14__hip_bfloat16hLN4vllm18Fp8KVCacheDataTypeE1ES0_Li16ELi64ELi256ELb1ELi2EEvPKT_PKT0_S8_ifPKiSA_SA_iPKfiiiPfSD_PS3_PT2_iSC_SC_
		.amdhsa_group_segment_fixed_size 2720
		.amdhsa_private_segment_fixed_size 0
		.amdhsa_kernarg_size 400
		.amdhsa_user_sgpr_count 2
		.amdhsa_user_sgpr_dispatch_ptr 0
		.amdhsa_user_sgpr_queue_ptr 0
		.amdhsa_user_sgpr_kernarg_segment_ptr 1
		.amdhsa_user_sgpr_dispatch_id 0
		.amdhsa_user_sgpr_kernarg_preload_length 0
		.amdhsa_user_sgpr_kernarg_preload_offset 0
		.amdhsa_user_sgpr_private_segment_size 0
		.amdhsa_uses_dynamic_stack 0
		.amdhsa_enable_private_segment 0
		.amdhsa_system_sgpr_workgroup_id_x 1
		.amdhsa_system_sgpr_workgroup_id_y 1
		.amdhsa_system_sgpr_workgroup_id_z 1
		.amdhsa_system_sgpr_workgroup_info 0
		.amdhsa_system_vgpr_workitem_id 0
		.amdhsa_next_free_vgpr 52
		.amdhsa_next_free_sgpr 44
		.amdhsa_accum_offset 48
		.amdhsa_reserve_vcc 1
		.amdhsa_float_round_mode_32 0
		.amdhsa_float_round_mode_16_64 0
		.amdhsa_float_denorm_mode_32 3
		.amdhsa_float_denorm_mode_16_64 3
		.amdhsa_dx10_clamp 1
		.amdhsa_ieee_mode 1
		.amdhsa_fp16_overflow 0
		.amdhsa_tg_split 0
		.amdhsa_exception_fp_ieee_invalid_op 0
		.amdhsa_exception_fp_denorm_src 0
		.amdhsa_exception_fp_ieee_div_zero 0
		.amdhsa_exception_fp_ieee_overflow 0
		.amdhsa_exception_fp_ieee_underflow 0
		.amdhsa_exception_fp_ieee_inexact 0
		.amdhsa_exception_int_div_zero 0
	.end_amdhsa_kernel
	.section	.text._Z38paged_attention_ll4mi_QKV_mfma4_kernelI14__hip_bfloat16hLN4vllm18Fp8KVCacheDataTypeE1ES0_Li16ELi64ELi256ELb1ELi2EEvPKT_PKT0_S8_ifPKiSA_SA_iPKfiiiPfSD_PS3_PT2_iSC_SC_,"axG",@progbits,_Z38paged_attention_ll4mi_QKV_mfma4_kernelI14__hip_bfloat16hLN4vllm18Fp8KVCacheDataTypeE1ES0_Li16ELi64ELi256ELb1ELi2EEvPKT_PKT0_S8_ifPKiSA_SA_iPKfiiiPfSD_PS3_PT2_iSC_SC_,comdat
.Lfunc_end1129:
	.size	_Z38paged_attention_ll4mi_QKV_mfma4_kernelI14__hip_bfloat16hLN4vllm18Fp8KVCacheDataTypeE1ES0_Li16ELi64ELi256ELb1ELi2EEvPKT_PKT0_S8_ifPKiSA_SA_iPKfiiiPfSD_PS3_PT2_iSC_SC_, .Lfunc_end1129-_Z38paged_attention_ll4mi_QKV_mfma4_kernelI14__hip_bfloat16hLN4vllm18Fp8KVCacheDataTypeE1ES0_Li16ELi64ELi256ELb1ELi2EEvPKT_PKT0_S8_ifPKiSA_SA_iPKfiiiPfSD_PS3_PT2_iSC_SC_
                                        ; -- End function
	.section	.AMDGPU.csdata,"",@progbits
; Kernel info:
; codeLenInByte = 4196
; NumSgprs: 50
; NumVgprs: 48
; NumAgprs: 4
; TotalNumVgprs: 52
; ScratchSize: 0
; MemoryBound: 0
; FloatMode: 240
; IeeeMode: 1
; LDSByteSize: 2720 bytes/workgroup (compile time only)
; SGPRBlocks: 6
; VGPRBlocks: 6
; NumSGPRsForWavesPerEU: 50
; NumVGPRsForWavesPerEU: 52
; AccumOffset: 48
; Occupancy: 8
; WaveLimiterHint : 1
; COMPUTE_PGM_RSRC2:SCRATCH_EN: 0
; COMPUTE_PGM_RSRC2:USER_SGPR: 2
; COMPUTE_PGM_RSRC2:TRAP_HANDLER: 0
; COMPUTE_PGM_RSRC2:TGID_X_EN: 1
; COMPUTE_PGM_RSRC2:TGID_Y_EN: 1
; COMPUTE_PGM_RSRC2:TGID_Z_EN: 1
; COMPUTE_PGM_RSRC2:TIDIG_COMP_CNT: 0
; COMPUTE_PGM_RSRC3_GFX90A:ACCUM_OFFSET: 11
; COMPUTE_PGM_RSRC3_GFX90A:TG_SPLIT: 0
	.section	.text._Z38paged_attention_ll4mi_QKV_mfma4_kernelI14__hip_bfloat16hLN4vllm18Fp8KVCacheDataTypeE1ES0_Li16ELi64ELi256ELb1ELi3EEvPKT_PKT0_S8_ifPKiSA_SA_iPKfiiiPfSD_PS3_PT2_iSC_SC_,"axG",@progbits,_Z38paged_attention_ll4mi_QKV_mfma4_kernelI14__hip_bfloat16hLN4vllm18Fp8KVCacheDataTypeE1ES0_Li16ELi64ELi256ELb1ELi3EEvPKT_PKT0_S8_ifPKiSA_SA_iPKfiiiPfSD_PS3_PT2_iSC_SC_,comdat
	.protected	_Z38paged_attention_ll4mi_QKV_mfma4_kernelI14__hip_bfloat16hLN4vllm18Fp8KVCacheDataTypeE1ES0_Li16ELi64ELi256ELb1ELi3EEvPKT_PKT0_S8_ifPKiSA_SA_iPKfiiiPfSD_PS3_PT2_iSC_SC_ ; -- Begin function _Z38paged_attention_ll4mi_QKV_mfma4_kernelI14__hip_bfloat16hLN4vllm18Fp8KVCacheDataTypeE1ES0_Li16ELi64ELi256ELb1ELi3EEvPKT_PKT0_S8_ifPKiSA_SA_iPKfiiiPfSD_PS3_PT2_iSC_SC_
	.globl	_Z38paged_attention_ll4mi_QKV_mfma4_kernelI14__hip_bfloat16hLN4vllm18Fp8KVCacheDataTypeE1ES0_Li16ELi64ELi256ELb1ELi3EEvPKT_PKT0_S8_ifPKiSA_SA_iPKfiiiPfSD_PS3_PT2_iSC_SC_
	.p2align	8
	.type	_Z38paged_attention_ll4mi_QKV_mfma4_kernelI14__hip_bfloat16hLN4vllm18Fp8KVCacheDataTypeE1ES0_Li16ELi64ELi256ELb1ELi3EEvPKT_PKT0_S8_ifPKiSA_SA_iPKfiiiPfSD_PS3_PT2_iSC_SC_,@function
_Z38paged_attention_ll4mi_QKV_mfma4_kernelI14__hip_bfloat16hLN4vllm18Fp8KVCacheDataTypeE1ES0_Li16ELi64ELi256ELb1ELi3EEvPKT_PKT0_S8_ifPKiSA_SA_iPKfiiiPfSD_PS3_PT2_iSC_SC_: ; @_Z38paged_attention_ll4mi_QKV_mfma4_kernelI14__hip_bfloat16hLN4vllm18Fp8KVCacheDataTypeE1ES0_Li16ELi64ELi256ELb1ELi3EEvPKT_PKT0_S8_ifPKiSA_SA_iPKfiiiPfSD_PS3_PT2_iSC_SC_
; %bb.0:
	s_load_dwordx2 s[16:17], s[0:1], 0x30
	s_mov_b32 s20, s3
	s_mov_b64 s[6:7], 0
	s_waitcnt lgkmcnt(0)
	s_cmp_lg_u64 s[16:17], 0
	s_cselect_b64 s[18:19], -1, 0
	s_and_b64 vcc, exec, s[18:19]
	s_cbranch_vccz .LBB1130_10
; %bb.1:
	s_add_i32 s8, s2, 1
	s_mov_b32 s9, 0
	s_lshl_b64 s[10:11], s[8:9], 2
	s_add_u32 s10, s16, s10
	s_mov_b32 s3, s9
	s_addc_u32 s11, s17, s11
	s_lshl_b64 s[8:9], s[2:3], 2
	s_add_u32 s8, s16, s8
	s_addc_u32 s9, s17, s9
	s_load_dword s5, s[10:11], 0x0
	s_load_dword s12, s[8:9], 0x0
	s_waitcnt lgkmcnt(0)
	s_sub_i32 s5, s5, s12
	s_cmp_eq_u32 s5, 1
	s_cselect_b64 s[8:9], -1, 0
	s_andn2_b64 vcc, exec, s[6:7]
	s_cbranch_vccnz .LBB1130_3
.LBB1130_2:
	s_mov_b32 s3, 0
	s_mov_b64 s[8:9], -1
.LBB1130_3:
	s_andn2_b64 vcc, exec, s[8:9]
	s_cbranch_vccnz .LBB1130_25
; %bb.4:
	s_load_dword s5, s[0:1], 0x9c
	s_load_dwordx2 s[6:7], s[0:1], 0x28
	s_add_u32 s24, s0, 0x90
	s_addc_u32 s25, s1, 0
	s_lshl_b64 s[28:29], s[2:3], 2
	s_waitcnt lgkmcnt(0)
	s_and_b32 s5, s5, 0xffff
	s_add_u32 s6, s6, s28
	s_addc_u32 s7, s7, s29
	s_load_dword s3, s[6:7], 0x0
	s_mul_i32 s5, s20, s5
	s_waitcnt lgkmcnt(0)
	s_cmp_ge_i32 s5, s3
	s_cbranch_scc1 .LBB1130_25
; %bb.5:
	v_and_b32_e32 v2, 0xc0, v0
	v_add_u32_e32 v4, s5, v2
	v_lshrrev_b32_e32 v1, 6, v0
	v_cmp_gt_i32_e64 s[6:7], s3, v4
	v_cmp_le_i32_e32 vcc, s3, v4
                                        ; implicit-def: $sgpr30
                                        ; implicit-def: $sgpr21
	s_and_saveexec_b64 s[8:9], vcc
	s_xor_b64 s[8:9], exec, s[8:9]
	s_cbranch_execz .LBB1130_7
; %bb.6:
	v_mul_u32_u24_e32 v2, 20, v1
	v_or_b32_e32 v2, 0xa00, v2
	v_mov_b32_e32 v3, 0xa50
	v_mov_b32_e32 v4, 0xff7fffff
	v_mad_u32_u24 v3, v1, 20, v3
	ds_write2_b32 v2, v4, v4 offset1:1
	v_mov_b32_e32 v2, 0
	ds_write2_b32 v3, v2, v2 offset1:1
	v_mov_b32_e32 v3, 0xa08
	s_mov_b32 s21, 0xff7fffff
	s_mov_b32 s30, 0
	v_mad_u32_u24 v3, v1, 20, v3
	v_mov_b32_e32 v5, 0xa58
	v_mad_u32_u24 v5, v1, 20, v5
	ds_write2_b32 v3, v4, v4 offset1:1
	ds_write2_b32 v5, v2, v2 offset1:1
                                        ; implicit-def: $vgpr4
.LBB1130_7:
	s_or_saveexec_b64 s[26:27], s[8:9]
	s_load_dwordx2 s[22:23], s[0:1], 0x68
	s_load_dwordx4 s[12:15], s[0:1], 0x58
	s_load_dword s38, s[24:25], 0x4
	s_load_dwordx4 s[8:11], s[0:1], 0x80
	v_and_b32_e32 v32, 63, v0
	v_and_b32_e32 v33, 3, v0
	s_mul_i32 s33, s4, 3
	v_mov_b32_e32 v21, s30
	v_mov_b32_e32 v24, s21
	;; [unrolled: 1-line block ×5, first 2 shown]
                                        ; implicit-def: $vgpr6_vgpr7
                                        ; implicit-def: $vgpr2_vgpr3
                                        ; implicit-def: $vgpr14_vgpr15
                                        ; implicit-def: $vgpr10_vgpr11
	s_xor_b64 exec, exec, s[26:27]
	s_cbranch_execz .LBB1130_19
; %bb.8:
	s_load_dwordx2 s[30:31], s[0:1], 0x20
	s_load_dword s21, s[0:1], 0x38
	s_add_i32 s34, s3, 15
	s_ashr_i32 s35, s34, 31
	s_lshr_b32 s35, s35, 28
	v_add_u32_e32 v34, s5, v0
	s_add_i32 s34, s34, s35
	v_ashrrev_i32_e32 v2, 31, v34
	s_ashr_i32 s34, s34, 4
	v_lshrrev_b32_e32 v2, 28, v2
	s_add_i32 s36, s34, -1
	s_waitcnt lgkmcnt(0)
	s_mul_i32 s34, s2, s21
	s_mov_b32 s35, 0
	v_add_u32_e32 v2, v34, v2
	s_lshl_b64 s[34:35], s[34:35], 2
	v_ashrrev_i32_e32 v2, 4, v2
	v_mov_b32_e32 v3, s36
	v_cmp_gt_i32_e32 vcc, s3, v34
	s_add_u32 s30, s30, s34
	s_addc_u32 s31, s31, s35
	v_cndmask_b32_e32 v2, v3, v2, vcc
	v_ashrrev_i32_e32 v3, 31, v2
	v_lshl_add_u64 v[6:7], v[2:3], 2, s[30:31]
	v_ashrrev_i32_e32 v2, 31, v4
	v_lshrrev_b32_e32 v2, 28, v2
	v_add_u32_e32 v2, v4, v2
	v_ashrrev_i32_e32 v4, 4, v2
	v_min_i32_e32 v2, s36, v4
	v_ashrrev_i32_e32 v3, 31, v2
	v_lshl_add_u64 v[8:9], v[2:3], 2, s[30:31]
	v_add_u32_e32 v2, 1, v4
	v_min_i32_e32 v2, s36, v2
	v_ashrrev_i32_e32 v3, 31, v2
	v_lshl_add_u64 v[10:11], v[2:3], 2, s[30:31]
	v_add_u32_e32 v2, 2, v4
	;; [unrolled: 4-line block ×3, first 2 shown]
	v_min_i32_e32 v2, s36, v2
	v_ashrrev_i32_e32 v3, 31, v2
	v_lshl_add_u64 v[14:15], v[2:3], 2, s[30:31]
	global_load_dword v2, v[6:7], off
	global_load_dword v5, v[8:9], off
	;; [unrolled: 1-line block ×5, first 2 shown]
	s_load_dwordx2 s[30:31], s[0:1], 0x8
	s_andn2_b64 vcc, exec, s[18:19]
	s_cbranch_vccnz .LBB1130_11
; %bb.9:
	s_add_u32 s16, s16, s28
	s_addc_u32 s17, s17, s29
	s_load_dword s5, s[16:17], 0x0
	s_branch .LBB1130_12
.LBB1130_10:
	s_mov_b64 s[8:9], 0
	s_branch .LBB1130_2
.LBB1130_11:
	s_mov_b32 s5, s2
.LBB1130_12:
	s_load_dwordx2 s[28:29], s[0:1], 0x10
	s_load_dwordx4 s[16:19], s[0:1], 0x48
	v_cmp_ne_u32_e32 vcc, 3, v33
	s_mov_b32 s37, 0
	v_mov_b32_e32 v3, 0
	v_mov_b32_e32 v10, 0
	;; [unrolled: 1-line block ×5, first 2 shown]
	s_and_saveexec_b64 s[34:35], vcc
	s_cbranch_execz .LBB1130_14
; %bb.13:
	s_load_dwordx2 s[40:41], s[0:1], 0x0
	s_waitcnt lgkmcnt(0)
	s_ashr_i32 s19, s16, 31
	s_mul_hi_u32 s21, s5, s16
	s_mul_i32 s19, s5, s19
	s_add_i32 s43, s21, s19
	s_mul_i32 s42, s5, s16
	s_lshl_b64 s[42:43], s[42:43], 1
	s_add_u32 s5, s40, s42
	s_mul_i32 s36, s4, 0xc0
	s_addc_u32 s16, s41, s43
	s_lshl_b64 s[36:37], s[36:37], 1
	s_add_u32 s36, s5, s36
	v_lshlrev_b32_e32 v6, 3, v33
	v_lshrrev_b32_e32 v7, 2, v32
	s_addc_u32 s37, s16, s37
	v_add_lshl_u32 v6, v6, v7, 4
	global_load_dwordx4 v[10:13], v6, s[36:37]
.LBB1130_14:
	s_or_b64 exec, exec, s[34:35]
	s_waitcnt lgkmcnt(0)
	s_mul_i32 s16, s4, s18
	s_add_u32 s4, s16, s30
	s_addc_u32 s5, 0, s31
	v_mov_b64_e32 v[6:7], s[4:5]
	s_waitcnt vmcnt(4)
	v_mad_i64_i32 v[6:7], s[4:5], v2, s17, v[6:7]
	v_lshlrev_b32_e32 v2, 4, v0
	v_and_b32_e32 v2, 0xf0, v2
	v_lshl_add_u64 v[6:7], v[6:7], 0, v[2:3]
	global_load_dwordx4 v[26:29], v[6:7], off
	global_load_dwordx4 v[22:25], v[6:7], off offset:256
	global_load_dwordx4 v[18:21], v[6:7], off offset:512
	global_load_dwordx4 v[14:17], v[6:7], off offset:768
	v_mov_b32_e32 v31, 1.0
	v_mov_b32_e32 v30, 0
	s_and_saveexec_b64 s[4:5], vcc
	s_cbranch_execz .LBB1130_16
; %bb.15:
	s_load_dwordx2 s[18:19], s[0:1], 0x40
	v_add_u32_e32 v30, s33, v33
	v_mov_b32_e32 v31, 0
	s_waitcnt lgkmcnt(0)
	v_lshl_add_u64 v[6:7], v[30:31], 2, s[18:19]
	global_load_dword v30, v[6:7], off
.LBB1130_16:
	s_or_b64 exec, exec, s[4:5]
	s_add_u32 s4, s28, s16
	s_addc_u32 s5, s29, 0
	v_lshlrev_b32_e32 v2, 4, v32
	v_lshl_add_u64 v[38:39], s[4:5], 0, v[2:3]
	s_waitcnt vmcnt(7)
	v_mul_hi_i32 v2, v5, s17
	v_ashrrev_i32_e32 v2, 31, v2
	v_lshrrev_b32_e32 v40, 29, v2
	v_mov_b32_e32 v41, 0
	v_mad_i64_i32 v[2:3], s[4:5], v5, s17, v[40:41]
	v_and_b32_e32 v2, -8, v2
	v_lshl_add_u64 v[42:43], v[38:39], 0, v[2:3]
	s_waitcnt vmcnt(6)
	v_mul_hi_i32 v2, v4, s17
	v_ashrrev_i32_e32 v2, 31, v2
	s_waitcnt vmcnt(5)
	v_mul_hi_i32 v37, v36, s17
	v_lshrrev_b32_e32 v40, 29, v2
	v_ashrrev_i32_e32 v37, 31, v37
	v_mad_i64_i32 v[2:3], s[4:5], v4, s17, v[40:41]
	v_lshrrev_b32_e32 v40, 29, v37
	v_mad_i64_i32 v[36:37], s[4:5], v36, s17, v[40:41]
	s_waitcnt vmcnt(4)
	v_mul_hi_i32 v40, v35, s17
	v_ashrrev_i32_e32 v40, 31, v40
	v_lshrrev_b32_e32 v40, 29, v40
	v_mad_i64_i32 v[40:41], s[4:5], v35, s17, v[40:41]
	v_and_b32_e32 v2, -8, v2
	v_and_b32_e32 v36, -8, v36
	;; [unrolled: 1-line block ×3, first 2 shown]
	v_lshl_add_u64 v[44:45], v[38:39], 0, v[2:3]
	v_lshl_add_u64 v[36:37], v[38:39], 0, v[36:37]
	;; [unrolled: 1-line block ×3, first 2 shown]
	s_waitcnt vmcnt(3)
	v_cvt_pk_f32_fp8_e32 v[40:41], v26
	s_load_dword s0, s[0:1], 0x1c
	global_load_dwordx4 v[6:9], v[42:43], off
	global_load_dwordx4 v[2:5], v[44:45], off
	v_cvt_pk_f32_fp8_sdwa v[42:43], v26 src0_sel:WORD_1
	s_mov_b32 s1, 0x7060302
	v_perm_b32 v26, v41, v40, s1
	v_cvt_pk_f32_fp8_sdwa v[40:41], v27 src0_sel:WORD_1
	v_cvt_pk_f32_fp8_e32 v[44:45], v27
	v_perm_b32 v27, v43, v42, s1
	v_cmp_eq_u32_e32 vcc, 0, v33
	v_perm_b32 v43, v41, v40, s1
	v_mfma_f32_4x4x4_16b_bf16 a[0:3], v[10:11], v[26:27], 0 cbsz:4
	v_cvt_pk_f32_fp8_e32 v[26:27], v28
	v_cvt_pk_f32_fp8_sdwa v[40:41], v28 src0_sel:WORD_1
	v_perm_b32 v42, v45, v44, s1
	v_perm_b32 v26, v27, v26, s1
	s_nop 0
	v_mfma_f32_4x4x4_16b_bf16 a[0:3], v[12:13], v[42:43], a[0:3] cbsz:4
	v_cvt_pk_f32_fp8_e32 v[42:43], v29
	v_cvt_pk_f32_fp8_sdwa v[28:29], v29 src0_sel:WORD_1
	v_perm_b32 v27, v41, v40, s1
	v_perm_b32 v40, v43, v42, s1
	s_nop 0
	v_mfma_f32_4x4x4_16b_bf16 a[0:3], v[10:11], v[26:27], a[0:3] cbsz:4 abid:1
	s_waitcnt vmcnt(4)
	v_cvt_pk_f32_fp8_e32 v[26:27], v22
	v_perm_b32 v41, v29, v28, s1
	v_cvt_pk_f32_fp8_sdwa v[28:29], v22 src0_sel:WORD_1
	v_perm_b32 v22, v27, v26, s1
	v_cvt_pk_f32_fp8_sdwa v[26:27], v23 src0_sel:WORD_1
	v_mfma_f32_4x4x4_16b_bf16 a[0:3], v[12:13], v[40:41], a[0:3] cbsz:4 abid:1
	v_cvt_pk_f32_fp8_e32 v[40:41], v23
	v_perm_b32 v23, v29, v28, s1
	v_perm_b32 v29, v27, v26, s1
	v_cvt_pk_f32_fp8_sdwa v[26:27], v24 src0_sel:WORD_1
	v_mfma_f32_4x4x4_16b_bf16 a[0:3], v[10:11], v[22:23], a[0:3] cbsz:4 abid:2
	v_cvt_pk_f32_fp8_e32 v[22:23], v24
	v_perm_b32 v28, v41, v40, s1
	v_perm_b32 v22, v23, v22, s1
	s_nop 0
	v_mfma_f32_4x4x4_16b_bf16 a[0:3], v[12:13], v[28:29], a[0:3] cbsz:4 abid:2
	v_cvt_pk_f32_fp8_e32 v[28:29], v25
	v_cvt_pk_f32_fp8_sdwa v[24:25], v25 src0_sel:WORD_1
	v_perm_b32 v23, v27, v26, s1
	v_perm_b32 v26, v29, v28, s1
	s_nop 0
	v_mfma_f32_4x4x4_16b_bf16 a[0:3], v[10:11], v[22:23], a[0:3] cbsz:4 abid:3
	s_waitcnt vmcnt(3)
	v_cvt_pk_f32_fp8_e32 v[22:23], v18
	v_perm_b32 v27, v25, v24, s1
	v_cvt_pk_f32_fp8_sdwa v[24:25], v18 src0_sel:WORD_1
	v_perm_b32 v18, v23, v22, s1
	v_cvt_pk_f32_fp8_sdwa v[22:23], v19 src0_sel:WORD_1
	v_mfma_f32_4x4x4_16b_bf16 a[0:3], v[12:13], v[26:27], a[0:3] cbsz:4 abid:3
	v_cvt_pk_f32_fp8_e32 v[26:27], v19
	v_perm_b32 v19, v25, v24, s1
	v_perm_b32 v25, v23, v22, s1
	v_cvt_pk_f32_fp8_sdwa v[22:23], v20 src0_sel:WORD_1
	v_mfma_f32_4x4x4_16b_bf16 a[0:3], v[10:11], v[18:19], a[0:3] cbsz:4 abid:4
	v_cvt_pk_f32_fp8_e32 v[18:19], v20
	v_perm_b32 v24, v27, v26, s1
	v_perm_b32 v18, v19, v18, s1
	s_nop 0
	v_mfma_f32_4x4x4_16b_bf16 a[0:3], v[12:13], v[24:25], a[0:3] cbsz:4 abid:4
	v_cvt_pk_f32_fp8_e32 v[24:25], v21
	v_cvt_pk_f32_fp8_sdwa v[20:21], v21 src0_sel:WORD_1
	v_perm_b32 v19, v23, v22, s1
	v_perm_b32 v22, v25, v24, s1
	s_nop 0
	v_mfma_f32_4x4x4_16b_bf16 a[0:3], v[10:11], v[18:19], a[0:3] cbsz:4 abid:5
	s_waitcnt vmcnt(2)
	v_cvt_pk_f32_fp8_e32 v[18:19], v14
	v_perm_b32 v23, v21, v20, s1
	v_cvt_pk_f32_fp8_sdwa v[20:21], v14 src0_sel:WORD_1
	v_mov_b32_e32 v25, 0xff7fffff
	v_mfma_f32_4x4x4_16b_bf16 a[0:3], v[12:13], v[22:23], a[0:3] cbsz:4 abid:5
	v_cvt_pk_f32_fp8_e32 v[22:23], v15
	v_perm_b32 v14, v19, v18, s1
	v_cvt_pk_f32_fp8_sdwa v[18:19], v15 src0_sel:WORD_1
	v_perm_b32 v15, v21, v20, s1
	v_perm_b32 v20, v23, v22, s1
	;; [unrolled: 1-line block ×3, first 2 shown]
	v_mfma_f32_4x4x4_16b_bf16 a[0:3], v[10:11], v[14:15], a[0:3] cbsz:4 abid:6
	v_cvt_pk_f32_fp8_e32 v[14:15], v16
	v_cvt_pk_f32_fp8_sdwa v[18:19], v16 src0_sel:WORD_1
	v_mfma_f32_4x4x4_16b_bf16 a[0:3], v[12:13], v[20:21], a[0:3] cbsz:4 abid:6
	v_cvt_pk_f32_fp8_e32 v[20:21], v17
	v_cvt_pk_f32_fp8_sdwa v[16:17], v17 src0_sel:WORD_1
	v_perm_b32 v14, v15, v14, s1
	v_perm_b32 v15, v19, v18, s1
	v_perm_b32 v18, v21, v20, s1
	v_perm_b32 v19, v17, v16, s1
	v_mfma_f32_4x4x4_16b_bf16 a[0:3], v[10:11], v[14:15], a[0:3] cbsz:4 abid:7
	s_load_dword s1, s[8:9], 0x0
	s_waitcnt lgkmcnt(0)
	v_mov_b32_e32 v10, s0
	v_mfma_f32_4x4x4_16b_bf16 a[0:3], v[12:13], v[18:19], a[0:3] cbsz:4 abid:7
	v_mul_f32_e32 v12, s1, v10
	s_nop 3
	v_accvgpr_read_b32 v15, a1
	v_accvgpr_read_b32 v14, a0
	v_pk_mul_f32 v[14:15], v[14:15], v[12:13] op_sel_hi:[1,0]
	v_accvgpr_read_b32 v11, a3
	v_accvgpr_read_b32 v10, a2
	v_pk_mul_f32 v[18:19], v[10:11], v[12:13] op_sel_hi:[1,0]
	v_cndmask_b32_e64 v10, 0, 1.0, vcc
	v_cmp_eq_u32_e32 vcc, 1, v33
	s_nop 0
	v_mfma_f32_4x4x1_16b_f32 a[0:3], v14, v10, 0
	v_cndmask_b32_e64 v10, 0, 1.0, vcc
	v_cmp_eq_u32_e32 vcc, 2, v33
	s_nop 0
	v_mfma_f32_4x4x1_16b_f32 a[0:3], v15, v10, a[0:3]
	v_cndmask_b32_e64 v10, 0, 1.0, vcc
	s_nop 1
	v_mfma_f32_4x4x1_16b_f32 a[0:3], v18, v10, a[0:3]
	global_load_dwordx4 v[14:17], v[36:37], off
	global_load_dwordx4 v[10:13], v[38:39], off
	v_and_b32_e32 v18, -4, v34
	v_mfma_f32_4x4x1_16b_f32 a[0:3], v19, v31, a[0:3]
	v_subrev_u32_e32 v19, s3, v18
	v_add_u32_e32 v20, 1, v19
	v_cvt_f32_i32_e32 v20, v20
	v_add_u32_e32 v21, 2, v19
	v_cvt_f32_i32_e32 v21, v21
	v_accvgpr_read_b32 v22, a0
	v_fma_f32 v20, v30, v20, v22
	v_accvgpr_read_b32 v22, a1
	v_fma_f32 v21, v30, v21, v22
	v_add_u32_e32 v22, 3, v19
	v_cvt_f32_i32_e32 v22, v22
	v_add_u32_e32 v19, 4, v19
	v_max_f32_e32 v24, 0xff7fffff, v20
	v_cmp_gt_i32_e32 vcc, s3, v18
	v_cvt_f32_i32_e32 v19, v19
	v_accvgpr_read_b32 v23, a2
	v_cndmask_b32_e32 v24, v25, v24, vcc
	v_or_b32_e32 v25, 1, v18
	v_max_f32_e32 v26, v24, v21
	v_cmp_gt_i32_e64 s[0:1], s3, v25
	v_fma_f32 v22, v30, v22, v23
	v_or_b32_e32 v18, 2, v18
	v_cndmask_b32_e64 v24, v24, v26, s[0:1]
	v_accvgpr_read_b32 v23, a3
	v_max_f32_e32 v25, v24, v22
	v_cmp_gt_i32_e64 s[4:5], s3, v18
	v_fmac_f32_e32 v23, v30, v19
	v_lshlrev_b32_e32 v19, 2, v0
	v_cndmask_b32_e64 v18, v24, v25, s[4:5]
	v_or_b32_e32 v24, 3, v34
	v_max_f32_e32 v25, v18, v23
	v_cmp_gt_i32_e64 s[8:9], s3, v24
	v_and_or_b32 v19, v19, 48, v33
	s_nop 0
	v_cndmask_b32_e64 v18, v18, v25, s[8:9]
	;;#ASMSTART
	v_nop
 v_nop
 v_max_f32_dpp v18, v18, v18 row_ror:4
	;;#ASMEND
	v_lshlrev_b32_e32 v25, 2, v19
	;;#ASMSTART
	v_nop
 v_nop
 v_max_f32_dpp v18, v18, v18 row_ror:8
	;;#ASMEND
	ds_bpermute_b32 v18, v25, v18
	s_waitcnt lgkmcnt(0)
	;;#ASMSTART
	v_nop
 v_nop
 v_max_f32_dpp v18, v18, v18 row_ror:4
	;;#ASMEND
	s_nop 0
	;;#ASMSTART
	v_nop
 v_nop
 v_max_f32_dpp v24, v18, v18 row_ror:8
	;;#ASMEND
	s_nop 0
	v_sub_f32_e32 v18, v20, v24
	v_mul_f32_e32 v18, 0x3fb8aa3b, v18
	v_sub_f32_e32 v19, v21, v24
	v_exp_f32_e32 v18, v18
	v_mul_f32_e32 v19, 0x3fb8aa3b, v19
	v_sub_f32_e32 v21, v22, v24
	v_exp_f32_e32 v19, v19
	;; [unrolled: 3-line block ×3, first 2 shown]
	v_mul_f32_e32 v22, 0x3fb8aa3b, v22
	v_exp_f32_e32 v22, v22
	v_cndmask_b32_e32 v18, 0, v18, vcc
	v_add_f32_e32 v20, 0, v18
	v_cndmask_b32_e64 v19, 0, v19, s[0:1]
	v_add_f32_e32 v23, v20, v19
	v_cndmask_b32_e64 v20, 0, v21, s[4:5]
	;; [unrolled: 2-line block ×3, first 2 shown]
	v_add_f32_e32 v22, v23, v21
	;;#ASMSTART
	v_nop
 v_nop
 v_add_f32_dpp v22, v22, v22 row_ror:4
	;;#ASMEND
	v_cmp_gt_u32_e32 vcc, 4, v32
	;;#ASMSTART
	v_nop
 v_nop
 v_add_f32_dpp v22, v22, v22 row_ror:8
	;;#ASMEND
	ds_bpermute_b32 v22, v25, v22
	s_waitcnt lgkmcnt(0)
	;;#ASMSTART
	v_nop
 v_nop
 v_add_f32_dpp v22, v22, v22 row_ror:4
	;;#ASMEND
	s_nop 0
	;;#ASMSTART
	v_nop
 v_nop
 v_add_f32_dpp v22, v22, v22 row_ror:8
	;;#ASMEND
	s_and_saveexec_b64 s[0:1], vcc
	s_cbranch_execz .LBB1130_18
; %bb.17:
	v_mul_u32_u24_e32 v23, 20, v1
	v_lshl_add_u32 v23, v33, 2, v23
	v_add_u32_e32 v23, 0x800, v23
	ds_write2_b32 v23, v24, v22 offset0:128 offset1:148
.LBB1130_18:
	s_or_b64 exec, exec, s[0:1]
.LBB1130_19:
	s_or_b64 exec, exec, s[26:27]
	s_waitcnt lgkmcnt(0)
	s_barrier
	s_load_dword s0, s[24:25], 0x8
	v_lshlrev_b32_e32 v22, 2, v33
	v_add_u32_e32 v30, 0x800, v22
	ds_read2_b32 v[22:23], v30 offset0:128 offset1:133
	ds_read2_b32 v[26:27], v30 offset0:138 offset1:143
	s_mul_i32 s1, s2, s38
	s_waitcnt lgkmcnt(0)
	s_mul_i32 s0, s1, s0
	s_mov_b32 s1, 0xff7fffff
	v_max3_f32 v25, v22, s1, v23
	v_max3_f32 v25, v25, v26, v27
	v_sub_f32_e32 v22, v22, v25
	v_mul_f32_e32 v22, 0x3fb8aa3b, v22
	ds_read2_b32 v[28:29], v30 offset0:148 offset1:153
	v_exp_f32_e32 v31, v22
	v_sub_f32_e32 v22, v23, v25
	v_sub_f32_e32 v26, v26, v25
	v_mul_f32_e32 v22, 0x3fb8aa3b, v22
	v_mul_f32_e32 v26, 0x3fb8aa3b, v26
	v_exp_f32_e32 v34, v22
	ds_read2_b32 v[22:23], v30 offset0:158 offset1:163
	v_exp_f32_e32 v30, v26
	v_sub_f32_e32 v26, v27, v25
	v_mul_f32_e32 v26, 0x3fb8aa3b, v26
	v_exp_f32_e32 v27, v26
	s_waitcnt lgkmcnt(1)
	v_fma_f32 v26, v31, v28, 0
	v_fmac_f32_e32 v26, v34, v29
	s_waitcnt lgkmcnt(0)
	v_fmac_f32_e32 v26, v30, v22
	s_mul_i32 s0, s0, 3
	v_fmac_f32_e32 v26, v27, v23
	v_cmp_ne_u32_e32 vcc, 3, v33
	s_and_saveexec_b64 s[2:3], vcc
	s_cbranch_execz .LBB1130_21
; %bb.20:
	s_mov_b32 s1, 0
	s_lshl_b64 s[4:5], s[0:1], 2
	s_add_u32 s12, s12, s4
	s_mov_b32 s21, s1
	s_addc_u32 s13, s13, s5
	s_lshl_b64 s[8:9], s[20:21], 2
	s_add_u32 s12, s12, s8
	s_addc_u32 s13, s13, s9
	s_add_u32 s1, s14, s4
	s_addc_u32 s5, s15, s5
	v_add_u32_e32 v22, s33, v33
	s_add_u32 s4, s1, s8
	v_mul_lo_u32 v22, s38, v22
	v_mov_b32_e32 v23, 0
	s_addc_u32 s5, s5, s9
	v_lshlrev_b64 v[22:23], 2, v[22:23]
	v_lshl_add_u64 v[28:29], s[12:13], 0, v[22:23]
	v_lshl_add_u64 v[22:23], s[4:5], 0, v[22:23]
	global_store_dword v[22:23], v25, off
	global_store_dword v[28:29], v26, off
.LBB1130_21:
	s_or_b64 exec, exec, s[2:3]
	v_mov_b32_e32 v22, 0
	v_mov_b32_e32 v23, 0
	s_and_saveexec_b64 s[2:3], s[6:7]
	s_cbranch_execz .LBB1130_23
; %bb.22:
	v_add_f32_e32 v22, 0x358637bd, v26
	v_div_scale_f32 v23, s[4:5], v22, v22, 1.0
	v_rcp_f32_e32 v26, v23
	v_div_scale_f32 v27, vcc, 1.0, v22, 1.0
	v_sub_f32_e32 v24, v24, v25
	v_fma_f32 v28, -v23, v26, 1.0
	v_fmac_f32_e32 v26, v28, v26
	v_mul_f32_e32 v28, v27, v26
	v_fma_f32 v29, -v23, v28, v27
	v_mul_f32_e32 v24, 0x3fb8aa3b, v24
	v_fmac_f32_e32 v28, v29, v26
	v_exp_f32_e32 v24, v24
	v_fma_f32 v23, -v23, v28, v27
	v_div_fmas_f32 v23, v23, v26, v28
	v_div_fixup_f32 v22, v23, v22, 1.0
	v_mul_f32_e32 v22, v24, v22
	v_pk_mul_f32 v[18:19], v[18:19], v[22:23] op_sel_hi:[1,0]
	v_pk_mul_f32 v[20:21], v[20:21], v[22:23] op_sel_hi:[1,0]
	v_bfe_u32 v22, v19, 16, 1
	v_bfe_u32 v23, v18, 16, 1
	s_movk_i32 s1, 0x7fff
	v_add3_u32 v18, v18, v23, s1
	v_add3_u32 v19, v19, v22, s1
	s_mov_b32 s5, 0x7060302
	v_perm_b32 v18, v19, v18, s5
	v_bfe_u32 v19, v21, 16, 1
	v_bfe_u32 v22, v20, 16, 1
	v_add3_u32 v22, v20, v22, s1
	v_add3_u32 v19, v21, v19, s1
	s_waitcnt vmcnt(3)
	v_cvt_pk_f32_fp8_e32 v[20:21], v6
	v_perm_b32 v19, v19, v22, s5
	v_cvt_pk_f32_fp8_sdwa v[22:23], v6 src0_sel:WORD_1
	v_cvt_pk_f32_fp8_e32 v[24:25], v7
	v_perm_b32 v6, v21, v20, s5
	v_cvt_pk_f32_fp8_sdwa v[20:21], v7 src0_sel:WORD_1
	v_perm_b32 v7, v23, v22, s5
	v_perm_b32 v22, v25, v24, s5
	s_load_dword s4, s[10:11], 0x0
	v_mfma_f32_4x4x4_16b_bf16 a[0:3], v[18:19], v[6:7], 0 cbsz:4
	v_perm_b32 v23, v21, v20, s5
	v_cvt_pk_f32_fp8_e32 v[6:7], v8
	v_cvt_pk_f32_fp8_sdwa v[20:21], v8 src0_sel:WORD_1
	v_mfma_f32_4x4x4_16b_bf16 a[0:3], v[18:19], v[22:23], a[0:3] cbsz:4 abid:1
	v_cvt_pk_f32_fp8_e32 v[22:23], v9
	v_cvt_pk_f32_fp8_sdwa v[8:9], v9 src0_sel:WORD_1
	v_perm_b32 v6, v7, v6, s5
	v_perm_b32 v7, v21, v20, s5
	;; [unrolled: 1-line block ×4, first 2 shown]
	v_mfma_f32_4x4x4_16b_bf16 a[0:3], v[18:19], v[6:7], a[0:3] cbsz:4 abid:2
	s_waitcnt vmcnt(2)
	v_cvt_pk_f32_fp8_e32 v[6:7], v2
	v_cvt_pk_f32_fp8_sdwa v[8:9], v2 src0_sel:WORD_1
	v_mfma_f32_4x4x4_16b_bf16 a[0:3], v[18:19], v[20:21], a[0:3] cbsz:4 abid:3
	v_cvt_pk_f32_fp8_e32 v[20:21], v3
	v_perm_b32 v2, v7, v6, s5
	v_cvt_pk_f32_fp8_sdwa v[6:7], v3 src0_sel:WORD_1
	v_perm_b32 v3, v9, v8, s5
	v_perm_b32 v8, v21, v20, s5
	;; [unrolled: 1-line block ×3, first 2 shown]
	v_mfma_f32_4x4x4_16b_bf16 a[0:3], v[18:19], v[2:3], a[0:3] cbsz:4 abid:4
	v_cvt_pk_f32_fp8_e32 v[2:3], v4
	v_cvt_pk_f32_fp8_sdwa v[6:7], v4 src0_sel:WORD_1
	v_mfma_f32_4x4x4_16b_bf16 a[0:3], v[18:19], v[8:9], a[0:3] cbsz:4 abid:5
	v_cvt_pk_f32_fp8_e32 v[8:9], v5
	v_cvt_pk_f32_fp8_sdwa v[4:5], v5 src0_sel:WORD_1
	v_perm_b32 v2, v3, v2, s5
	v_perm_b32 v3, v7, v6, s5
	v_perm_b32 v6, v9, v8, s5
	v_perm_b32 v7, v5, v4, s5
	v_mfma_f32_4x4x4_16b_bf16 a[0:3], v[18:19], v[2:3], a[0:3] cbsz:4 abid:6
	s_waitcnt vmcnt(1)
	v_cvt_pk_f32_fp8_e32 v[2:3], v14
	v_cvt_pk_f32_fp8_sdwa v[4:5], v14 src0_sel:WORD_1
	v_mfma_f32_4x4x4_16b_bf16 a[0:3], v[18:19], v[6:7], a[0:3] cbsz:4 abid:7
	v_cvt_pk_f32_fp8_e32 v[6:7], v15
	v_cvt_pk_f32_fp8_sdwa v[8:9], v15 src0_sel:WORD_1
	v_perm_b32 v2, v3, v2, s5
	v_perm_b32 v3, v5, v4, s5
	;; [unrolled: 1-line block ×4, first 2 shown]
	v_mfma_f32_4x4x4_16b_bf16 a[0:3], v[18:19], v[2:3], a[0:3] cbsz:4 abid:8
	v_cvt_pk_f32_fp8_e32 v[2:3], v16
	v_cvt_pk_f32_fp8_e32 v[6:7], v17
	v_mfma_f32_4x4x4_16b_bf16 a[0:3], v[18:19], v[4:5], a[0:3] cbsz:4 abid:9
	v_cvt_pk_f32_fp8_sdwa v[4:5], v16 src0_sel:WORD_1
	v_cvt_pk_f32_fp8_sdwa v[8:9], v17 src0_sel:WORD_1
	v_perm_b32 v2, v3, v2, s5
	v_perm_b32 v3, v5, v4, s5
	;; [unrolled: 1-line block ×3, first 2 shown]
	s_nop 0
	v_mfma_f32_4x4x4_16b_bf16 a[0:3], v[18:19], v[2:3], a[0:3] cbsz:4 abid:10
	v_perm_b32 v5, v9, v8, s5
	s_waitcnt vmcnt(0)
	v_cvt_pk_f32_fp8_e32 v[2:3], v10
	v_cvt_pk_f32_fp8_e32 v[6:7], v11
	v_mfma_f32_4x4x4_16b_bf16 a[0:3], v[18:19], v[4:5], a[0:3] cbsz:4 abid:11
	v_cvt_pk_f32_fp8_sdwa v[4:5], v10 src0_sel:WORD_1
	v_cvt_pk_f32_fp8_sdwa v[8:9], v11 src0_sel:WORD_1
	v_perm_b32 v2, v3, v2, s5
	v_perm_b32 v3, v5, v4, s5
	;; [unrolled: 1-line block ×3, first 2 shown]
	s_nop 0
	v_mfma_f32_4x4x4_16b_bf16 a[0:3], v[18:19], v[2:3], a[0:3] cbsz:4 abid:12
	v_perm_b32 v5, v9, v8, s5
	v_cvt_pk_f32_fp8_e32 v[2:3], v12
	v_cvt_pk_f32_fp8_e32 v[6:7], v13
	v_mfma_f32_4x4x4_16b_bf16 a[0:3], v[18:19], v[4:5], a[0:3] cbsz:4 abid:13
	v_cvt_pk_f32_fp8_sdwa v[4:5], v12 src0_sel:WORD_1
	v_cvt_pk_f32_fp8_sdwa v[8:9], v13 src0_sel:WORD_1
	v_perm_b32 v2, v3, v2, s5
	v_perm_b32 v3, v5, v4, s5
	;; [unrolled: 1-line block ×3, first 2 shown]
	s_nop 0
	v_mfma_f32_4x4x4_16b_bf16 a[0:3], v[18:19], v[2:3], a[0:3] cbsz:4 abid:14
	v_perm_b32 v5, v9, v8, s5
	s_nop 1
	v_mfma_f32_4x4x4_16b_bf16 a[0:3], v[18:19], v[4:5], a[0:3] cbsz:4 abid:15
	s_nop 4
	v_accvgpr_read_b32 v5, a1
	v_accvgpr_read_b32 v4, a0
	;; [unrolled: 1-line block ×4, first 2 shown]
	s_waitcnt lgkmcnt(0)
	v_pk_mul_f32 v[4:5], v[4:5], s[4:5] op_sel_hi:[1,0]
	v_pk_mul_f32 v[2:3], v[2:3], s[4:5] op_sel_hi:[1,0]
	v_bfe_u32 v6, v5, 16, 1
	v_bfe_u32 v7, v4, 16, 1
	v_add3_u32 v4, v4, v7, s1
	v_add3_u32 v5, v5, v6, s1
	v_bfe_u32 v6, v3, 16, 1
	v_bfe_u32 v7, v2, 16, 1
	v_add3_u32 v2, v2, v7, s1
	v_add3_u32 v3, v3, v6, s1
	v_perm_b32 v23, v3, v2, s5
	v_perm_b32 v22, v5, v4, s5
.LBB1130_23:
	s_or_b64 exec, exec, s[2:3]
	v_lshlrev_b32_e32 v1, 3, v1
	v_mad_u32_u24 v1, v32, 40, v1
	v_cmp_gt_u32_e32 vcc, 64, v0
	ds_write_b64 v1, v[22:23]
	s_waitcnt lgkmcnt(0)
	s_barrier
	s_and_saveexec_b64 s[2:3], vcc
	s_cbranch_execz .LBB1130_25
; %bb.24:
	v_mul_u32_u24_e32 v1, 40, v32
	s_waitcnt vmcnt(2)
	ds_read2_b64 v[2:5], v1 offset1:1
	ds_read2_b64 v[6:9], v1 offset0:2 offset1:3
	s_mov_b32 s1, 0
	s_lshl_b32 s0, s0, 6
	s_lshl_b64 s[2:3], s[0:1], 1
	s_waitcnt lgkmcnt(1)
	v_and_b32_e32 v1, 0xffff0000, v2
	v_lshlrev_b32_e32 v3, 16, v3
	v_add_f32_e32 v1, 0, v1
	v_add_f32_e32 v3, 0, v3
	v_and_b32_e32 v1, 0xffff0000, v1
	s_waitcnt vmcnt(0)
	v_and_b32_e32 v10, 0xffff0000, v4
	v_and_b32_e32 v3, 0xffff0000, v3
	v_add_f32_e32 v1, v1, v10
	v_lshlrev_b32_e32 v5, 16, v5
	v_and_b32_e32 v1, 0xffff0000, v1
	v_add_f32_e32 v3, v3, v5
	s_waitcnt lgkmcnt(0)
	v_and_b32_e32 v5, 0xffff0000, v6
	v_and_b32_e32 v3, 0xffff0000, v3
	v_add_f32_e32 v1, v1, v5
	v_lshlrev_b32_e32 v5, 16, v7
	v_and_b32_e32 v1, 0xffff0000, v1
	v_add_f32_e32 v3, v3, v5
	v_and_b32_e32 v5, 0xffff0000, v8
	v_lshlrev_b32_e32 v2, 16, v2
	v_and_b32_e32 v3, 0xffff0000, v3
	v_add_f32_e32 v1, v1, v5
	v_lshlrev_b32_e32 v5, 16, v9
	s_add_u32 s2, s22, s2
	v_add_f32_e32 v2, 0, v2
	v_add_f32_e32 v7, v3, v5
	s_addc_u32 s3, s23, s3
	s_lshl_b32 s0, s20, 6
	v_and_b32_e32 v2, 0xffff0000, v2
	v_lshlrev_b32_e32 v3, 16, v4
	s_lshl_b64 s[0:1], s[0:1], 1
	v_add_f32_e32 v2, v2, v3
	s_add_u32 s0, s2, s0
	v_and_b32_e32 v2, 0xffff0000, v2
	v_lshlrev_b32_e32 v3, 16, v6
	s_addc_u32 s1, s3, s1
	s_lshl_b32 s2, s38, 6
	v_add_f32_e32 v2, v2, v3
	v_and_b32_e32 v2, 0xffff0000, v2
	v_lshlrev_b32_e32 v3, 16, v8
	s_mul_i32 s3, s2, s33
	v_add_f32_e32 v6, v2, v3
	v_or_b32_e32 v2, s3, v0
	v_mov_b32_e32 v3, 0
	s_add_i32 s3, s3, s2
	v_lshl_add_u64 v[4:5], v[2:3], 1, s[0:1]
	v_or_b32_e32 v2, s3, v0
	s_add_i32 s3, s3, s2
	global_store_short_d16_hi v[4:5], v6, off
	v_lshl_add_u64 v[4:5], v[2:3], 1, s[0:1]
	v_or_b32_e32 v2, s3, v0
	global_store_short_d16_hi v[4:5], v1, off
	v_lshl_add_u64 v[0:1], v[2:3], 1, s[0:1]
	global_store_short_d16_hi v[0:1], v7, off
.LBB1130_25:
	s_endpgm
	.section	.rodata,"a",@progbits
	.p2align	6, 0x0
	.amdhsa_kernel _Z38paged_attention_ll4mi_QKV_mfma4_kernelI14__hip_bfloat16hLN4vllm18Fp8KVCacheDataTypeE1ES0_Li16ELi64ELi256ELb1ELi3EEvPKT_PKT0_S8_ifPKiSA_SA_iPKfiiiPfSD_PS3_PT2_iSC_SC_
		.amdhsa_group_segment_fixed_size 2720
		.amdhsa_private_segment_fixed_size 0
		.amdhsa_kernarg_size 400
		.amdhsa_user_sgpr_count 2
		.amdhsa_user_sgpr_dispatch_ptr 0
		.amdhsa_user_sgpr_queue_ptr 0
		.amdhsa_user_sgpr_kernarg_segment_ptr 1
		.amdhsa_user_sgpr_dispatch_id 0
		.amdhsa_user_sgpr_kernarg_preload_length 0
		.amdhsa_user_sgpr_kernarg_preload_offset 0
		.amdhsa_user_sgpr_private_segment_size 0
		.amdhsa_uses_dynamic_stack 0
		.amdhsa_enable_private_segment 0
		.amdhsa_system_sgpr_workgroup_id_x 1
		.amdhsa_system_sgpr_workgroup_id_y 1
		.amdhsa_system_sgpr_workgroup_id_z 1
		.amdhsa_system_sgpr_workgroup_info 0
		.amdhsa_system_vgpr_workitem_id 0
		.amdhsa_next_free_vgpr 52
		.amdhsa_next_free_sgpr 44
		.amdhsa_accum_offset 48
		.amdhsa_reserve_vcc 1
		.amdhsa_float_round_mode_32 0
		.amdhsa_float_round_mode_16_64 0
		.amdhsa_float_denorm_mode_32 3
		.amdhsa_float_denorm_mode_16_64 3
		.amdhsa_dx10_clamp 1
		.amdhsa_ieee_mode 1
		.amdhsa_fp16_overflow 0
		.amdhsa_tg_split 0
		.amdhsa_exception_fp_ieee_invalid_op 0
		.amdhsa_exception_fp_denorm_src 0
		.amdhsa_exception_fp_ieee_div_zero 0
		.amdhsa_exception_fp_ieee_overflow 0
		.amdhsa_exception_fp_ieee_underflow 0
		.amdhsa_exception_fp_ieee_inexact 0
		.amdhsa_exception_int_div_zero 0
	.end_amdhsa_kernel
	.section	.text._Z38paged_attention_ll4mi_QKV_mfma4_kernelI14__hip_bfloat16hLN4vllm18Fp8KVCacheDataTypeE1ES0_Li16ELi64ELi256ELb1ELi3EEvPKT_PKT0_S8_ifPKiSA_SA_iPKfiiiPfSD_PS3_PT2_iSC_SC_,"axG",@progbits,_Z38paged_attention_ll4mi_QKV_mfma4_kernelI14__hip_bfloat16hLN4vllm18Fp8KVCacheDataTypeE1ES0_Li16ELi64ELi256ELb1ELi3EEvPKT_PKT0_S8_ifPKiSA_SA_iPKfiiiPfSD_PS3_PT2_iSC_SC_,comdat
.Lfunc_end1130:
	.size	_Z38paged_attention_ll4mi_QKV_mfma4_kernelI14__hip_bfloat16hLN4vllm18Fp8KVCacheDataTypeE1ES0_Li16ELi64ELi256ELb1ELi3EEvPKT_PKT0_S8_ifPKiSA_SA_iPKfiiiPfSD_PS3_PT2_iSC_SC_, .Lfunc_end1130-_Z38paged_attention_ll4mi_QKV_mfma4_kernelI14__hip_bfloat16hLN4vllm18Fp8KVCacheDataTypeE1ES0_Li16ELi64ELi256ELb1ELi3EEvPKT_PKT0_S8_ifPKiSA_SA_iPKfiiiPfSD_PS3_PT2_iSC_SC_
                                        ; -- End function
	.section	.AMDGPU.csdata,"",@progbits
; Kernel info:
; codeLenInByte = 4280
; NumSgprs: 50
; NumVgprs: 46
; NumAgprs: 4
; TotalNumVgprs: 52
; ScratchSize: 0
; MemoryBound: 0
; FloatMode: 240
; IeeeMode: 1
; LDSByteSize: 2720 bytes/workgroup (compile time only)
; SGPRBlocks: 6
; VGPRBlocks: 6
; NumSGPRsForWavesPerEU: 50
; NumVGPRsForWavesPerEU: 52
; AccumOffset: 48
; Occupancy: 8
; WaveLimiterHint : 1
; COMPUTE_PGM_RSRC2:SCRATCH_EN: 0
; COMPUTE_PGM_RSRC2:USER_SGPR: 2
; COMPUTE_PGM_RSRC2:TRAP_HANDLER: 0
; COMPUTE_PGM_RSRC2:TGID_X_EN: 1
; COMPUTE_PGM_RSRC2:TGID_Y_EN: 1
; COMPUTE_PGM_RSRC2:TGID_Z_EN: 1
; COMPUTE_PGM_RSRC2:TIDIG_COMP_CNT: 0
; COMPUTE_PGM_RSRC3_GFX90A:ACCUM_OFFSET: 11
; COMPUTE_PGM_RSRC3_GFX90A:TG_SPLIT: 0
	.section	.text._Z38paged_attention_ll4mi_QKV_mfma4_kernelI14__hip_bfloat16hLN4vllm18Fp8KVCacheDataTypeE1ES0_Li16ELi64ELi256ELb1ELi4EEvPKT_PKT0_S8_ifPKiSA_SA_iPKfiiiPfSD_PS3_PT2_iSC_SC_,"axG",@progbits,_Z38paged_attention_ll4mi_QKV_mfma4_kernelI14__hip_bfloat16hLN4vllm18Fp8KVCacheDataTypeE1ES0_Li16ELi64ELi256ELb1ELi4EEvPKT_PKT0_S8_ifPKiSA_SA_iPKfiiiPfSD_PS3_PT2_iSC_SC_,comdat
	.protected	_Z38paged_attention_ll4mi_QKV_mfma4_kernelI14__hip_bfloat16hLN4vllm18Fp8KVCacheDataTypeE1ES0_Li16ELi64ELi256ELb1ELi4EEvPKT_PKT0_S8_ifPKiSA_SA_iPKfiiiPfSD_PS3_PT2_iSC_SC_ ; -- Begin function _Z38paged_attention_ll4mi_QKV_mfma4_kernelI14__hip_bfloat16hLN4vllm18Fp8KVCacheDataTypeE1ES0_Li16ELi64ELi256ELb1ELi4EEvPKT_PKT0_S8_ifPKiSA_SA_iPKfiiiPfSD_PS3_PT2_iSC_SC_
	.globl	_Z38paged_attention_ll4mi_QKV_mfma4_kernelI14__hip_bfloat16hLN4vllm18Fp8KVCacheDataTypeE1ES0_Li16ELi64ELi256ELb1ELi4EEvPKT_PKT0_S8_ifPKiSA_SA_iPKfiiiPfSD_PS3_PT2_iSC_SC_
	.p2align	8
	.type	_Z38paged_attention_ll4mi_QKV_mfma4_kernelI14__hip_bfloat16hLN4vllm18Fp8KVCacheDataTypeE1ES0_Li16ELi64ELi256ELb1ELi4EEvPKT_PKT0_S8_ifPKiSA_SA_iPKfiiiPfSD_PS3_PT2_iSC_SC_,@function
_Z38paged_attention_ll4mi_QKV_mfma4_kernelI14__hip_bfloat16hLN4vllm18Fp8KVCacheDataTypeE1ES0_Li16ELi64ELi256ELb1ELi4EEvPKT_PKT0_S8_ifPKiSA_SA_iPKfiiiPfSD_PS3_PT2_iSC_SC_: ; @_Z38paged_attention_ll4mi_QKV_mfma4_kernelI14__hip_bfloat16hLN4vllm18Fp8KVCacheDataTypeE1ES0_Li16ELi64ELi256ELb1ELi4EEvPKT_PKT0_S8_ifPKiSA_SA_iPKfiiiPfSD_PS3_PT2_iSC_SC_
; %bb.0:
	s_load_dwordx2 s[16:17], s[0:1], 0x30
	s_mov_b32 s24, s3
	s_mov_b64 s[6:7], 0
	s_waitcnt lgkmcnt(0)
	s_cmp_lg_u64 s[16:17], 0
	s_cselect_b64 s[18:19], -1, 0
	s_and_b64 vcc, exec, s[18:19]
	s_cbranch_vccz .LBB1131_18
; %bb.1:
	s_add_i32 s8, s2, 1
	s_mov_b32 s9, 0
	s_lshl_b64 s[10:11], s[8:9], 2
	s_add_u32 s10, s16, s10
	s_mov_b32 s3, s9
	s_addc_u32 s11, s17, s11
	s_lshl_b64 s[8:9], s[2:3], 2
	s_add_u32 s8, s16, s8
	s_addc_u32 s9, s17, s9
	s_load_dword s5, s[10:11], 0x0
	s_load_dword s12, s[8:9], 0x0
	s_mov_b64 s[34:35], s[2:3]
	s_waitcnt lgkmcnt(0)
	s_sub_i32 s5, s5, s12
	s_cmp_eq_u32 s5, 1
	s_cselect_b64 s[8:9], -1, 0
	s_andn2_b64 vcc, exec, s[6:7]
	s_cbranch_vccnz .LBB1131_3
.LBB1131_2:
	s_mov_b32 s3, 0
	s_mov_b64 s[8:9], -1
	s_mov_b64 s[34:35], s[2:3]
.LBB1131_3:
	s_andn2_b64 vcc, exec, s[8:9]
	s_cbranch_vccnz .LBB1131_17
; %bb.4:
	s_load_dword s3, s[0:1], 0x9c
	s_load_dwordx2 s[6:7], s[0:1], 0x28
	s_add_u32 s28, s0, 0x90
	s_addc_u32 s29, s1, 0
	s_lshl_b64 s[40:41], s[34:35], 2
	s_waitcnt lgkmcnt(0)
	s_and_b32 s5, s3, 0xffff
	s_add_u32 s6, s6, s40
	s_addc_u32 s7, s7, s41
	s_load_dword s3, s[6:7], 0x0
	s_mul_i32 s5, s24, s5
	s_waitcnt lgkmcnt(0)
	s_cmp_ge_i32 s5, s3
	s_cbranch_scc1 .LBB1131_17
; %bb.5:
	v_and_b32_e32 v2, 0xc0, v0
	v_and_b32_e32 v25, 3, v0
	s_lshl_b32 s33, s4, 2
	v_add_u32_e32 v4, s5, v2
	v_lshrrev_b32_e32 v1, 6, v0
	v_cmp_gt_i32_e64 s[6:7], s3, v4
	v_cmp_le_i32_e32 vcc, s3, v4
	v_or_b32_e32 v22, s33, v25
                                        ; implicit-def: $sgpr21
                                        ; implicit-def: $sgpr20
	s_and_saveexec_b64 s[8:9], vcc
	s_xor_b64 s[8:9], exec, s[8:9]
	s_cbranch_execz .LBB1131_7
; %bb.6:
	v_mul_u32_u24_e32 v2, 20, v1
	v_or_b32_e32 v2, 0xa00, v2
	v_mov_b32_e32 v3, 0xa50
	v_mov_b32_e32 v4, 0xff7fffff
	v_mad_u32_u24 v3, v1, 20, v3
	ds_write2_b32 v2, v4, v4 offset1:1
	v_mov_b32_e32 v2, 0
	ds_write2_b32 v3, v2, v2 offset1:1
	v_mov_b32_e32 v3, 0xa08
	s_mov_b32 s20, 0xff7fffff
	s_mov_b32 s21, 0
	v_mad_u32_u24 v3, v1, 20, v3
	v_mov_b32_e32 v5, 0xa58
	v_or_b32_e32 v22, s33, v25
	v_mad_u32_u24 v5, v1, 20, v5
	ds_write2_b32 v3, v4, v4 offset1:1
	ds_write2_b32 v5, v2, v2 offset1:1
                                        ; implicit-def: $vgpr4
.LBB1131_7:
	s_or_saveexec_b64 s[30:31], s[8:9]
	s_load_dwordx2 s[26:27], s[0:1], 0x68
	s_load_dwordx4 s[12:15], s[0:1], 0x58
	s_load_dword s44, s[28:29], 0x4
	s_load_dwordx4 s[8:11], s[0:1], 0x80
	v_and_b32_e32 v24, 63, v0
	v_mov_b32_e32 v21, s21
	v_mov_b32_e32 v26, s20
	v_mov_b32_e32 v20, s21
	v_mov_b32_e32 v19, s21
	v_mov_b32_e32 v18, s21
                                        ; implicit-def: $vgpr14_vgpr15
                                        ; implicit-def: $vgpr10_vgpr11
                                        ; implicit-def: $vgpr6_vgpr7
                                        ; implicit-def: $vgpr2_vgpr3
	s_xor_b64 exec, exec, s[30:31]
	s_cbranch_execz .LBB1131_13
; %bb.8:
	s_load_dwordx2 s[20:21], s[0:1], 0x20
	s_load_dword s22, s[0:1], 0x38
	s_add_i32 s23, s3, 15
	s_ashr_i32 s25, s23, 31
	s_lshr_b32 s25, s25, 28
	v_add_u32_e32 v26, s5, v0
	s_add_i32 s23, s23, s25
	v_ashrrev_i32_e32 v2, 31, v26
	s_ashr_i32 s23, s23, 4
	v_lshrrev_b32_e32 v2, 28, v2
	s_add_i32 s25, s23, -1
	s_waitcnt lgkmcnt(0)
	s_mul_i32 s42, s2, s22
	s_mov_b32 s43, 0
	v_add_u32_e32 v2, v26, v2
	s_lshl_b64 s[22:23], s[42:43], 2
	v_ashrrev_i32_e32 v2, 4, v2
	v_mov_b32_e32 v3, s25
	v_cmp_gt_i32_e32 vcc, s3, v26
	s_add_u32 s20, s20, s22
	s_addc_u32 s21, s21, s23
	v_cndmask_b32_e32 v2, v3, v2, vcc
	v_ashrrev_i32_e32 v3, 31, v2
	v_lshl_add_u64 v[8:9], v[2:3], 2, s[20:21]
	v_ashrrev_i32_e32 v2, 31, v4
	v_lshrrev_b32_e32 v2, 28, v2
	v_add_u32_e32 v2, v4, v2
	v_ashrrev_i32_e32 v4, 4, v2
	v_min_i32_e32 v2, s25, v4
	v_ashrrev_i32_e32 v3, 31, v2
	v_lshl_add_u64 v[10:11], v[2:3], 2, s[20:21]
	v_add_u32_e32 v2, 1, v4
	v_min_i32_e32 v2, s25, v2
	v_ashrrev_i32_e32 v3, 31, v2
	v_lshl_add_u64 v[12:13], v[2:3], 2, s[20:21]
	v_add_u32_e32 v2, 2, v4
	;; [unrolled: 4-line block ×3, first 2 shown]
	v_min_i32_e32 v2, s25, v2
	v_ashrrev_i32_e32 v3, 31, v2
	v_lshl_add_u64 v[16:17], v[2:3], 2, s[20:21]
	global_load_dword v6, v[8:9], off
	global_load_dword v5, v[10:11], off
	;; [unrolled: 1-line block ×5, first 2 shown]
	s_load_dwordx2 s[38:39], s[0:1], 0x40
	s_load_dwordx4 s[20:23], s[0:1], 0x0
	s_load_dwordx2 s[36:37], s[0:1], 0x10
	s_andn2_b64 vcc, exec, s[18:19]
	s_cbranch_vccnz .LBB1131_10
; %bb.9:
	s_add_u32 s16, s16, s40
	s_addc_u32 s17, s17, s41
	s_load_dword s42, s[16:17], 0x0
	s_waitcnt lgkmcnt(0)
	s_mov_b64 s[34:35], s[42:43]
.LBB1131_10:
	s_load_dwordx4 s[16:19], s[0:1], 0x48
	s_load_dword s5, s[0:1], 0x1c
	v_lshlrev_b32_e32 v10, 3, v25
	v_cmp_eq_u32_e32 vcc, 0, v25
	s_waitcnt lgkmcnt(0)
	s_ashr_i32 s1, s16, 31
	s_mul_hi_u32 s19, s34, s16
	s_mul_i32 s1, s34, s1
	s_mul_i32 s25, s35, s16
	s_add_i32 s1, s19, s1
	s_mul_i32 s0, s34, s16
	s_add_i32 s1, s1, s25
	s_lshl_b64 s[0:1], s[0:1], 1
	s_add_u32 s16, s20, s0
	s_addc_u32 s19, s21, s1
	s_lshl_b32 s42, s4, 8
	s_lshl_b64 s[0:1], s[42:43], 1
	s_add_u32 s0, s16, s0
	s_addc_u32 s1, s19, s1
	s_mul_i32 s4, s4, s18
	s_add_u32 s18, s4, s22
	s_addc_u32 s19, 0, s23
	v_mov_b64_e32 v[8:9], s[18:19]
	s_waitcnt vmcnt(4)
	v_mad_i64_i32 v[6:7], s[18:19], v6, s17, v[8:9]
	v_lshlrev_b32_e32 v8, 4, v0
	v_and_b32_e32 v8, 0xf0, v8
	v_mov_b32_e32 v9, 0
	v_lshl_add_u64 v[6:7], v[6:7], 0, v[8:9]
	v_lshrrev_b32_e32 v8, 2, v24
	v_add_lshl_u32 v8, v10, v8, 4
	global_load_dwordx4 v[28:31], v[6:7], off
	global_load_dwordx4 v[32:35], v[6:7], off offset:256
	global_load_dwordx4 v[18:21], v[6:7], off offset:512
	global_load_dwordx4 v[36:39], v8, s[0:1]
	global_load_dwordx4 v[40:43], v[6:7], off offset:768
	v_mov_b32_e32 v23, v9
	v_lshl_add_u64 v[10:11], v[22:23], 2, s[38:39]
	global_load_dword v23, v[10:11], off
	s_waitcnt vmcnt(9)
	v_mul_hi_i32 v8, v5, s17
	s_add_u32 s18, s36, s4
	s_waitcnt vmcnt(8)
	v_mul_hi_i32 v10, v4, s17
	v_ashrrev_i32_e32 v13, 31, v8
	s_addc_u32 s19, s37, 0
	v_lshlrev_b32_e32 v8, 4, v24
	s_waitcnt vmcnt(7)
	v_mul_hi_i32 v11, v3, s17
	v_ashrrev_i32_e32 v14, 31, v10
	v_lshl_add_u64 v[6:7], s[18:19], 0, v[8:9]
	v_lshrrev_b32_e32 v8, 29, v13
	s_waitcnt vmcnt(6)
	v_mul_hi_i32 v12, v2, s17
	v_ashrrev_i32_e32 v15, 31, v11
	v_mad_i64_i32 v[10:11], s[18:19], v5, s17, v[8:9]
	v_lshrrev_b32_e32 v8, 29, v14
	v_ashrrev_i32_e32 v12, 31, v12
	v_and_b32_e32 v10, -8, v10
	v_mad_i64_i32 v[4:5], s[18:19], v4, s17, v[8:9]
	v_lshrrev_b32_e32 v8, 29, v15
	v_lshl_add_u64 v[44:45], v[6:7], 0, v[10:11]
	v_mad_i64_i32 v[10:11], s[18:19], v3, s17, v[8:9]
	v_lshrrev_b32_e32 v8, 29, v12
	v_mad_i64_i32 v[2:3], s[16:17], v2, s17, v[8:9]
	v_and_b32_e32 v4, -8, v4
	v_and_b32_e32 v10, -8, v10
	;; [unrolled: 1-line block ×3, first 2 shown]
	v_lshl_add_u64 v[4:5], v[6:7], 0, v[4:5]
	v_lshl_add_u64 v[46:47], v[6:7], 0, v[10:11]
	global_load_dwordx4 v[14:17], v[44:45], off
	global_load_dwordx4 v[10:13], v[4:5], off
	v_lshl_add_u64 v[44:45], v[6:7], 0, v[2:3]
	global_load_dwordx4 v[6:9], v[46:47], off
	global_load_dwordx4 v[2:5], v[44:45], off
	s_mov_b32 s0, 0x7060302
	s_waitcnt vmcnt(9)
	v_cvt_pk_f32_fp8_e32 v[44:45], v28
	v_cvt_pk_f32_fp8_sdwa v[46:47], v28 src0_sel:WORD_1
	v_cvt_pk_f32_fp8_e32 v[48:49], v29
	v_cvt_pk_f32_fp8_sdwa v[28:29], v29 src0_sel:WORD_1
	;; [unrolled: 2-line block ×3, first 2 shown]
	v_perm_b32 v44, v45, v44, s0
	v_perm_b32 v45, v47, v46, s0
	v_cvt_pk_f32_fp8_e32 v[54:55], v31
	v_cvt_pk_f32_fp8_sdwa v[30:31], v31 src0_sel:WORD_1
	s_waitcnt vmcnt(6)
	v_mfma_f32_4x4x4_16b_bf16 a[0:3], v[36:37], v[44:45], 0 cbsz:4
	v_perm_b32 v46, v49, v48, s0
	v_perm_b32 v47, v29, v28, s0
	v_cvt_pk_f32_fp8_e32 v[56:57], v32
	v_cvt_pk_f32_fp8_sdwa v[58:59], v32 src0_sel:WORD_1
	v_mfma_f32_4x4x4_16b_bf16 a[0:3], v[38:39], v[46:47], a[0:3] cbsz:4
	v_perm_b32 v28, v51, v50, s0
	v_perm_b32 v29, v53, v52, s0
	v_cvt_pk_f32_fp8_e32 v[60:61], v33
	v_cvt_pk_f32_fp8_sdwa v[32:33], v33 src0_sel:WORD_1
	v_mfma_f32_4x4x4_16b_bf16 a[0:3], v[36:37], v[28:29], a[0:3] cbsz:4 abid:1
	v_perm_b32 v48, v55, v54, s0
	v_perm_b32 v49, v31, v30, s0
	v_cvt_pk_f32_fp8_e32 v[62:63], v34
	v_cvt_pk_f32_fp8_sdwa v[64:65], v34 src0_sel:WORD_1
	v_mfma_f32_4x4x4_16b_bf16 a[0:3], v[38:39], v[48:49], a[0:3] cbsz:4 abid:1
	;; [unrolled: 5-line block ×5, first 2 shown]
	v_perm_b32 v28, v67, v66, s0
	v_perm_b32 v29, v35, v34, s0
	;; [unrolled: 1-line block ×4, first 2 shown]
	v_mfma_f32_4x4x4_16b_bf16 a[0:3], v[38:39], v[28:29], a[0:3] cbsz:4 abid:3
	v_perm_b32 v28, v73, v72, s0
	v_perm_b32 v29, v19, v18, s0
	v_mfma_f32_4x4x4_16b_bf16 a[0:3], v[36:37], v[30:31], a[0:3] cbsz:4 abid:4
	v_cvt_pk_f32_fp8_e32 v[18:19], v20
	v_cvt_pk_f32_fp8_e32 v[30:31], v21
	v_mfma_f32_4x4x4_16b_bf16 a[0:3], v[38:39], v[28:29], a[0:3] cbsz:4 abid:4
	v_cvt_pk_f32_fp8_sdwa v[28:29], v20 src0_sel:WORD_1
	v_cvt_pk_f32_fp8_sdwa v[20:21], v21 src0_sel:WORD_1
	v_perm_b32 v18, v19, v18, s0
	v_perm_b32 v19, v29, v28, s0
	;; [unrolled: 1-line block ×3, first 2 shown]
	s_nop 0
	v_mfma_f32_4x4x4_16b_bf16 a[0:3], v[36:37], v[18:19], a[0:3] cbsz:4 abid:5
	s_waitcnt vmcnt(5)
	v_cvt_pk_f32_fp8_e32 v[18:19], v40
	v_cvt_pk_f32_fp8_sdwa v[20:21], v40 src0_sel:WORD_1
	v_perm_b32 v28, v31, v30, s0
	v_cvt_pk_f32_fp8_sdwa v[30:31], v41 src0_sel:WORD_1
	v_perm_b32 v18, v19, v18, s0
	v_mfma_f32_4x4x4_16b_bf16 a[0:3], v[38:39], v[28:29], a[0:3] cbsz:4 abid:5
	v_cvt_pk_f32_fp8_e32 v[28:29], v41
	v_perm_b32 v19, v21, v20, s0
	v_perm_b32 v21, v31, v30, s0
	v_cvt_pk_f32_fp8_sdwa v[30:31], v43 src0_sel:WORD_1
	v_mfma_f32_4x4x4_16b_bf16 a[0:3], v[36:37], v[18:19], a[0:3] cbsz:4 abid:6
	v_perm_b32 v20, v29, v28, s0
	v_cvt_pk_f32_fp8_e32 v[18:19], v42
	v_cvt_pk_f32_fp8_e32 v[28:29], v43
	v_mfma_f32_4x4x4_16b_bf16 a[0:3], v[38:39], v[20:21], a[0:3] cbsz:4 abid:6
	v_cvt_pk_f32_fp8_sdwa v[20:21], v42 src0_sel:WORD_1
	v_perm_b32 v18, v19, v18, s0
	v_perm_b32 v19, v21, v20, s0
	;; [unrolled: 1-line block ×4, first 2 shown]
	v_mfma_f32_4x4x4_16b_bf16 a[0:3], v[36:37], v[18:19], a[0:3] cbsz:4 abid:7
	s_load_dword s0, s[8:9], 0x0
	v_mov_b32_e32 v18, s5
	v_mfma_f32_4x4x4_16b_bf16 a[0:3], v[38:39], v[20:21], a[0:3] cbsz:4 abid:7
	s_waitcnt lgkmcnt(0)
	v_mul_f32_e32 v20, s0, v18
	s_nop 2
	v_accvgpr_read_b32 v29, a1
	v_accvgpr_read_b32 v28, a0
	v_pk_mul_f32 v[28:29], v[28:29], v[20:21] op_sel_hi:[1,0]
	v_accvgpr_read_b32 v19, a3
	v_accvgpr_read_b32 v18, a2
	v_pk_mul_f32 v[18:19], v[18:19], v[20:21] op_sel_hi:[1,0]
	v_cndmask_b32_e64 v20, 0, 1.0, vcc
	v_cmp_eq_u32_e32 vcc, 1, v25
	s_nop 0
	v_mfma_f32_4x4x1_16b_f32 a[0:3], v28, v20, 0
	v_cndmask_b32_e64 v20, 0, 1.0, vcc
	v_cmp_eq_u32_e32 vcc, 2, v25
	s_nop 0
	v_mfma_f32_4x4x1_16b_f32 a[0:3], v29, v20, a[0:3]
	v_cndmask_b32_e64 v20, 0, 1.0, vcc
	v_cmp_eq_u32_e32 vcc, 3, v25
	v_mov_b32_e32 v29, 0xff7fffff
	v_mfma_f32_4x4x1_16b_f32 a[0:3], v18, v20, a[0:3]
	v_cndmask_b32_e64 v18, 0, 1.0, vcc
	s_nop 1
	v_mfma_f32_4x4x1_16b_f32 a[0:3], v19, v18, a[0:3]
	v_and_b32_e32 v18, -4, v26
	v_subrev_u32_e32 v19, s3, v18
	v_add_u32_e32 v20, 1, v19
	v_cvt_f32_i32_e32 v20, v20
	v_add_u32_e32 v21, 2, v19
	v_cvt_f32_i32_e32 v21, v21
	v_accvgpr_read_b32 v27, a0
	s_waitcnt vmcnt(4)
	v_fma_f32 v20, v23, v20, v27
	v_accvgpr_read_b32 v27, a1
	v_fma_f32 v21, v23, v21, v27
	v_add_u32_e32 v27, 3, v19
	v_cvt_f32_i32_e32 v27, v27
	v_add_u32_e32 v19, 4, v19
	v_cvt_f32_i32_e32 v19, v19
	v_accvgpr_read_b32 v28, a2
	v_fma_f32 v27, v23, v27, v28
	v_accvgpr_read_b32 v28, a3
	v_fmac_f32_e32 v28, v23, v19
	v_max_f32_e32 v23, 0xff7fffff, v20
	v_cmp_gt_i32_e32 vcc, s3, v18
	v_lshlrev_b32_e32 v19, 2, v0
	v_and_or_b32 v19, v19, 48, v25
	v_cndmask_b32_e32 v23, v29, v23, vcc
	v_or_b32_e32 v29, 1, v18
	v_max_f32_e32 v30, v23, v21
	v_cmp_gt_i32_e64 s[0:1], s3, v29
	v_or_b32_e32 v18, 2, v18
	v_cmp_gt_i32_e64 s[4:5], s3, v18
	v_cndmask_b32_e64 v23, v23, v30, s[0:1]
	v_max_f32_e32 v29, v23, v27
	v_cndmask_b32_e64 v18, v23, v29, s[4:5]
	v_or_b32_e32 v23, 3, v26
	v_max_f32_e32 v26, v18, v28
	v_cmp_gt_i32_e64 s[8:9], s3, v23
	v_lshlrev_b32_e32 v23, 2, v19
	s_nop 0
	v_cndmask_b32_e64 v18, v18, v26, s[8:9]
	;;#ASMSTART
	v_nop
 v_nop
 v_max_f32_dpp v18, v18, v18 row_ror:4
	;;#ASMEND
	s_nop 0
	;;#ASMSTART
	v_nop
 v_nop
 v_max_f32_dpp v18, v18, v18 row_ror:8
	;;#ASMEND
	ds_bpermute_b32 v18, v23, v18
	s_waitcnt lgkmcnt(0)
	;;#ASMSTART
	v_nop
 v_nop
 v_max_f32_dpp v18, v18, v18 row_ror:4
	;;#ASMEND
	s_nop 0
	;;#ASMSTART
	v_nop
 v_nop
 v_max_f32_dpp v26, v18, v18 row_ror:8
	;;#ASMEND
	s_nop 0
	v_sub_f32_e32 v18, v20, v26
	v_mul_f32_e32 v18, 0x3fb8aa3b, v18
	v_sub_f32_e32 v19, v21, v26
	v_exp_f32_e32 v18, v18
	v_mul_f32_e32 v19, 0x3fb8aa3b, v19
	v_sub_f32_e32 v21, v27, v26
	v_exp_f32_e32 v19, v19
	;; [unrolled: 3-line block ×3, first 2 shown]
	v_mul_f32_e32 v27, 0x3fb8aa3b, v27
	v_exp_f32_e32 v27, v27
	v_cndmask_b32_e32 v18, 0, v18, vcc
	v_add_f32_e32 v20, 0, v18
	v_cndmask_b32_e64 v19, 0, v19, s[0:1]
	v_add_f32_e32 v28, v20, v19
	v_cndmask_b32_e64 v20, 0, v21, s[4:5]
	;; [unrolled: 2-line block ×3, first 2 shown]
	v_add_f32_e32 v27, v28, v21
	;;#ASMSTART
	v_nop
 v_nop
 v_add_f32_dpp v27, v27, v27 row_ror:4
	;;#ASMEND
	v_cmp_gt_u32_e32 vcc, 4, v24
	;;#ASMSTART
	v_nop
 v_nop
 v_add_f32_dpp v27, v27, v27 row_ror:8
	;;#ASMEND
	ds_bpermute_b32 v23, v23, v27
	s_waitcnt lgkmcnt(0)
	;;#ASMSTART
	v_nop
 v_nop
 v_add_f32_dpp v23, v23, v23 row_ror:4
	;;#ASMEND
	s_nop 0
	;;#ASMSTART
	v_nop
 v_nop
 v_add_f32_dpp v23, v23, v23 row_ror:8
	;;#ASMEND
	s_and_saveexec_b64 s[0:1], vcc
	s_cbranch_execz .LBB1131_12
; %bb.11:
	v_mul_u32_u24_e32 v27, 20, v1
	v_lshl_add_u32 v27, v25, 2, v27
	v_add_u32_e32 v27, 0x800, v27
	ds_write2_b32 v27, v26, v23 offset0:128 offset1:148
.LBB1131_12:
	s_or_b64 exec, exec, s[0:1]
.LBB1131_13:
	s_or_b64 exec, exec, s[30:31]
	v_lshlrev_b32_e32 v23, 2, v25
	v_add_u32_e32 v23, 0x800, v23
	s_waitcnt lgkmcnt(0)
	s_barrier
	s_load_dword s0, s[28:29], 0x8
	ds_read2_b32 v[28:29], v23 offset0:128 offset1:133
	ds_read2_b32 v[30:31], v23 offset0:138 offset1:143
	s_mov_b32 s4, 0xff7fffff
	s_mul_i32 s1, s2, s44
	ds_read2_b32 v[32:33], v23 offset0:148 offset1:153
	s_waitcnt lgkmcnt(0)
	v_max3_f32 v25, v28, s4, v29
	s_mul_i32 s1, s1, s0
	v_max3_f32 v25, v25, v30, v31
	s_lshl_b32 s0, s1, 2
	s_mov_b32 s1, 0
	v_sub_f32_e32 v27, v28, v25
	v_sub_f32_e32 v28, v29, v25
	s_lshl_b64 s[2:3], s[0:1], 2
	v_mul_f32_e32 v27, 0x3fb8aa3b, v27
	v_mul_f32_e32 v28, 0x3fb8aa3b, v28
	s_mov_b32 s25, s1
	s_add_u32 s1, s12, s2
	v_exp_f32_e32 v27, v27
	v_exp_f32_e32 v34, v28
	ds_read2_b32 v[28:29], v23 offset0:158 offset1:163
	v_sub_f32_e32 v23, v30, v25
	s_addc_u32 s8, s13, s3
	v_mul_f32_e32 v23, 0x3fb8aa3b, v23
	v_sub_f32_e32 v30, v31, v25
	s_add_u32 s4, s14, s2
	v_exp_f32_e32 v23, v23
	v_mul_f32_e32 v30, 0x3fb8aa3b, v30
	s_addc_u32 s5, s15, s3
	s_lshl_b64 s[2:3], s[24:25], 2
	v_exp_f32_e32 v30, v30
	s_add_u32 s4, s4, s2
	v_fma_f32 v27, v27, v32, 0
	s_addc_u32 s5, s5, s3
	v_fmac_f32_e32 v27, v34, v33
	s_waitcnt lgkmcnt(0)
	v_fmac_f32_e32 v27, v23, v28
	s_add_u32 s2, s1, s2
	v_mul_lo_u32 v22, s44, v22
	v_mov_b32_e32 v23, 0
	v_fmac_f32_e32 v27, v30, v29
	s_addc_u32 s3, s8, s3
	v_lshlrev_b64 v[28:29], 2, v[22:23]
	v_lshl_add_u64 v[30:31], s[4:5], 0, v[28:29]
	v_lshl_add_u64 v[28:29], s[2:3], 0, v[28:29]
	v_mov_b32_e32 v22, v23
	global_store_dword v[30:31], v25, off
	global_store_dword v[28:29], v27, off
	s_and_saveexec_b64 s[2:3], s[6:7]
	s_cbranch_execz .LBB1131_15
; %bb.14:
	v_add_f32_e32 v22, 0x358637bd, v27
	v_div_scale_f32 v23, s[4:5], v22, v22, 1.0
	v_rcp_f32_e32 v27, v23
	v_div_scale_f32 v28, vcc, 1.0, v22, 1.0
	v_sub_f32_e32 v25, v26, v25
	v_fma_f32 v29, -v23, v27, 1.0
	v_fmac_f32_e32 v27, v29, v27
	v_mul_f32_e32 v29, v28, v27
	v_fma_f32 v30, -v23, v29, v28
	v_mul_f32_e32 v25, 0x3fb8aa3b, v25
	v_fmac_f32_e32 v29, v30, v27
	v_exp_f32_e32 v25, v25
	v_fma_f32 v23, -v23, v29, v28
	v_div_fmas_f32 v23, v23, v27, v29
	v_div_fixup_f32 v22, v23, v22, 1.0
	v_mul_f32_e32 v22, v25, v22
	v_pk_mul_f32 v[18:19], v[18:19], v[22:23] op_sel_hi:[1,0]
	v_pk_mul_f32 v[20:21], v[20:21], v[22:23] op_sel_hi:[1,0]
	v_bfe_u32 v22, v19, 16, 1
	v_bfe_u32 v23, v18, 16, 1
	s_movk_i32 s1, 0x7fff
	v_add3_u32 v18, v18, v23, s1
	v_add3_u32 v19, v19, v22, s1
	s_mov_b32 s5, 0x7060302
	v_perm_b32 v18, v19, v18, s5
	v_bfe_u32 v19, v21, 16, 1
	v_bfe_u32 v22, v20, 16, 1
	v_add3_u32 v22, v20, v22, s1
	v_add3_u32 v19, v21, v19, s1
	s_waitcnt vmcnt(5)
	v_cvt_pk_f32_fp8_e32 v[20:21], v14
	v_perm_b32 v19, v19, v22, s5
	v_cvt_pk_f32_fp8_sdwa v[22:23], v14 src0_sel:WORD_1
	v_cvt_pk_f32_fp8_e32 v[26:27], v15
	v_perm_b32 v14, v21, v20, s5
	v_cvt_pk_f32_fp8_sdwa v[20:21], v15 src0_sel:WORD_1
	v_perm_b32 v15, v23, v22, s5
	v_perm_b32 v22, v27, v26, s5
	s_load_dword s4, s[10:11], 0x0
	v_mfma_f32_4x4x4_16b_bf16 a[0:3], v[18:19], v[14:15], 0 cbsz:4
	v_perm_b32 v23, v21, v20, s5
	v_cvt_pk_f32_fp8_e32 v[14:15], v16
	v_cvt_pk_f32_fp8_sdwa v[20:21], v16 src0_sel:WORD_1
	v_mfma_f32_4x4x4_16b_bf16 a[0:3], v[18:19], v[22:23], a[0:3] cbsz:4 abid:1
	v_cvt_pk_f32_fp8_e32 v[22:23], v17
	v_cvt_pk_f32_fp8_sdwa v[16:17], v17 src0_sel:WORD_1
	v_perm_b32 v14, v15, v14, s5
	v_perm_b32 v15, v21, v20, s5
	v_perm_b32 v20, v23, v22, s5
	v_perm_b32 v21, v17, v16, s5
	v_mfma_f32_4x4x4_16b_bf16 a[0:3], v[18:19], v[14:15], a[0:3] cbsz:4 abid:2
	s_waitcnt vmcnt(4)
	v_cvt_pk_f32_fp8_e32 v[14:15], v10
	v_cvt_pk_f32_fp8_sdwa v[16:17], v10 src0_sel:WORD_1
	v_mfma_f32_4x4x4_16b_bf16 a[0:3], v[18:19], v[20:21], a[0:3] cbsz:4 abid:3
	v_cvt_pk_f32_fp8_e32 v[20:21], v11
	v_perm_b32 v10, v15, v14, s5
	v_cvt_pk_f32_fp8_sdwa v[14:15], v11 src0_sel:WORD_1
	v_perm_b32 v11, v17, v16, s5
	v_perm_b32 v16, v21, v20, s5
	v_perm_b32 v17, v15, v14, s5
	v_mfma_f32_4x4x4_16b_bf16 a[0:3], v[18:19], v[10:11], a[0:3] cbsz:4 abid:4
	v_cvt_pk_f32_fp8_e32 v[10:11], v12
	v_cvt_pk_f32_fp8_sdwa v[14:15], v12 src0_sel:WORD_1
	v_mfma_f32_4x4x4_16b_bf16 a[0:3], v[18:19], v[16:17], a[0:3] cbsz:4 abid:5
	v_cvt_pk_f32_fp8_e32 v[16:17], v13
	v_cvt_pk_f32_fp8_sdwa v[12:13], v13 src0_sel:WORD_1
	v_perm_b32 v10, v11, v10, s5
	v_perm_b32 v11, v15, v14, s5
	v_perm_b32 v14, v17, v16, s5
	v_perm_b32 v15, v13, v12, s5
	v_mfma_f32_4x4x4_16b_bf16 a[0:3], v[18:19], v[10:11], a[0:3] cbsz:4 abid:6
	s_waitcnt vmcnt(3)
	v_cvt_pk_f32_fp8_e32 v[10:11], v6
	v_cvt_pk_f32_fp8_sdwa v[12:13], v6 src0_sel:WORD_1
	v_mfma_f32_4x4x4_16b_bf16 a[0:3], v[18:19], v[14:15], a[0:3] cbsz:4 abid:7
	v_cvt_pk_f32_fp8_e32 v[14:15], v7
	v_perm_b32 v6, v11, v10, s5
	v_cvt_pk_f32_fp8_sdwa v[10:11], v7 src0_sel:WORD_1
	v_perm_b32 v7, v13, v12, s5
	v_perm_b32 v12, v15, v14, s5
	v_perm_b32 v13, v11, v10, s5
	v_mfma_f32_4x4x4_16b_bf16 a[0:3], v[18:19], v[6:7], a[0:3] cbsz:4 abid:8
	;; [unrolled: 21-line block ×3, first 2 shown]
	v_cvt_pk_f32_fp8_e32 v[2:3], v4
	v_cvt_pk_f32_fp8_sdwa v[6:7], v4 src0_sel:WORD_1
	v_mfma_f32_4x4x4_16b_bf16 a[0:3], v[18:19], v[8:9], a[0:3] cbsz:4 abid:13
	v_cvt_pk_f32_fp8_e32 v[8:9], v5
	v_cvt_pk_f32_fp8_sdwa v[4:5], v5 src0_sel:WORD_1
	v_perm_b32 v2, v3, v2, s5
	v_perm_b32 v3, v7, v6, s5
	;; [unrolled: 1-line block ×4, first 2 shown]
	v_mfma_f32_4x4x4_16b_bf16 a[0:3], v[18:19], v[2:3], a[0:3] cbsz:4 abid:14
	s_nop 1
	v_mfma_f32_4x4x4_16b_bf16 a[0:3], v[18:19], v[6:7], a[0:3] cbsz:4 abid:15
	s_nop 4
	v_accvgpr_read_b32 v5, a1
	v_accvgpr_read_b32 v4, a0
	;; [unrolled: 1-line block ×4, first 2 shown]
	s_waitcnt lgkmcnt(0)
	v_pk_mul_f32 v[4:5], v[4:5], s[4:5] op_sel_hi:[1,0]
	v_pk_mul_f32 v[2:3], v[2:3], s[4:5] op_sel_hi:[1,0]
	v_bfe_u32 v6, v5, 16, 1
	v_bfe_u32 v7, v4, 16, 1
	v_add3_u32 v4, v4, v7, s1
	v_add3_u32 v5, v5, v6, s1
	v_bfe_u32 v6, v3, 16, 1
	v_bfe_u32 v7, v2, 16, 1
	v_add3_u32 v2, v2, v7, s1
	v_add3_u32 v3, v3, v6, s1
	v_perm_b32 v23, v3, v2, s5
	v_perm_b32 v22, v5, v4, s5
.LBB1131_15:
	s_or_b64 exec, exec, s[2:3]
	v_lshlrev_b32_e32 v1, 3, v1
	v_mad_u32_u24 v1, v24, 40, v1
	v_cmp_gt_u32_e32 vcc, 64, v0
	ds_write_b64 v1, v[22:23]
	s_waitcnt lgkmcnt(0)
	s_barrier
	s_and_saveexec_b64 s[2:3], vcc
	s_cbranch_execz .LBB1131_17
; %bb.16:
	v_mul_u32_u24_e32 v1, 40, v24
	s_waitcnt vmcnt(2)
	ds_read2_b64 v[2:5], v1 offset1:1
	ds_read2_b64 v[6:9], v1 offset0:2 offset1:3
	s_mov_b32 s1, 0
	s_lshl_b32 s0, s0, 6
	s_lshl_b64 s[2:3], s[0:1], 1
	s_waitcnt lgkmcnt(1)
	v_lshlrev_b32_e32 v1, 16, v2
	v_and_b32_e32 v2, 0xffff0000, v2
	v_add_f32_e32 v1, 0, v1
	v_add_f32_e32 v2, 0, v2
	v_lshlrev_b32_e32 v10, 16, v3
	v_and_b32_e32 v3, 0xffff0000, v3
	v_and_b32_e32 v1, 0xffff0000, v1
	;; [unrolled: 1-line block ×3, first 2 shown]
	v_add_f32_e32 v3, 0, v3
	v_lshlrev_b32_e32 v11, 16, v4
	v_and_b32_e32 v4, 0xffff0000, v4
	v_add_f32_e32 v10, 0, v10
	v_and_b32_e32 v3, 0xffff0000, v3
	v_add_f32_e32 v1, v1, v11
	v_add_f32_e32 v2, v2, v4
	v_lshlrev_b32_e32 v4, 16, v5
	v_and_b32_e32 v5, 0xffff0000, v5
	v_and_b32_e32 v10, 0xffff0000, v10
	;; [unrolled: 1-line block ×3, first 2 shown]
	v_add_f32_e32 v3, v3, v5
	s_waitcnt lgkmcnt(0)
	v_lshlrev_b32_e32 v5, 16, v6
	v_and_b32_e32 v2, 0xffff0000, v2
	v_add_f32_e32 v4, v10, v4
	v_add_f32_e32 v1, v1, v5
	v_and_b32_e32 v5, 0xffff0000, v6
	v_and_b32_e32 v4, 0xffff0000, v4
	v_add_f32_e32 v2, v2, v5
	v_lshlrev_b32_e32 v5, 16, v7
	s_add_u32 s2, s26, s2
	v_and_b32_e32 v3, 0xffff0000, v3
	v_add_f32_e32 v4, v4, v5
	v_and_b32_e32 v5, 0xffff0000, v7
	s_addc_u32 s3, s27, s3
	s_lshl_b32 s0, s24, 6
	v_and_b32_e32 v1, 0xffff0000, v1
	v_add_f32_e32 v3, v3, v5
	v_lshlrev_b32_e32 v5, 16, v8
	s_lshl_b64 s[0:1], s[0:1], 1
	v_and_b32_e32 v2, 0xffff0000, v2
	v_add_f32_e32 v1, v1, v5
	v_and_b32_e32 v5, 0xffff0000, v8
	s_add_u32 s0, s2, s0
	v_and_b32_e32 v4, 0xffff0000, v4
	v_add_f32_e32 v6, v2, v5
	v_lshlrev_b32_e32 v2, 16, v9
	s_addc_u32 s1, s3, s1
	s_lshl_b32 s2, s44, 6
	v_and_b32_e32 v3, 0xffff0000, v3
	v_add_f32_e32 v7, v4, v2
	v_and_b32_e32 v2, 0xffff0000, v9
	s_mul_i32 s3, s2, s33
	v_add_f32_e32 v8, v3, v2
	v_or_b32_e32 v2, s3, v0
	v_mov_b32_e32 v3, 0
	s_add_i32 s3, s3, s2
	v_lshl_add_u64 v[4:5], v[2:3], 1, s[0:1]
	v_or_b32_e32 v2, s3, v0
	s_add_i32 s3, s3, s2
	global_store_short_d16_hi v[4:5], v1, off
	v_lshl_add_u64 v[4:5], v[2:3], 1, s[0:1]
	v_or_b32_e32 v2, s3, v0
	s_add_i32 s3, s3, s2
	global_store_short_d16_hi v[4:5], v6, off
	v_lshl_add_u64 v[4:5], v[2:3], 1, s[0:1]
	v_or_b32_e32 v2, s3, v0
	v_lshl_add_u64 v[0:1], v[2:3], 1, s[0:1]
	global_store_short_d16_hi v[4:5], v7, off
	global_store_short_d16_hi v[0:1], v8, off
.LBB1131_17:
	s_endpgm
.LBB1131_18:
	s_mov_b64 s[8:9], 0
                                        ; implicit-def: $sgpr34_sgpr35
	s_branch .LBB1131_2
	.section	.rodata,"a",@progbits
	.p2align	6, 0x0
	.amdhsa_kernel _Z38paged_attention_ll4mi_QKV_mfma4_kernelI14__hip_bfloat16hLN4vllm18Fp8KVCacheDataTypeE1ES0_Li16ELi64ELi256ELb1ELi4EEvPKT_PKT0_S8_ifPKiSA_SA_iPKfiiiPfSD_PS3_PT2_iSC_SC_
		.amdhsa_group_segment_fixed_size 2720
		.amdhsa_private_segment_fixed_size 0
		.amdhsa_kernarg_size 400
		.amdhsa_user_sgpr_count 2
		.amdhsa_user_sgpr_dispatch_ptr 0
		.amdhsa_user_sgpr_queue_ptr 0
		.amdhsa_user_sgpr_kernarg_segment_ptr 1
		.amdhsa_user_sgpr_dispatch_id 0
		.amdhsa_user_sgpr_kernarg_preload_length 0
		.amdhsa_user_sgpr_kernarg_preload_offset 0
		.amdhsa_user_sgpr_private_segment_size 0
		.amdhsa_uses_dynamic_stack 0
		.amdhsa_enable_private_segment 0
		.amdhsa_system_sgpr_workgroup_id_x 1
		.amdhsa_system_sgpr_workgroup_id_y 1
		.amdhsa_system_sgpr_workgroup_id_z 1
		.amdhsa_system_sgpr_workgroup_info 0
		.amdhsa_system_vgpr_workitem_id 0
		.amdhsa_next_free_vgpr 80
		.amdhsa_next_free_sgpr 45
		.amdhsa_accum_offset 76
		.amdhsa_reserve_vcc 1
		.amdhsa_float_round_mode_32 0
		.amdhsa_float_round_mode_16_64 0
		.amdhsa_float_denorm_mode_32 3
		.amdhsa_float_denorm_mode_16_64 3
		.amdhsa_dx10_clamp 1
		.amdhsa_ieee_mode 1
		.amdhsa_fp16_overflow 0
		.amdhsa_tg_split 0
		.amdhsa_exception_fp_ieee_invalid_op 0
		.amdhsa_exception_fp_denorm_src 0
		.amdhsa_exception_fp_ieee_div_zero 0
		.amdhsa_exception_fp_ieee_overflow 0
		.amdhsa_exception_fp_ieee_underflow 0
		.amdhsa_exception_fp_ieee_inexact 0
		.amdhsa_exception_int_div_zero 0
	.end_amdhsa_kernel
	.section	.text._Z38paged_attention_ll4mi_QKV_mfma4_kernelI14__hip_bfloat16hLN4vllm18Fp8KVCacheDataTypeE1ES0_Li16ELi64ELi256ELb1ELi4EEvPKT_PKT0_S8_ifPKiSA_SA_iPKfiiiPfSD_PS3_PT2_iSC_SC_,"axG",@progbits,_Z38paged_attention_ll4mi_QKV_mfma4_kernelI14__hip_bfloat16hLN4vllm18Fp8KVCacheDataTypeE1ES0_Li16ELi64ELi256ELb1ELi4EEvPKT_PKT0_S8_ifPKiSA_SA_iPKfiiiPfSD_PS3_PT2_iSC_SC_,comdat
.Lfunc_end1131:
	.size	_Z38paged_attention_ll4mi_QKV_mfma4_kernelI14__hip_bfloat16hLN4vllm18Fp8KVCacheDataTypeE1ES0_Li16ELi64ELi256ELb1ELi4EEvPKT_PKT0_S8_ifPKiSA_SA_iPKfiiiPfSD_PS3_PT2_iSC_SC_, .Lfunc_end1131-_Z38paged_attention_ll4mi_QKV_mfma4_kernelI14__hip_bfloat16hLN4vllm18Fp8KVCacheDataTypeE1ES0_Li16ELi64ELi256ELb1ELi4EEvPKT_PKT0_S8_ifPKiSA_SA_iPKfiiiPfSD_PS3_PT2_iSC_SC_
                                        ; -- End function
	.section	.AMDGPU.csdata,"",@progbits
; Kernel info:
; codeLenInByte = 4268
; NumSgprs: 51
; NumVgprs: 74
; NumAgprs: 4
; TotalNumVgprs: 80
; ScratchSize: 0
; MemoryBound: 0
; FloatMode: 240
; IeeeMode: 1
; LDSByteSize: 2720 bytes/workgroup (compile time only)
; SGPRBlocks: 6
; VGPRBlocks: 9
; NumSGPRsForWavesPerEU: 51
; NumVGPRsForWavesPerEU: 80
; AccumOffset: 76
; Occupancy: 6
; WaveLimiterHint : 1
; COMPUTE_PGM_RSRC2:SCRATCH_EN: 0
; COMPUTE_PGM_RSRC2:USER_SGPR: 2
; COMPUTE_PGM_RSRC2:TRAP_HANDLER: 0
; COMPUTE_PGM_RSRC2:TGID_X_EN: 1
; COMPUTE_PGM_RSRC2:TGID_Y_EN: 1
; COMPUTE_PGM_RSRC2:TGID_Z_EN: 1
; COMPUTE_PGM_RSRC2:TIDIG_COMP_CNT: 0
; COMPUTE_PGM_RSRC3_GFX90A:ACCUM_OFFSET: 18
; COMPUTE_PGM_RSRC3_GFX90A:TG_SPLIT: 0
	.section	.text._Z39paged_attention_ll4mi_QKV_mfma16_kernelI14__hip_bfloat16hLN4vllm18Fp8KVCacheDataTypeE1ES0_Li16ELi64ELi256ELb1ELi5EEvPKT_PKT0_S8_ifPKiSA_SA_iPKfiiiPfSD_PS3_PT2_iSC_SC_,"axG",@progbits,_Z39paged_attention_ll4mi_QKV_mfma16_kernelI14__hip_bfloat16hLN4vllm18Fp8KVCacheDataTypeE1ES0_Li16ELi64ELi256ELb1ELi5EEvPKT_PKT0_S8_ifPKiSA_SA_iPKfiiiPfSD_PS3_PT2_iSC_SC_,comdat
	.protected	_Z39paged_attention_ll4mi_QKV_mfma16_kernelI14__hip_bfloat16hLN4vllm18Fp8KVCacheDataTypeE1ES0_Li16ELi64ELi256ELb1ELi5EEvPKT_PKT0_S8_ifPKiSA_SA_iPKfiiiPfSD_PS3_PT2_iSC_SC_ ; -- Begin function _Z39paged_attention_ll4mi_QKV_mfma16_kernelI14__hip_bfloat16hLN4vllm18Fp8KVCacheDataTypeE1ES0_Li16ELi64ELi256ELb1ELi5EEvPKT_PKT0_S8_ifPKiSA_SA_iPKfiiiPfSD_PS3_PT2_iSC_SC_
	.globl	_Z39paged_attention_ll4mi_QKV_mfma16_kernelI14__hip_bfloat16hLN4vllm18Fp8KVCacheDataTypeE1ES0_Li16ELi64ELi256ELb1ELi5EEvPKT_PKT0_S8_ifPKiSA_SA_iPKfiiiPfSD_PS3_PT2_iSC_SC_
	.p2align	8
	.type	_Z39paged_attention_ll4mi_QKV_mfma16_kernelI14__hip_bfloat16hLN4vllm18Fp8KVCacheDataTypeE1ES0_Li16ELi64ELi256ELb1ELi5EEvPKT_PKT0_S8_ifPKiSA_SA_iPKfiiiPfSD_PS3_PT2_iSC_SC_,@function
_Z39paged_attention_ll4mi_QKV_mfma16_kernelI14__hip_bfloat16hLN4vllm18Fp8KVCacheDataTypeE1ES0_Li16ELi64ELi256ELb1ELi5EEvPKT_PKT0_S8_ifPKiSA_SA_iPKfiiiPfSD_PS3_PT2_iSC_SC_: ; @_Z39paged_attention_ll4mi_QKV_mfma16_kernelI14__hip_bfloat16hLN4vllm18Fp8KVCacheDataTypeE1ES0_Li16ELi64ELi256ELb1ELi5EEvPKT_PKT0_S8_ifPKiSA_SA_iPKfiiiPfSD_PS3_PT2_iSC_SC_
; %bb.0:
	s_load_dwordx2 s[6:7], s[0:1], 0x30
	s_mov_b32 s28, s3
	s_mov_b64 s[8:9], 0
	s_waitcnt lgkmcnt(0)
	s_cmp_lg_u64 s[6:7], 0
	s_cselect_b64 s[10:11], -1, 0
	s_and_b64 vcc, exec, s[10:11]
	s_cbranch_vccz .LBB1132_7
; %bb.1:
	s_add_i32 s12, s2, 1
	s_mov_b32 s13, 0
	s_lshl_b64 s[14:15], s[12:13], 2
	s_add_u32 s14, s6, s14
	s_mov_b32 s3, s13
	s_addc_u32 s15, s7, s15
	s_lshl_b64 s[12:13], s[2:3], 2
	s_add_u32 s12, s6, s12
	s_addc_u32 s13, s7, s13
	s_load_dword s5, s[14:15], 0x0
	s_load_dword s16, s[12:13], 0x0
	s_waitcnt lgkmcnt(0)
	s_sub_i32 s5, s5, s16
	s_cmp_eq_u32 s5, 1
	s_cselect_b64 s[12:13], -1, 0
	s_andn2_b64 vcc, exec, s[8:9]
	s_cbranch_vccnz .LBB1132_3
.LBB1132_2:
	s_mov_b32 s3, 0
	s_mov_b64 s[12:13], -1
.LBB1132_3:
	s_andn2_b64 vcc, exec, s[12:13]
	s_cbranch_vccnz .LBB1132_20
; %bb.4:
	s_load_dwordx2 s[8:9], s[0:1], 0x28
	s_lshl_b64 s[12:13], s[2:3], 2
	s_waitcnt lgkmcnt(0)
	s_add_u32 s8, s8, s12
	s_addc_u32 s9, s9, s13
	s_load_dword s29, s[8:9], 0x0
	s_lshl_b32 s16, s28, 8
	s_waitcnt lgkmcnt(0)
	s_cmp_ge_i32 s16, s29
	s_cbranch_scc1 .LBB1132_20
; %bb.5:
	s_load_dwordx2 s[8:9], s[0:1], 0x20
	s_load_dword s5, s[0:1], 0x38
	s_add_i32 s14, s29, 15
	s_ashr_i32 s15, s14, 31
	v_and_b32_e32 v1, 0xcf, v0
	s_lshr_b32 s15, s15, 28
	v_add_u32_e32 v1, s16, v1
	s_add_i32 s14, s14, s15
	v_ashrrev_i32_e32 v2, 31, v1
	s_ashr_i32 s17, s14, 4
	v_lshrrev_b32_e32 v4, 28, v2
	s_add_i32 s17, s17, -1
	s_waitcnt lgkmcnt(0)
	s_mul_i32 s14, s2, s5
	s_mov_b32 s15, 0
	v_add_u32_e32 v2, v1, v4
	s_lshl_b64 s[14:15], s[14:15], 2
	v_ashrrev_i32_e32 v2, 4, v2
	v_mov_b32_e32 v5, s17
	v_cmp_gt_i32_e32 vcc, s29, v1
	s_add_u32 s8, s8, s14
	s_addc_u32 s9, s9, s15
	v_cndmask_b32_e32 v2, v5, v2, vcc
	v_ashrrev_i32_e32 v3, 31, v2
	v_lshl_add_u64 v[6:7], v[2:3], 2, s[8:9]
	v_or_b32_e32 v2, 16, v1
	v_add_u32_e32 v3, v2, v4
	v_ashrrev_i32_e32 v3, 4, v3
	v_cmp_gt_i32_e32 vcc, s29, v2
	s_load_dwordx2 s[14:15], s[0:1], 0x8
	s_nop 0
	v_cndmask_b32_e32 v2, v5, v3, vcc
	v_ashrrev_i32_e32 v3, 31, v2
	v_lshl_add_u64 v[8:9], v[2:3], 2, s[8:9]
	v_or_b32_e32 v2, 32, v1
	v_add_u32_e32 v3, v2, v4
	v_ashrrev_i32_e32 v3, 4, v3
	v_cmp_gt_i32_e32 vcc, s29, v2
	v_or_b32_e32 v1, 48, v1
	s_nop 0
	v_cndmask_b32_e32 v2, v5, v3, vcc
	v_ashrrev_i32_e32 v3, 31, v2
	v_lshl_add_u64 v[10:11], v[2:3], 2, s[8:9]
	v_add_u32_e32 v2, v1, v4
	v_ashrrev_i32_e32 v2, 4, v2
	v_cmp_gt_i32_e32 vcc, s29, v1
	s_nop 1
	v_cndmask_b32_e32 v2, v5, v2, vcc
	v_ashrrev_i32_e32 v3, 31, v2
	v_lshl_add_u64 v[12:13], v[2:3], 2, s[8:9]
	global_load_dword v5, v[6:7], off
	global_load_dword v4, v[8:9], off
	;; [unrolled: 1-line block ×4, first 2 shown]
	s_andn2_b64 vcc, exec, s[10:11]
	s_cbranch_vccnz .LBB1132_8
; %bb.6:
	s_add_u32 s6, s6, s12
	s_addc_u32 s7, s7, s13
	s_load_dword s5, s[6:7], 0x0
	s_branch .LBB1132_9
.LBB1132_7:
	s_mov_b64 s[12:13], 0
	s_branch .LBB1132_2
.LBB1132_8:
	s_mov_b32 s5, s2
.LBB1132_9:
	s_load_dwordx2 s[6:7], s[0:1], 0x10
	s_load_dwordx4 s[44:47], s[0:1], 0x48
	v_lshrrev_b32_e32 v29, 6, v0
	v_bfe_u32 v42, v0, 4, 2
	v_lshl_or_b32 v6, v29, 2, v42
	v_and_b32_e32 v28, 15, v0
	v_lshlrev_b32_e32 v1, 3, v28
	v_cmp_gt_u32_e32 vcc, 5, v6
	v_cmp_gt_u32_e64 s[30:31], 8, v28
	s_mul_i32 s48, s4, 5
	s_and_b64 s[12:13], s[30:31], vcc
	v_lshlrev_b32_e32 v26, 1, v1
	v_lshlrev_b32_e32 v1, 4, v0
	s_and_saveexec_b64 s[10:11], s[12:13]
	s_cbranch_execz .LBB1132_11
; %bb.10:
	s_load_dwordx2 s[12:13], s[0:1], 0x0
	s_waitcnt lgkmcnt(0)
	s_ashr_i32 s18, s44, 31
	s_mul_hi_u32 s19, s5, s44
	s_mul_i32 s18, s5, s18
	s_add_i32 s19, s19, s18
	s_mul_i32 s18, s5, s44
	s_lshl_b64 s[18:19], s[18:19], 1
	s_add_u32 s12, s12, s18
	v_add_lshl_u32 v8, v6, s48, 6
	s_addc_u32 s13, s13, s19
	v_ashrrev_i32_e32 v9, 31, v8
	v_lshl_add_u64 v[8:9], v[8:9], 1, s[12:13]
	v_mov_b32_e32 v27, 0
	v_lshl_add_u64 v[8:9], v[8:9], 0, v[26:27]
	global_load_dwordx4 v[8:11], v[8:9], off
	v_lshlrev_b32_e32 v12, 8, v28
	v_lshlrev_b32_e32 v6, 5, v6
	v_and_b32_e32 v7, 16, v1
	v_and_b32_e32 v12, 0xe00, v12
	v_or3_b32 v6, v12, v6, v7
	s_waitcnt vmcnt(0)
	ds_write_b128 v6, v[8:11]
.LBB1132_11:
	s_or_b64 exec, exec, s[10:11]
	s_waitcnt lgkmcnt(0)
	s_mul_i32 s10, s4, s46
	s_add_u32 s4, s14, s10
	s_addc_u32 s5, s15, 0
	v_and_b32_e32 v32, 48, v0
	v_and_b32_e32 v30, 0xf0, v1
	v_mov_b32_e32 v31, 0
	v_lshl_add_u64 v[6:7], s[4:5], 0, v[30:31]
	v_lshlrev_b32_e32 v30, 4, v32
	v_lshl_add_u64 v[6:7], v[6:7], 0, v[30:31]
	s_waitcnt vmcnt(3)
	v_mad_i64_i32 v[8:9], s[4:5], v5, s45, v[6:7]
	s_waitcnt vmcnt(2)
	v_mad_i64_i32 v[4:5], s[4:5], v4, s45, v[6:7]
	s_barrier
	global_load_dwordx4 v[22:25], v[8:9], off
	global_load_dwordx4 v[18:21], v[4:5], off
	s_waitcnt vmcnt(3)
	v_mad_i64_i32 v[4:5], s[4:5], v3, s45, v[6:7]
	s_waitcnt vmcnt(2)
	v_mad_i64_i32 v[2:3], s[4:5], v2, s45, v[6:7]
	global_load_dwordx4 v[14:17], v[4:5], off
	global_load_dwordx4 v[6:9], v[2:3], off
	v_mul_lo_u16_e32 v2, 52, v28
	v_mov_b32_e32 v3, 5
	v_mul_lo_u16_sdwa v2, v2, v3 dst_sel:DWORD dst_unused:UNUSED_PAD src0_sel:BYTE_1 src1_sel:DWORD
	v_sub_u16_e32 v2, v28, v2
	v_lshlrev_b32_sdwa v2, v3, v2 dst_sel:DWORD dst_unused:UNUSED_PAD src0_sel:DWORD src1_sel:BYTE_0
	v_lshl_add_u32 v2, v42, 9, v2
	ds_read_b128 v[10:13], v2
	ds_read_b128 v[2:5], v2 offset:16
	v_and_b32_e32 v27, 63, v0
	v_cmp_gt_u32_e32 vcc, 5, v28
	v_mov_b32_e32 v43, 0
	s_and_saveexec_b64 s[4:5], vcc
	s_cbranch_execz .LBB1132_13
; %bb.12:
	s_load_dwordx2 s[12:13], s[0:1], 0x40
	v_add_u32_e32 v34, s48, v28
	v_ashrrev_i32_e32 v35, 31, v34
	s_waitcnt lgkmcnt(0)
	v_lshl_add_u64 v[34:35], v[34:35], 2, s[12:13]
	global_load_dword v43, v[34:35], off
.LBB1132_13:
	s_or_b64 exec, exec, s[4:5]
	v_or_b32_e32 v62, s16, v32
	v_ashrrev_i32_e32 v30, 4, v62
	v_mov_b32_e32 v63, s17
	v_cmp_gt_i32_e32 vcc, s29, v62
	s_waitcnt vmcnt(2)
	v_cvt_pk_f32_fp8_e32 v[52:53], v20
	v_cvt_pk_f32_fp8_sdwa v[54:55], v20 src0_sel:WORD_1
	v_cndmask_b32_e32 v20, v63, v30, vcc
	v_cvt_pk_f32_fp8_e32 v[56:57], v21
	v_cvt_pk_f32_fp8_sdwa v[58:59], v21 src0_sel:WORD_1
	v_ashrrev_i32_e32 v21, 31, v20
	v_cvt_pk_f32_fp8_e32 v[40:41], v22
	v_cvt_pk_f32_fp8_sdwa v[44:45], v22 src0_sel:WORD_1
	v_lshl_add_u64 v[20:21], v[20:21], 2, s[8:9]
	v_cvt_pk_f32_fp8_e32 v[46:47], v18
	v_cvt_pk_f32_fp8_sdwa v[48:49], v18 src0_sel:WORD_1
	global_load_dword v64, v[20:21], off
	s_mov_b32 s33, 0x7060302
	v_cvt_pk_f32_fp8_e32 v[32:33], v23
	v_cvt_pk_f32_fp8_sdwa v[34:35], v23 src0_sel:WORD_1
	v_perm_b32 v20, v41, v40, s33
	v_perm_b32 v21, v45, v44, s33
	v_cvt_pk_f32_fp8_e32 v[38:39], v24
	v_cvt_pk_f32_fp8_sdwa v[36:37], v24 src0_sel:WORD_1
	v_cvt_pk_f32_fp8_e32 v[50:51], v19
	v_cvt_pk_f32_fp8_sdwa v[18:19], v19 src0_sel:WORD_1
	v_perm_b32 v44, v47, v46, s33
	v_perm_b32 v45, v49, v48, s33
	v_cvt_pk_f32_fp8_e32 v[22:23], v25
	s_waitcnt vmcnt(2)
	v_cvt_pk_f32_fp8_e32 v[40:41], v14
	v_cvt_pk_f32_fp8_sdwa v[46:47], v14 src0_sel:WORD_1
	v_perm_b32 v48, v33, v32, s33
	v_perm_b32 v49, v35, v34, s33
	v_or_b32_e32 v14, 64, v62
	v_or_b32_e32 v32, 0xc0, v62
	v_cvt_pk_f32_fp8_sdwa v[24:25], v25 src0_sel:WORD_1
	s_load_dword s11, s[0:1], 0x1c
	s_load_dwordx4 s[40:43], s[0:1], 0x80
	v_perm_b32 v38, v39, v38, s33
	v_perm_b32 v39, v37, v36, s33
	v_or_b32_e32 v65, 0x80, v62
	v_ashrrev_i32_e32 v62, 4, v14
	v_cmp_gt_i32_e32 vcc, s29, v32
	v_ashrrev_i32_e32 v66, 4, v32
	v_cmp_gt_i32_e64 s[4:5], s29, v14
	v_perm_b32 v36, v51, v50, s33
	v_perm_b32 v37, v19, v18, s33
	s_waitcnt lgkmcnt(0)
	v_mfma_f32_16x16x16_bf16 v[32:35], v[20:21], v[10:11], 0
	s_add_u32 s6, s6, s10
	v_lshlrev_b32_e32 v30, 4, v28
	v_cndmask_b32_e64 v50, v63, v62, s[4:5]
	v_perm_b32 v62, v23, v22, s33
	v_mfma_f32_16x16x16_bf16 v[20:23], v[44:45], v[10:11], 0
	v_lshl_or_b32 v30, v29, 8, v30
	s_addc_u32 s7, s7, 0
	v_ashrrev_i32_e32 v14, 4, v65
	v_lshl_add_u64 v[18:19], s[6:7], 0, v[30:31]
	v_cmp_gt_i32_e64 s[6:7], s29, v65
	v_mfma_f32_16x16x16_bf16 v[30:33], v[48:49], v[12:13], v[32:35]
	v_cndmask_b32_e32 v48, v63, v66, vcc
	s_load_dword s4, s[40:41], 0x0
	v_cvt_pk_f32_fp8_e32 v[60:61], v15
	v_cndmask_b32_e64 v34, v63, v14, s[6:7]
	v_perm_b32 v63, v25, v24, s33
	v_perm_b32 v24, v53, v52, s33
	;; [unrolled: 1-line block ×3, first 2 shown]
	v_mfma_f32_16x16x16_bf16 v[20:23], v[36:37], v[12:13], v[20:23]
	v_perm_b32 v40, v41, v40, s33
	v_perm_b32 v41, v47, v46, s33
	v_ashrrev_i32_e32 v51, 31, v50
	v_mfma_f32_16x16x16_bf16 v[20:23], v[24:25], v[2:3], v[20:23]
	v_mov_b32_e32 v24, s11
	s_waitcnt lgkmcnt(0)
	v_mul_f32_e32 v54, s4, v24
	v_cvt_pk_f32_fp8_sdwa v[24:25], v15 src0_sel:WORD_1
	v_mfma_f32_16x16x16_bf16 v[30:33], v[38:39], v[2:3], v[30:33]
	v_ashrrev_i32_e32 v35, 31, v34
	v_ashrrev_i32_e32 v49, 31, v48
	v_lshl_add_u64 v[36:37], v[50:51], 2, s[8:9]
	v_lshl_add_u64 v[34:35], v[34:35], 2, s[8:9]
	;; [unrolled: 1-line block ×3, first 2 shown]
	global_load_dword v14, v[36:37], off
	global_load_dword v44, v[34:35], off
	;; [unrolled: 1-line block ×3, first 2 shown]
	v_perm_b32 v46, v61, v60, s33
	v_cvt_pk_f32_fp8_e32 v[48:49], v16
	v_cvt_pk_f32_fp8_sdwa v[50:51], v16 src0_sel:WORD_1
	v_perm_b32 v47, v25, v24, s33
	v_mfma_f32_16x16x16_bf16 v[36:39], v[62:63], v[4:5], v[30:33]
	v_perm_b32 v24, v49, v48, s33
	v_perm_b32 v25, v51, v50, s33
	;; [unrolled: 1-line block ×3, first 2 shown]
	v_mfma_f32_16x16x16_bf16 v[30:33], v[40:41], v[10:11], 0
	v_cvt_pk_f32_fp8_e32 v[40:41], v17
	v_cvt_pk_f32_fp8_sdwa v[16:17], v17 src0_sel:WORD_1
	v_perm_b32 v53, v59, v58, s33
	v_mfma_f32_16x16x16_bf16 v[46:49], v[46:47], v[12:13], v[30:33]
	s_mov_b32 s44, 0xff7fffff
	s_waitcnt vmcnt(3)
	v_mad_i64_i32 v[34:35], s[4:5], v64, s45, v[18:19]
	v_perm_b32 v32, v41, v40, s33
	v_perm_b32 v33, v17, v16, s33
	v_mfma_f32_16x16x16_bf16 v[46:49], v[24:25], v[2:3], v[46:49]
	v_cvt_pk_f32_fp8_e32 v[16:17], v6
	v_cvt_pk_f32_fp8_sdwa v[24:25], v6 src0_sel:WORD_1
	v_pk_mul_f32 v[30:31], v[54:55], v[38:39] op_sel_hi:[0,1]
	v_mfma_f32_16x16x16_bf16 v[46:49], v[32:33], v[4:5], v[46:49]
	v_cvt_pk_f32_fp8_e32 v[32:33], v7
	v_perm_b32 v16, v17, v16, s33
	v_perm_b32 v17, v25, v24, s33
	v_cvt_pk_f32_fp8_sdwa v[6:7], v7 src0_sel:WORD_1
	v_pk_mul_f32 v[38:39], v[54:55], v[36:37] op_sel_hi:[0,1]
	v_perm_b32 v24, v33, v32, s33
	v_cvt_pk_f32_fp8_e32 v[32:33], v8
	v_cvt_pk_f32_fp8_sdwa v[36:37], v8 src0_sel:WORD_1
	v_perm_b32 v25, v7, v6, s33
	v_mfma_f32_16x16x16_bf16 v[20:23], v[52:53], v[4:5], v[20:23]
	v_mfma_f32_16x16x16_bf16 v[50:53], v[16:17], v[10:11], 0
	v_perm_b32 v10, v33, v32, s33
	v_perm_b32 v11, v37, v36, s33
	v_cvt_pk_f32_fp8_e32 v[16:17], v9
	v_cvt_pk_f32_fp8_sdwa v[32:33], v9 src0_sel:WORD_1
	v_mfma_f32_16x16x16_bf16 v[6:9], v[24:25], v[12:13], v[50:53]
	s_nop 0
	v_pk_mul_f32 v[36:37], v[54:55], v[22:23] op_sel_hi:[0,1]
	v_perm_b32 v12, v17, v16, s33
	v_perm_b32 v13, v33, v32, s33
	v_mfma_f32_16x16x16_bf16 v[6:9], v[10:11], v[2:3], v[6:9]
	v_pk_mul_f32 v[40:41], v[54:55], v[20:21] op_sel_hi:[0,1]
	v_pk_mul_f32 v[24:25], v[54:55], v[48:49] op_sel_hi:[0,1]
	;; [unrolled: 1-line block ×3, first 2 shown]
	v_mfma_f32_16x16x16_bf16 v[2:5], v[12:13], v[4:5], v[6:9]
	s_nop 6
	v_pk_mul_f32 v[22:23], v[54:55], v[2:3] op_sel_hi:[0,1]
	v_and_b32_e32 v2, 0xc0, v0
	v_add_u32_e32 v2, s16, v2
	v_lshl_or_b32 v2, v42, 2, v2
	v_or_b32_e32 v3, 1, v2
	v_pk_mul_f32 v[20:21], v[54:55], v[4:5] op_sel_hi:[0,1]
	v_subrev_u32_e32 v4, s29, v3
	v_add_u32_e32 v6, 1, v4
	v_add_u32_e32 v7, 2, v4
	;; [unrolled: 1-line block ×3, first 2 shown]
	v_cvt_f32_i32_e32 v6, v6
	v_cvt_f32_i32_e32 v7, v7
	;; [unrolled: 1-line block ×3, first 2 shown]
	v_add_u32_e32 v9, 19, v4
	v_fmac_f32_e32 v39, v43, v6
	v_fma_f32 v30, v43, v7, v30
	v_fmac_f32_e32 v31, v43, v8
	v_add_u32_e32 v6, 16, v4
	v_add_u32_e32 v7, 17, v4
	;; [unrolled: 1-line block ×3, first 2 shown]
	v_cvt_f32_i32_e32 v6, v6
	v_cvt_f32_i32_e32 v7, v7
	;; [unrolled: 1-line block ×4, first 2 shown]
	v_fma_f32 v40, v43, v6, v40
	v_fmac_f32_e32 v41, v43, v7
	v_fma_f32 v36, v43, v8, v36
	v_add_u32_e32 v6, 32, v4
	v_add_u32_e32 v7, 33, v4
	;; [unrolled: 1-line block ×3, first 2 shown]
	v_cvt_f32_i32_e32 v6, v6
	v_cvt_f32_i32_e32 v7, v7
	;; [unrolled: 1-line block ×4, first 2 shown]
	v_fmac_f32_e32 v37, v43, v9
	v_add_u32_e32 v9, 35, v4
	v_fma_f32 v32, v43, v6, v32
	v_fmac_f32_e32 v33, v43, v7
	v_fma_f32 v24, v43, v8, v24
	v_add_u32_e32 v6, 48, v4
	v_add_u32_e32 v7, 49, v4
	;; [unrolled: 1-line block ×4, first 2 shown]
	v_cvt_f32_i32_e32 v4, v4
	v_cvt_f32_i32_e32 v6, v6
	;; [unrolled: 1-line block ×3, first 2 shown]
	v_fma_f32 v5, v43, v5, v38
	v_fmac_f32_e32 v21, v43, v4
	v_mov_b32_e32 v4, 0xff7fffff
	v_cmp_gt_i32_e64 s[4:5], s29, v2
	v_cmp_gt_i32_e64 s[34:35], s29, v3
	v_fma_f32 v22, v43, v6, v22
	v_cndmask_b32_e64 v6, v4, v5, s[4:5]
	v_cndmask_b32_e64 v3, v4, v39, s[34:35]
	v_fmac_f32_e32 v23, v43, v7
	v_max3_f32 v3, v6, s44, v3
	v_or_b32_e32 v6, 2, v2
	v_or_b32_e32 v7, 3, v2
	v_cmp_gt_i32_e64 s[36:37], s29, v6
	v_cmp_gt_i32_e64 s[38:39], s29, v7
	v_cvt_f32_i32_e32 v9, v9
	v_cndmask_b32_e64 v6, v4, v30, s[36:37]
	v_cndmask_b32_e64 v7, v4, v31, s[38:39]
	v_max3_f32 v3, v3, v6, v7
	v_or_b32_e32 v6, 16, v2
	v_or_b32_e32 v7, 17, v2
	v_cmp_gt_i32_e64 s[24:25], s29, v6
	v_cmp_gt_i32_e64 s[26:27], s29, v7
	v_fmac_f32_e32 v25, v43, v9
	v_cndmask_b32_e64 v6, v4, v40, s[24:25]
	v_cndmask_b32_e64 v7, v4, v41, s[26:27]
	v_max3_f32 v3, v3, v6, v7
	v_or_b32_e32 v6, 18, v2
	v_or_b32_e32 v7, 19, v2
	v_cmp_gt_i32_e64 s[20:21], s29, v6
	v_cmp_gt_i32_e64 s[22:23], s29, v7
	v_cvt_f32_i32_e32 v8, v8
	v_cndmask_b32_e64 v6, v4, v36, s[20:21]
	v_cndmask_b32_e64 v7, v4, v37, s[22:23]
	v_max3_f32 v3, v3, v6, v7
	v_or_b32_e32 v6, 32, v2
	v_or_b32_e32 v7, 33, v2
	v_cmp_gt_i32_e64 s[16:17], s29, v6
	v_cmp_gt_i32_e64 s[18:19], s29, v7
	v_fma_f32 v20, v43, v8, v20
	v_cndmask_b32_e64 v6, v4, v32, s[16:17]
	v_cndmask_b32_e64 v7, v4, v33, s[18:19]
	v_max3_f32 v3, v3, v6, v7
	v_or_b32_e32 v6, 34, v2
	v_or_b32_e32 v7, 35, v2
	v_cmp_gt_i32_e64 s[12:13], s29, v6
	v_cmp_gt_i32_e64 s[14:15], s29, v7
	s_nop 0
	v_cndmask_b32_e64 v6, v4, v24, s[12:13]
	v_cndmask_b32_e64 v7, v4, v25, s[14:15]
	v_max3_f32 v3, v3, v6, v7
	v_or_b32_e32 v6, 48, v2
	v_or_b32_e32 v7, 49, v2
	v_cmp_gt_i32_e64 s[8:9], s29, v6
	v_cmp_gt_i32_e64 s[10:11], s29, v7
	s_nop 0
	v_cndmask_b32_e64 v6, v4, v22, s[8:9]
	v_cndmask_b32_e64 v7, v4, v23, s[10:11]
	v_max3_f32 v3, v3, v6, v7
	v_or_b32_e32 v6, 50, v2
	v_or_b32_e32 v2, 51, v2
	v_cmp_gt_i32_e32 vcc, s29, v6
	v_cmp_gt_i32_e64 s[6:7], s29, v2
	s_nop 0
	v_cndmask_b32_e32 v6, v4, v20, vcc
	v_cndmask_b32_e64 v2, v4, v21, s[6:7]
	v_max3_f32 v4, v3, v6, v2
	v_mbcnt_lo_u32_b32 v2, -1, 0
	v_mbcnt_hi_u32_b32 v6, -1, v2
	v_and_b32_e32 v2, 64, v6
	v_add_u32_e32 v7, 64, v2
	v_xor_b32_e32 v2, 32, v6
	v_cmp_lt_i32_e64 s[40:41], v2, v7
	s_nop 1
	v_cndmask_b32_e64 v2, v6, v2, s[40:41]
	v_lshlrev_b32_e32 v43, 2, v2
	ds_bpermute_b32 v8, v43, v4
	s_waitcnt vmcnt(2)
	v_mad_i64_i32 v[2:3], s[40:41], v14, s45, v[18:19]
	global_load_dwordx4 v[14:17], v[34:35], off
	global_load_dwordx4 v[10:13], v[2:3], off
	v_xor_b32_e32 v3, 16, v6
	v_cmp_lt_i32_e64 s[40:41], v3, v7
	s_waitcnt lgkmcnt(0)
	v_max_f32_e32 v2, v8, v8
	v_max_f32_e32 v2, v4, v2
	v_cndmask_b32_e64 v3, v6, v3, s[40:41]
	v_lshlrev_b32_e32 v46, 2, v3
	ds_bpermute_b32 v3, v46, v2
	s_waitcnt vmcnt(3)
	v_mad_i64_i32 v[34:35], s[40:41], v44, s45, v[18:19]
	s_waitcnt vmcnt(2)
	v_mad_i64_i32 v[18:19], s[40:41], v45, s45, v[18:19]
	s_waitcnt lgkmcnt(0)
	v_max_f32_e32 v3, v3, v3
	v_max_f32_e32 v38, v2, v3
	v_sub_f32_e32 v2, v5, v38
	v_mul_f32_e32 v2, 0x3fb8aa3b, v2
	v_exp_f32_e32 v44, v2
	v_sub_f32_e32 v2, v39, v38
	v_mul_f32_e32 v2, 0x3fb8aa3b, v2
	v_exp_f32_e32 v39, v2
	global_load_dwordx4 v[6:9], v[34:35], off
	global_load_dwordx4 v[2:5], v[18:19], off
	v_sub_f32_e32 v30, v30, v38
	v_mul_f32_e32 v30, 0x3fb8aa3b, v30
	v_sub_f32_e32 v31, v31, v38
	v_exp_f32_e32 v30, v30
	v_mul_f32_e32 v31, 0x3fb8aa3b, v31
	v_exp_f32_e32 v31, v31
	v_cndmask_b32_e64 v18, 0, v44, s[4:5]
	v_add_f32_e32 v34, 0, v18
	v_cndmask_b32_e64 v19, 0, v39, s[34:35]
	v_add_f32_e32 v35, v34, v19
	;; [unrolled: 2-line block ×3, first 2 shown]
	v_cndmask_b32_e64 v35, 0, v31, s[38:39]
	v_sub_f32_e32 v31, v40, v38
	v_mul_f32_e32 v31, 0x3fb8aa3b, v31
	v_sub_f32_e32 v39, v41, v38
	v_exp_f32_e32 v31, v31
	v_mul_f32_e32 v39, 0x3fb8aa3b, v39
	v_sub_f32_e32 v36, v36, v38
	v_exp_f32_e32 v39, v39
	;; [unrolled: 3-line block ×4, first 2 shown]
	v_mul_f32_e32 v32, 0x3fb8aa3b, v32
	v_sub_f32_e32 v33, v33, v38
	v_add_f32_e32 v40, v30, v35
	v_cndmask_b32_e64 v30, 0, v31, s[24:25]
	v_exp_f32_e32 v32, v32
	v_mul_f32_e32 v33, 0x3fb8aa3b, v33
	v_sub_f32_e32 v24, v24, v38
	v_add_f32_e32 v40, v40, v30
	v_cndmask_b32_e64 v31, 0, v39, s[26:27]
	v_exp_f32_e32 v33, v33
	;; [unrolled: 5-line block ×7, first 2 shown]
	v_mul_f32_e32 v21, 0x3fb8aa3b, v21
	v_add_f32_e32 v39, v39, v24
	v_cndmask_b32_e64 v25, 0, v25, s[14:15]
	v_exp_f32_e32 v21, v21
	v_add_f32_e32 v39, v39, v25
	v_cndmask_b32_e64 v22, 0, v22, s[8:9]
	v_add_f32_e32 v39, v39, v22
	v_cndmask_b32_e64 v23, 0, v23, s[10:11]
	v_add_f32_e32 v39, v39, v23
	v_cndmask_b32_e32 v20, 0, v20, vcc
	v_add_f32_e32 v39, v39, v20
	v_cndmask_b32_e64 v21, 0, v21, s[6:7]
	v_add_f32_e32 v39, v39, v21
	ds_bpermute_b32 v40, v43, v39
	s_load_dword s9, s[0:1], 0x98
	v_cmp_gt_u32_e64 s[6:7], 16, v27
	s_waitcnt lgkmcnt(0)
	s_barrier
	v_add_f32_e32 v40, v39, v40
	ds_bpermute_b32 v41, v46, v40
	v_lshlrev_b32_e32 v39, 2, v28
	s_waitcnt lgkmcnt(0)
	s_and_saveexec_b64 s[4:5], s[6:7]
	s_cbranch_execz .LBB1132_15
; %bb.14:
	v_add_f32_e32 v27, v40, v41
	v_lshl_or_b32 v40, v29, 6, v39
	ds_write2st64_b32 v40, v38, v27 offset1:1
.LBB1132_15:
	s_or_b64 exec, exec, s[4:5]
	s_load_dword s8, s[0:1], 0x94
	s_waitcnt lgkmcnt(0)
	s_barrier
	ds_read2_b32 v[40:41], v39 offset1:16
	ds_read2_b32 v[44:45], v39 offset0:32 offset1:48
	ds_read2_b32 v[46:47], v39 offset0:64 offset1:80
	s_movk_i32 s10, 0x7fff
	s_mul_i32 s9, s9, 5
	s_waitcnt lgkmcnt(2)
	v_max3_f32 v27, v40, s44, v41
	s_waitcnt lgkmcnt(1)
	v_max3_f32 v27, v27, v44, v45
	v_sub_f32_e32 v38, v40, v27
	v_mul_f32_e32 v38, 0x3fb8aa3b, v38
	v_exp_f32_e32 v43, v38
	v_sub_f32_e32 v38, v41, v27
	v_mul_f32_e32 v38, 0x3fb8aa3b, v38
	v_exp_f32_e32 v48, v38
	;; [unrolled: 3-line block ×3, first 2 shown]
	ds_read2_b32 v[40:41], v39 offset0:96 offset1:112
	v_sub_f32_e32 v38, v45, v27
	v_mul_f32_e32 v38, 0x3fb8aa3b, v38
	v_exp_f32_e32 v39, v38
	s_waitcnt lgkmcnt(1)
	v_fma_f32 v38, v43, v46, 0
	v_fmac_f32_e32 v38, v48, v47
	s_waitcnt lgkmcnt(0)
	v_fmac_f32_e32 v38, v44, v40
	v_fmac_f32_e32 v38, v39, v41
	v_add_f32_e32 v40, 0x358637bd, v38
	v_div_scale_f32 v41, s[4:5], v40, v40, 1.0
	v_rcp_f32_e32 v45, v41
	s_barrier
	v_fma_f32 v46, -v41, v45, 1.0
	v_fmac_f32_e32 v45, v46, v45
	v_div_scale_f32 v46, vcc, 1.0, v40, 1.0
	v_mul_f32_e32 v47, v46, v45
	v_fma_f32 v49, -v41, v47, v46
	v_fmac_f32_e32 v47, v49, v45
	v_fma_f32 v41, -v41, v47, v46
	v_div_fmas_f32 v41, v41, v45, v47
	v_cmp_eq_u32_e32 vcc, 1, v29
	v_div_fixup_f32 v40, v41, v40, 1.0
	s_nop 0
	v_cndmask_b32_e32 v41, v43, v48, vcc
	v_cmp_eq_u32_e32 vcc, 2, v29
	s_nop 1
	v_cndmask_b32_e32 v41, v41, v44, vcc
	v_cmp_eq_u32_e32 vcc, 3, v29
	v_lshlrev_b32_e32 v29, 11, v29
	s_nop 0
	v_cndmask_b32_e32 v39, v41, v39, vcc
	v_mul_f32_e32 v40, v39, v40
	v_pk_mul_f32 v[18:19], v[40:41], v[18:19] op_sel_hi:[0,1]
	v_pk_mul_f32 v[34:35], v[40:41], v[34:35] op_sel_hi:[0,1]
	v_bfe_u32 v39, v19, 16, 1
	v_bfe_u32 v41, v18, 16, 1
	v_add3_u32 v18, v18, v41, s10
	v_add3_u32 v19, v19, v39, s10
	v_perm_b32 v44, v19, v18, s33
	v_bfe_u32 v18, v35, 16, 1
	v_bfe_u32 v19, v34, 16, 1
	v_add3_u32 v19, v34, v19, s10
	v_add3_u32 v18, v35, v18, s10
	v_perm_b32 v45, v18, v19, s33
	v_lshlrev_b32_e32 v18, 3, v42
	v_lshlrev_b32_e32 v19, 5, v28
	v_pk_mul_f32 v[30:31], v[40:41], v[30:31] op_sel_hi:[0,1]
	v_or3_b32 v18, v29, v19, v18
	v_pk_mul_f32 v[34:35], v[40:41], v[36:37] op_sel_hi:[0,1]
	v_bfe_u32 v29, v31, 16, 1
	v_bfe_u32 v36, v30, 16, 1
	v_add3_u32 v30, v30, v36, s10
	v_add3_u32 v29, v31, v29, s10
	v_perm_b32 v30, v29, v30, s33
	v_bfe_u32 v29, v35, 16, 1
	v_bfe_u32 v31, v34, 16, 1
	v_add3_u32 v31, v34, v31, s10
	v_add3_u32 v29, v35, v29, s10
	v_perm_b32 v31, v29, v31, s33
	ds_write2st64_b64 v18, v[44:45], v[30:31] offset1:1
	v_pk_mul_f32 v[30:31], v[40:41], v[32:33] op_sel_hi:[0,1]
	v_bfe_u32 v29, v31, 16, 1
	v_bfe_u32 v32, v30, 16, 1
	v_pk_mul_f32 v[24:25], v[40:41], v[24:25] op_sel_hi:[0,1]
	v_add3_u32 v30, v30, v32, s10
	v_add3_u32 v29, v31, v29, s10
	v_perm_b32 v30, v29, v30, s33
	v_bfe_u32 v29, v25, 16, 1
	v_bfe_u32 v31, v24, 16, 1
	v_add3_u32 v24, v24, v31, s10
	v_add3_u32 v25, v25, v29, s10
	v_pk_mul_f32 v[22:23], v[40:41], v[22:23] op_sel_hi:[0,1]
	v_perm_b32 v31, v25, v24, s33
	v_bfe_u32 v24, v23, 16, 1
	v_bfe_u32 v25, v22, 16, 1
	v_pk_mul_f32 v[20:21], v[40:41], v[20:21] op_sel_hi:[0,1]
	v_add3_u32 v22, v22, v25, s10
	v_add3_u32 v23, v23, v24, s10
	v_perm_b32 v22, v23, v22, s33
	v_bfe_u32 v23, v21, 16, 1
	v_bfe_u32 v24, v20, 16, 1
	v_add3_u32 v20, v20, v24, s10
	v_add3_u32 v21, v21, v23, s10
	v_perm_b32 v23, v21, v20, s33
	v_cmp_gt_u32_e32 vcc, 5, v0
	ds_write2st64_b64 v18, v[30:31], v[22:23] offset0:2 offset1:3
	s_and_saveexec_b64 s[4:5], vcc
	s_cbranch_execz .LBB1132_17
; %bb.16:
	s_mov_b32 s49, 0
	v_mov_b32_e32 v29, 0
	v_lshl_add_u64 v[20:21], s[48:49], 0, v[28:29]
	v_mov_b32_e32 v22, s9
	v_mad_u64_u32 v[20:21], s[16:17], s2, v22, v[20:21]
	s_mul_i32 s3, s3, s9
	v_mov_b32_e32 v28, s28
	s_load_dwordx4 s[12:15], s[0:1], 0x58
	v_add_u32_e32 v23, s3, v21
	v_mad_u64_u32 v[20:21], s[16:17], v20, s8, v[28:29]
	v_mov_b32_e32 v22, v21
	v_mad_u64_u32 v[22:23], s[16:17], v23, s8, v[22:23]
	v_mov_b32_e32 v21, v22
	v_lshlrev_b64 v[20:21], 2, v[20:21]
	s_waitcnt lgkmcnt(0)
	v_lshl_add_u64 v[22:23], s[14:15], 0, v[20:21]
	v_lshl_add_u64 v[20:21], s[12:13], 0, v[20:21]
	global_store_dword v[22:23], v27, off
	global_store_dword v[20:21], v38, off
.LBB1132_17:
	s_or_b64 exec, exec, s[4:5]
	s_waitcnt vmcnt(3)
	v_cvt_pk_f32_fp8_e32 v[20:21], v14
	v_cvt_pk_f32_fp8_sdwa v[22:23], v14 src0_sel:WORD_1
	s_mov_b32 s4, 0x7060302
	v_lshl_or_b32 v14, v42, 9, v19
	s_waitcnt lgkmcnt(0)
	s_barrier
	v_perm_b32 v24, v21, v20, s4
	v_perm_b32 v25, v23, v22, s4
	v_cvt_pk_f32_fp8_e32 v[28:29], v15
	ds_read_b128 v[20:23], v14
	v_cvt_pk_f32_fp8_sdwa v[36:37], v15 src0_sel:WORD_1
	s_load_dword s12, s[42:43], 0x0
	v_perm_b32 v38, v29, v28, s4
	ds_read_b128 v[28:31], v14 offset:16
	v_perm_b32 v39, v37, v36, s4
	s_waitcnt lgkmcnt(0)
	v_mfma_f32_16x16x16_bf16 v[32:35], v[24:25], v[20:21], 0
	v_cvt_pk_f32_fp8_e32 v[24:25], v16
	v_cvt_pk_f32_fp8_sdwa v[36:37], v16 src0_sel:WORD_1
	v_cmp_gt_u32_e32 vcc, 64, v0
	v_mfma_f32_16x16x16_bf16 v[20:23], v[38:39], v[22:23], v[32:35]
	v_perm_b32 v24, v25, v24, s4
	v_perm_b32 v25, v37, v36, s4
	s_mov_b32 s3, 0
	v_cvt_pk_f32_fp8_e32 v[32:33], v17
	v_cvt_pk_f32_fp8_sdwa v[16:17], v17 src0_sel:WORD_1
	s_waitcnt vmcnt(2)
	v_cvt_pk_f32_fp8_sdwa v[34:35], v10 src0_sel:WORD_1
	v_mfma_f32_16x16x16_bf16 v[20:23], v[24:25], v[28:29], v[20:23]
	v_perm_b32 v36, v33, v32, s4
	v_cvt_pk_f32_fp8_e32 v[32:33], v10
	v_perm_b32 v37, v17, v16, s4
	v_perm_b32 v17, v35, v34, s4
	v_cvt_pk_f32_fp8_e32 v[24:25], v11
	v_perm_b32 v16, v33, v32, s4
	ds_read_b128 v[32:35], v14 offset:2048
	v_cvt_pk_f32_fp8_sdwa v[10:11], v11 src0_sel:WORD_1
	v_mfma_f32_16x16x16_bf16 v[20:23], v[36:37], v[30:31], v[20:23]
	ds_read_b128 v[28:31], v14 offset:2064
	v_perm_b32 v24, v25, v24, s4
	v_perm_b32 v25, v11, v10, s4
	s_waitcnt lgkmcnt(1)
	v_mfma_f32_16x16x16_bf16 v[20:23], v[16:17], v[32:33], v[20:23]
	v_cvt_pk_f32_fp8_e32 v[10:11], v12
	v_cvt_pk_f32_fp8_sdwa v[16:17], v12 src0_sel:WORD_1
	s_waitcnt vmcnt(1)
	v_cvt_pk_f32_fp8_sdwa v[32:33], v6 src0_sel:WORD_1
	v_mfma_f32_16x16x16_bf16 v[20:23], v[24:25], v[34:35], v[20:23]
	v_cvt_pk_f32_fp8_e32 v[24:25], v13
	v_perm_b32 v10, v11, v10, s4
	v_perm_b32 v11, v17, v16, s4
	v_cvt_pk_f32_fp8_sdwa v[12:13], v13 src0_sel:WORD_1
	v_perm_b32 v16, v25, v24, s4
	v_cvt_pk_f32_fp8_e32 v[24:25], v6
	v_mov_b32_e32 v27, 0
	v_perm_b32 v17, v13, v12, s4
	s_waitcnt lgkmcnt(0)
	v_mfma_f32_16x16x16_bf16 v[10:13], v[10:11], v[28:29], v[20:23]
	v_perm_b32 v24, v25, v24, s4
	v_perm_b32 v25, v33, v32, s4
	v_cvt_pk_f32_fp8_e32 v[28:29], v7
	ds_read_b128 v[20:23], v14 offset:4096
	v_cvt_pk_f32_fp8_sdwa v[6:7], v7 src0_sel:WORD_1
	v_mfma_f32_16x16x16_bf16 v[10:13], v[16:17], v[30:31], v[10:13]
	v_perm_b32 v16, v29, v28, s4
	ds_read_b128 v[28:31], v14 offset:4112
	v_perm_b32 v17, v7, v6, s4
	s_waitcnt lgkmcnt(1)
	v_mfma_f32_16x16x16_bf16 v[10:13], v[24:25], v[20:21], v[10:13]
	v_cvt_pk_f32_fp8_e32 v[6:7], v8
	v_cvt_pk_f32_fp8_sdwa v[20:21], v8 src0_sel:WORD_1
	v_perm_b32 v6, v7, v6, s4
	v_mfma_f32_16x16x16_bf16 v[10:13], v[16:17], v[22:23], v[10:13]
	v_cvt_pk_f32_fp8_e32 v[16:17], v9
	v_perm_b32 v7, v21, v20, s4
	v_cvt_pk_f32_fp8_sdwa v[8:9], v9 src0_sel:WORD_1
	s_waitcnt vmcnt(0)
	v_cvt_pk_f32_fp8_e32 v[20:21], v2
	v_perm_b32 v16, v17, v16, s4
	v_cvt_pk_f32_fp8_sdwa v[22:23], v2 src0_sel:WORD_1
	v_perm_b32 v17, v9, v8, s4
	s_waitcnt lgkmcnt(0)
	v_mfma_f32_16x16x16_bf16 v[6:9], v[6:7], v[28:29], v[10:13]
	v_perm_b32 v20, v21, v20, s4
	v_perm_b32 v21, v23, v22, s4
	v_cvt_pk_f32_fp8_e32 v[22:23], v3
	ds_read_b128 v[10:13], v14 offset:6144
	v_cvt_pk_f32_fp8_sdwa v[2:3], v3 src0_sel:WORD_1
	v_mfma_f32_16x16x16_bf16 v[6:9], v[16:17], v[30:31], v[6:9]
	v_perm_b32 v22, v23, v22, s4
	ds_read_b128 v[14:17], v14 offset:6160
	v_perm_b32 v23, v3, v2, s4
	s_waitcnt lgkmcnt(1)
	v_mfma_f32_16x16x16_bf16 v[6:9], v[20:21], v[10:11], v[6:9]
	v_cvt_pk_f32_fp8_e32 v[2:3], v4
	v_cvt_pk_f32_fp8_sdwa v[10:11], v4 src0_sel:WORD_1
	s_waitcnt lgkmcnt(0)
	v_mfma_f32_16x16x16_bf16 v[6:9], v[22:23], v[12:13], v[6:9]
	v_perm_b32 v2, v3, v2, s4
	v_perm_b32 v3, v11, v10, s4
	v_cvt_pk_f32_fp8_e32 v[10:11], v5
	v_cvt_pk_f32_fp8_sdwa v[4:5], v5 src0_sel:WORD_1
	s_barrier
	v_perm_b32 v10, v11, v10, s4
	v_perm_b32 v11, v5, v4, s4
	v_mfma_f32_16x16x16_bf16 v[2:5], v[2:3], v[14:15], v[6:9]
	s_nop 0
	v_mfma_f32_16x16x16_bf16 v[2:5], v[10:11], v[16:17], v[2:5]
	s_nop 6
	v_pk_mul_f32 v[2:3], v[2:3], s[12:13] op_sel_hi:[1,0]
	v_pk_mul_f32 v[4:5], v[4:5], s[12:13] op_sel_hi:[1,0]
	v_bfe_u32 v6, v3, 16, 1
	v_bfe_u32 v7, v2, 16, 1
	v_add3_u32 v2, v2, v7, s10
	v_add3_u32 v3, v3, v6, s10
	v_perm_b32 v2, v3, v2, s4
	v_bfe_u32 v3, v5, 16, 1
	v_bfe_u32 v6, v4, 16, 1
	v_add3_u32 v4, v4, v6, s10
	v_add3_u32 v3, v5, v3, s10
	v_perm_b32 v3, v3, v4, s4
	s_and_b64 s[4:5], vcc, s[30:31]
	ds_write_b64 v18, v[2:3]
	s_waitcnt lgkmcnt(0)
	s_barrier
	s_and_saveexec_b64 s[10:11], s[4:5]
	s_cbranch_execz .LBB1132_20
; %bb.18:
	s_load_dwordx2 s[4:5], s[0:1], 0x68
	s_lshl_b32 s0, s8, 6
	s_mul_i32 s1, s9, s2
	s_mul_hi_u32 s9, s1, s0
	s_mul_i32 s8, s1, s0
	v_lshlrev_b32_e32 v0, 10, v0
	s_lshl_b64 s[8:9], s[8:9], 1
	v_and_b32_e32 v0, 0x1800, v0
	v_lshlrev_b32_e32 v2, 5, v42
	v_and_b32_e32 v1, 16, v1
	s_waitcnt lgkmcnt(0)
	s_add_u32 s1, s4, s8
	v_or3_b32 v2, v0, v2, v1
	s_addc_u32 s4, s5, s9
	s_lshl_b32 s2, s28, 6
	s_lshl_b64 s[2:3], s[2:3], 1
	ds_read_b128 v[4:7], v2
	s_add_u32 s2, s1, s2
	s_addc_u32 s3, s4, s3
	v_add_u32_e32 v3, s48, v42
	v_lshl_add_u64 v[0:1], s[2:3], 0, v[26:27]
	v_mad_u64_u32 v[8:9], s[2:3], v3, s0, 0
	v_lshl_add_u64 v[8:9], v[8:9], 1, v[0:1]
	s_waitcnt lgkmcnt(0)
	global_store_dwordx4 v[8:9], v[4:7], off
	s_and_b64 exec, exec, s[6:7]
	s_cbranch_execz .LBB1132_20
; %bb.19:
	ds_read_b128 v[2:5], v2 offset:128
	v_add3_u32 v6, s48, v42, 4
	v_mad_u64_u32 v[6:7], s[0:1], v6, s0, 0
	v_lshl_add_u64 v[0:1], v[6:7], 1, v[0:1]
	s_waitcnt lgkmcnt(0)
	global_store_dwordx4 v[0:1], v[2:5], off
.LBB1132_20:
	s_endpgm
	.section	.rodata,"a",@progbits
	.p2align	6, 0x0
	.amdhsa_kernel _Z39paged_attention_ll4mi_QKV_mfma16_kernelI14__hip_bfloat16hLN4vllm18Fp8KVCacheDataTypeE1ES0_Li16ELi64ELi256ELb1ELi5EEvPKT_PKT0_S8_ifPKiSA_SA_iPKfiiiPfSD_PS3_PT2_iSC_SC_
		.amdhsa_group_segment_fixed_size 8192
		.amdhsa_private_segment_fixed_size 0
		.amdhsa_kernarg_size 400
		.amdhsa_user_sgpr_count 2
		.amdhsa_user_sgpr_dispatch_ptr 0
		.amdhsa_user_sgpr_queue_ptr 0
		.amdhsa_user_sgpr_kernarg_segment_ptr 1
		.amdhsa_user_sgpr_dispatch_id 0
		.amdhsa_user_sgpr_kernarg_preload_length 0
		.amdhsa_user_sgpr_kernarg_preload_offset 0
		.amdhsa_user_sgpr_private_segment_size 0
		.amdhsa_uses_dynamic_stack 0
		.amdhsa_enable_private_segment 0
		.amdhsa_system_sgpr_workgroup_id_x 1
		.amdhsa_system_sgpr_workgroup_id_y 1
		.amdhsa_system_sgpr_workgroup_id_z 1
		.amdhsa_system_sgpr_workgroup_info 0
		.amdhsa_system_vgpr_workitem_id 0
		.amdhsa_next_free_vgpr 67
		.amdhsa_next_free_sgpr 50
		.amdhsa_accum_offset 68
		.amdhsa_reserve_vcc 1
		.amdhsa_float_round_mode_32 0
		.amdhsa_float_round_mode_16_64 0
		.amdhsa_float_denorm_mode_32 3
		.amdhsa_float_denorm_mode_16_64 3
		.amdhsa_dx10_clamp 1
		.amdhsa_ieee_mode 1
		.amdhsa_fp16_overflow 0
		.amdhsa_tg_split 0
		.amdhsa_exception_fp_ieee_invalid_op 0
		.amdhsa_exception_fp_denorm_src 0
		.amdhsa_exception_fp_ieee_div_zero 0
		.amdhsa_exception_fp_ieee_overflow 0
		.amdhsa_exception_fp_ieee_underflow 0
		.amdhsa_exception_fp_ieee_inexact 0
		.amdhsa_exception_int_div_zero 0
	.end_amdhsa_kernel
	.section	.text._Z39paged_attention_ll4mi_QKV_mfma16_kernelI14__hip_bfloat16hLN4vllm18Fp8KVCacheDataTypeE1ES0_Li16ELi64ELi256ELb1ELi5EEvPKT_PKT0_S8_ifPKiSA_SA_iPKfiiiPfSD_PS3_PT2_iSC_SC_,"axG",@progbits,_Z39paged_attention_ll4mi_QKV_mfma16_kernelI14__hip_bfloat16hLN4vllm18Fp8KVCacheDataTypeE1ES0_Li16ELi64ELi256ELb1ELi5EEvPKT_PKT0_S8_ifPKiSA_SA_iPKfiiiPfSD_PS3_PT2_iSC_SC_,comdat
.Lfunc_end1132:
	.size	_Z39paged_attention_ll4mi_QKV_mfma16_kernelI14__hip_bfloat16hLN4vllm18Fp8KVCacheDataTypeE1ES0_Li16ELi64ELi256ELb1ELi5EEvPKT_PKT0_S8_ifPKiSA_SA_iPKfiiiPfSD_PS3_PT2_iSC_SC_, .Lfunc_end1132-_Z39paged_attention_ll4mi_QKV_mfma16_kernelI14__hip_bfloat16hLN4vllm18Fp8KVCacheDataTypeE1ES0_Li16ELi64ELi256ELb1ELi5EEvPKT_PKT0_S8_ifPKiSA_SA_iPKfiiiPfSD_PS3_PT2_iSC_SC_
                                        ; -- End function
	.section	.AMDGPU.csdata,"",@progbits
; Kernel info:
; codeLenInByte = 5108
; NumSgprs: 56
; NumVgprs: 67
; NumAgprs: 0
; TotalNumVgprs: 67
; ScratchSize: 0
; MemoryBound: 0
; FloatMode: 240
; IeeeMode: 1
; LDSByteSize: 8192 bytes/workgroup (compile time only)
; SGPRBlocks: 6
; VGPRBlocks: 8
; NumSGPRsForWavesPerEU: 56
; NumVGPRsForWavesPerEU: 67
; AccumOffset: 68
; Occupancy: 7
; WaveLimiterHint : 1
; COMPUTE_PGM_RSRC2:SCRATCH_EN: 0
; COMPUTE_PGM_RSRC2:USER_SGPR: 2
; COMPUTE_PGM_RSRC2:TRAP_HANDLER: 0
; COMPUTE_PGM_RSRC2:TGID_X_EN: 1
; COMPUTE_PGM_RSRC2:TGID_Y_EN: 1
; COMPUTE_PGM_RSRC2:TGID_Z_EN: 1
; COMPUTE_PGM_RSRC2:TIDIG_COMP_CNT: 0
; COMPUTE_PGM_RSRC3_GFX90A:ACCUM_OFFSET: 16
; COMPUTE_PGM_RSRC3_GFX90A:TG_SPLIT: 0
	.section	.text._Z39paged_attention_ll4mi_QKV_mfma16_kernelI14__hip_bfloat16hLN4vllm18Fp8KVCacheDataTypeE1ES0_Li16ELi64ELi256ELb1ELi6EEvPKT_PKT0_S8_ifPKiSA_SA_iPKfiiiPfSD_PS3_PT2_iSC_SC_,"axG",@progbits,_Z39paged_attention_ll4mi_QKV_mfma16_kernelI14__hip_bfloat16hLN4vllm18Fp8KVCacheDataTypeE1ES0_Li16ELi64ELi256ELb1ELi6EEvPKT_PKT0_S8_ifPKiSA_SA_iPKfiiiPfSD_PS3_PT2_iSC_SC_,comdat
	.protected	_Z39paged_attention_ll4mi_QKV_mfma16_kernelI14__hip_bfloat16hLN4vllm18Fp8KVCacheDataTypeE1ES0_Li16ELi64ELi256ELb1ELi6EEvPKT_PKT0_S8_ifPKiSA_SA_iPKfiiiPfSD_PS3_PT2_iSC_SC_ ; -- Begin function _Z39paged_attention_ll4mi_QKV_mfma16_kernelI14__hip_bfloat16hLN4vllm18Fp8KVCacheDataTypeE1ES0_Li16ELi64ELi256ELb1ELi6EEvPKT_PKT0_S8_ifPKiSA_SA_iPKfiiiPfSD_PS3_PT2_iSC_SC_
	.globl	_Z39paged_attention_ll4mi_QKV_mfma16_kernelI14__hip_bfloat16hLN4vllm18Fp8KVCacheDataTypeE1ES0_Li16ELi64ELi256ELb1ELi6EEvPKT_PKT0_S8_ifPKiSA_SA_iPKfiiiPfSD_PS3_PT2_iSC_SC_
	.p2align	8
	.type	_Z39paged_attention_ll4mi_QKV_mfma16_kernelI14__hip_bfloat16hLN4vllm18Fp8KVCacheDataTypeE1ES0_Li16ELi64ELi256ELb1ELi6EEvPKT_PKT0_S8_ifPKiSA_SA_iPKfiiiPfSD_PS3_PT2_iSC_SC_,@function
_Z39paged_attention_ll4mi_QKV_mfma16_kernelI14__hip_bfloat16hLN4vllm18Fp8KVCacheDataTypeE1ES0_Li16ELi64ELi256ELb1ELi6EEvPKT_PKT0_S8_ifPKiSA_SA_iPKfiiiPfSD_PS3_PT2_iSC_SC_: ; @_Z39paged_attention_ll4mi_QKV_mfma16_kernelI14__hip_bfloat16hLN4vllm18Fp8KVCacheDataTypeE1ES0_Li16ELi64ELi256ELb1ELi6EEvPKT_PKT0_S8_ifPKiSA_SA_iPKfiiiPfSD_PS3_PT2_iSC_SC_
; %bb.0:
	s_load_dwordx2 s[6:7], s[0:1], 0x30
	s_mov_b32 s28, s3
	s_mov_b64 s[8:9], 0
	s_waitcnt lgkmcnt(0)
	s_cmp_lg_u64 s[6:7], 0
	s_cselect_b64 s[10:11], -1, 0
	s_and_b64 vcc, exec, s[10:11]
	s_cbranch_vccz .LBB1133_7
; %bb.1:
	s_add_i32 s12, s2, 1
	s_mov_b32 s13, 0
	s_lshl_b64 s[14:15], s[12:13], 2
	s_add_u32 s14, s6, s14
	s_mov_b32 s3, s13
	s_addc_u32 s15, s7, s15
	s_lshl_b64 s[12:13], s[2:3], 2
	s_add_u32 s12, s6, s12
	s_addc_u32 s13, s7, s13
	s_load_dword s5, s[14:15], 0x0
	s_load_dword s16, s[12:13], 0x0
	s_waitcnt lgkmcnt(0)
	s_sub_i32 s5, s5, s16
	s_cmp_eq_u32 s5, 1
	s_cselect_b64 s[12:13], -1, 0
	s_andn2_b64 vcc, exec, s[8:9]
	s_cbranch_vccnz .LBB1133_3
.LBB1133_2:
	s_mov_b32 s3, 0
	s_mov_b64 s[12:13], -1
.LBB1133_3:
	s_andn2_b64 vcc, exec, s[12:13]
	s_cbranch_vccnz .LBB1133_20
; %bb.4:
	s_load_dwordx2 s[8:9], s[0:1], 0x28
	s_lshl_b64 s[12:13], s[2:3], 2
	s_waitcnt lgkmcnt(0)
	s_add_u32 s8, s8, s12
	s_addc_u32 s9, s9, s13
	s_load_dword s29, s[8:9], 0x0
	s_lshl_b32 s16, s28, 8
	s_waitcnt lgkmcnt(0)
	s_cmp_ge_i32 s16, s29
	s_cbranch_scc1 .LBB1133_20
; %bb.5:
	s_load_dwordx2 s[8:9], s[0:1], 0x20
	s_load_dword s5, s[0:1], 0x38
	s_add_i32 s14, s29, 15
	s_ashr_i32 s15, s14, 31
	v_and_b32_e32 v1, 0xcf, v0
	s_lshr_b32 s15, s15, 28
	v_add_u32_e32 v1, s16, v1
	s_add_i32 s14, s14, s15
	v_ashrrev_i32_e32 v2, 31, v1
	s_ashr_i32 s17, s14, 4
	v_lshrrev_b32_e32 v4, 28, v2
	s_add_i32 s17, s17, -1
	s_waitcnt lgkmcnt(0)
	s_mul_i32 s14, s2, s5
	s_mov_b32 s15, 0
	v_add_u32_e32 v2, v1, v4
	s_lshl_b64 s[14:15], s[14:15], 2
	v_ashrrev_i32_e32 v2, 4, v2
	v_mov_b32_e32 v5, s17
	v_cmp_gt_i32_e32 vcc, s29, v1
	s_add_u32 s8, s8, s14
	s_addc_u32 s9, s9, s15
	v_cndmask_b32_e32 v2, v5, v2, vcc
	v_ashrrev_i32_e32 v3, 31, v2
	v_lshl_add_u64 v[6:7], v[2:3], 2, s[8:9]
	v_or_b32_e32 v2, 16, v1
	v_add_u32_e32 v3, v2, v4
	v_ashrrev_i32_e32 v3, 4, v3
	v_cmp_gt_i32_e32 vcc, s29, v2
	s_load_dwordx2 s[14:15], s[0:1], 0x8
	s_nop 0
	v_cndmask_b32_e32 v2, v5, v3, vcc
	v_ashrrev_i32_e32 v3, 31, v2
	v_lshl_add_u64 v[8:9], v[2:3], 2, s[8:9]
	v_or_b32_e32 v2, 32, v1
	v_add_u32_e32 v3, v2, v4
	v_ashrrev_i32_e32 v3, 4, v3
	v_cmp_gt_i32_e32 vcc, s29, v2
	v_or_b32_e32 v1, 48, v1
	s_nop 0
	v_cndmask_b32_e32 v2, v5, v3, vcc
	v_ashrrev_i32_e32 v3, 31, v2
	v_lshl_add_u64 v[10:11], v[2:3], 2, s[8:9]
	v_add_u32_e32 v2, v1, v4
	v_ashrrev_i32_e32 v2, 4, v2
	v_cmp_gt_i32_e32 vcc, s29, v1
	s_nop 1
	v_cndmask_b32_e32 v2, v5, v2, vcc
	v_ashrrev_i32_e32 v3, 31, v2
	v_lshl_add_u64 v[12:13], v[2:3], 2, s[8:9]
	global_load_dword v5, v[6:7], off
	global_load_dword v4, v[8:9], off
	;; [unrolled: 1-line block ×4, first 2 shown]
	s_andn2_b64 vcc, exec, s[10:11]
	s_cbranch_vccnz .LBB1133_8
; %bb.6:
	s_add_u32 s6, s6, s12
	s_addc_u32 s7, s7, s13
	s_load_dword s5, s[6:7], 0x0
	s_branch .LBB1133_9
.LBB1133_7:
	s_mov_b64 s[12:13], 0
	s_branch .LBB1133_2
.LBB1133_8:
	s_mov_b32 s5, s2
.LBB1133_9:
	s_load_dwordx2 s[6:7], s[0:1], 0x10
	s_load_dwordx4 s[44:47], s[0:1], 0x48
	v_lshrrev_b32_e32 v29, 6, v0
	v_bfe_u32 v42, v0, 4, 2
	v_lshl_or_b32 v6, v29, 2, v42
	v_and_b32_e32 v28, 15, v0
	v_lshlrev_b32_e32 v1, 3, v28
	v_cmp_gt_u32_e32 vcc, 6, v6
	v_cmp_gt_u32_e64 s[30:31], 8, v28
	s_mul_i32 s48, s4, 6
	s_and_b64 s[12:13], s[30:31], vcc
	v_lshlrev_b32_e32 v26, 1, v1
	v_lshlrev_b32_e32 v1, 4, v0
	s_and_saveexec_b64 s[10:11], s[12:13]
	s_cbranch_execz .LBB1133_11
; %bb.10:
	s_load_dwordx2 s[12:13], s[0:1], 0x0
	s_waitcnt lgkmcnt(0)
	s_ashr_i32 s18, s44, 31
	s_mul_hi_u32 s19, s5, s44
	s_mul_i32 s18, s5, s18
	s_add_i32 s19, s19, s18
	s_mul_i32 s18, s5, s44
	s_lshl_b64 s[18:19], s[18:19], 1
	s_add_u32 s12, s12, s18
	v_add_lshl_u32 v8, v6, s48, 6
	s_addc_u32 s13, s13, s19
	v_ashrrev_i32_e32 v9, 31, v8
	v_lshl_add_u64 v[8:9], v[8:9], 1, s[12:13]
	v_mov_b32_e32 v27, 0
	v_lshl_add_u64 v[8:9], v[8:9], 0, v[26:27]
	global_load_dwordx4 v[8:11], v[8:9], off
	v_lshlrev_b32_e32 v12, 8, v28
	v_lshlrev_b32_e32 v6, 5, v6
	v_and_b32_e32 v7, 16, v1
	v_and_b32_e32 v12, 0xe00, v12
	v_or3_b32 v6, v12, v6, v7
	s_waitcnt vmcnt(0)
	ds_write_b128 v6, v[8:11]
.LBB1133_11:
	s_or_b64 exec, exec, s[10:11]
	s_waitcnt lgkmcnt(0)
	s_mul_i32 s10, s4, s46
	s_add_u32 s4, s14, s10
	s_addc_u32 s5, s15, 0
	v_and_b32_e32 v32, 48, v0
	v_and_b32_e32 v30, 0xf0, v1
	v_mov_b32_e32 v31, 0
	v_lshl_add_u64 v[6:7], s[4:5], 0, v[30:31]
	v_lshlrev_b32_e32 v30, 4, v32
	v_lshl_add_u64 v[6:7], v[6:7], 0, v[30:31]
	s_waitcnt vmcnt(3)
	v_mad_i64_i32 v[8:9], s[4:5], v5, s45, v[6:7]
	s_waitcnt vmcnt(2)
	v_mad_i64_i32 v[4:5], s[4:5], v4, s45, v[6:7]
	s_barrier
	global_load_dwordx4 v[22:25], v[8:9], off
	global_load_dwordx4 v[18:21], v[4:5], off
	s_waitcnt vmcnt(3)
	v_mad_i64_i32 v[4:5], s[4:5], v3, s45, v[6:7]
	s_waitcnt vmcnt(2)
	v_mad_i64_i32 v[2:3], s[4:5], v2, s45, v[6:7]
	global_load_dwordx4 v[14:17], v[4:5], off
	global_load_dwordx4 v[6:9], v[2:3], off
	v_mul_lo_u16_e32 v2, 43, v28
	v_mov_b32_e32 v3, 6
	v_mul_lo_u16_sdwa v2, v2, v3 dst_sel:DWORD dst_unused:UNUSED_PAD src0_sel:BYTE_1 src1_sel:DWORD
	v_sub_u16_e32 v2, v28, v2
	v_mov_b32_e32 v3, 5
	v_lshlrev_b32_sdwa v2, v3, v2 dst_sel:DWORD dst_unused:UNUSED_PAD src0_sel:DWORD src1_sel:BYTE_0
	v_lshl_add_u32 v2, v42, 9, v2
	ds_read_b128 v[10:13], v2
	ds_read_b128 v[2:5], v2 offset:16
	v_and_b32_e32 v27, 63, v0
	v_cmp_gt_u32_e32 vcc, 6, v28
	v_mov_b32_e32 v43, 0
	s_and_saveexec_b64 s[4:5], vcc
	s_cbranch_execz .LBB1133_13
; %bb.12:
	s_load_dwordx2 s[12:13], s[0:1], 0x40
	v_add_u32_e32 v34, s48, v28
	v_ashrrev_i32_e32 v35, 31, v34
	s_waitcnt lgkmcnt(0)
	v_lshl_add_u64 v[34:35], v[34:35], 2, s[12:13]
	global_load_dword v43, v[34:35], off
.LBB1133_13:
	s_or_b64 exec, exec, s[4:5]
	v_or_b32_e32 v62, s16, v32
	v_ashrrev_i32_e32 v30, 4, v62
	v_mov_b32_e32 v63, s17
	v_cmp_gt_i32_e32 vcc, s29, v62
	s_waitcnt vmcnt(2)
	v_cvt_pk_f32_fp8_e32 v[52:53], v20
	v_cvt_pk_f32_fp8_sdwa v[54:55], v20 src0_sel:WORD_1
	v_cndmask_b32_e32 v20, v63, v30, vcc
	v_cvt_pk_f32_fp8_e32 v[56:57], v21
	v_cvt_pk_f32_fp8_sdwa v[58:59], v21 src0_sel:WORD_1
	v_ashrrev_i32_e32 v21, 31, v20
	v_cvt_pk_f32_fp8_e32 v[40:41], v22
	v_cvt_pk_f32_fp8_sdwa v[44:45], v22 src0_sel:WORD_1
	v_lshl_add_u64 v[20:21], v[20:21], 2, s[8:9]
	v_cvt_pk_f32_fp8_e32 v[46:47], v18
	v_cvt_pk_f32_fp8_sdwa v[48:49], v18 src0_sel:WORD_1
	global_load_dword v64, v[20:21], off
	s_mov_b32 s33, 0x7060302
	v_cvt_pk_f32_fp8_e32 v[32:33], v23
	v_cvt_pk_f32_fp8_sdwa v[34:35], v23 src0_sel:WORD_1
	v_perm_b32 v20, v41, v40, s33
	v_perm_b32 v21, v45, v44, s33
	v_cvt_pk_f32_fp8_e32 v[38:39], v24
	v_cvt_pk_f32_fp8_sdwa v[36:37], v24 src0_sel:WORD_1
	v_cvt_pk_f32_fp8_e32 v[50:51], v19
	v_cvt_pk_f32_fp8_sdwa v[18:19], v19 src0_sel:WORD_1
	v_perm_b32 v44, v47, v46, s33
	v_perm_b32 v45, v49, v48, s33
	v_cvt_pk_f32_fp8_e32 v[22:23], v25
	s_waitcnt vmcnt(2)
	v_cvt_pk_f32_fp8_e32 v[40:41], v14
	v_cvt_pk_f32_fp8_sdwa v[46:47], v14 src0_sel:WORD_1
	v_perm_b32 v48, v33, v32, s33
	v_perm_b32 v49, v35, v34, s33
	v_or_b32_e32 v14, 64, v62
	v_or_b32_e32 v32, 0xc0, v62
	v_cvt_pk_f32_fp8_sdwa v[24:25], v25 src0_sel:WORD_1
	s_load_dword s11, s[0:1], 0x1c
	s_load_dwordx4 s[40:43], s[0:1], 0x80
	v_perm_b32 v38, v39, v38, s33
	v_perm_b32 v39, v37, v36, s33
	v_or_b32_e32 v65, 0x80, v62
	v_ashrrev_i32_e32 v62, 4, v14
	v_cmp_gt_i32_e32 vcc, s29, v32
	v_ashrrev_i32_e32 v66, 4, v32
	v_cmp_gt_i32_e64 s[4:5], s29, v14
	v_perm_b32 v36, v51, v50, s33
	v_perm_b32 v37, v19, v18, s33
	s_waitcnt lgkmcnt(0)
	v_mfma_f32_16x16x16_bf16 v[32:35], v[20:21], v[10:11], 0
	s_add_u32 s6, s6, s10
	v_lshlrev_b32_e32 v30, 4, v28
	v_cndmask_b32_e64 v50, v63, v62, s[4:5]
	v_perm_b32 v62, v23, v22, s33
	v_mfma_f32_16x16x16_bf16 v[20:23], v[44:45], v[10:11], 0
	v_lshl_or_b32 v30, v29, 8, v30
	s_addc_u32 s7, s7, 0
	v_ashrrev_i32_e32 v14, 4, v65
	v_lshl_add_u64 v[18:19], s[6:7], 0, v[30:31]
	v_cmp_gt_i32_e64 s[6:7], s29, v65
	v_mfma_f32_16x16x16_bf16 v[30:33], v[48:49], v[12:13], v[32:35]
	v_cndmask_b32_e32 v48, v63, v66, vcc
	s_load_dword s4, s[40:41], 0x0
	v_cvt_pk_f32_fp8_e32 v[60:61], v15
	v_cndmask_b32_e64 v34, v63, v14, s[6:7]
	v_perm_b32 v63, v25, v24, s33
	v_perm_b32 v24, v53, v52, s33
	;; [unrolled: 1-line block ×3, first 2 shown]
	v_mfma_f32_16x16x16_bf16 v[20:23], v[36:37], v[12:13], v[20:23]
	v_perm_b32 v40, v41, v40, s33
	v_perm_b32 v41, v47, v46, s33
	v_ashrrev_i32_e32 v51, 31, v50
	v_mfma_f32_16x16x16_bf16 v[20:23], v[24:25], v[2:3], v[20:23]
	v_mov_b32_e32 v24, s11
	s_waitcnt lgkmcnt(0)
	v_mul_f32_e32 v54, s4, v24
	v_cvt_pk_f32_fp8_sdwa v[24:25], v15 src0_sel:WORD_1
	v_mfma_f32_16x16x16_bf16 v[30:33], v[38:39], v[2:3], v[30:33]
	v_ashrrev_i32_e32 v35, 31, v34
	v_ashrrev_i32_e32 v49, 31, v48
	v_lshl_add_u64 v[36:37], v[50:51], 2, s[8:9]
	v_lshl_add_u64 v[34:35], v[34:35], 2, s[8:9]
	;; [unrolled: 1-line block ×3, first 2 shown]
	global_load_dword v14, v[36:37], off
	global_load_dword v44, v[34:35], off
	;; [unrolled: 1-line block ×3, first 2 shown]
	v_perm_b32 v46, v61, v60, s33
	v_cvt_pk_f32_fp8_e32 v[48:49], v16
	v_cvt_pk_f32_fp8_sdwa v[50:51], v16 src0_sel:WORD_1
	v_perm_b32 v47, v25, v24, s33
	v_mfma_f32_16x16x16_bf16 v[36:39], v[62:63], v[4:5], v[30:33]
	v_perm_b32 v24, v49, v48, s33
	v_perm_b32 v25, v51, v50, s33
	;; [unrolled: 1-line block ×3, first 2 shown]
	v_mfma_f32_16x16x16_bf16 v[30:33], v[40:41], v[10:11], 0
	v_cvt_pk_f32_fp8_e32 v[40:41], v17
	v_cvt_pk_f32_fp8_sdwa v[16:17], v17 src0_sel:WORD_1
	v_perm_b32 v53, v59, v58, s33
	v_mfma_f32_16x16x16_bf16 v[46:49], v[46:47], v[12:13], v[30:33]
	s_mov_b32 s44, 0xff7fffff
	s_waitcnt vmcnt(3)
	v_mad_i64_i32 v[34:35], s[4:5], v64, s45, v[18:19]
	v_perm_b32 v32, v41, v40, s33
	v_perm_b32 v33, v17, v16, s33
	v_mfma_f32_16x16x16_bf16 v[46:49], v[24:25], v[2:3], v[46:49]
	v_cvt_pk_f32_fp8_e32 v[16:17], v6
	v_cvt_pk_f32_fp8_sdwa v[24:25], v6 src0_sel:WORD_1
	v_pk_mul_f32 v[30:31], v[54:55], v[38:39] op_sel_hi:[0,1]
	v_mfma_f32_16x16x16_bf16 v[46:49], v[32:33], v[4:5], v[46:49]
	v_cvt_pk_f32_fp8_e32 v[32:33], v7
	v_perm_b32 v16, v17, v16, s33
	v_perm_b32 v17, v25, v24, s33
	v_cvt_pk_f32_fp8_sdwa v[6:7], v7 src0_sel:WORD_1
	v_pk_mul_f32 v[38:39], v[54:55], v[36:37] op_sel_hi:[0,1]
	v_perm_b32 v24, v33, v32, s33
	v_cvt_pk_f32_fp8_e32 v[32:33], v8
	v_cvt_pk_f32_fp8_sdwa v[36:37], v8 src0_sel:WORD_1
	v_perm_b32 v25, v7, v6, s33
	v_mfma_f32_16x16x16_bf16 v[20:23], v[52:53], v[4:5], v[20:23]
	v_mfma_f32_16x16x16_bf16 v[50:53], v[16:17], v[10:11], 0
	v_perm_b32 v10, v33, v32, s33
	v_perm_b32 v11, v37, v36, s33
	v_cvt_pk_f32_fp8_e32 v[16:17], v9
	v_cvt_pk_f32_fp8_sdwa v[32:33], v9 src0_sel:WORD_1
	v_mfma_f32_16x16x16_bf16 v[6:9], v[24:25], v[12:13], v[50:53]
	s_nop 0
	v_pk_mul_f32 v[36:37], v[54:55], v[22:23] op_sel_hi:[0,1]
	v_perm_b32 v12, v17, v16, s33
	v_perm_b32 v13, v33, v32, s33
	v_mfma_f32_16x16x16_bf16 v[6:9], v[10:11], v[2:3], v[6:9]
	v_pk_mul_f32 v[40:41], v[54:55], v[20:21] op_sel_hi:[0,1]
	v_pk_mul_f32 v[24:25], v[54:55], v[48:49] op_sel_hi:[0,1]
	v_pk_mul_f32 v[32:33], v[54:55], v[46:47] op_sel_hi:[0,1]
	v_mfma_f32_16x16x16_bf16 v[2:5], v[12:13], v[4:5], v[6:9]
	s_nop 6
	v_pk_mul_f32 v[22:23], v[54:55], v[2:3] op_sel_hi:[0,1]
	v_and_b32_e32 v2, 0xc0, v0
	v_add_u32_e32 v2, s16, v2
	v_lshl_or_b32 v2, v42, 2, v2
	v_or_b32_e32 v3, 1, v2
	v_pk_mul_f32 v[20:21], v[54:55], v[4:5] op_sel_hi:[0,1]
	v_subrev_u32_e32 v4, s29, v3
	v_add_u32_e32 v6, 1, v4
	v_add_u32_e32 v7, 2, v4
	;; [unrolled: 1-line block ×3, first 2 shown]
	v_cvt_f32_i32_e32 v6, v6
	v_cvt_f32_i32_e32 v7, v7
	;; [unrolled: 1-line block ×3, first 2 shown]
	v_add_u32_e32 v9, 19, v4
	v_fmac_f32_e32 v39, v43, v6
	v_fma_f32 v30, v43, v7, v30
	v_fmac_f32_e32 v31, v43, v8
	v_add_u32_e32 v6, 16, v4
	v_add_u32_e32 v7, 17, v4
	;; [unrolled: 1-line block ×3, first 2 shown]
	v_cvt_f32_i32_e32 v6, v6
	v_cvt_f32_i32_e32 v7, v7
	v_cvt_f32_i32_e32 v8, v8
	v_cvt_f32_i32_e32 v9, v9
	v_fma_f32 v40, v43, v6, v40
	v_fmac_f32_e32 v41, v43, v7
	v_fma_f32 v36, v43, v8, v36
	v_add_u32_e32 v6, 32, v4
	v_add_u32_e32 v7, 33, v4
	;; [unrolled: 1-line block ×3, first 2 shown]
	v_cvt_f32_i32_e32 v6, v6
	v_cvt_f32_i32_e32 v7, v7
	;; [unrolled: 1-line block ×4, first 2 shown]
	v_fmac_f32_e32 v37, v43, v9
	v_add_u32_e32 v9, 35, v4
	v_fma_f32 v32, v43, v6, v32
	v_fmac_f32_e32 v33, v43, v7
	v_fma_f32 v24, v43, v8, v24
	v_add_u32_e32 v6, 48, v4
	v_add_u32_e32 v7, 49, v4
	;; [unrolled: 1-line block ×4, first 2 shown]
	v_cvt_f32_i32_e32 v4, v4
	v_cvt_f32_i32_e32 v6, v6
	;; [unrolled: 1-line block ×3, first 2 shown]
	v_fma_f32 v5, v43, v5, v38
	v_fmac_f32_e32 v21, v43, v4
	v_mov_b32_e32 v4, 0xff7fffff
	v_cmp_gt_i32_e64 s[4:5], s29, v2
	v_cmp_gt_i32_e64 s[34:35], s29, v3
	v_fma_f32 v22, v43, v6, v22
	v_cndmask_b32_e64 v6, v4, v5, s[4:5]
	v_cndmask_b32_e64 v3, v4, v39, s[34:35]
	v_fmac_f32_e32 v23, v43, v7
	v_max3_f32 v3, v6, s44, v3
	v_or_b32_e32 v6, 2, v2
	v_or_b32_e32 v7, 3, v2
	v_cmp_gt_i32_e64 s[36:37], s29, v6
	v_cmp_gt_i32_e64 s[38:39], s29, v7
	v_cvt_f32_i32_e32 v9, v9
	v_cndmask_b32_e64 v6, v4, v30, s[36:37]
	v_cndmask_b32_e64 v7, v4, v31, s[38:39]
	v_max3_f32 v3, v3, v6, v7
	v_or_b32_e32 v6, 16, v2
	v_or_b32_e32 v7, 17, v2
	v_cmp_gt_i32_e64 s[24:25], s29, v6
	v_cmp_gt_i32_e64 s[26:27], s29, v7
	v_fmac_f32_e32 v25, v43, v9
	v_cndmask_b32_e64 v6, v4, v40, s[24:25]
	v_cndmask_b32_e64 v7, v4, v41, s[26:27]
	v_max3_f32 v3, v3, v6, v7
	v_or_b32_e32 v6, 18, v2
	v_or_b32_e32 v7, 19, v2
	v_cmp_gt_i32_e64 s[20:21], s29, v6
	v_cmp_gt_i32_e64 s[22:23], s29, v7
	v_cvt_f32_i32_e32 v8, v8
	v_cndmask_b32_e64 v6, v4, v36, s[20:21]
	v_cndmask_b32_e64 v7, v4, v37, s[22:23]
	v_max3_f32 v3, v3, v6, v7
	v_or_b32_e32 v6, 32, v2
	v_or_b32_e32 v7, 33, v2
	v_cmp_gt_i32_e64 s[16:17], s29, v6
	v_cmp_gt_i32_e64 s[18:19], s29, v7
	v_fma_f32 v20, v43, v8, v20
	v_cndmask_b32_e64 v6, v4, v32, s[16:17]
	v_cndmask_b32_e64 v7, v4, v33, s[18:19]
	v_max3_f32 v3, v3, v6, v7
	v_or_b32_e32 v6, 34, v2
	v_or_b32_e32 v7, 35, v2
	v_cmp_gt_i32_e64 s[12:13], s29, v6
	v_cmp_gt_i32_e64 s[14:15], s29, v7
	s_nop 0
	v_cndmask_b32_e64 v6, v4, v24, s[12:13]
	v_cndmask_b32_e64 v7, v4, v25, s[14:15]
	v_max3_f32 v3, v3, v6, v7
	v_or_b32_e32 v6, 48, v2
	v_or_b32_e32 v7, 49, v2
	v_cmp_gt_i32_e64 s[8:9], s29, v6
	v_cmp_gt_i32_e64 s[10:11], s29, v7
	s_nop 0
	v_cndmask_b32_e64 v6, v4, v22, s[8:9]
	v_cndmask_b32_e64 v7, v4, v23, s[10:11]
	v_max3_f32 v3, v3, v6, v7
	v_or_b32_e32 v6, 50, v2
	v_or_b32_e32 v2, 51, v2
	v_cmp_gt_i32_e32 vcc, s29, v6
	v_cmp_gt_i32_e64 s[6:7], s29, v2
	s_nop 0
	v_cndmask_b32_e32 v6, v4, v20, vcc
	v_cndmask_b32_e64 v2, v4, v21, s[6:7]
	v_max3_f32 v4, v3, v6, v2
	v_mbcnt_lo_u32_b32 v2, -1, 0
	v_mbcnt_hi_u32_b32 v6, -1, v2
	v_and_b32_e32 v2, 64, v6
	v_add_u32_e32 v7, 64, v2
	v_xor_b32_e32 v2, 32, v6
	v_cmp_lt_i32_e64 s[40:41], v2, v7
	s_nop 1
	v_cndmask_b32_e64 v2, v6, v2, s[40:41]
	v_lshlrev_b32_e32 v43, 2, v2
	ds_bpermute_b32 v8, v43, v4
	s_waitcnt vmcnt(2)
	v_mad_i64_i32 v[2:3], s[40:41], v14, s45, v[18:19]
	global_load_dwordx4 v[14:17], v[34:35], off
	global_load_dwordx4 v[10:13], v[2:3], off
	v_xor_b32_e32 v3, 16, v6
	v_cmp_lt_i32_e64 s[40:41], v3, v7
	s_waitcnt lgkmcnt(0)
	v_max_f32_e32 v2, v8, v8
	v_max_f32_e32 v2, v4, v2
	v_cndmask_b32_e64 v3, v6, v3, s[40:41]
	v_lshlrev_b32_e32 v46, 2, v3
	ds_bpermute_b32 v3, v46, v2
	s_waitcnt vmcnt(3)
	v_mad_i64_i32 v[34:35], s[40:41], v44, s45, v[18:19]
	s_waitcnt vmcnt(2)
	v_mad_i64_i32 v[18:19], s[40:41], v45, s45, v[18:19]
	s_waitcnt lgkmcnt(0)
	v_max_f32_e32 v3, v3, v3
	v_max_f32_e32 v38, v2, v3
	v_sub_f32_e32 v2, v5, v38
	v_mul_f32_e32 v2, 0x3fb8aa3b, v2
	v_exp_f32_e32 v44, v2
	v_sub_f32_e32 v2, v39, v38
	v_mul_f32_e32 v2, 0x3fb8aa3b, v2
	v_exp_f32_e32 v39, v2
	global_load_dwordx4 v[6:9], v[34:35], off
	global_load_dwordx4 v[2:5], v[18:19], off
	v_sub_f32_e32 v30, v30, v38
	v_mul_f32_e32 v30, 0x3fb8aa3b, v30
	v_sub_f32_e32 v31, v31, v38
	v_exp_f32_e32 v30, v30
	v_mul_f32_e32 v31, 0x3fb8aa3b, v31
	v_exp_f32_e32 v31, v31
	v_cndmask_b32_e64 v18, 0, v44, s[4:5]
	v_add_f32_e32 v34, 0, v18
	v_cndmask_b32_e64 v19, 0, v39, s[34:35]
	v_add_f32_e32 v35, v34, v19
	;; [unrolled: 2-line block ×3, first 2 shown]
	v_cndmask_b32_e64 v35, 0, v31, s[38:39]
	v_sub_f32_e32 v31, v40, v38
	v_mul_f32_e32 v31, 0x3fb8aa3b, v31
	v_sub_f32_e32 v39, v41, v38
	v_exp_f32_e32 v31, v31
	v_mul_f32_e32 v39, 0x3fb8aa3b, v39
	v_sub_f32_e32 v36, v36, v38
	v_exp_f32_e32 v39, v39
	v_mul_f32_e32 v36, 0x3fb8aa3b, v36
	v_sub_f32_e32 v37, v37, v38
	v_exp_f32_e32 v36, v36
	v_mul_f32_e32 v37, 0x3fb8aa3b, v37
	v_sub_f32_e32 v32, v32, v38
	v_exp_f32_e32 v37, v37
	v_mul_f32_e32 v32, 0x3fb8aa3b, v32
	v_sub_f32_e32 v33, v33, v38
	v_add_f32_e32 v40, v30, v35
	v_cndmask_b32_e64 v30, 0, v31, s[24:25]
	v_exp_f32_e32 v32, v32
	v_mul_f32_e32 v33, 0x3fb8aa3b, v33
	v_sub_f32_e32 v24, v24, v38
	v_add_f32_e32 v40, v40, v30
	v_cndmask_b32_e64 v31, 0, v39, s[26:27]
	v_exp_f32_e32 v33, v33
	;; [unrolled: 5-line block ×7, first 2 shown]
	v_mul_f32_e32 v21, 0x3fb8aa3b, v21
	v_add_f32_e32 v39, v39, v24
	v_cndmask_b32_e64 v25, 0, v25, s[14:15]
	v_exp_f32_e32 v21, v21
	v_add_f32_e32 v39, v39, v25
	v_cndmask_b32_e64 v22, 0, v22, s[8:9]
	v_add_f32_e32 v39, v39, v22
	v_cndmask_b32_e64 v23, 0, v23, s[10:11]
	v_add_f32_e32 v39, v39, v23
	v_cndmask_b32_e32 v20, 0, v20, vcc
	v_add_f32_e32 v39, v39, v20
	v_cndmask_b32_e64 v21, 0, v21, s[6:7]
	v_add_f32_e32 v39, v39, v21
	ds_bpermute_b32 v40, v43, v39
	s_load_dword s7, s[0:1], 0x98
	v_cmp_gt_u32_e32 vcc, 16, v27
	s_waitcnt lgkmcnt(0)
	s_barrier
	v_add_f32_e32 v40, v39, v40
	ds_bpermute_b32 v41, v46, v40
	v_lshlrev_b32_e32 v39, 2, v28
	s_waitcnt lgkmcnt(0)
	s_and_saveexec_b64 s[4:5], vcc
	s_cbranch_execz .LBB1133_15
; %bb.14:
	v_add_f32_e32 v27, v40, v41
	v_lshl_or_b32 v40, v29, 6, v39
	ds_write2st64_b32 v40, v38, v27 offset1:1
.LBB1133_15:
	s_or_b64 exec, exec, s[4:5]
	s_load_dword s6, s[0:1], 0x94
	s_waitcnt lgkmcnt(0)
	s_barrier
	ds_read2_b32 v[40:41], v39 offset1:16
	ds_read2_b32 v[44:45], v39 offset0:32 offset1:48
	ds_read2_b32 v[46:47], v39 offset0:64 offset1:80
	s_movk_i32 s8, 0x7fff
	s_mul_i32 s7, s7, 6
	s_waitcnt lgkmcnt(2)
	v_max3_f32 v27, v40, s44, v41
	s_waitcnt lgkmcnt(1)
	v_max3_f32 v27, v27, v44, v45
	v_sub_f32_e32 v38, v40, v27
	v_mul_f32_e32 v38, 0x3fb8aa3b, v38
	v_exp_f32_e32 v43, v38
	v_sub_f32_e32 v38, v41, v27
	v_mul_f32_e32 v38, 0x3fb8aa3b, v38
	v_exp_f32_e32 v48, v38
	;; [unrolled: 3-line block ×3, first 2 shown]
	ds_read2_b32 v[40:41], v39 offset0:96 offset1:112
	v_sub_f32_e32 v38, v45, v27
	v_mul_f32_e32 v38, 0x3fb8aa3b, v38
	v_exp_f32_e32 v39, v38
	s_waitcnt lgkmcnt(1)
	v_fma_f32 v38, v43, v46, 0
	v_fmac_f32_e32 v38, v48, v47
	s_waitcnt lgkmcnt(0)
	v_fmac_f32_e32 v38, v44, v40
	v_fmac_f32_e32 v38, v39, v41
	v_add_f32_e32 v40, 0x358637bd, v38
	v_div_scale_f32 v41, s[4:5], v40, v40, 1.0
	v_rcp_f32_e32 v45, v41
	s_barrier
	v_fma_f32 v46, -v41, v45, 1.0
	v_fmac_f32_e32 v45, v46, v45
	v_div_scale_f32 v46, vcc, 1.0, v40, 1.0
	v_mul_f32_e32 v47, v46, v45
	v_fma_f32 v49, -v41, v47, v46
	v_fmac_f32_e32 v47, v49, v45
	v_fma_f32 v41, -v41, v47, v46
	v_div_fmas_f32 v41, v41, v45, v47
	v_cmp_eq_u32_e32 vcc, 1, v29
	v_div_fixup_f32 v40, v41, v40, 1.0
	s_nop 0
	v_cndmask_b32_e32 v41, v43, v48, vcc
	v_cmp_eq_u32_e32 vcc, 2, v29
	s_nop 1
	v_cndmask_b32_e32 v41, v41, v44, vcc
	v_cmp_eq_u32_e32 vcc, 3, v29
	v_lshlrev_b32_e32 v29, 11, v29
	s_nop 0
	v_cndmask_b32_e32 v39, v41, v39, vcc
	v_mul_f32_e32 v40, v39, v40
	v_pk_mul_f32 v[18:19], v[40:41], v[18:19] op_sel_hi:[0,1]
	v_pk_mul_f32 v[34:35], v[40:41], v[34:35] op_sel_hi:[0,1]
	v_bfe_u32 v39, v19, 16, 1
	v_bfe_u32 v41, v18, 16, 1
	v_add3_u32 v18, v18, v41, s8
	v_add3_u32 v19, v19, v39, s8
	v_perm_b32 v44, v19, v18, s33
	v_bfe_u32 v18, v35, 16, 1
	v_bfe_u32 v19, v34, 16, 1
	v_add3_u32 v19, v34, v19, s8
	v_add3_u32 v18, v35, v18, s8
	v_perm_b32 v45, v18, v19, s33
	v_lshlrev_b32_e32 v18, 3, v42
	v_lshlrev_b32_e32 v19, 5, v28
	v_pk_mul_f32 v[30:31], v[40:41], v[30:31] op_sel_hi:[0,1]
	v_or3_b32 v18, v29, v19, v18
	v_pk_mul_f32 v[34:35], v[40:41], v[36:37] op_sel_hi:[0,1]
	v_bfe_u32 v29, v31, 16, 1
	v_bfe_u32 v36, v30, 16, 1
	v_add3_u32 v30, v30, v36, s8
	v_add3_u32 v29, v31, v29, s8
	v_perm_b32 v30, v29, v30, s33
	v_bfe_u32 v29, v35, 16, 1
	v_bfe_u32 v31, v34, 16, 1
	v_add3_u32 v31, v34, v31, s8
	v_add3_u32 v29, v35, v29, s8
	v_perm_b32 v31, v29, v31, s33
	ds_write2st64_b64 v18, v[44:45], v[30:31] offset1:1
	v_pk_mul_f32 v[30:31], v[40:41], v[32:33] op_sel_hi:[0,1]
	v_bfe_u32 v29, v31, 16, 1
	v_bfe_u32 v32, v30, 16, 1
	v_pk_mul_f32 v[24:25], v[40:41], v[24:25] op_sel_hi:[0,1]
	v_add3_u32 v30, v30, v32, s8
	v_add3_u32 v29, v31, v29, s8
	v_perm_b32 v30, v29, v30, s33
	v_bfe_u32 v29, v25, 16, 1
	v_bfe_u32 v31, v24, 16, 1
	v_add3_u32 v24, v24, v31, s8
	v_add3_u32 v25, v25, v29, s8
	v_pk_mul_f32 v[22:23], v[40:41], v[22:23] op_sel_hi:[0,1]
	v_perm_b32 v31, v25, v24, s33
	v_bfe_u32 v24, v23, 16, 1
	v_bfe_u32 v25, v22, 16, 1
	v_pk_mul_f32 v[20:21], v[40:41], v[20:21] op_sel_hi:[0,1]
	v_add3_u32 v22, v22, v25, s8
	v_add3_u32 v23, v23, v24, s8
	v_perm_b32 v22, v23, v22, s33
	v_bfe_u32 v23, v21, 16, 1
	v_bfe_u32 v24, v20, 16, 1
	v_add3_u32 v20, v20, v24, s8
	v_add3_u32 v21, v21, v23, s8
	v_perm_b32 v23, v21, v20, s33
	v_cmp_gt_u32_e32 vcc, 6, v0
	ds_write2st64_b64 v18, v[30:31], v[22:23] offset0:2 offset1:3
	s_and_saveexec_b64 s[4:5], vcc
	s_cbranch_execz .LBB1133_17
; %bb.16:
	s_mov_b32 s49, 0
	v_mov_b32_e32 v29, 0
	v_lshl_add_u64 v[20:21], s[48:49], 0, v[28:29]
	v_mov_b32_e32 v22, s7
	v_mad_u64_u32 v[20:21], s[10:11], s2, v22, v[20:21]
	s_mul_i32 s3, s3, s7
	v_mov_b32_e32 v28, s28
	s_load_dwordx4 s[12:15], s[0:1], 0x58
	v_add_u32_e32 v23, s3, v21
	v_mad_u64_u32 v[20:21], s[10:11], v20, s6, v[28:29]
	v_mov_b32_e32 v22, v21
	v_mad_u64_u32 v[22:23], s[10:11], v23, s6, v[22:23]
	v_mov_b32_e32 v21, v22
	v_lshlrev_b64 v[20:21], 2, v[20:21]
	s_waitcnt lgkmcnt(0)
	v_lshl_add_u64 v[22:23], s[14:15], 0, v[20:21]
	v_lshl_add_u64 v[20:21], s[12:13], 0, v[20:21]
	global_store_dword v[22:23], v27, off
	global_store_dword v[20:21], v38, off
.LBB1133_17:
	s_or_b64 exec, exec, s[4:5]
	s_waitcnt vmcnt(3)
	v_cvt_pk_f32_fp8_e32 v[20:21], v14
	v_cvt_pk_f32_fp8_sdwa v[22:23], v14 src0_sel:WORD_1
	s_mov_b32 s4, 0x7060302
	v_lshl_or_b32 v14, v42, 9, v19
	s_waitcnt lgkmcnt(0)
	s_barrier
	v_perm_b32 v24, v21, v20, s4
	v_perm_b32 v25, v23, v22, s4
	v_cvt_pk_f32_fp8_e32 v[28:29], v15
	ds_read_b128 v[20:23], v14
	v_cvt_pk_f32_fp8_sdwa v[36:37], v15 src0_sel:WORD_1
	s_load_dword s10, s[42:43], 0x0
	v_perm_b32 v38, v29, v28, s4
	ds_read_b128 v[28:31], v14 offset:16
	v_perm_b32 v39, v37, v36, s4
	s_waitcnt lgkmcnt(0)
	v_mfma_f32_16x16x16_bf16 v[32:35], v[24:25], v[20:21], 0
	v_cvt_pk_f32_fp8_e32 v[24:25], v16
	v_cvt_pk_f32_fp8_sdwa v[36:37], v16 src0_sel:WORD_1
	v_cmp_gt_u32_e32 vcc, 64, v0
	v_mfma_f32_16x16x16_bf16 v[20:23], v[38:39], v[22:23], v[32:35]
	v_perm_b32 v24, v25, v24, s4
	v_perm_b32 v25, v37, v36, s4
	s_mov_b32 s3, 0
	v_cvt_pk_f32_fp8_e32 v[32:33], v17
	v_cvt_pk_f32_fp8_sdwa v[16:17], v17 src0_sel:WORD_1
	s_waitcnt vmcnt(2)
	v_cvt_pk_f32_fp8_sdwa v[34:35], v10 src0_sel:WORD_1
	v_mfma_f32_16x16x16_bf16 v[20:23], v[24:25], v[28:29], v[20:23]
	v_perm_b32 v36, v33, v32, s4
	v_cvt_pk_f32_fp8_e32 v[32:33], v10
	v_perm_b32 v37, v17, v16, s4
	v_perm_b32 v17, v35, v34, s4
	v_cvt_pk_f32_fp8_e32 v[24:25], v11
	v_perm_b32 v16, v33, v32, s4
	ds_read_b128 v[32:35], v14 offset:2048
	v_cvt_pk_f32_fp8_sdwa v[10:11], v11 src0_sel:WORD_1
	v_mfma_f32_16x16x16_bf16 v[20:23], v[36:37], v[30:31], v[20:23]
	ds_read_b128 v[28:31], v14 offset:2064
	v_perm_b32 v24, v25, v24, s4
	v_perm_b32 v25, v11, v10, s4
	s_waitcnt lgkmcnt(1)
	v_mfma_f32_16x16x16_bf16 v[20:23], v[16:17], v[32:33], v[20:23]
	v_cvt_pk_f32_fp8_e32 v[10:11], v12
	v_cvt_pk_f32_fp8_sdwa v[16:17], v12 src0_sel:WORD_1
	s_waitcnt vmcnt(1)
	v_cvt_pk_f32_fp8_sdwa v[32:33], v6 src0_sel:WORD_1
	v_mfma_f32_16x16x16_bf16 v[20:23], v[24:25], v[34:35], v[20:23]
	v_cvt_pk_f32_fp8_e32 v[24:25], v13
	v_perm_b32 v10, v11, v10, s4
	v_perm_b32 v11, v17, v16, s4
	v_cvt_pk_f32_fp8_sdwa v[12:13], v13 src0_sel:WORD_1
	v_perm_b32 v16, v25, v24, s4
	v_cvt_pk_f32_fp8_e32 v[24:25], v6
	v_mov_b32_e32 v27, 0
	v_perm_b32 v17, v13, v12, s4
	s_waitcnt lgkmcnt(0)
	v_mfma_f32_16x16x16_bf16 v[10:13], v[10:11], v[28:29], v[20:23]
	v_perm_b32 v24, v25, v24, s4
	v_perm_b32 v25, v33, v32, s4
	v_cvt_pk_f32_fp8_e32 v[28:29], v7
	ds_read_b128 v[20:23], v14 offset:4096
	v_cvt_pk_f32_fp8_sdwa v[6:7], v7 src0_sel:WORD_1
	v_mfma_f32_16x16x16_bf16 v[10:13], v[16:17], v[30:31], v[10:13]
	v_perm_b32 v16, v29, v28, s4
	ds_read_b128 v[28:31], v14 offset:4112
	v_perm_b32 v17, v7, v6, s4
	s_waitcnt lgkmcnt(1)
	v_mfma_f32_16x16x16_bf16 v[10:13], v[24:25], v[20:21], v[10:13]
	v_cvt_pk_f32_fp8_e32 v[6:7], v8
	v_cvt_pk_f32_fp8_sdwa v[20:21], v8 src0_sel:WORD_1
	v_perm_b32 v6, v7, v6, s4
	v_mfma_f32_16x16x16_bf16 v[10:13], v[16:17], v[22:23], v[10:13]
	v_cvt_pk_f32_fp8_e32 v[16:17], v9
	v_perm_b32 v7, v21, v20, s4
	v_cvt_pk_f32_fp8_sdwa v[8:9], v9 src0_sel:WORD_1
	s_waitcnt vmcnt(0)
	v_cvt_pk_f32_fp8_e32 v[20:21], v2
	v_perm_b32 v16, v17, v16, s4
	v_cvt_pk_f32_fp8_sdwa v[22:23], v2 src0_sel:WORD_1
	v_perm_b32 v17, v9, v8, s4
	s_waitcnt lgkmcnt(0)
	v_mfma_f32_16x16x16_bf16 v[6:9], v[6:7], v[28:29], v[10:13]
	v_perm_b32 v20, v21, v20, s4
	v_perm_b32 v21, v23, v22, s4
	v_cvt_pk_f32_fp8_e32 v[22:23], v3
	ds_read_b128 v[10:13], v14 offset:6144
	v_cvt_pk_f32_fp8_sdwa v[2:3], v3 src0_sel:WORD_1
	v_mfma_f32_16x16x16_bf16 v[6:9], v[16:17], v[30:31], v[6:9]
	v_perm_b32 v22, v23, v22, s4
	ds_read_b128 v[14:17], v14 offset:6160
	v_perm_b32 v23, v3, v2, s4
	s_waitcnt lgkmcnt(1)
	v_mfma_f32_16x16x16_bf16 v[6:9], v[20:21], v[10:11], v[6:9]
	v_cvt_pk_f32_fp8_e32 v[2:3], v4
	v_cvt_pk_f32_fp8_sdwa v[10:11], v4 src0_sel:WORD_1
	s_waitcnt lgkmcnt(0)
	v_mfma_f32_16x16x16_bf16 v[6:9], v[22:23], v[12:13], v[6:9]
	v_perm_b32 v2, v3, v2, s4
	v_perm_b32 v3, v11, v10, s4
	v_cvt_pk_f32_fp8_e32 v[10:11], v5
	v_cvt_pk_f32_fp8_sdwa v[4:5], v5 src0_sel:WORD_1
	s_barrier
	v_perm_b32 v10, v11, v10, s4
	v_perm_b32 v11, v5, v4, s4
	v_mfma_f32_16x16x16_bf16 v[2:5], v[2:3], v[14:15], v[6:9]
	s_nop 0
	v_mfma_f32_16x16x16_bf16 v[2:5], v[10:11], v[16:17], v[2:5]
	s_nop 6
	v_pk_mul_f32 v[2:3], v[2:3], s[10:11] op_sel_hi:[1,0]
	v_pk_mul_f32 v[4:5], v[4:5], s[10:11] op_sel_hi:[1,0]
	v_bfe_u32 v6, v3, 16, 1
	v_bfe_u32 v7, v2, 16, 1
	v_add3_u32 v2, v2, v7, s8
	v_add3_u32 v3, v3, v6, s8
	v_perm_b32 v2, v3, v2, s4
	v_bfe_u32 v3, v5, 16, 1
	v_bfe_u32 v6, v4, 16, 1
	v_add3_u32 v4, v4, v6, s8
	v_add3_u32 v3, v5, v3, s8
	v_perm_b32 v3, v3, v4, s4
	s_and_b64 s[4:5], vcc, s[30:31]
	ds_write_b64 v18, v[2:3]
	s_waitcnt lgkmcnt(0)
	s_barrier
	s_and_saveexec_b64 s[8:9], s[4:5]
	s_cbranch_execz .LBB1133_20
; %bb.18:
	s_load_dwordx2 s[4:5], s[0:1], 0x68
	s_lshl_b32 s0, s6, 6
	s_mul_i32 s1, s7, s2
	s_mul_hi_u32 s7, s1, s0
	s_mul_i32 s6, s1, s0
	v_lshlrev_b32_e32 v0, 10, v0
	s_lshl_b64 s[6:7], s[6:7], 1
	v_and_b32_e32 v0, 0x1800, v0
	v_lshlrev_b32_e32 v3, 5, v42
	v_and_b32_e32 v1, 16, v1
	s_waitcnt lgkmcnt(0)
	s_add_u32 s1, s4, s6
	v_or3_b32 v3, v0, v3, v1
	s_addc_u32 s4, s5, s7
	s_lshl_b32 s2, s28, 6
	s_lshl_b64 s[2:3], s[2:3], 1
	ds_read_b128 v[4:7], v3
	s_add_u32 s2, s1, s2
	s_addc_u32 s3, s4, s3
	v_add_u32_e32 v8, s48, v42
	v_or_b32_e32 v2, 4, v42
	v_lshl_add_u64 v[0:1], s[2:3], 0, v[26:27]
	v_mad_u64_u32 v[8:9], s[2:3], v8, s0, 0
	v_lshl_add_u64 v[8:9], v[8:9], 1, v[0:1]
	v_cmp_gt_u32_e32 vcc, 6, v2
	s_waitcnt lgkmcnt(0)
	global_store_dwordx4 v[8:9], v[4:7], off
	s_and_b64 exec, exec, vcc
	s_cbranch_execz .LBB1133_20
; %bb.19:
	ds_read_b128 v[4:7], v3 offset:128
	v_add_u32_e32 v2, s48, v2
	v_mad_u64_u32 v[2:3], s[0:1], v2, s0, 0
	v_lshl_add_u64 v[0:1], v[2:3], 1, v[0:1]
	s_waitcnt lgkmcnt(0)
	global_store_dwordx4 v[0:1], v[4:7], off
.LBB1133_20:
	s_endpgm
	.section	.rodata,"a",@progbits
	.p2align	6, 0x0
	.amdhsa_kernel _Z39paged_attention_ll4mi_QKV_mfma16_kernelI14__hip_bfloat16hLN4vllm18Fp8KVCacheDataTypeE1ES0_Li16ELi64ELi256ELb1ELi6EEvPKT_PKT0_S8_ifPKiSA_SA_iPKfiiiPfSD_PS3_PT2_iSC_SC_
		.amdhsa_group_segment_fixed_size 8192
		.amdhsa_private_segment_fixed_size 0
		.amdhsa_kernarg_size 400
		.amdhsa_user_sgpr_count 2
		.amdhsa_user_sgpr_dispatch_ptr 0
		.amdhsa_user_sgpr_queue_ptr 0
		.amdhsa_user_sgpr_kernarg_segment_ptr 1
		.amdhsa_user_sgpr_dispatch_id 0
		.amdhsa_user_sgpr_kernarg_preload_length 0
		.amdhsa_user_sgpr_kernarg_preload_offset 0
		.amdhsa_user_sgpr_private_segment_size 0
		.amdhsa_uses_dynamic_stack 0
		.amdhsa_enable_private_segment 0
		.amdhsa_system_sgpr_workgroup_id_x 1
		.amdhsa_system_sgpr_workgroup_id_y 1
		.amdhsa_system_sgpr_workgroup_id_z 1
		.amdhsa_system_sgpr_workgroup_info 0
		.amdhsa_system_vgpr_workitem_id 0
		.amdhsa_next_free_vgpr 67
		.amdhsa_next_free_sgpr 50
		.amdhsa_accum_offset 68
		.amdhsa_reserve_vcc 1
		.amdhsa_float_round_mode_32 0
		.amdhsa_float_round_mode_16_64 0
		.amdhsa_float_denorm_mode_32 3
		.amdhsa_float_denorm_mode_16_64 3
		.amdhsa_dx10_clamp 1
		.amdhsa_ieee_mode 1
		.amdhsa_fp16_overflow 0
		.amdhsa_tg_split 0
		.amdhsa_exception_fp_ieee_invalid_op 0
		.amdhsa_exception_fp_denorm_src 0
		.amdhsa_exception_fp_ieee_div_zero 0
		.amdhsa_exception_fp_ieee_overflow 0
		.amdhsa_exception_fp_ieee_underflow 0
		.amdhsa_exception_fp_ieee_inexact 0
		.amdhsa_exception_int_div_zero 0
	.end_amdhsa_kernel
	.section	.text._Z39paged_attention_ll4mi_QKV_mfma16_kernelI14__hip_bfloat16hLN4vllm18Fp8KVCacheDataTypeE1ES0_Li16ELi64ELi256ELb1ELi6EEvPKT_PKT0_S8_ifPKiSA_SA_iPKfiiiPfSD_PS3_PT2_iSC_SC_,"axG",@progbits,_Z39paged_attention_ll4mi_QKV_mfma16_kernelI14__hip_bfloat16hLN4vllm18Fp8KVCacheDataTypeE1ES0_Li16ELi64ELi256ELb1ELi6EEvPKT_PKT0_S8_ifPKiSA_SA_iPKfiiiPfSD_PS3_PT2_iSC_SC_,comdat
.Lfunc_end1133:
	.size	_Z39paged_attention_ll4mi_QKV_mfma16_kernelI14__hip_bfloat16hLN4vllm18Fp8KVCacheDataTypeE1ES0_Li16ELi64ELi256ELb1ELi6EEvPKT_PKT0_S8_ifPKiSA_SA_iPKfiiiPfSD_PS3_PT2_iSC_SC_, .Lfunc_end1133-_Z39paged_attention_ll4mi_QKV_mfma16_kernelI14__hip_bfloat16hLN4vllm18Fp8KVCacheDataTypeE1ES0_Li16ELi64ELi256ELb1ELi6EEvPKT_PKT0_S8_ifPKiSA_SA_iPKfiiiPfSD_PS3_PT2_iSC_SC_
                                        ; -- End function
	.section	.AMDGPU.csdata,"",@progbits
; Kernel info:
; codeLenInByte = 5112
; NumSgprs: 56
; NumVgprs: 67
; NumAgprs: 0
; TotalNumVgprs: 67
; ScratchSize: 0
; MemoryBound: 0
; FloatMode: 240
; IeeeMode: 1
; LDSByteSize: 8192 bytes/workgroup (compile time only)
; SGPRBlocks: 6
; VGPRBlocks: 8
; NumSGPRsForWavesPerEU: 56
; NumVGPRsForWavesPerEU: 67
; AccumOffset: 68
; Occupancy: 7
; WaveLimiterHint : 1
; COMPUTE_PGM_RSRC2:SCRATCH_EN: 0
; COMPUTE_PGM_RSRC2:USER_SGPR: 2
; COMPUTE_PGM_RSRC2:TRAP_HANDLER: 0
; COMPUTE_PGM_RSRC2:TGID_X_EN: 1
; COMPUTE_PGM_RSRC2:TGID_Y_EN: 1
; COMPUTE_PGM_RSRC2:TGID_Z_EN: 1
; COMPUTE_PGM_RSRC2:TIDIG_COMP_CNT: 0
; COMPUTE_PGM_RSRC3_GFX90A:ACCUM_OFFSET: 16
; COMPUTE_PGM_RSRC3_GFX90A:TG_SPLIT: 0
	.section	.text._Z39paged_attention_ll4mi_QKV_mfma16_kernelI14__hip_bfloat16hLN4vllm18Fp8KVCacheDataTypeE1ES0_Li16ELi64ELi256ELb1ELi7EEvPKT_PKT0_S8_ifPKiSA_SA_iPKfiiiPfSD_PS3_PT2_iSC_SC_,"axG",@progbits,_Z39paged_attention_ll4mi_QKV_mfma16_kernelI14__hip_bfloat16hLN4vllm18Fp8KVCacheDataTypeE1ES0_Li16ELi64ELi256ELb1ELi7EEvPKT_PKT0_S8_ifPKiSA_SA_iPKfiiiPfSD_PS3_PT2_iSC_SC_,comdat
	.protected	_Z39paged_attention_ll4mi_QKV_mfma16_kernelI14__hip_bfloat16hLN4vllm18Fp8KVCacheDataTypeE1ES0_Li16ELi64ELi256ELb1ELi7EEvPKT_PKT0_S8_ifPKiSA_SA_iPKfiiiPfSD_PS3_PT2_iSC_SC_ ; -- Begin function _Z39paged_attention_ll4mi_QKV_mfma16_kernelI14__hip_bfloat16hLN4vllm18Fp8KVCacheDataTypeE1ES0_Li16ELi64ELi256ELb1ELi7EEvPKT_PKT0_S8_ifPKiSA_SA_iPKfiiiPfSD_PS3_PT2_iSC_SC_
	.globl	_Z39paged_attention_ll4mi_QKV_mfma16_kernelI14__hip_bfloat16hLN4vllm18Fp8KVCacheDataTypeE1ES0_Li16ELi64ELi256ELb1ELi7EEvPKT_PKT0_S8_ifPKiSA_SA_iPKfiiiPfSD_PS3_PT2_iSC_SC_
	.p2align	8
	.type	_Z39paged_attention_ll4mi_QKV_mfma16_kernelI14__hip_bfloat16hLN4vllm18Fp8KVCacheDataTypeE1ES0_Li16ELi64ELi256ELb1ELi7EEvPKT_PKT0_S8_ifPKiSA_SA_iPKfiiiPfSD_PS3_PT2_iSC_SC_,@function
_Z39paged_attention_ll4mi_QKV_mfma16_kernelI14__hip_bfloat16hLN4vllm18Fp8KVCacheDataTypeE1ES0_Li16ELi64ELi256ELb1ELi7EEvPKT_PKT0_S8_ifPKiSA_SA_iPKfiiiPfSD_PS3_PT2_iSC_SC_: ; @_Z39paged_attention_ll4mi_QKV_mfma16_kernelI14__hip_bfloat16hLN4vllm18Fp8KVCacheDataTypeE1ES0_Li16ELi64ELi256ELb1ELi7EEvPKT_PKT0_S8_ifPKiSA_SA_iPKfiiiPfSD_PS3_PT2_iSC_SC_
; %bb.0:
	s_load_dwordx2 s[6:7], s[0:1], 0x30
	s_mov_b32 s28, s3
	s_mov_b64 s[8:9], 0
	s_waitcnt lgkmcnt(0)
	s_cmp_lg_u64 s[6:7], 0
	s_cselect_b64 s[10:11], -1, 0
	s_and_b64 vcc, exec, s[10:11]
	s_cbranch_vccz .LBB1134_7
; %bb.1:
	s_add_i32 s12, s2, 1
	s_mov_b32 s13, 0
	s_lshl_b64 s[14:15], s[12:13], 2
	s_add_u32 s14, s6, s14
	s_mov_b32 s3, s13
	s_addc_u32 s15, s7, s15
	s_lshl_b64 s[12:13], s[2:3], 2
	s_add_u32 s12, s6, s12
	s_addc_u32 s13, s7, s13
	s_load_dword s5, s[14:15], 0x0
	s_load_dword s16, s[12:13], 0x0
	s_waitcnt lgkmcnt(0)
	s_sub_i32 s5, s5, s16
	s_cmp_eq_u32 s5, 1
	s_cselect_b64 s[12:13], -1, 0
	s_andn2_b64 vcc, exec, s[8:9]
	s_cbranch_vccnz .LBB1134_3
.LBB1134_2:
	s_mov_b32 s3, 0
	s_mov_b64 s[12:13], -1
.LBB1134_3:
	s_andn2_b64 vcc, exec, s[12:13]
	s_cbranch_vccnz .LBB1134_20
; %bb.4:
	s_load_dwordx2 s[8:9], s[0:1], 0x28
	s_lshl_b64 s[12:13], s[2:3], 2
	s_waitcnt lgkmcnt(0)
	s_add_u32 s8, s8, s12
	s_addc_u32 s9, s9, s13
	s_load_dword s29, s[8:9], 0x0
	s_lshl_b32 s16, s28, 8
	s_waitcnt lgkmcnt(0)
	s_cmp_ge_i32 s16, s29
	s_cbranch_scc1 .LBB1134_20
; %bb.5:
	s_load_dwordx2 s[8:9], s[0:1], 0x20
	s_load_dword s5, s[0:1], 0x38
	s_add_i32 s14, s29, 15
	s_ashr_i32 s15, s14, 31
	v_and_b32_e32 v1, 0xcf, v0
	s_lshr_b32 s15, s15, 28
	v_add_u32_e32 v1, s16, v1
	s_add_i32 s14, s14, s15
	v_ashrrev_i32_e32 v2, 31, v1
	s_ashr_i32 s17, s14, 4
	v_lshrrev_b32_e32 v4, 28, v2
	s_add_i32 s17, s17, -1
	s_waitcnt lgkmcnt(0)
	s_mul_i32 s14, s2, s5
	s_mov_b32 s15, 0
	v_add_u32_e32 v2, v1, v4
	s_lshl_b64 s[14:15], s[14:15], 2
	v_ashrrev_i32_e32 v2, 4, v2
	v_mov_b32_e32 v5, s17
	v_cmp_gt_i32_e32 vcc, s29, v1
	s_add_u32 s8, s8, s14
	s_addc_u32 s9, s9, s15
	v_cndmask_b32_e32 v2, v5, v2, vcc
	v_ashrrev_i32_e32 v3, 31, v2
	v_lshl_add_u64 v[6:7], v[2:3], 2, s[8:9]
	v_or_b32_e32 v2, 16, v1
	v_add_u32_e32 v3, v2, v4
	v_ashrrev_i32_e32 v3, 4, v3
	v_cmp_gt_i32_e32 vcc, s29, v2
	s_load_dwordx2 s[14:15], s[0:1], 0x8
	s_nop 0
	v_cndmask_b32_e32 v2, v5, v3, vcc
	v_ashrrev_i32_e32 v3, 31, v2
	v_lshl_add_u64 v[8:9], v[2:3], 2, s[8:9]
	v_or_b32_e32 v2, 32, v1
	v_add_u32_e32 v3, v2, v4
	v_ashrrev_i32_e32 v3, 4, v3
	v_cmp_gt_i32_e32 vcc, s29, v2
	v_or_b32_e32 v1, 48, v1
	s_nop 0
	v_cndmask_b32_e32 v2, v5, v3, vcc
	v_ashrrev_i32_e32 v3, 31, v2
	v_lshl_add_u64 v[10:11], v[2:3], 2, s[8:9]
	v_add_u32_e32 v2, v1, v4
	v_ashrrev_i32_e32 v2, 4, v2
	v_cmp_gt_i32_e32 vcc, s29, v1
	s_nop 1
	v_cndmask_b32_e32 v2, v5, v2, vcc
	v_ashrrev_i32_e32 v3, 31, v2
	v_lshl_add_u64 v[12:13], v[2:3], 2, s[8:9]
	global_load_dword v5, v[6:7], off
	global_load_dword v4, v[8:9], off
	;; [unrolled: 1-line block ×4, first 2 shown]
	s_andn2_b64 vcc, exec, s[10:11]
	s_cbranch_vccnz .LBB1134_8
; %bb.6:
	s_add_u32 s6, s6, s12
	s_addc_u32 s7, s7, s13
	s_load_dword s5, s[6:7], 0x0
	s_branch .LBB1134_9
.LBB1134_7:
	s_mov_b64 s[12:13], 0
	s_branch .LBB1134_2
.LBB1134_8:
	s_mov_b32 s5, s2
.LBB1134_9:
	s_load_dwordx2 s[6:7], s[0:1], 0x10
	s_load_dwordx4 s[44:47], s[0:1], 0x48
	v_lshrrev_b32_e32 v29, 6, v0
	v_bfe_u32 v42, v0, 4, 2
	v_lshl_or_b32 v6, v29, 2, v42
	v_and_b32_e32 v28, 15, v0
	v_lshlrev_b32_e32 v1, 3, v28
	v_cmp_gt_u32_e32 vcc, 7, v6
	v_cmp_gt_u32_e64 s[30:31], 8, v28
	s_mul_i32 s48, s4, 7
	s_and_b64 s[12:13], s[30:31], vcc
	v_lshlrev_b32_e32 v26, 1, v1
	v_lshlrev_b32_e32 v1, 4, v0
	s_and_saveexec_b64 s[10:11], s[12:13]
	s_cbranch_execz .LBB1134_11
; %bb.10:
	s_load_dwordx2 s[12:13], s[0:1], 0x0
	s_waitcnt lgkmcnt(0)
	s_ashr_i32 s18, s44, 31
	s_mul_hi_u32 s19, s5, s44
	s_mul_i32 s18, s5, s18
	s_add_i32 s19, s19, s18
	s_mul_i32 s18, s5, s44
	s_lshl_b64 s[18:19], s[18:19], 1
	s_add_u32 s12, s12, s18
	v_add_lshl_u32 v8, v6, s48, 6
	s_addc_u32 s13, s13, s19
	v_ashrrev_i32_e32 v9, 31, v8
	v_lshl_add_u64 v[8:9], v[8:9], 1, s[12:13]
	v_mov_b32_e32 v27, 0
	v_lshl_add_u64 v[8:9], v[8:9], 0, v[26:27]
	global_load_dwordx4 v[8:11], v[8:9], off
	v_lshlrev_b32_e32 v12, 8, v28
	v_lshlrev_b32_e32 v6, 5, v6
	v_and_b32_e32 v7, 16, v1
	v_and_b32_e32 v12, 0xe00, v12
	v_or3_b32 v6, v12, v6, v7
	s_waitcnt vmcnt(0)
	ds_write_b128 v6, v[8:11]
.LBB1134_11:
	s_or_b64 exec, exec, s[10:11]
	s_waitcnt lgkmcnt(0)
	s_mul_i32 s10, s4, s46
	s_add_u32 s4, s14, s10
	s_addc_u32 s5, s15, 0
	v_and_b32_e32 v32, 48, v0
	v_and_b32_e32 v30, 0xf0, v1
	v_mov_b32_e32 v31, 0
	v_lshl_add_u64 v[6:7], s[4:5], 0, v[30:31]
	v_lshlrev_b32_e32 v30, 4, v32
	v_lshl_add_u64 v[6:7], v[6:7], 0, v[30:31]
	s_waitcnt vmcnt(3)
	v_mad_i64_i32 v[8:9], s[4:5], v5, s45, v[6:7]
	s_waitcnt vmcnt(2)
	v_mad_i64_i32 v[4:5], s[4:5], v4, s45, v[6:7]
	s_barrier
	global_load_dwordx4 v[22:25], v[8:9], off
	global_load_dwordx4 v[18:21], v[4:5], off
	s_waitcnt vmcnt(3)
	v_mad_i64_i32 v[4:5], s[4:5], v3, s45, v[6:7]
	s_waitcnt vmcnt(2)
	v_mad_i64_i32 v[2:3], s[4:5], v2, s45, v[6:7]
	global_load_dwordx4 v[14:17], v[4:5], off
	global_load_dwordx4 v[6:9], v[2:3], off
	v_mul_lo_u16_e32 v2, 37, v28
	v_mov_b32_e32 v3, 7
	v_mul_lo_u16_sdwa v2, v2, v3 dst_sel:DWORD dst_unused:UNUSED_PAD src0_sel:BYTE_1 src1_sel:DWORD
	v_sub_u16_e32 v2, v28, v2
	v_mov_b32_e32 v3, 5
	v_lshlrev_b32_sdwa v2, v3, v2 dst_sel:DWORD dst_unused:UNUSED_PAD src0_sel:DWORD src1_sel:BYTE_0
	v_lshl_add_u32 v2, v42, 9, v2
	ds_read_b128 v[10:13], v2
	ds_read_b128 v[2:5], v2 offset:16
	v_and_b32_e32 v27, 63, v0
	v_cmp_gt_u32_e32 vcc, 7, v28
	v_mov_b32_e32 v43, 0
	s_and_saveexec_b64 s[4:5], vcc
	s_cbranch_execz .LBB1134_13
; %bb.12:
	s_load_dwordx2 s[12:13], s[0:1], 0x40
	v_add_u32_e32 v34, s48, v28
	v_ashrrev_i32_e32 v35, 31, v34
	s_waitcnt lgkmcnt(0)
	v_lshl_add_u64 v[34:35], v[34:35], 2, s[12:13]
	global_load_dword v43, v[34:35], off
.LBB1134_13:
	s_or_b64 exec, exec, s[4:5]
	v_or_b32_e32 v62, s16, v32
	v_ashrrev_i32_e32 v30, 4, v62
	v_mov_b32_e32 v63, s17
	v_cmp_gt_i32_e32 vcc, s29, v62
	s_waitcnt vmcnt(2)
	v_cvt_pk_f32_fp8_e32 v[52:53], v20
	v_cvt_pk_f32_fp8_sdwa v[54:55], v20 src0_sel:WORD_1
	v_cndmask_b32_e32 v20, v63, v30, vcc
	v_cvt_pk_f32_fp8_e32 v[56:57], v21
	v_cvt_pk_f32_fp8_sdwa v[58:59], v21 src0_sel:WORD_1
	v_ashrrev_i32_e32 v21, 31, v20
	v_cvt_pk_f32_fp8_e32 v[40:41], v22
	v_cvt_pk_f32_fp8_sdwa v[44:45], v22 src0_sel:WORD_1
	v_lshl_add_u64 v[20:21], v[20:21], 2, s[8:9]
	v_cvt_pk_f32_fp8_e32 v[46:47], v18
	v_cvt_pk_f32_fp8_sdwa v[48:49], v18 src0_sel:WORD_1
	global_load_dword v64, v[20:21], off
	s_mov_b32 s33, 0x7060302
	v_cvt_pk_f32_fp8_e32 v[32:33], v23
	v_cvt_pk_f32_fp8_sdwa v[34:35], v23 src0_sel:WORD_1
	v_perm_b32 v20, v41, v40, s33
	v_perm_b32 v21, v45, v44, s33
	v_cvt_pk_f32_fp8_e32 v[38:39], v24
	v_cvt_pk_f32_fp8_sdwa v[36:37], v24 src0_sel:WORD_1
	v_cvt_pk_f32_fp8_e32 v[50:51], v19
	v_cvt_pk_f32_fp8_sdwa v[18:19], v19 src0_sel:WORD_1
	v_perm_b32 v44, v47, v46, s33
	v_perm_b32 v45, v49, v48, s33
	v_cvt_pk_f32_fp8_e32 v[22:23], v25
	s_waitcnt vmcnt(2)
	v_cvt_pk_f32_fp8_e32 v[40:41], v14
	v_cvt_pk_f32_fp8_sdwa v[46:47], v14 src0_sel:WORD_1
	v_perm_b32 v48, v33, v32, s33
	v_perm_b32 v49, v35, v34, s33
	v_or_b32_e32 v14, 64, v62
	v_or_b32_e32 v32, 0xc0, v62
	v_cvt_pk_f32_fp8_sdwa v[24:25], v25 src0_sel:WORD_1
	s_load_dword s11, s[0:1], 0x1c
	s_load_dwordx4 s[40:43], s[0:1], 0x80
	v_perm_b32 v38, v39, v38, s33
	v_perm_b32 v39, v37, v36, s33
	v_or_b32_e32 v65, 0x80, v62
	v_ashrrev_i32_e32 v62, 4, v14
	v_cmp_gt_i32_e32 vcc, s29, v32
	v_ashrrev_i32_e32 v66, 4, v32
	v_cmp_gt_i32_e64 s[4:5], s29, v14
	v_perm_b32 v36, v51, v50, s33
	v_perm_b32 v37, v19, v18, s33
	s_waitcnt lgkmcnt(0)
	v_mfma_f32_16x16x16_bf16 v[32:35], v[20:21], v[10:11], 0
	s_add_u32 s6, s6, s10
	v_lshlrev_b32_e32 v30, 4, v28
	v_cndmask_b32_e64 v50, v63, v62, s[4:5]
	v_perm_b32 v62, v23, v22, s33
	v_mfma_f32_16x16x16_bf16 v[20:23], v[44:45], v[10:11], 0
	v_lshl_or_b32 v30, v29, 8, v30
	s_addc_u32 s7, s7, 0
	v_ashrrev_i32_e32 v14, 4, v65
	v_lshl_add_u64 v[18:19], s[6:7], 0, v[30:31]
	v_cmp_gt_i32_e64 s[6:7], s29, v65
	v_mfma_f32_16x16x16_bf16 v[30:33], v[48:49], v[12:13], v[32:35]
	v_cndmask_b32_e32 v48, v63, v66, vcc
	s_load_dword s4, s[40:41], 0x0
	v_cvt_pk_f32_fp8_e32 v[60:61], v15
	v_cndmask_b32_e64 v34, v63, v14, s[6:7]
	v_perm_b32 v63, v25, v24, s33
	v_perm_b32 v24, v53, v52, s33
	;; [unrolled: 1-line block ×3, first 2 shown]
	v_mfma_f32_16x16x16_bf16 v[20:23], v[36:37], v[12:13], v[20:23]
	v_perm_b32 v40, v41, v40, s33
	v_perm_b32 v41, v47, v46, s33
	v_ashrrev_i32_e32 v51, 31, v50
	v_mfma_f32_16x16x16_bf16 v[20:23], v[24:25], v[2:3], v[20:23]
	v_mov_b32_e32 v24, s11
	s_waitcnt lgkmcnt(0)
	v_mul_f32_e32 v54, s4, v24
	v_cvt_pk_f32_fp8_sdwa v[24:25], v15 src0_sel:WORD_1
	v_mfma_f32_16x16x16_bf16 v[30:33], v[38:39], v[2:3], v[30:33]
	v_ashrrev_i32_e32 v35, 31, v34
	v_ashrrev_i32_e32 v49, 31, v48
	v_lshl_add_u64 v[36:37], v[50:51], 2, s[8:9]
	v_lshl_add_u64 v[34:35], v[34:35], 2, s[8:9]
	;; [unrolled: 1-line block ×3, first 2 shown]
	global_load_dword v14, v[36:37], off
	global_load_dword v44, v[34:35], off
	;; [unrolled: 1-line block ×3, first 2 shown]
	v_perm_b32 v46, v61, v60, s33
	v_cvt_pk_f32_fp8_e32 v[48:49], v16
	v_cvt_pk_f32_fp8_sdwa v[50:51], v16 src0_sel:WORD_1
	v_perm_b32 v47, v25, v24, s33
	v_mfma_f32_16x16x16_bf16 v[36:39], v[62:63], v[4:5], v[30:33]
	v_perm_b32 v24, v49, v48, s33
	v_perm_b32 v25, v51, v50, s33
	;; [unrolled: 1-line block ×3, first 2 shown]
	v_mfma_f32_16x16x16_bf16 v[30:33], v[40:41], v[10:11], 0
	v_cvt_pk_f32_fp8_e32 v[40:41], v17
	v_cvt_pk_f32_fp8_sdwa v[16:17], v17 src0_sel:WORD_1
	v_perm_b32 v53, v59, v58, s33
	v_mfma_f32_16x16x16_bf16 v[46:49], v[46:47], v[12:13], v[30:33]
	s_mov_b32 s44, 0xff7fffff
	s_waitcnt vmcnt(3)
	v_mad_i64_i32 v[34:35], s[4:5], v64, s45, v[18:19]
	v_perm_b32 v32, v41, v40, s33
	v_perm_b32 v33, v17, v16, s33
	v_mfma_f32_16x16x16_bf16 v[46:49], v[24:25], v[2:3], v[46:49]
	v_cvt_pk_f32_fp8_e32 v[16:17], v6
	v_cvt_pk_f32_fp8_sdwa v[24:25], v6 src0_sel:WORD_1
	v_pk_mul_f32 v[30:31], v[54:55], v[38:39] op_sel_hi:[0,1]
	v_mfma_f32_16x16x16_bf16 v[46:49], v[32:33], v[4:5], v[46:49]
	v_cvt_pk_f32_fp8_e32 v[32:33], v7
	v_perm_b32 v16, v17, v16, s33
	v_perm_b32 v17, v25, v24, s33
	v_cvt_pk_f32_fp8_sdwa v[6:7], v7 src0_sel:WORD_1
	v_pk_mul_f32 v[38:39], v[54:55], v[36:37] op_sel_hi:[0,1]
	v_perm_b32 v24, v33, v32, s33
	v_cvt_pk_f32_fp8_e32 v[32:33], v8
	v_cvt_pk_f32_fp8_sdwa v[36:37], v8 src0_sel:WORD_1
	v_perm_b32 v25, v7, v6, s33
	v_mfma_f32_16x16x16_bf16 v[20:23], v[52:53], v[4:5], v[20:23]
	v_mfma_f32_16x16x16_bf16 v[50:53], v[16:17], v[10:11], 0
	v_perm_b32 v10, v33, v32, s33
	v_perm_b32 v11, v37, v36, s33
	v_cvt_pk_f32_fp8_e32 v[16:17], v9
	v_cvt_pk_f32_fp8_sdwa v[32:33], v9 src0_sel:WORD_1
	v_mfma_f32_16x16x16_bf16 v[6:9], v[24:25], v[12:13], v[50:53]
	s_nop 0
	v_pk_mul_f32 v[36:37], v[54:55], v[22:23] op_sel_hi:[0,1]
	v_perm_b32 v12, v17, v16, s33
	v_perm_b32 v13, v33, v32, s33
	v_mfma_f32_16x16x16_bf16 v[6:9], v[10:11], v[2:3], v[6:9]
	v_pk_mul_f32 v[40:41], v[54:55], v[20:21] op_sel_hi:[0,1]
	v_pk_mul_f32 v[24:25], v[54:55], v[48:49] op_sel_hi:[0,1]
	;; [unrolled: 1-line block ×3, first 2 shown]
	v_mfma_f32_16x16x16_bf16 v[2:5], v[12:13], v[4:5], v[6:9]
	s_nop 6
	v_pk_mul_f32 v[22:23], v[54:55], v[2:3] op_sel_hi:[0,1]
	v_and_b32_e32 v2, 0xc0, v0
	v_add_u32_e32 v2, s16, v2
	v_lshl_or_b32 v2, v42, 2, v2
	v_or_b32_e32 v3, 1, v2
	v_pk_mul_f32 v[20:21], v[54:55], v[4:5] op_sel_hi:[0,1]
	v_subrev_u32_e32 v4, s29, v3
	v_add_u32_e32 v6, 1, v4
	v_add_u32_e32 v7, 2, v4
	v_add_u32_e32 v8, 3, v4
	v_cvt_f32_i32_e32 v6, v6
	v_cvt_f32_i32_e32 v7, v7
	;; [unrolled: 1-line block ×3, first 2 shown]
	v_add_u32_e32 v9, 19, v4
	v_fmac_f32_e32 v39, v43, v6
	v_fma_f32 v30, v43, v7, v30
	v_fmac_f32_e32 v31, v43, v8
	v_add_u32_e32 v6, 16, v4
	v_add_u32_e32 v7, 17, v4
	;; [unrolled: 1-line block ×3, first 2 shown]
	v_cvt_f32_i32_e32 v6, v6
	v_cvt_f32_i32_e32 v7, v7
	;; [unrolled: 1-line block ×4, first 2 shown]
	v_fma_f32 v40, v43, v6, v40
	v_fmac_f32_e32 v41, v43, v7
	v_fma_f32 v36, v43, v8, v36
	v_add_u32_e32 v6, 32, v4
	v_add_u32_e32 v7, 33, v4
	;; [unrolled: 1-line block ×3, first 2 shown]
	v_cvt_f32_i32_e32 v6, v6
	v_cvt_f32_i32_e32 v7, v7
	;; [unrolled: 1-line block ×4, first 2 shown]
	v_fmac_f32_e32 v37, v43, v9
	v_add_u32_e32 v9, 35, v4
	v_fma_f32 v32, v43, v6, v32
	v_fmac_f32_e32 v33, v43, v7
	v_fma_f32 v24, v43, v8, v24
	v_add_u32_e32 v6, 48, v4
	v_add_u32_e32 v7, 49, v4
	;; [unrolled: 1-line block ×4, first 2 shown]
	v_cvt_f32_i32_e32 v4, v4
	v_cvt_f32_i32_e32 v6, v6
	;; [unrolled: 1-line block ×3, first 2 shown]
	v_fma_f32 v5, v43, v5, v38
	v_fmac_f32_e32 v21, v43, v4
	v_mov_b32_e32 v4, 0xff7fffff
	v_cmp_gt_i32_e64 s[4:5], s29, v2
	v_cmp_gt_i32_e64 s[34:35], s29, v3
	v_fma_f32 v22, v43, v6, v22
	v_cndmask_b32_e64 v6, v4, v5, s[4:5]
	v_cndmask_b32_e64 v3, v4, v39, s[34:35]
	v_fmac_f32_e32 v23, v43, v7
	v_max3_f32 v3, v6, s44, v3
	v_or_b32_e32 v6, 2, v2
	v_or_b32_e32 v7, 3, v2
	v_cmp_gt_i32_e64 s[36:37], s29, v6
	v_cmp_gt_i32_e64 s[38:39], s29, v7
	v_cvt_f32_i32_e32 v9, v9
	v_cndmask_b32_e64 v6, v4, v30, s[36:37]
	v_cndmask_b32_e64 v7, v4, v31, s[38:39]
	v_max3_f32 v3, v3, v6, v7
	v_or_b32_e32 v6, 16, v2
	v_or_b32_e32 v7, 17, v2
	v_cmp_gt_i32_e64 s[24:25], s29, v6
	v_cmp_gt_i32_e64 s[26:27], s29, v7
	v_fmac_f32_e32 v25, v43, v9
	v_cndmask_b32_e64 v6, v4, v40, s[24:25]
	v_cndmask_b32_e64 v7, v4, v41, s[26:27]
	v_max3_f32 v3, v3, v6, v7
	v_or_b32_e32 v6, 18, v2
	v_or_b32_e32 v7, 19, v2
	v_cmp_gt_i32_e64 s[20:21], s29, v6
	v_cmp_gt_i32_e64 s[22:23], s29, v7
	v_cvt_f32_i32_e32 v8, v8
	v_cndmask_b32_e64 v6, v4, v36, s[20:21]
	v_cndmask_b32_e64 v7, v4, v37, s[22:23]
	v_max3_f32 v3, v3, v6, v7
	v_or_b32_e32 v6, 32, v2
	v_or_b32_e32 v7, 33, v2
	v_cmp_gt_i32_e64 s[16:17], s29, v6
	v_cmp_gt_i32_e64 s[18:19], s29, v7
	v_fma_f32 v20, v43, v8, v20
	v_cndmask_b32_e64 v6, v4, v32, s[16:17]
	v_cndmask_b32_e64 v7, v4, v33, s[18:19]
	v_max3_f32 v3, v3, v6, v7
	v_or_b32_e32 v6, 34, v2
	v_or_b32_e32 v7, 35, v2
	v_cmp_gt_i32_e64 s[12:13], s29, v6
	v_cmp_gt_i32_e64 s[14:15], s29, v7
	s_nop 0
	v_cndmask_b32_e64 v6, v4, v24, s[12:13]
	v_cndmask_b32_e64 v7, v4, v25, s[14:15]
	v_max3_f32 v3, v3, v6, v7
	v_or_b32_e32 v6, 48, v2
	v_or_b32_e32 v7, 49, v2
	v_cmp_gt_i32_e64 s[8:9], s29, v6
	v_cmp_gt_i32_e64 s[10:11], s29, v7
	s_nop 0
	v_cndmask_b32_e64 v6, v4, v22, s[8:9]
	v_cndmask_b32_e64 v7, v4, v23, s[10:11]
	v_max3_f32 v3, v3, v6, v7
	v_or_b32_e32 v6, 50, v2
	v_or_b32_e32 v2, 51, v2
	v_cmp_gt_i32_e32 vcc, s29, v6
	v_cmp_gt_i32_e64 s[6:7], s29, v2
	s_nop 0
	v_cndmask_b32_e32 v6, v4, v20, vcc
	v_cndmask_b32_e64 v2, v4, v21, s[6:7]
	v_max3_f32 v4, v3, v6, v2
	v_mbcnt_lo_u32_b32 v2, -1, 0
	v_mbcnt_hi_u32_b32 v6, -1, v2
	v_and_b32_e32 v2, 64, v6
	v_add_u32_e32 v7, 64, v2
	v_xor_b32_e32 v2, 32, v6
	v_cmp_lt_i32_e64 s[40:41], v2, v7
	s_nop 1
	v_cndmask_b32_e64 v2, v6, v2, s[40:41]
	v_lshlrev_b32_e32 v43, 2, v2
	ds_bpermute_b32 v8, v43, v4
	s_waitcnt vmcnt(2)
	v_mad_i64_i32 v[2:3], s[40:41], v14, s45, v[18:19]
	global_load_dwordx4 v[14:17], v[34:35], off
	global_load_dwordx4 v[10:13], v[2:3], off
	v_xor_b32_e32 v3, 16, v6
	v_cmp_lt_i32_e64 s[40:41], v3, v7
	s_waitcnt lgkmcnt(0)
	v_max_f32_e32 v2, v8, v8
	v_max_f32_e32 v2, v4, v2
	v_cndmask_b32_e64 v3, v6, v3, s[40:41]
	v_lshlrev_b32_e32 v46, 2, v3
	ds_bpermute_b32 v3, v46, v2
	s_waitcnt vmcnt(3)
	v_mad_i64_i32 v[34:35], s[40:41], v44, s45, v[18:19]
	s_waitcnt vmcnt(2)
	v_mad_i64_i32 v[18:19], s[40:41], v45, s45, v[18:19]
	s_waitcnt lgkmcnt(0)
	v_max_f32_e32 v3, v3, v3
	v_max_f32_e32 v38, v2, v3
	v_sub_f32_e32 v2, v5, v38
	v_mul_f32_e32 v2, 0x3fb8aa3b, v2
	v_exp_f32_e32 v44, v2
	v_sub_f32_e32 v2, v39, v38
	v_mul_f32_e32 v2, 0x3fb8aa3b, v2
	v_exp_f32_e32 v39, v2
	global_load_dwordx4 v[6:9], v[34:35], off
	global_load_dwordx4 v[2:5], v[18:19], off
	v_sub_f32_e32 v30, v30, v38
	v_mul_f32_e32 v30, 0x3fb8aa3b, v30
	v_sub_f32_e32 v31, v31, v38
	v_exp_f32_e32 v30, v30
	v_mul_f32_e32 v31, 0x3fb8aa3b, v31
	v_exp_f32_e32 v31, v31
	v_cndmask_b32_e64 v18, 0, v44, s[4:5]
	v_add_f32_e32 v34, 0, v18
	v_cndmask_b32_e64 v19, 0, v39, s[34:35]
	v_add_f32_e32 v35, v34, v19
	;; [unrolled: 2-line block ×3, first 2 shown]
	v_cndmask_b32_e64 v35, 0, v31, s[38:39]
	v_sub_f32_e32 v31, v40, v38
	v_mul_f32_e32 v31, 0x3fb8aa3b, v31
	v_sub_f32_e32 v39, v41, v38
	v_exp_f32_e32 v31, v31
	v_mul_f32_e32 v39, 0x3fb8aa3b, v39
	v_sub_f32_e32 v36, v36, v38
	v_exp_f32_e32 v39, v39
	v_mul_f32_e32 v36, 0x3fb8aa3b, v36
	v_sub_f32_e32 v37, v37, v38
	v_exp_f32_e32 v36, v36
	v_mul_f32_e32 v37, 0x3fb8aa3b, v37
	v_sub_f32_e32 v32, v32, v38
	v_exp_f32_e32 v37, v37
	v_mul_f32_e32 v32, 0x3fb8aa3b, v32
	v_sub_f32_e32 v33, v33, v38
	v_add_f32_e32 v40, v30, v35
	v_cndmask_b32_e64 v30, 0, v31, s[24:25]
	v_exp_f32_e32 v32, v32
	v_mul_f32_e32 v33, 0x3fb8aa3b, v33
	v_sub_f32_e32 v24, v24, v38
	v_add_f32_e32 v40, v40, v30
	v_cndmask_b32_e64 v31, 0, v39, s[26:27]
	v_exp_f32_e32 v33, v33
	v_mul_f32_e32 v24, 0x3fb8aa3b, v24
	v_sub_f32_e32 v25, v25, v38
	v_add_f32_e32 v39, v40, v31
	v_cndmask_b32_e64 v36, 0, v36, s[20:21]
	v_exp_f32_e32 v24, v24
	v_mul_f32_e32 v25, 0x3fb8aa3b, v25
	v_sub_f32_e32 v22, v22, v38
	v_add_f32_e32 v39, v39, v36
	v_cndmask_b32_e64 v37, 0, v37, s[22:23]
	v_exp_f32_e32 v25, v25
	v_mul_f32_e32 v22, 0x3fb8aa3b, v22
	v_sub_f32_e32 v23, v23, v38
	v_add_f32_e32 v39, v39, v37
	v_cndmask_b32_e64 v32, 0, v32, s[16:17]
	v_exp_f32_e32 v22, v22
	v_mul_f32_e32 v23, 0x3fb8aa3b, v23
	v_sub_f32_e32 v20, v20, v38
	v_add_f32_e32 v39, v39, v32
	v_cndmask_b32_e64 v33, 0, v33, s[18:19]
	v_exp_f32_e32 v23, v23
	v_mul_f32_e32 v20, 0x3fb8aa3b, v20
	v_sub_f32_e32 v21, v21, v38
	v_add_f32_e32 v39, v39, v33
	v_cndmask_b32_e64 v24, 0, v24, s[12:13]
	v_exp_f32_e32 v20, v20
	v_mul_f32_e32 v21, 0x3fb8aa3b, v21
	v_add_f32_e32 v39, v39, v24
	v_cndmask_b32_e64 v25, 0, v25, s[14:15]
	v_exp_f32_e32 v21, v21
	v_add_f32_e32 v39, v39, v25
	v_cndmask_b32_e64 v22, 0, v22, s[8:9]
	v_add_f32_e32 v39, v39, v22
	v_cndmask_b32_e64 v23, 0, v23, s[10:11]
	v_add_f32_e32 v39, v39, v23
	v_cndmask_b32_e32 v20, 0, v20, vcc
	v_add_f32_e32 v39, v39, v20
	v_cndmask_b32_e64 v21, 0, v21, s[6:7]
	v_add_f32_e32 v39, v39, v21
	ds_bpermute_b32 v40, v43, v39
	s_load_dword s7, s[0:1], 0x98
	v_cmp_gt_u32_e32 vcc, 16, v27
	s_waitcnt lgkmcnt(0)
	s_barrier
	v_add_f32_e32 v40, v39, v40
	ds_bpermute_b32 v41, v46, v40
	v_lshlrev_b32_e32 v39, 2, v28
	s_waitcnt lgkmcnt(0)
	s_and_saveexec_b64 s[4:5], vcc
	s_cbranch_execz .LBB1134_15
; %bb.14:
	v_add_f32_e32 v27, v40, v41
	v_lshl_or_b32 v40, v29, 6, v39
	ds_write2st64_b32 v40, v38, v27 offset1:1
.LBB1134_15:
	s_or_b64 exec, exec, s[4:5]
	s_load_dword s6, s[0:1], 0x94
	s_waitcnt lgkmcnt(0)
	s_barrier
	ds_read2_b32 v[40:41], v39 offset1:16
	ds_read2_b32 v[44:45], v39 offset0:32 offset1:48
	ds_read2_b32 v[46:47], v39 offset0:64 offset1:80
	s_movk_i32 s8, 0x7fff
	s_mul_i32 s7, s7, 7
	s_waitcnt lgkmcnt(2)
	v_max3_f32 v27, v40, s44, v41
	s_waitcnt lgkmcnt(1)
	v_max3_f32 v27, v27, v44, v45
	v_sub_f32_e32 v38, v40, v27
	v_mul_f32_e32 v38, 0x3fb8aa3b, v38
	v_exp_f32_e32 v43, v38
	v_sub_f32_e32 v38, v41, v27
	v_mul_f32_e32 v38, 0x3fb8aa3b, v38
	v_exp_f32_e32 v48, v38
	;; [unrolled: 3-line block ×3, first 2 shown]
	ds_read2_b32 v[40:41], v39 offset0:96 offset1:112
	v_sub_f32_e32 v38, v45, v27
	v_mul_f32_e32 v38, 0x3fb8aa3b, v38
	v_exp_f32_e32 v39, v38
	s_waitcnt lgkmcnt(1)
	v_fma_f32 v38, v43, v46, 0
	v_fmac_f32_e32 v38, v48, v47
	s_waitcnt lgkmcnt(0)
	v_fmac_f32_e32 v38, v44, v40
	v_fmac_f32_e32 v38, v39, v41
	v_add_f32_e32 v40, 0x358637bd, v38
	v_div_scale_f32 v41, s[4:5], v40, v40, 1.0
	v_rcp_f32_e32 v45, v41
	s_barrier
	v_fma_f32 v46, -v41, v45, 1.0
	v_fmac_f32_e32 v45, v46, v45
	v_div_scale_f32 v46, vcc, 1.0, v40, 1.0
	v_mul_f32_e32 v47, v46, v45
	v_fma_f32 v49, -v41, v47, v46
	v_fmac_f32_e32 v47, v49, v45
	v_fma_f32 v41, -v41, v47, v46
	v_div_fmas_f32 v41, v41, v45, v47
	v_cmp_eq_u32_e32 vcc, 1, v29
	v_div_fixup_f32 v40, v41, v40, 1.0
	s_nop 0
	v_cndmask_b32_e32 v41, v43, v48, vcc
	v_cmp_eq_u32_e32 vcc, 2, v29
	s_nop 1
	v_cndmask_b32_e32 v41, v41, v44, vcc
	v_cmp_eq_u32_e32 vcc, 3, v29
	v_lshlrev_b32_e32 v29, 11, v29
	s_nop 0
	v_cndmask_b32_e32 v39, v41, v39, vcc
	v_mul_f32_e32 v40, v39, v40
	v_pk_mul_f32 v[18:19], v[40:41], v[18:19] op_sel_hi:[0,1]
	v_pk_mul_f32 v[34:35], v[40:41], v[34:35] op_sel_hi:[0,1]
	v_bfe_u32 v39, v19, 16, 1
	v_bfe_u32 v41, v18, 16, 1
	v_add3_u32 v18, v18, v41, s8
	v_add3_u32 v19, v19, v39, s8
	v_perm_b32 v44, v19, v18, s33
	v_bfe_u32 v18, v35, 16, 1
	v_bfe_u32 v19, v34, 16, 1
	v_add3_u32 v19, v34, v19, s8
	v_add3_u32 v18, v35, v18, s8
	v_perm_b32 v45, v18, v19, s33
	v_lshlrev_b32_e32 v18, 3, v42
	v_lshlrev_b32_e32 v19, 5, v28
	v_pk_mul_f32 v[30:31], v[40:41], v[30:31] op_sel_hi:[0,1]
	v_or3_b32 v18, v29, v19, v18
	v_pk_mul_f32 v[34:35], v[40:41], v[36:37] op_sel_hi:[0,1]
	v_bfe_u32 v29, v31, 16, 1
	v_bfe_u32 v36, v30, 16, 1
	v_add3_u32 v30, v30, v36, s8
	v_add3_u32 v29, v31, v29, s8
	v_perm_b32 v30, v29, v30, s33
	v_bfe_u32 v29, v35, 16, 1
	v_bfe_u32 v31, v34, 16, 1
	v_add3_u32 v31, v34, v31, s8
	v_add3_u32 v29, v35, v29, s8
	v_perm_b32 v31, v29, v31, s33
	ds_write2st64_b64 v18, v[44:45], v[30:31] offset1:1
	v_pk_mul_f32 v[30:31], v[40:41], v[32:33] op_sel_hi:[0,1]
	v_bfe_u32 v29, v31, 16, 1
	v_bfe_u32 v32, v30, 16, 1
	v_pk_mul_f32 v[24:25], v[40:41], v[24:25] op_sel_hi:[0,1]
	v_add3_u32 v30, v30, v32, s8
	v_add3_u32 v29, v31, v29, s8
	v_perm_b32 v30, v29, v30, s33
	v_bfe_u32 v29, v25, 16, 1
	v_bfe_u32 v31, v24, 16, 1
	v_add3_u32 v24, v24, v31, s8
	v_add3_u32 v25, v25, v29, s8
	v_pk_mul_f32 v[22:23], v[40:41], v[22:23] op_sel_hi:[0,1]
	v_perm_b32 v31, v25, v24, s33
	v_bfe_u32 v24, v23, 16, 1
	v_bfe_u32 v25, v22, 16, 1
	v_pk_mul_f32 v[20:21], v[40:41], v[20:21] op_sel_hi:[0,1]
	v_add3_u32 v22, v22, v25, s8
	v_add3_u32 v23, v23, v24, s8
	v_perm_b32 v22, v23, v22, s33
	v_bfe_u32 v23, v21, 16, 1
	v_bfe_u32 v24, v20, 16, 1
	v_add3_u32 v20, v20, v24, s8
	v_add3_u32 v21, v21, v23, s8
	v_perm_b32 v23, v21, v20, s33
	v_cmp_gt_u32_e32 vcc, 7, v0
	ds_write2st64_b64 v18, v[30:31], v[22:23] offset0:2 offset1:3
	s_and_saveexec_b64 s[4:5], vcc
	s_cbranch_execz .LBB1134_17
; %bb.16:
	s_mov_b32 s49, 0
	v_mov_b32_e32 v29, 0
	v_lshl_add_u64 v[20:21], s[48:49], 0, v[28:29]
	v_mov_b32_e32 v22, s7
	v_mad_u64_u32 v[20:21], s[10:11], s2, v22, v[20:21]
	s_mul_i32 s3, s3, s7
	v_mov_b32_e32 v28, s28
	s_load_dwordx4 s[12:15], s[0:1], 0x58
	v_add_u32_e32 v23, s3, v21
	v_mad_u64_u32 v[20:21], s[10:11], v20, s6, v[28:29]
	v_mov_b32_e32 v22, v21
	v_mad_u64_u32 v[22:23], s[10:11], v23, s6, v[22:23]
	v_mov_b32_e32 v21, v22
	v_lshlrev_b64 v[20:21], 2, v[20:21]
	s_waitcnt lgkmcnt(0)
	v_lshl_add_u64 v[22:23], s[14:15], 0, v[20:21]
	v_lshl_add_u64 v[20:21], s[12:13], 0, v[20:21]
	global_store_dword v[22:23], v27, off
	global_store_dword v[20:21], v38, off
.LBB1134_17:
	s_or_b64 exec, exec, s[4:5]
	s_waitcnt vmcnt(3)
	v_cvt_pk_f32_fp8_e32 v[20:21], v14
	v_cvt_pk_f32_fp8_sdwa v[22:23], v14 src0_sel:WORD_1
	s_mov_b32 s4, 0x7060302
	v_lshl_or_b32 v14, v42, 9, v19
	s_waitcnt lgkmcnt(0)
	s_barrier
	v_perm_b32 v24, v21, v20, s4
	v_perm_b32 v25, v23, v22, s4
	v_cvt_pk_f32_fp8_e32 v[28:29], v15
	ds_read_b128 v[20:23], v14
	v_cvt_pk_f32_fp8_sdwa v[36:37], v15 src0_sel:WORD_1
	s_load_dword s10, s[42:43], 0x0
	v_perm_b32 v38, v29, v28, s4
	ds_read_b128 v[28:31], v14 offset:16
	v_perm_b32 v39, v37, v36, s4
	s_waitcnt lgkmcnt(0)
	v_mfma_f32_16x16x16_bf16 v[32:35], v[24:25], v[20:21], 0
	v_cvt_pk_f32_fp8_e32 v[24:25], v16
	v_cvt_pk_f32_fp8_sdwa v[36:37], v16 src0_sel:WORD_1
	v_cmp_gt_u32_e32 vcc, 64, v0
	v_mfma_f32_16x16x16_bf16 v[20:23], v[38:39], v[22:23], v[32:35]
	v_perm_b32 v24, v25, v24, s4
	v_perm_b32 v25, v37, v36, s4
	s_mov_b32 s3, 0
	v_cvt_pk_f32_fp8_e32 v[32:33], v17
	v_cvt_pk_f32_fp8_sdwa v[16:17], v17 src0_sel:WORD_1
	s_waitcnt vmcnt(2)
	v_cvt_pk_f32_fp8_sdwa v[34:35], v10 src0_sel:WORD_1
	v_mfma_f32_16x16x16_bf16 v[20:23], v[24:25], v[28:29], v[20:23]
	v_perm_b32 v36, v33, v32, s4
	v_cvt_pk_f32_fp8_e32 v[32:33], v10
	v_perm_b32 v37, v17, v16, s4
	v_perm_b32 v17, v35, v34, s4
	v_cvt_pk_f32_fp8_e32 v[24:25], v11
	v_perm_b32 v16, v33, v32, s4
	ds_read_b128 v[32:35], v14 offset:2048
	v_cvt_pk_f32_fp8_sdwa v[10:11], v11 src0_sel:WORD_1
	v_mfma_f32_16x16x16_bf16 v[20:23], v[36:37], v[30:31], v[20:23]
	ds_read_b128 v[28:31], v14 offset:2064
	v_perm_b32 v24, v25, v24, s4
	v_perm_b32 v25, v11, v10, s4
	s_waitcnt lgkmcnt(1)
	v_mfma_f32_16x16x16_bf16 v[20:23], v[16:17], v[32:33], v[20:23]
	v_cvt_pk_f32_fp8_e32 v[10:11], v12
	v_cvt_pk_f32_fp8_sdwa v[16:17], v12 src0_sel:WORD_1
	s_waitcnt vmcnt(1)
	v_cvt_pk_f32_fp8_sdwa v[32:33], v6 src0_sel:WORD_1
	v_mfma_f32_16x16x16_bf16 v[20:23], v[24:25], v[34:35], v[20:23]
	v_cvt_pk_f32_fp8_e32 v[24:25], v13
	v_perm_b32 v10, v11, v10, s4
	v_perm_b32 v11, v17, v16, s4
	v_cvt_pk_f32_fp8_sdwa v[12:13], v13 src0_sel:WORD_1
	v_perm_b32 v16, v25, v24, s4
	v_cvt_pk_f32_fp8_e32 v[24:25], v6
	v_mov_b32_e32 v27, 0
	v_perm_b32 v17, v13, v12, s4
	s_waitcnt lgkmcnt(0)
	v_mfma_f32_16x16x16_bf16 v[10:13], v[10:11], v[28:29], v[20:23]
	v_perm_b32 v24, v25, v24, s4
	v_perm_b32 v25, v33, v32, s4
	v_cvt_pk_f32_fp8_e32 v[28:29], v7
	ds_read_b128 v[20:23], v14 offset:4096
	v_cvt_pk_f32_fp8_sdwa v[6:7], v7 src0_sel:WORD_1
	v_mfma_f32_16x16x16_bf16 v[10:13], v[16:17], v[30:31], v[10:13]
	v_perm_b32 v16, v29, v28, s4
	ds_read_b128 v[28:31], v14 offset:4112
	v_perm_b32 v17, v7, v6, s4
	s_waitcnt lgkmcnt(1)
	v_mfma_f32_16x16x16_bf16 v[10:13], v[24:25], v[20:21], v[10:13]
	v_cvt_pk_f32_fp8_e32 v[6:7], v8
	v_cvt_pk_f32_fp8_sdwa v[20:21], v8 src0_sel:WORD_1
	v_perm_b32 v6, v7, v6, s4
	v_mfma_f32_16x16x16_bf16 v[10:13], v[16:17], v[22:23], v[10:13]
	v_cvt_pk_f32_fp8_e32 v[16:17], v9
	v_perm_b32 v7, v21, v20, s4
	v_cvt_pk_f32_fp8_sdwa v[8:9], v9 src0_sel:WORD_1
	s_waitcnt vmcnt(0)
	v_cvt_pk_f32_fp8_e32 v[20:21], v2
	v_perm_b32 v16, v17, v16, s4
	v_cvt_pk_f32_fp8_sdwa v[22:23], v2 src0_sel:WORD_1
	v_perm_b32 v17, v9, v8, s4
	s_waitcnt lgkmcnt(0)
	v_mfma_f32_16x16x16_bf16 v[6:9], v[6:7], v[28:29], v[10:13]
	v_perm_b32 v20, v21, v20, s4
	v_perm_b32 v21, v23, v22, s4
	v_cvt_pk_f32_fp8_e32 v[22:23], v3
	ds_read_b128 v[10:13], v14 offset:6144
	v_cvt_pk_f32_fp8_sdwa v[2:3], v3 src0_sel:WORD_1
	v_mfma_f32_16x16x16_bf16 v[6:9], v[16:17], v[30:31], v[6:9]
	v_perm_b32 v22, v23, v22, s4
	ds_read_b128 v[14:17], v14 offset:6160
	v_perm_b32 v23, v3, v2, s4
	s_waitcnt lgkmcnt(1)
	v_mfma_f32_16x16x16_bf16 v[6:9], v[20:21], v[10:11], v[6:9]
	v_cvt_pk_f32_fp8_e32 v[2:3], v4
	v_cvt_pk_f32_fp8_sdwa v[10:11], v4 src0_sel:WORD_1
	s_waitcnt lgkmcnt(0)
	v_mfma_f32_16x16x16_bf16 v[6:9], v[22:23], v[12:13], v[6:9]
	v_perm_b32 v2, v3, v2, s4
	v_perm_b32 v3, v11, v10, s4
	v_cvt_pk_f32_fp8_e32 v[10:11], v5
	v_cvt_pk_f32_fp8_sdwa v[4:5], v5 src0_sel:WORD_1
	s_barrier
	v_perm_b32 v10, v11, v10, s4
	v_perm_b32 v11, v5, v4, s4
	v_mfma_f32_16x16x16_bf16 v[2:5], v[2:3], v[14:15], v[6:9]
	s_nop 0
	v_mfma_f32_16x16x16_bf16 v[2:5], v[10:11], v[16:17], v[2:5]
	s_nop 6
	v_pk_mul_f32 v[2:3], v[2:3], s[10:11] op_sel_hi:[1,0]
	v_pk_mul_f32 v[4:5], v[4:5], s[10:11] op_sel_hi:[1,0]
	v_bfe_u32 v6, v3, 16, 1
	v_bfe_u32 v7, v2, 16, 1
	v_add3_u32 v2, v2, v7, s8
	v_add3_u32 v3, v3, v6, s8
	v_perm_b32 v2, v3, v2, s4
	v_bfe_u32 v3, v5, 16, 1
	v_bfe_u32 v6, v4, 16, 1
	v_add3_u32 v4, v4, v6, s8
	v_add3_u32 v3, v5, v3, s8
	v_perm_b32 v3, v3, v4, s4
	s_and_b64 s[4:5], vcc, s[30:31]
	ds_write_b64 v18, v[2:3]
	s_waitcnt lgkmcnt(0)
	s_barrier
	s_and_saveexec_b64 s[8:9], s[4:5]
	s_cbranch_execz .LBB1134_20
; %bb.18:
	s_load_dwordx2 s[4:5], s[0:1], 0x68
	s_lshl_b32 s0, s6, 6
	s_mul_i32 s1, s7, s2
	s_mul_hi_u32 s7, s1, s0
	s_mul_i32 s6, s1, s0
	v_lshlrev_b32_e32 v0, 10, v0
	s_lshl_b64 s[6:7], s[6:7], 1
	v_and_b32_e32 v0, 0x1800, v0
	v_lshlrev_b32_e32 v2, 5, v42
	v_and_b32_e32 v1, 16, v1
	s_waitcnt lgkmcnt(0)
	s_add_u32 s1, s4, s6
	v_or3_b32 v2, v0, v2, v1
	s_addc_u32 s4, s5, s7
	s_lshl_b32 s2, s28, 6
	s_lshl_b64 s[2:3], s[2:3], 1
	ds_read_b128 v[4:7], v2
	s_add_u32 s2, s1, s2
	s_addc_u32 s3, s4, s3
	v_add_u32_e32 v3, s48, v42
	v_lshl_add_u64 v[0:1], s[2:3], 0, v[26:27]
	v_mad_u64_u32 v[8:9], s[2:3], v3, s0, 0
	v_lshl_add_u64 v[8:9], v[8:9], 1, v[0:1]
	v_cmp_ne_u32_e32 vcc, 3, v42
	s_waitcnt lgkmcnt(0)
	global_store_dwordx4 v[8:9], v[4:7], off
	s_and_b64 exec, exec, vcc
	s_cbranch_execz .LBB1134_20
; %bb.19:
	ds_read_b128 v[2:5], v2 offset:128
	v_add3_u32 v6, s48, v42, 4
	v_mad_u64_u32 v[6:7], s[0:1], v6, s0, 0
	v_lshl_add_u64 v[0:1], v[6:7], 1, v[0:1]
	s_waitcnt lgkmcnt(0)
	global_store_dwordx4 v[0:1], v[2:5], off
.LBB1134_20:
	s_endpgm
	.section	.rodata,"a",@progbits
	.p2align	6, 0x0
	.amdhsa_kernel _Z39paged_attention_ll4mi_QKV_mfma16_kernelI14__hip_bfloat16hLN4vllm18Fp8KVCacheDataTypeE1ES0_Li16ELi64ELi256ELb1ELi7EEvPKT_PKT0_S8_ifPKiSA_SA_iPKfiiiPfSD_PS3_PT2_iSC_SC_
		.amdhsa_group_segment_fixed_size 8192
		.amdhsa_private_segment_fixed_size 0
		.amdhsa_kernarg_size 400
		.amdhsa_user_sgpr_count 2
		.amdhsa_user_sgpr_dispatch_ptr 0
		.amdhsa_user_sgpr_queue_ptr 0
		.amdhsa_user_sgpr_kernarg_segment_ptr 1
		.amdhsa_user_sgpr_dispatch_id 0
		.amdhsa_user_sgpr_kernarg_preload_length 0
		.amdhsa_user_sgpr_kernarg_preload_offset 0
		.amdhsa_user_sgpr_private_segment_size 0
		.amdhsa_uses_dynamic_stack 0
		.amdhsa_enable_private_segment 0
		.amdhsa_system_sgpr_workgroup_id_x 1
		.amdhsa_system_sgpr_workgroup_id_y 1
		.amdhsa_system_sgpr_workgroup_id_z 1
		.amdhsa_system_sgpr_workgroup_info 0
		.amdhsa_system_vgpr_workitem_id 0
		.amdhsa_next_free_vgpr 67
		.amdhsa_next_free_sgpr 50
		.amdhsa_accum_offset 68
		.amdhsa_reserve_vcc 1
		.amdhsa_float_round_mode_32 0
		.amdhsa_float_round_mode_16_64 0
		.amdhsa_float_denorm_mode_32 3
		.amdhsa_float_denorm_mode_16_64 3
		.amdhsa_dx10_clamp 1
		.amdhsa_ieee_mode 1
		.amdhsa_fp16_overflow 0
		.amdhsa_tg_split 0
		.amdhsa_exception_fp_ieee_invalid_op 0
		.amdhsa_exception_fp_denorm_src 0
		.amdhsa_exception_fp_ieee_div_zero 0
		.amdhsa_exception_fp_ieee_overflow 0
		.amdhsa_exception_fp_ieee_underflow 0
		.amdhsa_exception_fp_ieee_inexact 0
		.amdhsa_exception_int_div_zero 0
	.end_amdhsa_kernel
	.section	.text._Z39paged_attention_ll4mi_QKV_mfma16_kernelI14__hip_bfloat16hLN4vllm18Fp8KVCacheDataTypeE1ES0_Li16ELi64ELi256ELb1ELi7EEvPKT_PKT0_S8_ifPKiSA_SA_iPKfiiiPfSD_PS3_PT2_iSC_SC_,"axG",@progbits,_Z39paged_attention_ll4mi_QKV_mfma16_kernelI14__hip_bfloat16hLN4vllm18Fp8KVCacheDataTypeE1ES0_Li16ELi64ELi256ELb1ELi7EEvPKT_PKT0_S8_ifPKiSA_SA_iPKfiiiPfSD_PS3_PT2_iSC_SC_,comdat
.Lfunc_end1134:
	.size	_Z39paged_attention_ll4mi_QKV_mfma16_kernelI14__hip_bfloat16hLN4vllm18Fp8KVCacheDataTypeE1ES0_Li16ELi64ELi256ELb1ELi7EEvPKT_PKT0_S8_ifPKiSA_SA_iPKfiiiPfSD_PS3_PT2_iSC_SC_, .Lfunc_end1134-_Z39paged_attention_ll4mi_QKV_mfma16_kernelI14__hip_bfloat16hLN4vllm18Fp8KVCacheDataTypeE1ES0_Li16ELi64ELi256ELb1ELi7EEvPKT_PKT0_S8_ifPKiSA_SA_iPKfiiiPfSD_PS3_PT2_iSC_SC_
                                        ; -- End function
	.section	.AMDGPU.csdata,"",@progbits
; Kernel info:
; codeLenInByte = 5112
; NumSgprs: 56
; NumVgprs: 67
; NumAgprs: 0
; TotalNumVgprs: 67
; ScratchSize: 0
; MemoryBound: 0
; FloatMode: 240
; IeeeMode: 1
; LDSByteSize: 8192 bytes/workgroup (compile time only)
; SGPRBlocks: 6
; VGPRBlocks: 8
; NumSGPRsForWavesPerEU: 56
; NumVGPRsForWavesPerEU: 67
; AccumOffset: 68
; Occupancy: 7
; WaveLimiterHint : 1
; COMPUTE_PGM_RSRC2:SCRATCH_EN: 0
; COMPUTE_PGM_RSRC2:USER_SGPR: 2
; COMPUTE_PGM_RSRC2:TRAP_HANDLER: 0
; COMPUTE_PGM_RSRC2:TGID_X_EN: 1
; COMPUTE_PGM_RSRC2:TGID_Y_EN: 1
; COMPUTE_PGM_RSRC2:TGID_Z_EN: 1
; COMPUTE_PGM_RSRC2:TIDIG_COMP_CNT: 0
; COMPUTE_PGM_RSRC3_GFX90A:ACCUM_OFFSET: 16
; COMPUTE_PGM_RSRC3_GFX90A:TG_SPLIT: 0
	.section	.text._Z39paged_attention_ll4mi_QKV_mfma16_kernelI14__hip_bfloat16hLN4vllm18Fp8KVCacheDataTypeE1ES0_Li16ELi64ELi256ELb1ELi8EEvPKT_PKT0_S8_ifPKiSA_SA_iPKfiiiPfSD_PS3_PT2_iSC_SC_,"axG",@progbits,_Z39paged_attention_ll4mi_QKV_mfma16_kernelI14__hip_bfloat16hLN4vllm18Fp8KVCacheDataTypeE1ES0_Li16ELi64ELi256ELb1ELi8EEvPKT_PKT0_S8_ifPKiSA_SA_iPKfiiiPfSD_PS3_PT2_iSC_SC_,comdat
	.protected	_Z39paged_attention_ll4mi_QKV_mfma16_kernelI14__hip_bfloat16hLN4vllm18Fp8KVCacheDataTypeE1ES0_Li16ELi64ELi256ELb1ELi8EEvPKT_PKT0_S8_ifPKiSA_SA_iPKfiiiPfSD_PS3_PT2_iSC_SC_ ; -- Begin function _Z39paged_attention_ll4mi_QKV_mfma16_kernelI14__hip_bfloat16hLN4vllm18Fp8KVCacheDataTypeE1ES0_Li16ELi64ELi256ELb1ELi8EEvPKT_PKT0_S8_ifPKiSA_SA_iPKfiiiPfSD_PS3_PT2_iSC_SC_
	.globl	_Z39paged_attention_ll4mi_QKV_mfma16_kernelI14__hip_bfloat16hLN4vllm18Fp8KVCacheDataTypeE1ES0_Li16ELi64ELi256ELb1ELi8EEvPKT_PKT0_S8_ifPKiSA_SA_iPKfiiiPfSD_PS3_PT2_iSC_SC_
	.p2align	8
	.type	_Z39paged_attention_ll4mi_QKV_mfma16_kernelI14__hip_bfloat16hLN4vllm18Fp8KVCacheDataTypeE1ES0_Li16ELi64ELi256ELb1ELi8EEvPKT_PKT0_S8_ifPKiSA_SA_iPKfiiiPfSD_PS3_PT2_iSC_SC_,@function
_Z39paged_attention_ll4mi_QKV_mfma16_kernelI14__hip_bfloat16hLN4vllm18Fp8KVCacheDataTypeE1ES0_Li16ELi64ELi256ELb1ELi8EEvPKT_PKT0_S8_ifPKiSA_SA_iPKfiiiPfSD_PS3_PT2_iSC_SC_: ; @_Z39paged_attention_ll4mi_QKV_mfma16_kernelI14__hip_bfloat16hLN4vllm18Fp8KVCacheDataTypeE1ES0_Li16ELi64ELi256ELb1ELi8EEvPKT_PKT0_S8_ifPKiSA_SA_iPKfiiiPfSD_PS3_PT2_iSC_SC_
; %bb.0:
	s_load_dwordx2 s[8:9], s[0:1], 0x30
	s_mov_b32 s16, s3
	s_mov_b64 s[6:7], 0
	s_waitcnt lgkmcnt(0)
	s_cmp_lg_u64 s[8:9], 0
	s_cselect_b64 s[10:11], -1, 0
	s_and_b64 vcc, exec, s[10:11]
	s_cbranch_vccz .LBB1135_7
; %bb.1:
	s_add_i32 s12, s2, 1
	s_mov_b32 s13, 0
	s_lshl_b64 s[14:15], s[12:13], 2
	s_add_u32 s14, s8, s14
	s_mov_b32 s3, s13
	s_addc_u32 s15, s9, s15
	s_lshl_b64 s[12:13], s[2:3], 2
	s_add_u32 s12, s8, s12
	s_addc_u32 s13, s9, s13
	s_load_dword s5, s[14:15], 0x0
	s_load_dword s17, s[12:13], 0x0
	s_waitcnt lgkmcnt(0)
	s_sub_i32 s5, s5, s17
	s_cmp_eq_u32 s5, 1
	s_cselect_b64 s[12:13], -1, 0
	s_andn2_b64 vcc, exec, s[6:7]
	s_cbranch_vccnz .LBB1135_3
.LBB1135_2:
	s_mov_b32 s3, 0
	s_mov_b64 s[12:13], -1
.LBB1135_3:
	s_andn2_b64 vcc, exec, s[12:13]
	s_cbranch_vccnz .LBB1135_19
; %bb.4:
	s_load_dwordx2 s[6:7], s[0:1], 0x28
	s_lshl_b64 s[12:13], s[2:3], 2
	s_waitcnt lgkmcnt(0)
	s_add_u32 s6, s6, s12
	s_addc_u32 s7, s7, s13
	s_load_dword s33, s[6:7], 0x0
	s_lshl_b32 s20, s16, 8
	s_waitcnt lgkmcnt(0)
	s_cmp_ge_i32 s20, s33
	s_cbranch_scc1 .LBB1135_19
; %bb.5:
	s_load_dwordx2 s[6:7], s[0:1], 0x20
	s_load_dword s5, s[0:1], 0x38
	s_add_i32 s14, s33, 15
	s_ashr_i32 s15, s14, 31
	v_and_b32_e32 v1, 0xcf, v0
	s_lshr_b32 s15, s15, 28
	v_add_u32_e32 v1, s20, v1
	s_add_i32 s14, s14, s15
	v_ashrrev_i32_e32 v2, 31, v1
	s_ashr_i32 s21, s14, 4
	v_lshrrev_b32_e32 v4, 28, v2
	s_add_i32 s21, s21, -1
	s_waitcnt lgkmcnt(0)
	s_mul_i32 s14, s2, s5
	s_mov_b32 s15, 0
	v_add_u32_e32 v2, v1, v4
	s_lshl_b64 s[14:15], s[14:15], 2
	v_ashrrev_i32_e32 v2, 4, v2
	v_mov_b32_e32 v5, s21
	v_cmp_gt_i32_e32 vcc, s33, v1
	s_add_u32 s6, s6, s14
	s_addc_u32 s7, s7, s15
	v_cndmask_b32_e32 v2, v5, v2, vcc
	v_ashrrev_i32_e32 v3, 31, v2
	v_lshl_add_u64 v[6:7], v[2:3], 2, s[6:7]
	v_or_b32_e32 v2, 16, v1
	v_add_u32_e32 v3, v2, v4
	v_ashrrev_i32_e32 v3, 4, v3
	v_cmp_gt_i32_e32 vcc, s33, v2
	s_load_dwordx2 s[14:15], s[0:1], 0x8
	s_nop 0
	v_cndmask_b32_e32 v2, v5, v3, vcc
	v_ashrrev_i32_e32 v3, 31, v2
	v_lshl_add_u64 v[8:9], v[2:3], 2, s[6:7]
	v_or_b32_e32 v2, 32, v1
	v_add_u32_e32 v3, v2, v4
	v_ashrrev_i32_e32 v3, 4, v3
	v_cmp_gt_i32_e32 vcc, s33, v2
	v_or_b32_e32 v1, 48, v1
	s_nop 0
	v_cndmask_b32_e32 v2, v5, v3, vcc
	v_ashrrev_i32_e32 v3, 31, v2
	v_lshl_add_u64 v[10:11], v[2:3], 2, s[6:7]
	v_add_u32_e32 v2, v1, v4
	v_ashrrev_i32_e32 v2, 4, v2
	v_cmp_gt_i32_e32 vcc, s33, v1
	s_nop 1
	v_cndmask_b32_e32 v2, v5, v2, vcc
	v_ashrrev_i32_e32 v3, 31, v2
	v_lshl_add_u64 v[12:13], v[2:3], 2, s[6:7]
	global_load_dword v5, v[6:7], off
	global_load_dword v4, v[8:9], off
	;; [unrolled: 1-line block ×4, first 2 shown]
	s_andn2_b64 vcc, exec, s[10:11]
	s_cbranch_vccnz .LBB1135_8
; %bb.6:
	s_add_u32 s8, s8, s12
	s_addc_u32 s9, s9, s13
	s_load_dword s5, s[8:9], 0x0
	s_branch .LBB1135_9
.LBB1135_7:
	s_mov_b64 s[12:13], 0
	s_branch .LBB1135_2
.LBB1135_8:
	s_mov_b32 s5, s2
.LBB1135_9:
	s_load_dwordx2 s[8:9], s[0:1], 0x10
	s_load_dwordx4 s[44:47], s[0:1], 0x48
	v_and_b32_e32 v48, 15, v0
	s_movk_i32 s10, 0x80
	v_lshlrev_b32_e32 v6, 3, v48
	v_cmp_gt_u32_e32 vcc, s10, v0
	v_cmp_gt_u32_e64 s[18:19], 8, v48
	v_lshrrev_b32_e32 v47, 6, v0
	v_bfe_u32 v1, v0, 4, 2
	s_lshl_b32 s17, s4, 3
	s_and_b64 s[12:13], vcc, s[18:19]
	v_lshlrev_b32_e32 v26, 1, v6
	v_lshlrev_b32_e32 v46, 4, v0
	s_and_saveexec_b64 s[10:11], s[12:13]
	s_cbranch_execz .LBB1135_11
; %bb.10:
	s_load_dwordx2 s[12:13], s[0:1], 0x0
	s_waitcnt lgkmcnt(0)
	s_ashr_i32 s22, s44, 31
	s_mul_hi_u32 s23, s5, s44
	s_mul_i32 s22, s5, s22
	s_add_i32 s23, s23, s22
	s_mul_i32 s22, s5, s44
	v_lshl_or_b32 v10, v47, 2, v1
	s_lshl_b64 s[22:23], s[22:23], 1
	s_add_u32 s12, s12, s22
	v_add_lshl_u32 v6, v10, s17, 6
	s_addc_u32 s13, s13, s23
	v_ashrrev_i32_e32 v7, 31, v6
	v_lshl_add_u64 v[6:7], v[6:7], 1, s[12:13]
	v_mov_b32_e32 v27, 0
	v_lshl_add_u64 v[6:7], v[6:7], 0, v[26:27]
	global_load_dwordx4 v[6:9], v[6:7], off
	v_lshlrev_b32_e32 v12, 8, v48
	v_lshlrev_b32_e32 v10, 5, v10
	v_and_b32_e32 v11, 16, v46
	v_and_b32_e32 v12, 0xe00, v12
	v_or3_b32 v10, v12, v10, v11
	s_waitcnt vmcnt(0)
	ds_write_b128 v10, v[6:9]
.LBB1135_11:
	s_or_b64 exec, exec, s[10:11]
	s_waitcnt lgkmcnt(0)
	s_mul_i32 s10, s4, s46
	s_add_u32 s4, s14, s10
	s_addc_u32 s5, s15, 0
	v_and_b32_e32 v30, 48, v0
	v_and_b32_e32 v28, 0xf0, v46
	v_mov_b32_e32 v29, 0
	v_lshl_add_u64 v[6:7], s[4:5], 0, v[28:29]
	v_lshlrev_b32_e32 v28, 4, v30
	v_lshl_add_u64 v[6:7], v[6:7], 0, v[28:29]
	s_waitcnt vmcnt(3)
	v_mad_i64_i32 v[8:9], s[4:5], v5, s45, v[6:7]
	s_waitcnt vmcnt(2)
	v_mad_i64_i32 v[4:5], s[4:5], v4, s45, v[6:7]
	s_barrier
	global_load_dwordx4 v[22:25], v[8:9], off
	global_load_dwordx4 v[18:21], v[4:5], off
	s_waitcnt vmcnt(3)
	v_mad_i64_i32 v[4:5], s[4:5], v3, s45, v[6:7]
	s_waitcnt vmcnt(2)
	v_mad_i64_i32 v[2:3], s[4:5], v2, s45, v[6:7]
	global_load_dwordx4 v[14:17], v[4:5], off
	global_load_dwordx4 v[6:9], v[2:3], off
	v_and_b32_e32 v2, 7, v0
	v_lshlrev_b32_e32 v2, 5, v2
	v_lshl_or_b32 v2, v1, 9, v2
	ds_read_b128 v[10:13], v2
	ds_read_b128 v[2:5], v2 offset:16
	v_and_b32_e32 v27, 63, v0
	v_mov_b32_e32 v49, 0
	s_and_saveexec_b64 s[4:5], s[18:19]
	s_cbranch_execz .LBB1135_13
; %bb.12:
	s_load_dwordx2 s[12:13], s[0:1], 0x40
	v_or_b32_e32 v32, s17, v48
	v_ashrrev_i32_e32 v33, 31, v32
	s_waitcnt lgkmcnt(0)
	v_lshl_add_u64 v[32:33], v[32:33], 2, s[12:13]
	global_load_dword v49, v[32:33], off
.LBB1135_13:
	s_or_b64 exec, exec, s[4:5]
	v_or_b32_e32 v51, s20, v30
	v_ashrrev_i32_e32 v28, 4, v51
	v_mov_b32_e32 v67, s21
	v_cmp_gt_i32_e32 vcc, s33, v51
	s_waitcnt vmcnt(3)
	v_cvt_pk_f32_fp8_sdwa v[42:43], v22 src0_sel:WORD_1
	s_mov_b32 s44, 0x7060302
	v_cndmask_b32_e32 v30, v67, v28, vcc
	v_ashrrev_i32_e32 v31, 31, v30
	v_lshl_add_u64 v[30:31], v[30:31], 2, s[6:7]
	global_load_dword v50, v[30:31], off
	v_cvt_pk_f32_fp8_e32 v[30:31], v22
	v_cvt_pk_f32_fp8_e32 v[32:33], v23
	v_cvt_pk_f32_fp8_sdwa v[40:41], v23 src0_sel:WORD_1
	v_cvt_pk_f32_fp8_e32 v[38:39], v24
	v_cvt_pk_f32_fp8_sdwa v[36:37], v24 src0_sel:WORD_1
	;; [unrolled: 2-line block ×3, first 2 shown]
	s_waitcnt vmcnt(3)
	v_cvt_pk_f32_fp8_e32 v[24:25], v18
	v_cvt_pk_f32_fp8_sdwa v[44:45], v18 src0_sel:WORD_1
	v_cvt_pk_f32_fp8_e32 v[52:53], v19
	v_cvt_pk_f32_fp8_sdwa v[54:55], v19 src0_sel:WORD_1
	v_perm_b32 v18, v31, v30, s44
	v_perm_b32 v19, v43, v42, s44
	v_cvt_pk_f32_fp8_e32 v[56:57], v20
	v_cvt_pk_f32_fp8_sdwa v[58:59], v20 src0_sel:WORD_1
	v_lshlrev_b32_e32 v20, 4, v48
	v_perm_b32 v24, v25, v24, s44
	v_perm_b32 v25, v45, v44, s44
	;; [unrolled: 1-line block ×4, first 2 shown]
	v_cvt_pk_f32_fp8_e32 v[60:61], v21
	v_cvt_pk_f32_fp8_sdwa v[62:63], v21 src0_sel:WORD_1
	v_lshl_or_b32 v28, v47, 8, v20
	s_waitcnt lgkmcnt(1)
	v_mfma_f32_16x16x16_bf16 v[18:21], v[18:19], v[10:11], 0
	s_waitcnt vmcnt(2)
	v_cvt_pk_f32_fp8_e32 v[42:43], v14
	v_cvt_pk_f32_fp8_sdwa v[30:31], v14 src0_sel:WORD_1
	v_or_b32_e32 v14, 64, v51
	s_add_u32 s4, s8, s10
	v_or_b32_e32 v40, 0x80, v51
	v_or_b32_e32 v41, 0xc0, v51
	v_ashrrev_i32_e32 v51, 4, v14
	v_cmp_gt_i32_e32 vcc, s33, v14
	s_addc_u32 s5, s9, 0
	v_ashrrev_i32_e32 v66, 4, v40
	v_mfma_f32_16x16x16_bf16 v[18:21], v[44:45], v[12:13], v[18:21]
	v_cndmask_b32_e32 v44, v67, v51, vcc
	v_cmp_gt_i32_e32 vcc, s33, v40
	v_perm_b32 v52, v53, v52, s44
	v_perm_b32 v53, v55, v54, s44
	;; [unrolled: 1-line block ×4, first 2 shown]
	v_ashrrev_i32_e32 v36, 4, v41
	v_lshl_add_u64 v[28:29], s[4:5], 0, v[28:29]
	v_cndmask_b32_e32 v66, v67, v66, vcc
	v_cmp_gt_i32_e32 vcc, s33, v41
	v_mfma_f32_16x16x16_bf16 v[38:41], v[24:25], v[10:11], 0
	s_load_dword s4, s[0:1], 0x1c
	s_load_dwordx4 s[40:43], s[0:1], 0x80
	v_cndmask_b32_e32 v68, v67, v36, vcc
	v_ashrrev_i32_e32 v45, 31, v44
	v_ashrrev_i32_e32 v67, 31, v66
	;; [unrolled: 1-line block ×3, first 2 shown]
	v_perm_b32 v37, v23, v22, s44
	v_mfma_f32_16x16x16_bf16 v[22:25], v[52:53], v[12:13], v[38:41]
	v_perm_b32 v36, v35, v34, s44
	v_perm_b32 v34, v43, v42, s44
	v_lshl_add_u64 v[42:43], v[66:67], 2, s[6:7]
	v_lshl_add_u64 v[40:41], v[44:45], 2, s[6:7]
	;; [unrolled: 1-line block ×3, first 2 shown]
	s_load_dword s46, s[0:1], 0x98
	s_waitcnt lgkmcnt(0)
	s_load_dword s5, s[40:41], 0x0
	global_load_dword v41, v[40:41], off
	s_nop 0
	global_load_dword v51, v[42:43], off
	global_load_dword v52, v[44:45], off
	v_perm_b32 v54, v57, v56, s44
	v_perm_b32 v55, v59, v58, s44
	;; [unrolled: 1-line block ×4, first 2 shown]
	v_mov_b32_e32 v14, s4
	v_cvt_pk_f32_fp8_e32 v[32:33], v15
	v_mfma_f32_16x16x16_bf16 v[22:25], v[54:55], v[2:3], v[22:25]
	s_waitcnt lgkmcnt(0)
	v_mul_f32_e32 v40, s5, v14
	v_perm_b32 v35, v31, v30, s44
	v_cvt_pk_f32_fp8_sdwa v[14:15], v15 src0_sel:WORD_1
	v_mfma_f32_16x16x16_bf16 v[18:21], v[64:65], v[2:3], v[18:21]
	v_cvt_pk_f32_fp8_e32 v[42:43], v16
	v_cvt_pk_f32_fp8_sdwa v[44:45], v16 src0_sel:WORD_1
	s_mov_b32 s47, 0xff7fffff
	v_mfma_f32_16x16x16_bf16 v[22:25], v[38:39], v[4:5], v[22:25]
	v_perm_b32 v38, v33, v32, s44
	v_perm_b32 v39, v15, v14, s44
	v_mfma_f32_16x16x16_bf16 v[30:33], v[34:35], v[10:11], 0
	v_perm_b32 v34, v43, v42, s44
	v_perm_b32 v35, v45, v44, s44
	v_cvt_pk_f32_fp8_e32 v[42:43], v17
	v_mfma_f32_16x16x16_bf16 v[18:21], v[36:37], v[4:5], v[18:21]
	v_cvt_pk_f32_fp8_sdwa v[44:45], v17 src0_sel:WORD_1
	s_waitcnt vmcnt(3)
	v_mad_i64_i32 v[36:37], s[4:5], v50, s45, v[28:29]
	v_mfma_f32_16x16x16_bf16 v[14:17], v[38:39], v[12:13], v[30:33]
	v_mfma_f32_16x16x16_bf16 v[14:17], v[34:35], v[2:3], v[14:17]
	s_nop 1
	v_cvt_pk_f32_fp8_sdwa v[32:33], v6 src0_sel:WORD_1
	v_cvt_pk_f32_fp8_e32 v[34:35], v8
	s_waitcnt vmcnt(2)
	v_pk_mul_f32 v[30:31], v[40:41], v[20:21] op_sel_hi:[0,1]
	v_perm_b32 v20, v43, v42, s44
	v_perm_b32 v21, v45, v44, s44
	v_pk_mul_f32 v[38:39], v[40:41], v[18:19] op_sel_hi:[0,1]
	v_cvt_pk_f32_fp8_e32 v[18:19], v6
	v_mfma_f32_16x16x16_bf16 v[14:17], v[20:21], v[4:5], v[14:17]
	v_cvt_pk_f32_fp8_e32 v[20:21], v7
	v_perm_b32 v18, v19, v18, s44
	v_perm_b32 v19, v33, v32, s44
	v_cvt_pk_f32_fp8_sdwa v[6:7], v7 src0_sel:WORD_1
	v_perm_b32 v32, v21, v20, s44
	v_cvt_pk_f32_fp8_sdwa v[42:43], v8 src0_sel:WORD_1
	v_mfma_f32_16x16x16_bf16 v[18:21], v[18:19], v[10:11], 0
	v_perm_b32 v33, v7, v6, s44
	v_perm_b32 v10, v35, v34, s44
	;; [unrolled: 1-line block ×3, first 2 shown]
	v_cvt_pk_f32_fp8_e32 v[34:35], v9
	v_cvt_pk_f32_fp8_sdwa v[42:43], v9 src0_sel:WORD_1
	v_mfma_f32_16x16x16_bf16 v[6:9], v[32:33], v[12:13], v[18:21]
	v_pk_mul_f32 v[32:33], v[40:41], v[24:25] op_sel_hi:[0,1]
	v_perm_b32 v12, v35, v34, s44
	v_perm_b32 v13, v43, v42, s44
	v_mfma_f32_16x16x16_bf16 v[6:9], v[10:11], v[2:3], v[6:9]
	v_pk_mul_f32 v[34:35], v[40:41], v[22:23] op_sel_hi:[0,1]
	v_pk_mul_f32 v[22:23], v[40:41], v[16:17] op_sel_hi:[0,1]
	;; [unrolled: 1-line block ×3, first 2 shown]
	v_mfma_f32_16x16x16_bf16 v[2:5], v[12:13], v[4:5], v[6:9]
	s_nop 6
	v_pk_mul_f32 v[20:21], v[40:41], v[2:3] op_sel_hi:[0,1]
	v_and_b32_e32 v2, 0xc0, v0
	v_add_u32_e32 v2, s20, v2
	v_lshl_or_b32 v2, v1, 2, v2
	v_or_b32_e32 v3, 1, v2
	v_pk_mul_f32 v[18:19], v[40:41], v[4:5] op_sel_hi:[0,1]
	v_subrev_u32_e32 v4, s33, v3
	v_add_u32_e32 v6, 1, v4
	v_add_u32_e32 v7, 2, v4
	;; [unrolled: 1-line block ×3, first 2 shown]
	v_cvt_f32_i32_e32 v6, v6
	v_cvt_f32_i32_e32 v7, v7
	;; [unrolled: 1-line block ×3, first 2 shown]
	v_add_u32_e32 v9, 19, v4
	v_fmac_f32_e32 v39, v49, v6
	v_fma_f32 v30, v49, v7, v30
	v_fmac_f32_e32 v31, v49, v8
	v_add_u32_e32 v6, 16, v4
	v_add_u32_e32 v7, 17, v4
	;; [unrolled: 1-line block ×3, first 2 shown]
	v_cvt_f32_i32_e32 v6, v6
	v_cvt_f32_i32_e32 v7, v7
	;; [unrolled: 1-line block ×4, first 2 shown]
	v_fma_f32 v34, v49, v6, v34
	v_fmac_f32_e32 v35, v49, v7
	v_fma_f32 v40, v49, v8, v32
	v_add_u32_e32 v6, 32, v4
	v_add_u32_e32 v7, 33, v4
	;; [unrolled: 1-line block ×3, first 2 shown]
	v_cvt_f32_i32_e32 v6, v6
	v_cvt_f32_i32_e32 v7, v7
	;; [unrolled: 1-line block ×4, first 2 shown]
	v_fmac_f32_e32 v33, v49, v9
	v_add_u32_e32 v9, 35, v4
	v_fma_f32 v24, v49, v6, v24
	v_fmac_f32_e32 v25, v49, v7
	v_fma_f32 v22, v49, v8, v22
	v_add_u32_e32 v6, 48, v4
	v_add_u32_e32 v7, 49, v4
	;; [unrolled: 1-line block ×4, first 2 shown]
	v_cvt_f32_i32_e32 v4, v4
	v_cvt_f32_i32_e32 v6, v6
	;; [unrolled: 1-line block ×3, first 2 shown]
	v_fma_f32 v5, v49, v5, v38
	v_fmac_f32_e32 v19, v49, v4
	v_mov_b32_e32 v4, 0xff7fffff
	v_cmp_gt_i32_e64 s[4:5], s33, v2
	v_cmp_gt_i32_e64 s[20:21], s33, v3
	v_fma_f32 v20, v49, v6, v20
	v_cndmask_b32_e64 v6, v4, v5, s[4:5]
	v_cndmask_b32_e64 v3, v4, v39, s[20:21]
	v_fmac_f32_e32 v21, v49, v7
	v_max3_f32 v3, v6, s47, v3
	v_or_b32_e32 v6, 2, v2
	v_or_b32_e32 v7, 3, v2
	v_cmp_gt_i32_e64 s[22:23], s33, v6
	v_cmp_gt_i32_e64 s[24:25], s33, v7
	v_cvt_f32_i32_e32 v9, v9
	v_cndmask_b32_e64 v6, v4, v30, s[22:23]
	v_cndmask_b32_e64 v7, v4, v31, s[24:25]
	v_max3_f32 v3, v3, v6, v7
	v_or_b32_e32 v6, 16, v2
	v_or_b32_e32 v7, 17, v2
	v_cmp_gt_i32_e64 s[26:27], s33, v6
	v_cmp_gt_i32_e64 s[28:29], s33, v7
	v_fmac_f32_e32 v23, v49, v9
	v_cndmask_b32_e64 v6, v4, v34, s[26:27]
	v_cndmask_b32_e64 v7, v4, v35, s[28:29]
	v_max3_f32 v3, v3, v6, v7
	v_or_b32_e32 v6, 18, v2
	v_or_b32_e32 v7, 19, v2
	v_cmp_gt_i32_e64 s[30:31], s33, v6
	v_cmp_gt_i32_e64 s[34:35], s33, v7
	v_cvt_f32_i32_e32 v8, v8
	v_cndmask_b32_e64 v6, v4, v40, s[30:31]
	v_cndmask_b32_e64 v7, v4, v33, s[34:35]
	v_max3_f32 v3, v3, v6, v7
	v_or_b32_e32 v6, 32, v2
	v_or_b32_e32 v7, 33, v2
	v_cmp_gt_i32_e64 s[36:37], s33, v6
	v_cmp_gt_i32_e64 s[38:39], s33, v7
	v_fma_f32 v18, v49, v8, v18
	v_cndmask_b32_e64 v6, v4, v24, s[36:37]
	v_cndmask_b32_e64 v7, v4, v25, s[38:39]
	v_max3_f32 v3, v3, v6, v7
	v_or_b32_e32 v6, 34, v2
	v_or_b32_e32 v7, 35, v2
	v_cmp_gt_i32_e64 s[12:13], s33, v6
	v_cmp_gt_i32_e64 s[14:15], s33, v7
	s_nop 0
	v_cndmask_b32_e64 v6, v4, v22, s[12:13]
	v_cndmask_b32_e64 v7, v4, v23, s[14:15]
	v_max3_f32 v3, v3, v6, v7
	v_or_b32_e32 v6, 48, v2
	v_or_b32_e32 v7, 49, v2
	v_cmp_gt_i32_e64 s[8:9], s33, v6
	v_cmp_gt_i32_e64 s[10:11], s33, v7
	s_nop 0
	v_cndmask_b32_e64 v6, v4, v20, s[8:9]
	v_cndmask_b32_e64 v7, v4, v21, s[10:11]
	v_max3_f32 v3, v3, v6, v7
	v_or_b32_e32 v6, 50, v2
	v_or_b32_e32 v2, 51, v2
	v_cmp_gt_i32_e32 vcc, s33, v6
	v_cmp_gt_i32_e64 s[6:7], s33, v2
	s_nop 0
	v_cndmask_b32_e32 v6, v4, v18, vcc
	v_cndmask_b32_e64 v2, v4, v19, s[6:7]
	v_max3_f32 v4, v3, v6, v2
	v_mbcnt_lo_u32_b32 v2, -1, 0
	v_mbcnt_hi_u32_b32 v6, -1, v2
	v_and_b32_e32 v2, 64, v6
	v_add_u32_e32 v7, 64, v2
	v_xor_b32_e32 v2, 32, v6
	v_cmp_lt_i32_e64 s[40:41], v2, v7
	s_nop 1
	v_cndmask_b32_e64 v2, v6, v2, s[40:41]
	v_lshlrev_b32_e32 v42, 2, v2
	ds_bpermute_b32 v8, v42, v4
	v_mad_i64_i32 v[2:3], s[40:41], v41, s45, v[28:29]
	global_load_dwordx4 v[14:17], v[36:37], off
	global_load_dwordx4 v[10:13], v[2:3], off
	v_xor_b32_e32 v3, 16, v6
	v_cmp_lt_i32_e64 s[40:41], v3, v7
	s_waitcnt lgkmcnt(0)
	v_max_f32_e32 v2, v8, v8
	v_max_f32_e32 v2, v4, v2
	v_cndmask_b32_e64 v3, v6, v3, s[40:41]
	v_lshlrev_b32_e32 v41, 2, v3
	ds_bpermute_b32 v3, v41, v2
	s_waitcnt vmcnt(3)
	v_mad_i64_i32 v[36:37], s[40:41], v51, s45, v[28:29]
	s_waitcnt vmcnt(2)
	v_mad_i64_i32 v[28:29], s[40:41], v52, s45, v[28:29]
	s_waitcnt lgkmcnt(0)
	v_max_f32_e32 v3, v3, v3
	v_max_f32_e32 v32, v2, v3
	v_sub_f32_e32 v2, v5, v32
	v_mul_f32_e32 v2, 0x3fb8aa3b, v2
	v_exp_f32_e32 v38, v2
	v_sub_f32_e32 v2, v39, v32
	v_mul_f32_e32 v2, 0x3fb8aa3b, v2
	v_exp_f32_e32 v39, v2
	global_load_dwordx4 v[6:9], v[36:37], off
	global_load_dwordx4 v[2:5], v[28:29], off
	v_sub_f32_e32 v29, v30, v32
	v_sub_f32_e32 v30, v31, v32
	v_mul_f32_e32 v29, 0x3fb8aa3b, v29
	v_mul_f32_e32 v30, 0x3fb8aa3b, v30
	v_exp_f32_e32 v29, v29
	v_exp_f32_e32 v30, v30
	v_cndmask_b32_e64 v36, 0, v38, s[4:5]
	v_cndmask_b32_e64 v37, 0, v39, s[20:21]
	;; [unrolled: 1-line block ×4, first 2 shown]
	v_sub_f32_e32 v29, v34, v32
	v_sub_f32_e32 v30, v35, v32
	v_mul_f32_e32 v29, 0x3fb8aa3b, v29
	v_mul_f32_e32 v30, 0x3fb8aa3b, v30
	v_exp_f32_e32 v29, v29
	v_exp_f32_e32 v30, v30
	v_add_f32_e32 v28, 0, v36
	v_add_f32_e32 v28, v28, v37
	;; [unrolled: 1-line block ×4, first 2 shown]
	v_cndmask_b32_e64 v28, 0, v29, s[26:27]
	v_cndmask_b32_e64 v29, 0, v30, s[28:29]
	v_sub_f32_e32 v30, v40, v32
	v_mul_f32_e32 v30, 0x3fb8aa3b, v30
	v_sub_f32_e32 v33, v33, v32
	v_exp_f32_e32 v30, v30
	v_mul_f32_e32 v33, 0x3fb8aa3b, v33
	v_sub_f32_e32 v24, v24, v32
	v_exp_f32_e32 v33, v33
	;; [unrolled: 3-line block ×3, first 2 shown]
	v_mul_f32_e32 v25, 0x3fb8aa3b, v25
	v_sub_f32_e32 v22, v22, v32
	v_add_f32_e32 v31, v31, v28
	v_exp_f32_e32 v25, v25
	v_mul_f32_e32 v22, 0x3fb8aa3b, v22
	v_sub_f32_e32 v23, v23, v32
	v_add_f32_e32 v31, v31, v29
	v_cndmask_b32_e64 v30, 0, v30, s[30:31]
	v_exp_f32_e32 v22, v22
	v_mul_f32_e32 v23, 0x3fb8aa3b, v23
	v_sub_f32_e32 v20, v20, v32
	v_add_f32_e32 v34, v31, v30
	v_cndmask_b32_e64 v31, 0, v33, s[34:35]
	;; [unrolled: 5-line block ×5, first 2 shown]
	v_exp_f32_e32 v18, v18
	v_mul_f32_e32 v19, 0x3fb8aa3b, v19
	v_add_f32_e32 v33, v33, v22
	v_cndmask_b32_e64 v23, 0, v23, s[14:15]
	v_exp_f32_e32 v19, v19
	v_add_f32_e32 v33, v33, v23
	v_cndmask_b32_e64 v20, 0, v20, s[8:9]
	v_add_f32_e32 v33, v33, v20
	v_cndmask_b32_e64 v21, 0, v21, s[10:11]
	v_add_f32_e32 v33, v33, v21
	v_cndmask_b32_e32 v18, 0, v18, vcc
	v_add_f32_e32 v33, v33, v18
	v_cndmask_b32_e64 v19, 0, v19, s[6:7]
	v_add_f32_e32 v33, v33, v19
	ds_bpermute_b32 v34, v42, v33
	v_cmp_gt_u32_e32 vcc, 16, v27
	s_waitcnt lgkmcnt(0)
	s_barrier
	v_add_f32_e32 v34, v33, v34
	ds_bpermute_b32 v35, v41, v34
	v_lshlrev_b32_e32 v33, 2, v48
	s_and_saveexec_b64 s[4:5], vcc
	s_cbranch_execz .LBB1135_15
; %bb.14:
	s_waitcnt lgkmcnt(0)
	v_add_f32_e32 v27, v34, v35
	v_lshl_or_b32 v34, v47, 6, v33
	ds_write2st64_b32 v34, v32, v27 offset1:1
.LBB1135_15:
	s_or_b64 exec, exec, s[4:5]
	s_load_dword s6, s[0:1], 0x94
	s_waitcnt lgkmcnt(0)
	s_barrier
	ds_read2_b32 v[34:35], v33 offset1:16
	ds_read2_b32 v[40:41], v33 offset0:32 offset1:48
	ds_read2_b32 v[42:43], v33 offset0:64 offset1:80
	s_movk_i32 s8, 0x7fff
	s_lshl_b32 s7, s46, 3
	s_waitcnt lgkmcnt(2)
	v_max3_f32 v27, v34, s47, v35
	s_waitcnt lgkmcnt(1)
	v_max3_f32 v27, v27, v40, v41
	v_sub_f32_e32 v32, v34, v27
	v_sub_f32_e32 v34, v35, v27
	v_mul_f32_e32 v34, 0x3fb8aa3b, v34
	v_mul_f32_e32 v32, 0x3fb8aa3b, v32
	v_exp_f32_e32 v44, v34
	v_sub_f32_e32 v34, v40, v27
	v_exp_f32_e32 v32, v32
	v_mul_f32_e32 v34, 0x3fb8aa3b, v34
	v_exp_f32_e32 v40, v34
	ds_read2_b32 v[34:35], v33 offset0:96 offset1:112
	v_sub_f32_e32 v33, v41, v27
	v_mul_f32_e32 v33, 0x3fb8aa3b, v33
	v_exp_f32_e32 v41, v33
	s_waitcnt lgkmcnt(1)
	v_fma_f32 v33, v32, v42, 0
	v_fmac_f32_e32 v33, v44, v43
	s_waitcnt lgkmcnt(0)
	v_fmac_f32_e32 v33, v40, v34
	v_fmac_f32_e32 v33, v41, v35
	v_add_f32_e32 v34, 0x358637bd, v33
	v_div_scale_f32 v35, s[4:5], v34, v34, 1.0
	v_rcp_f32_e32 v42, v35
	s_barrier
	v_fma_f32 v43, -v35, v42, 1.0
	v_fmac_f32_e32 v42, v43, v42
	v_div_scale_f32 v43, vcc, 1.0, v34, 1.0
	v_mul_f32_e32 v45, v43, v42
	v_fma_f32 v49, -v35, v45, v43
	v_fmac_f32_e32 v45, v49, v42
	v_fma_f32 v35, -v35, v45, v43
	v_div_fmas_f32 v35, v35, v42, v45
	v_cmp_eq_u32_e32 vcc, 1, v47
	v_div_fixup_f32 v34, v35, v34, 1.0
	s_nop 0
	v_cndmask_b32_e32 v32, v32, v44, vcc
	v_cmp_eq_u32_e32 vcc, 2, v47
	s_nop 1
	v_cndmask_b32_e32 v32, v32, v40, vcc
	v_cmp_eq_u32_e32 vcc, 3, v47
	s_nop 1
	v_cndmask_b32_e32 v32, v32, v41, vcc
	v_mul_f32_e32 v40, v32, v34
	v_pk_mul_f32 v[36:37], v[40:41], v[36:37] op_sel_hi:[0,1]
	v_pk_mul_f32 v[34:35], v[40:41], v[38:39] op_sel_hi:[0,1]
	v_bfe_u32 v32, v37, 16, 1
	v_bfe_u32 v38, v36, 16, 1
	v_add3_u32 v36, v36, v38, s8
	v_add3_u32 v32, v37, v32, s8
	v_perm_b32 v36, v32, v36, s44
	v_bfe_u32 v32, v35, 16, 1
	v_bfe_u32 v37, v34, 16, 1
	v_add3_u32 v34, v34, v37, s8
	v_add3_u32 v32, v35, v32, s8
	v_perm_b32 v37, v32, v34, s44
	v_lshlrev_b32_e32 v32, 3, v1
	v_lshlrev_b32_e32 v34, 5, v48
	;; [unrolled: 1-line block ×3, first 2 shown]
	v_pk_mul_f32 v[28:29], v[40:41], v[28:29] op_sel_hi:[0,1]
	v_or3_b32 v32, v35, v34, v32
	v_bfe_u32 v35, v29, 16, 1
	v_bfe_u32 v38, v28, 16, 1
	v_pk_mul_f32 v[30:31], v[40:41], v[30:31] op_sel_hi:[0,1]
	v_add3_u32 v28, v28, v38, s8
	v_add3_u32 v29, v29, v35, s8
	v_perm_b32 v28, v29, v28, s44
	v_bfe_u32 v29, v31, 16, 1
	v_bfe_u32 v35, v30, 16, 1
	v_add3_u32 v30, v30, v35, s8
	v_add3_u32 v29, v31, v29, s8
	v_perm_b32 v29, v29, v30, s44
	v_pk_mul_f32 v[24:25], v[40:41], v[24:25] op_sel_hi:[0,1]
	ds_write2st64_b64 v32, v[36:37], v[28:29] offset1:1
	v_bfe_u32 v28, v25, 16, 1
	v_bfe_u32 v29, v24, 16, 1
	v_pk_mul_f32 v[22:23], v[40:41], v[22:23] op_sel_hi:[0,1]
	v_add3_u32 v24, v24, v29, s8
	v_add3_u32 v25, v25, v28, s8
	v_perm_b32 v24, v25, v24, s44
	v_bfe_u32 v25, v23, 16, 1
	v_bfe_u32 v28, v22, 16, 1
	v_add3_u32 v22, v22, v28, s8
	v_add3_u32 v23, v23, v25, s8
	v_pk_mul_f32 v[20:21], v[40:41], v[20:21] op_sel_hi:[0,1]
	v_perm_b32 v25, v23, v22, s44
	v_bfe_u32 v22, v21, 16, 1
	v_bfe_u32 v23, v20, 16, 1
	v_pk_mul_f32 v[18:19], v[40:41], v[18:19] op_sel_hi:[0,1]
	v_add3_u32 v20, v20, v23, s8
	v_add3_u32 v21, v21, v22, s8
	v_perm_b32 v20, v21, v20, s44
	v_bfe_u32 v21, v19, 16, 1
	v_bfe_u32 v22, v18, 16, 1
	v_add3_u32 v18, v18, v22, s8
	v_add3_u32 v19, v19, v21, s8
	v_perm_b32 v21, v19, v18, s44
	v_cmp_gt_u32_e32 vcc, 8, v0
	ds_write2st64_b64 v32, v[24:25], v[20:21] offset0:2 offset1:3
	s_and_saveexec_b64 s[4:5], vcc
	s_cbranch_execz .LBB1135_17
; %bb.16:
	v_or_b32_e32 v18, s17, v0
	v_mov_b32_e32 v19, 0
	v_mov_b32_e32 v20, s7
	v_mad_u64_u32 v[20:21], s[10:11], s2, v20, v[18:19]
	v_mov_b32_e32 v18, s16
	s_load_dwordx4 s[12:15], s[0:1], 0x58
	s_mul_i32 s3, s3, s7
	v_mad_u64_u32 v[18:19], s[10:11], v20, s6, v[18:19]
	v_add_u32_e32 v21, s3, v21
	v_mov_b32_e32 v20, v19
	v_mad_u64_u32 v[20:21], s[10:11], v21, s6, v[20:21]
	v_mov_b32_e32 v19, v20
	v_lshlrev_b64 v[18:19], 2, v[18:19]
	s_waitcnt lgkmcnt(0)
	v_lshl_add_u64 v[20:21], s[14:15], 0, v[18:19]
	v_lshl_add_u64 v[18:19], s[12:13], 0, v[18:19]
	global_store_dword v[20:21], v27, off
	global_store_dword v[18:19], v33, off
.LBB1135_17:
	s_or_b64 exec, exec, s[4:5]
	s_waitcnt vmcnt(3)
	v_cvt_pk_f32_fp8_e32 v[18:19], v14
	v_cvt_pk_f32_fp8_sdwa v[20:21], v14 src0_sel:WORD_1
	s_mov_b32 s4, 0x7060302
	v_lshl_or_b32 v14, v1, 9, v34
	s_waitcnt lgkmcnt(0)
	s_barrier
	v_perm_b32 v28, v19, v18, s4
	v_perm_b32 v29, v21, v20, s4
	v_cvt_pk_f32_fp8_e32 v[22:23], v15
	ds_read_b128 v[18:21], v14
	v_cvt_pk_f32_fp8_sdwa v[34:35], v15 src0_sel:WORD_1
	v_cvt_pk_f32_fp8_sdwa v[38:39], v16 src0_sel:WORD_1
	v_perm_b32 v36, v23, v22, s4
	ds_read_b128 v[22:25], v14 offset:16
	v_perm_b32 v37, v35, v34, s4
	s_waitcnt lgkmcnt(1)
	v_mfma_f32_16x16x16_bf16 v[28:31], v[28:29], v[18:19], 0
	v_cvt_pk_f32_fp8_e32 v[34:35], v16
	s_load_dword s10, s[42:43], 0x0
	v_cmp_gt_u32_e32 vcc, 64, v0
	v_mfma_f32_16x16x16_bf16 v[18:21], v[36:37], v[20:21], v[28:31]
	s_waitcnt vmcnt(2)
	v_cvt_pk_f32_fp8_sdwa v[36:37], v10 src0_sel:WORD_1
	s_mov_b32 s3, 0
	v_mov_b32_e32 v27, 0
	v_cvt_pk_f32_fp8_e32 v[28:29], v17
	v_perm_b32 v30, v35, v34, s4
	v_perm_b32 v31, v39, v38, s4
	v_cvt_pk_f32_fp8_sdwa v[16:17], v17 src0_sel:WORD_1
	v_perm_b32 v28, v29, v28, s4
	v_cvt_pk_f32_fp8_e32 v[34:35], v10
	v_perm_b32 v29, v17, v16, s4
	s_waitcnt lgkmcnt(0)
	v_mfma_f32_16x16x16_bf16 v[16:19], v[30:31], v[22:23], v[18:21]
	v_perm_b32 v34, v35, v34, s4
	v_perm_b32 v35, v37, v36, s4
	v_cvt_pk_f32_fp8_e32 v[30:31], v11
	ds_read_b128 v[20:23], v14 offset:2048
	v_cvt_pk_f32_fp8_sdwa v[10:11], v11 src0_sel:WORD_1
	v_mfma_f32_16x16x16_bf16 v[16:19], v[28:29], v[24:25], v[16:19]
	v_perm_b32 v24, v31, v30, s4
	ds_read_b128 v[28:31], v14 offset:2064
	v_perm_b32 v25, v11, v10, s4
	s_waitcnt lgkmcnt(1)
	v_mfma_f32_16x16x16_bf16 v[16:19], v[34:35], v[20:21], v[16:19]
	v_cvt_pk_f32_fp8_e32 v[10:11], v12
	v_cvt_pk_f32_fp8_sdwa v[20:21], v12 src0_sel:WORD_1
	v_perm_b32 v10, v11, v10, s4
	v_mfma_f32_16x16x16_bf16 v[16:19], v[24:25], v[22:23], v[16:19]
	v_cvt_pk_f32_fp8_e32 v[22:23], v13
	v_perm_b32 v11, v21, v20, s4
	v_cvt_pk_f32_fp8_sdwa v[12:13], v13 src0_sel:WORD_1
	s_waitcnt vmcnt(1)
	v_cvt_pk_f32_fp8_sdwa v[24:25], v6 src0_sel:WORD_1
	v_perm_b32 v20, v23, v22, s4
	v_cvt_pk_f32_fp8_e32 v[22:23], v6
	v_perm_b32 v21, v13, v12, s4
	s_waitcnt lgkmcnt(0)
	v_mfma_f32_16x16x16_bf16 v[10:13], v[10:11], v[28:29], v[16:19]
	v_perm_b32 v29, v25, v24, s4
	v_perm_b32 v28, v23, v22, s4
	v_cvt_pk_f32_fp8_e32 v[22:23], v7
	ds_read_b128 v[16:19], v14 offset:4096
	v_cvt_pk_f32_fp8_sdwa v[6:7], v7 src0_sel:WORD_1
	v_mfma_f32_16x16x16_bf16 v[10:13], v[20:21], v[30:31], v[10:13]
	v_perm_b32 v24, v23, v22, s4
	ds_read_b128 v[20:23], v14 offset:4112
	v_perm_b32 v25, v7, v6, s4
	s_waitcnt lgkmcnt(1)
	v_mfma_f32_16x16x16_bf16 v[10:13], v[28:29], v[16:17], v[10:13]
	v_cvt_pk_f32_fp8_e32 v[6:7], v8
	v_cvt_pk_f32_fp8_sdwa v[16:17], v8 src0_sel:WORD_1
	v_perm_b32 v6, v7, v6, s4
	v_mfma_f32_16x16x16_bf16 v[10:13], v[24:25], v[18:19], v[10:13]
	v_cvt_pk_f32_fp8_e32 v[18:19], v9
	v_perm_b32 v7, v17, v16, s4
	v_cvt_pk_f32_fp8_sdwa v[8:9], v9 src0_sel:WORD_1
	s_waitcnt vmcnt(0)
	v_cvt_pk_f32_fp8_sdwa v[24:25], v2 src0_sel:WORD_1
	v_perm_b32 v16, v19, v18, s4
	v_cvt_pk_f32_fp8_e32 v[18:19], v2
	v_perm_b32 v17, v9, v8, s4
	s_waitcnt lgkmcnt(0)
	v_mfma_f32_16x16x16_bf16 v[6:9], v[6:7], v[20:21], v[10:13]
	v_cvt_pk_f32_fp8_e32 v[20:21], v3
	v_perm_b32 v18, v19, v18, s4
	v_perm_b32 v19, v25, v24, s4
	ds_read_b128 v[10:13], v14 offset:6144
	v_cvt_pk_f32_fp8_sdwa v[2:3], v3 src0_sel:WORD_1
	v_mfma_f32_16x16x16_bf16 v[6:9], v[16:17], v[22:23], v[6:9]
	v_perm_b32 v20, v21, v20, s4
	ds_read_b128 v[14:17], v14 offset:6160
	v_perm_b32 v21, v3, v2, s4
	s_waitcnt lgkmcnt(1)
	v_mfma_f32_16x16x16_bf16 v[6:9], v[18:19], v[10:11], v[6:9]
	v_cvt_pk_f32_fp8_e32 v[2:3], v4
	v_cvt_pk_f32_fp8_sdwa v[10:11], v4 src0_sel:WORD_1
	s_waitcnt lgkmcnt(0)
	v_mfma_f32_16x16x16_bf16 v[6:9], v[20:21], v[12:13], v[6:9]
	v_perm_b32 v2, v3, v2, s4
	v_perm_b32 v3, v11, v10, s4
	v_cvt_pk_f32_fp8_e32 v[10:11], v5
	v_cvt_pk_f32_fp8_sdwa v[4:5], v5 src0_sel:WORD_1
	s_barrier
	v_perm_b32 v10, v11, v10, s4
	v_perm_b32 v11, v5, v4, s4
	v_mfma_f32_16x16x16_bf16 v[2:5], v[2:3], v[14:15], v[6:9]
	s_nop 0
	v_mfma_f32_16x16x16_bf16 v[2:5], v[10:11], v[16:17], v[2:5]
	s_nop 6
	v_pk_mul_f32 v[2:3], v[2:3], s[10:11] op_sel_hi:[1,0]
	v_pk_mul_f32 v[4:5], v[4:5], s[10:11] op_sel_hi:[1,0]
	v_bfe_u32 v6, v3, 16, 1
	v_bfe_u32 v7, v2, 16, 1
	v_add3_u32 v2, v2, v7, s8
	v_add3_u32 v3, v3, v6, s8
	v_perm_b32 v2, v3, v2, s4
	v_bfe_u32 v3, v5, 16, 1
	v_bfe_u32 v6, v4, 16, 1
	v_add3_u32 v4, v4, v6, s8
	v_add3_u32 v3, v5, v3, s8
	v_perm_b32 v3, v3, v4, s4
	s_and_b64 s[4:5], vcc, s[18:19]
	ds_write_b64 v32, v[2:3]
	s_waitcnt lgkmcnt(0)
	s_barrier
	s_and_saveexec_b64 s[8:9], s[4:5]
	s_cbranch_execz .LBB1135_19
; %bb.18:
	s_load_dwordx2 s[0:1], s[0:1], 0x68
	s_lshl_b32 s6, s6, 6
	s_mul_i32 s2, s7, s2
	s_mul_hi_u32 s5, s2, s6
	s_mul_i32 s4, s2, s6
	s_lshl_b64 s[4:5], s[4:5], 1
	v_lshlrev_b32_e32 v0, 10, v0
	s_waitcnt lgkmcnt(0)
	s_add_u32 s4, s0, s4
	v_and_b32_e32 v0, 0x1800, v0
	v_lshlrev_b32_e32 v2, 5, v1
	v_and_b32_e32 v3, 16, v46
	s_addc_u32 s5, s1, s5
	s_lshl_b32 s2, s16, 6
	v_or3_b32 v0, v0, v2, v3
	s_lshl_b64 s[0:1], s[2:3], 1
	ds_read_b128 v[2:5], v0
	ds_read_b128 v[6:9], v0 offset:128
	s_add_u32 s0, s4, s0
	s_addc_u32 s1, s5, s1
	v_or_b32_e32 v12, s17, v1
	v_lshl_add_u64 v[10:11], s[0:1], 0, v[26:27]
	v_mad_u64_u32 v[0:1], s[0:1], v12, s6, 0
	v_lshl_add_u64 v[0:1], v[0:1], 1, v[10:11]
	s_waitcnt lgkmcnt(1)
	global_store_dwordx4 v[0:1], v[2:5], off
	v_or_b32_e32 v0, 4, v12
	v_mad_u64_u32 v[0:1], s[0:1], v0, s6, 0
	v_lshl_add_u64 v[0:1], v[0:1], 1, v[10:11]
	s_waitcnt lgkmcnt(0)
	global_store_dwordx4 v[0:1], v[6:9], off
.LBB1135_19:
	s_endpgm
	.section	.rodata,"a",@progbits
	.p2align	6, 0x0
	.amdhsa_kernel _Z39paged_attention_ll4mi_QKV_mfma16_kernelI14__hip_bfloat16hLN4vllm18Fp8KVCacheDataTypeE1ES0_Li16ELi64ELi256ELb1ELi8EEvPKT_PKT0_S8_ifPKiSA_SA_iPKfiiiPfSD_PS3_PT2_iSC_SC_
		.amdhsa_group_segment_fixed_size 8192
		.amdhsa_private_segment_fixed_size 0
		.amdhsa_kernarg_size 400
		.amdhsa_user_sgpr_count 2
		.amdhsa_user_sgpr_dispatch_ptr 0
		.amdhsa_user_sgpr_queue_ptr 0
		.amdhsa_user_sgpr_kernarg_segment_ptr 1
		.amdhsa_user_sgpr_dispatch_id 0
		.amdhsa_user_sgpr_kernarg_preload_length 0
		.amdhsa_user_sgpr_kernarg_preload_offset 0
		.amdhsa_user_sgpr_private_segment_size 0
		.amdhsa_uses_dynamic_stack 0
		.amdhsa_enable_private_segment 0
		.amdhsa_system_sgpr_workgroup_id_x 1
		.amdhsa_system_sgpr_workgroup_id_y 1
		.amdhsa_system_sgpr_workgroup_id_z 1
		.amdhsa_system_sgpr_workgroup_info 0
		.amdhsa_system_vgpr_workitem_id 0
		.amdhsa_next_free_vgpr 70
		.amdhsa_next_free_sgpr 48
		.amdhsa_accum_offset 72
		.amdhsa_reserve_vcc 1
		.amdhsa_float_round_mode_32 0
		.amdhsa_float_round_mode_16_64 0
		.amdhsa_float_denorm_mode_32 3
		.amdhsa_float_denorm_mode_16_64 3
		.amdhsa_dx10_clamp 1
		.amdhsa_ieee_mode 1
		.amdhsa_fp16_overflow 0
		.amdhsa_tg_split 0
		.amdhsa_exception_fp_ieee_invalid_op 0
		.amdhsa_exception_fp_denorm_src 0
		.amdhsa_exception_fp_ieee_div_zero 0
		.amdhsa_exception_fp_ieee_overflow 0
		.amdhsa_exception_fp_ieee_underflow 0
		.amdhsa_exception_fp_ieee_inexact 0
		.amdhsa_exception_int_div_zero 0
	.end_amdhsa_kernel
	.section	.text._Z39paged_attention_ll4mi_QKV_mfma16_kernelI14__hip_bfloat16hLN4vllm18Fp8KVCacheDataTypeE1ES0_Li16ELi64ELi256ELb1ELi8EEvPKT_PKT0_S8_ifPKiSA_SA_iPKfiiiPfSD_PS3_PT2_iSC_SC_,"axG",@progbits,_Z39paged_attention_ll4mi_QKV_mfma16_kernelI14__hip_bfloat16hLN4vllm18Fp8KVCacheDataTypeE1ES0_Li16ELi64ELi256ELb1ELi8EEvPKT_PKT0_S8_ifPKiSA_SA_iPKfiiiPfSD_PS3_PT2_iSC_SC_,comdat
.Lfunc_end1135:
	.size	_Z39paged_attention_ll4mi_QKV_mfma16_kernelI14__hip_bfloat16hLN4vllm18Fp8KVCacheDataTypeE1ES0_Li16ELi64ELi256ELb1ELi8EEvPKT_PKT0_S8_ifPKiSA_SA_iPKfiiiPfSD_PS3_PT2_iSC_SC_, .Lfunc_end1135-_Z39paged_attention_ll4mi_QKV_mfma16_kernelI14__hip_bfloat16hLN4vllm18Fp8KVCacheDataTypeE1ES0_Li16ELi64ELi256ELb1ELi8EEvPKT_PKT0_S8_ifPKiSA_SA_iPKfiiiPfSD_PS3_PT2_iSC_SC_
                                        ; -- End function
	.section	.AMDGPU.csdata,"",@progbits
; Kernel info:
; codeLenInByte = 5064
; NumSgprs: 54
; NumVgprs: 70
; NumAgprs: 0
; TotalNumVgprs: 70
; ScratchSize: 0
; MemoryBound: 0
; FloatMode: 240
; IeeeMode: 1
; LDSByteSize: 8192 bytes/workgroup (compile time only)
; SGPRBlocks: 6
; VGPRBlocks: 8
; NumSGPRsForWavesPerEU: 54
; NumVGPRsForWavesPerEU: 70
; AccumOffset: 72
; Occupancy: 7
; WaveLimiterHint : 1
; COMPUTE_PGM_RSRC2:SCRATCH_EN: 0
; COMPUTE_PGM_RSRC2:USER_SGPR: 2
; COMPUTE_PGM_RSRC2:TRAP_HANDLER: 0
; COMPUTE_PGM_RSRC2:TGID_X_EN: 1
; COMPUTE_PGM_RSRC2:TGID_Y_EN: 1
; COMPUTE_PGM_RSRC2:TGID_Z_EN: 1
; COMPUTE_PGM_RSRC2:TIDIG_COMP_CNT: 0
; COMPUTE_PGM_RSRC3_GFX90A:ACCUM_OFFSET: 17
; COMPUTE_PGM_RSRC3_GFX90A:TG_SPLIT: 0
	.section	.text._Z39paged_attention_ll4mi_QKV_mfma16_kernelI14__hip_bfloat16hLN4vllm18Fp8KVCacheDataTypeE1ES0_Li16ELi64ELi256ELb1ELi9EEvPKT_PKT0_S8_ifPKiSA_SA_iPKfiiiPfSD_PS3_PT2_iSC_SC_,"axG",@progbits,_Z39paged_attention_ll4mi_QKV_mfma16_kernelI14__hip_bfloat16hLN4vllm18Fp8KVCacheDataTypeE1ES0_Li16ELi64ELi256ELb1ELi9EEvPKT_PKT0_S8_ifPKiSA_SA_iPKfiiiPfSD_PS3_PT2_iSC_SC_,comdat
	.protected	_Z39paged_attention_ll4mi_QKV_mfma16_kernelI14__hip_bfloat16hLN4vllm18Fp8KVCacheDataTypeE1ES0_Li16ELi64ELi256ELb1ELi9EEvPKT_PKT0_S8_ifPKiSA_SA_iPKfiiiPfSD_PS3_PT2_iSC_SC_ ; -- Begin function _Z39paged_attention_ll4mi_QKV_mfma16_kernelI14__hip_bfloat16hLN4vllm18Fp8KVCacheDataTypeE1ES0_Li16ELi64ELi256ELb1ELi9EEvPKT_PKT0_S8_ifPKiSA_SA_iPKfiiiPfSD_PS3_PT2_iSC_SC_
	.globl	_Z39paged_attention_ll4mi_QKV_mfma16_kernelI14__hip_bfloat16hLN4vllm18Fp8KVCacheDataTypeE1ES0_Li16ELi64ELi256ELb1ELi9EEvPKT_PKT0_S8_ifPKiSA_SA_iPKfiiiPfSD_PS3_PT2_iSC_SC_
	.p2align	8
	.type	_Z39paged_attention_ll4mi_QKV_mfma16_kernelI14__hip_bfloat16hLN4vllm18Fp8KVCacheDataTypeE1ES0_Li16ELi64ELi256ELb1ELi9EEvPKT_PKT0_S8_ifPKiSA_SA_iPKfiiiPfSD_PS3_PT2_iSC_SC_,@function
_Z39paged_attention_ll4mi_QKV_mfma16_kernelI14__hip_bfloat16hLN4vllm18Fp8KVCacheDataTypeE1ES0_Li16ELi64ELi256ELb1ELi9EEvPKT_PKT0_S8_ifPKiSA_SA_iPKfiiiPfSD_PS3_PT2_iSC_SC_: ; @_Z39paged_attention_ll4mi_QKV_mfma16_kernelI14__hip_bfloat16hLN4vllm18Fp8KVCacheDataTypeE1ES0_Li16ELi64ELi256ELb1ELi9EEvPKT_PKT0_S8_ifPKiSA_SA_iPKfiiiPfSD_PS3_PT2_iSC_SC_
; %bb.0:
	s_load_dwordx2 s[6:7], s[0:1], 0x30
	s_mov_b32 s28, s3
	s_mov_b64 s[8:9], 0
	s_waitcnt lgkmcnt(0)
	s_cmp_lg_u64 s[6:7], 0
	s_cselect_b64 s[10:11], -1, 0
	s_and_b64 vcc, exec, s[10:11]
	s_cbranch_vccz .LBB1136_7
; %bb.1:
	s_add_i32 s12, s2, 1
	s_mov_b32 s13, 0
	s_lshl_b64 s[14:15], s[12:13], 2
	s_add_u32 s14, s6, s14
	s_mov_b32 s3, s13
	s_addc_u32 s15, s7, s15
	s_lshl_b64 s[12:13], s[2:3], 2
	s_add_u32 s12, s6, s12
	s_addc_u32 s13, s7, s13
	s_load_dword s5, s[14:15], 0x0
	s_load_dword s16, s[12:13], 0x0
	s_waitcnt lgkmcnt(0)
	s_sub_i32 s5, s5, s16
	s_cmp_eq_u32 s5, 1
	s_cselect_b64 s[12:13], -1, 0
	s_andn2_b64 vcc, exec, s[8:9]
	s_cbranch_vccnz .LBB1136_3
.LBB1136_2:
	s_mov_b32 s3, 0
	s_mov_b64 s[12:13], -1
.LBB1136_3:
	s_andn2_b64 vcc, exec, s[12:13]
	s_cbranch_vccnz .LBB1136_20
; %bb.4:
	s_load_dwordx2 s[8:9], s[0:1], 0x28
	s_lshl_b64 s[12:13], s[2:3], 2
	s_waitcnt lgkmcnt(0)
	s_add_u32 s8, s8, s12
	s_addc_u32 s9, s9, s13
	s_load_dword s29, s[8:9], 0x0
	s_lshl_b32 s16, s28, 8
	s_waitcnt lgkmcnt(0)
	s_cmp_ge_i32 s16, s29
	s_cbranch_scc1 .LBB1136_20
; %bb.5:
	s_load_dwordx2 s[8:9], s[0:1], 0x20
	s_load_dword s5, s[0:1], 0x38
	s_add_i32 s14, s29, 15
	s_ashr_i32 s15, s14, 31
	v_and_b32_e32 v1, 0xcf, v0
	s_lshr_b32 s15, s15, 28
	v_add_u32_e32 v1, s16, v1
	s_add_i32 s14, s14, s15
	v_ashrrev_i32_e32 v2, 31, v1
	s_ashr_i32 s17, s14, 4
	v_lshrrev_b32_e32 v4, 28, v2
	s_add_i32 s17, s17, -1
	s_waitcnt lgkmcnt(0)
	s_mul_i32 s14, s2, s5
	s_mov_b32 s15, 0
	v_add_u32_e32 v2, v1, v4
	s_lshl_b64 s[14:15], s[14:15], 2
	v_ashrrev_i32_e32 v2, 4, v2
	v_mov_b32_e32 v5, s17
	v_cmp_gt_i32_e32 vcc, s29, v1
	s_add_u32 s8, s8, s14
	s_addc_u32 s9, s9, s15
	v_cndmask_b32_e32 v2, v5, v2, vcc
	v_ashrrev_i32_e32 v3, 31, v2
	v_lshl_add_u64 v[6:7], v[2:3], 2, s[8:9]
	v_or_b32_e32 v2, 16, v1
	v_add_u32_e32 v3, v2, v4
	v_ashrrev_i32_e32 v3, 4, v3
	v_cmp_gt_i32_e32 vcc, s29, v2
	s_load_dwordx2 s[14:15], s[0:1], 0x8
	s_nop 0
	v_cndmask_b32_e32 v2, v5, v3, vcc
	v_ashrrev_i32_e32 v3, 31, v2
	v_lshl_add_u64 v[8:9], v[2:3], 2, s[8:9]
	v_or_b32_e32 v2, 32, v1
	v_add_u32_e32 v3, v2, v4
	v_ashrrev_i32_e32 v3, 4, v3
	v_cmp_gt_i32_e32 vcc, s29, v2
	v_or_b32_e32 v1, 48, v1
	s_nop 0
	v_cndmask_b32_e32 v2, v5, v3, vcc
	v_ashrrev_i32_e32 v3, 31, v2
	v_lshl_add_u64 v[10:11], v[2:3], 2, s[8:9]
	v_add_u32_e32 v2, v1, v4
	v_ashrrev_i32_e32 v2, 4, v2
	v_cmp_gt_i32_e32 vcc, s29, v1
	s_nop 1
	v_cndmask_b32_e32 v2, v5, v2, vcc
	v_ashrrev_i32_e32 v3, 31, v2
	v_lshl_add_u64 v[12:13], v[2:3], 2, s[8:9]
	global_load_dword v5, v[6:7], off
	global_load_dword v4, v[8:9], off
	;; [unrolled: 1-line block ×4, first 2 shown]
	s_andn2_b64 vcc, exec, s[10:11]
	s_cbranch_vccnz .LBB1136_8
; %bb.6:
	s_add_u32 s6, s6, s12
	s_addc_u32 s7, s7, s13
	s_load_dword s5, s[6:7], 0x0
	s_branch .LBB1136_9
.LBB1136_7:
	s_mov_b64 s[12:13], 0
	s_branch .LBB1136_2
.LBB1136_8:
	s_mov_b32 s5, s2
.LBB1136_9:
	s_load_dwordx2 s[6:7], s[0:1], 0x10
	s_load_dwordx4 s[44:47], s[0:1], 0x48
	v_lshrrev_b32_e32 v29, 6, v0
	v_bfe_u32 v42, v0, 4, 2
	v_lshl_or_b32 v6, v29, 2, v42
	v_and_b32_e32 v28, 15, v0
	v_lshlrev_b32_e32 v1, 3, v28
	v_cmp_gt_u32_e32 vcc, 9, v6
	v_cmp_gt_u32_e64 s[30:31], 8, v28
	s_mul_i32 s48, s4, 9
	s_and_b64 s[12:13], s[30:31], vcc
	v_lshlrev_b32_e32 v26, 1, v1
	v_lshlrev_b32_e32 v1, 4, v0
	s_and_saveexec_b64 s[10:11], s[12:13]
	s_cbranch_execz .LBB1136_11
; %bb.10:
	s_load_dwordx2 s[12:13], s[0:1], 0x0
	s_waitcnt lgkmcnt(0)
	s_ashr_i32 s18, s44, 31
	s_mul_hi_u32 s19, s5, s44
	s_mul_i32 s18, s5, s18
	s_add_i32 s19, s19, s18
	s_mul_i32 s18, s5, s44
	s_lshl_b64 s[18:19], s[18:19], 1
	s_add_u32 s12, s12, s18
	v_add_lshl_u32 v8, v6, s48, 6
	s_addc_u32 s13, s13, s19
	v_ashrrev_i32_e32 v9, 31, v8
	v_lshl_add_u64 v[8:9], v[8:9], 1, s[12:13]
	v_mov_b32_e32 v27, 0
	v_lshl_add_u64 v[8:9], v[8:9], 0, v[26:27]
	global_load_dwordx4 v[8:11], v[8:9], off
	v_lshlrev_b32_e32 v12, 8, v28
	v_lshlrev_b32_e32 v6, 5, v6
	v_and_b32_e32 v7, 16, v1
	v_and_b32_e32 v12, 0xe00, v12
	v_or3_b32 v6, v12, v6, v7
	s_waitcnt vmcnt(0)
	ds_write_b128 v6, v[8:11]
.LBB1136_11:
	s_or_b64 exec, exec, s[10:11]
	s_waitcnt lgkmcnt(0)
	s_mul_i32 s10, s4, s46
	s_add_u32 s4, s14, s10
	s_addc_u32 s5, s15, 0
	v_and_b32_e32 v32, 48, v0
	v_and_b32_e32 v30, 0xf0, v1
	v_mov_b32_e32 v31, 0
	v_lshl_add_u64 v[6:7], s[4:5], 0, v[30:31]
	v_lshlrev_b32_e32 v30, 4, v32
	v_lshl_add_u64 v[6:7], v[6:7], 0, v[30:31]
	s_waitcnt vmcnt(3)
	v_mad_i64_i32 v[8:9], s[4:5], v5, s45, v[6:7]
	s_waitcnt vmcnt(2)
	v_mad_i64_i32 v[4:5], s[4:5], v4, s45, v[6:7]
	s_barrier
	global_load_dwordx4 v[22:25], v[8:9], off
	global_load_dwordx4 v[18:21], v[4:5], off
	s_waitcnt vmcnt(3)
	v_mad_i64_i32 v[4:5], s[4:5], v3, s45, v[6:7]
	s_waitcnt vmcnt(2)
	v_mad_i64_i32 v[2:3], s[4:5], v2, s45, v[6:7]
	global_load_dwordx4 v[14:17], v[4:5], off
	global_load_dwordx4 v[6:9], v[2:3], off
	v_add_u32_e32 v2, -9, v28
	v_cmp_gt_u32_e32 vcc, 9, v28
	v_and_b32_e32 v27, 63, v0
	v_mov_b32_e32 v43, 0
	v_cndmask_b32_e32 v2, v2, v28, vcc
	v_lshlrev_b32_e32 v2, 5, v2
	v_lshl_add_u32 v2, v42, 9, v2
	ds_read_b128 v[10:13], v2
	ds_read_b128 v[2:5], v2 offset:16
	s_and_saveexec_b64 s[4:5], vcc
	s_cbranch_execz .LBB1136_13
; %bb.12:
	s_load_dwordx2 s[12:13], s[0:1], 0x40
	v_add_u32_e32 v34, s48, v28
	v_ashrrev_i32_e32 v35, 31, v34
	s_waitcnt lgkmcnt(0)
	v_lshl_add_u64 v[34:35], v[34:35], 2, s[12:13]
	global_load_dword v43, v[34:35], off
.LBB1136_13:
	s_or_b64 exec, exec, s[4:5]
	v_or_b32_e32 v62, s16, v32
	v_ashrrev_i32_e32 v30, 4, v62
	v_mov_b32_e32 v63, s17
	v_cmp_gt_i32_e32 vcc, s29, v62
	s_waitcnt vmcnt(2)
	v_cvt_pk_f32_fp8_e32 v[52:53], v20
	v_cvt_pk_f32_fp8_sdwa v[54:55], v20 src0_sel:WORD_1
	v_cndmask_b32_e32 v20, v63, v30, vcc
	v_cvt_pk_f32_fp8_e32 v[56:57], v21
	v_cvt_pk_f32_fp8_sdwa v[58:59], v21 src0_sel:WORD_1
	v_ashrrev_i32_e32 v21, 31, v20
	v_cvt_pk_f32_fp8_e32 v[40:41], v22
	v_cvt_pk_f32_fp8_sdwa v[44:45], v22 src0_sel:WORD_1
	v_lshl_add_u64 v[20:21], v[20:21], 2, s[8:9]
	v_cvt_pk_f32_fp8_e32 v[46:47], v18
	v_cvt_pk_f32_fp8_sdwa v[48:49], v18 src0_sel:WORD_1
	global_load_dword v64, v[20:21], off
	s_mov_b32 s33, 0x7060302
	v_cvt_pk_f32_fp8_e32 v[32:33], v23
	v_cvt_pk_f32_fp8_sdwa v[34:35], v23 src0_sel:WORD_1
	v_perm_b32 v20, v41, v40, s33
	v_perm_b32 v21, v45, v44, s33
	v_cvt_pk_f32_fp8_e32 v[38:39], v24
	v_cvt_pk_f32_fp8_sdwa v[36:37], v24 src0_sel:WORD_1
	v_cvt_pk_f32_fp8_e32 v[50:51], v19
	v_cvt_pk_f32_fp8_sdwa v[18:19], v19 src0_sel:WORD_1
	v_perm_b32 v44, v47, v46, s33
	v_perm_b32 v45, v49, v48, s33
	v_cvt_pk_f32_fp8_e32 v[22:23], v25
	s_waitcnt vmcnt(2)
	v_cvt_pk_f32_fp8_e32 v[40:41], v14
	v_cvt_pk_f32_fp8_sdwa v[46:47], v14 src0_sel:WORD_1
	v_perm_b32 v48, v33, v32, s33
	v_perm_b32 v49, v35, v34, s33
	v_or_b32_e32 v14, 64, v62
	v_or_b32_e32 v32, 0xc0, v62
	v_cvt_pk_f32_fp8_sdwa v[24:25], v25 src0_sel:WORD_1
	s_load_dword s11, s[0:1], 0x1c
	s_load_dwordx4 s[40:43], s[0:1], 0x80
	v_perm_b32 v38, v39, v38, s33
	v_perm_b32 v39, v37, v36, s33
	v_or_b32_e32 v65, 0x80, v62
	v_ashrrev_i32_e32 v62, 4, v14
	v_cmp_gt_i32_e32 vcc, s29, v32
	v_ashrrev_i32_e32 v66, 4, v32
	v_cmp_gt_i32_e64 s[4:5], s29, v14
	v_perm_b32 v36, v51, v50, s33
	v_perm_b32 v37, v19, v18, s33
	s_waitcnt lgkmcnt(0)
	v_mfma_f32_16x16x16_bf16 v[32:35], v[20:21], v[10:11], 0
	s_add_u32 s6, s6, s10
	v_lshlrev_b32_e32 v30, 4, v28
	v_cndmask_b32_e64 v50, v63, v62, s[4:5]
	v_perm_b32 v62, v23, v22, s33
	v_mfma_f32_16x16x16_bf16 v[20:23], v[44:45], v[10:11], 0
	v_lshl_or_b32 v30, v29, 8, v30
	s_addc_u32 s7, s7, 0
	v_ashrrev_i32_e32 v14, 4, v65
	v_lshl_add_u64 v[18:19], s[6:7], 0, v[30:31]
	v_cmp_gt_i32_e64 s[6:7], s29, v65
	v_mfma_f32_16x16x16_bf16 v[30:33], v[48:49], v[12:13], v[32:35]
	v_cndmask_b32_e32 v48, v63, v66, vcc
	s_load_dword s4, s[40:41], 0x0
	v_cvt_pk_f32_fp8_e32 v[60:61], v15
	v_cndmask_b32_e64 v34, v63, v14, s[6:7]
	v_perm_b32 v63, v25, v24, s33
	v_perm_b32 v24, v53, v52, s33
	;; [unrolled: 1-line block ×3, first 2 shown]
	v_mfma_f32_16x16x16_bf16 v[20:23], v[36:37], v[12:13], v[20:23]
	v_perm_b32 v40, v41, v40, s33
	v_perm_b32 v41, v47, v46, s33
	v_ashrrev_i32_e32 v51, 31, v50
	v_mfma_f32_16x16x16_bf16 v[20:23], v[24:25], v[2:3], v[20:23]
	v_mov_b32_e32 v24, s11
	s_waitcnt lgkmcnt(0)
	v_mul_f32_e32 v54, s4, v24
	v_cvt_pk_f32_fp8_sdwa v[24:25], v15 src0_sel:WORD_1
	v_mfma_f32_16x16x16_bf16 v[30:33], v[38:39], v[2:3], v[30:33]
	v_ashrrev_i32_e32 v35, 31, v34
	v_ashrrev_i32_e32 v49, 31, v48
	v_lshl_add_u64 v[36:37], v[50:51], 2, s[8:9]
	v_lshl_add_u64 v[34:35], v[34:35], 2, s[8:9]
	;; [unrolled: 1-line block ×3, first 2 shown]
	global_load_dword v14, v[36:37], off
	global_load_dword v44, v[34:35], off
	;; [unrolled: 1-line block ×3, first 2 shown]
	v_perm_b32 v46, v61, v60, s33
	v_cvt_pk_f32_fp8_e32 v[48:49], v16
	v_cvt_pk_f32_fp8_sdwa v[50:51], v16 src0_sel:WORD_1
	v_perm_b32 v47, v25, v24, s33
	v_mfma_f32_16x16x16_bf16 v[36:39], v[62:63], v[4:5], v[30:33]
	v_perm_b32 v24, v49, v48, s33
	v_perm_b32 v25, v51, v50, s33
	;; [unrolled: 1-line block ×3, first 2 shown]
	v_mfma_f32_16x16x16_bf16 v[30:33], v[40:41], v[10:11], 0
	v_cvt_pk_f32_fp8_e32 v[40:41], v17
	v_cvt_pk_f32_fp8_sdwa v[16:17], v17 src0_sel:WORD_1
	v_perm_b32 v53, v59, v58, s33
	v_mfma_f32_16x16x16_bf16 v[46:49], v[46:47], v[12:13], v[30:33]
	s_mov_b32 s44, 0xff7fffff
	s_waitcnt vmcnt(3)
	v_mad_i64_i32 v[34:35], s[4:5], v64, s45, v[18:19]
	v_perm_b32 v32, v41, v40, s33
	v_perm_b32 v33, v17, v16, s33
	v_mfma_f32_16x16x16_bf16 v[46:49], v[24:25], v[2:3], v[46:49]
	v_cvt_pk_f32_fp8_e32 v[16:17], v6
	v_cvt_pk_f32_fp8_sdwa v[24:25], v6 src0_sel:WORD_1
	v_pk_mul_f32 v[30:31], v[54:55], v[38:39] op_sel_hi:[0,1]
	v_mfma_f32_16x16x16_bf16 v[46:49], v[32:33], v[4:5], v[46:49]
	v_cvt_pk_f32_fp8_e32 v[32:33], v7
	v_perm_b32 v16, v17, v16, s33
	v_perm_b32 v17, v25, v24, s33
	v_cvt_pk_f32_fp8_sdwa v[6:7], v7 src0_sel:WORD_1
	v_pk_mul_f32 v[38:39], v[54:55], v[36:37] op_sel_hi:[0,1]
	v_perm_b32 v24, v33, v32, s33
	v_cvt_pk_f32_fp8_e32 v[32:33], v8
	v_cvt_pk_f32_fp8_sdwa v[36:37], v8 src0_sel:WORD_1
	v_perm_b32 v25, v7, v6, s33
	v_mfma_f32_16x16x16_bf16 v[20:23], v[52:53], v[4:5], v[20:23]
	v_mfma_f32_16x16x16_bf16 v[50:53], v[16:17], v[10:11], 0
	v_perm_b32 v10, v33, v32, s33
	v_perm_b32 v11, v37, v36, s33
	v_cvt_pk_f32_fp8_e32 v[16:17], v9
	v_cvt_pk_f32_fp8_sdwa v[32:33], v9 src0_sel:WORD_1
	v_mfma_f32_16x16x16_bf16 v[6:9], v[24:25], v[12:13], v[50:53]
	s_nop 0
	v_pk_mul_f32 v[36:37], v[54:55], v[22:23] op_sel_hi:[0,1]
	v_perm_b32 v12, v17, v16, s33
	v_perm_b32 v13, v33, v32, s33
	v_mfma_f32_16x16x16_bf16 v[6:9], v[10:11], v[2:3], v[6:9]
	v_pk_mul_f32 v[40:41], v[54:55], v[20:21] op_sel_hi:[0,1]
	v_pk_mul_f32 v[24:25], v[54:55], v[48:49] op_sel_hi:[0,1]
	;; [unrolled: 1-line block ×3, first 2 shown]
	v_mfma_f32_16x16x16_bf16 v[2:5], v[12:13], v[4:5], v[6:9]
	s_nop 6
	v_pk_mul_f32 v[22:23], v[54:55], v[2:3] op_sel_hi:[0,1]
	v_and_b32_e32 v2, 0xc0, v0
	v_add_u32_e32 v2, s16, v2
	v_lshl_or_b32 v2, v42, 2, v2
	v_or_b32_e32 v3, 1, v2
	v_pk_mul_f32 v[20:21], v[54:55], v[4:5] op_sel_hi:[0,1]
	v_subrev_u32_e32 v4, s29, v3
	v_add_u32_e32 v6, 1, v4
	v_add_u32_e32 v7, 2, v4
	;; [unrolled: 1-line block ×3, first 2 shown]
	v_cvt_f32_i32_e32 v6, v6
	v_cvt_f32_i32_e32 v7, v7
	;; [unrolled: 1-line block ×3, first 2 shown]
	v_add_u32_e32 v9, 19, v4
	v_fmac_f32_e32 v39, v43, v6
	v_fma_f32 v30, v43, v7, v30
	v_fmac_f32_e32 v31, v43, v8
	v_add_u32_e32 v6, 16, v4
	v_add_u32_e32 v7, 17, v4
	;; [unrolled: 1-line block ×3, first 2 shown]
	v_cvt_f32_i32_e32 v6, v6
	v_cvt_f32_i32_e32 v7, v7
	;; [unrolled: 1-line block ×4, first 2 shown]
	v_fma_f32 v40, v43, v6, v40
	v_fmac_f32_e32 v41, v43, v7
	v_fma_f32 v36, v43, v8, v36
	v_add_u32_e32 v6, 32, v4
	v_add_u32_e32 v7, 33, v4
	;; [unrolled: 1-line block ×3, first 2 shown]
	v_cvt_f32_i32_e32 v6, v6
	v_cvt_f32_i32_e32 v7, v7
	;; [unrolled: 1-line block ×4, first 2 shown]
	v_fmac_f32_e32 v37, v43, v9
	v_add_u32_e32 v9, 35, v4
	v_fma_f32 v32, v43, v6, v32
	v_fmac_f32_e32 v33, v43, v7
	v_fma_f32 v24, v43, v8, v24
	v_add_u32_e32 v6, 48, v4
	v_add_u32_e32 v7, 49, v4
	;; [unrolled: 1-line block ×4, first 2 shown]
	v_cvt_f32_i32_e32 v4, v4
	v_cvt_f32_i32_e32 v6, v6
	;; [unrolled: 1-line block ×3, first 2 shown]
	v_fma_f32 v5, v43, v5, v38
	v_fmac_f32_e32 v21, v43, v4
	v_mov_b32_e32 v4, 0xff7fffff
	v_cmp_gt_i32_e64 s[4:5], s29, v2
	v_cmp_gt_i32_e64 s[34:35], s29, v3
	v_fma_f32 v22, v43, v6, v22
	v_cndmask_b32_e64 v6, v4, v5, s[4:5]
	v_cndmask_b32_e64 v3, v4, v39, s[34:35]
	v_fmac_f32_e32 v23, v43, v7
	v_max3_f32 v3, v6, s44, v3
	v_or_b32_e32 v6, 2, v2
	v_or_b32_e32 v7, 3, v2
	v_cmp_gt_i32_e64 s[36:37], s29, v6
	v_cmp_gt_i32_e64 s[38:39], s29, v7
	v_cvt_f32_i32_e32 v9, v9
	v_cndmask_b32_e64 v6, v4, v30, s[36:37]
	v_cndmask_b32_e64 v7, v4, v31, s[38:39]
	v_max3_f32 v3, v3, v6, v7
	v_or_b32_e32 v6, 16, v2
	v_or_b32_e32 v7, 17, v2
	v_cmp_gt_i32_e64 s[24:25], s29, v6
	v_cmp_gt_i32_e64 s[26:27], s29, v7
	v_fmac_f32_e32 v25, v43, v9
	v_cndmask_b32_e64 v6, v4, v40, s[24:25]
	v_cndmask_b32_e64 v7, v4, v41, s[26:27]
	v_max3_f32 v3, v3, v6, v7
	v_or_b32_e32 v6, 18, v2
	v_or_b32_e32 v7, 19, v2
	v_cmp_gt_i32_e64 s[20:21], s29, v6
	v_cmp_gt_i32_e64 s[22:23], s29, v7
	v_cvt_f32_i32_e32 v8, v8
	v_cndmask_b32_e64 v6, v4, v36, s[20:21]
	v_cndmask_b32_e64 v7, v4, v37, s[22:23]
	v_max3_f32 v3, v3, v6, v7
	v_or_b32_e32 v6, 32, v2
	v_or_b32_e32 v7, 33, v2
	v_cmp_gt_i32_e64 s[16:17], s29, v6
	v_cmp_gt_i32_e64 s[18:19], s29, v7
	v_fma_f32 v20, v43, v8, v20
	v_cndmask_b32_e64 v6, v4, v32, s[16:17]
	v_cndmask_b32_e64 v7, v4, v33, s[18:19]
	v_max3_f32 v3, v3, v6, v7
	v_or_b32_e32 v6, 34, v2
	v_or_b32_e32 v7, 35, v2
	v_cmp_gt_i32_e64 s[12:13], s29, v6
	v_cmp_gt_i32_e64 s[14:15], s29, v7
	s_nop 0
	v_cndmask_b32_e64 v6, v4, v24, s[12:13]
	v_cndmask_b32_e64 v7, v4, v25, s[14:15]
	v_max3_f32 v3, v3, v6, v7
	v_or_b32_e32 v6, 48, v2
	v_or_b32_e32 v7, 49, v2
	v_cmp_gt_i32_e64 s[8:9], s29, v6
	v_cmp_gt_i32_e64 s[10:11], s29, v7
	s_nop 0
	v_cndmask_b32_e64 v6, v4, v22, s[8:9]
	v_cndmask_b32_e64 v7, v4, v23, s[10:11]
	v_max3_f32 v3, v3, v6, v7
	v_or_b32_e32 v6, 50, v2
	v_or_b32_e32 v2, 51, v2
	v_cmp_gt_i32_e32 vcc, s29, v6
	v_cmp_gt_i32_e64 s[6:7], s29, v2
	s_nop 0
	v_cndmask_b32_e32 v6, v4, v20, vcc
	v_cndmask_b32_e64 v2, v4, v21, s[6:7]
	v_max3_f32 v4, v3, v6, v2
	v_mbcnt_lo_u32_b32 v2, -1, 0
	v_mbcnt_hi_u32_b32 v6, -1, v2
	v_and_b32_e32 v2, 64, v6
	v_add_u32_e32 v7, 64, v2
	v_xor_b32_e32 v2, 32, v6
	v_cmp_lt_i32_e64 s[40:41], v2, v7
	s_nop 1
	v_cndmask_b32_e64 v2, v6, v2, s[40:41]
	v_lshlrev_b32_e32 v43, 2, v2
	ds_bpermute_b32 v8, v43, v4
	s_waitcnt vmcnt(2)
	v_mad_i64_i32 v[2:3], s[40:41], v14, s45, v[18:19]
	global_load_dwordx4 v[14:17], v[34:35], off
	global_load_dwordx4 v[10:13], v[2:3], off
	v_xor_b32_e32 v3, 16, v6
	v_cmp_lt_i32_e64 s[40:41], v3, v7
	s_waitcnt lgkmcnt(0)
	v_max_f32_e32 v2, v8, v8
	v_max_f32_e32 v2, v4, v2
	v_cndmask_b32_e64 v3, v6, v3, s[40:41]
	v_lshlrev_b32_e32 v46, 2, v3
	ds_bpermute_b32 v3, v46, v2
	s_waitcnt vmcnt(3)
	v_mad_i64_i32 v[34:35], s[40:41], v44, s45, v[18:19]
	s_waitcnt vmcnt(2)
	v_mad_i64_i32 v[18:19], s[40:41], v45, s45, v[18:19]
	s_waitcnt lgkmcnt(0)
	v_max_f32_e32 v3, v3, v3
	v_max_f32_e32 v38, v2, v3
	v_sub_f32_e32 v2, v5, v38
	v_mul_f32_e32 v2, 0x3fb8aa3b, v2
	v_exp_f32_e32 v44, v2
	v_sub_f32_e32 v2, v39, v38
	v_mul_f32_e32 v2, 0x3fb8aa3b, v2
	v_exp_f32_e32 v39, v2
	global_load_dwordx4 v[6:9], v[34:35], off
	global_load_dwordx4 v[2:5], v[18:19], off
	v_sub_f32_e32 v30, v30, v38
	v_mul_f32_e32 v30, 0x3fb8aa3b, v30
	v_sub_f32_e32 v31, v31, v38
	v_exp_f32_e32 v30, v30
	v_mul_f32_e32 v31, 0x3fb8aa3b, v31
	v_exp_f32_e32 v31, v31
	v_cndmask_b32_e64 v18, 0, v44, s[4:5]
	v_add_f32_e32 v34, 0, v18
	v_cndmask_b32_e64 v19, 0, v39, s[34:35]
	v_add_f32_e32 v35, v34, v19
	v_cndmask_b32_e64 v34, 0, v30, s[36:37]
	v_add_f32_e32 v30, v35, v34
	v_cndmask_b32_e64 v35, 0, v31, s[38:39]
	v_sub_f32_e32 v31, v40, v38
	v_mul_f32_e32 v31, 0x3fb8aa3b, v31
	v_sub_f32_e32 v39, v41, v38
	v_exp_f32_e32 v31, v31
	v_mul_f32_e32 v39, 0x3fb8aa3b, v39
	v_sub_f32_e32 v36, v36, v38
	v_exp_f32_e32 v39, v39
	;; [unrolled: 3-line block ×4, first 2 shown]
	v_mul_f32_e32 v32, 0x3fb8aa3b, v32
	v_sub_f32_e32 v33, v33, v38
	v_add_f32_e32 v40, v30, v35
	v_cndmask_b32_e64 v30, 0, v31, s[24:25]
	v_exp_f32_e32 v32, v32
	v_mul_f32_e32 v33, 0x3fb8aa3b, v33
	v_sub_f32_e32 v24, v24, v38
	v_add_f32_e32 v40, v40, v30
	v_cndmask_b32_e64 v31, 0, v39, s[26:27]
	v_exp_f32_e32 v33, v33
	;; [unrolled: 5-line block ×7, first 2 shown]
	v_mul_f32_e32 v21, 0x3fb8aa3b, v21
	v_add_f32_e32 v39, v39, v24
	v_cndmask_b32_e64 v25, 0, v25, s[14:15]
	v_exp_f32_e32 v21, v21
	v_add_f32_e32 v39, v39, v25
	v_cndmask_b32_e64 v22, 0, v22, s[8:9]
	v_add_f32_e32 v39, v39, v22
	v_cndmask_b32_e64 v23, 0, v23, s[10:11]
	v_add_f32_e32 v39, v39, v23
	v_cndmask_b32_e32 v20, 0, v20, vcc
	v_add_f32_e32 v39, v39, v20
	v_cndmask_b32_e64 v21, 0, v21, s[6:7]
	v_add_f32_e32 v39, v39, v21
	ds_bpermute_b32 v40, v43, v39
	s_load_dword s9, s[0:1], 0x98
	v_cmp_gt_u32_e64 s[6:7], 16, v27
	s_waitcnt lgkmcnt(0)
	s_barrier
	v_add_f32_e32 v40, v39, v40
	ds_bpermute_b32 v41, v46, v40
	v_lshlrev_b32_e32 v39, 2, v28
	s_waitcnt lgkmcnt(0)
	s_and_saveexec_b64 s[4:5], s[6:7]
	s_cbranch_execz .LBB1136_15
; %bb.14:
	v_add_f32_e32 v27, v40, v41
	v_lshl_or_b32 v40, v29, 6, v39
	ds_write2st64_b32 v40, v38, v27 offset1:1
.LBB1136_15:
	s_or_b64 exec, exec, s[4:5]
	s_load_dword s8, s[0:1], 0x94
	s_waitcnt lgkmcnt(0)
	s_barrier
	ds_read2_b32 v[40:41], v39 offset1:16
	ds_read2_b32 v[44:45], v39 offset0:32 offset1:48
	ds_read2_b32 v[46:47], v39 offset0:64 offset1:80
	s_movk_i32 s10, 0x7fff
	s_mul_i32 s9, s9, 9
	s_waitcnt lgkmcnt(2)
	v_max3_f32 v27, v40, s44, v41
	s_waitcnt lgkmcnt(1)
	v_max3_f32 v27, v27, v44, v45
	v_sub_f32_e32 v38, v40, v27
	v_mul_f32_e32 v38, 0x3fb8aa3b, v38
	v_exp_f32_e32 v43, v38
	v_sub_f32_e32 v38, v41, v27
	v_mul_f32_e32 v38, 0x3fb8aa3b, v38
	v_exp_f32_e32 v48, v38
	;; [unrolled: 3-line block ×3, first 2 shown]
	ds_read2_b32 v[40:41], v39 offset0:96 offset1:112
	v_sub_f32_e32 v38, v45, v27
	v_mul_f32_e32 v38, 0x3fb8aa3b, v38
	v_exp_f32_e32 v39, v38
	s_waitcnt lgkmcnt(1)
	v_fma_f32 v38, v43, v46, 0
	v_fmac_f32_e32 v38, v48, v47
	s_waitcnt lgkmcnt(0)
	v_fmac_f32_e32 v38, v44, v40
	v_fmac_f32_e32 v38, v39, v41
	v_add_f32_e32 v40, 0x358637bd, v38
	v_div_scale_f32 v41, s[4:5], v40, v40, 1.0
	v_rcp_f32_e32 v45, v41
	s_barrier
	v_fma_f32 v46, -v41, v45, 1.0
	v_fmac_f32_e32 v45, v46, v45
	v_div_scale_f32 v46, vcc, 1.0, v40, 1.0
	v_mul_f32_e32 v47, v46, v45
	v_fma_f32 v49, -v41, v47, v46
	v_fmac_f32_e32 v47, v49, v45
	v_fma_f32 v41, -v41, v47, v46
	v_div_fmas_f32 v41, v41, v45, v47
	v_cmp_eq_u32_e32 vcc, 1, v29
	v_div_fixup_f32 v40, v41, v40, 1.0
	s_nop 0
	v_cndmask_b32_e32 v41, v43, v48, vcc
	v_cmp_eq_u32_e32 vcc, 2, v29
	s_nop 1
	v_cndmask_b32_e32 v41, v41, v44, vcc
	v_cmp_eq_u32_e32 vcc, 3, v29
	v_lshlrev_b32_e32 v29, 11, v29
	s_nop 0
	v_cndmask_b32_e32 v39, v41, v39, vcc
	v_mul_f32_e32 v40, v39, v40
	v_pk_mul_f32 v[18:19], v[40:41], v[18:19] op_sel_hi:[0,1]
	v_pk_mul_f32 v[34:35], v[40:41], v[34:35] op_sel_hi:[0,1]
	v_bfe_u32 v39, v19, 16, 1
	v_bfe_u32 v41, v18, 16, 1
	v_add3_u32 v18, v18, v41, s10
	v_add3_u32 v19, v19, v39, s10
	v_perm_b32 v44, v19, v18, s33
	v_bfe_u32 v18, v35, 16, 1
	v_bfe_u32 v19, v34, 16, 1
	v_add3_u32 v19, v34, v19, s10
	v_add3_u32 v18, v35, v18, s10
	v_perm_b32 v45, v18, v19, s33
	v_lshlrev_b32_e32 v18, 3, v42
	v_lshlrev_b32_e32 v19, 5, v28
	v_pk_mul_f32 v[30:31], v[40:41], v[30:31] op_sel_hi:[0,1]
	v_or3_b32 v18, v29, v19, v18
	v_pk_mul_f32 v[34:35], v[40:41], v[36:37] op_sel_hi:[0,1]
	v_bfe_u32 v29, v31, 16, 1
	v_bfe_u32 v36, v30, 16, 1
	v_add3_u32 v30, v30, v36, s10
	v_add3_u32 v29, v31, v29, s10
	v_perm_b32 v30, v29, v30, s33
	v_bfe_u32 v29, v35, 16, 1
	v_bfe_u32 v31, v34, 16, 1
	v_add3_u32 v31, v34, v31, s10
	v_add3_u32 v29, v35, v29, s10
	v_perm_b32 v31, v29, v31, s33
	ds_write2st64_b64 v18, v[44:45], v[30:31] offset1:1
	v_pk_mul_f32 v[30:31], v[40:41], v[32:33] op_sel_hi:[0,1]
	v_bfe_u32 v29, v31, 16, 1
	v_bfe_u32 v32, v30, 16, 1
	v_pk_mul_f32 v[24:25], v[40:41], v[24:25] op_sel_hi:[0,1]
	v_add3_u32 v30, v30, v32, s10
	v_add3_u32 v29, v31, v29, s10
	v_perm_b32 v30, v29, v30, s33
	v_bfe_u32 v29, v25, 16, 1
	v_bfe_u32 v31, v24, 16, 1
	v_add3_u32 v24, v24, v31, s10
	v_add3_u32 v25, v25, v29, s10
	v_pk_mul_f32 v[22:23], v[40:41], v[22:23] op_sel_hi:[0,1]
	v_perm_b32 v31, v25, v24, s33
	v_bfe_u32 v24, v23, 16, 1
	v_bfe_u32 v25, v22, 16, 1
	v_pk_mul_f32 v[20:21], v[40:41], v[20:21] op_sel_hi:[0,1]
	v_add3_u32 v22, v22, v25, s10
	v_add3_u32 v23, v23, v24, s10
	v_perm_b32 v22, v23, v22, s33
	v_bfe_u32 v23, v21, 16, 1
	v_bfe_u32 v24, v20, 16, 1
	v_add3_u32 v20, v20, v24, s10
	v_add3_u32 v21, v21, v23, s10
	v_perm_b32 v23, v21, v20, s33
	v_cmp_gt_u32_e32 vcc, 9, v0
	ds_write2st64_b64 v18, v[30:31], v[22:23] offset0:2 offset1:3
	s_and_saveexec_b64 s[4:5], vcc
	s_cbranch_execz .LBB1136_17
; %bb.16:
	s_mov_b32 s49, 0
	v_mov_b32_e32 v29, 0
	v_lshl_add_u64 v[20:21], s[48:49], 0, v[28:29]
	v_mov_b32_e32 v22, s9
	v_mad_u64_u32 v[20:21], s[16:17], s2, v22, v[20:21]
	s_mul_i32 s3, s3, s9
	v_mov_b32_e32 v28, s28
	s_load_dwordx4 s[12:15], s[0:1], 0x58
	v_add_u32_e32 v23, s3, v21
	v_mad_u64_u32 v[20:21], s[16:17], v20, s8, v[28:29]
	v_mov_b32_e32 v22, v21
	v_mad_u64_u32 v[22:23], s[16:17], v23, s8, v[22:23]
	v_mov_b32_e32 v21, v22
	v_lshlrev_b64 v[20:21], 2, v[20:21]
	s_waitcnt lgkmcnt(0)
	v_lshl_add_u64 v[22:23], s[14:15], 0, v[20:21]
	v_lshl_add_u64 v[20:21], s[12:13], 0, v[20:21]
	global_store_dword v[22:23], v27, off
	global_store_dword v[20:21], v38, off
.LBB1136_17:
	s_or_b64 exec, exec, s[4:5]
	s_waitcnt vmcnt(3)
	v_cvt_pk_f32_fp8_e32 v[20:21], v14
	v_cvt_pk_f32_fp8_sdwa v[22:23], v14 src0_sel:WORD_1
	s_mov_b32 s4, 0x7060302
	v_lshl_or_b32 v14, v42, 9, v19
	s_waitcnt lgkmcnt(0)
	s_barrier
	v_perm_b32 v24, v21, v20, s4
	v_perm_b32 v25, v23, v22, s4
	v_cvt_pk_f32_fp8_e32 v[28:29], v15
	ds_read_b128 v[20:23], v14
	v_cvt_pk_f32_fp8_sdwa v[36:37], v15 src0_sel:WORD_1
	s_load_dword s12, s[42:43], 0x0
	v_perm_b32 v38, v29, v28, s4
	ds_read_b128 v[28:31], v14 offset:16
	v_perm_b32 v39, v37, v36, s4
	s_waitcnt lgkmcnt(0)
	v_mfma_f32_16x16x16_bf16 v[32:35], v[24:25], v[20:21], 0
	v_cvt_pk_f32_fp8_e32 v[24:25], v16
	v_cvt_pk_f32_fp8_sdwa v[36:37], v16 src0_sel:WORD_1
	v_cmp_gt_u32_e32 vcc, 64, v0
	v_mfma_f32_16x16x16_bf16 v[20:23], v[38:39], v[22:23], v[32:35]
	v_perm_b32 v24, v25, v24, s4
	v_perm_b32 v25, v37, v36, s4
	s_mov_b32 s3, 0
	v_cvt_pk_f32_fp8_e32 v[32:33], v17
	v_cvt_pk_f32_fp8_sdwa v[16:17], v17 src0_sel:WORD_1
	s_waitcnt vmcnt(2)
	v_cvt_pk_f32_fp8_sdwa v[34:35], v10 src0_sel:WORD_1
	v_mfma_f32_16x16x16_bf16 v[20:23], v[24:25], v[28:29], v[20:23]
	v_perm_b32 v36, v33, v32, s4
	v_cvt_pk_f32_fp8_e32 v[32:33], v10
	v_perm_b32 v37, v17, v16, s4
	v_perm_b32 v17, v35, v34, s4
	v_cvt_pk_f32_fp8_e32 v[24:25], v11
	v_perm_b32 v16, v33, v32, s4
	ds_read_b128 v[32:35], v14 offset:2048
	v_cvt_pk_f32_fp8_sdwa v[10:11], v11 src0_sel:WORD_1
	v_mfma_f32_16x16x16_bf16 v[20:23], v[36:37], v[30:31], v[20:23]
	ds_read_b128 v[28:31], v14 offset:2064
	v_perm_b32 v24, v25, v24, s4
	v_perm_b32 v25, v11, v10, s4
	s_waitcnt lgkmcnt(1)
	v_mfma_f32_16x16x16_bf16 v[20:23], v[16:17], v[32:33], v[20:23]
	v_cvt_pk_f32_fp8_e32 v[10:11], v12
	v_cvt_pk_f32_fp8_sdwa v[16:17], v12 src0_sel:WORD_1
	s_waitcnt vmcnt(1)
	v_cvt_pk_f32_fp8_sdwa v[32:33], v6 src0_sel:WORD_1
	v_mfma_f32_16x16x16_bf16 v[20:23], v[24:25], v[34:35], v[20:23]
	v_cvt_pk_f32_fp8_e32 v[24:25], v13
	v_perm_b32 v10, v11, v10, s4
	v_perm_b32 v11, v17, v16, s4
	v_cvt_pk_f32_fp8_sdwa v[12:13], v13 src0_sel:WORD_1
	v_perm_b32 v16, v25, v24, s4
	v_cvt_pk_f32_fp8_e32 v[24:25], v6
	v_mov_b32_e32 v27, 0
	v_perm_b32 v17, v13, v12, s4
	s_waitcnt lgkmcnt(0)
	v_mfma_f32_16x16x16_bf16 v[10:13], v[10:11], v[28:29], v[20:23]
	v_perm_b32 v24, v25, v24, s4
	v_perm_b32 v25, v33, v32, s4
	v_cvt_pk_f32_fp8_e32 v[28:29], v7
	ds_read_b128 v[20:23], v14 offset:4096
	v_cvt_pk_f32_fp8_sdwa v[6:7], v7 src0_sel:WORD_1
	v_mfma_f32_16x16x16_bf16 v[10:13], v[16:17], v[30:31], v[10:13]
	v_perm_b32 v16, v29, v28, s4
	ds_read_b128 v[28:31], v14 offset:4112
	v_perm_b32 v17, v7, v6, s4
	s_waitcnt lgkmcnt(1)
	v_mfma_f32_16x16x16_bf16 v[10:13], v[24:25], v[20:21], v[10:13]
	v_cvt_pk_f32_fp8_e32 v[6:7], v8
	v_cvt_pk_f32_fp8_sdwa v[20:21], v8 src0_sel:WORD_1
	v_perm_b32 v6, v7, v6, s4
	v_mfma_f32_16x16x16_bf16 v[10:13], v[16:17], v[22:23], v[10:13]
	v_cvt_pk_f32_fp8_e32 v[16:17], v9
	v_perm_b32 v7, v21, v20, s4
	v_cvt_pk_f32_fp8_sdwa v[8:9], v9 src0_sel:WORD_1
	s_waitcnt vmcnt(0)
	v_cvt_pk_f32_fp8_e32 v[20:21], v2
	v_perm_b32 v16, v17, v16, s4
	v_cvt_pk_f32_fp8_sdwa v[22:23], v2 src0_sel:WORD_1
	v_perm_b32 v17, v9, v8, s4
	s_waitcnt lgkmcnt(0)
	v_mfma_f32_16x16x16_bf16 v[6:9], v[6:7], v[28:29], v[10:13]
	v_perm_b32 v20, v21, v20, s4
	v_perm_b32 v21, v23, v22, s4
	v_cvt_pk_f32_fp8_e32 v[22:23], v3
	ds_read_b128 v[10:13], v14 offset:6144
	v_cvt_pk_f32_fp8_sdwa v[2:3], v3 src0_sel:WORD_1
	v_mfma_f32_16x16x16_bf16 v[6:9], v[16:17], v[30:31], v[6:9]
	v_perm_b32 v22, v23, v22, s4
	ds_read_b128 v[14:17], v14 offset:6160
	v_perm_b32 v23, v3, v2, s4
	s_waitcnt lgkmcnt(1)
	v_mfma_f32_16x16x16_bf16 v[6:9], v[20:21], v[10:11], v[6:9]
	v_cvt_pk_f32_fp8_e32 v[2:3], v4
	v_cvt_pk_f32_fp8_sdwa v[10:11], v4 src0_sel:WORD_1
	s_waitcnt lgkmcnt(0)
	v_mfma_f32_16x16x16_bf16 v[6:9], v[22:23], v[12:13], v[6:9]
	v_perm_b32 v2, v3, v2, s4
	v_perm_b32 v3, v11, v10, s4
	v_cvt_pk_f32_fp8_e32 v[10:11], v5
	v_cvt_pk_f32_fp8_sdwa v[4:5], v5 src0_sel:WORD_1
	s_barrier
	v_perm_b32 v10, v11, v10, s4
	v_perm_b32 v11, v5, v4, s4
	v_mfma_f32_16x16x16_bf16 v[2:5], v[2:3], v[14:15], v[6:9]
	s_nop 0
	v_mfma_f32_16x16x16_bf16 v[2:5], v[10:11], v[16:17], v[2:5]
	s_nop 6
	v_pk_mul_f32 v[2:3], v[2:3], s[12:13] op_sel_hi:[1,0]
	v_pk_mul_f32 v[4:5], v[4:5], s[12:13] op_sel_hi:[1,0]
	v_bfe_u32 v6, v3, 16, 1
	v_bfe_u32 v7, v2, 16, 1
	v_add3_u32 v2, v2, v7, s10
	v_add3_u32 v3, v3, v6, s10
	v_perm_b32 v2, v3, v2, s4
	v_bfe_u32 v3, v5, 16, 1
	v_bfe_u32 v6, v4, 16, 1
	v_add3_u32 v4, v4, v6, s10
	v_add3_u32 v3, v5, v3, s10
	v_perm_b32 v3, v3, v4, s4
	s_and_b64 s[4:5], vcc, s[30:31]
	ds_write_b64 v18, v[2:3]
	s_waitcnt lgkmcnt(0)
	s_barrier
	s_and_saveexec_b64 s[10:11], s[4:5]
	s_cbranch_execz .LBB1136_20
; %bb.18:
	s_load_dwordx2 s[4:5], s[0:1], 0x68
	s_lshl_b32 s0, s8, 6
	s_mul_i32 s1, s9, s2
	s_mul_hi_u32 s9, s1, s0
	s_mul_i32 s8, s1, s0
	v_lshlrev_b32_e32 v0, 10, v0
	s_lshl_b64 s[8:9], s[8:9], 1
	v_and_b32_e32 v0, 0x1800, v0
	v_lshlrev_b32_e32 v2, 5, v42
	v_and_b32_e32 v1, 16, v1
	s_waitcnt lgkmcnt(0)
	s_add_u32 s1, s4, s8
	v_or3_b32 v2, v0, v2, v1
	s_addc_u32 s4, s5, s9
	s_lshl_b32 s2, s28, 6
	s_lshl_b64 s[2:3], s[2:3], 1
	ds_read_b128 v[4:7], v2 offset:128
	ds_read_b128 v[8:11], v2
	s_add_u32 s2, s1, s2
	s_addc_u32 s3, s4, s3
	v_add_u32_e32 v3, s48, v42
	v_lshl_add_u64 v[0:1], s[2:3], 0, v[26:27]
	v_mad_u64_u32 v[12:13], s[2:3], v3, s0, 0
	v_lshl_add_u64 v[12:13], v[12:13], 1, v[0:1]
	v_add_u32_e32 v3, 4, v3
	s_waitcnt lgkmcnt(0)
	global_store_dwordx4 v[12:13], v[8:11], off
	s_nop 1
	v_mad_u64_u32 v[8:9], s[2:3], v3, s0, 0
	v_lshl_add_u64 v[8:9], v[8:9], 1, v[0:1]
	global_store_dwordx4 v[8:9], v[4:7], off
	s_and_b64 exec, exec, s[6:7]
	s_cbranch_execz .LBB1136_20
; %bb.19:
	ds_read_b128 v[2:5], v2 offset:256
	v_add3_u32 v6, s48, v42, 8
	v_mad_u64_u32 v[6:7], s[0:1], v6, s0, 0
	v_lshl_add_u64 v[0:1], v[6:7], 1, v[0:1]
	s_waitcnt lgkmcnt(0)
	global_store_dwordx4 v[0:1], v[2:5], off
.LBB1136_20:
	s_endpgm
	.section	.rodata,"a",@progbits
	.p2align	6, 0x0
	.amdhsa_kernel _Z39paged_attention_ll4mi_QKV_mfma16_kernelI14__hip_bfloat16hLN4vllm18Fp8KVCacheDataTypeE1ES0_Li16ELi64ELi256ELb1ELi9EEvPKT_PKT0_S8_ifPKiSA_SA_iPKfiiiPfSD_PS3_PT2_iSC_SC_
		.amdhsa_group_segment_fixed_size 8192
		.amdhsa_private_segment_fixed_size 0
		.amdhsa_kernarg_size 400
		.amdhsa_user_sgpr_count 2
		.amdhsa_user_sgpr_dispatch_ptr 0
		.amdhsa_user_sgpr_queue_ptr 0
		.amdhsa_user_sgpr_kernarg_segment_ptr 1
		.amdhsa_user_sgpr_dispatch_id 0
		.amdhsa_user_sgpr_kernarg_preload_length 0
		.amdhsa_user_sgpr_kernarg_preload_offset 0
		.amdhsa_user_sgpr_private_segment_size 0
		.amdhsa_uses_dynamic_stack 0
		.amdhsa_enable_private_segment 0
		.amdhsa_system_sgpr_workgroup_id_x 1
		.amdhsa_system_sgpr_workgroup_id_y 1
		.amdhsa_system_sgpr_workgroup_id_z 1
		.amdhsa_system_sgpr_workgroup_info 0
		.amdhsa_system_vgpr_workitem_id 0
		.amdhsa_next_free_vgpr 67
		.amdhsa_next_free_sgpr 50
		.amdhsa_accum_offset 68
		.amdhsa_reserve_vcc 1
		.amdhsa_float_round_mode_32 0
		.amdhsa_float_round_mode_16_64 0
		.amdhsa_float_denorm_mode_32 3
		.amdhsa_float_denorm_mode_16_64 3
		.amdhsa_dx10_clamp 1
		.amdhsa_ieee_mode 1
		.amdhsa_fp16_overflow 0
		.amdhsa_tg_split 0
		.amdhsa_exception_fp_ieee_invalid_op 0
		.amdhsa_exception_fp_denorm_src 0
		.amdhsa_exception_fp_ieee_div_zero 0
		.amdhsa_exception_fp_ieee_overflow 0
		.amdhsa_exception_fp_ieee_underflow 0
		.amdhsa_exception_fp_ieee_inexact 0
		.amdhsa_exception_int_div_zero 0
	.end_amdhsa_kernel
	.section	.text._Z39paged_attention_ll4mi_QKV_mfma16_kernelI14__hip_bfloat16hLN4vllm18Fp8KVCacheDataTypeE1ES0_Li16ELi64ELi256ELb1ELi9EEvPKT_PKT0_S8_ifPKiSA_SA_iPKfiiiPfSD_PS3_PT2_iSC_SC_,"axG",@progbits,_Z39paged_attention_ll4mi_QKV_mfma16_kernelI14__hip_bfloat16hLN4vllm18Fp8KVCacheDataTypeE1ES0_Li16ELi64ELi256ELb1ELi9EEvPKT_PKT0_S8_ifPKiSA_SA_iPKfiiiPfSD_PS3_PT2_iSC_SC_,comdat
.Lfunc_end1136:
	.size	_Z39paged_attention_ll4mi_QKV_mfma16_kernelI14__hip_bfloat16hLN4vllm18Fp8KVCacheDataTypeE1ES0_Li16ELi64ELi256ELb1ELi9EEvPKT_PKT0_S8_ifPKiSA_SA_iPKfiiiPfSD_PS3_PT2_iSC_SC_, .Lfunc_end1136-_Z39paged_attention_ll4mi_QKV_mfma16_kernelI14__hip_bfloat16hLN4vllm18Fp8KVCacheDataTypeE1ES0_Li16ELi64ELi256ELb1ELi9EEvPKT_PKT0_S8_ifPKiSA_SA_iPKfiiiPfSD_PS3_PT2_iSC_SC_
                                        ; -- End function
	.section	.AMDGPU.csdata,"",@progbits
; Kernel info:
; codeLenInByte = 5132
; NumSgprs: 56
; NumVgprs: 67
; NumAgprs: 0
; TotalNumVgprs: 67
; ScratchSize: 0
; MemoryBound: 0
; FloatMode: 240
; IeeeMode: 1
; LDSByteSize: 8192 bytes/workgroup (compile time only)
; SGPRBlocks: 6
; VGPRBlocks: 8
; NumSGPRsForWavesPerEU: 56
; NumVGPRsForWavesPerEU: 67
; AccumOffset: 68
; Occupancy: 7
; WaveLimiterHint : 1
; COMPUTE_PGM_RSRC2:SCRATCH_EN: 0
; COMPUTE_PGM_RSRC2:USER_SGPR: 2
; COMPUTE_PGM_RSRC2:TRAP_HANDLER: 0
; COMPUTE_PGM_RSRC2:TGID_X_EN: 1
; COMPUTE_PGM_RSRC2:TGID_Y_EN: 1
; COMPUTE_PGM_RSRC2:TGID_Z_EN: 1
; COMPUTE_PGM_RSRC2:TIDIG_COMP_CNT: 0
; COMPUTE_PGM_RSRC3_GFX90A:ACCUM_OFFSET: 16
; COMPUTE_PGM_RSRC3_GFX90A:TG_SPLIT: 0
	.section	.text._Z39paged_attention_ll4mi_QKV_mfma16_kernelI14__hip_bfloat16hLN4vllm18Fp8KVCacheDataTypeE1ES0_Li16ELi64ELi256ELb1ELi10EEvPKT_PKT0_S8_ifPKiSA_SA_iPKfiiiPfSD_PS3_PT2_iSC_SC_,"axG",@progbits,_Z39paged_attention_ll4mi_QKV_mfma16_kernelI14__hip_bfloat16hLN4vllm18Fp8KVCacheDataTypeE1ES0_Li16ELi64ELi256ELb1ELi10EEvPKT_PKT0_S8_ifPKiSA_SA_iPKfiiiPfSD_PS3_PT2_iSC_SC_,comdat
	.protected	_Z39paged_attention_ll4mi_QKV_mfma16_kernelI14__hip_bfloat16hLN4vllm18Fp8KVCacheDataTypeE1ES0_Li16ELi64ELi256ELb1ELi10EEvPKT_PKT0_S8_ifPKiSA_SA_iPKfiiiPfSD_PS3_PT2_iSC_SC_ ; -- Begin function _Z39paged_attention_ll4mi_QKV_mfma16_kernelI14__hip_bfloat16hLN4vllm18Fp8KVCacheDataTypeE1ES0_Li16ELi64ELi256ELb1ELi10EEvPKT_PKT0_S8_ifPKiSA_SA_iPKfiiiPfSD_PS3_PT2_iSC_SC_
	.globl	_Z39paged_attention_ll4mi_QKV_mfma16_kernelI14__hip_bfloat16hLN4vllm18Fp8KVCacheDataTypeE1ES0_Li16ELi64ELi256ELb1ELi10EEvPKT_PKT0_S8_ifPKiSA_SA_iPKfiiiPfSD_PS3_PT2_iSC_SC_
	.p2align	8
	.type	_Z39paged_attention_ll4mi_QKV_mfma16_kernelI14__hip_bfloat16hLN4vllm18Fp8KVCacheDataTypeE1ES0_Li16ELi64ELi256ELb1ELi10EEvPKT_PKT0_S8_ifPKiSA_SA_iPKfiiiPfSD_PS3_PT2_iSC_SC_,@function
_Z39paged_attention_ll4mi_QKV_mfma16_kernelI14__hip_bfloat16hLN4vllm18Fp8KVCacheDataTypeE1ES0_Li16ELi64ELi256ELb1ELi10EEvPKT_PKT0_S8_ifPKiSA_SA_iPKfiiiPfSD_PS3_PT2_iSC_SC_: ; @_Z39paged_attention_ll4mi_QKV_mfma16_kernelI14__hip_bfloat16hLN4vllm18Fp8KVCacheDataTypeE1ES0_Li16ELi64ELi256ELb1ELi10EEvPKT_PKT0_S8_ifPKiSA_SA_iPKfiiiPfSD_PS3_PT2_iSC_SC_
; %bb.0:
	s_load_dwordx2 s[6:7], s[0:1], 0x30
	s_mov_b32 s28, s3
	s_mov_b64 s[8:9], 0
	s_waitcnt lgkmcnt(0)
	s_cmp_lg_u64 s[6:7], 0
	s_cselect_b64 s[10:11], -1, 0
	s_and_b64 vcc, exec, s[10:11]
	s_cbranch_vccz .LBB1137_7
; %bb.1:
	s_add_i32 s12, s2, 1
	s_mov_b32 s13, 0
	s_lshl_b64 s[14:15], s[12:13], 2
	s_add_u32 s14, s6, s14
	s_mov_b32 s3, s13
	s_addc_u32 s15, s7, s15
	s_lshl_b64 s[12:13], s[2:3], 2
	s_add_u32 s12, s6, s12
	s_addc_u32 s13, s7, s13
	s_load_dword s5, s[14:15], 0x0
	s_load_dword s16, s[12:13], 0x0
	s_waitcnt lgkmcnt(0)
	s_sub_i32 s5, s5, s16
	s_cmp_eq_u32 s5, 1
	s_cselect_b64 s[12:13], -1, 0
	s_andn2_b64 vcc, exec, s[8:9]
	s_cbranch_vccnz .LBB1137_3
.LBB1137_2:
	s_mov_b32 s3, 0
	s_mov_b64 s[12:13], -1
.LBB1137_3:
	s_andn2_b64 vcc, exec, s[12:13]
	s_cbranch_vccnz .LBB1137_20
; %bb.4:
	s_load_dwordx2 s[8:9], s[0:1], 0x28
	s_lshl_b64 s[12:13], s[2:3], 2
	s_waitcnt lgkmcnt(0)
	s_add_u32 s8, s8, s12
	s_addc_u32 s9, s9, s13
	s_load_dword s29, s[8:9], 0x0
	s_lshl_b32 s16, s28, 8
	s_waitcnt lgkmcnt(0)
	s_cmp_ge_i32 s16, s29
	s_cbranch_scc1 .LBB1137_20
; %bb.5:
	s_load_dwordx2 s[8:9], s[0:1], 0x20
	s_load_dword s5, s[0:1], 0x38
	s_add_i32 s14, s29, 15
	s_ashr_i32 s15, s14, 31
	v_and_b32_e32 v1, 0xcf, v0
	s_lshr_b32 s15, s15, 28
	v_add_u32_e32 v1, s16, v1
	s_add_i32 s14, s14, s15
	v_ashrrev_i32_e32 v2, 31, v1
	s_ashr_i32 s17, s14, 4
	v_lshrrev_b32_e32 v4, 28, v2
	s_add_i32 s17, s17, -1
	s_waitcnt lgkmcnt(0)
	s_mul_i32 s14, s2, s5
	s_mov_b32 s15, 0
	v_add_u32_e32 v2, v1, v4
	s_lshl_b64 s[14:15], s[14:15], 2
	v_ashrrev_i32_e32 v2, 4, v2
	v_mov_b32_e32 v5, s17
	v_cmp_gt_i32_e32 vcc, s29, v1
	s_add_u32 s8, s8, s14
	s_addc_u32 s9, s9, s15
	v_cndmask_b32_e32 v2, v5, v2, vcc
	v_ashrrev_i32_e32 v3, 31, v2
	v_lshl_add_u64 v[6:7], v[2:3], 2, s[8:9]
	v_or_b32_e32 v2, 16, v1
	v_add_u32_e32 v3, v2, v4
	v_ashrrev_i32_e32 v3, 4, v3
	v_cmp_gt_i32_e32 vcc, s29, v2
	s_load_dwordx2 s[14:15], s[0:1], 0x8
	s_nop 0
	v_cndmask_b32_e32 v2, v5, v3, vcc
	v_ashrrev_i32_e32 v3, 31, v2
	v_lshl_add_u64 v[8:9], v[2:3], 2, s[8:9]
	v_or_b32_e32 v2, 32, v1
	v_add_u32_e32 v3, v2, v4
	v_ashrrev_i32_e32 v3, 4, v3
	v_cmp_gt_i32_e32 vcc, s29, v2
	v_or_b32_e32 v1, 48, v1
	s_nop 0
	v_cndmask_b32_e32 v2, v5, v3, vcc
	v_ashrrev_i32_e32 v3, 31, v2
	v_lshl_add_u64 v[10:11], v[2:3], 2, s[8:9]
	v_add_u32_e32 v2, v1, v4
	v_ashrrev_i32_e32 v2, 4, v2
	v_cmp_gt_i32_e32 vcc, s29, v1
	s_nop 1
	v_cndmask_b32_e32 v2, v5, v2, vcc
	v_ashrrev_i32_e32 v3, 31, v2
	v_lshl_add_u64 v[12:13], v[2:3], 2, s[8:9]
	global_load_dword v5, v[6:7], off
	global_load_dword v4, v[8:9], off
	;; [unrolled: 1-line block ×4, first 2 shown]
	s_andn2_b64 vcc, exec, s[10:11]
	s_cbranch_vccnz .LBB1137_8
; %bb.6:
	s_add_u32 s6, s6, s12
	s_addc_u32 s7, s7, s13
	s_load_dword s5, s[6:7], 0x0
	s_branch .LBB1137_9
.LBB1137_7:
	s_mov_b64 s[12:13], 0
	s_branch .LBB1137_2
.LBB1137_8:
	s_mov_b32 s5, s2
.LBB1137_9:
	s_load_dwordx2 s[6:7], s[0:1], 0x10
	s_load_dwordx4 s[44:47], s[0:1], 0x48
	v_lshrrev_b32_e32 v29, 6, v0
	v_bfe_u32 v42, v0, 4, 2
	v_lshl_or_b32 v6, v29, 2, v42
	v_and_b32_e32 v28, 15, v0
	v_lshlrev_b32_e32 v1, 3, v28
	v_cmp_gt_u32_e32 vcc, 10, v6
	v_cmp_gt_u32_e64 s[30:31], 8, v28
	s_mul_i32 s48, s4, 10
	s_and_b64 s[12:13], s[30:31], vcc
	v_lshlrev_b32_e32 v26, 1, v1
	v_lshlrev_b32_e32 v1, 4, v0
	s_and_saveexec_b64 s[10:11], s[12:13]
	s_cbranch_execz .LBB1137_11
; %bb.10:
	s_load_dwordx2 s[12:13], s[0:1], 0x0
	s_waitcnt lgkmcnt(0)
	s_ashr_i32 s18, s44, 31
	s_mul_hi_u32 s19, s5, s44
	s_mul_i32 s18, s5, s18
	s_add_i32 s19, s19, s18
	s_mul_i32 s18, s5, s44
	s_lshl_b64 s[18:19], s[18:19], 1
	s_add_u32 s12, s12, s18
	v_add_lshl_u32 v8, v6, s48, 6
	s_addc_u32 s13, s13, s19
	v_ashrrev_i32_e32 v9, 31, v8
	v_lshl_add_u64 v[8:9], v[8:9], 1, s[12:13]
	v_mov_b32_e32 v27, 0
	v_lshl_add_u64 v[8:9], v[8:9], 0, v[26:27]
	global_load_dwordx4 v[8:11], v[8:9], off
	v_lshlrev_b32_e32 v12, 8, v28
	v_lshlrev_b32_e32 v6, 5, v6
	v_and_b32_e32 v7, 16, v1
	v_and_b32_e32 v12, 0xe00, v12
	v_or3_b32 v6, v12, v6, v7
	s_waitcnt vmcnt(0)
	ds_write_b128 v6, v[8:11]
.LBB1137_11:
	s_or_b64 exec, exec, s[10:11]
	s_waitcnt lgkmcnt(0)
	s_mul_i32 s10, s4, s46
	s_add_u32 s4, s14, s10
	s_addc_u32 s5, s15, 0
	v_and_b32_e32 v32, 48, v0
	v_and_b32_e32 v30, 0xf0, v1
	v_mov_b32_e32 v31, 0
	v_lshl_add_u64 v[6:7], s[4:5], 0, v[30:31]
	v_lshlrev_b32_e32 v30, 4, v32
	v_lshl_add_u64 v[6:7], v[6:7], 0, v[30:31]
	s_waitcnt vmcnt(3)
	v_mad_i64_i32 v[8:9], s[4:5], v5, s45, v[6:7]
	s_waitcnt vmcnt(2)
	v_mad_i64_i32 v[4:5], s[4:5], v4, s45, v[6:7]
	s_barrier
	global_load_dwordx4 v[22:25], v[8:9], off
	global_load_dwordx4 v[18:21], v[4:5], off
	s_waitcnt vmcnt(3)
	v_mad_i64_i32 v[4:5], s[4:5], v3, s45, v[6:7]
	s_waitcnt vmcnt(2)
	v_mad_i64_i32 v[2:3], s[4:5], v2, s45, v[6:7]
	global_load_dwordx4 v[14:17], v[4:5], off
	global_load_dwordx4 v[6:9], v[2:3], off
	v_add_u32_e32 v2, -10, v28
	v_cmp_gt_u32_e32 vcc, 10, v28
	v_and_b32_e32 v27, 63, v0
	v_mov_b32_e32 v43, 0
	v_cndmask_b32_e32 v2, v2, v28, vcc
	v_lshlrev_b32_e32 v2, 5, v2
	v_lshl_add_u32 v2, v42, 9, v2
	ds_read_b128 v[10:13], v2
	ds_read_b128 v[2:5], v2 offset:16
	s_and_saveexec_b64 s[4:5], vcc
	s_cbranch_execz .LBB1137_13
; %bb.12:
	s_load_dwordx2 s[12:13], s[0:1], 0x40
	v_add_u32_e32 v34, s48, v28
	v_ashrrev_i32_e32 v35, 31, v34
	s_waitcnt lgkmcnt(0)
	v_lshl_add_u64 v[34:35], v[34:35], 2, s[12:13]
	global_load_dword v43, v[34:35], off
.LBB1137_13:
	s_or_b64 exec, exec, s[4:5]
	v_or_b32_e32 v62, s16, v32
	v_ashrrev_i32_e32 v30, 4, v62
	v_mov_b32_e32 v63, s17
	v_cmp_gt_i32_e32 vcc, s29, v62
	s_waitcnt vmcnt(2)
	v_cvt_pk_f32_fp8_e32 v[52:53], v20
	v_cvt_pk_f32_fp8_sdwa v[54:55], v20 src0_sel:WORD_1
	v_cndmask_b32_e32 v20, v63, v30, vcc
	v_cvt_pk_f32_fp8_e32 v[56:57], v21
	v_cvt_pk_f32_fp8_sdwa v[58:59], v21 src0_sel:WORD_1
	v_ashrrev_i32_e32 v21, 31, v20
	v_cvt_pk_f32_fp8_e32 v[40:41], v22
	v_cvt_pk_f32_fp8_sdwa v[44:45], v22 src0_sel:WORD_1
	v_lshl_add_u64 v[20:21], v[20:21], 2, s[8:9]
	v_cvt_pk_f32_fp8_e32 v[46:47], v18
	v_cvt_pk_f32_fp8_sdwa v[48:49], v18 src0_sel:WORD_1
	global_load_dword v64, v[20:21], off
	s_mov_b32 s33, 0x7060302
	v_cvt_pk_f32_fp8_e32 v[32:33], v23
	v_cvt_pk_f32_fp8_sdwa v[34:35], v23 src0_sel:WORD_1
	v_perm_b32 v20, v41, v40, s33
	v_perm_b32 v21, v45, v44, s33
	v_cvt_pk_f32_fp8_e32 v[38:39], v24
	v_cvt_pk_f32_fp8_sdwa v[36:37], v24 src0_sel:WORD_1
	v_cvt_pk_f32_fp8_e32 v[50:51], v19
	v_cvt_pk_f32_fp8_sdwa v[18:19], v19 src0_sel:WORD_1
	v_perm_b32 v44, v47, v46, s33
	v_perm_b32 v45, v49, v48, s33
	v_cvt_pk_f32_fp8_e32 v[22:23], v25
	s_waitcnt vmcnt(2)
	v_cvt_pk_f32_fp8_e32 v[40:41], v14
	v_cvt_pk_f32_fp8_sdwa v[46:47], v14 src0_sel:WORD_1
	v_perm_b32 v48, v33, v32, s33
	v_perm_b32 v49, v35, v34, s33
	v_or_b32_e32 v14, 64, v62
	v_or_b32_e32 v32, 0xc0, v62
	v_cvt_pk_f32_fp8_sdwa v[24:25], v25 src0_sel:WORD_1
	s_load_dword s11, s[0:1], 0x1c
	s_load_dwordx4 s[40:43], s[0:1], 0x80
	v_perm_b32 v38, v39, v38, s33
	v_perm_b32 v39, v37, v36, s33
	v_or_b32_e32 v65, 0x80, v62
	v_ashrrev_i32_e32 v62, 4, v14
	v_cmp_gt_i32_e32 vcc, s29, v32
	v_ashrrev_i32_e32 v66, 4, v32
	v_cmp_gt_i32_e64 s[4:5], s29, v14
	v_perm_b32 v36, v51, v50, s33
	v_perm_b32 v37, v19, v18, s33
	s_waitcnt lgkmcnt(0)
	v_mfma_f32_16x16x16_bf16 v[32:35], v[20:21], v[10:11], 0
	s_add_u32 s6, s6, s10
	v_lshlrev_b32_e32 v30, 4, v28
	v_cndmask_b32_e64 v50, v63, v62, s[4:5]
	v_perm_b32 v62, v23, v22, s33
	v_mfma_f32_16x16x16_bf16 v[20:23], v[44:45], v[10:11], 0
	v_lshl_or_b32 v30, v29, 8, v30
	s_addc_u32 s7, s7, 0
	v_ashrrev_i32_e32 v14, 4, v65
	v_lshl_add_u64 v[18:19], s[6:7], 0, v[30:31]
	v_cmp_gt_i32_e64 s[6:7], s29, v65
	v_mfma_f32_16x16x16_bf16 v[30:33], v[48:49], v[12:13], v[32:35]
	v_cndmask_b32_e32 v48, v63, v66, vcc
	s_load_dword s4, s[40:41], 0x0
	v_cvt_pk_f32_fp8_e32 v[60:61], v15
	v_cndmask_b32_e64 v34, v63, v14, s[6:7]
	v_perm_b32 v63, v25, v24, s33
	v_perm_b32 v24, v53, v52, s33
	v_perm_b32 v25, v55, v54, s33
	v_mfma_f32_16x16x16_bf16 v[20:23], v[36:37], v[12:13], v[20:23]
	v_perm_b32 v40, v41, v40, s33
	v_perm_b32 v41, v47, v46, s33
	v_ashrrev_i32_e32 v51, 31, v50
	v_mfma_f32_16x16x16_bf16 v[20:23], v[24:25], v[2:3], v[20:23]
	v_mov_b32_e32 v24, s11
	s_waitcnt lgkmcnt(0)
	v_mul_f32_e32 v54, s4, v24
	v_cvt_pk_f32_fp8_sdwa v[24:25], v15 src0_sel:WORD_1
	v_mfma_f32_16x16x16_bf16 v[30:33], v[38:39], v[2:3], v[30:33]
	v_ashrrev_i32_e32 v35, 31, v34
	v_ashrrev_i32_e32 v49, 31, v48
	v_lshl_add_u64 v[36:37], v[50:51], 2, s[8:9]
	v_lshl_add_u64 v[34:35], v[34:35], 2, s[8:9]
	;; [unrolled: 1-line block ×3, first 2 shown]
	global_load_dword v14, v[36:37], off
	global_load_dword v44, v[34:35], off
	global_load_dword v45, v[48:49], off
	v_perm_b32 v46, v61, v60, s33
	v_cvt_pk_f32_fp8_e32 v[48:49], v16
	v_cvt_pk_f32_fp8_sdwa v[50:51], v16 src0_sel:WORD_1
	v_perm_b32 v47, v25, v24, s33
	v_mfma_f32_16x16x16_bf16 v[36:39], v[62:63], v[4:5], v[30:33]
	v_perm_b32 v24, v49, v48, s33
	v_perm_b32 v25, v51, v50, s33
	;; [unrolled: 1-line block ×3, first 2 shown]
	v_mfma_f32_16x16x16_bf16 v[30:33], v[40:41], v[10:11], 0
	v_cvt_pk_f32_fp8_e32 v[40:41], v17
	v_cvt_pk_f32_fp8_sdwa v[16:17], v17 src0_sel:WORD_1
	v_perm_b32 v53, v59, v58, s33
	v_mfma_f32_16x16x16_bf16 v[46:49], v[46:47], v[12:13], v[30:33]
	s_mov_b32 s44, 0xff7fffff
	s_waitcnt vmcnt(3)
	v_mad_i64_i32 v[34:35], s[4:5], v64, s45, v[18:19]
	v_perm_b32 v32, v41, v40, s33
	v_perm_b32 v33, v17, v16, s33
	v_mfma_f32_16x16x16_bf16 v[46:49], v[24:25], v[2:3], v[46:49]
	v_cvt_pk_f32_fp8_e32 v[16:17], v6
	v_cvt_pk_f32_fp8_sdwa v[24:25], v6 src0_sel:WORD_1
	v_pk_mul_f32 v[30:31], v[54:55], v[38:39] op_sel_hi:[0,1]
	v_mfma_f32_16x16x16_bf16 v[46:49], v[32:33], v[4:5], v[46:49]
	v_cvt_pk_f32_fp8_e32 v[32:33], v7
	v_perm_b32 v16, v17, v16, s33
	v_perm_b32 v17, v25, v24, s33
	v_cvt_pk_f32_fp8_sdwa v[6:7], v7 src0_sel:WORD_1
	v_pk_mul_f32 v[38:39], v[54:55], v[36:37] op_sel_hi:[0,1]
	v_perm_b32 v24, v33, v32, s33
	v_cvt_pk_f32_fp8_e32 v[32:33], v8
	v_cvt_pk_f32_fp8_sdwa v[36:37], v8 src0_sel:WORD_1
	v_perm_b32 v25, v7, v6, s33
	v_mfma_f32_16x16x16_bf16 v[20:23], v[52:53], v[4:5], v[20:23]
	v_mfma_f32_16x16x16_bf16 v[50:53], v[16:17], v[10:11], 0
	v_perm_b32 v10, v33, v32, s33
	v_perm_b32 v11, v37, v36, s33
	v_cvt_pk_f32_fp8_e32 v[16:17], v9
	v_cvt_pk_f32_fp8_sdwa v[32:33], v9 src0_sel:WORD_1
	v_mfma_f32_16x16x16_bf16 v[6:9], v[24:25], v[12:13], v[50:53]
	s_nop 0
	v_pk_mul_f32 v[36:37], v[54:55], v[22:23] op_sel_hi:[0,1]
	v_perm_b32 v12, v17, v16, s33
	v_perm_b32 v13, v33, v32, s33
	v_mfma_f32_16x16x16_bf16 v[6:9], v[10:11], v[2:3], v[6:9]
	v_pk_mul_f32 v[40:41], v[54:55], v[20:21] op_sel_hi:[0,1]
	v_pk_mul_f32 v[24:25], v[54:55], v[48:49] op_sel_hi:[0,1]
	;; [unrolled: 1-line block ×3, first 2 shown]
	v_mfma_f32_16x16x16_bf16 v[2:5], v[12:13], v[4:5], v[6:9]
	s_nop 6
	v_pk_mul_f32 v[22:23], v[54:55], v[2:3] op_sel_hi:[0,1]
	v_and_b32_e32 v2, 0xc0, v0
	v_add_u32_e32 v2, s16, v2
	v_lshl_or_b32 v2, v42, 2, v2
	v_or_b32_e32 v3, 1, v2
	v_pk_mul_f32 v[20:21], v[54:55], v[4:5] op_sel_hi:[0,1]
	v_subrev_u32_e32 v4, s29, v3
	v_add_u32_e32 v6, 1, v4
	v_add_u32_e32 v7, 2, v4
	v_add_u32_e32 v8, 3, v4
	v_cvt_f32_i32_e32 v6, v6
	v_cvt_f32_i32_e32 v7, v7
	;; [unrolled: 1-line block ×3, first 2 shown]
	v_add_u32_e32 v9, 19, v4
	v_fmac_f32_e32 v39, v43, v6
	v_fma_f32 v30, v43, v7, v30
	v_fmac_f32_e32 v31, v43, v8
	v_add_u32_e32 v6, 16, v4
	v_add_u32_e32 v7, 17, v4
	;; [unrolled: 1-line block ×3, first 2 shown]
	v_cvt_f32_i32_e32 v6, v6
	v_cvt_f32_i32_e32 v7, v7
	;; [unrolled: 1-line block ×4, first 2 shown]
	v_fma_f32 v40, v43, v6, v40
	v_fmac_f32_e32 v41, v43, v7
	v_fma_f32 v36, v43, v8, v36
	v_add_u32_e32 v6, 32, v4
	v_add_u32_e32 v7, 33, v4
	;; [unrolled: 1-line block ×3, first 2 shown]
	v_cvt_f32_i32_e32 v6, v6
	v_cvt_f32_i32_e32 v7, v7
	;; [unrolled: 1-line block ×4, first 2 shown]
	v_fmac_f32_e32 v37, v43, v9
	v_add_u32_e32 v9, 35, v4
	v_fma_f32 v32, v43, v6, v32
	v_fmac_f32_e32 v33, v43, v7
	v_fma_f32 v24, v43, v8, v24
	v_add_u32_e32 v6, 48, v4
	v_add_u32_e32 v7, 49, v4
	;; [unrolled: 1-line block ×4, first 2 shown]
	v_cvt_f32_i32_e32 v4, v4
	v_cvt_f32_i32_e32 v6, v6
	;; [unrolled: 1-line block ×3, first 2 shown]
	v_fma_f32 v5, v43, v5, v38
	v_fmac_f32_e32 v21, v43, v4
	v_mov_b32_e32 v4, 0xff7fffff
	v_cmp_gt_i32_e64 s[4:5], s29, v2
	v_cmp_gt_i32_e64 s[34:35], s29, v3
	v_fma_f32 v22, v43, v6, v22
	v_cndmask_b32_e64 v6, v4, v5, s[4:5]
	v_cndmask_b32_e64 v3, v4, v39, s[34:35]
	v_fmac_f32_e32 v23, v43, v7
	v_max3_f32 v3, v6, s44, v3
	v_or_b32_e32 v6, 2, v2
	v_or_b32_e32 v7, 3, v2
	v_cmp_gt_i32_e64 s[36:37], s29, v6
	v_cmp_gt_i32_e64 s[38:39], s29, v7
	v_cvt_f32_i32_e32 v9, v9
	v_cndmask_b32_e64 v6, v4, v30, s[36:37]
	v_cndmask_b32_e64 v7, v4, v31, s[38:39]
	v_max3_f32 v3, v3, v6, v7
	v_or_b32_e32 v6, 16, v2
	v_or_b32_e32 v7, 17, v2
	v_cmp_gt_i32_e64 s[24:25], s29, v6
	v_cmp_gt_i32_e64 s[26:27], s29, v7
	v_fmac_f32_e32 v25, v43, v9
	v_cndmask_b32_e64 v6, v4, v40, s[24:25]
	v_cndmask_b32_e64 v7, v4, v41, s[26:27]
	v_max3_f32 v3, v3, v6, v7
	v_or_b32_e32 v6, 18, v2
	v_or_b32_e32 v7, 19, v2
	v_cmp_gt_i32_e64 s[20:21], s29, v6
	v_cmp_gt_i32_e64 s[22:23], s29, v7
	v_cvt_f32_i32_e32 v8, v8
	v_cndmask_b32_e64 v6, v4, v36, s[20:21]
	v_cndmask_b32_e64 v7, v4, v37, s[22:23]
	v_max3_f32 v3, v3, v6, v7
	v_or_b32_e32 v6, 32, v2
	v_or_b32_e32 v7, 33, v2
	v_cmp_gt_i32_e64 s[16:17], s29, v6
	v_cmp_gt_i32_e64 s[18:19], s29, v7
	v_fma_f32 v20, v43, v8, v20
	v_cndmask_b32_e64 v6, v4, v32, s[16:17]
	v_cndmask_b32_e64 v7, v4, v33, s[18:19]
	v_max3_f32 v3, v3, v6, v7
	v_or_b32_e32 v6, 34, v2
	v_or_b32_e32 v7, 35, v2
	v_cmp_gt_i32_e64 s[12:13], s29, v6
	v_cmp_gt_i32_e64 s[14:15], s29, v7
	s_nop 0
	v_cndmask_b32_e64 v6, v4, v24, s[12:13]
	v_cndmask_b32_e64 v7, v4, v25, s[14:15]
	v_max3_f32 v3, v3, v6, v7
	v_or_b32_e32 v6, 48, v2
	v_or_b32_e32 v7, 49, v2
	v_cmp_gt_i32_e64 s[8:9], s29, v6
	v_cmp_gt_i32_e64 s[10:11], s29, v7
	s_nop 0
	v_cndmask_b32_e64 v6, v4, v22, s[8:9]
	v_cndmask_b32_e64 v7, v4, v23, s[10:11]
	v_max3_f32 v3, v3, v6, v7
	v_or_b32_e32 v6, 50, v2
	v_or_b32_e32 v2, 51, v2
	v_cmp_gt_i32_e32 vcc, s29, v6
	v_cmp_gt_i32_e64 s[6:7], s29, v2
	s_nop 0
	v_cndmask_b32_e32 v6, v4, v20, vcc
	v_cndmask_b32_e64 v2, v4, v21, s[6:7]
	v_max3_f32 v4, v3, v6, v2
	v_mbcnt_lo_u32_b32 v2, -1, 0
	v_mbcnt_hi_u32_b32 v6, -1, v2
	v_and_b32_e32 v2, 64, v6
	v_add_u32_e32 v7, 64, v2
	v_xor_b32_e32 v2, 32, v6
	v_cmp_lt_i32_e64 s[40:41], v2, v7
	s_nop 1
	v_cndmask_b32_e64 v2, v6, v2, s[40:41]
	v_lshlrev_b32_e32 v43, 2, v2
	ds_bpermute_b32 v8, v43, v4
	s_waitcnt vmcnt(2)
	v_mad_i64_i32 v[2:3], s[40:41], v14, s45, v[18:19]
	global_load_dwordx4 v[14:17], v[34:35], off
	global_load_dwordx4 v[10:13], v[2:3], off
	v_xor_b32_e32 v3, 16, v6
	v_cmp_lt_i32_e64 s[40:41], v3, v7
	s_waitcnt lgkmcnt(0)
	v_max_f32_e32 v2, v8, v8
	v_max_f32_e32 v2, v4, v2
	v_cndmask_b32_e64 v3, v6, v3, s[40:41]
	v_lshlrev_b32_e32 v46, 2, v3
	ds_bpermute_b32 v3, v46, v2
	s_waitcnt vmcnt(3)
	v_mad_i64_i32 v[34:35], s[40:41], v44, s45, v[18:19]
	s_waitcnt vmcnt(2)
	v_mad_i64_i32 v[18:19], s[40:41], v45, s45, v[18:19]
	s_waitcnt lgkmcnt(0)
	v_max_f32_e32 v3, v3, v3
	v_max_f32_e32 v38, v2, v3
	v_sub_f32_e32 v2, v5, v38
	v_mul_f32_e32 v2, 0x3fb8aa3b, v2
	v_exp_f32_e32 v44, v2
	v_sub_f32_e32 v2, v39, v38
	v_mul_f32_e32 v2, 0x3fb8aa3b, v2
	v_exp_f32_e32 v39, v2
	global_load_dwordx4 v[6:9], v[34:35], off
	global_load_dwordx4 v[2:5], v[18:19], off
	v_sub_f32_e32 v30, v30, v38
	v_mul_f32_e32 v30, 0x3fb8aa3b, v30
	v_sub_f32_e32 v31, v31, v38
	v_exp_f32_e32 v30, v30
	v_mul_f32_e32 v31, 0x3fb8aa3b, v31
	v_exp_f32_e32 v31, v31
	v_cndmask_b32_e64 v18, 0, v44, s[4:5]
	v_add_f32_e32 v34, 0, v18
	v_cndmask_b32_e64 v19, 0, v39, s[34:35]
	v_add_f32_e32 v35, v34, v19
	;; [unrolled: 2-line block ×3, first 2 shown]
	v_cndmask_b32_e64 v35, 0, v31, s[38:39]
	v_sub_f32_e32 v31, v40, v38
	v_mul_f32_e32 v31, 0x3fb8aa3b, v31
	v_sub_f32_e32 v39, v41, v38
	v_exp_f32_e32 v31, v31
	v_mul_f32_e32 v39, 0x3fb8aa3b, v39
	v_sub_f32_e32 v36, v36, v38
	v_exp_f32_e32 v39, v39
	;; [unrolled: 3-line block ×4, first 2 shown]
	v_mul_f32_e32 v32, 0x3fb8aa3b, v32
	v_sub_f32_e32 v33, v33, v38
	v_add_f32_e32 v40, v30, v35
	v_cndmask_b32_e64 v30, 0, v31, s[24:25]
	v_exp_f32_e32 v32, v32
	v_mul_f32_e32 v33, 0x3fb8aa3b, v33
	v_sub_f32_e32 v24, v24, v38
	v_add_f32_e32 v40, v40, v30
	v_cndmask_b32_e64 v31, 0, v39, s[26:27]
	v_exp_f32_e32 v33, v33
	;; [unrolled: 5-line block ×7, first 2 shown]
	v_mul_f32_e32 v21, 0x3fb8aa3b, v21
	v_add_f32_e32 v39, v39, v24
	v_cndmask_b32_e64 v25, 0, v25, s[14:15]
	v_exp_f32_e32 v21, v21
	v_add_f32_e32 v39, v39, v25
	v_cndmask_b32_e64 v22, 0, v22, s[8:9]
	v_add_f32_e32 v39, v39, v22
	v_cndmask_b32_e64 v23, 0, v23, s[10:11]
	v_add_f32_e32 v39, v39, v23
	v_cndmask_b32_e32 v20, 0, v20, vcc
	v_add_f32_e32 v39, v39, v20
	v_cndmask_b32_e64 v21, 0, v21, s[6:7]
	v_add_f32_e32 v39, v39, v21
	ds_bpermute_b32 v40, v43, v39
	s_load_dword s7, s[0:1], 0x98
	v_cmp_gt_u32_e32 vcc, 16, v27
	s_waitcnt lgkmcnt(0)
	s_barrier
	v_add_f32_e32 v40, v39, v40
	ds_bpermute_b32 v41, v46, v40
	v_lshlrev_b32_e32 v39, 2, v28
	s_waitcnt lgkmcnt(0)
	s_and_saveexec_b64 s[4:5], vcc
	s_cbranch_execz .LBB1137_15
; %bb.14:
	v_add_f32_e32 v27, v40, v41
	v_lshl_or_b32 v40, v29, 6, v39
	ds_write2st64_b32 v40, v38, v27 offset1:1
.LBB1137_15:
	s_or_b64 exec, exec, s[4:5]
	s_load_dword s6, s[0:1], 0x94
	s_waitcnt lgkmcnt(0)
	s_barrier
	ds_read2_b32 v[40:41], v39 offset1:16
	ds_read2_b32 v[44:45], v39 offset0:32 offset1:48
	ds_read2_b32 v[46:47], v39 offset0:64 offset1:80
	s_movk_i32 s8, 0x7fff
	s_mul_i32 s7, s7, 10
	s_waitcnt lgkmcnt(2)
	v_max3_f32 v27, v40, s44, v41
	s_waitcnt lgkmcnt(1)
	v_max3_f32 v27, v27, v44, v45
	v_sub_f32_e32 v38, v40, v27
	v_mul_f32_e32 v38, 0x3fb8aa3b, v38
	v_exp_f32_e32 v43, v38
	v_sub_f32_e32 v38, v41, v27
	v_mul_f32_e32 v38, 0x3fb8aa3b, v38
	v_exp_f32_e32 v48, v38
	;; [unrolled: 3-line block ×3, first 2 shown]
	ds_read2_b32 v[40:41], v39 offset0:96 offset1:112
	v_sub_f32_e32 v38, v45, v27
	v_mul_f32_e32 v38, 0x3fb8aa3b, v38
	v_exp_f32_e32 v39, v38
	s_waitcnt lgkmcnt(1)
	v_fma_f32 v38, v43, v46, 0
	v_fmac_f32_e32 v38, v48, v47
	s_waitcnt lgkmcnt(0)
	v_fmac_f32_e32 v38, v44, v40
	v_fmac_f32_e32 v38, v39, v41
	v_add_f32_e32 v40, 0x358637bd, v38
	v_div_scale_f32 v41, s[4:5], v40, v40, 1.0
	v_rcp_f32_e32 v45, v41
	s_barrier
	v_fma_f32 v46, -v41, v45, 1.0
	v_fmac_f32_e32 v45, v46, v45
	v_div_scale_f32 v46, vcc, 1.0, v40, 1.0
	v_mul_f32_e32 v47, v46, v45
	v_fma_f32 v49, -v41, v47, v46
	v_fmac_f32_e32 v47, v49, v45
	v_fma_f32 v41, -v41, v47, v46
	v_div_fmas_f32 v41, v41, v45, v47
	v_cmp_eq_u32_e32 vcc, 1, v29
	v_div_fixup_f32 v40, v41, v40, 1.0
	s_nop 0
	v_cndmask_b32_e32 v41, v43, v48, vcc
	v_cmp_eq_u32_e32 vcc, 2, v29
	s_nop 1
	v_cndmask_b32_e32 v41, v41, v44, vcc
	v_cmp_eq_u32_e32 vcc, 3, v29
	v_lshlrev_b32_e32 v29, 11, v29
	s_nop 0
	v_cndmask_b32_e32 v39, v41, v39, vcc
	v_mul_f32_e32 v40, v39, v40
	v_pk_mul_f32 v[18:19], v[40:41], v[18:19] op_sel_hi:[0,1]
	v_pk_mul_f32 v[34:35], v[40:41], v[34:35] op_sel_hi:[0,1]
	v_bfe_u32 v39, v19, 16, 1
	v_bfe_u32 v41, v18, 16, 1
	v_add3_u32 v18, v18, v41, s8
	v_add3_u32 v19, v19, v39, s8
	v_perm_b32 v44, v19, v18, s33
	v_bfe_u32 v18, v35, 16, 1
	v_bfe_u32 v19, v34, 16, 1
	v_add3_u32 v19, v34, v19, s8
	v_add3_u32 v18, v35, v18, s8
	v_perm_b32 v45, v18, v19, s33
	v_lshlrev_b32_e32 v18, 3, v42
	v_lshlrev_b32_e32 v19, 5, v28
	v_pk_mul_f32 v[30:31], v[40:41], v[30:31] op_sel_hi:[0,1]
	v_or3_b32 v18, v29, v19, v18
	v_pk_mul_f32 v[34:35], v[40:41], v[36:37] op_sel_hi:[0,1]
	v_bfe_u32 v29, v31, 16, 1
	v_bfe_u32 v36, v30, 16, 1
	v_add3_u32 v30, v30, v36, s8
	v_add3_u32 v29, v31, v29, s8
	v_perm_b32 v30, v29, v30, s33
	v_bfe_u32 v29, v35, 16, 1
	v_bfe_u32 v31, v34, 16, 1
	v_add3_u32 v31, v34, v31, s8
	v_add3_u32 v29, v35, v29, s8
	v_perm_b32 v31, v29, v31, s33
	ds_write2st64_b64 v18, v[44:45], v[30:31] offset1:1
	v_pk_mul_f32 v[30:31], v[40:41], v[32:33] op_sel_hi:[0,1]
	v_bfe_u32 v29, v31, 16, 1
	v_bfe_u32 v32, v30, 16, 1
	v_pk_mul_f32 v[24:25], v[40:41], v[24:25] op_sel_hi:[0,1]
	v_add3_u32 v30, v30, v32, s8
	v_add3_u32 v29, v31, v29, s8
	v_perm_b32 v30, v29, v30, s33
	v_bfe_u32 v29, v25, 16, 1
	v_bfe_u32 v31, v24, 16, 1
	v_add3_u32 v24, v24, v31, s8
	v_add3_u32 v25, v25, v29, s8
	v_pk_mul_f32 v[22:23], v[40:41], v[22:23] op_sel_hi:[0,1]
	v_perm_b32 v31, v25, v24, s33
	v_bfe_u32 v24, v23, 16, 1
	v_bfe_u32 v25, v22, 16, 1
	v_pk_mul_f32 v[20:21], v[40:41], v[20:21] op_sel_hi:[0,1]
	v_add3_u32 v22, v22, v25, s8
	v_add3_u32 v23, v23, v24, s8
	v_perm_b32 v22, v23, v22, s33
	v_bfe_u32 v23, v21, 16, 1
	v_bfe_u32 v24, v20, 16, 1
	v_add3_u32 v20, v20, v24, s8
	v_add3_u32 v21, v21, v23, s8
	v_perm_b32 v23, v21, v20, s33
	v_cmp_gt_u32_e32 vcc, 10, v0
	ds_write2st64_b64 v18, v[30:31], v[22:23] offset0:2 offset1:3
	s_and_saveexec_b64 s[4:5], vcc
	s_cbranch_execz .LBB1137_17
; %bb.16:
	s_mov_b32 s49, 0
	v_mov_b32_e32 v29, 0
	v_lshl_add_u64 v[20:21], s[48:49], 0, v[28:29]
	v_mov_b32_e32 v22, s7
	v_mad_u64_u32 v[20:21], s[10:11], s2, v22, v[20:21]
	s_mul_i32 s3, s3, s7
	v_mov_b32_e32 v28, s28
	s_load_dwordx4 s[12:15], s[0:1], 0x58
	v_add_u32_e32 v23, s3, v21
	v_mad_u64_u32 v[20:21], s[10:11], v20, s6, v[28:29]
	v_mov_b32_e32 v22, v21
	v_mad_u64_u32 v[22:23], s[10:11], v23, s6, v[22:23]
	v_mov_b32_e32 v21, v22
	v_lshlrev_b64 v[20:21], 2, v[20:21]
	s_waitcnt lgkmcnt(0)
	v_lshl_add_u64 v[22:23], s[14:15], 0, v[20:21]
	v_lshl_add_u64 v[20:21], s[12:13], 0, v[20:21]
	global_store_dword v[22:23], v27, off
	global_store_dword v[20:21], v38, off
.LBB1137_17:
	s_or_b64 exec, exec, s[4:5]
	s_waitcnt vmcnt(3)
	v_cvt_pk_f32_fp8_e32 v[20:21], v14
	v_cvt_pk_f32_fp8_sdwa v[22:23], v14 src0_sel:WORD_1
	s_mov_b32 s4, 0x7060302
	v_lshl_or_b32 v14, v42, 9, v19
	s_waitcnt lgkmcnt(0)
	s_barrier
	v_perm_b32 v24, v21, v20, s4
	v_perm_b32 v25, v23, v22, s4
	v_cvt_pk_f32_fp8_e32 v[28:29], v15
	ds_read_b128 v[20:23], v14
	v_cvt_pk_f32_fp8_sdwa v[36:37], v15 src0_sel:WORD_1
	s_load_dword s10, s[42:43], 0x0
	v_perm_b32 v38, v29, v28, s4
	ds_read_b128 v[28:31], v14 offset:16
	v_perm_b32 v39, v37, v36, s4
	s_waitcnt lgkmcnt(0)
	v_mfma_f32_16x16x16_bf16 v[32:35], v[24:25], v[20:21], 0
	v_cvt_pk_f32_fp8_e32 v[24:25], v16
	v_cvt_pk_f32_fp8_sdwa v[36:37], v16 src0_sel:WORD_1
	v_cmp_gt_u32_e32 vcc, 64, v0
	v_mfma_f32_16x16x16_bf16 v[20:23], v[38:39], v[22:23], v[32:35]
	v_perm_b32 v24, v25, v24, s4
	v_perm_b32 v25, v37, v36, s4
	s_mov_b32 s3, 0
	v_cvt_pk_f32_fp8_e32 v[32:33], v17
	v_cvt_pk_f32_fp8_sdwa v[16:17], v17 src0_sel:WORD_1
	s_waitcnt vmcnt(2)
	v_cvt_pk_f32_fp8_sdwa v[34:35], v10 src0_sel:WORD_1
	v_mfma_f32_16x16x16_bf16 v[20:23], v[24:25], v[28:29], v[20:23]
	v_perm_b32 v36, v33, v32, s4
	v_cvt_pk_f32_fp8_e32 v[32:33], v10
	v_perm_b32 v37, v17, v16, s4
	v_perm_b32 v17, v35, v34, s4
	v_cvt_pk_f32_fp8_e32 v[24:25], v11
	v_perm_b32 v16, v33, v32, s4
	ds_read_b128 v[32:35], v14 offset:2048
	v_cvt_pk_f32_fp8_sdwa v[10:11], v11 src0_sel:WORD_1
	v_mfma_f32_16x16x16_bf16 v[20:23], v[36:37], v[30:31], v[20:23]
	ds_read_b128 v[28:31], v14 offset:2064
	v_perm_b32 v24, v25, v24, s4
	v_perm_b32 v25, v11, v10, s4
	s_waitcnt lgkmcnt(1)
	v_mfma_f32_16x16x16_bf16 v[20:23], v[16:17], v[32:33], v[20:23]
	v_cvt_pk_f32_fp8_e32 v[10:11], v12
	v_cvt_pk_f32_fp8_sdwa v[16:17], v12 src0_sel:WORD_1
	s_waitcnt vmcnt(1)
	v_cvt_pk_f32_fp8_sdwa v[32:33], v6 src0_sel:WORD_1
	v_mfma_f32_16x16x16_bf16 v[20:23], v[24:25], v[34:35], v[20:23]
	v_cvt_pk_f32_fp8_e32 v[24:25], v13
	v_perm_b32 v10, v11, v10, s4
	v_perm_b32 v11, v17, v16, s4
	v_cvt_pk_f32_fp8_sdwa v[12:13], v13 src0_sel:WORD_1
	v_perm_b32 v16, v25, v24, s4
	v_cvt_pk_f32_fp8_e32 v[24:25], v6
	v_mov_b32_e32 v27, 0
	v_perm_b32 v17, v13, v12, s4
	s_waitcnt lgkmcnt(0)
	v_mfma_f32_16x16x16_bf16 v[10:13], v[10:11], v[28:29], v[20:23]
	v_perm_b32 v24, v25, v24, s4
	v_perm_b32 v25, v33, v32, s4
	v_cvt_pk_f32_fp8_e32 v[28:29], v7
	ds_read_b128 v[20:23], v14 offset:4096
	v_cvt_pk_f32_fp8_sdwa v[6:7], v7 src0_sel:WORD_1
	v_mfma_f32_16x16x16_bf16 v[10:13], v[16:17], v[30:31], v[10:13]
	v_perm_b32 v16, v29, v28, s4
	ds_read_b128 v[28:31], v14 offset:4112
	v_perm_b32 v17, v7, v6, s4
	s_waitcnt lgkmcnt(1)
	v_mfma_f32_16x16x16_bf16 v[10:13], v[24:25], v[20:21], v[10:13]
	v_cvt_pk_f32_fp8_e32 v[6:7], v8
	v_cvt_pk_f32_fp8_sdwa v[20:21], v8 src0_sel:WORD_1
	v_perm_b32 v6, v7, v6, s4
	v_mfma_f32_16x16x16_bf16 v[10:13], v[16:17], v[22:23], v[10:13]
	v_cvt_pk_f32_fp8_e32 v[16:17], v9
	v_perm_b32 v7, v21, v20, s4
	v_cvt_pk_f32_fp8_sdwa v[8:9], v9 src0_sel:WORD_1
	s_waitcnt vmcnt(0)
	v_cvt_pk_f32_fp8_e32 v[20:21], v2
	v_perm_b32 v16, v17, v16, s4
	v_cvt_pk_f32_fp8_sdwa v[22:23], v2 src0_sel:WORD_1
	v_perm_b32 v17, v9, v8, s4
	s_waitcnt lgkmcnt(0)
	v_mfma_f32_16x16x16_bf16 v[6:9], v[6:7], v[28:29], v[10:13]
	v_perm_b32 v20, v21, v20, s4
	v_perm_b32 v21, v23, v22, s4
	v_cvt_pk_f32_fp8_e32 v[22:23], v3
	ds_read_b128 v[10:13], v14 offset:6144
	v_cvt_pk_f32_fp8_sdwa v[2:3], v3 src0_sel:WORD_1
	v_mfma_f32_16x16x16_bf16 v[6:9], v[16:17], v[30:31], v[6:9]
	v_perm_b32 v22, v23, v22, s4
	ds_read_b128 v[14:17], v14 offset:6160
	v_perm_b32 v23, v3, v2, s4
	s_waitcnt lgkmcnt(1)
	v_mfma_f32_16x16x16_bf16 v[6:9], v[20:21], v[10:11], v[6:9]
	v_cvt_pk_f32_fp8_e32 v[2:3], v4
	v_cvt_pk_f32_fp8_sdwa v[10:11], v4 src0_sel:WORD_1
	s_waitcnt lgkmcnt(0)
	v_mfma_f32_16x16x16_bf16 v[6:9], v[22:23], v[12:13], v[6:9]
	v_perm_b32 v2, v3, v2, s4
	v_perm_b32 v3, v11, v10, s4
	v_cvt_pk_f32_fp8_e32 v[10:11], v5
	v_cvt_pk_f32_fp8_sdwa v[4:5], v5 src0_sel:WORD_1
	s_barrier
	v_perm_b32 v10, v11, v10, s4
	v_perm_b32 v11, v5, v4, s4
	v_mfma_f32_16x16x16_bf16 v[2:5], v[2:3], v[14:15], v[6:9]
	s_nop 0
	v_mfma_f32_16x16x16_bf16 v[2:5], v[10:11], v[16:17], v[2:5]
	s_nop 6
	v_pk_mul_f32 v[2:3], v[2:3], s[10:11] op_sel_hi:[1,0]
	v_pk_mul_f32 v[4:5], v[4:5], s[10:11] op_sel_hi:[1,0]
	v_bfe_u32 v6, v3, 16, 1
	v_bfe_u32 v7, v2, 16, 1
	v_add3_u32 v2, v2, v7, s8
	v_add3_u32 v3, v3, v6, s8
	v_perm_b32 v2, v3, v2, s4
	v_bfe_u32 v3, v5, 16, 1
	v_bfe_u32 v6, v4, 16, 1
	v_add3_u32 v4, v4, v6, s8
	v_add3_u32 v3, v5, v3, s8
	v_perm_b32 v3, v3, v4, s4
	s_and_b64 s[4:5], vcc, s[30:31]
	ds_write_b64 v18, v[2:3]
	s_waitcnt lgkmcnt(0)
	s_barrier
	s_and_saveexec_b64 s[8:9], s[4:5]
	s_cbranch_execz .LBB1137_20
; %bb.18:
	s_load_dwordx2 s[4:5], s[0:1], 0x68
	s_lshl_b32 s0, s6, 6
	s_mul_i32 s1, s7, s2
	s_mul_hi_u32 s7, s1, s0
	s_mul_i32 s6, s1, s0
	v_lshlrev_b32_e32 v0, 10, v0
	s_lshl_b64 s[6:7], s[6:7], 1
	v_and_b32_e32 v0, 0x1800, v0
	v_lshlrev_b32_e32 v2, 5, v42
	v_and_b32_e32 v1, 16, v1
	s_waitcnt lgkmcnt(0)
	s_add_u32 s1, s4, s6
	v_or3_b32 v2, v0, v2, v1
	s_addc_u32 s4, s5, s7
	s_lshl_b32 s2, s28, 6
	s_lshl_b64 s[2:3], s[2:3], 1
	ds_read_b128 v[4:7], v2 offset:128
	ds_read_b128 v[8:11], v2
	s_add_u32 s2, s1, s2
	s_addc_u32 s3, s4, s3
	v_add_u32_e32 v14, s48, v42
	v_lshl_add_u64 v[0:1], s[2:3], 0, v[26:27]
	v_mad_u64_u32 v[12:13], s[2:3], v14, s0, 0
	v_lshl_add_u64 v[12:13], v[12:13], 1, v[0:1]
	s_waitcnt lgkmcnt(0)
	global_store_dwordx4 v[12:13], v[8:11], off
	v_or_b32_e32 v3, 8, v42
	v_cmp_gt_u32_e32 vcc, 10, v3
	v_add_u32_e32 v8, 4, v14
	v_mad_u64_u32 v[8:9], s[2:3], v8, s0, 0
	v_lshl_add_u64 v[8:9], v[8:9], 1, v[0:1]
	global_store_dwordx4 v[8:9], v[4:7], off
	s_and_b64 exec, exec, vcc
	s_cbranch_execz .LBB1137_20
; %bb.19:
	ds_read_b128 v[4:7], v2 offset:256
	v_add_u32_e32 v2, s48, v3
	v_mad_u64_u32 v[2:3], s[0:1], v2, s0, 0
	v_lshl_add_u64 v[0:1], v[2:3], 1, v[0:1]
	s_waitcnt lgkmcnt(0)
	global_store_dwordx4 v[0:1], v[4:7], off
.LBB1137_20:
	s_endpgm
	.section	.rodata,"a",@progbits
	.p2align	6, 0x0
	.amdhsa_kernel _Z39paged_attention_ll4mi_QKV_mfma16_kernelI14__hip_bfloat16hLN4vllm18Fp8KVCacheDataTypeE1ES0_Li16ELi64ELi256ELb1ELi10EEvPKT_PKT0_S8_ifPKiSA_SA_iPKfiiiPfSD_PS3_PT2_iSC_SC_
		.amdhsa_group_segment_fixed_size 8192
		.amdhsa_private_segment_fixed_size 0
		.amdhsa_kernarg_size 400
		.amdhsa_user_sgpr_count 2
		.amdhsa_user_sgpr_dispatch_ptr 0
		.amdhsa_user_sgpr_queue_ptr 0
		.amdhsa_user_sgpr_kernarg_segment_ptr 1
		.amdhsa_user_sgpr_dispatch_id 0
		.amdhsa_user_sgpr_kernarg_preload_length 0
		.amdhsa_user_sgpr_kernarg_preload_offset 0
		.amdhsa_user_sgpr_private_segment_size 0
		.amdhsa_uses_dynamic_stack 0
		.amdhsa_enable_private_segment 0
		.amdhsa_system_sgpr_workgroup_id_x 1
		.amdhsa_system_sgpr_workgroup_id_y 1
		.amdhsa_system_sgpr_workgroup_id_z 1
		.amdhsa_system_sgpr_workgroup_info 0
		.amdhsa_system_vgpr_workitem_id 0
		.amdhsa_next_free_vgpr 67
		.amdhsa_next_free_sgpr 50
		.amdhsa_accum_offset 68
		.amdhsa_reserve_vcc 1
		.amdhsa_float_round_mode_32 0
		.amdhsa_float_round_mode_16_64 0
		.amdhsa_float_denorm_mode_32 3
		.amdhsa_float_denorm_mode_16_64 3
		.amdhsa_dx10_clamp 1
		.amdhsa_ieee_mode 1
		.amdhsa_fp16_overflow 0
		.amdhsa_tg_split 0
		.amdhsa_exception_fp_ieee_invalid_op 0
		.amdhsa_exception_fp_denorm_src 0
		.amdhsa_exception_fp_ieee_div_zero 0
		.amdhsa_exception_fp_ieee_overflow 0
		.amdhsa_exception_fp_ieee_underflow 0
		.amdhsa_exception_fp_ieee_inexact 0
		.amdhsa_exception_int_div_zero 0
	.end_amdhsa_kernel
	.section	.text._Z39paged_attention_ll4mi_QKV_mfma16_kernelI14__hip_bfloat16hLN4vllm18Fp8KVCacheDataTypeE1ES0_Li16ELi64ELi256ELb1ELi10EEvPKT_PKT0_S8_ifPKiSA_SA_iPKfiiiPfSD_PS3_PT2_iSC_SC_,"axG",@progbits,_Z39paged_attention_ll4mi_QKV_mfma16_kernelI14__hip_bfloat16hLN4vllm18Fp8KVCacheDataTypeE1ES0_Li16ELi64ELi256ELb1ELi10EEvPKT_PKT0_S8_ifPKiSA_SA_iPKfiiiPfSD_PS3_PT2_iSC_SC_,comdat
.Lfunc_end1137:
	.size	_Z39paged_attention_ll4mi_QKV_mfma16_kernelI14__hip_bfloat16hLN4vllm18Fp8KVCacheDataTypeE1ES0_Li16ELi64ELi256ELb1ELi10EEvPKT_PKT0_S8_ifPKiSA_SA_iPKfiiiPfSD_PS3_PT2_iSC_SC_, .Lfunc_end1137-_Z39paged_attention_ll4mi_QKV_mfma16_kernelI14__hip_bfloat16hLN4vllm18Fp8KVCacheDataTypeE1ES0_Li16ELi64ELi256ELb1ELi10EEvPKT_PKT0_S8_ifPKiSA_SA_iPKfiiiPfSD_PS3_PT2_iSC_SC_
                                        ; -- End function
	.section	.AMDGPU.csdata,"",@progbits
; Kernel info:
; codeLenInByte = 5128
; NumSgprs: 56
; NumVgprs: 67
; NumAgprs: 0
; TotalNumVgprs: 67
; ScratchSize: 0
; MemoryBound: 0
; FloatMode: 240
; IeeeMode: 1
; LDSByteSize: 8192 bytes/workgroup (compile time only)
; SGPRBlocks: 6
; VGPRBlocks: 8
; NumSGPRsForWavesPerEU: 56
; NumVGPRsForWavesPerEU: 67
; AccumOffset: 68
; Occupancy: 7
; WaveLimiterHint : 1
; COMPUTE_PGM_RSRC2:SCRATCH_EN: 0
; COMPUTE_PGM_RSRC2:USER_SGPR: 2
; COMPUTE_PGM_RSRC2:TRAP_HANDLER: 0
; COMPUTE_PGM_RSRC2:TGID_X_EN: 1
; COMPUTE_PGM_RSRC2:TGID_Y_EN: 1
; COMPUTE_PGM_RSRC2:TGID_Z_EN: 1
; COMPUTE_PGM_RSRC2:TIDIG_COMP_CNT: 0
; COMPUTE_PGM_RSRC3_GFX90A:ACCUM_OFFSET: 16
; COMPUTE_PGM_RSRC3_GFX90A:TG_SPLIT: 0
	.section	.text._Z39paged_attention_ll4mi_QKV_mfma16_kernelI14__hip_bfloat16hLN4vllm18Fp8KVCacheDataTypeE1ES0_Li16ELi64ELi256ELb1ELi11EEvPKT_PKT0_S8_ifPKiSA_SA_iPKfiiiPfSD_PS3_PT2_iSC_SC_,"axG",@progbits,_Z39paged_attention_ll4mi_QKV_mfma16_kernelI14__hip_bfloat16hLN4vllm18Fp8KVCacheDataTypeE1ES0_Li16ELi64ELi256ELb1ELi11EEvPKT_PKT0_S8_ifPKiSA_SA_iPKfiiiPfSD_PS3_PT2_iSC_SC_,comdat
	.protected	_Z39paged_attention_ll4mi_QKV_mfma16_kernelI14__hip_bfloat16hLN4vllm18Fp8KVCacheDataTypeE1ES0_Li16ELi64ELi256ELb1ELi11EEvPKT_PKT0_S8_ifPKiSA_SA_iPKfiiiPfSD_PS3_PT2_iSC_SC_ ; -- Begin function _Z39paged_attention_ll4mi_QKV_mfma16_kernelI14__hip_bfloat16hLN4vllm18Fp8KVCacheDataTypeE1ES0_Li16ELi64ELi256ELb1ELi11EEvPKT_PKT0_S8_ifPKiSA_SA_iPKfiiiPfSD_PS3_PT2_iSC_SC_
	.globl	_Z39paged_attention_ll4mi_QKV_mfma16_kernelI14__hip_bfloat16hLN4vllm18Fp8KVCacheDataTypeE1ES0_Li16ELi64ELi256ELb1ELi11EEvPKT_PKT0_S8_ifPKiSA_SA_iPKfiiiPfSD_PS3_PT2_iSC_SC_
	.p2align	8
	.type	_Z39paged_attention_ll4mi_QKV_mfma16_kernelI14__hip_bfloat16hLN4vllm18Fp8KVCacheDataTypeE1ES0_Li16ELi64ELi256ELb1ELi11EEvPKT_PKT0_S8_ifPKiSA_SA_iPKfiiiPfSD_PS3_PT2_iSC_SC_,@function
_Z39paged_attention_ll4mi_QKV_mfma16_kernelI14__hip_bfloat16hLN4vllm18Fp8KVCacheDataTypeE1ES0_Li16ELi64ELi256ELb1ELi11EEvPKT_PKT0_S8_ifPKiSA_SA_iPKfiiiPfSD_PS3_PT2_iSC_SC_: ; @_Z39paged_attention_ll4mi_QKV_mfma16_kernelI14__hip_bfloat16hLN4vllm18Fp8KVCacheDataTypeE1ES0_Li16ELi64ELi256ELb1ELi11EEvPKT_PKT0_S8_ifPKiSA_SA_iPKfiiiPfSD_PS3_PT2_iSC_SC_
; %bb.0:
	s_load_dwordx2 s[6:7], s[0:1], 0x30
	s_mov_b32 s28, s3
	s_mov_b64 s[8:9], 0
	s_waitcnt lgkmcnt(0)
	s_cmp_lg_u64 s[6:7], 0
	s_cselect_b64 s[10:11], -1, 0
	s_and_b64 vcc, exec, s[10:11]
	s_cbranch_vccz .LBB1138_7
; %bb.1:
	s_add_i32 s12, s2, 1
	s_mov_b32 s13, 0
	s_lshl_b64 s[14:15], s[12:13], 2
	s_add_u32 s14, s6, s14
	s_mov_b32 s3, s13
	s_addc_u32 s15, s7, s15
	s_lshl_b64 s[12:13], s[2:3], 2
	s_add_u32 s12, s6, s12
	s_addc_u32 s13, s7, s13
	s_load_dword s5, s[14:15], 0x0
	s_load_dword s16, s[12:13], 0x0
	s_waitcnt lgkmcnt(0)
	s_sub_i32 s5, s5, s16
	s_cmp_eq_u32 s5, 1
	s_cselect_b64 s[12:13], -1, 0
	s_andn2_b64 vcc, exec, s[8:9]
	s_cbranch_vccnz .LBB1138_3
.LBB1138_2:
	s_mov_b32 s3, 0
	s_mov_b64 s[12:13], -1
.LBB1138_3:
	s_andn2_b64 vcc, exec, s[12:13]
	s_cbranch_vccnz .LBB1138_20
; %bb.4:
	s_load_dwordx2 s[8:9], s[0:1], 0x28
	s_lshl_b64 s[12:13], s[2:3], 2
	s_waitcnt lgkmcnt(0)
	s_add_u32 s8, s8, s12
	s_addc_u32 s9, s9, s13
	s_load_dword s29, s[8:9], 0x0
	s_lshl_b32 s16, s28, 8
	s_waitcnt lgkmcnt(0)
	s_cmp_ge_i32 s16, s29
	s_cbranch_scc1 .LBB1138_20
; %bb.5:
	s_load_dwordx2 s[8:9], s[0:1], 0x20
	s_load_dword s5, s[0:1], 0x38
	s_add_i32 s14, s29, 15
	s_ashr_i32 s15, s14, 31
	v_and_b32_e32 v1, 0xcf, v0
	s_lshr_b32 s15, s15, 28
	v_add_u32_e32 v1, s16, v1
	s_add_i32 s14, s14, s15
	v_ashrrev_i32_e32 v2, 31, v1
	s_ashr_i32 s17, s14, 4
	v_lshrrev_b32_e32 v4, 28, v2
	s_add_i32 s17, s17, -1
	s_waitcnt lgkmcnt(0)
	s_mul_i32 s14, s2, s5
	s_mov_b32 s15, 0
	v_add_u32_e32 v2, v1, v4
	s_lshl_b64 s[14:15], s[14:15], 2
	v_ashrrev_i32_e32 v2, 4, v2
	v_mov_b32_e32 v5, s17
	v_cmp_gt_i32_e32 vcc, s29, v1
	s_add_u32 s8, s8, s14
	s_addc_u32 s9, s9, s15
	v_cndmask_b32_e32 v2, v5, v2, vcc
	v_ashrrev_i32_e32 v3, 31, v2
	v_lshl_add_u64 v[6:7], v[2:3], 2, s[8:9]
	v_or_b32_e32 v2, 16, v1
	v_add_u32_e32 v3, v2, v4
	v_ashrrev_i32_e32 v3, 4, v3
	v_cmp_gt_i32_e32 vcc, s29, v2
	s_load_dwordx2 s[14:15], s[0:1], 0x8
	s_nop 0
	v_cndmask_b32_e32 v2, v5, v3, vcc
	v_ashrrev_i32_e32 v3, 31, v2
	v_lshl_add_u64 v[8:9], v[2:3], 2, s[8:9]
	v_or_b32_e32 v2, 32, v1
	v_add_u32_e32 v3, v2, v4
	v_ashrrev_i32_e32 v3, 4, v3
	v_cmp_gt_i32_e32 vcc, s29, v2
	v_or_b32_e32 v1, 48, v1
	s_nop 0
	v_cndmask_b32_e32 v2, v5, v3, vcc
	v_ashrrev_i32_e32 v3, 31, v2
	v_lshl_add_u64 v[10:11], v[2:3], 2, s[8:9]
	v_add_u32_e32 v2, v1, v4
	v_ashrrev_i32_e32 v2, 4, v2
	v_cmp_gt_i32_e32 vcc, s29, v1
	s_nop 1
	v_cndmask_b32_e32 v2, v5, v2, vcc
	v_ashrrev_i32_e32 v3, 31, v2
	v_lshl_add_u64 v[12:13], v[2:3], 2, s[8:9]
	global_load_dword v5, v[6:7], off
	global_load_dword v4, v[8:9], off
	;; [unrolled: 1-line block ×4, first 2 shown]
	s_andn2_b64 vcc, exec, s[10:11]
	s_cbranch_vccnz .LBB1138_8
; %bb.6:
	s_add_u32 s6, s6, s12
	s_addc_u32 s7, s7, s13
	s_load_dword s5, s[6:7], 0x0
	s_branch .LBB1138_9
.LBB1138_7:
	s_mov_b64 s[12:13], 0
	s_branch .LBB1138_2
.LBB1138_8:
	s_mov_b32 s5, s2
.LBB1138_9:
	s_load_dwordx2 s[6:7], s[0:1], 0x10
	s_load_dwordx4 s[44:47], s[0:1], 0x48
	v_lshrrev_b32_e32 v29, 6, v0
	v_bfe_u32 v42, v0, 4, 2
	v_lshl_or_b32 v6, v29, 2, v42
	v_and_b32_e32 v28, 15, v0
	v_lshlrev_b32_e32 v1, 3, v28
	v_cmp_gt_u32_e32 vcc, 11, v6
	v_cmp_gt_u32_e64 s[30:31], 8, v28
	s_mul_i32 s48, s4, 11
	s_and_b64 s[12:13], s[30:31], vcc
	v_lshlrev_b32_e32 v26, 1, v1
	v_lshlrev_b32_e32 v1, 4, v0
	s_and_saveexec_b64 s[10:11], s[12:13]
	s_cbranch_execz .LBB1138_11
; %bb.10:
	s_load_dwordx2 s[12:13], s[0:1], 0x0
	s_waitcnt lgkmcnt(0)
	s_ashr_i32 s18, s44, 31
	s_mul_hi_u32 s19, s5, s44
	s_mul_i32 s18, s5, s18
	s_add_i32 s19, s19, s18
	s_mul_i32 s18, s5, s44
	s_lshl_b64 s[18:19], s[18:19], 1
	s_add_u32 s12, s12, s18
	v_add_lshl_u32 v8, v6, s48, 6
	s_addc_u32 s13, s13, s19
	v_ashrrev_i32_e32 v9, 31, v8
	v_lshl_add_u64 v[8:9], v[8:9], 1, s[12:13]
	v_mov_b32_e32 v27, 0
	v_lshl_add_u64 v[8:9], v[8:9], 0, v[26:27]
	global_load_dwordx4 v[8:11], v[8:9], off
	v_lshlrev_b32_e32 v12, 8, v28
	v_lshlrev_b32_e32 v6, 5, v6
	v_and_b32_e32 v7, 16, v1
	v_and_b32_e32 v12, 0xe00, v12
	v_or3_b32 v6, v12, v6, v7
	s_waitcnt vmcnt(0)
	ds_write_b128 v6, v[8:11]
.LBB1138_11:
	s_or_b64 exec, exec, s[10:11]
	s_waitcnt lgkmcnt(0)
	s_mul_i32 s10, s4, s46
	s_add_u32 s4, s14, s10
	s_addc_u32 s5, s15, 0
	v_and_b32_e32 v32, 48, v0
	v_and_b32_e32 v30, 0xf0, v1
	v_mov_b32_e32 v31, 0
	v_lshl_add_u64 v[6:7], s[4:5], 0, v[30:31]
	v_lshlrev_b32_e32 v30, 4, v32
	v_lshl_add_u64 v[6:7], v[6:7], 0, v[30:31]
	s_waitcnt vmcnt(3)
	v_mad_i64_i32 v[8:9], s[4:5], v5, s45, v[6:7]
	s_waitcnt vmcnt(2)
	v_mad_i64_i32 v[4:5], s[4:5], v4, s45, v[6:7]
	s_barrier
	global_load_dwordx4 v[22:25], v[8:9], off
	global_load_dwordx4 v[18:21], v[4:5], off
	s_waitcnt vmcnt(3)
	v_mad_i64_i32 v[4:5], s[4:5], v3, s45, v[6:7]
	s_waitcnt vmcnt(2)
	v_mad_i64_i32 v[2:3], s[4:5], v2, s45, v[6:7]
	global_load_dwordx4 v[14:17], v[4:5], off
	global_load_dwordx4 v[6:9], v[2:3], off
	v_add_u32_e32 v2, -11, v28
	v_cmp_gt_u32_e32 vcc, 11, v28
	v_and_b32_e32 v27, 63, v0
	v_mov_b32_e32 v43, 0
	v_cndmask_b32_e32 v2, v2, v28, vcc
	v_lshlrev_b32_e32 v2, 5, v2
	v_lshl_add_u32 v2, v42, 9, v2
	ds_read_b128 v[10:13], v2
	ds_read_b128 v[2:5], v2 offset:16
	s_and_saveexec_b64 s[4:5], vcc
	s_cbranch_execz .LBB1138_13
; %bb.12:
	s_load_dwordx2 s[12:13], s[0:1], 0x40
	v_add_u32_e32 v34, s48, v28
	v_ashrrev_i32_e32 v35, 31, v34
	s_waitcnt lgkmcnt(0)
	v_lshl_add_u64 v[34:35], v[34:35], 2, s[12:13]
	global_load_dword v43, v[34:35], off
.LBB1138_13:
	s_or_b64 exec, exec, s[4:5]
	v_or_b32_e32 v62, s16, v32
	v_ashrrev_i32_e32 v30, 4, v62
	v_mov_b32_e32 v63, s17
	v_cmp_gt_i32_e32 vcc, s29, v62
	s_waitcnt vmcnt(2)
	v_cvt_pk_f32_fp8_e32 v[52:53], v20
	v_cvt_pk_f32_fp8_sdwa v[54:55], v20 src0_sel:WORD_1
	v_cndmask_b32_e32 v20, v63, v30, vcc
	v_cvt_pk_f32_fp8_e32 v[56:57], v21
	v_cvt_pk_f32_fp8_sdwa v[58:59], v21 src0_sel:WORD_1
	v_ashrrev_i32_e32 v21, 31, v20
	v_cvt_pk_f32_fp8_e32 v[40:41], v22
	v_cvt_pk_f32_fp8_sdwa v[44:45], v22 src0_sel:WORD_1
	v_lshl_add_u64 v[20:21], v[20:21], 2, s[8:9]
	v_cvt_pk_f32_fp8_e32 v[46:47], v18
	v_cvt_pk_f32_fp8_sdwa v[48:49], v18 src0_sel:WORD_1
	global_load_dword v64, v[20:21], off
	s_mov_b32 s33, 0x7060302
	v_cvt_pk_f32_fp8_e32 v[32:33], v23
	v_cvt_pk_f32_fp8_sdwa v[34:35], v23 src0_sel:WORD_1
	v_perm_b32 v20, v41, v40, s33
	v_perm_b32 v21, v45, v44, s33
	v_cvt_pk_f32_fp8_e32 v[38:39], v24
	v_cvt_pk_f32_fp8_sdwa v[36:37], v24 src0_sel:WORD_1
	v_cvt_pk_f32_fp8_e32 v[50:51], v19
	v_cvt_pk_f32_fp8_sdwa v[18:19], v19 src0_sel:WORD_1
	v_perm_b32 v44, v47, v46, s33
	v_perm_b32 v45, v49, v48, s33
	v_cvt_pk_f32_fp8_e32 v[22:23], v25
	s_waitcnt vmcnt(2)
	v_cvt_pk_f32_fp8_e32 v[40:41], v14
	v_cvt_pk_f32_fp8_sdwa v[46:47], v14 src0_sel:WORD_1
	v_perm_b32 v48, v33, v32, s33
	v_perm_b32 v49, v35, v34, s33
	v_or_b32_e32 v14, 64, v62
	v_or_b32_e32 v32, 0xc0, v62
	v_cvt_pk_f32_fp8_sdwa v[24:25], v25 src0_sel:WORD_1
	s_load_dword s11, s[0:1], 0x1c
	s_load_dwordx4 s[40:43], s[0:1], 0x80
	v_perm_b32 v38, v39, v38, s33
	v_perm_b32 v39, v37, v36, s33
	v_or_b32_e32 v65, 0x80, v62
	v_ashrrev_i32_e32 v62, 4, v14
	v_cmp_gt_i32_e32 vcc, s29, v32
	v_ashrrev_i32_e32 v66, 4, v32
	v_cmp_gt_i32_e64 s[4:5], s29, v14
	v_perm_b32 v36, v51, v50, s33
	v_perm_b32 v37, v19, v18, s33
	s_waitcnt lgkmcnt(0)
	v_mfma_f32_16x16x16_bf16 v[32:35], v[20:21], v[10:11], 0
	s_add_u32 s6, s6, s10
	v_lshlrev_b32_e32 v30, 4, v28
	v_cndmask_b32_e64 v50, v63, v62, s[4:5]
	v_perm_b32 v62, v23, v22, s33
	v_mfma_f32_16x16x16_bf16 v[20:23], v[44:45], v[10:11], 0
	v_lshl_or_b32 v30, v29, 8, v30
	s_addc_u32 s7, s7, 0
	v_ashrrev_i32_e32 v14, 4, v65
	v_lshl_add_u64 v[18:19], s[6:7], 0, v[30:31]
	v_cmp_gt_i32_e64 s[6:7], s29, v65
	v_mfma_f32_16x16x16_bf16 v[30:33], v[48:49], v[12:13], v[32:35]
	v_cndmask_b32_e32 v48, v63, v66, vcc
	s_load_dword s4, s[40:41], 0x0
	v_cvt_pk_f32_fp8_e32 v[60:61], v15
	v_cndmask_b32_e64 v34, v63, v14, s[6:7]
	v_perm_b32 v63, v25, v24, s33
	v_perm_b32 v24, v53, v52, s33
	;; [unrolled: 1-line block ×3, first 2 shown]
	v_mfma_f32_16x16x16_bf16 v[20:23], v[36:37], v[12:13], v[20:23]
	v_perm_b32 v40, v41, v40, s33
	v_perm_b32 v41, v47, v46, s33
	v_ashrrev_i32_e32 v51, 31, v50
	v_mfma_f32_16x16x16_bf16 v[20:23], v[24:25], v[2:3], v[20:23]
	v_mov_b32_e32 v24, s11
	s_waitcnt lgkmcnt(0)
	v_mul_f32_e32 v54, s4, v24
	v_cvt_pk_f32_fp8_sdwa v[24:25], v15 src0_sel:WORD_1
	v_mfma_f32_16x16x16_bf16 v[30:33], v[38:39], v[2:3], v[30:33]
	v_ashrrev_i32_e32 v35, 31, v34
	v_ashrrev_i32_e32 v49, 31, v48
	v_lshl_add_u64 v[36:37], v[50:51], 2, s[8:9]
	v_lshl_add_u64 v[34:35], v[34:35], 2, s[8:9]
	;; [unrolled: 1-line block ×3, first 2 shown]
	global_load_dword v14, v[36:37], off
	global_load_dword v44, v[34:35], off
	;; [unrolled: 1-line block ×3, first 2 shown]
	v_perm_b32 v46, v61, v60, s33
	v_cvt_pk_f32_fp8_e32 v[48:49], v16
	v_cvt_pk_f32_fp8_sdwa v[50:51], v16 src0_sel:WORD_1
	v_perm_b32 v47, v25, v24, s33
	v_mfma_f32_16x16x16_bf16 v[36:39], v[62:63], v[4:5], v[30:33]
	v_perm_b32 v24, v49, v48, s33
	v_perm_b32 v25, v51, v50, s33
	;; [unrolled: 1-line block ×3, first 2 shown]
	v_mfma_f32_16x16x16_bf16 v[30:33], v[40:41], v[10:11], 0
	v_cvt_pk_f32_fp8_e32 v[40:41], v17
	v_cvt_pk_f32_fp8_sdwa v[16:17], v17 src0_sel:WORD_1
	v_perm_b32 v53, v59, v58, s33
	v_mfma_f32_16x16x16_bf16 v[46:49], v[46:47], v[12:13], v[30:33]
	s_mov_b32 s44, 0xff7fffff
	s_waitcnt vmcnt(3)
	v_mad_i64_i32 v[34:35], s[4:5], v64, s45, v[18:19]
	v_perm_b32 v32, v41, v40, s33
	v_perm_b32 v33, v17, v16, s33
	v_mfma_f32_16x16x16_bf16 v[46:49], v[24:25], v[2:3], v[46:49]
	v_cvt_pk_f32_fp8_e32 v[16:17], v6
	v_cvt_pk_f32_fp8_sdwa v[24:25], v6 src0_sel:WORD_1
	v_pk_mul_f32 v[30:31], v[54:55], v[38:39] op_sel_hi:[0,1]
	v_mfma_f32_16x16x16_bf16 v[46:49], v[32:33], v[4:5], v[46:49]
	v_cvt_pk_f32_fp8_e32 v[32:33], v7
	v_perm_b32 v16, v17, v16, s33
	v_perm_b32 v17, v25, v24, s33
	v_cvt_pk_f32_fp8_sdwa v[6:7], v7 src0_sel:WORD_1
	v_pk_mul_f32 v[38:39], v[54:55], v[36:37] op_sel_hi:[0,1]
	v_perm_b32 v24, v33, v32, s33
	v_cvt_pk_f32_fp8_e32 v[32:33], v8
	v_cvt_pk_f32_fp8_sdwa v[36:37], v8 src0_sel:WORD_1
	v_perm_b32 v25, v7, v6, s33
	v_mfma_f32_16x16x16_bf16 v[20:23], v[52:53], v[4:5], v[20:23]
	v_mfma_f32_16x16x16_bf16 v[50:53], v[16:17], v[10:11], 0
	v_perm_b32 v10, v33, v32, s33
	v_perm_b32 v11, v37, v36, s33
	v_cvt_pk_f32_fp8_e32 v[16:17], v9
	v_cvt_pk_f32_fp8_sdwa v[32:33], v9 src0_sel:WORD_1
	v_mfma_f32_16x16x16_bf16 v[6:9], v[24:25], v[12:13], v[50:53]
	s_nop 0
	v_pk_mul_f32 v[36:37], v[54:55], v[22:23] op_sel_hi:[0,1]
	v_perm_b32 v12, v17, v16, s33
	v_perm_b32 v13, v33, v32, s33
	v_mfma_f32_16x16x16_bf16 v[6:9], v[10:11], v[2:3], v[6:9]
	v_pk_mul_f32 v[40:41], v[54:55], v[20:21] op_sel_hi:[0,1]
	v_pk_mul_f32 v[24:25], v[54:55], v[48:49] op_sel_hi:[0,1]
	;; [unrolled: 1-line block ×3, first 2 shown]
	v_mfma_f32_16x16x16_bf16 v[2:5], v[12:13], v[4:5], v[6:9]
	s_nop 6
	v_pk_mul_f32 v[22:23], v[54:55], v[2:3] op_sel_hi:[0,1]
	v_and_b32_e32 v2, 0xc0, v0
	v_add_u32_e32 v2, s16, v2
	v_lshl_or_b32 v2, v42, 2, v2
	v_or_b32_e32 v3, 1, v2
	v_pk_mul_f32 v[20:21], v[54:55], v[4:5] op_sel_hi:[0,1]
	v_subrev_u32_e32 v4, s29, v3
	v_add_u32_e32 v6, 1, v4
	v_add_u32_e32 v7, 2, v4
	;; [unrolled: 1-line block ×3, first 2 shown]
	v_cvt_f32_i32_e32 v6, v6
	v_cvt_f32_i32_e32 v7, v7
	;; [unrolled: 1-line block ×3, first 2 shown]
	v_add_u32_e32 v9, 19, v4
	v_fmac_f32_e32 v39, v43, v6
	v_fma_f32 v30, v43, v7, v30
	v_fmac_f32_e32 v31, v43, v8
	v_add_u32_e32 v6, 16, v4
	v_add_u32_e32 v7, 17, v4
	;; [unrolled: 1-line block ×3, first 2 shown]
	v_cvt_f32_i32_e32 v6, v6
	v_cvt_f32_i32_e32 v7, v7
	;; [unrolled: 1-line block ×4, first 2 shown]
	v_fma_f32 v40, v43, v6, v40
	v_fmac_f32_e32 v41, v43, v7
	v_fma_f32 v36, v43, v8, v36
	v_add_u32_e32 v6, 32, v4
	v_add_u32_e32 v7, 33, v4
	;; [unrolled: 1-line block ×3, first 2 shown]
	v_cvt_f32_i32_e32 v6, v6
	v_cvt_f32_i32_e32 v7, v7
	;; [unrolled: 1-line block ×4, first 2 shown]
	v_fmac_f32_e32 v37, v43, v9
	v_add_u32_e32 v9, 35, v4
	v_fma_f32 v32, v43, v6, v32
	v_fmac_f32_e32 v33, v43, v7
	v_fma_f32 v24, v43, v8, v24
	v_add_u32_e32 v6, 48, v4
	v_add_u32_e32 v7, 49, v4
	;; [unrolled: 1-line block ×4, first 2 shown]
	v_cvt_f32_i32_e32 v4, v4
	v_cvt_f32_i32_e32 v6, v6
	;; [unrolled: 1-line block ×3, first 2 shown]
	v_fma_f32 v5, v43, v5, v38
	v_fmac_f32_e32 v21, v43, v4
	v_mov_b32_e32 v4, 0xff7fffff
	v_cmp_gt_i32_e64 s[4:5], s29, v2
	v_cmp_gt_i32_e64 s[34:35], s29, v3
	v_fma_f32 v22, v43, v6, v22
	v_cndmask_b32_e64 v6, v4, v5, s[4:5]
	v_cndmask_b32_e64 v3, v4, v39, s[34:35]
	v_fmac_f32_e32 v23, v43, v7
	v_max3_f32 v3, v6, s44, v3
	v_or_b32_e32 v6, 2, v2
	v_or_b32_e32 v7, 3, v2
	v_cmp_gt_i32_e64 s[36:37], s29, v6
	v_cmp_gt_i32_e64 s[38:39], s29, v7
	v_cvt_f32_i32_e32 v9, v9
	v_cndmask_b32_e64 v6, v4, v30, s[36:37]
	v_cndmask_b32_e64 v7, v4, v31, s[38:39]
	v_max3_f32 v3, v3, v6, v7
	v_or_b32_e32 v6, 16, v2
	v_or_b32_e32 v7, 17, v2
	v_cmp_gt_i32_e64 s[24:25], s29, v6
	v_cmp_gt_i32_e64 s[26:27], s29, v7
	v_fmac_f32_e32 v25, v43, v9
	v_cndmask_b32_e64 v6, v4, v40, s[24:25]
	v_cndmask_b32_e64 v7, v4, v41, s[26:27]
	v_max3_f32 v3, v3, v6, v7
	v_or_b32_e32 v6, 18, v2
	v_or_b32_e32 v7, 19, v2
	v_cmp_gt_i32_e64 s[20:21], s29, v6
	v_cmp_gt_i32_e64 s[22:23], s29, v7
	v_cvt_f32_i32_e32 v8, v8
	v_cndmask_b32_e64 v6, v4, v36, s[20:21]
	v_cndmask_b32_e64 v7, v4, v37, s[22:23]
	v_max3_f32 v3, v3, v6, v7
	v_or_b32_e32 v6, 32, v2
	v_or_b32_e32 v7, 33, v2
	v_cmp_gt_i32_e64 s[16:17], s29, v6
	v_cmp_gt_i32_e64 s[18:19], s29, v7
	v_fma_f32 v20, v43, v8, v20
	v_cndmask_b32_e64 v6, v4, v32, s[16:17]
	v_cndmask_b32_e64 v7, v4, v33, s[18:19]
	v_max3_f32 v3, v3, v6, v7
	v_or_b32_e32 v6, 34, v2
	v_or_b32_e32 v7, 35, v2
	v_cmp_gt_i32_e64 s[12:13], s29, v6
	v_cmp_gt_i32_e64 s[14:15], s29, v7
	s_nop 0
	v_cndmask_b32_e64 v6, v4, v24, s[12:13]
	v_cndmask_b32_e64 v7, v4, v25, s[14:15]
	v_max3_f32 v3, v3, v6, v7
	v_or_b32_e32 v6, 48, v2
	v_or_b32_e32 v7, 49, v2
	v_cmp_gt_i32_e64 s[8:9], s29, v6
	v_cmp_gt_i32_e64 s[10:11], s29, v7
	s_nop 0
	v_cndmask_b32_e64 v6, v4, v22, s[8:9]
	v_cndmask_b32_e64 v7, v4, v23, s[10:11]
	v_max3_f32 v3, v3, v6, v7
	v_or_b32_e32 v6, 50, v2
	v_or_b32_e32 v2, 51, v2
	v_cmp_gt_i32_e32 vcc, s29, v6
	v_cmp_gt_i32_e64 s[6:7], s29, v2
	s_nop 0
	v_cndmask_b32_e32 v6, v4, v20, vcc
	v_cndmask_b32_e64 v2, v4, v21, s[6:7]
	v_max3_f32 v4, v3, v6, v2
	v_mbcnt_lo_u32_b32 v2, -1, 0
	v_mbcnt_hi_u32_b32 v6, -1, v2
	v_and_b32_e32 v2, 64, v6
	v_add_u32_e32 v7, 64, v2
	v_xor_b32_e32 v2, 32, v6
	v_cmp_lt_i32_e64 s[40:41], v2, v7
	s_nop 1
	v_cndmask_b32_e64 v2, v6, v2, s[40:41]
	v_lshlrev_b32_e32 v43, 2, v2
	ds_bpermute_b32 v8, v43, v4
	s_waitcnt vmcnt(2)
	v_mad_i64_i32 v[2:3], s[40:41], v14, s45, v[18:19]
	global_load_dwordx4 v[14:17], v[34:35], off
	global_load_dwordx4 v[10:13], v[2:3], off
	v_xor_b32_e32 v3, 16, v6
	v_cmp_lt_i32_e64 s[40:41], v3, v7
	s_waitcnt lgkmcnt(0)
	v_max_f32_e32 v2, v8, v8
	v_max_f32_e32 v2, v4, v2
	v_cndmask_b32_e64 v3, v6, v3, s[40:41]
	v_lshlrev_b32_e32 v46, 2, v3
	ds_bpermute_b32 v3, v46, v2
	s_waitcnt vmcnt(3)
	v_mad_i64_i32 v[34:35], s[40:41], v44, s45, v[18:19]
	s_waitcnt vmcnt(2)
	v_mad_i64_i32 v[18:19], s[40:41], v45, s45, v[18:19]
	s_waitcnt lgkmcnt(0)
	v_max_f32_e32 v3, v3, v3
	v_max_f32_e32 v38, v2, v3
	v_sub_f32_e32 v2, v5, v38
	v_mul_f32_e32 v2, 0x3fb8aa3b, v2
	v_exp_f32_e32 v44, v2
	v_sub_f32_e32 v2, v39, v38
	v_mul_f32_e32 v2, 0x3fb8aa3b, v2
	v_exp_f32_e32 v39, v2
	global_load_dwordx4 v[6:9], v[34:35], off
	global_load_dwordx4 v[2:5], v[18:19], off
	v_sub_f32_e32 v30, v30, v38
	v_mul_f32_e32 v30, 0x3fb8aa3b, v30
	v_sub_f32_e32 v31, v31, v38
	v_exp_f32_e32 v30, v30
	v_mul_f32_e32 v31, 0x3fb8aa3b, v31
	v_exp_f32_e32 v31, v31
	v_cndmask_b32_e64 v18, 0, v44, s[4:5]
	v_add_f32_e32 v34, 0, v18
	v_cndmask_b32_e64 v19, 0, v39, s[34:35]
	v_add_f32_e32 v35, v34, v19
	v_cndmask_b32_e64 v34, 0, v30, s[36:37]
	v_add_f32_e32 v30, v35, v34
	v_cndmask_b32_e64 v35, 0, v31, s[38:39]
	v_sub_f32_e32 v31, v40, v38
	v_mul_f32_e32 v31, 0x3fb8aa3b, v31
	v_sub_f32_e32 v39, v41, v38
	v_exp_f32_e32 v31, v31
	v_mul_f32_e32 v39, 0x3fb8aa3b, v39
	v_sub_f32_e32 v36, v36, v38
	v_exp_f32_e32 v39, v39
	;; [unrolled: 3-line block ×4, first 2 shown]
	v_mul_f32_e32 v32, 0x3fb8aa3b, v32
	v_sub_f32_e32 v33, v33, v38
	v_add_f32_e32 v40, v30, v35
	v_cndmask_b32_e64 v30, 0, v31, s[24:25]
	v_exp_f32_e32 v32, v32
	v_mul_f32_e32 v33, 0x3fb8aa3b, v33
	v_sub_f32_e32 v24, v24, v38
	v_add_f32_e32 v40, v40, v30
	v_cndmask_b32_e64 v31, 0, v39, s[26:27]
	v_exp_f32_e32 v33, v33
	;; [unrolled: 5-line block ×7, first 2 shown]
	v_mul_f32_e32 v21, 0x3fb8aa3b, v21
	v_add_f32_e32 v39, v39, v24
	v_cndmask_b32_e64 v25, 0, v25, s[14:15]
	v_exp_f32_e32 v21, v21
	v_add_f32_e32 v39, v39, v25
	v_cndmask_b32_e64 v22, 0, v22, s[8:9]
	v_add_f32_e32 v39, v39, v22
	v_cndmask_b32_e64 v23, 0, v23, s[10:11]
	v_add_f32_e32 v39, v39, v23
	v_cndmask_b32_e32 v20, 0, v20, vcc
	v_add_f32_e32 v39, v39, v20
	v_cndmask_b32_e64 v21, 0, v21, s[6:7]
	v_add_f32_e32 v39, v39, v21
	ds_bpermute_b32 v40, v43, v39
	s_load_dword s7, s[0:1], 0x98
	v_cmp_gt_u32_e32 vcc, 16, v27
	s_waitcnt lgkmcnt(0)
	s_barrier
	v_add_f32_e32 v40, v39, v40
	ds_bpermute_b32 v41, v46, v40
	v_lshlrev_b32_e32 v39, 2, v28
	s_waitcnt lgkmcnt(0)
	s_and_saveexec_b64 s[4:5], vcc
	s_cbranch_execz .LBB1138_15
; %bb.14:
	v_add_f32_e32 v27, v40, v41
	v_lshl_or_b32 v40, v29, 6, v39
	ds_write2st64_b32 v40, v38, v27 offset1:1
.LBB1138_15:
	s_or_b64 exec, exec, s[4:5]
	s_load_dword s6, s[0:1], 0x94
	s_waitcnt lgkmcnt(0)
	s_barrier
	ds_read2_b32 v[40:41], v39 offset1:16
	ds_read2_b32 v[44:45], v39 offset0:32 offset1:48
	ds_read2_b32 v[46:47], v39 offset0:64 offset1:80
	s_movk_i32 s8, 0x7fff
	s_mul_i32 s7, s7, 11
	s_waitcnt lgkmcnt(2)
	v_max3_f32 v27, v40, s44, v41
	s_waitcnt lgkmcnt(1)
	v_max3_f32 v27, v27, v44, v45
	v_sub_f32_e32 v38, v40, v27
	v_mul_f32_e32 v38, 0x3fb8aa3b, v38
	v_exp_f32_e32 v43, v38
	v_sub_f32_e32 v38, v41, v27
	v_mul_f32_e32 v38, 0x3fb8aa3b, v38
	v_exp_f32_e32 v48, v38
	;; [unrolled: 3-line block ×3, first 2 shown]
	ds_read2_b32 v[40:41], v39 offset0:96 offset1:112
	v_sub_f32_e32 v38, v45, v27
	v_mul_f32_e32 v38, 0x3fb8aa3b, v38
	v_exp_f32_e32 v39, v38
	s_waitcnt lgkmcnt(1)
	v_fma_f32 v38, v43, v46, 0
	v_fmac_f32_e32 v38, v48, v47
	s_waitcnt lgkmcnt(0)
	v_fmac_f32_e32 v38, v44, v40
	v_fmac_f32_e32 v38, v39, v41
	v_add_f32_e32 v40, 0x358637bd, v38
	v_div_scale_f32 v41, s[4:5], v40, v40, 1.0
	v_rcp_f32_e32 v45, v41
	s_barrier
	v_fma_f32 v46, -v41, v45, 1.0
	v_fmac_f32_e32 v45, v46, v45
	v_div_scale_f32 v46, vcc, 1.0, v40, 1.0
	v_mul_f32_e32 v47, v46, v45
	v_fma_f32 v49, -v41, v47, v46
	v_fmac_f32_e32 v47, v49, v45
	v_fma_f32 v41, -v41, v47, v46
	v_div_fmas_f32 v41, v41, v45, v47
	v_cmp_eq_u32_e32 vcc, 1, v29
	v_div_fixup_f32 v40, v41, v40, 1.0
	s_nop 0
	v_cndmask_b32_e32 v41, v43, v48, vcc
	v_cmp_eq_u32_e32 vcc, 2, v29
	s_nop 1
	v_cndmask_b32_e32 v41, v41, v44, vcc
	v_cmp_eq_u32_e32 vcc, 3, v29
	v_lshlrev_b32_e32 v29, 11, v29
	s_nop 0
	v_cndmask_b32_e32 v39, v41, v39, vcc
	v_mul_f32_e32 v40, v39, v40
	v_pk_mul_f32 v[18:19], v[40:41], v[18:19] op_sel_hi:[0,1]
	v_pk_mul_f32 v[34:35], v[40:41], v[34:35] op_sel_hi:[0,1]
	v_bfe_u32 v39, v19, 16, 1
	v_bfe_u32 v41, v18, 16, 1
	v_add3_u32 v18, v18, v41, s8
	v_add3_u32 v19, v19, v39, s8
	v_perm_b32 v44, v19, v18, s33
	v_bfe_u32 v18, v35, 16, 1
	v_bfe_u32 v19, v34, 16, 1
	v_add3_u32 v19, v34, v19, s8
	v_add3_u32 v18, v35, v18, s8
	v_perm_b32 v45, v18, v19, s33
	v_lshlrev_b32_e32 v18, 3, v42
	v_lshlrev_b32_e32 v19, 5, v28
	v_pk_mul_f32 v[30:31], v[40:41], v[30:31] op_sel_hi:[0,1]
	v_or3_b32 v18, v29, v19, v18
	v_pk_mul_f32 v[34:35], v[40:41], v[36:37] op_sel_hi:[0,1]
	v_bfe_u32 v29, v31, 16, 1
	v_bfe_u32 v36, v30, 16, 1
	v_add3_u32 v30, v30, v36, s8
	v_add3_u32 v29, v31, v29, s8
	v_perm_b32 v30, v29, v30, s33
	v_bfe_u32 v29, v35, 16, 1
	v_bfe_u32 v31, v34, 16, 1
	v_add3_u32 v31, v34, v31, s8
	v_add3_u32 v29, v35, v29, s8
	v_perm_b32 v31, v29, v31, s33
	ds_write2st64_b64 v18, v[44:45], v[30:31] offset1:1
	v_pk_mul_f32 v[30:31], v[40:41], v[32:33] op_sel_hi:[0,1]
	v_bfe_u32 v29, v31, 16, 1
	v_bfe_u32 v32, v30, 16, 1
	v_pk_mul_f32 v[24:25], v[40:41], v[24:25] op_sel_hi:[0,1]
	v_add3_u32 v30, v30, v32, s8
	v_add3_u32 v29, v31, v29, s8
	v_perm_b32 v30, v29, v30, s33
	v_bfe_u32 v29, v25, 16, 1
	v_bfe_u32 v31, v24, 16, 1
	v_add3_u32 v24, v24, v31, s8
	v_add3_u32 v25, v25, v29, s8
	v_pk_mul_f32 v[22:23], v[40:41], v[22:23] op_sel_hi:[0,1]
	v_perm_b32 v31, v25, v24, s33
	v_bfe_u32 v24, v23, 16, 1
	v_bfe_u32 v25, v22, 16, 1
	v_pk_mul_f32 v[20:21], v[40:41], v[20:21] op_sel_hi:[0,1]
	v_add3_u32 v22, v22, v25, s8
	v_add3_u32 v23, v23, v24, s8
	v_perm_b32 v22, v23, v22, s33
	v_bfe_u32 v23, v21, 16, 1
	v_bfe_u32 v24, v20, 16, 1
	v_add3_u32 v20, v20, v24, s8
	v_add3_u32 v21, v21, v23, s8
	v_perm_b32 v23, v21, v20, s33
	v_cmp_gt_u32_e32 vcc, 11, v0
	ds_write2st64_b64 v18, v[30:31], v[22:23] offset0:2 offset1:3
	s_and_saveexec_b64 s[4:5], vcc
	s_cbranch_execz .LBB1138_17
; %bb.16:
	s_mov_b32 s49, 0
	v_mov_b32_e32 v29, 0
	v_lshl_add_u64 v[20:21], s[48:49], 0, v[28:29]
	v_mov_b32_e32 v22, s7
	v_mad_u64_u32 v[20:21], s[10:11], s2, v22, v[20:21]
	s_mul_i32 s3, s3, s7
	v_mov_b32_e32 v28, s28
	s_load_dwordx4 s[12:15], s[0:1], 0x58
	v_add_u32_e32 v23, s3, v21
	v_mad_u64_u32 v[20:21], s[10:11], v20, s6, v[28:29]
	v_mov_b32_e32 v22, v21
	v_mad_u64_u32 v[22:23], s[10:11], v23, s6, v[22:23]
	v_mov_b32_e32 v21, v22
	v_lshlrev_b64 v[20:21], 2, v[20:21]
	s_waitcnt lgkmcnt(0)
	v_lshl_add_u64 v[22:23], s[14:15], 0, v[20:21]
	v_lshl_add_u64 v[20:21], s[12:13], 0, v[20:21]
	global_store_dword v[22:23], v27, off
	global_store_dword v[20:21], v38, off
.LBB1138_17:
	s_or_b64 exec, exec, s[4:5]
	s_waitcnt vmcnt(3)
	v_cvt_pk_f32_fp8_e32 v[20:21], v14
	v_cvt_pk_f32_fp8_sdwa v[22:23], v14 src0_sel:WORD_1
	s_mov_b32 s4, 0x7060302
	v_lshl_or_b32 v14, v42, 9, v19
	s_waitcnt lgkmcnt(0)
	s_barrier
	v_perm_b32 v24, v21, v20, s4
	v_perm_b32 v25, v23, v22, s4
	v_cvt_pk_f32_fp8_e32 v[28:29], v15
	ds_read_b128 v[20:23], v14
	v_cvt_pk_f32_fp8_sdwa v[36:37], v15 src0_sel:WORD_1
	s_load_dword s10, s[42:43], 0x0
	v_perm_b32 v38, v29, v28, s4
	ds_read_b128 v[28:31], v14 offset:16
	v_perm_b32 v39, v37, v36, s4
	s_waitcnt lgkmcnt(0)
	v_mfma_f32_16x16x16_bf16 v[32:35], v[24:25], v[20:21], 0
	v_cvt_pk_f32_fp8_e32 v[24:25], v16
	v_cvt_pk_f32_fp8_sdwa v[36:37], v16 src0_sel:WORD_1
	v_cmp_gt_u32_e32 vcc, 64, v0
	v_mfma_f32_16x16x16_bf16 v[20:23], v[38:39], v[22:23], v[32:35]
	v_perm_b32 v24, v25, v24, s4
	v_perm_b32 v25, v37, v36, s4
	s_mov_b32 s3, 0
	v_cvt_pk_f32_fp8_e32 v[32:33], v17
	v_cvt_pk_f32_fp8_sdwa v[16:17], v17 src0_sel:WORD_1
	s_waitcnt vmcnt(2)
	v_cvt_pk_f32_fp8_sdwa v[34:35], v10 src0_sel:WORD_1
	v_mfma_f32_16x16x16_bf16 v[20:23], v[24:25], v[28:29], v[20:23]
	v_perm_b32 v36, v33, v32, s4
	v_cvt_pk_f32_fp8_e32 v[32:33], v10
	v_perm_b32 v37, v17, v16, s4
	v_perm_b32 v17, v35, v34, s4
	v_cvt_pk_f32_fp8_e32 v[24:25], v11
	v_perm_b32 v16, v33, v32, s4
	ds_read_b128 v[32:35], v14 offset:2048
	v_cvt_pk_f32_fp8_sdwa v[10:11], v11 src0_sel:WORD_1
	v_mfma_f32_16x16x16_bf16 v[20:23], v[36:37], v[30:31], v[20:23]
	ds_read_b128 v[28:31], v14 offset:2064
	v_perm_b32 v24, v25, v24, s4
	v_perm_b32 v25, v11, v10, s4
	s_waitcnt lgkmcnt(1)
	v_mfma_f32_16x16x16_bf16 v[20:23], v[16:17], v[32:33], v[20:23]
	v_cvt_pk_f32_fp8_e32 v[10:11], v12
	v_cvt_pk_f32_fp8_sdwa v[16:17], v12 src0_sel:WORD_1
	s_waitcnt vmcnt(1)
	v_cvt_pk_f32_fp8_sdwa v[32:33], v6 src0_sel:WORD_1
	v_mfma_f32_16x16x16_bf16 v[20:23], v[24:25], v[34:35], v[20:23]
	v_cvt_pk_f32_fp8_e32 v[24:25], v13
	v_perm_b32 v10, v11, v10, s4
	v_perm_b32 v11, v17, v16, s4
	v_cvt_pk_f32_fp8_sdwa v[12:13], v13 src0_sel:WORD_1
	v_perm_b32 v16, v25, v24, s4
	v_cvt_pk_f32_fp8_e32 v[24:25], v6
	v_mov_b32_e32 v27, 0
	v_perm_b32 v17, v13, v12, s4
	s_waitcnt lgkmcnt(0)
	v_mfma_f32_16x16x16_bf16 v[10:13], v[10:11], v[28:29], v[20:23]
	v_perm_b32 v24, v25, v24, s4
	v_perm_b32 v25, v33, v32, s4
	v_cvt_pk_f32_fp8_e32 v[28:29], v7
	ds_read_b128 v[20:23], v14 offset:4096
	v_cvt_pk_f32_fp8_sdwa v[6:7], v7 src0_sel:WORD_1
	v_mfma_f32_16x16x16_bf16 v[10:13], v[16:17], v[30:31], v[10:13]
	v_perm_b32 v16, v29, v28, s4
	ds_read_b128 v[28:31], v14 offset:4112
	v_perm_b32 v17, v7, v6, s4
	s_waitcnt lgkmcnt(1)
	v_mfma_f32_16x16x16_bf16 v[10:13], v[24:25], v[20:21], v[10:13]
	v_cvt_pk_f32_fp8_e32 v[6:7], v8
	v_cvt_pk_f32_fp8_sdwa v[20:21], v8 src0_sel:WORD_1
	v_perm_b32 v6, v7, v6, s4
	v_mfma_f32_16x16x16_bf16 v[10:13], v[16:17], v[22:23], v[10:13]
	v_cvt_pk_f32_fp8_e32 v[16:17], v9
	v_perm_b32 v7, v21, v20, s4
	v_cvt_pk_f32_fp8_sdwa v[8:9], v9 src0_sel:WORD_1
	s_waitcnt vmcnt(0)
	v_cvt_pk_f32_fp8_e32 v[20:21], v2
	v_perm_b32 v16, v17, v16, s4
	v_cvt_pk_f32_fp8_sdwa v[22:23], v2 src0_sel:WORD_1
	v_perm_b32 v17, v9, v8, s4
	s_waitcnt lgkmcnt(0)
	v_mfma_f32_16x16x16_bf16 v[6:9], v[6:7], v[28:29], v[10:13]
	v_perm_b32 v20, v21, v20, s4
	v_perm_b32 v21, v23, v22, s4
	v_cvt_pk_f32_fp8_e32 v[22:23], v3
	ds_read_b128 v[10:13], v14 offset:6144
	v_cvt_pk_f32_fp8_sdwa v[2:3], v3 src0_sel:WORD_1
	v_mfma_f32_16x16x16_bf16 v[6:9], v[16:17], v[30:31], v[6:9]
	v_perm_b32 v22, v23, v22, s4
	ds_read_b128 v[14:17], v14 offset:6160
	v_perm_b32 v23, v3, v2, s4
	s_waitcnt lgkmcnt(1)
	v_mfma_f32_16x16x16_bf16 v[6:9], v[20:21], v[10:11], v[6:9]
	v_cvt_pk_f32_fp8_e32 v[2:3], v4
	v_cvt_pk_f32_fp8_sdwa v[10:11], v4 src0_sel:WORD_1
	s_waitcnt lgkmcnt(0)
	v_mfma_f32_16x16x16_bf16 v[6:9], v[22:23], v[12:13], v[6:9]
	v_perm_b32 v2, v3, v2, s4
	v_perm_b32 v3, v11, v10, s4
	v_cvt_pk_f32_fp8_e32 v[10:11], v5
	v_cvt_pk_f32_fp8_sdwa v[4:5], v5 src0_sel:WORD_1
	s_barrier
	v_perm_b32 v10, v11, v10, s4
	v_perm_b32 v11, v5, v4, s4
	v_mfma_f32_16x16x16_bf16 v[2:5], v[2:3], v[14:15], v[6:9]
	s_nop 0
	v_mfma_f32_16x16x16_bf16 v[2:5], v[10:11], v[16:17], v[2:5]
	s_nop 6
	v_pk_mul_f32 v[2:3], v[2:3], s[10:11] op_sel_hi:[1,0]
	v_pk_mul_f32 v[4:5], v[4:5], s[10:11] op_sel_hi:[1,0]
	v_bfe_u32 v6, v3, 16, 1
	v_bfe_u32 v7, v2, 16, 1
	v_add3_u32 v2, v2, v7, s8
	v_add3_u32 v3, v3, v6, s8
	v_perm_b32 v2, v3, v2, s4
	v_bfe_u32 v3, v5, 16, 1
	v_bfe_u32 v6, v4, 16, 1
	v_add3_u32 v4, v4, v6, s8
	v_add3_u32 v3, v5, v3, s8
	v_perm_b32 v3, v3, v4, s4
	s_and_b64 s[4:5], vcc, s[30:31]
	ds_write_b64 v18, v[2:3]
	s_waitcnt lgkmcnt(0)
	s_barrier
	s_and_saveexec_b64 s[8:9], s[4:5]
	s_cbranch_execz .LBB1138_20
; %bb.18:
	s_load_dwordx2 s[4:5], s[0:1], 0x68
	s_lshl_b32 s0, s6, 6
	s_mul_i32 s1, s7, s2
	s_mul_hi_u32 s7, s1, s0
	s_mul_i32 s6, s1, s0
	v_lshlrev_b32_e32 v0, 10, v0
	s_lshl_b64 s[6:7], s[6:7], 1
	v_and_b32_e32 v0, 0x1800, v0
	v_lshlrev_b32_e32 v2, 5, v42
	v_and_b32_e32 v1, 16, v1
	s_waitcnt lgkmcnt(0)
	s_add_u32 s1, s4, s6
	v_or3_b32 v2, v0, v2, v1
	s_addc_u32 s4, s5, s7
	s_lshl_b32 s2, s28, 6
	s_lshl_b64 s[2:3], s[2:3], 1
	ds_read_b128 v[4:7], v2 offset:128
	ds_read_b128 v[8:11], v2
	s_add_u32 s2, s1, s2
	s_addc_u32 s3, s4, s3
	v_add_u32_e32 v3, s48, v42
	v_lshl_add_u64 v[0:1], s[2:3], 0, v[26:27]
	v_mad_u64_u32 v[12:13], s[2:3], v3, s0, 0
	v_lshl_add_u64 v[12:13], v[12:13], 1, v[0:1]
	v_add_u32_e32 v3, 4, v3
	s_waitcnt lgkmcnt(0)
	global_store_dwordx4 v[12:13], v[8:11], off
	v_cmp_ne_u32_e32 vcc, 3, v42
	s_nop 0
	v_mad_u64_u32 v[8:9], s[2:3], v3, s0, 0
	v_lshl_add_u64 v[8:9], v[8:9], 1, v[0:1]
	global_store_dwordx4 v[8:9], v[4:7], off
	s_and_b64 exec, exec, vcc
	s_cbranch_execz .LBB1138_20
; %bb.19:
	ds_read_b128 v[2:5], v2 offset:256
	v_add3_u32 v6, s48, v42, 8
	v_mad_u64_u32 v[6:7], s[0:1], v6, s0, 0
	v_lshl_add_u64 v[0:1], v[6:7], 1, v[0:1]
	s_waitcnt lgkmcnt(0)
	global_store_dwordx4 v[0:1], v[2:5], off
.LBB1138_20:
	s_endpgm
	.section	.rodata,"a",@progbits
	.p2align	6, 0x0
	.amdhsa_kernel _Z39paged_attention_ll4mi_QKV_mfma16_kernelI14__hip_bfloat16hLN4vllm18Fp8KVCacheDataTypeE1ES0_Li16ELi64ELi256ELb1ELi11EEvPKT_PKT0_S8_ifPKiSA_SA_iPKfiiiPfSD_PS3_PT2_iSC_SC_
		.amdhsa_group_segment_fixed_size 8192
		.amdhsa_private_segment_fixed_size 0
		.amdhsa_kernarg_size 400
		.amdhsa_user_sgpr_count 2
		.amdhsa_user_sgpr_dispatch_ptr 0
		.amdhsa_user_sgpr_queue_ptr 0
		.amdhsa_user_sgpr_kernarg_segment_ptr 1
		.amdhsa_user_sgpr_dispatch_id 0
		.amdhsa_user_sgpr_kernarg_preload_length 0
		.amdhsa_user_sgpr_kernarg_preload_offset 0
		.amdhsa_user_sgpr_private_segment_size 0
		.amdhsa_uses_dynamic_stack 0
		.amdhsa_enable_private_segment 0
		.amdhsa_system_sgpr_workgroup_id_x 1
		.amdhsa_system_sgpr_workgroup_id_y 1
		.amdhsa_system_sgpr_workgroup_id_z 1
		.amdhsa_system_sgpr_workgroup_info 0
		.amdhsa_system_vgpr_workitem_id 0
		.amdhsa_next_free_vgpr 67
		.amdhsa_next_free_sgpr 50
		.amdhsa_accum_offset 68
		.amdhsa_reserve_vcc 1
		.amdhsa_float_round_mode_32 0
		.amdhsa_float_round_mode_16_64 0
		.amdhsa_float_denorm_mode_32 3
		.amdhsa_float_denorm_mode_16_64 3
		.amdhsa_dx10_clamp 1
		.amdhsa_ieee_mode 1
		.amdhsa_fp16_overflow 0
		.amdhsa_tg_split 0
		.amdhsa_exception_fp_ieee_invalid_op 0
		.amdhsa_exception_fp_denorm_src 0
		.amdhsa_exception_fp_ieee_div_zero 0
		.amdhsa_exception_fp_ieee_overflow 0
		.amdhsa_exception_fp_ieee_underflow 0
		.amdhsa_exception_fp_ieee_inexact 0
		.amdhsa_exception_int_div_zero 0
	.end_amdhsa_kernel
	.section	.text._Z39paged_attention_ll4mi_QKV_mfma16_kernelI14__hip_bfloat16hLN4vllm18Fp8KVCacheDataTypeE1ES0_Li16ELi64ELi256ELb1ELi11EEvPKT_PKT0_S8_ifPKiSA_SA_iPKfiiiPfSD_PS3_PT2_iSC_SC_,"axG",@progbits,_Z39paged_attention_ll4mi_QKV_mfma16_kernelI14__hip_bfloat16hLN4vllm18Fp8KVCacheDataTypeE1ES0_Li16ELi64ELi256ELb1ELi11EEvPKT_PKT0_S8_ifPKiSA_SA_iPKfiiiPfSD_PS3_PT2_iSC_SC_,comdat
.Lfunc_end1138:
	.size	_Z39paged_attention_ll4mi_QKV_mfma16_kernelI14__hip_bfloat16hLN4vllm18Fp8KVCacheDataTypeE1ES0_Li16ELi64ELi256ELb1ELi11EEvPKT_PKT0_S8_ifPKiSA_SA_iPKfiiiPfSD_PS3_PT2_iSC_SC_, .Lfunc_end1138-_Z39paged_attention_ll4mi_QKV_mfma16_kernelI14__hip_bfloat16hLN4vllm18Fp8KVCacheDataTypeE1ES0_Li16ELi64ELi256ELb1ELi11EEvPKT_PKT0_S8_ifPKiSA_SA_iPKfiiiPfSD_PS3_PT2_iSC_SC_
                                        ; -- End function
	.section	.AMDGPU.csdata,"",@progbits
; Kernel info:
; codeLenInByte = 5132
; NumSgprs: 56
; NumVgprs: 67
; NumAgprs: 0
; TotalNumVgprs: 67
; ScratchSize: 0
; MemoryBound: 0
; FloatMode: 240
; IeeeMode: 1
; LDSByteSize: 8192 bytes/workgroup (compile time only)
; SGPRBlocks: 6
; VGPRBlocks: 8
; NumSGPRsForWavesPerEU: 56
; NumVGPRsForWavesPerEU: 67
; AccumOffset: 68
; Occupancy: 7
; WaveLimiterHint : 1
; COMPUTE_PGM_RSRC2:SCRATCH_EN: 0
; COMPUTE_PGM_RSRC2:USER_SGPR: 2
; COMPUTE_PGM_RSRC2:TRAP_HANDLER: 0
; COMPUTE_PGM_RSRC2:TGID_X_EN: 1
; COMPUTE_PGM_RSRC2:TGID_Y_EN: 1
; COMPUTE_PGM_RSRC2:TGID_Z_EN: 1
; COMPUTE_PGM_RSRC2:TIDIG_COMP_CNT: 0
; COMPUTE_PGM_RSRC3_GFX90A:ACCUM_OFFSET: 16
; COMPUTE_PGM_RSRC3_GFX90A:TG_SPLIT: 0
	.section	.text._Z39paged_attention_ll4mi_QKV_mfma16_kernelI14__hip_bfloat16hLN4vllm18Fp8KVCacheDataTypeE1ES0_Li16ELi64ELi256ELb1ELi12EEvPKT_PKT0_S8_ifPKiSA_SA_iPKfiiiPfSD_PS3_PT2_iSC_SC_,"axG",@progbits,_Z39paged_attention_ll4mi_QKV_mfma16_kernelI14__hip_bfloat16hLN4vllm18Fp8KVCacheDataTypeE1ES0_Li16ELi64ELi256ELb1ELi12EEvPKT_PKT0_S8_ifPKiSA_SA_iPKfiiiPfSD_PS3_PT2_iSC_SC_,comdat
	.protected	_Z39paged_attention_ll4mi_QKV_mfma16_kernelI14__hip_bfloat16hLN4vllm18Fp8KVCacheDataTypeE1ES0_Li16ELi64ELi256ELb1ELi12EEvPKT_PKT0_S8_ifPKiSA_SA_iPKfiiiPfSD_PS3_PT2_iSC_SC_ ; -- Begin function _Z39paged_attention_ll4mi_QKV_mfma16_kernelI14__hip_bfloat16hLN4vllm18Fp8KVCacheDataTypeE1ES0_Li16ELi64ELi256ELb1ELi12EEvPKT_PKT0_S8_ifPKiSA_SA_iPKfiiiPfSD_PS3_PT2_iSC_SC_
	.globl	_Z39paged_attention_ll4mi_QKV_mfma16_kernelI14__hip_bfloat16hLN4vllm18Fp8KVCacheDataTypeE1ES0_Li16ELi64ELi256ELb1ELi12EEvPKT_PKT0_S8_ifPKiSA_SA_iPKfiiiPfSD_PS3_PT2_iSC_SC_
	.p2align	8
	.type	_Z39paged_attention_ll4mi_QKV_mfma16_kernelI14__hip_bfloat16hLN4vllm18Fp8KVCacheDataTypeE1ES0_Li16ELi64ELi256ELb1ELi12EEvPKT_PKT0_S8_ifPKiSA_SA_iPKfiiiPfSD_PS3_PT2_iSC_SC_,@function
_Z39paged_attention_ll4mi_QKV_mfma16_kernelI14__hip_bfloat16hLN4vllm18Fp8KVCacheDataTypeE1ES0_Li16ELi64ELi256ELb1ELi12EEvPKT_PKT0_S8_ifPKiSA_SA_iPKfiiiPfSD_PS3_PT2_iSC_SC_: ; @_Z39paged_attention_ll4mi_QKV_mfma16_kernelI14__hip_bfloat16hLN4vllm18Fp8KVCacheDataTypeE1ES0_Li16ELi64ELi256ELb1ELi12EEvPKT_PKT0_S8_ifPKiSA_SA_iPKfiiiPfSD_PS3_PT2_iSC_SC_
; %bb.0:
	s_load_dwordx2 s[6:7], s[0:1], 0x30
	s_mov_b32 s28, s3
	s_mov_b64 s[8:9], 0
	s_waitcnt lgkmcnt(0)
	s_cmp_lg_u64 s[6:7], 0
	s_cselect_b64 s[10:11], -1, 0
	s_and_b64 vcc, exec, s[10:11]
	s_cbranch_vccz .LBB1139_7
; %bb.1:
	s_add_i32 s12, s2, 1
	s_mov_b32 s13, 0
	s_lshl_b64 s[14:15], s[12:13], 2
	s_add_u32 s14, s6, s14
	s_mov_b32 s3, s13
	s_addc_u32 s15, s7, s15
	s_lshl_b64 s[12:13], s[2:3], 2
	s_add_u32 s12, s6, s12
	s_addc_u32 s13, s7, s13
	s_load_dword s5, s[14:15], 0x0
	s_load_dword s16, s[12:13], 0x0
	s_waitcnt lgkmcnt(0)
	s_sub_i32 s5, s5, s16
	s_cmp_eq_u32 s5, 1
	s_cselect_b64 s[12:13], -1, 0
	s_andn2_b64 vcc, exec, s[8:9]
	s_cbranch_vccnz .LBB1139_3
.LBB1139_2:
	s_mov_b32 s3, 0
	s_mov_b64 s[12:13], -1
.LBB1139_3:
	s_andn2_b64 vcc, exec, s[12:13]
	s_cbranch_vccnz .LBB1139_19
; %bb.4:
	s_load_dwordx2 s[8:9], s[0:1], 0x28
	s_lshl_b64 s[12:13], s[2:3], 2
	s_waitcnt lgkmcnt(0)
	s_add_u32 s8, s8, s12
	s_addc_u32 s9, s9, s13
	s_load_dword s29, s[8:9], 0x0
	s_lshl_b32 s16, s28, 8
	s_waitcnt lgkmcnt(0)
	s_cmp_ge_i32 s16, s29
	s_cbranch_scc1 .LBB1139_19
; %bb.5:
	s_load_dwordx2 s[8:9], s[0:1], 0x20
	s_load_dword s5, s[0:1], 0x38
	s_add_i32 s14, s29, 15
	s_ashr_i32 s15, s14, 31
	v_and_b32_e32 v1, 0xcf, v0
	s_lshr_b32 s15, s15, 28
	v_add_u32_e32 v1, s16, v1
	s_add_i32 s14, s14, s15
	v_ashrrev_i32_e32 v2, 31, v1
	s_ashr_i32 s17, s14, 4
	v_lshrrev_b32_e32 v4, 28, v2
	s_add_i32 s17, s17, -1
	s_waitcnt lgkmcnt(0)
	s_mul_i32 s14, s2, s5
	s_mov_b32 s15, 0
	v_add_u32_e32 v2, v1, v4
	s_lshl_b64 s[14:15], s[14:15], 2
	v_ashrrev_i32_e32 v2, 4, v2
	v_mov_b32_e32 v5, s17
	v_cmp_gt_i32_e32 vcc, s29, v1
	s_add_u32 s8, s8, s14
	s_addc_u32 s9, s9, s15
	v_cndmask_b32_e32 v2, v5, v2, vcc
	v_ashrrev_i32_e32 v3, 31, v2
	v_lshl_add_u64 v[6:7], v[2:3], 2, s[8:9]
	v_or_b32_e32 v2, 16, v1
	v_add_u32_e32 v3, v2, v4
	v_ashrrev_i32_e32 v3, 4, v3
	v_cmp_gt_i32_e32 vcc, s29, v2
	s_load_dwordx2 s[14:15], s[0:1], 0x8
	s_nop 0
	v_cndmask_b32_e32 v2, v5, v3, vcc
	v_ashrrev_i32_e32 v3, 31, v2
	v_lshl_add_u64 v[8:9], v[2:3], 2, s[8:9]
	v_or_b32_e32 v2, 32, v1
	v_add_u32_e32 v3, v2, v4
	v_ashrrev_i32_e32 v3, 4, v3
	v_cmp_gt_i32_e32 vcc, s29, v2
	v_or_b32_e32 v1, 48, v1
	s_nop 0
	v_cndmask_b32_e32 v2, v5, v3, vcc
	v_ashrrev_i32_e32 v3, 31, v2
	v_lshl_add_u64 v[10:11], v[2:3], 2, s[8:9]
	v_add_u32_e32 v2, v1, v4
	v_ashrrev_i32_e32 v2, 4, v2
	v_cmp_gt_i32_e32 vcc, s29, v1
	s_nop 1
	v_cndmask_b32_e32 v2, v5, v2, vcc
	v_ashrrev_i32_e32 v3, 31, v2
	v_lshl_add_u64 v[12:13], v[2:3], 2, s[8:9]
	global_load_dword v5, v[6:7], off
	global_load_dword v4, v[8:9], off
	;; [unrolled: 1-line block ×4, first 2 shown]
	s_andn2_b64 vcc, exec, s[10:11]
	s_cbranch_vccnz .LBB1139_8
; %bb.6:
	s_add_u32 s6, s6, s12
	s_addc_u32 s7, s7, s13
	s_load_dword s5, s[6:7], 0x0
	s_branch .LBB1139_9
.LBB1139_7:
	s_mov_b64 s[12:13], 0
	s_branch .LBB1139_2
.LBB1139_8:
	s_mov_b32 s5, s2
.LBB1139_9:
	s_load_dwordx2 s[6:7], s[0:1], 0x10
	s_load_dwordx4 s[44:47], s[0:1], 0x48
	v_and_b32_e32 v28, 15, v0
	s_movk_i32 s10, 0xc0
	v_lshlrev_b32_e32 v6, 3, v28
	v_cmp_gt_u32_e32 vcc, s10, v0
	v_cmp_gt_u32_e64 s[30:31], 8, v28
	v_lshrrev_b32_e32 v29, 6, v0
	v_bfe_u32 v1, v0, 4, 2
	s_mul_i32 s48, s4, 12
	s_and_b64 s[12:13], vcc, s[30:31]
	v_lshlrev_b32_e32 v26, 1, v6
	v_lshlrev_b32_e32 v42, 4, v0
	s_and_saveexec_b64 s[10:11], s[12:13]
	s_cbranch_execz .LBB1139_11
; %bb.10:
	s_load_dwordx2 s[12:13], s[0:1], 0x0
	s_waitcnt lgkmcnt(0)
	s_ashr_i32 s18, s44, 31
	s_mul_hi_u32 s19, s5, s44
	s_mul_i32 s18, s5, s18
	s_add_i32 s19, s19, s18
	s_mul_i32 s18, s5, s44
	v_lshl_or_b32 v10, v29, 2, v1
	s_lshl_b64 s[18:19], s[18:19], 1
	s_add_u32 s12, s12, s18
	v_add_lshl_u32 v6, v10, s48, 6
	s_addc_u32 s13, s13, s19
	v_ashrrev_i32_e32 v7, 31, v6
	v_lshl_add_u64 v[6:7], v[6:7], 1, s[12:13]
	v_mov_b32_e32 v27, 0
	v_lshl_add_u64 v[6:7], v[6:7], 0, v[26:27]
	global_load_dwordx4 v[6:9], v[6:7], off
	v_lshlrev_b32_e32 v12, 8, v28
	v_lshlrev_b32_e32 v10, 5, v10
	v_and_b32_e32 v11, 16, v42
	v_and_b32_e32 v12, 0xe00, v12
	v_or3_b32 v10, v12, v10, v11
	s_waitcnt vmcnt(0)
	ds_write_b128 v10, v[6:9]
.LBB1139_11:
	s_or_b64 exec, exec, s[10:11]
	s_waitcnt lgkmcnt(0)
	s_mul_i32 s10, s4, s46
	s_add_u32 s4, s14, s10
	s_addc_u32 s5, s15, 0
	v_and_b32_e32 v32, 48, v0
	v_and_b32_e32 v30, 0xf0, v42
	v_mov_b32_e32 v31, 0
	v_lshl_add_u64 v[6:7], s[4:5], 0, v[30:31]
	v_lshlrev_b32_e32 v30, 4, v32
	v_lshl_add_u64 v[6:7], v[6:7], 0, v[30:31]
	s_waitcnt vmcnt(3)
	v_mad_i64_i32 v[8:9], s[4:5], v5, s45, v[6:7]
	s_waitcnt vmcnt(2)
	v_mad_i64_i32 v[4:5], s[4:5], v4, s45, v[6:7]
	s_barrier
	global_load_dwordx4 v[22:25], v[8:9], off
	global_load_dwordx4 v[18:21], v[4:5], off
	s_waitcnt vmcnt(3)
	v_mad_i64_i32 v[4:5], s[4:5], v3, s45, v[6:7]
	s_waitcnt vmcnt(2)
	v_mad_i64_i32 v[2:3], s[4:5], v2, s45, v[6:7]
	global_load_dwordx4 v[14:17], v[4:5], off
	global_load_dwordx4 v[6:9], v[2:3], off
	v_add_u32_e32 v2, -12, v28
	v_cmp_gt_u32_e32 vcc, 12, v28
	v_and_b32_e32 v27, 63, v0
	v_mov_b32_e32 v43, 0
	v_cndmask_b32_e32 v2, v2, v28, vcc
	v_lshlrev_b32_e32 v2, 5, v2
	v_lshl_add_u32 v2, v1, 9, v2
	ds_read_b128 v[10:13], v2
	ds_read_b128 v[2:5], v2 offset:16
	s_and_saveexec_b64 s[4:5], vcc
	s_cbranch_execz .LBB1139_13
; %bb.12:
	s_load_dwordx2 s[12:13], s[0:1], 0x40
	v_add_u32_e32 v34, s48, v28
	v_ashrrev_i32_e32 v35, 31, v34
	s_waitcnt lgkmcnt(0)
	v_lshl_add_u64 v[34:35], v[34:35], 2, s[12:13]
	global_load_dword v43, v[34:35], off
.LBB1139_13:
	s_or_b64 exec, exec, s[4:5]
	v_or_b32_e32 v62, s16, v32
	v_ashrrev_i32_e32 v30, 4, v62
	v_mov_b32_e32 v63, s17
	v_cmp_gt_i32_e32 vcc, s29, v62
	s_waitcnt vmcnt(2)
	v_cvt_pk_f32_fp8_e32 v[52:53], v20
	v_cvt_pk_f32_fp8_sdwa v[54:55], v20 src0_sel:WORD_1
	v_cndmask_b32_e32 v20, v63, v30, vcc
	v_cvt_pk_f32_fp8_e32 v[56:57], v21
	v_cvt_pk_f32_fp8_sdwa v[58:59], v21 src0_sel:WORD_1
	v_ashrrev_i32_e32 v21, 31, v20
	v_cvt_pk_f32_fp8_e32 v[40:41], v22
	v_cvt_pk_f32_fp8_sdwa v[44:45], v22 src0_sel:WORD_1
	v_lshl_add_u64 v[20:21], v[20:21], 2, s[8:9]
	v_cvt_pk_f32_fp8_e32 v[46:47], v18
	v_cvt_pk_f32_fp8_sdwa v[48:49], v18 src0_sel:WORD_1
	global_load_dword v64, v[20:21], off
	s_mov_b32 s33, 0x7060302
	v_cvt_pk_f32_fp8_e32 v[32:33], v23
	v_cvt_pk_f32_fp8_sdwa v[34:35], v23 src0_sel:WORD_1
	v_perm_b32 v20, v41, v40, s33
	v_perm_b32 v21, v45, v44, s33
	v_cvt_pk_f32_fp8_e32 v[38:39], v24
	v_cvt_pk_f32_fp8_sdwa v[36:37], v24 src0_sel:WORD_1
	v_cvt_pk_f32_fp8_e32 v[50:51], v19
	v_cvt_pk_f32_fp8_sdwa v[18:19], v19 src0_sel:WORD_1
	v_perm_b32 v44, v47, v46, s33
	v_perm_b32 v45, v49, v48, s33
	v_cvt_pk_f32_fp8_e32 v[22:23], v25
	s_waitcnt vmcnt(2)
	v_cvt_pk_f32_fp8_e32 v[40:41], v14
	v_cvt_pk_f32_fp8_sdwa v[46:47], v14 src0_sel:WORD_1
	v_perm_b32 v48, v33, v32, s33
	v_perm_b32 v49, v35, v34, s33
	v_or_b32_e32 v14, 64, v62
	v_or_b32_e32 v32, 0xc0, v62
	v_cvt_pk_f32_fp8_sdwa v[24:25], v25 src0_sel:WORD_1
	s_load_dword s11, s[0:1], 0x1c
	s_load_dwordx4 s[40:43], s[0:1], 0x80
	v_perm_b32 v38, v39, v38, s33
	v_perm_b32 v39, v37, v36, s33
	v_or_b32_e32 v65, 0x80, v62
	v_ashrrev_i32_e32 v62, 4, v14
	v_cmp_gt_i32_e32 vcc, s29, v32
	v_ashrrev_i32_e32 v66, 4, v32
	v_cmp_gt_i32_e64 s[4:5], s29, v14
	v_perm_b32 v36, v51, v50, s33
	v_perm_b32 v37, v19, v18, s33
	s_waitcnt lgkmcnt(0)
	v_mfma_f32_16x16x16_bf16 v[32:35], v[20:21], v[10:11], 0
	s_add_u32 s6, s6, s10
	v_lshlrev_b32_e32 v30, 4, v28
	v_cndmask_b32_e64 v50, v63, v62, s[4:5]
	v_perm_b32 v62, v23, v22, s33
	v_mfma_f32_16x16x16_bf16 v[20:23], v[44:45], v[10:11], 0
	v_lshl_or_b32 v30, v29, 8, v30
	s_addc_u32 s7, s7, 0
	v_ashrrev_i32_e32 v14, 4, v65
	v_lshl_add_u64 v[18:19], s[6:7], 0, v[30:31]
	v_cmp_gt_i32_e64 s[6:7], s29, v65
	v_mfma_f32_16x16x16_bf16 v[30:33], v[48:49], v[12:13], v[32:35]
	v_cndmask_b32_e32 v48, v63, v66, vcc
	s_load_dword s4, s[40:41], 0x0
	v_cvt_pk_f32_fp8_e32 v[60:61], v15
	v_cndmask_b32_e64 v34, v63, v14, s[6:7]
	v_perm_b32 v63, v25, v24, s33
	v_perm_b32 v24, v53, v52, s33
	;; [unrolled: 1-line block ×3, first 2 shown]
	v_mfma_f32_16x16x16_bf16 v[20:23], v[36:37], v[12:13], v[20:23]
	v_perm_b32 v40, v41, v40, s33
	v_perm_b32 v41, v47, v46, s33
	v_ashrrev_i32_e32 v51, 31, v50
	v_mfma_f32_16x16x16_bf16 v[20:23], v[24:25], v[2:3], v[20:23]
	v_mov_b32_e32 v24, s11
	s_waitcnt lgkmcnt(0)
	v_mul_f32_e32 v54, s4, v24
	v_cvt_pk_f32_fp8_sdwa v[24:25], v15 src0_sel:WORD_1
	v_mfma_f32_16x16x16_bf16 v[30:33], v[38:39], v[2:3], v[30:33]
	v_ashrrev_i32_e32 v35, 31, v34
	v_ashrrev_i32_e32 v49, 31, v48
	v_lshl_add_u64 v[36:37], v[50:51], 2, s[8:9]
	v_lshl_add_u64 v[34:35], v[34:35], 2, s[8:9]
	;; [unrolled: 1-line block ×3, first 2 shown]
	global_load_dword v14, v[36:37], off
	global_load_dword v44, v[34:35], off
	;; [unrolled: 1-line block ×3, first 2 shown]
	v_perm_b32 v46, v61, v60, s33
	v_cvt_pk_f32_fp8_e32 v[48:49], v16
	v_cvt_pk_f32_fp8_sdwa v[50:51], v16 src0_sel:WORD_1
	v_perm_b32 v47, v25, v24, s33
	v_mfma_f32_16x16x16_bf16 v[36:39], v[62:63], v[4:5], v[30:33]
	v_perm_b32 v24, v49, v48, s33
	v_perm_b32 v25, v51, v50, s33
	;; [unrolled: 1-line block ×3, first 2 shown]
	v_mfma_f32_16x16x16_bf16 v[30:33], v[40:41], v[10:11], 0
	v_cvt_pk_f32_fp8_e32 v[40:41], v17
	v_cvt_pk_f32_fp8_sdwa v[16:17], v17 src0_sel:WORD_1
	v_perm_b32 v53, v59, v58, s33
	v_mfma_f32_16x16x16_bf16 v[46:49], v[46:47], v[12:13], v[30:33]
	s_mov_b32 s44, 0xff7fffff
	s_waitcnt vmcnt(3)
	v_mad_i64_i32 v[34:35], s[4:5], v64, s45, v[18:19]
	v_perm_b32 v32, v41, v40, s33
	v_perm_b32 v33, v17, v16, s33
	v_mfma_f32_16x16x16_bf16 v[46:49], v[24:25], v[2:3], v[46:49]
	v_cvt_pk_f32_fp8_e32 v[16:17], v6
	v_cvt_pk_f32_fp8_sdwa v[24:25], v6 src0_sel:WORD_1
	v_pk_mul_f32 v[30:31], v[54:55], v[38:39] op_sel_hi:[0,1]
	v_mfma_f32_16x16x16_bf16 v[46:49], v[32:33], v[4:5], v[46:49]
	v_cvt_pk_f32_fp8_e32 v[32:33], v7
	v_perm_b32 v16, v17, v16, s33
	v_perm_b32 v17, v25, v24, s33
	v_cvt_pk_f32_fp8_sdwa v[6:7], v7 src0_sel:WORD_1
	v_pk_mul_f32 v[38:39], v[54:55], v[36:37] op_sel_hi:[0,1]
	v_perm_b32 v24, v33, v32, s33
	v_cvt_pk_f32_fp8_e32 v[32:33], v8
	v_cvt_pk_f32_fp8_sdwa v[36:37], v8 src0_sel:WORD_1
	v_perm_b32 v25, v7, v6, s33
	v_mfma_f32_16x16x16_bf16 v[20:23], v[52:53], v[4:5], v[20:23]
	v_mfma_f32_16x16x16_bf16 v[50:53], v[16:17], v[10:11], 0
	v_perm_b32 v10, v33, v32, s33
	v_perm_b32 v11, v37, v36, s33
	v_cvt_pk_f32_fp8_e32 v[16:17], v9
	v_cvt_pk_f32_fp8_sdwa v[32:33], v9 src0_sel:WORD_1
	v_mfma_f32_16x16x16_bf16 v[6:9], v[24:25], v[12:13], v[50:53]
	s_nop 0
	v_pk_mul_f32 v[36:37], v[54:55], v[22:23] op_sel_hi:[0,1]
	v_perm_b32 v12, v17, v16, s33
	v_perm_b32 v13, v33, v32, s33
	v_mfma_f32_16x16x16_bf16 v[6:9], v[10:11], v[2:3], v[6:9]
	v_pk_mul_f32 v[40:41], v[54:55], v[20:21] op_sel_hi:[0,1]
	v_pk_mul_f32 v[24:25], v[54:55], v[48:49] op_sel_hi:[0,1]
	;; [unrolled: 1-line block ×3, first 2 shown]
	v_mfma_f32_16x16x16_bf16 v[2:5], v[12:13], v[4:5], v[6:9]
	s_nop 6
	v_pk_mul_f32 v[22:23], v[54:55], v[2:3] op_sel_hi:[0,1]
	v_and_b32_e32 v2, 0xc0, v0
	v_add_u32_e32 v2, s16, v2
	v_lshl_or_b32 v2, v1, 2, v2
	v_or_b32_e32 v3, 1, v2
	v_pk_mul_f32 v[20:21], v[54:55], v[4:5] op_sel_hi:[0,1]
	v_subrev_u32_e32 v4, s29, v3
	v_add_u32_e32 v6, 1, v4
	v_add_u32_e32 v7, 2, v4
	;; [unrolled: 1-line block ×3, first 2 shown]
	v_cvt_f32_i32_e32 v6, v6
	v_cvt_f32_i32_e32 v7, v7
	;; [unrolled: 1-line block ×3, first 2 shown]
	v_add_u32_e32 v9, 19, v4
	v_fmac_f32_e32 v39, v43, v6
	v_fma_f32 v30, v43, v7, v30
	v_fmac_f32_e32 v31, v43, v8
	v_add_u32_e32 v6, 16, v4
	v_add_u32_e32 v7, 17, v4
	;; [unrolled: 1-line block ×3, first 2 shown]
	v_cvt_f32_i32_e32 v6, v6
	v_cvt_f32_i32_e32 v7, v7
	;; [unrolled: 1-line block ×4, first 2 shown]
	v_fma_f32 v40, v43, v6, v40
	v_fmac_f32_e32 v41, v43, v7
	v_fma_f32 v36, v43, v8, v36
	v_add_u32_e32 v6, 32, v4
	v_add_u32_e32 v7, 33, v4
	;; [unrolled: 1-line block ×3, first 2 shown]
	v_cvt_f32_i32_e32 v6, v6
	v_cvt_f32_i32_e32 v7, v7
	;; [unrolled: 1-line block ×4, first 2 shown]
	v_fmac_f32_e32 v37, v43, v9
	v_add_u32_e32 v9, 35, v4
	v_fma_f32 v32, v43, v6, v32
	v_fmac_f32_e32 v33, v43, v7
	v_fma_f32 v24, v43, v8, v24
	v_add_u32_e32 v6, 48, v4
	v_add_u32_e32 v7, 49, v4
	;; [unrolled: 1-line block ×4, first 2 shown]
	v_cvt_f32_i32_e32 v4, v4
	v_cvt_f32_i32_e32 v6, v6
	;; [unrolled: 1-line block ×3, first 2 shown]
	v_fma_f32 v5, v43, v5, v38
	v_fmac_f32_e32 v21, v43, v4
	v_mov_b32_e32 v4, 0xff7fffff
	v_cmp_gt_i32_e64 s[4:5], s29, v2
	v_cmp_gt_i32_e64 s[34:35], s29, v3
	v_fma_f32 v22, v43, v6, v22
	v_cndmask_b32_e64 v6, v4, v5, s[4:5]
	v_cndmask_b32_e64 v3, v4, v39, s[34:35]
	v_fmac_f32_e32 v23, v43, v7
	v_max3_f32 v3, v6, s44, v3
	v_or_b32_e32 v6, 2, v2
	v_or_b32_e32 v7, 3, v2
	v_cmp_gt_i32_e64 s[36:37], s29, v6
	v_cmp_gt_i32_e64 s[38:39], s29, v7
	v_cvt_f32_i32_e32 v9, v9
	v_cndmask_b32_e64 v6, v4, v30, s[36:37]
	v_cndmask_b32_e64 v7, v4, v31, s[38:39]
	v_max3_f32 v3, v3, v6, v7
	v_or_b32_e32 v6, 16, v2
	v_or_b32_e32 v7, 17, v2
	v_cmp_gt_i32_e64 s[24:25], s29, v6
	v_cmp_gt_i32_e64 s[26:27], s29, v7
	v_fmac_f32_e32 v25, v43, v9
	v_cndmask_b32_e64 v6, v4, v40, s[24:25]
	v_cndmask_b32_e64 v7, v4, v41, s[26:27]
	v_max3_f32 v3, v3, v6, v7
	v_or_b32_e32 v6, 18, v2
	v_or_b32_e32 v7, 19, v2
	v_cmp_gt_i32_e64 s[20:21], s29, v6
	v_cmp_gt_i32_e64 s[22:23], s29, v7
	v_cvt_f32_i32_e32 v8, v8
	v_cndmask_b32_e64 v6, v4, v36, s[20:21]
	v_cndmask_b32_e64 v7, v4, v37, s[22:23]
	v_max3_f32 v3, v3, v6, v7
	v_or_b32_e32 v6, 32, v2
	v_or_b32_e32 v7, 33, v2
	v_cmp_gt_i32_e64 s[16:17], s29, v6
	v_cmp_gt_i32_e64 s[18:19], s29, v7
	v_fma_f32 v20, v43, v8, v20
	v_cndmask_b32_e64 v6, v4, v32, s[16:17]
	v_cndmask_b32_e64 v7, v4, v33, s[18:19]
	v_max3_f32 v3, v3, v6, v7
	v_or_b32_e32 v6, 34, v2
	v_or_b32_e32 v7, 35, v2
	v_cmp_gt_i32_e64 s[12:13], s29, v6
	v_cmp_gt_i32_e64 s[14:15], s29, v7
	s_nop 0
	v_cndmask_b32_e64 v6, v4, v24, s[12:13]
	v_cndmask_b32_e64 v7, v4, v25, s[14:15]
	v_max3_f32 v3, v3, v6, v7
	v_or_b32_e32 v6, 48, v2
	v_or_b32_e32 v7, 49, v2
	v_cmp_gt_i32_e64 s[8:9], s29, v6
	v_cmp_gt_i32_e64 s[10:11], s29, v7
	s_nop 0
	v_cndmask_b32_e64 v6, v4, v22, s[8:9]
	v_cndmask_b32_e64 v7, v4, v23, s[10:11]
	v_max3_f32 v3, v3, v6, v7
	v_or_b32_e32 v6, 50, v2
	v_or_b32_e32 v2, 51, v2
	v_cmp_gt_i32_e32 vcc, s29, v6
	v_cmp_gt_i32_e64 s[6:7], s29, v2
	s_nop 0
	v_cndmask_b32_e32 v6, v4, v20, vcc
	v_cndmask_b32_e64 v2, v4, v21, s[6:7]
	v_max3_f32 v4, v3, v6, v2
	v_mbcnt_lo_u32_b32 v2, -1, 0
	v_mbcnt_hi_u32_b32 v6, -1, v2
	v_and_b32_e32 v2, 64, v6
	v_add_u32_e32 v7, 64, v2
	v_xor_b32_e32 v2, 32, v6
	v_cmp_lt_i32_e64 s[40:41], v2, v7
	s_nop 1
	v_cndmask_b32_e64 v2, v6, v2, s[40:41]
	v_lshlrev_b32_e32 v43, 2, v2
	ds_bpermute_b32 v8, v43, v4
	s_waitcnt vmcnt(2)
	v_mad_i64_i32 v[2:3], s[40:41], v14, s45, v[18:19]
	global_load_dwordx4 v[14:17], v[34:35], off
	global_load_dwordx4 v[10:13], v[2:3], off
	v_xor_b32_e32 v3, 16, v6
	v_cmp_lt_i32_e64 s[40:41], v3, v7
	s_waitcnt lgkmcnt(0)
	v_max_f32_e32 v2, v8, v8
	v_max_f32_e32 v2, v4, v2
	v_cndmask_b32_e64 v3, v6, v3, s[40:41]
	v_lshlrev_b32_e32 v46, 2, v3
	ds_bpermute_b32 v3, v46, v2
	s_waitcnt vmcnt(3)
	v_mad_i64_i32 v[34:35], s[40:41], v44, s45, v[18:19]
	s_waitcnt vmcnt(2)
	v_mad_i64_i32 v[18:19], s[40:41], v45, s45, v[18:19]
	s_waitcnt lgkmcnt(0)
	v_max_f32_e32 v3, v3, v3
	v_max_f32_e32 v38, v2, v3
	v_sub_f32_e32 v2, v5, v38
	v_mul_f32_e32 v2, 0x3fb8aa3b, v2
	v_exp_f32_e32 v44, v2
	v_sub_f32_e32 v2, v39, v38
	v_mul_f32_e32 v2, 0x3fb8aa3b, v2
	v_exp_f32_e32 v39, v2
	global_load_dwordx4 v[6:9], v[34:35], off
	global_load_dwordx4 v[2:5], v[18:19], off
	v_sub_f32_e32 v30, v30, v38
	v_mul_f32_e32 v30, 0x3fb8aa3b, v30
	v_sub_f32_e32 v31, v31, v38
	v_exp_f32_e32 v30, v30
	v_mul_f32_e32 v31, 0x3fb8aa3b, v31
	v_exp_f32_e32 v31, v31
	v_cndmask_b32_e64 v18, 0, v44, s[4:5]
	v_add_f32_e32 v34, 0, v18
	v_cndmask_b32_e64 v19, 0, v39, s[34:35]
	v_add_f32_e32 v35, v34, v19
	;; [unrolled: 2-line block ×3, first 2 shown]
	v_cndmask_b32_e64 v35, 0, v31, s[38:39]
	v_sub_f32_e32 v31, v40, v38
	v_mul_f32_e32 v31, 0x3fb8aa3b, v31
	v_sub_f32_e32 v39, v41, v38
	v_exp_f32_e32 v31, v31
	v_mul_f32_e32 v39, 0x3fb8aa3b, v39
	v_sub_f32_e32 v36, v36, v38
	v_exp_f32_e32 v39, v39
	;; [unrolled: 3-line block ×4, first 2 shown]
	v_mul_f32_e32 v32, 0x3fb8aa3b, v32
	v_sub_f32_e32 v33, v33, v38
	v_add_f32_e32 v40, v30, v35
	v_cndmask_b32_e64 v30, 0, v31, s[24:25]
	v_exp_f32_e32 v32, v32
	v_mul_f32_e32 v33, 0x3fb8aa3b, v33
	v_sub_f32_e32 v24, v24, v38
	v_add_f32_e32 v40, v40, v30
	v_cndmask_b32_e64 v31, 0, v39, s[26:27]
	v_exp_f32_e32 v33, v33
	;; [unrolled: 5-line block ×7, first 2 shown]
	v_mul_f32_e32 v21, 0x3fb8aa3b, v21
	v_add_f32_e32 v39, v39, v24
	v_cndmask_b32_e64 v25, 0, v25, s[14:15]
	v_exp_f32_e32 v21, v21
	v_add_f32_e32 v39, v39, v25
	v_cndmask_b32_e64 v22, 0, v22, s[8:9]
	v_add_f32_e32 v39, v39, v22
	v_cndmask_b32_e64 v23, 0, v23, s[10:11]
	v_add_f32_e32 v39, v39, v23
	v_cndmask_b32_e32 v20, 0, v20, vcc
	v_add_f32_e32 v39, v39, v20
	v_cndmask_b32_e64 v21, 0, v21, s[6:7]
	v_add_f32_e32 v39, v39, v21
	ds_bpermute_b32 v40, v43, v39
	s_load_dword s7, s[0:1], 0x98
	v_cmp_gt_u32_e32 vcc, 16, v27
	s_waitcnt lgkmcnt(0)
	s_barrier
	v_add_f32_e32 v40, v39, v40
	ds_bpermute_b32 v41, v46, v40
	v_lshlrev_b32_e32 v39, 2, v28
	s_waitcnt lgkmcnt(0)
	s_and_saveexec_b64 s[4:5], vcc
	s_cbranch_execz .LBB1139_15
; %bb.14:
	v_add_f32_e32 v27, v40, v41
	v_lshl_or_b32 v40, v29, 6, v39
	ds_write2st64_b32 v40, v38, v27 offset1:1
.LBB1139_15:
	s_or_b64 exec, exec, s[4:5]
	s_load_dword s6, s[0:1], 0x94
	s_waitcnt lgkmcnt(0)
	s_barrier
	ds_read2_b32 v[40:41], v39 offset1:16
	ds_read2_b32 v[44:45], v39 offset0:32 offset1:48
	ds_read2_b32 v[46:47], v39 offset0:64 offset1:80
	s_movk_i32 s8, 0x7fff
	s_mul_i32 s7, s7, 12
	s_waitcnt lgkmcnt(2)
	v_max3_f32 v27, v40, s44, v41
	s_waitcnt lgkmcnt(1)
	v_max3_f32 v27, v27, v44, v45
	v_sub_f32_e32 v38, v40, v27
	v_mul_f32_e32 v38, 0x3fb8aa3b, v38
	v_exp_f32_e32 v43, v38
	v_sub_f32_e32 v38, v41, v27
	v_mul_f32_e32 v38, 0x3fb8aa3b, v38
	v_exp_f32_e32 v48, v38
	;; [unrolled: 3-line block ×3, first 2 shown]
	ds_read2_b32 v[40:41], v39 offset0:96 offset1:112
	v_sub_f32_e32 v38, v45, v27
	v_mul_f32_e32 v38, 0x3fb8aa3b, v38
	v_exp_f32_e32 v39, v38
	s_waitcnt lgkmcnt(1)
	v_fma_f32 v38, v43, v46, 0
	v_fmac_f32_e32 v38, v48, v47
	s_waitcnt lgkmcnt(0)
	v_fmac_f32_e32 v38, v44, v40
	v_fmac_f32_e32 v38, v39, v41
	v_add_f32_e32 v40, 0x358637bd, v38
	v_div_scale_f32 v41, s[4:5], v40, v40, 1.0
	v_rcp_f32_e32 v45, v41
	s_barrier
	v_fma_f32 v46, -v41, v45, 1.0
	v_fmac_f32_e32 v45, v46, v45
	v_div_scale_f32 v46, vcc, 1.0, v40, 1.0
	v_mul_f32_e32 v47, v46, v45
	v_fma_f32 v49, -v41, v47, v46
	v_fmac_f32_e32 v47, v49, v45
	v_fma_f32 v41, -v41, v47, v46
	v_div_fmas_f32 v41, v41, v45, v47
	v_cmp_eq_u32_e32 vcc, 1, v29
	v_div_fixup_f32 v40, v41, v40, 1.0
	s_nop 0
	v_cndmask_b32_e32 v41, v43, v48, vcc
	v_cmp_eq_u32_e32 vcc, 2, v29
	s_nop 1
	v_cndmask_b32_e32 v41, v41, v44, vcc
	v_cmp_eq_u32_e32 vcc, 3, v29
	v_lshlrev_b32_e32 v29, 11, v29
	s_nop 0
	v_cndmask_b32_e32 v39, v41, v39, vcc
	v_mul_f32_e32 v40, v39, v40
	v_pk_mul_f32 v[18:19], v[40:41], v[18:19] op_sel_hi:[0,1]
	v_pk_mul_f32 v[34:35], v[40:41], v[34:35] op_sel_hi:[0,1]
	v_bfe_u32 v39, v19, 16, 1
	v_bfe_u32 v41, v18, 16, 1
	v_add3_u32 v18, v18, v41, s8
	v_add3_u32 v19, v19, v39, s8
	v_perm_b32 v44, v19, v18, s33
	v_bfe_u32 v18, v35, 16, 1
	v_bfe_u32 v19, v34, 16, 1
	v_add3_u32 v19, v34, v19, s8
	v_add3_u32 v18, v35, v18, s8
	v_perm_b32 v45, v18, v19, s33
	v_lshlrev_b32_e32 v18, 3, v1
	v_lshlrev_b32_e32 v19, 5, v28
	v_pk_mul_f32 v[30:31], v[40:41], v[30:31] op_sel_hi:[0,1]
	v_or3_b32 v18, v29, v19, v18
	v_pk_mul_f32 v[34:35], v[40:41], v[36:37] op_sel_hi:[0,1]
	v_bfe_u32 v29, v31, 16, 1
	v_bfe_u32 v36, v30, 16, 1
	v_add3_u32 v30, v30, v36, s8
	v_add3_u32 v29, v31, v29, s8
	v_perm_b32 v30, v29, v30, s33
	v_bfe_u32 v29, v35, 16, 1
	v_bfe_u32 v31, v34, 16, 1
	v_add3_u32 v31, v34, v31, s8
	v_add3_u32 v29, v35, v29, s8
	v_perm_b32 v31, v29, v31, s33
	ds_write2st64_b64 v18, v[44:45], v[30:31] offset1:1
	v_pk_mul_f32 v[30:31], v[40:41], v[32:33] op_sel_hi:[0,1]
	v_bfe_u32 v29, v31, 16, 1
	v_bfe_u32 v32, v30, 16, 1
	v_pk_mul_f32 v[24:25], v[40:41], v[24:25] op_sel_hi:[0,1]
	v_add3_u32 v30, v30, v32, s8
	v_add3_u32 v29, v31, v29, s8
	v_perm_b32 v30, v29, v30, s33
	v_bfe_u32 v29, v25, 16, 1
	v_bfe_u32 v31, v24, 16, 1
	v_add3_u32 v24, v24, v31, s8
	v_add3_u32 v25, v25, v29, s8
	v_pk_mul_f32 v[22:23], v[40:41], v[22:23] op_sel_hi:[0,1]
	v_perm_b32 v31, v25, v24, s33
	v_bfe_u32 v24, v23, 16, 1
	v_bfe_u32 v25, v22, 16, 1
	v_pk_mul_f32 v[20:21], v[40:41], v[20:21] op_sel_hi:[0,1]
	v_add3_u32 v22, v22, v25, s8
	v_add3_u32 v23, v23, v24, s8
	v_perm_b32 v22, v23, v22, s33
	v_bfe_u32 v23, v21, 16, 1
	v_bfe_u32 v24, v20, 16, 1
	v_add3_u32 v20, v20, v24, s8
	v_add3_u32 v21, v21, v23, s8
	v_perm_b32 v23, v21, v20, s33
	v_cmp_gt_u32_e32 vcc, 12, v0
	ds_write2st64_b64 v18, v[30:31], v[22:23] offset0:2 offset1:3
	s_and_saveexec_b64 s[4:5], vcc
	s_cbranch_execz .LBB1139_17
; %bb.16:
	s_mov_b32 s49, 0
	v_mov_b32_e32 v29, 0
	v_lshl_add_u64 v[20:21], s[48:49], 0, v[28:29]
	v_mov_b32_e32 v22, s7
	v_mad_u64_u32 v[20:21], s[10:11], s2, v22, v[20:21]
	s_mul_i32 s3, s3, s7
	v_mov_b32_e32 v28, s28
	s_load_dwordx4 s[12:15], s[0:1], 0x58
	v_add_u32_e32 v23, s3, v21
	v_mad_u64_u32 v[20:21], s[10:11], v20, s6, v[28:29]
	v_mov_b32_e32 v22, v21
	v_mad_u64_u32 v[22:23], s[10:11], v23, s6, v[22:23]
	v_mov_b32_e32 v21, v22
	v_lshlrev_b64 v[20:21], 2, v[20:21]
	s_waitcnt lgkmcnt(0)
	v_lshl_add_u64 v[22:23], s[14:15], 0, v[20:21]
	v_lshl_add_u64 v[20:21], s[12:13], 0, v[20:21]
	global_store_dword v[22:23], v27, off
	global_store_dword v[20:21], v38, off
.LBB1139_17:
	s_or_b64 exec, exec, s[4:5]
	s_waitcnt vmcnt(3)
	v_cvt_pk_f32_fp8_e32 v[20:21], v14
	v_cvt_pk_f32_fp8_sdwa v[22:23], v14 src0_sel:WORD_1
	s_mov_b32 s4, 0x7060302
	v_lshl_or_b32 v14, v1, 9, v19
	s_waitcnt lgkmcnt(0)
	s_barrier
	v_perm_b32 v24, v21, v20, s4
	v_perm_b32 v25, v23, v22, s4
	v_cvt_pk_f32_fp8_e32 v[28:29], v15
	ds_read_b128 v[20:23], v14
	v_cvt_pk_f32_fp8_sdwa v[36:37], v15 src0_sel:WORD_1
	s_load_dword s10, s[42:43], 0x0
	v_perm_b32 v38, v29, v28, s4
	ds_read_b128 v[28:31], v14 offset:16
	v_perm_b32 v39, v37, v36, s4
	s_waitcnt lgkmcnt(0)
	v_mfma_f32_16x16x16_bf16 v[32:35], v[24:25], v[20:21], 0
	v_cvt_pk_f32_fp8_e32 v[24:25], v16
	v_cvt_pk_f32_fp8_sdwa v[36:37], v16 src0_sel:WORD_1
	v_cmp_gt_u32_e32 vcc, 64, v0
	v_mfma_f32_16x16x16_bf16 v[20:23], v[38:39], v[22:23], v[32:35]
	v_perm_b32 v24, v25, v24, s4
	v_perm_b32 v25, v37, v36, s4
	s_mov_b32 s3, 0
	v_cvt_pk_f32_fp8_e32 v[32:33], v17
	v_cvt_pk_f32_fp8_sdwa v[16:17], v17 src0_sel:WORD_1
	s_waitcnt vmcnt(2)
	v_cvt_pk_f32_fp8_sdwa v[34:35], v10 src0_sel:WORD_1
	v_mfma_f32_16x16x16_bf16 v[20:23], v[24:25], v[28:29], v[20:23]
	v_perm_b32 v36, v33, v32, s4
	v_cvt_pk_f32_fp8_e32 v[32:33], v10
	v_perm_b32 v37, v17, v16, s4
	v_perm_b32 v17, v35, v34, s4
	v_cvt_pk_f32_fp8_e32 v[24:25], v11
	v_perm_b32 v16, v33, v32, s4
	ds_read_b128 v[32:35], v14 offset:2048
	v_cvt_pk_f32_fp8_sdwa v[10:11], v11 src0_sel:WORD_1
	v_mfma_f32_16x16x16_bf16 v[20:23], v[36:37], v[30:31], v[20:23]
	ds_read_b128 v[28:31], v14 offset:2064
	v_perm_b32 v24, v25, v24, s4
	v_perm_b32 v25, v11, v10, s4
	s_waitcnt lgkmcnt(1)
	v_mfma_f32_16x16x16_bf16 v[20:23], v[16:17], v[32:33], v[20:23]
	v_cvt_pk_f32_fp8_e32 v[10:11], v12
	v_cvt_pk_f32_fp8_sdwa v[16:17], v12 src0_sel:WORD_1
	s_waitcnt vmcnt(1)
	v_cvt_pk_f32_fp8_sdwa v[32:33], v6 src0_sel:WORD_1
	v_mfma_f32_16x16x16_bf16 v[20:23], v[24:25], v[34:35], v[20:23]
	v_cvt_pk_f32_fp8_e32 v[24:25], v13
	v_perm_b32 v10, v11, v10, s4
	v_perm_b32 v11, v17, v16, s4
	v_cvt_pk_f32_fp8_sdwa v[12:13], v13 src0_sel:WORD_1
	v_perm_b32 v16, v25, v24, s4
	v_cvt_pk_f32_fp8_e32 v[24:25], v6
	v_mov_b32_e32 v27, 0
	v_perm_b32 v17, v13, v12, s4
	s_waitcnt lgkmcnt(0)
	v_mfma_f32_16x16x16_bf16 v[10:13], v[10:11], v[28:29], v[20:23]
	v_perm_b32 v24, v25, v24, s4
	v_perm_b32 v25, v33, v32, s4
	v_cvt_pk_f32_fp8_e32 v[28:29], v7
	ds_read_b128 v[20:23], v14 offset:4096
	v_cvt_pk_f32_fp8_sdwa v[6:7], v7 src0_sel:WORD_1
	v_mfma_f32_16x16x16_bf16 v[10:13], v[16:17], v[30:31], v[10:13]
	v_perm_b32 v16, v29, v28, s4
	ds_read_b128 v[28:31], v14 offset:4112
	v_perm_b32 v17, v7, v6, s4
	s_waitcnt lgkmcnt(1)
	v_mfma_f32_16x16x16_bf16 v[10:13], v[24:25], v[20:21], v[10:13]
	v_cvt_pk_f32_fp8_e32 v[6:7], v8
	v_cvt_pk_f32_fp8_sdwa v[20:21], v8 src0_sel:WORD_1
	v_perm_b32 v6, v7, v6, s4
	v_mfma_f32_16x16x16_bf16 v[10:13], v[16:17], v[22:23], v[10:13]
	v_cvt_pk_f32_fp8_e32 v[16:17], v9
	v_perm_b32 v7, v21, v20, s4
	v_cvt_pk_f32_fp8_sdwa v[8:9], v9 src0_sel:WORD_1
	s_waitcnt vmcnt(0)
	v_cvt_pk_f32_fp8_e32 v[20:21], v2
	v_perm_b32 v16, v17, v16, s4
	v_cvt_pk_f32_fp8_sdwa v[22:23], v2 src0_sel:WORD_1
	v_perm_b32 v17, v9, v8, s4
	s_waitcnt lgkmcnt(0)
	v_mfma_f32_16x16x16_bf16 v[6:9], v[6:7], v[28:29], v[10:13]
	v_perm_b32 v20, v21, v20, s4
	v_perm_b32 v21, v23, v22, s4
	v_cvt_pk_f32_fp8_e32 v[22:23], v3
	ds_read_b128 v[10:13], v14 offset:6144
	v_cvt_pk_f32_fp8_sdwa v[2:3], v3 src0_sel:WORD_1
	v_mfma_f32_16x16x16_bf16 v[6:9], v[16:17], v[30:31], v[6:9]
	v_perm_b32 v22, v23, v22, s4
	ds_read_b128 v[14:17], v14 offset:6160
	v_perm_b32 v23, v3, v2, s4
	s_waitcnt lgkmcnt(1)
	v_mfma_f32_16x16x16_bf16 v[6:9], v[20:21], v[10:11], v[6:9]
	v_cvt_pk_f32_fp8_e32 v[2:3], v4
	v_cvt_pk_f32_fp8_sdwa v[10:11], v4 src0_sel:WORD_1
	s_waitcnt lgkmcnt(0)
	v_mfma_f32_16x16x16_bf16 v[6:9], v[22:23], v[12:13], v[6:9]
	v_perm_b32 v2, v3, v2, s4
	v_perm_b32 v3, v11, v10, s4
	v_cvt_pk_f32_fp8_e32 v[10:11], v5
	v_cvt_pk_f32_fp8_sdwa v[4:5], v5 src0_sel:WORD_1
	s_barrier
	v_perm_b32 v10, v11, v10, s4
	v_perm_b32 v11, v5, v4, s4
	v_mfma_f32_16x16x16_bf16 v[2:5], v[2:3], v[14:15], v[6:9]
	s_nop 0
	v_mfma_f32_16x16x16_bf16 v[2:5], v[10:11], v[16:17], v[2:5]
	s_nop 6
	v_pk_mul_f32 v[2:3], v[2:3], s[10:11] op_sel_hi:[1,0]
	v_pk_mul_f32 v[4:5], v[4:5], s[10:11] op_sel_hi:[1,0]
	v_bfe_u32 v6, v3, 16, 1
	v_bfe_u32 v7, v2, 16, 1
	v_add3_u32 v2, v2, v7, s8
	v_add3_u32 v3, v3, v6, s8
	v_perm_b32 v2, v3, v2, s4
	v_bfe_u32 v3, v5, 16, 1
	v_bfe_u32 v6, v4, 16, 1
	v_add3_u32 v4, v4, v6, s8
	v_add3_u32 v3, v5, v3, s8
	v_perm_b32 v3, v3, v4, s4
	s_and_b64 s[4:5], vcc, s[30:31]
	ds_write_b64 v18, v[2:3]
	s_waitcnt lgkmcnt(0)
	s_barrier
	s_and_saveexec_b64 s[8:9], s[4:5]
	s_cbranch_execz .LBB1139_19
; %bb.18:
	s_load_dwordx2 s[0:1], s[0:1], 0x68
	s_lshl_b32 s6, s6, 6
	s_mul_i32 s2, s7, s2
	s_mul_hi_u32 s5, s2, s6
	s_mul_i32 s4, s2, s6
	s_lshl_b64 s[4:5], s[4:5], 1
	s_waitcnt lgkmcnt(0)
	s_add_u32 s4, s0, s4
	v_lshlrev_b32_e32 v0, 10, v0
	s_addc_u32 s5, s1, s5
	s_lshl_b32 s2, s28, 6
	v_and_b32_e32 v0, 0x1800, v0
	v_lshlrev_b32_e32 v2, 5, v1
	v_and_b32_e32 v3, 16, v42
	s_lshl_b64 s[0:1], s[2:3], 1
	v_or3_b32 v0, v0, v2, v3
	s_add_u32 s0, s4, s0
	ds_read_b128 v[2:5], v0
	ds_read_b128 v[6:9], v0 offset:128
	ds_read_b128 v[10:13], v0 offset:256
	s_addc_u32 s1, s5, s1
	v_or_b32_e32 v16, s48, v1
	v_lshl_add_u64 v[0:1], s[0:1], 0, v[26:27]
	v_mad_u64_u32 v[14:15], s[0:1], v16, s6, 0
	v_lshl_add_u64 v[14:15], v[14:15], 1, v[0:1]
	s_waitcnt lgkmcnt(2)
	global_store_dwordx4 v[14:15], v[2:5], off
	s_nop 1
	v_add_u32_e32 v2, 4, v16
	v_mad_u64_u32 v[2:3], s[0:1], v2, s6, 0
	v_lshl_add_u64 v[2:3], v[2:3], 1, v[0:1]
	s_waitcnt lgkmcnt(1)
	global_store_dwordx4 v[2:3], v[6:9], off
	v_add_u32_e32 v2, 8, v16
	v_mad_u64_u32 v[2:3], s[0:1], v2, s6, 0
	v_lshl_add_u64 v[0:1], v[2:3], 1, v[0:1]
	s_waitcnt lgkmcnt(0)
	global_store_dwordx4 v[0:1], v[10:13], off
.LBB1139_19:
	s_endpgm
	.section	.rodata,"a",@progbits
	.p2align	6, 0x0
	.amdhsa_kernel _Z39paged_attention_ll4mi_QKV_mfma16_kernelI14__hip_bfloat16hLN4vllm18Fp8KVCacheDataTypeE1ES0_Li16ELi64ELi256ELb1ELi12EEvPKT_PKT0_S8_ifPKiSA_SA_iPKfiiiPfSD_PS3_PT2_iSC_SC_
		.amdhsa_group_segment_fixed_size 8192
		.amdhsa_private_segment_fixed_size 0
		.amdhsa_kernarg_size 400
		.amdhsa_user_sgpr_count 2
		.amdhsa_user_sgpr_dispatch_ptr 0
		.amdhsa_user_sgpr_queue_ptr 0
		.amdhsa_user_sgpr_kernarg_segment_ptr 1
		.amdhsa_user_sgpr_dispatch_id 0
		.amdhsa_user_sgpr_kernarg_preload_length 0
		.amdhsa_user_sgpr_kernarg_preload_offset 0
		.amdhsa_user_sgpr_private_segment_size 0
		.amdhsa_uses_dynamic_stack 0
		.amdhsa_enable_private_segment 0
		.amdhsa_system_sgpr_workgroup_id_x 1
		.amdhsa_system_sgpr_workgroup_id_y 1
		.amdhsa_system_sgpr_workgroup_id_z 1
		.amdhsa_system_sgpr_workgroup_info 0
		.amdhsa_system_vgpr_workitem_id 0
		.amdhsa_next_free_vgpr 67
		.amdhsa_next_free_sgpr 50
		.amdhsa_accum_offset 68
		.amdhsa_reserve_vcc 1
		.amdhsa_float_round_mode_32 0
		.amdhsa_float_round_mode_16_64 0
		.amdhsa_float_denorm_mode_32 3
		.amdhsa_float_denorm_mode_16_64 3
		.amdhsa_dx10_clamp 1
		.amdhsa_ieee_mode 1
		.amdhsa_fp16_overflow 0
		.amdhsa_tg_split 0
		.amdhsa_exception_fp_ieee_invalid_op 0
		.amdhsa_exception_fp_denorm_src 0
		.amdhsa_exception_fp_ieee_div_zero 0
		.amdhsa_exception_fp_ieee_overflow 0
		.amdhsa_exception_fp_ieee_underflow 0
		.amdhsa_exception_fp_ieee_inexact 0
		.amdhsa_exception_int_div_zero 0
	.end_amdhsa_kernel
	.section	.text._Z39paged_attention_ll4mi_QKV_mfma16_kernelI14__hip_bfloat16hLN4vllm18Fp8KVCacheDataTypeE1ES0_Li16ELi64ELi256ELb1ELi12EEvPKT_PKT0_S8_ifPKiSA_SA_iPKfiiiPfSD_PS3_PT2_iSC_SC_,"axG",@progbits,_Z39paged_attention_ll4mi_QKV_mfma16_kernelI14__hip_bfloat16hLN4vllm18Fp8KVCacheDataTypeE1ES0_Li16ELi64ELi256ELb1ELi12EEvPKT_PKT0_S8_ifPKiSA_SA_iPKfiiiPfSD_PS3_PT2_iSC_SC_,comdat
.Lfunc_end1139:
	.size	_Z39paged_attention_ll4mi_QKV_mfma16_kernelI14__hip_bfloat16hLN4vllm18Fp8KVCacheDataTypeE1ES0_Li16ELi64ELi256ELb1ELi12EEvPKT_PKT0_S8_ifPKiSA_SA_iPKfiiiPfSD_PS3_PT2_iSC_SC_, .Lfunc_end1139-_Z39paged_attention_ll4mi_QKV_mfma16_kernelI14__hip_bfloat16hLN4vllm18Fp8KVCacheDataTypeE1ES0_Li16ELi64ELi256ELb1ELi12EEvPKT_PKT0_S8_ifPKiSA_SA_iPKfiiiPfSD_PS3_PT2_iSC_SC_
                                        ; -- End function
	.section	.AMDGPU.csdata,"",@progbits
; Kernel info:
; codeLenInByte = 5124
; NumSgprs: 56
; NumVgprs: 67
; NumAgprs: 0
; TotalNumVgprs: 67
; ScratchSize: 0
; MemoryBound: 0
; FloatMode: 240
; IeeeMode: 1
; LDSByteSize: 8192 bytes/workgroup (compile time only)
; SGPRBlocks: 6
; VGPRBlocks: 8
; NumSGPRsForWavesPerEU: 56
; NumVGPRsForWavesPerEU: 67
; AccumOffset: 68
; Occupancy: 7
; WaveLimiterHint : 1
; COMPUTE_PGM_RSRC2:SCRATCH_EN: 0
; COMPUTE_PGM_RSRC2:USER_SGPR: 2
; COMPUTE_PGM_RSRC2:TRAP_HANDLER: 0
; COMPUTE_PGM_RSRC2:TGID_X_EN: 1
; COMPUTE_PGM_RSRC2:TGID_Y_EN: 1
; COMPUTE_PGM_RSRC2:TGID_Z_EN: 1
; COMPUTE_PGM_RSRC2:TIDIG_COMP_CNT: 0
; COMPUTE_PGM_RSRC3_GFX90A:ACCUM_OFFSET: 16
; COMPUTE_PGM_RSRC3_GFX90A:TG_SPLIT: 0
	.section	.text._Z39paged_attention_ll4mi_QKV_mfma16_kernelI14__hip_bfloat16hLN4vllm18Fp8KVCacheDataTypeE1ES0_Li16ELi64ELi256ELb1ELi13EEvPKT_PKT0_S8_ifPKiSA_SA_iPKfiiiPfSD_PS3_PT2_iSC_SC_,"axG",@progbits,_Z39paged_attention_ll4mi_QKV_mfma16_kernelI14__hip_bfloat16hLN4vllm18Fp8KVCacheDataTypeE1ES0_Li16ELi64ELi256ELb1ELi13EEvPKT_PKT0_S8_ifPKiSA_SA_iPKfiiiPfSD_PS3_PT2_iSC_SC_,comdat
	.protected	_Z39paged_attention_ll4mi_QKV_mfma16_kernelI14__hip_bfloat16hLN4vllm18Fp8KVCacheDataTypeE1ES0_Li16ELi64ELi256ELb1ELi13EEvPKT_PKT0_S8_ifPKiSA_SA_iPKfiiiPfSD_PS3_PT2_iSC_SC_ ; -- Begin function _Z39paged_attention_ll4mi_QKV_mfma16_kernelI14__hip_bfloat16hLN4vllm18Fp8KVCacheDataTypeE1ES0_Li16ELi64ELi256ELb1ELi13EEvPKT_PKT0_S8_ifPKiSA_SA_iPKfiiiPfSD_PS3_PT2_iSC_SC_
	.globl	_Z39paged_attention_ll4mi_QKV_mfma16_kernelI14__hip_bfloat16hLN4vllm18Fp8KVCacheDataTypeE1ES0_Li16ELi64ELi256ELb1ELi13EEvPKT_PKT0_S8_ifPKiSA_SA_iPKfiiiPfSD_PS3_PT2_iSC_SC_
	.p2align	8
	.type	_Z39paged_attention_ll4mi_QKV_mfma16_kernelI14__hip_bfloat16hLN4vllm18Fp8KVCacheDataTypeE1ES0_Li16ELi64ELi256ELb1ELi13EEvPKT_PKT0_S8_ifPKiSA_SA_iPKfiiiPfSD_PS3_PT2_iSC_SC_,@function
_Z39paged_attention_ll4mi_QKV_mfma16_kernelI14__hip_bfloat16hLN4vllm18Fp8KVCacheDataTypeE1ES0_Li16ELi64ELi256ELb1ELi13EEvPKT_PKT0_S8_ifPKiSA_SA_iPKfiiiPfSD_PS3_PT2_iSC_SC_: ; @_Z39paged_attention_ll4mi_QKV_mfma16_kernelI14__hip_bfloat16hLN4vllm18Fp8KVCacheDataTypeE1ES0_Li16ELi64ELi256ELb1ELi13EEvPKT_PKT0_S8_ifPKiSA_SA_iPKfiiiPfSD_PS3_PT2_iSC_SC_
; %bb.0:
	s_load_dwordx2 s[6:7], s[0:1], 0x30
	s_mov_b32 s28, s3
	s_mov_b64 s[8:9], 0
	s_waitcnt lgkmcnt(0)
	s_cmp_lg_u64 s[6:7], 0
	s_cselect_b64 s[10:11], -1, 0
	s_and_b64 vcc, exec, s[10:11]
	s_cbranch_vccz .LBB1140_7
; %bb.1:
	s_add_i32 s12, s2, 1
	s_mov_b32 s13, 0
	s_lshl_b64 s[14:15], s[12:13], 2
	s_add_u32 s14, s6, s14
	s_mov_b32 s3, s13
	s_addc_u32 s15, s7, s15
	s_lshl_b64 s[12:13], s[2:3], 2
	s_add_u32 s12, s6, s12
	s_addc_u32 s13, s7, s13
	s_load_dword s5, s[14:15], 0x0
	s_load_dword s16, s[12:13], 0x0
	s_waitcnt lgkmcnt(0)
	s_sub_i32 s5, s5, s16
	s_cmp_eq_u32 s5, 1
	s_cselect_b64 s[12:13], -1, 0
	s_andn2_b64 vcc, exec, s[8:9]
	s_cbranch_vccnz .LBB1140_3
.LBB1140_2:
	s_mov_b32 s3, 0
	s_mov_b64 s[12:13], -1
.LBB1140_3:
	s_andn2_b64 vcc, exec, s[12:13]
	s_cbranch_vccnz .LBB1140_20
; %bb.4:
	s_load_dwordx2 s[8:9], s[0:1], 0x28
	s_lshl_b64 s[12:13], s[2:3], 2
	s_waitcnt lgkmcnt(0)
	s_add_u32 s8, s8, s12
	s_addc_u32 s9, s9, s13
	s_load_dword s29, s[8:9], 0x0
	s_lshl_b32 s16, s28, 8
	s_waitcnt lgkmcnt(0)
	s_cmp_ge_i32 s16, s29
	s_cbranch_scc1 .LBB1140_20
; %bb.5:
	s_load_dwordx2 s[8:9], s[0:1], 0x20
	s_load_dword s5, s[0:1], 0x38
	s_add_i32 s14, s29, 15
	s_ashr_i32 s15, s14, 31
	v_and_b32_e32 v1, 0xcf, v0
	s_lshr_b32 s15, s15, 28
	v_add_u32_e32 v1, s16, v1
	s_add_i32 s14, s14, s15
	v_ashrrev_i32_e32 v2, 31, v1
	s_ashr_i32 s17, s14, 4
	v_lshrrev_b32_e32 v4, 28, v2
	s_add_i32 s17, s17, -1
	s_waitcnt lgkmcnt(0)
	s_mul_i32 s14, s2, s5
	s_mov_b32 s15, 0
	v_add_u32_e32 v2, v1, v4
	s_lshl_b64 s[14:15], s[14:15], 2
	v_ashrrev_i32_e32 v2, 4, v2
	v_mov_b32_e32 v5, s17
	v_cmp_gt_i32_e32 vcc, s29, v1
	s_add_u32 s8, s8, s14
	s_addc_u32 s9, s9, s15
	v_cndmask_b32_e32 v2, v5, v2, vcc
	v_ashrrev_i32_e32 v3, 31, v2
	v_lshl_add_u64 v[6:7], v[2:3], 2, s[8:9]
	v_or_b32_e32 v2, 16, v1
	v_add_u32_e32 v3, v2, v4
	v_ashrrev_i32_e32 v3, 4, v3
	v_cmp_gt_i32_e32 vcc, s29, v2
	s_load_dwordx2 s[14:15], s[0:1], 0x8
	s_nop 0
	v_cndmask_b32_e32 v2, v5, v3, vcc
	v_ashrrev_i32_e32 v3, 31, v2
	v_lshl_add_u64 v[8:9], v[2:3], 2, s[8:9]
	v_or_b32_e32 v2, 32, v1
	v_add_u32_e32 v3, v2, v4
	v_ashrrev_i32_e32 v3, 4, v3
	v_cmp_gt_i32_e32 vcc, s29, v2
	v_or_b32_e32 v1, 48, v1
	s_nop 0
	v_cndmask_b32_e32 v2, v5, v3, vcc
	v_ashrrev_i32_e32 v3, 31, v2
	v_lshl_add_u64 v[10:11], v[2:3], 2, s[8:9]
	v_add_u32_e32 v2, v1, v4
	v_ashrrev_i32_e32 v2, 4, v2
	v_cmp_gt_i32_e32 vcc, s29, v1
	s_nop 1
	v_cndmask_b32_e32 v2, v5, v2, vcc
	v_ashrrev_i32_e32 v3, 31, v2
	v_lshl_add_u64 v[12:13], v[2:3], 2, s[8:9]
	global_load_dword v5, v[6:7], off
	global_load_dword v4, v[8:9], off
	;; [unrolled: 1-line block ×4, first 2 shown]
	s_andn2_b64 vcc, exec, s[10:11]
	s_cbranch_vccnz .LBB1140_8
; %bb.6:
	s_add_u32 s6, s6, s12
	s_addc_u32 s7, s7, s13
	s_load_dword s5, s[6:7], 0x0
	s_branch .LBB1140_9
.LBB1140_7:
	s_mov_b64 s[12:13], 0
	s_branch .LBB1140_2
.LBB1140_8:
	s_mov_b32 s5, s2
.LBB1140_9:
	s_load_dwordx2 s[6:7], s[0:1], 0x10
	s_load_dwordx4 s[44:47], s[0:1], 0x48
	v_lshrrev_b32_e32 v29, 6, v0
	v_bfe_u32 v42, v0, 4, 2
	v_lshl_or_b32 v6, v29, 2, v42
	v_and_b32_e32 v28, 15, v0
	v_lshlrev_b32_e32 v1, 3, v28
	v_cmp_gt_u32_e32 vcc, 13, v6
	v_cmp_gt_u32_e64 s[30:31], 8, v28
	s_mul_i32 s48, s4, 13
	s_and_b64 s[12:13], s[30:31], vcc
	v_lshlrev_b32_e32 v26, 1, v1
	v_lshlrev_b32_e32 v1, 4, v0
	s_and_saveexec_b64 s[10:11], s[12:13]
	s_cbranch_execz .LBB1140_11
; %bb.10:
	s_load_dwordx2 s[12:13], s[0:1], 0x0
	s_waitcnt lgkmcnt(0)
	s_ashr_i32 s18, s44, 31
	s_mul_hi_u32 s19, s5, s44
	s_mul_i32 s18, s5, s18
	s_add_i32 s19, s19, s18
	s_mul_i32 s18, s5, s44
	s_lshl_b64 s[18:19], s[18:19], 1
	s_add_u32 s12, s12, s18
	v_add_lshl_u32 v8, v6, s48, 6
	s_addc_u32 s13, s13, s19
	v_ashrrev_i32_e32 v9, 31, v8
	v_lshl_add_u64 v[8:9], v[8:9], 1, s[12:13]
	v_mov_b32_e32 v27, 0
	v_lshl_add_u64 v[8:9], v[8:9], 0, v[26:27]
	global_load_dwordx4 v[8:11], v[8:9], off
	v_lshlrev_b32_e32 v12, 8, v28
	v_lshlrev_b32_e32 v6, 5, v6
	v_and_b32_e32 v7, 16, v1
	v_and_b32_e32 v12, 0xe00, v12
	v_or3_b32 v6, v12, v6, v7
	s_waitcnt vmcnt(0)
	ds_write_b128 v6, v[8:11]
.LBB1140_11:
	s_or_b64 exec, exec, s[10:11]
	s_waitcnt lgkmcnt(0)
	s_mul_i32 s10, s4, s46
	s_add_u32 s4, s14, s10
	s_addc_u32 s5, s15, 0
	v_and_b32_e32 v32, 48, v0
	v_and_b32_e32 v30, 0xf0, v1
	v_mov_b32_e32 v31, 0
	v_lshl_add_u64 v[6:7], s[4:5], 0, v[30:31]
	v_lshlrev_b32_e32 v30, 4, v32
	v_lshl_add_u64 v[6:7], v[6:7], 0, v[30:31]
	s_waitcnt vmcnt(3)
	v_mad_i64_i32 v[8:9], s[4:5], v5, s45, v[6:7]
	s_waitcnt vmcnt(2)
	v_mad_i64_i32 v[4:5], s[4:5], v4, s45, v[6:7]
	s_barrier
	global_load_dwordx4 v[22:25], v[8:9], off
	global_load_dwordx4 v[18:21], v[4:5], off
	s_waitcnt vmcnt(3)
	v_mad_i64_i32 v[4:5], s[4:5], v3, s45, v[6:7]
	s_waitcnt vmcnt(2)
	v_mad_i64_i32 v[2:3], s[4:5], v2, s45, v[6:7]
	global_load_dwordx4 v[14:17], v[4:5], off
	global_load_dwordx4 v[6:9], v[2:3], off
	v_add_u32_e32 v2, -13, v28
	v_cmp_gt_u32_e32 vcc, 13, v28
	v_and_b32_e32 v27, 63, v0
	v_mov_b32_e32 v43, 0
	v_cndmask_b32_e32 v2, v2, v28, vcc
	v_lshlrev_b32_e32 v2, 5, v2
	v_lshl_add_u32 v2, v42, 9, v2
	ds_read_b128 v[10:13], v2
	ds_read_b128 v[2:5], v2 offset:16
	s_and_saveexec_b64 s[4:5], vcc
	s_cbranch_execz .LBB1140_13
; %bb.12:
	s_load_dwordx2 s[12:13], s[0:1], 0x40
	v_add_u32_e32 v34, s48, v28
	v_ashrrev_i32_e32 v35, 31, v34
	s_waitcnt lgkmcnt(0)
	v_lshl_add_u64 v[34:35], v[34:35], 2, s[12:13]
	global_load_dword v43, v[34:35], off
.LBB1140_13:
	s_or_b64 exec, exec, s[4:5]
	v_or_b32_e32 v62, s16, v32
	v_ashrrev_i32_e32 v30, 4, v62
	v_mov_b32_e32 v63, s17
	v_cmp_gt_i32_e32 vcc, s29, v62
	s_waitcnt vmcnt(2)
	v_cvt_pk_f32_fp8_e32 v[52:53], v20
	v_cvt_pk_f32_fp8_sdwa v[54:55], v20 src0_sel:WORD_1
	v_cndmask_b32_e32 v20, v63, v30, vcc
	v_cvt_pk_f32_fp8_e32 v[56:57], v21
	v_cvt_pk_f32_fp8_sdwa v[58:59], v21 src0_sel:WORD_1
	v_ashrrev_i32_e32 v21, 31, v20
	v_cvt_pk_f32_fp8_e32 v[40:41], v22
	v_cvt_pk_f32_fp8_sdwa v[44:45], v22 src0_sel:WORD_1
	v_lshl_add_u64 v[20:21], v[20:21], 2, s[8:9]
	v_cvt_pk_f32_fp8_e32 v[46:47], v18
	v_cvt_pk_f32_fp8_sdwa v[48:49], v18 src0_sel:WORD_1
	global_load_dword v64, v[20:21], off
	s_mov_b32 s33, 0x7060302
	v_cvt_pk_f32_fp8_e32 v[32:33], v23
	v_cvt_pk_f32_fp8_sdwa v[34:35], v23 src0_sel:WORD_1
	v_perm_b32 v20, v41, v40, s33
	v_perm_b32 v21, v45, v44, s33
	v_cvt_pk_f32_fp8_e32 v[38:39], v24
	v_cvt_pk_f32_fp8_sdwa v[36:37], v24 src0_sel:WORD_1
	v_cvt_pk_f32_fp8_e32 v[50:51], v19
	v_cvt_pk_f32_fp8_sdwa v[18:19], v19 src0_sel:WORD_1
	v_perm_b32 v44, v47, v46, s33
	v_perm_b32 v45, v49, v48, s33
	v_cvt_pk_f32_fp8_e32 v[22:23], v25
	s_waitcnt vmcnt(2)
	v_cvt_pk_f32_fp8_e32 v[40:41], v14
	v_cvt_pk_f32_fp8_sdwa v[46:47], v14 src0_sel:WORD_1
	v_perm_b32 v48, v33, v32, s33
	v_perm_b32 v49, v35, v34, s33
	v_or_b32_e32 v14, 64, v62
	v_or_b32_e32 v32, 0xc0, v62
	v_cvt_pk_f32_fp8_sdwa v[24:25], v25 src0_sel:WORD_1
	s_load_dword s11, s[0:1], 0x1c
	s_load_dwordx4 s[40:43], s[0:1], 0x80
	v_perm_b32 v38, v39, v38, s33
	v_perm_b32 v39, v37, v36, s33
	v_or_b32_e32 v65, 0x80, v62
	v_ashrrev_i32_e32 v62, 4, v14
	v_cmp_gt_i32_e32 vcc, s29, v32
	v_ashrrev_i32_e32 v66, 4, v32
	v_cmp_gt_i32_e64 s[4:5], s29, v14
	v_perm_b32 v36, v51, v50, s33
	v_perm_b32 v37, v19, v18, s33
	s_waitcnt lgkmcnt(0)
	v_mfma_f32_16x16x16_bf16 v[32:35], v[20:21], v[10:11], 0
	s_add_u32 s6, s6, s10
	v_lshlrev_b32_e32 v30, 4, v28
	v_cndmask_b32_e64 v50, v63, v62, s[4:5]
	v_perm_b32 v62, v23, v22, s33
	v_mfma_f32_16x16x16_bf16 v[20:23], v[44:45], v[10:11], 0
	v_lshl_or_b32 v30, v29, 8, v30
	s_addc_u32 s7, s7, 0
	v_ashrrev_i32_e32 v14, 4, v65
	v_lshl_add_u64 v[18:19], s[6:7], 0, v[30:31]
	v_cmp_gt_i32_e64 s[6:7], s29, v65
	v_mfma_f32_16x16x16_bf16 v[30:33], v[48:49], v[12:13], v[32:35]
	v_cndmask_b32_e32 v48, v63, v66, vcc
	s_load_dword s4, s[40:41], 0x0
	v_cvt_pk_f32_fp8_e32 v[60:61], v15
	v_cndmask_b32_e64 v34, v63, v14, s[6:7]
	v_perm_b32 v63, v25, v24, s33
	v_perm_b32 v24, v53, v52, s33
	;; [unrolled: 1-line block ×3, first 2 shown]
	v_mfma_f32_16x16x16_bf16 v[20:23], v[36:37], v[12:13], v[20:23]
	v_perm_b32 v40, v41, v40, s33
	v_perm_b32 v41, v47, v46, s33
	v_ashrrev_i32_e32 v51, 31, v50
	v_mfma_f32_16x16x16_bf16 v[20:23], v[24:25], v[2:3], v[20:23]
	v_mov_b32_e32 v24, s11
	s_waitcnt lgkmcnt(0)
	v_mul_f32_e32 v54, s4, v24
	v_cvt_pk_f32_fp8_sdwa v[24:25], v15 src0_sel:WORD_1
	v_mfma_f32_16x16x16_bf16 v[30:33], v[38:39], v[2:3], v[30:33]
	v_ashrrev_i32_e32 v35, 31, v34
	v_ashrrev_i32_e32 v49, 31, v48
	v_lshl_add_u64 v[36:37], v[50:51], 2, s[8:9]
	v_lshl_add_u64 v[34:35], v[34:35], 2, s[8:9]
	;; [unrolled: 1-line block ×3, first 2 shown]
	global_load_dword v14, v[36:37], off
	global_load_dword v44, v[34:35], off
	;; [unrolled: 1-line block ×3, first 2 shown]
	v_perm_b32 v46, v61, v60, s33
	v_cvt_pk_f32_fp8_e32 v[48:49], v16
	v_cvt_pk_f32_fp8_sdwa v[50:51], v16 src0_sel:WORD_1
	v_perm_b32 v47, v25, v24, s33
	v_mfma_f32_16x16x16_bf16 v[36:39], v[62:63], v[4:5], v[30:33]
	v_perm_b32 v24, v49, v48, s33
	v_perm_b32 v25, v51, v50, s33
	;; [unrolled: 1-line block ×3, first 2 shown]
	v_mfma_f32_16x16x16_bf16 v[30:33], v[40:41], v[10:11], 0
	v_cvt_pk_f32_fp8_e32 v[40:41], v17
	v_cvt_pk_f32_fp8_sdwa v[16:17], v17 src0_sel:WORD_1
	v_perm_b32 v53, v59, v58, s33
	v_mfma_f32_16x16x16_bf16 v[46:49], v[46:47], v[12:13], v[30:33]
	s_mov_b32 s44, 0xff7fffff
	s_waitcnt vmcnt(3)
	v_mad_i64_i32 v[34:35], s[4:5], v64, s45, v[18:19]
	v_perm_b32 v32, v41, v40, s33
	v_perm_b32 v33, v17, v16, s33
	v_mfma_f32_16x16x16_bf16 v[46:49], v[24:25], v[2:3], v[46:49]
	v_cvt_pk_f32_fp8_e32 v[16:17], v6
	v_cvt_pk_f32_fp8_sdwa v[24:25], v6 src0_sel:WORD_1
	v_pk_mul_f32 v[30:31], v[54:55], v[38:39] op_sel_hi:[0,1]
	v_mfma_f32_16x16x16_bf16 v[46:49], v[32:33], v[4:5], v[46:49]
	v_cvt_pk_f32_fp8_e32 v[32:33], v7
	v_perm_b32 v16, v17, v16, s33
	v_perm_b32 v17, v25, v24, s33
	v_cvt_pk_f32_fp8_sdwa v[6:7], v7 src0_sel:WORD_1
	v_pk_mul_f32 v[38:39], v[54:55], v[36:37] op_sel_hi:[0,1]
	v_perm_b32 v24, v33, v32, s33
	v_cvt_pk_f32_fp8_e32 v[32:33], v8
	v_cvt_pk_f32_fp8_sdwa v[36:37], v8 src0_sel:WORD_1
	v_perm_b32 v25, v7, v6, s33
	v_mfma_f32_16x16x16_bf16 v[20:23], v[52:53], v[4:5], v[20:23]
	v_mfma_f32_16x16x16_bf16 v[50:53], v[16:17], v[10:11], 0
	v_perm_b32 v10, v33, v32, s33
	v_perm_b32 v11, v37, v36, s33
	v_cvt_pk_f32_fp8_e32 v[16:17], v9
	v_cvt_pk_f32_fp8_sdwa v[32:33], v9 src0_sel:WORD_1
	v_mfma_f32_16x16x16_bf16 v[6:9], v[24:25], v[12:13], v[50:53]
	s_nop 0
	v_pk_mul_f32 v[36:37], v[54:55], v[22:23] op_sel_hi:[0,1]
	v_perm_b32 v12, v17, v16, s33
	v_perm_b32 v13, v33, v32, s33
	v_mfma_f32_16x16x16_bf16 v[6:9], v[10:11], v[2:3], v[6:9]
	v_pk_mul_f32 v[40:41], v[54:55], v[20:21] op_sel_hi:[0,1]
	v_pk_mul_f32 v[24:25], v[54:55], v[48:49] op_sel_hi:[0,1]
	;; [unrolled: 1-line block ×3, first 2 shown]
	v_mfma_f32_16x16x16_bf16 v[2:5], v[12:13], v[4:5], v[6:9]
	s_nop 6
	v_pk_mul_f32 v[22:23], v[54:55], v[2:3] op_sel_hi:[0,1]
	v_and_b32_e32 v2, 0xc0, v0
	v_add_u32_e32 v2, s16, v2
	v_lshl_or_b32 v2, v42, 2, v2
	v_or_b32_e32 v3, 1, v2
	v_pk_mul_f32 v[20:21], v[54:55], v[4:5] op_sel_hi:[0,1]
	v_subrev_u32_e32 v4, s29, v3
	v_add_u32_e32 v6, 1, v4
	v_add_u32_e32 v7, 2, v4
	;; [unrolled: 1-line block ×3, first 2 shown]
	v_cvt_f32_i32_e32 v6, v6
	v_cvt_f32_i32_e32 v7, v7
	;; [unrolled: 1-line block ×3, first 2 shown]
	v_add_u32_e32 v9, 19, v4
	v_fmac_f32_e32 v39, v43, v6
	v_fma_f32 v30, v43, v7, v30
	v_fmac_f32_e32 v31, v43, v8
	v_add_u32_e32 v6, 16, v4
	v_add_u32_e32 v7, 17, v4
	;; [unrolled: 1-line block ×3, first 2 shown]
	v_cvt_f32_i32_e32 v6, v6
	v_cvt_f32_i32_e32 v7, v7
	;; [unrolled: 1-line block ×4, first 2 shown]
	v_fma_f32 v40, v43, v6, v40
	v_fmac_f32_e32 v41, v43, v7
	v_fma_f32 v36, v43, v8, v36
	v_add_u32_e32 v6, 32, v4
	v_add_u32_e32 v7, 33, v4
	;; [unrolled: 1-line block ×3, first 2 shown]
	v_cvt_f32_i32_e32 v6, v6
	v_cvt_f32_i32_e32 v7, v7
	;; [unrolled: 1-line block ×4, first 2 shown]
	v_fmac_f32_e32 v37, v43, v9
	v_add_u32_e32 v9, 35, v4
	v_fma_f32 v32, v43, v6, v32
	v_fmac_f32_e32 v33, v43, v7
	v_fma_f32 v24, v43, v8, v24
	v_add_u32_e32 v6, 48, v4
	v_add_u32_e32 v7, 49, v4
	;; [unrolled: 1-line block ×4, first 2 shown]
	v_cvt_f32_i32_e32 v4, v4
	v_cvt_f32_i32_e32 v6, v6
	;; [unrolled: 1-line block ×3, first 2 shown]
	v_fma_f32 v5, v43, v5, v38
	v_fmac_f32_e32 v21, v43, v4
	v_mov_b32_e32 v4, 0xff7fffff
	v_cmp_gt_i32_e64 s[4:5], s29, v2
	v_cmp_gt_i32_e64 s[34:35], s29, v3
	v_fma_f32 v22, v43, v6, v22
	v_cndmask_b32_e64 v6, v4, v5, s[4:5]
	v_cndmask_b32_e64 v3, v4, v39, s[34:35]
	v_fmac_f32_e32 v23, v43, v7
	v_max3_f32 v3, v6, s44, v3
	v_or_b32_e32 v6, 2, v2
	v_or_b32_e32 v7, 3, v2
	v_cmp_gt_i32_e64 s[36:37], s29, v6
	v_cmp_gt_i32_e64 s[38:39], s29, v7
	v_cvt_f32_i32_e32 v9, v9
	v_cndmask_b32_e64 v6, v4, v30, s[36:37]
	v_cndmask_b32_e64 v7, v4, v31, s[38:39]
	v_max3_f32 v3, v3, v6, v7
	v_or_b32_e32 v6, 16, v2
	v_or_b32_e32 v7, 17, v2
	v_cmp_gt_i32_e64 s[24:25], s29, v6
	v_cmp_gt_i32_e64 s[26:27], s29, v7
	v_fmac_f32_e32 v25, v43, v9
	v_cndmask_b32_e64 v6, v4, v40, s[24:25]
	v_cndmask_b32_e64 v7, v4, v41, s[26:27]
	v_max3_f32 v3, v3, v6, v7
	v_or_b32_e32 v6, 18, v2
	v_or_b32_e32 v7, 19, v2
	v_cmp_gt_i32_e64 s[20:21], s29, v6
	v_cmp_gt_i32_e64 s[22:23], s29, v7
	v_cvt_f32_i32_e32 v8, v8
	v_cndmask_b32_e64 v6, v4, v36, s[20:21]
	v_cndmask_b32_e64 v7, v4, v37, s[22:23]
	v_max3_f32 v3, v3, v6, v7
	v_or_b32_e32 v6, 32, v2
	v_or_b32_e32 v7, 33, v2
	v_cmp_gt_i32_e64 s[16:17], s29, v6
	v_cmp_gt_i32_e64 s[18:19], s29, v7
	v_fma_f32 v20, v43, v8, v20
	v_cndmask_b32_e64 v6, v4, v32, s[16:17]
	v_cndmask_b32_e64 v7, v4, v33, s[18:19]
	v_max3_f32 v3, v3, v6, v7
	v_or_b32_e32 v6, 34, v2
	v_or_b32_e32 v7, 35, v2
	v_cmp_gt_i32_e64 s[12:13], s29, v6
	v_cmp_gt_i32_e64 s[14:15], s29, v7
	s_nop 0
	v_cndmask_b32_e64 v6, v4, v24, s[12:13]
	v_cndmask_b32_e64 v7, v4, v25, s[14:15]
	v_max3_f32 v3, v3, v6, v7
	v_or_b32_e32 v6, 48, v2
	v_or_b32_e32 v7, 49, v2
	v_cmp_gt_i32_e64 s[8:9], s29, v6
	v_cmp_gt_i32_e64 s[10:11], s29, v7
	s_nop 0
	v_cndmask_b32_e64 v6, v4, v22, s[8:9]
	v_cndmask_b32_e64 v7, v4, v23, s[10:11]
	v_max3_f32 v3, v3, v6, v7
	v_or_b32_e32 v6, 50, v2
	v_or_b32_e32 v2, 51, v2
	v_cmp_gt_i32_e32 vcc, s29, v6
	v_cmp_gt_i32_e64 s[6:7], s29, v2
	s_nop 0
	v_cndmask_b32_e32 v6, v4, v20, vcc
	v_cndmask_b32_e64 v2, v4, v21, s[6:7]
	v_max3_f32 v4, v3, v6, v2
	v_mbcnt_lo_u32_b32 v2, -1, 0
	v_mbcnt_hi_u32_b32 v6, -1, v2
	v_and_b32_e32 v2, 64, v6
	v_add_u32_e32 v7, 64, v2
	v_xor_b32_e32 v2, 32, v6
	v_cmp_lt_i32_e64 s[40:41], v2, v7
	s_nop 1
	v_cndmask_b32_e64 v2, v6, v2, s[40:41]
	v_lshlrev_b32_e32 v43, 2, v2
	ds_bpermute_b32 v8, v43, v4
	s_waitcnt vmcnt(2)
	v_mad_i64_i32 v[2:3], s[40:41], v14, s45, v[18:19]
	global_load_dwordx4 v[14:17], v[34:35], off
	global_load_dwordx4 v[10:13], v[2:3], off
	v_xor_b32_e32 v3, 16, v6
	v_cmp_lt_i32_e64 s[40:41], v3, v7
	s_waitcnt lgkmcnt(0)
	v_max_f32_e32 v2, v8, v8
	v_max_f32_e32 v2, v4, v2
	v_cndmask_b32_e64 v3, v6, v3, s[40:41]
	v_lshlrev_b32_e32 v46, 2, v3
	ds_bpermute_b32 v3, v46, v2
	s_waitcnt vmcnt(3)
	v_mad_i64_i32 v[34:35], s[40:41], v44, s45, v[18:19]
	s_waitcnt vmcnt(2)
	v_mad_i64_i32 v[18:19], s[40:41], v45, s45, v[18:19]
	s_waitcnt lgkmcnt(0)
	v_max_f32_e32 v3, v3, v3
	v_max_f32_e32 v38, v2, v3
	v_sub_f32_e32 v2, v5, v38
	v_mul_f32_e32 v2, 0x3fb8aa3b, v2
	v_exp_f32_e32 v44, v2
	v_sub_f32_e32 v2, v39, v38
	v_mul_f32_e32 v2, 0x3fb8aa3b, v2
	v_exp_f32_e32 v39, v2
	global_load_dwordx4 v[6:9], v[34:35], off
	global_load_dwordx4 v[2:5], v[18:19], off
	v_sub_f32_e32 v30, v30, v38
	v_mul_f32_e32 v30, 0x3fb8aa3b, v30
	v_sub_f32_e32 v31, v31, v38
	v_exp_f32_e32 v30, v30
	v_mul_f32_e32 v31, 0x3fb8aa3b, v31
	v_exp_f32_e32 v31, v31
	v_cndmask_b32_e64 v18, 0, v44, s[4:5]
	v_add_f32_e32 v34, 0, v18
	v_cndmask_b32_e64 v19, 0, v39, s[34:35]
	v_add_f32_e32 v35, v34, v19
	;; [unrolled: 2-line block ×3, first 2 shown]
	v_cndmask_b32_e64 v35, 0, v31, s[38:39]
	v_sub_f32_e32 v31, v40, v38
	v_mul_f32_e32 v31, 0x3fb8aa3b, v31
	v_sub_f32_e32 v39, v41, v38
	v_exp_f32_e32 v31, v31
	v_mul_f32_e32 v39, 0x3fb8aa3b, v39
	v_sub_f32_e32 v36, v36, v38
	v_exp_f32_e32 v39, v39
	;; [unrolled: 3-line block ×4, first 2 shown]
	v_mul_f32_e32 v32, 0x3fb8aa3b, v32
	v_sub_f32_e32 v33, v33, v38
	v_add_f32_e32 v40, v30, v35
	v_cndmask_b32_e64 v30, 0, v31, s[24:25]
	v_exp_f32_e32 v32, v32
	v_mul_f32_e32 v33, 0x3fb8aa3b, v33
	v_sub_f32_e32 v24, v24, v38
	v_add_f32_e32 v40, v40, v30
	v_cndmask_b32_e64 v31, 0, v39, s[26:27]
	v_exp_f32_e32 v33, v33
	;; [unrolled: 5-line block ×7, first 2 shown]
	v_mul_f32_e32 v21, 0x3fb8aa3b, v21
	v_add_f32_e32 v39, v39, v24
	v_cndmask_b32_e64 v25, 0, v25, s[14:15]
	v_exp_f32_e32 v21, v21
	v_add_f32_e32 v39, v39, v25
	v_cndmask_b32_e64 v22, 0, v22, s[8:9]
	v_add_f32_e32 v39, v39, v22
	v_cndmask_b32_e64 v23, 0, v23, s[10:11]
	v_add_f32_e32 v39, v39, v23
	v_cndmask_b32_e32 v20, 0, v20, vcc
	v_add_f32_e32 v39, v39, v20
	v_cndmask_b32_e64 v21, 0, v21, s[6:7]
	v_add_f32_e32 v39, v39, v21
	ds_bpermute_b32 v40, v43, v39
	s_load_dword s9, s[0:1], 0x98
	v_cmp_gt_u32_e64 s[6:7], 16, v27
	s_waitcnt lgkmcnt(0)
	s_barrier
	v_add_f32_e32 v40, v39, v40
	ds_bpermute_b32 v41, v46, v40
	v_lshlrev_b32_e32 v39, 2, v28
	s_waitcnt lgkmcnt(0)
	s_and_saveexec_b64 s[4:5], s[6:7]
	s_cbranch_execz .LBB1140_15
; %bb.14:
	v_add_f32_e32 v27, v40, v41
	v_lshl_or_b32 v40, v29, 6, v39
	ds_write2st64_b32 v40, v38, v27 offset1:1
.LBB1140_15:
	s_or_b64 exec, exec, s[4:5]
	s_load_dword s8, s[0:1], 0x94
	s_waitcnt lgkmcnt(0)
	s_barrier
	ds_read2_b32 v[40:41], v39 offset1:16
	ds_read2_b32 v[44:45], v39 offset0:32 offset1:48
	ds_read2_b32 v[46:47], v39 offset0:64 offset1:80
	s_movk_i32 s10, 0x7fff
	s_mul_i32 s9, s9, 13
	s_waitcnt lgkmcnt(2)
	v_max3_f32 v27, v40, s44, v41
	s_waitcnt lgkmcnt(1)
	v_max3_f32 v27, v27, v44, v45
	v_sub_f32_e32 v38, v40, v27
	v_mul_f32_e32 v38, 0x3fb8aa3b, v38
	v_exp_f32_e32 v43, v38
	v_sub_f32_e32 v38, v41, v27
	v_mul_f32_e32 v38, 0x3fb8aa3b, v38
	v_exp_f32_e32 v48, v38
	;; [unrolled: 3-line block ×3, first 2 shown]
	ds_read2_b32 v[40:41], v39 offset0:96 offset1:112
	v_sub_f32_e32 v38, v45, v27
	v_mul_f32_e32 v38, 0x3fb8aa3b, v38
	v_exp_f32_e32 v39, v38
	s_waitcnt lgkmcnt(1)
	v_fma_f32 v38, v43, v46, 0
	v_fmac_f32_e32 v38, v48, v47
	s_waitcnt lgkmcnt(0)
	v_fmac_f32_e32 v38, v44, v40
	v_fmac_f32_e32 v38, v39, v41
	v_add_f32_e32 v40, 0x358637bd, v38
	v_div_scale_f32 v41, s[4:5], v40, v40, 1.0
	v_rcp_f32_e32 v45, v41
	s_barrier
	v_fma_f32 v46, -v41, v45, 1.0
	v_fmac_f32_e32 v45, v46, v45
	v_div_scale_f32 v46, vcc, 1.0, v40, 1.0
	v_mul_f32_e32 v47, v46, v45
	v_fma_f32 v49, -v41, v47, v46
	v_fmac_f32_e32 v47, v49, v45
	v_fma_f32 v41, -v41, v47, v46
	v_div_fmas_f32 v41, v41, v45, v47
	v_cmp_eq_u32_e32 vcc, 1, v29
	v_div_fixup_f32 v40, v41, v40, 1.0
	s_nop 0
	v_cndmask_b32_e32 v41, v43, v48, vcc
	v_cmp_eq_u32_e32 vcc, 2, v29
	s_nop 1
	v_cndmask_b32_e32 v41, v41, v44, vcc
	v_cmp_eq_u32_e32 vcc, 3, v29
	v_lshlrev_b32_e32 v29, 11, v29
	s_nop 0
	v_cndmask_b32_e32 v39, v41, v39, vcc
	v_mul_f32_e32 v40, v39, v40
	v_pk_mul_f32 v[18:19], v[40:41], v[18:19] op_sel_hi:[0,1]
	v_pk_mul_f32 v[34:35], v[40:41], v[34:35] op_sel_hi:[0,1]
	v_bfe_u32 v39, v19, 16, 1
	v_bfe_u32 v41, v18, 16, 1
	v_add3_u32 v18, v18, v41, s10
	v_add3_u32 v19, v19, v39, s10
	v_perm_b32 v44, v19, v18, s33
	v_bfe_u32 v18, v35, 16, 1
	v_bfe_u32 v19, v34, 16, 1
	v_add3_u32 v19, v34, v19, s10
	v_add3_u32 v18, v35, v18, s10
	v_perm_b32 v45, v18, v19, s33
	v_lshlrev_b32_e32 v18, 3, v42
	v_lshlrev_b32_e32 v19, 5, v28
	v_pk_mul_f32 v[30:31], v[40:41], v[30:31] op_sel_hi:[0,1]
	v_or3_b32 v18, v29, v19, v18
	v_pk_mul_f32 v[34:35], v[40:41], v[36:37] op_sel_hi:[0,1]
	v_bfe_u32 v29, v31, 16, 1
	v_bfe_u32 v36, v30, 16, 1
	v_add3_u32 v30, v30, v36, s10
	v_add3_u32 v29, v31, v29, s10
	v_perm_b32 v30, v29, v30, s33
	v_bfe_u32 v29, v35, 16, 1
	v_bfe_u32 v31, v34, 16, 1
	v_add3_u32 v31, v34, v31, s10
	v_add3_u32 v29, v35, v29, s10
	v_perm_b32 v31, v29, v31, s33
	ds_write2st64_b64 v18, v[44:45], v[30:31] offset1:1
	v_pk_mul_f32 v[30:31], v[40:41], v[32:33] op_sel_hi:[0,1]
	v_bfe_u32 v29, v31, 16, 1
	v_bfe_u32 v32, v30, 16, 1
	v_pk_mul_f32 v[24:25], v[40:41], v[24:25] op_sel_hi:[0,1]
	v_add3_u32 v30, v30, v32, s10
	v_add3_u32 v29, v31, v29, s10
	v_perm_b32 v30, v29, v30, s33
	v_bfe_u32 v29, v25, 16, 1
	v_bfe_u32 v31, v24, 16, 1
	v_add3_u32 v24, v24, v31, s10
	v_add3_u32 v25, v25, v29, s10
	v_pk_mul_f32 v[22:23], v[40:41], v[22:23] op_sel_hi:[0,1]
	v_perm_b32 v31, v25, v24, s33
	v_bfe_u32 v24, v23, 16, 1
	v_bfe_u32 v25, v22, 16, 1
	v_pk_mul_f32 v[20:21], v[40:41], v[20:21] op_sel_hi:[0,1]
	v_add3_u32 v22, v22, v25, s10
	v_add3_u32 v23, v23, v24, s10
	v_perm_b32 v22, v23, v22, s33
	v_bfe_u32 v23, v21, 16, 1
	v_bfe_u32 v24, v20, 16, 1
	v_add3_u32 v20, v20, v24, s10
	v_add3_u32 v21, v21, v23, s10
	v_perm_b32 v23, v21, v20, s33
	v_cmp_gt_u32_e32 vcc, 13, v0
	ds_write2st64_b64 v18, v[30:31], v[22:23] offset0:2 offset1:3
	s_and_saveexec_b64 s[4:5], vcc
	s_cbranch_execz .LBB1140_17
; %bb.16:
	s_mov_b32 s49, 0
	v_mov_b32_e32 v29, 0
	v_lshl_add_u64 v[20:21], s[48:49], 0, v[28:29]
	v_mov_b32_e32 v22, s9
	v_mad_u64_u32 v[20:21], s[16:17], s2, v22, v[20:21]
	s_mul_i32 s3, s3, s9
	v_mov_b32_e32 v28, s28
	s_load_dwordx4 s[12:15], s[0:1], 0x58
	v_add_u32_e32 v23, s3, v21
	v_mad_u64_u32 v[20:21], s[16:17], v20, s8, v[28:29]
	v_mov_b32_e32 v22, v21
	v_mad_u64_u32 v[22:23], s[16:17], v23, s8, v[22:23]
	v_mov_b32_e32 v21, v22
	v_lshlrev_b64 v[20:21], 2, v[20:21]
	s_waitcnt lgkmcnt(0)
	v_lshl_add_u64 v[22:23], s[14:15], 0, v[20:21]
	v_lshl_add_u64 v[20:21], s[12:13], 0, v[20:21]
	global_store_dword v[22:23], v27, off
	global_store_dword v[20:21], v38, off
.LBB1140_17:
	s_or_b64 exec, exec, s[4:5]
	s_waitcnt vmcnt(3)
	v_cvt_pk_f32_fp8_e32 v[20:21], v14
	v_cvt_pk_f32_fp8_sdwa v[22:23], v14 src0_sel:WORD_1
	s_mov_b32 s4, 0x7060302
	v_lshl_or_b32 v14, v42, 9, v19
	s_waitcnt lgkmcnt(0)
	s_barrier
	v_perm_b32 v24, v21, v20, s4
	v_perm_b32 v25, v23, v22, s4
	v_cvt_pk_f32_fp8_e32 v[28:29], v15
	ds_read_b128 v[20:23], v14
	v_cvt_pk_f32_fp8_sdwa v[36:37], v15 src0_sel:WORD_1
	s_load_dword s12, s[42:43], 0x0
	v_perm_b32 v38, v29, v28, s4
	ds_read_b128 v[28:31], v14 offset:16
	v_perm_b32 v39, v37, v36, s4
	s_waitcnt lgkmcnt(0)
	v_mfma_f32_16x16x16_bf16 v[32:35], v[24:25], v[20:21], 0
	v_cvt_pk_f32_fp8_e32 v[24:25], v16
	v_cvt_pk_f32_fp8_sdwa v[36:37], v16 src0_sel:WORD_1
	v_cmp_gt_u32_e32 vcc, 64, v0
	v_mfma_f32_16x16x16_bf16 v[20:23], v[38:39], v[22:23], v[32:35]
	v_perm_b32 v24, v25, v24, s4
	v_perm_b32 v25, v37, v36, s4
	s_mov_b32 s3, 0
	v_cvt_pk_f32_fp8_e32 v[32:33], v17
	v_cvt_pk_f32_fp8_sdwa v[16:17], v17 src0_sel:WORD_1
	s_waitcnt vmcnt(2)
	v_cvt_pk_f32_fp8_sdwa v[34:35], v10 src0_sel:WORD_1
	v_mfma_f32_16x16x16_bf16 v[20:23], v[24:25], v[28:29], v[20:23]
	v_perm_b32 v36, v33, v32, s4
	v_cvt_pk_f32_fp8_e32 v[32:33], v10
	v_perm_b32 v37, v17, v16, s4
	v_perm_b32 v17, v35, v34, s4
	v_cvt_pk_f32_fp8_e32 v[24:25], v11
	v_perm_b32 v16, v33, v32, s4
	ds_read_b128 v[32:35], v14 offset:2048
	v_cvt_pk_f32_fp8_sdwa v[10:11], v11 src0_sel:WORD_1
	v_mfma_f32_16x16x16_bf16 v[20:23], v[36:37], v[30:31], v[20:23]
	ds_read_b128 v[28:31], v14 offset:2064
	v_perm_b32 v24, v25, v24, s4
	v_perm_b32 v25, v11, v10, s4
	s_waitcnt lgkmcnt(1)
	v_mfma_f32_16x16x16_bf16 v[20:23], v[16:17], v[32:33], v[20:23]
	v_cvt_pk_f32_fp8_e32 v[10:11], v12
	v_cvt_pk_f32_fp8_sdwa v[16:17], v12 src0_sel:WORD_1
	s_waitcnt vmcnt(1)
	v_cvt_pk_f32_fp8_sdwa v[32:33], v6 src0_sel:WORD_1
	v_mfma_f32_16x16x16_bf16 v[20:23], v[24:25], v[34:35], v[20:23]
	v_cvt_pk_f32_fp8_e32 v[24:25], v13
	v_perm_b32 v10, v11, v10, s4
	v_perm_b32 v11, v17, v16, s4
	v_cvt_pk_f32_fp8_sdwa v[12:13], v13 src0_sel:WORD_1
	v_perm_b32 v16, v25, v24, s4
	v_cvt_pk_f32_fp8_e32 v[24:25], v6
	v_mov_b32_e32 v27, 0
	v_perm_b32 v17, v13, v12, s4
	s_waitcnt lgkmcnt(0)
	v_mfma_f32_16x16x16_bf16 v[10:13], v[10:11], v[28:29], v[20:23]
	v_perm_b32 v24, v25, v24, s4
	v_perm_b32 v25, v33, v32, s4
	v_cvt_pk_f32_fp8_e32 v[28:29], v7
	ds_read_b128 v[20:23], v14 offset:4096
	v_cvt_pk_f32_fp8_sdwa v[6:7], v7 src0_sel:WORD_1
	v_mfma_f32_16x16x16_bf16 v[10:13], v[16:17], v[30:31], v[10:13]
	v_perm_b32 v16, v29, v28, s4
	ds_read_b128 v[28:31], v14 offset:4112
	v_perm_b32 v17, v7, v6, s4
	s_waitcnt lgkmcnt(1)
	v_mfma_f32_16x16x16_bf16 v[10:13], v[24:25], v[20:21], v[10:13]
	v_cvt_pk_f32_fp8_e32 v[6:7], v8
	v_cvt_pk_f32_fp8_sdwa v[20:21], v8 src0_sel:WORD_1
	v_perm_b32 v6, v7, v6, s4
	v_mfma_f32_16x16x16_bf16 v[10:13], v[16:17], v[22:23], v[10:13]
	v_cvt_pk_f32_fp8_e32 v[16:17], v9
	v_perm_b32 v7, v21, v20, s4
	v_cvt_pk_f32_fp8_sdwa v[8:9], v9 src0_sel:WORD_1
	s_waitcnt vmcnt(0)
	v_cvt_pk_f32_fp8_e32 v[20:21], v2
	v_perm_b32 v16, v17, v16, s4
	v_cvt_pk_f32_fp8_sdwa v[22:23], v2 src0_sel:WORD_1
	v_perm_b32 v17, v9, v8, s4
	s_waitcnt lgkmcnt(0)
	v_mfma_f32_16x16x16_bf16 v[6:9], v[6:7], v[28:29], v[10:13]
	v_perm_b32 v20, v21, v20, s4
	v_perm_b32 v21, v23, v22, s4
	v_cvt_pk_f32_fp8_e32 v[22:23], v3
	ds_read_b128 v[10:13], v14 offset:6144
	v_cvt_pk_f32_fp8_sdwa v[2:3], v3 src0_sel:WORD_1
	v_mfma_f32_16x16x16_bf16 v[6:9], v[16:17], v[30:31], v[6:9]
	v_perm_b32 v22, v23, v22, s4
	ds_read_b128 v[14:17], v14 offset:6160
	v_perm_b32 v23, v3, v2, s4
	s_waitcnt lgkmcnt(1)
	v_mfma_f32_16x16x16_bf16 v[6:9], v[20:21], v[10:11], v[6:9]
	v_cvt_pk_f32_fp8_e32 v[2:3], v4
	v_cvt_pk_f32_fp8_sdwa v[10:11], v4 src0_sel:WORD_1
	s_waitcnt lgkmcnt(0)
	v_mfma_f32_16x16x16_bf16 v[6:9], v[22:23], v[12:13], v[6:9]
	v_perm_b32 v2, v3, v2, s4
	v_perm_b32 v3, v11, v10, s4
	v_cvt_pk_f32_fp8_e32 v[10:11], v5
	v_cvt_pk_f32_fp8_sdwa v[4:5], v5 src0_sel:WORD_1
	s_barrier
	v_perm_b32 v10, v11, v10, s4
	v_perm_b32 v11, v5, v4, s4
	v_mfma_f32_16x16x16_bf16 v[2:5], v[2:3], v[14:15], v[6:9]
	s_nop 0
	v_mfma_f32_16x16x16_bf16 v[2:5], v[10:11], v[16:17], v[2:5]
	s_nop 6
	v_pk_mul_f32 v[2:3], v[2:3], s[12:13] op_sel_hi:[1,0]
	v_pk_mul_f32 v[4:5], v[4:5], s[12:13] op_sel_hi:[1,0]
	v_bfe_u32 v6, v3, 16, 1
	v_bfe_u32 v7, v2, 16, 1
	v_add3_u32 v2, v2, v7, s10
	v_add3_u32 v3, v3, v6, s10
	v_perm_b32 v2, v3, v2, s4
	v_bfe_u32 v3, v5, 16, 1
	v_bfe_u32 v6, v4, 16, 1
	v_add3_u32 v4, v4, v6, s10
	v_add3_u32 v3, v5, v3, s10
	v_perm_b32 v3, v3, v4, s4
	s_and_b64 s[4:5], vcc, s[30:31]
	ds_write_b64 v18, v[2:3]
	s_waitcnt lgkmcnt(0)
	s_barrier
	s_and_saveexec_b64 s[10:11], s[4:5]
	s_cbranch_execz .LBB1140_20
; %bb.18:
	s_load_dwordx2 s[4:5], s[0:1], 0x68
	s_lshl_b32 s0, s8, 6
	s_mul_i32 s1, s9, s2
	s_mul_hi_u32 s9, s1, s0
	s_mul_i32 s8, s1, s0
	v_lshlrev_b32_e32 v0, 10, v0
	s_lshl_b64 s[8:9], s[8:9], 1
	v_and_b32_e32 v0, 0x1800, v0
	v_lshlrev_b32_e32 v2, 5, v42
	v_and_b32_e32 v1, 16, v1
	s_waitcnt lgkmcnt(0)
	s_add_u32 s1, s4, s8
	v_or3_b32 v2, v0, v2, v1
	s_addc_u32 s4, s5, s9
	s_lshl_b32 s2, s28, 6
	ds_read_b128 v[4:7], v2 offset:256
	s_lshl_b64 s[2:3], s[2:3], 1
	ds_read_b128 v[8:11], v2 offset:128
	ds_read_b128 v[12:15], v2
	s_add_u32 s2, s1, s2
	s_addc_u32 s3, s4, s3
	v_add_u32_e32 v3, s48, v42
	v_lshl_add_u64 v[0:1], s[2:3], 0, v[26:27]
	v_mad_u64_u32 v[16:17], s[2:3], v3, s0, 0
	v_lshl_add_u64 v[16:17], v[16:17], 1, v[0:1]
	s_waitcnt lgkmcnt(0)
	global_store_dwordx4 v[16:17], v[12:15], off
	s_nop 1
	v_add_u32_e32 v12, 4, v3
	v_mad_u64_u32 v[12:13], s[2:3], v12, s0, 0
	v_lshl_add_u64 v[12:13], v[12:13], 1, v[0:1]
	v_add_u32_e32 v3, 8, v3
	global_store_dwordx4 v[12:13], v[8:11], off
	s_nop 1
	v_mad_u64_u32 v[8:9], s[2:3], v3, s0, 0
	v_lshl_add_u64 v[8:9], v[8:9], 1, v[0:1]
	global_store_dwordx4 v[8:9], v[4:7], off
	s_and_b64 exec, exec, s[6:7]
	s_cbranch_execz .LBB1140_20
; %bb.19:
	ds_read_b128 v[2:5], v2 offset:384
	v_add3_u32 v6, s48, v42, 12
	v_mad_u64_u32 v[6:7], s[0:1], v6, s0, 0
	v_lshl_add_u64 v[0:1], v[6:7], 1, v[0:1]
	s_waitcnt lgkmcnt(0)
	global_store_dwordx4 v[0:1], v[2:5], off
.LBB1140_20:
	s_endpgm
	.section	.rodata,"a",@progbits
	.p2align	6, 0x0
	.amdhsa_kernel _Z39paged_attention_ll4mi_QKV_mfma16_kernelI14__hip_bfloat16hLN4vllm18Fp8KVCacheDataTypeE1ES0_Li16ELi64ELi256ELb1ELi13EEvPKT_PKT0_S8_ifPKiSA_SA_iPKfiiiPfSD_PS3_PT2_iSC_SC_
		.amdhsa_group_segment_fixed_size 8192
		.amdhsa_private_segment_fixed_size 0
		.amdhsa_kernarg_size 400
		.amdhsa_user_sgpr_count 2
		.amdhsa_user_sgpr_dispatch_ptr 0
		.amdhsa_user_sgpr_queue_ptr 0
		.amdhsa_user_sgpr_kernarg_segment_ptr 1
		.amdhsa_user_sgpr_dispatch_id 0
		.amdhsa_user_sgpr_kernarg_preload_length 0
		.amdhsa_user_sgpr_kernarg_preload_offset 0
		.amdhsa_user_sgpr_private_segment_size 0
		.amdhsa_uses_dynamic_stack 0
		.amdhsa_enable_private_segment 0
		.amdhsa_system_sgpr_workgroup_id_x 1
		.amdhsa_system_sgpr_workgroup_id_y 1
		.amdhsa_system_sgpr_workgroup_id_z 1
		.amdhsa_system_sgpr_workgroup_info 0
		.amdhsa_system_vgpr_workitem_id 0
		.amdhsa_next_free_vgpr 67
		.amdhsa_next_free_sgpr 50
		.amdhsa_accum_offset 68
		.amdhsa_reserve_vcc 1
		.amdhsa_float_round_mode_32 0
		.amdhsa_float_round_mode_16_64 0
		.amdhsa_float_denorm_mode_32 3
		.amdhsa_float_denorm_mode_16_64 3
		.amdhsa_dx10_clamp 1
		.amdhsa_ieee_mode 1
		.amdhsa_fp16_overflow 0
		.amdhsa_tg_split 0
		.amdhsa_exception_fp_ieee_invalid_op 0
		.amdhsa_exception_fp_denorm_src 0
		.amdhsa_exception_fp_ieee_div_zero 0
		.amdhsa_exception_fp_ieee_overflow 0
		.amdhsa_exception_fp_ieee_underflow 0
		.amdhsa_exception_fp_ieee_inexact 0
		.amdhsa_exception_int_div_zero 0
	.end_amdhsa_kernel
	.section	.text._Z39paged_attention_ll4mi_QKV_mfma16_kernelI14__hip_bfloat16hLN4vllm18Fp8KVCacheDataTypeE1ES0_Li16ELi64ELi256ELb1ELi13EEvPKT_PKT0_S8_ifPKiSA_SA_iPKfiiiPfSD_PS3_PT2_iSC_SC_,"axG",@progbits,_Z39paged_attention_ll4mi_QKV_mfma16_kernelI14__hip_bfloat16hLN4vllm18Fp8KVCacheDataTypeE1ES0_Li16ELi64ELi256ELb1ELi13EEvPKT_PKT0_S8_ifPKiSA_SA_iPKfiiiPfSD_PS3_PT2_iSC_SC_,comdat
.Lfunc_end1140:
	.size	_Z39paged_attention_ll4mi_QKV_mfma16_kernelI14__hip_bfloat16hLN4vllm18Fp8KVCacheDataTypeE1ES0_Li16ELi64ELi256ELb1ELi13EEvPKT_PKT0_S8_ifPKiSA_SA_iPKfiiiPfSD_PS3_PT2_iSC_SC_, .Lfunc_end1140-_Z39paged_attention_ll4mi_QKV_mfma16_kernelI14__hip_bfloat16hLN4vllm18Fp8KVCacheDataTypeE1ES0_Li16ELi64ELi256ELb1ELi13EEvPKT_PKT0_S8_ifPKiSA_SA_iPKfiiiPfSD_PS3_PT2_iSC_SC_
                                        ; -- End function
	.section	.AMDGPU.csdata,"",@progbits
; Kernel info:
; codeLenInByte = 5172
; NumSgprs: 56
; NumVgprs: 67
; NumAgprs: 0
; TotalNumVgprs: 67
; ScratchSize: 0
; MemoryBound: 0
; FloatMode: 240
; IeeeMode: 1
; LDSByteSize: 8192 bytes/workgroup (compile time only)
; SGPRBlocks: 6
; VGPRBlocks: 8
; NumSGPRsForWavesPerEU: 56
; NumVGPRsForWavesPerEU: 67
; AccumOffset: 68
; Occupancy: 7
; WaveLimiterHint : 1
; COMPUTE_PGM_RSRC2:SCRATCH_EN: 0
; COMPUTE_PGM_RSRC2:USER_SGPR: 2
; COMPUTE_PGM_RSRC2:TRAP_HANDLER: 0
; COMPUTE_PGM_RSRC2:TGID_X_EN: 1
; COMPUTE_PGM_RSRC2:TGID_Y_EN: 1
; COMPUTE_PGM_RSRC2:TGID_Z_EN: 1
; COMPUTE_PGM_RSRC2:TIDIG_COMP_CNT: 0
; COMPUTE_PGM_RSRC3_GFX90A:ACCUM_OFFSET: 16
; COMPUTE_PGM_RSRC3_GFX90A:TG_SPLIT: 0
	.section	.text._Z39paged_attention_ll4mi_QKV_mfma16_kernelI14__hip_bfloat16hLN4vllm18Fp8KVCacheDataTypeE1ES0_Li16ELi64ELi256ELb1ELi14EEvPKT_PKT0_S8_ifPKiSA_SA_iPKfiiiPfSD_PS3_PT2_iSC_SC_,"axG",@progbits,_Z39paged_attention_ll4mi_QKV_mfma16_kernelI14__hip_bfloat16hLN4vllm18Fp8KVCacheDataTypeE1ES0_Li16ELi64ELi256ELb1ELi14EEvPKT_PKT0_S8_ifPKiSA_SA_iPKfiiiPfSD_PS3_PT2_iSC_SC_,comdat
	.protected	_Z39paged_attention_ll4mi_QKV_mfma16_kernelI14__hip_bfloat16hLN4vllm18Fp8KVCacheDataTypeE1ES0_Li16ELi64ELi256ELb1ELi14EEvPKT_PKT0_S8_ifPKiSA_SA_iPKfiiiPfSD_PS3_PT2_iSC_SC_ ; -- Begin function _Z39paged_attention_ll4mi_QKV_mfma16_kernelI14__hip_bfloat16hLN4vllm18Fp8KVCacheDataTypeE1ES0_Li16ELi64ELi256ELb1ELi14EEvPKT_PKT0_S8_ifPKiSA_SA_iPKfiiiPfSD_PS3_PT2_iSC_SC_
	.globl	_Z39paged_attention_ll4mi_QKV_mfma16_kernelI14__hip_bfloat16hLN4vllm18Fp8KVCacheDataTypeE1ES0_Li16ELi64ELi256ELb1ELi14EEvPKT_PKT0_S8_ifPKiSA_SA_iPKfiiiPfSD_PS3_PT2_iSC_SC_
	.p2align	8
	.type	_Z39paged_attention_ll4mi_QKV_mfma16_kernelI14__hip_bfloat16hLN4vllm18Fp8KVCacheDataTypeE1ES0_Li16ELi64ELi256ELb1ELi14EEvPKT_PKT0_S8_ifPKiSA_SA_iPKfiiiPfSD_PS3_PT2_iSC_SC_,@function
_Z39paged_attention_ll4mi_QKV_mfma16_kernelI14__hip_bfloat16hLN4vllm18Fp8KVCacheDataTypeE1ES0_Li16ELi64ELi256ELb1ELi14EEvPKT_PKT0_S8_ifPKiSA_SA_iPKfiiiPfSD_PS3_PT2_iSC_SC_: ; @_Z39paged_attention_ll4mi_QKV_mfma16_kernelI14__hip_bfloat16hLN4vllm18Fp8KVCacheDataTypeE1ES0_Li16ELi64ELi256ELb1ELi14EEvPKT_PKT0_S8_ifPKiSA_SA_iPKfiiiPfSD_PS3_PT2_iSC_SC_
; %bb.0:
	s_load_dwordx2 s[6:7], s[0:1], 0x30
	s_mov_b32 s28, s3
	s_mov_b64 s[8:9], 0
	s_waitcnt lgkmcnt(0)
	s_cmp_lg_u64 s[6:7], 0
	s_cselect_b64 s[10:11], -1, 0
	s_and_b64 vcc, exec, s[10:11]
	s_cbranch_vccz .LBB1141_7
; %bb.1:
	s_add_i32 s12, s2, 1
	s_mov_b32 s13, 0
	s_lshl_b64 s[14:15], s[12:13], 2
	s_add_u32 s14, s6, s14
	s_mov_b32 s3, s13
	s_addc_u32 s15, s7, s15
	s_lshl_b64 s[12:13], s[2:3], 2
	s_add_u32 s12, s6, s12
	s_addc_u32 s13, s7, s13
	s_load_dword s5, s[14:15], 0x0
	s_load_dword s16, s[12:13], 0x0
	s_waitcnt lgkmcnt(0)
	s_sub_i32 s5, s5, s16
	s_cmp_eq_u32 s5, 1
	s_cselect_b64 s[12:13], -1, 0
	s_andn2_b64 vcc, exec, s[8:9]
	s_cbranch_vccnz .LBB1141_3
.LBB1141_2:
	s_mov_b32 s3, 0
	s_mov_b64 s[12:13], -1
.LBB1141_3:
	s_andn2_b64 vcc, exec, s[12:13]
	s_cbranch_vccnz .LBB1141_20
; %bb.4:
	s_load_dwordx2 s[8:9], s[0:1], 0x28
	s_lshl_b64 s[12:13], s[2:3], 2
	s_waitcnt lgkmcnt(0)
	s_add_u32 s8, s8, s12
	s_addc_u32 s9, s9, s13
	s_load_dword s29, s[8:9], 0x0
	s_lshl_b32 s16, s28, 8
	s_waitcnt lgkmcnt(0)
	s_cmp_ge_i32 s16, s29
	s_cbranch_scc1 .LBB1141_20
; %bb.5:
	s_load_dwordx2 s[8:9], s[0:1], 0x20
	s_load_dword s5, s[0:1], 0x38
	s_add_i32 s14, s29, 15
	s_ashr_i32 s15, s14, 31
	v_and_b32_e32 v1, 0xcf, v0
	s_lshr_b32 s15, s15, 28
	v_add_u32_e32 v1, s16, v1
	s_add_i32 s14, s14, s15
	v_ashrrev_i32_e32 v2, 31, v1
	s_ashr_i32 s17, s14, 4
	v_lshrrev_b32_e32 v4, 28, v2
	s_add_i32 s17, s17, -1
	s_waitcnt lgkmcnt(0)
	s_mul_i32 s14, s2, s5
	s_mov_b32 s15, 0
	v_add_u32_e32 v2, v1, v4
	s_lshl_b64 s[14:15], s[14:15], 2
	v_ashrrev_i32_e32 v2, 4, v2
	v_mov_b32_e32 v5, s17
	v_cmp_gt_i32_e32 vcc, s29, v1
	s_add_u32 s8, s8, s14
	s_addc_u32 s9, s9, s15
	v_cndmask_b32_e32 v2, v5, v2, vcc
	v_ashrrev_i32_e32 v3, 31, v2
	v_lshl_add_u64 v[6:7], v[2:3], 2, s[8:9]
	v_or_b32_e32 v2, 16, v1
	v_add_u32_e32 v3, v2, v4
	v_ashrrev_i32_e32 v3, 4, v3
	v_cmp_gt_i32_e32 vcc, s29, v2
	s_load_dwordx2 s[14:15], s[0:1], 0x8
	s_nop 0
	v_cndmask_b32_e32 v2, v5, v3, vcc
	v_ashrrev_i32_e32 v3, 31, v2
	v_lshl_add_u64 v[8:9], v[2:3], 2, s[8:9]
	v_or_b32_e32 v2, 32, v1
	v_add_u32_e32 v3, v2, v4
	v_ashrrev_i32_e32 v3, 4, v3
	v_cmp_gt_i32_e32 vcc, s29, v2
	v_or_b32_e32 v1, 48, v1
	s_nop 0
	v_cndmask_b32_e32 v2, v5, v3, vcc
	v_ashrrev_i32_e32 v3, 31, v2
	v_lshl_add_u64 v[10:11], v[2:3], 2, s[8:9]
	v_add_u32_e32 v2, v1, v4
	v_ashrrev_i32_e32 v2, 4, v2
	v_cmp_gt_i32_e32 vcc, s29, v1
	s_nop 1
	v_cndmask_b32_e32 v2, v5, v2, vcc
	v_ashrrev_i32_e32 v3, 31, v2
	v_lshl_add_u64 v[12:13], v[2:3], 2, s[8:9]
	global_load_dword v5, v[6:7], off
	global_load_dword v4, v[8:9], off
	;; [unrolled: 1-line block ×4, first 2 shown]
	s_andn2_b64 vcc, exec, s[10:11]
	s_cbranch_vccnz .LBB1141_8
; %bb.6:
	s_add_u32 s6, s6, s12
	s_addc_u32 s7, s7, s13
	s_load_dword s5, s[6:7], 0x0
	s_branch .LBB1141_9
.LBB1141_7:
	s_mov_b64 s[12:13], 0
	s_branch .LBB1141_2
.LBB1141_8:
	s_mov_b32 s5, s2
.LBB1141_9:
	s_load_dwordx2 s[6:7], s[0:1], 0x10
	s_load_dwordx4 s[44:47], s[0:1], 0x48
	v_lshrrev_b32_e32 v29, 6, v0
	v_bfe_u32 v42, v0, 4, 2
	v_lshl_or_b32 v6, v29, 2, v42
	v_and_b32_e32 v28, 15, v0
	v_lshlrev_b32_e32 v1, 3, v28
	v_cmp_gt_u32_e32 vcc, 14, v6
	v_cmp_gt_u32_e64 s[30:31], 8, v28
	s_mul_i32 s48, s4, 14
	s_and_b64 s[12:13], s[30:31], vcc
	v_lshlrev_b32_e32 v26, 1, v1
	v_lshlrev_b32_e32 v1, 4, v0
	s_and_saveexec_b64 s[10:11], s[12:13]
	s_cbranch_execz .LBB1141_11
; %bb.10:
	s_load_dwordx2 s[12:13], s[0:1], 0x0
	s_waitcnt lgkmcnt(0)
	s_ashr_i32 s18, s44, 31
	s_mul_hi_u32 s19, s5, s44
	s_mul_i32 s18, s5, s18
	s_add_i32 s19, s19, s18
	s_mul_i32 s18, s5, s44
	s_lshl_b64 s[18:19], s[18:19], 1
	s_add_u32 s12, s12, s18
	v_add_lshl_u32 v8, v6, s48, 6
	s_addc_u32 s13, s13, s19
	v_ashrrev_i32_e32 v9, 31, v8
	v_lshl_add_u64 v[8:9], v[8:9], 1, s[12:13]
	v_mov_b32_e32 v27, 0
	v_lshl_add_u64 v[8:9], v[8:9], 0, v[26:27]
	global_load_dwordx4 v[8:11], v[8:9], off
	v_lshlrev_b32_e32 v12, 8, v28
	v_lshlrev_b32_e32 v6, 5, v6
	v_and_b32_e32 v7, 16, v1
	v_and_b32_e32 v12, 0xe00, v12
	v_or3_b32 v6, v12, v6, v7
	s_waitcnt vmcnt(0)
	ds_write_b128 v6, v[8:11]
.LBB1141_11:
	s_or_b64 exec, exec, s[10:11]
	s_waitcnt lgkmcnt(0)
	s_mul_i32 s10, s4, s46
	s_add_u32 s4, s14, s10
	s_addc_u32 s5, s15, 0
	v_and_b32_e32 v32, 48, v0
	v_and_b32_e32 v30, 0xf0, v1
	v_mov_b32_e32 v31, 0
	v_lshl_add_u64 v[6:7], s[4:5], 0, v[30:31]
	v_lshlrev_b32_e32 v30, 4, v32
	v_lshl_add_u64 v[6:7], v[6:7], 0, v[30:31]
	s_waitcnt vmcnt(3)
	v_mad_i64_i32 v[8:9], s[4:5], v5, s45, v[6:7]
	s_waitcnt vmcnt(2)
	v_mad_i64_i32 v[4:5], s[4:5], v4, s45, v[6:7]
	s_barrier
	global_load_dwordx4 v[22:25], v[8:9], off
	global_load_dwordx4 v[18:21], v[4:5], off
	s_waitcnt vmcnt(3)
	v_mad_i64_i32 v[4:5], s[4:5], v3, s45, v[6:7]
	s_waitcnt vmcnt(2)
	v_mad_i64_i32 v[2:3], s[4:5], v2, s45, v[6:7]
	global_load_dwordx4 v[14:17], v[4:5], off
	global_load_dwordx4 v[6:9], v[2:3], off
	v_add_u32_e32 v2, -14, v28
	v_cmp_gt_u32_e32 vcc, 14, v28
	v_and_b32_e32 v27, 63, v0
	v_mov_b32_e32 v43, 0
	v_cndmask_b32_e32 v2, v2, v28, vcc
	v_lshlrev_b32_e32 v2, 5, v2
	v_lshl_add_u32 v2, v42, 9, v2
	ds_read_b128 v[10:13], v2
	ds_read_b128 v[2:5], v2 offset:16
	s_and_saveexec_b64 s[4:5], vcc
	s_cbranch_execz .LBB1141_13
; %bb.12:
	s_load_dwordx2 s[12:13], s[0:1], 0x40
	v_add_u32_e32 v34, s48, v28
	v_ashrrev_i32_e32 v35, 31, v34
	s_waitcnt lgkmcnt(0)
	v_lshl_add_u64 v[34:35], v[34:35], 2, s[12:13]
	global_load_dword v43, v[34:35], off
.LBB1141_13:
	s_or_b64 exec, exec, s[4:5]
	v_or_b32_e32 v62, s16, v32
	v_ashrrev_i32_e32 v30, 4, v62
	v_mov_b32_e32 v63, s17
	v_cmp_gt_i32_e32 vcc, s29, v62
	s_waitcnt vmcnt(2)
	v_cvt_pk_f32_fp8_e32 v[52:53], v20
	v_cvt_pk_f32_fp8_sdwa v[54:55], v20 src0_sel:WORD_1
	v_cndmask_b32_e32 v20, v63, v30, vcc
	v_cvt_pk_f32_fp8_e32 v[56:57], v21
	v_cvt_pk_f32_fp8_sdwa v[58:59], v21 src0_sel:WORD_1
	v_ashrrev_i32_e32 v21, 31, v20
	v_cvt_pk_f32_fp8_e32 v[40:41], v22
	v_cvt_pk_f32_fp8_sdwa v[44:45], v22 src0_sel:WORD_1
	v_lshl_add_u64 v[20:21], v[20:21], 2, s[8:9]
	v_cvt_pk_f32_fp8_e32 v[46:47], v18
	v_cvt_pk_f32_fp8_sdwa v[48:49], v18 src0_sel:WORD_1
	global_load_dword v64, v[20:21], off
	s_mov_b32 s33, 0x7060302
	v_cvt_pk_f32_fp8_e32 v[32:33], v23
	v_cvt_pk_f32_fp8_sdwa v[34:35], v23 src0_sel:WORD_1
	v_perm_b32 v20, v41, v40, s33
	v_perm_b32 v21, v45, v44, s33
	v_cvt_pk_f32_fp8_e32 v[38:39], v24
	v_cvt_pk_f32_fp8_sdwa v[36:37], v24 src0_sel:WORD_1
	v_cvt_pk_f32_fp8_e32 v[50:51], v19
	v_cvt_pk_f32_fp8_sdwa v[18:19], v19 src0_sel:WORD_1
	v_perm_b32 v44, v47, v46, s33
	v_perm_b32 v45, v49, v48, s33
	v_cvt_pk_f32_fp8_e32 v[22:23], v25
	s_waitcnt vmcnt(2)
	v_cvt_pk_f32_fp8_e32 v[40:41], v14
	v_cvt_pk_f32_fp8_sdwa v[46:47], v14 src0_sel:WORD_1
	v_perm_b32 v48, v33, v32, s33
	v_perm_b32 v49, v35, v34, s33
	v_or_b32_e32 v14, 64, v62
	v_or_b32_e32 v32, 0xc0, v62
	v_cvt_pk_f32_fp8_sdwa v[24:25], v25 src0_sel:WORD_1
	s_load_dword s11, s[0:1], 0x1c
	s_load_dwordx4 s[40:43], s[0:1], 0x80
	v_perm_b32 v38, v39, v38, s33
	v_perm_b32 v39, v37, v36, s33
	v_or_b32_e32 v65, 0x80, v62
	v_ashrrev_i32_e32 v62, 4, v14
	v_cmp_gt_i32_e32 vcc, s29, v32
	v_ashrrev_i32_e32 v66, 4, v32
	v_cmp_gt_i32_e64 s[4:5], s29, v14
	v_perm_b32 v36, v51, v50, s33
	v_perm_b32 v37, v19, v18, s33
	s_waitcnt lgkmcnt(0)
	v_mfma_f32_16x16x16_bf16 v[32:35], v[20:21], v[10:11], 0
	s_add_u32 s6, s6, s10
	v_lshlrev_b32_e32 v30, 4, v28
	v_cndmask_b32_e64 v50, v63, v62, s[4:5]
	v_perm_b32 v62, v23, v22, s33
	v_mfma_f32_16x16x16_bf16 v[20:23], v[44:45], v[10:11], 0
	v_lshl_or_b32 v30, v29, 8, v30
	s_addc_u32 s7, s7, 0
	v_ashrrev_i32_e32 v14, 4, v65
	v_lshl_add_u64 v[18:19], s[6:7], 0, v[30:31]
	v_cmp_gt_i32_e64 s[6:7], s29, v65
	v_mfma_f32_16x16x16_bf16 v[30:33], v[48:49], v[12:13], v[32:35]
	v_cndmask_b32_e32 v48, v63, v66, vcc
	s_load_dword s4, s[40:41], 0x0
	v_cvt_pk_f32_fp8_e32 v[60:61], v15
	v_cndmask_b32_e64 v34, v63, v14, s[6:7]
	v_perm_b32 v63, v25, v24, s33
	v_perm_b32 v24, v53, v52, s33
	;; [unrolled: 1-line block ×3, first 2 shown]
	v_mfma_f32_16x16x16_bf16 v[20:23], v[36:37], v[12:13], v[20:23]
	v_perm_b32 v40, v41, v40, s33
	v_perm_b32 v41, v47, v46, s33
	v_ashrrev_i32_e32 v51, 31, v50
	v_mfma_f32_16x16x16_bf16 v[20:23], v[24:25], v[2:3], v[20:23]
	v_mov_b32_e32 v24, s11
	s_waitcnt lgkmcnt(0)
	v_mul_f32_e32 v54, s4, v24
	v_cvt_pk_f32_fp8_sdwa v[24:25], v15 src0_sel:WORD_1
	v_mfma_f32_16x16x16_bf16 v[30:33], v[38:39], v[2:3], v[30:33]
	v_ashrrev_i32_e32 v35, 31, v34
	v_ashrrev_i32_e32 v49, 31, v48
	v_lshl_add_u64 v[36:37], v[50:51], 2, s[8:9]
	v_lshl_add_u64 v[34:35], v[34:35], 2, s[8:9]
	;; [unrolled: 1-line block ×3, first 2 shown]
	global_load_dword v14, v[36:37], off
	global_load_dword v44, v[34:35], off
	;; [unrolled: 1-line block ×3, first 2 shown]
	v_perm_b32 v46, v61, v60, s33
	v_cvt_pk_f32_fp8_e32 v[48:49], v16
	v_cvt_pk_f32_fp8_sdwa v[50:51], v16 src0_sel:WORD_1
	v_perm_b32 v47, v25, v24, s33
	v_mfma_f32_16x16x16_bf16 v[36:39], v[62:63], v[4:5], v[30:33]
	v_perm_b32 v24, v49, v48, s33
	v_perm_b32 v25, v51, v50, s33
	v_perm_b32 v52, v57, v56, s33
	v_mfma_f32_16x16x16_bf16 v[30:33], v[40:41], v[10:11], 0
	v_cvt_pk_f32_fp8_e32 v[40:41], v17
	v_cvt_pk_f32_fp8_sdwa v[16:17], v17 src0_sel:WORD_1
	v_perm_b32 v53, v59, v58, s33
	v_mfma_f32_16x16x16_bf16 v[46:49], v[46:47], v[12:13], v[30:33]
	s_mov_b32 s44, 0xff7fffff
	s_waitcnt vmcnt(3)
	v_mad_i64_i32 v[34:35], s[4:5], v64, s45, v[18:19]
	v_perm_b32 v32, v41, v40, s33
	v_perm_b32 v33, v17, v16, s33
	v_mfma_f32_16x16x16_bf16 v[46:49], v[24:25], v[2:3], v[46:49]
	v_cvt_pk_f32_fp8_e32 v[16:17], v6
	v_cvt_pk_f32_fp8_sdwa v[24:25], v6 src0_sel:WORD_1
	v_pk_mul_f32 v[30:31], v[54:55], v[38:39] op_sel_hi:[0,1]
	v_mfma_f32_16x16x16_bf16 v[46:49], v[32:33], v[4:5], v[46:49]
	v_cvt_pk_f32_fp8_e32 v[32:33], v7
	v_perm_b32 v16, v17, v16, s33
	v_perm_b32 v17, v25, v24, s33
	v_cvt_pk_f32_fp8_sdwa v[6:7], v7 src0_sel:WORD_1
	v_pk_mul_f32 v[38:39], v[54:55], v[36:37] op_sel_hi:[0,1]
	v_perm_b32 v24, v33, v32, s33
	v_cvt_pk_f32_fp8_e32 v[32:33], v8
	v_cvt_pk_f32_fp8_sdwa v[36:37], v8 src0_sel:WORD_1
	v_perm_b32 v25, v7, v6, s33
	v_mfma_f32_16x16x16_bf16 v[20:23], v[52:53], v[4:5], v[20:23]
	v_mfma_f32_16x16x16_bf16 v[50:53], v[16:17], v[10:11], 0
	v_perm_b32 v10, v33, v32, s33
	v_perm_b32 v11, v37, v36, s33
	v_cvt_pk_f32_fp8_e32 v[16:17], v9
	v_cvt_pk_f32_fp8_sdwa v[32:33], v9 src0_sel:WORD_1
	v_mfma_f32_16x16x16_bf16 v[6:9], v[24:25], v[12:13], v[50:53]
	s_nop 0
	v_pk_mul_f32 v[36:37], v[54:55], v[22:23] op_sel_hi:[0,1]
	v_perm_b32 v12, v17, v16, s33
	v_perm_b32 v13, v33, v32, s33
	v_mfma_f32_16x16x16_bf16 v[6:9], v[10:11], v[2:3], v[6:9]
	v_pk_mul_f32 v[40:41], v[54:55], v[20:21] op_sel_hi:[0,1]
	v_pk_mul_f32 v[24:25], v[54:55], v[48:49] op_sel_hi:[0,1]
	;; [unrolled: 1-line block ×3, first 2 shown]
	v_mfma_f32_16x16x16_bf16 v[2:5], v[12:13], v[4:5], v[6:9]
	s_nop 6
	v_pk_mul_f32 v[22:23], v[54:55], v[2:3] op_sel_hi:[0,1]
	v_and_b32_e32 v2, 0xc0, v0
	v_add_u32_e32 v2, s16, v2
	v_lshl_or_b32 v2, v42, 2, v2
	v_or_b32_e32 v3, 1, v2
	v_pk_mul_f32 v[20:21], v[54:55], v[4:5] op_sel_hi:[0,1]
	v_subrev_u32_e32 v4, s29, v3
	v_add_u32_e32 v6, 1, v4
	v_add_u32_e32 v7, 2, v4
	;; [unrolled: 1-line block ×3, first 2 shown]
	v_cvt_f32_i32_e32 v6, v6
	v_cvt_f32_i32_e32 v7, v7
	;; [unrolled: 1-line block ×3, first 2 shown]
	v_add_u32_e32 v9, 19, v4
	v_fmac_f32_e32 v39, v43, v6
	v_fma_f32 v30, v43, v7, v30
	v_fmac_f32_e32 v31, v43, v8
	v_add_u32_e32 v6, 16, v4
	v_add_u32_e32 v7, 17, v4
	;; [unrolled: 1-line block ×3, first 2 shown]
	v_cvt_f32_i32_e32 v6, v6
	v_cvt_f32_i32_e32 v7, v7
	v_cvt_f32_i32_e32 v8, v8
	v_cvt_f32_i32_e32 v9, v9
	v_fma_f32 v40, v43, v6, v40
	v_fmac_f32_e32 v41, v43, v7
	v_fma_f32 v36, v43, v8, v36
	v_add_u32_e32 v6, 32, v4
	v_add_u32_e32 v7, 33, v4
	;; [unrolled: 1-line block ×3, first 2 shown]
	v_cvt_f32_i32_e32 v6, v6
	v_cvt_f32_i32_e32 v7, v7
	;; [unrolled: 1-line block ×4, first 2 shown]
	v_fmac_f32_e32 v37, v43, v9
	v_add_u32_e32 v9, 35, v4
	v_fma_f32 v32, v43, v6, v32
	v_fmac_f32_e32 v33, v43, v7
	v_fma_f32 v24, v43, v8, v24
	v_add_u32_e32 v6, 48, v4
	v_add_u32_e32 v7, 49, v4
	;; [unrolled: 1-line block ×4, first 2 shown]
	v_cvt_f32_i32_e32 v4, v4
	v_cvt_f32_i32_e32 v6, v6
	;; [unrolled: 1-line block ×3, first 2 shown]
	v_fma_f32 v5, v43, v5, v38
	v_fmac_f32_e32 v21, v43, v4
	v_mov_b32_e32 v4, 0xff7fffff
	v_cmp_gt_i32_e64 s[4:5], s29, v2
	v_cmp_gt_i32_e64 s[34:35], s29, v3
	v_fma_f32 v22, v43, v6, v22
	v_cndmask_b32_e64 v6, v4, v5, s[4:5]
	v_cndmask_b32_e64 v3, v4, v39, s[34:35]
	v_fmac_f32_e32 v23, v43, v7
	v_max3_f32 v3, v6, s44, v3
	v_or_b32_e32 v6, 2, v2
	v_or_b32_e32 v7, 3, v2
	v_cmp_gt_i32_e64 s[36:37], s29, v6
	v_cmp_gt_i32_e64 s[38:39], s29, v7
	v_cvt_f32_i32_e32 v9, v9
	v_cndmask_b32_e64 v6, v4, v30, s[36:37]
	v_cndmask_b32_e64 v7, v4, v31, s[38:39]
	v_max3_f32 v3, v3, v6, v7
	v_or_b32_e32 v6, 16, v2
	v_or_b32_e32 v7, 17, v2
	v_cmp_gt_i32_e64 s[24:25], s29, v6
	v_cmp_gt_i32_e64 s[26:27], s29, v7
	v_fmac_f32_e32 v25, v43, v9
	v_cndmask_b32_e64 v6, v4, v40, s[24:25]
	v_cndmask_b32_e64 v7, v4, v41, s[26:27]
	v_max3_f32 v3, v3, v6, v7
	v_or_b32_e32 v6, 18, v2
	v_or_b32_e32 v7, 19, v2
	v_cmp_gt_i32_e64 s[20:21], s29, v6
	v_cmp_gt_i32_e64 s[22:23], s29, v7
	v_cvt_f32_i32_e32 v8, v8
	v_cndmask_b32_e64 v6, v4, v36, s[20:21]
	v_cndmask_b32_e64 v7, v4, v37, s[22:23]
	v_max3_f32 v3, v3, v6, v7
	v_or_b32_e32 v6, 32, v2
	v_or_b32_e32 v7, 33, v2
	v_cmp_gt_i32_e64 s[16:17], s29, v6
	v_cmp_gt_i32_e64 s[18:19], s29, v7
	v_fma_f32 v20, v43, v8, v20
	v_cndmask_b32_e64 v6, v4, v32, s[16:17]
	v_cndmask_b32_e64 v7, v4, v33, s[18:19]
	v_max3_f32 v3, v3, v6, v7
	v_or_b32_e32 v6, 34, v2
	v_or_b32_e32 v7, 35, v2
	v_cmp_gt_i32_e64 s[12:13], s29, v6
	v_cmp_gt_i32_e64 s[14:15], s29, v7
	s_nop 0
	v_cndmask_b32_e64 v6, v4, v24, s[12:13]
	v_cndmask_b32_e64 v7, v4, v25, s[14:15]
	v_max3_f32 v3, v3, v6, v7
	v_or_b32_e32 v6, 48, v2
	v_or_b32_e32 v7, 49, v2
	v_cmp_gt_i32_e64 s[8:9], s29, v6
	v_cmp_gt_i32_e64 s[10:11], s29, v7
	s_nop 0
	v_cndmask_b32_e64 v6, v4, v22, s[8:9]
	v_cndmask_b32_e64 v7, v4, v23, s[10:11]
	v_max3_f32 v3, v3, v6, v7
	v_or_b32_e32 v6, 50, v2
	v_or_b32_e32 v2, 51, v2
	v_cmp_gt_i32_e32 vcc, s29, v6
	v_cmp_gt_i32_e64 s[6:7], s29, v2
	s_nop 0
	v_cndmask_b32_e32 v6, v4, v20, vcc
	v_cndmask_b32_e64 v2, v4, v21, s[6:7]
	v_max3_f32 v4, v3, v6, v2
	v_mbcnt_lo_u32_b32 v2, -1, 0
	v_mbcnt_hi_u32_b32 v6, -1, v2
	v_and_b32_e32 v2, 64, v6
	v_add_u32_e32 v7, 64, v2
	v_xor_b32_e32 v2, 32, v6
	v_cmp_lt_i32_e64 s[40:41], v2, v7
	s_nop 1
	v_cndmask_b32_e64 v2, v6, v2, s[40:41]
	v_lshlrev_b32_e32 v43, 2, v2
	ds_bpermute_b32 v8, v43, v4
	s_waitcnt vmcnt(2)
	v_mad_i64_i32 v[2:3], s[40:41], v14, s45, v[18:19]
	global_load_dwordx4 v[14:17], v[34:35], off
	global_load_dwordx4 v[10:13], v[2:3], off
	v_xor_b32_e32 v3, 16, v6
	v_cmp_lt_i32_e64 s[40:41], v3, v7
	s_waitcnt lgkmcnt(0)
	v_max_f32_e32 v2, v8, v8
	v_max_f32_e32 v2, v4, v2
	v_cndmask_b32_e64 v3, v6, v3, s[40:41]
	v_lshlrev_b32_e32 v46, 2, v3
	ds_bpermute_b32 v3, v46, v2
	s_waitcnt vmcnt(3)
	v_mad_i64_i32 v[34:35], s[40:41], v44, s45, v[18:19]
	s_waitcnt vmcnt(2)
	v_mad_i64_i32 v[18:19], s[40:41], v45, s45, v[18:19]
	s_waitcnt lgkmcnt(0)
	v_max_f32_e32 v3, v3, v3
	v_max_f32_e32 v38, v2, v3
	v_sub_f32_e32 v2, v5, v38
	v_mul_f32_e32 v2, 0x3fb8aa3b, v2
	v_exp_f32_e32 v44, v2
	v_sub_f32_e32 v2, v39, v38
	v_mul_f32_e32 v2, 0x3fb8aa3b, v2
	v_exp_f32_e32 v39, v2
	global_load_dwordx4 v[6:9], v[34:35], off
	global_load_dwordx4 v[2:5], v[18:19], off
	v_sub_f32_e32 v30, v30, v38
	v_mul_f32_e32 v30, 0x3fb8aa3b, v30
	v_sub_f32_e32 v31, v31, v38
	v_exp_f32_e32 v30, v30
	v_mul_f32_e32 v31, 0x3fb8aa3b, v31
	v_exp_f32_e32 v31, v31
	v_cndmask_b32_e64 v18, 0, v44, s[4:5]
	v_add_f32_e32 v34, 0, v18
	v_cndmask_b32_e64 v19, 0, v39, s[34:35]
	v_add_f32_e32 v35, v34, v19
	;; [unrolled: 2-line block ×3, first 2 shown]
	v_cndmask_b32_e64 v35, 0, v31, s[38:39]
	v_sub_f32_e32 v31, v40, v38
	v_mul_f32_e32 v31, 0x3fb8aa3b, v31
	v_sub_f32_e32 v39, v41, v38
	v_exp_f32_e32 v31, v31
	v_mul_f32_e32 v39, 0x3fb8aa3b, v39
	v_sub_f32_e32 v36, v36, v38
	v_exp_f32_e32 v39, v39
	;; [unrolled: 3-line block ×4, first 2 shown]
	v_mul_f32_e32 v32, 0x3fb8aa3b, v32
	v_sub_f32_e32 v33, v33, v38
	v_add_f32_e32 v40, v30, v35
	v_cndmask_b32_e64 v30, 0, v31, s[24:25]
	v_exp_f32_e32 v32, v32
	v_mul_f32_e32 v33, 0x3fb8aa3b, v33
	v_sub_f32_e32 v24, v24, v38
	v_add_f32_e32 v40, v40, v30
	v_cndmask_b32_e64 v31, 0, v39, s[26:27]
	v_exp_f32_e32 v33, v33
	;; [unrolled: 5-line block ×7, first 2 shown]
	v_mul_f32_e32 v21, 0x3fb8aa3b, v21
	v_add_f32_e32 v39, v39, v24
	v_cndmask_b32_e64 v25, 0, v25, s[14:15]
	v_exp_f32_e32 v21, v21
	v_add_f32_e32 v39, v39, v25
	v_cndmask_b32_e64 v22, 0, v22, s[8:9]
	v_add_f32_e32 v39, v39, v22
	v_cndmask_b32_e64 v23, 0, v23, s[10:11]
	v_add_f32_e32 v39, v39, v23
	v_cndmask_b32_e32 v20, 0, v20, vcc
	v_add_f32_e32 v39, v39, v20
	v_cndmask_b32_e64 v21, 0, v21, s[6:7]
	v_add_f32_e32 v39, v39, v21
	ds_bpermute_b32 v40, v43, v39
	s_load_dword s7, s[0:1], 0x98
	v_cmp_gt_u32_e32 vcc, 16, v27
	s_waitcnt lgkmcnt(0)
	s_barrier
	v_add_f32_e32 v40, v39, v40
	ds_bpermute_b32 v41, v46, v40
	v_lshlrev_b32_e32 v39, 2, v28
	s_waitcnt lgkmcnt(0)
	s_and_saveexec_b64 s[4:5], vcc
	s_cbranch_execz .LBB1141_15
; %bb.14:
	v_add_f32_e32 v27, v40, v41
	v_lshl_or_b32 v40, v29, 6, v39
	ds_write2st64_b32 v40, v38, v27 offset1:1
.LBB1141_15:
	s_or_b64 exec, exec, s[4:5]
	s_load_dword s6, s[0:1], 0x94
	s_waitcnt lgkmcnt(0)
	s_barrier
	ds_read2_b32 v[40:41], v39 offset1:16
	ds_read2_b32 v[44:45], v39 offset0:32 offset1:48
	ds_read2_b32 v[46:47], v39 offset0:64 offset1:80
	s_movk_i32 s8, 0x7fff
	s_mul_i32 s7, s7, 14
	s_waitcnt lgkmcnt(2)
	v_max3_f32 v27, v40, s44, v41
	s_waitcnt lgkmcnt(1)
	v_max3_f32 v27, v27, v44, v45
	v_sub_f32_e32 v38, v40, v27
	v_mul_f32_e32 v38, 0x3fb8aa3b, v38
	v_exp_f32_e32 v43, v38
	v_sub_f32_e32 v38, v41, v27
	v_mul_f32_e32 v38, 0x3fb8aa3b, v38
	v_exp_f32_e32 v48, v38
	;; [unrolled: 3-line block ×3, first 2 shown]
	ds_read2_b32 v[40:41], v39 offset0:96 offset1:112
	v_sub_f32_e32 v38, v45, v27
	v_mul_f32_e32 v38, 0x3fb8aa3b, v38
	v_exp_f32_e32 v39, v38
	s_waitcnt lgkmcnt(1)
	v_fma_f32 v38, v43, v46, 0
	v_fmac_f32_e32 v38, v48, v47
	s_waitcnt lgkmcnt(0)
	v_fmac_f32_e32 v38, v44, v40
	v_fmac_f32_e32 v38, v39, v41
	v_add_f32_e32 v40, 0x358637bd, v38
	v_div_scale_f32 v41, s[4:5], v40, v40, 1.0
	v_rcp_f32_e32 v45, v41
	s_barrier
	v_fma_f32 v46, -v41, v45, 1.0
	v_fmac_f32_e32 v45, v46, v45
	v_div_scale_f32 v46, vcc, 1.0, v40, 1.0
	v_mul_f32_e32 v47, v46, v45
	v_fma_f32 v49, -v41, v47, v46
	v_fmac_f32_e32 v47, v49, v45
	v_fma_f32 v41, -v41, v47, v46
	v_div_fmas_f32 v41, v41, v45, v47
	v_cmp_eq_u32_e32 vcc, 1, v29
	v_div_fixup_f32 v40, v41, v40, 1.0
	s_nop 0
	v_cndmask_b32_e32 v41, v43, v48, vcc
	v_cmp_eq_u32_e32 vcc, 2, v29
	s_nop 1
	v_cndmask_b32_e32 v41, v41, v44, vcc
	v_cmp_eq_u32_e32 vcc, 3, v29
	v_lshlrev_b32_e32 v29, 11, v29
	s_nop 0
	v_cndmask_b32_e32 v39, v41, v39, vcc
	v_mul_f32_e32 v40, v39, v40
	v_pk_mul_f32 v[18:19], v[40:41], v[18:19] op_sel_hi:[0,1]
	v_pk_mul_f32 v[34:35], v[40:41], v[34:35] op_sel_hi:[0,1]
	v_bfe_u32 v39, v19, 16, 1
	v_bfe_u32 v41, v18, 16, 1
	v_add3_u32 v18, v18, v41, s8
	v_add3_u32 v19, v19, v39, s8
	v_perm_b32 v44, v19, v18, s33
	v_bfe_u32 v18, v35, 16, 1
	v_bfe_u32 v19, v34, 16, 1
	v_add3_u32 v19, v34, v19, s8
	v_add3_u32 v18, v35, v18, s8
	v_perm_b32 v45, v18, v19, s33
	v_lshlrev_b32_e32 v18, 3, v42
	v_lshlrev_b32_e32 v19, 5, v28
	v_pk_mul_f32 v[30:31], v[40:41], v[30:31] op_sel_hi:[0,1]
	v_or3_b32 v18, v29, v19, v18
	v_pk_mul_f32 v[34:35], v[40:41], v[36:37] op_sel_hi:[0,1]
	v_bfe_u32 v29, v31, 16, 1
	v_bfe_u32 v36, v30, 16, 1
	v_add3_u32 v30, v30, v36, s8
	v_add3_u32 v29, v31, v29, s8
	v_perm_b32 v30, v29, v30, s33
	v_bfe_u32 v29, v35, 16, 1
	v_bfe_u32 v31, v34, 16, 1
	v_add3_u32 v31, v34, v31, s8
	v_add3_u32 v29, v35, v29, s8
	v_perm_b32 v31, v29, v31, s33
	ds_write2st64_b64 v18, v[44:45], v[30:31] offset1:1
	v_pk_mul_f32 v[30:31], v[40:41], v[32:33] op_sel_hi:[0,1]
	v_bfe_u32 v29, v31, 16, 1
	v_bfe_u32 v32, v30, 16, 1
	v_pk_mul_f32 v[24:25], v[40:41], v[24:25] op_sel_hi:[0,1]
	v_add3_u32 v30, v30, v32, s8
	v_add3_u32 v29, v31, v29, s8
	v_perm_b32 v30, v29, v30, s33
	v_bfe_u32 v29, v25, 16, 1
	v_bfe_u32 v31, v24, 16, 1
	v_add3_u32 v24, v24, v31, s8
	v_add3_u32 v25, v25, v29, s8
	v_pk_mul_f32 v[22:23], v[40:41], v[22:23] op_sel_hi:[0,1]
	v_perm_b32 v31, v25, v24, s33
	v_bfe_u32 v24, v23, 16, 1
	v_bfe_u32 v25, v22, 16, 1
	v_pk_mul_f32 v[20:21], v[40:41], v[20:21] op_sel_hi:[0,1]
	v_add3_u32 v22, v22, v25, s8
	v_add3_u32 v23, v23, v24, s8
	v_perm_b32 v22, v23, v22, s33
	v_bfe_u32 v23, v21, 16, 1
	v_bfe_u32 v24, v20, 16, 1
	v_add3_u32 v20, v20, v24, s8
	v_add3_u32 v21, v21, v23, s8
	v_perm_b32 v23, v21, v20, s33
	v_cmp_gt_u32_e32 vcc, 14, v0
	ds_write2st64_b64 v18, v[30:31], v[22:23] offset0:2 offset1:3
	s_and_saveexec_b64 s[4:5], vcc
	s_cbranch_execz .LBB1141_17
; %bb.16:
	s_mov_b32 s49, 0
	v_mov_b32_e32 v29, 0
	v_lshl_add_u64 v[20:21], s[48:49], 0, v[28:29]
	v_mov_b32_e32 v22, s7
	v_mad_u64_u32 v[20:21], s[10:11], s2, v22, v[20:21]
	s_mul_i32 s3, s3, s7
	v_mov_b32_e32 v28, s28
	s_load_dwordx4 s[12:15], s[0:1], 0x58
	v_add_u32_e32 v23, s3, v21
	v_mad_u64_u32 v[20:21], s[10:11], v20, s6, v[28:29]
	v_mov_b32_e32 v22, v21
	v_mad_u64_u32 v[22:23], s[10:11], v23, s6, v[22:23]
	v_mov_b32_e32 v21, v22
	v_lshlrev_b64 v[20:21], 2, v[20:21]
	s_waitcnt lgkmcnt(0)
	v_lshl_add_u64 v[22:23], s[14:15], 0, v[20:21]
	v_lshl_add_u64 v[20:21], s[12:13], 0, v[20:21]
	global_store_dword v[22:23], v27, off
	global_store_dword v[20:21], v38, off
.LBB1141_17:
	s_or_b64 exec, exec, s[4:5]
	s_waitcnt vmcnt(3)
	v_cvt_pk_f32_fp8_e32 v[20:21], v14
	v_cvt_pk_f32_fp8_sdwa v[22:23], v14 src0_sel:WORD_1
	s_mov_b32 s4, 0x7060302
	v_lshl_or_b32 v14, v42, 9, v19
	s_waitcnt lgkmcnt(0)
	s_barrier
	v_perm_b32 v24, v21, v20, s4
	v_perm_b32 v25, v23, v22, s4
	v_cvt_pk_f32_fp8_e32 v[28:29], v15
	ds_read_b128 v[20:23], v14
	v_cvt_pk_f32_fp8_sdwa v[36:37], v15 src0_sel:WORD_1
	s_load_dword s10, s[42:43], 0x0
	v_perm_b32 v38, v29, v28, s4
	ds_read_b128 v[28:31], v14 offset:16
	v_perm_b32 v39, v37, v36, s4
	s_waitcnt lgkmcnt(0)
	v_mfma_f32_16x16x16_bf16 v[32:35], v[24:25], v[20:21], 0
	v_cvt_pk_f32_fp8_e32 v[24:25], v16
	v_cvt_pk_f32_fp8_sdwa v[36:37], v16 src0_sel:WORD_1
	v_cmp_gt_u32_e32 vcc, 64, v0
	v_mfma_f32_16x16x16_bf16 v[20:23], v[38:39], v[22:23], v[32:35]
	v_perm_b32 v24, v25, v24, s4
	v_perm_b32 v25, v37, v36, s4
	s_mov_b32 s3, 0
	v_cvt_pk_f32_fp8_e32 v[32:33], v17
	v_cvt_pk_f32_fp8_sdwa v[16:17], v17 src0_sel:WORD_1
	s_waitcnt vmcnt(2)
	v_cvt_pk_f32_fp8_sdwa v[34:35], v10 src0_sel:WORD_1
	v_mfma_f32_16x16x16_bf16 v[20:23], v[24:25], v[28:29], v[20:23]
	v_perm_b32 v36, v33, v32, s4
	v_cvt_pk_f32_fp8_e32 v[32:33], v10
	v_perm_b32 v37, v17, v16, s4
	v_perm_b32 v17, v35, v34, s4
	v_cvt_pk_f32_fp8_e32 v[24:25], v11
	v_perm_b32 v16, v33, v32, s4
	ds_read_b128 v[32:35], v14 offset:2048
	v_cvt_pk_f32_fp8_sdwa v[10:11], v11 src0_sel:WORD_1
	v_mfma_f32_16x16x16_bf16 v[20:23], v[36:37], v[30:31], v[20:23]
	ds_read_b128 v[28:31], v14 offset:2064
	v_perm_b32 v24, v25, v24, s4
	v_perm_b32 v25, v11, v10, s4
	s_waitcnt lgkmcnt(1)
	v_mfma_f32_16x16x16_bf16 v[20:23], v[16:17], v[32:33], v[20:23]
	v_cvt_pk_f32_fp8_e32 v[10:11], v12
	v_cvt_pk_f32_fp8_sdwa v[16:17], v12 src0_sel:WORD_1
	s_waitcnt vmcnt(1)
	v_cvt_pk_f32_fp8_sdwa v[32:33], v6 src0_sel:WORD_1
	v_mfma_f32_16x16x16_bf16 v[20:23], v[24:25], v[34:35], v[20:23]
	v_cvt_pk_f32_fp8_e32 v[24:25], v13
	v_perm_b32 v10, v11, v10, s4
	v_perm_b32 v11, v17, v16, s4
	v_cvt_pk_f32_fp8_sdwa v[12:13], v13 src0_sel:WORD_1
	v_perm_b32 v16, v25, v24, s4
	v_cvt_pk_f32_fp8_e32 v[24:25], v6
	v_mov_b32_e32 v27, 0
	v_perm_b32 v17, v13, v12, s4
	s_waitcnt lgkmcnt(0)
	v_mfma_f32_16x16x16_bf16 v[10:13], v[10:11], v[28:29], v[20:23]
	v_perm_b32 v24, v25, v24, s4
	v_perm_b32 v25, v33, v32, s4
	v_cvt_pk_f32_fp8_e32 v[28:29], v7
	ds_read_b128 v[20:23], v14 offset:4096
	v_cvt_pk_f32_fp8_sdwa v[6:7], v7 src0_sel:WORD_1
	v_mfma_f32_16x16x16_bf16 v[10:13], v[16:17], v[30:31], v[10:13]
	v_perm_b32 v16, v29, v28, s4
	ds_read_b128 v[28:31], v14 offset:4112
	v_perm_b32 v17, v7, v6, s4
	s_waitcnt lgkmcnt(1)
	v_mfma_f32_16x16x16_bf16 v[10:13], v[24:25], v[20:21], v[10:13]
	v_cvt_pk_f32_fp8_e32 v[6:7], v8
	v_cvt_pk_f32_fp8_sdwa v[20:21], v8 src0_sel:WORD_1
	v_perm_b32 v6, v7, v6, s4
	v_mfma_f32_16x16x16_bf16 v[10:13], v[16:17], v[22:23], v[10:13]
	v_cvt_pk_f32_fp8_e32 v[16:17], v9
	v_perm_b32 v7, v21, v20, s4
	v_cvt_pk_f32_fp8_sdwa v[8:9], v9 src0_sel:WORD_1
	s_waitcnt vmcnt(0)
	v_cvt_pk_f32_fp8_e32 v[20:21], v2
	v_perm_b32 v16, v17, v16, s4
	v_cvt_pk_f32_fp8_sdwa v[22:23], v2 src0_sel:WORD_1
	v_perm_b32 v17, v9, v8, s4
	s_waitcnt lgkmcnt(0)
	v_mfma_f32_16x16x16_bf16 v[6:9], v[6:7], v[28:29], v[10:13]
	v_perm_b32 v20, v21, v20, s4
	v_perm_b32 v21, v23, v22, s4
	v_cvt_pk_f32_fp8_e32 v[22:23], v3
	ds_read_b128 v[10:13], v14 offset:6144
	v_cvt_pk_f32_fp8_sdwa v[2:3], v3 src0_sel:WORD_1
	v_mfma_f32_16x16x16_bf16 v[6:9], v[16:17], v[30:31], v[6:9]
	v_perm_b32 v22, v23, v22, s4
	ds_read_b128 v[14:17], v14 offset:6160
	v_perm_b32 v23, v3, v2, s4
	s_waitcnt lgkmcnt(1)
	v_mfma_f32_16x16x16_bf16 v[6:9], v[20:21], v[10:11], v[6:9]
	v_cvt_pk_f32_fp8_e32 v[2:3], v4
	v_cvt_pk_f32_fp8_sdwa v[10:11], v4 src0_sel:WORD_1
	s_waitcnt lgkmcnt(0)
	v_mfma_f32_16x16x16_bf16 v[6:9], v[22:23], v[12:13], v[6:9]
	v_perm_b32 v2, v3, v2, s4
	v_perm_b32 v3, v11, v10, s4
	v_cvt_pk_f32_fp8_e32 v[10:11], v5
	v_cvt_pk_f32_fp8_sdwa v[4:5], v5 src0_sel:WORD_1
	s_barrier
	v_perm_b32 v10, v11, v10, s4
	v_perm_b32 v11, v5, v4, s4
	v_mfma_f32_16x16x16_bf16 v[2:5], v[2:3], v[14:15], v[6:9]
	s_nop 0
	v_mfma_f32_16x16x16_bf16 v[2:5], v[10:11], v[16:17], v[2:5]
	s_nop 6
	v_pk_mul_f32 v[2:3], v[2:3], s[10:11] op_sel_hi:[1,0]
	v_pk_mul_f32 v[4:5], v[4:5], s[10:11] op_sel_hi:[1,0]
	v_bfe_u32 v6, v3, 16, 1
	v_bfe_u32 v7, v2, 16, 1
	v_add3_u32 v2, v2, v7, s8
	v_add3_u32 v3, v3, v6, s8
	v_perm_b32 v2, v3, v2, s4
	v_bfe_u32 v3, v5, 16, 1
	v_bfe_u32 v6, v4, 16, 1
	v_add3_u32 v4, v4, v6, s8
	v_add3_u32 v3, v5, v3, s8
	v_perm_b32 v3, v3, v4, s4
	s_and_b64 s[4:5], vcc, s[30:31]
	ds_write_b64 v18, v[2:3]
	s_waitcnt lgkmcnt(0)
	s_barrier
	s_and_saveexec_b64 s[8:9], s[4:5]
	s_cbranch_execz .LBB1141_20
; %bb.18:
	s_load_dwordx2 s[4:5], s[0:1], 0x68
	s_lshl_b32 s0, s6, 6
	s_mul_i32 s1, s7, s2
	s_mul_hi_u32 s7, s1, s0
	s_mul_i32 s6, s1, s0
	v_lshlrev_b32_e32 v0, 10, v0
	s_lshl_b64 s[6:7], s[6:7], 1
	v_and_b32_e32 v0, 0x1800, v0
	v_lshlrev_b32_e32 v2, 5, v42
	v_and_b32_e32 v1, 16, v1
	s_waitcnt lgkmcnt(0)
	s_add_u32 s1, s4, s6
	v_or3_b32 v2, v0, v2, v1
	s_addc_u32 s4, s5, s7
	s_lshl_b32 s2, s28, 6
	ds_read_b128 v[4:7], v2 offset:256
	s_lshl_b64 s[2:3], s[2:3], 1
	ds_read_b128 v[8:11], v2 offset:128
	ds_read_b128 v[12:15], v2
	s_add_u32 s2, s1, s2
	s_addc_u32 s3, s4, s3
	v_add_u32_e32 v18, s48, v42
	v_lshl_add_u64 v[0:1], s[2:3], 0, v[26:27]
	v_mad_u64_u32 v[16:17], s[2:3], v18, s0, 0
	v_lshl_add_u64 v[16:17], v[16:17], 1, v[0:1]
	s_waitcnt lgkmcnt(0)
	global_store_dwordx4 v[16:17], v[12:15], off
	v_or_b32_e32 v3, 12, v42
	v_cmp_gt_u32_e32 vcc, 14, v3
	v_add_u32_e32 v12, 4, v18
	v_mad_u64_u32 v[12:13], s[2:3], v12, s0, 0
	v_lshl_add_u64 v[12:13], v[12:13], 1, v[0:1]
	global_store_dwordx4 v[12:13], v[8:11], off
	s_nop 1
	v_add_u32_e32 v8, 8, v18
	v_mad_u64_u32 v[8:9], s[2:3], v8, s0, 0
	v_lshl_add_u64 v[8:9], v[8:9], 1, v[0:1]
	global_store_dwordx4 v[8:9], v[4:7], off
	s_and_b64 exec, exec, vcc
	s_cbranch_execz .LBB1141_20
; %bb.19:
	ds_read_b128 v[4:7], v2 offset:384
	v_add_u32_e32 v2, s48, v3
	v_mad_u64_u32 v[2:3], s[0:1], v2, s0, 0
	v_lshl_add_u64 v[0:1], v[2:3], 1, v[0:1]
	s_waitcnt lgkmcnt(0)
	global_store_dwordx4 v[0:1], v[4:7], off
.LBB1141_20:
	s_endpgm
	.section	.rodata,"a",@progbits
	.p2align	6, 0x0
	.amdhsa_kernel _Z39paged_attention_ll4mi_QKV_mfma16_kernelI14__hip_bfloat16hLN4vllm18Fp8KVCacheDataTypeE1ES0_Li16ELi64ELi256ELb1ELi14EEvPKT_PKT0_S8_ifPKiSA_SA_iPKfiiiPfSD_PS3_PT2_iSC_SC_
		.amdhsa_group_segment_fixed_size 8192
		.amdhsa_private_segment_fixed_size 0
		.amdhsa_kernarg_size 400
		.amdhsa_user_sgpr_count 2
		.amdhsa_user_sgpr_dispatch_ptr 0
		.amdhsa_user_sgpr_queue_ptr 0
		.amdhsa_user_sgpr_kernarg_segment_ptr 1
		.amdhsa_user_sgpr_dispatch_id 0
		.amdhsa_user_sgpr_kernarg_preload_length 0
		.amdhsa_user_sgpr_kernarg_preload_offset 0
		.amdhsa_user_sgpr_private_segment_size 0
		.amdhsa_uses_dynamic_stack 0
		.amdhsa_enable_private_segment 0
		.amdhsa_system_sgpr_workgroup_id_x 1
		.amdhsa_system_sgpr_workgroup_id_y 1
		.amdhsa_system_sgpr_workgroup_id_z 1
		.amdhsa_system_sgpr_workgroup_info 0
		.amdhsa_system_vgpr_workitem_id 0
		.amdhsa_next_free_vgpr 67
		.amdhsa_next_free_sgpr 50
		.amdhsa_accum_offset 68
		.amdhsa_reserve_vcc 1
		.amdhsa_float_round_mode_32 0
		.amdhsa_float_round_mode_16_64 0
		.amdhsa_float_denorm_mode_32 3
		.amdhsa_float_denorm_mode_16_64 3
		.amdhsa_dx10_clamp 1
		.amdhsa_ieee_mode 1
		.amdhsa_fp16_overflow 0
		.amdhsa_tg_split 0
		.amdhsa_exception_fp_ieee_invalid_op 0
		.amdhsa_exception_fp_denorm_src 0
		.amdhsa_exception_fp_ieee_div_zero 0
		.amdhsa_exception_fp_ieee_overflow 0
		.amdhsa_exception_fp_ieee_underflow 0
		.amdhsa_exception_fp_ieee_inexact 0
		.amdhsa_exception_int_div_zero 0
	.end_amdhsa_kernel
	.section	.text._Z39paged_attention_ll4mi_QKV_mfma16_kernelI14__hip_bfloat16hLN4vllm18Fp8KVCacheDataTypeE1ES0_Li16ELi64ELi256ELb1ELi14EEvPKT_PKT0_S8_ifPKiSA_SA_iPKfiiiPfSD_PS3_PT2_iSC_SC_,"axG",@progbits,_Z39paged_attention_ll4mi_QKV_mfma16_kernelI14__hip_bfloat16hLN4vllm18Fp8KVCacheDataTypeE1ES0_Li16ELi64ELi256ELb1ELi14EEvPKT_PKT0_S8_ifPKiSA_SA_iPKfiiiPfSD_PS3_PT2_iSC_SC_,comdat
.Lfunc_end1141:
	.size	_Z39paged_attention_ll4mi_QKV_mfma16_kernelI14__hip_bfloat16hLN4vllm18Fp8KVCacheDataTypeE1ES0_Li16ELi64ELi256ELb1ELi14EEvPKT_PKT0_S8_ifPKiSA_SA_iPKfiiiPfSD_PS3_PT2_iSC_SC_, .Lfunc_end1141-_Z39paged_attention_ll4mi_QKV_mfma16_kernelI14__hip_bfloat16hLN4vllm18Fp8KVCacheDataTypeE1ES0_Li16ELi64ELi256ELb1ELi14EEvPKT_PKT0_S8_ifPKiSA_SA_iPKfiiiPfSD_PS3_PT2_iSC_SC_
                                        ; -- End function
	.section	.AMDGPU.csdata,"",@progbits
; Kernel info:
; codeLenInByte = 5168
; NumSgprs: 56
; NumVgprs: 67
; NumAgprs: 0
; TotalNumVgprs: 67
; ScratchSize: 0
; MemoryBound: 0
; FloatMode: 240
; IeeeMode: 1
; LDSByteSize: 8192 bytes/workgroup (compile time only)
; SGPRBlocks: 6
; VGPRBlocks: 8
; NumSGPRsForWavesPerEU: 56
; NumVGPRsForWavesPerEU: 67
; AccumOffset: 68
; Occupancy: 7
; WaveLimiterHint : 1
; COMPUTE_PGM_RSRC2:SCRATCH_EN: 0
; COMPUTE_PGM_RSRC2:USER_SGPR: 2
; COMPUTE_PGM_RSRC2:TRAP_HANDLER: 0
; COMPUTE_PGM_RSRC2:TGID_X_EN: 1
; COMPUTE_PGM_RSRC2:TGID_Y_EN: 1
; COMPUTE_PGM_RSRC2:TGID_Z_EN: 1
; COMPUTE_PGM_RSRC2:TIDIG_COMP_CNT: 0
; COMPUTE_PGM_RSRC3_GFX90A:ACCUM_OFFSET: 16
; COMPUTE_PGM_RSRC3_GFX90A:TG_SPLIT: 0
	.section	.text._Z39paged_attention_ll4mi_QKV_mfma16_kernelI14__hip_bfloat16hLN4vllm18Fp8KVCacheDataTypeE1ES0_Li16ELi64ELi256ELb1ELi15EEvPKT_PKT0_S8_ifPKiSA_SA_iPKfiiiPfSD_PS3_PT2_iSC_SC_,"axG",@progbits,_Z39paged_attention_ll4mi_QKV_mfma16_kernelI14__hip_bfloat16hLN4vllm18Fp8KVCacheDataTypeE1ES0_Li16ELi64ELi256ELb1ELi15EEvPKT_PKT0_S8_ifPKiSA_SA_iPKfiiiPfSD_PS3_PT2_iSC_SC_,comdat
	.protected	_Z39paged_attention_ll4mi_QKV_mfma16_kernelI14__hip_bfloat16hLN4vllm18Fp8KVCacheDataTypeE1ES0_Li16ELi64ELi256ELb1ELi15EEvPKT_PKT0_S8_ifPKiSA_SA_iPKfiiiPfSD_PS3_PT2_iSC_SC_ ; -- Begin function _Z39paged_attention_ll4mi_QKV_mfma16_kernelI14__hip_bfloat16hLN4vllm18Fp8KVCacheDataTypeE1ES0_Li16ELi64ELi256ELb1ELi15EEvPKT_PKT0_S8_ifPKiSA_SA_iPKfiiiPfSD_PS3_PT2_iSC_SC_
	.globl	_Z39paged_attention_ll4mi_QKV_mfma16_kernelI14__hip_bfloat16hLN4vllm18Fp8KVCacheDataTypeE1ES0_Li16ELi64ELi256ELb1ELi15EEvPKT_PKT0_S8_ifPKiSA_SA_iPKfiiiPfSD_PS3_PT2_iSC_SC_
	.p2align	8
	.type	_Z39paged_attention_ll4mi_QKV_mfma16_kernelI14__hip_bfloat16hLN4vllm18Fp8KVCacheDataTypeE1ES0_Li16ELi64ELi256ELb1ELi15EEvPKT_PKT0_S8_ifPKiSA_SA_iPKfiiiPfSD_PS3_PT2_iSC_SC_,@function
_Z39paged_attention_ll4mi_QKV_mfma16_kernelI14__hip_bfloat16hLN4vllm18Fp8KVCacheDataTypeE1ES0_Li16ELi64ELi256ELb1ELi15EEvPKT_PKT0_S8_ifPKiSA_SA_iPKfiiiPfSD_PS3_PT2_iSC_SC_: ; @_Z39paged_attention_ll4mi_QKV_mfma16_kernelI14__hip_bfloat16hLN4vllm18Fp8KVCacheDataTypeE1ES0_Li16ELi64ELi256ELb1ELi15EEvPKT_PKT0_S8_ifPKiSA_SA_iPKfiiiPfSD_PS3_PT2_iSC_SC_
; %bb.0:
	s_load_dwordx2 s[6:7], s[0:1], 0x30
	s_mov_b32 s28, s3
	s_mov_b64 s[8:9], 0
	s_waitcnt lgkmcnt(0)
	s_cmp_lg_u64 s[6:7], 0
	s_cselect_b64 s[10:11], -1, 0
	s_and_b64 vcc, exec, s[10:11]
	s_cbranch_vccz .LBB1142_7
; %bb.1:
	s_add_i32 s12, s2, 1
	s_mov_b32 s13, 0
	s_lshl_b64 s[14:15], s[12:13], 2
	s_add_u32 s14, s6, s14
	s_mov_b32 s3, s13
	s_addc_u32 s15, s7, s15
	s_lshl_b64 s[12:13], s[2:3], 2
	s_add_u32 s12, s6, s12
	s_addc_u32 s13, s7, s13
	s_load_dword s5, s[14:15], 0x0
	s_load_dword s16, s[12:13], 0x0
	s_waitcnt lgkmcnt(0)
	s_sub_i32 s5, s5, s16
	s_cmp_eq_u32 s5, 1
	s_cselect_b64 s[12:13], -1, 0
	s_andn2_b64 vcc, exec, s[8:9]
	s_cbranch_vccnz .LBB1142_3
.LBB1142_2:
	s_mov_b32 s3, 0
	s_mov_b64 s[12:13], -1
.LBB1142_3:
	s_andn2_b64 vcc, exec, s[12:13]
	s_cbranch_vccnz .LBB1142_20
; %bb.4:
	s_load_dwordx2 s[8:9], s[0:1], 0x28
	s_lshl_b64 s[12:13], s[2:3], 2
	s_waitcnt lgkmcnt(0)
	s_add_u32 s8, s8, s12
	s_addc_u32 s9, s9, s13
	s_load_dword s29, s[8:9], 0x0
	s_lshl_b32 s16, s28, 8
	s_waitcnt lgkmcnt(0)
	s_cmp_ge_i32 s16, s29
	s_cbranch_scc1 .LBB1142_20
; %bb.5:
	s_load_dwordx2 s[8:9], s[0:1], 0x20
	s_load_dword s5, s[0:1], 0x38
	s_add_i32 s14, s29, 15
	s_ashr_i32 s15, s14, 31
	v_and_b32_e32 v1, 0xcf, v0
	s_lshr_b32 s15, s15, 28
	v_add_u32_e32 v1, s16, v1
	s_add_i32 s14, s14, s15
	v_ashrrev_i32_e32 v2, 31, v1
	s_ashr_i32 s17, s14, 4
	v_lshrrev_b32_e32 v4, 28, v2
	s_add_i32 s17, s17, -1
	s_waitcnt lgkmcnt(0)
	s_mul_i32 s14, s2, s5
	s_mov_b32 s15, 0
	v_add_u32_e32 v2, v1, v4
	s_lshl_b64 s[14:15], s[14:15], 2
	v_ashrrev_i32_e32 v2, 4, v2
	v_mov_b32_e32 v5, s17
	v_cmp_gt_i32_e32 vcc, s29, v1
	s_add_u32 s8, s8, s14
	s_addc_u32 s9, s9, s15
	v_cndmask_b32_e32 v2, v5, v2, vcc
	v_ashrrev_i32_e32 v3, 31, v2
	v_lshl_add_u64 v[6:7], v[2:3], 2, s[8:9]
	v_or_b32_e32 v2, 16, v1
	v_add_u32_e32 v3, v2, v4
	v_ashrrev_i32_e32 v3, 4, v3
	v_cmp_gt_i32_e32 vcc, s29, v2
	s_load_dwordx2 s[14:15], s[0:1], 0x8
	s_nop 0
	v_cndmask_b32_e32 v2, v5, v3, vcc
	v_ashrrev_i32_e32 v3, 31, v2
	v_lshl_add_u64 v[8:9], v[2:3], 2, s[8:9]
	v_or_b32_e32 v2, 32, v1
	v_add_u32_e32 v3, v2, v4
	v_ashrrev_i32_e32 v3, 4, v3
	v_cmp_gt_i32_e32 vcc, s29, v2
	v_or_b32_e32 v1, 48, v1
	s_nop 0
	v_cndmask_b32_e32 v2, v5, v3, vcc
	v_ashrrev_i32_e32 v3, 31, v2
	v_lshl_add_u64 v[10:11], v[2:3], 2, s[8:9]
	v_add_u32_e32 v2, v1, v4
	v_ashrrev_i32_e32 v2, 4, v2
	v_cmp_gt_i32_e32 vcc, s29, v1
	s_nop 1
	v_cndmask_b32_e32 v2, v5, v2, vcc
	v_ashrrev_i32_e32 v3, 31, v2
	v_lshl_add_u64 v[12:13], v[2:3], 2, s[8:9]
	global_load_dword v5, v[6:7], off
	global_load_dword v4, v[8:9], off
	;; [unrolled: 1-line block ×4, first 2 shown]
	s_andn2_b64 vcc, exec, s[10:11]
	s_cbranch_vccnz .LBB1142_8
; %bb.6:
	s_add_u32 s6, s6, s12
	s_addc_u32 s7, s7, s13
	s_load_dword s5, s[6:7], 0x0
	s_branch .LBB1142_9
.LBB1142_7:
	s_mov_b64 s[12:13], 0
	s_branch .LBB1142_2
.LBB1142_8:
	s_mov_b32 s5, s2
.LBB1142_9:
	s_load_dwordx2 s[6:7], s[0:1], 0x10
	s_load_dwordx4 s[44:47], s[0:1], 0x48
	v_lshrrev_b32_e32 v29, 6, v0
	v_bfe_u32 v42, v0, 4, 2
	v_lshl_or_b32 v6, v29, 2, v42
	v_and_b32_e32 v28, 15, v0
	v_lshlrev_b32_e32 v1, 3, v28
	v_cmp_gt_u32_e32 vcc, 15, v6
	v_cmp_gt_u32_e64 s[30:31], 8, v28
	s_mul_i32 s48, s4, 15
	s_and_b64 s[12:13], s[30:31], vcc
	v_lshlrev_b32_e32 v26, 1, v1
	v_lshlrev_b32_e32 v1, 4, v0
	s_and_saveexec_b64 s[10:11], s[12:13]
	s_cbranch_execz .LBB1142_11
; %bb.10:
	s_load_dwordx2 s[12:13], s[0:1], 0x0
	s_waitcnt lgkmcnt(0)
	s_ashr_i32 s18, s44, 31
	s_mul_hi_u32 s19, s5, s44
	s_mul_i32 s18, s5, s18
	s_add_i32 s19, s19, s18
	s_mul_i32 s18, s5, s44
	s_lshl_b64 s[18:19], s[18:19], 1
	s_add_u32 s12, s12, s18
	v_add_lshl_u32 v8, v6, s48, 6
	s_addc_u32 s13, s13, s19
	v_ashrrev_i32_e32 v9, 31, v8
	v_lshl_add_u64 v[8:9], v[8:9], 1, s[12:13]
	v_mov_b32_e32 v27, 0
	v_lshl_add_u64 v[8:9], v[8:9], 0, v[26:27]
	global_load_dwordx4 v[8:11], v[8:9], off
	v_lshlrev_b32_e32 v12, 8, v28
	v_lshlrev_b32_e32 v6, 5, v6
	v_and_b32_e32 v7, 16, v1
	v_and_b32_e32 v12, 0xe00, v12
	v_or3_b32 v6, v12, v6, v7
	s_waitcnt vmcnt(0)
	ds_write_b128 v6, v[8:11]
.LBB1142_11:
	s_or_b64 exec, exec, s[10:11]
	s_waitcnt lgkmcnt(0)
	s_mul_i32 s10, s4, s46
	s_add_u32 s4, s14, s10
	v_mov_b32_e32 v31, 0
	s_addc_u32 s5, s15, 0
	v_and_b32_e32 v32, 48, v0
	v_and_b32_e32 v30, 0xf0, v1
	v_lshl_add_u64 v[6:7], s[4:5], 0, v[30:31]
	v_lshlrev_b32_e32 v30, 4, v32
	v_lshl_add_u64 v[6:7], v[6:7], 0, v[30:31]
	s_waitcnt vmcnt(3)
	v_mad_i64_i32 v[8:9], s[4:5], v5, s45, v[6:7]
	s_waitcnt vmcnt(2)
	v_mad_i64_i32 v[4:5], s[4:5], v4, s45, v[6:7]
	s_barrier
	global_load_dwordx4 v[22:25], v[8:9], off
	global_load_dwordx4 v[18:21], v[4:5], off
	s_waitcnt vmcnt(3)
	v_mad_i64_i32 v[4:5], s[4:5], v3, s45, v[6:7]
	s_waitcnt vmcnt(2)
	v_mad_i64_i32 v[2:3], s[4:5], v2, s45, v[6:7]
	global_load_dwordx4 v[14:17], v[4:5], off
	global_load_dwordx4 v[6:9], v[2:3], off
	v_cmp_ne_u32_e32 vcc, 15, v28
	v_and_b32_e32 v27, 63, v0
	v_mov_b32_e32 v43, 0
	v_cndmask_b32_e32 v2, 0, v28, vcc
	v_lshlrev_b32_e32 v2, 5, v2
	v_lshl_or_b32 v2, v42, 9, v2
	ds_read_b128 v[10:13], v2
	ds_read_b128 v[2:5], v2 offset:16
	s_and_saveexec_b64 s[4:5], vcc
	s_cbranch_execz .LBB1142_13
; %bb.12:
	s_load_dwordx2 s[12:13], s[0:1], 0x40
	v_add_u32_e32 v34, s48, v28
	v_ashrrev_i32_e32 v35, 31, v34
	s_waitcnt lgkmcnt(0)
	v_lshl_add_u64 v[34:35], v[34:35], 2, s[12:13]
	global_load_dword v43, v[34:35], off
.LBB1142_13:
	s_or_b64 exec, exec, s[4:5]
	v_or_b32_e32 v62, s16, v32
	v_ashrrev_i32_e32 v30, 4, v62
	v_mov_b32_e32 v63, s17
	v_cmp_gt_i32_e32 vcc, s29, v62
	s_waitcnt vmcnt(2)
	v_cvt_pk_f32_fp8_e32 v[52:53], v20
	v_cvt_pk_f32_fp8_sdwa v[54:55], v20 src0_sel:WORD_1
	v_cndmask_b32_e32 v20, v63, v30, vcc
	v_cvt_pk_f32_fp8_e32 v[56:57], v21
	v_cvt_pk_f32_fp8_sdwa v[58:59], v21 src0_sel:WORD_1
	v_ashrrev_i32_e32 v21, 31, v20
	v_cvt_pk_f32_fp8_e32 v[40:41], v22
	v_cvt_pk_f32_fp8_sdwa v[44:45], v22 src0_sel:WORD_1
	v_lshl_add_u64 v[20:21], v[20:21], 2, s[8:9]
	v_cvt_pk_f32_fp8_e32 v[46:47], v18
	v_cvt_pk_f32_fp8_sdwa v[48:49], v18 src0_sel:WORD_1
	global_load_dword v64, v[20:21], off
	s_mov_b32 s33, 0x7060302
	v_cvt_pk_f32_fp8_e32 v[32:33], v23
	v_cvt_pk_f32_fp8_sdwa v[34:35], v23 src0_sel:WORD_1
	v_perm_b32 v20, v41, v40, s33
	v_perm_b32 v21, v45, v44, s33
	v_cvt_pk_f32_fp8_e32 v[38:39], v24
	v_cvt_pk_f32_fp8_sdwa v[36:37], v24 src0_sel:WORD_1
	v_cvt_pk_f32_fp8_e32 v[50:51], v19
	v_cvt_pk_f32_fp8_sdwa v[18:19], v19 src0_sel:WORD_1
	v_perm_b32 v44, v47, v46, s33
	v_perm_b32 v45, v49, v48, s33
	v_cvt_pk_f32_fp8_e32 v[22:23], v25
	s_waitcnt vmcnt(2)
	v_cvt_pk_f32_fp8_e32 v[40:41], v14
	v_cvt_pk_f32_fp8_sdwa v[46:47], v14 src0_sel:WORD_1
	v_perm_b32 v48, v33, v32, s33
	v_perm_b32 v49, v35, v34, s33
	v_or_b32_e32 v14, 64, v62
	v_or_b32_e32 v32, 0xc0, v62
	v_cvt_pk_f32_fp8_sdwa v[24:25], v25 src0_sel:WORD_1
	s_load_dword s11, s[0:1], 0x1c
	s_load_dwordx4 s[40:43], s[0:1], 0x80
	v_perm_b32 v38, v39, v38, s33
	v_perm_b32 v39, v37, v36, s33
	v_or_b32_e32 v65, 0x80, v62
	v_ashrrev_i32_e32 v62, 4, v14
	v_cmp_gt_i32_e32 vcc, s29, v32
	v_ashrrev_i32_e32 v66, 4, v32
	v_cmp_gt_i32_e64 s[4:5], s29, v14
	v_perm_b32 v36, v51, v50, s33
	v_perm_b32 v37, v19, v18, s33
	s_waitcnt lgkmcnt(0)
	v_mfma_f32_16x16x16_bf16 v[32:35], v[20:21], v[10:11], 0
	s_add_u32 s6, s6, s10
	v_lshlrev_b32_e32 v30, 4, v28
	v_cndmask_b32_e64 v50, v63, v62, s[4:5]
	v_perm_b32 v62, v23, v22, s33
	v_mfma_f32_16x16x16_bf16 v[20:23], v[44:45], v[10:11], 0
	v_lshl_or_b32 v30, v29, 8, v30
	s_addc_u32 s7, s7, 0
	v_ashrrev_i32_e32 v14, 4, v65
	v_lshl_add_u64 v[18:19], s[6:7], 0, v[30:31]
	v_cmp_gt_i32_e64 s[6:7], s29, v65
	v_mfma_f32_16x16x16_bf16 v[30:33], v[48:49], v[12:13], v[32:35]
	v_cndmask_b32_e32 v48, v63, v66, vcc
	s_load_dword s4, s[40:41], 0x0
	v_cvt_pk_f32_fp8_e32 v[60:61], v15
	v_cndmask_b32_e64 v34, v63, v14, s[6:7]
	v_perm_b32 v63, v25, v24, s33
	v_perm_b32 v24, v53, v52, s33
	v_perm_b32 v25, v55, v54, s33
	v_mfma_f32_16x16x16_bf16 v[20:23], v[36:37], v[12:13], v[20:23]
	v_perm_b32 v40, v41, v40, s33
	v_perm_b32 v41, v47, v46, s33
	v_ashrrev_i32_e32 v51, 31, v50
	v_mfma_f32_16x16x16_bf16 v[20:23], v[24:25], v[2:3], v[20:23]
	v_mov_b32_e32 v24, s11
	s_waitcnt lgkmcnt(0)
	v_mul_f32_e32 v54, s4, v24
	v_cvt_pk_f32_fp8_sdwa v[24:25], v15 src0_sel:WORD_1
	v_mfma_f32_16x16x16_bf16 v[30:33], v[38:39], v[2:3], v[30:33]
	v_ashrrev_i32_e32 v35, 31, v34
	v_ashrrev_i32_e32 v49, 31, v48
	v_lshl_add_u64 v[36:37], v[50:51], 2, s[8:9]
	v_lshl_add_u64 v[34:35], v[34:35], 2, s[8:9]
	;; [unrolled: 1-line block ×3, first 2 shown]
	global_load_dword v14, v[36:37], off
	global_load_dword v44, v[34:35], off
	;; [unrolled: 1-line block ×3, first 2 shown]
	v_perm_b32 v46, v61, v60, s33
	v_cvt_pk_f32_fp8_e32 v[48:49], v16
	v_cvt_pk_f32_fp8_sdwa v[50:51], v16 src0_sel:WORD_1
	v_perm_b32 v47, v25, v24, s33
	v_mfma_f32_16x16x16_bf16 v[36:39], v[62:63], v[4:5], v[30:33]
	v_perm_b32 v24, v49, v48, s33
	v_perm_b32 v25, v51, v50, s33
	;; [unrolled: 1-line block ×3, first 2 shown]
	v_mfma_f32_16x16x16_bf16 v[30:33], v[40:41], v[10:11], 0
	v_cvt_pk_f32_fp8_e32 v[40:41], v17
	v_cvt_pk_f32_fp8_sdwa v[16:17], v17 src0_sel:WORD_1
	v_perm_b32 v53, v59, v58, s33
	v_mfma_f32_16x16x16_bf16 v[46:49], v[46:47], v[12:13], v[30:33]
	s_mov_b32 s44, 0xff7fffff
	s_waitcnt vmcnt(3)
	v_mad_i64_i32 v[34:35], s[4:5], v64, s45, v[18:19]
	v_perm_b32 v32, v41, v40, s33
	v_perm_b32 v33, v17, v16, s33
	v_mfma_f32_16x16x16_bf16 v[46:49], v[24:25], v[2:3], v[46:49]
	v_cvt_pk_f32_fp8_e32 v[16:17], v6
	v_cvt_pk_f32_fp8_sdwa v[24:25], v6 src0_sel:WORD_1
	v_pk_mul_f32 v[30:31], v[54:55], v[38:39] op_sel_hi:[0,1]
	v_mfma_f32_16x16x16_bf16 v[46:49], v[32:33], v[4:5], v[46:49]
	v_cvt_pk_f32_fp8_e32 v[32:33], v7
	v_perm_b32 v16, v17, v16, s33
	v_perm_b32 v17, v25, v24, s33
	v_cvt_pk_f32_fp8_sdwa v[6:7], v7 src0_sel:WORD_1
	v_pk_mul_f32 v[38:39], v[54:55], v[36:37] op_sel_hi:[0,1]
	v_perm_b32 v24, v33, v32, s33
	v_cvt_pk_f32_fp8_e32 v[32:33], v8
	v_cvt_pk_f32_fp8_sdwa v[36:37], v8 src0_sel:WORD_1
	v_perm_b32 v25, v7, v6, s33
	v_mfma_f32_16x16x16_bf16 v[20:23], v[52:53], v[4:5], v[20:23]
	v_mfma_f32_16x16x16_bf16 v[50:53], v[16:17], v[10:11], 0
	v_perm_b32 v10, v33, v32, s33
	v_perm_b32 v11, v37, v36, s33
	v_cvt_pk_f32_fp8_e32 v[16:17], v9
	v_cvt_pk_f32_fp8_sdwa v[32:33], v9 src0_sel:WORD_1
	v_mfma_f32_16x16x16_bf16 v[6:9], v[24:25], v[12:13], v[50:53]
	s_nop 0
	v_pk_mul_f32 v[36:37], v[54:55], v[22:23] op_sel_hi:[0,1]
	v_perm_b32 v12, v17, v16, s33
	v_perm_b32 v13, v33, v32, s33
	v_mfma_f32_16x16x16_bf16 v[6:9], v[10:11], v[2:3], v[6:9]
	v_pk_mul_f32 v[40:41], v[54:55], v[20:21] op_sel_hi:[0,1]
	v_pk_mul_f32 v[24:25], v[54:55], v[48:49] op_sel_hi:[0,1]
	;; [unrolled: 1-line block ×3, first 2 shown]
	v_mfma_f32_16x16x16_bf16 v[2:5], v[12:13], v[4:5], v[6:9]
	s_nop 6
	v_pk_mul_f32 v[22:23], v[54:55], v[2:3] op_sel_hi:[0,1]
	v_and_b32_e32 v2, 0xc0, v0
	v_add_u32_e32 v2, s16, v2
	v_lshl_or_b32 v2, v42, 2, v2
	v_or_b32_e32 v3, 1, v2
	v_pk_mul_f32 v[20:21], v[54:55], v[4:5] op_sel_hi:[0,1]
	v_subrev_u32_e32 v4, s29, v3
	v_add_u32_e32 v6, 1, v4
	v_add_u32_e32 v7, 2, v4
	;; [unrolled: 1-line block ×3, first 2 shown]
	v_cvt_f32_i32_e32 v6, v6
	v_cvt_f32_i32_e32 v7, v7
	v_cvt_f32_i32_e32 v8, v8
	v_add_u32_e32 v9, 19, v4
	v_fmac_f32_e32 v39, v43, v6
	v_fma_f32 v30, v43, v7, v30
	v_fmac_f32_e32 v31, v43, v8
	v_add_u32_e32 v6, 16, v4
	v_add_u32_e32 v7, 17, v4
	;; [unrolled: 1-line block ×3, first 2 shown]
	v_cvt_f32_i32_e32 v6, v6
	v_cvt_f32_i32_e32 v7, v7
	;; [unrolled: 1-line block ×4, first 2 shown]
	v_fma_f32 v40, v43, v6, v40
	v_fmac_f32_e32 v41, v43, v7
	v_fma_f32 v36, v43, v8, v36
	v_add_u32_e32 v6, 32, v4
	v_add_u32_e32 v7, 33, v4
	;; [unrolled: 1-line block ×3, first 2 shown]
	v_cvt_f32_i32_e32 v6, v6
	v_cvt_f32_i32_e32 v7, v7
	;; [unrolled: 1-line block ×4, first 2 shown]
	v_fmac_f32_e32 v37, v43, v9
	v_add_u32_e32 v9, 35, v4
	v_fma_f32 v32, v43, v6, v32
	v_fmac_f32_e32 v33, v43, v7
	v_fma_f32 v24, v43, v8, v24
	v_add_u32_e32 v6, 48, v4
	v_add_u32_e32 v7, 49, v4
	;; [unrolled: 1-line block ×4, first 2 shown]
	v_cvt_f32_i32_e32 v4, v4
	v_cvt_f32_i32_e32 v6, v6
	;; [unrolled: 1-line block ×3, first 2 shown]
	v_fma_f32 v5, v43, v5, v38
	v_fmac_f32_e32 v21, v43, v4
	v_mov_b32_e32 v4, 0xff7fffff
	v_cmp_gt_i32_e64 s[4:5], s29, v2
	v_cmp_gt_i32_e64 s[34:35], s29, v3
	v_fma_f32 v22, v43, v6, v22
	v_cndmask_b32_e64 v6, v4, v5, s[4:5]
	v_cndmask_b32_e64 v3, v4, v39, s[34:35]
	v_fmac_f32_e32 v23, v43, v7
	v_max3_f32 v3, v6, s44, v3
	v_or_b32_e32 v6, 2, v2
	v_or_b32_e32 v7, 3, v2
	v_cmp_gt_i32_e64 s[36:37], s29, v6
	v_cmp_gt_i32_e64 s[38:39], s29, v7
	v_cvt_f32_i32_e32 v9, v9
	v_cndmask_b32_e64 v6, v4, v30, s[36:37]
	v_cndmask_b32_e64 v7, v4, v31, s[38:39]
	v_max3_f32 v3, v3, v6, v7
	v_or_b32_e32 v6, 16, v2
	v_or_b32_e32 v7, 17, v2
	v_cmp_gt_i32_e64 s[24:25], s29, v6
	v_cmp_gt_i32_e64 s[26:27], s29, v7
	v_fmac_f32_e32 v25, v43, v9
	v_cndmask_b32_e64 v6, v4, v40, s[24:25]
	v_cndmask_b32_e64 v7, v4, v41, s[26:27]
	v_max3_f32 v3, v3, v6, v7
	v_or_b32_e32 v6, 18, v2
	v_or_b32_e32 v7, 19, v2
	v_cmp_gt_i32_e64 s[20:21], s29, v6
	v_cmp_gt_i32_e64 s[22:23], s29, v7
	v_cvt_f32_i32_e32 v8, v8
	v_cndmask_b32_e64 v6, v4, v36, s[20:21]
	v_cndmask_b32_e64 v7, v4, v37, s[22:23]
	v_max3_f32 v3, v3, v6, v7
	v_or_b32_e32 v6, 32, v2
	v_or_b32_e32 v7, 33, v2
	v_cmp_gt_i32_e64 s[16:17], s29, v6
	v_cmp_gt_i32_e64 s[18:19], s29, v7
	v_fma_f32 v20, v43, v8, v20
	v_cndmask_b32_e64 v6, v4, v32, s[16:17]
	v_cndmask_b32_e64 v7, v4, v33, s[18:19]
	v_max3_f32 v3, v3, v6, v7
	v_or_b32_e32 v6, 34, v2
	v_or_b32_e32 v7, 35, v2
	v_cmp_gt_i32_e64 s[12:13], s29, v6
	v_cmp_gt_i32_e64 s[14:15], s29, v7
	s_nop 0
	v_cndmask_b32_e64 v6, v4, v24, s[12:13]
	v_cndmask_b32_e64 v7, v4, v25, s[14:15]
	v_max3_f32 v3, v3, v6, v7
	v_or_b32_e32 v6, 48, v2
	v_or_b32_e32 v7, 49, v2
	v_cmp_gt_i32_e64 s[8:9], s29, v6
	v_cmp_gt_i32_e64 s[10:11], s29, v7
	s_nop 0
	v_cndmask_b32_e64 v6, v4, v22, s[8:9]
	v_cndmask_b32_e64 v7, v4, v23, s[10:11]
	v_max3_f32 v3, v3, v6, v7
	v_or_b32_e32 v6, 50, v2
	v_or_b32_e32 v2, 51, v2
	v_cmp_gt_i32_e32 vcc, s29, v6
	v_cmp_gt_i32_e64 s[6:7], s29, v2
	s_nop 0
	v_cndmask_b32_e32 v6, v4, v20, vcc
	v_cndmask_b32_e64 v2, v4, v21, s[6:7]
	v_max3_f32 v4, v3, v6, v2
	v_mbcnt_lo_u32_b32 v2, -1, 0
	v_mbcnt_hi_u32_b32 v6, -1, v2
	v_and_b32_e32 v2, 64, v6
	v_add_u32_e32 v7, 64, v2
	v_xor_b32_e32 v2, 32, v6
	v_cmp_lt_i32_e64 s[40:41], v2, v7
	s_nop 1
	v_cndmask_b32_e64 v2, v6, v2, s[40:41]
	v_lshlrev_b32_e32 v43, 2, v2
	ds_bpermute_b32 v8, v43, v4
	s_waitcnt vmcnt(2)
	v_mad_i64_i32 v[2:3], s[40:41], v14, s45, v[18:19]
	global_load_dwordx4 v[14:17], v[34:35], off
	global_load_dwordx4 v[10:13], v[2:3], off
	v_xor_b32_e32 v3, 16, v6
	v_cmp_lt_i32_e64 s[40:41], v3, v7
	s_waitcnt lgkmcnt(0)
	v_max_f32_e32 v2, v8, v8
	v_max_f32_e32 v2, v4, v2
	v_cndmask_b32_e64 v3, v6, v3, s[40:41]
	v_lshlrev_b32_e32 v46, 2, v3
	ds_bpermute_b32 v3, v46, v2
	s_waitcnt vmcnt(3)
	v_mad_i64_i32 v[34:35], s[40:41], v44, s45, v[18:19]
	s_waitcnt vmcnt(2)
	v_mad_i64_i32 v[18:19], s[40:41], v45, s45, v[18:19]
	s_waitcnt lgkmcnt(0)
	v_max_f32_e32 v3, v3, v3
	v_max_f32_e32 v38, v2, v3
	v_sub_f32_e32 v2, v5, v38
	v_mul_f32_e32 v2, 0x3fb8aa3b, v2
	v_exp_f32_e32 v44, v2
	v_sub_f32_e32 v2, v39, v38
	v_mul_f32_e32 v2, 0x3fb8aa3b, v2
	v_exp_f32_e32 v39, v2
	global_load_dwordx4 v[6:9], v[34:35], off
	global_load_dwordx4 v[2:5], v[18:19], off
	v_sub_f32_e32 v30, v30, v38
	v_mul_f32_e32 v30, 0x3fb8aa3b, v30
	v_sub_f32_e32 v31, v31, v38
	v_exp_f32_e32 v30, v30
	v_mul_f32_e32 v31, 0x3fb8aa3b, v31
	v_exp_f32_e32 v31, v31
	v_cndmask_b32_e64 v18, 0, v44, s[4:5]
	v_add_f32_e32 v34, 0, v18
	v_cndmask_b32_e64 v19, 0, v39, s[34:35]
	v_add_f32_e32 v35, v34, v19
	;; [unrolled: 2-line block ×3, first 2 shown]
	v_cndmask_b32_e64 v35, 0, v31, s[38:39]
	v_sub_f32_e32 v31, v40, v38
	v_mul_f32_e32 v31, 0x3fb8aa3b, v31
	v_sub_f32_e32 v39, v41, v38
	v_exp_f32_e32 v31, v31
	v_mul_f32_e32 v39, 0x3fb8aa3b, v39
	v_sub_f32_e32 v36, v36, v38
	v_exp_f32_e32 v39, v39
	;; [unrolled: 3-line block ×4, first 2 shown]
	v_mul_f32_e32 v32, 0x3fb8aa3b, v32
	v_sub_f32_e32 v33, v33, v38
	v_add_f32_e32 v40, v30, v35
	v_cndmask_b32_e64 v30, 0, v31, s[24:25]
	v_exp_f32_e32 v32, v32
	v_mul_f32_e32 v33, 0x3fb8aa3b, v33
	v_sub_f32_e32 v24, v24, v38
	v_add_f32_e32 v40, v40, v30
	v_cndmask_b32_e64 v31, 0, v39, s[26:27]
	v_exp_f32_e32 v33, v33
	;; [unrolled: 5-line block ×7, first 2 shown]
	v_mul_f32_e32 v21, 0x3fb8aa3b, v21
	v_add_f32_e32 v39, v39, v24
	v_cndmask_b32_e64 v25, 0, v25, s[14:15]
	v_exp_f32_e32 v21, v21
	v_add_f32_e32 v39, v39, v25
	v_cndmask_b32_e64 v22, 0, v22, s[8:9]
	v_add_f32_e32 v39, v39, v22
	v_cndmask_b32_e64 v23, 0, v23, s[10:11]
	v_add_f32_e32 v39, v39, v23
	v_cndmask_b32_e32 v20, 0, v20, vcc
	v_add_f32_e32 v39, v39, v20
	v_cndmask_b32_e64 v21, 0, v21, s[6:7]
	v_add_f32_e32 v39, v39, v21
	ds_bpermute_b32 v40, v43, v39
	s_load_dword s7, s[0:1], 0x98
	v_cmp_gt_u32_e32 vcc, 16, v27
	s_waitcnt lgkmcnt(0)
	s_barrier
	v_add_f32_e32 v40, v39, v40
	ds_bpermute_b32 v41, v46, v40
	v_lshlrev_b32_e32 v39, 2, v28
	s_waitcnt lgkmcnt(0)
	s_and_saveexec_b64 s[4:5], vcc
	s_cbranch_execz .LBB1142_15
; %bb.14:
	v_add_f32_e32 v27, v40, v41
	v_lshl_or_b32 v40, v29, 6, v39
	ds_write2st64_b32 v40, v38, v27 offset1:1
.LBB1142_15:
	s_or_b64 exec, exec, s[4:5]
	s_load_dword s6, s[0:1], 0x94
	s_waitcnt lgkmcnt(0)
	s_barrier
	ds_read2_b32 v[40:41], v39 offset1:16
	ds_read2_b32 v[44:45], v39 offset0:32 offset1:48
	ds_read2_b32 v[46:47], v39 offset0:64 offset1:80
	s_movk_i32 s8, 0x7fff
	s_mul_i32 s7, s7, 15
	s_waitcnt lgkmcnt(2)
	v_max3_f32 v27, v40, s44, v41
	s_waitcnt lgkmcnt(1)
	v_max3_f32 v27, v27, v44, v45
	v_sub_f32_e32 v38, v40, v27
	v_mul_f32_e32 v38, 0x3fb8aa3b, v38
	v_exp_f32_e32 v43, v38
	v_sub_f32_e32 v38, v41, v27
	v_mul_f32_e32 v38, 0x3fb8aa3b, v38
	v_exp_f32_e32 v48, v38
	;; [unrolled: 3-line block ×3, first 2 shown]
	ds_read2_b32 v[40:41], v39 offset0:96 offset1:112
	v_sub_f32_e32 v38, v45, v27
	v_mul_f32_e32 v38, 0x3fb8aa3b, v38
	v_exp_f32_e32 v39, v38
	s_waitcnt lgkmcnt(1)
	v_fma_f32 v38, v43, v46, 0
	v_fmac_f32_e32 v38, v48, v47
	s_waitcnt lgkmcnt(0)
	v_fmac_f32_e32 v38, v44, v40
	v_fmac_f32_e32 v38, v39, v41
	v_add_f32_e32 v40, 0x358637bd, v38
	v_div_scale_f32 v41, s[4:5], v40, v40, 1.0
	v_rcp_f32_e32 v45, v41
	s_barrier
	v_fma_f32 v46, -v41, v45, 1.0
	v_fmac_f32_e32 v45, v46, v45
	v_div_scale_f32 v46, vcc, 1.0, v40, 1.0
	v_mul_f32_e32 v47, v46, v45
	v_fma_f32 v49, -v41, v47, v46
	v_fmac_f32_e32 v47, v49, v45
	v_fma_f32 v41, -v41, v47, v46
	v_div_fmas_f32 v41, v41, v45, v47
	v_cmp_eq_u32_e32 vcc, 1, v29
	v_div_fixup_f32 v40, v41, v40, 1.0
	s_nop 0
	v_cndmask_b32_e32 v41, v43, v48, vcc
	v_cmp_eq_u32_e32 vcc, 2, v29
	s_nop 1
	v_cndmask_b32_e32 v41, v41, v44, vcc
	v_cmp_eq_u32_e32 vcc, 3, v29
	v_lshlrev_b32_e32 v29, 11, v29
	s_nop 0
	v_cndmask_b32_e32 v39, v41, v39, vcc
	v_mul_f32_e32 v40, v39, v40
	v_pk_mul_f32 v[18:19], v[40:41], v[18:19] op_sel_hi:[0,1]
	v_pk_mul_f32 v[34:35], v[40:41], v[34:35] op_sel_hi:[0,1]
	v_bfe_u32 v39, v19, 16, 1
	v_bfe_u32 v41, v18, 16, 1
	v_add3_u32 v18, v18, v41, s8
	v_add3_u32 v19, v19, v39, s8
	v_perm_b32 v44, v19, v18, s33
	v_bfe_u32 v18, v35, 16, 1
	v_bfe_u32 v19, v34, 16, 1
	v_add3_u32 v19, v34, v19, s8
	v_add3_u32 v18, v35, v18, s8
	v_perm_b32 v45, v18, v19, s33
	v_lshlrev_b32_e32 v18, 3, v42
	v_lshlrev_b32_e32 v19, 5, v28
	v_pk_mul_f32 v[30:31], v[40:41], v[30:31] op_sel_hi:[0,1]
	v_or3_b32 v18, v29, v19, v18
	v_pk_mul_f32 v[34:35], v[40:41], v[36:37] op_sel_hi:[0,1]
	v_bfe_u32 v29, v31, 16, 1
	v_bfe_u32 v36, v30, 16, 1
	v_add3_u32 v30, v30, v36, s8
	v_add3_u32 v29, v31, v29, s8
	v_perm_b32 v30, v29, v30, s33
	v_bfe_u32 v29, v35, 16, 1
	v_bfe_u32 v31, v34, 16, 1
	v_add3_u32 v31, v34, v31, s8
	v_add3_u32 v29, v35, v29, s8
	v_perm_b32 v31, v29, v31, s33
	ds_write2st64_b64 v18, v[44:45], v[30:31] offset1:1
	v_pk_mul_f32 v[30:31], v[40:41], v[32:33] op_sel_hi:[0,1]
	v_bfe_u32 v29, v31, 16, 1
	v_bfe_u32 v32, v30, 16, 1
	v_pk_mul_f32 v[24:25], v[40:41], v[24:25] op_sel_hi:[0,1]
	v_add3_u32 v30, v30, v32, s8
	v_add3_u32 v29, v31, v29, s8
	v_perm_b32 v30, v29, v30, s33
	v_bfe_u32 v29, v25, 16, 1
	v_bfe_u32 v31, v24, 16, 1
	v_add3_u32 v24, v24, v31, s8
	v_add3_u32 v25, v25, v29, s8
	v_pk_mul_f32 v[22:23], v[40:41], v[22:23] op_sel_hi:[0,1]
	v_perm_b32 v31, v25, v24, s33
	v_bfe_u32 v24, v23, 16, 1
	v_bfe_u32 v25, v22, 16, 1
	v_pk_mul_f32 v[20:21], v[40:41], v[20:21] op_sel_hi:[0,1]
	v_add3_u32 v22, v22, v25, s8
	v_add3_u32 v23, v23, v24, s8
	v_perm_b32 v22, v23, v22, s33
	v_bfe_u32 v23, v21, 16, 1
	v_bfe_u32 v24, v20, 16, 1
	v_add3_u32 v20, v20, v24, s8
	v_add3_u32 v21, v21, v23, s8
	v_perm_b32 v23, v21, v20, s33
	v_cmp_gt_u32_e32 vcc, 15, v0
	ds_write2st64_b64 v18, v[30:31], v[22:23] offset0:2 offset1:3
	s_and_saveexec_b64 s[4:5], vcc
	s_cbranch_execz .LBB1142_17
; %bb.16:
	s_mov_b32 s49, 0
	v_mov_b32_e32 v29, 0
	v_lshl_add_u64 v[20:21], s[48:49], 0, v[28:29]
	v_mov_b32_e32 v22, s7
	v_mad_u64_u32 v[20:21], s[10:11], s2, v22, v[20:21]
	s_mul_i32 s3, s3, s7
	v_mov_b32_e32 v28, s28
	s_load_dwordx4 s[12:15], s[0:1], 0x58
	v_add_u32_e32 v23, s3, v21
	v_mad_u64_u32 v[20:21], s[10:11], v20, s6, v[28:29]
	v_mov_b32_e32 v22, v21
	v_mad_u64_u32 v[22:23], s[10:11], v23, s6, v[22:23]
	v_mov_b32_e32 v21, v22
	v_lshlrev_b64 v[20:21], 2, v[20:21]
	s_waitcnt lgkmcnt(0)
	v_lshl_add_u64 v[22:23], s[14:15], 0, v[20:21]
	v_lshl_add_u64 v[20:21], s[12:13], 0, v[20:21]
	global_store_dword v[22:23], v27, off
	global_store_dword v[20:21], v38, off
.LBB1142_17:
	s_or_b64 exec, exec, s[4:5]
	s_waitcnt vmcnt(3)
	v_cvt_pk_f32_fp8_e32 v[20:21], v14
	v_cvt_pk_f32_fp8_sdwa v[22:23], v14 src0_sel:WORD_1
	s_mov_b32 s4, 0x7060302
	v_lshl_or_b32 v14, v42, 9, v19
	s_waitcnt lgkmcnt(0)
	s_barrier
	v_perm_b32 v24, v21, v20, s4
	v_perm_b32 v25, v23, v22, s4
	v_cvt_pk_f32_fp8_e32 v[28:29], v15
	ds_read_b128 v[20:23], v14
	v_cvt_pk_f32_fp8_sdwa v[36:37], v15 src0_sel:WORD_1
	s_load_dword s10, s[42:43], 0x0
	v_perm_b32 v38, v29, v28, s4
	ds_read_b128 v[28:31], v14 offset:16
	v_perm_b32 v39, v37, v36, s4
	s_waitcnt lgkmcnt(0)
	v_mfma_f32_16x16x16_bf16 v[32:35], v[24:25], v[20:21], 0
	v_cvt_pk_f32_fp8_e32 v[24:25], v16
	v_cvt_pk_f32_fp8_sdwa v[36:37], v16 src0_sel:WORD_1
	v_cmp_gt_u32_e32 vcc, 64, v0
	v_mfma_f32_16x16x16_bf16 v[20:23], v[38:39], v[22:23], v[32:35]
	v_perm_b32 v24, v25, v24, s4
	v_perm_b32 v25, v37, v36, s4
	s_mov_b32 s3, 0
	v_cvt_pk_f32_fp8_e32 v[32:33], v17
	v_cvt_pk_f32_fp8_sdwa v[16:17], v17 src0_sel:WORD_1
	s_waitcnt vmcnt(2)
	v_cvt_pk_f32_fp8_sdwa v[34:35], v10 src0_sel:WORD_1
	v_mfma_f32_16x16x16_bf16 v[20:23], v[24:25], v[28:29], v[20:23]
	v_perm_b32 v36, v33, v32, s4
	v_cvt_pk_f32_fp8_e32 v[32:33], v10
	v_perm_b32 v37, v17, v16, s4
	v_perm_b32 v17, v35, v34, s4
	v_cvt_pk_f32_fp8_e32 v[24:25], v11
	v_perm_b32 v16, v33, v32, s4
	ds_read_b128 v[32:35], v14 offset:2048
	v_cvt_pk_f32_fp8_sdwa v[10:11], v11 src0_sel:WORD_1
	v_mfma_f32_16x16x16_bf16 v[20:23], v[36:37], v[30:31], v[20:23]
	ds_read_b128 v[28:31], v14 offset:2064
	v_perm_b32 v24, v25, v24, s4
	v_perm_b32 v25, v11, v10, s4
	s_waitcnt lgkmcnt(1)
	v_mfma_f32_16x16x16_bf16 v[20:23], v[16:17], v[32:33], v[20:23]
	v_cvt_pk_f32_fp8_e32 v[10:11], v12
	v_cvt_pk_f32_fp8_sdwa v[16:17], v12 src0_sel:WORD_1
	s_waitcnt vmcnt(1)
	v_cvt_pk_f32_fp8_sdwa v[32:33], v6 src0_sel:WORD_1
	v_mfma_f32_16x16x16_bf16 v[20:23], v[24:25], v[34:35], v[20:23]
	v_cvt_pk_f32_fp8_e32 v[24:25], v13
	v_perm_b32 v10, v11, v10, s4
	v_perm_b32 v11, v17, v16, s4
	v_cvt_pk_f32_fp8_sdwa v[12:13], v13 src0_sel:WORD_1
	v_perm_b32 v16, v25, v24, s4
	v_cvt_pk_f32_fp8_e32 v[24:25], v6
	v_mov_b32_e32 v27, 0
	v_perm_b32 v17, v13, v12, s4
	s_waitcnt lgkmcnt(0)
	v_mfma_f32_16x16x16_bf16 v[10:13], v[10:11], v[28:29], v[20:23]
	v_perm_b32 v24, v25, v24, s4
	v_perm_b32 v25, v33, v32, s4
	v_cvt_pk_f32_fp8_e32 v[28:29], v7
	ds_read_b128 v[20:23], v14 offset:4096
	v_cvt_pk_f32_fp8_sdwa v[6:7], v7 src0_sel:WORD_1
	v_mfma_f32_16x16x16_bf16 v[10:13], v[16:17], v[30:31], v[10:13]
	v_perm_b32 v16, v29, v28, s4
	ds_read_b128 v[28:31], v14 offset:4112
	v_perm_b32 v17, v7, v6, s4
	s_waitcnt lgkmcnt(1)
	v_mfma_f32_16x16x16_bf16 v[10:13], v[24:25], v[20:21], v[10:13]
	v_cvt_pk_f32_fp8_e32 v[6:7], v8
	v_cvt_pk_f32_fp8_sdwa v[20:21], v8 src0_sel:WORD_1
	v_perm_b32 v6, v7, v6, s4
	v_mfma_f32_16x16x16_bf16 v[10:13], v[16:17], v[22:23], v[10:13]
	v_cvt_pk_f32_fp8_e32 v[16:17], v9
	v_perm_b32 v7, v21, v20, s4
	v_cvt_pk_f32_fp8_sdwa v[8:9], v9 src0_sel:WORD_1
	s_waitcnt vmcnt(0)
	v_cvt_pk_f32_fp8_e32 v[20:21], v2
	v_perm_b32 v16, v17, v16, s4
	v_cvt_pk_f32_fp8_sdwa v[22:23], v2 src0_sel:WORD_1
	v_perm_b32 v17, v9, v8, s4
	s_waitcnt lgkmcnt(0)
	v_mfma_f32_16x16x16_bf16 v[6:9], v[6:7], v[28:29], v[10:13]
	v_perm_b32 v20, v21, v20, s4
	v_perm_b32 v21, v23, v22, s4
	v_cvt_pk_f32_fp8_e32 v[22:23], v3
	ds_read_b128 v[10:13], v14 offset:6144
	v_cvt_pk_f32_fp8_sdwa v[2:3], v3 src0_sel:WORD_1
	v_mfma_f32_16x16x16_bf16 v[6:9], v[16:17], v[30:31], v[6:9]
	v_perm_b32 v22, v23, v22, s4
	ds_read_b128 v[14:17], v14 offset:6160
	v_perm_b32 v23, v3, v2, s4
	s_waitcnt lgkmcnt(1)
	v_mfma_f32_16x16x16_bf16 v[6:9], v[20:21], v[10:11], v[6:9]
	v_cvt_pk_f32_fp8_e32 v[2:3], v4
	v_cvt_pk_f32_fp8_sdwa v[10:11], v4 src0_sel:WORD_1
	s_waitcnt lgkmcnt(0)
	v_mfma_f32_16x16x16_bf16 v[6:9], v[22:23], v[12:13], v[6:9]
	v_perm_b32 v2, v3, v2, s4
	v_perm_b32 v3, v11, v10, s4
	v_cvt_pk_f32_fp8_e32 v[10:11], v5
	v_cvt_pk_f32_fp8_sdwa v[4:5], v5 src0_sel:WORD_1
	s_barrier
	v_perm_b32 v10, v11, v10, s4
	v_perm_b32 v11, v5, v4, s4
	v_mfma_f32_16x16x16_bf16 v[2:5], v[2:3], v[14:15], v[6:9]
	s_nop 0
	v_mfma_f32_16x16x16_bf16 v[2:5], v[10:11], v[16:17], v[2:5]
	s_nop 6
	v_pk_mul_f32 v[2:3], v[2:3], s[10:11] op_sel_hi:[1,0]
	v_pk_mul_f32 v[4:5], v[4:5], s[10:11] op_sel_hi:[1,0]
	v_bfe_u32 v6, v3, 16, 1
	v_bfe_u32 v7, v2, 16, 1
	v_add3_u32 v2, v2, v7, s8
	v_add3_u32 v3, v3, v6, s8
	v_perm_b32 v2, v3, v2, s4
	v_bfe_u32 v3, v5, 16, 1
	v_bfe_u32 v6, v4, 16, 1
	v_add3_u32 v4, v4, v6, s8
	v_add3_u32 v3, v5, v3, s8
	v_perm_b32 v3, v3, v4, s4
	s_and_b64 s[4:5], vcc, s[30:31]
	ds_write_b64 v18, v[2:3]
	s_waitcnt lgkmcnt(0)
	s_barrier
	s_and_saveexec_b64 s[8:9], s[4:5]
	s_cbranch_execz .LBB1142_20
; %bb.18:
	s_load_dwordx2 s[4:5], s[0:1], 0x68
	s_lshl_b32 s0, s6, 6
	s_mul_i32 s1, s7, s2
	s_mul_hi_u32 s7, s1, s0
	s_mul_i32 s6, s1, s0
	v_lshlrev_b32_e32 v0, 10, v0
	s_lshl_b64 s[6:7], s[6:7], 1
	v_and_b32_e32 v0, 0x1800, v0
	v_lshlrev_b32_e32 v2, 5, v42
	v_and_b32_e32 v1, 16, v1
	s_waitcnt lgkmcnt(0)
	s_add_u32 s1, s4, s6
	v_or3_b32 v2, v0, v2, v1
	s_addc_u32 s4, s5, s7
	s_lshl_b32 s2, s28, 6
	ds_read_b128 v[4:7], v2 offset:256
	s_lshl_b64 s[2:3], s[2:3], 1
	ds_read_b128 v[8:11], v2 offset:128
	ds_read_b128 v[12:15], v2
	s_add_u32 s2, s1, s2
	s_addc_u32 s3, s4, s3
	v_add_u32_e32 v3, s48, v42
	v_lshl_add_u64 v[0:1], s[2:3], 0, v[26:27]
	v_mad_u64_u32 v[16:17], s[2:3], v3, s0, 0
	v_lshl_add_u64 v[16:17], v[16:17], 1, v[0:1]
	s_waitcnt lgkmcnt(0)
	global_store_dwordx4 v[16:17], v[12:15], off
	v_cmp_ne_u32_e32 vcc, 3, v42
	s_nop 0
	v_add_u32_e32 v12, 4, v3
	v_mad_u64_u32 v[12:13], s[2:3], v12, s0, 0
	v_lshl_add_u64 v[12:13], v[12:13], 1, v[0:1]
	v_add_u32_e32 v3, 8, v3
	global_store_dwordx4 v[12:13], v[8:11], off
	s_nop 1
	v_mad_u64_u32 v[8:9], s[2:3], v3, s0, 0
	v_lshl_add_u64 v[8:9], v[8:9], 1, v[0:1]
	global_store_dwordx4 v[8:9], v[4:7], off
	s_and_b64 exec, exec, vcc
	s_cbranch_execz .LBB1142_20
; %bb.19:
	ds_read_b128 v[2:5], v2 offset:384
	v_add3_u32 v6, s48, v42, 12
	v_mad_u64_u32 v[6:7], s[0:1], v6, s0, 0
	v_lshl_add_u64 v[0:1], v[6:7], 1, v[0:1]
	s_waitcnt lgkmcnt(0)
	global_store_dwordx4 v[0:1], v[2:5], off
.LBB1142_20:
	s_endpgm
	.section	.rodata,"a",@progbits
	.p2align	6, 0x0
	.amdhsa_kernel _Z39paged_attention_ll4mi_QKV_mfma16_kernelI14__hip_bfloat16hLN4vllm18Fp8KVCacheDataTypeE1ES0_Li16ELi64ELi256ELb1ELi15EEvPKT_PKT0_S8_ifPKiSA_SA_iPKfiiiPfSD_PS3_PT2_iSC_SC_
		.amdhsa_group_segment_fixed_size 8192
		.amdhsa_private_segment_fixed_size 0
		.amdhsa_kernarg_size 400
		.amdhsa_user_sgpr_count 2
		.amdhsa_user_sgpr_dispatch_ptr 0
		.amdhsa_user_sgpr_queue_ptr 0
		.amdhsa_user_sgpr_kernarg_segment_ptr 1
		.amdhsa_user_sgpr_dispatch_id 0
		.amdhsa_user_sgpr_kernarg_preload_length 0
		.amdhsa_user_sgpr_kernarg_preload_offset 0
		.amdhsa_user_sgpr_private_segment_size 0
		.amdhsa_uses_dynamic_stack 0
		.amdhsa_enable_private_segment 0
		.amdhsa_system_sgpr_workgroup_id_x 1
		.amdhsa_system_sgpr_workgroup_id_y 1
		.amdhsa_system_sgpr_workgroup_id_z 1
		.amdhsa_system_sgpr_workgroup_info 0
		.amdhsa_system_vgpr_workitem_id 0
		.amdhsa_next_free_vgpr 67
		.amdhsa_next_free_sgpr 50
		.amdhsa_accum_offset 68
		.amdhsa_reserve_vcc 1
		.amdhsa_float_round_mode_32 0
		.amdhsa_float_round_mode_16_64 0
		.amdhsa_float_denorm_mode_32 3
		.amdhsa_float_denorm_mode_16_64 3
		.amdhsa_dx10_clamp 1
		.amdhsa_ieee_mode 1
		.amdhsa_fp16_overflow 0
		.amdhsa_tg_split 0
		.amdhsa_exception_fp_ieee_invalid_op 0
		.amdhsa_exception_fp_denorm_src 0
		.amdhsa_exception_fp_ieee_div_zero 0
		.amdhsa_exception_fp_ieee_overflow 0
		.amdhsa_exception_fp_ieee_underflow 0
		.amdhsa_exception_fp_ieee_inexact 0
		.amdhsa_exception_int_div_zero 0
	.end_amdhsa_kernel
	.section	.text._Z39paged_attention_ll4mi_QKV_mfma16_kernelI14__hip_bfloat16hLN4vllm18Fp8KVCacheDataTypeE1ES0_Li16ELi64ELi256ELb1ELi15EEvPKT_PKT0_S8_ifPKiSA_SA_iPKfiiiPfSD_PS3_PT2_iSC_SC_,"axG",@progbits,_Z39paged_attention_ll4mi_QKV_mfma16_kernelI14__hip_bfloat16hLN4vllm18Fp8KVCacheDataTypeE1ES0_Li16ELi64ELi256ELb1ELi15EEvPKT_PKT0_S8_ifPKiSA_SA_iPKfiiiPfSD_PS3_PT2_iSC_SC_,comdat
.Lfunc_end1142:
	.size	_Z39paged_attention_ll4mi_QKV_mfma16_kernelI14__hip_bfloat16hLN4vllm18Fp8KVCacheDataTypeE1ES0_Li16ELi64ELi256ELb1ELi15EEvPKT_PKT0_S8_ifPKiSA_SA_iPKfiiiPfSD_PS3_PT2_iSC_SC_, .Lfunc_end1142-_Z39paged_attention_ll4mi_QKV_mfma16_kernelI14__hip_bfloat16hLN4vllm18Fp8KVCacheDataTypeE1ES0_Li16ELi64ELi256ELb1ELi15EEvPKT_PKT0_S8_ifPKiSA_SA_iPKfiiiPfSD_PS3_PT2_iSC_SC_
                                        ; -- End function
	.section	.AMDGPU.csdata,"",@progbits
; Kernel info:
; codeLenInByte = 5168
; NumSgprs: 56
; NumVgprs: 67
; NumAgprs: 0
; TotalNumVgprs: 67
; ScratchSize: 0
; MemoryBound: 0
; FloatMode: 240
; IeeeMode: 1
; LDSByteSize: 8192 bytes/workgroup (compile time only)
; SGPRBlocks: 6
; VGPRBlocks: 8
; NumSGPRsForWavesPerEU: 56
; NumVGPRsForWavesPerEU: 67
; AccumOffset: 68
; Occupancy: 7
; WaveLimiterHint : 1
; COMPUTE_PGM_RSRC2:SCRATCH_EN: 0
; COMPUTE_PGM_RSRC2:USER_SGPR: 2
; COMPUTE_PGM_RSRC2:TRAP_HANDLER: 0
; COMPUTE_PGM_RSRC2:TGID_X_EN: 1
; COMPUTE_PGM_RSRC2:TGID_Y_EN: 1
; COMPUTE_PGM_RSRC2:TGID_Z_EN: 1
; COMPUTE_PGM_RSRC2:TIDIG_COMP_CNT: 0
; COMPUTE_PGM_RSRC3_GFX90A:ACCUM_OFFSET: 16
; COMPUTE_PGM_RSRC3_GFX90A:TG_SPLIT: 0
	.section	.text._Z39paged_attention_ll4mi_QKV_mfma16_kernelI14__hip_bfloat16hLN4vllm18Fp8KVCacheDataTypeE1ES0_Li16ELi64ELi256ELb1ELi16EEvPKT_PKT0_S8_ifPKiSA_SA_iPKfiiiPfSD_PS3_PT2_iSC_SC_,"axG",@progbits,_Z39paged_attention_ll4mi_QKV_mfma16_kernelI14__hip_bfloat16hLN4vllm18Fp8KVCacheDataTypeE1ES0_Li16ELi64ELi256ELb1ELi16EEvPKT_PKT0_S8_ifPKiSA_SA_iPKfiiiPfSD_PS3_PT2_iSC_SC_,comdat
	.protected	_Z39paged_attention_ll4mi_QKV_mfma16_kernelI14__hip_bfloat16hLN4vllm18Fp8KVCacheDataTypeE1ES0_Li16ELi64ELi256ELb1ELi16EEvPKT_PKT0_S8_ifPKiSA_SA_iPKfiiiPfSD_PS3_PT2_iSC_SC_ ; -- Begin function _Z39paged_attention_ll4mi_QKV_mfma16_kernelI14__hip_bfloat16hLN4vllm18Fp8KVCacheDataTypeE1ES0_Li16ELi64ELi256ELb1ELi16EEvPKT_PKT0_S8_ifPKiSA_SA_iPKfiiiPfSD_PS3_PT2_iSC_SC_
	.globl	_Z39paged_attention_ll4mi_QKV_mfma16_kernelI14__hip_bfloat16hLN4vllm18Fp8KVCacheDataTypeE1ES0_Li16ELi64ELi256ELb1ELi16EEvPKT_PKT0_S8_ifPKiSA_SA_iPKfiiiPfSD_PS3_PT2_iSC_SC_
	.p2align	8
	.type	_Z39paged_attention_ll4mi_QKV_mfma16_kernelI14__hip_bfloat16hLN4vllm18Fp8KVCacheDataTypeE1ES0_Li16ELi64ELi256ELb1ELi16EEvPKT_PKT0_S8_ifPKiSA_SA_iPKfiiiPfSD_PS3_PT2_iSC_SC_,@function
_Z39paged_attention_ll4mi_QKV_mfma16_kernelI14__hip_bfloat16hLN4vllm18Fp8KVCacheDataTypeE1ES0_Li16ELi64ELi256ELb1ELi16EEvPKT_PKT0_S8_ifPKiSA_SA_iPKfiiiPfSD_PS3_PT2_iSC_SC_: ; @_Z39paged_attention_ll4mi_QKV_mfma16_kernelI14__hip_bfloat16hLN4vllm18Fp8KVCacheDataTypeE1ES0_Li16ELi64ELi256ELb1ELi16EEvPKT_PKT0_S8_ifPKiSA_SA_iPKfiiiPfSD_PS3_PT2_iSC_SC_
; %bb.0:
	s_load_dwordx2 s[14:15], s[0:1], 0x30
	s_mov_b32 s24, s3
	s_mov_b64 s[6:7], 0
	s_waitcnt lgkmcnt(0)
	s_cmp_lg_u64 s[14:15], 0
	s_cselect_b64 s[16:17], -1, 0
	s_and_b64 vcc, exec, s[16:17]
	s_cbranch_vccz .LBB1143_7
; %bb.1:
	s_add_i32 s8, s2, 1
	s_mov_b32 s9, 0
	s_lshl_b64 s[10:11], s[8:9], 2
	s_add_u32 s10, s14, s10
	s_mov_b32 s3, s9
	s_addc_u32 s11, s15, s11
	s_lshl_b64 s[8:9], s[2:3], 2
	s_add_u32 s8, s14, s8
	s_addc_u32 s9, s15, s9
	s_load_dword s5, s[10:11], 0x0
	s_load_dword s12, s[8:9], 0x0
	s_waitcnt lgkmcnt(0)
	s_sub_i32 s5, s5, s12
	s_cmp_eq_u32 s5, 1
	s_cselect_b64 s[8:9], -1, 0
	s_andn2_b64 vcc, exec, s[6:7]
	s_cbranch_vccnz .LBB1143_3
.LBB1143_2:
	s_mov_b32 s3, 0
	s_mov_b64 s[8:9], -1
.LBB1143_3:
	s_andn2_b64 vcc, exec, s[8:9]
	s_cbranch_vccnz .LBB1143_17
; %bb.4:
	s_load_dwordx2 s[6:7], s[0:1], 0x28
	s_lshl_b64 s[18:19], s[2:3], 2
	s_waitcnt lgkmcnt(0)
	s_add_u32 s6, s6, s18
	s_addc_u32 s7, s7, s19
	s_load_dword s48, s[6:7], 0x0
	s_lshl_b32 s5, s24, 8
	s_waitcnt lgkmcnt(0)
	s_cmp_ge_i32 s5, s48
	s_cbranch_scc1 .LBB1143_17
; %bb.5:
	s_load_dwordx2 s[6:7], s[0:1], 0x20
	s_load_dword s8, s[0:1], 0x38
	s_add_i32 s9, s48, 15
	s_ashr_i32 s10, s9, 31
	v_and_b32_e32 v1, 0xcf, v0
	s_lshr_b32 s10, s10, 28
	v_add_u32_e32 v1, s5, v1
	s_add_i32 s9, s9, s10
	v_ashrrev_i32_e32 v2, 31, v1
	s_ashr_i32 s20, s9, 4
	v_lshrrev_b32_e32 v4, 28, v2
	s_add_i32 s20, s20, -1
	s_waitcnt lgkmcnt(0)
	s_mul_i32 s8, s2, s8
	s_mov_b32 s9, 0
	v_add_u32_e32 v2, v1, v4
	s_lshl_b64 s[8:9], s[8:9], 2
	v_ashrrev_i32_e32 v2, 4, v2
	v_mov_b32_e32 v5, s20
	v_cmp_gt_i32_e32 vcc, s48, v1
	s_add_u32 s6, s6, s8
	s_addc_u32 s7, s7, s9
	v_cndmask_b32_e32 v2, v5, v2, vcc
	v_ashrrev_i32_e32 v3, 31, v2
	v_lshl_add_u64 v[6:7], v[2:3], 2, s[6:7]
	v_or_b32_e32 v2, 16, v1
	v_add_u32_e32 v3, v2, v4
	v_ashrrev_i32_e32 v3, 4, v3
	v_cmp_gt_i32_e32 vcc, s48, v2
	s_nop 1
	v_cndmask_b32_e32 v2, v5, v3, vcc
	v_ashrrev_i32_e32 v3, 31, v2
	v_lshl_add_u64 v[8:9], v[2:3], 2, s[6:7]
	v_or_b32_e32 v2, 32, v1
	v_add_u32_e32 v3, v2, v4
	v_ashrrev_i32_e32 v3, 4, v3
	v_cmp_gt_i32_e32 vcc, s48, v2
	v_or_b32_e32 v1, 48, v1
	s_nop 0
	v_cndmask_b32_e32 v2, v5, v3, vcc
	v_ashrrev_i32_e32 v3, 31, v2
	v_lshl_add_u64 v[10:11], v[2:3], 2, s[6:7]
	v_add_u32_e32 v2, v1, v4
	v_ashrrev_i32_e32 v2, 4, v2
	v_cmp_gt_i32_e32 vcc, s48, v1
	s_nop 1
	v_cndmask_b32_e32 v2, v5, v2, vcc
	v_ashrrev_i32_e32 v3, 31, v2
	v_lshl_add_u64 v[14:15], v[2:3], 2, s[6:7]
	global_load_dword v4, v[6:7], off
	global_load_dword v3, v[8:9], off
	global_load_dword v2, v[10:11], off
	global_load_dword v12, v[14:15], off
	s_load_dwordx2 s[12:13], s[0:1], 0x40
	s_load_dwordx4 s[8:11], s[0:1], 0x8
	s_andn2_b64 vcc, exec, s[16:17]
	s_cbranch_vccnz .LBB1143_8
; %bb.6:
	s_add_u32 s14, s14, s18
	s_addc_u32 s15, s15, s19
	s_load_dword s16, s[14:15], 0x0
	s_branch .LBB1143_9
.LBB1143_7:
	s_mov_b64 s[8:9], 0
	s_branch .LBB1143_2
.LBB1143_8:
	s_mov_b32 s16, s2
.LBB1143_9:
	s_load_dwordx4 s[44:47], s[0:1], 0x48
	v_and_b32_e32 v45, 15, v0
	s_movk_i32 s14, 0x100
	v_lshlrev_b32_e32 v5, 3, v45
	v_cmp_gt_u32_e32 vcc, s14, v0
	v_cmp_gt_u32_e64 s[26:27], 8, v45
	v_lshrrev_b32_e32 v43, 6, v0
	v_and_b32_e32 v44, 63, v0
	v_bfe_u32 v1, v0, 4, 2
	s_lshl_b32 s25, s4, 4
	s_and_b64 s[18:19], vcc, s[26:27]
	v_lshlrev_b32_e32 v26, 1, v5
	v_lshlrev_b32_e32 v42, 4, v0
	s_and_saveexec_b64 s[14:15], s[18:19]
	s_cbranch_execz .LBB1143_11
; %bb.10:
	s_load_dwordx2 s[18:19], s[0:1], 0x0
	s_waitcnt lgkmcnt(0)
	s_ashr_i32 s17, s44, 31
	s_mul_hi_u32 s21, s16, s44
	s_mul_i32 s17, s16, s17
	s_add_i32 s17, s21, s17
	s_mul_i32 s16, s16, s44
	v_lshl_or_b32 v5, v43, 2, v1
	s_lshl_b64 s[16:17], s[16:17], 1
	s_add_u32 s16, s18, s16
	v_add_lshl_u32 v6, v5, s25, 6
	s_addc_u32 s17, s19, s17
	v_ashrrev_i32_e32 v7, 31, v6
	v_lshl_add_u64 v[6:7], v[6:7], 1, s[16:17]
	v_mov_b32_e32 v27, 0
	v_lshl_add_u64 v[6:7], v[6:7], 0, v[26:27]
	global_load_dwordx4 v[6:9], v[6:7], off
	v_lshlrev_b32_e32 v11, 8, v45
	v_lshlrev_b32_e32 v5, 5, v5
	v_and_b32_e32 v10, 16, v42
	v_and_b32_e32 v11, 0xe00, v11
	v_or3_b32 v5, v11, v5, v10
	s_waitcnt vmcnt(0)
	ds_write_b128 v5, v[6:9]
.LBB1143_11:
	s_or_b64 exec, exec, s[14:15]
	s_waitcnt lgkmcnt(0)
	s_mul_i32 s4, s4, s46
	s_add_u32 s8, s8, s4
	s_addc_u32 s9, s9, 0
	v_and_b32_e32 v8, 48, v0
	v_and_b32_e32 v30, 0xf0, v42
	v_mov_b32_e32 v31, 0
	v_lshl_add_u64 v[6:7], s[8:9], 0, v[30:31]
	v_lshlrev_b32_e32 v30, 4, v8
	v_or_b32_e32 v13, s5, v8
	v_lshl_add_u64 v[10:11], v[6:7], 0, v[30:31]
	v_ashrrev_i32_e32 v6, 4, v13
	v_mov_b32_e32 v30, s20
	v_cmp_gt_i32_e32 vcc, s48, v13
	s_load_dword s33, s[0:1], 0x98
	s_load_dwordx4 s[40:43], s[0:1], 0x80
	v_cndmask_b32_e32 v6, v30, v6, vcc
	v_ashrrev_i32_e32 v7, 31, v6
	v_lshl_add_u64 v[6:7], v[6:7], 2, s[6:7]
	s_waitcnt lgkmcnt(0)
	s_barrier
	s_waitcnt vmcnt(3)
	v_mad_i64_i32 v[4:5], s[8:9], v4, s45, v[10:11]
	global_load_dword v38, v[6:7], off
	global_load_dwordx4 v[22:25], v[4:5], off
	s_waitcnt vmcnt(4)
	v_mad_i64_i32 v[4:5], s[8:9], v3, s45, v[10:11]
	global_load_dwordx4 v[18:21], v[4:5], off
	s_waitcnt vmcnt(4)
	v_mad_i64_i32 v[2:3], s[8:9], v2, s45, v[10:11]
	global_load_dwordx4 v[14:17], v[2:3], off
	v_or_b32_e32 v28, s25, v45
	v_ashrrev_i32_e32 v29, 31, v28
	v_lshlrev_b32_e32 v46, 5, v45
	v_lshl_add_u64 v[32:33], v[28:29], 2, s[12:13]
	v_or_b32_e32 v29, 64, v13
	v_lshl_or_b32 v27, v1, 9, v46
	v_or_b32_e32 v34, 0x80, v13
	v_or_b32_e32 v36, 0xc0, v13
	v_ashrrev_i32_e32 v13, 4, v29
	v_cmp_gt_i32_e32 vcc, s48, v29
	s_waitcnt vmcnt(4)
	v_mad_i64_i32 v[10:11], s[12:13], v12, s45, v[10:11]
	ds_read_b128 v[6:9], v27
	ds_read_b128 v[2:5], v27 offset:16
	global_load_dword v49, v[32:33], off
	v_cndmask_b32_e32 v32, v30, v13, vcc
	global_load_dwordx4 v[10:13], v[10:11], off
	v_ashrrev_i32_e32 v33, 4, v34
	v_cmp_gt_i32_e32 vcc, s48, v34
	v_ashrrev_i32_e32 v37, 4, v36
	v_lshlrev_b32_e32 v35, 4, v45
	v_cndmask_b32_e32 v34, v30, v33, vcc
	v_cmp_gt_i32_e32 vcc, s48, v36
	v_ashrrev_i32_e32 v33, 31, v32
	v_lshl_add_u64 v[32:33], v[32:33], 2, s[6:7]
	v_cndmask_b32_e32 v36, v30, v37, vcc
	v_lshl_or_b32 v30, v43, 8, v35
	v_ashrrev_i32_e32 v35, 31, v34
	v_ashrrev_i32_e32 v37, 31, v36
	v_lshl_add_u64 v[34:35], v[34:35], 2, s[6:7]
	v_lshl_add_u64 v[36:37], v[36:37], 2, s[6:7]
	s_add_u32 s8, s10, s4
	s_load_dword s4, s[40:41], 0x0
	global_load_dword v48, v[32:33], off
	global_load_dword v29, v[34:35], off
	;; [unrolled: 1-line block ×3, first 2 shown]
	s_addc_u32 s9, s11, 0
	s_mov_b32 s44, 0x7060302
	v_lshl_add_u64 v[30:31], s[8:9], 0, v[30:31]
	s_load_dword s14, s[0:1], 0x1c
	s_mov_b32 s46, 0xff7fffff
	s_waitcnt vmcnt(8)
	v_mad_i64_i32 v[32:33], s[6:7], v38, s45, v[30:31]
	s_waitcnt vmcnt(7)
	v_cvt_pk_f32_fp8_e32 v[34:35], v22
	v_cvt_pk_f32_fp8_sdwa v[36:37], v22 src0_sel:WORD_1
	v_cvt_pk_f32_fp8_e32 v[38:39], v23
	v_cvt_pk_f32_fp8_sdwa v[40:41], v23 src0_sel:WORD_1
	v_perm_b32 v34, v35, v34, s44
	v_perm_b32 v35, v37, v36, s44
	s_waitcnt vmcnt(6)
	v_cvt_pk_f32_fp8_e32 v[22:23], v18
	v_cvt_pk_f32_fp8_e32 v[50:51], v24
	v_cvt_pk_f32_fp8_sdwa v[52:53], v24 src0_sel:WORD_1
	v_perm_b32 v38, v39, v38, s44
	v_perm_b32 v39, v41, v40, s44
	v_cvt_pk_f32_fp8_e32 v[54:55], v25
	v_cvt_pk_f32_fp8_sdwa v[56:57], v18 src0_sel:WORD_1
	v_cvt_pk_f32_fp8_sdwa v[58:59], v25 src0_sel:WORD_1
	v_perm_b32 v36, v23, v22, s44
	s_waitcnt lgkmcnt(0)
	v_mfma_f32_16x16x16_bf16 v[22:25], v[34:35], v[6:7], 0
	v_perm_b32 v50, v51, v50, s44
	v_perm_b32 v51, v53, v52, s44
	v_cvt_pk_f32_fp8_e32 v[60:61], v19
	v_perm_b32 v37, v57, v56, s44
	v_cvt_pk_f32_fp8_sdwa v[18:19], v19 src0_sel:WORD_1
	v_mfma_f32_16x16x16_bf16 v[22:25], v[38:39], v[8:9], v[22:25]
	v_perm_b32 v52, v55, v54, s44
	v_perm_b32 v53, v59, v58, s44
	v_cvt_pk_f32_fp8_e32 v[40:41], v20
	v_cvt_pk_f32_fp8_sdwa v[38:39], v20 src0_sel:WORD_1
	v_mfma_f32_16x16x16_bf16 v[22:25], v[50:51], v[2:3], v[22:25]
	v_perm_b32 v54, v61, v60, s44
	v_perm_b32 v55, v19, v18, s44
	v_cvt_pk_f32_fp8_e32 v[50:51], v21
	v_mfma_f32_16x16x16_bf16 v[34:37], v[36:37], v[6:7], 0
	v_perm_b32 v40, v41, v40, s44
	v_perm_b32 v41, v39, v38, s44
	s_waitcnt vmcnt(5)
	v_cvt_pk_f32_fp8_sdwa v[38:39], v14 src0_sel:WORD_1
	v_mfma_f32_16x16x16_bf16 v[22:25], v[52:53], v[4:5], v[22:25]
	v_cvt_pk_f32_fp8_sdwa v[52:53], v21 src0_sel:WORD_1
	v_mfma_f32_16x16x16_bf16 v[18:21], v[54:55], v[8:9], v[34:37]
	v_cvt_pk_f32_fp8_sdwa v[54:55], v17 src0_sel:WORD_1
	s_nop 1
	v_mov_b32_e32 v36, s14
	v_perm_b32 v34, v51, v50, s44
	v_perm_b32 v35, v53, v52, s44
	v_mfma_f32_16x16x16_bf16 v[18:21], v[40:41], v[2:3], v[18:21]
	v_mul_f32_e32 v50, s4, v36
	v_cvt_pk_f32_fp8_e32 v[36:37], v14
	v_cvt_pk_f32_fp8_e32 v[40:41], v16
	v_mfma_f32_16x16x16_bf16 v[18:21], v[34:35], v[4:5], v[18:21]
	v_cvt_pk_f32_fp8_e32 v[34:35], v15
	v_perm_b32 v36, v37, v36, s44
	v_perm_b32 v37, v39, v38, s44
	v_cvt_pk_f32_fp8_sdwa v[14:15], v15 src0_sel:WORD_1
	v_perm_b32 v38, v35, v34, s44
	v_cvt_pk_f32_fp8_sdwa v[52:53], v16 src0_sel:WORD_1
	v_mfma_f32_16x16x16_bf16 v[34:37], v[36:37], v[6:7], 0
	v_perm_b32 v39, v15, v14, s44
	v_perm_b32 v40, v41, v40, s44
	;; [unrolled: 1-line block ×3, first 2 shown]
	v_cvt_pk_f32_fp8_e32 v[52:53], v17
	v_mfma_f32_16x16x16_bf16 v[14:17], v[38:39], v[8:9], v[34:37]
	v_pk_mul_f32 v[38:39], v[50:51], v[22:23] op_sel_hi:[0,1]
	s_waitcnt vmcnt(3)
	v_cvt_pk_f32_fp8_e32 v[22:23], v10
	v_perm_b32 v34, v53, v52, s44
	v_perm_b32 v35, v55, v54, s44
	v_mfma_f32_16x16x16_bf16 v[14:17], v[40:41], v[2:3], v[14:17]
	v_cvt_pk_f32_fp8_sdwa v[36:37], v10 src0_sel:WORD_1
	v_perm_b32 v22, v23, v22, s44
	v_cvt_pk_f32_fp8_e32 v[52:53], v12
	v_mfma_f32_16x16x16_bf16 v[14:17], v[34:35], v[4:5], v[14:17]
	v_cvt_pk_f32_fp8_e32 v[34:35], v11
	v_perm_b32 v23, v37, v36, s44
	v_cvt_pk_f32_fp8_sdwa v[10:11], v11 src0_sel:WORD_1
	v_cvt_pk_f32_fp8_sdwa v[54:55], v12 src0_sel:WORD_1
	v_perm_b32 v40, v35, v34, s44
	v_mfma_f32_16x16x16_bf16 v[34:37], v[22:23], v[6:7], 0
	v_perm_b32 v41, v11, v10, s44
	v_perm_b32 v10, v53, v52, s44
	;; [unrolled: 1-line block ×3, first 2 shown]
	v_cvt_pk_f32_fp8_e32 v[22:23], v13
	v_cvt_pk_f32_fp8_sdwa v[12:13], v13 src0_sel:WORD_1
	v_mfma_f32_16x16x16_bf16 v[6:9], v[40:41], v[8:9], v[34:37]
	v_pk_mul_f32 v[40:41], v[50:51], v[18:19] op_sel_hi:[0,1]
	v_pk_mul_f32 v[24:25], v[50:51], v[24:25] op_sel_hi:[0,1]
	s_nop 0
	v_pk_mul_f32 v[36:37], v[50:51], v[20:21] op_sel_hi:[0,1]
	v_perm_b32 v20, v23, v22, s44
	v_perm_b32 v21, v13, v12, s44
	v_mfma_f32_16x16x16_bf16 v[6:9], v[10:11], v[2:3], v[6:9]
	v_pk_mul_f32 v[22:23], v[50:51], v[16:17] op_sel_hi:[0,1]
	v_pk_mul_f32 v[34:35], v[50:51], v[14:15] op_sel_hi:[0,1]
	v_mfma_f32_16x16x16_bf16 v[2:5], v[20:21], v[4:5], v[6:9]
	s_nop 6
	v_pk_mul_f32 v[20:21], v[50:51], v[2:3] op_sel_hi:[0,1]
	v_and_b32_e32 v2, 0xc0, v0
	v_add_u32_e32 v2, s5, v2
	v_lshl_or_b32 v2, v1, 2, v2
	v_or_b32_e32 v3, 1, v2
	v_pk_mul_f32 v[18:19], v[50:51], v[4:5] op_sel_hi:[0,1]
	v_subrev_u32_e32 v4, s48, v3
	v_add_u32_e32 v6, 1, v4
	v_add_u32_e32 v7, 2, v4
	v_cvt_f32_i32_e32 v5, v4
	v_cvt_f32_i32_e32 v6, v6
	;; [unrolled: 1-line block ×3, first 2 shown]
	v_add_u32_e32 v8, 3, v4
	v_fma_f32 v9, v49, v5, v38
	v_fmac_f32_e32 v39, v49, v6
	v_fma_f32 v24, v49, v7, v24
	v_add_u32_e32 v5, 16, v4
	v_add_u32_e32 v6, 17, v4
	;; [unrolled: 1-line block ×3, first 2 shown]
	v_cvt_f32_i32_e32 v8, v8
	v_cvt_f32_i32_e32 v5, v5
	;; [unrolled: 1-line block ×4, first 2 shown]
	v_fmac_f32_e32 v25, v49, v8
	v_add_u32_e32 v8, 19, v4
	v_fma_f32 v40, v49, v5, v40
	v_fmac_f32_e32 v41, v49, v6
	v_fma_f32 v36, v49, v7, v36
	v_add_u32_e32 v5, 32, v4
	v_add_u32_e32 v6, 33, v4
	;; [unrolled: 1-line block ×3, first 2 shown]
	v_cvt_f32_i32_e32 v8, v8
	v_cvt_f32_i32_e32 v5, v5
	;; [unrolled: 1-line block ×4, first 2 shown]
	v_fmac_f32_e32 v37, v49, v8
	v_add_u32_e32 v8, 35, v4
	v_fma_f32 v34, v49, v5, v34
	v_fmac_f32_e32 v35, v49, v6
	v_fma_f32 v22, v49, v7, v22
	v_add_u32_e32 v5, 48, v4
	v_add_u32_e32 v6, 49, v4
	;; [unrolled: 1-line block ×4, first 2 shown]
	v_cvt_f32_i32_e32 v4, v4
	v_cvt_f32_i32_e32 v5, v5
	;; [unrolled: 1-line block ×3, first 2 shown]
	v_cmp_gt_i32_e64 s[4:5], s48, v2
	v_fmac_f32_e32 v19, v49, v4
	v_mov_b32_e32 v4, 0xff7fffff
	v_cmp_gt_i32_e64 s[28:29], s48, v3
	v_fma_f32 v20, v49, v5, v20
	v_cndmask_b32_e64 v5, v4, v9, s[4:5]
	v_cndmask_b32_e64 v3, v4, v39, s[28:29]
	v_fmac_f32_e32 v21, v49, v6
	v_max3_f32 v3, v5, s46, v3
	v_or_b32_e32 v5, 2, v2
	v_or_b32_e32 v6, 3, v2
	v_cmp_gt_i32_e64 s[30:31], s48, v5
	v_cmp_gt_i32_e64 s[34:35], s48, v6
	v_cvt_f32_i32_e32 v8, v8
	v_cndmask_b32_e64 v5, v4, v24, s[30:31]
	v_cndmask_b32_e64 v6, v4, v25, s[34:35]
	v_max3_f32 v3, v3, v5, v6
	v_or_b32_e32 v5, 16, v2
	v_or_b32_e32 v6, 17, v2
	v_cmp_gt_i32_e64 s[36:37], s48, v5
	v_cmp_gt_i32_e64 s[38:39], s48, v6
	v_fmac_f32_e32 v23, v49, v8
	v_cndmask_b32_e64 v5, v4, v40, s[36:37]
	v_cndmask_b32_e64 v6, v4, v41, s[38:39]
	v_max3_f32 v3, v3, v5, v6
	v_or_b32_e32 v5, 18, v2
	v_or_b32_e32 v6, 19, v2
	v_cmp_gt_i32_e64 s[20:21], s48, v5
	v_cmp_gt_i32_e64 s[22:23], s48, v6
	v_cvt_f32_i32_e32 v7, v7
	v_cndmask_b32_e64 v5, v4, v36, s[20:21]
	v_cndmask_b32_e64 v6, v4, v37, s[22:23]
	v_max3_f32 v3, v3, v5, v6
	v_or_b32_e32 v5, 32, v2
	v_or_b32_e32 v6, 33, v2
	v_cmp_gt_i32_e64 s[16:17], s48, v5
	v_cmp_gt_i32_e64 s[18:19], s48, v6
	v_fma_f32 v18, v49, v7, v18
	v_cndmask_b32_e64 v5, v4, v34, s[16:17]
	v_cndmask_b32_e64 v6, v4, v35, s[18:19]
	v_max3_f32 v3, v3, v5, v6
	v_or_b32_e32 v5, 34, v2
	v_or_b32_e32 v6, 35, v2
	v_cmp_gt_i32_e64 s[12:13], s48, v5
	v_cmp_gt_i32_e64 s[14:15], s48, v6
	s_nop 0
	v_cndmask_b32_e64 v5, v4, v22, s[12:13]
	v_cndmask_b32_e64 v6, v4, v23, s[14:15]
	v_max3_f32 v3, v3, v5, v6
	v_or_b32_e32 v5, 48, v2
	v_or_b32_e32 v6, 49, v2
	v_cmp_gt_i32_e64 s[8:9], s48, v5
	v_cmp_gt_i32_e64 s[10:11], s48, v6
	s_nop 0
	v_cndmask_b32_e64 v5, v4, v20, s[8:9]
	v_cndmask_b32_e64 v6, v4, v21, s[10:11]
	v_max3_f32 v3, v3, v5, v6
	v_or_b32_e32 v5, 50, v2
	v_or_b32_e32 v2, 51, v2
	v_cmp_gt_i32_e32 vcc, s48, v5
	v_cmp_gt_i32_e64 s[6:7], s48, v2
	s_nop 0
	v_cndmask_b32_e32 v5, v4, v18, vcc
	v_cndmask_b32_e64 v2, v4, v19, s[6:7]
	v_max3_f32 v4, v3, v5, v2
	v_mbcnt_lo_u32_b32 v2, -1, 0
	v_mbcnt_hi_u32_b32 v5, -1, v2
	v_and_b32_e32 v2, 64, v5
	v_add_u32_e32 v6, 64, v2
	v_xor_b32_e32 v2, 32, v5
	v_cmp_lt_i32_e64 s[40:41], v2, v6
	s_nop 1
	v_cndmask_b32_e64 v2, v5, v2, s[40:41]
	v_lshlrev_b32_e32 v49, 2, v2
	ds_bpermute_b32 v7, v49, v4
	s_waitcnt vmcnt(2)
	v_mad_i64_i32 v[2:3], s[40:41], v48, s45, v[30:31]
	global_load_dwordx4 v[14:17], v[32:33], off
	global_load_dwordx4 v[10:13], v[2:3], off
	s_waitcnt lgkmcnt(0)
	v_max_f32_e32 v2, v7, v7
	v_max_f32_e32 v7, v4, v2
	v_xor_b32_e32 v2, 16, v5
	v_cmp_lt_i32_e64 s[40:41], v2, v6
	s_nop 1
	v_cndmask_b32_e64 v2, v5, v2, s[40:41]
	v_lshlrev_b32_e32 v48, 2, v2
	ds_bpermute_b32 v6, v48, v7
	s_waitcnt vmcnt(3)
	v_mad_i64_i32 v[2:3], s[40:41], v29, s45, v[30:31]
	s_waitcnt vmcnt(2)
	v_mad_i64_i32 v[4:5], s[40:41], v47, s45, v[30:31]
	s_waitcnt lgkmcnt(0)
	v_max_f32_e32 v6, v6, v6
	v_max_f32_e32 v29, v7, v6
	v_sub_f32_e32 v6, v9, v29
	v_mul_f32_e32 v6, 0x3fb8aa3b, v6
	v_exp_f32_e32 v30, v6
	v_sub_f32_e32 v6, v39, v29
	v_mul_f32_e32 v6, 0x3fb8aa3b, v6
	v_exp_f32_e32 v31, v6
	global_load_dwordx4 v[6:9], v[2:3], off
	s_nop 0
	global_load_dwordx4 v[2:5], v[4:5], off
	v_sub_f32_e32 v24, v24, v29
	v_mul_f32_e32 v24, 0x3fb8aa3b, v24
	v_sub_f32_e32 v25, v25, v29
	v_exp_f32_e32 v24, v24
	v_mul_f32_e32 v25, 0x3fb8aa3b, v25
	v_exp_f32_e32 v25, v25
	v_cndmask_b32_e64 v30, 0, v30, s[4:5]
	v_add_f32_e32 v32, 0, v30
	v_cndmask_b32_e64 v31, 0, v31, s[28:29]
	v_add_f32_e32 v32, v32, v31
	;; [unrolled: 2-line block ×3, first 2 shown]
	v_cndmask_b32_e64 v39, 0, v25, s[34:35]
	v_sub_f32_e32 v25, v40, v29
	v_sub_f32_e32 v32, v41, v29
	v_mul_f32_e32 v25, 0x3fb8aa3b, v25
	v_mul_f32_e32 v32, 0x3fb8aa3b, v32
	v_exp_f32_e32 v25, v25
	v_exp_f32_e32 v32, v32
	v_add_f32_e32 v33, v24, v39
	v_sub_f32_e32 v22, v22, v29
	v_cndmask_b32_e64 v24, 0, v25, s[36:37]
	v_cndmask_b32_e64 v25, 0, v32, s[38:39]
	v_sub_f32_e32 v32, v36, v29
	v_mul_f32_e32 v32, 0x3fb8aa3b, v32
	v_exp_f32_e32 v32, v32
	v_sub_f32_e32 v36, v37, v29
	v_add_f32_e32 v33, v33, v24
	v_mul_f32_e32 v36, 0x3fb8aa3b, v36
	v_exp_f32_e32 v37, v36
	v_add_f32_e32 v33, v33, v25
	v_cndmask_b32_e64 v36, 0, v32, s[20:21]
	v_add_f32_e32 v32, v33, v36
	v_sub_f32_e32 v33, v34, v29
	v_mul_f32_e32 v33, 0x3fb8aa3b, v33
	v_sub_f32_e32 v34, v35, v29
	v_exp_f32_e32 v33, v33
	v_mul_f32_e32 v34, 0x3fb8aa3b, v34
	v_exp_f32_e32 v34, v34
	v_mul_f32_e32 v22, 0x3fb8aa3b, v22
	v_sub_f32_e32 v23, v23, v29
	v_exp_f32_e32 v22, v22
	v_mul_f32_e32 v23, 0x3fb8aa3b, v23
	v_sub_f32_e32 v20, v20, v29
	v_cndmask_b32_e64 v37, 0, v37, s[22:23]
	v_exp_f32_e32 v23, v23
	v_mul_f32_e32 v20, 0x3fb8aa3b, v20
	v_sub_f32_e32 v21, v21, v29
	v_add_f32_e32 v35, v32, v37
	v_cndmask_b32_e64 v32, 0, v33, s[16:17]
	v_exp_f32_e32 v20, v20
	v_mul_f32_e32 v21, 0x3fb8aa3b, v21
	v_sub_f32_e32 v18, v18, v29
	v_add_f32_e32 v35, v35, v32
	;; [unrolled: 5-line block ×3, first 2 shown]
	v_cndmask_b32_e64 v22, 0, v22, s[12:13]
	v_exp_f32_e32 v18, v18
	v_mul_f32_e32 v19, 0x3fb8aa3b, v19
	v_add_f32_e32 v34, v34, v22
	v_cndmask_b32_e64 v23, 0, v23, s[14:15]
	v_exp_f32_e32 v19, v19
	v_add_f32_e32 v34, v34, v23
	v_cndmask_b32_e64 v20, 0, v20, s[8:9]
	v_add_f32_e32 v34, v34, v20
	v_cndmask_b32_e64 v21, 0, v21, s[10:11]
	v_add_f32_e32 v34, v34, v21
	v_cndmask_b32_e32 v18, 0, v18, vcc
	v_add_f32_e32 v34, v34, v18
	v_cndmask_b32_e64 v19, 0, v19, s[6:7]
	v_add_f32_e32 v34, v34, v19
	ds_bpermute_b32 v35, v49, v34
	v_cmp_gt_u32_e32 vcc, 16, v44
	s_waitcnt lgkmcnt(0)
	s_barrier
	v_add_f32_e32 v34, v34, v35
	ds_bpermute_b32 v40, v48, v34
	v_lshlrev_b32_e32 v35, 2, v45
	s_and_saveexec_b64 s[4:5], vcc
	s_cbranch_execz .LBB1143_13
; %bb.12:
	s_waitcnt lgkmcnt(0)
	v_add_f32_e32 v34, v34, v40
	v_lshl_or_b32 v40, v43, 6, v35
	ds_write2st64_b32 v40, v29, v34 offset1:1
.LBB1143_13:
	s_or_b64 exec, exec, s[4:5]
	s_load_dword s6, s[0:1], 0x94
	s_waitcnt lgkmcnt(0)
	s_barrier
	ds_read2_b32 v[40:41], v35 offset1:16
	ds_read2_b32 v[44:45], v35 offset0:32 offset1:48
	ds_read2_b32 v[48:49], v35 offset0:64 offset1:80
	s_movk_i32 s8, 0x7fff
	s_lshl_b32 s7, s33, 4
	s_waitcnt lgkmcnt(2)
	v_max3_f32 v29, v40, s46, v41
	s_waitcnt lgkmcnt(1)
	v_max3_f32 v34, v29, v44, v45
	v_sub_f32_e32 v29, v40, v34
	v_sub_f32_e32 v40, v41, v34
	v_mul_f32_e32 v40, 0x3fb8aa3b, v40
	v_mul_f32_e32 v29, 0x3fb8aa3b, v29
	v_exp_f32_e32 v47, v40
	v_sub_f32_e32 v40, v44, v34
	v_exp_f32_e32 v29, v29
	v_mul_f32_e32 v40, 0x3fb8aa3b, v40
	v_exp_f32_e32 v44, v40
	ds_read2_b32 v[40:41], v35 offset0:96 offset1:112
	v_sub_f32_e32 v35, v45, v34
	v_mul_f32_e32 v35, 0x3fb8aa3b, v35
	v_exp_f32_e32 v45, v35
	s_waitcnt lgkmcnt(1)
	v_fma_f32 v35, v29, v48, 0
	v_fmac_f32_e32 v35, v47, v49
	s_waitcnt lgkmcnt(0)
	v_fmac_f32_e32 v35, v44, v40
	v_fmac_f32_e32 v35, v45, v41
	v_add_f32_e32 v40, 0x358637bd, v35
	v_div_scale_f32 v41, s[4:5], v40, v40, 1.0
	v_rcp_f32_e32 v48, v41
	s_barrier
	v_fma_f32 v49, -v41, v48, 1.0
	v_fmac_f32_e32 v48, v49, v48
	v_div_scale_f32 v49, vcc, 1.0, v40, 1.0
	v_mul_f32_e32 v50, v49, v48
	v_fma_f32 v51, -v41, v50, v49
	v_fmac_f32_e32 v50, v51, v48
	v_fma_f32 v41, -v41, v50, v49
	v_div_fmas_f32 v41, v41, v48, v50
	v_cmp_eq_u32_e32 vcc, 1, v43
	v_div_fixup_f32 v40, v41, v40, 1.0
	s_nop 0
	v_cndmask_b32_e32 v29, v29, v47, vcc
	v_cmp_eq_u32_e32 vcc, 2, v43
	s_nop 1
	v_cndmask_b32_e32 v29, v29, v44, vcc
	v_cmp_eq_u32_e32 vcc, 3, v43
	s_nop 1
	v_cndmask_b32_e32 v29, v29, v45, vcc
	v_mul_f32_e32 v40, v29, v40
	v_pk_mul_f32 v[30:31], v[40:41], v[30:31] op_sel_hi:[0,1]
	v_pk_mul_f32 v[38:39], v[40:41], v[38:39] op_sel_hi:[0,1]
	v_bfe_u32 v29, v31, 16, 1
	v_bfe_u32 v41, v30, 16, 1
	v_add3_u32 v30, v30, v41, s8
	v_add3_u32 v29, v31, v29, s8
	v_perm_b32 v44, v29, v30, s44
	v_bfe_u32 v29, v39, 16, 1
	v_bfe_u32 v30, v38, 16, 1
	v_add3_u32 v30, v38, v30, s8
	v_add3_u32 v29, v39, v29, s8
	v_perm_b32 v45, v29, v30, s44
	v_lshlrev_b32_e32 v29, 3, v1
	v_lshlrev_b32_e32 v30, 11, v43
	v_pk_mul_f32 v[24:25], v[40:41], v[24:25] op_sel_hi:[0,1]
	v_or3_b32 v30, v30, v46, v29
	v_bfe_u32 v29, v25, 16, 1
	v_bfe_u32 v31, v24, 16, 1
	v_pk_mul_f32 v[36:37], v[40:41], v[36:37] op_sel_hi:[0,1]
	v_add3_u32 v24, v24, v31, s8
	v_add3_u32 v25, v25, v29, s8
	v_perm_b32 v24, v25, v24, s44
	v_bfe_u32 v25, v37, 16, 1
	v_bfe_u32 v29, v36, 16, 1
	v_add3_u32 v29, v36, v29, s8
	v_add3_u32 v25, v37, v25, s8
	v_perm_b32 v25, v25, v29, s44
	ds_write2st64_b64 v30, v[44:45], v[24:25] offset1:1
	v_pk_mul_f32 v[24:25], v[40:41], v[32:33] op_sel_hi:[0,1]
	v_bfe_u32 v29, v25, 16, 1
	v_bfe_u32 v31, v24, 16, 1
	v_pk_mul_f32 v[22:23], v[40:41], v[22:23] op_sel_hi:[0,1]
	v_add3_u32 v24, v24, v31, s8
	v_add3_u32 v25, v25, v29, s8
	v_perm_b32 v24, v25, v24, s44
	v_bfe_u32 v25, v23, 16, 1
	v_bfe_u32 v29, v22, 16, 1
	v_add3_u32 v22, v22, v29, s8
	v_add3_u32 v23, v23, v25, s8
	v_pk_mul_f32 v[20:21], v[40:41], v[20:21] op_sel_hi:[0,1]
	v_perm_b32 v25, v23, v22, s44
	v_bfe_u32 v22, v21, 16, 1
	v_bfe_u32 v23, v20, 16, 1
	v_pk_mul_f32 v[18:19], v[40:41], v[18:19] op_sel_hi:[0,1]
	v_add3_u32 v20, v20, v23, s8
	v_add3_u32 v21, v21, v22, s8
	v_perm_b32 v20, v21, v20, s44
	v_bfe_u32 v21, v19, 16, 1
	v_bfe_u32 v22, v18, 16, 1
	v_add3_u32 v18, v18, v22, s8
	v_add3_u32 v19, v19, v21, s8
	v_perm_b32 v21, v19, v18, s44
	v_cmp_gt_u32_e32 vcc, 16, v0
	ds_write2st64_b64 v30, v[24:25], v[20:21] offset0:2 offset1:3
	s_and_saveexec_b64 s[4:5], vcc
	s_cbranch_execz .LBB1143_15
; %bb.14:
	v_mov_b32_e32 v29, 0
	v_mov_b32_e32 v18, s7
	s_mul_i32 s3, s3, s7
	v_mad_u64_u32 v[18:19], s[10:11], s2, v18, v[28:29]
	v_mov_b32_e32 v28, s24
	s_load_dwordx4 s[12:15], s[0:1], 0x58
	v_add_u32_e32 v21, s3, v19
	v_mad_u64_u32 v[18:19], s[10:11], v18, s6, v[28:29]
	v_mov_b32_e32 v20, v19
	v_mad_u64_u32 v[20:21], s[10:11], v21, s6, v[20:21]
	v_mov_b32_e32 v19, v20
	v_lshlrev_b64 v[18:19], 2, v[18:19]
	s_waitcnt lgkmcnt(0)
	v_lshl_add_u64 v[20:21], s[14:15], 0, v[18:19]
	v_lshl_add_u64 v[18:19], s[12:13], 0, v[18:19]
	global_store_dword v[20:21], v34, off
	global_store_dword v[18:19], v35, off
.LBB1143_15:
	s_or_b64 exec, exec, s[4:5]
	s_waitcnt vmcnt(3)
	v_cvt_pk_f32_fp8_e32 v[18:19], v14
	v_cvt_pk_f32_fp8_sdwa v[20:21], v14 src0_sel:WORD_1
	s_mov_b32 s4, 0x7060302
	s_waitcnt lgkmcnt(0)
	s_barrier
	v_perm_b32 v28, v19, v18, s4
	v_perm_b32 v29, v21, v20, s4
	v_cvt_pk_f32_fp8_e32 v[22:23], v15
	ds_read_b128 v[18:21], v27
	v_cvt_pk_f32_fp8_sdwa v[14:15], v15 src0_sel:WORD_1
	s_load_dword s10, s[42:43], 0x0
	v_perm_b32 v36, v23, v22, s4
	ds_read_b128 v[22:25], v27 offset:16
	v_perm_b32 v37, v15, v14, s4
	s_waitcnt lgkmcnt(0)
	v_mfma_f32_16x16x16_bf16 v[32:35], v[28:29], v[18:19], 0
	v_cvt_pk_f32_fp8_e32 v[14:15], v16
	v_cvt_pk_f32_fp8_sdwa v[28:29], v16 src0_sel:WORD_1
	v_cmp_gt_u32_e32 vcc, 64, v0
	v_mfma_f32_16x16x16_bf16 v[18:21], v[36:37], v[20:21], v[32:35]
	v_perm_b32 v14, v15, v14, s4
	v_perm_b32 v15, v29, v28, s4
	s_mov_b32 s3, 0
	v_cvt_pk_f32_fp8_e32 v[32:33], v17
	v_cvt_pk_f32_fp8_sdwa v[16:17], v17 src0_sel:WORD_1
	s_waitcnt vmcnt(2)
	v_cvt_pk_f32_fp8_sdwa v[34:35], v10 src0_sel:WORD_1
	v_perm_b32 v28, v33, v32, s4
	v_cvt_pk_f32_fp8_e32 v[32:33], v10
	v_perm_b32 v29, v17, v16, s4
	v_mfma_f32_16x16x16_bf16 v[14:17], v[14:15], v[22:23], v[18:21]
	v_cvt_pk_f32_fp8_e32 v[22:23], v11
	v_perm_b32 v32, v33, v32, s4
	v_perm_b32 v33, v35, v34, s4
	ds_read_b128 v[18:21], v27 offset:2048
	v_cvt_pk_f32_fp8_sdwa v[10:11], v11 src0_sel:WORD_1
	v_mfma_f32_16x16x16_bf16 v[14:17], v[28:29], v[24:25], v[14:17]
	v_perm_b32 v28, v23, v22, s4
	ds_read_b128 v[22:25], v27 offset:2064
	v_perm_b32 v29, v11, v10, s4
	s_waitcnt lgkmcnt(1)
	v_mfma_f32_16x16x16_bf16 v[14:17], v[32:33], v[18:19], v[14:17]
	v_cvt_pk_f32_fp8_e32 v[10:11], v12
	v_cvt_pk_f32_fp8_sdwa v[18:19], v12 src0_sel:WORD_1
	v_perm_b32 v10, v11, v10, s4
	v_mfma_f32_16x16x16_bf16 v[14:17], v[28:29], v[20:21], v[14:17]
	v_cvt_pk_f32_fp8_e32 v[20:21], v13
	v_perm_b32 v11, v19, v18, s4
	v_cvt_pk_f32_fp8_sdwa v[12:13], v13 src0_sel:WORD_1
	s_waitcnt vmcnt(1)
	v_cvt_pk_f32_fp8_sdwa v[28:29], v6 src0_sel:WORD_1
	v_perm_b32 v18, v21, v20, s4
	v_cvt_pk_f32_fp8_e32 v[20:21], v6
	v_perm_b32 v19, v13, v12, s4
	s_waitcnt lgkmcnt(0)
	v_mfma_f32_16x16x16_bf16 v[10:13], v[10:11], v[22:23], v[14:17]
	v_perm_b32 v23, v29, v28, s4
	v_perm_b32 v22, v21, v20, s4
	v_cvt_pk_f32_fp8_e32 v[20:21], v7
	ds_read_b128 v[14:17], v27 offset:4096
	v_cvt_pk_f32_fp8_sdwa v[6:7], v7 src0_sel:WORD_1
	v_mfma_f32_16x16x16_bf16 v[10:13], v[18:19], v[24:25], v[10:13]
	v_perm_b32 v24, v21, v20, s4
	ds_read_b128 v[18:21], v27 offset:4112
	v_perm_b32 v25, v7, v6, s4
	s_waitcnt lgkmcnt(1)
	v_mfma_f32_16x16x16_bf16 v[10:13], v[22:23], v[14:15], v[10:13]
	v_cvt_pk_f32_fp8_e32 v[6:7], v8
	v_cvt_pk_f32_fp8_sdwa v[14:15], v8 src0_sel:WORD_1
	s_waitcnt vmcnt(0)
	v_cvt_pk_f32_fp8_sdwa v[22:23], v2 src0_sel:WORD_1
	v_mfma_f32_16x16x16_bf16 v[10:13], v[24:25], v[16:17], v[10:13]
	v_cvt_pk_f32_fp8_e32 v[16:17], v9
	v_perm_b32 v6, v7, v6, s4
	v_perm_b32 v7, v15, v14, s4
	v_cvt_pk_f32_fp8_sdwa v[8:9], v9 src0_sel:WORD_1
	v_perm_b32 v14, v17, v16, s4
	v_cvt_pk_f32_fp8_e32 v[16:17], v2
	v_perm_b32 v15, v9, v8, s4
	s_waitcnt lgkmcnt(0)
	v_mfma_f32_16x16x16_bf16 v[6:9], v[6:7], v[18:19], v[10:13]
	v_perm_b32 v18, v17, v16, s4
	v_perm_b32 v19, v23, v22, s4
	v_cvt_pk_f32_fp8_e32 v[16:17], v3
	ds_read_b128 v[10:13], v27 offset:6144
	v_cvt_pk_f32_fp8_sdwa v[2:3], v3 src0_sel:WORD_1
	v_mfma_f32_16x16x16_bf16 v[6:9], v[14:15], v[20:21], v[6:9]
	v_perm_b32 v20, v17, v16, s4
	ds_read_b128 v[14:17], v27 offset:6160
	v_perm_b32 v21, v3, v2, s4
	s_waitcnt lgkmcnt(1)
	v_mfma_f32_16x16x16_bf16 v[6:9], v[18:19], v[10:11], v[6:9]
	v_cvt_pk_f32_fp8_e32 v[2:3], v4
	v_cvt_pk_f32_fp8_sdwa v[10:11], v4 src0_sel:WORD_1
	v_mov_b32_e32 v27, 0
	v_mfma_f32_16x16x16_bf16 v[6:9], v[20:21], v[12:13], v[6:9]
	v_perm_b32 v2, v3, v2, s4
	v_perm_b32 v3, v11, v10, s4
	v_cvt_pk_f32_fp8_e32 v[10:11], v5
	v_cvt_pk_f32_fp8_sdwa v[4:5], v5 src0_sel:WORD_1
	s_waitcnt lgkmcnt(0)
	s_barrier
	v_perm_b32 v10, v11, v10, s4
	v_perm_b32 v11, v5, v4, s4
	v_mfma_f32_16x16x16_bf16 v[2:5], v[2:3], v[14:15], v[6:9]
	s_nop 0
	v_mfma_f32_16x16x16_bf16 v[2:5], v[10:11], v[16:17], v[2:5]
	s_nop 6
	v_pk_mul_f32 v[2:3], v[2:3], s[10:11] op_sel_hi:[1,0]
	v_pk_mul_f32 v[4:5], v[4:5], s[10:11] op_sel_hi:[1,0]
	v_bfe_u32 v6, v3, 16, 1
	v_bfe_u32 v7, v2, 16, 1
	v_add3_u32 v2, v2, v7, s8
	v_add3_u32 v3, v3, v6, s8
	v_perm_b32 v2, v3, v2, s4
	v_bfe_u32 v3, v5, 16, 1
	v_bfe_u32 v6, v4, 16, 1
	v_add3_u32 v4, v4, v6, s8
	v_add3_u32 v3, v5, v3, s8
	v_perm_b32 v3, v3, v4, s4
	s_and_b64 s[4:5], vcc, s[26:27]
	ds_write_b64 v30, v[2:3]
	s_waitcnt lgkmcnt(0)
	s_barrier
	s_and_saveexec_b64 s[8:9], s[4:5]
	s_cbranch_execz .LBB1143_17
; %bb.16:
	s_load_dwordx2 s[0:1], s[0:1], 0x68
	s_lshl_b32 s6, s6, 6
	s_mul_i32 s2, s7, s2
	s_mul_hi_u32 s5, s2, s6
	s_mul_i32 s4, s2, s6
	s_lshl_b64 s[4:5], s[4:5], 1
	s_waitcnt lgkmcnt(0)
	s_add_u32 s4, s0, s4
	s_addc_u32 s5, s1, s5
	s_lshl_b32 s2, s24, 6
	v_lshlrev_b32_e32 v0, 10, v0
	s_lshl_b64 s[0:1], s[2:3], 1
	v_and_b32_e32 v0, 0x1800, v0
	v_lshlrev_b32_e32 v2, 5, v1
	v_and_b32_e32 v3, 16, v42
	s_add_u32 s0, s4, s0
	v_or3_b32 v0, v0, v2, v3
	s_addc_u32 s1, s5, s1
	v_or_b32_e32 v20, s25, v1
	ds_read_b128 v[2:5], v0
	ds_read_b128 v[6:9], v0 offset:128
	ds_read_b128 v[10:13], v0 offset:256
	;; [unrolled: 1-line block ×3, first 2 shown]
	v_lshl_add_u64 v[18:19], s[0:1], 0, v[26:27]
	v_mad_u64_u32 v[0:1], s[0:1], v20, s6, 0
	v_lshl_add_u64 v[0:1], v[0:1], 1, v[18:19]
	s_waitcnt lgkmcnt(3)
	global_store_dwordx4 v[0:1], v[2:5], off
	v_or_b32_e32 v0, 4, v20
	v_mad_u64_u32 v[0:1], s[0:1], v0, s6, 0
	v_lshl_add_u64 v[0:1], v[0:1], 1, v[18:19]
	s_waitcnt lgkmcnt(2)
	global_store_dwordx4 v[0:1], v[6:9], off
	v_or_b32_e32 v0, 8, v20
	;; [unrolled: 5-line block ×3, first 2 shown]
	v_mad_u64_u32 v[0:1], s[0:1], v0, s6, 0
	v_lshl_add_u64 v[0:1], v[0:1], 1, v[18:19]
	s_waitcnt lgkmcnt(0)
	global_store_dwordx4 v[0:1], v[14:17], off
.LBB1143_17:
	s_endpgm
	.section	.rodata,"a",@progbits
	.p2align	6, 0x0
	.amdhsa_kernel _Z39paged_attention_ll4mi_QKV_mfma16_kernelI14__hip_bfloat16hLN4vllm18Fp8KVCacheDataTypeE1ES0_Li16ELi64ELi256ELb1ELi16EEvPKT_PKT0_S8_ifPKiSA_SA_iPKfiiiPfSD_PS3_PT2_iSC_SC_
		.amdhsa_group_segment_fixed_size 8192
		.amdhsa_private_segment_fixed_size 0
		.amdhsa_kernarg_size 400
		.amdhsa_user_sgpr_count 2
		.amdhsa_user_sgpr_dispatch_ptr 0
		.amdhsa_user_sgpr_queue_ptr 0
		.amdhsa_user_sgpr_kernarg_segment_ptr 1
		.amdhsa_user_sgpr_dispatch_id 0
		.amdhsa_user_sgpr_kernarg_preload_length 0
		.amdhsa_user_sgpr_kernarg_preload_offset 0
		.amdhsa_user_sgpr_private_segment_size 0
		.amdhsa_uses_dynamic_stack 0
		.amdhsa_enable_private_segment 0
		.amdhsa_system_sgpr_workgroup_id_x 1
		.amdhsa_system_sgpr_workgroup_id_y 1
		.amdhsa_system_sgpr_workgroup_id_z 1
		.amdhsa_system_sgpr_workgroup_info 0
		.amdhsa_system_vgpr_workitem_id 0
		.amdhsa_next_free_vgpr 62
		.amdhsa_next_free_sgpr 49
		.amdhsa_accum_offset 64
		.amdhsa_reserve_vcc 1
		.amdhsa_float_round_mode_32 0
		.amdhsa_float_round_mode_16_64 0
		.amdhsa_float_denorm_mode_32 3
		.amdhsa_float_denorm_mode_16_64 3
		.amdhsa_dx10_clamp 1
		.amdhsa_ieee_mode 1
		.amdhsa_fp16_overflow 0
		.amdhsa_tg_split 0
		.amdhsa_exception_fp_ieee_invalid_op 0
		.amdhsa_exception_fp_denorm_src 0
		.amdhsa_exception_fp_ieee_div_zero 0
		.amdhsa_exception_fp_ieee_overflow 0
		.amdhsa_exception_fp_ieee_underflow 0
		.amdhsa_exception_fp_ieee_inexact 0
		.amdhsa_exception_int_div_zero 0
	.end_amdhsa_kernel
	.section	.text._Z39paged_attention_ll4mi_QKV_mfma16_kernelI14__hip_bfloat16hLN4vllm18Fp8KVCacheDataTypeE1ES0_Li16ELi64ELi256ELb1ELi16EEvPKT_PKT0_S8_ifPKiSA_SA_iPKfiiiPfSD_PS3_PT2_iSC_SC_,"axG",@progbits,_Z39paged_attention_ll4mi_QKV_mfma16_kernelI14__hip_bfloat16hLN4vllm18Fp8KVCacheDataTypeE1ES0_Li16ELi64ELi256ELb1ELi16EEvPKT_PKT0_S8_ifPKiSA_SA_iPKfiiiPfSD_PS3_PT2_iSC_SC_,comdat
.Lfunc_end1143:
	.size	_Z39paged_attention_ll4mi_QKV_mfma16_kernelI14__hip_bfloat16hLN4vllm18Fp8KVCacheDataTypeE1ES0_Li16ELi64ELi256ELb1ELi16EEvPKT_PKT0_S8_ifPKiSA_SA_iPKfiiiPfSD_PS3_PT2_iSC_SC_, .Lfunc_end1143-_Z39paged_attention_ll4mi_QKV_mfma16_kernelI14__hip_bfloat16hLN4vllm18Fp8KVCacheDataTypeE1ES0_Li16ELi64ELi256ELb1ELi16EEvPKT_PKT0_S8_ifPKiSA_SA_iPKfiiiPfSD_PS3_PT2_iSC_SC_
                                        ; -- End function
	.section	.AMDGPU.csdata,"",@progbits
; Kernel info:
; codeLenInByte = 5100
; NumSgprs: 55
; NumVgprs: 62
; NumAgprs: 0
; TotalNumVgprs: 62
; ScratchSize: 0
; MemoryBound: 0
; FloatMode: 240
; IeeeMode: 1
; LDSByteSize: 8192 bytes/workgroup (compile time only)
; SGPRBlocks: 6
; VGPRBlocks: 7
; NumSGPRsForWavesPerEU: 55
; NumVGPRsForWavesPerEU: 62
; AccumOffset: 64
; Occupancy: 8
; WaveLimiterHint : 1
; COMPUTE_PGM_RSRC2:SCRATCH_EN: 0
; COMPUTE_PGM_RSRC2:USER_SGPR: 2
; COMPUTE_PGM_RSRC2:TRAP_HANDLER: 0
; COMPUTE_PGM_RSRC2:TGID_X_EN: 1
; COMPUTE_PGM_RSRC2:TGID_Y_EN: 1
; COMPUTE_PGM_RSRC2:TGID_Z_EN: 1
; COMPUTE_PGM_RSRC2:TIDIG_COMP_CNT: 0
; COMPUTE_PGM_RSRC3_GFX90A:ACCUM_OFFSET: 15
; COMPUTE_PGM_RSRC3_GFX90A:TG_SPLIT: 0
	.section	.text._Z39paged_attention_ll4mi_QKV_mfma16_kernelI14__hip_bfloat16hLN4vllm18Fp8KVCacheDataTypeE1ES0_Li16ELi64ELi256ELb1ELi1EEvPKT_PKT0_S8_ifPKiSA_SA_iPKfiiiPfSD_PS3_PT2_iSC_SC_,"axG",@progbits,_Z39paged_attention_ll4mi_QKV_mfma16_kernelI14__hip_bfloat16hLN4vllm18Fp8KVCacheDataTypeE1ES0_Li16ELi64ELi256ELb1ELi1EEvPKT_PKT0_S8_ifPKiSA_SA_iPKfiiiPfSD_PS3_PT2_iSC_SC_,comdat
	.protected	_Z39paged_attention_ll4mi_QKV_mfma16_kernelI14__hip_bfloat16hLN4vllm18Fp8KVCacheDataTypeE1ES0_Li16ELi64ELi256ELb1ELi1EEvPKT_PKT0_S8_ifPKiSA_SA_iPKfiiiPfSD_PS3_PT2_iSC_SC_ ; -- Begin function _Z39paged_attention_ll4mi_QKV_mfma16_kernelI14__hip_bfloat16hLN4vllm18Fp8KVCacheDataTypeE1ES0_Li16ELi64ELi256ELb1ELi1EEvPKT_PKT0_S8_ifPKiSA_SA_iPKfiiiPfSD_PS3_PT2_iSC_SC_
	.globl	_Z39paged_attention_ll4mi_QKV_mfma16_kernelI14__hip_bfloat16hLN4vllm18Fp8KVCacheDataTypeE1ES0_Li16ELi64ELi256ELb1ELi1EEvPKT_PKT0_S8_ifPKiSA_SA_iPKfiiiPfSD_PS3_PT2_iSC_SC_
	.p2align	8
	.type	_Z39paged_attention_ll4mi_QKV_mfma16_kernelI14__hip_bfloat16hLN4vllm18Fp8KVCacheDataTypeE1ES0_Li16ELi64ELi256ELb1ELi1EEvPKT_PKT0_S8_ifPKiSA_SA_iPKfiiiPfSD_PS3_PT2_iSC_SC_,@function
_Z39paged_attention_ll4mi_QKV_mfma16_kernelI14__hip_bfloat16hLN4vllm18Fp8KVCacheDataTypeE1ES0_Li16ELi64ELi256ELb1ELi1EEvPKT_PKT0_S8_ifPKiSA_SA_iPKfiiiPfSD_PS3_PT2_iSC_SC_: ; @_Z39paged_attention_ll4mi_QKV_mfma16_kernelI14__hip_bfloat16hLN4vllm18Fp8KVCacheDataTypeE1ES0_Li16ELi64ELi256ELb1ELi1EEvPKT_PKT0_S8_ifPKiSA_SA_iPKfiiiPfSD_PS3_PT2_iSC_SC_
; %bb.0:
	s_load_dwordx2 s[6:7], s[0:1], 0x30
	s_mov_b32 s30, s3
	s_mov_b64 s[8:9], 0
	s_waitcnt lgkmcnt(0)
	s_cmp_lg_u64 s[6:7], 0
	s_cselect_b64 s[10:11], -1, 0
	s_and_b64 vcc, exec, s[10:11]
	s_cbranch_vccz .LBB1144_7
; %bb.1:
	s_add_i32 s12, s2, 1
	s_mov_b32 s13, 0
	s_lshl_b64 s[14:15], s[12:13], 2
	s_add_u32 s14, s6, s14
	s_mov_b32 s3, s13
	s_addc_u32 s15, s7, s15
	s_lshl_b64 s[12:13], s[2:3], 2
	s_add_u32 s12, s6, s12
	s_addc_u32 s13, s7, s13
	s_load_dword s5, s[14:15], 0x0
	s_load_dword s16, s[12:13], 0x0
	s_waitcnt lgkmcnt(0)
	s_sub_i32 s5, s5, s16
	s_cmp_eq_u32 s5, 1
	s_cselect_b64 s[12:13], -1, 0
	s_andn2_b64 vcc, exec, s[8:9]
	s_cbranch_vccnz .LBB1144_3
.LBB1144_2:
	s_mov_b32 s3, 0
	s_mov_b64 s[12:13], -1
.LBB1144_3:
	s_andn2_b64 vcc, exec, s[12:13]
	s_cbranch_vccnz .LBB1144_19
; %bb.4:
	s_load_dwordx2 s[8:9], s[0:1], 0x28
	s_lshl_b64 s[12:13], s[2:3], 2
	s_waitcnt lgkmcnt(0)
	s_add_u32 s8, s8, s12
	s_addc_u32 s9, s9, s13
	s_load_dword s31, s[8:9], 0x0
	s_lshl_b32 s16, s30, 8
	s_waitcnt lgkmcnt(0)
	s_cmp_ge_i32 s16, s31
	s_cbranch_scc1 .LBB1144_19
; %bb.5:
	s_load_dwordx2 s[8:9], s[0:1], 0x20
	s_load_dword s5, s[0:1], 0x38
	s_add_i32 s14, s31, 15
	s_ashr_i32 s15, s14, 31
	v_and_b32_e32 v1, 0xcf, v0
	s_lshr_b32 s15, s15, 28
	v_add_u32_e32 v1, s16, v1
	s_add_i32 s14, s14, s15
	v_ashrrev_i32_e32 v2, 31, v1
	s_ashr_i32 s17, s14, 4
	v_lshrrev_b32_e32 v4, 28, v2
	s_add_i32 s17, s17, -1
	s_waitcnt lgkmcnt(0)
	s_mul_i32 s14, s2, s5
	s_mov_b32 s15, 0
	v_add_u32_e32 v2, v1, v4
	s_lshl_b64 s[14:15], s[14:15], 2
	v_ashrrev_i32_e32 v2, 4, v2
	v_mov_b32_e32 v5, s17
	v_cmp_gt_i32_e32 vcc, s31, v1
	s_add_u32 s8, s8, s14
	s_addc_u32 s9, s9, s15
	v_cndmask_b32_e32 v2, v5, v2, vcc
	v_ashrrev_i32_e32 v3, 31, v2
	v_lshl_add_u64 v[6:7], v[2:3], 2, s[8:9]
	v_or_b32_e32 v2, 16, v1
	v_add_u32_e32 v3, v2, v4
	v_ashrrev_i32_e32 v3, 4, v3
	v_cmp_gt_i32_e32 vcc, s31, v2
	s_load_dwordx2 s[14:15], s[0:1], 0x8
	s_nop 0
	v_cndmask_b32_e32 v2, v5, v3, vcc
	v_ashrrev_i32_e32 v3, 31, v2
	v_lshl_add_u64 v[8:9], v[2:3], 2, s[8:9]
	v_or_b32_e32 v2, 32, v1
	v_add_u32_e32 v3, v2, v4
	v_ashrrev_i32_e32 v3, 4, v3
	v_cmp_gt_i32_e32 vcc, s31, v2
	v_or_b32_e32 v1, 48, v1
	s_nop 0
	v_cndmask_b32_e32 v2, v5, v3, vcc
	v_ashrrev_i32_e32 v3, 31, v2
	v_lshl_add_u64 v[10:11], v[2:3], 2, s[8:9]
	v_add_u32_e32 v2, v1, v4
	v_ashrrev_i32_e32 v2, 4, v2
	v_cmp_gt_i32_e32 vcc, s31, v1
	s_nop 1
	v_cndmask_b32_e32 v2, v5, v2, vcc
	v_ashrrev_i32_e32 v3, 31, v2
	v_lshl_add_u64 v[12:13], v[2:3], 2, s[8:9]
	global_load_dword v5, v[6:7], off
	global_load_dword v4, v[8:9], off
	;; [unrolled: 1-line block ×4, first 2 shown]
	s_andn2_b64 vcc, exec, s[10:11]
	s_cbranch_vccnz .LBB1144_8
; %bb.6:
	s_add_u32 s6, s6, s12
	s_addc_u32 s7, s7, s13
	s_load_dword s5, s[6:7], 0x0
	s_branch .LBB1144_9
.LBB1144_7:
	s_mov_b64 s[12:13], 0
	s_branch .LBB1144_2
.LBB1144_8:
	s_mov_b32 s5, s2
.LBB1144_9:
	s_load_dwordx2 s[10:11], s[0:1], 0x10
	s_load_dwordx4 s[48:51], s[0:1], 0x48
	v_lshrrev_b32_e32 v56, 6, v0
	v_bfe_u32 v54, v0, 4, 2
	v_lshl_or_b32 v1, v56, 2, v54
	v_and_b32_e32 v57, 15, v0
	v_lshlrev_b32_e32 v6, 3, v57
	v_cmp_eq_u32_e32 vcc, 0, v1
	v_cmp_gt_u32_e64 s[6:7], 8, v57
	s_and_b64 s[18:19], s[6:7], vcc
	v_lshlrev_b32_e32 v1, 1, v6
	v_lshlrev_b32_e32 v55, 4, v0
	s_and_saveexec_b64 s[12:13], s[18:19]
	s_cbranch_execz .LBB1144_11
; %bb.10:
	s_load_dwordx2 s[18:19], s[0:1], 0x0
	s_waitcnt lgkmcnt(0)
	s_ashr_i32 s20, s48, 31
	s_mul_hi_u32 s21, s5, s48
	s_mul_i32 s20, s5, s20
	s_add_i32 s21, s21, s20
	s_mul_i32 s20, s5, s48
	s_lshl_b64 s[20:21], s[20:21], 1
	s_add_u32 s5, s18, s20
	s_addc_u32 s20, s19, s21
	s_lshl_b32 s18, s4, 6
	s_ashr_i32 s19, s18, 31
	s_lshl_b64 s[18:19], s[18:19], 1
	s_add_u32 s18, s5, s18
	s_addc_u32 s19, s20, s19
	global_load_dwordx4 v[6:9], v1, s[18:19]
	v_lshlrev_b32_e32 v10, 8, v57
	v_and_b32_e32 v11, 16, v55
	s_movk_i32 s5, 0xe00
	v_and_or_b32 v10, v10, s5, v11
	s_waitcnt vmcnt(0)
	ds_write_b128 v10, v[6:9]
.LBB1144_11:
	s_or_b64 exec, exec, s[12:13]
	s_waitcnt lgkmcnt(0)
	s_mul_i32 s18, s4, s50
	s_add_u32 s12, s14, s18
	s_addc_u32 s13, s15, 0
	v_and_b32_e32 v28, 48, v0
	v_and_b32_e32 v26, 0xf0, v55
	v_mov_b32_e32 v27, 0
	v_lshl_add_u64 v[6:7], s[12:13], 0, v[26:27]
	v_lshlrev_b32_e32 v26, 4, v28
	v_lshl_add_u64 v[6:7], v[6:7], 0, v[26:27]
	s_waitcnt vmcnt(3)
	v_mad_i64_i32 v[8:9], s[12:13], v5, s49, v[6:7]
	s_waitcnt vmcnt(2)
	v_mad_i64_i32 v[4:5], s[12:13], v4, s49, v[6:7]
	s_barrier
	global_load_dwordx4 v[22:25], v[8:9], off
	global_load_dwordx4 v[18:21], v[4:5], off
	s_waitcnt vmcnt(3)
	v_mad_i64_i32 v[4:5], s[12:13], v3, s49, v[6:7]
	s_waitcnt vmcnt(2)
	v_mad_i64_i32 v[2:3], s[12:13], v2, s49, v[6:7]
	global_load_dwordx4 v[14:17], v[4:5], off
	global_load_dwordx4 v[6:9], v[2:3], off
	v_lshlrev_b32_e32 v2, 9, v54
	ds_read_b128 v[10:13], v2
	ds_read_b128 v[2:5], v2 offset:16
	v_and_b32_e32 v58, 63, v0
	v_cmp_eq_u32_e32 vcc, 0, v57
	v_mov_b32_e32 v59, 0
	s_and_saveexec_b64 s[12:13], vcc
	s_cbranch_execz .LBB1144_13
; %bb.12:
	s_load_dwordx2 s[14:15], s[0:1], 0x40
	s_ashr_i32 s5, s4, 31
	s_lshl_b64 s[20:21], s[4:5], 2
	s_waitcnt lgkmcnt(0)
	s_add_u32 s14, s14, s20
	s_addc_u32 s15, s15, s21
	s_load_dword s5, s[14:15], 0x0
	s_waitcnt lgkmcnt(0)
	v_mov_b32_e32 v59, s5
.LBB1144_13:
	s_or_b64 exec, exec, s[12:13]
	v_or_b32_e32 v61, s16, v28
	v_ashrrev_i32_e32 v26, 4, v61
	v_mov_b32_e32 v69, s17
	v_cmp_gt_i32_e32 vcc, s31, v61
	s_waitcnt vmcnt(3)
	v_cvt_pk_f32_fp8_sdwa v[30:31], v22 src0_sel:WORD_1
	s_waitcnt vmcnt(2)
	v_cvt_pk_f32_fp8_e32 v[50:51], v18
	v_cndmask_b32_e32 v28, v69, v26, vcc
	v_ashrrev_i32_e32 v29, 31, v28
	v_lshl_add_u64 v[28:29], v[28:29], 2, s[8:9]
	global_load_dword v60, v[28:29], off
	v_cvt_pk_f32_fp8_e32 v[28:29], v22
	v_cvt_pk_f32_fp8_sdwa v[52:53], v18 src0_sel:WORD_1
	s_add_u32 s10, s10, s18
	v_lshlrev_b32_e32 v18, 4, v57
	s_mov_b32 s5, 0x7060302
	v_lshl_or_b32 v26, v56, 8, v18
	s_addc_u32 s11, s11, 0
	v_cvt_pk_f32_fp8_e32 v[32:33], v23
	v_cvt_pk_f32_fp8_sdwa v[34:35], v23 src0_sel:WORD_1
	v_cvt_pk_f32_fp8_sdwa v[36:37], v24 src0_sel:WORD_1
	v_cvt_pk_f32_fp8_e32 v[40:41], v19
	v_cvt_pk_f32_fp8_sdwa v[42:43], v19 src0_sel:WORD_1
	v_lshl_add_u64 v[18:19], s[10:11], 0, v[26:27]
	v_perm_b32 v26, v29, v28, s5
	v_perm_b32 v27, v31, v30, s5
	;; [unrolled: 1-line block ×4, first 2 shown]
	v_cvt_pk_f32_fp8_e32 v[38:39], v24
	v_cvt_pk_f32_fp8_e32 v[46:47], v20
	v_cvt_pk_f32_fp8_sdwa v[44:45], v20 src0_sel:WORD_1
	v_perm_b32 v50, v33, v32, s5
	v_perm_b32 v51, v35, v34, s5
	;; [unrolled: 1-line block ×5, first 2 shown]
	v_cvt_pk_f32_fp8_e32 v[22:23], v25
	v_cvt_pk_f32_fp8_sdwa v[24:25], v25 src0_sel:WORD_1
	s_waitcnt lgkmcnt(1)
	v_mfma_f32_16x16x16_bf16 v[26:29], v[26:27], v[10:11], 0
	s_waitcnt vmcnt(2)
	v_cvt_pk_f32_fp8_e32 v[62:63], v14
	v_cvt_pk_f32_fp8_sdwa v[64:65], v14 src0_sel:WORD_1
	v_or_b32_e32 v14, 64, v61
	v_mfma_f32_16x16x16_bf16 v[30:33], v[30:31], v[10:11], 0
	s_load_dword s12, s[0:1], 0x1c
	s_load_dwordx4 s[44:47], s[0:1], 0x80
	v_or_b32_e32 v70, 0x80, v61
	v_ashrrev_i32_e32 v68, 4, v14
	v_cmp_gt_i32_e32 vcc, s31, v14
	v_perm_b32 v34, v39, v38, s5
	v_perm_b32 v40, v47, v46, s5
	;; [unrolled: 1-line block ×3, first 2 shown]
	v_cvt_pk_f32_fp8_e32 v[48:49], v21
	v_cvt_pk_f32_fp8_sdwa v[20:21], v21 src0_sel:WORD_1
	v_or_b32_e32 v61, 0xc0, v61
	v_ashrrev_i32_e32 v71, 4, v70
	v_cndmask_b32_e32 v68, v69, v68, vcc
	v_cmp_gt_i32_e32 vcc, s31, v70
	v_mfma_f32_16x16x16_bf16 v[26:29], v[50:51], v[12:13], v[26:29]
	v_perm_b32 v38, v23, v22, s5
	v_perm_b32 v39, v25, v24, s5
	v_ashrrev_i32_e32 v72, 4, v61
	v_mfma_f32_16x16x16_bf16 v[22:25], v[36:37], v[12:13], v[30:33]
	v_cndmask_b32_e32 v70, v69, v71, vcc
	v_cmp_gt_i32_e32 vcc, s31, v61
	v_ashrrev_i32_e32 v71, 31, v70
	v_perm_b32 v31, v21, v20, s5
	v_cndmask_b32_e32 v72, v69, v72, vcc
	v_ashrrev_i32_e32 v69, 31, v68
	v_ashrrev_i32_e32 v73, 31, v72
	s_waitcnt lgkmcnt(0)
	v_mfma_f32_16x16x16_bf16 v[26:29], v[34:35], v[2:3], v[26:29]
	v_lshl_add_u64 v[34:35], v[68:69], 2, s[8:9]
	v_lshl_add_u64 v[36:37], v[70:71], 2, s[8:9]
	v_mov_b32_e32 v33, s12
	v_mfma_f32_16x16x16_bf16 v[20:23], v[40:41], v[2:3], v[22:25]
	v_lshl_add_u64 v[40:41], v[72:73], 2, s[8:9]
	s_load_dword s8, s[44:45], 0x0
	v_cvt_pk_f32_fp8_e32 v[66:67], v15
	v_perm_b32 v30, v49, v48, s5
	v_perm_b32 v32, v63, v62, s5
	v_mfma_f32_16x16x16_bf16 v[24:27], v[38:39], v[4:5], v[26:29]
	s_waitcnt lgkmcnt(0)
	v_mul_f32_e32 v48, s8, v33
	v_perm_b32 v33, v65, v64, s5
	global_load_dword v14, v[34:35], off
	global_load_dword v38, v[36:37], off
	;; [unrolled: 1-line block ×3, first 2 shown]
	v_cvt_pk_f32_fp8_sdwa v[28:29], v15 src0_sel:WORD_1
	v_perm_b32 v36, v67, v66, s5
	v_cvt_pk_f32_fp8_e32 v[40:41], v16
	v_cvt_pk_f32_fp8_sdwa v[42:43], v16 src0_sel:WORD_1
	v_perm_b32 v37, v29, v28, s5
	v_mfma_f32_16x16x16_bf16 v[32:35], v[32:33], v[10:11], 0
	v_perm_b32 v28, v41, v40, s5
	v_perm_b32 v29, v43, v42, s5
	v_cvt_pk_f32_fp8_e32 v[40:41], v17
	v_cvt_pk_f32_fp8_sdwa v[16:17], v17 src0_sel:WORD_1
	v_mfma_f32_16x16x16_bf16 v[32:35], v[36:37], v[12:13], v[32:35]
	v_pk_mul_f32 v[26:27], v[48:49], v[26:27] op_sel_hi:[0,1]
	v_perm_b32 v36, v41, v40, s5
	v_perm_b32 v37, v17, v16, s5
	v_mfma_f32_16x16x16_bf16 v[40:43], v[28:29], v[2:3], v[32:35]
	s_waitcnt vmcnt(4)
	v_cvt_pk_f32_fp8_e32 v[16:17], v6
	v_cvt_pk_f32_fp8_e32 v[28:29], v7
	s_mov_b32 s33, 0xff7fffff
	v_pk_mul_f32 v[34:35], v[48:49], v[24:25] op_sel_hi:[0,1]
	v_cvt_pk_f32_fp8_sdwa v[24:25], v6 src0_sel:WORD_1
	v_perm_b32 v16, v17, v16, s5
	v_cvt_pk_f32_fp8_sdwa v[6:7], v7 src0_sel:WORD_1
	v_cvt_pk_f32_fp8_sdwa v[32:33], v8 src0_sel:WORD_1
	v_perm_b32 v17, v25, v24, s5
	v_perm_b32 v24, v29, v28, s5
	v_cvt_pk_f32_fp8_e32 v[28:29], v8
	v_perm_b32 v25, v7, v6, s5
	v_mfma_f32_16x16x16_bf16 v[44:47], v[16:17], v[10:11], 0
	v_perm_b32 v10, v29, v28, s5
	v_perm_b32 v11, v33, v32, s5
	v_cvt_pk_f32_fp8_e32 v[16:17], v9
	v_cvt_pk_f32_fp8_sdwa v[28:29], v9 src0_sel:WORD_1
	v_mfma_f32_16x16x16_bf16 v[6:9], v[24:25], v[12:13], v[44:47]
	v_perm_b32 v12, v17, v16, s5
	v_perm_b32 v13, v29, v28, s5
	v_mfma_f32_16x16x16_bf16 v[6:9], v[10:11], v[2:3], v[6:9]
	v_mfma_f32_16x16x16_bf16 v[20:23], v[30:31], v[4:5], v[20:23]
	s_waitcnt vmcnt(3)
	v_mad_i64_i32 v[30:31], s[8:9], v60, s49, v[18:19]
	v_mfma_f32_16x16x16_bf16 v[40:43], v[36:37], v[4:5], v[40:43]
	v_mfma_f32_16x16x16_bf16 v[2:5], v[12:13], v[4:5], v[6:9]
	s_nop 2
	v_pk_mul_f32 v[32:33], v[48:49], v[22:23] op_sel_hi:[0,1]
	v_pk_mul_f32 v[36:37], v[48:49], v[20:21] op_sel_hi:[0,1]
	s_nop 0
	v_pk_mul_f32 v[24:25], v[48:49], v[42:43] op_sel_hi:[0,1]
	v_pk_mul_f32 v[28:29], v[48:49], v[40:41] op_sel_hi:[0,1]
	;; [unrolled: 1-line block ×3, first 2 shown]
	v_and_b32_e32 v2, 0xc0, v0
	v_add_u32_e32 v2, s16, v2
	v_lshl_or_b32 v2, v54, 2, v2
	v_or_b32_e32 v3, 1, v2
	v_pk_mul_f32 v[20:21], v[48:49], v[4:5] op_sel_hi:[0,1]
	v_subrev_u32_e32 v4, s31, v3
	v_add_u32_e32 v6, 1, v4
	v_add_u32_e32 v7, 2, v4
	;; [unrolled: 1-line block ×3, first 2 shown]
	v_cvt_f32_i32_e32 v6, v6
	v_cvt_f32_i32_e32 v7, v7
	;; [unrolled: 1-line block ×3, first 2 shown]
	v_add_u32_e32 v9, 19, v4
	v_fmac_f32_e32 v35, v59, v6
	v_fma_f32 v26, v59, v7, v26
	v_fmac_f32_e32 v27, v59, v8
	v_add_u32_e32 v6, 16, v4
	v_add_u32_e32 v7, 17, v4
	;; [unrolled: 1-line block ×3, first 2 shown]
	v_cvt_f32_i32_e32 v6, v6
	v_cvt_f32_i32_e32 v7, v7
	;; [unrolled: 1-line block ×4, first 2 shown]
	v_fma_f32 v36, v59, v6, v36
	v_fmac_f32_e32 v37, v59, v7
	v_fma_f32 v32, v59, v8, v32
	v_add_u32_e32 v6, 32, v4
	v_add_u32_e32 v7, 33, v4
	;; [unrolled: 1-line block ×3, first 2 shown]
	v_cvt_f32_i32_e32 v6, v6
	v_cvt_f32_i32_e32 v7, v7
	;; [unrolled: 1-line block ×4, first 2 shown]
	v_fmac_f32_e32 v33, v59, v9
	v_add_u32_e32 v9, 35, v4
	v_fma_f32 v28, v59, v6, v28
	v_fmac_f32_e32 v29, v59, v7
	v_fma_f32 v24, v59, v8, v24
	v_add_u32_e32 v6, 48, v4
	v_add_u32_e32 v7, 49, v4
	;; [unrolled: 1-line block ×4, first 2 shown]
	v_cvt_f32_i32_e32 v4, v4
	v_cvt_f32_i32_e32 v6, v6
	;; [unrolled: 1-line block ×3, first 2 shown]
	v_fma_f32 v5, v59, v5, v34
	v_fmac_f32_e32 v21, v59, v4
	v_mov_b32_e32 v4, 0xff7fffff
	v_cmp_gt_i32_e64 s[34:35], s31, v2
	v_cmp_gt_i32_e64 s[36:37], s31, v3
	v_fma_f32 v22, v59, v6, v22
	v_cndmask_b32_e64 v6, v4, v5, s[34:35]
	v_cndmask_b32_e64 v3, v4, v35, s[36:37]
	v_fmac_f32_e32 v23, v59, v7
	v_max3_f32 v3, v6, s33, v3
	v_or_b32_e32 v6, 2, v2
	v_or_b32_e32 v7, 3, v2
	v_cmp_gt_i32_e64 s[38:39], s31, v6
	v_cmp_gt_i32_e64 s[40:41], s31, v7
	v_cvt_f32_i32_e32 v9, v9
	v_cndmask_b32_e64 v6, v4, v26, s[38:39]
	v_cndmask_b32_e64 v7, v4, v27, s[40:41]
	v_max3_f32 v3, v3, v6, v7
	v_or_b32_e32 v6, 16, v2
	v_or_b32_e32 v7, 17, v2
	v_cmp_gt_i32_e64 s[26:27], s31, v6
	v_cmp_gt_i32_e64 s[28:29], s31, v7
	v_fmac_f32_e32 v25, v59, v9
	v_cndmask_b32_e64 v6, v4, v36, s[26:27]
	v_cndmask_b32_e64 v7, v4, v37, s[28:29]
	v_max3_f32 v3, v3, v6, v7
	v_or_b32_e32 v6, 18, v2
	v_or_b32_e32 v7, 19, v2
	v_cmp_gt_i32_e64 s[22:23], s31, v6
	v_cmp_gt_i32_e64 s[24:25], s31, v7
	v_cvt_f32_i32_e32 v8, v8
	v_cndmask_b32_e64 v6, v4, v32, s[22:23]
	v_cndmask_b32_e64 v7, v4, v33, s[24:25]
	v_max3_f32 v3, v3, v6, v7
	v_or_b32_e32 v6, 32, v2
	v_or_b32_e32 v7, 33, v2
	v_cmp_gt_i32_e64 s[18:19], s31, v6
	v_cmp_gt_i32_e64 s[20:21], s31, v7
	v_fma_f32 v20, v59, v8, v20
	v_cndmask_b32_e64 v6, v4, v28, s[18:19]
	v_cndmask_b32_e64 v7, v4, v29, s[20:21]
	v_max3_f32 v3, v3, v6, v7
	v_or_b32_e32 v6, 34, v2
	v_or_b32_e32 v7, 35, v2
	v_cmp_gt_i32_e64 s[14:15], s31, v6
	v_cmp_gt_i32_e64 s[16:17], s31, v7
	s_nop 0
	v_cndmask_b32_e64 v6, v4, v24, s[14:15]
	v_cndmask_b32_e64 v7, v4, v25, s[16:17]
	v_max3_f32 v3, v3, v6, v7
	v_or_b32_e32 v6, 48, v2
	v_or_b32_e32 v7, 49, v2
	v_cmp_gt_i32_e64 s[10:11], s31, v6
	v_cmp_gt_i32_e64 s[12:13], s31, v7
	s_nop 0
	v_cndmask_b32_e64 v6, v4, v22, s[10:11]
	v_cndmask_b32_e64 v7, v4, v23, s[12:13]
	v_max3_f32 v3, v3, v6, v7
	v_or_b32_e32 v6, 50, v2
	v_or_b32_e32 v2, 51, v2
	v_cmp_gt_i32_e32 vcc, s31, v6
	v_cmp_gt_i32_e64 s[8:9], s31, v2
	s_nop 0
	v_cndmask_b32_e32 v6, v4, v20, vcc
	v_cndmask_b32_e64 v2, v4, v21, s[8:9]
	v_max3_f32 v4, v3, v6, v2
	v_mbcnt_lo_u32_b32 v2, -1, 0
	v_mbcnt_hi_u32_b32 v6, -1, v2
	v_and_b32_e32 v2, 64, v6
	v_add_u32_e32 v7, 64, v2
	v_xor_b32_e32 v2, 32, v6
	v_cmp_lt_i32_e64 s[42:43], v2, v7
	s_nop 1
	v_cndmask_b32_e64 v2, v6, v2, s[42:43]
	v_lshlrev_b32_e32 v40, 2, v2
	ds_bpermute_b32 v8, v40, v4
	s_waitcnt vmcnt(2)
	v_mad_i64_i32 v[2:3], s[42:43], v14, s49, v[18:19]
	global_load_dwordx4 v[14:17], v[30:31], off
	global_load_dwordx4 v[10:13], v[2:3], off
	v_xor_b32_e32 v3, 16, v6
	v_cmp_lt_i32_e64 s[42:43], v3, v7
	s_waitcnt lgkmcnt(0)
	v_max_f32_e32 v2, v8, v8
	v_max_f32_e32 v2, v4, v2
	v_cndmask_b32_e64 v3, v6, v3, s[42:43]
	v_lshlrev_b32_e32 v41, 2, v3
	ds_bpermute_b32 v3, v41, v2
	s_waitcnt vmcnt(3)
	v_mad_i64_i32 v[30:31], s[42:43], v38, s49, v[18:19]
	s_waitcnt vmcnt(2)
	v_mad_i64_i32 v[18:19], s[42:43], v39, s49, v[18:19]
	s_waitcnt lgkmcnt(0)
	v_max_f32_e32 v3, v3, v3
	v_max_f32_e32 v34, v2, v3
	v_sub_f32_e32 v2, v5, v34
	v_mul_f32_e32 v2, 0x3fb8aa3b, v2
	v_exp_f32_e32 v38, v2
	v_sub_f32_e32 v2, v35, v34
	v_mul_f32_e32 v2, 0x3fb8aa3b, v2
	v_exp_f32_e32 v35, v2
	global_load_dwordx4 v[6:9], v[30:31], off
	global_load_dwordx4 v[2:5], v[18:19], off
	v_sub_f32_e32 v26, v26, v34
	v_mul_f32_e32 v26, 0x3fb8aa3b, v26
	v_sub_f32_e32 v27, v27, v34
	v_exp_f32_e32 v26, v26
	v_mul_f32_e32 v27, 0x3fb8aa3b, v27
	v_exp_f32_e32 v27, v27
	v_cndmask_b32_e64 v18, 0, v38, s[34:35]
	v_add_f32_e32 v30, 0, v18
	v_cndmask_b32_e64 v19, 0, v35, s[36:37]
	v_add_f32_e32 v31, v30, v19
	;; [unrolled: 2-line block ×3, first 2 shown]
	v_cndmask_b32_e64 v31, 0, v27, s[40:41]
	v_sub_f32_e32 v27, v36, v34
	v_mul_f32_e32 v27, 0x3fb8aa3b, v27
	v_sub_f32_e32 v35, v37, v34
	v_exp_f32_e32 v27, v27
	v_mul_f32_e32 v35, 0x3fb8aa3b, v35
	v_sub_f32_e32 v32, v32, v34
	v_exp_f32_e32 v35, v35
	;; [unrolled: 3-line block ×4, first 2 shown]
	v_mul_f32_e32 v28, 0x3fb8aa3b, v28
	v_sub_f32_e32 v29, v29, v34
	v_add_f32_e32 v36, v26, v31
	v_cndmask_b32_e64 v26, 0, v27, s[26:27]
	v_exp_f32_e32 v28, v28
	v_mul_f32_e32 v29, 0x3fb8aa3b, v29
	v_sub_f32_e32 v24, v24, v34
	v_add_f32_e32 v36, v36, v26
	v_cndmask_b32_e64 v27, 0, v35, s[28:29]
	v_exp_f32_e32 v29, v29
	;; [unrolled: 5-line block ×7, first 2 shown]
	v_mul_f32_e32 v21, 0x3fb8aa3b, v21
	v_add_f32_e32 v35, v35, v24
	v_cndmask_b32_e64 v25, 0, v25, s[16:17]
	v_exp_f32_e32 v21, v21
	v_add_f32_e32 v35, v35, v25
	v_cndmask_b32_e64 v22, 0, v22, s[10:11]
	v_add_f32_e32 v35, v35, v22
	v_cndmask_b32_e64 v23, 0, v23, s[12:13]
	v_add_f32_e32 v35, v35, v23
	v_cndmask_b32_e32 v20, 0, v20, vcc
	v_add_f32_e32 v35, v35, v20
	v_cndmask_b32_e64 v21, 0, v21, s[8:9]
	v_add_f32_e32 v35, v35, v21
	ds_bpermute_b32 v36, v40, v35
	v_cmp_gt_u32_e64 s[8:9], 16, v58
	s_waitcnt lgkmcnt(0)
	s_barrier
	v_add_f32_e32 v36, v35, v36
	ds_bpermute_b32 v37, v41, v36
	v_lshlrev_b32_e32 v35, 2, v57
	s_and_saveexec_b64 s[10:11], s[8:9]
	s_cbranch_execz .LBB1144_15
; %bb.14:
	s_waitcnt lgkmcnt(0)
	v_add_f32_e32 v36, v36, v37
	v_lshl_or_b32 v37, v56, 6, v35
	ds_write2st64_b32 v37, v34, v36 offset1:1
.LBB1144_15:
	s_or_b64 exec, exec, s[10:11]
	s_load_dwordx2 s[10:11], s[0:1], 0x94
	s_waitcnt lgkmcnt(0)
	s_barrier
	ds_read2_b32 v[36:37], v35 offset1:16
	ds_read2_b32 v[38:39], v35 offset0:32 offset1:48
	ds_read2_b32 v[40:41], v35 offset0:64 offset1:80
	s_movk_i32 s14, 0x7fff
	s_waitcnt lgkmcnt(2)
	v_max3_f32 v34, v36, s33, v37
	s_waitcnt lgkmcnt(1)
	v_max3_f32 v34, v34, v38, v39
	v_sub_f32_e32 v36, v36, v34
	v_mul_f32_e32 v36, 0x3fb8aa3b, v36
	v_exp_f32_e32 v42, v36
	v_sub_f32_e32 v36, v37, v34
	v_mul_f32_e32 v36, 0x3fb8aa3b, v36
	v_exp_f32_e32 v43, v36
	;; [unrolled: 3-line block ×3, first 2 shown]
	ds_read2_b32 v[36:37], v35 offset0:96 offset1:112
	v_sub_f32_e32 v35, v39, v34
	v_mul_f32_e32 v35, 0x3fb8aa3b, v35
	v_exp_f32_e32 v39, v35
	s_waitcnt lgkmcnt(1)
	v_fma_f32 v35, v42, v40, 0
	v_fmac_f32_e32 v35, v43, v41
	s_waitcnt lgkmcnt(0)
	v_fmac_f32_e32 v35, v38, v36
	v_fmac_f32_e32 v35, v39, v37
	v_add_f32_e32 v37, 0x358637bd, v35
	v_div_scale_f32 v40, s[12:13], v37, v37, 1.0
	v_rcp_f32_e32 v41, v40
	s_barrier
	v_fma_f32 v44, -v40, v41, 1.0
	v_fmac_f32_e32 v41, v44, v41
	v_div_scale_f32 v44, vcc, 1.0, v37, 1.0
	v_mul_f32_e32 v45, v44, v41
	v_fma_f32 v46, -v40, v45, v44
	v_fmac_f32_e32 v45, v46, v41
	v_fma_f32 v40, -v40, v45, v44
	v_div_fmas_f32 v40, v40, v41, v45
	v_cmp_eq_u32_e32 vcc, 1, v56
	v_div_fixup_f32 v37, v40, v37, 1.0
	v_mov_b32_e32 v36, 0
	v_cndmask_b32_e32 v40, v42, v43, vcc
	v_cmp_eq_u32_e32 vcc, 2, v56
	s_nop 1
	v_cndmask_b32_e32 v38, v40, v38, vcc
	v_cmp_eq_u32_e32 vcc, 3, v56
	s_nop 1
	v_cndmask_b32_e32 v38, v38, v39, vcc
	v_mul_f32_e32 v38, v38, v37
	v_pk_mul_f32 v[18:19], v[38:39], v[18:19] op_sel_hi:[0,1]
	v_pk_mul_f32 v[30:31], v[38:39], v[30:31] op_sel_hi:[0,1]
	v_bfe_u32 v37, v19, 16, 1
	v_bfe_u32 v39, v18, 16, 1
	v_add3_u32 v18, v18, v39, s14
	v_add3_u32 v19, v19, v37, s14
	v_perm_b32 v40, v19, v18, s5
	v_bfe_u32 v18, v31, 16, 1
	v_bfe_u32 v19, v30, 16, 1
	v_add3_u32 v19, v30, v19, s14
	v_add3_u32 v18, v31, v18, s14
	v_perm_b32 v41, v18, v19, s5
	v_lshlrev_b32_e32 v18, 3, v54
	v_lshlrev_b32_e32 v19, 5, v57
	;; [unrolled: 1-line block ×3, first 2 shown]
	v_pk_mul_f32 v[26:27], v[38:39], v[26:27] op_sel_hi:[0,1]
	v_or3_b32 v18, v30, v19, v18
	v_pk_mul_f32 v[30:31], v[38:39], v[32:33] op_sel_hi:[0,1]
	v_bfe_u32 v32, v27, 16, 1
	v_bfe_u32 v33, v26, 16, 1
	v_add3_u32 v26, v26, v33, s14
	v_add3_u32 v27, v27, v32, s14
	v_perm_b32 v26, v27, v26, s5
	v_bfe_u32 v27, v31, 16, 1
	v_bfe_u32 v32, v30, 16, 1
	v_add3_u32 v30, v30, v32, s14
	v_add3_u32 v27, v31, v27, s14
	v_perm_b32 v27, v27, v30, s5
	ds_write2st64_b64 v18, v[40:41], v[26:27] offset1:1
	v_pk_mul_f32 v[26:27], v[38:39], v[28:29] op_sel_hi:[0,1]
	v_bfe_u32 v28, v27, 16, 1
	v_bfe_u32 v29, v26, 16, 1
	v_pk_mul_f32 v[24:25], v[38:39], v[24:25] op_sel_hi:[0,1]
	v_add3_u32 v26, v26, v29, s14
	v_add3_u32 v27, v27, v28, s14
	v_perm_b32 v26, v27, v26, s5
	v_bfe_u32 v27, v25, 16, 1
	v_bfe_u32 v28, v24, 16, 1
	v_add3_u32 v24, v24, v28, s14
	v_add3_u32 v25, v25, v27, s14
	v_pk_mul_f32 v[22:23], v[38:39], v[22:23] op_sel_hi:[0,1]
	v_perm_b32 v27, v25, v24, s5
	v_bfe_u32 v24, v23, 16, 1
	v_bfe_u32 v25, v22, 16, 1
	v_pk_mul_f32 v[20:21], v[38:39], v[20:21] op_sel_hi:[0,1]
	v_add3_u32 v22, v22, v25, s14
	v_add3_u32 v23, v23, v24, s14
	v_perm_b32 v22, v23, v22, s5
	v_bfe_u32 v23, v21, 16, 1
	v_bfe_u32 v24, v20, 16, 1
	v_add3_u32 v20, v20, v24, s14
	v_add3_u32 v21, v21, v23, s14
	v_perm_b32 v23, v21, v20, s5
	v_cmp_eq_u32_e32 vcc, 0, v0
	ds_write2st64_b64 v18, v[26:27], v[22:23] offset0:2 offset1:3
	s_and_saveexec_b64 s[12:13], vcc
	s_cbranch_execz .LBB1144_17
; %bb.16:
	s_mul_i32 s3, s3, s11
	s_mul_hi_u32 s5, s2, s11
	s_add_i32 s5, s5, s3
	s_mul_i32 s3, s2, s11
	s_add_u32 s3, s3, s4
	s_addc_u32 s5, s5, 0
	s_load_dwordx4 s[16:19], s[0:1], 0x58
	s_mul_i32 s5, s5, s10
	s_mul_hi_u32 s15, s3, s10
	s_add_i32 s15, s15, s5
	s_mul_i32 s3, s3, s10
	s_add_u32 s20, s3, s30
	s_addc_u32 s21, s15, 0
	s_lshl_b64 s[20:21], s[20:21], 2
	s_waitcnt lgkmcnt(0)
	s_add_u32 s18, s18, s20
	s_addc_u32 s19, s19, s21
	s_add_u32 s16, s16, s20
	s_addc_u32 s17, s17, s21
	global_store_dword v36, v34, s[18:19]
	global_store_dword v36, v35, s[16:17]
.LBB1144_17:
	s_or_b64 exec, exec, s[12:13]
	s_waitcnt vmcnt(3)
	v_cvt_pk_f32_fp8_e32 v[20:21], v14
	v_cvt_pk_f32_fp8_sdwa v[22:23], v14 src0_sel:WORD_1
	s_mov_b32 s5, 0x7060302
	v_lshl_or_b32 v14, v54, 9, v19
	s_waitcnt lgkmcnt(0)
	s_barrier
	v_cvt_pk_f32_fp8_e32 v[24:25], v15
	v_perm_b32 v28, v21, v20, s5
	v_perm_b32 v29, v23, v22, s5
	v_cvt_pk_f32_fp8_sdwa v[26:27], v15 src0_sel:WORD_1
	ds_read_b128 v[20:23], v14
	v_perm_b32 v32, v25, v24, s5
	v_cvt_pk_f32_fp8_e32 v[34:35], v16
	v_perm_b32 v33, v27, v26, s5
	ds_read_b128 v[24:27], v14 offset:16
	v_cvt_pk_f32_fp8_sdwa v[36:37], v16 src0_sel:WORD_1
	s_waitcnt lgkmcnt(1)
	v_mfma_f32_16x16x16_bf16 v[28:31], v[28:29], v[20:21], 0
	v_perm_b32 v34, v35, v34, s5
	s_load_dword s12, s[46:47], 0x0
	v_perm_b32 v35, v37, v36, s5
	v_cvt_pk_f32_fp8_e32 v[36:37], v17
	v_cvt_pk_f32_fp8_sdwa v[16:17], v17 src0_sel:WORD_1
	v_mfma_f32_16x16x16_bf16 v[20:23], v[32:33], v[22:23], v[28:31]
	v_cmp_gt_u32_e32 vcc, 64, v0
	s_and_b64 s[6:7], s[6:7], vcc
	s_mov_b32 s3, 0
	v_perm_b32 v28, v37, v36, s5
	v_perm_b32 v29, v17, v16, s5
	s_waitcnt lgkmcnt(0)
	v_mfma_f32_16x16x16_bf16 v[20:23], v[34:35], v[24:25], v[20:23]
	s_waitcnt vmcnt(2)
	v_cvt_pk_f32_fp8_e32 v[16:17], v10
	v_cvt_pk_f32_fp8_sdwa v[24:25], v10 src0_sel:WORD_1
	v_cvt_pk_f32_fp8_sdwa v[34:35], v12 src0_sel:WORD_1
	v_mfma_f32_16x16x16_bf16 v[20:23], v[28:29], v[26:27], v[20:23]
	v_cvt_pk_f32_fp8_e32 v[26:27], v11
	v_perm_b32 v10, v17, v16, s5
	v_cvt_pk_f32_fp8_sdwa v[16:17], v11 src0_sel:WORD_1
	v_perm_b32 v11, v25, v24, s5
	v_perm_b32 v32, v27, v26, s5
	ds_read_b128 v[24:27], v14 offset:2048
	ds_read_b128 v[28:31], v14 offset:2064
	v_perm_b32 v33, v17, v16, s5
	v_cvt_pk_f32_fp8_e32 v[16:17], v12
	s_waitcnt lgkmcnt(1)
	v_mfma_f32_16x16x16_bf16 v[20:23], v[10:11], v[24:25], v[20:23]
	v_perm_b32 v11, v35, v34, s5
	v_perm_b32 v10, v17, v16, s5
	v_cvt_pk_f32_fp8_e32 v[16:17], v13
	v_cvt_pk_f32_fp8_sdwa v[24:25], v13 src0_sel:WORD_1
	v_mfma_f32_16x16x16_bf16 v[20:23], v[32:33], v[26:27], v[20:23]
	s_and_b64 s[6:7], s[6:7], s[8:9]
	v_perm_b32 v16, v17, v16, s5
	v_perm_b32 v17, v25, v24, s5
	s_waitcnt lgkmcnt(0)
	v_mfma_f32_16x16x16_bf16 v[10:13], v[10:11], v[28:29], v[20:23]
	s_waitcnt vmcnt(1)
	v_cvt_pk_f32_fp8_sdwa v[24:25], v7 src0_sel:WORD_1
	v_cvt_pk_f32_fp8_e32 v[28:29], v8
	v_cvt_pk_f32_fp8_e32 v[20:21], v6
	v_mfma_f32_16x16x16_bf16 v[10:13], v[16:17], v[30:31], v[10:13]
	v_cvt_pk_f32_fp8_sdwa v[16:17], v6 src0_sel:WORD_1
	v_cvt_pk_f32_fp8_e32 v[22:23], v7
	v_perm_b32 v6, v21, v20, s5
	v_cvt_pk_f32_fp8_sdwa v[30:31], v8 src0_sel:WORD_1
	v_perm_b32 v7, v17, v16, s5
	v_perm_b32 v16, v23, v22, s5
	ds_read_b128 v[20:23], v14 offset:4096
	v_perm_b32 v17, v25, v24, s5
	ds_read_b128 v[24:27], v14 offset:4112
	s_waitcnt lgkmcnt(1)
	v_mfma_f32_16x16x16_bf16 v[10:13], v[6:7], v[20:21], v[10:13]
	v_perm_b32 v6, v29, v28, s5
	v_perm_b32 v7, v31, v30, s5
	v_cvt_pk_f32_fp8_e32 v[20:21], v9
	v_mfma_f32_16x16x16_bf16 v[10:13], v[16:17], v[22:23], v[10:13]
	v_cvt_pk_f32_fp8_sdwa v[16:17], v9 src0_sel:WORD_1
	v_perm_b32 v20, v21, v20, s5
	s_waitcnt lgkmcnt(0)
	v_mfma_f32_16x16x16_bf16 v[6:9], v[6:7], v[24:25], v[10:13]
	v_perm_b32 v21, v17, v16, s5
	s_waitcnt vmcnt(0)
	v_cvt_pk_f32_fp8_e32 v[16:17], v3
	v_cvt_pk_f32_fp8_sdwa v[24:25], v4 src0_sel:WORD_1
	v_cvt_pk_f32_fp8_e32 v[10:11], v2
	v_cvt_pk_f32_fp8_sdwa v[12:13], v2 src0_sel:WORD_1
	v_mfma_f32_16x16x16_bf16 v[6:9], v[20:21], v[26:27], v[6:9]
	v_cvt_pk_f32_fp8_sdwa v[20:21], v3 src0_sel:WORD_1
	v_perm_b32 v2, v11, v10, s5
	v_perm_b32 v3, v13, v12, s5
	ds_read_b128 v[10:13], v14 offset:6144
	v_perm_b32 v22, v17, v16, s5
	v_perm_b32 v23, v21, v20, s5
	v_cvt_pk_f32_fp8_e32 v[20:21], v4
	s_waitcnt lgkmcnt(0)
	v_mfma_f32_16x16x16_bf16 v[6:9], v[2:3], v[10:11], v[6:9]
	ds_read_b128 v[14:17], v14 offset:6160
	v_perm_b32 v2, v21, v20, s5
	v_perm_b32 v3, v25, v24, s5
	v_cvt_pk_f32_fp8_e32 v[10:11], v5
	v_mfma_f32_16x16x16_bf16 v[6:9], v[22:23], v[12:13], v[6:9]
	v_cvt_pk_f32_fp8_sdwa v[12:13], v5 src0_sel:WORD_1
	s_waitcnt lgkmcnt(0)
	v_perm_b32 v10, v11, v10, s5
	v_mfma_f32_16x16x16_bf16 v[2:5], v[2:3], v[14:15], v[6:9]
	v_perm_b32 v11, v13, v12, s5
	s_barrier
	s_nop 0
	v_mfma_f32_16x16x16_bf16 v[2:5], v[10:11], v[16:17], v[2:5]
	s_nop 6
	v_pk_mul_f32 v[2:3], v[2:3], s[12:13] op_sel_hi:[1,0]
	v_pk_mul_f32 v[4:5], v[4:5], s[12:13] op_sel_hi:[1,0]
	v_bfe_u32 v6, v3, 16, 1
	v_bfe_u32 v7, v2, 16, 1
	v_add3_u32 v2, v2, v7, s14
	v_add3_u32 v3, v3, v6, s14
	v_perm_b32 v2, v3, v2, s5
	v_bfe_u32 v3, v5, 16, 1
	v_bfe_u32 v6, v4, 16, 1
	v_add3_u32 v4, v4, v6, s14
	v_add3_u32 v3, v5, v3, s14
	v_perm_b32 v3, v3, v4, s5
	ds_write_b64 v18, v[2:3]
	s_waitcnt lgkmcnt(0)
	s_barrier
	s_and_saveexec_b64 s[8:9], s[6:7]
	s_cbranch_execz .LBB1144_19
; %bb.18:
	s_load_dwordx2 s[0:1], s[0:1], 0x68
	s_mul_i32 s2, s11, s2
	s_lshl_b32 s5, s10, 6
	s_mul_hi_u32 s7, s2, s5
	s_mul_i32 s6, s2, s5
	s_lshl_b64 s[6:7], s[6:7], 1
	v_lshlrev_b32_e32 v0, 10, v0
	s_waitcnt lgkmcnt(0)
	s_add_u32 s6, s0, s6
	v_and_b32_e32 v0, 0x1800, v0
	v_lshlrev_b32_e32 v2, 5, v54
	v_and_b32_e32 v3, 16, v55
	s_addc_u32 s7, s1, s7
	s_lshl_b32 s2, s30, 6
	v_or3_b32 v0, v0, v2, v3
	s_lshl_b64 s[0:1], s[2:3], 1
	ds_read_b128 v[2:5], v0
	s_add_u32 s2, s6, s0
	s_addc_u32 s3, s7, s1
	s_mul_hi_u32 s1, s5, s4
	s_mul_i32 s0, s5, s4
	s_lshl_b64 s[0:1], s[0:1], 1
	s_add_u32 s0, s2, s0
	s_addc_u32 s1, s3, s1
	s_waitcnt lgkmcnt(0)
	global_store_dwordx4 v1, v[2:5], s[0:1]
.LBB1144_19:
	s_endpgm
	.section	.rodata,"a",@progbits
	.p2align	6, 0x0
	.amdhsa_kernel _Z39paged_attention_ll4mi_QKV_mfma16_kernelI14__hip_bfloat16hLN4vllm18Fp8KVCacheDataTypeE1ES0_Li16ELi64ELi256ELb1ELi1EEvPKT_PKT0_S8_ifPKiSA_SA_iPKfiiiPfSD_PS3_PT2_iSC_SC_
		.amdhsa_group_segment_fixed_size 8192
		.amdhsa_private_segment_fixed_size 0
		.amdhsa_kernarg_size 400
		.amdhsa_user_sgpr_count 2
		.amdhsa_user_sgpr_dispatch_ptr 0
		.amdhsa_user_sgpr_queue_ptr 0
		.amdhsa_user_sgpr_kernarg_segment_ptr 1
		.amdhsa_user_sgpr_dispatch_id 0
		.amdhsa_user_sgpr_kernarg_preload_length 0
		.amdhsa_user_sgpr_kernarg_preload_offset 0
		.amdhsa_user_sgpr_private_segment_size 0
		.amdhsa_uses_dynamic_stack 0
		.amdhsa_enable_private_segment 0
		.amdhsa_system_sgpr_workgroup_id_x 1
		.amdhsa_system_sgpr_workgroup_id_y 1
		.amdhsa_system_sgpr_workgroup_id_z 1
		.amdhsa_system_sgpr_workgroup_info 0
		.amdhsa_system_vgpr_workitem_id 0
		.amdhsa_next_free_vgpr 74
		.amdhsa_next_free_sgpr 52
		.amdhsa_accum_offset 76
		.amdhsa_reserve_vcc 1
		.amdhsa_float_round_mode_32 0
		.amdhsa_float_round_mode_16_64 0
		.amdhsa_float_denorm_mode_32 3
		.amdhsa_float_denorm_mode_16_64 3
		.amdhsa_dx10_clamp 1
		.amdhsa_ieee_mode 1
		.amdhsa_fp16_overflow 0
		.amdhsa_tg_split 0
		.amdhsa_exception_fp_ieee_invalid_op 0
		.amdhsa_exception_fp_denorm_src 0
		.amdhsa_exception_fp_ieee_div_zero 0
		.amdhsa_exception_fp_ieee_overflow 0
		.amdhsa_exception_fp_ieee_underflow 0
		.amdhsa_exception_fp_ieee_inexact 0
		.amdhsa_exception_int_div_zero 0
	.end_amdhsa_kernel
	.section	.text._Z39paged_attention_ll4mi_QKV_mfma16_kernelI14__hip_bfloat16hLN4vllm18Fp8KVCacheDataTypeE1ES0_Li16ELi64ELi256ELb1ELi1EEvPKT_PKT0_S8_ifPKiSA_SA_iPKfiiiPfSD_PS3_PT2_iSC_SC_,"axG",@progbits,_Z39paged_attention_ll4mi_QKV_mfma16_kernelI14__hip_bfloat16hLN4vllm18Fp8KVCacheDataTypeE1ES0_Li16ELi64ELi256ELb1ELi1EEvPKT_PKT0_S8_ifPKiSA_SA_iPKfiiiPfSD_PS3_PT2_iSC_SC_,comdat
.Lfunc_end1144:
	.size	_Z39paged_attention_ll4mi_QKV_mfma16_kernelI14__hip_bfloat16hLN4vllm18Fp8KVCacheDataTypeE1ES0_Li16ELi64ELi256ELb1ELi1EEvPKT_PKT0_S8_ifPKiSA_SA_iPKfiiiPfSD_PS3_PT2_iSC_SC_, .Lfunc_end1144-_Z39paged_attention_ll4mi_QKV_mfma16_kernelI14__hip_bfloat16hLN4vllm18Fp8KVCacheDataTypeE1ES0_Li16ELi64ELi256ELb1ELi1EEvPKT_PKT0_S8_ifPKiSA_SA_iPKfiiiPfSD_PS3_PT2_iSC_SC_
                                        ; -- End function
	.section	.AMDGPU.csdata,"",@progbits
; Kernel info:
; codeLenInByte = 4968
; NumSgprs: 58
; NumVgprs: 74
; NumAgprs: 0
; TotalNumVgprs: 74
; ScratchSize: 0
; MemoryBound: 0
; FloatMode: 240
; IeeeMode: 1
; LDSByteSize: 8192 bytes/workgroup (compile time only)
; SGPRBlocks: 7
; VGPRBlocks: 9
; NumSGPRsForWavesPerEU: 58
; NumVGPRsForWavesPerEU: 74
; AccumOffset: 76
; Occupancy: 6
; WaveLimiterHint : 1
; COMPUTE_PGM_RSRC2:SCRATCH_EN: 0
; COMPUTE_PGM_RSRC2:USER_SGPR: 2
; COMPUTE_PGM_RSRC2:TRAP_HANDLER: 0
; COMPUTE_PGM_RSRC2:TGID_X_EN: 1
; COMPUTE_PGM_RSRC2:TGID_Y_EN: 1
; COMPUTE_PGM_RSRC2:TGID_Z_EN: 1
; COMPUTE_PGM_RSRC2:TIDIG_COMP_CNT: 0
; COMPUTE_PGM_RSRC3_GFX90A:ACCUM_OFFSET: 18
; COMPUTE_PGM_RSRC3_GFX90A:TG_SPLIT: 0
	.section	.text._Z39paged_attention_ll4mi_QKV_mfma16_kernelI14__hip_bfloat16hLN4vllm18Fp8KVCacheDataTypeE1ES0_Li16ELi64ELi256ELb1ELi2EEvPKT_PKT0_S8_ifPKiSA_SA_iPKfiiiPfSD_PS3_PT2_iSC_SC_,"axG",@progbits,_Z39paged_attention_ll4mi_QKV_mfma16_kernelI14__hip_bfloat16hLN4vllm18Fp8KVCacheDataTypeE1ES0_Li16ELi64ELi256ELb1ELi2EEvPKT_PKT0_S8_ifPKiSA_SA_iPKfiiiPfSD_PS3_PT2_iSC_SC_,comdat
	.protected	_Z39paged_attention_ll4mi_QKV_mfma16_kernelI14__hip_bfloat16hLN4vllm18Fp8KVCacheDataTypeE1ES0_Li16ELi64ELi256ELb1ELi2EEvPKT_PKT0_S8_ifPKiSA_SA_iPKfiiiPfSD_PS3_PT2_iSC_SC_ ; -- Begin function _Z39paged_attention_ll4mi_QKV_mfma16_kernelI14__hip_bfloat16hLN4vllm18Fp8KVCacheDataTypeE1ES0_Li16ELi64ELi256ELb1ELi2EEvPKT_PKT0_S8_ifPKiSA_SA_iPKfiiiPfSD_PS3_PT2_iSC_SC_
	.globl	_Z39paged_attention_ll4mi_QKV_mfma16_kernelI14__hip_bfloat16hLN4vllm18Fp8KVCacheDataTypeE1ES0_Li16ELi64ELi256ELb1ELi2EEvPKT_PKT0_S8_ifPKiSA_SA_iPKfiiiPfSD_PS3_PT2_iSC_SC_
	.p2align	8
	.type	_Z39paged_attention_ll4mi_QKV_mfma16_kernelI14__hip_bfloat16hLN4vllm18Fp8KVCacheDataTypeE1ES0_Li16ELi64ELi256ELb1ELi2EEvPKT_PKT0_S8_ifPKiSA_SA_iPKfiiiPfSD_PS3_PT2_iSC_SC_,@function
_Z39paged_attention_ll4mi_QKV_mfma16_kernelI14__hip_bfloat16hLN4vllm18Fp8KVCacheDataTypeE1ES0_Li16ELi64ELi256ELb1ELi2EEvPKT_PKT0_S8_ifPKiSA_SA_iPKfiiiPfSD_PS3_PT2_iSC_SC_: ; @_Z39paged_attention_ll4mi_QKV_mfma16_kernelI14__hip_bfloat16hLN4vllm18Fp8KVCacheDataTypeE1ES0_Li16ELi64ELi256ELb1ELi2EEvPKT_PKT0_S8_ifPKiSA_SA_iPKfiiiPfSD_PS3_PT2_iSC_SC_
; %bb.0:
	s_load_dwordx2 s[8:9], s[0:1], 0x30
	s_mov_b32 s16, s3
	s_mov_b64 s[6:7], 0
	s_waitcnt lgkmcnt(0)
	s_cmp_lg_u64 s[8:9], 0
	s_cselect_b64 s[10:11], -1, 0
	s_and_b64 vcc, exec, s[10:11]
	s_cbranch_vccz .LBB1145_7
; %bb.1:
	s_add_i32 s12, s2, 1
	s_mov_b32 s13, 0
	s_lshl_b64 s[14:15], s[12:13], 2
	s_add_u32 s14, s8, s14
	s_mov_b32 s3, s13
	s_addc_u32 s15, s9, s15
	s_lshl_b64 s[12:13], s[2:3], 2
	s_add_u32 s12, s8, s12
	s_addc_u32 s13, s9, s13
	s_load_dword s5, s[14:15], 0x0
	s_load_dword s17, s[12:13], 0x0
	s_waitcnt lgkmcnt(0)
	s_sub_i32 s5, s5, s17
	s_cmp_eq_u32 s5, 1
	s_cselect_b64 s[12:13], -1, 0
	s_andn2_b64 vcc, exec, s[6:7]
	s_cbranch_vccnz .LBB1145_3
.LBB1145_2:
	s_mov_b32 s3, 0
	s_mov_b64 s[12:13], -1
.LBB1145_3:
	s_andn2_b64 vcc, exec, s[12:13]
	s_cbranch_vccnz .LBB1145_19
; %bb.4:
	s_load_dwordx2 s[6:7], s[0:1], 0x28
	s_lshl_b64 s[12:13], s[2:3], 2
	s_waitcnt lgkmcnt(0)
	s_add_u32 s6, s6, s12
	s_addc_u32 s7, s7, s13
	s_load_dword s33, s[6:7], 0x0
	s_lshl_b32 s20, s16, 8
	s_waitcnt lgkmcnt(0)
	s_cmp_ge_i32 s20, s33
	s_cbranch_scc1 .LBB1145_19
; %bb.5:
	s_load_dwordx2 s[6:7], s[0:1], 0x20
	s_load_dword s5, s[0:1], 0x38
	s_add_i32 s14, s33, 15
	s_ashr_i32 s15, s14, 31
	v_and_b32_e32 v1, 0xcf, v0
	s_lshr_b32 s15, s15, 28
	v_add_u32_e32 v1, s20, v1
	s_add_i32 s14, s14, s15
	v_ashrrev_i32_e32 v2, 31, v1
	s_ashr_i32 s21, s14, 4
	v_lshrrev_b32_e32 v4, 28, v2
	s_add_i32 s21, s21, -1
	s_waitcnt lgkmcnt(0)
	s_mul_i32 s14, s2, s5
	s_mov_b32 s15, 0
	v_add_u32_e32 v2, v1, v4
	s_lshl_b64 s[14:15], s[14:15], 2
	v_ashrrev_i32_e32 v2, 4, v2
	v_mov_b32_e32 v5, s21
	v_cmp_gt_i32_e32 vcc, s33, v1
	s_add_u32 s6, s6, s14
	s_addc_u32 s7, s7, s15
	v_cndmask_b32_e32 v2, v5, v2, vcc
	v_ashrrev_i32_e32 v3, 31, v2
	v_lshl_add_u64 v[6:7], v[2:3], 2, s[6:7]
	v_or_b32_e32 v2, 16, v1
	v_add_u32_e32 v3, v2, v4
	v_ashrrev_i32_e32 v3, 4, v3
	v_cmp_gt_i32_e32 vcc, s33, v2
	s_load_dwordx2 s[14:15], s[0:1], 0x8
	s_nop 0
	v_cndmask_b32_e32 v2, v5, v3, vcc
	v_ashrrev_i32_e32 v3, 31, v2
	v_lshl_add_u64 v[8:9], v[2:3], 2, s[6:7]
	v_or_b32_e32 v2, 32, v1
	v_add_u32_e32 v3, v2, v4
	v_ashrrev_i32_e32 v3, 4, v3
	v_cmp_gt_i32_e32 vcc, s33, v2
	v_or_b32_e32 v1, 48, v1
	s_nop 0
	v_cndmask_b32_e32 v2, v5, v3, vcc
	v_ashrrev_i32_e32 v3, 31, v2
	v_lshl_add_u64 v[10:11], v[2:3], 2, s[6:7]
	v_add_u32_e32 v2, v1, v4
	v_ashrrev_i32_e32 v2, 4, v2
	v_cmp_gt_i32_e32 vcc, s33, v1
	s_nop 1
	v_cndmask_b32_e32 v2, v5, v2, vcc
	v_ashrrev_i32_e32 v3, 31, v2
	v_lshl_add_u64 v[12:13], v[2:3], 2, s[6:7]
	global_load_dword v5, v[6:7], off
	global_load_dword v4, v[8:9], off
	;; [unrolled: 1-line block ×4, first 2 shown]
	s_andn2_b64 vcc, exec, s[10:11]
	s_cbranch_vccnz .LBB1145_8
; %bb.6:
	s_add_u32 s8, s8, s12
	s_addc_u32 s9, s9, s13
	s_load_dword s5, s[8:9], 0x0
	s_branch .LBB1145_9
.LBB1145_7:
	s_mov_b64 s[12:13], 0
	s_branch .LBB1145_2
.LBB1145_8:
	s_mov_b32 s5, s2
.LBB1145_9:
	s_load_dwordx2 s[8:9], s[0:1], 0x10
	s_load_dwordx4 s[44:47], s[0:1], 0x48
	v_lshrrev_b32_e32 v48, 6, v0
	v_bfe_u32 v1, v0, 4, 2
	v_lshl_or_b32 v6, v48, 2, v1
	v_and_b32_e32 v49, 15, v0
	v_lshlrev_b32_e32 v7, 3, v49
	v_cmp_gt_u32_e32 vcc, 2, v6
	v_cmp_gt_u32_e64 s[18:19], 8, v49
	s_lshl_b32 s17, s4, 1
	s_and_b64 s[12:13], s[18:19], vcc
	v_lshlrev_b32_e32 v26, 1, v7
	v_lshlrev_b32_e32 v46, 4, v0
	s_and_saveexec_b64 s[10:11], s[12:13]
	s_cbranch_execz .LBB1145_11
; %bb.10:
	s_load_dwordx2 s[12:13], s[0:1], 0x0
	s_waitcnt lgkmcnt(0)
	s_ashr_i32 s22, s44, 31
	s_mul_hi_u32 s23, s5, s44
	s_mul_i32 s22, s5, s22
	s_add_i32 s23, s23, s22
	s_mul_i32 s22, s5, s44
	s_lshl_b64 s[22:23], s[22:23], 1
	s_add_u32 s12, s12, s22
	v_add_lshl_u32 v8, v1, s17, 6
	s_addc_u32 s13, s13, s23
	v_ashrrev_i32_e32 v9, 31, v8
	v_lshl_add_u64 v[8:9], v[8:9], 1, s[12:13]
	v_mov_b32_e32 v27, 0
	v_lshl_add_u64 v[8:9], v[8:9], 0, v[26:27]
	global_load_dwordx4 v[8:11], v[8:9], off
	v_lshlrev_b32_e32 v12, 8, v49
	v_lshlrev_b32_e32 v6, 5, v6
	v_and_b32_e32 v7, 16, v46
	v_and_b32_e32 v12, 0xe00, v12
	v_or3_b32 v6, v12, v6, v7
	s_waitcnt vmcnt(0)
	ds_write_b128 v6, v[8:11]
.LBB1145_11:
	s_or_b64 exec, exec, s[10:11]
	s_waitcnt lgkmcnt(0)
	s_mul_i32 s10, s4, s46
	s_add_u32 s4, s14, s10
	s_addc_u32 s5, s15, 0
	v_and_b32_e32 v30, 48, v0
	v_and_b32_e32 v28, 0xf0, v46
	v_mov_b32_e32 v29, 0
	v_lshl_add_u64 v[6:7], s[4:5], 0, v[28:29]
	v_lshlrev_b32_e32 v28, 4, v30
	v_lshl_add_u64 v[6:7], v[6:7], 0, v[28:29]
	s_waitcnt vmcnt(3)
	v_mad_i64_i32 v[8:9], s[4:5], v5, s45, v[6:7]
	s_waitcnt vmcnt(2)
	v_mad_i64_i32 v[4:5], s[4:5], v4, s45, v[6:7]
	s_barrier
	global_load_dwordx4 v[22:25], v[8:9], off
	global_load_dwordx4 v[18:21], v[4:5], off
	s_waitcnt vmcnt(3)
	v_mad_i64_i32 v[4:5], s[4:5], v3, s45, v[6:7]
	s_waitcnt vmcnt(2)
	v_mad_i64_i32 v[2:3], s[4:5], v2, s45, v[6:7]
	global_load_dwordx4 v[14:17], v[4:5], off
	global_load_dwordx4 v[6:9], v[2:3], off
	v_and_b32_e32 v2, 1, v0
	v_lshlrev_b32_e32 v2, 5, v2
	v_lshl_or_b32 v2, v1, 9, v2
	ds_read_b128 v[10:13], v2
	ds_read_b128 v[2:5], v2 offset:16
	v_and_b32_e32 v47, 63, v0
	v_cmp_gt_u32_e32 vcc, 2, v49
	v_mov_b32_e32 v27, 0
	s_and_saveexec_b64 s[4:5], vcc
	s_cbranch_execz .LBB1145_13
; %bb.12:
	s_load_dwordx2 s[12:13], s[0:1], 0x40
	v_or_b32_e32 v32, s17, v49
	v_ashrrev_i32_e32 v33, 31, v32
	s_waitcnt lgkmcnt(0)
	v_lshl_add_u64 v[32:33], v[32:33], 2, s[12:13]
	global_load_dword v27, v[32:33], off
.LBB1145_13:
	s_or_b64 exec, exec, s[4:5]
	v_or_b32_e32 v51, s20, v30
	v_ashrrev_i32_e32 v28, 4, v51
	v_mov_b32_e32 v67, s21
	v_cmp_gt_i32_e32 vcc, s33, v51
	s_waitcnt vmcnt(3)
	v_cvt_pk_f32_fp8_sdwa v[42:43], v22 src0_sel:WORD_1
	s_mov_b32 s44, 0x7060302
	v_cndmask_b32_e32 v30, v67, v28, vcc
	v_ashrrev_i32_e32 v31, 31, v30
	v_lshl_add_u64 v[30:31], v[30:31], 2, s[6:7]
	global_load_dword v50, v[30:31], off
	v_cvt_pk_f32_fp8_e32 v[30:31], v22
	v_cvt_pk_f32_fp8_e32 v[32:33], v23
	v_cvt_pk_f32_fp8_sdwa v[40:41], v23 src0_sel:WORD_1
	v_cvt_pk_f32_fp8_e32 v[38:39], v24
	v_cvt_pk_f32_fp8_sdwa v[36:37], v24 src0_sel:WORD_1
	;; [unrolled: 2-line block ×3, first 2 shown]
	s_waitcnt vmcnt(3)
	v_cvt_pk_f32_fp8_e32 v[24:25], v18
	v_cvt_pk_f32_fp8_sdwa v[44:45], v18 src0_sel:WORD_1
	v_cvt_pk_f32_fp8_e32 v[52:53], v19
	v_cvt_pk_f32_fp8_sdwa v[54:55], v19 src0_sel:WORD_1
	v_perm_b32 v18, v31, v30, s44
	v_perm_b32 v19, v43, v42, s44
	v_cvt_pk_f32_fp8_e32 v[56:57], v20
	v_cvt_pk_f32_fp8_sdwa v[58:59], v20 src0_sel:WORD_1
	v_lshlrev_b32_e32 v20, 4, v49
	v_perm_b32 v24, v25, v24, s44
	v_perm_b32 v25, v45, v44, s44
	;; [unrolled: 1-line block ×4, first 2 shown]
	v_cvt_pk_f32_fp8_e32 v[60:61], v21
	v_cvt_pk_f32_fp8_sdwa v[62:63], v21 src0_sel:WORD_1
	v_lshl_or_b32 v28, v48, 8, v20
	s_waitcnt lgkmcnt(1)
	v_mfma_f32_16x16x16_bf16 v[18:21], v[18:19], v[10:11], 0
	s_waitcnt vmcnt(2)
	v_cvt_pk_f32_fp8_e32 v[42:43], v14
	v_cvt_pk_f32_fp8_sdwa v[30:31], v14 src0_sel:WORD_1
	v_or_b32_e32 v14, 64, v51
	s_add_u32 s4, s8, s10
	v_or_b32_e32 v40, 0x80, v51
	v_or_b32_e32 v41, 0xc0, v51
	v_ashrrev_i32_e32 v51, 4, v14
	v_cmp_gt_i32_e32 vcc, s33, v14
	s_addc_u32 s5, s9, 0
	v_ashrrev_i32_e32 v66, 4, v40
	v_mfma_f32_16x16x16_bf16 v[18:21], v[44:45], v[12:13], v[18:21]
	v_cndmask_b32_e32 v44, v67, v51, vcc
	v_cmp_gt_i32_e32 vcc, s33, v40
	v_perm_b32 v52, v53, v52, s44
	v_perm_b32 v53, v55, v54, s44
	;; [unrolled: 1-line block ×4, first 2 shown]
	v_ashrrev_i32_e32 v36, 4, v41
	v_lshl_add_u64 v[28:29], s[4:5], 0, v[28:29]
	v_cndmask_b32_e32 v66, v67, v66, vcc
	v_cmp_gt_i32_e32 vcc, s33, v41
	v_mfma_f32_16x16x16_bf16 v[38:41], v[24:25], v[10:11], 0
	s_load_dword s4, s[0:1], 0x1c
	s_load_dwordx4 s[40:43], s[0:1], 0x80
	v_cndmask_b32_e32 v68, v67, v36, vcc
	v_ashrrev_i32_e32 v45, 31, v44
	v_ashrrev_i32_e32 v67, 31, v66
	;; [unrolled: 1-line block ×3, first 2 shown]
	v_perm_b32 v37, v23, v22, s44
	v_mfma_f32_16x16x16_bf16 v[22:25], v[52:53], v[12:13], v[38:41]
	v_perm_b32 v36, v35, v34, s44
	v_perm_b32 v34, v43, v42, s44
	v_lshl_add_u64 v[42:43], v[66:67], 2, s[6:7]
	v_lshl_add_u64 v[40:41], v[44:45], 2, s[6:7]
	v_lshl_add_u64 v[44:45], v[68:69], 2, s[6:7]
	s_load_dword s46, s[0:1], 0x98
	s_waitcnt lgkmcnt(0)
	s_load_dword s5, s[40:41], 0x0
	global_load_dword v41, v[40:41], off
	s_nop 0
	global_load_dword v51, v[42:43], off
	global_load_dword v52, v[44:45], off
	v_perm_b32 v54, v57, v56, s44
	v_perm_b32 v55, v59, v58, s44
	;; [unrolled: 1-line block ×4, first 2 shown]
	v_mov_b32_e32 v14, s4
	v_cvt_pk_f32_fp8_e32 v[32:33], v15
	v_mfma_f32_16x16x16_bf16 v[22:25], v[54:55], v[2:3], v[22:25]
	s_waitcnt lgkmcnt(0)
	v_mul_f32_e32 v40, s5, v14
	v_perm_b32 v35, v31, v30, s44
	v_cvt_pk_f32_fp8_sdwa v[14:15], v15 src0_sel:WORD_1
	v_mfma_f32_16x16x16_bf16 v[18:21], v[64:65], v[2:3], v[18:21]
	v_cvt_pk_f32_fp8_e32 v[42:43], v16
	v_cvt_pk_f32_fp8_sdwa v[44:45], v16 src0_sel:WORD_1
	s_mov_b32 s47, 0xff7fffff
	v_mfma_f32_16x16x16_bf16 v[22:25], v[38:39], v[4:5], v[22:25]
	v_perm_b32 v38, v33, v32, s44
	v_perm_b32 v39, v15, v14, s44
	v_mfma_f32_16x16x16_bf16 v[30:33], v[34:35], v[10:11], 0
	v_perm_b32 v34, v43, v42, s44
	v_perm_b32 v35, v45, v44, s44
	v_cvt_pk_f32_fp8_e32 v[42:43], v17
	v_mfma_f32_16x16x16_bf16 v[18:21], v[36:37], v[4:5], v[18:21]
	v_cvt_pk_f32_fp8_sdwa v[44:45], v17 src0_sel:WORD_1
	s_waitcnt vmcnt(3)
	v_mad_i64_i32 v[36:37], s[4:5], v50, s45, v[28:29]
	v_mfma_f32_16x16x16_bf16 v[14:17], v[38:39], v[12:13], v[30:33]
	v_mfma_f32_16x16x16_bf16 v[14:17], v[34:35], v[2:3], v[14:17]
	s_nop 1
	v_cvt_pk_f32_fp8_sdwa v[32:33], v6 src0_sel:WORD_1
	v_cvt_pk_f32_fp8_e32 v[34:35], v8
	s_waitcnt vmcnt(2)
	v_pk_mul_f32 v[30:31], v[40:41], v[20:21] op_sel_hi:[0,1]
	v_perm_b32 v20, v43, v42, s44
	v_perm_b32 v21, v45, v44, s44
	v_pk_mul_f32 v[38:39], v[40:41], v[18:19] op_sel_hi:[0,1]
	v_cvt_pk_f32_fp8_e32 v[18:19], v6
	v_mfma_f32_16x16x16_bf16 v[14:17], v[20:21], v[4:5], v[14:17]
	v_cvt_pk_f32_fp8_e32 v[20:21], v7
	v_perm_b32 v18, v19, v18, s44
	v_perm_b32 v19, v33, v32, s44
	v_cvt_pk_f32_fp8_sdwa v[6:7], v7 src0_sel:WORD_1
	v_perm_b32 v32, v21, v20, s44
	v_cvt_pk_f32_fp8_sdwa v[42:43], v8 src0_sel:WORD_1
	v_mfma_f32_16x16x16_bf16 v[18:21], v[18:19], v[10:11], 0
	v_perm_b32 v33, v7, v6, s44
	v_perm_b32 v10, v35, v34, s44
	;; [unrolled: 1-line block ×3, first 2 shown]
	v_cvt_pk_f32_fp8_e32 v[34:35], v9
	v_cvt_pk_f32_fp8_sdwa v[42:43], v9 src0_sel:WORD_1
	v_mfma_f32_16x16x16_bf16 v[6:9], v[32:33], v[12:13], v[18:21]
	v_pk_mul_f32 v[32:33], v[40:41], v[24:25] op_sel_hi:[0,1]
	v_perm_b32 v12, v35, v34, s44
	v_perm_b32 v13, v43, v42, s44
	v_mfma_f32_16x16x16_bf16 v[6:9], v[10:11], v[2:3], v[6:9]
	v_pk_mul_f32 v[34:35], v[40:41], v[22:23] op_sel_hi:[0,1]
	v_pk_mul_f32 v[22:23], v[40:41], v[16:17] op_sel_hi:[0,1]
	;; [unrolled: 1-line block ×3, first 2 shown]
	v_mfma_f32_16x16x16_bf16 v[2:5], v[12:13], v[4:5], v[6:9]
	s_nop 6
	v_pk_mul_f32 v[20:21], v[40:41], v[2:3] op_sel_hi:[0,1]
	v_and_b32_e32 v2, 0xc0, v0
	v_add_u32_e32 v2, s20, v2
	v_lshl_or_b32 v2, v1, 2, v2
	v_or_b32_e32 v3, 1, v2
	v_pk_mul_f32 v[18:19], v[40:41], v[4:5] op_sel_hi:[0,1]
	v_subrev_u32_e32 v4, s33, v3
	v_add_u32_e32 v6, 1, v4
	v_add_u32_e32 v7, 2, v4
	;; [unrolled: 1-line block ×3, first 2 shown]
	v_cvt_f32_i32_e32 v6, v6
	v_cvt_f32_i32_e32 v7, v7
	;; [unrolled: 1-line block ×3, first 2 shown]
	v_add_u32_e32 v9, 19, v4
	v_fmac_f32_e32 v39, v27, v6
	v_fma_f32 v30, v27, v7, v30
	v_fmac_f32_e32 v31, v27, v8
	v_add_u32_e32 v6, 16, v4
	v_add_u32_e32 v7, 17, v4
	;; [unrolled: 1-line block ×3, first 2 shown]
	v_cvt_f32_i32_e32 v6, v6
	v_cvt_f32_i32_e32 v7, v7
	v_cvt_f32_i32_e32 v8, v8
	v_cvt_f32_i32_e32 v9, v9
	v_fma_f32 v34, v27, v6, v34
	v_fmac_f32_e32 v35, v27, v7
	v_fma_f32 v32, v27, v8, v32
	v_add_u32_e32 v6, 32, v4
	v_add_u32_e32 v7, 33, v4
	;; [unrolled: 1-line block ×3, first 2 shown]
	v_cvt_f32_i32_e32 v6, v6
	v_cvt_f32_i32_e32 v7, v7
	;; [unrolled: 1-line block ×4, first 2 shown]
	v_fmac_f32_e32 v33, v27, v9
	v_add_u32_e32 v9, 35, v4
	v_fma_f32 v24, v27, v6, v24
	v_fmac_f32_e32 v25, v27, v7
	v_fma_f32 v22, v27, v8, v22
	v_add_u32_e32 v6, 48, v4
	v_add_u32_e32 v7, 49, v4
	;; [unrolled: 1-line block ×4, first 2 shown]
	v_cvt_f32_i32_e32 v4, v4
	v_cvt_f32_i32_e32 v6, v6
	;; [unrolled: 1-line block ×3, first 2 shown]
	v_fma_f32 v5, v27, v5, v38
	v_fmac_f32_e32 v19, v27, v4
	v_mov_b32_e32 v4, 0xff7fffff
	v_cmp_gt_i32_e64 s[4:5], s33, v2
	v_cmp_gt_i32_e64 s[20:21], s33, v3
	v_fma_f32 v20, v27, v6, v20
	v_cndmask_b32_e64 v6, v4, v5, s[4:5]
	v_cndmask_b32_e64 v3, v4, v39, s[20:21]
	v_fmac_f32_e32 v21, v27, v7
	v_max3_f32 v3, v6, s47, v3
	v_or_b32_e32 v6, 2, v2
	v_or_b32_e32 v7, 3, v2
	v_cmp_gt_i32_e64 s[22:23], s33, v6
	v_cmp_gt_i32_e64 s[24:25], s33, v7
	v_cvt_f32_i32_e32 v9, v9
	v_cndmask_b32_e64 v6, v4, v30, s[22:23]
	v_cndmask_b32_e64 v7, v4, v31, s[24:25]
	v_max3_f32 v3, v3, v6, v7
	v_or_b32_e32 v6, 16, v2
	v_or_b32_e32 v7, 17, v2
	v_cmp_gt_i32_e64 s[26:27], s33, v6
	v_cmp_gt_i32_e64 s[28:29], s33, v7
	v_fmac_f32_e32 v23, v27, v9
	v_cndmask_b32_e64 v6, v4, v34, s[26:27]
	v_cndmask_b32_e64 v7, v4, v35, s[28:29]
	v_max3_f32 v3, v3, v6, v7
	v_or_b32_e32 v6, 18, v2
	v_or_b32_e32 v7, 19, v2
	v_cmp_gt_i32_e64 s[30:31], s33, v6
	v_cmp_gt_i32_e64 s[34:35], s33, v7
	v_cvt_f32_i32_e32 v8, v8
	v_cndmask_b32_e64 v6, v4, v32, s[30:31]
	v_cndmask_b32_e64 v7, v4, v33, s[34:35]
	v_max3_f32 v3, v3, v6, v7
	v_or_b32_e32 v6, 32, v2
	v_or_b32_e32 v7, 33, v2
	v_cmp_gt_i32_e64 s[36:37], s33, v6
	v_cmp_gt_i32_e64 s[38:39], s33, v7
	v_fma_f32 v18, v27, v8, v18
	v_cndmask_b32_e64 v6, v4, v24, s[36:37]
	v_cndmask_b32_e64 v7, v4, v25, s[38:39]
	v_max3_f32 v3, v3, v6, v7
	v_or_b32_e32 v6, 34, v2
	v_or_b32_e32 v7, 35, v2
	v_cmp_gt_i32_e64 s[12:13], s33, v6
	v_cmp_gt_i32_e64 s[14:15], s33, v7
	s_nop 0
	v_cndmask_b32_e64 v6, v4, v22, s[12:13]
	v_cndmask_b32_e64 v7, v4, v23, s[14:15]
	v_max3_f32 v3, v3, v6, v7
	v_or_b32_e32 v6, 48, v2
	v_or_b32_e32 v7, 49, v2
	v_cmp_gt_i32_e64 s[8:9], s33, v6
	v_cmp_gt_i32_e64 s[10:11], s33, v7
	s_nop 0
	v_cndmask_b32_e64 v6, v4, v20, s[8:9]
	v_cndmask_b32_e64 v7, v4, v21, s[10:11]
	v_max3_f32 v3, v3, v6, v7
	v_or_b32_e32 v6, 50, v2
	v_or_b32_e32 v2, 51, v2
	v_cmp_gt_i32_e32 vcc, s33, v6
	v_cmp_gt_i32_e64 s[6:7], s33, v2
	s_nop 0
	v_cndmask_b32_e32 v6, v4, v18, vcc
	v_cndmask_b32_e64 v2, v4, v19, s[6:7]
	v_max3_f32 v4, v3, v6, v2
	v_mbcnt_lo_u32_b32 v2, -1, 0
	v_mbcnt_hi_u32_b32 v6, -1, v2
	v_and_b32_e32 v2, 64, v6
	v_add_u32_e32 v7, 64, v2
	v_xor_b32_e32 v2, 32, v6
	v_cmp_lt_i32_e64 s[40:41], v2, v7
	s_nop 1
	v_cndmask_b32_e64 v2, v6, v2, s[40:41]
	v_lshlrev_b32_e32 v40, 2, v2
	ds_bpermute_b32 v8, v40, v4
	v_mad_i64_i32 v[2:3], s[40:41], v41, s45, v[28:29]
	global_load_dwordx4 v[14:17], v[36:37], off
	global_load_dwordx4 v[10:13], v[2:3], off
	v_xor_b32_e32 v3, 16, v6
	v_cmp_lt_i32_e64 s[40:41], v3, v7
	s_waitcnt lgkmcnt(0)
	v_max_f32_e32 v2, v8, v8
	v_max_f32_e32 v2, v4, v2
	v_cndmask_b32_e64 v3, v6, v3, s[40:41]
	v_lshlrev_b32_e32 v41, 2, v3
	ds_bpermute_b32 v3, v41, v2
	s_waitcnt vmcnt(3)
	v_mad_i64_i32 v[36:37], s[40:41], v51, s45, v[28:29]
	s_waitcnt vmcnt(2)
	v_mad_i64_i32 v[28:29], s[40:41], v52, s45, v[28:29]
	s_waitcnt lgkmcnt(0)
	v_max_f32_e32 v3, v3, v3
	v_max_f32_e32 v27, v2, v3
	v_sub_f32_e32 v2, v5, v27
	v_mul_f32_e32 v2, 0x3fb8aa3b, v2
	v_exp_f32_e32 v38, v2
	v_sub_f32_e32 v2, v39, v27
	v_mul_f32_e32 v2, 0x3fb8aa3b, v2
	v_exp_f32_e32 v39, v2
	global_load_dwordx4 v[6:9], v[36:37], off
	global_load_dwordx4 v[2:5], v[28:29], off
	v_sub_f32_e32 v29, v30, v27
	v_sub_f32_e32 v30, v31, v27
	v_mul_f32_e32 v29, 0x3fb8aa3b, v29
	v_mul_f32_e32 v30, 0x3fb8aa3b, v30
	v_exp_f32_e32 v29, v29
	v_exp_f32_e32 v30, v30
	v_cndmask_b32_e64 v36, 0, v38, s[4:5]
	v_cndmask_b32_e64 v37, 0, v39, s[20:21]
	;; [unrolled: 1-line block ×4, first 2 shown]
	v_sub_f32_e32 v29, v34, v27
	v_sub_f32_e32 v30, v35, v27
	v_mul_f32_e32 v29, 0x3fb8aa3b, v29
	v_mul_f32_e32 v30, 0x3fb8aa3b, v30
	v_exp_f32_e32 v29, v29
	v_exp_f32_e32 v30, v30
	v_add_f32_e32 v28, 0, v36
	v_add_f32_e32 v28, v28, v37
	;; [unrolled: 1-line block ×4, first 2 shown]
	v_cndmask_b32_e64 v28, 0, v29, s[26:27]
	v_cndmask_b32_e64 v29, 0, v30, s[28:29]
	v_sub_f32_e32 v30, v32, v27
	v_mul_f32_e32 v30, 0x3fb8aa3b, v30
	v_sub_f32_e32 v32, v33, v27
	v_exp_f32_e32 v30, v30
	v_mul_f32_e32 v32, 0x3fb8aa3b, v32
	v_sub_f32_e32 v24, v24, v27
	v_exp_f32_e32 v32, v32
	;; [unrolled: 3-line block ×3, first 2 shown]
	v_mul_f32_e32 v25, 0x3fb8aa3b, v25
	v_sub_f32_e32 v22, v22, v27
	v_add_f32_e32 v31, v31, v28
	v_exp_f32_e32 v25, v25
	v_mul_f32_e32 v22, 0x3fb8aa3b, v22
	v_sub_f32_e32 v23, v23, v27
	v_add_f32_e32 v31, v31, v29
	v_cndmask_b32_e64 v30, 0, v30, s[30:31]
	v_exp_f32_e32 v22, v22
	v_mul_f32_e32 v23, 0x3fb8aa3b, v23
	v_sub_f32_e32 v20, v20, v27
	v_add_f32_e32 v33, v31, v30
	v_cndmask_b32_e64 v31, 0, v32, s[34:35]
	;; [unrolled: 5-line block ×5, first 2 shown]
	v_exp_f32_e32 v18, v18
	v_mul_f32_e32 v19, 0x3fb8aa3b, v19
	v_add_f32_e32 v32, v32, v22
	v_cndmask_b32_e64 v23, 0, v23, s[14:15]
	v_exp_f32_e32 v19, v19
	v_add_f32_e32 v32, v32, v23
	v_cndmask_b32_e64 v20, 0, v20, s[8:9]
	v_add_f32_e32 v32, v32, v20
	v_cndmask_b32_e64 v21, 0, v21, s[10:11]
	v_add_f32_e32 v32, v32, v21
	v_cndmask_b32_e32 v18, 0, v18, vcc
	v_add_f32_e32 v32, v32, v18
	v_cndmask_b32_e64 v19, 0, v19, s[6:7]
	v_add_f32_e32 v32, v32, v19
	ds_bpermute_b32 v33, v40, v32
	v_cmp_gt_u32_e32 vcc, 16, v47
	s_waitcnt lgkmcnt(0)
	s_barrier
	v_add_f32_e32 v33, v32, v33
	ds_bpermute_b32 v34, v41, v33
	v_lshlrev_b32_e32 v32, 2, v49
	s_and_saveexec_b64 s[4:5], vcc
	s_cbranch_execz .LBB1145_15
; %bb.14:
	s_waitcnt lgkmcnt(0)
	v_add_f32_e32 v33, v33, v34
	v_lshl_or_b32 v34, v48, 6, v32
	ds_write2st64_b32 v34, v27, v33 offset1:1
.LBB1145_15:
	s_or_b64 exec, exec, s[4:5]
	s_load_dword s6, s[0:1], 0x94
	s_waitcnt lgkmcnt(0)
	s_barrier
	ds_read2_b32 v[34:35], v32 offset1:16
	ds_read2_b32 v[40:41], v32 offset0:32 offset1:48
	ds_read2_b32 v[42:43], v32 offset0:64 offset1:80
	s_movk_i32 s8, 0x7fff
	s_lshl_b32 s7, s46, 1
	s_waitcnt lgkmcnt(2)
	v_max3_f32 v27, v34, s47, v35
	s_waitcnt lgkmcnt(1)
	v_max3_f32 v27, v27, v40, v41
	v_sub_f32_e32 v33, v34, v27
	v_mul_f32_e32 v33, 0x3fb8aa3b, v33
	v_exp_f32_e32 v44, v33
	v_sub_f32_e32 v33, v35, v27
	v_mul_f32_e32 v33, 0x3fb8aa3b, v33
	v_exp_f32_e32 v45, v33
	v_sub_f32_e32 v33, v40, v27
	v_mul_f32_e32 v33, 0x3fb8aa3b, v33
	ds_read2_b32 v[34:35], v32 offset0:96 offset1:112
	v_sub_f32_e32 v32, v41, v27
	v_exp_f32_e32 v40, v33
	v_mul_f32_e32 v32, 0x3fb8aa3b, v32
	v_exp_f32_e32 v32, v32
	s_waitcnt lgkmcnt(1)
	v_fma_f32 v33, v44, v42, 0
	v_fmac_f32_e32 v33, v45, v43
	s_waitcnt lgkmcnt(0)
	v_fmac_f32_e32 v33, v40, v34
	v_fmac_f32_e32 v33, v32, v35
	v_add_f32_e32 v34, 0x358637bd, v33
	v_div_scale_f32 v35, s[4:5], v34, v34, 1.0
	v_rcp_f32_e32 v41, v35
	s_barrier
	v_fma_f32 v42, -v35, v41, 1.0
	v_fmac_f32_e32 v41, v42, v41
	v_div_scale_f32 v42, vcc, 1.0, v34, 1.0
	v_mul_f32_e32 v43, v42, v41
	v_fma_f32 v50, -v35, v43, v42
	v_fmac_f32_e32 v43, v50, v41
	v_fma_f32 v35, -v35, v43, v42
	v_div_fmas_f32 v35, v35, v41, v43
	v_cmp_eq_u32_e32 vcc, 1, v48
	v_div_fixup_f32 v34, v35, v34, 1.0
	s_nop 0
	v_cndmask_b32_e32 v35, v44, v45, vcc
	v_cmp_eq_u32_e32 vcc, 2, v48
	s_nop 1
	v_cndmask_b32_e32 v35, v35, v40, vcc
	v_cmp_eq_u32_e32 vcc, 3, v48
	s_nop 1
	v_cndmask_b32_e32 v32, v35, v32, vcc
	v_mul_f32_e32 v40, v32, v34
	v_pk_mul_f32 v[36:37], v[40:41], v[36:37] op_sel_hi:[0,1]
	v_pk_mul_f32 v[34:35], v[40:41], v[38:39] op_sel_hi:[0,1]
	v_bfe_u32 v32, v37, 16, 1
	v_bfe_u32 v38, v36, 16, 1
	v_add3_u32 v36, v36, v38, s8
	v_add3_u32 v32, v37, v32, s8
	v_perm_b32 v36, v32, v36, s44
	v_bfe_u32 v32, v35, 16, 1
	v_bfe_u32 v37, v34, 16, 1
	v_add3_u32 v34, v34, v37, s8
	v_add3_u32 v32, v35, v32, s8
	v_perm_b32 v37, v32, v34, s44
	v_lshlrev_b32_e32 v32, 3, v1
	v_lshlrev_b32_e32 v34, 5, v49
	;; [unrolled: 1-line block ×3, first 2 shown]
	v_pk_mul_f32 v[28:29], v[40:41], v[28:29] op_sel_hi:[0,1]
	v_or3_b32 v32, v35, v34, v32
	v_bfe_u32 v35, v29, 16, 1
	v_bfe_u32 v38, v28, 16, 1
	v_pk_mul_f32 v[30:31], v[40:41], v[30:31] op_sel_hi:[0,1]
	v_add3_u32 v28, v28, v38, s8
	v_add3_u32 v29, v29, v35, s8
	v_perm_b32 v28, v29, v28, s44
	v_bfe_u32 v29, v31, 16, 1
	v_bfe_u32 v35, v30, 16, 1
	v_add3_u32 v30, v30, v35, s8
	v_add3_u32 v29, v31, v29, s8
	v_perm_b32 v29, v29, v30, s44
	v_pk_mul_f32 v[24:25], v[40:41], v[24:25] op_sel_hi:[0,1]
	ds_write2st64_b64 v32, v[36:37], v[28:29] offset1:1
	v_bfe_u32 v28, v25, 16, 1
	v_bfe_u32 v29, v24, 16, 1
	v_pk_mul_f32 v[22:23], v[40:41], v[22:23] op_sel_hi:[0,1]
	v_add3_u32 v24, v24, v29, s8
	v_add3_u32 v25, v25, v28, s8
	v_perm_b32 v24, v25, v24, s44
	v_bfe_u32 v25, v23, 16, 1
	v_bfe_u32 v28, v22, 16, 1
	v_add3_u32 v22, v22, v28, s8
	v_add3_u32 v23, v23, v25, s8
	v_pk_mul_f32 v[20:21], v[40:41], v[20:21] op_sel_hi:[0,1]
	v_perm_b32 v25, v23, v22, s44
	v_bfe_u32 v22, v21, 16, 1
	v_bfe_u32 v23, v20, 16, 1
	v_pk_mul_f32 v[18:19], v[40:41], v[18:19] op_sel_hi:[0,1]
	v_add3_u32 v20, v20, v23, s8
	v_add3_u32 v21, v21, v22, s8
	v_perm_b32 v20, v21, v20, s44
	v_bfe_u32 v21, v19, 16, 1
	v_bfe_u32 v22, v18, 16, 1
	v_add3_u32 v18, v18, v22, s8
	v_add3_u32 v19, v19, v21, s8
	v_perm_b32 v21, v19, v18, s44
	v_cmp_gt_u32_e32 vcc, 2, v0
	ds_write2st64_b64 v32, v[24:25], v[20:21] offset0:2 offset1:3
	s_and_saveexec_b64 s[4:5], vcc
	s_cbranch_execz .LBB1145_17
; %bb.16:
	v_or_b32_e32 v18, s17, v0
	v_mov_b32_e32 v19, 0
	v_mov_b32_e32 v20, s7
	v_mad_u64_u32 v[20:21], s[10:11], s2, v20, v[18:19]
	v_mov_b32_e32 v18, s16
	s_load_dwordx4 s[12:15], s[0:1], 0x58
	s_mul_i32 s3, s3, s7
	v_mad_u64_u32 v[18:19], s[10:11], v20, s6, v[18:19]
	v_add_u32_e32 v21, s3, v21
	v_mov_b32_e32 v20, v19
	v_mad_u64_u32 v[20:21], s[10:11], v21, s6, v[20:21]
	v_mov_b32_e32 v19, v20
	v_lshlrev_b64 v[18:19], 2, v[18:19]
	s_waitcnt lgkmcnt(0)
	v_lshl_add_u64 v[20:21], s[14:15], 0, v[18:19]
	v_lshl_add_u64 v[18:19], s[12:13], 0, v[18:19]
	global_store_dword v[20:21], v27, off
	global_store_dword v[18:19], v33, off
.LBB1145_17:
	s_or_b64 exec, exec, s[4:5]
	s_waitcnt vmcnt(3)
	v_cvt_pk_f32_fp8_e32 v[18:19], v14
	v_cvt_pk_f32_fp8_sdwa v[20:21], v14 src0_sel:WORD_1
	s_mov_b32 s4, 0x7060302
	v_lshl_or_b32 v14, v1, 9, v34
	s_waitcnt lgkmcnt(0)
	s_barrier
	v_perm_b32 v28, v19, v18, s4
	v_perm_b32 v29, v21, v20, s4
	v_cvt_pk_f32_fp8_e32 v[22:23], v15
	ds_read_b128 v[18:21], v14
	v_cvt_pk_f32_fp8_sdwa v[34:35], v15 src0_sel:WORD_1
	v_cvt_pk_f32_fp8_sdwa v[38:39], v16 src0_sel:WORD_1
	v_perm_b32 v36, v23, v22, s4
	ds_read_b128 v[22:25], v14 offset:16
	v_perm_b32 v37, v35, v34, s4
	s_waitcnt lgkmcnt(1)
	v_mfma_f32_16x16x16_bf16 v[28:31], v[28:29], v[18:19], 0
	v_cvt_pk_f32_fp8_e32 v[34:35], v16
	s_load_dword s10, s[42:43], 0x0
	v_cmp_gt_u32_e32 vcc, 64, v0
	v_mfma_f32_16x16x16_bf16 v[18:21], v[36:37], v[20:21], v[28:31]
	s_waitcnt vmcnt(2)
	v_cvt_pk_f32_fp8_sdwa v[36:37], v10 src0_sel:WORD_1
	s_mov_b32 s3, 0
	v_mov_b32_e32 v27, 0
	v_cvt_pk_f32_fp8_e32 v[28:29], v17
	v_perm_b32 v30, v35, v34, s4
	v_perm_b32 v31, v39, v38, s4
	v_cvt_pk_f32_fp8_sdwa v[16:17], v17 src0_sel:WORD_1
	v_perm_b32 v28, v29, v28, s4
	v_cvt_pk_f32_fp8_e32 v[34:35], v10
	v_perm_b32 v29, v17, v16, s4
	s_waitcnt lgkmcnt(0)
	v_mfma_f32_16x16x16_bf16 v[16:19], v[30:31], v[22:23], v[18:21]
	v_perm_b32 v34, v35, v34, s4
	v_perm_b32 v35, v37, v36, s4
	v_cvt_pk_f32_fp8_e32 v[30:31], v11
	ds_read_b128 v[20:23], v14 offset:2048
	v_cvt_pk_f32_fp8_sdwa v[10:11], v11 src0_sel:WORD_1
	v_mfma_f32_16x16x16_bf16 v[16:19], v[28:29], v[24:25], v[16:19]
	v_perm_b32 v24, v31, v30, s4
	ds_read_b128 v[28:31], v14 offset:2064
	v_perm_b32 v25, v11, v10, s4
	s_waitcnt lgkmcnt(1)
	v_mfma_f32_16x16x16_bf16 v[16:19], v[34:35], v[20:21], v[16:19]
	v_cvt_pk_f32_fp8_e32 v[10:11], v12
	v_cvt_pk_f32_fp8_sdwa v[20:21], v12 src0_sel:WORD_1
	v_perm_b32 v10, v11, v10, s4
	v_mfma_f32_16x16x16_bf16 v[16:19], v[24:25], v[22:23], v[16:19]
	v_cvt_pk_f32_fp8_e32 v[22:23], v13
	v_perm_b32 v11, v21, v20, s4
	v_cvt_pk_f32_fp8_sdwa v[12:13], v13 src0_sel:WORD_1
	s_waitcnt vmcnt(1)
	v_cvt_pk_f32_fp8_sdwa v[24:25], v6 src0_sel:WORD_1
	v_perm_b32 v20, v23, v22, s4
	v_cvt_pk_f32_fp8_e32 v[22:23], v6
	v_perm_b32 v21, v13, v12, s4
	s_waitcnt lgkmcnt(0)
	v_mfma_f32_16x16x16_bf16 v[10:13], v[10:11], v[28:29], v[16:19]
	v_perm_b32 v29, v25, v24, s4
	v_perm_b32 v28, v23, v22, s4
	v_cvt_pk_f32_fp8_e32 v[22:23], v7
	ds_read_b128 v[16:19], v14 offset:4096
	v_cvt_pk_f32_fp8_sdwa v[6:7], v7 src0_sel:WORD_1
	v_mfma_f32_16x16x16_bf16 v[10:13], v[20:21], v[30:31], v[10:13]
	v_perm_b32 v24, v23, v22, s4
	ds_read_b128 v[20:23], v14 offset:4112
	v_perm_b32 v25, v7, v6, s4
	s_waitcnt lgkmcnt(1)
	v_mfma_f32_16x16x16_bf16 v[10:13], v[28:29], v[16:17], v[10:13]
	v_cvt_pk_f32_fp8_e32 v[6:7], v8
	v_cvt_pk_f32_fp8_sdwa v[16:17], v8 src0_sel:WORD_1
	v_perm_b32 v6, v7, v6, s4
	v_mfma_f32_16x16x16_bf16 v[10:13], v[24:25], v[18:19], v[10:13]
	v_cvt_pk_f32_fp8_e32 v[18:19], v9
	v_perm_b32 v7, v17, v16, s4
	v_cvt_pk_f32_fp8_sdwa v[8:9], v9 src0_sel:WORD_1
	s_waitcnt vmcnt(0)
	v_cvt_pk_f32_fp8_sdwa v[24:25], v2 src0_sel:WORD_1
	v_perm_b32 v16, v19, v18, s4
	v_cvt_pk_f32_fp8_e32 v[18:19], v2
	v_perm_b32 v17, v9, v8, s4
	s_waitcnt lgkmcnt(0)
	v_mfma_f32_16x16x16_bf16 v[6:9], v[6:7], v[20:21], v[10:13]
	v_cvt_pk_f32_fp8_e32 v[20:21], v3
	v_perm_b32 v18, v19, v18, s4
	v_perm_b32 v19, v25, v24, s4
	ds_read_b128 v[10:13], v14 offset:6144
	v_cvt_pk_f32_fp8_sdwa v[2:3], v3 src0_sel:WORD_1
	v_mfma_f32_16x16x16_bf16 v[6:9], v[16:17], v[22:23], v[6:9]
	v_perm_b32 v20, v21, v20, s4
	ds_read_b128 v[14:17], v14 offset:6160
	v_perm_b32 v21, v3, v2, s4
	s_waitcnt lgkmcnt(1)
	v_mfma_f32_16x16x16_bf16 v[6:9], v[18:19], v[10:11], v[6:9]
	v_cvt_pk_f32_fp8_e32 v[2:3], v4
	v_cvt_pk_f32_fp8_sdwa v[10:11], v4 src0_sel:WORD_1
	s_waitcnt lgkmcnt(0)
	v_mfma_f32_16x16x16_bf16 v[6:9], v[20:21], v[12:13], v[6:9]
	v_perm_b32 v2, v3, v2, s4
	v_perm_b32 v3, v11, v10, s4
	v_cvt_pk_f32_fp8_e32 v[10:11], v5
	v_cvt_pk_f32_fp8_sdwa v[4:5], v5 src0_sel:WORD_1
	s_barrier
	v_perm_b32 v10, v11, v10, s4
	v_perm_b32 v11, v5, v4, s4
	v_mfma_f32_16x16x16_bf16 v[2:5], v[2:3], v[14:15], v[6:9]
	s_nop 0
	v_mfma_f32_16x16x16_bf16 v[2:5], v[10:11], v[16:17], v[2:5]
	s_nop 6
	v_pk_mul_f32 v[2:3], v[2:3], s[10:11] op_sel_hi:[1,0]
	v_pk_mul_f32 v[4:5], v[4:5], s[10:11] op_sel_hi:[1,0]
	v_bfe_u32 v6, v3, 16, 1
	v_bfe_u32 v7, v2, 16, 1
	v_add3_u32 v2, v2, v7, s8
	v_add3_u32 v3, v3, v6, s8
	v_perm_b32 v2, v3, v2, s4
	v_bfe_u32 v3, v5, 16, 1
	v_bfe_u32 v6, v4, 16, 1
	v_add3_u32 v4, v4, v6, s8
	v_add3_u32 v3, v5, v3, s8
	v_perm_b32 v3, v3, v4, s4
	v_cmp_gt_u32_e64 s[4:5], 32, v47
	s_and_b64 s[4:5], s[4:5], vcc
	s_and_b64 s[4:5], s[4:5], s[18:19]
	ds_write_b64 v32, v[2:3]
	s_waitcnt lgkmcnt(0)
	s_barrier
	s_and_saveexec_b64 s[8:9], s[4:5]
	s_cbranch_execz .LBB1145_19
; %bb.18:
	s_load_dwordx2 s[0:1], s[0:1], 0x68
	s_mul_i32 s2, s7, s2
	s_lshl_b32 s6, s6, 6
	s_mul_hi_u32 s5, s2, s6
	s_mul_i32 s4, s2, s6
	v_lshlrev_b32_e32 v0, 10, v0
	s_lshl_b64 s[4:5], s[4:5], 1
	v_and_b32_e32 v0, 0x1800, v0
	v_lshlrev_b32_e32 v2, 5, v1
	v_and_b32_e32 v3, 16, v46
	s_waitcnt lgkmcnt(0)
	s_add_u32 s4, s0, s4
	v_or3_b32 v0, v0, v2, v3
	s_addc_u32 s5, s1, s5
	s_lshl_b32 s2, s16, 6
	ds_read_b128 v[2:5], v0
	s_lshl_b64 s[0:1], s[2:3], 1
	s_add_u32 s0, s4, s0
	v_or_b32_e32 v0, s17, v1
	s_addc_u32 s1, s5, s1
	v_mad_u64_u32 v[0:1], s[2:3], s6, v0, 0
	v_lshl_add_u64 v[0:1], v[0:1], 1, s[0:1]
	v_lshl_add_u64 v[0:1], v[0:1], 0, v[26:27]
	s_waitcnt lgkmcnt(0)
	global_store_dwordx4 v[0:1], v[2:5], off
.LBB1145_19:
	s_endpgm
	.section	.rodata,"a",@progbits
	.p2align	6, 0x0
	.amdhsa_kernel _Z39paged_attention_ll4mi_QKV_mfma16_kernelI14__hip_bfloat16hLN4vllm18Fp8KVCacheDataTypeE1ES0_Li16ELi64ELi256ELb1ELi2EEvPKT_PKT0_S8_ifPKiSA_SA_iPKfiiiPfSD_PS3_PT2_iSC_SC_
		.amdhsa_group_segment_fixed_size 8192
		.amdhsa_private_segment_fixed_size 0
		.amdhsa_kernarg_size 400
		.amdhsa_user_sgpr_count 2
		.amdhsa_user_sgpr_dispatch_ptr 0
		.amdhsa_user_sgpr_queue_ptr 0
		.amdhsa_user_sgpr_kernarg_segment_ptr 1
		.amdhsa_user_sgpr_dispatch_id 0
		.amdhsa_user_sgpr_kernarg_preload_length 0
		.amdhsa_user_sgpr_kernarg_preload_offset 0
		.amdhsa_user_sgpr_private_segment_size 0
		.amdhsa_uses_dynamic_stack 0
		.amdhsa_enable_private_segment 0
		.amdhsa_system_sgpr_workgroup_id_x 1
		.amdhsa_system_sgpr_workgroup_id_y 1
		.amdhsa_system_sgpr_workgroup_id_z 1
		.amdhsa_system_sgpr_workgroup_info 0
		.amdhsa_system_vgpr_workitem_id 0
		.amdhsa_next_free_vgpr 70
		.amdhsa_next_free_sgpr 48
		.amdhsa_accum_offset 72
		.amdhsa_reserve_vcc 1
		.amdhsa_float_round_mode_32 0
		.amdhsa_float_round_mode_16_64 0
		.amdhsa_float_denorm_mode_32 3
		.amdhsa_float_denorm_mode_16_64 3
		.amdhsa_dx10_clamp 1
		.amdhsa_ieee_mode 1
		.amdhsa_fp16_overflow 0
		.amdhsa_tg_split 0
		.amdhsa_exception_fp_ieee_invalid_op 0
		.amdhsa_exception_fp_denorm_src 0
		.amdhsa_exception_fp_ieee_div_zero 0
		.amdhsa_exception_fp_ieee_overflow 0
		.amdhsa_exception_fp_ieee_underflow 0
		.amdhsa_exception_fp_ieee_inexact 0
		.amdhsa_exception_int_div_zero 0
	.end_amdhsa_kernel
	.section	.text._Z39paged_attention_ll4mi_QKV_mfma16_kernelI14__hip_bfloat16hLN4vllm18Fp8KVCacheDataTypeE1ES0_Li16ELi64ELi256ELb1ELi2EEvPKT_PKT0_S8_ifPKiSA_SA_iPKfiiiPfSD_PS3_PT2_iSC_SC_,"axG",@progbits,_Z39paged_attention_ll4mi_QKV_mfma16_kernelI14__hip_bfloat16hLN4vllm18Fp8KVCacheDataTypeE1ES0_Li16ELi64ELi256ELb1ELi2EEvPKT_PKT0_S8_ifPKiSA_SA_iPKfiiiPfSD_PS3_PT2_iSC_SC_,comdat
.Lfunc_end1145:
	.size	_Z39paged_attention_ll4mi_QKV_mfma16_kernelI14__hip_bfloat16hLN4vllm18Fp8KVCacheDataTypeE1ES0_Li16ELi64ELi256ELb1ELi2EEvPKT_PKT0_S8_ifPKiSA_SA_iPKfiiiPfSD_PS3_PT2_iSC_SC_, .Lfunc_end1145-_Z39paged_attention_ll4mi_QKV_mfma16_kernelI14__hip_bfloat16hLN4vllm18Fp8KVCacheDataTypeE1ES0_Li16ELi64ELi256ELb1ELi2EEvPKT_PKT0_S8_ifPKiSA_SA_iPKfiiiPfSD_PS3_PT2_iSC_SC_
                                        ; -- End function
	.section	.AMDGPU.csdata,"",@progbits
; Kernel info:
; codeLenInByte = 5036
; NumSgprs: 54
; NumVgprs: 70
; NumAgprs: 0
; TotalNumVgprs: 70
; ScratchSize: 0
; MemoryBound: 0
; FloatMode: 240
; IeeeMode: 1
; LDSByteSize: 8192 bytes/workgroup (compile time only)
; SGPRBlocks: 6
; VGPRBlocks: 8
; NumSGPRsForWavesPerEU: 54
; NumVGPRsForWavesPerEU: 70
; AccumOffset: 72
; Occupancy: 7
; WaveLimiterHint : 1
; COMPUTE_PGM_RSRC2:SCRATCH_EN: 0
; COMPUTE_PGM_RSRC2:USER_SGPR: 2
; COMPUTE_PGM_RSRC2:TRAP_HANDLER: 0
; COMPUTE_PGM_RSRC2:TGID_X_EN: 1
; COMPUTE_PGM_RSRC2:TGID_Y_EN: 1
; COMPUTE_PGM_RSRC2:TGID_Z_EN: 1
; COMPUTE_PGM_RSRC2:TIDIG_COMP_CNT: 0
; COMPUTE_PGM_RSRC3_GFX90A:ACCUM_OFFSET: 17
; COMPUTE_PGM_RSRC3_GFX90A:TG_SPLIT: 0
	.section	.text._Z39paged_attention_ll4mi_QKV_mfma16_kernelI14__hip_bfloat16hLN4vllm18Fp8KVCacheDataTypeE1ES0_Li16ELi64ELi256ELb1ELi3EEvPKT_PKT0_S8_ifPKiSA_SA_iPKfiiiPfSD_PS3_PT2_iSC_SC_,"axG",@progbits,_Z39paged_attention_ll4mi_QKV_mfma16_kernelI14__hip_bfloat16hLN4vllm18Fp8KVCacheDataTypeE1ES0_Li16ELi64ELi256ELb1ELi3EEvPKT_PKT0_S8_ifPKiSA_SA_iPKfiiiPfSD_PS3_PT2_iSC_SC_,comdat
	.protected	_Z39paged_attention_ll4mi_QKV_mfma16_kernelI14__hip_bfloat16hLN4vllm18Fp8KVCacheDataTypeE1ES0_Li16ELi64ELi256ELb1ELi3EEvPKT_PKT0_S8_ifPKiSA_SA_iPKfiiiPfSD_PS3_PT2_iSC_SC_ ; -- Begin function _Z39paged_attention_ll4mi_QKV_mfma16_kernelI14__hip_bfloat16hLN4vllm18Fp8KVCacheDataTypeE1ES0_Li16ELi64ELi256ELb1ELi3EEvPKT_PKT0_S8_ifPKiSA_SA_iPKfiiiPfSD_PS3_PT2_iSC_SC_
	.globl	_Z39paged_attention_ll4mi_QKV_mfma16_kernelI14__hip_bfloat16hLN4vllm18Fp8KVCacheDataTypeE1ES0_Li16ELi64ELi256ELb1ELi3EEvPKT_PKT0_S8_ifPKiSA_SA_iPKfiiiPfSD_PS3_PT2_iSC_SC_
	.p2align	8
	.type	_Z39paged_attention_ll4mi_QKV_mfma16_kernelI14__hip_bfloat16hLN4vllm18Fp8KVCacheDataTypeE1ES0_Li16ELi64ELi256ELb1ELi3EEvPKT_PKT0_S8_ifPKiSA_SA_iPKfiiiPfSD_PS3_PT2_iSC_SC_,@function
_Z39paged_attention_ll4mi_QKV_mfma16_kernelI14__hip_bfloat16hLN4vllm18Fp8KVCacheDataTypeE1ES0_Li16ELi64ELi256ELb1ELi3EEvPKT_PKT0_S8_ifPKiSA_SA_iPKfiiiPfSD_PS3_PT2_iSC_SC_: ; @_Z39paged_attention_ll4mi_QKV_mfma16_kernelI14__hip_bfloat16hLN4vllm18Fp8KVCacheDataTypeE1ES0_Li16ELi64ELi256ELb1ELi3EEvPKT_PKT0_S8_ifPKiSA_SA_iPKfiiiPfSD_PS3_PT2_iSC_SC_
; %bb.0:
	s_load_dwordx2 s[8:9], s[0:1], 0x30
	s_mov_b32 s16, s3
	s_mov_b64 s[6:7], 0
	s_waitcnt lgkmcnt(0)
	s_cmp_lg_u64 s[8:9], 0
	s_cselect_b64 s[10:11], -1, 0
	s_and_b64 vcc, exec, s[10:11]
	s_cbranch_vccz .LBB1146_7
; %bb.1:
	s_add_i32 s12, s2, 1
	s_mov_b32 s13, 0
	s_lshl_b64 s[14:15], s[12:13], 2
	s_add_u32 s14, s8, s14
	s_mov_b32 s3, s13
	s_addc_u32 s15, s9, s15
	s_lshl_b64 s[12:13], s[2:3], 2
	s_add_u32 s12, s8, s12
	s_addc_u32 s13, s9, s13
	s_load_dword s5, s[14:15], 0x0
	s_load_dword s17, s[12:13], 0x0
	s_waitcnt lgkmcnt(0)
	s_sub_i32 s5, s5, s17
	s_cmp_eq_u32 s5, 1
	s_cselect_b64 s[12:13], -1, 0
	s_andn2_b64 vcc, exec, s[6:7]
	s_cbranch_vccnz .LBB1146_3
.LBB1146_2:
	s_mov_b32 s3, 0
	s_mov_b64 s[12:13], -1
.LBB1146_3:
	s_andn2_b64 vcc, exec, s[12:13]
	s_cbranch_vccnz .LBB1146_19
; %bb.4:
	s_load_dwordx2 s[6:7], s[0:1], 0x28
	s_lshl_b64 s[12:13], s[2:3], 2
	s_waitcnt lgkmcnt(0)
	s_add_u32 s6, s6, s12
	s_addc_u32 s7, s7, s13
	s_load_dword s17, s[6:7], 0x0
	s_lshl_b32 s20, s16, 8
	s_waitcnt lgkmcnt(0)
	s_cmp_ge_i32 s20, s17
	s_cbranch_scc1 .LBB1146_19
; %bb.5:
	s_load_dwordx2 s[6:7], s[0:1], 0x20
	s_load_dword s5, s[0:1], 0x38
	s_add_i32 s14, s17, 15
	s_ashr_i32 s15, s14, 31
	v_and_b32_e32 v1, 0xcf, v0
	s_lshr_b32 s15, s15, 28
	v_add_u32_e32 v1, s20, v1
	s_add_i32 s14, s14, s15
	v_ashrrev_i32_e32 v2, 31, v1
	s_ashr_i32 s21, s14, 4
	v_lshrrev_b32_e32 v4, 28, v2
	s_add_i32 s21, s21, -1
	s_waitcnt lgkmcnt(0)
	s_mul_i32 s14, s2, s5
	s_mov_b32 s15, 0
	v_add_u32_e32 v2, v1, v4
	s_lshl_b64 s[14:15], s[14:15], 2
	v_ashrrev_i32_e32 v2, 4, v2
	v_mov_b32_e32 v5, s21
	v_cmp_gt_i32_e32 vcc, s17, v1
	s_add_u32 s6, s6, s14
	s_addc_u32 s7, s7, s15
	v_cndmask_b32_e32 v2, v5, v2, vcc
	v_ashrrev_i32_e32 v3, 31, v2
	v_lshl_add_u64 v[6:7], v[2:3], 2, s[6:7]
	v_or_b32_e32 v2, 16, v1
	v_add_u32_e32 v3, v2, v4
	v_ashrrev_i32_e32 v3, 4, v3
	v_cmp_gt_i32_e32 vcc, s17, v2
	s_load_dwordx2 s[14:15], s[0:1], 0x8
	s_nop 0
	v_cndmask_b32_e32 v2, v5, v3, vcc
	v_ashrrev_i32_e32 v3, 31, v2
	v_lshl_add_u64 v[8:9], v[2:3], 2, s[6:7]
	v_or_b32_e32 v2, 32, v1
	v_add_u32_e32 v3, v2, v4
	v_ashrrev_i32_e32 v3, 4, v3
	v_cmp_gt_i32_e32 vcc, s17, v2
	v_or_b32_e32 v1, 48, v1
	s_nop 0
	v_cndmask_b32_e32 v2, v5, v3, vcc
	v_ashrrev_i32_e32 v3, 31, v2
	v_lshl_add_u64 v[10:11], v[2:3], 2, s[6:7]
	v_add_u32_e32 v2, v1, v4
	v_ashrrev_i32_e32 v2, 4, v2
	v_cmp_gt_i32_e32 vcc, s17, v1
	s_nop 1
	v_cndmask_b32_e32 v2, v5, v2, vcc
	v_ashrrev_i32_e32 v3, 31, v2
	v_lshl_add_u64 v[12:13], v[2:3], 2, s[6:7]
	global_load_dword v5, v[6:7], off
	global_load_dword v4, v[8:9], off
	;; [unrolled: 1-line block ×4, first 2 shown]
	s_andn2_b64 vcc, exec, s[10:11]
	s_cbranch_vccnz .LBB1146_8
; %bb.6:
	s_add_u32 s8, s8, s12
	s_addc_u32 s9, s9, s13
	s_load_dword s5, s[8:9], 0x0
	s_branch .LBB1146_9
.LBB1146_7:
	s_mov_b64 s[12:13], 0
	s_branch .LBB1146_2
.LBB1146_8:
	s_mov_b32 s5, s2
.LBB1146_9:
	s_load_dwordx2 s[8:9], s[0:1], 0x10
	s_load_dwordx4 s[44:47], s[0:1], 0x48
	v_lshrrev_b32_e32 v29, 6, v0
	v_bfe_u32 v48, v0, 4, 2
	v_lshl_or_b32 v6, v29, 2, v48
	v_and_b32_e32 v28, 15, v0
	s_mul_i32 s48, s4, 3
	v_lshlrev_b32_e32 v7, 3, v28
	v_cmp_gt_u32_e32 vcc, 3, v6
	v_cmp_gt_u32_e64 s[18:19], 8, v28
	v_add_u32_e32 v1, s48, v48
	s_and_b64 s[12:13], s[18:19], vcc
	v_lshlrev_b32_e32 v26, 1, v7
	v_lshlrev_b32_e32 v49, 4, v0
	s_and_saveexec_b64 s[10:11], s[12:13]
	s_cbranch_execz .LBB1146_11
; %bb.10:
	s_load_dwordx2 s[12:13], s[0:1], 0x0
	s_waitcnt lgkmcnt(0)
	s_ashr_i32 s22, s44, 31
	s_mul_hi_u32 s23, s5, s44
	s_mul_i32 s22, s5, s22
	s_add_i32 s23, s23, s22
	s_mul_i32 s22, s5, s44
	s_lshl_b64 s[22:23], s[22:23], 1
	s_add_u32 s12, s12, s22
	v_lshlrev_b32_e32 v8, 6, v1
	s_addc_u32 s13, s13, s23
	v_ashrrev_i32_e32 v9, 31, v8
	v_lshl_add_u64 v[8:9], v[8:9], 1, s[12:13]
	v_mov_b32_e32 v27, 0
	v_lshl_add_u64 v[8:9], v[8:9], 0, v[26:27]
	global_load_dwordx4 v[8:11], v[8:9], off
	v_lshlrev_b32_e32 v12, 8, v28
	v_lshlrev_b32_e32 v6, 5, v6
	v_and_b32_e32 v7, 16, v49
	v_and_b32_e32 v12, 0xe00, v12
	v_or3_b32 v6, v12, v6, v7
	s_waitcnt vmcnt(0)
	ds_write_b128 v6, v[8:11]
.LBB1146_11:
	s_or_b64 exec, exec, s[10:11]
	s_waitcnt lgkmcnt(0)
	s_mul_i32 s10, s4, s46
	s_add_u32 s4, s14, s10
	s_addc_u32 s5, s15, 0
	v_and_b32_e32 v32, 48, v0
	v_and_b32_e32 v30, 0xf0, v49
	v_mov_b32_e32 v31, 0
	v_lshl_add_u64 v[6:7], s[4:5], 0, v[30:31]
	v_lshlrev_b32_e32 v30, 4, v32
	v_lshl_add_u64 v[6:7], v[6:7], 0, v[30:31]
	s_waitcnt vmcnt(3)
	v_mad_i64_i32 v[8:9], s[4:5], v5, s45, v[6:7]
	s_barrier
	s_waitcnt vmcnt(2)
	v_mad_i64_i32 v[4:5], s[4:5], v4, s45, v[6:7]
	global_load_dwordx4 v[22:25], v[8:9], off
	global_load_dwordx4 v[18:21], v[4:5], off
	s_waitcnt vmcnt(3)
	v_mad_i64_i32 v[8:9], s[4:5], v3, s45, v[6:7]
	s_waitcnt vmcnt(2)
	v_mad_i64_i32 v[6:7], s[4:5], v2, s45, v[6:7]
	global_load_dwordx4 v[14:17], v[8:9], off
	global_load_dwordx4 v[2:5], v[6:7], off
	v_mul_lo_u16_e32 v6, 0x56, v28
	v_mov_b32_e32 v7, 3
	v_mul_lo_u16_sdwa v6, v6, v7 dst_sel:DWORD dst_unused:UNUSED_PAD src0_sel:BYTE_1 src1_sel:DWORD
	v_sub_u16_e32 v6, v28, v6
	v_mov_b32_e32 v7, 5
	v_lshlrev_b32_sdwa v6, v7, v6 dst_sel:DWORD dst_unused:UNUSED_PAD src0_sel:DWORD src1_sel:BYTE_0
	v_lshl_add_u32 v6, v48, 9, v6
	ds_read_b128 v[10:13], v6
	ds_read_b128 v[6:9], v6 offset:16
	v_and_b32_e32 v27, 63, v0
	v_cmp_gt_u32_e32 vcc, 3, v28
	v_mov_b32_e32 v50, 0
	s_and_saveexec_b64 s[4:5], vcc
	s_cbranch_execz .LBB1146_13
; %bb.12:
	s_load_dwordx2 s[12:13], s[0:1], 0x40
	v_add_u32_e32 v34, s48, v28
	v_ashrrev_i32_e32 v35, 31, v34
	s_waitcnt lgkmcnt(0)
	v_lshl_add_u64 v[34:35], v[34:35], 2, s[12:13]
	global_load_dword v50, v[34:35], off
.LBB1146_13:
	s_or_b64 exec, exec, s[4:5]
	v_or_b32_e32 v36, s20, v32
	v_ashrrev_i32_e32 v30, 4, v36
	v_mov_b32_e32 v51, s21
	v_cmp_gt_i32_e32 vcc, s17, v36
	s_waitcnt vmcnt(3)
	v_cvt_pk_f32_fp8_sdwa v[34:35], v22 src0_sel:WORD_1
	s_mov_b32 s33, 0x7060302
	v_cndmask_b32_e32 v32, v51, v30, vcc
	v_ashrrev_i32_e32 v33, 31, v32
	v_lshl_add_u64 v[32:33], v[32:33], 2, s[6:7]
	global_load_dword v37, v[32:33], off
	v_cvt_pk_f32_fp8_e32 v[32:33], v22
	v_cvt_pk_f32_fp8_e32 v[38:39], v23
	v_cvt_pk_f32_fp8_sdwa v[22:23], v23 src0_sel:WORD_1
	s_waitcnt vmcnt(3)
	v_cvt_pk_f32_fp8_e32 v[56:57], v20
	v_cvt_pk_f32_fp8_sdwa v[58:59], v20 src0_sel:WORD_1
	v_cvt_pk_f32_fp8_e32 v[60:61], v21
	v_cvt_pk_f32_fp8_sdwa v[62:63], v21 src0_sel:WORD_1
	v_perm_b32 v20, v33, v32, s33
	v_perm_b32 v21, v35, v34, s33
	v_cvt_pk_f32_fp8_e32 v[40:41], v24
	v_cvt_pk_f32_fp8_e32 v[46:47], v18
	v_cvt_pk_f32_fp8_sdwa v[52:53], v18 src0_sel:WORD_1
	v_cvt_pk_f32_fp8_e32 v[54:55], v19
	v_cvt_pk_f32_fp8_sdwa v[18:19], v19 src0_sel:WORD_1
	v_cvt_pk_f32_fp8_sdwa v[42:43], v24 src0_sel:WORD_1
	v_perm_b32 v38, v39, v38, s33
	v_perm_b32 v39, v23, v22, s33
	v_perm_b32 v46, v47, v46, s33
	v_perm_b32 v47, v53, v52, s33
	v_perm_b32 v52, v41, v40, s33
	v_perm_b32 v41, v19, v18, s33
	s_waitcnt lgkmcnt(1)
	v_mfma_f32_16x16x16_bf16 v[18:21], v[20:21], v[10:11], 0
	s_add_u32 s4, s8, s10
	v_lshlrev_b32_e32 v30, 4, v28
	s_waitcnt vmcnt(2)
	v_cvt_pk_f32_fp8_e32 v[64:65], v14
	v_cvt_pk_f32_fp8_sdwa v[32:33], v14 src0_sel:WORD_1
	v_lshl_or_b32 v30, v29, 8, v30
	v_or_b32_e32 v14, 64, v36
	s_addc_u32 s5, s9, 0
	v_perm_b32 v53, v43, v42, s33
	v_or_b32_e32 v22, 0x80, v36
	v_or_b32_e32 v23, 0xc0, v36
	v_ashrrev_i32_e32 v36, 4, v14
	v_lshl_add_u64 v[30:31], s[4:5], 0, v[30:31]
	v_cmp_gt_i32_e32 vcc, s17, v14
	s_load_dword s4, s[0:1], 0x1c
	s_load_dwordx4 s[40:43], s[0:1], 0x80
	v_cvt_pk_f32_fp8_e32 v[44:45], v25
	v_cvt_pk_f32_fp8_sdwa v[24:25], v25 src0_sel:WORD_1
	v_ashrrev_i32_e32 v66, 4, v22
	v_cndmask_b32_e32 v42, v51, v36, vcc
	v_mfma_f32_16x16x16_bf16 v[18:21], v[38:39], v[12:13], v[18:21]
	v_cmp_gt_i32_e32 vcc, s17, v22
	v_ashrrev_i32_e32 v43, 4, v23
	v_perm_b32 v40, v55, v54, s33
	v_cndmask_b32_e32 v54, v51, v66, vcc
	v_cmp_gt_i32_e32 vcc, s17, v23
	v_ashrrev_i32_e32 v55, 31, v54
	v_perm_b32 v38, v45, v44, s33
	v_cndmask_b32_e32 v66, v51, v43, vcc
	v_ashrrev_i32_e32 v43, 31, v42
	v_ashrrev_i32_e32 v67, 31, v66
	v_lshl_add_u64 v[42:43], v[42:43], 2, s[6:7]
	v_perm_b32 v39, v25, v24, s33
	v_mfma_f32_16x16x16_bf16 v[22:25], v[46:47], v[10:11], 0
	v_lshl_add_u64 v[44:45], v[54:55], 2, s[6:7]
	v_lshl_add_u64 v[46:47], v[66:67], 2, s[6:7]
	s_load_dword s44, s[0:1], 0x98
	s_waitcnt lgkmcnt(0)
	s_load_dword s5, s[40:41], 0x0
	v_mfma_f32_16x16x16_bf16 v[18:21], v[52:53], v[6:7], v[18:21]
	global_load_dword v43, v[42:43], off
	s_nop 0
	global_load_dword v51, v[44:45], off
	global_load_dword v52, v[46:47], off
	v_perm_b32 v56, v57, v56, s33
	v_perm_b32 v57, v59, v58, s33
	v_mfma_f32_16x16x16_bf16 v[22:25], v[40:41], v[12:13], v[22:25]
	v_perm_b32 v40, v61, v60, s33
	v_perm_b32 v41, v63, v62, s33
	v_mov_b32_e32 v14, s4
	v_cvt_pk_f32_fp8_e32 v[34:35], v15
	v_perm_b32 v36, v65, v64, s33
	v_mfma_f32_16x16x16_bf16 v[22:25], v[56:57], v[6:7], v[22:25]
	s_waitcnt lgkmcnt(0)
	v_mul_f32_e32 v42, s5, v14
	v_cvt_pk_f32_fp8_sdwa v[14:15], v15 src0_sel:WORD_1
	v_cvt_pk_f32_fp8_e32 v[44:45], v16
	v_mfma_f32_16x16x16_bf16 v[18:21], v[38:39], v[8:9], v[18:21]
	v_cvt_pk_f32_fp8_sdwa v[46:47], v16 src0_sel:WORD_1
	s_mov_b32 s46, 0xff7fffff
	s_waitcnt vmcnt(3)
	v_mad_i64_i32 v[38:39], s[4:5], v37, s45, v[30:31]
	v_perm_b32 v37, v33, v32, s33
	v_mfma_f32_16x16x16_bf16 v[22:25], v[40:41], v[8:9], v[22:25]
	v_perm_b32 v40, v35, v34, s33
	v_perm_b32 v41, v15, v14, s33
	v_mfma_f32_16x16x16_bf16 v[32:35], v[36:37], v[10:11], 0
	v_perm_b32 v36, v45, v44, s33
	v_perm_b32 v37, v47, v46, s33
	v_cvt_pk_f32_fp8_e32 v[44:45], v17
	v_cvt_pk_f32_fp8_sdwa v[46:47], v17 src0_sel:WORD_1
	v_mfma_f32_16x16x16_bf16 v[14:17], v[40:41], v[12:13], v[32:35]
	s_waitcnt vmcnt(2)
	v_pk_mul_f32 v[40:41], v[42:43], v[18:19] op_sel_hi:[0,1]
	s_nop 0
	v_pk_mul_f32 v[32:33], v[42:43], v[20:21] op_sel_hi:[0,1]
	v_perm_b32 v20, v45, v44, s33
	v_perm_b32 v21, v47, v46, s33
	v_mfma_f32_16x16x16_bf16 v[14:17], v[36:37], v[6:7], v[14:17]
	v_cvt_pk_f32_fp8_e32 v[18:19], v2
	v_cvt_pk_f32_fp8_sdwa v[34:35], v2 src0_sel:WORD_1
	v_cvt_pk_f32_fp8_e32 v[36:37], v4
	v_mfma_f32_16x16x16_bf16 v[14:17], v[20:21], v[8:9], v[14:17]
	v_cvt_pk_f32_fp8_e32 v[20:21], v3
	v_perm_b32 v18, v19, v18, s33
	v_perm_b32 v19, v35, v34, s33
	v_cvt_pk_f32_fp8_sdwa v[2:3], v3 src0_sel:WORD_1
	v_perm_b32 v34, v21, v20, s33
	v_cvt_pk_f32_fp8_sdwa v[44:45], v4 src0_sel:WORD_1
	v_mfma_f32_16x16x16_bf16 v[18:21], v[18:19], v[10:11], 0
	v_perm_b32 v35, v3, v2, s33
	v_perm_b32 v10, v37, v36, s33
	;; [unrolled: 1-line block ×3, first 2 shown]
	v_cvt_pk_f32_fp8_e32 v[36:37], v5
	v_cvt_pk_f32_fp8_sdwa v[44:45], v5 src0_sel:WORD_1
	v_mfma_f32_16x16x16_bf16 v[2:5], v[34:35], v[12:13], v[18:21]
	v_pk_mul_f32 v[34:35], v[42:43], v[24:25] op_sel_hi:[0,1]
	v_perm_b32 v12, v37, v36, s33
	v_perm_b32 v13, v45, v44, s33
	v_mfma_f32_16x16x16_bf16 v[2:5], v[10:11], v[6:7], v[2:5]
	v_pk_mul_f32 v[36:37], v[42:43], v[22:23] op_sel_hi:[0,1]
	v_pk_mul_f32 v[22:23], v[42:43], v[16:17] op_sel_hi:[0,1]
	;; [unrolled: 1-line block ×3, first 2 shown]
	v_mfma_f32_16x16x16_bf16 v[2:5], v[12:13], v[8:9], v[2:5]
	s_nop 6
	v_pk_mul_f32 v[20:21], v[42:43], v[2:3] op_sel_hi:[0,1]
	v_and_b32_e32 v2, 0xc0, v0
	v_add_u32_e32 v2, s20, v2
	v_lshl_or_b32 v2, v48, 2, v2
	v_or_b32_e32 v3, 1, v2
	v_pk_mul_f32 v[18:19], v[42:43], v[4:5] op_sel_hi:[0,1]
	v_subrev_u32_e32 v4, s17, v3
	v_add_u32_e32 v6, 1, v4
	v_add_u32_e32 v7, 2, v4
	;; [unrolled: 1-line block ×3, first 2 shown]
	v_cvt_f32_i32_e32 v6, v6
	v_cvt_f32_i32_e32 v7, v7
	;; [unrolled: 1-line block ×3, first 2 shown]
	v_add_u32_e32 v9, 19, v4
	v_fmac_f32_e32 v41, v50, v6
	v_fma_f32 v32, v50, v7, v32
	v_fmac_f32_e32 v33, v50, v8
	v_add_u32_e32 v6, 16, v4
	v_add_u32_e32 v7, 17, v4
	;; [unrolled: 1-line block ×3, first 2 shown]
	v_cvt_f32_i32_e32 v6, v6
	v_cvt_f32_i32_e32 v7, v7
	;; [unrolled: 1-line block ×4, first 2 shown]
	v_fma_f32 v36, v50, v6, v36
	v_fmac_f32_e32 v37, v50, v7
	v_fma_f32 v42, v50, v8, v34
	v_add_u32_e32 v6, 32, v4
	v_add_u32_e32 v7, 33, v4
	;; [unrolled: 1-line block ×3, first 2 shown]
	v_cvt_f32_i32_e32 v6, v6
	v_cvt_f32_i32_e32 v7, v7
	;; [unrolled: 1-line block ×4, first 2 shown]
	v_fmac_f32_e32 v35, v50, v9
	v_add_u32_e32 v9, 35, v4
	v_fma_f32 v24, v50, v6, v24
	v_fmac_f32_e32 v25, v50, v7
	v_fma_f32 v22, v50, v8, v22
	v_add_u32_e32 v6, 48, v4
	v_add_u32_e32 v7, 49, v4
	;; [unrolled: 1-line block ×4, first 2 shown]
	v_cvt_f32_i32_e32 v4, v4
	v_cvt_f32_i32_e32 v6, v6
	;; [unrolled: 1-line block ×3, first 2 shown]
	v_fma_f32 v5, v50, v5, v40
	v_fmac_f32_e32 v19, v50, v4
	v_mov_b32_e32 v4, 0xff7fffff
	v_cmp_gt_i32_e64 s[4:5], s17, v2
	v_cmp_gt_i32_e64 s[20:21], s17, v3
	v_fma_f32 v20, v50, v6, v20
	v_cndmask_b32_e64 v6, v4, v5, s[4:5]
	v_cndmask_b32_e64 v3, v4, v41, s[20:21]
	v_fmac_f32_e32 v21, v50, v7
	v_max3_f32 v3, v6, s46, v3
	v_or_b32_e32 v6, 2, v2
	v_or_b32_e32 v7, 3, v2
	v_cmp_gt_i32_e64 s[22:23], s17, v6
	v_cmp_gt_i32_e64 s[24:25], s17, v7
	v_cvt_f32_i32_e32 v9, v9
	v_cndmask_b32_e64 v6, v4, v32, s[22:23]
	v_cndmask_b32_e64 v7, v4, v33, s[24:25]
	v_max3_f32 v3, v3, v6, v7
	v_or_b32_e32 v6, 16, v2
	v_or_b32_e32 v7, 17, v2
	v_cmp_gt_i32_e64 s[26:27], s17, v6
	v_cmp_gt_i32_e64 s[28:29], s17, v7
	v_fmac_f32_e32 v23, v50, v9
	v_cndmask_b32_e64 v6, v4, v36, s[26:27]
	v_cndmask_b32_e64 v7, v4, v37, s[28:29]
	v_max3_f32 v3, v3, v6, v7
	v_or_b32_e32 v6, 18, v2
	v_or_b32_e32 v7, 19, v2
	v_cmp_gt_i32_e64 s[30:31], s17, v6
	v_cmp_gt_i32_e64 s[34:35], s17, v7
	v_cvt_f32_i32_e32 v8, v8
	v_cndmask_b32_e64 v6, v4, v42, s[30:31]
	v_cndmask_b32_e64 v7, v4, v35, s[34:35]
	v_max3_f32 v3, v3, v6, v7
	v_or_b32_e32 v6, 32, v2
	v_or_b32_e32 v7, 33, v2
	v_cmp_gt_i32_e64 s[36:37], s17, v6
	v_cmp_gt_i32_e64 s[38:39], s17, v7
	v_fma_f32 v18, v50, v8, v18
	v_cndmask_b32_e64 v6, v4, v24, s[36:37]
	v_cndmask_b32_e64 v7, v4, v25, s[38:39]
	v_max3_f32 v3, v3, v6, v7
	v_or_b32_e32 v6, 34, v2
	v_or_b32_e32 v7, 35, v2
	v_cmp_gt_i32_e64 s[12:13], s17, v6
	v_cmp_gt_i32_e64 s[14:15], s17, v7
	s_nop 0
	v_cndmask_b32_e64 v6, v4, v22, s[12:13]
	v_cndmask_b32_e64 v7, v4, v23, s[14:15]
	v_max3_f32 v3, v3, v6, v7
	v_or_b32_e32 v6, 48, v2
	v_or_b32_e32 v7, 49, v2
	v_cmp_gt_i32_e64 s[8:9], s17, v6
	v_cmp_gt_i32_e64 s[10:11], s17, v7
	s_nop 0
	v_cndmask_b32_e64 v6, v4, v20, s[8:9]
	v_cndmask_b32_e64 v7, v4, v21, s[10:11]
	v_max3_f32 v3, v3, v6, v7
	v_or_b32_e32 v6, 50, v2
	v_or_b32_e32 v2, 51, v2
	v_cmp_gt_i32_e32 vcc, s17, v6
	v_cmp_gt_i32_e64 s[6:7], s17, v2
	s_nop 0
	v_cndmask_b32_e32 v6, v4, v18, vcc
	v_cndmask_b32_e64 v2, v4, v19, s[6:7]
	v_max3_f32 v4, v3, v6, v2
	v_mbcnt_lo_u32_b32 v2, -1, 0
	v_mbcnt_hi_u32_b32 v6, -1, v2
	v_and_b32_e32 v2, 64, v6
	v_add_u32_e32 v7, 64, v2
	v_xor_b32_e32 v2, 32, v6
	v_cmp_lt_i32_e64 s[40:41], v2, v7
	s_nop 1
	v_cndmask_b32_e64 v2, v6, v2, s[40:41]
	v_lshlrev_b32_e32 v44, 2, v2
	ds_bpermute_b32 v8, v44, v4
	v_mad_i64_i32 v[2:3], s[40:41], v43, s45, v[30:31]
	global_load_dwordx4 v[14:17], v[38:39], off
	global_load_dwordx4 v[10:13], v[2:3], off
	v_xor_b32_e32 v3, 16, v6
	v_cmp_lt_i32_e64 s[40:41], v3, v7
	s_waitcnt lgkmcnt(0)
	v_max_f32_e32 v2, v8, v8
	v_max_f32_e32 v2, v4, v2
	v_cndmask_b32_e64 v3, v6, v3, s[40:41]
	v_lshlrev_b32_e32 v43, 2, v3
	ds_bpermute_b32 v3, v43, v2
	s_waitcnt vmcnt(3)
	v_mad_i64_i32 v[38:39], s[40:41], v51, s45, v[30:31]
	s_waitcnt vmcnt(2)
	v_mad_i64_i32 v[30:31], s[40:41], v52, s45, v[30:31]
	s_waitcnt lgkmcnt(0)
	v_max_f32_e32 v3, v3, v3
	v_max_f32_e32 v34, v2, v3
	v_sub_f32_e32 v2, v5, v34
	v_mul_f32_e32 v2, 0x3fb8aa3b, v2
	v_exp_f32_e32 v40, v2
	v_sub_f32_e32 v2, v41, v34
	v_mul_f32_e32 v2, 0x3fb8aa3b, v2
	v_exp_f32_e32 v41, v2
	global_load_dwordx4 v[6:9], v[38:39], off
	global_load_dwordx4 v[2:5], v[30:31], off
	v_sub_f32_e32 v31, v32, v34
	v_sub_f32_e32 v32, v33, v34
	v_mul_f32_e32 v31, 0x3fb8aa3b, v31
	v_mul_f32_e32 v32, 0x3fb8aa3b, v32
	v_exp_f32_e32 v31, v31
	v_exp_f32_e32 v32, v32
	v_cndmask_b32_e64 v38, 0, v40, s[4:5]
	v_cndmask_b32_e64 v39, 0, v41, s[20:21]
	;; [unrolled: 1-line block ×4, first 2 shown]
	v_sub_f32_e32 v31, v36, v34
	v_sub_f32_e32 v32, v37, v34
	v_mul_f32_e32 v31, 0x3fb8aa3b, v31
	v_mul_f32_e32 v32, 0x3fb8aa3b, v32
	v_exp_f32_e32 v31, v31
	v_exp_f32_e32 v32, v32
	v_add_f32_e32 v30, 0, v38
	v_add_f32_e32 v30, v30, v39
	;; [unrolled: 1-line block ×4, first 2 shown]
	v_cndmask_b32_e64 v30, 0, v31, s[26:27]
	v_cndmask_b32_e64 v31, 0, v32, s[28:29]
	v_sub_f32_e32 v32, v42, v34
	v_mul_f32_e32 v32, 0x3fb8aa3b, v32
	v_sub_f32_e32 v35, v35, v34
	v_exp_f32_e32 v32, v32
	v_mul_f32_e32 v35, 0x3fb8aa3b, v35
	v_sub_f32_e32 v24, v24, v34
	v_exp_f32_e32 v35, v35
	v_mul_f32_e32 v24, 0x3fb8aa3b, v24
	v_sub_f32_e32 v25, v25, v34
	v_exp_f32_e32 v24, v24
	v_mul_f32_e32 v25, 0x3fb8aa3b, v25
	v_sub_f32_e32 v22, v22, v34
	v_add_f32_e32 v33, v33, v30
	v_exp_f32_e32 v25, v25
	v_mul_f32_e32 v22, 0x3fb8aa3b, v22
	v_sub_f32_e32 v23, v23, v34
	v_add_f32_e32 v33, v33, v31
	v_cndmask_b32_e64 v32, 0, v32, s[30:31]
	v_exp_f32_e32 v22, v22
	v_mul_f32_e32 v23, 0x3fb8aa3b, v23
	v_sub_f32_e32 v20, v20, v34
	v_add_f32_e32 v36, v33, v32
	v_cndmask_b32_e64 v33, 0, v35, s[34:35]
	;; [unrolled: 5-line block ×5, first 2 shown]
	v_exp_f32_e32 v18, v18
	v_mul_f32_e32 v19, 0x3fb8aa3b, v19
	v_add_f32_e32 v35, v35, v22
	v_cndmask_b32_e64 v23, 0, v23, s[14:15]
	v_exp_f32_e32 v19, v19
	v_add_f32_e32 v35, v35, v23
	v_cndmask_b32_e64 v20, 0, v20, s[8:9]
	v_add_f32_e32 v35, v35, v20
	v_cndmask_b32_e64 v21, 0, v21, s[10:11]
	v_add_f32_e32 v35, v35, v21
	v_cndmask_b32_e32 v18, 0, v18, vcc
	v_add_f32_e32 v35, v35, v18
	v_cndmask_b32_e64 v19, 0, v19, s[6:7]
	v_add_f32_e32 v35, v35, v19
	ds_bpermute_b32 v36, v44, v35
	v_cmp_gt_u32_e32 vcc, 16, v27
	s_waitcnt lgkmcnt(0)
	s_barrier
	v_add_f32_e32 v36, v35, v36
	ds_bpermute_b32 v37, v43, v36
	v_lshlrev_b32_e32 v35, 2, v28
	s_and_saveexec_b64 s[4:5], vcc
	s_cbranch_execz .LBB1146_15
; %bb.14:
	s_waitcnt lgkmcnt(0)
	v_add_f32_e32 v27, v36, v37
	v_lshl_or_b32 v36, v29, 6, v35
	ds_write2st64_b32 v36, v34, v27 offset1:1
.LBB1146_15:
	s_or_b64 exec, exec, s[4:5]
	s_load_dword s6, s[0:1], 0x94
	s_waitcnt lgkmcnt(0)
	s_barrier
	ds_read2_b32 v[36:37], v35 offset1:16
	ds_read2_b32 v[42:43], v35 offset0:32 offset1:48
	ds_read2_b32 v[44:45], v35 offset0:64 offset1:80
	s_movk_i32 s8, 0x7fff
	s_mul_i32 s7, s44, 3
	s_waitcnt lgkmcnt(2)
	v_max3_f32 v27, v36, s46, v37
	s_waitcnt lgkmcnt(1)
	v_max3_f32 v27, v27, v42, v43
	v_sub_f32_e32 v34, v36, v27
	v_sub_f32_e32 v36, v37, v27
	v_mul_f32_e32 v36, 0x3fb8aa3b, v36
	v_mul_f32_e32 v34, 0x3fb8aa3b, v34
	v_exp_f32_e32 v46, v36
	v_sub_f32_e32 v36, v42, v27
	v_exp_f32_e32 v34, v34
	v_mul_f32_e32 v36, 0x3fb8aa3b, v36
	v_exp_f32_e32 v42, v36
	ds_read2_b32 v[36:37], v35 offset0:96 offset1:112
	v_sub_f32_e32 v35, v43, v27
	v_mul_f32_e32 v35, 0x3fb8aa3b, v35
	v_exp_f32_e32 v43, v35
	s_waitcnt lgkmcnt(1)
	v_fma_f32 v35, v34, v44, 0
	v_fmac_f32_e32 v35, v46, v45
	s_waitcnt lgkmcnt(0)
	v_fmac_f32_e32 v35, v42, v36
	v_fmac_f32_e32 v35, v43, v37
	v_add_f32_e32 v36, 0x358637bd, v35
	v_div_scale_f32 v37, s[4:5], v36, v36, 1.0
	v_rcp_f32_e32 v44, v37
	s_barrier
	v_fma_f32 v45, -v37, v44, 1.0
	v_fmac_f32_e32 v44, v45, v44
	v_div_scale_f32 v45, vcc, 1.0, v36, 1.0
	v_mul_f32_e32 v47, v45, v44
	v_fma_f32 v50, -v37, v47, v45
	v_fmac_f32_e32 v47, v50, v44
	v_fma_f32 v37, -v37, v47, v45
	v_div_fmas_f32 v37, v37, v44, v47
	v_cmp_eq_u32_e32 vcc, 1, v29
	v_div_fixup_f32 v36, v37, v36, 1.0
	s_nop 0
	v_cndmask_b32_e32 v34, v34, v46, vcc
	v_cmp_eq_u32_e32 vcc, 2, v29
	s_nop 1
	v_cndmask_b32_e32 v34, v34, v42, vcc
	v_cmp_eq_u32_e32 vcc, 3, v29
	v_lshlrev_b32_e32 v29, 11, v29
	s_nop 0
	v_cndmask_b32_e32 v34, v34, v43, vcc
	v_mul_f32_e32 v42, v34, v36
	v_pk_mul_f32 v[38:39], v[42:43], v[38:39] op_sel_hi:[0,1]
	v_pk_mul_f32 v[36:37], v[42:43], v[40:41] op_sel_hi:[0,1]
	v_bfe_u32 v34, v39, 16, 1
	v_bfe_u32 v40, v38, 16, 1
	v_add3_u32 v38, v38, v40, s8
	v_add3_u32 v34, v39, v34, s8
	v_perm_b32 v38, v34, v38, s33
	v_bfe_u32 v34, v37, 16, 1
	v_bfe_u32 v39, v36, 16, 1
	v_add3_u32 v36, v36, v39, s8
	v_add3_u32 v34, v37, v34, s8
	v_perm_b32 v39, v34, v36, s33
	v_lshlrev_b32_e32 v34, 3, v48
	v_lshlrev_b32_e32 v36, 5, v28
	v_pk_mul_f32 v[30:31], v[42:43], v[30:31] op_sel_hi:[0,1]
	v_or3_b32 v34, v29, v36, v34
	v_bfe_u32 v29, v31, 16, 1
	v_bfe_u32 v37, v30, 16, 1
	v_pk_mul_f32 v[32:33], v[42:43], v[32:33] op_sel_hi:[0,1]
	v_add3_u32 v30, v30, v37, s8
	v_add3_u32 v29, v31, v29, s8
	v_perm_b32 v30, v29, v30, s33
	v_bfe_u32 v29, v33, 16, 1
	v_bfe_u32 v31, v32, 16, 1
	v_add3_u32 v31, v32, v31, s8
	v_add3_u32 v29, v33, v29, s8
	v_perm_b32 v31, v29, v31, s33
	v_pk_mul_f32 v[24:25], v[42:43], v[24:25] op_sel_hi:[0,1]
	ds_write2st64_b64 v34, v[38:39], v[30:31] offset1:1
	v_bfe_u32 v29, v25, 16, 1
	v_bfe_u32 v30, v24, 16, 1
	v_pk_mul_f32 v[22:23], v[42:43], v[22:23] op_sel_hi:[0,1]
	v_add3_u32 v24, v24, v30, s8
	v_add3_u32 v25, v25, v29, s8
	v_perm_b32 v24, v25, v24, s33
	v_bfe_u32 v25, v23, 16, 1
	v_bfe_u32 v29, v22, 16, 1
	v_add3_u32 v22, v22, v29, s8
	v_add3_u32 v23, v23, v25, s8
	v_pk_mul_f32 v[20:21], v[42:43], v[20:21] op_sel_hi:[0,1]
	v_perm_b32 v25, v23, v22, s33
	v_bfe_u32 v22, v21, 16, 1
	v_bfe_u32 v23, v20, 16, 1
	v_pk_mul_f32 v[18:19], v[42:43], v[18:19] op_sel_hi:[0,1]
	v_add3_u32 v20, v20, v23, s8
	v_add3_u32 v21, v21, v22, s8
	v_perm_b32 v20, v21, v20, s33
	v_bfe_u32 v21, v19, 16, 1
	v_bfe_u32 v22, v18, 16, 1
	v_add3_u32 v18, v18, v22, s8
	v_add3_u32 v19, v19, v21, s8
	v_perm_b32 v21, v19, v18, s33
	v_cmp_gt_u32_e32 vcc, 3, v0
	ds_write2st64_b64 v34, v[24:25], v[20:21] offset0:2 offset1:3
	s_and_saveexec_b64 s[4:5], vcc
	s_cbranch_execz .LBB1146_17
; %bb.16:
	s_mov_b32 s49, 0
	v_mov_b32_e32 v29, 0
	v_lshl_add_u64 v[18:19], s[48:49], 0, v[28:29]
	v_mov_b32_e32 v20, s7
	v_mad_u64_u32 v[18:19], s[10:11], s2, v20, v[18:19]
	s_mul_i32 s3, s3, s7
	v_mov_b32_e32 v28, s16
	s_load_dwordx4 s[12:15], s[0:1], 0x58
	v_add_u32_e32 v21, s3, v19
	v_mad_u64_u32 v[18:19], s[10:11], v18, s6, v[28:29]
	v_mov_b32_e32 v20, v19
	v_mad_u64_u32 v[20:21], s[10:11], v21, s6, v[20:21]
	v_mov_b32_e32 v19, v20
	v_lshlrev_b64 v[18:19], 2, v[18:19]
	s_waitcnt lgkmcnt(0)
	v_lshl_add_u64 v[20:21], s[14:15], 0, v[18:19]
	v_lshl_add_u64 v[18:19], s[12:13], 0, v[18:19]
	global_store_dword v[20:21], v27, off
	global_store_dword v[18:19], v35, off
.LBB1146_17:
	s_or_b64 exec, exec, s[4:5]
	s_waitcnt vmcnt(3)
	v_cvt_pk_f32_fp8_e32 v[18:19], v14
	v_cvt_pk_f32_fp8_sdwa v[20:21], v14 src0_sel:WORD_1
	s_mov_b32 s4, 0x7060302
	v_lshl_or_b32 v14, v48, 9, v36
	s_waitcnt lgkmcnt(0)
	s_barrier
	v_perm_b32 v28, v19, v18, s4
	v_perm_b32 v29, v21, v20, s4
	v_cvt_pk_f32_fp8_e32 v[22:23], v15
	ds_read_b128 v[18:21], v14
	v_cvt_pk_f32_fp8_sdwa v[32:33], v15 src0_sel:WORD_1
	v_cvt_pk_f32_fp8_sdwa v[38:39], v16 src0_sel:WORD_1
	v_perm_b32 v36, v23, v22, s4
	ds_read_b128 v[22:25], v14 offset:16
	v_perm_b32 v37, v33, v32, s4
	s_waitcnt lgkmcnt(1)
	v_mfma_f32_16x16x16_bf16 v[28:31], v[28:29], v[18:19], 0
	v_cvt_pk_f32_fp8_e32 v[32:33], v16
	s_load_dword s10, s[42:43], 0x0
	v_cmp_gt_u32_e32 vcc, 64, v0
	v_mfma_f32_16x16x16_bf16 v[18:21], v[36:37], v[20:21], v[28:31]
	s_waitcnt vmcnt(2)
	v_cvt_pk_f32_fp8_sdwa v[36:37], v10 src0_sel:WORD_1
	s_mov_b32 s3, 0
	v_mov_b32_e32 v27, 0
	v_cvt_pk_f32_fp8_e32 v[28:29], v17
	v_perm_b32 v30, v33, v32, s4
	v_perm_b32 v31, v39, v38, s4
	v_cvt_pk_f32_fp8_sdwa v[16:17], v17 src0_sel:WORD_1
	v_perm_b32 v28, v29, v28, s4
	v_cvt_pk_f32_fp8_e32 v[32:33], v10
	v_perm_b32 v29, v17, v16, s4
	s_waitcnt lgkmcnt(0)
	v_mfma_f32_16x16x16_bf16 v[16:19], v[30:31], v[22:23], v[18:21]
	v_perm_b32 v32, v33, v32, s4
	v_perm_b32 v33, v37, v36, s4
	v_cvt_pk_f32_fp8_e32 v[30:31], v11
	ds_read_b128 v[20:23], v14 offset:2048
	v_cvt_pk_f32_fp8_sdwa v[10:11], v11 src0_sel:WORD_1
	v_mfma_f32_16x16x16_bf16 v[16:19], v[28:29], v[24:25], v[16:19]
	v_perm_b32 v24, v31, v30, s4
	ds_read_b128 v[28:31], v14 offset:2064
	v_perm_b32 v25, v11, v10, s4
	s_waitcnt lgkmcnt(1)
	v_mfma_f32_16x16x16_bf16 v[16:19], v[32:33], v[20:21], v[16:19]
	v_cvt_pk_f32_fp8_e32 v[10:11], v12
	v_cvt_pk_f32_fp8_sdwa v[20:21], v12 src0_sel:WORD_1
	v_perm_b32 v10, v11, v10, s4
	v_mfma_f32_16x16x16_bf16 v[16:19], v[24:25], v[22:23], v[16:19]
	v_cvt_pk_f32_fp8_e32 v[22:23], v13
	v_perm_b32 v11, v21, v20, s4
	v_cvt_pk_f32_fp8_sdwa v[12:13], v13 src0_sel:WORD_1
	s_waitcnt vmcnt(1)
	v_cvt_pk_f32_fp8_sdwa v[24:25], v6 src0_sel:WORD_1
	v_perm_b32 v20, v23, v22, s4
	v_cvt_pk_f32_fp8_e32 v[22:23], v6
	v_perm_b32 v21, v13, v12, s4
	s_waitcnt lgkmcnt(0)
	v_mfma_f32_16x16x16_bf16 v[10:13], v[10:11], v[28:29], v[16:19]
	v_perm_b32 v29, v25, v24, s4
	v_perm_b32 v28, v23, v22, s4
	v_cvt_pk_f32_fp8_e32 v[22:23], v7
	ds_read_b128 v[16:19], v14 offset:4096
	v_cvt_pk_f32_fp8_sdwa v[6:7], v7 src0_sel:WORD_1
	v_mfma_f32_16x16x16_bf16 v[10:13], v[20:21], v[30:31], v[10:13]
	v_perm_b32 v24, v23, v22, s4
	ds_read_b128 v[20:23], v14 offset:4112
	v_perm_b32 v25, v7, v6, s4
	s_waitcnt lgkmcnt(1)
	v_mfma_f32_16x16x16_bf16 v[10:13], v[28:29], v[16:17], v[10:13]
	v_cvt_pk_f32_fp8_e32 v[6:7], v8
	v_cvt_pk_f32_fp8_sdwa v[16:17], v8 src0_sel:WORD_1
	v_perm_b32 v6, v7, v6, s4
	v_mfma_f32_16x16x16_bf16 v[10:13], v[24:25], v[18:19], v[10:13]
	v_cvt_pk_f32_fp8_e32 v[18:19], v9
	v_perm_b32 v7, v17, v16, s4
	v_cvt_pk_f32_fp8_sdwa v[8:9], v9 src0_sel:WORD_1
	s_waitcnt vmcnt(0)
	v_cvt_pk_f32_fp8_sdwa v[24:25], v2 src0_sel:WORD_1
	v_perm_b32 v16, v19, v18, s4
	v_cvt_pk_f32_fp8_e32 v[18:19], v2
	v_perm_b32 v17, v9, v8, s4
	s_waitcnt lgkmcnt(0)
	v_mfma_f32_16x16x16_bf16 v[6:9], v[6:7], v[20:21], v[10:13]
	v_cvt_pk_f32_fp8_e32 v[20:21], v3
	v_perm_b32 v18, v19, v18, s4
	v_perm_b32 v19, v25, v24, s4
	ds_read_b128 v[10:13], v14 offset:6144
	v_cvt_pk_f32_fp8_sdwa v[2:3], v3 src0_sel:WORD_1
	v_mfma_f32_16x16x16_bf16 v[6:9], v[16:17], v[22:23], v[6:9]
	v_perm_b32 v20, v21, v20, s4
	ds_read_b128 v[14:17], v14 offset:6160
	v_perm_b32 v21, v3, v2, s4
	s_waitcnt lgkmcnt(1)
	v_mfma_f32_16x16x16_bf16 v[6:9], v[18:19], v[10:11], v[6:9]
	v_cvt_pk_f32_fp8_e32 v[2:3], v4
	v_cvt_pk_f32_fp8_sdwa v[10:11], v4 src0_sel:WORD_1
	s_waitcnt lgkmcnt(0)
	v_mfma_f32_16x16x16_bf16 v[6:9], v[20:21], v[12:13], v[6:9]
	v_perm_b32 v2, v3, v2, s4
	v_perm_b32 v3, v11, v10, s4
	v_cvt_pk_f32_fp8_e32 v[10:11], v5
	v_cvt_pk_f32_fp8_sdwa v[4:5], v5 src0_sel:WORD_1
	s_barrier
	v_perm_b32 v10, v11, v10, s4
	v_perm_b32 v11, v5, v4, s4
	v_mfma_f32_16x16x16_bf16 v[2:5], v[2:3], v[14:15], v[6:9]
	s_nop 0
	v_mfma_f32_16x16x16_bf16 v[2:5], v[10:11], v[16:17], v[2:5]
	s_nop 6
	v_pk_mul_f32 v[2:3], v[2:3], s[10:11] op_sel_hi:[1,0]
	v_pk_mul_f32 v[4:5], v[4:5], s[10:11] op_sel_hi:[1,0]
	v_bfe_u32 v6, v3, 16, 1
	v_bfe_u32 v7, v2, 16, 1
	v_add3_u32 v2, v2, v7, s8
	v_add3_u32 v3, v3, v6, s8
	v_perm_b32 v2, v3, v2, s4
	v_bfe_u32 v3, v5, 16, 1
	v_bfe_u32 v6, v4, 16, 1
	v_add3_u32 v4, v4, v6, s8
	v_add3_u32 v3, v5, v3, s8
	v_perm_b32 v3, v3, v4, s4
	v_cmp_ne_u32_e64 s[4:5], 3, v48
	s_and_b64 s[4:5], s[4:5], vcc
	s_and_b64 s[4:5], s[4:5], s[18:19]
	ds_write_b64 v34, v[2:3]
	s_waitcnt lgkmcnt(0)
	s_barrier
	s_and_saveexec_b64 s[8:9], s[4:5]
	s_cbranch_execz .LBB1146_19
; %bb.18:
	s_load_dwordx2 s[0:1], s[0:1], 0x68
	s_mul_i32 s2, s7, s2
	s_lshl_b32 s6, s6, 6
	s_mul_hi_u32 s5, s2, s6
	s_mul_i32 s4, s2, s6
	v_lshlrev_b32_e32 v0, 10, v0
	s_lshl_b64 s[4:5], s[4:5], 1
	v_and_b32_e32 v0, 0x1800, v0
	v_lshlrev_b32_e32 v2, 5, v48
	v_and_b32_e32 v3, 16, v49
	s_waitcnt lgkmcnt(0)
	s_add_u32 s4, s0, s4
	v_or3_b32 v0, v0, v2, v3
	s_addc_u32 s5, s1, s5
	s_lshl_b32 s2, s16, 6
	ds_read_b128 v[2:5], v0
	s_lshl_b64 s[0:1], s[2:3], 1
	s_add_u32 s0, s4, s0
	s_addc_u32 s1, s5, s1
	v_mad_u64_u32 v[0:1], s[2:3], s6, v1, 0
	v_lshl_add_u64 v[0:1], v[0:1], 1, s[0:1]
	v_lshl_add_u64 v[0:1], v[0:1], 0, v[26:27]
	s_waitcnt lgkmcnt(0)
	global_store_dwordx4 v[0:1], v[2:5], off
.LBB1146_19:
	s_endpgm
	.section	.rodata,"a",@progbits
	.p2align	6, 0x0
	.amdhsa_kernel _Z39paged_attention_ll4mi_QKV_mfma16_kernelI14__hip_bfloat16hLN4vllm18Fp8KVCacheDataTypeE1ES0_Li16ELi64ELi256ELb1ELi3EEvPKT_PKT0_S8_ifPKiSA_SA_iPKfiiiPfSD_PS3_PT2_iSC_SC_
		.amdhsa_group_segment_fixed_size 8192
		.amdhsa_private_segment_fixed_size 0
		.amdhsa_kernarg_size 400
		.amdhsa_user_sgpr_count 2
		.amdhsa_user_sgpr_dispatch_ptr 0
		.amdhsa_user_sgpr_queue_ptr 0
		.amdhsa_user_sgpr_kernarg_segment_ptr 1
		.amdhsa_user_sgpr_dispatch_id 0
		.amdhsa_user_sgpr_kernarg_preload_length 0
		.amdhsa_user_sgpr_kernarg_preload_offset 0
		.amdhsa_user_sgpr_private_segment_size 0
		.amdhsa_uses_dynamic_stack 0
		.amdhsa_enable_private_segment 0
		.amdhsa_system_sgpr_workgroup_id_x 1
		.amdhsa_system_sgpr_workgroup_id_y 1
		.amdhsa_system_sgpr_workgroup_id_z 1
		.amdhsa_system_sgpr_workgroup_info 0
		.amdhsa_system_vgpr_workitem_id 0
		.amdhsa_next_free_vgpr 68
		.amdhsa_next_free_sgpr 50
		.amdhsa_accum_offset 68
		.amdhsa_reserve_vcc 1
		.amdhsa_float_round_mode_32 0
		.amdhsa_float_round_mode_16_64 0
		.amdhsa_float_denorm_mode_32 3
		.amdhsa_float_denorm_mode_16_64 3
		.amdhsa_dx10_clamp 1
		.amdhsa_ieee_mode 1
		.amdhsa_fp16_overflow 0
		.amdhsa_tg_split 0
		.amdhsa_exception_fp_ieee_invalid_op 0
		.amdhsa_exception_fp_denorm_src 0
		.amdhsa_exception_fp_ieee_div_zero 0
		.amdhsa_exception_fp_ieee_overflow 0
		.amdhsa_exception_fp_ieee_underflow 0
		.amdhsa_exception_fp_ieee_inexact 0
		.amdhsa_exception_int_div_zero 0
	.end_amdhsa_kernel
	.section	.text._Z39paged_attention_ll4mi_QKV_mfma16_kernelI14__hip_bfloat16hLN4vllm18Fp8KVCacheDataTypeE1ES0_Li16ELi64ELi256ELb1ELi3EEvPKT_PKT0_S8_ifPKiSA_SA_iPKfiiiPfSD_PS3_PT2_iSC_SC_,"axG",@progbits,_Z39paged_attention_ll4mi_QKV_mfma16_kernelI14__hip_bfloat16hLN4vllm18Fp8KVCacheDataTypeE1ES0_Li16ELi64ELi256ELb1ELi3EEvPKT_PKT0_S8_ifPKiSA_SA_iPKfiiiPfSD_PS3_PT2_iSC_SC_,comdat
.Lfunc_end1146:
	.size	_Z39paged_attention_ll4mi_QKV_mfma16_kernelI14__hip_bfloat16hLN4vllm18Fp8KVCacheDataTypeE1ES0_Li16ELi64ELi256ELb1ELi3EEvPKT_PKT0_S8_ifPKiSA_SA_iPKfiiiPfSD_PS3_PT2_iSC_SC_, .Lfunc_end1146-_Z39paged_attention_ll4mi_QKV_mfma16_kernelI14__hip_bfloat16hLN4vllm18Fp8KVCacheDataTypeE1ES0_Li16ELi64ELi256ELb1ELi3EEvPKT_PKT0_S8_ifPKiSA_SA_iPKfiiiPfSD_PS3_PT2_iSC_SC_
                                        ; -- End function
	.section	.AMDGPU.csdata,"",@progbits
; Kernel info:
; codeLenInByte = 5068
; NumSgprs: 56
; NumVgprs: 68
; NumAgprs: 0
; TotalNumVgprs: 68
; ScratchSize: 0
; MemoryBound: 0
; FloatMode: 240
; IeeeMode: 1
; LDSByteSize: 8192 bytes/workgroup (compile time only)
; SGPRBlocks: 6
; VGPRBlocks: 8
; NumSGPRsForWavesPerEU: 56
; NumVGPRsForWavesPerEU: 68
; AccumOffset: 68
; Occupancy: 7
; WaveLimiterHint : 1
; COMPUTE_PGM_RSRC2:SCRATCH_EN: 0
; COMPUTE_PGM_RSRC2:USER_SGPR: 2
; COMPUTE_PGM_RSRC2:TRAP_HANDLER: 0
; COMPUTE_PGM_RSRC2:TGID_X_EN: 1
; COMPUTE_PGM_RSRC2:TGID_Y_EN: 1
; COMPUTE_PGM_RSRC2:TGID_Z_EN: 1
; COMPUTE_PGM_RSRC2:TIDIG_COMP_CNT: 0
; COMPUTE_PGM_RSRC3_GFX90A:ACCUM_OFFSET: 16
; COMPUTE_PGM_RSRC3_GFX90A:TG_SPLIT: 0
	.section	.text._Z39paged_attention_ll4mi_QKV_mfma16_kernelI14__hip_bfloat16hLN4vllm18Fp8KVCacheDataTypeE1ES0_Li16ELi64ELi256ELb1ELi4EEvPKT_PKT0_S8_ifPKiSA_SA_iPKfiiiPfSD_PS3_PT2_iSC_SC_,"axG",@progbits,_Z39paged_attention_ll4mi_QKV_mfma16_kernelI14__hip_bfloat16hLN4vllm18Fp8KVCacheDataTypeE1ES0_Li16ELi64ELi256ELb1ELi4EEvPKT_PKT0_S8_ifPKiSA_SA_iPKfiiiPfSD_PS3_PT2_iSC_SC_,comdat
	.protected	_Z39paged_attention_ll4mi_QKV_mfma16_kernelI14__hip_bfloat16hLN4vllm18Fp8KVCacheDataTypeE1ES0_Li16ELi64ELi256ELb1ELi4EEvPKT_PKT0_S8_ifPKiSA_SA_iPKfiiiPfSD_PS3_PT2_iSC_SC_ ; -- Begin function _Z39paged_attention_ll4mi_QKV_mfma16_kernelI14__hip_bfloat16hLN4vllm18Fp8KVCacheDataTypeE1ES0_Li16ELi64ELi256ELb1ELi4EEvPKT_PKT0_S8_ifPKiSA_SA_iPKfiiiPfSD_PS3_PT2_iSC_SC_
	.globl	_Z39paged_attention_ll4mi_QKV_mfma16_kernelI14__hip_bfloat16hLN4vllm18Fp8KVCacheDataTypeE1ES0_Li16ELi64ELi256ELb1ELi4EEvPKT_PKT0_S8_ifPKiSA_SA_iPKfiiiPfSD_PS3_PT2_iSC_SC_
	.p2align	8
	.type	_Z39paged_attention_ll4mi_QKV_mfma16_kernelI14__hip_bfloat16hLN4vllm18Fp8KVCacheDataTypeE1ES0_Li16ELi64ELi256ELb1ELi4EEvPKT_PKT0_S8_ifPKiSA_SA_iPKfiiiPfSD_PS3_PT2_iSC_SC_,@function
_Z39paged_attention_ll4mi_QKV_mfma16_kernelI14__hip_bfloat16hLN4vllm18Fp8KVCacheDataTypeE1ES0_Li16ELi64ELi256ELb1ELi4EEvPKT_PKT0_S8_ifPKiSA_SA_iPKfiiiPfSD_PS3_PT2_iSC_SC_: ; @_Z39paged_attention_ll4mi_QKV_mfma16_kernelI14__hip_bfloat16hLN4vllm18Fp8KVCacheDataTypeE1ES0_Li16ELi64ELi256ELb1ELi4EEvPKT_PKT0_S8_ifPKiSA_SA_iPKfiiiPfSD_PS3_PT2_iSC_SC_
; %bb.0:
	s_load_dwordx2 s[6:7], s[0:1], 0x30
	s_mov_b32 s14, s3
	s_mov_b64 s[8:9], 0
	s_waitcnt lgkmcnt(0)
	s_cmp_lg_u64 s[6:7], 0
	s_cselect_b64 s[10:11], -1, 0
	s_and_b64 vcc, exec, s[10:11]
	s_cbranch_vccz .LBB1147_7
; %bb.1:
	s_add_i32 s12, s2, 1
	s_mov_b32 s13, 0
	s_lshl_b64 s[16:17], s[12:13], 2
	s_add_u32 s16, s6, s16
	s_mov_b32 s3, s13
	s_addc_u32 s17, s7, s17
	s_lshl_b64 s[12:13], s[2:3], 2
	s_add_u32 s12, s6, s12
	s_addc_u32 s13, s7, s13
	s_load_dword s5, s[16:17], 0x0
	s_load_dword s15, s[12:13], 0x0
	s_waitcnt lgkmcnt(0)
	s_sub_i32 s5, s5, s15
	s_cmp_eq_u32 s5, 1
	s_cselect_b64 s[12:13], -1, 0
	s_andn2_b64 vcc, exec, s[8:9]
	s_cbranch_vccnz .LBB1147_3
.LBB1147_2:
	s_mov_b32 s3, 0
	s_mov_b64 s[12:13], -1
.LBB1147_3:
	s_andn2_b64 vcc, exec, s[12:13]
	s_cbranch_vccnz .LBB1147_19
; %bb.4:
	s_load_dwordx2 s[8:9], s[0:1], 0x28
	s_lshl_b64 s[12:13], s[2:3], 2
	s_waitcnt lgkmcnt(0)
	s_add_u32 s8, s8, s12
	s_addc_u32 s9, s9, s13
	s_load_dword s33, s[8:9], 0x0
	s_lshl_b32 s18, s14, 8
	s_waitcnt lgkmcnt(0)
	s_cmp_ge_i32 s18, s33
	s_cbranch_scc1 .LBB1147_19
; %bb.5:
	s_load_dwordx2 s[8:9], s[0:1], 0x20
	s_load_dword s5, s[0:1], 0x38
	s_add_i32 s15, s33, 15
	s_ashr_i32 s16, s15, 31
	v_and_b32_e32 v1, 0xcf, v0
	s_lshr_b32 s16, s16, 28
	v_add_u32_e32 v1, s18, v1
	s_add_i32 s15, s15, s16
	v_ashrrev_i32_e32 v2, 31, v1
	s_ashr_i32 s19, s15, 4
	v_lshrrev_b32_e32 v4, 28, v2
	s_add_i32 s19, s19, -1
	s_waitcnt lgkmcnt(0)
	s_mul_i32 s16, s2, s5
	s_mov_b32 s17, 0
	v_add_u32_e32 v2, v1, v4
	s_lshl_b64 s[16:17], s[16:17], 2
	v_ashrrev_i32_e32 v2, 4, v2
	v_mov_b32_e32 v5, s19
	v_cmp_gt_i32_e32 vcc, s33, v1
	s_add_u32 s8, s8, s16
	s_addc_u32 s9, s9, s17
	v_cndmask_b32_e32 v2, v5, v2, vcc
	v_ashrrev_i32_e32 v3, 31, v2
	v_lshl_add_u64 v[6:7], v[2:3], 2, s[8:9]
	v_or_b32_e32 v2, 16, v1
	v_add_u32_e32 v3, v2, v4
	v_ashrrev_i32_e32 v3, 4, v3
	v_cmp_gt_i32_e32 vcc, s33, v2
	s_load_dwordx2 s[16:17], s[0:1], 0x8
	s_nop 0
	v_cndmask_b32_e32 v2, v5, v3, vcc
	v_ashrrev_i32_e32 v3, 31, v2
	v_lshl_add_u64 v[8:9], v[2:3], 2, s[8:9]
	v_or_b32_e32 v2, 32, v1
	v_add_u32_e32 v3, v2, v4
	v_ashrrev_i32_e32 v3, 4, v3
	v_cmp_gt_i32_e32 vcc, s33, v2
	v_or_b32_e32 v1, 48, v1
	s_nop 0
	v_cndmask_b32_e32 v2, v5, v3, vcc
	v_ashrrev_i32_e32 v3, 31, v2
	v_lshl_add_u64 v[10:11], v[2:3], 2, s[8:9]
	v_add_u32_e32 v2, v1, v4
	v_ashrrev_i32_e32 v2, 4, v2
	v_cmp_gt_i32_e32 vcc, s33, v1
	s_nop 1
	v_cndmask_b32_e32 v2, v5, v2, vcc
	v_ashrrev_i32_e32 v3, 31, v2
	v_lshl_add_u64 v[12:13], v[2:3], 2, s[8:9]
	global_load_dword v5, v[6:7], off
	global_load_dword v4, v[8:9], off
	;; [unrolled: 1-line block ×4, first 2 shown]
	s_andn2_b64 vcc, exec, s[10:11]
	s_cbranch_vccnz .LBB1147_8
; %bb.6:
	s_add_u32 s6, s6, s12
	s_addc_u32 s7, s7, s13
	s_load_dword s5, s[6:7], 0x0
	s_branch .LBB1147_9
.LBB1147_7:
	s_mov_b64 s[12:13], 0
	s_branch .LBB1147_2
.LBB1147_8:
	s_mov_b32 s5, s2
.LBB1147_9:
	s_load_dwordx2 s[10:11], s[0:1], 0x10
	s_load_dwordx4 s[44:47], s[0:1], 0x48
	v_and_b32_e32 v50, 15, v0
	v_bfe_u32 v48, v0, 4, 2
	s_lshl_b32 s15, s4, 2
	v_lshlrev_b32_e32 v6, 3, v50
	v_cmp_gt_u32_e32 vcc, 64, v0
	v_cmp_gt_u32_e64 s[6:7], 8, v50
	v_lshrrev_b32_e32 v49, 6, v0
	v_or_b32_e32 v1, s15, v48
	s_and_b64 s[48:49], vcc, s[6:7]
	v_lshlrev_b32_e32 v26, 1, v6
	v_lshlrev_b32_e32 v46, 5, v48
	;; [unrolled: 1-line block ×3, first 2 shown]
	s_and_saveexec_b64 s[6:7], s[48:49]
	s_cbranch_execz .LBB1147_11
; %bb.10:
	s_load_dwordx2 s[12:13], s[0:1], 0x0
	s_waitcnt lgkmcnt(0)
	s_ashr_i32 s20, s44, 31
	s_mul_hi_u32 s21, s5, s44
	s_mul_i32 s20, s5, s20
	s_add_i32 s21, s21, s20
	s_mul_i32 s20, s5, s44
	s_lshl_b64 s[20:21], s[20:21], 1
	s_add_u32 s12, s12, s20
	v_lshlrev_b32_e32 v6, 6, v1
	s_addc_u32 s13, s13, s21
	v_ashrrev_i32_e32 v7, 31, v6
	v_lshl_add_u64 v[6:7], v[6:7], 1, s[12:13]
	v_mov_b32_e32 v27, 0
	v_lshl_add_u64 v[6:7], v[6:7], 0, v[26:27]
	global_load_dwordx4 v[6:9], v[6:7], off
	v_lshlrev_b32_e32 v12, 8, v50
	v_lshl_or_b32 v10, v49, 7, v46
	v_and_b32_e32 v11, 16, v47
	v_and_b32_e32 v12, 0xe00, v12
	v_or3_b32 v10, v12, v10, v11
	s_waitcnt vmcnt(0)
	ds_write_b128 v10, v[6:9]
.LBB1147_11:
	s_or_b64 exec, exec, s[6:7]
	s_waitcnt lgkmcnt(0)
	s_mul_i32 s6, s4, s46
	s_add_u32 s4, s16, s6
	s_addc_u32 s5, s17, 0
	v_and_b32_e32 v30, 48, v0
	v_and_b32_e32 v28, 0xf0, v47
	v_mov_b32_e32 v29, 0
	v_lshl_add_u64 v[6:7], s[4:5], 0, v[28:29]
	v_lshlrev_b32_e32 v28, 4, v30
	v_lshl_add_u64 v[6:7], v[6:7], 0, v[28:29]
	s_waitcnt vmcnt(3)
	v_mad_i64_i32 v[8:9], s[4:5], v5, s45, v[6:7]
	s_waitcnt vmcnt(2)
	v_mad_i64_i32 v[4:5], s[4:5], v4, s45, v[6:7]
	s_barrier
	global_load_dwordx4 v[22:25], v[8:9], off
	global_load_dwordx4 v[18:21], v[4:5], off
	s_waitcnt vmcnt(3)
	v_mad_i64_i32 v[4:5], s[4:5], v3, s45, v[6:7]
	s_waitcnt vmcnt(2)
	v_mad_i64_i32 v[2:3], s[4:5], v2, s45, v[6:7]
	global_load_dwordx4 v[14:17], v[4:5], off
	global_load_dwordx4 v[6:9], v[2:3], off
	v_and_b32_e32 v2, 3, v0
	v_lshlrev_b32_e32 v2, 5, v2
	v_lshl_or_b32 v2, v48, 9, v2
	ds_read_b128 v[10:13], v2
	ds_read_b128 v[2:5], v2 offset:16
	v_and_b32_e32 v27, 63, v0
	v_cmp_gt_u32_e32 vcc, 4, v50
	v_mov_b32_e32 v51, 0
	s_and_saveexec_b64 s[4:5], vcc
	s_cbranch_execz .LBB1147_13
; %bb.12:
	s_load_dwordx2 s[12:13], s[0:1], 0x40
	v_or_b32_e32 v32, s15, v50
	v_ashrrev_i32_e32 v33, 31, v32
	s_waitcnt lgkmcnt(0)
	v_lshl_add_u64 v[32:33], v[32:33], 2, s[12:13]
	global_load_dword v51, v[32:33], off
.LBB1147_13:
	s_or_b64 exec, exec, s[4:5]
	v_or_b32_e32 v28, s18, v30
	v_ashrrev_i32_e32 v30, 4, v28
	v_mov_b32_e32 v53, s19
	v_cmp_gt_i32_e32 vcc, s33, v28
	s_waitcnt vmcnt(3)
	v_cvt_pk_f32_fp8_e32 v[36:37], v22
	v_cvt_pk_f32_fp8_sdwa v[38:39], v22 src0_sel:WORD_1
	v_cndmask_b32_e32 v30, v53, v30, vcc
	v_ashrrev_i32_e32 v31, 31, v30
	v_lshl_add_u64 v[30:31], v[30:31], 2, s[8:9]
	s_waitcnt vmcnt(2)
	v_cvt_pk_f32_fp8_e32 v[54:55], v18
	v_cvt_pk_f32_fp8_sdwa v[56:57], v18 src0_sel:WORD_1
	global_load_dword v52, v[30:31], off
	s_waitcnt vmcnt(2)
	v_cvt_pk_f32_fp8_e32 v[70:71], v14
	v_cvt_pk_f32_fp8_sdwa v[30:31], v14 src0_sel:WORD_1
	v_or_b32_e32 v14, 64, v28
	v_lshlrev_b32_e32 v72, 4, v50
	v_cvt_pk_f32_fp8_e32 v[62:63], v20
	v_cvt_pk_f32_fp8_sdwa v[64:65], v20 src0_sel:WORD_1
	v_or_b32_e32 v18, 0x80, v28
	v_ashrrev_i32_e32 v20, 4, v14
	v_cmp_gt_i32_e32 vcc, s33, v14
	s_mov_b32 s44, 0x7060302
	v_cvt_pk_f32_fp8_e32 v[58:59], v19
	v_cvt_pk_f32_fp8_sdwa v[60:61], v19 src0_sel:WORD_1
	v_cvt_pk_f32_fp8_e32 v[66:67], v21
	v_cvt_pk_f32_fp8_sdwa v[68:69], v21 src0_sel:WORD_1
	v_or_b32_e32 v19, 0xc0, v28
	v_lshl_or_b32 v28, v49, 8, v72
	v_ashrrev_i32_e32 v21, 4, v18
	v_cndmask_b32_e32 v72, v53, v20, vcc
	v_cmp_gt_i32_e32 vcc, s33, v18
	v_cvt_pk_f32_fp8_e32 v[34:35], v23
	v_cvt_pk_f32_fp8_sdwa v[22:23], v23 src0_sel:WORD_1
	v_ashrrev_i32_e32 v73, 4, v19
	v_cndmask_b32_e32 v74, v53, v21, vcc
	v_cmp_gt_i32_e32 vcc, s33, v19
	v_perm_b32 v18, v37, v36, s44
	v_perm_b32 v19, v39, v38, s44
	;; [unrolled: 1-line block ×4, first 2 shown]
	v_cvt_pk_f32_fp8_e32 v[44:45], v24
	v_cvt_pk_f32_fp8_sdwa v[40:41], v24 src0_sel:WORD_1
	v_perm_b32 v34, v35, v34, s44
	v_perm_b32 v35, v23, v22, s44
	;; [unrolled: 1-line block ×4, first 2 shown]
	v_cvt_pk_f32_fp8_e32 v[42:43], v25
	v_cvt_pk_f32_fp8_sdwa v[24:25], v25 src0_sel:WORD_1
	s_waitcnt lgkmcnt(1)
	v_mfma_f32_16x16x16_bf16 v[18:21], v[18:19], v[10:11], 0
	v_perm_b32 v44, v45, v44, s44
	v_perm_b32 v45, v41, v40, s44
	s_add_u32 s4, s10, s6
	v_mfma_f32_16x16x16_bf16 v[38:41], v[36:37], v[10:11], 0
	s_addc_u32 s5, s11, 0
	v_lshl_add_u64 v[28:29], s[4:5], 0, v[28:29]
	v_perm_b32 v54, v63, v62, s44
	v_perm_b32 v55, v65, v64, s44
	s_load_dword s4, s[0:1], 0x1c
	s_load_dwordx4 s[40:43], s[0:1], 0x80
	v_mfma_f32_16x16x16_bf16 v[18:21], v[34:35], v[12:13], v[18:21]
	v_perm_b32 v37, v25, v24, s44
	v_cndmask_b32_e32 v76, v53, v73, vcc
	v_ashrrev_i32_e32 v73, 31, v72
	v_mfma_f32_16x16x16_bf16 v[22:25], v[22:23], v[12:13], v[38:41]
	v_ashrrev_i32_e32 v75, 31, v74
	v_ashrrev_i32_e32 v77, 31, v76
	v_perm_b32 v36, v43, v42, s44
	v_lshl_add_u64 v[40:41], v[72:73], 2, s[8:9]
	s_waitcnt lgkmcnt(0)
	v_mfma_f32_16x16x16_bf16 v[18:21], v[44:45], v[2:3], v[18:21]
	v_lshl_add_u64 v[42:43], v[74:75], 2, s[8:9]
	v_lshl_add_u64 v[44:45], v[76:77], 2, s[8:9]
	s_load_dword s46, s[0:1], 0x98
	s_load_dword s5, s[40:41], 0x0
	v_mfma_f32_16x16x16_bf16 v[22:25], v[54:55], v[2:3], v[22:25]
	global_load_dword v41, v[40:41], off
	s_nop 0
	global_load_dword v53, v[42:43], off
	global_load_dword v54, v[44:45], off
	v_perm_b32 v38, v67, v66, s44
	v_perm_b32 v39, v69, v68, s44
	v_mov_b32_e32 v14, s4
	v_cvt_pk_f32_fp8_e32 v[32:33], v15
	v_perm_b32 v34, v71, v70, s44
	s_waitcnt lgkmcnt(0)
	v_mul_f32_e32 v40, s5, v14
	v_perm_b32 v35, v31, v30, s44
	v_cvt_pk_f32_fp8_sdwa v[14:15], v15 src0_sel:WORD_1
	v_mfma_f32_16x16x16_bf16 v[22:25], v[38:39], v[4:5], v[22:25]
	v_perm_b32 v38, v33, v32, s44
	v_cvt_pk_f32_fp8_e32 v[42:43], v16
	v_cvt_pk_f32_fp8_sdwa v[44:45], v16 src0_sel:WORD_1
	v_perm_b32 v39, v15, v14, s44
	v_mfma_f32_16x16x16_bf16 v[30:33], v[34:35], v[10:11], 0
	v_perm_b32 v34, v43, v42, s44
	v_perm_b32 v35, v45, v44, s44
	v_cvt_pk_f32_fp8_e32 v[42:43], v17
	v_mfma_f32_16x16x16_bf16 v[18:21], v[36:37], v[4:5], v[18:21]
	v_cvt_pk_f32_fp8_sdwa v[44:45], v17 src0_sel:WORD_1
	s_mov_b32 s40, 0xff7fffff
	s_waitcnt vmcnt(3)
	v_mad_i64_i32 v[36:37], s[4:5], v52, s45, v[28:29]
	v_mfma_f32_16x16x16_bf16 v[14:17], v[38:39], v[12:13], v[30:33]
	s_waitcnt vmcnt(2)
	s_nop 0
	v_pk_mul_f32 v[38:39], v[40:41], v[18:19] op_sel_hi:[0,1]
	v_pk_mul_f32 v[30:31], v[40:41], v[20:21] op_sel_hi:[0,1]
	v_perm_b32 v20, v43, v42, s44
	v_perm_b32 v21, v45, v44, s44
	v_mfma_f32_16x16x16_bf16 v[14:17], v[34:35], v[2:3], v[14:17]
	v_cvt_pk_f32_fp8_e32 v[18:19], v6
	v_cvt_pk_f32_fp8_sdwa v[32:33], v6 src0_sel:WORD_1
	v_cvt_pk_f32_fp8_e32 v[34:35], v8
	v_mfma_f32_16x16x16_bf16 v[14:17], v[20:21], v[4:5], v[14:17]
	v_cvt_pk_f32_fp8_e32 v[20:21], v7
	v_perm_b32 v18, v19, v18, s44
	v_perm_b32 v19, v33, v32, s44
	v_cvt_pk_f32_fp8_sdwa v[6:7], v7 src0_sel:WORD_1
	v_perm_b32 v32, v21, v20, s44
	v_cvt_pk_f32_fp8_sdwa v[42:43], v8 src0_sel:WORD_1
	v_mfma_f32_16x16x16_bf16 v[18:21], v[18:19], v[10:11], 0
	v_perm_b32 v33, v7, v6, s44
	v_perm_b32 v10, v35, v34, s44
	;; [unrolled: 1-line block ×3, first 2 shown]
	v_cvt_pk_f32_fp8_e32 v[34:35], v9
	v_cvt_pk_f32_fp8_sdwa v[42:43], v9 src0_sel:WORD_1
	v_mfma_f32_16x16x16_bf16 v[6:9], v[32:33], v[12:13], v[18:21]
	v_pk_mul_f32 v[32:33], v[40:41], v[24:25] op_sel_hi:[0,1]
	v_perm_b32 v12, v35, v34, s44
	v_perm_b32 v13, v43, v42, s44
	v_mfma_f32_16x16x16_bf16 v[6:9], v[10:11], v[2:3], v[6:9]
	v_pk_mul_f32 v[34:35], v[40:41], v[22:23] op_sel_hi:[0,1]
	v_pk_mul_f32 v[22:23], v[40:41], v[16:17] op_sel_hi:[0,1]
	;; [unrolled: 1-line block ×3, first 2 shown]
	v_mfma_f32_16x16x16_bf16 v[2:5], v[12:13], v[4:5], v[6:9]
	s_nop 6
	v_pk_mul_f32 v[20:21], v[40:41], v[2:3] op_sel_hi:[0,1]
	v_and_b32_e32 v2, 0xc0, v0
	v_add_u32_e32 v2, s18, v2
	v_lshl_or_b32 v2, v48, 2, v2
	v_or_b32_e32 v3, 1, v2
	v_pk_mul_f32 v[18:19], v[40:41], v[4:5] op_sel_hi:[0,1]
	v_subrev_u32_e32 v4, s33, v3
	v_add_u32_e32 v6, 1, v4
	v_add_u32_e32 v7, 2, v4
	;; [unrolled: 1-line block ×3, first 2 shown]
	v_cvt_f32_i32_e32 v6, v6
	v_cvt_f32_i32_e32 v7, v7
	;; [unrolled: 1-line block ×3, first 2 shown]
	v_add_u32_e32 v9, 19, v4
	v_fmac_f32_e32 v39, v51, v6
	v_fma_f32 v30, v51, v7, v30
	v_fmac_f32_e32 v31, v51, v8
	v_add_u32_e32 v6, 16, v4
	v_add_u32_e32 v7, 17, v4
	;; [unrolled: 1-line block ×3, first 2 shown]
	v_cvt_f32_i32_e32 v6, v6
	v_cvt_f32_i32_e32 v7, v7
	;; [unrolled: 1-line block ×4, first 2 shown]
	v_fma_f32 v34, v51, v6, v34
	v_fmac_f32_e32 v35, v51, v7
	v_fma_f32 v40, v51, v8, v32
	v_add_u32_e32 v6, 32, v4
	v_add_u32_e32 v7, 33, v4
	;; [unrolled: 1-line block ×3, first 2 shown]
	v_cvt_f32_i32_e32 v6, v6
	v_cvt_f32_i32_e32 v7, v7
	;; [unrolled: 1-line block ×4, first 2 shown]
	v_fmac_f32_e32 v33, v51, v9
	v_add_u32_e32 v9, 35, v4
	v_fma_f32 v24, v51, v6, v24
	v_fmac_f32_e32 v25, v51, v7
	v_fma_f32 v22, v51, v8, v22
	v_add_u32_e32 v6, 48, v4
	v_add_u32_e32 v7, 49, v4
	;; [unrolled: 1-line block ×4, first 2 shown]
	v_cvt_f32_i32_e32 v4, v4
	v_cvt_f32_i32_e32 v6, v6
	;; [unrolled: 1-line block ×3, first 2 shown]
	v_fma_f32 v5, v51, v5, v38
	v_fmac_f32_e32 v19, v51, v4
	v_mov_b32_e32 v4, 0xff7fffff
	v_cmp_gt_i32_e64 s[16:17], s33, v2
	v_cmp_gt_i32_e64 s[18:19], s33, v3
	v_fma_f32 v20, v51, v6, v20
	v_cndmask_b32_e64 v6, v4, v5, s[16:17]
	v_cndmask_b32_e64 v3, v4, v39, s[18:19]
	v_fmac_f32_e32 v21, v51, v7
	v_max3_f32 v3, v6, s40, v3
	v_or_b32_e32 v6, 2, v2
	v_or_b32_e32 v7, 3, v2
	v_cmp_gt_i32_e64 s[20:21], s33, v6
	v_cmp_gt_i32_e64 s[22:23], s33, v7
	v_cvt_f32_i32_e32 v9, v9
	v_cndmask_b32_e64 v6, v4, v30, s[20:21]
	v_cndmask_b32_e64 v7, v4, v31, s[22:23]
	v_max3_f32 v3, v3, v6, v7
	v_or_b32_e32 v6, 16, v2
	v_or_b32_e32 v7, 17, v2
	v_cmp_gt_i32_e64 s[24:25], s33, v6
	v_cmp_gt_i32_e64 s[26:27], s33, v7
	v_fmac_f32_e32 v23, v51, v9
	v_cndmask_b32_e64 v6, v4, v34, s[24:25]
	v_cndmask_b32_e64 v7, v4, v35, s[26:27]
	v_max3_f32 v3, v3, v6, v7
	v_or_b32_e32 v6, 18, v2
	v_or_b32_e32 v7, 19, v2
	v_cmp_gt_i32_e64 s[28:29], s33, v6
	v_cmp_gt_i32_e64 s[30:31], s33, v7
	v_cvt_f32_i32_e32 v8, v8
	v_cndmask_b32_e64 v6, v4, v40, s[28:29]
	v_cndmask_b32_e64 v7, v4, v33, s[30:31]
	v_max3_f32 v3, v3, v6, v7
	v_or_b32_e32 v6, 32, v2
	v_or_b32_e32 v7, 33, v2
	v_cmp_gt_i32_e64 s[34:35], s33, v6
	v_cmp_gt_i32_e64 s[36:37], s33, v7
	v_fma_f32 v18, v51, v8, v18
	v_cndmask_b32_e64 v6, v4, v24, s[34:35]
	v_cndmask_b32_e64 v7, v4, v25, s[36:37]
	v_max3_f32 v3, v3, v6, v7
	v_or_b32_e32 v6, 34, v2
	v_or_b32_e32 v7, 35, v2
	v_cmp_gt_i32_e64 s[10:11], s33, v6
	v_cmp_gt_i32_e64 s[12:13], s33, v7
	s_nop 0
	v_cndmask_b32_e64 v6, v4, v22, s[10:11]
	v_cndmask_b32_e64 v7, v4, v23, s[12:13]
	v_max3_f32 v3, v3, v6, v7
	v_or_b32_e32 v6, 48, v2
	v_or_b32_e32 v7, 49, v2
	v_cmp_gt_i32_e64 s[6:7], s33, v6
	v_cmp_gt_i32_e64 s[8:9], s33, v7
	s_nop 0
	v_cndmask_b32_e64 v6, v4, v20, s[6:7]
	v_cndmask_b32_e64 v7, v4, v21, s[8:9]
	v_max3_f32 v3, v3, v6, v7
	v_or_b32_e32 v6, 50, v2
	v_or_b32_e32 v2, 51, v2
	v_cmp_gt_i32_e32 vcc, s33, v6
	v_cmp_gt_i32_e64 s[4:5], s33, v2
	s_nop 0
	v_cndmask_b32_e32 v6, v4, v18, vcc
	v_cndmask_b32_e64 v2, v4, v19, s[4:5]
	v_max3_f32 v4, v3, v6, v2
	v_mbcnt_lo_u32_b32 v2, -1, 0
	v_mbcnt_hi_u32_b32 v6, -1, v2
	v_and_b32_e32 v2, 64, v6
	v_add_u32_e32 v7, 64, v2
	v_xor_b32_e32 v2, 32, v6
	v_cmp_lt_i32_e64 s[38:39], v2, v7
	s_nop 1
	v_cndmask_b32_e64 v2, v6, v2, s[38:39]
	v_lshlrev_b32_e32 v42, 2, v2
	ds_bpermute_b32 v8, v42, v4
	v_mad_i64_i32 v[2:3], s[38:39], v41, s45, v[28:29]
	global_load_dwordx4 v[14:17], v[36:37], off
	global_load_dwordx4 v[10:13], v[2:3], off
	v_xor_b32_e32 v3, 16, v6
	v_cmp_lt_i32_e64 s[38:39], v3, v7
	s_waitcnt lgkmcnt(0)
	v_max_f32_e32 v2, v8, v8
	v_max_f32_e32 v2, v4, v2
	v_cndmask_b32_e64 v3, v6, v3, s[38:39]
	v_lshlrev_b32_e32 v41, 2, v3
	ds_bpermute_b32 v3, v41, v2
	s_waitcnt vmcnt(3)
	v_mad_i64_i32 v[36:37], s[38:39], v53, s45, v[28:29]
	s_waitcnt vmcnt(2)
	v_mad_i64_i32 v[28:29], s[38:39], v54, s45, v[28:29]
	s_waitcnt lgkmcnt(0)
	v_max_f32_e32 v3, v3, v3
	v_max_f32_e32 v32, v2, v3
	v_sub_f32_e32 v2, v5, v32
	v_mul_f32_e32 v2, 0x3fb8aa3b, v2
	v_exp_f32_e32 v38, v2
	v_sub_f32_e32 v2, v39, v32
	v_mul_f32_e32 v2, 0x3fb8aa3b, v2
	v_exp_f32_e32 v39, v2
	global_load_dwordx4 v[6:9], v[36:37], off
	global_load_dwordx4 v[2:5], v[28:29], off
	v_sub_f32_e32 v29, v30, v32
	v_sub_f32_e32 v30, v31, v32
	v_mul_f32_e32 v29, 0x3fb8aa3b, v29
	v_mul_f32_e32 v30, 0x3fb8aa3b, v30
	v_exp_f32_e32 v29, v29
	v_exp_f32_e32 v30, v30
	v_cndmask_b32_e64 v36, 0, v38, s[16:17]
	v_cndmask_b32_e64 v37, 0, v39, s[18:19]
	;; [unrolled: 1-line block ×4, first 2 shown]
	v_sub_f32_e32 v29, v34, v32
	v_sub_f32_e32 v30, v35, v32
	v_mul_f32_e32 v29, 0x3fb8aa3b, v29
	v_mul_f32_e32 v30, 0x3fb8aa3b, v30
	v_exp_f32_e32 v29, v29
	v_exp_f32_e32 v30, v30
	v_add_f32_e32 v28, 0, v36
	v_add_f32_e32 v28, v28, v37
	v_add_f32_e32 v28, v28, v38
	v_add_f32_e32 v31, v28, v39
	v_cndmask_b32_e64 v28, 0, v29, s[24:25]
	v_cndmask_b32_e64 v29, 0, v30, s[26:27]
	v_sub_f32_e32 v30, v40, v32
	v_mul_f32_e32 v30, 0x3fb8aa3b, v30
	v_sub_f32_e32 v33, v33, v32
	v_exp_f32_e32 v30, v30
	v_mul_f32_e32 v33, 0x3fb8aa3b, v33
	v_sub_f32_e32 v24, v24, v32
	v_exp_f32_e32 v33, v33
	;; [unrolled: 3-line block ×3, first 2 shown]
	v_mul_f32_e32 v25, 0x3fb8aa3b, v25
	v_sub_f32_e32 v22, v22, v32
	v_add_f32_e32 v31, v31, v28
	v_exp_f32_e32 v25, v25
	v_mul_f32_e32 v22, 0x3fb8aa3b, v22
	v_sub_f32_e32 v23, v23, v32
	v_add_f32_e32 v31, v31, v29
	v_cndmask_b32_e64 v30, 0, v30, s[28:29]
	v_exp_f32_e32 v22, v22
	v_mul_f32_e32 v23, 0x3fb8aa3b, v23
	v_sub_f32_e32 v20, v20, v32
	v_add_f32_e32 v34, v31, v30
	v_cndmask_b32_e64 v31, 0, v33, s[30:31]
	;; [unrolled: 5-line block ×5, first 2 shown]
	v_exp_f32_e32 v18, v18
	v_mul_f32_e32 v19, 0x3fb8aa3b, v19
	v_add_f32_e32 v33, v33, v22
	v_cndmask_b32_e64 v23, 0, v23, s[12:13]
	v_exp_f32_e32 v19, v19
	v_add_f32_e32 v33, v33, v23
	v_cndmask_b32_e64 v20, 0, v20, s[6:7]
	v_add_f32_e32 v33, v33, v20
	v_cndmask_b32_e64 v21, 0, v21, s[8:9]
	v_add_f32_e32 v33, v33, v21
	v_cndmask_b32_e32 v18, 0, v18, vcc
	v_add_f32_e32 v33, v33, v18
	v_cndmask_b32_e64 v19, 0, v19, s[4:5]
	v_add_f32_e32 v33, v33, v19
	ds_bpermute_b32 v34, v42, v33
	v_cmp_gt_u32_e32 vcc, 16, v27
	s_waitcnt lgkmcnt(0)
	s_barrier
	v_add_f32_e32 v34, v33, v34
	ds_bpermute_b32 v35, v41, v34
	v_lshlrev_b32_e32 v33, 2, v50
	s_and_saveexec_b64 s[4:5], vcc
	s_cbranch_execz .LBB1147_15
; %bb.14:
	s_waitcnt lgkmcnt(0)
	v_add_f32_e32 v27, v34, v35
	v_lshl_or_b32 v34, v49, 6, v33
	ds_write2st64_b32 v34, v32, v27 offset1:1
.LBB1147_15:
	s_or_b64 exec, exec, s[4:5]
	s_load_dword s6, s[0:1], 0x94
	s_waitcnt lgkmcnt(0)
	s_barrier
	ds_read2_b32 v[34:35], v33 offset1:16
	ds_read2_b32 v[40:41], v33 offset0:32 offset1:48
	ds_read2_b32 v[42:43], v33 offset0:64 offset1:80
	s_movk_i32 s8, 0x7fff
	s_lshl_b32 s7, s46, 2
	s_waitcnt lgkmcnt(2)
	v_max3_f32 v27, v34, s40, v35
	s_waitcnt lgkmcnt(1)
	v_max3_f32 v27, v27, v40, v41
	v_sub_f32_e32 v32, v34, v27
	v_sub_f32_e32 v34, v35, v27
	v_mul_f32_e32 v34, 0x3fb8aa3b, v34
	v_mul_f32_e32 v32, 0x3fb8aa3b, v32
	v_exp_f32_e32 v44, v34
	v_sub_f32_e32 v34, v40, v27
	v_exp_f32_e32 v32, v32
	v_mul_f32_e32 v34, 0x3fb8aa3b, v34
	v_exp_f32_e32 v40, v34
	ds_read2_b32 v[34:35], v33 offset0:96 offset1:112
	v_sub_f32_e32 v33, v41, v27
	v_mul_f32_e32 v33, 0x3fb8aa3b, v33
	v_exp_f32_e32 v41, v33
	s_waitcnt lgkmcnt(1)
	v_fma_f32 v33, v32, v42, 0
	v_fmac_f32_e32 v33, v44, v43
	s_waitcnt lgkmcnt(0)
	v_fmac_f32_e32 v33, v40, v34
	v_fmac_f32_e32 v33, v41, v35
	v_add_f32_e32 v34, 0x358637bd, v33
	v_div_scale_f32 v35, s[4:5], v34, v34, 1.0
	v_rcp_f32_e32 v42, v35
	s_barrier
	v_fma_f32 v43, -v35, v42, 1.0
	v_fmac_f32_e32 v42, v43, v42
	v_div_scale_f32 v43, vcc, 1.0, v34, 1.0
	v_mul_f32_e32 v45, v43, v42
	v_fma_f32 v51, -v35, v45, v43
	v_fmac_f32_e32 v45, v51, v42
	v_fma_f32 v35, -v35, v45, v43
	v_div_fmas_f32 v35, v35, v42, v45
	v_cmp_eq_u32_e32 vcc, 1, v49
	v_div_fixup_f32 v34, v35, v34, 1.0
	s_nop 0
	v_cndmask_b32_e32 v32, v32, v44, vcc
	v_cmp_eq_u32_e32 vcc, 2, v49
	s_nop 1
	v_cndmask_b32_e32 v32, v32, v40, vcc
	v_cmp_eq_u32_e32 vcc, 3, v49
	s_nop 1
	v_cndmask_b32_e32 v32, v32, v41, vcc
	v_mul_f32_e32 v40, v32, v34
	v_pk_mul_f32 v[36:37], v[40:41], v[36:37] op_sel_hi:[0,1]
	v_pk_mul_f32 v[34:35], v[40:41], v[38:39] op_sel_hi:[0,1]
	v_bfe_u32 v32, v37, 16, 1
	v_bfe_u32 v38, v36, 16, 1
	v_add3_u32 v36, v36, v38, s8
	v_add3_u32 v32, v37, v32, s8
	v_perm_b32 v36, v32, v36, s44
	v_bfe_u32 v32, v35, 16, 1
	v_bfe_u32 v37, v34, 16, 1
	v_add3_u32 v34, v34, v37, s8
	v_add3_u32 v32, v35, v32, s8
	v_perm_b32 v37, v32, v34, s44
	v_lshlrev_b32_e32 v32, 3, v48
	v_lshlrev_b32_e32 v34, 5, v50
	;; [unrolled: 1-line block ×3, first 2 shown]
	v_pk_mul_f32 v[28:29], v[40:41], v[28:29] op_sel_hi:[0,1]
	v_or3_b32 v32, v35, v34, v32
	v_bfe_u32 v35, v29, 16, 1
	v_bfe_u32 v38, v28, 16, 1
	v_pk_mul_f32 v[30:31], v[40:41], v[30:31] op_sel_hi:[0,1]
	v_add3_u32 v28, v28, v38, s8
	v_add3_u32 v29, v29, v35, s8
	v_perm_b32 v28, v29, v28, s44
	v_bfe_u32 v29, v31, 16, 1
	v_bfe_u32 v35, v30, 16, 1
	v_add3_u32 v30, v30, v35, s8
	v_add3_u32 v29, v31, v29, s8
	v_perm_b32 v29, v29, v30, s44
	v_pk_mul_f32 v[24:25], v[40:41], v[24:25] op_sel_hi:[0,1]
	ds_write2st64_b64 v32, v[36:37], v[28:29] offset1:1
	v_bfe_u32 v28, v25, 16, 1
	v_bfe_u32 v29, v24, 16, 1
	v_pk_mul_f32 v[22:23], v[40:41], v[22:23] op_sel_hi:[0,1]
	v_add3_u32 v24, v24, v29, s8
	v_add3_u32 v25, v25, v28, s8
	v_perm_b32 v24, v25, v24, s44
	v_bfe_u32 v25, v23, 16, 1
	v_bfe_u32 v28, v22, 16, 1
	v_add3_u32 v22, v22, v28, s8
	v_add3_u32 v23, v23, v25, s8
	v_pk_mul_f32 v[20:21], v[40:41], v[20:21] op_sel_hi:[0,1]
	v_perm_b32 v25, v23, v22, s44
	v_bfe_u32 v22, v21, 16, 1
	v_bfe_u32 v23, v20, 16, 1
	v_pk_mul_f32 v[18:19], v[40:41], v[18:19] op_sel_hi:[0,1]
	v_add3_u32 v20, v20, v23, s8
	v_add3_u32 v21, v21, v22, s8
	v_perm_b32 v20, v21, v20, s44
	v_bfe_u32 v21, v19, 16, 1
	v_bfe_u32 v22, v18, 16, 1
	v_add3_u32 v18, v18, v22, s8
	v_add3_u32 v19, v19, v21, s8
	v_perm_b32 v21, v19, v18, s44
	v_cmp_gt_u32_e32 vcc, 4, v0
	ds_write2st64_b64 v32, v[24:25], v[20:21] offset0:2 offset1:3
	s_and_saveexec_b64 s[4:5], vcc
	s_cbranch_execz .LBB1147_17
; %bb.16:
	v_or_b32_e32 v18, s15, v0
	v_mov_b32_e32 v19, 0
	v_mov_b32_e32 v20, s7
	v_mad_u64_u32 v[20:21], s[10:11], s2, v20, v[18:19]
	v_mov_b32_e32 v18, s14
	s_load_dwordx4 s[16:19], s[0:1], 0x58
	s_mul_i32 s3, s3, s7
	v_mad_u64_u32 v[18:19], s[10:11], v20, s6, v[18:19]
	v_add_u32_e32 v21, s3, v21
	v_mov_b32_e32 v20, v19
	v_mad_u64_u32 v[20:21], s[10:11], v21, s6, v[20:21]
	v_mov_b32_e32 v19, v20
	v_lshlrev_b64 v[18:19], 2, v[18:19]
	s_waitcnt lgkmcnt(0)
	v_lshl_add_u64 v[20:21], s[18:19], 0, v[18:19]
	v_lshl_add_u64 v[18:19], s[16:17], 0, v[18:19]
	global_store_dword v[20:21], v27, off
	global_store_dword v[18:19], v33, off
.LBB1147_17:
	s_or_b64 exec, exec, s[4:5]
	s_waitcnt vmcnt(3)
	v_cvt_pk_f32_fp8_e32 v[18:19], v14
	v_cvt_pk_f32_fp8_sdwa v[20:21], v14 src0_sel:WORD_1
	s_mov_b32 s4, 0x7060302
	v_lshl_or_b32 v14, v48, 9, v34
	s_waitcnt lgkmcnt(0)
	s_barrier
	v_perm_b32 v28, v19, v18, s4
	v_perm_b32 v29, v21, v20, s4
	v_cvt_pk_f32_fp8_e32 v[22:23], v15
	ds_read_b128 v[18:21], v14
	v_cvt_pk_f32_fp8_sdwa v[34:35], v15 src0_sel:WORD_1
	v_cvt_pk_f32_fp8_sdwa v[38:39], v16 src0_sel:WORD_1
	v_perm_b32 v36, v23, v22, s4
	ds_read_b128 v[22:25], v14 offset:16
	v_perm_b32 v37, v35, v34, s4
	s_waitcnt lgkmcnt(1)
	v_mfma_f32_16x16x16_bf16 v[28:31], v[28:29], v[18:19], 0
	v_cvt_pk_f32_fp8_e32 v[34:35], v16
	s_load_dword s10, s[42:43], 0x0
	s_mov_b32 s3, 0
	v_mfma_f32_16x16x16_bf16 v[18:21], v[36:37], v[20:21], v[28:31]
	s_waitcnt vmcnt(2)
	v_cvt_pk_f32_fp8_sdwa v[36:37], v10 src0_sel:WORD_1
	v_mov_b32_e32 v27, 0
	v_cvt_pk_f32_fp8_e32 v[28:29], v17
	v_perm_b32 v30, v35, v34, s4
	v_perm_b32 v31, v39, v38, s4
	v_cvt_pk_f32_fp8_sdwa v[16:17], v17 src0_sel:WORD_1
	v_perm_b32 v28, v29, v28, s4
	v_cvt_pk_f32_fp8_e32 v[34:35], v10
	v_perm_b32 v29, v17, v16, s4
	s_waitcnt lgkmcnt(0)
	v_mfma_f32_16x16x16_bf16 v[16:19], v[30:31], v[22:23], v[18:21]
	v_perm_b32 v34, v35, v34, s4
	v_perm_b32 v35, v37, v36, s4
	v_cvt_pk_f32_fp8_e32 v[30:31], v11
	ds_read_b128 v[20:23], v14 offset:2048
	v_cvt_pk_f32_fp8_sdwa v[10:11], v11 src0_sel:WORD_1
	v_mfma_f32_16x16x16_bf16 v[16:19], v[28:29], v[24:25], v[16:19]
	v_perm_b32 v24, v31, v30, s4
	ds_read_b128 v[28:31], v14 offset:2064
	v_perm_b32 v25, v11, v10, s4
	s_waitcnt lgkmcnt(1)
	v_mfma_f32_16x16x16_bf16 v[16:19], v[34:35], v[20:21], v[16:19]
	v_cvt_pk_f32_fp8_e32 v[10:11], v12
	v_cvt_pk_f32_fp8_sdwa v[20:21], v12 src0_sel:WORD_1
	v_perm_b32 v10, v11, v10, s4
	v_mfma_f32_16x16x16_bf16 v[16:19], v[24:25], v[22:23], v[16:19]
	v_cvt_pk_f32_fp8_e32 v[22:23], v13
	v_perm_b32 v11, v21, v20, s4
	v_cvt_pk_f32_fp8_sdwa v[12:13], v13 src0_sel:WORD_1
	s_waitcnt vmcnt(1)
	v_cvt_pk_f32_fp8_sdwa v[24:25], v6 src0_sel:WORD_1
	v_perm_b32 v20, v23, v22, s4
	v_cvt_pk_f32_fp8_e32 v[22:23], v6
	v_perm_b32 v21, v13, v12, s4
	s_waitcnt lgkmcnt(0)
	v_mfma_f32_16x16x16_bf16 v[10:13], v[10:11], v[28:29], v[16:19]
	v_perm_b32 v29, v25, v24, s4
	v_perm_b32 v28, v23, v22, s4
	v_cvt_pk_f32_fp8_e32 v[22:23], v7
	ds_read_b128 v[16:19], v14 offset:4096
	v_cvt_pk_f32_fp8_sdwa v[6:7], v7 src0_sel:WORD_1
	v_mfma_f32_16x16x16_bf16 v[10:13], v[20:21], v[30:31], v[10:13]
	v_perm_b32 v24, v23, v22, s4
	ds_read_b128 v[20:23], v14 offset:4112
	v_perm_b32 v25, v7, v6, s4
	s_waitcnt lgkmcnt(1)
	v_mfma_f32_16x16x16_bf16 v[10:13], v[28:29], v[16:17], v[10:13]
	v_cvt_pk_f32_fp8_e32 v[6:7], v8
	v_cvt_pk_f32_fp8_sdwa v[16:17], v8 src0_sel:WORD_1
	v_perm_b32 v6, v7, v6, s4
	v_mfma_f32_16x16x16_bf16 v[10:13], v[24:25], v[18:19], v[10:13]
	v_cvt_pk_f32_fp8_e32 v[18:19], v9
	v_perm_b32 v7, v17, v16, s4
	v_cvt_pk_f32_fp8_sdwa v[8:9], v9 src0_sel:WORD_1
	s_waitcnt vmcnt(0)
	v_cvt_pk_f32_fp8_sdwa v[24:25], v2 src0_sel:WORD_1
	v_perm_b32 v16, v19, v18, s4
	v_cvt_pk_f32_fp8_e32 v[18:19], v2
	v_perm_b32 v17, v9, v8, s4
	s_waitcnt lgkmcnt(0)
	v_mfma_f32_16x16x16_bf16 v[6:9], v[6:7], v[20:21], v[10:13]
	v_cvt_pk_f32_fp8_e32 v[20:21], v3
	v_perm_b32 v18, v19, v18, s4
	v_perm_b32 v19, v25, v24, s4
	ds_read_b128 v[10:13], v14 offset:6144
	v_cvt_pk_f32_fp8_sdwa v[2:3], v3 src0_sel:WORD_1
	v_mfma_f32_16x16x16_bf16 v[6:9], v[16:17], v[22:23], v[6:9]
	v_perm_b32 v20, v21, v20, s4
	ds_read_b128 v[14:17], v14 offset:6160
	v_perm_b32 v21, v3, v2, s4
	s_waitcnt lgkmcnt(1)
	v_mfma_f32_16x16x16_bf16 v[6:9], v[18:19], v[10:11], v[6:9]
	v_cvt_pk_f32_fp8_e32 v[2:3], v4
	v_cvt_pk_f32_fp8_sdwa v[10:11], v4 src0_sel:WORD_1
	s_waitcnt lgkmcnt(0)
	v_mfma_f32_16x16x16_bf16 v[6:9], v[20:21], v[12:13], v[6:9]
	v_perm_b32 v2, v3, v2, s4
	v_perm_b32 v3, v11, v10, s4
	v_cvt_pk_f32_fp8_e32 v[10:11], v5
	v_cvt_pk_f32_fp8_sdwa v[4:5], v5 src0_sel:WORD_1
	s_barrier
	v_perm_b32 v10, v11, v10, s4
	v_perm_b32 v11, v5, v4, s4
	v_mfma_f32_16x16x16_bf16 v[2:5], v[2:3], v[14:15], v[6:9]
	s_nop 0
	v_mfma_f32_16x16x16_bf16 v[2:5], v[10:11], v[16:17], v[2:5]
	s_nop 6
	v_pk_mul_f32 v[2:3], v[2:3], s[10:11] op_sel_hi:[1,0]
	v_pk_mul_f32 v[4:5], v[4:5], s[10:11] op_sel_hi:[1,0]
	v_bfe_u32 v6, v3, 16, 1
	v_bfe_u32 v7, v2, 16, 1
	v_add3_u32 v2, v2, v7, s8
	v_add3_u32 v3, v3, v6, s8
	v_perm_b32 v2, v3, v2, s4
	v_bfe_u32 v3, v5, 16, 1
	v_bfe_u32 v6, v4, 16, 1
	v_add3_u32 v4, v4, v6, s8
	v_add3_u32 v3, v5, v3, s8
	v_perm_b32 v3, v3, v4, s4
	ds_write_b64 v32, v[2:3]
	s_waitcnt lgkmcnt(0)
	s_barrier
	s_and_saveexec_b64 s[4:5], s[48:49]
	s_cbranch_execz .LBB1147_19
; %bb.18:
	s_load_dwordx2 s[0:1], s[0:1], 0x68
	s_lshl_b32 s6, s6, 6
	s_mul_i32 s2, s7, s2
	s_mul_hi_u32 s5, s2, s6
	s_mul_i32 s4, s2, s6
	v_lshlrev_b32_e32 v0, 10, v0
	s_lshl_b64 s[4:5], s[4:5], 1
	v_and_b32_e32 v0, 0x1800, v0
	v_and_b32_e32 v2, 16, v47
	s_waitcnt lgkmcnt(0)
	s_add_u32 s4, s0, s4
	v_or3_b32 v0, v0, v46, v2
	s_addc_u32 s5, s1, s5
	s_lshl_b32 s2, s14, 6
	ds_read_b128 v[2:5], v0
	s_lshl_b64 s[0:1], s[2:3], 1
	s_add_u32 s0, s4, s0
	s_addc_u32 s1, s5, s1
	v_mad_u64_u32 v[0:1], s[2:3], s6, v1, 0
	v_lshl_add_u64 v[0:1], v[0:1], 1, s[0:1]
	v_lshl_add_u64 v[0:1], v[0:1], 0, v[26:27]
	s_waitcnt lgkmcnt(0)
	global_store_dwordx4 v[0:1], v[2:5], off
.LBB1147_19:
	s_endpgm
	.section	.rodata,"a",@progbits
	.p2align	6, 0x0
	.amdhsa_kernel _Z39paged_attention_ll4mi_QKV_mfma16_kernelI14__hip_bfloat16hLN4vllm18Fp8KVCacheDataTypeE1ES0_Li16ELi64ELi256ELb1ELi4EEvPKT_PKT0_S8_ifPKiSA_SA_iPKfiiiPfSD_PS3_PT2_iSC_SC_
		.amdhsa_group_segment_fixed_size 8192
		.amdhsa_private_segment_fixed_size 0
		.amdhsa_kernarg_size 400
		.amdhsa_user_sgpr_count 2
		.amdhsa_user_sgpr_dispatch_ptr 0
		.amdhsa_user_sgpr_queue_ptr 0
		.amdhsa_user_sgpr_kernarg_segment_ptr 1
		.amdhsa_user_sgpr_dispatch_id 0
		.amdhsa_user_sgpr_kernarg_preload_length 0
		.amdhsa_user_sgpr_kernarg_preload_offset 0
		.amdhsa_user_sgpr_private_segment_size 0
		.amdhsa_uses_dynamic_stack 0
		.amdhsa_enable_private_segment 0
		.amdhsa_system_sgpr_workgroup_id_x 1
		.amdhsa_system_sgpr_workgroup_id_y 1
		.amdhsa_system_sgpr_workgroup_id_z 1
		.amdhsa_system_sgpr_workgroup_info 0
		.amdhsa_system_vgpr_workitem_id 0
		.amdhsa_next_free_vgpr 78
		.amdhsa_next_free_sgpr 50
		.amdhsa_accum_offset 80
		.amdhsa_reserve_vcc 1
		.amdhsa_float_round_mode_32 0
		.amdhsa_float_round_mode_16_64 0
		.amdhsa_float_denorm_mode_32 3
		.amdhsa_float_denorm_mode_16_64 3
		.amdhsa_dx10_clamp 1
		.amdhsa_ieee_mode 1
		.amdhsa_fp16_overflow 0
		.amdhsa_tg_split 0
		.amdhsa_exception_fp_ieee_invalid_op 0
		.amdhsa_exception_fp_denorm_src 0
		.amdhsa_exception_fp_ieee_div_zero 0
		.amdhsa_exception_fp_ieee_overflow 0
		.amdhsa_exception_fp_ieee_underflow 0
		.amdhsa_exception_fp_ieee_inexact 0
		.amdhsa_exception_int_div_zero 0
	.end_amdhsa_kernel
	.section	.text._Z39paged_attention_ll4mi_QKV_mfma16_kernelI14__hip_bfloat16hLN4vllm18Fp8KVCacheDataTypeE1ES0_Li16ELi64ELi256ELb1ELi4EEvPKT_PKT0_S8_ifPKiSA_SA_iPKfiiiPfSD_PS3_PT2_iSC_SC_,"axG",@progbits,_Z39paged_attention_ll4mi_QKV_mfma16_kernelI14__hip_bfloat16hLN4vllm18Fp8KVCacheDataTypeE1ES0_Li16ELi64ELi256ELb1ELi4EEvPKT_PKT0_S8_ifPKiSA_SA_iPKfiiiPfSD_PS3_PT2_iSC_SC_,comdat
.Lfunc_end1147:
	.size	_Z39paged_attention_ll4mi_QKV_mfma16_kernelI14__hip_bfloat16hLN4vllm18Fp8KVCacheDataTypeE1ES0_Li16ELi64ELi256ELb1ELi4EEvPKT_PKT0_S8_ifPKiSA_SA_iPKfiiiPfSD_PS3_PT2_iSC_SC_, .Lfunc_end1147-_Z39paged_attention_ll4mi_QKV_mfma16_kernelI14__hip_bfloat16hLN4vllm18Fp8KVCacheDataTypeE1ES0_Li16ELi64ELi256ELb1ELi4EEvPKT_PKT0_S8_ifPKiSA_SA_iPKfiiiPfSD_PS3_PT2_iSC_SC_
                                        ; -- End function
	.section	.AMDGPU.csdata,"",@progbits
; Kernel info:
; codeLenInByte = 5008
; NumSgprs: 56
; NumVgprs: 78
; NumAgprs: 0
; TotalNumVgprs: 78
; ScratchSize: 0
; MemoryBound: 0
; FloatMode: 240
; IeeeMode: 1
; LDSByteSize: 8192 bytes/workgroup (compile time only)
; SGPRBlocks: 6
; VGPRBlocks: 9
; NumSGPRsForWavesPerEU: 56
; NumVGPRsForWavesPerEU: 78
; AccumOffset: 80
; Occupancy: 6
; WaveLimiterHint : 1
; COMPUTE_PGM_RSRC2:SCRATCH_EN: 0
; COMPUTE_PGM_RSRC2:USER_SGPR: 2
; COMPUTE_PGM_RSRC2:TRAP_HANDLER: 0
; COMPUTE_PGM_RSRC2:TGID_X_EN: 1
; COMPUTE_PGM_RSRC2:TGID_Y_EN: 1
; COMPUTE_PGM_RSRC2:TGID_Z_EN: 1
; COMPUTE_PGM_RSRC2:TIDIG_COMP_CNT: 0
; COMPUTE_PGM_RSRC3_GFX90A:ACCUM_OFFSET: 19
; COMPUTE_PGM_RSRC3_GFX90A:TG_SPLIT: 0
	.section	.text._Z38paged_attention_ll4mi_QKV_mfma4_kernelI14__hip_bfloat16hLN4vllm18Fp8KVCacheDataTypeE1ES0_Li16ELi64ELi256ELb0ELi1EEvPKT_PKT0_S8_ifPKiSA_SA_iPKfiiiPfSD_PS3_PT2_iSC_SC_,"axG",@progbits,_Z38paged_attention_ll4mi_QKV_mfma4_kernelI14__hip_bfloat16hLN4vllm18Fp8KVCacheDataTypeE1ES0_Li16ELi64ELi256ELb0ELi1EEvPKT_PKT0_S8_ifPKiSA_SA_iPKfiiiPfSD_PS3_PT2_iSC_SC_,comdat
	.protected	_Z38paged_attention_ll4mi_QKV_mfma4_kernelI14__hip_bfloat16hLN4vllm18Fp8KVCacheDataTypeE1ES0_Li16ELi64ELi256ELb0ELi1EEvPKT_PKT0_S8_ifPKiSA_SA_iPKfiiiPfSD_PS3_PT2_iSC_SC_ ; -- Begin function _Z38paged_attention_ll4mi_QKV_mfma4_kernelI14__hip_bfloat16hLN4vllm18Fp8KVCacheDataTypeE1ES0_Li16ELi64ELi256ELb0ELi1EEvPKT_PKT0_S8_ifPKiSA_SA_iPKfiiiPfSD_PS3_PT2_iSC_SC_
	.globl	_Z38paged_attention_ll4mi_QKV_mfma4_kernelI14__hip_bfloat16hLN4vllm18Fp8KVCacheDataTypeE1ES0_Li16ELi64ELi256ELb0ELi1EEvPKT_PKT0_S8_ifPKiSA_SA_iPKfiiiPfSD_PS3_PT2_iSC_SC_
	.p2align	8
	.type	_Z38paged_attention_ll4mi_QKV_mfma4_kernelI14__hip_bfloat16hLN4vllm18Fp8KVCacheDataTypeE1ES0_Li16ELi64ELi256ELb0ELi1EEvPKT_PKT0_S8_ifPKiSA_SA_iPKfiiiPfSD_PS3_PT2_iSC_SC_,@function
_Z38paged_attention_ll4mi_QKV_mfma4_kernelI14__hip_bfloat16hLN4vllm18Fp8KVCacheDataTypeE1ES0_Li16ELi64ELi256ELb0ELi1EEvPKT_PKT0_S8_ifPKiSA_SA_iPKfiiiPfSD_PS3_PT2_iSC_SC_: ; @_Z38paged_attention_ll4mi_QKV_mfma4_kernelI14__hip_bfloat16hLN4vllm18Fp8KVCacheDataTypeE1ES0_Li16ELi64ELi256ELb0ELi1EEvPKT_PKT0_S8_ifPKiSA_SA_iPKfiiiPfSD_PS3_PT2_iSC_SC_
; %bb.0:
	s_load_dwordx2 s[20:21], s[0:1], 0x30
	s_mov_b32 s24, s3
	s_mov_b64 s[6:7], 0
	s_waitcnt lgkmcnt(0)
	s_cmp_lg_u64 s[20:21], 0
	s_cselect_b64 s[22:23], -1, 0
	s_and_b64 vcc, exec, s[22:23]
	s_cbranch_vccz .LBB1148_10
; %bb.1:
	s_add_i32 s8, s2, 1
	s_mov_b32 s9, 0
	s_lshl_b64 s[10:11], s[8:9], 2
	s_add_u32 s10, s20, s10
	s_mov_b32 s3, s9
	s_addc_u32 s11, s21, s11
	s_lshl_b64 s[8:9], s[2:3], 2
	s_add_u32 s8, s20, s8
	s_addc_u32 s9, s21, s9
	s_load_dword s5, s[10:11], 0x0
	s_load_dword s12, s[8:9], 0x0
	s_waitcnt lgkmcnt(0)
	s_sub_i32 s5, s5, s12
	s_cmp_eq_u32 s5, 1
	s_cselect_b64 s[8:9], -1, 0
	s_andn2_b64 vcc, exec, s[6:7]
	s_cbranch_vccnz .LBB1148_3
.LBB1148_2:
	s_mov_b32 s3, 0
	s_mov_b64 s[8:9], -1
.LBB1148_3:
	s_andn2_b64 vcc, exec, s[8:9]
	s_cbranch_vccnz .LBB1148_23
; %bb.4:
	s_load_dword s5, s[0:1], 0x9c
	s_load_dwordx2 s[6:7], s[0:1], 0x28
	s_add_u32 s28, s0, 0x90
	s_addc_u32 s29, s1, 0
	s_lshl_b64 s[34:35], s[2:3], 2
	s_waitcnt lgkmcnt(0)
	s_and_b32 s5, s5, 0xffff
	s_add_u32 s6, s6, s34
	s_addc_u32 s7, s7, s35
	s_load_dword s3, s[6:7], 0x0
	s_mul_i32 s10, s24, s5
	s_waitcnt lgkmcnt(0)
	s_cmp_ge_i32 s10, s3
	s_cbranch_scc1 .LBB1148_23
; %bb.5:
	v_and_b32_e32 v2, 0xc0, v0
	v_add_u32_e32 v4, s10, v2
	v_lshrrev_b32_e32 v1, 6, v0
	v_cmp_gt_i32_e64 s[6:7], s3, v4
	v_cmp_le_i32_e32 vcc, s3, v4
                                        ; implicit-def: $sgpr25
                                        ; implicit-def: $sgpr11
	s_and_saveexec_b64 s[8:9], vcc
	s_xor_b64 s[8:9], exec, s[8:9]
	s_cbranch_execz .LBB1148_7
; %bb.6:
	v_mul_u32_u24_e32 v2, 20, v1
	v_or_b32_e32 v2, 0xa00, v2
	v_mov_b32_e32 v3, 0xa50
	v_mov_b32_e32 v4, 0xff7fffff
	v_mad_u32_u24 v3, v1, 20, v3
	ds_write2_b32 v2, v4, v4 offset1:1
	v_mov_b32_e32 v2, 0
	ds_write2_b32 v3, v2, v2 offset1:1
	v_mov_b32_e32 v3, 0xa08
	s_mov_b32 s11, 0xff7fffff
	s_mov_b32 s25, 0
	v_mad_u32_u24 v3, v1, 20, v3
	v_mov_b32_e32 v5, 0xa58
	v_mad_u32_u24 v5, v1, 20, v5
	ds_write2_b32 v3, v4, v4 offset1:1
	ds_write2_b32 v5, v2, v2 offset1:1
                                        ; implicit-def: $vgpr4
.LBB1148_7:
	s_or_saveexec_b64 s[30:31], s[8:9]
	s_load_dwordx2 s[26:27], s[0:1], 0x68
	s_load_dwordx4 s[16:19], s[0:1], 0x58
	s_load_dword s5, s[28:29], 0x4
	s_load_dwordx4 s[12:15], s[0:1], 0x80
	v_and_b32_e32 v24, 63, v0
	v_and_b32_e32 v23, 3, v0
	v_mov_b32_e32 v21, s25
	v_mov_b32_e32 v25, s11
	;; [unrolled: 1-line block ×5, first 2 shown]
                                        ; implicit-def: $vgpr6_vgpr7
                                        ; implicit-def: $vgpr2_vgpr3
                                        ; implicit-def: $vgpr14_vgpr15
                                        ; implicit-def: $vgpr10_vgpr11
	s_xor_b64 exec, exec, s[30:31]
	s_cbranch_execz .LBB1148_17
; %bb.8:
	s_load_dwordx2 s[8:9], s[0:1], 0x20
	s_load_dword s11, s[0:1], 0x38
	s_add_i32 s25, s3, 15
	s_ashr_i32 s33, s25, 31
	s_lshr_b32 s33, s33, 28
	v_add_u32_e32 v22, s10, v0
	s_add_i32 s25, s25, s33
	v_ashrrev_i32_e32 v2, 31, v22
	s_ashr_i32 s25, s25, 4
	v_lshrrev_b32_e32 v2, 28, v2
	s_add_i32 s25, s25, -1
	s_waitcnt lgkmcnt(0)
	s_mul_i32 s36, s2, s11
	s_mov_b32 s37, 0
	v_add_u32_e32 v2, v22, v2
	s_lshl_b64 s[36:37], s[36:37], 2
	v_ashrrev_i32_e32 v2, 4, v2
	v_mov_b32_e32 v3, s25
	v_cmp_gt_i32_e32 vcc, s3, v22
	s_add_u32 s8, s8, s36
	s_addc_u32 s9, s9, s37
	v_cndmask_b32_e32 v2, v3, v2, vcc
	v_ashrrev_i32_e32 v3, 31, v2
	v_lshl_add_u64 v[8:9], v[2:3], 2, s[8:9]
	v_ashrrev_i32_e32 v2, 31, v4
	v_lshrrev_b32_e32 v2, 28, v2
	v_add_u32_e32 v2, v4, v2
	v_ashrrev_i32_e32 v4, 4, v2
	v_min_i32_e32 v2, s25, v4
	v_ashrrev_i32_e32 v3, 31, v2
	v_lshl_add_u64 v[10:11], v[2:3], 2, s[8:9]
	v_add_u32_e32 v2, 1, v4
	v_min_i32_e32 v2, s25, v2
	v_ashrrev_i32_e32 v3, 31, v2
	v_lshl_add_u64 v[12:13], v[2:3], 2, s[8:9]
	v_add_u32_e32 v2, 2, v4
	;; [unrolled: 4-line block ×3, first 2 shown]
	v_min_i32_e32 v2, s25, v2
	v_ashrrev_i32_e32 v3, 31, v2
	v_lshl_add_u64 v[16:17], v[2:3], 2, s[8:9]
	global_load_dword v2, v[8:9], off
	global_load_dword v7, v[10:11], off
	;; [unrolled: 1-line block ×5, first 2 shown]
	s_load_dwordx4 s[8:11], s[0:1], 0x8
	s_andn2_b64 vcc, exec, s[22:23]
	s_cbranch_vccnz .LBB1148_11
; %bb.9:
	s_add_u32 s20, s20, s34
	s_addc_u32 s21, s21, s35
	s_load_dword s25, s[20:21], 0x0
	s_branch .LBB1148_12
.LBB1148_10:
	s_mov_b64 s[8:9], 0
	s_branch .LBB1148_2
.LBB1148_11:
	s_mov_b32 s25, s2
.LBB1148_12:
	s_load_dwordx4 s[20:23], s[0:1], 0x48
	v_cmp_eq_u32_e32 vcc, 0, v23
	s_mov_b32 s37, 0
	v_mov_b32_e32 v25, 0
	v_mov_b32_e32 v3, 0
	;; [unrolled: 1-line block ×6, first 2 shown]
	s_and_saveexec_b64 s[34:35], vcc
	s_cbranch_execz .LBB1148_14
; %bb.13:
	s_load_dwordx2 s[38:39], s[0:1], 0x0
	s_waitcnt lgkmcnt(0)
	s_ashr_i32 s23, s20, 31
	s_mul_hi_u32 s33, s25, s20
	s_mul_i32 s23, s25, s23
	s_add_i32 s41, s33, s23
	s_mul_i32 s40, s25, s20
	s_lshl_b64 s[40:41], s[40:41], 1
	s_add_u32 s20, s38, s40
	s_addc_u32 s23, s39, s41
	s_lshl_b32 s36, s4, 6
	s_lshl_b64 s[36:37], s[36:37], 1
	s_add_u32 s36, s20, s36
	s_addc_u32 s37, s23, s37
	v_lshlrev_b32_e32 v8, 2, v24
	global_load_dwordx4 v[10:13], v8, s[36:37]
	v_mov_b32_e32 v25, 1.0
.LBB1148_14:
	s_or_b64 exec, exec, s[34:35]
	s_waitcnt lgkmcnt(0)
	s_mul_i32 s20, s4, s22
	s_add_u32 s8, s20, s8
	s_addc_u32 s9, 0, s9
	v_mov_b64_e32 v[8:9], s[8:9]
	s_waitcnt vmcnt(4)
	v_mad_i64_i32 v[8:9], s[8:9], v2, s21, v[8:9]
	v_lshlrev_b32_e32 v2, 4, v0
	v_and_b32_e32 v2, 0xf0, v2
	v_lshl_add_u64 v[8:9], v[8:9], 0, v[2:3]
	global_load_dwordx4 v[26:29], v[8:9], off
	global_load_dwordx4 v[30:33], v[8:9], off offset:256
	global_load_dwordx4 v[18:21], v[8:9], off offset:512
	;; [unrolled: 1-line block ×3, first 2 shown]
	s_waitcnt vmcnt(7)
	v_mul_hi_i32 v2, v7, s21
	s_load_dword s9, s[0:1], 0x1c
	s_add_u32 s0, s10, s20
	s_waitcnt vmcnt(6)
	v_mul_hi_i32 v8, v6, s21
	s_waitcnt vmcnt(4)
	v_mul_hi_i32 v34, v4, s21
	v_ashrrev_i32_e32 v36, 31, v2
	s_addc_u32 s1, s11, 0
	v_lshlrev_b32_e32 v2, 4, v24
	v_mul_hi_i32 v9, v5, s21
	v_ashrrev_i32_e32 v37, 31, v8
	v_ashrrev_i32_e32 v39, 31, v34
	v_lshl_add_u64 v[34:35], s[0:1], 0, v[2:3]
	v_lshrrev_b32_e32 v2, 29, v36
	v_ashrrev_i32_e32 v38, 31, v9
	v_mad_i64_i32 v[8:9], s[0:1], v7, s21, v[2:3]
	v_lshrrev_b32_e32 v2, 29, v37
	v_and_b32_e32 v8, -8, v8
	v_mad_i64_i32 v[6:7], s[0:1], v6, s21, v[2:3]
	v_lshrrev_b32_e32 v2, 29, v38
	v_lshl_add_u64 v[36:37], v[34:35], 0, v[8:9]
	v_and_b32_e32 v6, -8, v6
	v_mad_i64_i32 v[8:9], s[0:1], v5, s21, v[2:3]
	v_lshrrev_b32_e32 v2, 29, v39
	v_lshl_add_u64 v[38:39], v[34:35], 0, v[6:7]
	v_and_b32_e32 v8, -8, v8
	v_mad_i64_i32 v[40:41], s[0:1], v4, s21, v[2:3]
	v_lshl_add_u64 v[42:43], v[34:35], 0, v[8:9]
	global_load_dwordx4 v[6:9], v[36:37], off
	global_load_dwordx4 v[2:5], v[38:39], off
	v_and_b32_e32 v40, -8, v40
	v_lshl_add_u64 v[34:35], v[34:35], 0, v[40:41]
	s_mov_b32 s8, 0x7060302
	s_load_dword s0, s[12:13], 0x0
	v_cmp_eq_u32_e32 vcc, 1, v23
	s_waitcnt vmcnt(5)
	v_cvt_pk_f32_fp8_e32 v[36:37], v26
	v_cvt_pk_f32_fp8_sdwa v[38:39], v26 src0_sel:WORD_1
	v_cvt_pk_f32_fp8_e32 v[40:41], v27
	v_cvt_pk_f32_fp8_sdwa v[26:27], v27 src0_sel:WORD_1
	;; [unrolled: 2-line block ×3, first 2 shown]
	v_perm_b32 v36, v37, v36, s8
	v_perm_b32 v37, v39, v38, s8
	v_cvt_pk_f32_fp8_e32 v[48:49], v29
	v_cvt_pk_f32_fp8_sdwa v[28:29], v29 src0_sel:WORD_1
	v_mfma_f32_4x4x4_16b_bf16 a[0:3], v[10:11], v[36:37], 0 cbsz:4
	v_perm_b32 v40, v41, v40, s8
	v_perm_b32 v41, v27, v26, s8
	s_waitcnt vmcnt(4)
	v_cvt_pk_f32_fp8_e32 v[50:51], v30
	v_cvt_pk_f32_fp8_sdwa v[52:53], v30 src0_sel:WORD_1
	v_mfma_f32_4x4x4_16b_bf16 a[0:3], v[12:13], v[40:41], a[0:3] cbsz:4
	v_perm_b32 v44, v45, v44, s8
	v_perm_b32 v45, v47, v46, s8
	v_cvt_pk_f32_fp8_e32 v[54:55], v31
	v_cvt_pk_f32_fp8_sdwa v[30:31], v31 src0_sel:WORD_1
	v_mfma_f32_4x4x4_16b_bf16 a[0:3], v[10:11], v[44:45], a[0:3] cbsz:4 abid:1
	v_perm_b32 v46, v49, v48, s8
	v_perm_b32 v47, v29, v28, s8
	v_cvt_pk_f32_fp8_e32 v[56:57], v32
	v_cvt_pk_f32_fp8_sdwa v[58:59], v32 src0_sel:WORD_1
	v_mfma_f32_4x4x4_16b_bf16 a[0:3], v[12:13], v[46:47], a[0:3] cbsz:4 abid:1
	;; [unrolled: 5-line block ×3, first 2 shown]
	v_perm_b32 v48, v55, v54, s8
	v_perm_b32 v49, v31, v30, s8
	s_waitcnt vmcnt(3)
	v_cvt_pk_f32_fp8_e32 v[62:63], v18
	v_cvt_pk_f32_fp8_sdwa v[64:65], v18 src0_sel:WORD_1
	v_mfma_f32_4x4x4_16b_bf16 a[0:3], v[12:13], v[48:49], a[0:3] cbsz:4 abid:2
	v_perm_b32 v30, v57, v56, s8
	v_perm_b32 v31, v59, v58, s8
	v_cvt_pk_f32_fp8_e32 v[66:67], v19
	v_cvt_pk_f32_fp8_sdwa v[18:19], v19 src0_sel:WORD_1
	v_mfma_f32_4x4x4_16b_bf16 a[0:3], v[10:11], v[30:31], a[0:3] cbsz:4 abid:3
	v_perm_b32 v36, v61, v60, s8
	v_perm_b32 v37, v33, v32, s8
	;; [unrolled: 5-line block ×4, first 2 shown]
	s_waitcnt vmcnt(2)
	v_cvt_pk_f32_fp8_e32 v[74:75], v14
	v_cvt_pk_f32_fp8_sdwa v[38:39], v14 src0_sel:WORD_1
	v_mfma_f32_4x4x4_16b_bf16 a[0:3], v[12:13], v[28:29], a[0:3] cbsz:4 abid:4
	v_perm_b32 v18, v69, v68, s8
	v_perm_b32 v19, v71, v70, s8
	v_cvt_pk_f32_fp8_e32 v[26:27], v15
	v_cvt_pk_f32_fp8_sdwa v[14:15], v15 src0_sel:WORD_1
	v_mfma_f32_4x4x4_16b_bf16 a[0:3], v[10:11], v[18:19], a[0:3] cbsz:4 abid:5
	v_perm_b32 v30, v73, v72, s8
	v_perm_b32 v31, v21, v20, s8
	;; [unrolled: 1-line block ×4, first 2 shown]
	v_mfma_f32_4x4x4_16b_bf16 a[0:3], v[12:13], v[30:31], a[0:3] cbsz:4 abid:5
	v_perm_b32 v21, v15, v14, s8
	v_cvt_pk_f32_fp8_e32 v[14:15], v16
	v_mfma_f32_4x4x4_16b_bf16 a[0:3], v[10:11], v[18:19], a[0:3] cbsz:4 abid:6
	v_cvt_pk_f32_fp8_sdwa v[18:19], v16 src0_sel:WORD_1
	v_perm_b32 v20, v27, v26, s8
	v_perm_b32 v14, v15, v14, s8
	;; [unrolled: 1-line block ×3, first 2 shown]
	v_mfma_f32_4x4x4_16b_bf16 a[0:3], v[12:13], v[20:21], a[0:3] cbsz:4 abid:6
	v_cvt_pk_f32_fp8_e32 v[20:21], v17
	v_cvt_pk_f32_fp8_sdwa v[16:17], v17 src0_sel:WORD_1
	v_mfma_f32_4x4x4_16b_bf16 a[0:3], v[10:11], v[14:15], a[0:3] cbsz:4 abid:7
	s_waitcnt lgkmcnt(0)
	v_mov_b32_e32 v10, s9
	v_perm_b32 v18, v21, v20, s8
	v_perm_b32 v19, v17, v16, s8
	s_nop 1
	v_mfma_f32_4x4x4_16b_bf16 a[0:3], v[12:13], v[18:19], a[0:3] cbsz:4 abid:7
	v_mul_f32_e32 v18, s0, v10
	s_nop 3
	v_accvgpr_read_b32 v11, a1
	v_accvgpr_read_b32 v10, a0
	v_pk_mul_f32 v[20:21], v[10:11], v[18:19] op_sel_hi:[1,0]
	global_load_dwordx4 v[14:17], v[42:43], off
	global_load_dwordx4 v[10:13], v[34:35], off
	v_accvgpr_read_b32 v27, a3
	v_accvgpr_read_b32 v26, a2
	v_pk_mul_f32 v[18:19], v[26:27], v[18:19] op_sel_hi:[1,0]
	v_mfma_f32_4x4x1_16b_f32 a[0:3], v20, v25, 0
	v_cndmask_b32_e64 v20, 0, 1.0, vcc
	v_cmp_eq_u32_e32 vcc, 2, v23
	v_mov_b32_e32 v25, 0xff7fffff
	v_mfma_f32_4x4x1_16b_f32 a[0:3], v21, v20, a[0:3]
	v_cndmask_b32_e64 v20, 0, 1.0, vcc
	v_cmp_eq_u32_e32 vcc, 3, v23
	s_nop 0
	v_mfma_f32_4x4x1_16b_f32 a[0:3], v18, v20, a[0:3]
	v_cndmask_b32_e64 v18, 0, 1.0, vcc
	s_nop 1
	v_mfma_f32_4x4x1_16b_f32 a[0:3], v19, v18, a[0:3]
	v_and_b32_e32 v18, -4, v22
	v_cmp_gt_i32_e32 vcc, s3, v18
	v_lshlrev_b32_e32 v19, 2, v0
	v_and_or_b32 v19, v19, 48, v23
	v_accvgpr_read_b32 v20, a0
	v_max_f32_e32 v21, v20, v20
	v_max_f32_e32 v21, 0xff7fffff, v21
	v_accvgpr_read_b32 v26, a1
	v_cndmask_b32_e32 v21, v25, v21, vcc
	v_or_b32_e32 v25, 1, v18
	v_max_f32_e32 v27, v26, v26
	v_max_f32_e32 v27, v21, v27
	v_cmp_gt_i32_e64 s[0:1], s3, v25
	v_or_b32_e32 v18, 2, v18
	v_cmp_gt_i32_e64 s[8:9], s3, v18
	v_cndmask_b32_e64 v21, v21, v27, s[0:1]
	v_accvgpr_read_b32 v27, a2
	v_max_f32_e32 v25, v27, v27
	v_max_f32_e32 v25, v21, v25
	v_cndmask_b32_e64 v18, v21, v25, s[8:9]
	v_or_b32_e32 v21, 3, v22
	v_accvgpr_read_b32 v22, a3
	v_max_f32_e32 v25, v22, v22
	v_max_f32_e32 v25, v18, v25
	v_cmp_gt_i32_e64 s[10:11], s3, v21
	v_lshlrev_b32_e32 v28, 2, v19
	s_nop 0
	v_cndmask_b32_e64 v18, v18, v25, s[10:11]
	;;#ASMSTART
	v_nop
 v_nop
 v_max_f32_dpp v18, v18, v18 row_ror:4
	;;#ASMEND
	s_nop 0
	;;#ASMSTART
	v_nop
 v_nop
 v_max_f32_dpp v18, v18, v18 row_ror:8
	;;#ASMEND
	ds_bpermute_b32 v18, v28, v18
	s_waitcnt lgkmcnt(0)
	;;#ASMSTART
	v_nop
 v_nop
 v_max_f32_dpp v18, v18, v18 row_ror:4
	;;#ASMEND
	s_nop 0
	;;#ASMSTART
	v_nop
 v_nop
 v_max_f32_dpp v25, v18, v18 row_ror:8
	;;#ASMEND
	s_nop 0
	v_sub_f32_e32 v18, v20, v25
	v_mul_f32_e32 v18, 0x3fb8aa3b, v18
	v_sub_f32_e32 v19, v26, v25
	v_exp_f32_e32 v18, v18
	v_mul_f32_e32 v19, 0x3fb8aa3b, v19
	v_sub_f32_e32 v21, v27, v25
	v_exp_f32_e32 v19, v19
	;; [unrolled: 3-line block ×3, first 2 shown]
	v_mul_f32_e32 v22, 0x3fb8aa3b, v22
	v_exp_f32_e32 v22, v22
	v_cndmask_b32_e32 v18, 0, v18, vcc
	v_add_f32_e32 v20, 0, v18
	v_cndmask_b32_e64 v19, 0, v19, s[0:1]
	v_add_f32_e32 v26, v20, v19
	v_cndmask_b32_e64 v20, 0, v21, s[8:9]
	;; [unrolled: 2-line block ×3, first 2 shown]
	v_add_f32_e32 v22, v26, v21
	;;#ASMSTART
	v_nop
 v_nop
 v_add_f32_dpp v22, v22, v22 row_ror:4
	;;#ASMEND
	v_cmp_gt_u32_e32 vcc, 4, v24
	;;#ASMSTART
	v_nop
 v_nop
 v_add_f32_dpp v22, v22, v22 row_ror:8
	;;#ASMEND
	ds_bpermute_b32 v22, v28, v22
	s_waitcnt lgkmcnt(0)
	;;#ASMSTART
	v_nop
 v_nop
 v_add_f32_dpp v22, v22, v22 row_ror:4
	;;#ASMEND
	s_nop 0
	;;#ASMSTART
	v_nop
 v_nop
 v_add_f32_dpp v22, v22, v22 row_ror:8
	;;#ASMEND
	s_and_saveexec_b64 s[0:1], vcc
	s_cbranch_execz .LBB1148_16
; %bb.15:
	v_mul_u32_u24_e32 v26, 20, v1
	v_lshl_add_u32 v26, v23, 2, v26
	v_add_u32_e32 v26, 0x800, v26
	ds_write2_b32 v26, v25, v22 offset0:128 offset1:148
.LBB1148_16:
	s_or_b64 exec, exec, s[0:1]
.LBB1148_17:
	s_or_b64 exec, exec, s[30:31]
	s_waitcnt lgkmcnt(0)
	s_barrier
	s_load_dword s0, s[28:29], 0x8
	v_lshlrev_b32_e32 v22, 2, v23
	v_add_u32_e32 v27, 0x800, v22
	ds_read2_b32 v[28:29], v27 offset0:128 offset1:133
	ds_read2_b32 v[30:31], v27 offset0:138 offset1:143
	s_mul_i32 s1, s5, s2
	s_waitcnt lgkmcnt(0)
	s_mul_i32 s0, s1, s0
	s_mov_b32 s1, 0xff7fffff
	v_max3_f32 v22, v28, s1, v29
	v_max3_f32 v26, v22, v30, v31
	v_sub_f32_e32 v22, v28, v26
	v_sub_f32_e32 v28, v29, v26
	v_mul_f32_e32 v28, 0x3fb8aa3b, v28
	ds_read2_b32 v[32:33], v27 offset0:148 offset1:153
	v_mul_f32_e32 v22, 0x3fb8aa3b, v22
	v_exp_f32_e32 v35, v28
	ds_read2_b32 v[28:29], v27 offset0:158 offset1:163
	v_sub_f32_e32 v27, v30, v26
	v_exp_f32_e32 v34, v22
	v_mul_f32_e32 v27, 0x3fb8aa3b, v27
	v_exp_f32_e32 v30, v27
	v_sub_f32_e32 v27, v31, v26
	v_mul_f32_e32 v27, 0x3fb8aa3b, v27
	v_exp_f32_e32 v31, v27
	s_waitcnt lgkmcnt(1)
	v_fma_f32 v27, v34, v32, 0
	v_fmac_f32_e32 v27, v35, v33
	s_waitcnt lgkmcnt(0)
	v_fmac_f32_e32 v27, v30, v28
	v_mov_b32_e32 v22, 0
	v_fmac_f32_e32 v27, v31, v29
	s_mov_b32 s1, 0
	v_cmp_eq_u32_e32 vcc, 0, v23
	s_and_saveexec_b64 s[2:3], vcc
	s_cbranch_execz .LBB1148_19
; %bb.18:
	s_lshl_b64 s[8:9], s[0:1], 2
	s_add_u32 s12, s16, s8
	s_mov_b32 s25, s1
	s_addc_u32 s13, s17, s9
	s_lshl_b64 s[10:11], s[24:25], 2
	s_add_u32 s12, s12, s10
	s_addc_u32 s13, s13, s11
	s_add_u32 s8, s18, s8
	s_addc_u32 s9, s19, s9
	;; [unrolled: 2-line block ×3, first 2 shown]
	s_mul_i32 s8, s5, s4
	s_mov_b32 s9, s1
	s_lshl_b64 s[8:9], s[8:9], 2
	s_add_u32 s10, s12, s8
	s_addc_u32 s11, s13, s9
	s_add_u32 s8, s16, s8
	s_addc_u32 s9, s17, s9
	global_store_dword v22, v26, s[8:9]
	global_store_dword v22, v27, s[10:11]
.LBB1148_19:
	s_or_b64 exec, exec, s[2:3]
	v_mov_b32_e32 v23, 0
	s_and_saveexec_b64 s[2:3], s[6:7]
	s_cbranch_execz .LBB1148_21
; %bb.20:
	v_add_f32_e32 v22, 0x358637bd, v27
	v_div_scale_f32 v23, s[6:7], v22, v22, 1.0
	v_rcp_f32_e32 v27, v23
	v_div_scale_f32 v28, vcc, 1.0, v22, 1.0
	v_sub_f32_e32 v25, v25, v26
	v_fma_f32 v29, -v23, v27, 1.0
	v_fmac_f32_e32 v27, v29, v27
	v_mul_f32_e32 v29, v28, v27
	v_fma_f32 v30, -v23, v29, v28
	v_mul_f32_e32 v25, 0x3fb8aa3b, v25
	v_fmac_f32_e32 v29, v30, v27
	v_exp_f32_e32 v25, v25
	v_fma_f32 v23, -v23, v29, v28
	v_div_fmas_f32 v23, v23, v27, v29
	v_div_fixup_f32 v22, v23, v22, 1.0
	v_mul_f32_e32 v22, v25, v22
	v_pk_mul_f32 v[18:19], v[18:19], v[22:23] op_sel_hi:[1,0]
	v_pk_mul_f32 v[20:21], v[20:21], v[22:23] op_sel_hi:[1,0]
	v_bfe_u32 v22, v19, 16, 1
	v_bfe_u32 v23, v18, 16, 1
	s_movk_i32 s1, 0x7fff
	v_add3_u32 v18, v18, v23, s1
	v_add3_u32 v19, v19, v22, s1
	s_mov_b32 s7, 0x7060302
	v_perm_b32 v18, v19, v18, s7
	v_bfe_u32 v19, v21, 16, 1
	v_bfe_u32 v22, v20, 16, 1
	v_add3_u32 v22, v20, v22, s1
	v_add3_u32 v19, v21, v19, s1
	s_waitcnt vmcnt(3)
	v_cvt_pk_f32_fp8_e32 v[20:21], v6
	v_perm_b32 v19, v19, v22, s7
	v_cvt_pk_f32_fp8_sdwa v[22:23], v6 src0_sel:WORD_1
	v_cvt_pk_f32_fp8_e32 v[26:27], v7
	v_perm_b32 v6, v21, v20, s7
	v_cvt_pk_f32_fp8_sdwa v[20:21], v7 src0_sel:WORD_1
	v_perm_b32 v7, v23, v22, s7
	v_perm_b32 v22, v27, v26, s7
	s_load_dword s6, s[14:15], 0x0
	v_mfma_f32_4x4x4_16b_bf16 a[0:3], v[18:19], v[6:7], 0 cbsz:4
	v_perm_b32 v23, v21, v20, s7
	v_cvt_pk_f32_fp8_e32 v[6:7], v8
	v_cvt_pk_f32_fp8_sdwa v[20:21], v8 src0_sel:WORD_1
	v_mfma_f32_4x4x4_16b_bf16 a[0:3], v[18:19], v[22:23], a[0:3] cbsz:4 abid:1
	v_cvt_pk_f32_fp8_e32 v[22:23], v9
	v_cvt_pk_f32_fp8_sdwa v[8:9], v9 src0_sel:WORD_1
	v_perm_b32 v6, v7, v6, s7
	v_perm_b32 v7, v21, v20, s7
	;; [unrolled: 1-line block ×4, first 2 shown]
	v_mfma_f32_4x4x4_16b_bf16 a[0:3], v[18:19], v[6:7], a[0:3] cbsz:4 abid:2
	s_waitcnt vmcnt(2)
	v_cvt_pk_f32_fp8_e32 v[6:7], v2
	v_cvt_pk_f32_fp8_sdwa v[8:9], v2 src0_sel:WORD_1
	v_mfma_f32_4x4x4_16b_bf16 a[0:3], v[18:19], v[20:21], a[0:3] cbsz:4 abid:3
	v_cvt_pk_f32_fp8_e32 v[20:21], v3
	v_perm_b32 v2, v7, v6, s7
	v_cvt_pk_f32_fp8_sdwa v[6:7], v3 src0_sel:WORD_1
	v_perm_b32 v3, v9, v8, s7
	v_perm_b32 v8, v21, v20, s7
	;; [unrolled: 1-line block ×3, first 2 shown]
	v_mfma_f32_4x4x4_16b_bf16 a[0:3], v[18:19], v[2:3], a[0:3] cbsz:4 abid:4
	v_cvt_pk_f32_fp8_e32 v[2:3], v4
	v_cvt_pk_f32_fp8_sdwa v[6:7], v4 src0_sel:WORD_1
	v_mfma_f32_4x4x4_16b_bf16 a[0:3], v[18:19], v[8:9], a[0:3] cbsz:4 abid:5
	v_cvt_pk_f32_fp8_e32 v[8:9], v5
	v_cvt_pk_f32_fp8_sdwa v[4:5], v5 src0_sel:WORD_1
	v_perm_b32 v2, v3, v2, s7
	v_perm_b32 v3, v7, v6, s7
	;; [unrolled: 1-line block ×4, first 2 shown]
	v_mfma_f32_4x4x4_16b_bf16 a[0:3], v[18:19], v[2:3], a[0:3] cbsz:4 abid:6
	s_waitcnt vmcnt(1)
	v_cvt_pk_f32_fp8_e32 v[2:3], v14
	v_cvt_pk_f32_fp8_sdwa v[4:5], v14 src0_sel:WORD_1
	v_mfma_f32_4x4x4_16b_bf16 a[0:3], v[18:19], v[6:7], a[0:3] cbsz:4 abid:7
	v_cvt_pk_f32_fp8_e32 v[6:7], v15
	v_cvt_pk_f32_fp8_sdwa v[8:9], v15 src0_sel:WORD_1
	v_perm_b32 v2, v3, v2, s7
	v_perm_b32 v3, v5, v4, s7
	;; [unrolled: 1-line block ×4, first 2 shown]
	v_mfma_f32_4x4x4_16b_bf16 a[0:3], v[18:19], v[2:3], a[0:3] cbsz:4 abid:8
	v_cvt_pk_f32_fp8_e32 v[2:3], v16
	v_cvt_pk_f32_fp8_e32 v[6:7], v17
	v_mfma_f32_4x4x4_16b_bf16 a[0:3], v[18:19], v[4:5], a[0:3] cbsz:4 abid:9
	v_cvt_pk_f32_fp8_sdwa v[4:5], v16 src0_sel:WORD_1
	v_cvt_pk_f32_fp8_sdwa v[8:9], v17 src0_sel:WORD_1
	v_perm_b32 v2, v3, v2, s7
	v_perm_b32 v3, v5, v4, s7
	;; [unrolled: 1-line block ×3, first 2 shown]
	s_nop 0
	v_mfma_f32_4x4x4_16b_bf16 a[0:3], v[18:19], v[2:3], a[0:3] cbsz:4 abid:10
	v_perm_b32 v5, v9, v8, s7
	s_waitcnt vmcnt(0)
	v_cvt_pk_f32_fp8_e32 v[2:3], v10
	v_cvt_pk_f32_fp8_e32 v[6:7], v11
	v_mfma_f32_4x4x4_16b_bf16 a[0:3], v[18:19], v[4:5], a[0:3] cbsz:4 abid:11
	v_cvt_pk_f32_fp8_sdwa v[4:5], v10 src0_sel:WORD_1
	v_cvt_pk_f32_fp8_sdwa v[8:9], v11 src0_sel:WORD_1
	v_perm_b32 v2, v3, v2, s7
	v_perm_b32 v3, v5, v4, s7
	;; [unrolled: 1-line block ×3, first 2 shown]
	s_nop 0
	v_mfma_f32_4x4x4_16b_bf16 a[0:3], v[18:19], v[2:3], a[0:3] cbsz:4 abid:12
	v_perm_b32 v5, v9, v8, s7
	v_cvt_pk_f32_fp8_e32 v[2:3], v12
	v_cvt_pk_f32_fp8_e32 v[6:7], v13
	v_mfma_f32_4x4x4_16b_bf16 a[0:3], v[18:19], v[4:5], a[0:3] cbsz:4 abid:13
	v_cvt_pk_f32_fp8_sdwa v[4:5], v12 src0_sel:WORD_1
	v_cvt_pk_f32_fp8_sdwa v[8:9], v13 src0_sel:WORD_1
	v_perm_b32 v2, v3, v2, s7
	v_perm_b32 v3, v5, v4, s7
	;; [unrolled: 1-line block ×3, first 2 shown]
	s_nop 0
	v_mfma_f32_4x4x4_16b_bf16 a[0:3], v[18:19], v[2:3], a[0:3] cbsz:4 abid:14
	v_perm_b32 v5, v9, v8, s7
	s_nop 1
	v_mfma_f32_4x4x4_16b_bf16 a[0:3], v[18:19], v[4:5], a[0:3] cbsz:4 abid:15
	s_nop 4
	v_accvgpr_read_b32 v5, a1
	v_accvgpr_read_b32 v4, a0
	;; [unrolled: 1-line block ×4, first 2 shown]
	s_waitcnt lgkmcnt(0)
	v_pk_mul_f32 v[4:5], v[4:5], s[6:7] op_sel_hi:[1,0]
	v_pk_mul_f32 v[2:3], v[2:3], s[6:7] op_sel_hi:[1,0]
	v_bfe_u32 v6, v5, 16, 1
	v_bfe_u32 v7, v4, 16, 1
	v_add3_u32 v4, v4, v7, s1
	v_add3_u32 v5, v5, v6, s1
	v_bfe_u32 v6, v3, 16, 1
	v_bfe_u32 v7, v2, 16, 1
	v_add3_u32 v2, v2, v7, s1
	v_add3_u32 v3, v3, v6, s1
	v_perm_b32 v23, v3, v2, s7
	v_perm_b32 v22, v5, v4, s7
.LBB1148_21:
	s_or_b64 exec, exec, s[2:3]
	v_lshlrev_b32_e32 v1, 3, v1
	v_mad_u32_u24 v1, v24, 40, v1
	v_cmp_gt_u32_e32 vcc, 64, v0
	ds_write_b64 v1, v[22:23]
	s_waitcnt lgkmcnt(0)
	s_barrier
	s_and_saveexec_b64 s[2:3], vcc
	s_cbranch_execz .LBB1148_23
; %bb.22:
	s_waitcnt vmcnt(3)
	v_mul_u32_u24_e32 v6, 40, v24
	s_waitcnt vmcnt(2)
	ds_read2_b64 v[2:5], v6 offset1:1
	ds_read2_b64 v[6:9], v6 offset0:2 offset1:3
	s_lshl_b32 s0, s0, 6
	s_mov_b32 s1, 0
	s_lshl_b64 s[2:3], s[0:1], 1
	s_waitcnt lgkmcnt(1)
	v_lshlrev_b32_e32 v2, 16, v2
	v_add_f32_e32 v2, 0, v2
	s_add_u32 s2, s26, s2
	v_and_b32_e32 v2, 0xffff0000, v2
	v_lshlrev_b32_e32 v3, 16, v4
	s_addc_u32 s3, s27, s3
	s_lshl_b32 s0, s24, 6
	v_add_f32_e32 v2, v2, v3
	s_lshl_b64 s[0:1], s[0:1], 1
	v_and_b32_e32 v2, 0xffff0000, v2
	s_waitcnt lgkmcnt(0)
	v_lshlrev_b32_e32 v3, 16, v6
	s_add_u32 s0, s2, s0
	s_mul_i32 s4, s4, s5
	v_add_f32_e32 v2, v2, v3
	s_addc_u32 s1, s3, s1
	v_lshl_or_b32 v0, s4, 6, v0
	v_mov_b32_e32 v1, 0
	v_and_b32_e32 v2, 0xffff0000, v2
	v_lshlrev_b32_e32 v3, 16, v8
	v_lshl_add_u64 v[0:1], v[0:1], 1, s[0:1]
	v_add_f32_e32 v2, v2, v3
	global_store_short_d16_hi v[0:1], v2, off
.LBB1148_23:
	s_endpgm
	.section	.rodata,"a",@progbits
	.p2align	6, 0x0
	.amdhsa_kernel _Z38paged_attention_ll4mi_QKV_mfma4_kernelI14__hip_bfloat16hLN4vllm18Fp8KVCacheDataTypeE1ES0_Li16ELi64ELi256ELb0ELi1EEvPKT_PKT0_S8_ifPKiSA_SA_iPKfiiiPfSD_PS3_PT2_iSC_SC_
		.amdhsa_group_segment_fixed_size 2720
		.amdhsa_private_segment_fixed_size 0
		.amdhsa_kernarg_size 400
		.amdhsa_user_sgpr_count 2
		.amdhsa_user_sgpr_dispatch_ptr 0
		.amdhsa_user_sgpr_queue_ptr 0
		.amdhsa_user_sgpr_kernarg_segment_ptr 1
		.amdhsa_user_sgpr_dispatch_id 0
		.amdhsa_user_sgpr_kernarg_preload_length 0
		.amdhsa_user_sgpr_kernarg_preload_offset 0
		.amdhsa_user_sgpr_private_segment_size 0
		.amdhsa_uses_dynamic_stack 0
		.amdhsa_enable_private_segment 0
		.amdhsa_system_sgpr_workgroup_id_x 1
		.amdhsa_system_sgpr_workgroup_id_y 1
		.amdhsa_system_sgpr_workgroup_id_z 1
		.amdhsa_system_sgpr_workgroup_info 0
		.amdhsa_system_vgpr_workitem_id 0
		.amdhsa_next_free_vgpr 80
		.amdhsa_next_free_sgpr 42
		.amdhsa_accum_offset 76
		.amdhsa_reserve_vcc 1
		.amdhsa_float_round_mode_32 0
		.amdhsa_float_round_mode_16_64 0
		.amdhsa_float_denorm_mode_32 3
		.amdhsa_float_denorm_mode_16_64 3
		.amdhsa_dx10_clamp 1
		.amdhsa_ieee_mode 1
		.amdhsa_fp16_overflow 0
		.amdhsa_tg_split 0
		.amdhsa_exception_fp_ieee_invalid_op 0
		.amdhsa_exception_fp_denorm_src 0
		.amdhsa_exception_fp_ieee_div_zero 0
		.amdhsa_exception_fp_ieee_overflow 0
		.amdhsa_exception_fp_ieee_underflow 0
		.amdhsa_exception_fp_ieee_inexact 0
		.amdhsa_exception_int_div_zero 0
	.end_amdhsa_kernel
	.section	.text._Z38paged_attention_ll4mi_QKV_mfma4_kernelI14__hip_bfloat16hLN4vllm18Fp8KVCacheDataTypeE1ES0_Li16ELi64ELi256ELb0ELi1EEvPKT_PKT0_S8_ifPKiSA_SA_iPKfiiiPfSD_PS3_PT2_iSC_SC_,"axG",@progbits,_Z38paged_attention_ll4mi_QKV_mfma4_kernelI14__hip_bfloat16hLN4vllm18Fp8KVCacheDataTypeE1ES0_Li16ELi64ELi256ELb0ELi1EEvPKT_PKT0_S8_ifPKiSA_SA_iPKfiiiPfSD_PS3_PT2_iSC_SC_,comdat
.Lfunc_end1148:
	.size	_Z38paged_attention_ll4mi_QKV_mfma4_kernelI14__hip_bfloat16hLN4vllm18Fp8KVCacheDataTypeE1ES0_Li16ELi64ELi256ELb0ELi1EEvPKT_PKT0_S8_ifPKiSA_SA_iPKfiiiPfSD_PS3_PT2_iSC_SC_, .Lfunc_end1148-_Z38paged_attention_ll4mi_QKV_mfma4_kernelI14__hip_bfloat16hLN4vllm18Fp8KVCacheDataTypeE1ES0_Li16ELi64ELi256ELb0ELi1EEvPKT_PKT0_S8_ifPKiSA_SA_iPKfiiiPfSD_PS3_PT2_iSC_SC_
                                        ; -- End function
	.section	.AMDGPU.csdata,"",@progbits
; Kernel info:
; codeLenInByte = 3936
; NumSgprs: 48
; NumVgprs: 76
; NumAgprs: 4
; TotalNumVgprs: 80
; ScratchSize: 0
; MemoryBound: 0
; FloatMode: 240
; IeeeMode: 1
; LDSByteSize: 2720 bytes/workgroup (compile time only)
; SGPRBlocks: 5
; VGPRBlocks: 9
; NumSGPRsForWavesPerEU: 48
; NumVGPRsForWavesPerEU: 80
; AccumOffset: 76
; Occupancy: 6
; WaveLimiterHint : 1
; COMPUTE_PGM_RSRC2:SCRATCH_EN: 0
; COMPUTE_PGM_RSRC2:USER_SGPR: 2
; COMPUTE_PGM_RSRC2:TRAP_HANDLER: 0
; COMPUTE_PGM_RSRC2:TGID_X_EN: 1
; COMPUTE_PGM_RSRC2:TGID_Y_EN: 1
; COMPUTE_PGM_RSRC2:TGID_Z_EN: 1
; COMPUTE_PGM_RSRC2:TIDIG_COMP_CNT: 0
; COMPUTE_PGM_RSRC3_GFX90A:ACCUM_OFFSET: 18
; COMPUTE_PGM_RSRC3_GFX90A:TG_SPLIT: 0
	.section	.text._Z38paged_attention_ll4mi_QKV_mfma4_kernelI14__hip_bfloat16hLN4vllm18Fp8KVCacheDataTypeE1ES0_Li16ELi64ELi256ELb0ELi2EEvPKT_PKT0_S8_ifPKiSA_SA_iPKfiiiPfSD_PS3_PT2_iSC_SC_,"axG",@progbits,_Z38paged_attention_ll4mi_QKV_mfma4_kernelI14__hip_bfloat16hLN4vllm18Fp8KVCacheDataTypeE1ES0_Li16ELi64ELi256ELb0ELi2EEvPKT_PKT0_S8_ifPKiSA_SA_iPKfiiiPfSD_PS3_PT2_iSC_SC_,comdat
	.protected	_Z38paged_attention_ll4mi_QKV_mfma4_kernelI14__hip_bfloat16hLN4vllm18Fp8KVCacheDataTypeE1ES0_Li16ELi64ELi256ELb0ELi2EEvPKT_PKT0_S8_ifPKiSA_SA_iPKfiiiPfSD_PS3_PT2_iSC_SC_ ; -- Begin function _Z38paged_attention_ll4mi_QKV_mfma4_kernelI14__hip_bfloat16hLN4vllm18Fp8KVCacheDataTypeE1ES0_Li16ELi64ELi256ELb0ELi2EEvPKT_PKT0_S8_ifPKiSA_SA_iPKfiiiPfSD_PS3_PT2_iSC_SC_
	.globl	_Z38paged_attention_ll4mi_QKV_mfma4_kernelI14__hip_bfloat16hLN4vllm18Fp8KVCacheDataTypeE1ES0_Li16ELi64ELi256ELb0ELi2EEvPKT_PKT0_S8_ifPKiSA_SA_iPKfiiiPfSD_PS3_PT2_iSC_SC_
	.p2align	8
	.type	_Z38paged_attention_ll4mi_QKV_mfma4_kernelI14__hip_bfloat16hLN4vllm18Fp8KVCacheDataTypeE1ES0_Li16ELi64ELi256ELb0ELi2EEvPKT_PKT0_S8_ifPKiSA_SA_iPKfiiiPfSD_PS3_PT2_iSC_SC_,@function
_Z38paged_attention_ll4mi_QKV_mfma4_kernelI14__hip_bfloat16hLN4vllm18Fp8KVCacheDataTypeE1ES0_Li16ELi64ELi256ELb0ELi2EEvPKT_PKT0_S8_ifPKiSA_SA_iPKfiiiPfSD_PS3_PT2_iSC_SC_: ; @_Z38paged_attention_ll4mi_QKV_mfma4_kernelI14__hip_bfloat16hLN4vllm18Fp8KVCacheDataTypeE1ES0_Li16ELi64ELi256ELb0ELi2EEvPKT_PKT0_S8_ifPKiSA_SA_iPKfiiiPfSD_PS3_PT2_iSC_SC_
; %bb.0:
	s_load_dwordx2 s[20:21], s[0:1], 0x30
	s_mov_b32 s24, s3
	s_mov_b64 s[6:7], 0
	s_waitcnt lgkmcnt(0)
	s_cmp_lg_u64 s[20:21], 0
	s_cselect_b64 s[22:23], -1, 0
	s_and_b64 vcc, exec, s[22:23]
	s_cbranch_vccz .LBB1149_10
; %bb.1:
	s_add_i32 s8, s2, 1
	s_mov_b32 s9, 0
	s_lshl_b64 s[10:11], s[8:9], 2
	s_add_u32 s10, s20, s10
	s_mov_b32 s3, s9
	s_addc_u32 s11, s21, s11
	s_lshl_b64 s[8:9], s[2:3], 2
	s_add_u32 s8, s20, s8
	s_addc_u32 s9, s21, s9
	s_load_dword s5, s[10:11], 0x0
	s_load_dword s12, s[8:9], 0x0
	s_waitcnt lgkmcnt(0)
	s_sub_i32 s5, s5, s12
	s_cmp_eq_u32 s5, 1
	s_cselect_b64 s[8:9], -1, 0
	s_andn2_b64 vcc, exec, s[6:7]
	s_cbranch_vccnz .LBB1149_3
.LBB1149_2:
	s_mov_b32 s3, 0
	s_mov_b64 s[8:9], -1
.LBB1149_3:
	s_andn2_b64 vcc, exec, s[8:9]
	s_cbranch_vccnz .LBB1149_23
; %bb.4:
	s_load_dword s5, s[0:1], 0x9c
	s_load_dwordx2 s[6:7], s[0:1], 0x28
	s_add_u32 s28, s0, 0x90
	s_addc_u32 s29, s1, 0
	s_lshl_b64 s[34:35], s[2:3], 2
	s_waitcnt lgkmcnt(0)
	s_and_b32 s5, s5, 0xffff
	s_add_u32 s6, s6, s34
	s_addc_u32 s7, s7, s35
	s_load_dword s3, s[6:7], 0x0
	s_mul_i32 s10, s24, s5
	s_waitcnt lgkmcnt(0)
	s_cmp_ge_i32 s10, s3
	s_cbranch_scc1 .LBB1149_23
; %bb.5:
	v_and_b32_e32 v2, 0xc0, v0
	v_add_u32_e32 v4, s10, v2
	v_lshrrev_b32_e32 v1, 6, v0
	v_cmp_gt_i32_e64 s[6:7], s3, v4
	v_cmp_le_i32_e32 vcc, s3, v4
                                        ; implicit-def: $sgpr25
                                        ; implicit-def: $sgpr11
	s_and_saveexec_b64 s[8:9], vcc
	s_xor_b64 s[8:9], exec, s[8:9]
	s_cbranch_execz .LBB1149_7
; %bb.6:
	v_mul_u32_u24_e32 v2, 20, v1
	v_or_b32_e32 v2, 0xa00, v2
	v_mov_b32_e32 v3, 0xa50
	v_mov_b32_e32 v4, 0xff7fffff
	v_mad_u32_u24 v3, v1, 20, v3
	ds_write2_b32 v2, v4, v4 offset1:1
	v_mov_b32_e32 v2, 0
	ds_write2_b32 v3, v2, v2 offset1:1
	v_mov_b32_e32 v3, 0xa08
	s_mov_b32 s11, 0xff7fffff
	s_mov_b32 s25, 0
	v_mad_u32_u24 v3, v1, 20, v3
	v_mov_b32_e32 v5, 0xa58
	v_mad_u32_u24 v5, v1, 20, v5
	ds_write2_b32 v3, v4, v4 offset1:1
	ds_write2_b32 v5, v2, v2 offset1:1
                                        ; implicit-def: $vgpr4
.LBB1149_7:
	s_or_saveexec_b64 s[30:31], s[8:9]
	s_load_dwordx2 s[26:27], s[0:1], 0x68
	s_load_dwordx4 s[16:19], s[0:1], 0x58
	s_load_dword s5, s[28:29], 0x4
	s_load_dwordx4 s[12:15], s[0:1], 0x80
	v_and_b32_e32 v26, 63, v0
	v_and_b32_e32 v27, 3, v0
	v_mov_b32_e32 v21, s25
	v_mov_b32_e32 v24, s11
	;; [unrolled: 1-line block ×5, first 2 shown]
                                        ; implicit-def: $vgpr14_vgpr15
                                        ; implicit-def: $vgpr10_vgpr11
                                        ; implicit-def: $vgpr6_vgpr7
                                        ; implicit-def: $vgpr2_vgpr3
	s_xor_b64 exec, exec, s[30:31]
	s_cbranch_execz .LBB1149_17
; %bb.8:
	s_load_dwordx2 s[8:9], s[0:1], 0x20
	s_load_dword s11, s[0:1], 0x38
	s_add_i32 s25, s3, 15
	s_ashr_i32 s33, s25, 31
	s_lshr_b32 s33, s33, 28
	v_add_u32_e32 v28, s10, v0
	s_add_i32 s25, s25, s33
	v_ashrrev_i32_e32 v2, 31, v28
	s_ashr_i32 s25, s25, 4
	v_lshrrev_b32_e32 v2, 28, v2
	s_add_i32 s25, s25, -1
	s_waitcnt lgkmcnt(0)
	s_mul_i32 s36, s2, s11
	s_mov_b32 s37, 0
	v_add_u32_e32 v2, v28, v2
	s_lshl_b64 s[36:37], s[36:37], 2
	v_ashrrev_i32_e32 v2, 4, v2
	v_mov_b32_e32 v3, s25
	v_cmp_gt_i32_e32 vcc, s3, v28
	s_add_u32 s8, s8, s36
	s_addc_u32 s9, s9, s37
	v_cndmask_b32_e32 v2, v3, v2, vcc
	v_ashrrev_i32_e32 v3, 31, v2
	v_lshl_add_u64 v[8:9], v[2:3], 2, s[8:9]
	v_ashrrev_i32_e32 v2, 31, v4
	v_lshrrev_b32_e32 v2, 28, v2
	v_add_u32_e32 v2, v4, v2
	v_ashrrev_i32_e32 v4, 4, v2
	v_min_i32_e32 v2, s25, v4
	v_ashrrev_i32_e32 v3, 31, v2
	v_lshl_add_u64 v[10:11], v[2:3], 2, s[8:9]
	v_add_u32_e32 v2, 1, v4
	v_min_i32_e32 v2, s25, v2
	v_ashrrev_i32_e32 v3, 31, v2
	v_lshl_add_u64 v[12:13], v[2:3], 2, s[8:9]
	v_add_u32_e32 v2, 2, v4
	;; [unrolled: 4-line block ×3, first 2 shown]
	v_min_i32_e32 v2, s25, v2
	v_ashrrev_i32_e32 v3, 31, v2
	v_lshl_add_u64 v[16:17], v[2:3], 2, s[8:9]
	global_load_dword v2, v[8:9], off
	global_load_dword v7, v[10:11], off
	;; [unrolled: 1-line block ×5, first 2 shown]
	s_load_dwordx4 s[8:11], s[0:1], 0x8
	s_andn2_b64 vcc, exec, s[22:23]
	s_cbranch_vccnz .LBB1149_11
; %bb.9:
	s_add_u32 s20, s20, s34
	s_addc_u32 s21, s21, s35
	s_load_dword s25, s[20:21], 0x0
	s_branch .LBB1149_12
.LBB1149_10:
	s_mov_b64 s[8:9], 0
	s_branch .LBB1149_2
.LBB1149_11:
	s_mov_b32 s25, s2
.LBB1149_12:
	s_load_dwordx4 s[20:23], s[0:1], 0x48
	v_cmp_gt_u32_e32 vcc, 2, v27
	s_mov_b32 s37, 0
	v_mov_b32_e32 v3, 0
	v_mov_b32_e32 v18, 0
	;; [unrolled: 1-line block ×5, first 2 shown]
	s_and_saveexec_b64 s[34:35], vcc
	s_cbranch_execz .LBB1149_14
; %bb.13:
	s_load_dwordx2 s[38:39], s[0:1], 0x0
	s_waitcnt lgkmcnt(0)
	s_ashr_i32 s23, s20, 31
	s_mul_hi_u32 s33, s25, s20
	s_mul_i32 s23, s25, s23
	s_add_i32 s41, s33, s23
	s_mul_i32 s40, s25, s20
	s_lshl_b64 s[40:41], s[40:41], 1
	s_add_u32 s20, s38, s40
	s_addc_u32 s23, s39, s41
	s_lshl_b32 s36, s4, 7
	s_lshl_b64 s[36:37], s[36:37], 1
	s_add_u32 s36, s20, s36
	v_lshlrev_b32_e32 v8, 3, v27
	v_lshrrev_b32_e32 v9, 2, v26
	s_addc_u32 s37, s23, s37
	v_add_lshl_u32 v8, v8, v9, 4
	global_load_dwordx4 v[18:21], v8, s[36:37]
.LBB1149_14:
	s_or_b64 exec, exec, s[34:35]
	s_waitcnt lgkmcnt(0)
	s_mul_i32 s20, s4, s22
	s_add_u32 s8, s20, s8
	s_addc_u32 s9, 0, s9
	v_mov_b64_e32 v[8:9], s[8:9]
	s_waitcnt vmcnt(4)
	v_mad_i64_i32 v[8:9], s[8:9], v2, s21, v[8:9]
	v_lshlrev_b32_e32 v2, 4, v0
	v_and_b32_e32 v2, 0xf0, v2
	v_lshl_add_u64 v[8:9], v[8:9], 0, v[2:3]
	global_load_dwordx4 v[30:33], v[8:9], off
	global_load_dwordx4 v[34:37], v[8:9], off offset:256
	global_load_dwordx4 v[38:41], v[8:9], off offset:512
	;; [unrolled: 1-line block ×3, first 2 shown]
	s_waitcnt vmcnt(7)
	v_mul_hi_i32 v2, v7, s21
	s_load_dword s9, s[0:1], 0x1c
	s_add_u32 s0, s10, s20
	s_waitcnt vmcnt(6)
	v_mul_hi_i32 v8, v6, s21
	s_waitcnt vmcnt(5)
	v_mul_hi_i32 v9, v5, s21
	v_ashrrev_i32_e32 v11, 31, v2
	s_addc_u32 s1, s11, 0
	v_lshlrev_b32_e32 v2, 4, v26
	s_waitcnt vmcnt(4)
	v_mul_hi_i32 v10, v4, s21
	v_ashrrev_i32_e32 v12, 31, v8
	v_ashrrev_i32_e32 v13, 31, v9
	v_lshl_add_u64 v[8:9], s[0:1], 0, v[2:3]
	v_lshrrev_b32_e32 v2, 29, v11
	v_ashrrev_i32_e32 v14, 31, v10
	v_mad_i64_i32 v[10:11], s[0:1], v7, s21, v[2:3]
	v_lshrrev_b32_e32 v2, 29, v12
	v_and_b32_e32 v10, -8, v10
	v_mad_i64_i32 v[6:7], s[0:1], v6, s21, v[2:3]
	v_lshrrev_b32_e32 v2, 29, v13
	v_lshl_add_u64 v[42:43], v[8:9], 0, v[10:11]
	v_mad_i64_i32 v[10:11], s[0:1], v5, s21, v[2:3]
	v_lshrrev_b32_e32 v2, 29, v14
	v_mad_i64_i32 v[2:3], s[0:1], v4, s21, v[2:3]
	v_and_b32_e32 v6, -8, v6
	v_and_b32_e32 v10, -8, v10
	;; [unrolled: 1-line block ×3, first 2 shown]
	s_mov_b32 s8, 0x7060302
	v_lshl_add_u64 v[6:7], v[8:9], 0, v[6:7]
	v_lshl_add_u64 v[44:45], v[8:9], 0, v[10:11]
	global_load_dwordx4 v[14:17], v[42:43], off
	global_load_dwordx4 v[10:13], v[6:7], off
	v_lshl_add_u64 v[42:43], v[8:9], 0, v[2:3]
	global_load_dwordx4 v[6:9], v[44:45], off
	global_load_dwordx4 v[2:5], v[42:43], off
	s_load_dword s0, s[12:13], 0x0
	v_cmp_eq_u32_e32 vcc, 0, v27
	s_waitcnt vmcnt(7)
	v_cvt_pk_f32_fp8_e32 v[46:47], v30
	v_cvt_pk_f32_fp8_sdwa v[48:49], v30 src0_sel:WORD_1
	v_cvt_pk_f32_fp8_e32 v[50:51], v31
	v_cvt_pk_f32_fp8_sdwa v[30:31], v31 src0_sel:WORD_1
	;; [unrolled: 2-line block ×3, first 2 shown]
	v_perm_b32 v42, v47, v46, s8
	v_perm_b32 v43, v49, v48, s8
	v_cvt_pk_f32_fp8_e32 v[56:57], v33
	v_cvt_pk_f32_fp8_sdwa v[32:33], v33 src0_sel:WORD_1
	v_mfma_f32_4x4x4_16b_bf16 a[0:3], v[18:19], v[42:43], 0 cbsz:4
	v_perm_b32 v46, v51, v50, s8
	v_perm_b32 v47, v31, v30, s8
	s_waitcnt vmcnt(6)
	v_cvt_pk_f32_fp8_e32 v[58:59], v34
	v_cvt_pk_f32_fp8_sdwa v[60:61], v34 src0_sel:WORD_1
	v_mfma_f32_4x4x4_16b_bf16 a[0:3], v[20:21], v[46:47], a[0:3] cbsz:4
	v_perm_b32 v48, v53, v52, s8
	v_perm_b32 v49, v55, v54, s8
	v_cvt_pk_f32_fp8_e32 v[62:63], v35
	v_cvt_pk_f32_fp8_sdwa v[34:35], v35 src0_sel:WORD_1
	v_mfma_f32_4x4x4_16b_bf16 a[0:3], v[18:19], v[48:49], a[0:3] cbsz:4 abid:1
	v_perm_b32 v52, v57, v56, s8
	v_perm_b32 v53, v33, v32, s8
	v_cvt_pk_f32_fp8_e32 v[64:65], v36
	v_cvt_pk_f32_fp8_sdwa v[66:67], v36 src0_sel:WORD_1
	v_mfma_f32_4x4x4_16b_bf16 a[0:3], v[20:21], v[52:53], a[0:3] cbsz:4 abid:1
	;; [unrolled: 5-line block ×3, first 2 shown]
	v_perm_b32 v54, v63, v62, s8
	v_perm_b32 v55, v35, v34, s8
	s_waitcnt vmcnt(5)
	v_cvt_pk_f32_fp8_e32 v[70:71], v38
	v_cvt_pk_f32_fp8_sdwa v[72:73], v38 src0_sel:WORD_1
	v_mfma_f32_4x4x4_16b_bf16 a[0:3], v[20:21], v[54:55], a[0:3] cbsz:4 abid:2
	v_perm_b32 v34, v65, v64, s8
	v_perm_b32 v35, v67, v66, s8
	v_cvt_pk_f32_fp8_e32 v[74:75], v39
	v_cvt_pk_f32_fp8_sdwa v[38:39], v39 src0_sel:WORD_1
	v_mfma_f32_4x4x4_16b_bf16 a[0:3], v[18:19], v[34:35], a[0:3] cbsz:4 abid:3
	v_perm_b32 v42, v69, v68, s8
	v_perm_b32 v43, v37, v36, s8
	v_cvt_pk_f32_fp8_e32 v[76:77], v40
	v_cvt_pk_f32_fp8_sdwa v[78:79], v40 src0_sel:WORD_1
	v_mfma_f32_4x4x4_16b_bf16 a[0:3], v[20:21], v[42:43], a[0:3] cbsz:4 abid:3
	v_perm_b32 v36, v71, v70, s8
	v_perm_b32 v37, v73, v72, s8
	v_cvt_pk_f32_fp8_e32 v[80:81], v41
	v_cvt_pk_f32_fp8_sdwa v[40:41], v41 src0_sel:WORD_1
	v_mfma_f32_4x4x4_16b_bf16 a[0:3], v[18:19], v[36:37], a[0:3] cbsz:4 abid:4
	v_perm_b32 v32, v75, v74, s8
	v_perm_b32 v33, v39, v38, s8
	v_perm_b32 v34, v77, v76, s8
	v_perm_b32 v35, v79, v78, s8
	v_mfma_f32_4x4x4_16b_bf16 a[0:3], v[20:21], v[32:33], a[0:3] cbsz:4 abid:4
	s_waitcnt vmcnt(4)
	v_cvt_pk_f32_fp8_e32 v[44:45], v22
	v_cvt_pk_f32_fp8_sdwa v[30:31], v22 src0_sel:WORD_1
	v_mfma_f32_4x4x4_16b_bf16 a[0:3], v[18:19], v[34:35], a[0:3] cbsz:4 abid:5
	v_perm_b32 v32, v81, v80, s8
	v_perm_b32 v33, v41, v40, s8
	v_cvt_pk_f32_fp8_e32 v[50:51], v23
	v_perm_b32 v22, v45, v44, s8
	v_mfma_f32_4x4x4_16b_bf16 a[0:3], v[20:21], v[32:33], a[0:3] cbsz:4 abid:5
	v_cvt_pk_f32_fp8_sdwa v[32:33], v23 src0_sel:WORD_1
	v_perm_b32 v23, v31, v30, s8
	v_perm_b32 v30, v51, v50, s8
	;; [unrolled: 1-line block ×3, first 2 shown]
	v_mfma_f32_4x4x4_16b_bf16 a[0:3], v[18:19], v[22:23], a[0:3] cbsz:4 abid:6
	v_cvt_pk_f32_fp8_e32 v[22:23], v24
	v_cvt_pk_f32_fp8_e32 v[32:33], v25
	v_mfma_f32_4x4x4_16b_bf16 a[0:3], v[20:21], v[30:31], a[0:3] cbsz:4 abid:6
	v_cvt_pk_f32_fp8_sdwa v[30:31], v24 src0_sel:WORD_1
	v_cvt_pk_f32_fp8_sdwa v[24:25], v25 src0_sel:WORD_1
	v_perm_b32 v22, v23, v22, s8
	v_perm_b32 v23, v31, v30, s8
	;; [unrolled: 1-line block ×3, first 2 shown]
	s_nop 0
	v_mfma_f32_4x4x4_16b_bf16 a[0:3], v[18:19], v[22:23], a[0:3] cbsz:4 abid:7
	v_perm_b32 v31, v25, v24, s8
	s_waitcnt lgkmcnt(0)
	v_mov_b32_e32 v18, s9
	v_mfma_f32_4x4x4_16b_bf16 a[0:3], v[20:21], v[30:31], a[0:3] cbsz:4 abid:7
	v_mul_f32_e32 v20, s0, v18
	s_nop 3
	v_accvgpr_read_b32 v23, a1
	v_accvgpr_read_b32 v22, a0
	v_pk_mul_f32 v[22:23], v[22:23], v[20:21] op_sel_hi:[1,0]
	v_accvgpr_read_b32 v19, a3
	v_accvgpr_read_b32 v18, a2
	v_pk_mul_f32 v[18:19], v[18:19], v[20:21] op_sel_hi:[1,0]
	v_cndmask_b32_e64 v20, 0, 1.0, vcc
	v_cmp_eq_u32_e32 vcc, 1, v27
	s_nop 0
	v_mfma_f32_4x4x1_16b_f32 a[0:3], v22, v20, 0
	v_cndmask_b32_e64 v20, 0, 1.0, vcc
	v_cmp_eq_u32_e32 vcc, 2, v27
	v_mov_b32_e32 v22, 0xff7fffff
	v_mfma_f32_4x4x1_16b_f32 a[0:3], v23, v20, a[0:3]
	v_cndmask_b32_e64 v20, 0, 1.0, vcc
	v_cmp_eq_u32_e32 vcc, 3, v27
	s_nop 0
	v_mfma_f32_4x4x1_16b_f32 a[0:3], v18, v20, a[0:3]
	v_cndmask_b32_e64 v18, 0, 1.0, vcc
	s_nop 1
	v_mfma_f32_4x4x1_16b_f32 a[0:3], v19, v18, a[0:3]
	v_and_b32_e32 v18, -4, v28
	v_cmp_gt_i32_e32 vcc, s3, v18
	v_lshlrev_b32_e32 v19, 2, v0
	v_and_or_b32 v19, v19, 48, v27
	v_accvgpr_read_b32 v20, a0
	v_max_f32_e32 v21, v20, v20
	v_max_f32_e32 v21, 0xff7fffff, v21
	v_accvgpr_read_b32 v23, a1
	v_cndmask_b32_e32 v21, v22, v21, vcc
	v_or_b32_e32 v22, 1, v18
	v_max_f32_e32 v24, v23, v23
	v_max_f32_e32 v24, v21, v24
	v_cmp_gt_i32_e64 s[0:1], s3, v22
	v_accvgpr_read_b32 v22, a2
	v_or_b32_e32 v18, 2, v18
	v_cndmask_b32_e64 v21, v21, v24, s[0:1]
	v_max_f32_e32 v24, v22, v22
	v_max_f32_e32 v24, v21, v24
	v_cmp_gt_i32_e64 s[8:9], s3, v18
	v_accvgpr_read_b32 v25, a3
	s_nop 0
	v_cndmask_b32_e64 v18, v21, v24, s[8:9]
	v_or_b32_e32 v21, 3, v28
	v_max_f32_e32 v24, v25, v25
	v_max_f32_e32 v24, v18, v24
	v_cmp_gt_i32_e64 s[10:11], s3, v21
	v_lshlrev_b32_e32 v28, 2, v19
	s_nop 0
	v_cndmask_b32_e64 v18, v18, v24, s[10:11]
	;;#ASMSTART
	v_nop
 v_nop
 v_max_f32_dpp v18, v18, v18 row_ror:4
	;;#ASMEND
	s_nop 0
	;;#ASMSTART
	v_nop
 v_nop
 v_max_f32_dpp v18, v18, v18 row_ror:8
	;;#ASMEND
	ds_bpermute_b32 v18, v28, v18
	s_waitcnt lgkmcnt(0)
	;;#ASMSTART
	v_nop
 v_nop
 v_max_f32_dpp v18, v18, v18 row_ror:4
	;;#ASMEND
	s_nop 0
	;;#ASMSTART
	v_nop
 v_nop
 v_max_f32_dpp v24, v18, v18 row_ror:8
	;;#ASMEND
	s_nop 0
	v_sub_f32_e32 v18, v20, v24
	v_mul_f32_e32 v18, 0x3fb8aa3b, v18
	v_sub_f32_e32 v19, v23, v24
	v_exp_f32_e32 v18, v18
	v_mul_f32_e32 v19, 0x3fb8aa3b, v19
	v_sub_f32_e32 v21, v22, v24
	v_exp_f32_e32 v19, v19
	v_mul_f32_e32 v21, 0x3fb8aa3b, v21
	v_sub_f32_e32 v22, v25, v24
	v_exp_f32_e32 v21, v21
	v_mul_f32_e32 v22, 0x3fb8aa3b, v22
	v_exp_f32_e32 v22, v22
	v_cndmask_b32_e32 v18, 0, v18, vcc
	v_add_f32_e32 v20, 0, v18
	v_cndmask_b32_e64 v19, 0, v19, s[0:1]
	v_add_f32_e32 v23, v20, v19
	v_cndmask_b32_e64 v20, 0, v21, s[8:9]
	;; [unrolled: 2-line block ×3, first 2 shown]
	v_add_f32_e32 v22, v23, v21
	;;#ASMSTART
	v_nop
 v_nop
 v_add_f32_dpp v22, v22, v22 row_ror:4
	;;#ASMEND
	v_cmp_gt_u32_e32 vcc, 4, v26
	;;#ASMSTART
	v_nop
 v_nop
 v_add_f32_dpp v22, v22, v22 row_ror:8
	;;#ASMEND
	ds_bpermute_b32 v22, v28, v22
	s_waitcnt lgkmcnt(0)
	;;#ASMSTART
	v_nop
 v_nop
 v_add_f32_dpp v22, v22, v22 row_ror:4
	;;#ASMEND
	s_nop 0
	;;#ASMSTART
	v_nop
 v_nop
 v_add_f32_dpp v22, v22, v22 row_ror:8
	;;#ASMEND
	s_and_saveexec_b64 s[0:1], vcc
	s_cbranch_execz .LBB1149_16
; %bb.15:
	v_mul_u32_u24_e32 v23, 20, v1
	v_lshl_add_u32 v23, v27, 2, v23
	v_add_u32_e32 v23, 0x800, v23
	ds_write2_b32 v23, v24, v22 offset0:128 offset1:148
.LBB1149_16:
	s_or_b64 exec, exec, s[0:1]
.LBB1149_17:
	s_or_b64 exec, exec, s[30:31]
	s_waitcnt lgkmcnt(0)
	s_barrier
	s_load_dword s0, s[28:29], 0x8
	v_lshlrev_b32_e32 v22, 2, v27
	v_add_u32_e32 v32, 0x800, v22
	ds_read2_b32 v[22:23], v32 offset0:128 offset1:133
	ds_read2_b32 v[28:29], v32 offset0:138 offset1:143
	s_mul_i32 s1, s2, s5
	s_waitcnt lgkmcnt(0)
	s_mul_i32 s1, s1, s0
	s_lshl_b32 s0, s1, 1
	s_mov_b32 s1, 0xff7fffff
	v_max3_f32 v25, v22, s1, v23
	v_max3_f32 v25, v25, v28, v29
	v_sub_f32_e32 v22, v22, v25
	v_mul_f32_e32 v22, 0x3fb8aa3b, v22
	ds_read2_b32 v[30:31], v32 offset0:148 offset1:153
	v_exp_f32_e32 v33, v22
	v_sub_f32_e32 v22, v23, v25
	v_sub_f32_e32 v28, v28, v25
	v_mul_f32_e32 v22, 0x3fb8aa3b, v22
	v_mul_f32_e32 v28, 0x3fb8aa3b, v28
	v_exp_f32_e32 v34, v22
	ds_read2_b32 v[22:23], v32 offset0:158 offset1:163
	v_exp_f32_e32 v32, v28
	v_sub_f32_e32 v28, v29, v25
	v_mul_f32_e32 v28, 0x3fb8aa3b, v28
	v_exp_f32_e32 v29, v28
	s_waitcnt lgkmcnt(1)
	v_fma_f32 v28, v33, v30, 0
	v_fmac_f32_e32 v28, v34, v31
	s_waitcnt lgkmcnt(0)
	v_fmac_f32_e32 v28, v32, v22
	s_lshl_b32 s4, s4, 1
	v_fmac_f32_e32 v28, v29, v23
	v_cmp_gt_u32_e32 vcc, 2, v27
	s_and_saveexec_b64 s[2:3], vcc
	s_cbranch_execz .LBB1149_19
; %bb.18:
	s_mov_b32 s1, 0
	s_lshl_b64 s[8:9], s[0:1], 2
	s_add_u32 s12, s16, s8
	s_mov_b32 s25, s1
	s_addc_u32 s13, s17, s9
	s_lshl_b64 s[10:11], s[24:25], 2
	s_add_u32 s12, s12, s10
	s_addc_u32 s13, s13, s11
	s_add_u32 s1, s18, s8
	s_addc_u32 s9, s19, s9
	v_or_b32_e32 v22, s4, v27
	s_add_u32 s8, s1, s10
	v_mul_lo_u32 v22, s5, v22
	v_mov_b32_e32 v23, 0
	s_addc_u32 s9, s9, s11
	v_lshlrev_b64 v[22:23], 2, v[22:23]
	v_lshl_add_u64 v[30:31], s[12:13], 0, v[22:23]
	v_lshl_add_u64 v[22:23], s[8:9], 0, v[22:23]
	global_store_dword v[22:23], v25, off
	global_store_dword v[30:31], v28, off
.LBB1149_19:
	s_or_b64 exec, exec, s[2:3]
	v_mov_b32_e32 v22, 0
	v_mov_b32_e32 v23, 0
	s_and_saveexec_b64 s[2:3], s[6:7]
	s_cbranch_execz .LBB1149_21
; %bb.20:
	v_add_f32_e32 v22, 0x358637bd, v28
	v_div_scale_f32 v23, s[6:7], v22, v22, 1.0
	v_rcp_f32_e32 v27, v23
	v_div_scale_f32 v28, vcc, 1.0, v22, 1.0
	v_sub_f32_e32 v24, v24, v25
	v_fma_f32 v29, -v23, v27, 1.0
	v_fmac_f32_e32 v27, v29, v27
	v_mul_f32_e32 v29, v28, v27
	v_fma_f32 v30, -v23, v29, v28
	v_mul_f32_e32 v24, 0x3fb8aa3b, v24
	v_fmac_f32_e32 v29, v30, v27
	v_exp_f32_e32 v24, v24
	v_fma_f32 v23, -v23, v29, v28
	v_div_fmas_f32 v23, v23, v27, v29
	v_div_fixup_f32 v22, v23, v22, 1.0
	v_mul_f32_e32 v22, v24, v22
	v_pk_mul_f32 v[18:19], v[18:19], v[22:23] op_sel_hi:[1,0]
	v_pk_mul_f32 v[20:21], v[20:21], v[22:23] op_sel_hi:[1,0]
	v_bfe_u32 v22, v19, 16, 1
	v_bfe_u32 v23, v18, 16, 1
	s_movk_i32 s1, 0x7fff
	v_add3_u32 v18, v18, v23, s1
	v_add3_u32 v19, v19, v22, s1
	s_mov_b32 s7, 0x7060302
	v_perm_b32 v18, v19, v18, s7
	v_bfe_u32 v19, v21, 16, 1
	v_bfe_u32 v22, v20, 16, 1
	v_add3_u32 v22, v20, v22, s1
	v_add3_u32 v19, v21, v19, s1
	s_waitcnt vmcnt(3)
	v_cvt_pk_f32_fp8_e32 v[20:21], v14
	v_perm_b32 v19, v19, v22, s7
	v_cvt_pk_f32_fp8_sdwa v[22:23], v14 src0_sel:WORD_1
	v_cvt_pk_f32_fp8_e32 v[24:25], v15
	v_perm_b32 v14, v21, v20, s7
	v_cvt_pk_f32_fp8_sdwa v[20:21], v15 src0_sel:WORD_1
	v_perm_b32 v15, v23, v22, s7
	v_perm_b32 v22, v25, v24, s7
	s_load_dword s6, s[14:15], 0x0
	v_mfma_f32_4x4x4_16b_bf16 a[0:3], v[18:19], v[14:15], 0 cbsz:4
	v_perm_b32 v23, v21, v20, s7
	v_cvt_pk_f32_fp8_e32 v[14:15], v16
	v_cvt_pk_f32_fp8_sdwa v[20:21], v16 src0_sel:WORD_1
	v_mfma_f32_4x4x4_16b_bf16 a[0:3], v[18:19], v[22:23], a[0:3] cbsz:4 abid:1
	v_cvt_pk_f32_fp8_e32 v[22:23], v17
	v_cvt_pk_f32_fp8_sdwa v[16:17], v17 src0_sel:WORD_1
	v_perm_b32 v14, v15, v14, s7
	v_perm_b32 v15, v21, v20, s7
	v_perm_b32 v20, v23, v22, s7
	v_perm_b32 v21, v17, v16, s7
	v_mfma_f32_4x4x4_16b_bf16 a[0:3], v[18:19], v[14:15], a[0:3] cbsz:4 abid:2
	s_waitcnt vmcnt(2)
	v_cvt_pk_f32_fp8_e32 v[14:15], v10
	v_cvt_pk_f32_fp8_sdwa v[16:17], v10 src0_sel:WORD_1
	v_mfma_f32_4x4x4_16b_bf16 a[0:3], v[18:19], v[20:21], a[0:3] cbsz:4 abid:3
	v_cvt_pk_f32_fp8_e32 v[20:21], v11
	v_perm_b32 v10, v15, v14, s7
	v_cvt_pk_f32_fp8_sdwa v[14:15], v11 src0_sel:WORD_1
	v_perm_b32 v11, v17, v16, s7
	v_perm_b32 v16, v21, v20, s7
	v_perm_b32 v17, v15, v14, s7
	v_mfma_f32_4x4x4_16b_bf16 a[0:3], v[18:19], v[10:11], a[0:3] cbsz:4 abid:4
	v_cvt_pk_f32_fp8_e32 v[10:11], v12
	v_cvt_pk_f32_fp8_sdwa v[14:15], v12 src0_sel:WORD_1
	v_mfma_f32_4x4x4_16b_bf16 a[0:3], v[18:19], v[16:17], a[0:3] cbsz:4 abid:5
	v_cvt_pk_f32_fp8_e32 v[16:17], v13
	v_cvt_pk_f32_fp8_sdwa v[12:13], v13 src0_sel:WORD_1
	v_perm_b32 v10, v11, v10, s7
	v_perm_b32 v11, v15, v14, s7
	v_perm_b32 v14, v17, v16, s7
	v_perm_b32 v15, v13, v12, s7
	v_mfma_f32_4x4x4_16b_bf16 a[0:3], v[18:19], v[10:11], a[0:3] cbsz:4 abid:6
	s_waitcnt vmcnt(1)
	v_cvt_pk_f32_fp8_e32 v[10:11], v6
	v_cvt_pk_f32_fp8_sdwa v[12:13], v6 src0_sel:WORD_1
	v_mfma_f32_4x4x4_16b_bf16 a[0:3], v[18:19], v[14:15], a[0:3] cbsz:4 abid:7
	v_cvt_pk_f32_fp8_e32 v[14:15], v7
	v_perm_b32 v6, v11, v10, s7
	v_cvt_pk_f32_fp8_sdwa v[10:11], v7 src0_sel:WORD_1
	v_perm_b32 v7, v13, v12, s7
	v_perm_b32 v12, v15, v14, s7
	v_perm_b32 v13, v11, v10, s7
	v_mfma_f32_4x4x4_16b_bf16 a[0:3], v[18:19], v[6:7], a[0:3] cbsz:4 abid:8
	;; [unrolled: 21-line block ×3, first 2 shown]
	v_cvt_pk_f32_fp8_e32 v[2:3], v4
	v_cvt_pk_f32_fp8_sdwa v[6:7], v4 src0_sel:WORD_1
	v_mfma_f32_4x4x4_16b_bf16 a[0:3], v[18:19], v[8:9], a[0:3] cbsz:4 abid:13
	v_cvt_pk_f32_fp8_e32 v[8:9], v5
	v_cvt_pk_f32_fp8_sdwa v[4:5], v5 src0_sel:WORD_1
	v_perm_b32 v2, v3, v2, s7
	v_perm_b32 v3, v7, v6, s7
	;; [unrolled: 1-line block ×4, first 2 shown]
	v_mfma_f32_4x4x4_16b_bf16 a[0:3], v[18:19], v[2:3], a[0:3] cbsz:4 abid:14
	s_nop 1
	v_mfma_f32_4x4x4_16b_bf16 a[0:3], v[18:19], v[6:7], a[0:3] cbsz:4 abid:15
	s_nop 4
	v_accvgpr_read_b32 v5, a1
	v_accvgpr_read_b32 v4, a0
	;; [unrolled: 1-line block ×4, first 2 shown]
	s_waitcnt lgkmcnt(0)
	v_pk_mul_f32 v[4:5], v[4:5], s[6:7] op_sel_hi:[1,0]
	v_pk_mul_f32 v[2:3], v[2:3], s[6:7] op_sel_hi:[1,0]
	v_bfe_u32 v6, v5, 16, 1
	v_bfe_u32 v7, v4, 16, 1
	v_add3_u32 v4, v4, v7, s1
	v_add3_u32 v5, v5, v6, s1
	v_bfe_u32 v6, v3, 16, 1
	v_bfe_u32 v7, v2, 16, 1
	v_add3_u32 v2, v2, v7, s1
	v_add3_u32 v3, v3, v6, s1
	v_perm_b32 v23, v3, v2, s7
	v_perm_b32 v22, v5, v4, s7
.LBB1149_21:
	s_or_b64 exec, exec, s[2:3]
	v_lshlrev_b32_e32 v1, 3, v1
	v_mad_u32_u24 v1, v26, 40, v1
	v_cmp_gt_u32_e32 vcc, 64, v0
	ds_write_b64 v1, v[22:23]
	s_waitcnt lgkmcnt(0)
	s_barrier
	s_and_saveexec_b64 s[2:3], vcc
	s_cbranch_execz .LBB1149_23
; %bb.22:
	v_mul_u32_u24_e32 v1, 40, v26
	s_waitcnt vmcnt(0)
	ds_read2_b64 v[2:5], v1 offset1:1
	ds_read2_b64 v[6:9], v1 offset0:2 offset1:3
	s_mov_b32 s1, 0
	s_lshl_b32 s0, s0, 6
	s_lshl_b64 s[2:3], s[0:1], 1
	s_waitcnt lgkmcnt(1)
	v_and_b32_e32 v1, 0xffff0000, v2
	v_add_f32_e32 v1, 0, v1
	v_and_b32_e32 v3, 0xffff0000, v4
	v_and_b32_e32 v1, 0xffff0000, v1
	v_add_f32_e32 v1, v1, v3
	s_waitcnt lgkmcnt(0)
	v_and_b32_e32 v5, 0xffff0000, v6
	v_and_b32_e32 v1, 0xffff0000, v1
	v_add_f32_e32 v1, v1, v5
	v_and_b32_e32 v1, 0xffff0000, v1
	v_and_b32_e32 v3, 0xffff0000, v8
	v_add_f32_e32 v7, v1, v3
	v_lshlrev_b32_e32 v1, 16, v2
	s_add_u32 s2, s26, s2
	v_add_f32_e32 v1, 0, v1
	s_addc_u32 s3, s27, s3
	s_lshl_b32 s0, s24, 6
	v_and_b32_e32 v1, 0xffff0000, v1
	v_lshlrev_b32_e32 v2, 16, v4
	s_lshl_b64 s[0:1], s[0:1], 1
	v_add_f32_e32 v1, v1, v2
	s_add_u32 s0, s2, s0
	v_and_b32_e32 v1, 0xffff0000, v1
	v_lshlrev_b32_e32 v2, 16, v6
	s_addc_u32 s1, s3, s1
	s_lshl_b32 s2, s5, 6
	v_add_f32_e32 v1, v1, v2
	v_and_b32_e32 v1, 0xffff0000, v1
	v_lshlrev_b32_e32 v2, 16, v8
	s_mul_i32 s3, s2, s4
	v_add_f32_e32 v1, v1, v2
	v_or_b32_e32 v2, s3, v0
	v_mov_b32_e32 v3, 0
	s_add_i32 s3, s3, s2
	v_lshl_add_u64 v[4:5], v[2:3], 1, s[0:1]
	v_or_b32_e32 v2, s3, v0
	global_store_short_d16_hi v[4:5], v1, off
	v_lshl_add_u64 v[0:1], v[2:3], 1, s[0:1]
	global_store_short_d16_hi v[0:1], v7, off
.LBB1149_23:
	s_endpgm
	.section	.rodata,"a",@progbits
	.p2align	6, 0x0
	.amdhsa_kernel _Z38paged_attention_ll4mi_QKV_mfma4_kernelI14__hip_bfloat16hLN4vllm18Fp8KVCacheDataTypeE1ES0_Li16ELi64ELi256ELb0ELi2EEvPKT_PKT0_S8_ifPKiSA_SA_iPKfiiiPfSD_PS3_PT2_iSC_SC_
		.amdhsa_group_segment_fixed_size 2720
		.amdhsa_private_segment_fixed_size 0
		.amdhsa_kernarg_size 400
		.amdhsa_user_sgpr_count 2
		.amdhsa_user_sgpr_dispatch_ptr 0
		.amdhsa_user_sgpr_queue_ptr 0
		.amdhsa_user_sgpr_kernarg_segment_ptr 1
		.amdhsa_user_sgpr_dispatch_id 0
		.amdhsa_user_sgpr_kernarg_preload_length 0
		.amdhsa_user_sgpr_kernarg_preload_offset 0
		.amdhsa_user_sgpr_private_segment_size 0
		.amdhsa_uses_dynamic_stack 0
		.amdhsa_enable_private_segment 0
		.amdhsa_system_sgpr_workgroup_id_x 1
		.amdhsa_system_sgpr_workgroup_id_y 1
		.amdhsa_system_sgpr_workgroup_id_z 1
		.amdhsa_system_sgpr_workgroup_info 0
		.amdhsa_system_vgpr_workitem_id 0
		.amdhsa_next_free_vgpr 88
		.amdhsa_next_free_sgpr 42
		.amdhsa_accum_offset 84
		.amdhsa_reserve_vcc 1
		.amdhsa_float_round_mode_32 0
		.amdhsa_float_round_mode_16_64 0
		.amdhsa_float_denorm_mode_32 3
		.amdhsa_float_denorm_mode_16_64 3
		.amdhsa_dx10_clamp 1
		.amdhsa_ieee_mode 1
		.amdhsa_fp16_overflow 0
		.amdhsa_tg_split 0
		.amdhsa_exception_fp_ieee_invalid_op 0
		.amdhsa_exception_fp_denorm_src 0
		.amdhsa_exception_fp_ieee_div_zero 0
		.amdhsa_exception_fp_ieee_overflow 0
		.amdhsa_exception_fp_ieee_underflow 0
		.amdhsa_exception_fp_ieee_inexact 0
		.amdhsa_exception_int_div_zero 0
	.end_amdhsa_kernel
	.section	.text._Z38paged_attention_ll4mi_QKV_mfma4_kernelI14__hip_bfloat16hLN4vllm18Fp8KVCacheDataTypeE1ES0_Li16ELi64ELi256ELb0ELi2EEvPKT_PKT0_S8_ifPKiSA_SA_iPKfiiiPfSD_PS3_PT2_iSC_SC_,"axG",@progbits,_Z38paged_attention_ll4mi_QKV_mfma4_kernelI14__hip_bfloat16hLN4vllm18Fp8KVCacheDataTypeE1ES0_Li16ELi64ELi256ELb0ELi2EEvPKT_PKT0_S8_ifPKiSA_SA_iPKfiiiPfSD_PS3_PT2_iSC_SC_,comdat
.Lfunc_end1149:
	.size	_Z38paged_attention_ll4mi_QKV_mfma4_kernelI14__hip_bfloat16hLN4vllm18Fp8KVCacheDataTypeE1ES0_Li16ELi64ELi256ELb0ELi2EEvPKT_PKT0_S8_ifPKiSA_SA_iPKfiiiPfSD_PS3_PT2_iSC_SC_, .Lfunc_end1149-_Z38paged_attention_ll4mi_QKV_mfma4_kernelI14__hip_bfloat16hLN4vllm18Fp8KVCacheDataTypeE1ES0_Li16ELi64ELi256ELb0ELi2EEvPKT_PKT0_S8_ifPKiSA_SA_iPKfiiiPfSD_PS3_PT2_iSC_SC_
                                        ; -- End function
	.section	.AMDGPU.csdata,"",@progbits
; Kernel info:
; codeLenInByte = 4064
; NumSgprs: 48
; NumVgprs: 82
; NumAgprs: 4
; TotalNumVgprs: 88
; ScratchSize: 0
; MemoryBound: 0
; FloatMode: 240
; IeeeMode: 1
; LDSByteSize: 2720 bytes/workgroup (compile time only)
; SGPRBlocks: 5
; VGPRBlocks: 10
; NumSGPRsForWavesPerEU: 48
; NumVGPRsForWavesPerEU: 88
; AccumOffset: 84
; Occupancy: 5
; WaveLimiterHint : 1
; COMPUTE_PGM_RSRC2:SCRATCH_EN: 0
; COMPUTE_PGM_RSRC2:USER_SGPR: 2
; COMPUTE_PGM_RSRC2:TRAP_HANDLER: 0
; COMPUTE_PGM_RSRC2:TGID_X_EN: 1
; COMPUTE_PGM_RSRC2:TGID_Y_EN: 1
; COMPUTE_PGM_RSRC2:TGID_Z_EN: 1
; COMPUTE_PGM_RSRC2:TIDIG_COMP_CNT: 0
; COMPUTE_PGM_RSRC3_GFX90A:ACCUM_OFFSET: 20
; COMPUTE_PGM_RSRC3_GFX90A:TG_SPLIT: 0
	.section	.text._Z38paged_attention_ll4mi_QKV_mfma4_kernelI14__hip_bfloat16hLN4vllm18Fp8KVCacheDataTypeE1ES0_Li16ELi64ELi256ELb0ELi3EEvPKT_PKT0_S8_ifPKiSA_SA_iPKfiiiPfSD_PS3_PT2_iSC_SC_,"axG",@progbits,_Z38paged_attention_ll4mi_QKV_mfma4_kernelI14__hip_bfloat16hLN4vllm18Fp8KVCacheDataTypeE1ES0_Li16ELi64ELi256ELb0ELi3EEvPKT_PKT0_S8_ifPKiSA_SA_iPKfiiiPfSD_PS3_PT2_iSC_SC_,comdat
	.protected	_Z38paged_attention_ll4mi_QKV_mfma4_kernelI14__hip_bfloat16hLN4vllm18Fp8KVCacheDataTypeE1ES0_Li16ELi64ELi256ELb0ELi3EEvPKT_PKT0_S8_ifPKiSA_SA_iPKfiiiPfSD_PS3_PT2_iSC_SC_ ; -- Begin function _Z38paged_attention_ll4mi_QKV_mfma4_kernelI14__hip_bfloat16hLN4vllm18Fp8KVCacheDataTypeE1ES0_Li16ELi64ELi256ELb0ELi3EEvPKT_PKT0_S8_ifPKiSA_SA_iPKfiiiPfSD_PS3_PT2_iSC_SC_
	.globl	_Z38paged_attention_ll4mi_QKV_mfma4_kernelI14__hip_bfloat16hLN4vllm18Fp8KVCacheDataTypeE1ES0_Li16ELi64ELi256ELb0ELi3EEvPKT_PKT0_S8_ifPKiSA_SA_iPKfiiiPfSD_PS3_PT2_iSC_SC_
	.p2align	8
	.type	_Z38paged_attention_ll4mi_QKV_mfma4_kernelI14__hip_bfloat16hLN4vllm18Fp8KVCacheDataTypeE1ES0_Li16ELi64ELi256ELb0ELi3EEvPKT_PKT0_S8_ifPKiSA_SA_iPKfiiiPfSD_PS3_PT2_iSC_SC_,@function
_Z38paged_attention_ll4mi_QKV_mfma4_kernelI14__hip_bfloat16hLN4vllm18Fp8KVCacheDataTypeE1ES0_Li16ELi64ELi256ELb0ELi3EEvPKT_PKT0_S8_ifPKiSA_SA_iPKfiiiPfSD_PS3_PT2_iSC_SC_: ; @_Z38paged_attention_ll4mi_QKV_mfma4_kernelI14__hip_bfloat16hLN4vllm18Fp8KVCacheDataTypeE1ES0_Li16ELi64ELi256ELb0ELi3EEvPKT_PKT0_S8_ifPKiSA_SA_iPKfiiiPfSD_PS3_PT2_iSC_SC_
; %bb.0:
	s_load_dwordx2 s[20:21], s[0:1], 0x30
	s_mov_b32 s24, s3
	s_mov_b64 s[6:7], 0
	s_waitcnt lgkmcnt(0)
	s_cmp_lg_u64 s[20:21], 0
	s_cselect_b64 s[22:23], -1, 0
	s_and_b64 vcc, exec, s[22:23]
	s_cbranch_vccz .LBB1150_10
; %bb.1:
	s_add_i32 s8, s2, 1
	s_mov_b32 s9, 0
	s_lshl_b64 s[10:11], s[8:9], 2
	s_add_u32 s10, s20, s10
	s_mov_b32 s3, s9
	s_addc_u32 s11, s21, s11
	s_lshl_b64 s[8:9], s[2:3], 2
	s_add_u32 s8, s20, s8
	s_addc_u32 s9, s21, s9
	s_load_dword s5, s[10:11], 0x0
	s_load_dword s12, s[8:9], 0x0
	s_waitcnt lgkmcnt(0)
	s_sub_i32 s5, s5, s12
	s_cmp_eq_u32 s5, 1
	s_cselect_b64 s[8:9], -1, 0
	s_andn2_b64 vcc, exec, s[6:7]
	s_cbranch_vccnz .LBB1150_3
.LBB1150_2:
	s_mov_b32 s3, 0
	s_mov_b64 s[8:9], -1
.LBB1150_3:
	s_andn2_b64 vcc, exec, s[8:9]
	s_cbranch_vccnz .LBB1150_23
; %bb.4:
	s_load_dword s5, s[0:1], 0x9c
	s_load_dwordx2 s[6:7], s[0:1], 0x28
	s_add_u32 s28, s0, 0x90
	s_addc_u32 s29, s1, 0
	s_lshl_b64 s[34:35], s[2:3], 2
	s_waitcnt lgkmcnt(0)
	s_and_b32 s5, s5, 0xffff
	s_add_u32 s6, s6, s34
	s_addc_u32 s7, s7, s35
	s_load_dword s3, s[6:7], 0x0
	s_mul_i32 s10, s24, s5
	s_waitcnt lgkmcnt(0)
	s_cmp_ge_i32 s10, s3
	s_cbranch_scc1 .LBB1150_23
; %bb.5:
	v_and_b32_e32 v2, 0xc0, v0
	v_add_u32_e32 v4, s10, v2
	v_lshrrev_b32_e32 v1, 6, v0
	v_cmp_gt_i32_e64 s[6:7], s3, v4
	v_cmp_le_i32_e32 vcc, s3, v4
                                        ; implicit-def: $sgpr25
                                        ; implicit-def: $sgpr11
	s_and_saveexec_b64 s[8:9], vcc
	s_xor_b64 s[8:9], exec, s[8:9]
	s_cbranch_execz .LBB1150_7
; %bb.6:
	v_mul_u32_u24_e32 v2, 20, v1
	v_or_b32_e32 v2, 0xa00, v2
	v_mov_b32_e32 v3, 0xa50
	v_mov_b32_e32 v4, 0xff7fffff
	v_mad_u32_u24 v3, v1, 20, v3
	ds_write2_b32 v2, v4, v4 offset1:1
	v_mov_b32_e32 v2, 0
	ds_write2_b32 v3, v2, v2 offset1:1
	v_mov_b32_e32 v3, 0xa08
	s_mov_b32 s11, 0xff7fffff
	s_mov_b32 s25, 0
	v_mad_u32_u24 v3, v1, 20, v3
	v_mov_b32_e32 v5, 0xa58
	v_mad_u32_u24 v5, v1, 20, v5
	ds_write2_b32 v3, v4, v4 offset1:1
	ds_write2_b32 v5, v2, v2 offset1:1
                                        ; implicit-def: $vgpr4
.LBB1150_7:
	s_or_saveexec_b64 s[30:31], s[8:9]
	s_load_dwordx2 s[26:27], s[0:1], 0x68
	s_load_dwordx4 s[16:19], s[0:1], 0x58
	s_load_dword s5, s[28:29], 0x4
	s_load_dwordx4 s[12:15], s[0:1], 0x80
	v_and_b32_e32 v24, 63, v0
	v_and_b32_e32 v22, 3, v0
	v_mov_b32_e32 v21, s25
	v_mov_b32_e32 v25, s11
	;; [unrolled: 1-line block ×5, first 2 shown]
                                        ; implicit-def: $vgpr6_vgpr7
                                        ; implicit-def: $vgpr2_vgpr3
                                        ; implicit-def: $vgpr14_vgpr15
                                        ; implicit-def: $vgpr10_vgpr11
	s_xor_b64 exec, exec, s[30:31]
	s_cbranch_execz .LBB1150_17
; %bb.8:
	s_load_dwordx2 s[8:9], s[0:1], 0x20
	s_load_dword s11, s[0:1], 0x38
	s_add_i32 s25, s3, 15
	s_ashr_i32 s33, s25, 31
	s_lshr_b32 s33, s33, 28
	v_add_u32_e32 v23, s10, v0
	s_add_i32 s25, s25, s33
	v_ashrrev_i32_e32 v2, 31, v23
	s_ashr_i32 s25, s25, 4
	v_lshrrev_b32_e32 v2, 28, v2
	s_add_i32 s25, s25, -1
	s_waitcnt lgkmcnt(0)
	s_mul_i32 s36, s2, s11
	s_mov_b32 s37, 0
	v_add_u32_e32 v2, v23, v2
	s_lshl_b64 s[36:37], s[36:37], 2
	v_ashrrev_i32_e32 v2, 4, v2
	v_mov_b32_e32 v3, s25
	v_cmp_gt_i32_e32 vcc, s3, v23
	s_add_u32 s8, s8, s36
	s_addc_u32 s9, s9, s37
	v_cndmask_b32_e32 v2, v3, v2, vcc
	v_ashrrev_i32_e32 v3, 31, v2
	v_lshl_add_u64 v[8:9], v[2:3], 2, s[8:9]
	v_ashrrev_i32_e32 v2, 31, v4
	v_lshrrev_b32_e32 v2, 28, v2
	v_add_u32_e32 v2, v4, v2
	v_ashrrev_i32_e32 v4, 4, v2
	v_min_i32_e32 v2, s25, v4
	v_ashrrev_i32_e32 v3, 31, v2
	v_lshl_add_u64 v[10:11], v[2:3], 2, s[8:9]
	v_add_u32_e32 v2, 1, v4
	v_min_i32_e32 v2, s25, v2
	v_ashrrev_i32_e32 v3, 31, v2
	v_lshl_add_u64 v[12:13], v[2:3], 2, s[8:9]
	v_add_u32_e32 v2, 2, v4
	v_min_i32_e32 v2, s25, v2
	v_ashrrev_i32_e32 v3, 31, v2
	v_lshl_add_u64 v[14:15], v[2:3], 2, s[8:9]
	v_add_u32_e32 v2, 3, v4
	v_min_i32_e32 v2, s25, v2
	v_ashrrev_i32_e32 v3, 31, v2
	v_lshl_add_u64 v[16:17], v[2:3], 2, s[8:9]
	global_load_dword v2, v[8:9], off
	global_load_dword v7, v[10:11], off
	;; [unrolled: 1-line block ×5, first 2 shown]
	s_load_dwordx4 s[8:11], s[0:1], 0x8
	s_andn2_b64 vcc, exec, s[22:23]
	s_cbranch_vccnz .LBB1150_11
; %bb.9:
	s_add_u32 s20, s20, s34
	s_addc_u32 s21, s21, s35
	s_load_dword s25, s[20:21], 0x0
	s_branch .LBB1150_12
.LBB1150_10:
	s_mov_b64 s[8:9], 0
	s_branch .LBB1150_2
.LBB1150_11:
	s_mov_b32 s25, s2
.LBB1150_12:
	s_load_dwordx4 s[20:23], s[0:1], 0x48
	v_cmp_ne_u32_e32 vcc, 3, v22
	s_mov_b32 s37, 0
	v_mov_b32_e32 v25, 1.0
	v_mov_b32_e32 v3, 0
	v_mov_b32_e32 v10, 0
	;; [unrolled: 1-line block ×5, first 2 shown]
	s_and_saveexec_b64 s[34:35], vcc
	s_cbranch_execz .LBB1150_14
; %bb.13:
	s_load_dwordx2 s[38:39], s[0:1], 0x0
	s_waitcnt lgkmcnt(0)
	s_ashr_i32 s23, s20, 31
	s_mul_hi_u32 s33, s25, s20
	s_mul_i32 s23, s25, s23
	s_add_i32 s41, s33, s23
	s_mul_i32 s40, s25, s20
	s_lshl_b64 s[40:41], s[40:41], 1
	s_add_u32 s20, s38, s40
	s_mul_i32 s36, s4, 0xc0
	s_addc_u32 s23, s39, s41
	s_lshl_b64 s[36:37], s[36:37], 1
	s_add_u32 s36, s20, s36
	v_lshlrev_b32_e32 v8, 3, v22
	v_lshrrev_b32_e32 v9, 2, v24
	s_addc_u32 s37, s23, s37
	v_add_lshl_u32 v8, v8, v9, 4
	global_load_dwordx4 v[10:13], v8, s[36:37]
	v_mov_b32_e32 v25, 0
.LBB1150_14:
	s_or_b64 exec, exec, s[34:35]
	s_waitcnt lgkmcnt(0)
	s_mul_i32 s20, s4, s22
	s_add_u32 s8, s20, s8
	s_addc_u32 s9, 0, s9
	v_mov_b64_e32 v[8:9], s[8:9]
	s_waitcnt vmcnt(4)
	v_mad_i64_i32 v[8:9], s[8:9], v2, s21, v[8:9]
	v_lshlrev_b32_e32 v2, 4, v0
	v_and_b32_e32 v2, 0xf0, v2
	v_lshl_add_u64 v[8:9], v[8:9], 0, v[2:3]
	global_load_dwordx4 v[26:29], v[8:9], off
	global_load_dwordx4 v[30:33], v[8:9], off offset:256
	global_load_dwordx4 v[18:21], v[8:9], off offset:512
	;; [unrolled: 1-line block ×3, first 2 shown]
	s_waitcnt vmcnt(7)
	v_mul_hi_i32 v2, v7, s21
	s_load_dword s9, s[0:1], 0x1c
	s_add_u32 s0, s10, s20
	s_waitcnt vmcnt(6)
	v_mul_hi_i32 v8, v6, s21
	s_waitcnt vmcnt(4)
	v_mul_hi_i32 v34, v4, s21
	v_ashrrev_i32_e32 v36, 31, v2
	s_addc_u32 s1, s11, 0
	v_lshlrev_b32_e32 v2, 4, v24
	v_mul_hi_i32 v9, v5, s21
	v_ashrrev_i32_e32 v37, 31, v8
	v_ashrrev_i32_e32 v39, 31, v34
	v_lshl_add_u64 v[34:35], s[0:1], 0, v[2:3]
	v_lshrrev_b32_e32 v2, 29, v36
	v_ashrrev_i32_e32 v38, 31, v9
	v_mad_i64_i32 v[8:9], s[0:1], v7, s21, v[2:3]
	v_lshrrev_b32_e32 v2, 29, v37
	v_and_b32_e32 v8, -8, v8
	v_mad_i64_i32 v[6:7], s[0:1], v6, s21, v[2:3]
	v_lshrrev_b32_e32 v2, 29, v38
	v_lshl_add_u64 v[36:37], v[34:35], 0, v[8:9]
	v_and_b32_e32 v6, -8, v6
	v_mad_i64_i32 v[8:9], s[0:1], v5, s21, v[2:3]
	v_lshrrev_b32_e32 v2, 29, v39
	v_lshl_add_u64 v[38:39], v[34:35], 0, v[6:7]
	v_and_b32_e32 v8, -8, v8
	v_mad_i64_i32 v[40:41], s[0:1], v4, s21, v[2:3]
	v_lshl_add_u64 v[42:43], v[34:35], 0, v[8:9]
	global_load_dwordx4 v[6:9], v[36:37], off
	global_load_dwordx4 v[2:5], v[38:39], off
	v_and_b32_e32 v40, -8, v40
	v_lshl_add_u64 v[34:35], v[34:35], 0, v[40:41]
	s_mov_b32 s8, 0x7060302
	s_load_dword s0, s[12:13], 0x0
	v_cmp_eq_u32_e32 vcc, 0, v22
	s_waitcnt vmcnt(5)
	v_cvt_pk_f32_fp8_e32 v[36:37], v26
	v_cvt_pk_f32_fp8_sdwa v[38:39], v26 src0_sel:WORD_1
	v_cvt_pk_f32_fp8_e32 v[40:41], v27
	v_cvt_pk_f32_fp8_sdwa v[26:27], v27 src0_sel:WORD_1
	;; [unrolled: 2-line block ×3, first 2 shown]
	v_perm_b32 v36, v37, v36, s8
	v_perm_b32 v37, v39, v38, s8
	v_cvt_pk_f32_fp8_e32 v[48:49], v29
	v_cvt_pk_f32_fp8_sdwa v[28:29], v29 src0_sel:WORD_1
	v_mfma_f32_4x4x4_16b_bf16 a[0:3], v[10:11], v[36:37], 0 cbsz:4
	v_perm_b32 v40, v41, v40, s8
	v_perm_b32 v41, v27, v26, s8
	s_waitcnt vmcnt(4)
	v_cvt_pk_f32_fp8_e32 v[50:51], v30
	v_cvt_pk_f32_fp8_sdwa v[52:53], v30 src0_sel:WORD_1
	v_mfma_f32_4x4x4_16b_bf16 a[0:3], v[12:13], v[40:41], a[0:3] cbsz:4
	v_perm_b32 v44, v45, v44, s8
	v_perm_b32 v45, v47, v46, s8
	v_cvt_pk_f32_fp8_e32 v[54:55], v31
	v_cvt_pk_f32_fp8_sdwa v[30:31], v31 src0_sel:WORD_1
	v_mfma_f32_4x4x4_16b_bf16 a[0:3], v[10:11], v[44:45], a[0:3] cbsz:4 abid:1
	v_perm_b32 v46, v49, v48, s8
	v_perm_b32 v47, v29, v28, s8
	v_cvt_pk_f32_fp8_e32 v[56:57], v32
	v_cvt_pk_f32_fp8_sdwa v[58:59], v32 src0_sel:WORD_1
	v_mfma_f32_4x4x4_16b_bf16 a[0:3], v[12:13], v[46:47], a[0:3] cbsz:4 abid:1
	;; [unrolled: 5-line block ×3, first 2 shown]
	v_perm_b32 v48, v55, v54, s8
	v_perm_b32 v49, v31, v30, s8
	s_waitcnt vmcnt(3)
	v_cvt_pk_f32_fp8_e32 v[62:63], v18
	v_cvt_pk_f32_fp8_sdwa v[64:65], v18 src0_sel:WORD_1
	v_mfma_f32_4x4x4_16b_bf16 a[0:3], v[12:13], v[48:49], a[0:3] cbsz:4 abid:2
	v_perm_b32 v30, v57, v56, s8
	v_perm_b32 v31, v59, v58, s8
	v_cvt_pk_f32_fp8_e32 v[66:67], v19
	v_cvt_pk_f32_fp8_sdwa v[18:19], v19 src0_sel:WORD_1
	v_mfma_f32_4x4x4_16b_bf16 a[0:3], v[10:11], v[30:31], a[0:3] cbsz:4 abid:3
	v_perm_b32 v36, v61, v60, s8
	v_perm_b32 v37, v33, v32, s8
	;; [unrolled: 5-line block ×4, first 2 shown]
	s_waitcnt vmcnt(2)
	v_cvt_pk_f32_fp8_e32 v[74:75], v14
	v_cvt_pk_f32_fp8_sdwa v[38:39], v14 src0_sel:WORD_1
	v_mfma_f32_4x4x4_16b_bf16 a[0:3], v[12:13], v[28:29], a[0:3] cbsz:4 abid:4
	v_perm_b32 v18, v69, v68, s8
	v_perm_b32 v19, v71, v70, s8
	v_cvt_pk_f32_fp8_e32 v[26:27], v15
	v_cvt_pk_f32_fp8_sdwa v[14:15], v15 src0_sel:WORD_1
	v_mfma_f32_4x4x4_16b_bf16 a[0:3], v[10:11], v[18:19], a[0:3] cbsz:4 abid:5
	v_perm_b32 v30, v73, v72, s8
	v_perm_b32 v31, v21, v20, s8
	;; [unrolled: 1-line block ×4, first 2 shown]
	v_mfma_f32_4x4x4_16b_bf16 a[0:3], v[12:13], v[30:31], a[0:3] cbsz:4 abid:5
	v_perm_b32 v21, v15, v14, s8
	v_cvt_pk_f32_fp8_e32 v[14:15], v16
	v_mfma_f32_4x4x4_16b_bf16 a[0:3], v[10:11], v[18:19], a[0:3] cbsz:4 abid:6
	v_cvt_pk_f32_fp8_sdwa v[18:19], v16 src0_sel:WORD_1
	v_perm_b32 v20, v27, v26, s8
	v_perm_b32 v14, v15, v14, s8
	;; [unrolled: 1-line block ×3, first 2 shown]
	v_mfma_f32_4x4x4_16b_bf16 a[0:3], v[12:13], v[20:21], a[0:3] cbsz:4 abid:6
	v_cvt_pk_f32_fp8_e32 v[20:21], v17
	v_cvt_pk_f32_fp8_sdwa v[16:17], v17 src0_sel:WORD_1
	v_mfma_f32_4x4x4_16b_bf16 a[0:3], v[10:11], v[14:15], a[0:3] cbsz:4 abid:7
	s_waitcnt lgkmcnt(0)
	v_mov_b32_e32 v10, s9
	v_perm_b32 v18, v21, v20, s8
	v_perm_b32 v19, v17, v16, s8
	s_nop 1
	v_mfma_f32_4x4x4_16b_bf16 a[0:3], v[12:13], v[18:19], a[0:3] cbsz:4 abid:7
	v_mul_f32_e32 v12, s0, v10
	s_nop 3
	v_accvgpr_read_b32 v15, a1
	v_accvgpr_read_b32 v14, a0
	v_pk_mul_f32 v[14:15], v[14:15], v[12:13] op_sel_hi:[1,0]
	v_accvgpr_read_b32 v11, a3
	v_accvgpr_read_b32 v10, a2
	v_pk_mul_f32 v[18:19], v[10:11], v[12:13] op_sel_hi:[1,0]
	v_cndmask_b32_e64 v10, 0, 1.0, vcc
	v_cmp_eq_u32_e32 vcc, 1, v22
	s_nop 0
	v_mfma_f32_4x4x1_16b_f32 a[0:3], v14, v10, 0
	v_cndmask_b32_e64 v10, 0, 1.0, vcc
	v_cmp_eq_u32_e32 vcc, 2, v22
	s_nop 0
	v_mfma_f32_4x4x1_16b_f32 a[0:3], v15, v10, a[0:3]
	v_cndmask_b32_e64 v10, 0, 1.0, vcc
	s_nop 1
	v_mfma_f32_4x4x1_16b_f32 a[0:3], v18, v10, a[0:3]
	global_load_dwordx4 v[14:17], v[42:43], off
	global_load_dwordx4 v[10:13], v[34:35], off
	v_mfma_f32_4x4x1_16b_f32 a[0:3], v19, v25, a[0:3]
	v_and_b32_e32 v18, -4, v23
	v_mov_b32_e32 v25, 0xff7fffff
	v_cmp_gt_i32_e32 vcc, s3, v18
	v_lshlrev_b32_e32 v19, 2, v0
	v_accvgpr_read_b32 v20, a0
	v_max_f32_e32 v21, v20, v20
	v_max_f32_e32 v21, 0xff7fffff, v21
	v_accvgpr_read_b32 v26, a1
	v_cndmask_b32_e32 v21, v25, v21, vcc
	v_or_b32_e32 v25, 1, v18
	v_max_f32_e32 v27, v26, v26
	v_max_f32_e32 v27, v21, v27
	v_cmp_gt_i32_e64 s[0:1], s3, v25
	v_or_b32_e32 v18, 2, v18
	v_cmp_gt_i32_e64 s[8:9], s3, v18
	v_cndmask_b32_e64 v21, v21, v27, s[0:1]
	v_accvgpr_read_b32 v27, a2
	v_max_f32_e32 v25, v27, v27
	v_max_f32_e32 v25, v21, v25
	v_cndmask_b32_e64 v18, v21, v25, s[8:9]
	v_or_b32_e32 v21, 3, v23
	v_accvgpr_read_b32 v23, a3
	v_max_f32_e32 v25, v23, v23
	v_max_f32_e32 v25, v18, v25
	v_cmp_gt_i32_e64 s[10:11], s3, v21
	v_and_or_b32 v19, v19, 48, v22
	v_lshlrev_b32_e32 v28, 2, v19
	v_cndmask_b32_e64 v18, v18, v25, s[10:11]
	;;#ASMSTART
	v_nop
 v_nop
 v_max_f32_dpp v18, v18, v18 row_ror:4
	;;#ASMEND
	s_nop 0
	;;#ASMSTART
	v_nop
 v_nop
 v_max_f32_dpp v18, v18, v18 row_ror:8
	;;#ASMEND
	ds_bpermute_b32 v18, v28, v18
	s_waitcnt lgkmcnt(0)
	;;#ASMSTART
	v_nop
 v_nop
 v_max_f32_dpp v18, v18, v18 row_ror:4
	;;#ASMEND
	s_nop 0
	;;#ASMSTART
	v_nop
 v_nop
 v_max_f32_dpp v25, v18, v18 row_ror:8
	;;#ASMEND
	s_nop 0
	v_sub_f32_e32 v18, v20, v25
	v_mul_f32_e32 v18, 0x3fb8aa3b, v18
	v_sub_f32_e32 v19, v26, v25
	v_exp_f32_e32 v18, v18
	v_mul_f32_e32 v19, 0x3fb8aa3b, v19
	v_sub_f32_e32 v21, v27, v25
	v_exp_f32_e32 v19, v19
	;; [unrolled: 3-line block ×3, first 2 shown]
	v_mul_f32_e32 v23, 0x3fb8aa3b, v23
	v_exp_f32_e32 v23, v23
	v_cndmask_b32_e32 v18, 0, v18, vcc
	v_add_f32_e32 v20, 0, v18
	v_cndmask_b32_e64 v19, 0, v19, s[0:1]
	v_add_f32_e32 v26, v20, v19
	v_cndmask_b32_e64 v20, 0, v21, s[8:9]
	;; [unrolled: 2-line block ×3, first 2 shown]
	v_add_f32_e32 v23, v26, v21
	;;#ASMSTART
	v_nop
 v_nop
 v_add_f32_dpp v23, v23, v23 row_ror:4
	;;#ASMEND
	v_cmp_gt_u32_e32 vcc, 4, v24
	;;#ASMSTART
	v_nop
 v_nop
 v_add_f32_dpp v23, v23, v23 row_ror:8
	;;#ASMEND
	ds_bpermute_b32 v23, v28, v23
	s_waitcnt lgkmcnt(0)
	;;#ASMSTART
	v_nop
 v_nop
 v_add_f32_dpp v23, v23, v23 row_ror:4
	;;#ASMEND
	s_nop 0
	;;#ASMSTART
	v_nop
 v_nop
 v_add_f32_dpp v23, v23, v23 row_ror:8
	;;#ASMEND
	s_and_saveexec_b64 s[0:1], vcc
	s_cbranch_execz .LBB1150_16
; %bb.15:
	v_mul_u32_u24_e32 v26, 20, v1
	v_lshl_add_u32 v26, v22, 2, v26
	v_add_u32_e32 v26, 0x800, v26
	ds_write2_b32 v26, v25, v23 offset0:128 offset1:148
.LBB1150_16:
	s_or_b64 exec, exec, s[0:1]
.LBB1150_17:
	s_or_b64 exec, exec, s[30:31]
	s_waitcnt lgkmcnt(0)
	s_barrier
	s_load_dword s0, s[28:29], 0x8
	v_lshlrev_b32_e32 v23, 2, v22
	v_add_u32_e32 v23, 0x800, v23
	ds_read2_b32 v[28:29], v23 offset0:128 offset1:133
	ds_read2_b32 v[30:31], v23 offset0:138 offset1:143
	s_mul_i32 s1, s2, s5
	s_waitcnt lgkmcnt(0)
	s_mul_i32 s0, s1, s0
	s_mov_b32 s1, 0xff7fffff
	v_max3_f32 v26, v28, s1, v29
	v_max3_f32 v26, v26, v30, v31
	v_sub_f32_e32 v27, v28, v26
	v_sub_f32_e32 v28, v29, v26
	ds_read2_b32 v[32:33], v23 offset0:148 offset1:153
	v_mul_f32_e32 v27, 0x3fb8aa3b, v27
	v_mul_f32_e32 v28, 0x3fb8aa3b, v28
	v_exp_f32_e32 v27, v27
	v_exp_f32_e32 v34, v28
	ds_read2_b32 v[28:29], v23 offset0:158 offset1:163
	v_sub_f32_e32 v23, v30, v26
	v_mul_f32_e32 v23, 0x3fb8aa3b, v23
	v_sub_f32_e32 v30, v31, v26
	v_exp_f32_e32 v23, v23
	v_mul_f32_e32 v30, 0x3fb8aa3b, v30
	v_exp_f32_e32 v30, v30
	s_waitcnt lgkmcnt(1)
	v_fma_f32 v27, v27, v32, 0
	v_fmac_f32_e32 v27, v34, v33
	s_waitcnt lgkmcnt(0)
	v_fmac_f32_e32 v27, v23, v28
	s_mul_i32 s4, s4, 3
	s_mul_i32 s0, s0, 3
	v_fmac_f32_e32 v27, v30, v29
	v_cmp_ne_u32_e32 vcc, 3, v22
	s_and_saveexec_b64 s[2:3], vcc
	s_cbranch_execz .LBB1150_19
; %bb.18:
	s_mov_b32 s1, 0
	s_lshl_b64 s[8:9], s[0:1], 2
	s_add_u32 s12, s16, s8
	s_mov_b32 s25, s1
	s_addc_u32 s13, s17, s9
	s_lshl_b64 s[10:11], s[24:25], 2
	s_add_u32 s12, s12, s10
	s_addc_u32 s13, s13, s11
	s_add_u32 s1, s18, s8
	s_addc_u32 s9, s19, s9
	v_add_u32_e32 v22, s4, v22
	s_add_u32 s8, s1, s10
	v_mul_lo_u32 v22, s5, v22
	v_mov_b32_e32 v23, 0
	s_addc_u32 s9, s9, s11
	v_lshlrev_b64 v[22:23], 2, v[22:23]
	v_lshl_add_u64 v[28:29], s[12:13], 0, v[22:23]
	v_lshl_add_u64 v[22:23], s[8:9], 0, v[22:23]
	global_store_dword v[22:23], v26, off
	global_store_dword v[28:29], v27, off
.LBB1150_19:
	s_or_b64 exec, exec, s[2:3]
	v_mov_b32_e32 v22, 0
	v_mov_b32_e32 v23, 0
	s_and_saveexec_b64 s[2:3], s[6:7]
	s_cbranch_execz .LBB1150_21
; %bb.20:
	v_add_f32_e32 v22, 0x358637bd, v27
	v_div_scale_f32 v23, s[6:7], v22, v22, 1.0
	v_rcp_f32_e32 v27, v23
	v_div_scale_f32 v28, vcc, 1.0, v22, 1.0
	v_sub_f32_e32 v25, v25, v26
	v_fma_f32 v29, -v23, v27, 1.0
	v_fmac_f32_e32 v27, v29, v27
	v_mul_f32_e32 v29, v28, v27
	v_fma_f32 v30, -v23, v29, v28
	v_mul_f32_e32 v25, 0x3fb8aa3b, v25
	v_fmac_f32_e32 v29, v30, v27
	v_exp_f32_e32 v25, v25
	v_fma_f32 v23, -v23, v29, v28
	v_div_fmas_f32 v23, v23, v27, v29
	v_div_fixup_f32 v22, v23, v22, 1.0
	v_mul_f32_e32 v22, v25, v22
	v_pk_mul_f32 v[18:19], v[18:19], v[22:23] op_sel_hi:[1,0]
	v_pk_mul_f32 v[20:21], v[20:21], v[22:23] op_sel_hi:[1,0]
	v_bfe_u32 v22, v19, 16, 1
	v_bfe_u32 v23, v18, 16, 1
	s_movk_i32 s1, 0x7fff
	v_add3_u32 v18, v18, v23, s1
	v_add3_u32 v19, v19, v22, s1
	s_mov_b32 s7, 0x7060302
	v_perm_b32 v18, v19, v18, s7
	v_bfe_u32 v19, v21, 16, 1
	v_bfe_u32 v22, v20, 16, 1
	v_add3_u32 v22, v20, v22, s1
	v_add3_u32 v19, v21, v19, s1
	s_waitcnt vmcnt(3)
	v_cvt_pk_f32_fp8_e32 v[20:21], v6
	v_perm_b32 v19, v19, v22, s7
	v_cvt_pk_f32_fp8_sdwa v[22:23], v6 src0_sel:WORD_1
	v_cvt_pk_f32_fp8_e32 v[26:27], v7
	v_perm_b32 v6, v21, v20, s7
	v_cvt_pk_f32_fp8_sdwa v[20:21], v7 src0_sel:WORD_1
	v_perm_b32 v7, v23, v22, s7
	v_perm_b32 v22, v27, v26, s7
	s_load_dword s6, s[14:15], 0x0
	v_mfma_f32_4x4x4_16b_bf16 a[0:3], v[18:19], v[6:7], 0 cbsz:4
	v_perm_b32 v23, v21, v20, s7
	v_cvt_pk_f32_fp8_e32 v[6:7], v8
	v_cvt_pk_f32_fp8_sdwa v[20:21], v8 src0_sel:WORD_1
	v_mfma_f32_4x4x4_16b_bf16 a[0:3], v[18:19], v[22:23], a[0:3] cbsz:4 abid:1
	v_cvt_pk_f32_fp8_e32 v[22:23], v9
	v_cvt_pk_f32_fp8_sdwa v[8:9], v9 src0_sel:WORD_1
	v_perm_b32 v6, v7, v6, s7
	v_perm_b32 v7, v21, v20, s7
	;; [unrolled: 1-line block ×4, first 2 shown]
	v_mfma_f32_4x4x4_16b_bf16 a[0:3], v[18:19], v[6:7], a[0:3] cbsz:4 abid:2
	s_waitcnt vmcnt(2)
	v_cvt_pk_f32_fp8_e32 v[6:7], v2
	v_cvt_pk_f32_fp8_sdwa v[8:9], v2 src0_sel:WORD_1
	v_mfma_f32_4x4x4_16b_bf16 a[0:3], v[18:19], v[20:21], a[0:3] cbsz:4 abid:3
	v_cvt_pk_f32_fp8_e32 v[20:21], v3
	v_perm_b32 v2, v7, v6, s7
	v_cvt_pk_f32_fp8_sdwa v[6:7], v3 src0_sel:WORD_1
	v_perm_b32 v3, v9, v8, s7
	v_perm_b32 v8, v21, v20, s7
	;; [unrolled: 1-line block ×3, first 2 shown]
	v_mfma_f32_4x4x4_16b_bf16 a[0:3], v[18:19], v[2:3], a[0:3] cbsz:4 abid:4
	v_cvt_pk_f32_fp8_e32 v[2:3], v4
	v_cvt_pk_f32_fp8_sdwa v[6:7], v4 src0_sel:WORD_1
	v_mfma_f32_4x4x4_16b_bf16 a[0:3], v[18:19], v[8:9], a[0:3] cbsz:4 abid:5
	v_cvt_pk_f32_fp8_e32 v[8:9], v5
	v_cvt_pk_f32_fp8_sdwa v[4:5], v5 src0_sel:WORD_1
	v_perm_b32 v2, v3, v2, s7
	v_perm_b32 v3, v7, v6, s7
	;; [unrolled: 1-line block ×4, first 2 shown]
	v_mfma_f32_4x4x4_16b_bf16 a[0:3], v[18:19], v[2:3], a[0:3] cbsz:4 abid:6
	s_waitcnt vmcnt(1)
	v_cvt_pk_f32_fp8_e32 v[2:3], v14
	v_cvt_pk_f32_fp8_sdwa v[4:5], v14 src0_sel:WORD_1
	v_mfma_f32_4x4x4_16b_bf16 a[0:3], v[18:19], v[6:7], a[0:3] cbsz:4 abid:7
	v_cvt_pk_f32_fp8_e32 v[6:7], v15
	v_cvt_pk_f32_fp8_sdwa v[8:9], v15 src0_sel:WORD_1
	v_perm_b32 v2, v3, v2, s7
	v_perm_b32 v3, v5, v4, s7
	;; [unrolled: 1-line block ×4, first 2 shown]
	v_mfma_f32_4x4x4_16b_bf16 a[0:3], v[18:19], v[2:3], a[0:3] cbsz:4 abid:8
	v_cvt_pk_f32_fp8_e32 v[2:3], v16
	v_cvt_pk_f32_fp8_e32 v[6:7], v17
	v_mfma_f32_4x4x4_16b_bf16 a[0:3], v[18:19], v[4:5], a[0:3] cbsz:4 abid:9
	v_cvt_pk_f32_fp8_sdwa v[4:5], v16 src0_sel:WORD_1
	v_cvt_pk_f32_fp8_sdwa v[8:9], v17 src0_sel:WORD_1
	v_perm_b32 v2, v3, v2, s7
	v_perm_b32 v3, v5, v4, s7
	;; [unrolled: 1-line block ×3, first 2 shown]
	s_nop 0
	v_mfma_f32_4x4x4_16b_bf16 a[0:3], v[18:19], v[2:3], a[0:3] cbsz:4 abid:10
	v_perm_b32 v5, v9, v8, s7
	s_waitcnt vmcnt(0)
	v_cvt_pk_f32_fp8_e32 v[2:3], v10
	v_cvt_pk_f32_fp8_e32 v[6:7], v11
	v_mfma_f32_4x4x4_16b_bf16 a[0:3], v[18:19], v[4:5], a[0:3] cbsz:4 abid:11
	v_cvt_pk_f32_fp8_sdwa v[4:5], v10 src0_sel:WORD_1
	v_cvt_pk_f32_fp8_sdwa v[8:9], v11 src0_sel:WORD_1
	v_perm_b32 v2, v3, v2, s7
	v_perm_b32 v3, v5, v4, s7
	;; [unrolled: 1-line block ×3, first 2 shown]
	s_nop 0
	v_mfma_f32_4x4x4_16b_bf16 a[0:3], v[18:19], v[2:3], a[0:3] cbsz:4 abid:12
	v_perm_b32 v5, v9, v8, s7
	v_cvt_pk_f32_fp8_e32 v[2:3], v12
	v_cvt_pk_f32_fp8_e32 v[6:7], v13
	v_mfma_f32_4x4x4_16b_bf16 a[0:3], v[18:19], v[4:5], a[0:3] cbsz:4 abid:13
	v_cvt_pk_f32_fp8_sdwa v[4:5], v12 src0_sel:WORD_1
	v_cvt_pk_f32_fp8_sdwa v[8:9], v13 src0_sel:WORD_1
	v_perm_b32 v2, v3, v2, s7
	v_perm_b32 v3, v5, v4, s7
	;; [unrolled: 1-line block ×3, first 2 shown]
	s_nop 0
	v_mfma_f32_4x4x4_16b_bf16 a[0:3], v[18:19], v[2:3], a[0:3] cbsz:4 abid:14
	v_perm_b32 v5, v9, v8, s7
	s_nop 1
	v_mfma_f32_4x4x4_16b_bf16 a[0:3], v[18:19], v[4:5], a[0:3] cbsz:4 abid:15
	s_nop 4
	v_accvgpr_read_b32 v5, a1
	v_accvgpr_read_b32 v4, a0
	;; [unrolled: 1-line block ×4, first 2 shown]
	s_waitcnt lgkmcnt(0)
	v_pk_mul_f32 v[4:5], v[4:5], s[6:7] op_sel_hi:[1,0]
	v_pk_mul_f32 v[2:3], v[2:3], s[6:7] op_sel_hi:[1,0]
	v_bfe_u32 v6, v5, 16, 1
	v_bfe_u32 v7, v4, 16, 1
	v_add3_u32 v4, v4, v7, s1
	v_add3_u32 v5, v5, v6, s1
	v_bfe_u32 v6, v3, 16, 1
	v_bfe_u32 v7, v2, 16, 1
	v_add3_u32 v2, v2, v7, s1
	v_add3_u32 v3, v3, v6, s1
	v_perm_b32 v23, v3, v2, s7
	v_perm_b32 v22, v5, v4, s7
.LBB1150_21:
	s_or_b64 exec, exec, s[2:3]
	v_lshlrev_b32_e32 v1, 3, v1
	v_mad_u32_u24 v1, v24, 40, v1
	v_cmp_gt_u32_e32 vcc, 64, v0
	ds_write_b64 v1, v[22:23]
	s_waitcnt lgkmcnt(0)
	s_barrier
	s_and_saveexec_b64 s[2:3], vcc
	s_cbranch_execz .LBB1150_23
; %bb.22:
	v_mul_u32_u24_e32 v1, 40, v24
	s_waitcnt vmcnt(2)
	ds_read2_b64 v[2:5], v1 offset1:1
	ds_read2_b64 v[6:9], v1 offset0:2 offset1:3
	s_mov_b32 s1, 0
	s_lshl_b32 s0, s0, 6
	s_lshl_b64 s[2:3], s[0:1], 1
	s_waitcnt lgkmcnt(1)
	v_and_b32_e32 v1, 0xffff0000, v2
	v_lshlrev_b32_e32 v3, 16, v3
	v_add_f32_e32 v1, 0, v1
	v_add_f32_e32 v3, 0, v3
	v_and_b32_e32 v1, 0xffff0000, v1
	s_waitcnt vmcnt(0)
	v_and_b32_e32 v10, 0xffff0000, v4
	v_and_b32_e32 v3, 0xffff0000, v3
	v_add_f32_e32 v1, v1, v10
	v_lshlrev_b32_e32 v5, 16, v5
	v_and_b32_e32 v1, 0xffff0000, v1
	v_add_f32_e32 v3, v3, v5
	s_waitcnt lgkmcnt(0)
	v_and_b32_e32 v5, 0xffff0000, v6
	v_and_b32_e32 v3, 0xffff0000, v3
	v_add_f32_e32 v1, v1, v5
	v_lshlrev_b32_e32 v5, 16, v7
	v_and_b32_e32 v1, 0xffff0000, v1
	v_add_f32_e32 v3, v3, v5
	v_and_b32_e32 v5, 0xffff0000, v8
	v_lshlrev_b32_e32 v2, 16, v2
	v_and_b32_e32 v3, 0xffff0000, v3
	v_add_f32_e32 v1, v1, v5
	v_lshlrev_b32_e32 v5, 16, v9
	s_add_u32 s2, s26, s2
	v_add_f32_e32 v2, 0, v2
	v_add_f32_e32 v7, v3, v5
	s_addc_u32 s3, s27, s3
	s_lshl_b32 s0, s24, 6
	v_and_b32_e32 v2, 0xffff0000, v2
	v_lshlrev_b32_e32 v3, 16, v4
	s_lshl_b64 s[0:1], s[0:1], 1
	v_add_f32_e32 v2, v2, v3
	s_add_u32 s0, s2, s0
	v_and_b32_e32 v2, 0xffff0000, v2
	v_lshlrev_b32_e32 v3, 16, v6
	s_addc_u32 s1, s3, s1
	s_lshl_b32 s2, s5, 6
	v_add_f32_e32 v2, v2, v3
	v_and_b32_e32 v2, 0xffff0000, v2
	v_lshlrev_b32_e32 v3, 16, v8
	s_mul_i32 s3, s2, s4
	v_add_f32_e32 v6, v2, v3
	v_or_b32_e32 v2, s3, v0
	v_mov_b32_e32 v3, 0
	s_add_i32 s3, s3, s2
	v_lshl_add_u64 v[4:5], v[2:3], 1, s[0:1]
	v_or_b32_e32 v2, s3, v0
	s_add_i32 s3, s3, s2
	global_store_short_d16_hi v[4:5], v6, off
	v_lshl_add_u64 v[4:5], v[2:3], 1, s[0:1]
	v_or_b32_e32 v2, s3, v0
	global_store_short_d16_hi v[4:5], v1, off
	v_lshl_add_u64 v[0:1], v[2:3], 1, s[0:1]
	global_store_short_d16_hi v[0:1], v7, off
.LBB1150_23:
	s_endpgm
	.section	.rodata,"a",@progbits
	.p2align	6, 0x0
	.amdhsa_kernel _Z38paged_attention_ll4mi_QKV_mfma4_kernelI14__hip_bfloat16hLN4vllm18Fp8KVCacheDataTypeE1ES0_Li16ELi64ELi256ELb0ELi3EEvPKT_PKT0_S8_ifPKiSA_SA_iPKfiiiPfSD_PS3_PT2_iSC_SC_
		.amdhsa_group_segment_fixed_size 2720
		.amdhsa_private_segment_fixed_size 0
		.amdhsa_kernarg_size 400
		.amdhsa_user_sgpr_count 2
		.amdhsa_user_sgpr_dispatch_ptr 0
		.amdhsa_user_sgpr_queue_ptr 0
		.amdhsa_user_sgpr_kernarg_segment_ptr 1
		.amdhsa_user_sgpr_dispatch_id 0
		.amdhsa_user_sgpr_kernarg_preload_length 0
		.amdhsa_user_sgpr_kernarg_preload_offset 0
		.amdhsa_user_sgpr_private_segment_size 0
		.amdhsa_uses_dynamic_stack 0
		.amdhsa_enable_private_segment 0
		.amdhsa_system_sgpr_workgroup_id_x 1
		.amdhsa_system_sgpr_workgroup_id_y 1
		.amdhsa_system_sgpr_workgroup_id_z 1
		.amdhsa_system_sgpr_workgroup_info 0
		.amdhsa_system_vgpr_workitem_id 0
		.amdhsa_next_free_vgpr 80
		.amdhsa_next_free_sgpr 42
		.amdhsa_accum_offset 76
		.amdhsa_reserve_vcc 1
		.amdhsa_float_round_mode_32 0
		.amdhsa_float_round_mode_16_64 0
		.amdhsa_float_denorm_mode_32 3
		.amdhsa_float_denorm_mode_16_64 3
		.amdhsa_dx10_clamp 1
		.amdhsa_ieee_mode 1
		.amdhsa_fp16_overflow 0
		.amdhsa_tg_split 0
		.amdhsa_exception_fp_ieee_invalid_op 0
		.amdhsa_exception_fp_denorm_src 0
		.amdhsa_exception_fp_ieee_div_zero 0
		.amdhsa_exception_fp_ieee_overflow 0
		.amdhsa_exception_fp_ieee_underflow 0
		.amdhsa_exception_fp_ieee_inexact 0
		.amdhsa_exception_int_div_zero 0
	.end_amdhsa_kernel
	.section	.text._Z38paged_attention_ll4mi_QKV_mfma4_kernelI14__hip_bfloat16hLN4vllm18Fp8KVCacheDataTypeE1ES0_Li16ELi64ELi256ELb0ELi3EEvPKT_PKT0_S8_ifPKiSA_SA_iPKfiiiPfSD_PS3_PT2_iSC_SC_,"axG",@progbits,_Z38paged_attention_ll4mi_QKV_mfma4_kernelI14__hip_bfloat16hLN4vllm18Fp8KVCacheDataTypeE1ES0_Li16ELi64ELi256ELb0ELi3EEvPKT_PKT0_S8_ifPKiSA_SA_iPKfiiiPfSD_PS3_PT2_iSC_SC_,comdat
.Lfunc_end1150:
	.size	_Z38paged_attention_ll4mi_QKV_mfma4_kernelI14__hip_bfloat16hLN4vllm18Fp8KVCacheDataTypeE1ES0_Li16ELi64ELi256ELb0ELi3EEvPKT_PKT0_S8_ifPKiSA_SA_iPKfiiiPfSD_PS3_PT2_iSC_SC_, .Lfunc_end1150-_Z38paged_attention_ll4mi_QKV_mfma4_kernelI14__hip_bfloat16hLN4vllm18Fp8KVCacheDataTypeE1ES0_Li16ELi64ELi256ELb0ELi3EEvPKT_PKT0_S8_ifPKiSA_SA_iPKfiiiPfSD_PS3_PT2_iSC_SC_
                                        ; -- End function
	.section	.AMDGPU.csdata,"",@progbits
; Kernel info:
; codeLenInByte = 4148
; NumSgprs: 48
; NumVgprs: 76
; NumAgprs: 4
; TotalNumVgprs: 80
; ScratchSize: 0
; MemoryBound: 0
; FloatMode: 240
; IeeeMode: 1
; LDSByteSize: 2720 bytes/workgroup (compile time only)
; SGPRBlocks: 5
; VGPRBlocks: 9
; NumSGPRsForWavesPerEU: 48
; NumVGPRsForWavesPerEU: 80
; AccumOffset: 76
; Occupancy: 6
; WaveLimiterHint : 1
; COMPUTE_PGM_RSRC2:SCRATCH_EN: 0
; COMPUTE_PGM_RSRC2:USER_SGPR: 2
; COMPUTE_PGM_RSRC2:TRAP_HANDLER: 0
; COMPUTE_PGM_RSRC2:TGID_X_EN: 1
; COMPUTE_PGM_RSRC2:TGID_Y_EN: 1
; COMPUTE_PGM_RSRC2:TGID_Z_EN: 1
; COMPUTE_PGM_RSRC2:TIDIG_COMP_CNT: 0
; COMPUTE_PGM_RSRC3_GFX90A:ACCUM_OFFSET: 18
; COMPUTE_PGM_RSRC3_GFX90A:TG_SPLIT: 0
	.section	.text._Z38paged_attention_ll4mi_QKV_mfma4_kernelI14__hip_bfloat16hLN4vllm18Fp8KVCacheDataTypeE1ES0_Li16ELi64ELi256ELb0ELi4EEvPKT_PKT0_S8_ifPKiSA_SA_iPKfiiiPfSD_PS3_PT2_iSC_SC_,"axG",@progbits,_Z38paged_attention_ll4mi_QKV_mfma4_kernelI14__hip_bfloat16hLN4vllm18Fp8KVCacheDataTypeE1ES0_Li16ELi64ELi256ELb0ELi4EEvPKT_PKT0_S8_ifPKiSA_SA_iPKfiiiPfSD_PS3_PT2_iSC_SC_,comdat
	.protected	_Z38paged_attention_ll4mi_QKV_mfma4_kernelI14__hip_bfloat16hLN4vllm18Fp8KVCacheDataTypeE1ES0_Li16ELi64ELi256ELb0ELi4EEvPKT_PKT0_S8_ifPKiSA_SA_iPKfiiiPfSD_PS3_PT2_iSC_SC_ ; -- Begin function _Z38paged_attention_ll4mi_QKV_mfma4_kernelI14__hip_bfloat16hLN4vllm18Fp8KVCacheDataTypeE1ES0_Li16ELi64ELi256ELb0ELi4EEvPKT_PKT0_S8_ifPKiSA_SA_iPKfiiiPfSD_PS3_PT2_iSC_SC_
	.globl	_Z38paged_attention_ll4mi_QKV_mfma4_kernelI14__hip_bfloat16hLN4vllm18Fp8KVCacheDataTypeE1ES0_Li16ELi64ELi256ELb0ELi4EEvPKT_PKT0_S8_ifPKiSA_SA_iPKfiiiPfSD_PS3_PT2_iSC_SC_
	.p2align	8
	.type	_Z38paged_attention_ll4mi_QKV_mfma4_kernelI14__hip_bfloat16hLN4vllm18Fp8KVCacheDataTypeE1ES0_Li16ELi64ELi256ELb0ELi4EEvPKT_PKT0_S8_ifPKiSA_SA_iPKfiiiPfSD_PS3_PT2_iSC_SC_,@function
_Z38paged_attention_ll4mi_QKV_mfma4_kernelI14__hip_bfloat16hLN4vllm18Fp8KVCacheDataTypeE1ES0_Li16ELi64ELi256ELb0ELi4EEvPKT_PKT0_S8_ifPKiSA_SA_iPKfiiiPfSD_PS3_PT2_iSC_SC_: ; @_Z38paged_attention_ll4mi_QKV_mfma4_kernelI14__hip_bfloat16hLN4vllm18Fp8KVCacheDataTypeE1ES0_Li16ELi64ELi256ELb0ELi4EEvPKT_PKT0_S8_ifPKiSA_SA_iPKfiiiPfSD_PS3_PT2_iSC_SC_
; %bb.0:
	s_load_dwordx2 s[8:9], s[0:1], 0x30
	s_mov_b32 s24, s3
	s_mov_b64 s[6:7], 0
	s_waitcnt lgkmcnt(0)
	s_cmp_lg_u64 s[8:9], 0
	s_cselect_b64 s[10:11], -1, 0
	s_and_b64 vcc, exec, s[10:11]
	s_cbranch_vccz .LBB1151_18
; %bb.1:
	s_add_i32 s12, s2, 1
	s_mov_b32 s13, 0
	s_lshl_b64 s[14:15], s[12:13], 2
	s_add_u32 s14, s8, s14
	s_mov_b32 s3, s13
	s_addc_u32 s15, s9, s15
	s_lshl_b64 s[12:13], s[2:3], 2
	s_add_u32 s12, s8, s12
	s_addc_u32 s13, s9, s13
	s_load_dword s5, s[14:15], 0x0
	s_load_dword s16, s[12:13], 0x0
	s_mov_b64 s[34:35], s[2:3]
	s_waitcnt lgkmcnt(0)
	s_sub_i32 s5, s5, s16
	s_cmp_eq_u32 s5, 1
	s_cselect_b64 s[12:13], -1, 0
	s_andn2_b64 vcc, exec, s[6:7]
	s_cbranch_vccnz .LBB1151_3
.LBB1151_2:
	s_mov_b32 s3, 0
	s_mov_b64 s[12:13], -1
	s_mov_b64 s[34:35], s[2:3]
.LBB1151_3:
	s_andn2_b64 vcc, exec, s[12:13]
	s_cbranch_vccnz .LBB1151_17
; %bb.4:
	s_load_dword s3, s[0:1], 0x9c
	s_load_dwordx2 s[6:7], s[0:1], 0x28
	s_add_u32 s28, s0, 0x90
	s_addc_u32 s29, s1, 0
	s_lshl_b64 s[38:39], s[34:35], 2
	s_waitcnt lgkmcnt(0)
	s_and_b32 s5, s3, 0xffff
	s_add_u32 s6, s6, s38
	s_addc_u32 s7, s7, s39
	s_load_dword s3, s[6:7], 0x0
	s_mul_i32 s20, s24, s5
	s_waitcnt lgkmcnt(0)
	s_cmp_ge_i32 s20, s3
	s_cbranch_scc1 .LBB1151_17
; %bb.5:
	v_and_b32_e32 v2, 0xc0, v0
	v_add_u32_e32 v4, s20, v2
	v_lshrrev_b32_e32 v1, 6, v0
	v_cmp_gt_i32_e64 s[6:7], s3, v4
	v_cmp_le_i32_e32 vcc, s3, v4
                                        ; implicit-def: $sgpr22
                                        ; implicit-def: $sgpr21
	s_and_saveexec_b64 s[12:13], vcc
	s_xor_b64 s[12:13], exec, s[12:13]
	s_cbranch_execz .LBB1151_7
; %bb.6:
	v_mul_u32_u24_e32 v2, 20, v1
	v_or_b32_e32 v2, 0xa00, v2
	v_mov_b32_e32 v3, 0xa50
	v_mov_b32_e32 v4, 0xff7fffff
	v_mad_u32_u24 v3, v1, 20, v3
	ds_write2_b32 v2, v4, v4 offset1:1
	v_mov_b32_e32 v2, 0
	ds_write2_b32 v3, v2, v2 offset1:1
	v_mov_b32_e32 v3, 0xa08
	s_mov_b32 s21, 0xff7fffff
	s_mov_b32 s22, 0
	v_mad_u32_u24 v3, v1, 20, v3
	v_mov_b32_e32 v5, 0xa58
	v_mad_u32_u24 v5, v1, 20, v5
	ds_write2_b32 v3, v4, v4 offset1:1
	ds_write2_b32 v5, v2, v2 offset1:1
                                        ; implicit-def: $vgpr4
.LBB1151_7:
	s_or_saveexec_b64 s[30:31], s[12:13]
	s_load_dwordx2 s[26:27], s[0:1], 0x68
	s_load_dwordx4 s[16:19], s[0:1], 0x58
	s_load_dword s5, s[28:29], 0x4
	s_load_dwordx4 s[12:15], s[0:1], 0x80
	v_and_b32_e32 v24, 63, v0
	v_and_b32_e32 v22, 3, v0
	v_mov_b32_e32 v21, s22
	v_mov_b32_e32 v25, s21
	v_mov_b32_e32 v20, s22
	v_mov_b32_e32 v19, s22
	v_mov_b32_e32 v18, s22
                                        ; implicit-def: $vgpr14_vgpr15
                                        ; implicit-def: $vgpr6_vgpr7
                                        ; implicit-def: $vgpr10_vgpr11
                                        ; implicit-def: $vgpr2_vgpr3
	s_xor_b64 exec, exec, s[30:31]
	s_cbranch_execz .LBB1151_13
; %bb.8:
	s_load_dwordx2 s[22:23], s[0:1], 0x20
	s_load_dword s21, s[0:1], 0x38
	s_add_i32 s25, s3, 15
	s_ashr_i32 s33, s25, 31
	s_lshr_b32 s33, s33, 28
	v_add_u32_e32 v23, s20, v0
	s_add_i32 s25, s25, s33
	v_ashrrev_i32_e32 v2, 31, v23
	s_ashr_i32 s25, s25, 4
	v_lshrrev_b32_e32 v2, 28, v2
	s_add_i32 s25, s25, -1
	s_waitcnt lgkmcnt(0)
	s_mul_i32 s40, s2, s21
	s_mov_b32 s41, 0
	v_add_u32_e32 v2, v23, v2
	s_lshl_b64 s[36:37], s[40:41], 2
	v_ashrrev_i32_e32 v2, 4, v2
	v_mov_b32_e32 v3, s25
	v_cmp_gt_i32_e32 vcc, s3, v23
	s_add_u32 s22, s22, s36
	s_addc_u32 s23, s23, s37
	v_cndmask_b32_e32 v2, v3, v2, vcc
	v_ashrrev_i32_e32 v3, 31, v2
	v_lshl_add_u64 v[8:9], v[2:3], 2, s[22:23]
	v_ashrrev_i32_e32 v2, 31, v4
	v_lshrrev_b32_e32 v2, 28, v2
	v_add_u32_e32 v2, v4, v2
	v_ashrrev_i32_e32 v4, 4, v2
	v_min_i32_e32 v2, s25, v4
	v_ashrrev_i32_e32 v3, 31, v2
	v_lshl_add_u64 v[10:11], v[2:3], 2, s[22:23]
	v_add_u32_e32 v2, 1, v4
	v_min_i32_e32 v2, s25, v2
	v_ashrrev_i32_e32 v3, 31, v2
	v_lshl_add_u64 v[12:13], v[2:3], 2, s[22:23]
	v_add_u32_e32 v2, 2, v4
	;; [unrolled: 4-line block ×3, first 2 shown]
	v_min_i32_e32 v2, s25, v2
	v_ashrrev_i32_e32 v3, 31, v2
	v_lshl_add_u64 v[16:17], v[2:3], 2, s[22:23]
	global_load_dword v6, v[8:9], off
	global_load_dword v5, v[10:11], off
	;; [unrolled: 1-line block ×5, first 2 shown]
	s_load_dwordx4 s[20:23], s[0:1], 0x0
	s_load_dwordx2 s[36:37], s[0:1], 0x10
	s_andn2_b64 vcc, exec, s[10:11]
	s_cbranch_vccnz .LBB1151_10
; %bb.9:
	s_add_u32 s8, s8, s38
	s_addc_u32 s9, s9, s39
	s_load_dword s40, s[8:9], 0x0
	s_waitcnt lgkmcnt(0)
	s_mov_b64 s[34:35], s[40:41]
.LBB1151_10:
	s_load_dwordx4 s[8:11], s[0:1], 0x48
	s_waitcnt lgkmcnt(0)
	s_load_dword s11, s[0:1], 0x1c
                                        ; kill: killed $sgpr0 killed $sgpr1
	v_lshlrev_b32_e32 v10, 3, v22
	v_cmp_eq_u32_e32 vcc, 0, v22
	v_mov_b32_e32 v25, 0xff7fffff
	s_ashr_i32 s1, s8, 31
	s_mul_hi_u32 s25, s34, s8
	s_mul_i32 s1, s34, s1
	s_mul_i32 s33, s35, s8
	s_add_i32 s1, s25, s1
	s_mul_i32 s0, s34, s8
	s_add_i32 s1, s1, s33
	s_lshl_b64 s[0:1], s[0:1], 1
	s_add_u32 s8, s20, s0
	s_addc_u32 s20, s21, s1
	s_lshl_b32 s40, s4, 8
	s_lshl_b64 s[0:1], s[40:41], 1
	s_add_u32 s0, s8, s0
	s_addc_u32 s1, s20, s1
	s_mul_i32 s8, s4, s10
	s_add_u32 s20, s8, s22
	s_addc_u32 s21, 0, s23
	v_mov_b64_e32 v[8:9], s[20:21]
	s_waitcnt vmcnt(4)
	v_mad_i64_i32 v[6:7], s[20:21], v6, s9, v[8:9]
	v_lshlrev_b32_e32 v8, 4, v0
	v_and_b32_e32 v8, 0xf0, v8
	v_mov_b32_e32 v9, 0
	v_lshl_add_u64 v[6:7], v[6:7], 0, v[8:9]
	v_lshrrev_b32_e32 v8, 2, v24
	v_add_lshl_u32 v8, v10, v8, 4
	global_load_dwordx4 v[26:29], v[6:7], off
	global_load_dwordx4 v[30:33], v[6:7], off offset:256
	global_load_dwordx4 v[18:21], v[6:7], off offset:512
	global_load_dwordx4 v[34:37], v8, s[0:1]
	global_load_dwordx4 v[38:41], v[6:7], off offset:768
	s_waitcnt vmcnt(8)
	v_mul_hi_i32 v8, v5, s9
	s_add_u32 s20, s36, s8
	s_waitcnt vmcnt(7)
	v_mul_hi_i32 v10, v4, s9
	s_waitcnt vmcnt(6)
	v_mul_hi_i32 v11, v3, s9
	v_ashrrev_i32_e32 v13, 31, v8
	s_addc_u32 s21, s37, 0
	v_lshlrev_b32_e32 v8, 4, v24
	v_ashrrev_i32_e32 v14, 31, v10
	v_ashrrev_i32_e32 v15, 31, v11
	v_lshl_add_u64 v[10:11], s[20:21], 0, v[8:9]
	v_lshrrev_b32_e32 v8, 29, v13
	s_waitcnt vmcnt(5)
	v_mul_hi_i32 v12, v2, s9
	v_mad_i64_i32 v[6:7], s[20:21], v5, s9, v[8:9]
	v_lshrrev_b32_e32 v8, 29, v14
	v_ashrrev_i32_e32 v16, 31, v12
	v_mad_i64_i32 v[4:5], s[20:21], v4, s9, v[8:9]
	v_lshrrev_b32_e32 v8, 29, v15
	v_mad_i64_i32 v[42:43], s[20:21], v3, s9, v[8:9]
	v_lshrrev_b32_e32 v8, 29, v16
	v_mad_i64_i32 v[2:3], s[8:9], v2, s9, v[8:9]
	v_and_b32_e32 v6, -8, v6
	v_and_b32_e32 v4, -8, v4
	;; [unrolled: 1-line block ×4, first 2 shown]
	v_lshl_add_u64 v[12:13], v[10:11], 0, v[6:7]
	v_lshl_add_u64 v[4:5], v[10:11], 0, v[4:5]
	;; [unrolled: 1-line block ×4, first 2 shown]
	global_load_dwordx4 v[14:17], v[12:13], off
	global_load_dwordx4 v[6:9], v[4:5], off
	s_nop 0
	global_load_dwordx4 v[10:13], v[42:43], off
	global_load_dwordx4 v[2:5], v[44:45], off
	s_mov_b32 s0, 0x7060302
	s_waitcnt vmcnt(8)
	v_cvt_pk_f32_fp8_e32 v[42:43], v26
	v_cvt_pk_f32_fp8_sdwa v[44:45], v26 src0_sel:WORD_1
	v_cvt_pk_f32_fp8_e32 v[46:47], v27
	v_cvt_pk_f32_fp8_sdwa v[26:27], v27 src0_sel:WORD_1
	;; [unrolled: 2-line block ×3, first 2 shown]
	v_perm_b32 v42, v43, v42, s0
	v_perm_b32 v43, v45, v44, s0
	v_cvt_pk_f32_fp8_e32 v[52:53], v29
	v_cvt_pk_f32_fp8_sdwa v[28:29], v29 src0_sel:WORD_1
	s_waitcnt vmcnt(5)
	v_mfma_f32_4x4x4_16b_bf16 a[0:3], v[34:35], v[42:43], 0 cbsz:4
	v_perm_b32 v44, v47, v46, s0
	v_perm_b32 v45, v27, v26, s0
	v_cvt_pk_f32_fp8_e32 v[54:55], v30
	v_cvt_pk_f32_fp8_sdwa v[56:57], v30 src0_sel:WORD_1
	v_mfma_f32_4x4x4_16b_bf16 a[0:3], v[36:37], v[44:45], a[0:3] cbsz:4
	v_perm_b32 v26, v49, v48, s0
	v_perm_b32 v27, v51, v50, s0
	v_cvt_pk_f32_fp8_e32 v[58:59], v31
	v_cvt_pk_f32_fp8_sdwa v[30:31], v31 src0_sel:WORD_1
	v_mfma_f32_4x4x4_16b_bf16 a[0:3], v[34:35], v[26:27], a[0:3] cbsz:4 abid:1
	v_perm_b32 v46, v53, v52, s0
	v_perm_b32 v47, v29, v28, s0
	v_cvt_pk_f32_fp8_e32 v[60:61], v32
	v_cvt_pk_f32_fp8_sdwa v[62:63], v32 src0_sel:WORD_1
	v_mfma_f32_4x4x4_16b_bf16 a[0:3], v[36:37], v[46:47], a[0:3] cbsz:4 abid:1
	v_perm_b32 v28, v55, v54, s0
	v_perm_b32 v29, v57, v56, s0
	v_cvt_pk_f32_fp8_e32 v[64:65], v33
	v_cvt_pk_f32_fp8_sdwa v[32:33], v33 src0_sel:WORD_1
	v_mfma_f32_4x4x4_16b_bf16 a[0:3], v[34:35], v[28:29], a[0:3] cbsz:4 abid:2
	v_perm_b32 v48, v59, v58, s0
	v_perm_b32 v49, v31, v30, s0
	v_cvt_pk_f32_fp8_e32 v[66:67], v18
	v_cvt_pk_f32_fp8_sdwa v[68:69], v18 src0_sel:WORD_1
	v_mfma_f32_4x4x4_16b_bf16 a[0:3], v[36:37], v[48:49], a[0:3] cbsz:4 abid:2
	v_perm_b32 v30, v61, v60, s0
	v_perm_b32 v31, v63, v62, s0
	v_cvt_pk_f32_fp8_e32 v[70:71], v19
	v_cvt_pk_f32_fp8_sdwa v[18:19], v19 src0_sel:WORD_1
	v_mfma_f32_4x4x4_16b_bf16 a[0:3], v[34:35], v[30:31], a[0:3] cbsz:4 abid:3
	v_perm_b32 v26, v65, v64, s0
	v_perm_b32 v27, v33, v32, s0
	v_cvt_pk_f32_fp8_e32 v[72:73], v20
	v_cvt_pk_f32_fp8_sdwa v[74:75], v20 src0_sel:WORD_1
	v_mfma_f32_4x4x4_16b_bf16 a[0:3], v[36:37], v[26:27], a[0:3] cbsz:4 abid:3
	v_perm_b32 v28, v67, v66, s0
	v_perm_b32 v29, v69, v68, s0
	;; [unrolled: 1-line block ×3, first 2 shown]
	v_cvt_pk_f32_fp8_sdwa v[18:19], v21 src0_sel:WORD_1
	v_mfma_f32_4x4x4_16b_bf16 a[0:3], v[34:35], v[28:29], a[0:3] cbsz:4 abid:4
	v_cvt_pk_f32_fp8_e32 v[76:77], v21
	v_perm_b32 v26, v71, v70, s0
	v_perm_b32 v20, v73, v72, s0
	;; [unrolled: 1-line block ×3, first 2 shown]
	v_mfma_f32_4x4x4_16b_bf16 a[0:3], v[36:37], v[26:27], a[0:3] cbsz:4 abid:4
	v_perm_b32 v27, v19, v18, s0
	s_waitcnt vmcnt(4)
	v_cvt_pk_f32_fp8_e32 v[18:19], v38
	v_mfma_f32_4x4x4_16b_bf16 a[0:3], v[34:35], v[20:21], a[0:3] cbsz:4 abid:5
	v_cvt_pk_f32_fp8_sdwa v[20:21], v38 src0_sel:WORD_1
	v_perm_b32 v26, v77, v76, s0
	v_cvt_pk_f32_fp8_sdwa v[28:29], v39 src0_sel:WORD_1
	v_perm_b32 v18, v19, v18, s0
	v_mfma_f32_4x4x4_16b_bf16 a[0:3], v[36:37], v[26:27], a[0:3] cbsz:4 abid:5
	v_cvt_pk_f32_fp8_e32 v[26:27], v39
	v_perm_b32 v19, v21, v20, s0
	v_perm_b32 v21, v29, v28, s0
	v_cvt_pk_f32_fp8_sdwa v[28:29], v41 src0_sel:WORD_1
	v_mfma_f32_4x4x4_16b_bf16 a[0:3], v[34:35], v[18:19], a[0:3] cbsz:4 abid:6
	v_perm_b32 v20, v27, v26, s0
	v_cvt_pk_f32_fp8_e32 v[18:19], v40
	v_cvt_pk_f32_fp8_e32 v[26:27], v41
	v_mfma_f32_4x4x4_16b_bf16 a[0:3], v[36:37], v[20:21], a[0:3] cbsz:4 abid:6
	v_cvt_pk_f32_fp8_sdwa v[20:21], v40 src0_sel:WORD_1
	v_perm_b32 v18, v19, v18, s0
	v_perm_b32 v19, v21, v20, s0
	;; [unrolled: 1-line block ×4, first 2 shown]
	v_mfma_f32_4x4x4_16b_bf16 a[0:3], v[34:35], v[18:19], a[0:3] cbsz:4 abid:7
	s_load_dword s0, s[12:13], 0x0
	s_waitcnt lgkmcnt(0)
	v_mov_b32_e32 v18, s11
	v_mfma_f32_4x4x4_16b_bf16 a[0:3], v[36:37], v[20:21], a[0:3] cbsz:4 abid:7
	v_mul_f32_e32 v20, s0, v18
	s_nop 3
	v_accvgpr_read_b32 v27, a1
	v_accvgpr_read_b32 v26, a0
	v_pk_mul_f32 v[26:27], v[26:27], v[20:21] op_sel_hi:[1,0]
	v_accvgpr_read_b32 v19, a3
	v_accvgpr_read_b32 v18, a2
	v_pk_mul_f32 v[18:19], v[18:19], v[20:21] op_sel_hi:[1,0]
	v_cndmask_b32_e64 v20, 0, 1.0, vcc
	v_cmp_eq_u32_e32 vcc, 1, v22
	s_nop 0
	v_mfma_f32_4x4x1_16b_f32 a[0:3], v26, v20, 0
	v_cndmask_b32_e64 v20, 0, 1.0, vcc
	v_cmp_eq_u32_e32 vcc, 2, v22
	s_nop 0
	v_mfma_f32_4x4x1_16b_f32 a[0:3], v27, v20, a[0:3]
	;; [unrolled: 4-line block ×3, first 2 shown]
	v_cndmask_b32_e64 v18, 0, 1.0, vcc
	s_nop 1
	v_mfma_f32_4x4x1_16b_f32 a[0:3], v19, v18, a[0:3]
	v_and_b32_e32 v18, -4, v23
	v_cmp_gt_i32_e32 vcc, s3, v18
	v_lshlrev_b32_e32 v19, 2, v0
	v_and_or_b32 v19, v19, 48, v22
	v_accvgpr_read_b32 v20, a0
	v_max_f32_e32 v21, v20, v20
	v_max_f32_e32 v21, 0xff7fffff, v21
	v_accvgpr_read_b32 v26, a1
	v_cndmask_b32_e32 v21, v25, v21, vcc
	v_or_b32_e32 v25, 1, v18
	v_max_f32_e32 v27, v26, v26
	v_max_f32_e32 v27, v21, v27
	v_cmp_gt_i32_e64 s[0:1], s3, v25
	v_or_b32_e32 v18, 2, v18
	v_cmp_gt_i32_e64 s[8:9], s3, v18
	v_cndmask_b32_e64 v21, v21, v27, s[0:1]
	v_accvgpr_read_b32 v27, a2
	v_max_f32_e32 v25, v27, v27
	v_max_f32_e32 v25, v21, v25
	v_cndmask_b32_e64 v18, v21, v25, s[8:9]
	v_or_b32_e32 v21, 3, v23
	v_accvgpr_read_b32 v23, a3
	v_max_f32_e32 v25, v23, v23
	v_max_f32_e32 v25, v18, v25
	v_cmp_gt_i32_e64 s[10:11], s3, v21
	v_lshlrev_b32_e32 v28, 2, v19
	s_nop 0
	v_cndmask_b32_e64 v18, v18, v25, s[10:11]
	;;#ASMSTART
	v_nop
 v_nop
 v_max_f32_dpp v18, v18, v18 row_ror:4
	;;#ASMEND
	s_nop 0
	;;#ASMSTART
	v_nop
 v_nop
 v_max_f32_dpp v18, v18, v18 row_ror:8
	;;#ASMEND
	ds_bpermute_b32 v18, v28, v18
	s_waitcnt lgkmcnt(0)
	;;#ASMSTART
	v_nop
 v_nop
 v_max_f32_dpp v18, v18, v18 row_ror:4
	;;#ASMEND
	s_nop 0
	;;#ASMSTART
	v_nop
 v_nop
 v_max_f32_dpp v25, v18, v18 row_ror:8
	;;#ASMEND
	s_nop 0
	v_sub_f32_e32 v18, v20, v25
	v_mul_f32_e32 v18, 0x3fb8aa3b, v18
	v_sub_f32_e32 v19, v26, v25
	v_exp_f32_e32 v18, v18
	v_mul_f32_e32 v19, 0x3fb8aa3b, v19
	v_sub_f32_e32 v21, v27, v25
	v_exp_f32_e32 v19, v19
	;; [unrolled: 3-line block ×3, first 2 shown]
	v_mul_f32_e32 v23, 0x3fb8aa3b, v23
	v_exp_f32_e32 v23, v23
	v_cndmask_b32_e32 v18, 0, v18, vcc
	v_add_f32_e32 v20, 0, v18
	v_cndmask_b32_e64 v19, 0, v19, s[0:1]
	v_add_f32_e32 v26, v20, v19
	v_cndmask_b32_e64 v20, 0, v21, s[8:9]
	;; [unrolled: 2-line block ×3, first 2 shown]
	v_add_f32_e32 v23, v26, v21
	;;#ASMSTART
	v_nop
 v_nop
 v_add_f32_dpp v23, v23, v23 row_ror:4
	;;#ASMEND
	v_cmp_gt_u32_e32 vcc, 4, v24
	;;#ASMSTART
	v_nop
 v_nop
 v_add_f32_dpp v23, v23, v23 row_ror:8
	;;#ASMEND
	ds_bpermute_b32 v23, v28, v23
	s_waitcnt lgkmcnt(0)
	;;#ASMSTART
	v_nop
 v_nop
 v_add_f32_dpp v23, v23, v23 row_ror:4
	;;#ASMEND
	s_nop 0
	;;#ASMSTART
	v_nop
 v_nop
 v_add_f32_dpp v23, v23, v23 row_ror:8
	;;#ASMEND
	s_and_saveexec_b64 s[0:1], vcc
	s_cbranch_execz .LBB1151_12
; %bb.11:
	v_mul_u32_u24_e32 v26, 20, v1
	v_lshl_add_u32 v26, v22, 2, v26
	v_add_u32_e32 v26, 0x800, v26
	ds_write2_b32 v26, v25, v23 offset0:128 offset1:148
.LBB1151_12:
	s_or_b64 exec, exec, s[0:1]
.LBB1151_13:
	s_or_b64 exec, exec, s[30:31]
	v_lshlrev_b32_e32 v23, 2, v22
	v_add_u32_e32 v23, 0x800, v23
	s_waitcnt lgkmcnt(0)
	s_barrier
	s_load_dword s0, s[28:29], 0x8
	ds_read2_b32 v[28:29], v23 offset0:128 offset1:133
	ds_read2_b32 v[30:31], v23 offset0:138 offset1:143
	s_mov_b32 s8, 0xff7fffff
	s_mul_i32 s1, s2, s5
	s_lshl_b32 s4, s4, 2
	s_waitcnt lgkmcnt(0)
	v_max3_f32 v26, v28, s8, v29
	s_mul_i32 s1, s1, s0
	v_max3_f32 v26, v26, v30, v31
	s_lshl_b32 s0, s1, 2
	s_mov_b32 s1, 0
	v_sub_f32_e32 v27, v28, v26
	v_sub_f32_e32 v28, v29, v26
	s_lshl_b64 s[2:3], s[0:1], 2
	ds_read2_b32 v[32:33], v23 offset0:148 offset1:153
	v_mul_f32_e32 v27, 0x3fb8aa3b, v27
	v_mul_f32_e32 v28, 0x3fb8aa3b, v28
	s_mov_b32 s25, s1
	s_add_u32 s1, s16, s2
	v_exp_f32_e32 v27, v27
	v_exp_f32_e32 v34, v28
	ds_read2_b32 v[28:29], v23 offset0:158 offset1:163
	v_sub_f32_e32 v23, v30, v26
	s_addc_u32 s10, s17, s3
	v_mul_f32_e32 v23, 0x3fb8aa3b, v23
	v_sub_f32_e32 v30, v31, v26
	s_add_u32 s8, s18, s2
	v_exp_f32_e32 v23, v23
	v_mul_f32_e32 v30, 0x3fb8aa3b, v30
	s_addc_u32 s9, s19, s3
	s_lshl_b64 s[2:3], s[24:25], 2
	v_exp_f32_e32 v30, v30
	s_add_u32 s8, s8, s2
	s_waitcnt lgkmcnt(1)
	v_fma_f32 v27, v27, v32, 0
	s_addc_u32 s9, s9, s3
	v_fmac_f32_e32 v27, v34, v33
	v_or_b32_e32 v22, s4, v22
	s_waitcnt lgkmcnt(0)
	v_fmac_f32_e32 v27, v23, v28
	s_add_u32 s2, s1, s2
	v_mul_lo_u32 v22, s5, v22
	v_mov_b32_e32 v23, 0
	v_fmac_f32_e32 v27, v30, v29
	s_addc_u32 s3, s10, s3
	v_lshlrev_b64 v[28:29], 2, v[22:23]
	v_lshl_add_u64 v[30:31], s[8:9], 0, v[28:29]
	v_lshl_add_u64 v[28:29], s[2:3], 0, v[28:29]
	v_mov_b32_e32 v22, v23
	global_store_dword v[30:31], v26, off
	global_store_dword v[28:29], v27, off
	s_and_saveexec_b64 s[2:3], s[6:7]
	s_cbranch_execz .LBB1151_15
; %bb.14:
	v_add_f32_e32 v22, 0x358637bd, v27
	v_div_scale_f32 v23, s[6:7], v22, v22, 1.0
	v_rcp_f32_e32 v27, v23
	v_div_scale_f32 v28, vcc, 1.0, v22, 1.0
	v_sub_f32_e32 v25, v25, v26
	v_fma_f32 v29, -v23, v27, 1.0
	v_fmac_f32_e32 v27, v29, v27
	v_mul_f32_e32 v29, v28, v27
	v_fma_f32 v30, -v23, v29, v28
	v_mul_f32_e32 v25, 0x3fb8aa3b, v25
	v_fmac_f32_e32 v29, v30, v27
	v_exp_f32_e32 v25, v25
	v_fma_f32 v23, -v23, v29, v28
	v_div_fmas_f32 v23, v23, v27, v29
	v_div_fixup_f32 v22, v23, v22, 1.0
	v_mul_f32_e32 v22, v25, v22
	v_pk_mul_f32 v[18:19], v[18:19], v[22:23] op_sel_hi:[1,0]
	v_pk_mul_f32 v[20:21], v[20:21], v[22:23] op_sel_hi:[1,0]
	v_bfe_u32 v22, v19, 16, 1
	v_bfe_u32 v23, v18, 16, 1
	s_movk_i32 s1, 0x7fff
	v_add3_u32 v18, v18, v23, s1
	v_add3_u32 v19, v19, v22, s1
	s_mov_b32 s7, 0x7060302
	v_perm_b32 v18, v19, v18, s7
	v_bfe_u32 v19, v21, 16, 1
	v_bfe_u32 v22, v20, 16, 1
	v_add3_u32 v22, v20, v22, s1
	v_add3_u32 v19, v21, v19, s1
	s_waitcnt vmcnt(5)
	v_cvt_pk_f32_fp8_e32 v[20:21], v14
	v_perm_b32 v19, v19, v22, s7
	v_cvt_pk_f32_fp8_sdwa v[22:23], v14 src0_sel:WORD_1
	v_cvt_pk_f32_fp8_e32 v[26:27], v15
	v_perm_b32 v14, v21, v20, s7
	v_cvt_pk_f32_fp8_sdwa v[20:21], v15 src0_sel:WORD_1
	v_perm_b32 v15, v23, v22, s7
	v_perm_b32 v22, v27, v26, s7
	s_load_dword s6, s[14:15], 0x0
	v_mfma_f32_4x4x4_16b_bf16 a[0:3], v[18:19], v[14:15], 0 cbsz:4
	v_perm_b32 v23, v21, v20, s7
	v_cvt_pk_f32_fp8_e32 v[14:15], v16
	v_cvt_pk_f32_fp8_sdwa v[20:21], v16 src0_sel:WORD_1
	v_mfma_f32_4x4x4_16b_bf16 a[0:3], v[18:19], v[22:23], a[0:3] cbsz:4 abid:1
	v_cvt_pk_f32_fp8_e32 v[22:23], v17
	v_cvt_pk_f32_fp8_sdwa v[16:17], v17 src0_sel:WORD_1
	v_perm_b32 v14, v15, v14, s7
	v_perm_b32 v15, v21, v20, s7
	;; [unrolled: 1-line block ×4, first 2 shown]
	v_mfma_f32_4x4x4_16b_bf16 a[0:3], v[18:19], v[14:15], a[0:3] cbsz:4 abid:2
	s_waitcnt vmcnt(4)
	v_cvt_pk_f32_fp8_e32 v[14:15], v6
	v_cvt_pk_f32_fp8_sdwa v[16:17], v6 src0_sel:WORD_1
	v_mfma_f32_4x4x4_16b_bf16 a[0:3], v[18:19], v[20:21], a[0:3] cbsz:4 abid:3
	v_cvt_pk_f32_fp8_e32 v[20:21], v7
	v_perm_b32 v6, v15, v14, s7
	v_cvt_pk_f32_fp8_sdwa v[14:15], v7 src0_sel:WORD_1
	v_perm_b32 v7, v17, v16, s7
	v_perm_b32 v16, v21, v20, s7
	;; [unrolled: 1-line block ×3, first 2 shown]
	v_mfma_f32_4x4x4_16b_bf16 a[0:3], v[18:19], v[6:7], a[0:3] cbsz:4 abid:4
	v_cvt_pk_f32_fp8_e32 v[6:7], v8
	v_cvt_pk_f32_fp8_sdwa v[14:15], v8 src0_sel:WORD_1
	v_mfma_f32_4x4x4_16b_bf16 a[0:3], v[18:19], v[16:17], a[0:3] cbsz:4 abid:5
	v_cvt_pk_f32_fp8_e32 v[16:17], v9
	v_cvt_pk_f32_fp8_sdwa v[8:9], v9 src0_sel:WORD_1
	v_perm_b32 v6, v7, v6, s7
	v_perm_b32 v7, v15, v14, s7
	;; [unrolled: 1-line block ×4, first 2 shown]
	v_mfma_f32_4x4x4_16b_bf16 a[0:3], v[18:19], v[6:7], a[0:3] cbsz:4 abid:6
	s_waitcnt vmcnt(3)
	v_cvt_pk_f32_fp8_e32 v[6:7], v10
	v_cvt_pk_f32_fp8_sdwa v[8:9], v10 src0_sel:WORD_1
	v_mfma_f32_4x4x4_16b_bf16 a[0:3], v[18:19], v[14:15], a[0:3] cbsz:4 abid:7
	v_cvt_pk_f32_fp8_e32 v[14:15], v11
	v_cvt_pk_f32_fp8_sdwa v[10:11], v11 src0_sel:WORD_1
	v_perm_b32 v6, v7, v6, s7
	v_perm_b32 v7, v9, v8, s7
	;; [unrolled: 1-line block ×4, first 2 shown]
	v_mfma_f32_4x4x4_16b_bf16 a[0:3], v[18:19], v[6:7], a[0:3] cbsz:4 abid:8
	v_cvt_pk_f32_fp8_e32 v[6:7], v12
	v_cvt_pk_f32_fp8_e32 v[10:11], v13
	v_mfma_f32_4x4x4_16b_bf16 a[0:3], v[18:19], v[8:9], a[0:3] cbsz:4 abid:9
	v_cvt_pk_f32_fp8_sdwa v[8:9], v12 src0_sel:WORD_1
	v_cvt_pk_f32_fp8_sdwa v[12:13], v13 src0_sel:WORD_1
	v_perm_b32 v6, v7, v6, s7
	v_perm_b32 v7, v9, v8, s7
	;; [unrolled: 1-line block ×3, first 2 shown]
	s_nop 0
	v_mfma_f32_4x4x4_16b_bf16 a[0:3], v[18:19], v[6:7], a[0:3] cbsz:4 abid:10
	s_waitcnt vmcnt(2)
	v_cvt_pk_f32_fp8_e32 v[6:7], v2
	v_perm_b32 v9, v13, v12, s7
	v_cvt_pk_f32_fp8_e32 v[10:11], v3
	s_nop 0
	v_mfma_f32_4x4x4_16b_bf16 a[0:3], v[18:19], v[8:9], a[0:3] cbsz:4 abid:11
	v_cvt_pk_f32_fp8_sdwa v[8:9], v2 src0_sel:WORD_1
	v_perm_b32 v2, v7, v6, s7
	v_cvt_pk_f32_fp8_sdwa v[6:7], v3 src0_sel:WORD_1
	v_perm_b32 v3, v9, v8, s7
	v_perm_b32 v8, v11, v10, s7
	s_nop 0
	v_mfma_f32_4x4x4_16b_bf16 a[0:3], v[18:19], v[2:3], a[0:3] cbsz:4 abid:12
	v_perm_b32 v9, v7, v6, s7
	v_cvt_pk_f32_fp8_e32 v[2:3], v4
	v_cvt_pk_f32_fp8_sdwa v[6:7], v4 src0_sel:WORD_1
	v_mfma_f32_4x4x4_16b_bf16 a[0:3], v[18:19], v[8:9], a[0:3] cbsz:4 abid:13
	v_cvt_pk_f32_fp8_e32 v[8:9], v5
	v_cvt_pk_f32_fp8_sdwa v[4:5], v5 src0_sel:WORD_1
	v_perm_b32 v2, v3, v2, s7
	v_perm_b32 v3, v7, v6, s7
	;; [unrolled: 1-line block ×4, first 2 shown]
	v_mfma_f32_4x4x4_16b_bf16 a[0:3], v[18:19], v[2:3], a[0:3] cbsz:4 abid:14
	s_nop 1
	v_mfma_f32_4x4x4_16b_bf16 a[0:3], v[18:19], v[6:7], a[0:3] cbsz:4 abid:15
	s_nop 4
	v_accvgpr_read_b32 v5, a1
	v_accvgpr_read_b32 v4, a0
	;; [unrolled: 1-line block ×4, first 2 shown]
	s_waitcnt lgkmcnt(0)
	v_pk_mul_f32 v[4:5], v[4:5], s[6:7] op_sel_hi:[1,0]
	v_pk_mul_f32 v[2:3], v[2:3], s[6:7] op_sel_hi:[1,0]
	v_bfe_u32 v6, v5, 16, 1
	v_bfe_u32 v7, v4, 16, 1
	v_add3_u32 v4, v4, v7, s1
	v_add3_u32 v5, v5, v6, s1
	v_bfe_u32 v6, v3, 16, 1
	v_bfe_u32 v7, v2, 16, 1
	v_add3_u32 v2, v2, v7, s1
	v_add3_u32 v3, v3, v6, s1
	v_perm_b32 v23, v3, v2, s7
	v_perm_b32 v22, v5, v4, s7
.LBB1151_15:
	s_or_b64 exec, exec, s[2:3]
	v_lshlrev_b32_e32 v1, 3, v1
	v_mad_u32_u24 v1, v24, 40, v1
	v_cmp_gt_u32_e32 vcc, 64, v0
	ds_write_b64 v1, v[22:23]
	s_waitcnt lgkmcnt(0)
	s_barrier
	s_and_saveexec_b64 s[2:3], vcc
	s_cbranch_execz .LBB1151_17
; %bb.16:
	v_mul_u32_u24_e32 v1, 40, v24
	s_waitcnt vmcnt(2)
	ds_read2_b64 v[2:5], v1 offset1:1
	ds_read2_b64 v[6:9], v1 offset0:2 offset1:3
	s_mov_b32 s1, 0
	s_lshl_b32 s0, s0, 6
	s_lshl_b64 s[2:3], s[0:1], 1
	s_waitcnt lgkmcnt(1)
	v_lshlrev_b32_e32 v1, 16, v2
	v_and_b32_e32 v2, 0xffff0000, v2
	v_add_f32_e32 v1, 0, v1
	v_add_f32_e32 v2, 0, v2
	v_lshlrev_b32_e32 v10, 16, v3
	v_and_b32_e32 v3, 0xffff0000, v3
	v_and_b32_e32 v1, 0xffff0000, v1
	;; [unrolled: 1-line block ×3, first 2 shown]
	v_add_f32_e32 v3, 0, v3
	v_lshlrev_b32_e32 v11, 16, v4
	v_and_b32_e32 v4, 0xffff0000, v4
	v_add_f32_e32 v10, 0, v10
	v_and_b32_e32 v3, 0xffff0000, v3
	v_add_f32_e32 v1, v1, v11
	v_add_f32_e32 v2, v2, v4
	v_lshlrev_b32_e32 v4, 16, v5
	v_and_b32_e32 v5, 0xffff0000, v5
	v_and_b32_e32 v10, 0xffff0000, v10
	;; [unrolled: 1-line block ×3, first 2 shown]
	v_add_f32_e32 v3, v3, v5
	s_waitcnt lgkmcnt(0)
	v_lshlrev_b32_e32 v5, 16, v6
	v_and_b32_e32 v2, 0xffff0000, v2
	v_add_f32_e32 v4, v10, v4
	v_add_f32_e32 v1, v1, v5
	v_and_b32_e32 v5, 0xffff0000, v6
	v_and_b32_e32 v4, 0xffff0000, v4
	v_add_f32_e32 v2, v2, v5
	v_lshlrev_b32_e32 v5, 16, v7
	s_add_u32 s2, s26, s2
	v_and_b32_e32 v3, 0xffff0000, v3
	v_add_f32_e32 v4, v4, v5
	v_and_b32_e32 v5, 0xffff0000, v7
	s_addc_u32 s3, s27, s3
	s_lshl_b32 s0, s24, 6
	v_and_b32_e32 v1, 0xffff0000, v1
	v_add_f32_e32 v3, v3, v5
	v_lshlrev_b32_e32 v5, 16, v8
	s_lshl_b64 s[0:1], s[0:1], 1
	v_and_b32_e32 v2, 0xffff0000, v2
	v_add_f32_e32 v1, v1, v5
	v_and_b32_e32 v5, 0xffff0000, v8
	s_add_u32 s0, s2, s0
	v_and_b32_e32 v4, 0xffff0000, v4
	v_add_f32_e32 v6, v2, v5
	v_lshlrev_b32_e32 v2, 16, v9
	s_addc_u32 s1, s3, s1
	s_lshl_b32 s2, s5, 6
	v_and_b32_e32 v3, 0xffff0000, v3
	v_add_f32_e32 v7, v4, v2
	v_and_b32_e32 v2, 0xffff0000, v9
	s_mul_i32 s3, s2, s4
	v_add_f32_e32 v8, v3, v2
	v_or_b32_e32 v2, s3, v0
	v_mov_b32_e32 v3, 0
	s_add_i32 s3, s3, s2
	v_lshl_add_u64 v[4:5], v[2:3], 1, s[0:1]
	v_or_b32_e32 v2, s3, v0
	s_add_i32 s3, s3, s2
	global_store_short_d16_hi v[4:5], v1, off
	v_lshl_add_u64 v[4:5], v[2:3], 1, s[0:1]
	v_or_b32_e32 v2, s3, v0
	s_add_i32 s3, s3, s2
	global_store_short_d16_hi v[4:5], v6, off
	v_lshl_add_u64 v[4:5], v[2:3], 1, s[0:1]
	v_or_b32_e32 v2, s3, v0
	v_lshl_add_u64 v[0:1], v[2:3], 1, s[0:1]
	global_store_short_d16_hi v[4:5], v7, off
	global_store_short_d16_hi v[0:1], v8, off
.LBB1151_17:
	s_endpgm
.LBB1151_18:
	s_mov_b64 s[12:13], 0
                                        ; implicit-def: $sgpr34_sgpr35
	s_branch .LBB1151_2
	.section	.rodata,"a",@progbits
	.p2align	6, 0x0
	.amdhsa_kernel _Z38paged_attention_ll4mi_QKV_mfma4_kernelI14__hip_bfloat16hLN4vllm18Fp8KVCacheDataTypeE1ES0_Li16ELi64ELi256ELb0ELi4EEvPKT_PKT0_S8_ifPKiSA_SA_iPKfiiiPfSD_PS3_PT2_iSC_SC_
		.amdhsa_group_segment_fixed_size 2720
		.amdhsa_private_segment_fixed_size 0
		.amdhsa_kernarg_size 400
		.amdhsa_user_sgpr_count 2
		.amdhsa_user_sgpr_dispatch_ptr 0
		.amdhsa_user_sgpr_queue_ptr 0
		.amdhsa_user_sgpr_kernarg_segment_ptr 1
		.amdhsa_user_sgpr_dispatch_id 0
		.amdhsa_user_sgpr_kernarg_preload_length 0
		.amdhsa_user_sgpr_kernarg_preload_offset 0
		.amdhsa_user_sgpr_private_segment_size 0
		.amdhsa_uses_dynamic_stack 0
		.amdhsa_enable_private_segment 0
		.amdhsa_system_sgpr_workgroup_id_x 1
		.amdhsa_system_sgpr_workgroup_id_y 1
		.amdhsa_system_sgpr_workgroup_id_z 1
		.amdhsa_system_sgpr_workgroup_info 0
		.amdhsa_system_vgpr_workitem_id 0
		.amdhsa_next_free_vgpr 84
		.amdhsa_next_free_sgpr 42
		.amdhsa_accum_offset 80
		.amdhsa_reserve_vcc 1
		.amdhsa_float_round_mode_32 0
		.amdhsa_float_round_mode_16_64 0
		.amdhsa_float_denorm_mode_32 3
		.amdhsa_float_denorm_mode_16_64 3
		.amdhsa_dx10_clamp 1
		.amdhsa_ieee_mode 1
		.amdhsa_fp16_overflow 0
		.amdhsa_tg_split 0
		.amdhsa_exception_fp_ieee_invalid_op 0
		.amdhsa_exception_fp_denorm_src 0
		.amdhsa_exception_fp_ieee_div_zero 0
		.amdhsa_exception_fp_ieee_overflow 0
		.amdhsa_exception_fp_ieee_underflow 0
		.amdhsa_exception_fp_ieee_inexact 0
		.amdhsa_exception_int_div_zero 0
	.end_amdhsa_kernel
	.section	.text._Z38paged_attention_ll4mi_QKV_mfma4_kernelI14__hip_bfloat16hLN4vllm18Fp8KVCacheDataTypeE1ES0_Li16ELi64ELi256ELb0ELi4EEvPKT_PKT0_S8_ifPKiSA_SA_iPKfiiiPfSD_PS3_PT2_iSC_SC_,"axG",@progbits,_Z38paged_attention_ll4mi_QKV_mfma4_kernelI14__hip_bfloat16hLN4vllm18Fp8KVCacheDataTypeE1ES0_Li16ELi64ELi256ELb0ELi4EEvPKT_PKT0_S8_ifPKiSA_SA_iPKfiiiPfSD_PS3_PT2_iSC_SC_,comdat
.Lfunc_end1151:
	.size	_Z38paged_attention_ll4mi_QKV_mfma4_kernelI14__hip_bfloat16hLN4vllm18Fp8KVCacheDataTypeE1ES0_Li16ELi64ELi256ELb0ELi4EEvPKT_PKT0_S8_ifPKiSA_SA_iPKfiiiPfSD_PS3_PT2_iSC_SC_, .Lfunc_end1151-_Z38paged_attention_ll4mi_QKV_mfma4_kernelI14__hip_bfloat16hLN4vllm18Fp8KVCacheDataTypeE1ES0_Li16ELi64ELi256ELb0ELi4EEvPKT_PKT0_S8_ifPKiSA_SA_iPKfiiiPfSD_PS3_PT2_iSC_SC_
                                        ; -- End function
	.section	.AMDGPU.csdata,"",@progbits
; Kernel info:
; codeLenInByte = 4204
; NumSgprs: 48
; NumVgprs: 78
; NumAgprs: 4
; TotalNumVgprs: 84
; ScratchSize: 0
; MemoryBound: 0
; FloatMode: 240
; IeeeMode: 1
; LDSByteSize: 2720 bytes/workgroup (compile time only)
; SGPRBlocks: 5
; VGPRBlocks: 10
; NumSGPRsForWavesPerEU: 48
; NumVGPRsForWavesPerEU: 84
; AccumOffset: 80
; Occupancy: 5
; WaveLimiterHint : 1
; COMPUTE_PGM_RSRC2:SCRATCH_EN: 0
; COMPUTE_PGM_RSRC2:USER_SGPR: 2
; COMPUTE_PGM_RSRC2:TRAP_HANDLER: 0
; COMPUTE_PGM_RSRC2:TGID_X_EN: 1
; COMPUTE_PGM_RSRC2:TGID_Y_EN: 1
; COMPUTE_PGM_RSRC2:TGID_Z_EN: 1
; COMPUTE_PGM_RSRC2:TIDIG_COMP_CNT: 0
; COMPUTE_PGM_RSRC3_GFX90A:ACCUM_OFFSET: 19
; COMPUTE_PGM_RSRC3_GFX90A:TG_SPLIT: 0
	.section	.text._Z39paged_attention_ll4mi_QKV_mfma16_kernelI14__hip_bfloat16hLN4vllm18Fp8KVCacheDataTypeE1ES0_Li16ELi64ELi256ELb0ELi5EEvPKT_PKT0_S8_ifPKiSA_SA_iPKfiiiPfSD_PS3_PT2_iSC_SC_,"axG",@progbits,_Z39paged_attention_ll4mi_QKV_mfma16_kernelI14__hip_bfloat16hLN4vllm18Fp8KVCacheDataTypeE1ES0_Li16ELi64ELi256ELb0ELi5EEvPKT_PKT0_S8_ifPKiSA_SA_iPKfiiiPfSD_PS3_PT2_iSC_SC_,comdat
	.protected	_Z39paged_attention_ll4mi_QKV_mfma16_kernelI14__hip_bfloat16hLN4vllm18Fp8KVCacheDataTypeE1ES0_Li16ELi64ELi256ELb0ELi5EEvPKT_PKT0_S8_ifPKiSA_SA_iPKfiiiPfSD_PS3_PT2_iSC_SC_ ; -- Begin function _Z39paged_attention_ll4mi_QKV_mfma16_kernelI14__hip_bfloat16hLN4vllm18Fp8KVCacheDataTypeE1ES0_Li16ELi64ELi256ELb0ELi5EEvPKT_PKT0_S8_ifPKiSA_SA_iPKfiiiPfSD_PS3_PT2_iSC_SC_
	.globl	_Z39paged_attention_ll4mi_QKV_mfma16_kernelI14__hip_bfloat16hLN4vllm18Fp8KVCacheDataTypeE1ES0_Li16ELi64ELi256ELb0ELi5EEvPKT_PKT0_S8_ifPKiSA_SA_iPKfiiiPfSD_PS3_PT2_iSC_SC_
	.p2align	8
	.type	_Z39paged_attention_ll4mi_QKV_mfma16_kernelI14__hip_bfloat16hLN4vllm18Fp8KVCacheDataTypeE1ES0_Li16ELi64ELi256ELb0ELi5EEvPKT_PKT0_S8_ifPKiSA_SA_iPKfiiiPfSD_PS3_PT2_iSC_SC_,@function
_Z39paged_attention_ll4mi_QKV_mfma16_kernelI14__hip_bfloat16hLN4vllm18Fp8KVCacheDataTypeE1ES0_Li16ELi64ELi256ELb0ELi5EEvPKT_PKT0_S8_ifPKiSA_SA_iPKfiiiPfSD_PS3_PT2_iSC_SC_: ; @_Z39paged_attention_ll4mi_QKV_mfma16_kernelI14__hip_bfloat16hLN4vllm18Fp8KVCacheDataTypeE1ES0_Li16ELi64ELi256ELb0ELi5EEvPKT_PKT0_S8_ifPKiSA_SA_iPKfiiiPfSD_PS3_PT2_iSC_SC_
; %bb.0:
	s_load_dwordx2 s[12:13], s[0:1], 0x30
	s_mov_b32 s28, s3
	s_mov_b64 s[6:7], 0
	s_waitcnt lgkmcnt(0)
	s_cmp_lg_u64 s[12:13], 0
	s_cselect_b64 s[14:15], -1, 0
	s_and_b64 vcc, exec, s[14:15]
	s_cbranch_vccz .LBB1152_7
; %bb.1:
	s_add_i32 s8, s2, 1
	s_mov_b32 s9, 0
	s_lshl_b64 s[10:11], s[8:9], 2
	s_add_u32 s10, s12, s10
	s_mov_b32 s3, s9
	s_addc_u32 s11, s13, s11
	s_lshl_b64 s[8:9], s[2:3], 2
	s_add_u32 s8, s12, s8
	s_addc_u32 s9, s13, s9
	s_load_dword s5, s[10:11], 0x0
	s_load_dword s16, s[8:9], 0x0
	s_waitcnt lgkmcnt(0)
	s_sub_i32 s5, s5, s16
	s_cmp_eq_u32 s5, 1
	s_cselect_b64 s[8:9], -1, 0
	s_andn2_b64 vcc, exec, s[6:7]
	s_cbranch_vccnz .LBB1152_3
.LBB1152_2:
	s_mov_b32 s3, 0
	s_mov_b64 s[8:9], -1
.LBB1152_3:
	s_andn2_b64 vcc, exec, s[8:9]
	s_cbranch_vccnz .LBB1152_18
; %bb.4:
	s_load_dwordx2 s[6:7], s[0:1], 0x28
	s_lshl_b64 s[16:17], s[2:3], 2
	s_waitcnt lgkmcnt(0)
	s_add_u32 s6, s6, s16
	s_addc_u32 s7, s7, s17
	s_load_dword s33, s[6:7], 0x0
	s_lshl_b32 s5, s28, 8
	s_waitcnt lgkmcnt(0)
	s_cmp_ge_i32 s5, s33
	s_cbranch_scc1 .LBB1152_18
; %bb.5:
	s_add_i32 s9, s33, 15
	s_load_dwordx2 s[6:7], s[0:1], 0x20
	s_load_dword s8, s[0:1], 0x38
	s_ashr_i32 s10, s9, 31
	v_and_b32_e32 v1, 0xcf, v0
	s_lshr_b32 s10, s10, 28
	v_add_u32_e32 v1, s5, v1
	s_add_i32 s9, s9, s10
	v_ashrrev_i32_e32 v2, 31, v1
	s_ashr_i32 s18, s9, 4
	v_lshrrev_b32_e32 v6, 28, v2
	s_add_i32 s18, s18, -1
	v_add_u32_e32 v2, v1, v6
	v_or_b32_e32 v4, 16, v1
	s_waitcnt lgkmcnt(0)
	s_mul_i32 s8, s2, s8
	s_mov_b32 s9, 0
	v_ashrrev_i32_e32 v2, 4, v2
	v_mov_b32_e32 v7, s18
	v_cmp_gt_i32_e32 vcc, s33, v1
	v_add_u32_e32 v5, v4, v6
	s_lshl_b64 s[8:9], s[8:9], 2
	v_cndmask_b32_e32 v2, v7, v2, vcc
	v_ashrrev_i32_e32 v5, 4, v5
	v_cmp_gt_i32_e32 vcc, s33, v4
	s_add_u32 s6, s6, s8
	s_addc_u32 s7, s7, s9
	v_cndmask_b32_e32 v4, v7, v5, vcc
	v_ashrrev_i32_e32 v5, 31, v4
	v_lshl_add_u64 v[8:9], v[4:5], 2, s[6:7]
	v_or_b32_e32 v4, 32, v1
	v_add_u32_e32 v5, v4, v6
	v_ashrrev_i32_e32 v5, 4, v5
	v_cmp_gt_i32_e32 vcc, s33, v4
	v_or_b32_e32 v1, 48, v1
	v_ashrrev_i32_e32 v3, 31, v2
	v_cndmask_b32_e32 v4, v7, v5, vcc
	v_ashrrev_i32_e32 v5, 31, v4
	v_lshl_add_u64 v[10:11], v[4:5], 2, s[6:7]
	v_add_u32_e32 v4, v1, v6
	v_ashrrev_i32_e32 v4, 4, v4
	v_cmp_gt_i32_e32 vcc, s33, v1
	v_lshl_add_u64 v[2:3], v[2:3], 2, s[6:7]
	s_load_dwordx4 s[8:11], s[0:1], 0x8
	v_cndmask_b32_e32 v4, v7, v4, vcc
	v_ashrrev_i32_e32 v5, 31, v4
	v_lshl_add_u64 v[12:13], v[4:5], 2, s[6:7]
	global_load_dword v7, v[2:3], off
	global_load_dword v6, v[8:9], off
	;; [unrolled: 1-line block ×4, first 2 shown]
	s_andn2_b64 vcc, exec, s[14:15]
	s_cbranch_vccnz .LBB1152_8
; %bb.6:
	s_add_u32 s12, s12, s16
	s_addc_u32 s13, s13, s17
	s_load_dword s14, s[12:13], 0x0
	s_branch .LBB1152_9
.LBB1152_7:
	s_mov_b64 s[8:9], 0
	s_branch .LBB1152_2
.LBB1152_8:
	s_mov_b32 s14, s2
.LBB1152_9:
	s_load_dwordx4 s[44:47], s[0:1], 0x48
	v_lshrrev_b32_e32 v29, 6, v0
	v_bfe_u32 v42, v0, 4, 2
	v_lshl_or_b32 v2, v29, 2, v42
	v_and_b32_e32 v28, 15, v0
	v_lshlrev_b32_e32 v1, 3, v28
	v_cmp_gt_u32_e32 vcc, 5, v2
	v_cmp_gt_u32_e64 s[30:31], 8, v28
	v_and_b32_e32 v43, 63, v0
	s_mul_i32 s48, s4, 5
	s_and_b64 s[16:17], s[30:31], vcc
	v_lshlrev_b32_e32 v26, 1, v1
	v_lshlrev_b32_e32 v1, 4, v0
	s_and_saveexec_b64 s[12:13], s[16:17]
	s_cbranch_execz .LBB1152_11
; %bb.10:
	s_load_dwordx2 s[16:17], s[0:1], 0x0
	s_waitcnt lgkmcnt(0)
	s_ashr_i32 s15, s44, 31
	s_mul_hi_u32 s19, s14, s44
	s_mul_i32 s15, s14, s15
	s_add_i32 s15, s19, s15
	s_mul_i32 s14, s14, s44
	s_lshl_b64 s[14:15], s[14:15], 1
	s_add_u32 s14, s16, s14
	v_add_lshl_u32 v8, v2, s48, 6
	s_addc_u32 s15, s17, s15
	v_ashrrev_i32_e32 v9, 31, v8
	v_lshl_add_u64 v[8:9], v[8:9], 1, s[14:15]
	v_mov_b32_e32 v27, 0
	v_lshl_add_u64 v[8:9], v[8:9], 0, v[26:27]
	global_load_dwordx4 v[8:11], v[8:9], off
	v_lshlrev_b32_e32 v12, 8, v28
	v_lshlrev_b32_e32 v2, 5, v2
	v_and_b32_e32 v3, 16, v1
	v_and_b32_e32 v12, 0xe00, v12
	v_or3_b32 v2, v12, v2, v3
	s_waitcnt vmcnt(0)
	ds_write_b128 v2, v[8:11]
.LBB1152_11:
	s_or_b64 exec, exec, s[12:13]
	s_waitcnt lgkmcnt(0)
	s_mul_i32 s4, s4, s46
	s_add_u32 s8, s8, s4
	s_addc_u32 s9, s9, 0
	v_and_b32_e32 v10, 48, v0
	v_and_b32_e32 v30, 0xf0, v1
	v_mov_b32_e32 v31, 0
	v_lshl_add_u64 v[2:3], s[8:9], 0, v[30:31]
	v_lshlrev_b32_e32 v30, 4, v10
	v_lshl_add_u64 v[2:3], v[2:3], 0, v[30:31]
	v_or_b32_e32 v12, s5, v10
	s_waitcnt vmcnt(3)
	v_mad_i64_i32 v[8:9], s[8:9], v7, s45, v[2:3]
	v_ashrrev_i32_e32 v7, 4, v12
	v_mov_b32_e32 v13, s18
	v_cmp_gt_i32_e32 vcc, s33, v12
	s_load_dword s29, s[0:1], 0x98
	s_load_dwordx4 s[40:43], s[0:1], 0x80
	v_cndmask_b32_e32 v10, v13, v7, vcc
	v_ashrrev_i32_e32 v11, 31, v10
	v_lshl_add_u64 v[10:11], v[10:11], 2, s[6:7]
	s_waitcnt lgkmcnt(0)
	s_barrier
	global_load_dword v38, v[10:11], off
	global_load_dwordx4 v[22:25], v[8:9], off
	s_waitcnt vmcnt(4)
	v_mad_i64_i32 v[6:7], s[8:9], v6, s45, v[2:3]
	global_load_dwordx4 v[18:21], v[6:7], off
	s_waitcnt vmcnt(4)
	v_mad_i64_i32 v[6:7], s[8:9], v5, s45, v[2:3]
	global_load_dwordx4 v[14:17], v[6:7], off
	v_mul_lo_u16_e32 v8, 52, v28
	v_mov_b32_e32 v9, 5
	v_mul_lo_u16_sdwa v5, v8, v9 dst_sel:DWORD dst_unused:UNUSED_PAD src0_sel:BYTE_1 src1_sel:DWORD
	v_sub_u16_e32 v5, v28, v5
	v_or_b32_e32 v6, 64, v12
	v_or_b32_e32 v7, 0x80, v12
	v_lshlrev_b32_sdwa v5, v9, v5 dst_sel:DWORD dst_unused:UNUSED_PAD src0_sel:DWORD src1_sel:BYTE_0
	v_ashrrev_i32_e32 v9, 4, v6
	s_add_u32 s8, s10, s4
	v_cmp_gt_i32_e32 vcc, s33, v6
	v_or_b32_e32 v8, 0xc0, v12
	v_ashrrev_i32_e32 v11, 4, v7
	v_cndmask_b32_e32 v32, v13, v9, vcc
	v_cmp_gt_i32_e32 vcc, s33, v7
	s_addc_u32 s9, s11, 0
	s_waitcnt vmcnt(4)
	v_mad_i64_i32 v[2:3], s[10:11], v4, s45, v[2:3]
	v_ashrrev_i32_e32 v12, 4, v8
	v_cndmask_b32_e32 v34, v13, v11, vcc
	v_cmp_gt_i32_e32 vcc, s33, v8
	global_load_dwordx4 v[6:9], v[2:3], off
	v_ashrrev_i32_e32 v33, 31, v32
	v_cndmask_b32_e32 v36, v13, v12, vcc
	v_ashrrev_i32_e32 v35, 31, v34
	v_ashrrev_i32_e32 v37, 31, v36
	v_lshlrev_b32_e32 v10, 4, v28
	v_lshl_add_u32 v5, v42, 9, v5
	v_lshl_add_u64 v[32:33], v[32:33], 2, s[6:7]
	v_lshl_add_u64 v[34:35], v[34:35], 2, s[6:7]
	;; [unrolled: 1-line block ×3, first 2 shown]
	v_lshl_or_b32 v30, v29, 8, v10
	ds_read_b128 v[10:13], v5
	ds_read_b128 v[2:5], v5 offset:16
	s_load_dword s4, s[40:41], 0x0
	global_load_dword v45, v[32:33], off
	global_load_dword v27, v[34:35], off
	;; [unrolled: 1-line block ×3, first 2 shown]
	s_mov_b32 s44, 0x7060302
	v_lshl_add_u64 v[30:31], s[8:9], 0, v[30:31]
	s_load_dword s12, s[0:1], 0x1c
	s_mov_b32 s46, 0xff7fffff
	s_waitcnt vmcnt(7)
	v_mad_i64_i32 v[32:33], s[6:7], v38, s45, v[30:31]
	s_waitcnt vmcnt(6)
	v_cvt_pk_f32_fp8_e32 v[34:35], v22
	v_cvt_pk_f32_fp8_sdwa v[36:37], v22 src0_sel:WORD_1
	v_cvt_pk_f32_fp8_e32 v[38:39], v23
	v_cvt_pk_f32_fp8_sdwa v[40:41], v23 src0_sel:WORD_1
	v_perm_b32 v34, v35, v34, s44
	v_perm_b32 v35, v37, v36, s44
	s_waitcnt vmcnt(5)
	v_cvt_pk_f32_fp8_e32 v[22:23], v18
	v_cvt_pk_f32_fp8_e32 v[46:47], v24
	v_cvt_pk_f32_fp8_sdwa v[48:49], v24 src0_sel:WORD_1
	v_perm_b32 v38, v39, v38, s44
	v_perm_b32 v39, v41, v40, s44
	v_cvt_pk_f32_fp8_e32 v[50:51], v25
	v_cvt_pk_f32_fp8_sdwa v[52:53], v18 src0_sel:WORD_1
	v_cvt_pk_f32_fp8_sdwa v[54:55], v25 src0_sel:WORD_1
	v_perm_b32 v36, v23, v22, s44
	s_waitcnt lgkmcnt(0)
	v_mfma_f32_16x16x16_bf16 v[22:25], v[34:35], v[10:11], 0
	v_perm_b32 v40, v47, v46, s44
	v_perm_b32 v41, v49, v48, s44
	v_cvt_pk_f32_fp8_e32 v[56:57], v19
	v_perm_b32 v37, v53, v52, s44
	v_cvt_pk_f32_fp8_sdwa v[18:19], v19 src0_sel:WORD_1
	v_mfma_f32_16x16x16_bf16 v[22:25], v[38:39], v[12:13], v[22:25]
	v_perm_b32 v38, v51, v50, s44
	v_perm_b32 v39, v55, v54, s44
	v_cvt_pk_f32_fp8_e32 v[52:53], v20
	v_cvt_pk_f32_fp8_sdwa v[46:47], v20 src0_sel:WORD_1
	v_mfma_f32_16x16x16_bf16 v[22:25], v[40:41], v[2:3], v[22:25]
	v_perm_b32 v50, v57, v56, s44
	v_perm_b32 v51, v19, v18, s44
	v_cvt_pk_f32_fp8_e32 v[48:49], v21
	v_mfma_f32_16x16x16_bf16 v[34:37], v[36:37], v[10:11], 0
	v_mfma_f32_16x16x16_bf16 v[38:41], v[38:39], v[4:5], v[22:25]
	s_nop 2
	v_cvt_pk_f32_fp8_sdwa v[22:23], v21 src0_sel:WORD_1
	v_perm_b32 v24, v53, v52, s44
	v_perm_b32 v25, v47, v46, s44
	v_mfma_f32_16x16x16_bf16 v[18:21], v[50:51], v[12:13], v[34:37]
	s_waitcnt vmcnt(4)
	v_cvt_pk_f32_fp8_sdwa v[46:47], v14 src0_sel:WORD_1
	v_cvt_pk_f32_fp8_sdwa v[50:51], v17 src0_sel:WORD_1
	v_perm_b32 v34, v49, v48, s44
	v_perm_b32 v35, v23, v22, s44
	v_mfma_f32_16x16x16_bf16 v[18:21], v[24:25], v[2:3], v[18:21]
	v_cvt_pk_f32_fp8_e32 v[22:23], v14
	v_mov_b32_e32 v36, s12
	v_mul_f32_e32 v24, s4, v36
	v_mfma_f32_16x16x16_bf16 v[34:37], v[34:35], v[4:5], v[18:21]
	v_cvt_pk_f32_fp8_sdwa v[48:49], v16 src0_sel:WORD_1
	s_nop 1
	v_cvt_pk_f32_fp8_e32 v[18:19], v15
	v_perm_b32 v20, v23, v22, s44
	v_perm_b32 v21, v47, v46, s44
	v_cvt_pk_f32_fp8_sdwa v[14:15], v15 src0_sel:WORD_1
	v_perm_b32 v22, v19, v18, s44
	v_cvt_pk_f32_fp8_e32 v[46:47], v16
	v_mfma_f32_16x16x16_bf16 v[18:21], v[20:21], v[10:11], 0
	v_perm_b32 v23, v15, v14, s44
	v_perm_b32 v46, v47, v46, s44
	;; [unrolled: 1-line block ×3, first 2 shown]
	v_cvt_pk_f32_fp8_e32 v[48:49], v17
	v_mfma_f32_16x16x16_bf16 v[14:17], v[22:23], v[12:13], v[18:21]
	v_pk_mul_f32 v[22:23], v[24:25], v[40:41] op_sel_hi:[0,1]
	s_waitcnt vmcnt(3)
	v_cvt_pk_f32_fp8_sdwa v[40:41], v6 src0_sel:WORD_1
	v_perm_b32 v18, v49, v48, s44
	v_perm_b32 v19, v51, v50, s44
	v_mfma_f32_16x16x16_bf16 v[14:17], v[46:47], v[2:3], v[14:17]
	v_pk_mul_f32 v[20:21], v[24:25], v[38:39] op_sel_hi:[0,1]
	v_cvt_pk_f32_fp8_e32 v[38:39], v6
	v_cvt_pk_f32_fp8_e32 v[46:47], v8
	v_mfma_f32_16x16x16_bf16 v[14:17], v[18:19], v[4:5], v[14:17]
	v_cvt_pk_f32_fp8_e32 v[18:19], v7
	v_perm_b32 v38, v39, v38, s44
	v_perm_b32 v39, v41, v40, s44
	v_cvt_pk_f32_fp8_sdwa v[6:7], v7 src0_sel:WORD_1
	v_perm_b32 v18, v19, v18, s44
	v_cvt_pk_f32_fp8_sdwa v[48:49], v8 src0_sel:WORD_1
	v_mfma_f32_16x16x16_bf16 v[38:41], v[38:39], v[10:11], 0
	v_perm_b32 v19, v7, v6, s44
	v_perm_b32 v10, v47, v46, s44
	;; [unrolled: 1-line block ×3, first 2 shown]
	v_cvt_pk_f32_fp8_e32 v[46:47], v9
	v_cvt_pk_f32_fp8_sdwa v[48:49], v9 src0_sel:WORD_1
	v_mfma_f32_16x16x16_bf16 v[6:9], v[18:19], v[12:13], v[38:41]
	v_pk_mul_f32 v[36:37], v[24:25], v[36:37] op_sel_hi:[0,1]
	v_perm_b32 v12, v47, v46, s44
	v_perm_b32 v13, v49, v48, s44
	v_mfma_f32_16x16x16_bf16 v[6:9], v[10:11], v[2:3], v[6:9]
	v_pk_mul_f32 v[40:41], v[24:25], v[34:35] op_sel_hi:[0,1]
	v_pk_mul_f32 v[34:35], v[24:25], v[16:17] op_sel_hi:[0,1]
	;; [unrolled: 1-line block ×3, first 2 shown]
	v_mfma_f32_16x16x16_bf16 v[2:5], v[12:13], v[4:5], v[6:9]
	s_nop 6
	v_pk_mul_f32 v[18:19], v[24:25], v[4:5] op_sel_hi:[0,1]
	v_pk_mul_f32 v[24:25], v[24:25], v[2:3] op_sel_hi:[0,1]
	v_and_b32_e32 v2, 0xc0, v0
	v_add_u32_e32 v2, s5, v2
	v_lshl_or_b32 v2, v42, 2, v2
	v_or_b32_e32 v5, 1, v2
	v_mov_b32_e32 v3, 0xff7fffff
	v_cmp_gt_i32_e64 s[4:5], s33, v2
	v_cmp_gt_i32_e64 s[34:35], s33, v5
	v_or_b32_e32 v6, 3, v2
	v_cndmask_b32_e64 v4, v3, v20, s[4:5]
	v_cndmask_b32_e64 v5, v3, v21, s[34:35]
	v_max3_f32 v4, v4, s46, v5
	v_or_b32_e32 v5, 2, v2
	v_cmp_gt_i32_e64 s[36:37], s33, v5
	v_cmp_gt_i32_e64 s[38:39], s33, v6
	s_nop 0
	v_cndmask_b32_e64 v5, v3, v22, s[36:37]
	v_cndmask_b32_e64 v6, v3, v23, s[38:39]
	v_max3_f32 v4, v4, v5, v6
	v_or_b32_e32 v5, 16, v2
	v_or_b32_e32 v6, 17, v2
	v_cmp_gt_i32_e64 s[24:25], s33, v5
	v_cmp_gt_i32_e64 s[26:27], s33, v6
	s_nop 0
	v_cndmask_b32_e64 v5, v3, v40, s[24:25]
	v_cndmask_b32_e64 v6, v3, v41, s[26:27]
	v_max3_f32 v4, v4, v5, v6
	v_or_b32_e32 v5, 18, v2
	;; [unrolled: 8-line block ×6, first 2 shown]
	v_or_b32_e32 v2, 51, v2
	v_cmp_gt_i32_e32 vcc, s33, v5
	v_cmp_gt_i32_e64 s[6:7], s33, v2
	s_nop 0
	v_cndmask_b32_e32 v5, v3, v18, vcc
	v_cndmask_b32_e64 v2, v3, v19, s[6:7]
	v_max3_f32 v4, v4, v5, v2
	v_mbcnt_lo_u32_b32 v2, -1, 0
	v_mbcnt_hi_u32_b32 v5, -1, v2
	v_and_b32_e32 v2, 64, v5
	v_add_u32_e32 v6, 64, v2
	v_xor_b32_e32 v2, 32, v5
	v_cmp_lt_i32_e64 s[40:41], v2, v6
	s_nop 1
	v_cndmask_b32_e64 v2, v5, v2, s[40:41]
	v_lshlrev_b32_e32 v46, 2, v2
	ds_bpermute_b32 v7, v46, v4
	s_waitcnt vmcnt(2)
	v_mad_i64_i32 v[2:3], s[40:41], v45, s45, v[30:31]
	global_load_dwordx4 v[14:17], v[32:33], off
	global_load_dwordx4 v[10:13], v[2:3], off
	v_xor_b32_e32 v3, 16, v5
	v_cmp_lt_i32_e64 s[40:41], v3, v6
	s_waitcnt lgkmcnt(0)
	v_max_f32_e32 v2, v7, v7
	v_max_f32_e32 v2, v4, v2
	v_cndmask_b32_e64 v3, v5, v3, s[40:41]
	v_lshlrev_b32_e32 v45, 2, v3
	ds_bpermute_b32 v3, v45, v2
	s_waitcnt vmcnt(3)
	v_mad_i64_i32 v[32:33], s[40:41], v27, s45, v[30:31]
	s_waitcnt vmcnt(2)
	v_mad_i64_i32 v[30:31], s[40:41], v44, s45, v[30:31]
	s_waitcnt lgkmcnt(0)
	v_max_f32_e32 v3, v3, v3
	v_max_f32_e32 v27, v2, v3
	v_sub_f32_e32 v2, v20, v27
	v_mul_f32_e32 v2, 0x3fb8aa3b, v2
	v_exp_f32_e32 v20, v2
	v_sub_f32_e32 v2, v21, v27
	v_mul_f32_e32 v2, 0x3fb8aa3b, v2
	v_exp_f32_e32 v21, v2
	global_load_dwordx4 v[6:9], v[32:33], off
	global_load_dwordx4 v[2:5], v[30:31], off
	v_sub_f32_e32 v22, v22, v27
	v_mul_f32_e32 v22, 0x3fb8aa3b, v22
	v_sub_f32_e32 v23, v23, v27
	v_exp_f32_e32 v22, v22
	v_mul_f32_e32 v23, 0x3fb8aa3b, v23
	v_exp_f32_e32 v23, v23
	v_cndmask_b32_e64 v20, 0, v20, s[4:5]
	v_add_f32_e32 v30, 0, v20
	v_cndmask_b32_e64 v21, 0, v21, s[34:35]
	v_add_f32_e32 v30, v30, v21
	;; [unrolled: 2-line block ×3, first 2 shown]
	v_cndmask_b32_e64 v33, 0, v23, s[38:39]
	v_sub_f32_e32 v23, v40, v27
	v_sub_f32_e32 v30, v41, v27
	v_mul_f32_e32 v23, 0x3fb8aa3b, v23
	v_mul_f32_e32 v30, 0x3fb8aa3b, v30
	v_exp_f32_e32 v23, v23
	v_exp_f32_e32 v30, v30
	v_add_f32_e32 v31, v22, v33
	v_sub_f32_e32 v34, v34, v27
	v_cndmask_b32_e64 v22, 0, v23, s[24:25]
	v_cndmask_b32_e64 v23, 0, v30, s[26:27]
	v_sub_f32_e32 v30, v36, v27
	v_mul_f32_e32 v30, 0x3fb8aa3b, v30
	v_exp_f32_e32 v30, v30
	v_sub_f32_e32 v36, v37, v27
	v_add_f32_e32 v31, v31, v22
	v_mul_f32_e32 v36, 0x3fb8aa3b, v36
	v_exp_f32_e32 v37, v36
	v_add_f32_e32 v31, v31, v23
	v_cndmask_b32_e64 v36, 0, v30, s[20:21]
	v_add_f32_e32 v30, v31, v36
	v_sub_f32_e32 v31, v38, v27
	v_mul_f32_e32 v31, 0x3fb8aa3b, v31
	v_sub_f32_e32 v38, v39, v27
	v_exp_f32_e32 v31, v31
	v_mul_f32_e32 v38, 0x3fb8aa3b, v38
	v_exp_f32_e32 v38, v38
	v_mul_f32_e32 v34, 0x3fb8aa3b, v34
	v_sub_f32_e32 v35, v35, v27
	v_exp_f32_e32 v34, v34
	v_mul_f32_e32 v35, 0x3fb8aa3b, v35
	v_sub_f32_e32 v24, v24, v27
	v_cndmask_b32_e64 v37, 0, v37, s[22:23]
	v_exp_f32_e32 v35, v35
	v_mul_f32_e32 v24, 0x3fb8aa3b, v24
	v_sub_f32_e32 v25, v25, v27
	v_add_f32_e32 v39, v30, v37
	v_cndmask_b32_e64 v30, 0, v31, s[16:17]
	v_exp_f32_e32 v24, v24
	v_mul_f32_e32 v25, 0x3fb8aa3b, v25
	v_sub_f32_e32 v18, v18, v27
	v_add_f32_e32 v39, v39, v30
	;; [unrolled: 5-line block ×3, first 2 shown]
	v_cndmask_b32_e64 v34, 0, v34, s[12:13]
	v_exp_f32_e32 v18, v18
	v_mul_f32_e32 v19, 0x3fb8aa3b, v19
	v_add_f32_e32 v38, v38, v34
	v_cndmask_b32_e64 v35, 0, v35, s[14:15]
	v_exp_f32_e32 v19, v19
	v_add_f32_e32 v38, v38, v35
	v_cndmask_b32_e64 v24, 0, v24, s[8:9]
	v_add_f32_e32 v38, v38, v24
	v_cndmask_b32_e64 v25, 0, v25, s[10:11]
	v_add_f32_e32 v38, v38, v25
	v_cndmask_b32_e32 v18, 0, v18, vcc
	v_add_f32_e32 v38, v38, v18
	v_cndmask_b32_e64 v19, 0, v19, s[6:7]
	v_add_f32_e32 v38, v38, v19
	ds_bpermute_b32 v39, v46, v38
	v_cmp_gt_u32_e64 s[6:7], 16, v43
	s_waitcnt lgkmcnt(0)
	s_barrier
	v_add_f32_e32 v39, v38, v39
	ds_bpermute_b32 v40, v45, v39
	v_lshlrev_b32_e32 v38, 2, v28
	s_and_saveexec_b64 s[4:5], s[6:7]
	s_cbranch_execz .LBB1152_13
; %bb.12:
	s_waitcnt lgkmcnt(0)
	v_add_f32_e32 v39, v39, v40
	v_lshl_or_b32 v40, v29, 6, v38
	ds_write2st64_b32 v40, v27, v39 offset1:1
.LBB1152_13:
	s_or_b64 exec, exec, s[4:5]
	s_load_dword s8, s[0:1], 0x94
	s_waitcnt lgkmcnt(0)
	s_barrier
	ds_read2_b32 v[40:41], v38 offset1:16
	ds_read2_b32 v[44:45], v38 offset0:32 offset1:48
	ds_read2_b32 v[46:47], v38 offset0:64 offset1:80
	s_movk_i32 s10, 0x7fff
	s_mul_i32 s9, s29, 5
	s_waitcnt lgkmcnt(2)
	v_max3_f32 v27, v40, s46, v41
	s_waitcnt lgkmcnt(1)
	v_max3_f32 v27, v27, v44, v45
	v_sub_f32_e32 v39, v40, v27
	v_sub_f32_e32 v40, v41, v27
	v_mul_f32_e32 v40, 0x3fb8aa3b, v40
	v_mul_f32_e32 v39, 0x3fb8aa3b, v39
	v_exp_f32_e32 v43, v40
	v_sub_f32_e32 v40, v44, v27
	v_exp_f32_e32 v39, v39
	v_mul_f32_e32 v40, 0x3fb8aa3b, v40
	v_exp_f32_e32 v44, v40
	ds_read2_b32 v[40:41], v38 offset0:96 offset1:112
	v_sub_f32_e32 v38, v45, v27
	v_mul_f32_e32 v38, 0x3fb8aa3b, v38
	v_exp_f32_e32 v45, v38
	s_waitcnt lgkmcnt(1)
	v_fma_f32 v38, v39, v46, 0
	v_fmac_f32_e32 v38, v43, v47
	s_waitcnt lgkmcnt(0)
	v_fmac_f32_e32 v38, v44, v40
	v_fmac_f32_e32 v38, v45, v41
	v_add_f32_e32 v40, 0x358637bd, v38
	v_div_scale_f32 v41, s[4:5], v40, v40, 1.0
	v_rcp_f32_e32 v46, v41
	s_barrier
	v_fma_f32 v47, -v41, v46, 1.0
	v_fmac_f32_e32 v46, v47, v46
	v_div_scale_f32 v47, vcc, 1.0, v40, 1.0
	v_mul_f32_e32 v48, v47, v46
	v_fma_f32 v49, -v41, v48, v47
	v_fmac_f32_e32 v48, v49, v46
	v_fma_f32 v41, -v41, v48, v47
	v_div_fmas_f32 v41, v41, v46, v48
	v_cmp_eq_u32_e32 vcc, 1, v29
	v_div_fixup_f32 v40, v41, v40, 1.0
	s_nop 0
	v_cndmask_b32_e32 v39, v39, v43, vcc
	v_cmp_eq_u32_e32 vcc, 2, v29
	s_nop 1
	v_cndmask_b32_e32 v39, v39, v44, vcc
	v_cmp_eq_u32_e32 vcc, 3, v29
	v_lshlrev_b32_e32 v29, 11, v29
	s_nop 0
	v_cndmask_b32_e32 v39, v39, v45, vcc
	v_mul_f32_e32 v40, v39, v40
	v_pk_mul_f32 v[20:21], v[40:41], v[20:21] op_sel_hi:[0,1]
	v_pk_mul_f32 v[32:33], v[40:41], v[32:33] op_sel_hi:[0,1]
	v_bfe_u32 v39, v21, 16, 1
	v_bfe_u32 v41, v20, 16, 1
	v_add3_u32 v20, v20, v41, s10
	v_add3_u32 v21, v21, v39, s10
	v_perm_b32 v44, v21, v20, s44
	v_bfe_u32 v20, v33, 16, 1
	v_bfe_u32 v21, v32, 16, 1
	v_add3_u32 v21, v32, v21, s10
	v_add3_u32 v20, v33, v20, s10
	v_perm_b32 v45, v20, v21, s44
	v_lshlrev_b32_e32 v20, 3, v42
	v_lshlrev_b32_e32 v21, 5, v28
	v_pk_mul_f32 v[22:23], v[40:41], v[22:23] op_sel_hi:[0,1]
	v_or3_b32 v20, v29, v21, v20
	v_pk_mul_f32 v[32:33], v[40:41], v[36:37] op_sel_hi:[0,1]
	v_bfe_u32 v29, v23, 16, 1
	v_bfe_u32 v36, v22, 16, 1
	v_add3_u32 v22, v22, v36, s10
	v_add3_u32 v23, v23, v29, s10
	v_perm_b32 v22, v23, v22, s44
	v_bfe_u32 v23, v33, 16, 1
	v_bfe_u32 v29, v32, 16, 1
	v_add3_u32 v29, v32, v29, s10
	v_add3_u32 v23, v33, v23, s10
	v_pk_mul_f32 v[30:31], v[40:41], v[30:31] op_sel_hi:[0,1]
	v_perm_b32 v23, v23, v29, s44
	v_bfe_u32 v29, v31, 16, 1
	v_bfe_u32 v32, v30, 16, 1
	ds_write2st64_b64 v20, v[44:45], v[22:23] offset1:1
	v_pk_mul_f32 v[22:23], v[40:41], v[34:35] op_sel_hi:[0,1]
	v_add3_u32 v30, v30, v32, s10
	v_add3_u32 v29, v31, v29, s10
	v_perm_b32 v30, v29, v30, s44
	v_bfe_u32 v29, v23, 16, 1
	v_bfe_u32 v31, v22, 16, 1
	v_add3_u32 v22, v22, v31, s10
	v_add3_u32 v23, v23, v29, s10
	v_perm_b32 v31, v23, v22, s44
	v_pk_mul_f32 v[22:23], v[40:41], v[24:25] op_sel_hi:[0,1]
	v_bfe_u32 v24, v23, 16, 1
	v_bfe_u32 v25, v22, 16, 1
	v_pk_mul_f32 v[18:19], v[40:41], v[18:19] op_sel_hi:[0,1]
	v_add3_u32 v22, v22, v25, s10
	v_add3_u32 v23, v23, v24, s10
	v_perm_b32 v22, v23, v22, s44
	v_bfe_u32 v23, v19, 16, 1
	v_bfe_u32 v24, v18, 16, 1
	v_add3_u32 v18, v18, v24, s10
	v_add3_u32 v19, v19, v23, s10
	v_perm_b32 v23, v19, v18, s44
	v_cmp_gt_u32_e32 vcc, 5, v0
	ds_write2st64_b64 v20, v[30:31], v[22:23] offset0:2 offset1:3
	s_and_saveexec_b64 s[4:5], vcc
	s_cbranch_execz .LBB1152_15
; %bb.14:
	s_mov_b32 s49, 0
	v_mov_b32_e32 v29, 0
	v_lshl_add_u64 v[18:19], s[48:49], 0, v[28:29]
	v_mov_b32_e32 v22, s9
	v_mad_u64_u32 v[18:19], s[16:17], s2, v22, v[18:19]
	s_mul_i32 s3, s3, s9
	v_mov_b32_e32 v28, s28
	s_load_dwordx4 s[12:15], s[0:1], 0x58
	v_add_u32_e32 v23, s3, v19
	v_mad_u64_u32 v[18:19], s[16:17], v18, s8, v[28:29]
	v_mov_b32_e32 v22, v19
	v_mad_u64_u32 v[22:23], s[16:17], v23, s8, v[22:23]
	v_mov_b32_e32 v19, v22
	v_lshlrev_b64 v[18:19], 2, v[18:19]
	s_waitcnt lgkmcnt(0)
	v_lshl_add_u64 v[22:23], s[14:15], 0, v[18:19]
	v_lshl_add_u64 v[18:19], s[12:13], 0, v[18:19]
	global_store_dword v[22:23], v27, off
	global_store_dword v[18:19], v38, off
.LBB1152_15:
	s_or_b64 exec, exec, s[4:5]
	s_waitcnt vmcnt(3)
	v_cvt_pk_f32_fp8_e32 v[18:19], v14
	v_cvt_pk_f32_fp8_sdwa v[22:23], v14 src0_sel:WORD_1
	s_mov_b32 s4, 0x7060302
	v_lshl_or_b32 v14, v42, 9, v21
	s_waitcnt lgkmcnt(0)
	s_barrier
	v_perm_b32 v18, v19, v18, s4
	v_perm_b32 v19, v23, v22, s4
	v_cvt_pk_f32_fp8_e32 v[28:29], v15
	ds_read_b128 v[22:25], v14
	v_cvt_pk_f32_fp8_sdwa v[36:37], v15 src0_sel:WORD_1
	s_load_dword s12, s[42:43], 0x0
	v_perm_b32 v38, v29, v28, s4
	ds_read_b128 v[28:31], v14 offset:16
	v_perm_b32 v39, v37, v36, s4
	s_waitcnt lgkmcnt(0)
	v_mfma_f32_16x16x16_bf16 v[32:35], v[18:19], v[22:23], 0
	v_cvt_pk_f32_fp8_e32 v[18:19], v16
	v_cvt_pk_f32_fp8_sdwa v[36:37], v16 src0_sel:WORD_1
	v_cmp_gt_u32_e32 vcc, 64, v0
	v_mfma_f32_16x16x16_bf16 v[22:25], v[38:39], v[24:25], v[32:35]
	v_perm_b32 v18, v19, v18, s4
	v_perm_b32 v19, v37, v36, s4
	s_waitcnt vmcnt(2)
	v_cvt_pk_f32_fp8_sdwa v[36:37], v10 src0_sel:WORD_1
	v_cvt_pk_f32_fp8_e32 v[32:33], v17
	v_cvt_pk_f32_fp8_sdwa v[16:17], v17 src0_sel:WORD_1
	v_cvt_pk_f32_fp8_e32 v[34:35], v10
	s_mov_b32 s3, 0
	v_perm_b32 v32, v33, v32, s4
	v_perm_b32 v33, v17, v16, s4
	v_mfma_f32_16x16x16_bf16 v[16:19], v[18:19], v[28:29], v[22:25]
	v_perm_b32 v34, v35, v34, s4
	v_perm_b32 v35, v37, v36, s4
	v_cvt_pk_f32_fp8_e32 v[28:29], v11
	ds_read_b128 v[22:25], v14 offset:2048
	v_cvt_pk_f32_fp8_sdwa v[10:11], v11 src0_sel:WORD_1
	v_mfma_f32_16x16x16_bf16 v[16:19], v[32:33], v[30:31], v[16:19]
	v_perm_b32 v32, v29, v28, s4
	ds_read_b128 v[28:31], v14 offset:2064
	v_perm_b32 v33, v11, v10, s4
	s_waitcnt lgkmcnt(1)
	v_mfma_f32_16x16x16_bf16 v[16:19], v[34:35], v[22:23], v[16:19]
	v_cvt_pk_f32_fp8_e32 v[10:11], v12
	v_cvt_pk_f32_fp8_sdwa v[22:23], v12 src0_sel:WORD_1
	v_mov_b32_e32 v27, 0
	v_mfma_f32_16x16x16_bf16 v[16:19], v[32:33], v[24:25], v[16:19]
	v_cvt_pk_f32_fp8_e32 v[24:25], v13
	v_perm_b32 v10, v11, v10, s4
	v_perm_b32 v11, v23, v22, s4
	v_cvt_pk_f32_fp8_sdwa v[12:13], v13 src0_sel:WORD_1
	v_perm_b32 v22, v25, v24, s4
	s_waitcnt vmcnt(1)
	v_cvt_pk_f32_fp8_e32 v[24:25], v6
	v_cvt_pk_f32_fp8_sdwa v[32:33], v6 src0_sel:WORD_1
	v_perm_b32 v23, v13, v12, s4
	s_waitcnt lgkmcnt(0)
	v_mfma_f32_16x16x16_bf16 v[10:13], v[10:11], v[28:29], v[16:19]
	v_perm_b32 v28, v25, v24, s4
	v_perm_b32 v29, v33, v32, s4
	v_cvt_pk_f32_fp8_e32 v[24:25], v7
	ds_read_b128 v[16:19], v14 offset:4096
	v_cvt_pk_f32_fp8_sdwa v[6:7], v7 src0_sel:WORD_1
	v_mfma_f32_16x16x16_bf16 v[10:13], v[22:23], v[30:31], v[10:13]
	v_perm_b32 v30, v25, v24, s4
	ds_read_b128 v[22:25], v14 offset:4112
	v_perm_b32 v31, v7, v6, s4
	s_waitcnt lgkmcnt(1)
	v_mfma_f32_16x16x16_bf16 v[10:13], v[28:29], v[16:17], v[10:13]
	v_cvt_pk_f32_fp8_e32 v[6:7], v8
	v_cvt_pk_f32_fp8_sdwa v[16:17], v8 src0_sel:WORD_1
	s_waitcnt vmcnt(0)
	v_cvt_pk_f32_fp8_sdwa v[28:29], v2 src0_sel:WORD_1
	v_mfma_f32_16x16x16_bf16 v[10:13], v[30:31], v[18:19], v[10:13]
	v_cvt_pk_f32_fp8_e32 v[18:19], v9
	v_perm_b32 v6, v7, v6, s4
	v_perm_b32 v7, v17, v16, s4
	v_cvt_pk_f32_fp8_sdwa v[8:9], v9 src0_sel:WORD_1
	v_perm_b32 v16, v19, v18, s4
	v_cvt_pk_f32_fp8_e32 v[18:19], v2
	v_perm_b32 v17, v9, v8, s4
	s_waitcnt lgkmcnt(0)
	v_mfma_f32_16x16x16_bf16 v[6:9], v[6:7], v[22:23], v[10:13]
	v_perm_b32 v18, v19, v18, s4
	v_perm_b32 v19, v29, v28, s4
	v_cvt_pk_f32_fp8_e32 v[22:23], v3
	ds_read_b128 v[10:13], v14 offset:6144
	v_cvt_pk_f32_fp8_sdwa v[2:3], v3 src0_sel:WORD_1
	v_mfma_f32_16x16x16_bf16 v[6:9], v[16:17], v[24:25], v[6:9]
	v_perm_b32 v22, v23, v22, s4
	ds_read_b128 v[14:17], v14 offset:6160
	v_perm_b32 v23, v3, v2, s4
	s_waitcnt lgkmcnt(1)
	v_mfma_f32_16x16x16_bf16 v[6:9], v[18:19], v[10:11], v[6:9]
	v_cvt_pk_f32_fp8_e32 v[2:3], v4
	v_cvt_pk_f32_fp8_sdwa v[10:11], v4 src0_sel:WORD_1
	s_waitcnt lgkmcnt(0)
	v_mfma_f32_16x16x16_bf16 v[6:9], v[22:23], v[12:13], v[6:9]
	v_perm_b32 v2, v3, v2, s4
	v_perm_b32 v3, v11, v10, s4
	v_cvt_pk_f32_fp8_e32 v[10:11], v5
	v_cvt_pk_f32_fp8_sdwa v[4:5], v5 src0_sel:WORD_1
	s_barrier
	v_perm_b32 v10, v11, v10, s4
	v_perm_b32 v11, v5, v4, s4
	v_mfma_f32_16x16x16_bf16 v[2:5], v[2:3], v[14:15], v[6:9]
	s_nop 0
	v_mfma_f32_16x16x16_bf16 v[2:5], v[10:11], v[16:17], v[2:5]
	s_nop 6
	v_pk_mul_f32 v[2:3], v[2:3], s[12:13] op_sel_hi:[1,0]
	v_pk_mul_f32 v[4:5], v[4:5], s[12:13] op_sel_hi:[1,0]
	v_bfe_u32 v6, v3, 16, 1
	v_bfe_u32 v7, v2, 16, 1
	v_add3_u32 v2, v2, v7, s10
	v_add3_u32 v3, v3, v6, s10
	v_perm_b32 v2, v3, v2, s4
	v_bfe_u32 v3, v5, 16, 1
	v_bfe_u32 v6, v4, 16, 1
	v_add3_u32 v4, v4, v6, s10
	v_add3_u32 v3, v5, v3, s10
	v_perm_b32 v3, v3, v4, s4
	s_and_b64 s[4:5], vcc, s[30:31]
	ds_write_b64 v20, v[2:3]
	s_waitcnt lgkmcnt(0)
	s_barrier
	s_and_saveexec_b64 s[10:11], s[4:5]
	s_cbranch_execz .LBB1152_18
; %bb.16:
	s_load_dwordx2 s[4:5], s[0:1], 0x68
	s_lshl_b32 s0, s8, 6
	s_mul_i32 s1, s9, s2
	s_mul_hi_u32 s9, s1, s0
	s_mul_i32 s8, s1, s0
	v_lshlrev_b32_e32 v0, 10, v0
	s_lshl_b64 s[8:9], s[8:9], 1
	v_and_b32_e32 v0, 0x1800, v0
	v_lshlrev_b32_e32 v2, 5, v42
	v_and_b32_e32 v1, 16, v1
	s_waitcnt lgkmcnt(0)
	s_add_u32 s1, s4, s8
	v_or3_b32 v2, v0, v2, v1
	s_addc_u32 s4, s5, s9
	s_lshl_b32 s2, s28, 6
	s_lshl_b64 s[2:3], s[2:3], 1
	ds_read_b128 v[4:7], v2
	s_add_u32 s2, s1, s2
	s_addc_u32 s3, s4, s3
	v_add_u32_e32 v3, s48, v42
	v_lshl_add_u64 v[0:1], s[2:3], 0, v[26:27]
	v_mad_u64_u32 v[8:9], s[2:3], v3, s0, 0
	v_lshl_add_u64 v[8:9], v[8:9], 1, v[0:1]
	s_waitcnt lgkmcnt(0)
	global_store_dwordx4 v[8:9], v[4:7], off
	s_and_b64 exec, exec, s[6:7]
	s_cbranch_execz .LBB1152_18
; %bb.17:
	ds_read_b128 v[2:5], v2 offset:128
	v_add3_u32 v6, s48, v42, 4
	v_mad_u64_u32 v[6:7], s[0:1], v6, s0, 0
	v_lshl_add_u64 v[0:1], v[6:7], 1, v[0:1]
	s_waitcnt lgkmcnt(0)
	global_store_dwordx4 v[0:1], v[2:5], off
.LBB1152_18:
	s_endpgm
	.section	.rodata,"a",@progbits
	.p2align	6, 0x0
	.amdhsa_kernel _Z39paged_attention_ll4mi_QKV_mfma16_kernelI14__hip_bfloat16hLN4vllm18Fp8KVCacheDataTypeE1ES0_Li16ELi64ELi256ELb0ELi5EEvPKT_PKT0_S8_ifPKiSA_SA_iPKfiiiPfSD_PS3_PT2_iSC_SC_
		.amdhsa_group_segment_fixed_size 8192
		.amdhsa_private_segment_fixed_size 0
		.amdhsa_kernarg_size 400
		.amdhsa_user_sgpr_count 2
		.amdhsa_user_sgpr_dispatch_ptr 0
		.amdhsa_user_sgpr_queue_ptr 0
		.amdhsa_user_sgpr_kernarg_segment_ptr 1
		.amdhsa_user_sgpr_dispatch_id 0
		.amdhsa_user_sgpr_kernarg_preload_length 0
		.amdhsa_user_sgpr_kernarg_preload_offset 0
		.amdhsa_user_sgpr_private_segment_size 0
		.amdhsa_uses_dynamic_stack 0
		.amdhsa_enable_private_segment 0
		.amdhsa_system_sgpr_workgroup_id_x 1
		.amdhsa_system_sgpr_workgroup_id_y 1
		.amdhsa_system_sgpr_workgroup_id_z 1
		.amdhsa_system_sgpr_workgroup_info 0
		.amdhsa_system_vgpr_workitem_id 0
		.amdhsa_next_free_vgpr 58
		.amdhsa_next_free_sgpr 50
		.amdhsa_accum_offset 60
		.amdhsa_reserve_vcc 1
		.amdhsa_float_round_mode_32 0
		.amdhsa_float_round_mode_16_64 0
		.amdhsa_float_denorm_mode_32 3
		.amdhsa_float_denorm_mode_16_64 3
		.amdhsa_dx10_clamp 1
		.amdhsa_ieee_mode 1
		.amdhsa_fp16_overflow 0
		.amdhsa_tg_split 0
		.amdhsa_exception_fp_ieee_invalid_op 0
		.amdhsa_exception_fp_denorm_src 0
		.amdhsa_exception_fp_ieee_div_zero 0
		.amdhsa_exception_fp_ieee_overflow 0
		.amdhsa_exception_fp_ieee_underflow 0
		.amdhsa_exception_fp_ieee_inexact 0
		.amdhsa_exception_int_div_zero 0
	.end_amdhsa_kernel
	.section	.text._Z39paged_attention_ll4mi_QKV_mfma16_kernelI14__hip_bfloat16hLN4vllm18Fp8KVCacheDataTypeE1ES0_Li16ELi64ELi256ELb0ELi5EEvPKT_PKT0_S8_ifPKiSA_SA_iPKfiiiPfSD_PS3_PT2_iSC_SC_,"axG",@progbits,_Z39paged_attention_ll4mi_QKV_mfma16_kernelI14__hip_bfloat16hLN4vllm18Fp8KVCacheDataTypeE1ES0_Li16ELi64ELi256ELb0ELi5EEvPKT_PKT0_S8_ifPKiSA_SA_iPKfiiiPfSD_PS3_PT2_iSC_SC_,comdat
.Lfunc_end1152:
	.size	_Z39paged_attention_ll4mi_QKV_mfma16_kernelI14__hip_bfloat16hLN4vllm18Fp8KVCacheDataTypeE1ES0_Li16ELi64ELi256ELb0ELi5EEvPKT_PKT0_S8_ifPKiSA_SA_iPKfiiiPfSD_PS3_PT2_iSC_SC_, .Lfunc_end1152-_Z39paged_attention_ll4mi_QKV_mfma16_kernelI14__hip_bfloat16hLN4vllm18Fp8KVCacheDataTypeE1ES0_Li16ELi64ELi256ELb0ELi5EEvPKT_PKT0_S8_ifPKiSA_SA_iPKfiiiPfSD_PS3_PT2_iSC_SC_
                                        ; -- End function
	.section	.AMDGPU.csdata,"",@progbits
; Kernel info:
; codeLenInByte = 4820
; NumSgprs: 56
; NumVgprs: 58
; NumAgprs: 0
; TotalNumVgprs: 58
; ScratchSize: 0
; MemoryBound: 0
; FloatMode: 240
; IeeeMode: 1
; LDSByteSize: 8192 bytes/workgroup (compile time only)
; SGPRBlocks: 6
; VGPRBlocks: 7
; NumSGPRsForWavesPerEU: 56
; NumVGPRsForWavesPerEU: 58
; AccumOffset: 60
; Occupancy: 8
; WaveLimiterHint : 1
; COMPUTE_PGM_RSRC2:SCRATCH_EN: 0
; COMPUTE_PGM_RSRC2:USER_SGPR: 2
; COMPUTE_PGM_RSRC2:TRAP_HANDLER: 0
; COMPUTE_PGM_RSRC2:TGID_X_EN: 1
; COMPUTE_PGM_RSRC2:TGID_Y_EN: 1
; COMPUTE_PGM_RSRC2:TGID_Z_EN: 1
; COMPUTE_PGM_RSRC2:TIDIG_COMP_CNT: 0
; COMPUTE_PGM_RSRC3_GFX90A:ACCUM_OFFSET: 14
; COMPUTE_PGM_RSRC3_GFX90A:TG_SPLIT: 0
	.section	.text._Z39paged_attention_ll4mi_QKV_mfma16_kernelI14__hip_bfloat16hLN4vllm18Fp8KVCacheDataTypeE1ES0_Li16ELi64ELi256ELb0ELi6EEvPKT_PKT0_S8_ifPKiSA_SA_iPKfiiiPfSD_PS3_PT2_iSC_SC_,"axG",@progbits,_Z39paged_attention_ll4mi_QKV_mfma16_kernelI14__hip_bfloat16hLN4vllm18Fp8KVCacheDataTypeE1ES0_Li16ELi64ELi256ELb0ELi6EEvPKT_PKT0_S8_ifPKiSA_SA_iPKfiiiPfSD_PS3_PT2_iSC_SC_,comdat
	.protected	_Z39paged_attention_ll4mi_QKV_mfma16_kernelI14__hip_bfloat16hLN4vllm18Fp8KVCacheDataTypeE1ES0_Li16ELi64ELi256ELb0ELi6EEvPKT_PKT0_S8_ifPKiSA_SA_iPKfiiiPfSD_PS3_PT2_iSC_SC_ ; -- Begin function _Z39paged_attention_ll4mi_QKV_mfma16_kernelI14__hip_bfloat16hLN4vllm18Fp8KVCacheDataTypeE1ES0_Li16ELi64ELi256ELb0ELi6EEvPKT_PKT0_S8_ifPKiSA_SA_iPKfiiiPfSD_PS3_PT2_iSC_SC_
	.globl	_Z39paged_attention_ll4mi_QKV_mfma16_kernelI14__hip_bfloat16hLN4vllm18Fp8KVCacheDataTypeE1ES0_Li16ELi64ELi256ELb0ELi6EEvPKT_PKT0_S8_ifPKiSA_SA_iPKfiiiPfSD_PS3_PT2_iSC_SC_
	.p2align	8
	.type	_Z39paged_attention_ll4mi_QKV_mfma16_kernelI14__hip_bfloat16hLN4vllm18Fp8KVCacheDataTypeE1ES0_Li16ELi64ELi256ELb0ELi6EEvPKT_PKT0_S8_ifPKiSA_SA_iPKfiiiPfSD_PS3_PT2_iSC_SC_,@function
_Z39paged_attention_ll4mi_QKV_mfma16_kernelI14__hip_bfloat16hLN4vllm18Fp8KVCacheDataTypeE1ES0_Li16ELi64ELi256ELb0ELi6EEvPKT_PKT0_S8_ifPKiSA_SA_iPKfiiiPfSD_PS3_PT2_iSC_SC_: ; @_Z39paged_attention_ll4mi_QKV_mfma16_kernelI14__hip_bfloat16hLN4vllm18Fp8KVCacheDataTypeE1ES0_Li16ELi64ELi256ELb0ELi6EEvPKT_PKT0_S8_ifPKiSA_SA_iPKfiiiPfSD_PS3_PT2_iSC_SC_
; %bb.0:
	s_load_dwordx2 s[12:13], s[0:1], 0x30
	s_mov_b32 s28, s3
	s_mov_b64 s[6:7], 0
	s_waitcnt lgkmcnt(0)
	s_cmp_lg_u64 s[12:13], 0
	s_cselect_b64 s[14:15], -1, 0
	s_and_b64 vcc, exec, s[14:15]
	s_cbranch_vccz .LBB1153_7
; %bb.1:
	s_add_i32 s8, s2, 1
	s_mov_b32 s9, 0
	s_lshl_b64 s[10:11], s[8:9], 2
	s_add_u32 s10, s12, s10
	s_mov_b32 s3, s9
	s_addc_u32 s11, s13, s11
	s_lshl_b64 s[8:9], s[2:3], 2
	s_add_u32 s8, s12, s8
	s_addc_u32 s9, s13, s9
	s_load_dword s5, s[10:11], 0x0
	s_load_dword s16, s[8:9], 0x0
	s_waitcnt lgkmcnt(0)
	s_sub_i32 s5, s5, s16
	s_cmp_eq_u32 s5, 1
	s_cselect_b64 s[8:9], -1, 0
	s_andn2_b64 vcc, exec, s[6:7]
	s_cbranch_vccnz .LBB1153_3
.LBB1153_2:
	s_mov_b32 s3, 0
	s_mov_b64 s[8:9], -1
.LBB1153_3:
	s_andn2_b64 vcc, exec, s[8:9]
	s_cbranch_vccnz .LBB1153_18
; %bb.4:
	s_load_dwordx2 s[6:7], s[0:1], 0x28
	s_lshl_b64 s[16:17], s[2:3], 2
	s_waitcnt lgkmcnt(0)
	s_add_u32 s6, s6, s16
	s_addc_u32 s7, s7, s17
	s_load_dword s33, s[6:7], 0x0
	s_lshl_b32 s5, s28, 8
	s_waitcnt lgkmcnt(0)
	s_cmp_ge_i32 s5, s33
	s_cbranch_scc1 .LBB1153_18
; %bb.5:
	s_add_i32 s9, s33, 15
	s_load_dwordx2 s[6:7], s[0:1], 0x20
	s_load_dword s8, s[0:1], 0x38
	s_ashr_i32 s10, s9, 31
	v_and_b32_e32 v1, 0xcf, v0
	s_lshr_b32 s10, s10, 28
	v_add_u32_e32 v1, s5, v1
	s_add_i32 s9, s9, s10
	v_ashrrev_i32_e32 v2, 31, v1
	s_ashr_i32 s18, s9, 4
	v_lshrrev_b32_e32 v6, 28, v2
	s_add_i32 s18, s18, -1
	v_add_u32_e32 v2, v1, v6
	v_or_b32_e32 v4, 16, v1
	s_waitcnt lgkmcnt(0)
	s_mul_i32 s8, s2, s8
	s_mov_b32 s9, 0
	v_ashrrev_i32_e32 v2, 4, v2
	v_mov_b32_e32 v7, s18
	v_cmp_gt_i32_e32 vcc, s33, v1
	v_add_u32_e32 v5, v4, v6
	s_lshl_b64 s[8:9], s[8:9], 2
	v_cndmask_b32_e32 v2, v7, v2, vcc
	v_ashrrev_i32_e32 v5, 4, v5
	v_cmp_gt_i32_e32 vcc, s33, v4
	s_add_u32 s6, s6, s8
	s_addc_u32 s7, s7, s9
	v_cndmask_b32_e32 v4, v7, v5, vcc
	v_ashrrev_i32_e32 v5, 31, v4
	v_lshl_add_u64 v[8:9], v[4:5], 2, s[6:7]
	v_or_b32_e32 v4, 32, v1
	v_add_u32_e32 v5, v4, v6
	v_ashrrev_i32_e32 v5, 4, v5
	v_cmp_gt_i32_e32 vcc, s33, v4
	v_or_b32_e32 v1, 48, v1
	v_ashrrev_i32_e32 v3, 31, v2
	v_cndmask_b32_e32 v4, v7, v5, vcc
	v_ashrrev_i32_e32 v5, 31, v4
	v_lshl_add_u64 v[10:11], v[4:5], 2, s[6:7]
	v_add_u32_e32 v4, v1, v6
	v_ashrrev_i32_e32 v4, 4, v4
	v_cmp_gt_i32_e32 vcc, s33, v1
	v_lshl_add_u64 v[2:3], v[2:3], 2, s[6:7]
	s_load_dwordx4 s[8:11], s[0:1], 0x8
	v_cndmask_b32_e32 v4, v7, v4, vcc
	v_ashrrev_i32_e32 v5, 31, v4
	v_lshl_add_u64 v[12:13], v[4:5], 2, s[6:7]
	global_load_dword v7, v[2:3], off
	global_load_dword v6, v[8:9], off
	;; [unrolled: 1-line block ×4, first 2 shown]
	s_andn2_b64 vcc, exec, s[14:15]
	s_cbranch_vccnz .LBB1153_8
; %bb.6:
	s_add_u32 s12, s12, s16
	s_addc_u32 s13, s13, s17
	s_load_dword s14, s[12:13], 0x0
	s_branch .LBB1153_9
.LBB1153_7:
	s_mov_b64 s[8:9], 0
	s_branch .LBB1153_2
.LBB1153_8:
	s_mov_b32 s14, s2
.LBB1153_9:
	s_load_dwordx4 s[44:47], s[0:1], 0x48
	v_lshrrev_b32_e32 v29, 6, v0
	v_bfe_u32 v42, v0, 4, 2
	v_lshl_or_b32 v2, v29, 2, v42
	v_and_b32_e32 v28, 15, v0
	v_lshlrev_b32_e32 v1, 3, v28
	v_cmp_gt_u32_e32 vcc, 6, v2
	v_cmp_gt_u32_e64 s[30:31], 8, v28
	v_and_b32_e32 v43, 63, v0
	s_mul_i32 s48, s4, 6
	s_and_b64 s[16:17], s[30:31], vcc
	v_lshlrev_b32_e32 v26, 1, v1
	v_lshlrev_b32_e32 v1, 4, v0
	s_and_saveexec_b64 s[12:13], s[16:17]
	s_cbranch_execz .LBB1153_11
; %bb.10:
	s_load_dwordx2 s[16:17], s[0:1], 0x0
	s_waitcnt lgkmcnt(0)
	s_ashr_i32 s15, s44, 31
	s_mul_hi_u32 s19, s14, s44
	s_mul_i32 s15, s14, s15
	s_add_i32 s15, s19, s15
	s_mul_i32 s14, s14, s44
	s_lshl_b64 s[14:15], s[14:15], 1
	s_add_u32 s14, s16, s14
	v_add_lshl_u32 v8, v2, s48, 6
	s_addc_u32 s15, s17, s15
	v_ashrrev_i32_e32 v9, 31, v8
	v_lshl_add_u64 v[8:9], v[8:9], 1, s[14:15]
	v_mov_b32_e32 v27, 0
	v_lshl_add_u64 v[8:9], v[8:9], 0, v[26:27]
	global_load_dwordx4 v[8:11], v[8:9], off
	v_lshlrev_b32_e32 v12, 8, v28
	v_lshlrev_b32_e32 v2, 5, v2
	v_and_b32_e32 v3, 16, v1
	v_and_b32_e32 v12, 0xe00, v12
	v_or3_b32 v2, v12, v2, v3
	s_waitcnt vmcnt(0)
	ds_write_b128 v2, v[8:11]
.LBB1153_11:
	s_or_b64 exec, exec, s[12:13]
	s_waitcnt lgkmcnt(0)
	s_mul_i32 s4, s4, s46
	s_add_u32 s8, s8, s4
	s_addc_u32 s9, s9, 0
	v_and_b32_e32 v10, 48, v0
	v_and_b32_e32 v30, 0xf0, v1
	v_mov_b32_e32 v31, 0
	v_lshl_add_u64 v[2:3], s[8:9], 0, v[30:31]
	v_lshlrev_b32_e32 v30, 4, v10
	v_lshl_add_u64 v[2:3], v[2:3], 0, v[30:31]
	v_or_b32_e32 v12, s5, v10
	s_waitcnt vmcnt(3)
	v_mad_i64_i32 v[8:9], s[8:9], v7, s45, v[2:3]
	v_ashrrev_i32_e32 v7, 4, v12
	v_mov_b32_e32 v13, s18
	v_cmp_gt_i32_e32 vcc, s33, v12
	s_load_dword s29, s[0:1], 0x98
	s_load_dwordx4 s[40:43], s[0:1], 0x80
	v_cndmask_b32_e32 v10, v13, v7, vcc
	v_ashrrev_i32_e32 v11, 31, v10
	v_lshl_add_u64 v[10:11], v[10:11], 2, s[6:7]
	s_waitcnt lgkmcnt(0)
	s_barrier
	global_load_dword v38, v[10:11], off
	global_load_dwordx4 v[22:25], v[8:9], off
	s_waitcnt vmcnt(4)
	v_mad_i64_i32 v[6:7], s[8:9], v6, s45, v[2:3]
	global_load_dwordx4 v[18:21], v[6:7], off
	s_waitcnt vmcnt(4)
	v_mad_i64_i32 v[6:7], s[8:9], v5, s45, v[2:3]
	global_load_dwordx4 v[14:17], v[6:7], off
	v_mul_lo_u16_e32 v8, 43, v28
	v_mov_b32_e32 v9, 6
	v_mul_lo_u16_sdwa v5, v8, v9 dst_sel:DWORD dst_unused:UNUSED_PAD src0_sel:BYTE_1 src1_sel:DWORD
	v_or_b32_e32 v6, 64, v12
	v_mov_b32_e32 v10, 5
	v_sub_u16_e32 v5, v28, v5
	v_or_b32_e32 v7, 0x80, v12
	v_ashrrev_i32_e32 v9, 4, v6
	s_add_u32 s8, s10, s4
	v_cmp_gt_i32_e32 vcc, s33, v6
	v_or_b32_e32 v8, 0xc0, v12
	v_lshlrev_b32_sdwa v5, v10, v5 dst_sel:DWORD dst_unused:UNUSED_PAD src0_sel:DWORD src1_sel:BYTE_0
	v_ashrrev_i32_e32 v10, 4, v7
	v_cndmask_b32_e32 v32, v13, v9, vcc
	v_cmp_gt_i32_e32 vcc, s33, v7
	s_addc_u32 s9, s11, 0
	s_waitcnt vmcnt(4)
	v_mad_i64_i32 v[2:3], s[10:11], v4, s45, v[2:3]
	v_ashrrev_i32_e32 v12, 4, v8
	v_cndmask_b32_e32 v34, v13, v10, vcc
	v_cmp_gt_i32_e32 vcc, s33, v8
	global_load_dwordx4 v[6:9], v[2:3], off
	v_ashrrev_i32_e32 v33, 31, v32
	v_cndmask_b32_e32 v36, v13, v12, vcc
	v_ashrrev_i32_e32 v35, 31, v34
	v_ashrrev_i32_e32 v37, 31, v36
	v_lshlrev_b32_e32 v11, 4, v28
	v_lshl_add_u32 v5, v42, 9, v5
	v_lshl_add_u64 v[32:33], v[32:33], 2, s[6:7]
	v_lshl_add_u64 v[34:35], v[34:35], 2, s[6:7]
	;; [unrolled: 1-line block ×3, first 2 shown]
	v_lshl_or_b32 v30, v29, 8, v11
	ds_read_b128 v[10:13], v5
	ds_read_b128 v[2:5], v5 offset:16
	s_load_dword s4, s[40:41], 0x0
	global_load_dword v45, v[32:33], off
	global_load_dword v27, v[34:35], off
	global_load_dword v44, v[36:37], off
	s_mov_b32 s44, 0x7060302
	v_lshl_add_u64 v[30:31], s[8:9], 0, v[30:31]
	s_load_dword s12, s[0:1], 0x1c
	s_mov_b32 s46, 0xff7fffff
	s_waitcnt vmcnt(7)
	v_mad_i64_i32 v[32:33], s[6:7], v38, s45, v[30:31]
	s_waitcnt vmcnt(6)
	v_cvt_pk_f32_fp8_e32 v[34:35], v22
	v_cvt_pk_f32_fp8_sdwa v[36:37], v22 src0_sel:WORD_1
	v_cvt_pk_f32_fp8_e32 v[38:39], v23
	v_cvt_pk_f32_fp8_sdwa v[40:41], v23 src0_sel:WORD_1
	v_perm_b32 v34, v35, v34, s44
	v_perm_b32 v35, v37, v36, s44
	s_waitcnt vmcnt(5)
	v_cvt_pk_f32_fp8_e32 v[22:23], v18
	v_cvt_pk_f32_fp8_e32 v[46:47], v24
	v_cvt_pk_f32_fp8_sdwa v[48:49], v24 src0_sel:WORD_1
	v_perm_b32 v38, v39, v38, s44
	v_perm_b32 v39, v41, v40, s44
	v_cvt_pk_f32_fp8_e32 v[50:51], v25
	v_cvt_pk_f32_fp8_sdwa v[52:53], v18 src0_sel:WORD_1
	v_cvt_pk_f32_fp8_sdwa v[54:55], v25 src0_sel:WORD_1
	v_perm_b32 v36, v23, v22, s44
	s_waitcnt lgkmcnt(0)
	v_mfma_f32_16x16x16_bf16 v[22:25], v[34:35], v[10:11], 0
	v_perm_b32 v40, v47, v46, s44
	v_perm_b32 v41, v49, v48, s44
	v_cvt_pk_f32_fp8_e32 v[56:57], v19
	v_perm_b32 v37, v53, v52, s44
	v_cvt_pk_f32_fp8_sdwa v[18:19], v19 src0_sel:WORD_1
	v_mfma_f32_16x16x16_bf16 v[22:25], v[38:39], v[12:13], v[22:25]
	v_perm_b32 v38, v51, v50, s44
	v_perm_b32 v39, v55, v54, s44
	v_cvt_pk_f32_fp8_e32 v[52:53], v20
	v_cvt_pk_f32_fp8_sdwa v[46:47], v20 src0_sel:WORD_1
	v_mfma_f32_16x16x16_bf16 v[22:25], v[40:41], v[2:3], v[22:25]
	v_perm_b32 v50, v57, v56, s44
	v_perm_b32 v51, v19, v18, s44
	v_cvt_pk_f32_fp8_e32 v[48:49], v21
	v_mfma_f32_16x16x16_bf16 v[34:37], v[36:37], v[10:11], 0
	v_mfma_f32_16x16x16_bf16 v[38:41], v[38:39], v[4:5], v[22:25]
	s_nop 2
	v_perm_b32 v22, v53, v52, s44
	v_perm_b32 v23, v47, v46, s44
	v_cvt_pk_f32_fp8_sdwa v[24:25], v21 src0_sel:WORD_1
	v_mfma_f32_16x16x16_bf16 v[18:21], v[50:51], v[12:13], v[34:37]
	s_waitcnt vmcnt(4)
	v_cvt_pk_f32_fp8_sdwa v[46:47], v14 src0_sel:WORD_1
	v_cvt_pk_f32_fp8_sdwa v[50:51], v17 src0_sel:WORD_1
	v_perm_b32 v34, v49, v48, s44
	v_perm_b32 v35, v25, v24, s44
	v_mfma_f32_16x16x16_bf16 v[18:21], v[22:23], v[2:3], v[18:21]
	v_cvt_pk_f32_fp8_e32 v[22:23], v14
	v_mov_b32_e32 v36, s12
	v_mul_f32_e32 v24, s4, v36
	v_mfma_f32_16x16x16_bf16 v[34:37], v[34:35], v[4:5], v[18:21]
	v_cvt_pk_f32_fp8_sdwa v[48:49], v16 src0_sel:WORD_1
	s_nop 1
	v_cvt_pk_f32_fp8_e32 v[18:19], v15
	v_perm_b32 v20, v23, v22, s44
	v_perm_b32 v21, v47, v46, s44
	v_cvt_pk_f32_fp8_sdwa v[14:15], v15 src0_sel:WORD_1
	v_perm_b32 v22, v19, v18, s44
	v_cvt_pk_f32_fp8_e32 v[46:47], v16
	v_mfma_f32_16x16x16_bf16 v[18:21], v[20:21], v[10:11], 0
	v_perm_b32 v23, v15, v14, s44
	v_perm_b32 v46, v47, v46, s44
	;; [unrolled: 1-line block ×3, first 2 shown]
	v_cvt_pk_f32_fp8_e32 v[48:49], v17
	v_mfma_f32_16x16x16_bf16 v[14:17], v[22:23], v[12:13], v[18:21]
	v_pk_mul_f32 v[22:23], v[24:25], v[40:41] op_sel_hi:[0,1]
	s_waitcnt vmcnt(3)
	v_cvt_pk_f32_fp8_sdwa v[40:41], v6 src0_sel:WORD_1
	v_perm_b32 v18, v49, v48, s44
	v_perm_b32 v19, v51, v50, s44
	v_mfma_f32_16x16x16_bf16 v[14:17], v[46:47], v[2:3], v[14:17]
	v_pk_mul_f32 v[20:21], v[24:25], v[38:39] op_sel_hi:[0,1]
	v_cvt_pk_f32_fp8_e32 v[38:39], v6
	v_cvt_pk_f32_fp8_e32 v[46:47], v8
	v_mfma_f32_16x16x16_bf16 v[14:17], v[18:19], v[4:5], v[14:17]
	v_cvt_pk_f32_fp8_e32 v[18:19], v7
	v_perm_b32 v38, v39, v38, s44
	v_perm_b32 v39, v41, v40, s44
	v_cvt_pk_f32_fp8_sdwa v[6:7], v7 src0_sel:WORD_1
	v_perm_b32 v18, v19, v18, s44
	v_cvt_pk_f32_fp8_sdwa v[48:49], v8 src0_sel:WORD_1
	v_mfma_f32_16x16x16_bf16 v[38:41], v[38:39], v[10:11], 0
	v_perm_b32 v19, v7, v6, s44
	v_perm_b32 v10, v47, v46, s44
	;; [unrolled: 1-line block ×3, first 2 shown]
	v_cvt_pk_f32_fp8_e32 v[46:47], v9
	v_cvt_pk_f32_fp8_sdwa v[48:49], v9 src0_sel:WORD_1
	v_mfma_f32_16x16x16_bf16 v[6:9], v[18:19], v[12:13], v[38:41]
	v_pk_mul_f32 v[36:37], v[24:25], v[36:37] op_sel_hi:[0,1]
	v_perm_b32 v12, v47, v46, s44
	v_perm_b32 v13, v49, v48, s44
	v_mfma_f32_16x16x16_bf16 v[6:9], v[10:11], v[2:3], v[6:9]
	v_pk_mul_f32 v[40:41], v[24:25], v[34:35] op_sel_hi:[0,1]
	v_pk_mul_f32 v[34:35], v[24:25], v[16:17] op_sel_hi:[0,1]
	;; [unrolled: 1-line block ×3, first 2 shown]
	v_mfma_f32_16x16x16_bf16 v[2:5], v[12:13], v[4:5], v[6:9]
	s_nop 6
	v_pk_mul_f32 v[18:19], v[24:25], v[4:5] op_sel_hi:[0,1]
	v_pk_mul_f32 v[24:25], v[24:25], v[2:3] op_sel_hi:[0,1]
	v_and_b32_e32 v2, 0xc0, v0
	v_add_u32_e32 v2, s5, v2
	v_lshl_or_b32 v2, v42, 2, v2
	v_or_b32_e32 v5, 1, v2
	v_mov_b32_e32 v3, 0xff7fffff
	v_cmp_gt_i32_e64 s[4:5], s33, v2
	v_cmp_gt_i32_e64 s[34:35], s33, v5
	v_or_b32_e32 v6, 3, v2
	v_cndmask_b32_e64 v4, v3, v20, s[4:5]
	v_cndmask_b32_e64 v5, v3, v21, s[34:35]
	v_max3_f32 v4, v4, s46, v5
	v_or_b32_e32 v5, 2, v2
	v_cmp_gt_i32_e64 s[36:37], s33, v5
	v_cmp_gt_i32_e64 s[38:39], s33, v6
	s_nop 0
	v_cndmask_b32_e64 v5, v3, v22, s[36:37]
	v_cndmask_b32_e64 v6, v3, v23, s[38:39]
	v_max3_f32 v4, v4, v5, v6
	v_or_b32_e32 v5, 16, v2
	v_or_b32_e32 v6, 17, v2
	v_cmp_gt_i32_e64 s[24:25], s33, v5
	v_cmp_gt_i32_e64 s[26:27], s33, v6
	s_nop 0
	v_cndmask_b32_e64 v5, v3, v40, s[24:25]
	v_cndmask_b32_e64 v6, v3, v41, s[26:27]
	v_max3_f32 v4, v4, v5, v6
	v_or_b32_e32 v5, 18, v2
	;; [unrolled: 8-line block ×6, first 2 shown]
	v_or_b32_e32 v2, 51, v2
	v_cmp_gt_i32_e32 vcc, s33, v5
	v_cmp_gt_i32_e64 s[6:7], s33, v2
	s_nop 0
	v_cndmask_b32_e32 v5, v3, v18, vcc
	v_cndmask_b32_e64 v2, v3, v19, s[6:7]
	v_max3_f32 v4, v4, v5, v2
	v_mbcnt_lo_u32_b32 v2, -1, 0
	v_mbcnt_hi_u32_b32 v5, -1, v2
	v_and_b32_e32 v2, 64, v5
	v_add_u32_e32 v6, 64, v2
	v_xor_b32_e32 v2, 32, v5
	v_cmp_lt_i32_e64 s[40:41], v2, v6
	s_nop 1
	v_cndmask_b32_e64 v2, v5, v2, s[40:41]
	v_lshlrev_b32_e32 v46, 2, v2
	ds_bpermute_b32 v7, v46, v4
	s_waitcnt vmcnt(2)
	v_mad_i64_i32 v[2:3], s[40:41], v45, s45, v[30:31]
	global_load_dwordx4 v[14:17], v[32:33], off
	global_load_dwordx4 v[10:13], v[2:3], off
	v_xor_b32_e32 v3, 16, v5
	v_cmp_lt_i32_e64 s[40:41], v3, v6
	s_waitcnt lgkmcnt(0)
	v_max_f32_e32 v2, v7, v7
	v_max_f32_e32 v2, v4, v2
	v_cndmask_b32_e64 v3, v5, v3, s[40:41]
	v_lshlrev_b32_e32 v45, 2, v3
	ds_bpermute_b32 v3, v45, v2
	s_waitcnt vmcnt(3)
	v_mad_i64_i32 v[32:33], s[40:41], v27, s45, v[30:31]
	s_waitcnt vmcnt(2)
	v_mad_i64_i32 v[30:31], s[40:41], v44, s45, v[30:31]
	s_waitcnt lgkmcnt(0)
	v_max_f32_e32 v3, v3, v3
	v_max_f32_e32 v27, v2, v3
	v_sub_f32_e32 v2, v20, v27
	v_mul_f32_e32 v2, 0x3fb8aa3b, v2
	v_exp_f32_e32 v20, v2
	v_sub_f32_e32 v2, v21, v27
	v_mul_f32_e32 v2, 0x3fb8aa3b, v2
	v_exp_f32_e32 v21, v2
	global_load_dwordx4 v[6:9], v[32:33], off
	global_load_dwordx4 v[2:5], v[30:31], off
	v_sub_f32_e32 v22, v22, v27
	v_mul_f32_e32 v22, 0x3fb8aa3b, v22
	v_sub_f32_e32 v23, v23, v27
	v_exp_f32_e32 v22, v22
	v_mul_f32_e32 v23, 0x3fb8aa3b, v23
	v_exp_f32_e32 v23, v23
	v_cndmask_b32_e64 v20, 0, v20, s[4:5]
	v_add_f32_e32 v30, 0, v20
	v_cndmask_b32_e64 v21, 0, v21, s[34:35]
	v_add_f32_e32 v30, v30, v21
	;; [unrolled: 2-line block ×3, first 2 shown]
	v_cndmask_b32_e64 v33, 0, v23, s[38:39]
	v_sub_f32_e32 v23, v40, v27
	v_sub_f32_e32 v30, v41, v27
	v_mul_f32_e32 v23, 0x3fb8aa3b, v23
	v_mul_f32_e32 v30, 0x3fb8aa3b, v30
	v_exp_f32_e32 v23, v23
	v_exp_f32_e32 v30, v30
	v_add_f32_e32 v31, v22, v33
	v_sub_f32_e32 v34, v34, v27
	v_cndmask_b32_e64 v22, 0, v23, s[24:25]
	v_cndmask_b32_e64 v23, 0, v30, s[26:27]
	v_sub_f32_e32 v30, v36, v27
	v_mul_f32_e32 v30, 0x3fb8aa3b, v30
	v_exp_f32_e32 v30, v30
	v_sub_f32_e32 v36, v37, v27
	v_add_f32_e32 v31, v31, v22
	v_mul_f32_e32 v36, 0x3fb8aa3b, v36
	v_exp_f32_e32 v37, v36
	v_add_f32_e32 v31, v31, v23
	v_cndmask_b32_e64 v36, 0, v30, s[20:21]
	v_add_f32_e32 v30, v31, v36
	v_sub_f32_e32 v31, v38, v27
	v_mul_f32_e32 v31, 0x3fb8aa3b, v31
	v_sub_f32_e32 v38, v39, v27
	v_exp_f32_e32 v31, v31
	v_mul_f32_e32 v38, 0x3fb8aa3b, v38
	v_exp_f32_e32 v38, v38
	v_mul_f32_e32 v34, 0x3fb8aa3b, v34
	v_sub_f32_e32 v35, v35, v27
	v_exp_f32_e32 v34, v34
	v_mul_f32_e32 v35, 0x3fb8aa3b, v35
	v_sub_f32_e32 v24, v24, v27
	v_cndmask_b32_e64 v37, 0, v37, s[22:23]
	v_exp_f32_e32 v35, v35
	v_mul_f32_e32 v24, 0x3fb8aa3b, v24
	v_sub_f32_e32 v25, v25, v27
	v_add_f32_e32 v39, v30, v37
	v_cndmask_b32_e64 v30, 0, v31, s[16:17]
	v_exp_f32_e32 v24, v24
	v_mul_f32_e32 v25, 0x3fb8aa3b, v25
	v_sub_f32_e32 v18, v18, v27
	v_add_f32_e32 v39, v39, v30
	;; [unrolled: 5-line block ×3, first 2 shown]
	v_cndmask_b32_e64 v34, 0, v34, s[12:13]
	v_exp_f32_e32 v18, v18
	v_mul_f32_e32 v19, 0x3fb8aa3b, v19
	v_add_f32_e32 v38, v38, v34
	v_cndmask_b32_e64 v35, 0, v35, s[14:15]
	v_exp_f32_e32 v19, v19
	v_add_f32_e32 v38, v38, v35
	v_cndmask_b32_e64 v24, 0, v24, s[8:9]
	v_add_f32_e32 v38, v38, v24
	v_cndmask_b32_e64 v25, 0, v25, s[10:11]
	v_add_f32_e32 v38, v38, v25
	v_cndmask_b32_e32 v18, 0, v18, vcc
	v_add_f32_e32 v38, v38, v18
	v_cndmask_b32_e64 v19, 0, v19, s[6:7]
	v_add_f32_e32 v38, v38, v19
	ds_bpermute_b32 v39, v46, v38
	v_cmp_gt_u32_e32 vcc, 16, v43
	s_waitcnt lgkmcnt(0)
	s_barrier
	v_add_f32_e32 v39, v38, v39
	ds_bpermute_b32 v40, v45, v39
	v_lshlrev_b32_e32 v38, 2, v28
	s_and_saveexec_b64 s[4:5], vcc
	s_cbranch_execz .LBB1153_13
; %bb.12:
	s_waitcnt lgkmcnt(0)
	v_add_f32_e32 v39, v39, v40
	v_lshl_or_b32 v40, v29, 6, v38
	ds_write2st64_b32 v40, v27, v39 offset1:1
.LBB1153_13:
	s_or_b64 exec, exec, s[4:5]
	s_load_dword s6, s[0:1], 0x94
	s_waitcnt lgkmcnt(0)
	s_barrier
	ds_read2_b32 v[40:41], v38 offset1:16
	ds_read2_b32 v[44:45], v38 offset0:32 offset1:48
	ds_read2_b32 v[46:47], v38 offset0:64 offset1:80
	s_movk_i32 s8, 0x7fff
	s_mul_i32 s7, s29, 6
	s_waitcnt lgkmcnt(2)
	v_max3_f32 v27, v40, s46, v41
	s_waitcnt lgkmcnt(1)
	v_max3_f32 v27, v27, v44, v45
	v_sub_f32_e32 v39, v40, v27
	v_sub_f32_e32 v40, v41, v27
	v_mul_f32_e32 v40, 0x3fb8aa3b, v40
	v_mul_f32_e32 v39, 0x3fb8aa3b, v39
	v_exp_f32_e32 v43, v40
	v_sub_f32_e32 v40, v44, v27
	v_exp_f32_e32 v39, v39
	v_mul_f32_e32 v40, 0x3fb8aa3b, v40
	v_exp_f32_e32 v44, v40
	ds_read2_b32 v[40:41], v38 offset0:96 offset1:112
	v_sub_f32_e32 v38, v45, v27
	v_mul_f32_e32 v38, 0x3fb8aa3b, v38
	v_exp_f32_e32 v45, v38
	s_waitcnt lgkmcnt(1)
	v_fma_f32 v38, v39, v46, 0
	v_fmac_f32_e32 v38, v43, v47
	s_waitcnt lgkmcnt(0)
	v_fmac_f32_e32 v38, v44, v40
	v_fmac_f32_e32 v38, v45, v41
	v_add_f32_e32 v40, 0x358637bd, v38
	v_div_scale_f32 v41, s[4:5], v40, v40, 1.0
	v_rcp_f32_e32 v46, v41
	s_barrier
	v_fma_f32 v47, -v41, v46, 1.0
	v_fmac_f32_e32 v46, v47, v46
	v_div_scale_f32 v47, vcc, 1.0, v40, 1.0
	v_mul_f32_e32 v48, v47, v46
	v_fma_f32 v49, -v41, v48, v47
	v_fmac_f32_e32 v48, v49, v46
	v_fma_f32 v41, -v41, v48, v47
	v_div_fmas_f32 v41, v41, v46, v48
	v_cmp_eq_u32_e32 vcc, 1, v29
	v_div_fixup_f32 v40, v41, v40, 1.0
	s_nop 0
	v_cndmask_b32_e32 v39, v39, v43, vcc
	v_cmp_eq_u32_e32 vcc, 2, v29
	s_nop 1
	v_cndmask_b32_e32 v39, v39, v44, vcc
	v_cmp_eq_u32_e32 vcc, 3, v29
	v_lshlrev_b32_e32 v29, 11, v29
	s_nop 0
	v_cndmask_b32_e32 v39, v39, v45, vcc
	v_mul_f32_e32 v40, v39, v40
	v_pk_mul_f32 v[20:21], v[40:41], v[20:21] op_sel_hi:[0,1]
	v_pk_mul_f32 v[32:33], v[40:41], v[32:33] op_sel_hi:[0,1]
	v_bfe_u32 v39, v21, 16, 1
	v_bfe_u32 v41, v20, 16, 1
	v_add3_u32 v20, v20, v41, s8
	v_add3_u32 v21, v21, v39, s8
	v_perm_b32 v44, v21, v20, s44
	v_bfe_u32 v20, v33, 16, 1
	v_bfe_u32 v21, v32, 16, 1
	v_add3_u32 v21, v32, v21, s8
	v_add3_u32 v20, v33, v20, s8
	v_perm_b32 v45, v20, v21, s44
	v_lshlrev_b32_e32 v20, 3, v42
	v_lshlrev_b32_e32 v21, 5, v28
	v_pk_mul_f32 v[22:23], v[40:41], v[22:23] op_sel_hi:[0,1]
	v_or3_b32 v20, v29, v21, v20
	v_pk_mul_f32 v[32:33], v[40:41], v[36:37] op_sel_hi:[0,1]
	v_bfe_u32 v29, v23, 16, 1
	v_bfe_u32 v36, v22, 16, 1
	v_add3_u32 v22, v22, v36, s8
	v_add3_u32 v23, v23, v29, s8
	v_perm_b32 v22, v23, v22, s44
	v_bfe_u32 v23, v33, 16, 1
	v_bfe_u32 v29, v32, 16, 1
	v_add3_u32 v29, v32, v29, s8
	v_add3_u32 v23, v33, v23, s8
	v_pk_mul_f32 v[30:31], v[40:41], v[30:31] op_sel_hi:[0,1]
	v_perm_b32 v23, v23, v29, s44
	v_bfe_u32 v29, v31, 16, 1
	v_bfe_u32 v32, v30, 16, 1
	ds_write2st64_b64 v20, v[44:45], v[22:23] offset1:1
	v_pk_mul_f32 v[22:23], v[40:41], v[34:35] op_sel_hi:[0,1]
	v_add3_u32 v30, v30, v32, s8
	v_add3_u32 v29, v31, v29, s8
	v_perm_b32 v30, v29, v30, s44
	v_bfe_u32 v29, v23, 16, 1
	v_bfe_u32 v31, v22, 16, 1
	v_add3_u32 v22, v22, v31, s8
	v_add3_u32 v23, v23, v29, s8
	v_perm_b32 v31, v23, v22, s44
	v_pk_mul_f32 v[22:23], v[40:41], v[24:25] op_sel_hi:[0,1]
	v_bfe_u32 v24, v23, 16, 1
	v_bfe_u32 v25, v22, 16, 1
	v_pk_mul_f32 v[18:19], v[40:41], v[18:19] op_sel_hi:[0,1]
	v_add3_u32 v22, v22, v25, s8
	v_add3_u32 v23, v23, v24, s8
	v_perm_b32 v22, v23, v22, s44
	v_bfe_u32 v23, v19, 16, 1
	v_bfe_u32 v24, v18, 16, 1
	v_add3_u32 v18, v18, v24, s8
	v_add3_u32 v19, v19, v23, s8
	v_perm_b32 v23, v19, v18, s44
	v_cmp_gt_u32_e32 vcc, 6, v0
	ds_write2st64_b64 v20, v[30:31], v[22:23] offset0:2 offset1:3
	s_and_saveexec_b64 s[4:5], vcc
	s_cbranch_execz .LBB1153_15
; %bb.14:
	s_mov_b32 s49, 0
	v_mov_b32_e32 v29, 0
	v_lshl_add_u64 v[18:19], s[48:49], 0, v[28:29]
	v_mov_b32_e32 v22, s7
	v_mad_u64_u32 v[18:19], s[10:11], s2, v22, v[18:19]
	s_mul_i32 s3, s3, s7
	v_mov_b32_e32 v28, s28
	s_load_dwordx4 s[12:15], s[0:1], 0x58
	v_add_u32_e32 v23, s3, v19
	v_mad_u64_u32 v[18:19], s[10:11], v18, s6, v[28:29]
	v_mov_b32_e32 v22, v19
	v_mad_u64_u32 v[22:23], s[10:11], v23, s6, v[22:23]
	v_mov_b32_e32 v19, v22
	v_lshlrev_b64 v[18:19], 2, v[18:19]
	s_waitcnt lgkmcnt(0)
	v_lshl_add_u64 v[22:23], s[14:15], 0, v[18:19]
	v_lshl_add_u64 v[18:19], s[12:13], 0, v[18:19]
	global_store_dword v[22:23], v27, off
	global_store_dword v[18:19], v38, off
.LBB1153_15:
	s_or_b64 exec, exec, s[4:5]
	s_waitcnt vmcnt(3)
	v_cvt_pk_f32_fp8_e32 v[18:19], v14
	v_cvt_pk_f32_fp8_sdwa v[22:23], v14 src0_sel:WORD_1
	s_mov_b32 s4, 0x7060302
	v_lshl_or_b32 v14, v42, 9, v21
	s_waitcnt lgkmcnt(0)
	s_barrier
	v_perm_b32 v18, v19, v18, s4
	v_perm_b32 v19, v23, v22, s4
	v_cvt_pk_f32_fp8_e32 v[28:29], v15
	ds_read_b128 v[22:25], v14
	v_cvt_pk_f32_fp8_sdwa v[36:37], v15 src0_sel:WORD_1
	s_load_dword s10, s[42:43], 0x0
	v_perm_b32 v38, v29, v28, s4
	ds_read_b128 v[28:31], v14 offset:16
	v_perm_b32 v39, v37, v36, s4
	s_waitcnt lgkmcnt(0)
	v_mfma_f32_16x16x16_bf16 v[32:35], v[18:19], v[22:23], 0
	v_cvt_pk_f32_fp8_e32 v[18:19], v16
	v_cvt_pk_f32_fp8_sdwa v[36:37], v16 src0_sel:WORD_1
	v_cmp_gt_u32_e32 vcc, 64, v0
	v_mfma_f32_16x16x16_bf16 v[22:25], v[38:39], v[24:25], v[32:35]
	v_perm_b32 v18, v19, v18, s4
	v_perm_b32 v19, v37, v36, s4
	s_waitcnt vmcnt(2)
	v_cvt_pk_f32_fp8_sdwa v[36:37], v10 src0_sel:WORD_1
	v_cvt_pk_f32_fp8_e32 v[32:33], v17
	v_cvt_pk_f32_fp8_sdwa v[16:17], v17 src0_sel:WORD_1
	v_cvt_pk_f32_fp8_e32 v[34:35], v10
	s_mov_b32 s3, 0
	v_perm_b32 v32, v33, v32, s4
	v_perm_b32 v33, v17, v16, s4
	v_mfma_f32_16x16x16_bf16 v[16:19], v[18:19], v[28:29], v[22:25]
	v_perm_b32 v34, v35, v34, s4
	v_perm_b32 v35, v37, v36, s4
	v_cvt_pk_f32_fp8_e32 v[28:29], v11
	ds_read_b128 v[22:25], v14 offset:2048
	v_cvt_pk_f32_fp8_sdwa v[10:11], v11 src0_sel:WORD_1
	v_mfma_f32_16x16x16_bf16 v[16:19], v[32:33], v[30:31], v[16:19]
	v_perm_b32 v32, v29, v28, s4
	ds_read_b128 v[28:31], v14 offset:2064
	v_perm_b32 v33, v11, v10, s4
	s_waitcnt lgkmcnt(1)
	v_mfma_f32_16x16x16_bf16 v[16:19], v[34:35], v[22:23], v[16:19]
	v_cvt_pk_f32_fp8_e32 v[10:11], v12
	v_cvt_pk_f32_fp8_sdwa v[22:23], v12 src0_sel:WORD_1
	v_mov_b32_e32 v27, 0
	v_mfma_f32_16x16x16_bf16 v[16:19], v[32:33], v[24:25], v[16:19]
	v_cvt_pk_f32_fp8_e32 v[24:25], v13
	v_perm_b32 v10, v11, v10, s4
	v_perm_b32 v11, v23, v22, s4
	v_cvt_pk_f32_fp8_sdwa v[12:13], v13 src0_sel:WORD_1
	v_perm_b32 v22, v25, v24, s4
	s_waitcnt vmcnt(1)
	v_cvt_pk_f32_fp8_e32 v[24:25], v6
	v_cvt_pk_f32_fp8_sdwa v[32:33], v6 src0_sel:WORD_1
	v_perm_b32 v23, v13, v12, s4
	s_waitcnt lgkmcnt(0)
	v_mfma_f32_16x16x16_bf16 v[10:13], v[10:11], v[28:29], v[16:19]
	v_perm_b32 v28, v25, v24, s4
	v_perm_b32 v29, v33, v32, s4
	v_cvt_pk_f32_fp8_e32 v[24:25], v7
	ds_read_b128 v[16:19], v14 offset:4096
	v_cvt_pk_f32_fp8_sdwa v[6:7], v7 src0_sel:WORD_1
	v_mfma_f32_16x16x16_bf16 v[10:13], v[22:23], v[30:31], v[10:13]
	v_perm_b32 v30, v25, v24, s4
	ds_read_b128 v[22:25], v14 offset:4112
	v_perm_b32 v31, v7, v6, s4
	s_waitcnt lgkmcnt(1)
	v_mfma_f32_16x16x16_bf16 v[10:13], v[28:29], v[16:17], v[10:13]
	v_cvt_pk_f32_fp8_e32 v[6:7], v8
	v_cvt_pk_f32_fp8_sdwa v[16:17], v8 src0_sel:WORD_1
	s_waitcnt vmcnt(0)
	v_cvt_pk_f32_fp8_sdwa v[28:29], v2 src0_sel:WORD_1
	v_mfma_f32_16x16x16_bf16 v[10:13], v[30:31], v[18:19], v[10:13]
	v_cvt_pk_f32_fp8_e32 v[18:19], v9
	v_perm_b32 v6, v7, v6, s4
	v_perm_b32 v7, v17, v16, s4
	v_cvt_pk_f32_fp8_sdwa v[8:9], v9 src0_sel:WORD_1
	v_perm_b32 v16, v19, v18, s4
	v_cvt_pk_f32_fp8_e32 v[18:19], v2
	v_perm_b32 v17, v9, v8, s4
	s_waitcnt lgkmcnt(0)
	v_mfma_f32_16x16x16_bf16 v[6:9], v[6:7], v[22:23], v[10:13]
	v_perm_b32 v18, v19, v18, s4
	v_perm_b32 v19, v29, v28, s4
	v_cvt_pk_f32_fp8_e32 v[22:23], v3
	ds_read_b128 v[10:13], v14 offset:6144
	v_cvt_pk_f32_fp8_sdwa v[2:3], v3 src0_sel:WORD_1
	v_mfma_f32_16x16x16_bf16 v[6:9], v[16:17], v[24:25], v[6:9]
	v_perm_b32 v22, v23, v22, s4
	ds_read_b128 v[14:17], v14 offset:6160
	v_perm_b32 v23, v3, v2, s4
	s_waitcnt lgkmcnt(1)
	v_mfma_f32_16x16x16_bf16 v[6:9], v[18:19], v[10:11], v[6:9]
	v_cvt_pk_f32_fp8_e32 v[2:3], v4
	v_cvt_pk_f32_fp8_sdwa v[10:11], v4 src0_sel:WORD_1
	s_waitcnt lgkmcnt(0)
	v_mfma_f32_16x16x16_bf16 v[6:9], v[22:23], v[12:13], v[6:9]
	v_perm_b32 v2, v3, v2, s4
	v_perm_b32 v3, v11, v10, s4
	v_cvt_pk_f32_fp8_e32 v[10:11], v5
	v_cvt_pk_f32_fp8_sdwa v[4:5], v5 src0_sel:WORD_1
	s_barrier
	v_perm_b32 v10, v11, v10, s4
	v_perm_b32 v11, v5, v4, s4
	v_mfma_f32_16x16x16_bf16 v[2:5], v[2:3], v[14:15], v[6:9]
	s_nop 0
	v_mfma_f32_16x16x16_bf16 v[2:5], v[10:11], v[16:17], v[2:5]
	s_nop 6
	v_pk_mul_f32 v[2:3], v[2:3], s[10:11] op_sel_hi:[1,0]
	v_pk_mul_f32 v[4:5], v[4:5], s[10:11] op_sel_hi:[1,0]
	v_bfe_u32 v6, v3, 16, 1
	v_bfe_u32 v7, v2, 16, 1
	v_add3_u32 v2, v2, v7, s8
	v_add3_u32 v3, v3, v6, s8
	v_perm_b32 v2, v3, v2, s4
	v_bfe_u32 v3, v5, 16, 1
	v_bfe_u32 v6, v4, 16, 1
	v_add3_u32 v4, v4, v6, s8
	v_add3_u32 v3, v5, v3, s8
	v_perm_b32 v3, v3, v4, s4
	s_and_b64 s[4:5], vcc, s[30:31]
	ds_write_b64 v20, v[2:3]
	s_waitcnt lgkmcnt(0)
	s_barrier
	s_and_saveexec_b64 s[8:9], s[4:5]
	s_cbranch_execz .LBB1153_18
; %bb.16:
	s_load_dwordx2 s[4:5], s[0:1], 0x68
	s_lshl_b32 s0, s6, 6
	s_mul_i32 s1, s7, s2
	s_mul_hi_u32 s7, s1, s0
	s_mul_i32 s6, s1, s0
	v_lshlrev_b32_e32 v0, 10, v0
	s_lshl_b64 s[6:7], s[6:7], 1
	v_and_b32_e32 v0, 0x1800, v0
	v_lshlrev_b32_e32 v3, 5, v42
	v_and_b32_e32 v1, 16, v1
	s_waitcnt lgkmcnt(0)
	s_add_u32 s1, s4, s6
	v_or3_b32 v3, v0, v3, v1
	s_addc_u32 s4, s5, s7
	s_lshl_b32 s2, s28, 6
	s_lshl_b64 s[2:3], s[2:3], 1
	ds_read_b128 v[4:7], v3
	s_add_u32 s2, s1, s2
	s_addc_u32 s3, s4, s3
	v_add_u32_e32 v8, s48, v42
	v_or_b32_e32 v2, 4, v42
	v_lshl_add_u64 v[0:1], s[2:3], 0, v[26:27]
	v_mad_u64_u32 v[8:9], s[2:3], v8, s0, 0
	v_lshl_add_u64 v[8:9], v[8:9], 1, v[0:1]
	v_cmp_gt_u32_e32 vcc, 6, v2
	s_waitcnt lgkmcnt(0)
	global_store_dwordx4 v[8:9], v[4:7], off
	s_and_b64 exec, exec, vcc
	s_cbranch_execz .LBB1153_18
; %bb.17:
	ds_read_b128 v[4:7], v3 offset:128
	v_add_u32_e32 v2, s48, v2
	v_mad_u64_u32 v[2:3], s[0:1], v2, s0, 0
	v_lshl_add_u64 v[0:1], v[2:3], 1, v[0:1]
	s_waitcnt lgkmcnt(0)
	global_store_dwordx4 v[0:1], v[4:7], off
.LBB1153_18:
	s_endpgm
	.section	.rodata,"a",@progbits
	.p2align	6, 0x0
	.amdhsa_kernel _Z39paged_attention_ll4mi_QKV_mfma16_kernelI14__hip_bfloat16hLN4vllm18Fp8KVCacheDataTypeE1ES0_Li16ELi64ELi256ELb0ELi6EEvPKT_PKT0_S8_ifPKiSA_SA_iPKfiiiPfSD_PS3_PT2_iSC_SC_
		.amdhsa_group_segment_fixed_size 8192
		.amdhsa_private_segment_fixed_size 0
		.amdhsa_kernarg_size 400
		.amdhsa_user_sgpr_count 2
		.amdhsa_user_sgpr_dispatch_ptr 0
		.amdhsa_user_sgpr_queue_ptr 0
		.amdhsa_user_sgpr_kernarg_segment_ptr 1
		.amdhsa_user_sgpr_dispatch_id 0
		.amdhsa_user_sgpr_kernarg_preload_length 0
		.amdhsa_user_sgpr_kernarg_preload_offset 0
		.amdhsa_user_sgpr_private_segment_size 0
		.amdhsa_uses_dynamic_stack 0
		.amdhsa_enable_private_segment 0
		.amdhsa_system_sgpr_workgroup_id_x 1
		.amdhsa_system_sgpr_workgroup_id_y 1
		.amdhsa_system_sgpr_workgroup_id_z 1
		.amdhsa_system_sgpr_workgroup_info 0
		.amdhsa_system_vgpr_workitem_id 0
		.amdhsa_next_free_vgpr 58
		.amdhsa_next_free_sgpr 50
		.amdhsa_accum_offset 60
		.amdhsa_reserve_vcc 1
		.amdhsa_float_round_mode_32 0
		.amdhsa_float_round_mode_16_64 0
		.amdhsa_float_denorm_mode_32 3
		.amdhsa_float_denorm_mode_16_64 3
		.amdhsa_dx10_clamp 1
		.amdhsa_ieee_mode 1
		.amdhsa_fp16_overflow 0
		.amdhsa_tg_split 0
		.amdhsa_exception_fp_ieee_invalid_op 0
		.amdhsa_exception_fp_denorm_src 0
		.amdhsa_exception_fp_ieee_div_zero 0
		.amdhsa_exception_fp_ieee_overflow 0
		.amdhsa_exception_fp_ieee_underflow 0
		.amdhsa_exception_fp_ieee_inexact 0
		.amdhsa_exception_int_div_zero 0
	.end_amdhsa_kernel
	.section	.text._Z39paged_attention_ll4mi_QKV_mfma16_kernelI14__hip_bfloat16hLN4vllm18Fp8KVCacheDataTypeE1ES0_Li16ELi64ELi256ELb0ELi6EEvPKT_PKT0_S8_ifPKiSA_SA_iPKfiiiPfSD_PS3_PT2_iSC_SC_,"axG",@progbits,_Z39paged_attention_ll4mi_QKV_mfma16_kernelI14__hip_bfloat16hLN4vllm18Fp8KVCacheDataTypeE1ES0_Li16ELi64ELi256ELb0ELi6EEvPKT_PKT0_S8_ifPKiSA_SA_iPKfiiiPfSD_PS3_PT2_iSC_SC_,comdat
.Lfunc_end1153:
	.size	_Z39paged_attention_ll4mi_QKV_mfma16_kernelI14__hip_bfloat16hLN4vllm18Fp8KVCacheDataTypeE1ES0_Li16ELi64ELi256ELb0ELi6EEvPKT_PKT0_S8_ifPKiSA_SA_iPKfiiiPfSD_PS3_PT2_iSC_SC_, .Lfunc_end1153-_Z39paged_attention_ll4mi_QKV_mfma16_kernelI14__hip_bfloat16hLN4vllm18Fp8KVCacheDataTypeE1ES0_Li16ELi64ELi256ELb0ELi6EEvPKT_PKT0_S8_ifPKiSA_SA_iPKfiiiPfSD_PS3_PT2_iSC_SC_
                                        ; -- End function
	.section	.AMDGPU.csdata,"",@progbits
; Kernel info:
; codeLenInByte = 4824
; NumSgprs: 56
; NumVgprs: 58
; NumAgprs: 0
; TotalNumVgprs: 58
; ScratchSize: 0
; MemoryBound: 0
; FloatMode: 240
; IeeeMode: 1
; LDSByteSize: 8192 bytes/workgroup (compile time only)
; SGPRBlocks: 6
; VGPRBlocks: 7
; NumSGPRsForWavesPerEU: 56
; NumVGPRsForWavesPerEU: 58
; AccumOffset: 60
; Occupancy: 8
; WaveLimiterHint : 1
; COMPUTE_PGM_RSRC2:SCRATCH_EN: 0
; COMPUTE_PGM_RSRC2:USER_SGPR: 2
; COMPUTE_PGM_RSRC2:TRAP_HANDLER: 0
; COMPUTE_PGM_RSRC2:TGID_X_EN: 1
; COMPUTE_PGM_RSRC2:TGID_Y_EN: 1
; COMPUTE_PGM_RSRC2:TGID_Z_EN: 1
; COMPUTE_PGM_RSRC2:TIDIG_COMP_CNT: 0
; COMPUTE_PGM_RSRC3_GFX90A:ACCUM_OFFSET: 14
; COMPUTE_PGM_RSRC3_GFX90A:TG_SPLIT: 0
	.section	.text._Z39paged_attention_ll4mi_QKV_mfma16_kernelI14__hip_bfloat16hLN4vllm18Fp8KVCacheDataTypeE1ES0_Li16ELi64ELi256ELb0ELi7EEvPKT_PKT0_S8_ifPKiSA_SA_iPKfiiiPfSD_PS3_PT2_iSC_SC_,"axG",@progbits,_Z39paged_attention_ll4mi_QKV_mfma16_kernelI14__hip_bfloat16hLN4vllm18Fp8KVCacheDataTypeE1ES0_Li16ELi64ELi256ELb0ELi7EEvPKT_PKT0_S8_ifPKiSA_SA_iPKfiiiPfSD_PS3_PT2_iSC_SC_,comdat
	.protected	_Z39paged_attention_ll4mi_QKV_mfma16_kernelI14__hip_bfloat16hLN4vllm18Fp8KVCacheDataTypeE1ES0_Li16ELi64ELi256ELb0ELi7EEvPKT_PKT0_S8_ifPKiSA_SA_iPKfiiiPfSD_PS3_PT2_iSC_SC_ ; -- Begin function _Z39paged_attention_ll4mi_QKV_mfma16_kernelI14__hip_bfloat16hLN4vllm18Fp8KVCacheDataTypeE1ES0_Li16ELi64ELi256ELb0ELi7EEvPKT_PKT0_S8_ifPKiSA_SA_iPKfiiiPfSD_PS3_PT2_iSC_SC_
	.globl	_Z39paged_attention_ll4mi_QKV_mfma16_kernelI14__hip_bfloat16hLN4vllm18Fp8KVCacheDataTypeE1ES0_Li16ELi64ELi256ELb0ELi7EEvPKT_PKT0_S8_ifPKiSA_SA_iPKfiiiPfSD_PS3_PT2_iSC_SC_
	.p2align	8
	.type	_Z39paged_attention_ll4mi_QKV_mfma16_kernelI14__hip_bfloat16hLN4vllm18Fp8KVCacheDataTypeE1ES0_Li16ELi64ELi256ELb0ELi7EEvPKT_PKT0_S8_ifPKiSA_SA_iPKfiiiPfSD_PS3_PT2_iSC_SC_,@function
_Z39paged_attention_ll4mi_QKV_mfma16_kernelI14__hip_bfloat16hLN4vllm18Fp8KVCacheDataTypeE1ES0_Li16ELi64ELi256ELb0ELi7EEvPKT_PKT0_S8_ifPKiSA_SA_iPKfiiiPfSD_PS3_PT2_iSC_SC_: ; @_Z39paged_attention_ll4mi_QKV_mfma16_kernelI14__hip_bfloat16hLN4vllm18Fp8KVCacheDataTypeE1ES0_Li16ELi64ELi256ELb0ELi7EEvPKT_PKT0_S8_ifPKiSA_SA_iPKfiiiPfSD_PS3_PT2_iSC_SC_
; %bb.0:
	s_load_dwordx2 s[12:13], s[0:1], 0x30
	s_mov_b32 s28, s3
	s_mov_b64 s[6:7], 0
	s_waitcnt lgkmcnt(0)
	s_cmp_lg_u64 s[12:13], 0
	s_cselect_b64 s[14:15], -1, 0
	s_and_b64 vcc, exec, s[14:15]
	s_cbranch_vccz .LBB1154_7
; %bb.1:
	s_add_i32 s8, s2, 1
	s_mov_b32 s9, 0
	s_lshl_b64 s[10:11], s[8:9], 2
	s_add_u32 s10, s12, s10
	s_mov_b32 s3, s9
	s_addc_u32 s11, s13, s11
	s_lshl_b64 s[8:9], s[2:3], 2
	s_add_u32 s8, s12, s8
	s_addc_u32 s9, s13, s9
	s_load_dword s5, s[10:11], 0x0
	s_load_dword s16, s[8:9], 0x0
	s_waitcnt lgkmcnt(0)
	s_sub_i32 s5, s5, s16
	s_cmp_eq_u32 s5, 1
	s_cselect_b64 s[8:9], -1, 0
	s_andn2_b64 vcc, exec, s[6:7]
	s_cbranch_vccnz .LBB1154_3
.LBB1154_2:
	s_mov_b32 s3, 0
	s_mov_b64 s[8:9], -1
.LBB1154_3:
	s_andn2_b64 vcc, exec, s[8:9]
	s_cbranch_vccnz .LBB1154_18
; %bb.4:
	s_load_dwordx2 s[6:7], s[0:1], 0x28
	s_lshl_b64 s[16:17], s[2:3], 2
	s_waitcnt lgkmcnt(0)
	s_add_u32 s6, s6, s16
	s_addc_u32 s7, s7, s17
	s_load_dword s33, s[6:7], 0x0
	s_lshl_b32 s5, s28, 8
	s_waitcnt lgkmcnt(0)
	s_cmp_ge_i32 s5, s33
	s_cbranch_scc1 .LBB1154_18
; %bb.5:
	s_add_i32 s9, s33, 15
	s_load_dwordx2 s[6:7], s[0:1], 0x20
	s_load_dword s8, s[0:1], 0x38
	s_ashr_i32 s10, s9, 31
	v_and_b32_e32 v1, 0xcf, v0
	s_lshr_b32 s10, s10, 28
	v_add_u32_e32 v1, s5, v1
	s_add_i32 s9, s9, s10
	v_ashrrev_i32_e32 v2, 31, v1
	s_ashr_i32 s18, s9, 4
	v_lshrrev_b32_e32 v6, 28, v2
	s_add_i32 s18, s18, -1
	v_add_u32_e32 v2, v1, v6
	v_or_b32_e32 v4, 16, v1
	s_waitcnt lgkmcnt(0)
	s_mul_i32 s8, s2, s8
	s_mov_b32 s9, 0
	v_ashrrev_i32_e32 v2, 4, v2
	v_mov_b32_e32 v7, s18
	v_cmp_gt_i32_e32 vcc, s33, v1
	v_add_u32_e32 v5, v4, v6
	s_lshl_b64 s[8:9], s[8:9], 2
	v_cndmask_b32_e32 v2, v7, v2, vcc
	v_ashrrev_i32_e32 v5, 4, v5
	v_cmp_gt_i32_e32 vcc, s33, v4
	s_add_u32 s6, s6, s8
	s_addc_u32 s7, s7, s9
	v_cndmask_b32_e32 v4, v7, v5, vcc
	v_ashrrev_i32_e32 v5, 31, v4
	v_lshl_add_u64 v[8:9], v[4:5], 2, s[6:7]
	v_or_b32_e32 v4, 32, v1
	v_add_u32_e32 v5, v4, v6
	v_ashrrev_i32_e32 v5, 4, v5
	v_cmp_gt_i32_e32 vcc, s33, v4
	v_or_b32_e32 v1, 48, v1
	v_ashrrev_i32_e32 v3, 31, v2
	v_cndmask_b32_e32 v4, v7, v5, vcc
	v_ashrrev_i32_e32 v5, 31, v4
	v_lshl_add_u64 v[10:11], v[4:5], 2, s[6:7]
	v_add_u32_e32 v4, v1, v6
	v_ashrrev_i32_e32 v4, 4, v4
	v_cmp_gt_i32_e32 vcc, s33, v1
	v_lshl_add_u64 v[2:3], v[2:3], 2, s[6:7]
	s_load_dwordx4 s[8:11], s[0:1], 0x8
	v_cndmask_b32_e32 v4, v7, v4, vcc
	v_ashrrev_i32_e32 v5, 31, v4
	v_lshl_add_u64 v[12:13], v[4:5], 2, s[6:7]
	global_load_dword v7, v[2:3], off
	global_load_dword v6, v[8:9], off
	;; [unrolled: 1-line block ×4, first 2 shown]
	s_andn2_b64 vcc, exec, s[14:15]
	s_cbranch_vccnz .LBB1154_8
; %bb.6:
	s_add_u32 s12, s12, s16
	s_addc_u32 s13, s13, s17
	s_load_dword s14, s[12:13], 0x0
	s_branch .LBB1154_9
.LBB1154_7:
	s_mov_b64 s[8:9], 0
	s_branch .LBB1154_2
.LBB1154_8:
	s_mov_b32 s14, s2
.LBB1154_9:
	s_load_dwordx4 s[44:47], s[0:1], 0x48
	v_lshrrev_b32_e32 v29, 6, v0
	v_bfe_u32 v42, v0, 4, 2
	v_lshl_or_b32 v2, v29, 2, v42
	v_and_b32_e32 v28, 15, v0
	v_lshlrev_b32_e32 v1, 3, v28
	v_cmp_gt_u32_e32 vcc, 7, v2
	v_cmp_gt_u32_e64 s[30:31], 8, v28
	v_and_b32_e32 v43, 63, v0
	s_mul_i32 s48, s4, 7
	s_and_b64 s[16:17], s[30:31], vcc
	v_lshlrev_b32_e32 v26, 1, v1
	v_lshlrev_b32_e32 v1, 4, v0
	s_and_saveexec_b64 s[12:13], s[16:17]
	s_cbranch_execz .LBB1154_11
; %bb.10:
	s_load_dwordx2 s[16:17], s[0:1], 0x0
	s_waitcnt lgkmcnt(0)
	s_ashr_i32 s15, s44, 31
	s_mul_hi_u32 s19, s14, s44
	s_mul_i32 s15, s14, s15
	s_add_i32 s15, s19, s15
	s_mul_i32 s14, s14, s44
	s_lshl_b64 s[14:15], s[14:15], 1
	s_add_u32 s14, s16, s14
	v_add_lshl_u32 v8, v2, s48, 6
	s_addc_u32 s15, s17, s15
	v_ashrrev_i32_e32 v9, 31, v8
	v_lshl_add_u64 v[8:9], v[8:9], 1, s[14:15]
	v_mov_b32_e32 v27, 0
	v_lshl_add_u64 v[8:9], v[8:9], 0, v[26:27]
	global_load_dwordx4 v[8:11], v[8:9], off
	v_lshlrev_b32_e32 v12, 8, v28
	v_lshlrev_b32_e32 v2, 5, v2
	v_and_b32_e32 v3, 16, v1
	v_and_b32_e32 v12, 0xe00, v12
	v_or3_b32 v2, v12, v2, v3
	s_waitcnt vmcnt(0)
	ds_write_b128 v2, v[8:11]
.LBB1154_11:
	s_or_b64 exec, exec, s[12:13]
	s_waitcnt lgkmcnt(0)
	s_mul_i32 s4, s4, s46
	s_add_u32 s8, s8, s4
	s_addc_u32 s9, s9, 0
	v_and_b32_e32 v10, 48, v0
	v_and_b32_e32 v30, 0xf0, v1
	v_mov_b32_e32 v31, 0
	v_lshl_add_u64 v[2:3], s[8:9], 0, v[30:31]
	v_lshlrev_b32_e32 v30, 4, v10
	v_lshl_add_u64 v[2:3], v[2:3], 0, v[30:31]
	v_or_b32_e32 v12, s5, v10
	s_waitcnt vmcnt(3)
	v_mad_i64_i32 v[8:9], s[8:9], v7, s45, v[2:3]
	v_ashrrev_i32_e32 v7, 4, v12
	v_mov_b32_e32 v13, s18
	v_cmp_gt_i32_e32 vcc, s33, v12
	s_load_dword s29, s[0:1], 0x98
	s_load_dwordx4 s[40:43], s[0:1], 0x80
	v_cndmask_b32_e32 v10, v13, v7, vcc
	v_ashrrev_i32_e32 v11, 31, v10
	v_lshl_add_u64 v[10:11], v[10:11], 2, s[6:7]
	s_waitcnt lgkmcnt(0)
	s_barrier
	global_load_dword v38, v[10:11], off
	global_load_dwordx4 v[22:25], v[8:9], off
	s_waitcnt vmcnt(4)
	v_mad_i64_i32 v[6:7], s[8:9], v6, s45, v[2:3]
	global_load_dwordx4 v[18:21], v[6:7], off
	s_waitcnt vmcnt(4)
	v_mad_i64_i32 v[6:7], s[8:9], v5, s45, v[2:3]
	global_load_dwordx4 v[14:17], v[6:7], off
	v_mul_lo_u16_e32 v8, 37, v28
	v_mov_b32_e32 v9, 7
	v_mul_lo_u16_sdwa v5, v8, v9 dst_sel:DWORD dst_unused:UNUSED_PAD src0_sel:BYTE_1 src1_sel:DWORD
	v_or_b32_e32 v6, 64, v12
	v_mov_b32_e32 v10, 5
	v_sub_u16_e32 v5, v28, v5
	v_or_b32_e32 v7, 0x80, v12
	v_ashrrev_i32_e32 v9, 4, v6
	s_add_u32 s8, s10, s4
	v_cmp_gt_i32_e32 vcc, s33, v6
	v_or_b32_e32 v8, 0xc0, v12
	v_lshlrev_b32_sdwa v5, v10, v5 dst_sel:DWORD dst_unused:UNUSED_PAD src0_sel:DWORD src1_sel:BYTE_0
	v_ashrrev_i32_e32 v10, 4, v7
	v_cndmask_b32_e32 v32, v13, v9, vcc
	v_cmp_gt_i32_e32 vcc, s33, v7
	s_addc_u32 s9, s11, 0
	s_waitcnt vmcnt(4)
	v_mad_i64_i32 v[2:3], s[10:11], v4, s45, v[2:3]
	v_ashrrev_i32_e32 v12, 4, v8
	v_cndmask_b32_e32 v34, v13, v10, vcc
	v_cmp_gt_i32_e32 vcc, s33, v8
	global_load_dwordx4 v[6:9], v[2:3], off
	v_ashrrev_i32_e32 v33, 31, v32
	v_cndmask_b32_e32 v36, v13, v12, vcc
	v_ashrrev_i32_e32 v35, 31, v34
	v_ashrrev_i32_e32 v37, 31, v36
	v_lshlrev_b32_e32 v11, 4, v28
	v_lshl_add_u32 v5, v42, 9, v5
	v_lshl_add_u64 v[32:33], v[32:33], 2, s[6:7]
	v_lshl_add_u64 v[34:35], v[34:35], 2, s[6:7]
	;; [unrolled: 1-line block ×3, first 2 shown]
	v_lshl_or_b32 v30, v29, 8, v11
	ds_read_b128 v[10:13], v5
	ds_read_b128 v[2:5], v5 offset:16
	s_load_dword s4, s[40:41], 0x0
	global_load_dword v45, v[32:33], off
	global_load_dword v27, v[34:35], off
	;; [unrolled: 1-line block ×3, first 2 shown]
	s_mov_b32 s44, 0x7060302
	v_lshl_add_u64 v[30:31], s[8:9], 0, v[30:31]
	s_load_dword s12, s[0:1], 0x1c
	s_mov_b32 s46, 0xff7fffff
	s_waitcnt vmcnt(7)
	v_mad_i64_i32 v[32:33], s[6:7], v38, s45, v[30:31]
	s_waitcnt vmcnt(6)
	v_cvt_pk_f32_fp8_e32 v[34:35], v22
	v_cvt_pk_f32_fp8_sdwa v[36:37], v22 src0_sel:WORD_1
	v_cvt_pk_f32_fp8_e32 v[38:39], v23
	v_cvt_pk_f32_fp8_sdwa v[40:41], v23 src0_sel:WORD_1
	v_perm_b32 v34, v35, v34, s44
	v_perm_b32 v35, v37, v36, s44
	s_waitcnt vmcnt(5)
	v_cvt_pk_f32_fp8_e32 v[22:23], v18
	v_cvt_pk_f32_fp8_e32 v[46:47], v24
	v_cvt_pk_f32_fp8_sdwa v[48:49], v24 src0_sel:WORD_1
	v_perm_b32 v38, v39, v38, s44
	v_perm_b32 v39, v41, v40, s44
	v_cvt_pk_f32_fp8_e32 v[50:51], v25
	v_cvt_pk_f32_fp8_sdwa v[52:53], v18 src0_sel:WORD_1
	v_cvt_pk_f32_fp8_sdwa v[54:55], v25 src0_sel:WORD_1
	v_perm_b32 v36, v23, v22, s44
	s_waitcnt lgkmcnt(0)
	v_mfma_f32_16x16x16_bf16 v[22:25], v[34:35], v[10:11], 0
	v_perm_b32 v40, v47, v46, s44
	v_perm_b32 v41, v49, v48, s44
	v_cvt_pk_f32_fp8_e32 v[56:57], v19
	v_perm_b32 v37, v53, v52, s44
	v_cvt_pk_f32_fp8_sdwa v[18:19], v19 src0_sel:WORD_1
	v_mfma_f32_16x16x16_bf16 v[22:25], v[38:39], v[12:13], v[22:25]
	v_perm_b32 v38, v51, v50, s44
	v_perm_b32 v39, v55, v54, s44
	v_cvt_pk_f32_fp8_e32 v[52:53], v20
	v_cvt_pk_f32_fp8_sdwa v[46:47], v20 src0_sel:WORD_1
	v_mfma_f32_16x16x16_bf16 v[22:25], v[40:41], v[2:3], v[22:25]
	v_perm_b32 v50, v57, v56, s44
	v_perm_b32 v51, v19, v18, s44
	v_cvt_pk_f32_fp8_e32 v[48:49], v21
	v_mfma_f32_16x16x16_bf16 v[34:37], v[36:37], v[10:11], 0
	v_mfma_f32_16x16x16_bf16 v[38:41], v[38:39], v[4:5], v[22:25]
	s_nop 2
	v_perm_b32 v22, v53, v52, s44
	v_perm_b32 v23, v47, v46, s44
	v_cvt_pk_f32_fp8_sdwa v[24:25], v21 src0_sel:WORD_1
	v_mfma_f32_16x16x16_bf16 v[18:21], v[50:51], v[12:13], v[34:37]
	s_waitcnt vmcnt(4)
	v_cvt_pk_f32_fp8_sdwa v[46:47], v14 src0_sel:WORD_1
	v_cvt_pk_f32_fp8_sdwa v[50:51], v17 src0_sel:WORD_1
	v_perm_b32 v34, v49, v48, s44
	v_perm_b32 v35, v25, v24, s44
	v_mfma_f32_16x16x16_bf16 v[18:21], v[22:23], v[2:3], v[18:21]
	v_cvt_pk_f32_fp8_e32 v[22:23], v14
	v_mov_b32_e32 v36, s12
	v_mul_f32_e32 v24, s4, v36
	v_mfma_f32_16x16x16_bf16 v[34:37], v[34:35], v[4:5], v[18:21]
	v_cvt_pk_f32_fp8_sdwa v[48:49], v16 src0_sel:WORD_1
	s_nop 1
	v_cvt_pk_f32_fp8_e32 v[18:19], v15
	v_perm_b32 v20, v23, v22, s44
	v_perm_b32 v21, v47, v46, s44
	v_cvt_pk_f32_fp8_sdwa v[14:15], v15 src0_sel:WORD_1
	v_perm_b32 v22, v19, v18, s44
	v_cvt_pk_f32_fp8_e32 v[46:47], v16
	v_mfma_f32_16x16x16_bf16 v[18:21], v[20:21], v[10:11], 0
	v_perm_b32 v23, v15, v14, s44
	v_perm_b32 v46, v47, v46, s44
	;; [unrolled: 1-line block ×3, first 2 shown]
	v_cvt_pk_f32_fp8_e32 v[48:49], v17
	v_mfma_f32_16x16x16_bf16 v[14:17], v[22:23], v[12:13], v[18:21]
	v_pk_mul_f32 v[22:23], v[24:25], v[40:41] op_sel_hi:[0,1]
	s_waitcnt vmcnt(3)
	v_cvt_pk_f32_fp8_sdwa v[40:41], v6 src0_sel:WORD_1
	v_perm_b32 v18, v49, v48, s44
	v_perm_b32 v19, v51, v50, s44
	v_mfma_f32_16x16x16_bf16 v[14:17], v[46:47], v[2:3], v[14:17]
	v_pk_mul_f32 v[20:21], v[24:25], v[38:39] op_sel_hi:[0,1]
	v_cvt_pk_f32_fp8_e32 v[38:39], v6
	v_cvt_pk_f32_fp8_e32 v[46:47], v8
	v_mfma_f32_16x16x16_bf16 v[14:17], v[18:19], v[4:5], v[14:17]
	v_cvt_pk_f32_fp8_e32 v[18:19], v7
	v_perm_b32 v38, v39, v38, s44
	v_perm_b32 v39, v41, v40, s44
	v_cvt_pk_f32_fp8_sdwa v[6:7], v7 src0_sel:WORD_1
	v_perm_b32 v18, v19, v18, s44
	v_cvt_pk_f32_fp8_sdwa v[48:49], v8 src0_sel:WORD_1
	v_mfma_f32_16x16x16_bf16 v[38:41], v[38:39], v[10:11], 0
	v_perm_b32 v19, v7, v6, s44
	v_perm_b32 v10, v47, v46, s44
	;; [unrolled: 1-line block ×3, first 2 shown]
	v_cvt_pk_f32_fp8_e32 v[46:47], v9
	v_cvt_pk_f32_fp8_sdwa v[48:49], v9 src0_sel:WORD_1
	v_mfma_f32_16x16x16_bf16 v[6:9], v[18:19], v[12:13], v[38:41]
	v_pk_mul_f32 v[36:37], v[24:25], v[36:37] op_sel_hi:[0,1]
	v_perm_b32 v12, v47, v46, s44
	v_perm_b32 v13, v49, v48, s44
	v_mfma_f32_16x16x16_bf16 v[6:9], v[10:11], v[2:3], v[6:9]
	v_pk_mul_f32 v[40:41], v[24:25], v[34:35] op_sel_hi:[0,1]
	v_pk_mul_f32 v[34:35], v[24:25], v[16:17] op_sel_hi:[0,1]
	;; [unrolled: 1-line block ×3, first 2 shown]
	v_mfma_f32_16x16x16_bf16 v[2:5], v[12:13], v[4:5], v[6:9]
	s_nop 6
	v_pk_mul_f32 v[18:19], v[24:25], v[4:5] op_sel_hi:[0,1]
	v_pk_mul_f32 v[24:25], v[24:25], v[2:3] op_sel_hi:[0,1]
	v_and_b32_e32 v2, 0xc0, v0
	v_add_u32_e32 v2, s5, v2
	v_lshl_or_b32 v2, v42, 2, v2
	v_or_b32_e32 v5, 1, v2
	v_mov_b32_e32 v3, 0xff7fffff
	v_cmp_gt_i32_e64 s[4:5], s33, v2
	v_cmp_gt_i32_e64 s[34:35], s33, v5
	v_or_b32_e32 v6, 3, v2
	v_cndmask_b32_e64 v4, v3, v20, s[4:5]
	v_cndmask_b32_e64 v5, v3, v21, s[34:35]
	v_max3_f32 v4, v4, s46, v5
	v_or_b32_e32 v5, 2, v2
	v_cmp_gt_i32_e64 s[36:37], s33, v5
	v_cmp_gt_i32_e64 s[38:39], s33, v6
	s_nop 0
	v_cndmask_b32_e64 v5, v3, v22, s[36:37]
	v_cndmask_b32_e64 v6, v3, v23, s[38:39]
	v_max3_f32 v4, v4, v5, v6
	v_or_b32_e32 v5, 16, v2
	v_or_b32_e32 v6, 17, v2
	v_cmp_gt_i32_e64 s[24:25], s33, v5
	v_cmp_gt_i32_e64 s[26:27], s33, v6
	s_nop 0
	v_cndmask_b32_e64 v5, v3, v40, s[24:25]
	v_cndmask_b32_e64 v6, v3, v41, s[26:27]
	v_max3_f32 v4, v4, v5, v6
	v_or_b32_e32 v5, 18, v2
	;; [unrolled: 8-line block ×6, first 2 shown]
	v_or_b32_e32 v2, 51, v2
	v_cmp_gt_i32_e32 vcc, s33, v5
	v_cmp_gt_i32_e64 s[6:7], s33, v2
	s_nop 0
	v_cndmask_b32_e32 v5, v3, v18, vcc
	v_cndmask_b32_e64 v2, v3, v19, s[6:7]
	v_max3_f32 v4, v4, v5, v2
	v_mbcnt_lo_u32_b32 v2, -1, 0
	v_mbcnt_hi_u32_b32 v5, -1, v2
	v_and_b32_e32 v2, 64, v5
	v_add_u32_e32 v6, 64, v2
	v_xor_b32_e32 v2, 32, v5
	v_cmp_lt_i32_e64 s[40:41], v2, v6
	s_nop 1
	v_cndmask_b32_e64 v2, v5, v2, s[40:41]
	v_lshlrev_b32_e32 v46, 2, v2
	ds_bpermute_b32 v7, v46, v4
	s_waitcnt vmcnt(2)
	v_mad_i64_i32 v[2:3], s[40:41], v45, s45, v[30:31]
	global_load_dwordx4 v[14:17], v[32:33], off
	global_load_dwordx4 v[10:13], v[2:3], off
	v_xor_b32_e32 v3, 16, v5
	v_cmp_lt_i32_e64 s[40:41], v3, v6
	s_waitcnt lgkmcnt(0)
	v_max_f32_e32 v2, v7, v7
	v_max_f32_e32 v2, v4, v2
	v_cndmask_b32_e64 v3, v5, v3, s[40:41]
	v_lshlrev_b32_e32 v45, 2, v3
	ds_bpermute_b32 v3, v45, v2
	s_waitcnt vmcnt(3)
	v_mad_i64_i32 v[32:33], s[40:41], v27, s45, v[30:31]
	s_waitcnt vmcnt(2)
	v_mad_i64_i32 v[30:31], s[40:41], v44, s45, v[30:31]
	s_waitcnt lgkmcnt(0)
	v_max_f32_e32 v3, v3, v3
	v_max_f32_e32 v27, v2, v3
	v_sub_f32_e32 v2, v20, v27
	v_mul_f32_e32 v2, 0x3fb8aa3b, v2
	v_exp_f32_e32 v20, v2
	v_sub_f32_e32 v2, v21, v27
	v_mul_f32_e32 v2, 0x3fb8aa3b, v2
	v_exp_f32_e32 v21, v2
	global_load_dwordx4 v[6:9], v[32:33], off
	global_load_dwordx4 v[2:5], v[30:31], off
	v_sub_f32_e32 v22, v22, v27
	v_mul_f32_e32 v22, 0x3fb8aa3b, v22
	v_sub_f32_e32 v23, v23, v27
	v_exp_f32_e32 v22, v22
	v_mul_f32_e32 v23, 0x3fb8aa3b, v23
	v_exp_f32_e32 v23, v23
	v_cndmask_b32_e64 v20, 0, v20, s[4:5]
	v_add_f32_e32 v30, 0, v20
	v_cndmask_b32_e64 v21, 0, v21, s[34:35]
	v_add_f32_e32 v30, v30, v21
	;; [unrolled: 2-line block ×3, first 2 shown]
	v_cndmask_b32_e64 v33, 0, v23, s[38:39]
	v_sub_f32_e32 v23, v40, v27
	v_sub_f32_e32 v30, v41, v27
	v_mul_f32_e32 v23, 0x3fb8aa3b, v23
	v_mul_f32_e32 v30, 0x3fb8aa3b, v30
	v_exp_f32_e32 v23, v23
	v_exp_f32_e32 v30, v30
	v_add_f32_e32 v31, v22, v33
	v_sub_f32_e32 v34, v34, v27
	v_cndmask_b32_e64 v22, 0, v23, s[24:25]
	v_cndmask_b32_e64 v23, 0, v30, s[26:27]
	v_sub_f32_e32 v30, v36, v27
	v_mul_f32_e32 v30, 0x3fb8aa3b, v30
	v_exp_f32_e32 v30, v30
	v_sub_f32_e32 v36, v37, v27
	v_add_f32_e32 v31, v31, v22
	v_mul_f32_e32 v36, 0x3fb8aa3b, v36
	v_exp_f32_e32 v37, v36
	v_add_f32_e32 v31, v31, v23
	v_cndmask_b32_e64 v36, 0, v30, s[20:21]
	v_add_f32_e32 v30, v31, v36
	v_sub_f32_e32 v31, v38, v27
	v_mul_f32_e32 v31, 0x3fb8aa3b, v31
	v_sub_f32_e32 v38, v39, v27
	v_exp_f32_e32 v31, v31
	v_mul_f32_e32 v38, 0x3fb8aa3b, v38
	v_exp_f32_e32 v38, v38
	v_mul_f32_e32 v34, 0x3fb8aa3b, v34
	v_sub_f32_e32 v35, v35, v27
	v_exp_f32_e32 v34, v34
	v_mul_f32_e32 v35, 0x3fb8aa3b, v35
	v_sub_f32_e32 v24, v24, v27
	v_cndmask_b32_e64 v37, 0, v37, s[22:23]
	v_exp_f32_e32 v35, v35
	v_mul_f32_e32 v24, 0x3fb8aa3b, v24
	v_sub_f32_e32 v25, v25, v27
	v_add_f32_e32 v39, v30, v37
	v_cndmask_b32_e64 v30, 0, v31, s[16:17]
	v_exp_f32_e32 v24, v24
	v_mul_f32_e32 v25, 0x3fb8aa3b, v25
	v_sub_f32_e32 v18, v18, v27
	v_add_f32_e32 v39, v39, v30
	;; [unrolled: 5-line block ×3, first 2 shown]
	v_cndmask_b32_e64 v34, 0, v34, s[12:13]
	v_exp_f32_e32 v18, v18
	v_mul_f32_e32 v19, 0x3fb8aa3b, v19
	v_add_f32_e32 v38, v38, v34
	v_cndmask_b32_e64 v35, 0, v35, s[14:15]
	v_exp_f32_e32 v19, v19
	v_add_f32_e32 v38, v38, v35
	v_cndmask_b32_e64 v24, 0, v24, s[8:9]
	v_add_f32_e32 v38, v38, v24
	v_cndmask_b32_e64 v25, 0, v25, s[10:11]
	v_add_f32_e32 v38, v38, v25
	v_cndmask_b32_e32 v18, 0, v18, vcc
	v_add_f32_e32 v38, v38, v18
	v_cndmask_b32_e64 v19, 0, v19, s[6:7]
	v_add_f32_e32 v38, v38, v19
	ds_bpermute_b32 v39, v46, v38
	v_cmp_gt_u32_e32 vcc, 16, v43
	s_waitcnt lgkmcnt(0)
	s_barrier
	v_add_f32_e32 v39, v38, v39
	ds_bpermute_b32 v40, v45, v39
	v_lshlrev_b32_e32 v38, 2, v28
	s_and_saveexec_b64 s[4:5], vcc
	s_cbranch_execz .LBB1154_13
; %bb.12:
	s_waitcnt lgkmcnt(0)
	v_add_f32_e32 v39, v39, v40
	v_lshl_or_b32 v40, v29, 6, v38
	ds_write2st64_b32 v40, v27, v39 offset1:1
.LBB1154_13:
	s_or_b64 exec, exec, s[4:5]
	s_load_dword s6, s[0:1], 0x94
	s_waitcnt lgkmcnt(0)
	s_barrier
	ds_read2_b32 v[40:41], v38 offset1:16
	ds_read2_b32 v[44:45], v38 offset0:32 offset1:48
	ds_read2_b32 v[46:47], v38 offset0:64 offset1:80
	s_movk_i32 s8, 0x7fff
	s_mul_i32 s7, s29, 7
	s_waitcnt lgkmcnt(2)
	v_max3_f32 v27, v40, s46, v41
	s_waitcnt lgkmcnt(1)
	v_max3_f32 v27, v27, v44, v45
	v_sub_f32_e32 v39, v40, v27
	v_sub_f32_e32 v40, v41, v27
	v_mul_f32_e32 v40, 0x3fb8aa3b, v40
	v_mul_f32_e32 v39, 0x3fb8aa3b, v39
	v_exp_f32_e32 v43, v40
	v_sub_f32_e32 v40, v44, v27
	v_exp_f32_e32 v39, v39
	v_mul_f32_e32 v40, 0x3fb8aa3b, v40
	v_exp_f32_e32 v44, v40
	ds_read2_b32 v[40:41], v38 offset0:96 offset1:112
	v_sub_f32_e32 v38, v45, v27
	v_mul_f32_e32 v38, 0x3fb8aa3b, v38
	v_exp_f32_e32 v45, v38
	s_waitcnt lgkmcnt(1)
	v_fma_f32 v38, v39, v46, 0
	v_fmac_f32_e32 v38, v43, v47
	s_waitcnt lgkmcnt(0)
	v_fmac_f32_e32 v38, v44, v40
	v_fmac_f32_e32 v38, v45, v41
	v_add_f32_e32 v40, 0x358637bd, v38
	v_div_scale_f32 v41, s[4:5], v40, v40, 1.0
	v_rcp_f32_e32 v46, v41
	s_barrier
	v_fma_f32 v47, -v41, v46, 1.0
	v_fmac_f32_e32 v46, v47, v46
	v_div_scale_f32 v47, vcc, 1.0, v40, 1.0
	v_mul_f32_e32 v48, v47, v46
	v_fma_f32 v49, -v41, v48, v47
	v_fmac_f32_e32 v48, v49, v46
	v_fma_f32 v41, -v41, v48, v47
	v_div_fmas_f32 v41, v41, v46, v48
	v_cmp_eq_u32_e32 vcc, 1, v29
	v_div_fixup_f32 v40, v41, v40, 1.0
	s_nop 0
	v_cndmask_b32_e32 v39, v39, v43, vcc
	v_cmp_eq_u32_e32 vcc, 2, v29
	s_nop 1
	v_cndmask_b32_e32 v39, v39, v44, vcc
	v_cmp_eq_u32_e32 vcc, 3, v29
	v_lshlrev_b32_e32 v29, 11, v29
	s_nop 0
	v_cndmask_b32_e32 v39, v39, v45, vcc
	v_mul_f32_e32 v40, v39, v40
	v_pk_mul_f32 v[20:21], v[40:41], v[20:21] op_sel_hi:[0,1]
	v_pk_mul_f32 v[32:33], v[40:41], v[32:33] op_sel_hi:[0,1]
	v_bfe_u32 v39, v21, 16, 1
	v_bfe_u32 v41, v20, 16, 1
	v_add3_u32 v20, v20, v41, s8
	v_add3_u32 v21, v21, v39, s8
	v_perm_b32 v44, v21, v20, s44
	v_bfe_u32 v20, v33, 16, 1
	v_bfe_u32 v21, v32, 16, 1
	v_add3_u32 v21, v32, v21, s8
	v_add3_u32 v20, v33, v20, s8
	v_perm_b32 v45, v20, v21, s44
	v_lshlrev_b32_e32 v20, 3, v42
	v_lshlrev_b32_e32 v21, 5, v28
	v_pk_mul_f32 v[22:23], v[40:41], v[22:23] op_sel_hi:[0,1]
	v_or3_b32 v20, v29, v21, v20
	v_pk_mul_f32 v[32:33], v[40:41], v[36:37] op_sel_hi:[0,1]
	v_bfe_u32 v29, v23, 16, 1
	v_bfe_u32 v36, v22, 16, 1
	v_add3_u32 v22, v22, v36, s8
	v_add3_u32 v23, v23, v29, s8
	v_perm_b32 v22, v23, v22, s44
	v_bfe_u32 v23, v33, 16, 1
	v_bfe_u32 v29, v32, 16, 1
	v_add3_u32 v29, v32, v29, s8
	v_add3_u32 v23, v33, v23, s8
	v_pk_mul_f32 v[30:31], v[40:41], v[30:31] op_sel_hi:[0,1]
	v_perm_b32 v23, v23, v29, s44
	v_bfe_u32 v29, v31, 16, 1
	v_bfe_u32 v32, v30, 16, 1
	ds_write2st64_b64 v20, v[44:45], v[22:23] offset1:1
	v_pk_mul_f32 v[22:23], v[40:41], v[34:35] op_sel_hi:[0,1]
	v_add3_u32 v30, v30, v32, s8
	v_add3_u32 v29, v31, v29, s8
	v_perm_b32 v30, v29, v30, s44
	v_bfe_u32 v29, v23, 16, 1
	v_bfe_u32 v31, v22, 16, 1
	v_add3_u32 v22, v22, v31, s8
	v_add3_u32 v23, v23, v29, s8
	v_perm_b32 v31, v23, v22, s44
	v_pk_mul_f32 v[22:23], v[40:41], v[24:25] op_sel_hi:[0,1]
	v_bfe_u32 v24, v23, 16, 1
	v_bfe_u32 v25, v22, 16, 1
	v_pk_mul_f32 v[18:19], v[40:41], v[18:19] op_sel_hi:[0,1]
	v_add3_u32 v22, v22, v25, s8
	v_add3_u32 v23, v23, v24, s8
	v_perm_b32 v22, v23, v22, s44
	v_bfe_u32 v23, v19, 16, 1
	v_bfe_u32 v24, v18, 16, 1
	v_add3_u32 v18, v18, v24, s8
	v_add3_u32 v19, v19, v23, s8
	v_perm_b32 v23, v19, v18, s44
	v_cmp_gt_u32_e32 vcc, 7, v0
	ds_write2st64_b64 v20, v[30:31], v[22:23] offset0:2 offset1:3
	s_and_saveexec_b64 s[4:5], vcc
	s_cbranch_execz .LBB1154_15
; %bb.14:
	s_mov_b32 s49, 0
	v_mov_b32_e32 v29, 0
	v_lshl_add_u64 v[18:19], s[48:49], 0, v[28:29]
	v_mov_b32_e32 v22, s7
	v_mad_u64_u32 v[18:19], s[10:11], s2, v22, v[18:19]
	s_mul_i32 s3, s3, s7
	v_mov_b32_e32 v28, s28
	s_load_dwordx4 s[12:15], s[0:1], 0x58
	v_add_u32_e32 v23, s3, v19
	v_mad_u64_u32 v[18:19], s[10:11], v18, s6, v[28:29]
	v_mov_b32_e32 v22, v19
	v_mad_u64_u32 v[22:23], s[10:11], v23, s6, v[22:23]
	v_mov_b32_e32 v19, v22
	v_lshlrev_b64 v[18:19], 2, v[18:19]
	s_waitcnt lgkmcnt(0)
	v_lshl_add_u64 v[22:23], s[14:15], 0, v[18:19]
	v_lshl_add_u64 v[18:19], s[12:13], 0, v[18:19]
	global_store_dword v[22:23], v27, off
	global_store_dword v[18:19], v38, off
.LBB1154_15:
	s_or_b64 exec, exec, s[4:5]
	s_waitcnt vmcnt(3)
	v_cvt_pk_f32_fp8_e32 v[18:19], v14
	v_cvt_pk_f32_fp8_sdwa v[22:23], v14 src0_sel:WORD_1
	s_mov_b32 s4, 0x7060302
	v_lshl_or_b32 v14, v42, 9, v21
	s_waitcnt lgkmcnt(0)
	s_barrier
	v_perm_b32 v18, v19, v18, s4
	v_perm_b32 v19, v23, v22, s4
	v_cvt_pk_f32_fp8_e32 v[28:29], v15
	ds_read_b128 v[22:25], v14
	v_cvt_pk_f32_fp8_sdwa v[36:37], v15 src0_sel:WORD_1
	s_load_dword s10, s[42:43], 0x0
	v_perm_b32 v38, v29, v28, s4
	ds_read_b128 v[28:31], v14 offset:16
	v_perm_b32 v39, v37, v36, s4
	s_waitcnt lgkmcnt(0)
	v_mfma_f32_16x16x16_bf16 v[32:35], v[18:19], v[22:23], 0
	v_cvt_pk_f32_fp8_e32 v[18:19], v16
	v_cvt_pk_f32_fp8_sdwa v[36:37], v16 src0_sel:WORD_1
	v_cmp_gt_u32_e32 vcc, 64, v0
	v_mfma_f32_16x16x16_bf16 v[22:25], v[38:39], v[24:25], v[32:35]
	v_perm_b32 v18, v19, v18, s4
	v_perm_b32 v19, v37, v36, s4
	s_waitcnt vmcnt(2)
	v_cvt_pk_f32_fp8_sdwa v[36:37], v10 src0_sel:WORD_1
	v_cvt_pk_f32_fp8_e32 v[32:33], v17
	v_cvt_pk_f32_fp8_sdwa v[16:17], v17 src0_sel:WORD_1
	v_cvt_pk_f32_fp8_e32 v[34:35], v10
	s_mov_b32 s3, 0
	v_perm_b32 v32, v33, v32, s4
	v_perm_b32 v33, v17, v16, s4
	v_mfma_f32_16x16x16_bf16 v[16:19], v[18:19], v[28:29], v[22:25]
	v_perm_b32 v34, v35, v34, s4
	v_perm_b32 v35, v37, v36, s4
	v_cvt_pk_f32_fp8_e32 v[28:29], v11
	ds_read_b128 v[22:25], v14 offset:2048
	v_cvt_pk_f32_fp8_sdwa v[10:11], v11 src0_sel:WORD_1
	v_mfma_f32_16x16x16_bf16 v[16:19], v[32:33], v[30:31], v[16:19]
	v_perm_b32 v32, v29, v28, s4
	ds_read_b128 v[28:31], v14 offset:2064
	v_perm_b32 v33, v11, v10, s4
	s_waitcnt lgkmcnt(1)
	v_mfma_f32_16x16x16_bf16 v[16:19], v[34:35], v[22:23], v[16:19]
	v_cvt_pk_f32_fp8_e32 v[10:11], v12
	v_cvt_pk_f32_fp8_sdwa v[22:23], v12 src0_sel:WORD_1
	v_mov_b32_e32 v27, 0
	v_mfma_f32_16x16x16_bf16 v[16:19], v[32:33], v[24:25], v[16:19]
	v_cvt_pk_f32_fp8_e32 v[24:25], v13
	v_perm_b32 v10, v11, v10, s4
	v_perm_b32 v11, v23, v22, s4
	v_cvt_pk_f32_fp8_sdwa v[12:13], v13 src0_sel:WORD_1
	v_perm_b32 v22, v25, v24, s4
	s_waitcnt vmcnt(1)
	v_cvt_pk_f32_fp8_e32 v[24:25], v6
	v_cvt_pk_f32_fp8_sdwa v[32:33], v6 src0_sel:WORD_1
	v_perm_b32 v23, v13, v12, s4
	s_waitcnt lgkmcnt(0)
	v_mfma_f32_16x16x16_bf16 v[10:13], v[10:11], v[28:29], v[16:19]
	v_perm_b32 v28, v25, v24, s4
	v_perm_b32 v29, v33, v32, s4
	v_cvt_pk_f32_fp8_e32 v[24:25], v7
	ds_read_b128 v[16:19], v14 offset:4096
	v_cvt_pk_f32_fp8_sdwa v[6:7], v7 src0_sel:WORD_1
	v_mfma_f32_16x16x16_bf16 v[10:13], v[22:23], v[30:31], v[10:13]
	v_perm_b32 v30, v25, v24, s4
	ds_read_b128 v[22:25], v14 offset:4112
	v_perm_b32 v31, v7, v6, s4
	s_waitcnt lgkmcnt(1)
	v_mfma_f32_16x16x16_bf16 v[10:13], v[28:29], v[16:17], v[10:13]
	v_cvt_pk_f32_fp8_e32 v[6:7], v8
	v_cvt_pk_f32_fp8_sdwa v[16:17], v8 src0_sel:WORD_1
	s_waitcnt vmcnt(0)
	v_cvt_pk_f32_fp8_sdwa v[28:29], v2 src0_sel:WORD_1
	v_mfma_f32_16x16x16_bf16 v[10:13], v[30:31], v[18:19], v[10:13]
	v_cvt_pk_f32_fp8_e32 v[18:19], v9
	v_perm_b32 v6, v7, v6, s4
	v_perm_b32 v7, v17, v16, s4
	v_cvt_pk_f32_fp8_sdwa v[8:9], v9 src0_sel:WORD_1
	v_perm_b32 v16, v19, v18, s4
	v_cvt_pk_f32_fp8_e32 v[18:19], v2
	v_perm_b32 v17, v9, v8, s4
	s_waitcnt lgkmcnt(0)
	v_mfma_f32_16x16x16_bf16 v[6:9], v[6:7], v[22:23], v[10:13]
	v_perm_b32 v18, v19, v18, s4
	v_perm_b32 v19, v29, v28, s4
	v_cvt_pk_f32_fp8_e32 v[22:23], v3
	ds_read_b128 v[10:13], v14 offset:6144
	v_cvt_pk_f32_fp8_sdwa v[2:3], v3 src0_sel:WORD_1
	v_mfma_f32_16x16x16_bf16 v[6:9], v[16:17], v[24:25], v[6:9]
	v_perm_b32 v22, v23, v22, s4
	ds_read_b128 v[14:17], v14 offset:6160
	v_perm_b32 v23, v3, v2, s4
	s_waitcnt lgkmcnt(1)
	v_mfma_f32_16x16x16_bf16 v[6:9], v[18:19], v[10:11], v[6:9]
	v_cvt_pk_f32_fp8_e32 v[2:3], v4
	v_cvt_pk_f32_fp8_sdwa v[10:11], v4 src0_sel:WORD_1
	s_waitcnt lgkmcnt(0)
	v_mfma_f32_16x16x16_bf16 v[6:9], v[22:23], v[12:13], v[6:9]
	v_perm_b32 v2, v3, v2, s4
	v_perm_b32 v3, v11, v10, s4
	v_cvt_pk_f32_fp8_e32 v[10:11], v5
	v_cvt_pk_f32_fp8_sdwa v[4:5], v5 src0_sel:WORD_1
	s_barrier
	v_perm_b32 v10, v11, v10, s4
	v_perm_b32 v11, v5, v4, s4
	v_mfma_f32_16x16x16_bf16 v[2:5], v[2:3], v[14:15], v[6:9]
	s_nop 0
	v_mfma_f32_16x16x16_bf16 v[2:5], v[10:11], v[16:17], v[2:5]
	s_nop 6
	v_pk_mul_f32 v[2:3], v[2:3], s[10:11] op_sel_hi:[1,0]
	v_pk_mul_f32 v[4:5], v[4:5], s[10:11] op_sel_hi:[1,0]
	v_bfe_u32 v6, v3, 16, 1
	v_bfe_u32 v7, v2, 16, 1
	v_add3_u32 v2, v2, v7, s8
	v_add3_u32 v3, v3, v6, s8
	v_perm_b32 v2, v3, v2, s4
	v_bfe_u32 v3, v5, 16, 1
	v_bfe_u32 v6, v4, 16, 1
	v_add3_u32 v4, v4, v6, s8
	v_add3_u32 v3, v5, v3, s8
	v_perm_b32 v3, v3, v4, s4
	s_and_b64 s[4:5], vcc, s[30:31]
	ds_write_b64 v20, v[2:3]
	s_waitcnt lgkmcnt(0)
	s_barrier
	s_and_saveexec_b64 s[8:9], s[4:5]
	s_cbranch_execz .LBB1154_18
; %bb.16:
	s_load_dwordx2 s[4:5], s[0:1], 0x68
	s_lshl_b32 s0, s6, 6
	s_mul_i32 s1, s7, s2
	s_mul_hi_u32 s7, s1, s0
	s_mul_i32 s6, s1, s0
	v_lshlrev_b32_e32 v0, 10, v0
	s_lshl_b64 s[6:7], s[6:7], 1
	v_and_b32_e32 v0, 0x1800, v0
	v_lshlrev_b32_e32 v2, 5, v42
	v_and_b32_e32 v1, 16, v1
	s_waitcnt lgkmcnt(0)
	s_add_u32 s1, s4, s6
	v_or3_b32 v2, v0, v2, v1
	s_addc_u32 s4, s5, s7
	s_lshl_b32 s2, s28, 6
	s_lshl_b64 s[2:3], s[2:3], 1
	ds_read_b128 v[4:7], v2
	s_add_u32 s2, s1, s2
	s_addc_u32 s3, s4, s3
	v_add_u32_e32 v3, s48, v42
	v_lshl_add_u64 v[0:1], s[2:3], 0, v[26:27]
	v_mad_u64_u32 v[8:9], s[2:3], v3, s0, 0
	v_lshl_add_u64 v[8:9], v[8:9], 1, v[0:1]
	v_cmp_ne_u32_e32 vcc, 3, v42
	s_waitcnt lgkmcnt(0)
	global_store_dwordx4 v[8:9], v[4:7], off
	s_and_b64 exec, exec, vcc
	s_cbranch_execz .LBB1154_18
; %bb.17:
	ds_read_b128 v[2:5], v2 offset:128
	v_add3_u32 v6, s48, v42, 4
	v_mad_u64_u32 v[6:7], s[0:1], v6, s0, 0
	v_lshl_add_u64 v[0:1], v[6:7], 1, v[0:1]
	s_waitcnt lgkmcnt(0)
	global_store_dwordx4 v[0:1], v[2:5], off
.LBB1154_18:
	s_endpgm
	.section	.rodata,"a",@progbits
	.p2align	6, 0x0
	.amdhsa_kernel _Z39paged_attention_ll4mi_QKV_mfma16_kernelI14__hip_bfloat16hLN4vllm18Fp8KVCacheDataTypeE1ES0_Li16ELi64ELi256ELb0ELi7EEvPKT_PKT0_S8_ifPKiSA_SA_iPKfiiiPfSD_PS3_PT2_iSC_SC_
		.amdhsa_group_segment_fixed_size 8192
		.amdhsa_private_segment_fixed_size 0
		.amdhsa_kernarg_size 400
		.amdhsa_user_sgpr_count 2
		.amdhsa_user_sgpr_dispatch_ptr 0
		.amdhsa_user_sgpr_queue_ptr 0
		.amdhsa_user_sgpr_kernarg_segment_ptr 1
		.amdhsa_user_sgpr_dispatch_id 0
		.amdhsa_user_sgpr_kernarg_preload_length 0
		.amdhsa_user_sgpr_kernarg_preload_offset 0
		.amdhsa_user_sgpr_private_segment_size 0
		.amdhsa_uses_dynamic_stack 0
		.amdhsa_enable_private_segment 0
		.amdhsa_system_sgpr_workgroup_id_x 1
		.amdhsa_system_sgpr_workgroup_id_y 1
		.amdhsa_system_sgpr_workgroup_id_z 1
		.amdhsa_system_sgpr_workgroup_info 0
		.amdhsa_system_vgpr_workitem_id 0
		.amdhsa_next_free_vgpr 58
		.amdhsa_next_free_sgpr 50
		.amdhsa_accum_offset 60
		.amdhsa_reserve_vcc 1
		.amdhsa_float_round_mode_32 0
		.amdhsa_float_round_mode_16_64 0
		.amdhsa_float_denorm_mode_32 3
		.amdhsa_float_denorm_mode_16_64 3
		.amdhsa_dx10_clamp 1
		.amdhsa_ieee_mode 1
		.amdhsa_fp16_overflow 0
		.amdhsa_tg_split 0
		.amdhsa_exception_fp_ieee_invalid_op 0
		.amdhsa_exception_fp_denorm_src 0
		.amdhsa_exception_fp_ieee_div_zero 0
		.amdhsa_exception_fp_ieee_overflow 0
		.amdhsa_exception_fp_ieee_underflow 0
		.amdhsa_exception_fp_ieee_inexact 0
		.amdhsa_exception_int_div_zero 0
	.end_amdhsa_kernel
	.section	.text._Z39paged_attention_ll4mi_QKV_mfma16_kernelI14__hip_bfloat16hLN4vllm18Fp8KVCacheDataTypeE1ES0_Li16ELi64ELi256ELb0ELi7EEvPKT_PKT0_S8_ifPKiSA_SA_iPKfiiiPfSD_PS3_PT2_iSC_SC_,"axG",@progbits,_Z39paged_attention_ll4mi_QKV_mfma16_kernelI14__hip_bfloat16hLN4vllm18Fp8KVCacheDataTypeE1ES0_Li16ELi64ELi256ELb0ELi7EEvPKT_PKT0_S8_ifPKiSA_SA_iPKfiiiPfSD_PS3_PT2_iSC_SC_,comdat
.Lfunc_end1154:
	.size	_Z39paged_attention_ll4mi_QKV_mfma16_kernelI14__hip_bfloat16hLN4vllm18Fp8KVCacheDataTypeE1ES0_Li16ELi64ELi256ELb0ELi7EEvPKT_PKT0_S8_ifPKiSA_SA_iPKfiiiPfSD_PS3_PT2_iSC_SC_, .Lfunc_end1154-_Z39paged_attention_ll4mi_QKV_mfma16_kernelI14__hip_bfloat16hLN4vllm18Fp8KVCacheDataTypeE1ES0_Li16ELi64ELi256ELb0ELi7EEvPKT_PKT0_S8_ifPKiSA_SA_iPKfiiiPfSD_PS3_PT2_iSC_SC_
                                        ; -- End function
	.section	.AMDGPU.csdata,"",@progbits
; Kernel info:
; codeLenInByte = 4824
; NumSgprs: 56
; NumVgprs: 58
; NumAgprs: 0
; TotalNumVgprs: 58
; ScratchSize: 0
; MemoryBound: 0
; FloatMode: 240
; IeeeMode: 1
; LDSByteSize: 8192 bytes/workgroup (compile time only)
; SGPRBlocks: 6
; VGPRBlocks: 7
; NumSGPRsForWavesPerEU: 56
; NumVGPRsForWavesPerEU: 58
; AccumOffset: 60
; Occupancy: 8
; WaveLimiterHint : 1
; COMPUTE_PGM_RSRC2:SCRATCH_EN: 0
; COMPUTE_PGM_RSRC2:USER_SGPR: 2
; COMPUTE_PGM_RSRC2:TRAP_HANDLER: 0
; COMPUTE_PGM_RSRC2:TGID_X_EN: 1
; COMPUTE_PGM_RSRC2:TGID_Y_EN: 1
; COMPUTE_PGM_RSRC2:TGID_Z_EN: 1
; COMPUTE_PGM_RSRC2:TIDIG_COMP_CNT: 0
; COMPUTE_PGM_RSRC3_GFX90A:ACCUM_OFFSET: 14
; COMPUTE_PGM_RSRC3_GFX90A:TG_SPLIT: 0
	.section	.text._Z39paged_attention_ll4mi_QKV_mfma16_kernelI14__hip_bfloat16hLN4vllm18Fp8KVCacheDataTypeE1ES0_Li16ELi64ELi256ELb0ELi8EEvPKT_PKT0_S8_ifPKiSA_SA_iPKfiiiPfSD_PS3_PT2_iSC_SC_,"axG",@progbits,_Z39paged_attention_ll4mi_QKV_mfma16_kernelI14__hip_bfloat16hLN4vllm18Fp8KVCacheDataTypeE1ES0_Li16ELi64ELi256ELb0ELi8EEvPKT_PKT0_S8_ifPKiSA_SA_iPKfiiiPfSD_PS3_PT2_iSC_SC_,comdat
	.protected	_Z39paged_attention_ll4mi_QKV_mfma16_kernelI14__hip_bfloat16hLN4vllm18Fp8KVCacheDataTypeE1ES0_Li16ELi64ELi256ELb0ELi8EEvPKT_PKT0_S8_ifPKiSA_SA_iPKfiiiPfSD_PS3_PT2_iSC_SC_ ; -- Begin function _Z39paged_attention_ll4mi_QKV_mfma16_kernelI14__hip_bfloat16hLN4vllm18Fp8KVCacheDataTypeE1ES0_Li16ELi64ELi256ELb0ELi8EEvPKT_PKT0_S8_ifPKiSA_SA_iPKfiiiPfSD_PS3_PT2_iSC_SC_
	.globl	_Z39paged_attention_ll4mi_QKV_mfma16_kernelI14__hip_bfloat16hLN4vllm18Fp8KVCacheDataTypeE1ES0_Li16ELi64ELi256ELb0ELi8EEvPKT_PKT0_S8_ifPKiSA_SA_iPKfiiiPfSD_PS3_PT2_iSC_SC_
	.p2align	8
	.type	_Z39paged_attention_ll4mi_QKV_mfma16_kernelI14__hip_bfloat16hLN4vllm18Fp8KVCacheDataTypeE1ES0_Li16ELi64ELi256ELb0ELi8EEvPKT_PKT0_S8_ifPKiSA_SA_iPKfiiiPfSD_PS3_PT2_iSC_SC_,@function
_Z39paged_attention_ll4mi_QKV_mfma16_kernelI14__hip_bfloat16hLN4vllm18Fp8KVCacheDataTypeE1ES0_Li16ELi64ELi256ELb0ELi8EEvPKT_PKT0_S8_ifPKiSA_SA_iPKfiiiPfSD_PS3_PT2_iSC_SC_: ; @_Z39paged_attention_ll4mi_QKV_mfma16_kernelI14__hip_bfloat16hLN4vllm18Fp8KVCacheDataTypeE1ES0_Li16ELi64ELi256ELb0ELi8EEvPKT_PKT0_S8_ifPKiSA_SA_iPKfiiiPfSD_PS3_PT2_iSC_SC_
; %bb.0:
	s_load_dwordx2 s[12:13], s[0:1], 0x30
	s_mov_b32 s28, s3
	s_mov_b64 s[6:7], 0
	s_waitcnt lgkmcnt(0)
	s_cmp_lg_u64 s[12:13], 0
	s_cselect_b64 s[14:15], -1, 0
	s_and_b64 vcc, exec, s[14:15]
	s_cbranch_vccz .LBB1155_7
; %bb.1:
	s_add_i32 s8, s2, 1
	s_mov_b32 s9, 0
	s_lshl_b64 s[10:11], s[8:9], 2
	s_add_u32 s10, s12, s10
	s_mov_b32 s3, s9
	s_addc_u32 s11, s13, s11
	s_lshl_b64 s[8:9], s[2:3], 2
	s_add_u32 s8, s12, s8
	s_addc_u32 s9, s13, s9
	s_load_dword s5, s[10:11], 0x0
	s_load_dword s16, s[8:9], 0x0
	s_waitcnt lgkmcnt(0)
	s_sub_i32 s5, s5, s16
	s_cmp_eq_u32 s5, 1
	s_cselect_b64 s[8:9], -1, 0
	s_andn2_b64 vcc, exec, s[6:7]
	s_cbranch_vccnz .LBB1155_3
.LBB1155_2:
	s_mov_b32 s3, 0
	s_mov_b64 s[8:9], -1
.LBB1155_3:
	s_andn2_b64 vcc, exec, s[8:9]
	s_cbranch_vccnz .LBB1155_17
; %bb.4:
	s_load_dwordx2 s[6:7], s[0:1], 0x28
	s_lshl_b64 s[16:17], s[2:3], 2
	s_waitcnt lgkmcnt(0)
	s_add_u32 s6, s6, s16
	s_addc_u32 s7, s7, s17
	s_load_dword s48, s[6:7], 0x0
	s_lshl_b32 s5, s28, 8
	s_waitcnt lgkmcnt(0)
	s_cmp_ge_i32 s5, s48
	s_cbranch_scc1 .LBB1155_17
; %bb.5:
	s_load_dwordx2 s[6:7], s[0:1], 0x20
	s_load_dword s8, s[0:1], 0x38
	s_add_i32 s9, s48, 15
	s_ashr_i32 s10, s9, 31
	v_and_b32_e32 v1, 0xcf, v0
	s_lshr_b32 s10, s10, 28
	v_add_u32_e32 v1, s5, v1
	s_add_i32 s9, s9, s10
	v_ashrrev_i32_e32 v2, 31, v1
	s_ashr_i32 s18, s9, 4
	v_lshrrev_b32_e32 v4, 28, v2
	s_add_i32 s18, s18, -1
	s_waitcnt lgkmcnt(0)
	s_mul_i32 s8, s2, s8
	s_mov_b32 s9, 0
	v_add_u32_e32 v2, v1, v4
	s_lshl_b64 s[8:9], s[8:9], 2
	v_ashrrev_i32_e32 v2, 4, v2
	v_mov_b32_e32 v5, s18
	v_cmp_gt_i32_e32 vcc, s48, v1
	s_add_u32 s6, s6, s8
	s_addc_u32 s7, s7, s9
	v_cndmask_b32_e32 v2, v5, v2, vcc
	v_ashrrev_i32_e32 v3, 31, v2
	v_lshl_add_u64 v[6:7], v[2:3], 2, s[6:7]
	v_or_b32_e32 v2, 16, v1
	v_add_u32_e32 v3, v2, v4
	v_ashrrev_i32_e32 v3, 4, v3
	v_cmp_gt_i32_e32 vcc, s48, v2
	s_load_dwordx4 s[8:11], s[0:1], 0x8
	s_nop 0
	v_cndmask_b32_e32 v2, v5, v3, vcc
	v_ashrrev_i32_e32 v3, 31, v2
	v_lshl_add_u64 v[8:9], v[2:3], 2, s[6:7]
	v_or_b32_e32 v2, 32, v1
	v_add_u32_e32 v3, v2, v4
	v_ashrrev_i32_e32 v3, 4, v3
	v_cmp_gt_i32_e32 vcc, s48, v2
	v_or_b32_e32 v1, 48, v1
	s_nop 0
	v_cndmask_b32_e32 v2, v5, v3, vcc
	v_ashrrev_i32_e32 v3, 31, v2
	v_lshl_add_u64 v[10:11], v[2:3], 2, s[6:7]
	v_add_u32_e32 v2, v1, v4
	v_ashrrev_i32_e32 v2, 4, v2
	v_cmp_gt_i32_e32 vcc, s48, v1
	s_nop 1
	v_cndmask_b32_e32 v2, v5, v2, vcc
	v_ashrrev_i32_e32 v3, 31, v2
	v_lshl_add_u64 v[12:13], v[2:3], 2, s[6:7]
	global_load_dword v4, v[6:7], off
	global_load_dword v3, v[8:9], off
	;; [unrolled: 1-line block ×4, first 2 shown]
	s_andn2_b64 vcc, exec, s[14:15]
	s_cbranch_vccnz .LBB1155_8
; %bb.6:
	s_add_u32 s12, s12, s16
	s_addc_u32 s13, s13, s17
	s_load_dword s14, s[12:13], 0x0
	s_branch .LBB1155_9
.LBB1155_7:
	s_mov_b64 s[8:9], 0
	s_branch .LBB1155_2
.LBB1155_8:
	s_mov_b32 s14, s2
.LBB1155_9:
	s_load_dwordx4 s[44:47], s[0:1], 0x48
	v_and_b32_e32 v42, 15, v0
	s_movk_i32 s12, 0x80
	v_lshlrev_b32_e32 v5, 3, v42
	v_cmp_gt_u32_e32 vcc, s12, v0
	v_cmp_gt_u32_e64 s[30:31], 8, v42
	v_lshrrev_b32_e32 v41, 6, v0
	v_and_b32_e32 v43, 63, v0
	v_bfe_u32 v1, v0, 4, 2
	s_lshl_b32 s29, s4, 3
	s_and_b64 s[16:17], vcc, s[30:31]
	v_lshlrev_b32_e32 v26, 1, v5
	v_lshlrev_b32_e32 v40, 4, v0
	s_and_saveexec_b64 s[12:13], s[16:17]
	s_cbranch_execz .LBB1155_11
; %bb.10:
	s_load_dwordx2 s[16:17], s[0:1], 0x0
	s_waitcnt lgkmcnt(0)
	s_ashr_i32 s15, s44, 31
	s_mul_hi_u32 s19, s14, s44
	s_mul_i32 s15, s14, s15
	s_add_i32 s15, s19, s15
	s_mul_i32 s14, s14, s44
	v_lshl_or_b32 v5, v41, 2, v1
	s_lshl_b64 s[14:15], s[14:15], 1
	s_add_u32 s14, s16, s14
	v_add_lshl_u32 v6, v5, s29, 6
	s_addc_u32 s15, s17, s15
	v_ashrrev_i32_e32 v7, 31, v6
	v_lshl_add_u64 v[6:7], v[6:7], 1, s[14:15]
	v_mov_b32_e32 v27, 0
	v_lshl_add_u64 v[6:7], v[6:7], 0, v[26:27]
	global_load_dwordx4 v[6:9], v[6:7], off
	v_lshlrev_b32_e32 v11, 8, v42
	v_lshlrev_b32_e32 v5, 5, v5
	v_and_b32_e32 v10, 16, v40
	v_and_b32_e32 v11, 0xe00, v11
	v_or3_b32 v5, v11, v5, v10
	s_waitcnt vmcnt(0)
	ds_write_b128 v5, v[6:9]
.LBB1155_11:
	s_or_b64 exec, exec, s[12:13]
	s_waitcnt lgkmcnt(0)
	s_mul_i32 s4, s4, s46
	s_add_u32 s8, s8, s4
	s_addc_u32 s9, s9, 0
	v_and_b32_e32 v8, 48, v0
	v_and_b32_e32 v28, 0xf0, v40
	v_mov_b32_e32 v29, 0
	v_lshl_add_u64 v[6:7], s[8:9], 0, v[28:29]
	v_lshlrev_b32_e32 v28, 4, v8
	v_lshl_add_u64 v[18:19], v[6:7], 0, v[28:29]
	s_waitcnt vmcnt(3)
	v_mad_i64_i32 v[4:5], s[8:9], v4, s45, v[18:19]
	s_load_dword s33, s[0:1], 0x98
	s_load_dwordx4 s[40:43], s[0:1], 0x80
	s_waitcnt lgkmcnt(0)
	s_barrier
	global_load_dwordx4 v[22:25], v[4:5], off
	s_waitcnt vmcnt(3)
	v_mad_i64_i32 v[4:5], s[8:9], v3, s45, v[18:19]
	global_load_dwordx4 v[10:13], v[4:5], off
	v_or_b32_e32 v6, s5, v8
	v_mov_b32_e32 v27, s18
	v_ashrrev_i32_e32 v3, 4, v6
	v_cmp_gt_i32_e32 vcc, s48, v6
	v_and_b32_e32 v7, 7, v0
	v_lshlrev_b32_e32 v7, 5, v7
	v_cndmask_b32_e32 v4, v27, v3, vcc
	v_ashrrev_i32_e32 v5, 31, v4
	v_lshl_add_u64 v[4:5], v[4:5], 2, s[6:7]
	s_waitcnt vmcnt(3)
	v_mad_i64_i32 v[2:3], s[8:9], v2, s45, v[18:19]
	global_load_dword v56, v[4:5], off
	v_lshl_or_b32 v7, v1, 9, v7
	global_load_dwordx4 v[2:5], v[2:3], off
	v_or_b32_e32 v21, 64, v6
	s_waitcnt vmcnt(4)
	v_mad_i64_i32 v[18:19], s[12:13], v20, s45, v[18:19]
	v_or_b32_e32 v31, 0x80, v6
	v_or_b32_e32 v33, 0xc0, v6
	ds_read_b128 v[14:17], v7
	ds_read_b128 v[6:9], v7 offset:16
	v_ashrrev_i32_e32 v30, 4, v21
	v_cmp_gt_i32_e32 vcc, s48, v21
	global_load_dwordx4 v[18:21], v[18:19], off
	v_ashrrev_i32_e32 v32, 4, v31
	v_cndmask_b32_e32 v30, v27, v30, vcc
	v_cmp_gt_i32_e32 vcc, s48, v31
	v_ashrrev_i32_e32 v34, 4, v33
	v_ashrrev_i32_e32 v31, 31, v30
	v_cndmask_b32_e32 v32, v27, v32, vcc
	v_cmp_gt_i32_e32 vcc, s48, v33
	v_ashrrev_i32_e32 v33, 31, v32
	v_lshl_add_u64 v[30:31], v[30:31], 2, s[6:7]
	v_cndmask_b32_e32 v34, v27, v34, vcc
	v_ashrrev_i32_e32 v35, 31, v34
	v_lshl_add_u64 v[34:35], v[34:35], 2, s[6:7]
	s_add_u32 s8, s10, s4
	s_load_dword s4, s[40:41], 0x0
	v_lshl_add_u64 v[36:37], v[32:33], 2, s[6:7]
	global_load_dword v33, v[30:31], off
	global_load_dword v27, v[36:37], off
	;; [unrolled: 1-line block ×3, first 2 shown]
	s_mov_b32 s44, 0x7060302
	s_load_dword s14, s[0:1], 0x1c
	s_mov_b32 s46, 0xff7fffff
	v_lshlrev_b32_e32 v28, 4, v42
	s_addc_u32 s9, s11, 0
	v_lshl_or_b32 v28, v41, 8, v28
	s_waitcnt lgkmcnt(0)
	v_mov_b32_e32 v57, s14
	v_lshl_add_u64 v[28:29], s[8:9], 0, v[28:29]
	s_waitcnt vmcnt(7)
	v_cvt_pk_f32_fp8_e32 v[30:31], v22
	v_cvt_pk_f32_fp8_sdwa v[34:35], v22 src0_sel:WORD_1
	v_cvt_pk_f32_fp8_e32 v[36:37], v23
	v_cvt_pk_f32_fp8_sdwa v[38:39], v23 src0_sel:WORD_1
	v_perm_b32 v30, v31, v30, s44
	v_perm_b32 v31, v35, v34, s44
	s_waitcnt vmcnt(6)
	v_cvt_pk_f32_fp8_e32 v[22:23], v10
	v_cvt_pk_f32_fp8_sdwa v[50:51], v10 src0_sel:WORD_1
	v_cvt_pk_f32_fp8_e32 v[44:45], v24
	v_cvt_pk_f32_fp8_sdwa v[46:47], v24 src0_sel:WORD_1
	v_cvt_pk_f32_fp8_e32 v[48:49], v25
	v_cvt_pk_f32_fp8_sdwa v[52:53], v25 src0_sel:WORD_1
	v_perm_b32 v34, v23, v22, s44
	v_mfma_f32_16x16x16_bf16 v[22:25], v[30:31], v[14:15], 0
	v_perm_b32 v30, v37, v36, s44
	v_perm_b32 v31, v39, v38, s44
	v_cvt_pk_f32_fp8_e32 v[54:55], v11
	v_perm_b32 v35, v51, v50, s44
	v_cvt_pk_f32_fp8_sdwa v[10:11], v11 src0_sel:WORD_1
	v_mfma_f32_16x16x16_bf16 v[22:25], v[30:31], v[16:17], v[22:25]
	v_perm_b32 v50, v55, v54, s44
	v_perm_b32 v51, v11, v10, s44
	;; [unrolled: 1-line block ×4, first 2 shown]
	v_mfma_f32_16x16x16_bf16 v[34:37], v[34:35], v[14:15], 0
	v_cvt_pk_f32_fp8_e32 v[38:39], v12
	v_cvt_pk_f32_fp8_sdwa v[10:11], v12 src0_sel:WORD_1
	v_perm_b32 v44, v49, v48, s44
	v_mfma_f32_16x16x16_bf16 v[34:37], v[50:51], v[16:17], v[34:37]
	v_cvt_pk_f32_fp8_e32 v[50:51], v13
	v_perm_b32 v45, v53, v52, s44
	v_cvt_pk_f32_fp8_sdwa v[12:13], v13 src0_sel:WORD_1
	v_mfma_f32_16x16x16_bf16 v[22:25], v[30:31], v[6:7], v[22:25]
	v_perm_b32 v30, v39, v38, s44
	v_perm_b32 v31, v11, v10, s44
	;; [unrolled: 1-line block ×4, first 2 shown]
	v_mfma_f32_16x16x16_bf16 v[44:47], v[44:45], v[8:9], v[22:25]
	s_waitcnt vmcnt(4)
	v_cvt_pk_f32_fp8_e32 v[12:13], v2
	v_cvt_pk_f32_fp8_sdwa v[48:49], v4 src0_sel:WORD_1
	v_mul_f32_e32 v50, s4, v57
	v_mfma_f32_16x16x16_bf16 v[22:25], v[30:31], v[6:7], v[34:37]
	v_cvt_pk_f32_fp8_sdwa v[30:31], v2 src0_sel:WORD_1
	v_perm_b32 v12, v13, v12, s44
	v_mad_i64_i32 v[10:11], s[6:7], v56, s45, v[28:29]
	v_mfma_f32_16x16x16_bf16 v[36:39], v[38:39], v[8:9], v[22:25]
	v_perm_b32 v13, v31, v30, s44
	v_cvt_pk_f32_fp8_e32 v[34:35], v4
	s_nop 0
	v_cvt_pk_f32_fp8_e32 v[22:23], v3
	v_cvt_pk_f32_fp8_sdwa v[2:3], v3 src0_sel:WORD_1
	v_perm_b32 v30, v23, v22, s44
	v_perm_b32 v31, v3, v2, s44
	v_mfma_f32_16x16x16_bf16 v[22:25], v[12:13], v[14:15], 0
	v_perm_b32 v12, v35, v34, s44
	v_perm_b32 v13, v49, v48, s44
	v_cvt_pk_f32_fp8_e32 v[34:35], v5
	v_cvt_pk_f32_fp8_sdwa v[48:49], v5 src0_sel:WORD_1
	v_mfma_f32_16x16x16_bf16 v[2:5], v[30:31], v[16:17], v[22:25]
	s_waitcnt vmcnt(3)
	v_cvt_pk_f32_fp8_sdwa v[30:31], v20 src0_sel:WORD_1
	s_nop 0
	v_perm_b32 v24, v35, v34, s44
	v_perm_b32 v25, v49, v48, s44
	v_pk_mul_f32 v[22:23], v[50:51], v[46:47] op_sel_hi:[0,1]
	v_mfma_f32_16x16x16_bf16 v[46:49], v[12:13], v[6:7], v[2:5]
	v_cvt_pk_f32_fp8_sdwa v[12:13], v18 src0_sel:WORD_1
	v_pk_mul_f32 v[34:35], v[50:51], v[38:39] op_sel_hi:[0,1]
	v_pk_mul_f32 v[38:39], v[50:51], v[36:37] op_sel_hi:[0,1]
	v_cvt_pk_f32_fp8_e32 v[4:5], v18
	v_pk_mul_f32 v[2:3], v[50:51], v[44:45] op_sel_hi:[0,1]
	v_mfma_f32_16x16x16_bf16 v[44:47], v[24:25], v[8:9], v[46:49]
	v_cvt_pk_f32_fp8_e32 v[24:25], v19
	v_perm_b32 v4, v5, v4, s44
	v_perm_b32 v5, v13, v12, s44
	v_cvt_pk_f32_fp8_sdwa v[12:13], v19 src0_sel:WORD_1
	v_perm_b32 v18, v25, v24, s44
	v_cvt_pk_f32_fp8_e32 v[24:25], v20
	s_nop 0
	v_pk_mul_f32 v[36:37], v[50:51], v[44:45] op_sel_hi:[0,1]
	v_perm_b32 v19, v13, v12, s44
	v_mfma_f32_16x16x16_bf16 v[12:15], v[4:5], v[14:15], 0
	v_perm_b32 v4, v25, v24, s44
	v_perm_b32 v5, v31, v30, s44
	v_cvt_pk_f32_fp8_e32 v[24:25], v21
	v_cvt_pk_f32_fp8_sdwa v[20:21], v21 src0_sel:WORD_1
	v_mfma_f32_16x16x16_bf16 v[12:15], v[18:19], v[16:17], v[12:15]
	v_pk_mul_f32 v[30:31], v[50:51], v[46:47] op_sel_hi:[0,1]
	v_perm_b32 v16, v25, v24, s44
	v_perm_b32 v17, v21, v20, s44
	v_mfma_f32_16x16x16_bf16 v[4:7], v[4:5], v[6:7], v[12:15]
	s_nop 0
	v_mfma_f32_16x16x16_bf16 v[4:7], v[16:17], v[8:9], v[4:7]
	s_nop 6
	v_pk_mul_f32 v[24:25], v[50:51], v[4:5] op_sel_hi:[0,1]
	v_and_b32_e32 v4, 0xc0, v0
	v_add_u32_e32 v4, s5, v4
	v_lshl_or_b32 v4, v1, 2, v4
	v_pk_mul_f32 v[18:19], v[50:51], v[6:7] op_sel_hi:[0,1]
	v_or_b32_e32 v7, 1, v4
	v_mov_b32_e32 v5, 0xff7fffff
	v_cmp_gt_i32_e64 s[4:5], s48, v4
	v_cmp_gt_i32_e64 s[34:35], s48, v7
	v_or_b32_e32 v8, 3, v4
	v_cndmask_b32_e64 v6, v5, v2, s[4:5]
	v_cndmask_b32_e64 v7, v5, v3, s[34:35]
	v_max3_f32 v6, v6, s46, v7
	v_or_b32_e32 v7, 2, v4
	v_cmp_gt_i32_e64 s[36:37], s48, v7
	v_cmp_gt_i32_e64 s[38:39], s48, v8
	s_nop 0
	v_cndmask_b32_e64 v7, v5, v22, s[36:37]
	v_cndmask_b32_e64 v8, v5, v23, s[38:39]
	v_max3_f32 v6, v6, v7, v8
	v_or_b32_e32 v7, 16, v4
	v_or_b32_e32 v8, 17, v4
	v_cmp_gt_i32_e64 s[24:25], s48, v7
	v_cmp_gt_i32_e64 s[26:27], s48, v8
	s_nop 0
	v_cndmask_b32_e64 v7, v5, v38, s[24:25]
	v_cndmask_b32_e64 v8, v5, v39, s[26:27]
	v_max3_f32 v6, v6, v7, v8
	v_or_b32_e32 v7, 18, v4
	;; [unrolled: 8-line block ×6, first 2 shown]
	v_or_b32_e32 v4, 51, v4
	v_cmp_gt_i32_e32 vcc, s48, v7
	v_cmp_gt_i32_e64 s[6:7], s48, v4
	s_nop 0
	v_cndmask_b32_e32 v7, v5, v18, vcc
	v_cndmask_b32_e64 v4, v5, v19, s[6:7]
	v_max3_f32 v6, v6, v7, v4
	v_mbcnt_lo_u32_b32 v4, -1, 0
	v_mbcnt_hi_u32_b32 v7, -1, v4
	v_and_b32_e32 v4, 64, v7
	v_add_u32_e32 v8, 64, v4
	v_xor_b32_e32 v4, 32, v7
	v_cmp_lt_i32_e64 s[40:41], v4, v8
	s_nop 1
	v_cndmask_b32_e64 v4, v7, v4, s[40:41]
	v_lshlrev_b32_e32 v44, 2, v4
	ds_bpermute_b32 v9, v44, v6
	s_waitcnt vmcnt(2)
	v_mad_i64_i32 v[4:5], s[40:41], v33, s45, v[28:29]
	global_load_dwordx4 v[14:17], v[10:11], off
	s_nop 0
	global_load_dwordx4 v[10:13], v[4:5], off
	v_xor_b32_e32 v5, 16, v7
	v_cmp_lt_i32_e64 s[40:41], v5, v8
	s_waitcnt lgkmcnt(0)
	v_max_f32_e32 v4, v9, v9
	v_max_f32_e32 v4, v6, v4
	v_cndmask_b32_e64 v5, v7, v5, s[40:41]
	v_lshlrev_b32_e32 v45, 2, v5
	ds_bpermute_b32 v5, v45, v4
	s_waitcnt vmcnt(3)
	v_mad_i64_i32 v[20:21], s[40:41], v27, s45, v[28:29]
	s_waitcnt vmcnt(2)
	v_mad_i64_i32 v[28:29], s[40:41], v32, s45, v[28:29]
	s_waitcnt lgkmcnt(0)
	v_max_f32_e32 v5, v5, v5
	v_max_f32_e32 v27, v4, v5
	v_sub_f32_e32 v2, v2, v27
	v_mul_f32_e32 v2, 0x3fb8aa3b, v2
	v_exp_f32_e32 v32, v2
	v_sub_f32_e32 v2, v3, v27
	v_mul_f32_e32 v2, 0x3fb8aa3b, v2
	v_exp_f32_e32 v33, v2
	global_load_dwordx4 v[6:9], v[20:21], off
	global_load_dwordx4 v[2:5], v[28:29], off
	v_sub_f32_e32 v22, v22, v27
	v_mul_f32_e32 v22, 0x3fb8aa3b, v22
	v_sub_f32_e32 v23, v23, v27
	v_exp_f32_e32 v22, v22
	v_mul_f32_e32 v23, 0x3fb8aa3b, v23
	v_exp_f32_e32 v23, v23
	v_cndmask_b32_e64 v20, 0, v32, s[4:5]
	v_add_f32_e32 v28, 0, v20
	v_cndmask_b32_e64 v21, 0, v33, s[34:35]
	v_add_f32_e32 v28, v28, v21
	;; [unrolled: 2-line block ×3, first 2 shown]
	v_cndmask_b32_e64 v33, 0, v23, s[38:39]
	v_sub_f32_e32 v23, v38, v27
	v_sub_f32_e32 v28, v39, v27
	v_mul_f32_e32 v23, 0x3fb8aa3b, v23
	v_mul_f32_e32 v28, 0x3fb8aa3b, v28
	v_exp_f32_e32 v23, v23
	v_exp_f32_e32 v28, v28
	v_add_f32_e32 v29, v22, v33
	v_sub_f32_e32 v30, v30, v27
	v_cndmask_b32_e64 v22, 0, v23, s[24:25]
	v_cndmask_b32_e64 v23, 0, v28, s[26:27]
	v_sub_f32_e32 v28, v34, v27
	v_mul_f32_e32 v28, 0x3fb8aa3b, v28
	v_exp_f32_e32 v28, v28
	v_sub_f32_e32 v34, v35, v27
	v_add_f32_e32 v29, v29, v22
	v_mul_f32_e32 v34, 0x3fb8aa3b, v34
	v_exp_f32_e32 v35, v34
	v_add_f32_e32 v29, v29, v23
	v_cndmask_b32_e64 v34, 0, v28, s[20:21]
	v_add_f32_e32 v28, v29, v34
	v_sub_f32_e32 v29, v36, v27
	v_mul_f32_e32 v29, 0x3fb8aa3b, v29
	v_sub_f32_e32 v36, v37, v27
	v_exp_f32_e32 v29, v29
	v_mul_f32_e32 v36, 0x3fb8aa3b, v36
	v_exp_f32_e32 v36, v36
	v_mul_f32_e32 v30, 0x3fb8aa3b, v30
	v_sub_f32_e32 v31, v31, v27
	v_exp_f32_e32 v30, v30
	v_mul_f32_e32 v31, 0x3fb8aa3b, v31
	v_sub_f32_e32 v24, v24, v27
	v_cndmask_b32_e64 v35, 0, v35, s[22:23]
	v_exp_f32_e32 v31, v31
	v_mul_f32_e32 v24, 0x3fb8aa3b, v24
	v_sub_f32_e32 v25, v25, v27
	v_add_f32_e32 v37, v28, v35
	v_cndmask_b32_e64 v28, 0, v29, s[16:17]
	v_exp_f32_e32 v24, v24
	v_mul_f32_e32 v25, 0x3fb8aa3b, v25
	v_sub_f32_e32 v18, v18, v27
	v_add_f32_e32 v37, v37, v28
	v_cndmask_b32_e64 v29, 0, v36, s[18:19]
	v_exp_f32_e32 v25, v25
	v_mul_f32_e32 v18, 0x3fb8aa3b, v18
	v_sub_f32_e32 v19, v19, v27
	v_add_f32_e32 v36, v37, v29
	v_cndmask_b32_e64 v30, 0, v30, s[12:13]
	v_exp_f32_e32 v18, v18
	v_mul_f32_e32 v19, 0x3fb8aa3b, v19
	v_add_f32_e32 v36, v36, v30
	v_cndmask_b32_e64 v31, 0, v31, s[14:15]
	v_exp_f32_e32 v19, v19
	v_add_f32_e32 v36, v36, v31
	v_cndmask_b32_e64 v24, 0, v24, s[8:9]
	v_add_f32_e32 v36, v36, v24
	v_cndmask_b32_e64 v25, 0, v25, s[10:11]
	v_add_f32_e32 v36, v36, v25
	v_cndmask_b32_e32 v18, 0, v18, vcc
	v_add_f32_e32 v36, v36, v18
	v_cndmask_b32_e64 v19, 0, v19, s[6:7]
	v_add_f32_e32 v36, v36, v19
	ds_bpermute_b32 v37, v44, v36
	v_cmp_gt_u32_e32 vcc, 16, v43
	s_waitcnt lgkmcnt(0)
	s_barrier
	v_add_f32_e32 v37, v36, v37
	ds_bpermute_b32 v38, v45, v37
	v_lshlrev_b32_e32 v36, 2, v42
	s_and_saveexec_b64 s[4:5], vcc
	s_cbranch_execz .LBB1155_13
; %bb.12:
	s_waitcnt lgkmcnt(0)
	v_add_f32_e32 v37, v37, v38
	v_lshl_or_b32 v38, v41, 6, v36
	ds_write2st64_b32 v38, v27, v37 offset1:1
.LBB1155_13:
	s_or_b64 exec, exec, s[4:5]
	s_load_dword s6, s[0:1], 0x94
	s_waitcnt lgkmcnt(0)
	s_barrier
	ds_read2_b32 v[38:39], v36 offset1:16
	ds_read2_b32 v[44:45], v36 offset0:32 offset1:48
	ds_read2_b32 v[46:47], v36 offset0:64 offset1:80
	s_movk_i32 s8, 0x7fff
	s_lshl_b32 s7, s33, 3
	s_waitcnt lgkmcnt(2)
	v_max3_f32 v27, v38, s46, v39
	s_waitcnt lgkmcnt(1)
	v_max3_f32 v27, v27, v44, v45
	v_sub_f32_e32 v37, v38, v27
	v_sub_f32_e32 v38, v39, v27
	v_mul_f32_e32 v38, 0x3fb8aa3b, v38
	v_mul_f32_e32 v37, 0x3fb8aa3b, v37
	v_exp_f32_e32 v43, v38
	v_sub_f32_e32 v38, v44, v27
	v_exp_f32_e32 v37, v37
	v_mul_f32_e32 v38, 0x3fb8aa3b, v38
	v_exp_f32_e32 v44, v38
	ds_read2_b32 v[38:39], v36 offset0:96 offset1:112
	v_sub_f32_e32 v36, v45, v27
	v_mul_f32_e32 v36, 0x3fb8aa3b, v36
	v_exp_f32_e32 v45, v36
	s_waitcnt lgkmcnt(1)
	v_fma_f32 v36, v37, v46, 0
	v_fmac_f32_e32 v36, v43, v47
	s_waitcnt lgkmcnt(0)
	v_fmac_f32_e32 v36, v44, v38
	v_fmac_f32_e32 v36, v45, v39
	v_add_f32_e32 v38, 0x358637bd, v36
	v_div_scale_f32 v39, s[4:5], v38, v38, 1.0
	v_rcp_f32_e32 v46, v39
	s_barrier
	v_fma_f32 v47, -v39, v46, 1.0
	v_fmac_f32_e32 v46, v47, v46
	v_div_scale_f32 v47, vcc, 1.0, v38, 1.0
	v_mul_f32_e32 v48, v47, v46
	v_fma_f32 v49, -v39, v48, v47
	v_fmac_f32_e32 v48, v49, v46
	v_fma_f32 v39, -v39, v48, v47
	v_div_fmas_f32 v39, v39, v46, v48
	v_cmp_eq_u32_e32 vcc, 1, v41
	v_div_fixup_f32 v38, v39, v38, 1.0
	s_nop 0
	v_cndmask_b32_e32 v37, v37, v43, vcc
	v_cmp_eq_u32_e32 vcc, 2, v41
	s_nop 1
	v_cndmask_b32_e32 v37, v37, v44, vcc
	v_cmp_eq_u32_e32 vcc, 3, v41
	s_nop 1
	v_cndmask_b32_e32 v37, v37, v45, vcc
	v_mul_f32_e32 v38, v37, v38
	v_pk_mul_f32 v[20:21], v[38:39], v[20:21] op_sel_hi:[0,1]
	v_pk_mul_f32 v[32:33], v[38:39], v[32:33] op_sel_hi:[0,1]
	v_bfe_u32 v37, v21, 16, 1
	v_bfe_u32 v39, v20, 16, 1
	v_add3_u32 v20, v20, v39, s8
	v_add3_u32 v21, v21, v37, s8
	v_perm_b32 v44, v21, v20, s44
	v_bfe_u32 v20, v33, 16, 1
	v_bfe_u32 v21, v32, 16, 1
	v_add3_u32 v21, v32, v21, s8
	v_add3_u32 v20, v33, v20, s8
	v_perm_b32 v45, v20, v21, s44
	v_lshlrev_b32_e32 v20, 3, v1
	v_lshlrev_b32_e32 v21, 5, v42
	;; [unrolled: 1-line block ×3, first 2 shown]
	v_pk_mul_f32 v[22:23], v[38:39], v[22:23] op_sel_hi:[0,1]
	v_or3_b32 v20, v32, v21, v20
	v_pk_mul_f32 v[32:33], v[38:39], v[34:35] op_sel_hi:[0,1]
	v_bfe_u32 v34, v23, 16, 1
	v_bfe_u32 v35, v22, 16, 1
	v_add3_u32 v22, v22, v35, s8
	v_add3_u32 v23, v23, v34, s8
	v_perm_b32 v22, v23, v22, s44
	v_bfe_u32 v23, v33, 16, 1
	v_bfe_u32 v34, v32, 16, 1
	v_add3_u32 v32, v32, v34, s8
	v_add3_u32 v23, v33, v23, s8
	v_perm_b32 v23, v23, v32, s44
	v_pk_mul_f32 v[28:29], v[38:39], v[28:29] op_sel_hi:[0,1]
	ds_write2st64_b64 v20, v[44:45], v[22:23] offset1:1
	v_pk_mul_f32 v[22:23], v[38:39], v[30:31] op_sel_hi:[0,1]
	v_bfe_u32 v30, v29, 16, 1
	v_bfe_u32 v31, v28, 16, 1
	v_add3_u32 v28, v28, v31, s8
	v_add3_u32 v29, v29, v30, s8
	v_perm_b32 v28, v29, v28, s44
	v_bfe_u32 v29, v23, 16, 1
	v_bfe_u32 v30, v22, 16, 1
	v_add3_u32 v22, v22, v30, s8
	v_add3_u32 v23, v23, v29, s8
	v_perm_b32 v29, v23, v22, s44
	v_pk_mul_f32 v[22:23], v[38:39], v[24:25] op_sel_hi:[0,1]
	v_bfe_u32 v24, v23, 16, 1
	v_bfe_u32 v25, v22, 16, 1
	v_pk_mul_f32 v[18:19], v[38:39], v[18:19] op_sel_hi:[0,1]
	v_add3_u32 v22, v22, v25, s8
	v_add3_u32 v23, v23, v24, s8
	v_perm_b32 v22, v23, v22, s44
	v_bfe_u32 v23, v19, 16, 1
	v_bfe_u32 v24, v18, 16, 1
	v_add3_u32 v18, v18, v24, s8
	v_add3_u32 v19, v19, v23, s8
	v_perm_b32 v23, v19, v18, s44
	v_cmp_gt_u32_e32 vcc, 8, v0
	ds_write2st64_b64 v20, v[28:29], v[22:23] offset0:2 offset1:3
	s_and_saveexec_b64 s[4:5], vcc
	s_cbranch_execz .LBB1155_15
; %bb.14:
	v_or_b32_e32 v18, s29, v0
	v_mov_b32_e32 v19, 0
	v_mov_b32_e32 v22, s7
	v_mad_u64_u32 v[22:23], s[10:11], s2, v22, v[18:19]
	v_mov_b32_e32 v18, s28
	s_load_dwordx4 s[12:15], s[0:1], 0x58
	s_mul_i32 s3, s3, s7
	v_mad_u64_u32 v[18:19], s[10:11], v22, s6, v[18:19]
	v_add_u32_e32 v23, s3, v23
	v_mov_b32_e32 v22, v19
	v_mad_u64_u32 v[22:23], s[10:11], v23, s6, v[22:23]
	v_mov_b32_e32 v19, v22
	v_lshlrev_b64 v[18:19], 2, v[18:19]
	s_waitcnt lgkmcnt(0)
	v_lshl_add_u64 v[22:23], s[14:15], 0, v[18:19]
	v_lshl_add_u64 v[18:19], s[12:13], 0, v[18:19]
	global_store_dword v[22:23], v27, off
	global_store_dword v[18:19], v36, off
.LBB1155_15:
	s_or_b64 exec, exec, s[4:5]
	s_waitcnt vmcnt(3)
	v_cvt_pk_f32_fp8_e32 v[18:19], v14
	v_cvt_pk_f32_fp8_sdwa v[22:23], v14 src0_sel:WORD_1
	s_mov_b32 s4, 0x7060302
	v_lshl_or_b32 v14, v1, 9, v21
	s_waitcnt lgkmcnt(0)
	s_barrier
	v_perm_b32 v18, v19, v18, s4
	v_perm_b32 v19, v23, v22, s4
	v_cvt_pk_f32_fp8_e32 v[28:29], v15
	ds_read_b128 v[22:25], v14
	v_cvt_pk_f32_fp8_sdwa v[36:37], v15 src0_sel:WORD_1
	s_load_dword s10, s[42:43], 0x0
	v_perm_b32 v38, v29, v28, s4
	ds_read_b128 v[28:31], v14 offset:16
	v_perm_b32 v39, v37, v36, s4
	s_waitcnt lgkmcnt(0)
	v_mfma_f32_16x16x16_bf16 v[32:35], v[18:19], v[22:23], 0
	v_cvt_pk_f32_fp8_e32 v[18:19], v16
	v_cvt_pk_f32_fp8_sdwa v[36:37], v16 src0_sel:WORD_1
	v_cmp_gt_u32_e32 vcc, 64, v0
	v_mfma_f32_16x16x16_bf16 v[22:25], v[38:39], v[24:25], v[32:35]
	v_perm_b32 v18, v19, v18, s4
	v_perm_b32 v19, v37, v36, s4
	s_waitcnt vmcnt(2)
	v_cvt_pk_f32_fp8_sdwa v[36:37], v10 src0_sel:WORD_1
	v_cvt_pk_f32_fp8_e32 v[32:33], v17
	v_cvt_pk_f32_fp8_sdwa v[16:17], v17 src0_sel:WORD_1
	v_cvt_pk_f32_fp8_e32 v[34:35], v10
	s_mov_b32 s3, 0
	v_perm_b32 v32, v33, v32, s4
	v_perm_b32 v33, v17, v16, s4
	v_mfma_f32_16x16x16_bf16 v[16:19], v[18:19], v[28:29], v[22:25]
	v_perm_b32 v34, v35, v34, s4
	v_perm_b32 v35, v37, v36, s4
	v_cvt_pk_f32_fp8_e32 v[28:29], v11
	ds_read_b128 v[22:25], v14 offset:2048
	v_cvt_pk_f32_fp8_sdwa v[10:11], v11 src0_sel:WORD_1
	v_mfma_f32_16x16x16_bf16 v[16:19], v[32:33], v[30:31], v[16:19]
	v_perm_b32 v32, v29, v28, s4
	ds_read_b128 v[28:31], v14 offset:2064
	v_perm_b32 v33, v11, v10, s4
	s_waitcnt lgkmcnt(1)
	v_mfma_f32_16x16x16_bf16 v[16:19], v[34:35], v[22:23], v[16:19]
	v_cvt_pk_f32_fp8_e32 v[10:11], v12
	v_cvt_pk_f32_fp8_sdwa v[22:23], v12 src0_sel:WORD_1
	v_mov_b32_e32 v27, 0
	v_mfma_f32_16x16x16_bf16 v[16:19], v[32:33], v[24:25], v[16:19]
	v_cvt_pk_f32_fp8_e32 v[24:25], v13
	v_perm_b32 v10, v11, v10, s4
	v_perm_b32 v11, v23, v22, s4
	v_cvt_pk_f32_fp8_sdwa v[12:13], v13 src0_sel:WORD_1
	v_perm_b32 v22, v25, v24, s4
	s_waitcnt vmcnt(1)
	v_cvt_pk_f32_fp8_e32 v[24:25], v6
	v_cvt_pk_f32_fp8_sdwa v[32:33], v6 src0_sel:WORD_1
	v_perm_b32 v23, v13, v12, s4
	s_waitcnt lgkmcnt(0)
	v_mfma_f32_16x16x16_bf16 v[10:13], v[10:11], v[28:29], v[16:19]
	v_perm_b32 v28, v25, v24, s4
	v_perm_b32 v29, v33, v32, s4
	v_cvt_pk_f32_fp8_e32 v[24:25], v7
	ds_read_b128 v[16:19], v14 offset:4096
	v_cvt_pk_f32_fp8_sdwa v[6:7], v7 src0_sel:WORD_1
	v_mfma_f32_16x16x16_bf16 v[10:13], v[22:23], v[30:31], v[10:13]
	v_perm_b32 v30, v25, v24, s4
	ds_read_b128 v[22:25], v14 offset:4112
	v_perm_b32 v31, v7, v6, s4
	s_waitcnt lgkmcnt(1)
	v_mfma_f32_16x16x16_bf16 v[10:13], v[28:29], v[16:17], v[10:13]
	v_cvt_pk_f32_fp8_e32 v[6:7], v8
	v_cvt_pk_f32_fp8_sdwa v[16:17], v8 src0_sel:WORD_1
	s_waitcnt vmcnt(0)
	v_cvt_pk_f32_fp8_sdwa v[28:29], v2 src0_sel:WORD_1
	v_mfma_f32_16x16x16_bf16 v[10:13], v[30:31], v[18:19], v[10:13]
	v_cvt_pk_f32_fp8_e32 v[18:19], v9
	v_perm_b32 v6, v7, v6, s4
	v_perm_b32 v7, v17, v16, s4
	v_cvt_pk_f32_fp8_sdwa v[8:9], v9 src0_sel:WORD_1
	v_perm_b32 v16, v19, v18, s4
	v_cvt_pk_f32_fp8_e32 v[18:19], v2
	v_perm_b32 v17, v9, v8, s4
	s_waitcnt lgkmcnt(0)
	v_mfma_f32_16x16x16_bf16 v[6:9], v[6:7], v[22:23], v[10:13]
	v_perm_b32 v18, v19, v18, s4
	v_perm_b32 v19, v29, v28, s4
	v_cvt_pk_f32_fp8_e32 v[22:23], v3
	ds_read_b128 v[10:13], v14 offset:6144
	v_cvt_pk_f32_fp8_sdwa v[2:3], v3 src0_sel:WORD_1
	v_mfma_f32_16x16x16_bf16 v[6:9], v[16:17], v[24:25], v[6:9]
	v_perm_b32 v22, v23, v22, s4
	ds_read_b128 v[14:17], v14 offset:6160
	v_perm_b32 v23, v3, v2, s4
	s_waitcnt lgkmcnt(1)
	v_mfma_f32_16x16x16_bf16 v[6:9], v[18:19], v[10:11], v[6:9]
	v_cvt_pk_f32_fp8_e32 v[2:3], v4
	v_cvt_pk_f32_fp8_sdwa v[10:11], v4 src0_sel:WORD_1
	s_waitcnt lgkmcnt(0)
	v_mfma_f32_16x16x16_bf16 v[6:9], v[22:23], v[12:13], v[6:9]
	v_perm_b32 v2, v3, v2, s4
	v_perm_b32 v3, v11, v10, s4
	v_cvt_pk_f32_fp8_e32 v[10:11], v5
	v_cvt_pk_f32_fp8_sdwa v[4:5], v5 src0_sel:WORD_1
	s_barrier
	v_perm_b32 v10, v11, v10, s4
	v_perm_b32 v11, v5, v4, s4
	v_mfma_f32_16x16x16_bf16 v[2:5], v[2:3], v[14:15], v[6:9]
	s_nop 0
	v_mfma_f32_16x16x16_bf16 v[2:5], v[10:11], v[16:17], v[2:5]
	s_nop 6
	v_pk_mul_f32 v[2:3], v[2:3], s[10:11] op_sel_hi:[1,0]
	v_pk_mul_f32 v[4:5], v[4:5], s[10:11] op_sel_hi:[1,0]
	v_bfe_u32 v6, v3, 16, 1
	v_bfe_u32 v7, v2, 16, 1
	v_add3_u32 v2, v2, v7, s8
	v_add3_u32 v3, v3, v6, s8
	v_perm_b32 v2, v3, v2, s4
	v_bfe_u32 v3, v5, 16, 1
	v_bfe_u32 v6, v4, 16, 1
	v_add3_u32 v4, v4, v6, s8
	v_add3_u32 v3, v5, v3, s8
	v_perm_b32 v3, v3, v4, s4
	s_and_b64 s[4:5], vcc, s[30:31]
	ds_write_b64 v20, v[2:3]
	s_waitcnt lgkmcnt(0)
	s_barrier
	s_and_saveexec_b64 s[8:9], s[4:5]
	s_cbranch_execz .LBB1155_17
; %bb.16:
	s_load_dwordx2 s[0:1], s[0:1], 0x68
	s_lshl_b32 s6, s6, 6
	s_mul_i32 s2, s7, s2
	s_mul_hi_u32 s5, s2, s6
	s_mul_i32 s4, s2, s6
	s_lshl_b64 s[4:5], s[4:5], 1
	v_lshlrev_b32_e32 v0, 10, v0
	s_waitcnt lgkmcnt(0)
	s_add_u32 s4, s0, s4
	v_and_b32_e32 v0, 0x1800, v0
	v_lshlrev_b32_e32 v2, 5, v1
	v_and_b32_e32 v3, 16, v40
	s_addc_u32 s5, s1, s5
	s_lshl_b32 s2, s28, 6
	v_or3_b32 v0, v0, v2, v3
	s_lshl_b64 s[0:1], s[2:3], 1
	ds_read_b128 v[2:5], v0
	ds_read_b128 v[6:9], v0 offset:128
	s_add_u32 s0, s4, s0
	s_addc_u32 s1, s5, s1
	v_or_b32_e32 v12, s29, v1
	v_lshl_add_u64 v[10:11], s[0:1], 0, v[26:27]
	v_mad_u64_u32 v[0:1], s[0:1], v12, s6, 0
	v_lshl_add_u64 v[0:1], v[0:1], 1, v[10:11]
	s_waitcnt lgkmcnt(1)
	global_store_dwordx4 v[0:1], v[2:5], off
	v_or_b32_e32 v0, 4, v12
	v_mad_u64_u32 v[0:1], s[0:1], v0, s6, 0
	v_lshl_add_u64 v[0:1], v[0:1], 1, v[10:11]
	s_waitcnt lgkmcnt(0)
	global_store_dwordx4 v[0:1], v[6:9], off
.LBB1155_17:
	s_endpgm
	.section	.rodata,"a",@progbits
	.p2align	6, 0x0
	.amdhsa_kernel _Z39paged_attention_ll4mi_QKV_mfma16_kernelI14__hip_bfloat16hLN4vllm18Fp8KVCacheDataTypeE1ES0_Li16ELi64ELi256ELb0ELi8EEvPKT_PKT0_S8_ifPKiSA_SA_iPKfiiiPfSD_PS3_PT2_iSC_SC_
		.amdhsa_group_segment_fixed_size 8192
		.amdhsa_private_segment_fixed_size 0
		.amdhsa_kernarg_size 400
		.amdhsa_user_sgpr_count 2
		.amdhsa_user_sgpr_dispatch_ptr 0
		.amdhsa_user_sgpr_queue_ptr 0
		.amdhsa_user_sgpr_kernarg_segment_ptr 1
		.amdhsa_user_sgpr_dispatch_id 0
		.amdhsa_user_sgpr_kernarg_preload_length 0
		.amdhsa_user_sgpr_kernarg_preload_offset 0
		.amdhsa_user_sgpr_private_segment_size 0
		.amdhsa_uses_dynamic_stack 0
		.amdhsa_enable_private_segment 0
		.amdhsa_system_sgpr_workgroup_id_x 1
		.amdhsa_system_sgpr_workgroup_id_y 1
		.amdhsa_system_sgpr_workgroup_id_z 1
		.amdhsa_system_sgpr_workgroup_info 0
		.amdhsa_system_vgpr_workitem_id 0
		.amdhsa_next_free_vgpr 58
		.amdhsa_next_free_sgpr 49
		.amdhsa_accum_offset 60
		.amdhsa_reserve_vcc 1
		.amdhsa_float_round_mode_32 0
		.amdhsa_float_round_mode_16_64 0
		.amdhsa_float_denorm_mode_32 3
		.amdhsa_float_denorm_mode_16_64 3
		.amdhsa_dx10_clamp 1
		.amdhsa_ieee_mode 1
		.amdhsa_fp16_overflow 0
		.amdhsa_tg_split 0
		.amdhsa_exception_fp_ieee_invalid_op 0
		.amdhsa_exception_fp_denorm_src 0
		.amdhsa_exception_fp_ieee_div_zero 0
		.amdhsa_exception_fp_ieee_overflow 0
		.amdhsa_exception_fp_ieee_underflow 0
		.amdhsa_exception_fp_ieee_inexact 0
		.amdhsa_exception_int_div_zero 0
	.end_amdhsa_kernel
	.section	.text._Z39paged_attention_ll4mi_QKV_mfma16_kernelI14__hip_bfloat16hLN4vllm18Fp8KVCacheDataTypeE1ES0_Li16ELi64ELi256ELb0ELi8EEvPKT_PKT0_S8_ifPKiSA_SA_iPKfiiiPfSD_PS3_PT2_iSC_SC_,"axG",@progbits,_Z39paged_attention_ll4mi_QKV_mfma16_kernelI14__hip_bfloat16hLN4vllm18Fp8KVCacheDataTypeE1ES0_Li16ELi64ELi256ELb0ELi8EEvPKT_PKT0_S8_ifPKiSA_SA_iPKfiiiPfSD_PS3_PT2_iSC_SC_,comdat
.Lfunc_end1155:
	.size	_Z39paged_attention_ll4mi_QKV_mfma16_kernelI14__hip_bfloat16hLN4vllm18Fp8KVCacheDataTypeE1ES0_Li16ELi64ELi256ELb0ELi8EEvPKT_PKT0_S8_ifPKiSA_SA_iPKfiiiPfSD_PS3_PT2_iSC_SC_, .Lfunc_end1155-_Z39paged_attention_ll4mi_QKV_mfma16_kernelI14__hip_bfloat16hLN4vllm18Fp8KVCacheDataTypeE1ES0_Li16ELi64ELi256ELb0ELi8EEvPKT_PKT0_S8_ifPKiSA_SA_iPKfiiiPfSD_PS3_PT2_iSC_SC_
                                        ; -- End function
	.section	.AMDGPU.csdata,"",@progbits
; Kernel info:
; codeLenInByte = 4800
; NumSgprs: 55
; NumVgprs: 58
; NumAgprs: 0
; TotalNumVgprs: 58
; ScratchSize: 0
; MemoryBound: 0
; FloatMode: 240
; IeeeMode: 1
; LDSByteSize: 8192 bytes/workgroup (compile time only)
; SGPRBlocks: 6
; VGPRBlocks: 7
; NumSGPRsForWavesPerEU: 55
; NumVGPRsForWavesPerEU: 58
; AccumOffset: 60
; Occupancy: 8
; WaveLimiterHint : 1
; COMPUTE_PGM_RSRC2:SCRATCH_EN: 0
; COMPUTE_PGM_RSRC2:USER_SGPR: 2
; COMPUTE_PGM_RSRC2:TRAP_HANDLER: 0
; COMPUTE_PGM_RSRC2:TGID_X_EN: 1
; COMPUTE_PGM_RSRC2:TGID_Y_EN: 1
; COMPUTE_PGM_RSRC2:TGID_Z_EN: 1
; COMPUTE_PGM_RSRC2:TIDIG_COMP_CNT: 0
; COMPUTE_PGM_RSRC3_GFX90A:ACCUM_OFFSET: 14
; COMPUTE_PGM_RSRC3_GFX90A:TG_SPLIT: 0
	.section	.text._Z39paged_attention_ll4mi_QKV_mfma16_kernelI14__hip_bfloat16hLN4vllm18Fp8KVCacheDataTypeE1ES0_Li16ELi64ELi256ELb0ELi9EEvPKT_PKT0_S8_ifPKiSA_SA_iPKfiiiPfSD_PS3_PT2_iSC_SC_,"axG",@progbits,_Z39paged_attention_ll4mi_QKV_mfma16_kernelI14__hip_bfloat16hLN4vllm18Fp8KVCacheDataTypeE1ES0_Li16ELi64ELi256ELb0ELi9EEvPKT_PKT0_S8_ifPKiSA_SA_iPKfiiiPfSD_PS3_PT2_iSC_SC_,comdat
	.protected	_Z39paged_attention_ll4mi_QKV_mfma16_kernelI14__hip_bfloat16hLN4vllm18Fp8KVCacheDataTypeE1ES0_Li16ELi64ELi256ELb0ELi9EEvPKT_PKT0_S8_ifPKiSA_SA_iPKfiiiPfSD_PS3_PT2_iSC_SC_ ; -- Begin function _Z39paged_attention_ll4mi_QKV_mfma16_kernelI14__hip_bfloat16hLN4vllm18Fp8KVCacheDataTypeE1ES0_Li16ELi64ELi256ELb0ELi9EEvPKT_PKT0_S8_ifPKiSA_SA_iPKfiiiPfSD_PS3_PT2_iSC_SC_
	.globl	_Z39paged_attention_ll4mi_QKV_mfma16_kernelI14__hip_bfloat16hLN4vllm18Fp8KVCacheDataTypeE1ES0_Li16ELi64ELi256ELb0ELi9EEvPKT_PKT0_S8_ifPKiSA_SA_iPKfiiiPfSD_PS3_PT2_iSC_SC_
	.p2align	8
	.type	_Z39paged_attention_ll4mi_QKV_mfma16_kernelI14__hip_bfloat16hLN4vllm18Fp8KVCacheDataTypeE1ES0_Li16ELi64ELi256ELb0ELi9EEvPKT_PKT0_S8_ifPKiSA_SA_iPKfiiiPfSD_PS3_PT2_iSC_SC_,@function
_Z39paged_attention_ll4mi_QKV_mfma16_kernelI14__hip_bfloat16hLN4vllm18Fp8KVCacheDataTypeE1ES0_Li16ELi64ELi256ELb0ELi9EEvPKT_PKT0_S8_ifPKiSA_SA_iPKfiiiPfSD_PS3_PT2_iSC_SC_: ; @_Z39paged_attention_ll4mi_QKV_mfma16_kernelI14__hip_bfloat16hLN4vllm18Fp8KVCacheDataTypeE1ES0_Li16ELi64ELi256ELb0ELi9EEvPKT_PKT0_S8_ifPKiSA_SA_iPKfiiiPfSD_PS3_PT2_iSC_SC_
; %bb.0:
	s_load_dwordx2 s[12:13], s[0:1], 0x30
	s_mov_b32 s28, s3
	s_mov_b64 s[6:7], 0
	s_waitcnt lgkmcnt(0)
	s_cmp_lg_u64 s[12:13], 0
	s_cselect_b64 s[14:15], -1, 0
	s_and_b64 vcc, exec, s[14:15]
	s_cbranch_vccz .LBB1156_7
; %bb.1:
	s_add_i32 s8, s2, 1
	s_mov_b32 s9, 0
	s_lshl_b64 s[10:11], s[8:9], 2
	s_add_u32 s10, s12, s10
	s_mov_b32 s3, s9
	s_addc_u32 s11, s13, s11
	s_lshl_b64 s[8:9], s[2:3], 2
	s_add_u32 s8, s12, s8
	s_addc_u32 s9, s13, s9
	s_load_dword s5, s[10:11], 0x0
	s_load_dword s16, s[8:9], 0x0
	s_waitcnt lgkmcnt(0)
	s_sub_i32 s5, s5, s16
	s_cmp_eq_u32 s5, 1
	s_cselect_b64 s[8:9], -1, 0
	s_andn2_b64 vcc, exec, s[6:7]
	s_cbranch_vccnz .LBB1156_3
.LBB1156_2:
	s_mov_b32 s3, 0
	s_mov_b64 s[8:9], -1
.LBB1156_3:
	s_andn2_b64 vcc, exec, s[8:9]
	s_cbranch_vccnz .LBB1156_18
; %bb.4:
	s_load_dwordx2 s[6:7], s[0:1], 0x28
	s_lshl_b64 s[16:17], s[2:3], 2
	s_waitcnt lgkmcnt(0)
	s_add_u32 s6, s6, s16
	s_addc_u32 s7, s7, s17
	s_load_dword s33, s[6:7], 0x0
	s_lshl_b32 s5, s28, 8
	s_waitcnt lgkmcnt(0)
	s_cmp_ge_i32 s5, s33
	s_cbranch_scc1 .LBB1156_18
; %bb.5:
	s_load_dwordx2 s[6:7], s[0:1], 0x20
	s_load_dword s8, s[0:1], 0x38
	s_add_i32 s9, s33, 15
	s_ashr_i32 s10, s9, 31
	v_and_b32_e32 v1, 0xcf, v0
	s_lshr_b32 s10, s10, 28
	v_add_u32_e32 v1, s5, v1
	s_add_i32 s9, s9, s10
	v_ashrrev_i32_e32 v2, 31, v1
	s_ashr_i32 s18, s9, 4
	v_lshrrev_b32_e32 v4, 28, v2
	s_add_i32 s18, s18, -1
	s_waitcnt lgkmcnt(0)
	s_mul_i32 s8, s2, s8
	s_mov_b32 s9, 0
	v_add_u32_e32 v2, v1, v4
	s_lshl_b64 s[8:9], s[8:9], 2
	v_ashrrev_i32_e32 v2, 4, v2
	v_mov_b32_e32 v5, s18
	v_cmp_gt_i32_e32 vcc, s33, v1
	s_add_u32 s6, s6, s8
	s_addc_u32 s7, s7, s9
	v_cndmask_b32_e32 v2, v5, v2, vcc
	v_ashrrev_i32_e32 v3, 31, v2
	v_lshl_add_u64 v[6:7], v[2:3], 2, s[6:7]
	v_or_b32_e32 v2, 16, v1
	v_add_u32_e32 v3, v2, v4
	v_ashrrev_i32_e32 v3, 4, v3
	v_cmp_gt_i32_e32 vcc, s33, v2
	s_load_dwordx4 s[8:11], s[0:1], 0x8
	s_nop 0
	v_cndmask_b32_e32 v2, v5, v3, vcc
	v_ashrrev_i32_e32 v3, 31, v2
	v_lshl_add_u64 v[8:9], v[2:3], 2, s[6:7]
	v_or_b32_e32 v2, 32, v1
	v_add_u32_e32 v3, v2, v4
	v_ashrrev_i32_e32 v3, 4, v3
	v_cmp_gt_i32_e32 vcc, s33, v2
	v_or_b32_e32 v1, 48, v1
	s_nop 0
	v_cndmask_b32_e32 v2, v5, v3, vcc
	v_ashrrev_i32_e32 v3, 31, v2
	v_lshl_add_u64 v[10:11], v[2:3], 2, s[6:7]
	v_add_u32_e32 v2, v1, v4
	v_ashrrev_i32_e32 v2, 4, v2
	v_cmp_gt_i32_e32 vcc, s33, v1
	s_nop 1
	v_cndmask_b32_e32 v2, v5, v2, vcc
	v_ashrrev_i32_e32 v3, 31, v2
	v_lshl_add_u64 v[14:15], v[2:3], 2, s[6:7]
	global_load_dword v4, v[6:7], off
	global_load_dword v3, v[8:9], off
	;; [unrolled: 1-line block ×4, first 2 shown]
	s_andn2_b64 vcc, exec, s[14:15]
	s_cbranch_vccnz .LBB1156_8
; %bb.6:
	s_add_u32 s12, s12, s16
	s_addc_u32 s13, s13, s17
	s_load_dword s14, s[12:13], 0x0
	s_branch .LBB1156_9
.LBB1156_7:
	s_mov_b64 s[8:9], 0
	s_branch .LBB1156_2
.LBB1156_8:
	s_mov_b32 s14, s2
.LBB1156_9:
	s_load_dwordx4 s[44:47], s[0:1], 0x48
	v_lshrrev_b32_e32 v29, 6, v0
	v_bfe_u32 v42, v0, 4, 2
	v_lshl_or_b32 v5, v29, 2, v42
	v_and_b32_e32 v28, 15, v0
	v_lshlrev_b32_e32 v1, 3, v28
	v_cmp_gt_u32_e32 vcc, 9, v5
	v_cmp_gt_u32_e64 s[30:31], 8, v28
	v_and_b32_e32 v43, 63, v0
	s_mul_i32 s48, s4, 9
	s_and_b64 s[16:17], s[30:31], vcc
	v_lshlrev_b32_e32 v26, 1, v1
	v_lshlrev_b32_e32 v1, 4, v0
	s_and_saveexec_b64 s[12:13], s[16:17]
	s_cbranch_execz .LBB1156_11
; %bb.10:
	s_load_dwordx2 s[16:17], s[0:1], 0x0
	s_waitcnt lgkmcnt(0)
	s_ashr_i32 s15, s44, 31
	s_mul_hi_u32 s19, s14, s44
	s_mul_i32 s15, s14, s15
	s_add_i32 s15, s19, s15
	s_mul_i32 s14, s14, s44
	s_lshl_b64 s[14:15], s[14:15], 1
	s_add_u32 s14, s16, s14
	v_add_lshl_u32 v6, v5, s48, 6
	s_addc_u32 s15, s17, s15
	v_ashrrev_i32_e32 v7, 31, v6
	v_lshl_add_u64 v[6:7], v[6:7], 1, s[14:15]
	v_mov_b32_e32 v27, 0
	v_lshl_add_u64 v[6:7], v[6:7], 0, v[26:27]
	global_load_dwordx4 v[6:9], v[6:7], off
	v_lshlrev_b32_e32 v11, 8, v28
	v_lshlrev_b32_e32 v5, 5, v5
	v_and_b32_e32 v10, 16, v1
	v_and_b32_e32 v11, 0xe00, v11
	v_or3_b32 v5, v11, v5, v10
	s_waitcnt vmcnt(0)
	ds_write_b128 v5, v[6:9]
.LBB1156_11:
	s_or_b64 exec, exec, s[12:13]
	s_waitcnt lgkmcnt(0)
	s_mul_i32 s4, s4, s46
	s_add_u32 s8, s8, s4
	s_addc_u32 s9, s9, 0
	v_and_b32_e32 v8, 48, v0
	v_and_b32_e32 v30, 0xf0, v1
	v_mov_b32_e32 v31, 0
	v_lshl_add_u64 v[6:7], s[8:9], 0, v[30:31]
	v_lshlrev_b32_e32 v30, 4, v8
	v_or_b32_e32 v8, s5, v8
	v_lshl_add_u64 v[10:11], v[6:7], 0, v[30:31]
	v_ashrrev_i32_e32 v6, 4, v8
	v_mov_b32_e32 v27, s18
	v_cmp_gt_i32_e32 vcc, s33, v8
	s_load_dword s29, s[0:1], 0x98
	s_load_dwordx4 s[40:43], s[0:1], 0x80
	v_cndmask_b32_e32 v6, v27, v6, vcc
	v_ashrrev_i32_e32 v7, 31, v6
	v_lshl_add_u64 v[6:7], v[6:7], 2, s[6:7]
	s_waitcnt lgkmcnt(0)
	s_barrier
	s_waitcnt vmcnt(3)
	v_mad_i64_i32 v[4:5], s[8:9], v4, s45, v[10:11]
	global_load_dword v38, v[6:7], off
	global_load_dwordx4 v[22:25], v[4:5], off
	s_waitcnt vmcnt(4)
	v_mad_i64_i32 v[4:5], s[8:9], v3, s45, v[10:11]
	global_load_dwordx4 v[18:21], v[4:5], off
	s_waitcnt vmcnt(4)
	v_mad_i64_i32 v[2:3], s[8:9], v2, s45, v[10:11]
	global_load_dwordx4 v[14:17], v[2:3], off
	v_add_u32_e32 v4, -9, v28
	v_cmp_gt_u32_e32 vcc, 9, v28
	v_or_b32_e32 v13, 64, v8
	s_waitcnt vmcnt(4)
	v_mad_i64_i32 v[10:11], s[12:13], v12, s45, v[10:11]
	v_cndmask_b32_e32 v2, v4, v28, vcc
	v_lshlrev_b32_e32 v2, 5, v2
	v_lshl_add_u32 v2, v42, 9, v2
	v_or_b32_e32 v33, 0x80, v8
	v_or_b32_e32 v35, 0xc0, v8
	v_ashrrev_i32_e32 v32, 4, v13
	ds_read_b128 v[6:9], v2
	ds_read_b128 v[2:5], v2 offset:16
	v_cmp_gt_i32_e32 vcc, s33, v13
	global_load_dwordx4 v[10:13], v[10:11], off
	v_ashrrev_i32_e32 v34, 4, v33
	v_cndmask_b32_e32 v32, v27, v32, vcc
	v_cmp_gt_i32_e32 vcc, s33, v33
	v_ashrrev_i32_e32 v36, 4, v35
	v_ashrrev_i32_e32 v33, 31, v32
	v_cndmask_b32_e32 v34, v27, v34, vcc
	v_cmp_gt_i32_e32 vcc, s33, v35
	v_ashrrev_i32_e32 v35, 31, v34
	v_lshl_add_u64 v[32:33], v[32:33], 2, s[6:7]
	v_cndmask_b32_e32 v36, v27, v36, vcc
	v_ashrrev_i32_e32 v37, 31, v36
	v_lshl_add_u64 v[34:35], v[34:35], 2, s[6:7]
	v_lshl_add_u64 v[36:37], v[36:37], 2, s[6:7]
	s_add_u32 s8, s10, s4
	s_load_dword s4, s[40:41], 0x0
	global_load_dword v45, v[32:33], off
	global_load_dword v27, v[34:35], off
	;; [unrolled: 1-line block ×3, first 2 shown]
	v_lshlrev_b32_e32 v30, 4, v28
	s_addc_u32 s9, s11, 0
	v_lshl_or_b32 v30, v29, 8, v30
	s_mov_b32 s44, 0x7060302
	v_lshl_add_u64 v[30:31], s[8:9], 0, v[30:31]
	s_load_dword s14, s[0:1], 0x1c
	s_mov_b32 s46, 0xff7fffff
	s_waitcnt vmcnt(7)
	v_mad_i64_i32 v[32:33], s[6:7], v38, s45, v[30:31]
	s_waitcnt vmcnt(6)
	v_cvt_pk_f32_fp8_e32 v[34:35], v22
	v_cvt_pk_f32_fp8_sdwa v[36:37], v22 src0_sel:WORD_1
	v_cvt_pk_f32_fp8_e32 v[38:39], v23
	v_cvt_pk_f32_fp8_sdwa v[40:41], v23 src0_sel:WORD_1
	v_perm_b32 v34, v35, v34, s44
	v_perm_b32 v35, v37, v36, s44
	s_waitcnt vmcnt(5)
	v_cvt_pk_f32_fp8_e32 v[22:23], v18
	v_cvt_pk_f32_fp8_sdwa v[52:53], v18 src0_sel:WORD_1
	v_perm_b32 v38, v39, v38, s44
	v_perm_b32 v39, v41, v40, s44
	v_cvt_pk_f32_fp8_e32 v[46:47], v24
	v_cvt_pk_f32_fp8_sdwa v[48:49], v24 src0_sel:WORD_1
	v_cvt_pk_f32_fp8_e32 v[50:51], v25
	v_cvt_pk_f32_fp8_sdwa v[54:55], v25 src0_sel:WORD_1
	v_perm_b32 v36, v23, v22, s44
	s_waitcnt lgkmcnt(0)
	v_mfma_f32_16x16x16_bf16 v[22:25], v[34:35], v[6:7], 0
	v_cvt_pk_f32_fp8_e32 v[56:57], v19
	v_perm_b32 v37, v53, v52, s44
	v_cvt_pk_f32_fp8_sdwa v[18:19], v19 src0_sel:WORD_1
	v_mfma_f32_16x16x16_bf16 v[22:25], v[38:39], v[8:9], v[22:25]
	v_perm_b32 v38, v47, v46, s44
	v_perm_b32 v39, v49, v48, s44
	v_cvt_pk_f32_fp8_e32 v[40:41], v20
	v_perm_b32 v52, v57, v56, s44
	v_perm_b32 v53, v19, v18, s44
	v_cvt_pk_f32_fp8_sdwa v[18:19], v20 src0_sel:WORD_1
	v_mfma_f32_16x16x16_bf16 v[34:37], v[36:37], v[6:7], 0
	v_cvt_pk_f32_fp8_e32 v[46:47], v21
	v_perm_b32 v48, v51, v50, s44
	v_perm_b32 v49, v55, v54, s44
	v_mfma_f32_16x16x16_bf16 v[22:25], v[38:39], v[2:3], v[22:25]
	v_cvt_pk_f32_fp8_sdwa v[38:39], v21 src0_sel:WORD_1
	v_perm_b32 v40, v41, v40, s44
	v_perm_b32 v41, v19, v18, s44
	v_mfma_f32_16x16x16_bf16 v[34:37], v[52:53], v[8:9], v[34:37]
	v_perm_b32 v46, v47, v46, s44
	v_perm_b32 v47, v39, v38, s44
	s_waitcnt vmcnt(4)
	v_cvt_pk_f32_fp8_e32 v[38:39], v14
	v_mfma_f32_16x16x16_bf16 v[18:21], v[48:49], v[4:5], v[22:25]
	v_cvt_pk_f32_fp8_sdwa v[50:51], v17 src0_sel:WORD_1
	v_mov_b32_e32 v48, s14
	v_mul_f32_e32 v48, s4, v48
	v_mfma_f32_16x16x16_bf16 v[22:25], v[40:41], v[2:3], v[34:37]
	v_cvt_pk_f32_fp8_sdwa v[40:41], v14 src0_sel:WORD_1
	v_mfma_f32_16x16x16_bf16 v[34:37], v[46:47], v[4:5], v[22:25]
	v_cvt_pk_f32_fp8_sdwa v[46:47], v16 src0_sel:WORD_1
	s_nop 3
	v_cvt_pk_f32_fp8_e32 v[22:23], v15
	v_perm_b32 v24, v39, v38, s44
	v_perm_b32 v25, v41, v40, s44
	v_cvt_pk_f32_fp8_sdwa v[14:15], v15 src0_sel:WORD_1
	v_perm_b32 v38, v23, v22, s44
	v_cvt_pk_f32_fp8_e32 v[40:41], v16
	v_mfma_f32_16x16x16_bf16 v[22:25], v[24:25], v[6:7], 0
	v_perm_b32 v39, v15, v14, s44
	v_perm_b32 v40, v41, v40, s44
	;; [unrolled: 1-line block ×3, first 2 shown]
	v_cvt_pk_f32_fp8_e32 v[46:47], v17
	v_mfma_f32_16x16x16_bf16 v[14:17], v[38:39], v[8:9], v[22:25]
	s_waitcnt vmcnt(3)
	v_cvt_pk_f32_fp8_sdwa v[38:39], v10 src0_sel:WORD_1
	v_pk_mul_f32 v[36:37], v[48:49], v[36:37] op_sel_hi:[0,1]
	v_perm_b32 v24, v47, v46, s44
	v_perm_b32 v25, v51, v50, s44
	v_pk_mul_f32 v[22:23], v[48:49], v[20:21] op_sel_hi:[0,1]
	v_mfma_f32_16x16x16_bf16 v[14:17], v[40:41], v[2:3], v[14:17]
	v_pk_mul_f32 v[20:21], v[48:49], v[18:19] op_sel_hi:[0,1]
	v_cvt_pk_f32_fp8_e32 v[18:19], v10
	v_cvt_pk_f32_fp8_e32 v[46:47], v12
	v_mfma_f32_16x16x16_bf16 v[14:17], v[24:25], v[4:5], v[14:17]
	v_cvt_pk_f32_fp8_e32 v[24:25], v11
	v_perm_b32 v18, v19, v18, s44
	v_perm_b32 v19, v39, v38, s44
	v_cvt_pk_f32_fp8_sdwa v[10:11], v11 src0_sel:WORD_1
	v_perm_b32 v24, v25, v24, s44
	v_cvt_pk_f32_fp8_sdwa v[50:51], v12 src0_sel:WORD_1
	v_mfma_f32_16x16x16_bf16 v[38:41], v[18:19], v[6:7], 0
	v_perm_b32 v25, v11, v10, s44
	v_perm_b32 v10, v47, v46, s44
	;; [unrolled: 1-line block ×3, first 2 shown]
	v_cvt_pk_f32_fp8_e32 v[18:19], v13
	v_cvt_pk_f32_fp8_sdwa v[12:13], v13 src0_sel:WORD_1
	v_mfma_f32_16x16x16_bf16 v[6:9], v[24:25], v[8:9], v[38:41]
	v_perm_b32 v18, v19, v18, s44
	v_perm_b32 v19, v13, v12, s44
	v_mfma_f32_16x16x16_bf16 v[6:9], v[10:11], v[2:3], v[6:9]
	v_pk_mul_f32 v[40:41], v[48:49], v[34:35] op_sel_hi:[0,1]
	v_pk_mul_f32 v[38:39], v[48:49], v[14:15] op_sel_hi:[0,1]
	;; [unrolled: 1-line block ×3, first 2 shown]
	v_mfma_f32_16x16x16_bf16 v[2:5], v[18:19], v[4:5], v[6:9]
	s_nop 6
	v_pk_mul_f32 v[24:25], v[48:49], v[2:3] op_sel_hi:[0,1]
	v_and_b32_e32 v2, 0xc0, v0
	v_add_u32_e32 v2, s5, v2
	v_lshl_or_b32 v2, v42, 2, v2
	v_pk_mul_f32 v[18:19], v[48:49], v[4:5] op_sel_hi:[0,1]
	v_or_b32_e32 v5, 1, v2
	v_mov_b32_e32 v3, 0xff7fffff
	v_cmp_gt_i32_e64 s[4:5], s33, v2
	v_cmp_gt_i32_e64 s[34:35], s33, v5
	v_or_b32_e32 v6, 3, v2
	v_cndmask_b32_e64 v4, v3, v20, s[4:5]
	v_cndmask_b32_e64 v5, v3, v21, s[34:35]
	v_max3_f32 v4, v4, s46, v5
	v_or_b32_e32 v5, 2, v2
	v_cmp_gt_i32_e64 s[36:37], s33, v5
	v_cmp_gt_i32_e64 s[38:39], s33, v6
	s_nop 0
	v_cndmask_b32_e64 v5, v3, v22, s[36:37]
	v_cndmask_b32_e64 v6, v3, v23, s[38:39]
	v_max3_f32 v4, v4, v5, v6
	v_or_b32_e32 v5, 16, v2
	v_or_b32_e32 v6, 17, v2
	v_cmp_gt_i32_e64 s[24:25], s33, v5
	v_cmp_gt_i32_e64 s[26:27], s33, v6
	s_nop 0
	v_cndmask_b32_e64 v5, v3, v40, s[24:25]
	v_cndmask_b32_e64 v6, v3, v41, s[26:27]
	v_max3_f32 v4, v4, v5, v6
	v_or_b32_e32 v5, 18, v2
	;; [unrolled: 8-line block ×6, first 2 shown]
	v_or_b32_e32 v2, 51, v2
	v_cmp_gt_i32_e32 vcc, s33, v5
	v_cmp_gt_i32_e64 s[6:7], s33, v2
	s_nop 0
	v_cndmask_b32_e32 v5, v3, v18, vcc
	v_cndmask_b32_e64 v2, v3, v19, s[6:7]
	v_max3_f32 v4, v4, v5, v2
	v_mbcnt_lo_u32_b32 v2, -1, 0
	v_mbcnt_hi_u32_b32 v5, -1, v2
	v_and_b32_e32 v2, 64, v5
	v_add_u32_e32 v6, 64, v2
	v_xor_b32_e32 v2, 32, v5
	v_cmp_lt_i32_e64 s[40:41], v2, v6
	s_nop 1
	v_cndmask_b32_e64 v2, v5, v2, s[40:41]
	v_lshlrev_b32_e32 v46, 2, v2
	ds_bpermute_b32 v7, v46, v4
	s_waitcnt vmcnt(2)
	v_mad_i64_i32 v[2:3], s[40:41], v45, s45, v[30:31]
	global_load_dwordx4 v[14:17], v[32:33], off
	global_load_dwordx4 v[10:13], v[2:3], off
	v_xor_b32_e32 v3, 16, v5
	v_cmp_lt_i32_e64 s[40:41], v3, v6
	s_waitcnt lgkmcnt(0)
	v_max_f32_e32 v2, v7, v7
	v_max_f32_e32 v2, v4, v2
	v_cndmask_b32_e64 v3, v5, v3, s[40:41]
	v_lshlrev_b32_e32 v45, 2, v3
	ds_bpermute_b32 v3, v45, v2
	s_waitcnt vmcnt(3)
	v_mad_i64_i32 v[32:33], s[40:41], v27, s45, v[30:31]
	s_waitcnt vmcnt(2)
	v_mad_i64_i32 v[30:31], s[40:41], v44, s45, v[30:31]
	s_waitcnt lgkmcnt(0)
	v_max_f32_e32 v3, v3, v3
	v_max_f32_e32 v27, v2, v3
	v_sub_f32_e32 v2, v20, v27
	v_mul_f32_e32 v2, 0x3fb8aa3b, v2
	v_exp_f32_e32 v20, v2
	v_sub_f32_e32 v2, v21, v27
	v_mul_f32_e32 v2, 0x3fb8aa3b, v2
	v_exp_f32_e32 v21, v2
	global_load_dwordx4 v[6:9], v[32:33], off
	global_load_dwordx4 v[2:5], v[30:31], off
	v_sub_f32_e32 v22, v22, v27
	v_mul_f32_e32 v22, 0x3fb8aa3b, v22
	v_sub_f32_e32 v23, v23, v27
	v_exp_f32_e32 v22, v22
	v_mul_f32_e32 v23, 0x3fb8aa3b, v23
	v_exp_f32_e32 v23, v23
	v_cndmask_b32_e64 v20, 0, v20, s[4:5]
	v_add_f32_e32 v30, 0, v20
	v_cndmask_b32_e64 v21, 0, v21, s[34:35]
	v_add_f32_e32 v30, v30, v21
	;; [unrolled: 2-line block ×3, first 2 shown]
	v_cndmask_b32_e64 v33, 0, v23, s[38:39]
	v_sub_f32_e32 v23, v40, v27
	v_sub_f32_e32 v30, v41, v27
	v_mul_f32_e32 v23, 0x3fb8aa3b, v23
	v_mul_f32_e32 v30, 0x3fb8aa3b, v30
	v_exp_f32_e32 v23, v23
	v_exp_f32_e32 v30, v30
	v_add_f32_e32 v31, v22, v33
	v_sub_f32_e32 v34, v34, v27
	v_cndmask_b32_e64 v22, 0, v23, s[24:25]
	v_cndmask_b32_e64 v23, 0, v30, s[26:27]
	v_sub_f32_e32 v30, v36, v27
	v_mul_f32_e32 v30, 0x3fb8aa3b, v30
	v_exp_f32_e32 v30, v30
	v_sub_f32_e32 v36, v37, v27
	v_add_f32_e32 v31, v31, v22
	v_mul_f32_e32 v36, 0x3fb8aa3b, v36
	v_exp_f32_e32 v37, v36
	v_add_f32_e32 v31, v31, v23
	v_cndmask_b32_e64 v36, 0, v30, s[20:21]
	v_add_f32_e32 v30, v31, v36
	v_sub_f32_e32 v31, v38, v27
	v_mul_f32_e32 v31, 0x3fb8aa3b, v31
	v_sub_f32_e32 v38, v39, v27
	v_exp_f32_e32 v31, v31
	v_mul_f32_e32 v38, 0x3fb8aa3b, v38
	v_exp_f32_e32 v38, v38
	v_mul_f32_e32 v34, 0x3fb8aa3b, v34
	v_sub_f32_e32 v35, v35, v27
	v_exp_f32_e32 v34, v34
	v_mul_f32_e32 v35, 0x3fb8aa3b, v35
	v_sub_f32_e32 v24, v24, v27
	v_cndmask_b32_e64 v37, 0, v37, s[22:23]
	v_exp_f32_e32 v35, v35
	v_mul_f32_e32 v24, 0x3fb8aa3b, v24
	v_sub_f32_e32 v25, v25, v27
	v_add_f32_e32 v39, v30, v37
	v_cndmask_b32_e64 v30, 0, v31, s[16:17]
	v_exp_f32_e32 v24, v24
	v_mul_f32_e32 v25, 0x3fb8aa3b, v25
	v_sub_f32_e32 v18, v18, v27
	v_add_f32_e32 v39, v39, v30
	v_cndmask_b32_e64 v31, 0, v38, s[18:19]
	v_exp_f32_e32 v25, v25
	v_mul_f32_e32 v18, 0x3fb8aa3b, v18
	v_sub_f32_e32 v19, v19, v27
	v_add_f32_e32 v38, v39, v31
	v_cndmask_b32_e64 v34, 0, v34, s[12:13]
	v_exp_f32_e32 v18, v18
	v_mul_f32_e32 v19, 0x3fb8aa3b, v19
	v_add_f32_e32 v38, v38, v34
	v_cndmask_b32_e64 v35, 0, v35, s[14:15]
	v_exp_f32_e32 v19, v19
	v_add_f32_e32 v38, v38, v35
	v_cndmask_b32_e64 v24, 0, v24, s[8:9]
	v_add_f32_e32 v38, v38, v24
	v_cndmask_b32_e64 v25, 0, v25, s[10:11]
	v_add_f32_e32 v38, v38, v25
	v_cndmask_b32_e32 v18, 0, v18, vcc
	v_add_f32_e32 v38, v38, v18
	v_cndmask_b32_e64 v19, 0, v19, s[6:7]
	v_add_f32_e32 v38, v38, v19
	ds_bpermute_b32 v39, v46, v38
	v_cmp_gt_u32_e64 s[6:7], 16, v43
	s_waitcnt lgkmcnt(0)
	s_barrier
	v_add_f32_e32 v39, v38, v39
	ds_bpermute_b32 v40, v45, v39
	v_lshlrev_b32_e32 v38, 2, v28
	s_and_saveexec_b64 s[4:5], s[6:7]
	s_cbranch_execz .LBB1156_13
; %bb.12:
	s_waitcnt lgkmcnt(0)
	v_add_f32_e32 v39, v39, v40
	v_lshl_or_b32 v40, v29, 6, v38
	ds_write2st64_b32 v40, v27, v39 offset1:1
.LBB1156_13:
	s_or_b64 exec, exec, s[4:5]
	s_load_dword s8, s[0:1], 0x94
	s_waitcnt lgkmcnt(0)
	s_barrier
	ds_read2_b32 v[40:41], v38 offset1:16
	ds_read2_b32 v[44:45], v38 offset0:32 offset1:48
	ds_read2_b32 v[46:47], v38 offset0:64 offset1:80
	s_movk_i32 s10, 0x7fff
	s_mul_i32 s9, s29, 9
	s_waitcnt lgkmcnt(2)
	v_max3_f32 v27, v40, s46, v41
	s_waitcnt lgkmcnt(1)
	v_max3_f32 v27, v27, v44, v45
	v_sub_f32_e32 v39, v40, v27
	v_sub_f32_e32 v40, v41, v27
	v_mul_f32_e32 v40, 0x3fb8aa3b, v40
	v_mul_f32_e32 v39, 0x3fb8aa3b, v39
	v_exp_f32_e32 v43, v40
	v_sub_f32_e32 v40, v44, v27
	v_exp_f32_e32 v39, v39
	v_mul_f32_e32 v40, 0x3fb8aa3b, v40
	v_exp_f32_e32 v44, v40
	ds_read2_b32 v[40:41], v38 offset0:96 offset1:112
	v_sub_f32_e32 v38, v45, v27
	v_mul_f32_e32 v38, 0x3fb8aa3b, v38
	v_exp_f32_e32 v45, v38
	s_waitcnt lgkmcnt(1)
	v_fma_f32 v38, v39, v46, 0
	v_fmac_f32_e32 v38, v43, v47
	s_waitcnt lgkmcnt(0)
	v_fmac_f32_e32 v38, v44, v40
	v_fmac_f32_e32 v38, v45, v41
	v_add_f32_e32 v40, 0x358637bd, v38
	v_div_scale_f32 v41, s[4:5], v40, v40, 1.0
	v_rcp_f32_e32 v46, v41
	s_barrier
	v_fma_f32 v47, -v41, v46, 1.0
	v_fmac_f32_e32 v46, v47, v46
	v_div_scale_f32 v47, vcc, 1.0, v40, 1.0
	v_mul_f32_e32 v48, v47, v46
	v_fma_f32 v49, -v41, v48, v47
	v_fmac_f32_e32 v48, v49, v46
	v_fma_f32 v41, -v41, v48, v47
	v_div_fmas_f32 v41, v41, v46, v48
	v_cmp_eq_u32_e32 vcc, 1, v29
	v_div_fixup_f32 v40, v41, v40, 1.0
	s_nop 0
	v_cndmask_b32_e32 v39, v39, v43, vcc
	v_cmp_eq_u32_e32 vcc, 2, v29
	s_nop 1
	v_cndmask_b32_e32 v39, v39, v44, vcc
	v_cmp_eq_u32_e32 vcc, 3, v29
	v_lshlrev_b32_e32 v29, 11, v29
	s_nop 0
	v_cndmask_b32_e32 v39, v39, v45, vcc
	v_mul_f32_e32 v40, v39, v40
	v_pk_mul_f32 v[20:21], v[40:41], v[20:21] op_sel_hi:[0,1]
	v_pk_mul_f32 v[32:33], v[40:41], v[32:33] op_sel_hi:[0,1]
	v_bfe_u32 v39, v21, 16, 1
	v_bfe_u32 v41, v20, 16, 1
	v_add3_u32 v20, v20, v41, s10
	v_add3_u32 v21, v21, v39, s10
	v_perm_b32 v44, v21, v20, s44
	v_bfe_u32 v20, v33, 16, 1
	v_bfe_u32 v21, v32, 16, 1
	v_add3_u32 v21, v32, v21, s10
	v_add3_u32 v20, v33, v20, s10
	v_perm_b32 v45, v20, v21, s44
	v_lshlrev_b32_e32 v20, 3, v42
	v_lshlrev_b32_e32 v21, 5, v28
	v_pk_mul_f32 v[22:23], v[40:41], v[22:23] op_sel_hi:[0,1]
	v_or3_b32 v20, v29, v21, v20
	v_pk_mul_f32 v[32:33], v[40:41], v[36:37] op_sel_hi:[0,1]
	v_bfe_u32 v29, v23, 16, 1
	v_bfe_u32 v36, v22, 16, 1
	v_add3_u32 v22, v22, v36, s10
	v_add3_u32 v23, v23, v29, s10
	v_perm_b32 v22, v23, v22, s44
	v_bfe_u32 v23, v33, 16, 1
	v_bfe_u32 v29, v32, 16, 1
	v_add3_u32 v29, v32, v29, s10
	v_add3_u32 v23, v33, v23, s10
	v_pk_mul_f32 v[30:31], v[40:41], v[30:31] op_sel_hi:[0,1]
	v_perm_b32 v23, v23, v29, s44
	v_bfe_u32 v29, v31, 16, 1
	v_bfe_u32 v32, v30, 16, 1
	ds_write2st64_b64 v20, v[44:45], v[22:23] offset1:1
	v_pk_mul_f32 v[22:23], v[40:41], v[34:35] op_sel_hi:[0,1]
	v_add3_u32 v30, v30, v32, s10
	v_add3_u32 v29, v31, v29, s10
	v_perm_b32 v30, v29, v30, s44
	v_bfe_u32 v29, v23, 16, 1
	v_bfe_u32 v31, v22, 16, 1
	v_add3_u32 v22, v22, v31, s10
	v_add3_u32 v23, v23, v29, s10
	v_perm_b32 v31, v23, v22, s44
	v_pk_mul_f32 v[22:23], v[40:41], v[24:25] op_sel_hi:[0,1]
	v_bfe_u32 v24, v23, 16, 1
	v_bfe_u32 v25, v22, 16, 1
	v_pk_mul_f32 v[18:19], v[40:41], v[18:19] op_sel_hi:[0,1]
	v_add3_u32 v22, v22, v25, s10
	v_add3_u32 v23, v23, v24, s10
	v_perm_b32 v22, v23, v22, s44
	v_bfe_u32 v23, v19, 16, 1
	v_bfe_u32 v24, v18, 16, 1
	v_add3_u32 v18, v18, v24, s10
	v_add3_u32 v19, v19, v23, s10
	v_perm_b32 v23, v19, v18, s44
	v_cmp_gt_u32_e32 vcc, 9, v0
	ds_write2st64_b64 v20, v[30:31], v[22:23] offset0:2 offset1:3
	s_and_saveexec_b64 s[4:5], vcc
	s_cbranch_execz .LBB1156_15
; %bb.14:
	s_mov_b32 s49, 0
	v_mov_b32_e32 v29, 0
	v_lshl_add_u64 v[18:19], s[48:49], 0, v[28:29]
	v_mov_b32_e32 v22, s9
	v_mad_u64_u32 v[18:19], s[16:17], s2, v22, v[18:19]
	s_mul_i32 s3, s3, s9
	v_mov_b32_e32 v28, s28
	s_load_dwordx4 s[12:15], s[0:1], 0x58
	v_add_u32_e32 v23, s3, v19
	v_mad_u64_u32 v[18:19], s[16:17], v18, s8, v[28:29]
	v_mov_b32_e32 v22, v19
	v_mad_u64_u32 v[22:23], s[16:17], v23, s8, v[22:23]
	v_mov_b32_e32 v19, v22
	v_lshlrev_b64 v[18:19], 2, v[18:19]
	s_waitcnt lgkmcnt(0)
	v_lshl_add_u64 v[22:23], s[14:15], 0, v[18:19]
	v_lshl_add_u64 v[18:19], s[12:13], 0, v[18:19]
	global_store_dword v[22:23], v27, off
	global_store_dword v[18:19], v38, off
.LBB1156_15:
	s_or_b64 exec, exec, s[4:5]
	s_waitcnt vmcnt(3)
	v_cvt_pk_f32_fp8_e32 v[18:19], v14
	v_cvt_pk_f32_fp8_sdwa v[22:23], v14 src0_sel:WORD_1
	s_mov_b32 s4, 0x7060302
	v_lshl_or_b32 v14, v42, 9, v21
	s_waitcnt lgkmcnt(0)
	s_barrier
	v_perm_b32 v18, v19, v18, s4
	v_perm_b32 v19, v23, v22, s4
	v_cvt_pk_f32_fp8_e32 v[28:29], v15
	ds_read_b128 v[22:25], v14
	v_cvt_pk_f32_fp8_sdwa v[36:37], v15 src0_sel:WORD_1
	s_load_dword s12, s[42:43], 0x0
	v_perm_b32 v38, v29, v28, s4
	ds_read_b128 v[28:31], v14 offset:16
	v_perm_b32 v39, v37, v36, s4
	s_waitcnt lgkmcnt(0)
	v_mfma_f32_16x16x16_bf16 v[32:35], v[18:19], v[22:23], 0
	v_cvt_pk_f32_fp8_e32 v[18:19], v16
	v_cvt_pk_f32_fp8_sdwa v[36:37], v16 src0_sel:WORD_1
	v_cmp_gt_u32_e32 vcc, 64, v0
	v_mfma_f32_16x16x16_bf16 v[22:25], v[38:39], v[24:25], v[32:35]
	v_perm_b32 v18, v19, v18, s4
	v_perm_b32 v19, v37, v36, s4
	s_waitcnt vmcnt(2)
	v_cvt_pk_f32_fp8_sdwa v[36:37], v10 src0_sel:WORD_1
	v_cvt_pk_f32_fp8_e32 v[32:33], v17
	v_cvt_pk_f32_fp8_sdwa v[16:17], v17 src0_sel:WORD_1
	v_cvt_pk_f32_fp8_e32 v[34:35], v10
	s_mov_b32 s3, 0
	v_perm_b32 v32, v33, v32, s4
	v_perm_b32 v33, v17, v16, s4
	v_mfma_f32_16x16x16_bf16 v[16:19], v[18:19], v[28:29], v[22:25]
	v_perm_b32 v34, v35, v34, s4
	v_perm_b32 v35, v37, v36, s4
	v_cvt_pk_f32_fp8_e32 v[28:29], v11
	ds_read_b128 v[22:25], v14 offset:2048
	v_cvt_pk_f32_fp8_sdwa v[10:11], v11 src0_sel:WORD_1
	v_mfma_f32_16x16x16_bf16 v[16:19], v[32:33], v[30:31], v[16:19]
	v_perm_b32 v32, v29, v28, s4
	ds_read_b128 v[28:31], v14 offset:2064
	v_perm_b32 v33, v11, v10, s4
	s_waitcnt lgkmcnt(1)
	v_mfma_f32_16x16x16_bf16 v[16:19], v[34:35], v[22:23], v[16:19]
	v_cvt_pk_f32_fp8_e32 v[10:11], v12
	v_cvt_pk_f32_fp8_sdwa v[22:23], v12 src0_sel:WORD_1
	v_mov_b32_e32 v27, 0
	v_mfma_f32_16x16x16_bf16 v[16:19], v[32:33], v[24:25], v[16:19]
	v_cvt_pk_f32_fp8_e32 v[24:25], v13
	v_perm_b32 v10, v11, v10, s4
	v_perm_b32 v11, v23, v22, s4
	v_cvt_pk_f32_fp8_sdwa v[12:13], v13 src0_sel:WORD_1
	v_perm_b32 v22, v25, v24, s4
	s_waitcnt vmcnt(1)
	v_cvt_pk_f32_fp8_e32 v[24:25], v6
	v_cvt_pk_f32_fp8_sdwa v[32:33], v6 src0_sel:WORD_1
	v_perm_b32 v23, v13, v12, s4
	s_waitcnt lgkmcnt(0)
	v_mfma_f32_16x16x16_bf16 v[10:13], v[10:11], v[28:29], v[16:19]
	v_perm_b32 v28, v25, v24, s4
	v_perm_b32 v29, v33, v32, s4
	v_cvt_pk_f32_fp8_e32 v[24:25], v7
	ds_read_b128 v[16:19], v14 offset:4096
	v_cvt_pk_f32_fp8_sdwa v[6:7], v7 src0_sel:WORD_1
	v_mfma_f32_16x16x16_bf16 v[10:13], v[22:23], v[30:31], v[10:13]
	v_perm_b32 v30, v25, v24, s4
	ds_read_b128 v[22:25], v14 offset:4112
	v_perm_b32 v31, v7, v6, s4
	s_waitcnt lgkmcnt(1)
	v_mfma_f32_16x16x16_bf16 v[10:13], v[28:29], v[16:17], v[10:13]
	v_cvt_pk_f32_fp8_e32 v[6:7], v8
	v_cvt_pk_f32_fp8_sdwa v[16:17], v8 src0_sel:WORD_1
	s_waitcnt vmcnt(0)
	v_cvt_pk_f32_fp8_sdwa v[28:29], v2 src0_sel:WORD_1
	v_mfma_f32_16x16x16_bf16 v[10:13], v[30:31], v[18:19], v[10:13]
	v_cvt_pk_f32_fp8_e32 v[18:19], v9
	v_perm_b32 v6, v7, v6, s4
	v_perm_b32 v7, v17, v16, s4
	v_cvt_pk_f32_fp8_sdwa v[8:9], v9 src0_sel:WORD_1
	v_perm_b32 v16, v19, v18, s4
	v_cvt_pk_f32_fp8_e32 v[18:19], v2
	v_perm_b32 v17, v9, v8, s4
	s_waitcnt lgkmcnt(0)
	v_mfma_f32_16x16x16_bf16 v[6:9], v[6:7], v[22:23], v[10:13]
	v_perm_b32 v18, v19, v18, s4
	v_perm_b32 v19, v29, v28, s4
	v_cvt_pk_f32_fp8_e32 v[22:23], v3
	ds_read_b128 v[10:13], v14 offset:6144
	v_cvt_pk_f32_fp8_sdwa v[2:3], v3 src0_sel:WORD_1
	v_mfma_f32_16x16x16_bf16 v[6:9], v[16:17], v[24:25], v[6:9]
	v_perm_b32 v22, v23, v22, s4
	ds_read_b128 v[14:17], v14 offset:6160
	v_perm_b32 v23, v3, v2, s4
	s_waitcnt lgkmcnt(1)
	v_mfma_f32_16x16x16_bf16 v[6:9], v[18:19], v[10:11], v[6:9]
	v_cvt_pk_f32_fp8_e32 v[2:3], v4
	v_cvt_pk_f32_fp8_sdwa v[10:11], v4 src0_sel:WORD_1
	s_waitcnt lgkmcnt(0)
	v_mfma_f32_16x16x16_bf16 v[6:9], v[22:23], v[12:13], v[6:9]
	v_perm_b32 v2, v3, v2, s4
	v_perm_b32 v3, v11, v10, s4
	v_cvt_pk_f32_fp8_e32 v[10:11], v5
	v_cvt_pk_f32_fp8_sdwa v[4:5], v5 src0_sel:WORD_1
	s_barrier
	v_perm_b32 v10, v11, v10, s4
	v_perm_b32 v11, v5, v4, s4
	v_mfma_f32_16x16x16_bf16 v[2:5], v[2:3], v[14:15], v[6:9]
	s_nop 0
	v_mfma_f32_16x16x16_bf16 v[2:5], v[10:11], v[16:17], v[2:5]
	s_nop 6
	v_pk_mul_f32 v[2:3], v[2:3], s[12:13] op_sel_hi:[1,0]
	v_pk_mul_f32 v[4:5], v[4:5], s[12:13] op_sel_hi:[1,0]
	v_bfe_u32 v6, v3, 16, 1
	v_bfe_u32 v7, v2, 16, 1
	v_add3_u32 v2, v2, v7, s10
	v_add3_u32 v3, v3, v6, s10
	v_perm_b32 v2, v3, v2, s4
	v_bfe_u32 v3, v5, 16, 1
	v_bfe_u32 v6, v4, 16, 1
	v_add3_u32 v4, v4, v6, s10
	v_add3_u32 v3, v5, v3, s10
	v_perm_b32 v3, v3, v4, s4
	s_and_b64 s[4:5], vcc, s[30:31]
	ds_write_b64 v20, v[2:3]
	s_waitcnt lgkmcnt(0)
	s_barrier
	s_and_saveexec_b64 s[10:11], s[4:5]
	s_cbranch_execz .LBB1156_18
; %bb.16:
	s_load_dwordx2 s[4:5], s[0:1], 0x68
	s_lshl_b32 s0, s8, 6
	s_mul_i32 s1, s9, s2
	s_mul_hi_u32 s9, s1, s0
	s_mul_i32 s8, s1, s0
	v_lshlrev_b32_e32 v0, 10, v0
	s_lshl_b64 s[8:9], s[8:9], 1
	v_and_b32_e32 v0, 0x1800, v0
	v_lshlrev_b32_e32 v2, 5, v42
	v_and_b32_e32 v1, 16, v1
	s_waitcnt lgkmcnt(0)
	s_add_u32 s1, s4, s8
	v_or3_b32 v2, v0, v2, v1
	s_addc_u32 s4, s5, s9
	s_lshl_b32 s2, s28, 6
	s_lshl_b64 s[2:3], s[2:3], 1
	ds_read_b128 v[4:7], v2 offset:128
	ds_read_b128 v[8:11], v2
	s_add_u32 s2, s1, s2
	s_addc_u32 s3, s4, s3
	v_add_u32_e32 v3, s48, v42
	v_lshl_add_u64 v[0:1], s[2:3], 0, v[26:27]
	v_mad_u64_u32 v[12:13], s[2:3], v3, s0, 0
	v_lshl_add_u64 v[12:13], v[12:13], 1, v[0:1]
	v_add_u32_e32 v3, 4, v3
	s_waitcnt lgkmcnt(0)
	global_store_dwordx4 v[12:13], v[8:11], off
	s_nop 1
	v_mad_u64_u32 v[8:9], s[2:3], v3, s0, 0
	v_lshl_add_u64 v[8:9], v[8:9], 1, v[0:1]
	global_store_dwordx4 v[8:9], v[4:7], off
	s_and_b64 exec, exec, s[6:7]
	s_cbranch_execz .LBB1156_18
; %bb.17:
	ds_read_b128 v[2:5], v2 offset:256
	v_add3_u32 v6, s48, v42, 8
	v_mad_u64_u32 v[6:7], s[0:1], v6, s0, 0
	v_lshl_add_u64 v[0:1], v[6:7], 1, v[0:1]
	s_waitcnt lgkmcnt(0)
	global_store_dwordx4 v[0:1], v[2:5], off
.LBB1156_18:
	s_endpgm
	.section	.rodata,"a",@progbits
	.p2align	6, 0x0
	.amdhsa_kernel _Z39paged_attention_ll4mi_QKV_mfma16_kernelI14__hip_bfloat16hLN4vllm18Fp8KVCacheDataTypeE1ES0_Li16ELi64ELi256ELb0ELi9EEvPKT_PKT0_S8_ifPKiSA_SA_iPKfiiiPfSD_PS3_PT2_iSC_SC_
		.amdhsa_group_segment_fixed_size 8192
		.amdhsa_private_segment_fixed_size 0
		.amdhsa_kernarg_size 400
		.amdhsa_user_sgpr_count 2
		.amdhsa_user_sgpr_dispatch_ptr 0
		.amdhsa_user_sgpr_queue_ptr 0
		.amdhsa_user_sgpr_kernarg_segment_ptr 1
		.amdhsa_user_sgpr_dispatch_id 0
		.amdhsa_user_sgpr_kernarg_preload_length 0
		.amdhsa_user_sgpr_kernarg_preload_offset 0
		.amdhsa_user_sgpr_private_segment_size 0
		.amdhsa_uses_dynamic_stack 0
		.amdhsa_enable_private_segment 0
		.amdhsa_system_sgpr_workgroup_id_x 1
		.amdhsa_system_sgpr_workgroup_id_y 1
		.amdhsa_system_sgpr_workgroup_id_z 1
		.amdhsa_system_sgpr_workgroup_info 0
		.amdhsa_system_vgpr_workitem_id 0
		.amdhsa_next_free_vgpr 58
		.amdhsa_next_free_sgpr 50
		.amdhsa_accum_offset 60
		.amdhsa_reserve_vcc 1
		.amdhsa_float_round_mode_32 0
		.amdhsa_float_round_mode_16_64 0
		.amdhsa_float_denorm_mode_32 3
		.amdhsa_float_denorm_mode_16_64 3
		.amdhsa_dx10_clamp 1
		.amdhsa_ieee_mode 1
		.amdhsa_fp16_overflow 0
		.amdhsa_tg_split 0
		.amdhsa_exception_fp_ieee_invalid_op 0
		.amdhsa_exception_fp_denorm_src 0
		.amdhsa_exception_fp_ieee_div_zero 0
		.amdhsa_exception_fp_ieee_overflow 0
		.amdhsa_exception_fp_ieee_underflow 0
		.amdhsa_exception_fp_ieee_inexact 0
		.amdhsa_exception_int_div_zero 0
	.end_amdhsa_kernel
	.section	.text._Z39paged_attention_ll4mi_QKV_mfma16_kernelI14__hip_bfloat16hLN4vllm18Fp8KVCacheDataTypeE1ES0_Li16ELi64ELi256ELb0ELi9EEvPKT_PKT0_S8_ifPKiSA_SA_iPKfiiiPfSD_PS3_PT2_iSC_SC_,"axG",@progbits,_Z39paged_attention_ll4mi_QKV_mfma16_kernelI14__hip_bfloat16hLN4vllm18Fp8KVCacheDataTypeE1ES0_Li16ELi64ELi256ELb0ELi9EEvPKT_PKT0_S8_ifPKiSA_SA_iPKfiiiPfSD_PS3_PT2_iSC_SC_,comdat
.Lfunc_end1156:
	.size	_Z39paged_attention_ll4mi_QKV_mfma16_kernelI14__hip_bfloat16hLN4vllm18Fp8KVCacheDataTypeE1ES0_Li16ELi64ELi256ELb0ELi9EEvPKT_PKT0_S8_ifPKiSA_SA_iPKfiiiPfSD_PS3_PT2_iSC_SC_, .Lfunc_end1156-_Z39paged_attention_ll4mi_QKV_mfma16_kernelI14__hip_bfloat16hLN4vllm18Fp8KVCacheDataTypeE1ES0_Li16ELi64ELi256ELb0ELi9EEvPKT_PKT0_S8_ifPKiSA_SA_iPKfiiiPfSD_PS3_PT2_iSC_SC_
                                        ; -- End function
	.section	.AMDGPU.csdata,"",@progbits
; Kernel info:
; codeLenInByte = 4856
; NumSgprs: 56
; NumVgprs: 58
; NumAgprs: 0
; TotalNumVgprs: 58
; ScratchSize: 0
; MemoryBound: 0
; FloatMode: 240
; IeeeMode: 1
; LDSByteSize: 8192 bytes/workgroup (compile time only)
; SGPRBlocks: 6
; VGPRBlocks: 7
; NumSGPRsForWavesPerEU: 56
; NumVGPRsForWavesPerEU: 58
; AccumOffset: 60
; Occupancy: 8
; WaveLimiterHint : 1
; COMPUTE_PGM_RSRC2:SCRATCH_EN: 0
; COMPUTE_PGM_RSRC2:USER_SGPR: 2
; COMPUTE_PGM_RSRC2:TRAP_HANDLER: 0
; COMPUTE_PGM_RSRC2:TGID_X_EN: 1
; COMPUTE_PGM_RSRC2:TGID_Y_EN: 1
; COMPUTE_PGM_RSRC2:TGID_Z_EN: 1
; COMPUTE_PGM_RSRC2:TIDIG_COMP_CNT: 0
; COMPUTE_PGM_RSRC3_GFX90A:ACCUM_OFFSET: 14
; COMPUTE_PGM_RSRC3_GFX90A:TG_SPLIT: 0
	.section	.text._Z39paged_attention_ll4mi_QKV_mfma16_kernelI14__hip_bfloat16hLN4vllm18Fp8KVCacheDataTypeE1ES0_Li16ELi64ELi256ELb0ELi10EEvPKT_PKT0_S8_ifPKiSA_SA_iPKfiiiPfSD_PS3_PT2_iSC_SC_,"axG",@progbits,_Z39paged_attention_ll4mi_QKV_mfma16_kernelI14__hip_bfloat16hLN4vllm18Fp8KVCacheDataTypeE1ES0_Li16ELi64ELi256ELb0ELi10EEvPKT_PKT0_S8_ifPKiSA_SA_iPKfiiiPfSD_PS3_PT2_iSC_SC_,comdat
	.protected	_Z39paged_attention_ll4mi_QKV_mfma16_kernelI14__hip_bfloat16hLN4vllm18Fp8KVCacheDataTypeE1ES0_Li16ELi64ELi256ELb0ELi10EEvPKT_PKT0_S8_ifPKiSA_SA_iPKfiiiPfSD_PS3_PT2_iSC_SC_ ; -- Begin function _Z39paged_attention_ll4mi_QKV_mfma16_kernelI14__hip_bfloat16hLN4vllm18Fp8KVCacheDataTypeE1ES0_Li16ELi64ELi256ELb0ELi10EEvPKT_PKT0_S8_ifPKiSA_SA_iPKfiiiPfSD_PS3_PT2_iSC_SC_
	.globl	_Z39paged_attention_ll4mi_QKV_mfma16_kernelI14__hip_bfloat16hLN4vllm18Fp8KVCacheDataTypeE1ES0_Li16ELi64ELi256ELb0ELi10EEvPKT_PKT0_S8_ifPKiSA_SA_iPKfiiiPfSD_PS3_PT2_iSC_SC_
	.p2align	8
	.type	_Z39paged_attention_ll4mi_QKV_mfma16_kernelI14__hip_bfloat16hLN4vllm18Fp8KVCacheDataTypeE1ES0_Li16ELi64ELi256ELb0ELi10EEvPKT_PKT0_S8_ifPKiSA_SA_iPKfiiiPfSD_PS3_PT2_iSC_SC_,@function
_Z39paged_attention_ll4mi_QKV_mfma16_kernelI14__hip_bfloat16hLN4vllm18Fp8KVCacheDataTypeE1ES0_Li16ELi64ELi256ELb0ELi10EEvPKT_PKT0_S8_ifPKiSA_SA_iPKfiiiPfSD_PS3_PT2_iSC_SC_: ; @_Z39paged_attention_ll4mi_QKV_mfma16_kernelI14__hip_bfloat16hLN4vllm18Fp8KVCacheDataTypeE1ES0_Li16ELi64ELi256ELb0ELi10EEvPKT_PKT0_S8_ifPKiSA_SA_iPKfiiiPfSD_PS3_PT2_iSC_SC_
; %bb.0:
	s_load_dwordx2 s[12:13], s[0:1], 0x30
	s_mov_b32 s28, s3
	s_mov_b64 s[6:7], 0
	s_waitcnt lgkmcnt(0)
	s_cmp_lg_u64 s[12:13], 0
	s_cselect_b64 s[14:15], -1, 0
	s_and_b64 vcc, exec, s[14:15]
	s_cbranch_vccz .LBB1157_7
; %bb.1:
	s_add_i32 s8, s2, 1
	s_mov_b32 s9, 0
	s_lshl_b64 s[10:11], s[8:9], 2
	s_add_u32 s10, s12, s10
	s_mov_b32 s3, s9
	s_addc_u32 s11, s13, s11
	s_lshl_b64 s[8:9], s[2:3], 2
	s_add_u32 s8, s12, s8
	s_addc_u32 s9, s13, s9
	s_load_dword s5, s[10:11], 0x0
	s_load_dword s16, s[8:9], 0x0
	s_waitcnt lgkmcnt(0)
	s_sub_i32 s5, s5, s16
	s_cmp_eq_u32 s5, 1
	s_cselect_b64 s[8:9], -1, 0
	s_andn2_b64 vcc, exec, s[6:7]
	s_cbranch_vccnz .LBB1157_3
.LBB1157_2:
	s_mov_b32 s3, 0
	s_mov_b64 s[8:9], -1
.LBB1157_3:
	s_andn2_b64 vcc, exec, s[8:9]
	s_cbranch_vccnz .LBB1157_18
; %bb.4:
	s_load_dwordx2 s[6:7], s[0:1], 0x28
	s_lshl_b64 s[16:17], s[2:3], 2
	s_waitcnt lgkmcnt(0)
	s_add_u32 s6, s6, s16
	s_addc_u32 s7, s7, s17
	s_load_dword s33, s[6:7], 0x0
	s_lshl_b32 s5, s28, 8
	s_waitcnt lgkmcnt(0)
	s_cmp_ge_i32 s5, s33
	s_cbranch_scc1 .LBB1157_18
; %bb.5:
	s_load_dwordx2 s[6:7], s[0:1], 0x20
	s_load_dword s8, s[0:1], 0x38
	s_add_i32 s9, s33, 15
	s_ashr_i32 s10, s9, 31
	v_and_b32_e32 v1, 0xcf, v0
	s_lshr_b32 s10, s10, 28
	v_add_u32_e32 v1, s5, v1
	s_add_i32 s9, s9, s10
	v_ashrrev_i32_e32 v2, 31, v1
	s_ashr_i32 s18, s9, 4
	v_lshrrev_b32_e32 v4, 28, v2
	s_add_i32 s18, s18, -1
	s_waitcnt lgkmcnt(0)
	s_mul_i32 s8, s2, s8
	s_mov_b32 s9, 0
	v_add_u32_e32 v2, v1, v4
	s_lshl_b64 s[8:9], s[8:9], 2
	v_ashrrev_i32_e32 v2, 4, v2
	v_mov_b32_e32 v5, s18
	v_cmp_gt_i32_e32 vcc, s33, v1
	s_add_u32 s6, s6, s8
	s_addc_u32 s7, s7, s9
	v_cndmask_b32_e32 v2, v5, v2, vcc
	v_ashrrev_i32_e32 v3, 31, v2
	v_lshl_add_u64 v[6:7], v[2:3], 2, s[6:7]
	v_or_b32_e32 v2, 16, v1
	v_add_u32_e32 v3, v2, v4
	v_ashrrev_i32_e32 v3, 4, v3
	v_cmp_gt_i32_e32 vcc, s33, v2
	s_load_dwordx4 s[8:11], s[0:1], 0x8
	s_nop 0
	v_cndmask_b32_e32 v2, v5, v3, vcc
	v_ashrrev_i32_e32 v3, 31, v2
	v_lshl_add_u64 v[8:9], v[2:3], 2, s[6:7]
	v_or_b32_e32 v2, 32, v1
	v_add_u32_e32 v3, v2, v4
	v_ashrrev_i32_e32 v3, 4, v3
	v_cmp_gt_i32_e32 vcc, s33, v2
	v_or_b32_e32 v1, 48, v1
	s_nop 0
	v_cndmask_b32_e32 v2, v5, v3, vcc
	v_ashrrev_i32_e32 v3, 31, v2
	v_lshl_add_u64 v[10:11], v[2:3], 2, s[6:7]
	v_add_u32_e32 v2, v1, v4
	v_ashrrev_i32_e32 v2, 4, v2
	v_cmp_gt_i32_e32 vcc, s33, v1
	s_nop 1
	v_cndmask_b32_e32 v2, v5, v2, vcc
	v_ashrrev_i32_e32 v3, 31, v2
	v_lshl_add_u64 v[14:15], v[2:3], 2, s[6:7]
	global_load_dword v4, v[6:7], off
	global_load_dword v3, v[8:9], off
	;; [unrolled: 1-line block ×4, first 2 shown]
	s_andn2_b64 vcc, exec, s[14:15]
	s_cbranch_vccnz .LBB1157_8
; %bb.6:
	s_add_u32 s12, s12, s16
	s_addc_u32 s13, s13, s17
	s_load_dword s14, s[12:13], 0x0
	s_branch .LBB1157_9
.LBB1157_7:
	s_mov_b64 s[8:9], 0
	s_branch .LBB1157_2
.LBB1157_8:
	s_mov_b32 s14, s2
.LBB1157_9:
	s_load_dwordx4 s[44:47], s[0:1], 0x48
	v_lshrrev_b32_e32 v29, 6, v0
	v_bfe_u32 v42, v0, 4, 2
	v_lshl_or_b32 v5, v29, 2, v42
	v_and_b32_e32 v28, 15, v0
	v_lshlrev_b32_e32 v1, 3, v28
	v_cmp_gt_u32_e32 vcc, 10, v5
	v_cmp_gt_u32_e64 s[30:31], 8, v28
	v_and_b32_e32 v43, 63, v0
	s_mul_i32 s48, s4, 10
	s_and_b64 s[16:17], s[30:31], vcc
	v_lshlrev_b32_e32 v26, 1, v1
	v_lshlrev_b32_e32 v1, 4, v0
	s_and_saveexec_b64 s[12:13], s[16:17]
	s_cbranch_execz .LBB1157_11
; %bb.10:
	s_load_dwordx2 s[16:17], s[0:1], 0x0
	s_waitcnt lgkmcnt(0)
	s_ashr_i32 s15, s44, 31
	s_mul_hi_u32 s19, s14, s44
	s_mul_i32 s15, s14, s15
	s_add_i32 s15, s19, s15
	s_mul_i32 s14, s14, s44
	s_lshl_b64 s[14:15], s[14:15], 1
	s_add_u32 s14, s16, s14
	v_add_lshl_u32 v6, v5, s48, 6
	s_addc_u32 s15, s17, s15
	v_ashrrev_i32_e32 v7, 31, v6
	v_lshl_add_u64 v[6:7], v[6:7], 1, s[14:15]
	v_mov_b32_e32 v27, 0
	v_lshl_add_u64 v[6:7], v[6:7], 0, v[26:27]
	global_load_dwordx4 v[6:9], v[6:7], off
	v_lshlrev_b32_e32 v11, 8, v28
	v_lshlrev_b32_e32 v5, 5, v5
	v_and_b32_e32 v10, 16, v1
	v_and_b32_e32 v11, 0xe00, v11
	v_or3_b32 v5, v11, v5, v10
	s_waitcnt vmcnt(0)
	ds_write_b128 v5, v[6:9]
.LBB1157_11:
	s_or_b64 exec, exec, s[12:13]
	s_waitcnt lgkmcnt(0)
	s_mul_i32 s4, s4, s46
	s_add_u32 s8, s8, s4
	s_addc_u32 s9, s9, 0
	v_and_b32_e32 v8, 48, v0
	v_and_b32_e32 v30, 0xf0, v1
	v_mov_b32_e32 v31, 0
	v_lshl_add_u64 v[6:7], s[8:9], 0, v[30:31]
	v_lshlrev_b32_e32 v30, 4, v8
	v_or_b32_e32 v8, s5, v8
	v_lshl_add_u64 v[10:11], v[6:7], 0, v[30:31]
	v_ashrrev_i32_e32 v6, 4, v8
	v_mov_b32_e32 v27, s18
	v_cmp_gt_i32_e32 vcc, s33, v8
	s_load_dword s29, s[0:1], 0x98
	s_load_dwordx4 s[40:43], s[0:1], 0x80
	v_cndmask_b32_e32 v6, v27, v6, vcc
	v_ashrrev_i32_e32 v7, 31, v6
	v_lshl_add_u64 v[6:7], v[6:7], 2, s[6:7]
	s_waitcnt lgkmcnt(0)
	s_barrier
	s_waitcnt vmcnt(3)
	v_mad_i64_i32 v[4:5], s[8:9], v4, s45, v[10:11]
	global_load_dword v38, v[6:7], off
	global_load_dwordx4 v[22:25], v[4:5], off
	s_waitcnt vmcnt(4)
	v_mad_i64_i32 v[4:5], s[8:9], v3, s45, v[10:11]
	global_load_dwordx4 v[18:21], v[4:5], off
	s_waitcnt vmcnt(4)
	v_mad_i64_i32 v[2:3], s[8:9], v2, s45, v[10:11]
	global_load_dwordx4 v[14:17], v[2:3], off
	v_add_u32_e32 v4, -10, v28
	v_cmp_gt_u32_e32 vcc, 10, v28
	v_or_b32_e32 v13, 64, v8
	s_waitcnt vmcnt(4)
	v_mad_i64_i32 v[10:11], s[12:13], v12, s45, v[10:11]
	v_cndmask_b32_e32 v2, v4, v28, vcc
	v_lshlrev_b32_e32 v2, 5, v2
	v_lshl_add_u32 v2, v42, 9, v2
	v_or_b32_e32 v33, 0x80, v8
	v_or_b32_e32 v35, 0xc0, v8
	v_ashrrev_i32_e32 v32, 4, v13
	ds_read_b128 v[6:9], v2
	ds_read_b128 v[2:5], v2 offset:16
	v_cmp_gt_i32_e32 vcc, s33, v13
	global_load_dwordx4 v[10:13], v[10:11], off
	v_ashrrev_i32_e32 v34, 4, v33
	v_cndmask_b32_e32 v32, v27, v32, vcc
	v_cmp_gt_i32_e32 vcc, s33, v33
	v_ashrrev_i32_e32 v36, 4, v35
	v_ashrrev_i32_e32 v33, 31, v32
	v_cndmask_b32_e32 v34, v27, v34, vcc
	v_cmp_gt_i32_e32 vcc, s33, v35
	v_ashrrev_i32_e32 v35, 31, v34
	v_lshl_add_u64 v[32:33], v[32:33], 2, s[6:7]
	v_cndmask_b32_e32 v36, v27, v36, vcc
	v_ashrrev_i32_e32 v37, 31, v36
	v_lshl_add_u64 v[34:35], v[34:35], 2, s[6:7]
	v_lshl_add_u64 v[36:37], v[36:37], 2, s[6:7]
	s_add_u32 s8, s10, s4
	s_load_dword s4, s[40:41], 0x0
	global_load_dword v45, v[32:33], off
	global_load_dword v27, v[34:35], off
	;; [unrolled: 1-line block ×3, first 2 shown]
	v_lshlrev_b32_e32 v30, 4, v28
	s_addc_u32 s9, s11, 0
	v_lshl_or_b32 v30, v29, 8, v30
	s_mov_b32 s44, 0x7060302
	v_lshl_add_u64 v[30:31], s[8:9], 0, v[30:31]
	s_load_dword s14, s[0:1], 0x1c
	s_mov_b32 s46, 0xff7fffff
	s_waitcnt vmcnt(7)
	v_mad_i64_i32 v[32:33], s[6:7], v38, s45, v[30:31]
	s_waitcnt vmcnt(6)
	v_cvt_pk_f32_fp8_e32 v[34:35], v22
	v_cvt_pk_f32_fp8_sdwa v[36:37], v22 src0_sel:WORD_1
	v_cvt_pk_f32_fp8_e32 v[38:39], v23
	v_cvt_pk_f32_fp8_sdwa v[40:41], v23 src0_sel:WORD_1
	v_perm_b32 v34, v35, v34, s44
	v_perm_b32 v35, v37, v36, s44
	s_waitcnt vmcnt(5)
	v_cvt_pk_f32_fp8_e32 v[22:23], v18
	v_cvt_pk_f32_fp8_sdwa v[52:53], v18 src0_sel:WORD_1
	v_perm_b32 v38, v39, v38, s44
	v_perm_b32 v39, v41, v40, s44
	v_cvt_pk_f32_fp8_e32 v[46:47], v24
	v_cvt_pk_f32_fp8_sdwa v[48:49], v24 src0_sel:WORD_1
	v_cvt_pk_f32_fp8_e32 v[50:51], v25
	v_cvt_pk_f32_fp8_sdwa v[54:55], v25 src0_sel:WORD_1
	v_perm_b32 v36, v23, v22, s44
	s_waitcnt lgkmcnt(0)
	v_mfma_f32_16x16x16_bf16 v[22:25], v[34:35], v[6:7], 0
	v_cvt_pk_f32_fp8_e32 v[56:57], v19
	v_perm_b32 v37, v53, v52, s44
	v_cvt_pk_f32_fp8_sdwa v[18:19], v19 src0_sel:WORD_1
	v_mfma_f32_16x16x16_bf16 v[22:25], v[38:39], v[8:9], v[22:25]
	v_perm_b32 v38, v47, v46, s44
	v_perm_b32 v39, v49, v48, s44
	v_cvt_pk_f32_fp8_e32 v[40:41], v20
	v_perm_b32 v52, v57, v56, s44
	v_perm_b32 v53, v19, v18, s44
	v_cvt_pk_f32_fp8_sdwa v[18:19], v20 src0_sel:WORD_1
	v_mfma_f32_16x16x16_bf16 v[34:37], v[36:37], v[6:7], 0
	v_cvt_pk_f32_fp8_e32 v[46:47], v21
	v_perm_b32 v48, v51, v50, s44
	v_perm_b32 v49, v55, v54, s44
	v_mfma_f32_16x16x16_bf16 v[22:25], v[38:39], v[2:3], v[22:25]
	v_cvt_pk_f32_fp8_sdwa v[38:39], v21 src0_sel:WORD_1
	v_perm_b32 v40, v41, v40, s44
	v_perm_b32 v41, v19, v18, s44
	v_mfma_f32_16x16x16_bf16 v[34:37], v[52:53], v[8:9], v[34:37]
	v_perm_b32 v46, v47, v46, s44
	v_perm_b32 v47, v39, v38, s44
	s_waitcnt vmcnt(4)
	v_cvt_pk_f32_fp8_e32 v[38:39], v14
	v_mfma_f32_16x16x16_bf16 v[18:21], v[48:49], v[4:5], v[22:25]
	v_cvt_pk_f32_fp8_sdwa v[50:51], v17 src0_sel:WORD_1
	v_mov_b32_e32 v48, s14
	v_mul_f32_e32 v48, s4, v48
	v_mfma_f32_16x16x16_bf16 v[22:25], v[40:41], v[2:3], v[34:37]
	v_cvt_pk_f32_fp8_sdwa v[40:41], v14 src0_sel:WORD_1
	v_mfma_f32_16x16x16_bf16 v[34:37], v[46:47], v[4:5], v[22:25]
	v_cvt_pk_f32_fp8_sdwa v[46:47], v16 src0_sel:WORD_1
	s_nop 3
	v_cvt_pk_f32_fp8_e32 v[22:23], v15
	v_perm_b32 v24, v39, v38, s44
	v_perm_b32 v25, v41, v40, s44
	v_cvt_pk_f32_fp8_sdwa v[14:15], v15 src0_sel:WORD_1
	v_perm_b32 v38, v23, v22, s44
	v_cvt_pk_f32_fp8_e32 v[40:41], v16
	v_mfma_f32_16x16x16_bf16 v[22:25], v[24:25], v[6:7], 0
	v_perm_b32 v39, v15, v14, s44
	v_perm_b32 v40, v41, v40, s44
	;; [unrolled: 1-line block ×3, first 2 shown]
	v_cvt_pk_f32_fp8_e32 v[46:47], v17
	v_mfma_f32_16x16x16_bf16 v[14:17], v[38:39], v[8:9], v[22:25]
	s_waitcnt vmcnt(3)
	v_cvt_pk_f32_fp8_sdwa v[38:39], v10 src0_sel:WORD_1
	v_pk_mul_f32 v[36:37], v[48:49], v[36:37] op_sel_hi:[0,1]
	v_perm_b32 v24, v47, v46, s44
	v_perm_b32 v25, v51, v50, s44
	v_pk_mul_f32 v[22:23], v[48:49], v[20:21] op_sel_hi:[0,1]
	v_mfma_f32_16x16x16_bf16 v[14:17], v[40:41], v[2:3], v[14:17]
	v_pk_mul_f32 v[20:21], v[48:49], v[18:19] op_sel_hi:[0,1]
	v_cvt_pk_f32_fp8_e32 v[18:19], v10
	v_cvt_pk_f32_fp8_e32 v[46:47], v12
	v_mfma_f32_16x16x16_bf16 v[14:17], v[24:25], v[4:5], v[14:17]
	v_cvt_pk_f32_fp8_e32 v[24:25], v11
	v_perm_b32 v18, v19, v18, s44
	v_perm_b32 v19, v39, v38, s44
	v_cvt_pk_f32_fp8_sdwa v[10:11], v11 src0_sel:WORD_1
	v_perm_b32 v24, v25, v24, s44
	v_cvt_pk_f32_fp8_sdwa v[50:51], v12 src0_sel:WORD_1
	v_mfma_f32_16x16x16_bf16 v[38:41], v[18:19], v[6:7], 0
	v_perm_b32 v25, v11, v10, s44
	v_perm_b32 v10, v47, v46, s44
	;; [unrolled: 1-line block ×3, first 2 shown]
	v_cvt_pk_f32_fp8_e32 v[18:19], v13
	v_cvt_pk_f32_fp8_sdwa v[12:13], v13 src0_sel:WORD_1
	v_mfma_f32_16x16x16_bf16 v[6:9], v[24:25], v[8:9], v[38:41]
	v_perm_b32 v18, v19, v18, s44
	v_perm_b32 v19, v13, v12, s44
	v_mfma_f32_16x16x16_bf16 v[6:9], v[10:11], v[2:3], v[6:9]
	v_pk_mul_f32 v[40:41], v[48:49], v[34:35] op_sel_hi:[0,1]
	v_pk_mul_f32 v[38:39], v[48:49], v[14:15] op_sel_hi:[0,1]
	;; [unrolled: 1-line block ×3, first 2 shown]
	v_mfma_f32_16x16x16_bf16 v[2:5], v[18:19], v[4:5], v[6:9]
	s_nop 6
	v_pk_mul_f32 v[24:25], v[48:49], v[2:3] op_sel_hi:[0,1]
	v_and_b32_e32 v2, 0xc0, v0
	v_add_u32_e32 v2, s5, v2
	v_lshl_or_b32 v2, v42, 2, v2
	v_pk_mul_f32 v[18:19], v[48:49], v[4:5] op_sel_hi:[0,1]
	v_or_b32_e32 v5, 1, v2
	v_mov_b32_e32 v3, 0xff7fffff
	v_cmp_gt_i32_e64 s[4:5], s33, v2
	v_cmp_gt_i32_e64 s[34:35], s33, v5
	v_or_b32_e32 v6, 3, v2
	v_cndmask_b32_e64 v4, v3, v20, s[4:5]
	v_cndmask_b32_e64 v5, v3, v21, s[34:35]
	v_max3_f32 v4, v4, s46, v5
	v_or_b32_e32 v5, 2, v2
	v_cmp_gt_i32_e64 s[36:37], s33, v5
	v_cmp_gt_i32_e64 s[38:39], s33, v6
	s_nop 0
	v_cndmask_b32_e64 v5, v3, v22, s[36:37]
	v_cndmask_b32_e64 v6, v3, v23, s[38:39]
	v_max3_f32 v4, v4, v5, v6
	v_or_b32_e32 v5, 16, v2
	v_or_b32_e32 v6, 17, v2
	v_cmp_gt_i32_e64 s[24:25], s33, v5
	v_cmp_gt_i32_e64 s[26:27], s33, v6
	s_nop 0
	v_cndmask_b32_e64 v5, v3, v40, s[24:25]
	v_cndmask_b32_e64 v6, v3, v41, s[26:27]
	v_max3_f32 v4, v4, v5, v6
	v_or_b32_e32 v5, 18, v2
	;; [unrolled: 8-line block ×6, first 2 shown]
	v_or_b32_e32 v2, 51, v2
	v_cmp_gt_i32_e32 vcc, s33, v5
	v_cmp_gt_i32_e64 s[6:7], s33, v2
	s_nop 0
	v_cndmask_b32_e32 v5, v3, v18, vcc
	v_cndmask_b32_e64 v2, v3, v19, s[6:7]
	v_max3_f32 v4, v4, v5, v2
	v_mbcnt_lo_u32_b32 v2, -1, 0
	v_mbcnt_hi_u32_b32 v5, -1, v2
	v_and_b32_e32 v2, 64, v5
	v_add_u32_e32 v6, 64, v2
	v_xor_b32_e32 v2, 32, v5
	v_cmp_lt_i32_e64 s[40:41], v2, v6
	s_nop 1
	v_cndmask_b32_e64 v2, v5, v2, s[40:41]
	v_lshlrev_b32_e32 v46, 2, v2
	ds_bpermute_b32 v7, v46, v4
	s_waitcnt vmcnt(2)
	v_mad_i64_i32 v[2:3], s[40:41], v45, s45, v[30:31]
	global_load_dwordx4 v[14:17], v[32:33], off
	global_load_dwordx4 v[10:13], v[2:3], off
	v_xor_b32_e32 v3, 16, v5
	v_cmp_lt_i32_e64 s[40:41], v3, v6
	s_waitcnt lgkmcnt(0)
	v_max_f32_e32 v2, v7, v7
	v_max_f32_e32 v2, v4, v2
	v_cndmask_b32_e64 v3, v5, v3, s[40:41]
	v_lshlrev_b32_e32 v45, 2, v3
	ds_bpermute_b32 v3, v45, v2
	s_waitcnt vmcnt(3)
	v_mad_i64_i32 v[32:33], s[40:41], v27, s45, v[30:31]
	s_waitcnt vmcnt(2)
	v_mad_i64_i32 v[30:31], s[40:41], v44, s45, v[30:31]
	s_waitcnt lgkmcnt(0)
	v_max_f32_e32 v3, v3, v3
	v_max_f32_e32 v27, v2, v3
	v_sub_f32_e32 v2, v20, v27
	v_mul_f32_e32 v2, 0x3fb8aa3b, v2
	v_exp_f32_e32 v20, v2
	v_sub_f32_e32 v2, v21, v27
	v_mul_f32_e32 v2, 0x3fb8aa3b, v2
	v_exp_f32_e32 v21, v2
	global_load_dwordx4 v[6:9], v[32:33], off
	global_load_dwordx4 v[2:5], v[30:31], off
	v_sub_f32_e32 v22, v22, v27
	v_mul_f32_e32 v22, 0x3fb8aa3b, v22
	v_sub_f32_e32 v23, v23, v27
	v_exp_f32_e32 v22, v22
	v_mul_f32_e32 v23, 0x3fb8aa3b, v23
	v_exp_f32_e32 v23, v23
	v_cndmask_b32_e64 v20, 0, v20, s[4:5]
	v_add_f32_e32 v30, 0, v20
	v_cndmask_b32_e64 v21, 0, v21, s[34:35]
	v_add_f32_e32 v30, v30, v21
	;; [unrolled: 2-line block ×3, first 2 shown]
	v_cndmask_b32_e64 v33, 0, v23, s[38:39]
	v_sub_f32_e32 v23, v40, v27
	v_sub_f32_e32 v30, v41, v27
	v_mul_f32_e32 v23, 0x3fb8aa3b, v23
	v_mul_f32_e32 v30, 0x3fb8aa3b, v30
	v_exp_f32_e32 v23, v23
	v_exp_f32_e32 v30, v30
	v_add_f32_e32 v31, v22, v33
	v_sub_f32_e32 v34, v34, v27
	v_cndmask_b32_e64 v22, 0, v23, s[24:25]
	v_cndmask_b32_e64 v23, 0, v30, s[26:27]
	v_sub_f32_e32 v30, v36, v27
	v_mul_f32_e32 v30, 0x3fb8aa3b, v30
	v_exp_f32_e32 v30, v30
	v_sub_f32_e32 v36, v37, v27
	v_add_f32_e32 v31, v31, v22
	v_mul_f32_e32 v36, 0x3fb8aa3b, v36
	v_exp_f32_e32 v37, v36
	v_add_f32_e32 v31, v31, v23
	v_cndmask_b32_e64 v36, 0, v30, s[20:21]
	v_add_f32_e32 v30, v31, v36
	v_sub_f32_e32 v31, v38, v27
	v_mul_f32_e32 v31, 0x3fb8aa3b, v31
	v_sub_f32_e32 v38, v39, v27
	v_exp_f32_e32 v31, v31
	v_mul_f32_e32 v38, 0x3fb8aa3b, v38
	v_exp_f32_e32 v38, v38
	v_mul_f32_e32 v34, 0x3fb8aa3b, v34
	v_sub_f32_e32 v35, v35, v27
	v_exp_f32_e32 v34, v34
	v_mul_f32_e32 v35, 0x3fb8aa3b, v35
	v_sub_f32_e32 v24, v24, v27
	v_cndmask_b32_e64 v37, 0, v37, s[22:23]
	v_exp_f32_e32 v35, v35
	v_mul_f32_e32 v24, 0x3fb8aa3b, v24
	v_sub_f32_e32 v25, v25, v27
	v_add_f32_e32 v39, v30, v37
	v_cndmask_b32_e64 v30, 0, v31, s[16:17]
	v_exp_f32_e32 v24, v24
	v_mul_f32_e32 v25, 0x3fb8aa3b, v25
	v_sub_f32_e32 v18, v18, v27
	v_add_f32_e32 v39, v39, v30
	;; [unrolled: 5-line block ×3, first 2 shown]
	v_cndmask_b32_e64 v34, 0, v34, s[12:13]
	v_exp_f32_e32 v18, v18
	v_mul_f32_e32 v19, 0x3fb8aa3b, v19
	v_add_f32_e32 v38, v38, v34
	v_cndmask_b32_e64 v35, 0, v35, s[14:15]
	v_exp_f32_e32 v19, v19
	v_add_f32_e32 v38, v38, v35
	v_cndmask_b32_e64 v24, 0, v24, s[8:9]
	v_add_f32_e32 v38, v38, v24
	v_cndmask_b32_e64 v25, 0, v25, s[10:11]
	v_add_f32_e32 v38, v38, v25
	v_cndmask_b32_e32 v18, 0, v18, vcc
	v_add_f32_e32 v38, v38, v18
	v_cndmask_b32_e64 v19, 0, v19, s[6:7]
	v_add_f32_e32 v38, v38, v19
	ds_bpermute_b32 v39, v46, v38
	v_cmp_gt_u32_e32 vcc, 16, v43
	s_waitcnt lgkmcnt(0)
	s_barrier
	v_add_f32_e32 v39, v38, v39
	ds_bpermute_b32 v40, v45, v39
	v_lshlrev_b32_e32 v38, 2, v28
	s_and_saveexec_b64 s[4:5], vcc
	s_cbranch_execz .LBB1157_13
; %bb.12:
	s_waitcnt lgkmcnt(0)
	v_add_f32_e32 v39, v39, v40
	v_lshl_or_b32 v40, v29, 6, v38
	ds_write2st64_b32 v40, v27, v39 offset1:1
.LBB1157_13:
	s_or_b64 exec, exec, s[4:5]
	s_load_dword s6, s[0:1], 0x94
	s_waitcnt lgkmcnt(0)
	s_barrier
	ds_read2_b32 v[40:41], v38 offset1:16
	ds_read2_b32 v[44:45], v38 offset0:32 offset1:48
	ds_read2_b32 v[46:47], v38 offset0:64 offset1:80
	s_movk_i32 s8, 0x7fff
	s_mul_i32 s7, s29, 10
	s_waitcnt lgkmcnt(2)
	v_max3_f32 v27, v40, s46, v41
	s_waitcnt lgkmcnt(1)
	v_max3_f32 v27, v27, v44, v45
	v_sub_f32_e32 v39, v40, v27
	v_sub_f32_e32 v40, v41, v27
	v_mul_f32_e32 v40, 0x3fb8aa3b, v40
	v_mul_f32_e32 v39, 0x3fb8aa3b, v39
	v_exp_f32_e32 v43, v40
	v_sub_f32_e32 v40, v44, v27
	v_exp_f32_e32 v39, v39
	v_mul_f32_e32 v40, 0x3fb8aa3b, v40
	v_exp_f32_e32 v44, v40
	ds_read2_b32 v[40:41], v38 offset0:96 offset1:112
	v_sub_f32_e32 v38, v45, v27
	v_mul_f32_e32 v38, 0x3fb8aa3b, v38
	v_exp_f32_e32 v45, v38
	s_waitcnt lgkmcnt(1)
	v_fma_f32 v38, v39, v46, 0
	v_fmac_f32_e32 v38, v43, v47
	s_waitcnt lgkmcnt(0)
	v_fmac_f32_e32 v38, v44, v40
	v_fmac_f32_e32 v38, v45, v41
	v_add_f32_e32 v40, 0x358637bd, v38
	v_div_scale_f32 v41, s[4:5], v40, v40, 1.0
	v_rcp_f32_e32 v46, v41
	s_barrier
	v_fma_f32 v47, -v41, v46, 1.0
	v_fmac_f32_e32 v46, v47, v46
	v_div_scale_f32 v47, vcc, 1.0, v40, 1.0
	v_mul_f32_e32 v48, v47, v46
	v_fma_f32 v49, -v41, v48, v47
	v_fmac_f32_e32 v48, v49, v46
	v_fma_f32 v41, -v41, v48, v47
	v_div_fmas_f32 v41, v41, v46, v48
	v_cmp_eq_u32_e32 vcc, 1, v29
	v_div_fixup_f32 v40, v41, v40, 1.0
	s_nop 0
	v_cndmask_b32_e32 v39, v39, v43, vcc
	v_cmp_eq_u32_e32 vcc, 2, v29
	s_nop 1
	v_cndmask_b32_e32 v39, v39, v44, vcc
	v_cmp_eq_u32_e32 vcc, 3, v29
	v_lshlrev_b32_e32 v29, 11, v29
	s_nop 0
	v_cndmask_b32_e32 v39, v39, v45, vcc
	v_mul_f32_e32 v40, v39, v40
	v_pk_mul_f32 v[20:21], v[40:41], v[20:21] op_sel_hi:[0,1]
	v_pk_mul_f32 v[32:33], v[40:41], v[32:33] op_sel_hi:[0,1]
	v_bfe_u32 v39, v21, 16, 1
	v_bfe_u32 v41, v20, 16, 1
	v_add3_u32 v20, v20, v41, s8
	v_add3_u32 v21, v21, v39, s8
	v_perm_b32 v44, v21, v20, s44
	v_bfe_u32 v20, v33, 16, 1
	v_bfe_u32 v21, v32, 16, 1
	v_add3_u32 v21, v32, v21, s8
	v_add3_u32 v20, v33, v20, s8
	v_perm_b32 v45, v20, v21, s44
	v_lshlrev_b32_e32 v20, 3, v42
	v_lshlrev_b32_e32 v21, 5, v28
	v_pk_mul_f32 v[22:23], v[40:41], v[22:23] op_sel_hi:[0,1]
	v_or3_b32 v20, v29, v21, v20
	v_pk_mul_f32 v[32:33], v[40:41], v[36:37] op_sel_hi:[0,1]
	v_bfe_u32 v29, v23, 16, 1
	v_bfe_u32 v36, v22, 16, 1
	v_add3_u32 v22, v22, v36, s8
	v_add3_u32 v23, v23, v29, s8
	v_perm_b32 v22, v23, v22, s44
	v_bfe_u32 v23, v33, 16, 1
	v_bfe_u32 v29, v32, 16, 1
	v_add3_u32 v29, v32, v29, s8
	v_add3_u32 v23, v33, v23, s8
	v_pk_mul_f32 v[30:31], v[40:41], v[30:31] op_sel_hi:[0,1]
	v_perm_b32 v23, v23, v29, s44
	v_bfe_u32 v29, v31, 16, 1
	v_bfe_u32 v32, v30, 16, 1
	ds_write2st64_b64 v20, v[44:45], v[22:23] offset1:1
	v_pk_mul_f32 v[22:23], v[40:41], v[34:35] op_sel_hi:[0,1]
	v_add3_u32 v30, v30, v32, s8
	v_add3_u32 v29, v31, v29, s8
	v_perm_b32 v30, v29, v30, s44
	v_bfe_u32 v29, v23, 16, 1
	v_bfe_u32 v31, v22, 16, 1
	v_add3_u32 v22, v22, v31, s8
	v_add3_u32 v23, v23, v29, s8
	v_perm_b32 v31, v23, v22, s44
	v_pk_mul_f32 v[22:23], v[40:41], v[24:25] op_sel_hi:[0,1]
	v_bfe_u32 v24, v23, 16, 1
	v_bfe_u32 v25, v22, 16, 1
	v_pk_mul_f32 v[18:19], v[40:41], v[18:19] op_sel_hi:[0,1]
	v_add3_u32 v22, v22, v25, s8
	v_add3_u32 v23, v23, v24, s8
	v_perm_b32 v22, v23, v22, s44
	v_bfe_u32 v23, v19, 16, 1
	v_bfe_u32 v24, v18, 16, 1
	v_add3_u32 v18, v18, v24, s8
	v_add3_u32 v19, v19, v23, s8
	v_perm_b32 v23, v19, v18, s44
	v_cmp_gt_u32_e32 vcc, 10, v0
	ds_write2st64_b64 v20, v[30:31], v[22:23] offset0:2 offset1:3
	s_and_saveexec_b64 s[4:5], vcc
	s_cbranch_execz .LBB1157_15
; %bb.14:
	s_mov_b32 s49, 0
	v_mov_b32_e32 v29, 0
	v_lshl_add_u64 v[18:19], s[48:49], 0, v[28:29]
	v_mov_b32_e32 v22, s7
	v_mad_u64_u32 v[18:19], s[10:11], s2, v22, v[18:19]
	s_mul_i32 s3, s3, s7
	v_mov_b32_e32 v28, s28
	s_load_dwordx4 s[12:15], s[0:1], 0x58
	v_add_u32_e32 v23, s3, v19
	v_mad_u64_u32 v[18:19], s[10:11], v18, s6, v[28:29]
	v_mov_b32_e32 v22, v19
	v_mad_u64_u32 v[22:23], s[10:11], v23, s6, v[22:23]
	v_mov_b32_e32 v19, v22
	v_lshlrev_b64 v[18:19], 2, v[18:19]
	s_waitcnt lgkmcnt(0)
	v_lshl_add_u64 v[22:23], s[14:15], 0, v[18:19]
	v_lshl_add_u64 v[18:19], s[12:13], 0, v[18:19]
	global_store_dword v[22:23], v27, off
	global_store_dword v[18:19], v38, off
.LBB1157_15:
	s_or_b64 exec, exec, s[4:5]
	s_waitcnt vmcnt(3)
	v_cvt_pk_f32_fp8_e32 v[18:19], v14
	v_cvt_pk_f32_fp8_sdwa v[22:23], v14 src0_sel:WORD_1
	s_mov_b32 s4, 0x7060302
	v_lshl_or_b32 v14, v42, 9, v21
	s_waitcnt lgkmcnt(0)
	s_barrier
	v_perm_b32 v18, v19, v18, s4
	v_perm_b32 v19, v23, v22, s4
	v_cvt_pk_f32_fp8_e32 v[28:29], v15
	ds_read_b128 v[22:25], v14
	v_cvt_pk_f32_fp8_sdwa v[36:37], v15 src0_sel:WORD_1
	s_load_dword s10, s[42:43], 0x0
	v_perm_b32 v38, v29, v28, s4
	ds_read_b128 v[28:31], v14 offset:16
	v_perm_b32 v39, v37, v36, s4
	s_waitcnt lgkmcnt(0)
	v_mfma_f32_16x16x16_bf16 v[32:35], v[18:19], v[22:23], 0
	v_cvt_pk_f32_fp8_e32 v[18:19], v16
	v_cvt_pk_f32_fp8_sdwa v[36:37], v16 src0_sel:WORD_1
	v_cmp_gt_u32_e32 vcc, 64, v0
	v_mfma_f32_16x16x16_bf16 v[22:25], v[38:39], v[24:25], v[32:35]
	v_perm_b32 v18, v19, v18, s4
	v_perm_b32 v19, v37, v36, s4
	s_waitcnt vmcnt(2)
	v_cvt_pk_f32_fp8_sdwa v[36:37], v10 src0_sel:WORD_1
	v_cvt_pk_f32_fp8_e32 v[32:33], v17
	v_cvt_pk_f32_fp8_sdwa v[16:17], v17 src0_sel:WORD_1
	v_cvt_pk_f32_fp8_e32 v[34:35], v10
	s_mov_b32 s3, 0
	v_perm_b32 v32, v33, v32, s4
	v_perm_b32 v33, v17, v16, s4
	v_mfma_f32_16x16x16_bf16 v[16:19], v[18:19], v[28:29], v[22:25]
	v_perm_b32 v34, v35, v34, s4
	v_perm_b32 v35, v37, v36, s4
	v_cvt_pk_f32_fp8_e32 v[28:29], v11
	ds_read_b128 v[22:25], v14 offset:2048
	v_cvt_pk_f32_fp8_sdwa v[10:11], v11 src0_sel:WORD_1
	v_mfma_f32_16x16x16_bf16 v[16:19], v[32:33], v[30:31], v[16:19]
	v_perm_b32 v32, v29, v28, s4
	ds_read_b128 v[28:31], v14 offset:2064
	v_perm_b32 v33, v11, v10, s4
	s_waitcnt lgkmcnt(1)
	v_mfma_f32_16x16x16_bf16 v[16:19], v[34:35], v[22:23], v[16:19]
	v_cvt_pk_f32_fp8_e32 v[10:11], v12
	v_cvt_pk_f32_fp8_sdwa v[22:23], v12 src0_sel:WORD_1
	v_mov_b32_e32 v27, 0
	v_mfma_f32_16x16x16_bf16 v[16:19], v[32:33], v[24:25], v[16:19]
	v_cvt_pk_f32_fp8_e32 v[24:25], v13
	v_perm_b32 v10, v11, v10, s4
	v_perm_b32 v11, v23, v22, s4
	v_cvt_pk_f32_fp8_sdwa v[12:13], v13 src0_sel:WORD_1
	v_perm_b32 v22, v25, v24, s4
	s_waitcnt vmcnt(1)
	v_cvt_pk_f32_fp8_e32 v[24:25], v6
	v_cvt_pk_f32_fp8_sdwa v[32:33], v6 src0_sel:WORD_1
	v_perm_b32 v23, v13, v12, s4
	s_waitcnt lgkmcnt(0)
	v_mfma_f32_16x16x16_bf16 v[10:13], v[10:11], v[28:29], v[16:19]
	v_perm_b32 v28, v25, v24, s4
	v_perm_b32 v29, v33, v32, s4
	v_cvt_pk_f32_fp8_e32 v[24:25], v7
	ds_read_b128 v[16:19], v14 offset:4096
	v_cvt_pk_f32_fp8_sdwa v[6:7], v7 src0_sel:WORD_1
	v_mfma_f32_16x16x16_bf16 v[10:13], v[22:23], v[30:31], v[10:13]
	v_perm_b32 v30, v25, v24, s4
	ds_read_b128 v[22:25], v14 offset:4112
	v_perm_b32 v31, v7, v6, s4
	s_waitcnt lgkmcnt(1)
	v_mfma_f32_16x16x16_bf16 v[10:13], v[28:29], v[16:17], v[10:13]
	v_cvt_pk_f32_fp8_e32 v[6:7], v8
	v_cvt_pk_f32_fp8_sdwa v[16:17], v8 src0_sel:WORD_1
	s_waitcnt vmcnt(0)
	v_cvt_pk_f32_fp8_sdwa v[28:29], v2 src0_sel:WORD_1
	v_mfma_f32_16x16x16_bf16 v[10:13], v[30:31], v[18:19], v[10:13]
	v_cvt_pk_f32_fp8_e32 v[18:19], v9
	v_perm_b32 v6, v7, v6, s4
	v_perm_b32 v7, v17, v16, s4
	v_cvt_pk_f32_fp8_sdwa v[8:9], v9 src0_sel:WORD_1
	v_perm_b32 v16, v19, v18, s4
	v_cvt_pk_f32_fp8_e32 v[18:19], v2
	v_perm_b32 v17, v9, v8, s4
	s_waitcnt lgkmcnt(0)
	v_mfma_f32_16x16x16_bf16 v[6:9], v[6:7], v[22:23], v[10:13]
	v_perm_b32 v18, v19, v18, s4
	v_perm_b32 v19, v29, v28, s4
	v_cvt_pk_f32_fp8_e32 v[22:23], v3
	ds_read_b128 v[10:13], v14 offset:6144
	v_cvt_pk_f32_fp8_sdwa v[2:3], v3 src0_sel:WORD_1
	v_mfma_f32_16x16x16_bf16 v[6:9], v[16:17], v[24:25], v[6:9]
	v_perm_b32 v22, v23, v22, s4
	ds_read_b128 v[14:17], v14 offset:6160
	v_perm_b32 v23, v3, v2, s4
	s_waitcnt lgkmcnt(1)
	v_mfma_f32_16x16x16_bf16 v[6:9], v[18:19], v[10:11], v[6:9]
	v_cvt_pk_f32_fp8_e32 v[2:3], v4
	v_cvt_pk_f32_fp8_sdwa v[10:11], v4 src0_sel:WORD_1
	s_waitcnt lgkmcnt(0)
	v_mfma_f32_16x16x16_bf16 v[6:9], v[22:23], v[12:13], v[6:9]
	v_perm_b32 v2, v3, v2, s4
	v_perm_b32 v3, v11, v10, s4
	v_cvt_pk_f32_fp8_e32 v[10:11], v5
	v_cvt_pk_f32_fp8_sdwa v[4:5], v5 src0_sel:WORD_1
	s_barrier
	v_perm_b32 v10, v11, v10, s4
	v_perm_b32 v11, v5, v4, s4
	v_mfma_f32_16x16x16_bf16 v[2:5], v[2:3], v[14:15], v[6:9]
	s_nop 0
	v_mfma_f32_16x16x16_bf16 v[2:5], v[10:11], v[16:17], v[2:5]
	s_nop 6
	v_pk_mul_f32 v[2:3], v[2:3], s[10:11] op_sel_hi:[1,0]
	v_pk_mul_f32 v[4:5], v[4:5], s[10:11] op_sel_hi:[1,0]
	v_bfe_u32 v6, v3, 16, 1
	v_bfe_u32 v7, v2, 16, 1
	v_add3_u32 v2, v2, v7, s8
	v_add3_u32 v3, v3, v6, s8
	v_perm_b32 v2, v3, v2, s4
	v_bfe_u32 v3, v5, 16, 1
	v_bfe_u32 v6, v4, 16, 1
	v_add3_u32 v4, v4, v6, s8
	v_add3_u32 v3, v5, v3, s8
	v_perm_b32 v3, v3, v4, s4
	s_and_b64 s[4:5], vcc, s[30:31]
	ds_write_b64 v20, v[2:3]
	s_waitcnt lgkmcnt(0)
	s_barrier
	s_and_saveexec_b64 s[8:9], s[4:5]
	s_cbranch_execz .LBB1157_18
; %bb.16:
	s_load_dwordx2 s[4:5], s[0:1], 0x68
	s_lshl_b32 s0, s6, 6
	s_mul_i32 s1, s7, s2
	s_mul_hi_u32 s7, s1, s0
	s_mul_i32 s6, s1, s0
	v_lshlrev_b32_e32 v0, 10, v0
	s_lshl_b64 s[6:7], s[6:7], 1
	v_and_b32_e32 v0, 0x1800, v0
	v_lshlrev_b32_e32 v2, 5, v42
	v_and_b32_e32 v1, 16, v1
	s_waitcnt lgkmcnt(0)
	s_add_u32 s1, s4, s6
	v_or3_b32 v2, v0, v2, v1
	s_addc_u32 s4, s5, s7
	s_lshl_b32 s2, s28, 6
	s_lshl_b64 s[2:3], s[2:3], 1
	ds_read_b128 v[4:7], v2 offset:128
	ds_read_b128 v[8:11], v2
	s_add_u32 s2, s1, s2
	s_addc_u32 s3, s4, s3
	v_add_u32_e32 v14, s48, v42
	v_lshl_add_u64 v[0:1], s[2:3], 0, v[26:27]
	v_mad_u64_u32 v[12:13], s[2:3], v14, s0, 0
	v_lshl_add_u64 v[12:13], v[12:13], 1, v[0:1]
	s_waitcnt lgkmcnt(0)
	global_store_dwordx4 v[12:13], v[8:11], off
	v_or_b32_e32 v3, 8, v42
	v_cmp_gt_u32_e32 vcc, 10, v3
	v_add_u32_e32 v8, 4, v14
	v_mad_u64_u32 v[8:9], s[2:3], v8, s0, 0
	v_lshl_add_u64 v[8:9], v[8:9], 1, v[0:1]
	global_store_dwordx4 v[8:9], v[4:7], off
	s_and_b64 exec, exec, vcc
	s_cbranch_execz .LBB1157_18
; %bb.17:
	ds_read_b128 v[4:7], v2 offset:256
	v_add_u32_e32 v2, s48, v3
	v_mad_u64_u32 v[2:3], s[0:1], v2, s0, 0
	v_lshl_add_u64 v[0:1], v[2:3], 1, v[0:1]
	s_waitcnt lgkmcnt(0)
	global_store_dwordx4 v[0:1], v[4:7], off
.LBB1157_18:
	s_endpgm
	.section	.rodata,"a",@progbits
	.p2align	6, 0x0
	.amdhsa_kernel _Z39paged_attention_ll4mi_QKV_mfma16_kernelI14__hip_bfloat16hLN4vllm18Fp8KVCacheDataTypeE1ES0_Li16ELi64ELi256ELb0ELi10EEvPKT_PKT0_S8_ifPKiSA_SA_iPKfiiiPfSD_PS3_PT2_iSC_SC_
		.amdhsa_group_segment_fixed_size 8192
		.amdhsa_private_segment_fixed_size 0
		.amdhsa_kernarg_size 400
		.amdhsa_user_sgpr_count 2
		.amdhsa_user_sgpr_dispatch_ptr 0
		.amdhsa_user_sgpr_queue_ptr 0
		.amdhsa_user_sgpr_kernarg_segment_ptr 1
		.amdhsa_user_sgpr_dispatch_id 0
		.amdhsa_user_sgpr_kernarg_preload_length 0
		.amdhsa_user_sgpr_kernarg_preload_offset 0
		.amdhsa_user_sgpr_private_segment_size 0
		.amdhsa_uses_dynamic_stack 0
		.amdhsa_enable_private_segment 0
		.amdhsa_system_sgpr_workgroup_id_x 1
		.amdhsa_system_sgpr_workgroup_id_y 1
		.amdhsa_system_sgpr_workgroup_id_z 1
		.amdhsa_system_sgpr_workgroup_info 0
		.amdhsa_system_vgpr_workitem_id 0
		.amdhsa_next_free_vgpr 58
		.amdhsa_next_free_sgpr 50
		.amdhsa_accum_offset 60
		.amdhsa_reserve_vcc 1
		.amdhsa_float_round_mode_32 0
		.amdhsa_float_round_mode_16_64 0
		.amdhsa_float_denorm_mode_32 3
		.amdhsa_float_denorm_mode_16_64 3
		.amdhsa_dx10_clamp 1
		.amdhsa_ieee_mode 1
		.amdhsa_fp16_overflow 0
		.amdhsa_tg_split 0
		.amdhsa_exception_fp_ieee_invalid_op 0
		.amdhsa_exception_fp_denorm_src 0
		.amdhsa_exception_fp_ieee_div_zero 0
		.amdhsa_exception_fp_ieee_overflow 0
		.amdhsa_exception_fp_ieee_underflow 0
		.amdhsa_exception_fp_ieee_inexact 0
		.amdhsa_exception_int_div_zero 0
	.end_amdhsa_kernel
	.section	.text._Z39paged_attention_ll4mi_QKV_mfma16_kernelI14__hip_bfloat16hLN4vllm18Fp8KVCacheDataTypeE1ES0_Li16ELi64ELi256ELb0ELi10EEvPKT_PKT0_S8_ifPKiSA_SA_iPKfiiiPfSD_PS3_PT2_iSC_SC_,"axG",@progbits,_Z39paged_attention_ll4mi_QKV_mfma16_kernelI14__hip_bfloat16hLN4vllm18Fp8KVCacheDataTypeE1ES0_Li16ELi64ELi256ELb0ELi10EEvPKT_PKT0_S8_ifPKiSA_SA_iPKfiiiPfSD_PS3_PT2_iSC_SC_,comdat
.Lfunc_end1157:
	.size	_Z39paged_attention_ll4mi_QKV_mfma16_kernelI14__hip_bfloat16hLN4vllm18Fp8KVCacheDataTypeE1ES0_Li16ELi64ELi256ELb0ELi10EEvPKT_PKT0_S8_ifPKiSA_SA_iPKfiiiPfSD_PS3_PT2_iSC_SC_, .Lfunc_end1157-_Z39paged_attention_ll4mi_QKV_mfma16_kernelI14__hip_bfloat16hLN4vllm18Fp8KVCacheDataTypeE1ES0_Li16ELi64ELi256ELb0ELi10EEvPKT_PKT0_S8_ifPKiSA_SA_iPKfiiiPfSD_PS3_PT2_iSC_SC_
                                        ; -- End function
	.section	.AMDGPU.csdata,"",@progbits
; Kernel info:
; codeLenInByte = 4852
; NumSgprs: 56
; NumVgprs: 58
; NumAgprs: 0
; TotalNumVgprs: 58
; ScratchSize: 0
; MemoryBound: 0
; FloatMode: 240
; IeeeMode: 1
; LDSByteSize: 8192 bytes/workgroup (compile time only)
; SGPRBlocks: 6
; VGPRBlocks: 7
; NumSGPRsForWavesPerEU: 56
; NumVGPRsForWavesPerEU: 58
; AccumOffset: 60
; Occupancy: 8
; WaveLimiterHint : 1
; COMPUTE_PGM_RSRC2:SCRATCH_EN: 0
; COMPUTE_PGM_RSRC2:USER_SGPR: 2
; COMPUTE_PGM_RSRC2:TRAP_HANDLER: 0
; COMPUTE_PGM_RSRC2:TGID_X_EN: 1
; COMPUTE_PGM_RSRC2:TGID_Y_EN: 1
; COMPUTE_PGM_RSRC2:TGID_Z_EN: 1
; COMPUTE_PGM_RSRC2:TIDIG_COMP_CNT: 0
; COMPUTE_PGM_RSRC3_GFX90A:ACCUM_OFFSET: 14
; COMPUTE_PGM_RSRC3_GFX90A:TG_SPLIT: 0
	.section	.text._Z39paged_attention_ll4mi_QKV_mfma16_kernelI14__hip_bfloat16hLN4vllm18Fp8KVCacheDataTypeE1ES0_Li16ELi64ELi256ELb0ELi11EEvPKT_PKT0_S8_ifPKiSA_SA_iPKfiiiPfSD_PS3_PT2_iSC_SC_,"axG",@progbits,_Z39paged_attention_ll4mi_QKV_mfma16_kernelI14__hip_bfloat16hLN4vllm18Fp8KVCacheDataTypeE1ES0_Li16ELi64ELi256ELb0ELi11EEvPKT_PKT0_S8_ifPKiSA_SA_iPKfiiiPfSD_PS3_PT2_iSC_SC_,comdat
	.protected	_Z39paged_attention_ll4mi_QKV_mfma16_kernelI14__hip_bfloat16hLN4vllm18Fp8KVCacheDataTypeE1ES0_Li16ELi64ELi256ELb0ELi11EEvPKT_PKT0_S8_ifPKiSA_SA_iPKfiiiPfSD_PS3_PT2_iSC_SC_ ; -- Begin function _Z39paged_attention_ll4mi_QKV_mfma16_kernelI14__hip_bfloat16hLN4vllm18Fp8KVCacheDataTypeE1ES0_Li16ELi64ELi256ELb0ELi11EEvPKT_PKT0_S8_ifPKiSA_SA_iPKfiiiPfSD_PS3_PT2_iSC_SC_
	.globl	_Z39paged_attention_ll4mi_QKV_mfma16_kernelI14__hip_bfloat16hLN4vllm18Fp8KVCacheDataTypeE1ES0_Li16ELi64ELi256ELb0ELi11EEvPKT_PKT0_S8_ifPKiSA_SA_iPKfiiiPfSD_PS3_PT2_iSC_SC_
	.p2align	8
	.type	_Z39paged_attention_ll4mi_QKV_mfma16_kernelI14__hip_bfloat16hLN4vllm18Fp8KVCacheDataTypeE1ES0_Li16ELi64ELi256ELb0ELi11EEvPKT_PKT0_S8_ifPKiSA_SA_iPKfiiiPfSD_PS3_PT2_iSC_SC_,@function
_Z39paged_attention_ll4mi_QKV_mfma16_kernelI14__hip_bfloat16hLN4vllm18Fp8KVCacheDataTypeE1ES0_Li16ELi64ELi256ELb0ELi11EEvPKT_PKT0_S8_ifPKiSA_SA_iPKfiiiPfSD_PS3_PT2_iSC_SC_: ; @_Z39paged_attention_ll4mi_QKV_mfma16_kernelI14__hip_bfloat16hLN4vllm18Fp8KVCacheDataTypeE1ES0_Li16ELi64ELi256ELb0ELi11EEvPKT_PKT0_S8_ifPKiSA_SA_iPKfiiiPfSD_PS3_PT2_iSC_SC_
; %bb.0:
	s_load_dwordx2 s[12:13], s[0:1], 0x30
	s_mov_b32 s28, s3
	s_mov_b64 s[6:7], 0
	s_waitcnt lgkmcnt(0)
	s_cmp_lg_u64 s[12:13], 0
	s_cselect_b64 s[14:15], -1, 0
	s_and_b64 vcc, exec, s[14:15]
	s_cbranch_vccz .LBB1158_7
; %bb.1:
	s_add_i32 s8, s2, 1
	s_mov_b32 s9, 0
	s_lshl_b64 s[10:11], s[8:9], 2
	s_add_u32 s10, s12, s10
	s_mov_b32 s3, s9
	s_addc_u32 s11, s13, s11
	s_lshl_b64 s[8:9], s[2:3], 2
	s_add_u32 s8, s12, s8
	s_addc_u32 s9, s13, s9
	s_load_dword s5, s[10:11], 0x0
	s_load_dword s16, s[8:9], 0x0
	s_waitcnt lgkmcnt(0)
	s_sub_i32 s5, s5, s16
	s_cmp_eq_u32 s5, 1
	s_cselect_b64 s[8:9], -1, 0
	s_andn2_b64 vcc, exec, s[6:7]
	s_cbranch_vccnz .LBB1158_3
.LBB1158_2:
	s_mov_b32 s3, 0
	s_mov_b64 s[8:9], -1
.LBB1158_3:
	s_andn2_b64 vcc, exec, s[8:9]
	s_cbranch_vccnz .LBB1158_18
; %bb.4:
	s_load_dwordx2 s[6:7], s[0:1], 0x28
	s_lshl_b64 s[16:17], s[2:3], 2
	s_waitcnt lgkmcnt(0)
	s_add_u32 s6, s6, s16
	s_addc_u32 s7, s7, s17
	s_load_dword s33, s[6:7], 0x0
	s_lshl_b32 s5, s28, 8
	s_waitcnt lgkmcnt(0)
	s_cmp_ge_i32 s5, s33
	s_cbranch_scc1 .LBB1158_18
; %bb.5:
	s_load_dwordx2 s[6:7], s[0:1], 0x20
	s_load_dword s8, s[0:1], 0x38
	s_add_i32 s9, s33, 15
	s_ashr_i32 s10, s9, 31
	v_and_b32_e32 v1, 0xcf, v0
	s_lshr_b32 s10, s10, 28
	v_add_u32_e32 v1, s5, v1
	s_add_i32 s9, s9, s10
	v_ashrrev_i32_e32 v2, 31, v1
	s_ashr_i32 s18, s9, 4
	v_lshrrev_b32_e32 v4, 28, v2
	s_add_i32 s18, s18, -1
	s_waitcnt lgkmcnt(0)
	s_mul_i32 s8, s2, s8
	s_mov_b32 s9, 0
	v_add_u32_e32 v2, v1, v4
	s_lshl_b64 s[8:9], s[8:9], 2
	v_ashrrev_i32_e32 v2, 4, v2
	v_mov_b32_e32 v5, s18
	v_cmp_gt_i32_e32 vcc, s33, v1
	s_add_u32 s6, s6, s8
	s_addc_u32 s7, s7, s9
	v_cndmask_b32_e32 v2, v5, v2, vcc
	v_ashrrev_i32_e32 v3, 31, v2
	v_lshl_add_u64 v[6:7], v[2:3], 2, s[6:7]
	v_or_b32_e32 v2, 16, v1
	v_add_u32_e32 v3, v2, v4
	v_ashrrev_i32_e32 v3, 4, v3
	v_cmp_gt_i32_e32 vcc, s33, v2
	s_load_dwordx4 s[8:11], s[0:1], 0x8
	s_nop 0
	v_cndmask_b32_e32 v2, v5, v3, vcc
	v_ashrrev_i32_e32 v3, 31, v2
	v_lshl_add_u64 v[8:9], v[2:3], 2, s[6:7]
	v_or_b32_e32 v2, 32, v1
	v_add_u32_e32 v3, v2, v4
	v_ashrrev_i32_e32 v3, 4, v3
	v_cmp_gt_i32_e32 vcc, s33, v2
	v_or_b32_e32 v1, 48, v1
	s_nop 0
	v_cndmask_b32_e32 v2, v5, v3, vcc
	v_ashrrev_i32_e32 v3, 31, v2
	v_lshl_add_u64 v[10:11], v[2:3], 2, s[6:7]
	v_add_u32_e32 v2, v1, v4
	v_ashrrev_i32_e32 v2, 4, v2
	v_cmp_gt_i32_e32 vcc, s33, v1
	s_nop 1
	v_cndmask_b32_e32 v2, v5, v2, vcc
	v_ashrrev_i32_e32 v3, 31, v2
	v_lshl_add_u64 v[14:15], v[2:3], 2, s[6:7]
	global_load_dword v4, v[6:7], off
	global_load_dword v3, v[8:9], off
	;; [unrolled: 1-line block ×4, first 2 shown]
	s_andn2_b64 vcc, exec, s[14:15]
	s_cbranch_vccnz .LBB1158_8
; %bb.6:
	s_add_u32 s12, s12, s16
	s_addc_u32 s13, s13, s17
	s_load_dword s14, s[12:13], 0x0
	s_branch .LBB1158_9
.LBB1158_7:
	s_mov_b64 s[8:9], 0
	s_branch .LBB1158_2
.LBB1158_8:
	s_mov_b32 s14, s2
.LBB1158_9:
	s_load_dwordx4 s[44:47], s[0:1], 0x48
	v_lshrrev_b32_e32 v29, 6, v0
	v_bfe_u32 v42, v0, 4, 2
	v_lshl_or_b32 v5, v29, 2, v42
	v_and_b32_e32 v28, 15, v0
	v_lshlrev_b32_e32 v1, 3, v28
	v_cmp_gt_u32_e32 vcc, 11, v5
	v_cmp_gt_u32_e64 s[30:31], 8, v28
	v_and_b32_e32 v43, 63, v0
	s_mul_i32 s48, s4, 11
	s_and_b64 s[16:17], s[30:31], vcc
	v_lshlrev_b32_e32 v26, 1, v1
	v_lshlrev_b32_e32 v1, 4, v0
	s_and_saveexec_b64 s[12:13], s[16:17]
	s_cbranch_execz .LBB1158_11
; %bb.10:
	s_load_dwordx2 s[16:17], s[0:1], 0x0
	s_waitcnt lgkmcnt(0)
	s_ashr_i32 s15, s44, 31
	s_mul_hi_u32 s19, s14, s44
	s_mul_i32 s15, s14, s15
	s_add_i32 s15, s19, s15
	s_mul_i32 s14, s14, s44
	s_lshl_b64 s[14:15], s[14:15], 1
	s_add_u32 s14, s16, s14
	v_add_lshl_u32 v6, v5, s48, 6
	s_addc_u32 s15, s17, s15
	v_ashrrev_i32_e32 v7, 31, v6
	v_lshl_add_u64 v[6:7], v[6:7], 1, s[14:15]
	v_mov_b32_e32 v27, 0
	v_lshl_add_u64 v[6:7], v[6:7], 0, v[26:27]
	global_load_dwordx4 v[6:9], v[6:7], off
	v_lshlrev_b32_e32 v11, 8, v28
	v_lshlrev_b32_e32 v5, 5, v5
	v_and_b32_e32 v10, 16, v1
	v_and_b32_e32 v11, 0xe00, v11
	v_or3_b32 v5, v11, v5, v10
	s_waitcnt vmcnt(0)
	ds_write_b128 v5, v[6:9]
.LBB1158_11:
	s_or_b64 exec, exec, s[12:13]
	s_waitcnt lgkmcnt(0)
	s_mul_i32 s4, s4, s46
	s_add_u32 s8, s8, s4
	s_addc_u32 s9, s9, 0
	v_and_b32_e32 v8, 48, v0
	v_and_b32_e32 v30, 0xf0, v1
	v_mov_b32_e32 v31, 0
	v_lshl_add_u64 v[6:7], s[8:9], 0, v[30:31]
	v_lshlrev_b32_e32 v30, 4, v8
	v_or_b32_e32 v8, s5, v8
	v_lshl_add_u64 v[10:11], v[6:7], 0, v[30:31]
	v_ashrrev_i32_e32 v6, 4, v8
	v_mov_b32_e32 v27, s18
	v_cmp_gt_i32_e32 vcc, s33, v8
	s_load_dword s29, s[0:1], 0x98
	s_load_dwordx4 s[40:43], s[0:1], 0x80
	v_cndmask_b32_e32 v6, v27, v6, vcc
	v_ashrrev_i32_e32 v7, 31, v6
	v_lshl_add_u64 v[6:7], v[6:7], 2, s[6:7]
	s_waitcnt lgkmcnt(0)
	s_barrier
	s_waitcnt vmcnt(3)
	v_mad_i64_i32 v[4:5], s[8:9], v4, s45, v[10:11]
	global_load_dword v38, v[6:7], off
	global_load_dwordx4 v[22:25], v[4:5], off
	s_waitcnt vmcnt(4)
	v_mad_i64_i32 v[4:5], s[8:9], v3, s45, v[10:11]
	global_load_dwordx4 v[18:21], v[4:5], off
	s_waitcnt vmcnt(4)
	v_mad_i64_i32 v[2:3], s[8:9], v2, s45, v[10:11]
	global_load_dwordx4 v[14:17], v[2:3], off
	v_add_u32_e32 v4, -11, v28
	v_cmp_gt_u32_e32 vcc, 11, v28
	v_or_b32_e32 v13, 64, v8
	s_waitcnt vmcnt(4)
	v_mad_i64_i32 v[10:11], s[12:13], v12, s45, v[10:11]
	v_cndmask_b32_e32 v2, v4, v28, vcc
	v_lshlrev_b32_e32 v2, 5, v2
	v_lshl_add_u32 v2, v42, 9, v2
	v_or_b32_e32 v33, 0x80, v8
	v_or_b32_e32 v35, 0xc0, v8
	v_ashrrev_i32_e32 v32, 4, v13
	ds_read_b128 v[6:9], v2
	ds_read_b128 v[2:5], v2 offset:16
	v_cmp_gt_i32_e32 vcc, s33, v13
	global_load_dwordx4 v[10:13], v[10:11], off
	v_ashrrev_i32_e32 v34, 4, v33
	v_cndmask_b32_e32 v32, v27, v32, vcc
	v_cmp_gt_i32_e32 vcc, s33, v33
	v_ashrrev_i32_e32 v36, 4, v35
	v_ashrrev_i32_e32 v33, 31, v32
	v_cndmask_b32_e32 v34, v27, v34, vcc
	v_cmp_gt_i32_e32 vcc, s33, v35
	v_ashrrev_i32_e32 v35, 31, v34
	v_lshl_add_u64 v[32:33], v[32:33], 2, s[6:7]
	v_cndmask_b32_e32 v36, v27, v36, vcc
	v_ashrrev_i32_e32 v37, 31, v36
	v_lshl_add_u64 v[34:35], v[34:35], 2, s[6:7]
	v_lshl_add_u64 v[36:37], v[36:37], 2, s[6:7]
	s_add_u32 s8, s10, s4
	s_load_dword s4, s[40:41], 0x0
	global_load_dword v45, v[32:33], off
	global_load_dword v27, v[34:35], off
	;; [unrolled: 1-line block ×3, first 2 shown]
	v_lshlrev_b32_e32 v30, 4, v28
	s_addc_u32 s9, s11, 0
	v_lshl_or_b32 v30, v29, 8, v30
	s_mov_b32 s44, 0x7060302
	v_lshl_add_u64 v[30:31], s[8:9], 0, v[30:31]
	s_load_dword s14, s[0:1], 0x1c
	s_mov_b32 s46, 0xff7fffff
	s_waitcnt vmcnt(7)
	v_mad_i64_i32 v[32:33], s[6:7], v38, s45, v[30:31]
	s_waitcnt vmcnt(6)
	v_cvt_pk_f32_fp8_e32 v[34:35], v22
	v_cvt_pk_f32_fp8_sdwa v[36:37], v22 src0_sel:WORD_1
	v_cvt_pk_f32_fp8_e32 v[38:39], v23
	v_cvt_pk_f32_fp8_sdwa v[40:41], v23 src0_sel:WORD_1
	v_perm_b32 v34, v35, v34, s44
	v_perm_b32 v35, v37, v36, s44
	s_waitcnt vmcnt(5)
	v_cvt_pk_f32_fp8_e32 v[22:23], v18
	v_cvt_pk_f32_fp8_sdwa v[52:53], v18 src0_sel:WORD_1
	v_perm_b32 v38, v39, v38, s44
	v_perm_b32 v39, v41, v40, s44
	v_cvt_pk_f32_fp8_e32 v[46:47], v24
	v_cvt_pk_f32_fp8_sdwa v[48:49], v24 src0_sel:WORD_1
	v_cvt_pk_f32_fp8_e32 v[50:51], v25
	v_cvt_pk_f32_fp8_sdwa v[54:55], v25 src0_sel:WORD_1
	v_perm_b32 v36, v23, v22, s44
	s_waitcnt lgkmcnt(0)
	v_mfma_f32_16x16x16_bf16 v[22:25], v[34:35], v[6:7], 0
	v_cvt_pk_f32_fp8_e32 v[56:57], v19
	v_perm_b32 v37, v53, v52, s44
	v_cvt_pk_f32_fp8_sdwa v[18:19], v19 src0_sel:WORD_1
	v_mfma_f32_16x16x16_bf16 v[22:25], v[38:39], v[8:9], v[22:25]
	v_perm_b32 v38, v47, v46, s44
	v_perm_b32 v39, v49, v48, s44
	v_cvt_pk_f32_fp8_e32 v[40:41], v20
	v_perm_b32 v52, v57, v56, s44
	v_perm_b32 v53, v19, v18, s44
	v_cvt_pk_f32_fp8_sdwa v[18:19], v20 src0_sel:WORD_1
	v_mfma_f32_16x16x16_bf16 v[34:37], v[36:37], v[6:7], 0
	v_cvt_pk_f32_fp8_e32 v[46:47], v21
	v_perm_b32 v48, v51, v50, s44
	v_perm_b32 v49, v55, v54, s44
	v_mfma_f32_16x16x16_bf16 v[22:25], v[38:39], v[2:3], v[22:25]
	v_cvt_pk_f32_fp8_sdwa v[38:39], v21 src0_sel:WORD_1
	v_perm_b32 v40, v41, v40, s44
	v_perm_b32 v41, v19, v18, s44
	v_mfma_f32_16x16x16_bf16 v[34:37], v[52:53], v[8:9], v[34:37]
	v_perm_b32 v46, v47, v46, s44
	v_perm_b32 v47, v39, v38, s44
	s_waitcnt vmcnt(4)
	v_cvt_pk_f32_fp8_e32 v[38:39], v14
	v_mfma_f32_16x16x16_bf16 v[18:21], v[48:49], v[4:5], v[22:25]
	v_cvt_pk_f32_fp8_sdwa v[50:51], v17 src0_sel:WORD_1
	v_mov_b32_e32 v48, s14
	v_mul_f32_e32 v48, s4, v48
	v_mfma_f32_16x16x16_bf16 v[22:25], v[40:41], v[2:3], v[34:37]
	v_cvt_pk_f32_fp8_sdwa v[40:41], v14 src0_sel:WORD_1
	v_mfma_f32_16x16x16_bf16 v[34:37], v[46:47], v[4:5], v[22:25]
	v_cvt_pk_f32_fp8_sdwa v[46:47], v16 src0_sel:WORD_1
	s_nop 3
	v_cvt_pk_f32_fp8_e32 v[22:23], v15
	v_perm_b32 v24, v39, v38, s44
	v_perm_b32 v25, v41, v40, s44
	v_cvt_pk_f32_fp8_sdwa v[14:15], v15 src0_sel:WORD_1
	v_perm_b32 v38, v23, v22, s44
	v_cvt_pk_f32_fp8_e32 v[40:41], v16
	v_mfma_f32_16x16x16_bf16 v[22:25], v[24:25], v[6:7], 0
	v_perm_b32 v39, v15, v14, s44
	v_perm_b32 v40, v41, v40, s44
	;; [unrolled: 1-line block ×3, first 2 shown]
	v_cvt_pk_f32_fp8_e32 v[46:47], v17
	v_mfma_f32_16x16x16_bf16 v[14:17], v[38:39], v[8:9], v[22:25]
	s_waitcnt vmcnt(3)
	v_cvt_pk_f32_fp8_sdwa v[38:39], v10 src0_sel:WORD_1
	v_pk_mul_f32 v[36:37], v[48:49], v[36:37] op_sel_hi:[0,1]
	v_perm_b32 v24, v47, v46, s44
	v_perm_b32 v25, v51, v50, s44
	v_pk_mul_f32 v[22:23], v[48:49], v[20:21] op_sel_hi:[0,1]
	v_mfma_f32_16x16x16_bf16 v[14:17], v[40:41], v[2:3], v[14:17]
	v_pk_mul_f32 v[20:21], v[48:49], v[18:19] op_sel_hi:[0,1]
	v_cvt_pk_f32_fp8_e32 v[18:19], v10
	v_cvt_pk_f32_fp8_e32 v[46:47], v12
	v_mfma_f32_16x16x16_bf16 v[14:17], v[24:25], v[4:5], v[14:17]
	v_cvt_pk_f32_fp8_e32 v[24:25], v11
	v_perm_b32 v18, v19, v18, s44
	v_perm_b32 v19, v39, v38, s44
	v_cvt_pk_f32_fp8_sdwa v[10:11], v11 src0_sel:WORD_1
	v_perm_b32 v24, v25, v24, s44
	v_cvt_pk_f32_fp8_sdwa v[50:51], v12 src0_sel:WORD_1
	v_mfma_f32_16x16x16_bf16 v[38:41], v[18:19], v[6:7], 0
	v_perm_b32 v25, v11, v10, s44
	v_perm_b32 v10, v47, v46, s44
	;; [unrolled: 1-line block ×3, first 2 shown]
	v_cvt_pk_f32_fp8_e32 v[18:19], v13
	v_cvt_pk_f32_fp8_sdwa v[12:13], v13 src0_sel:WORD_1
	v_mfma_f32_16x16x16_bf16 v[6:9], v[24:25], v[8:9], v[38:41]
	v_perm_b32 v18, v19, v18, s44
	v_perm_b32 v19, v13, v12, s44
	v_mfma_f32_16x16x16_bf16 v[6:9], v[10:11], v[2:3], v[6:9]
	v_pk_mul_f32 v[40:41], v[48:49], v[34:35] op_sel_hi:[0,1]
	v_pk_mul_f32 v[38:39], v[48:49], v[14:15] op_sel_hi:[0,1]
	;; [unrolled: 1-line block ×3, first 2 shown]
	v_mfma_f32_16x16x16_bf16 v[2:5], v[18:19], v[4:5], v[6:9]
	s_nop 6
	v_pk_mul_f32 v[24:25], v[48:49], v[2:3] op_sel_hi:[0,1]
	v_and_b32_e32 v2, 0xc0, v0
	v_add_u32_e32 v2, s5, v2
	v_lshl_or_b32 v2, v42, 2, v2
	v_pk_mul_f32 v[18:19], v[48:49], v[4:5] op_sel_hi:[0,1]
	v_or_b32_e32 v5, 1, v2
	v_mov_b32_e32 v3, 0xff7fffff
	v_cmp_gt_i32_e64 s[4:5], s33, v2
	v_cmp_gt_i32_e64 s[34:35], s33, v5
	v_or_b32_e32 v6, 3, v2
	v_cndmask_b32_e64 v4, v3, v20, s[4:5]
	v_cndmask_b32_e64 v5, v3, v21, s[34:35]
	v_max3_f32 v4, v4, s46, v5
	v_or_b32_e32 v5, 2, v2
	v_cmp_gt_i32_e64 s[36:37], s33, v5
	v_cmp_gt_i32_e64 s[38:39], s33, v6
	s_nop 0
	v_cndmask_b32_e64 v5, v3, v22, s[36:37]
	v_cndmask_b32_e64 v6, v3, v23, s[38:39]
	v_max3_f32 v4, v4, v5, v6
	v_or_b32_e32 v5, 16, v2
	v_or_b32_e32 v6, 17, v2
	v_cmp_gt_i32_e64 s[24:25], s33, v5
	v_cmp_gt_i32_e64 s[26:27], s33, v6
	s_nop 0
	v_cndmask_b32_e64 v5, v3, v40, s[24:25]
	v_cndmask_b32_e64 v6, v3, v41, s[26:27]
	v_max3_f32 v4, v4, v5, v6
	v_or_b32_e32 v5, 18, v2
	;; [unrolled: 8-line block ×6, first 2 shown]
	v_or_b32_e32 v2, 51, v2
	v_cmp_gt_i32_e32 vcc, s33, v5
	v_cmp_gt_i32_e64 s[6:7], s33, v2
	s_nop 0
	v_cndmask_b32_e32 v5, v3, v18, vcc
	v_cndmask_b32_e64 v2, v3, v19, s[6:7]
	v_max3_f32 v4, v4, v5, v2
	v_mbcnt_lo_u32_b32 v2, -1, 0
	v_mbcnt_hi_u32_b32 v5, -1, v2
	v_and_b32_e32 v2, 64, v5
	v_add_u32_e32 v6, 64, v2
	v_xor_b32_e32 v2, 32, v5
	v_cmp_lt_i32_e64 s[40:41], v2, v6
	s_nop 1
	v_cndmask_b32_e64 v2, v5, v2, s[40:41]
	v_lshlrev_b32_e32 v46, 2, v2
	ds_bpermute_b32 v7, v46, v4
	s_waitcnt vmcnt(2)
	v_mad_i64_i32 v[2:3], s[40:41], v45, s45, v[30:31]
	global_load_dwordx4 v[14:17], v[32:33], off
	global_load_dwordx4 v[10:13], v[2:3], off
	v_xor_b32_e32 v3, 16, v5
	v_cmp_lt_i32_e64 s[40:41], v3, v6
	s_waitcnt lgkmcnt(0)
	v_max_f32_e32 v2, v7, v7
	v_max_f32_e32 v2, v4, v2
	v_cndmask_b32_e64 v3, v5, v3, s[40:41]
	v_lshlrev_b32_e32 v45, 2, v3
	ds_bpermute_b32 v3, v45, v2
	s_waitcnt vmcnt(3)
	v_mad_i64_i32 v[32:33], s[40:41], v27, s45, v[30:31]
	s_waitcnt vmcnt(2)
	v_mad_i64_i32 v[30:31], s[40:41], v44, s45, v[30:31]
	s_waitcnt lgkmcnt(0)
	v_max_f32_e32 v3, v3, v3
	v_max_f32_e32 v27, v2, v3
	v_sub_f32_e32 v2, v20, v27
	v_mul_f32_e32 v2, 0x3fb8aa3b, v2
	v_exp_f32_e32 v20, v2
	v_sub_f32_e32 v2, v21, v27
	v_mul_f32_e32 v2, 0x3fb8aa3b, v2
	v_exp_f32_e32 v21, v2
	global_load_dwordx4 v[6:9], v[32:33], off
	global_load_dwordx4 v[2:5], v[30:31], off
	v_sub_f32_e32 v22, v22, v27
	v_mul_f32_e32 v22, 0x3fb8aa3b, v22
	v_sub_f32_e32 v23, v23, v27
	v_exp_f32_e32 v22, v22
	v_mul_f32_e32 v23, 0x3fb8aa3b, v23
	v_exp_f32_e32 v23, v23
	v_cndmask_b32_e64 v20, 0, v20, s[4:5]
	v_add_f32_e32 v30, 0, v20
	v_cndmask_b32_e64 v21, 0, v21, s[34:35]
	v_add_f32_e32 v30, v30, v21
	v_cndmask_b32_e64 v32, 0, v22, s[36:37]
	v_add_f32_e32 v22, v30, v32
	v_cndmask_b32_e64 v33, 0, v23, s[38:39]
	v_sub_f32_e32 v23, v40, v27
	v_sub_f32_e32 v30, v41, v27
	v_mul_f32_e32 v23, 0x3fb8aa3b, v23
	v_mul_f32_e32 v30, 0x3fb8aa3b, v30
	v_exp_f32_e32 v23, v23
	v_exp_f32_e32 v30, v30
	v_add_f32_e32 v31, v22, v33
	v_sub_f32_e32 v34, v34, v27
	v_cndmask_b32_e64 v22, 0, v23, s[24:25]
	v_cndmask_b32_e64 v23, 0, v30, s[26:27]
	v_sub_f32_e32 v30, v36, v27
	v_mul_f32_e32 v30, 0x3fb8aa3b, v30
	v_exp_f32_e32 v30, v30
	v_sub_f32_e32 v36, v37, v27
	v_add_f32_e32 v31, v31, v22
	v_mul_f32_e32 v36, 0x3fb8aa3b, v36
	v_exp_f32_e32 v37, v36
	v_add_f32_e32 v31, v31, v23
	v_cndmask_b32_e64 v36, 0, v30, s[20:21]
	v_add_f32_e32 v30, v31, v36
	v_sub_f32_e32 v31, v38, v27
	v_mul_f32_e32 v31, 0x3fb8aa3b, v31
	v_sub_f32_e32 v38, v39, v27
	v_exp_f32_e32 v31, v31
	v_mul_f32_e32 v38, 0x3fb8aa3b, v38
	v_exp_f32_e32 v38, v38
	v_mul_f32_e32 v34, 0x3fb8aa3b, v34
	v_sub_f32_e32 v35, v35, v27
	v_exp_f32_e32 v34, v34
	v_mul_f32_e32 v35, 0x3fb8aa3b, v35
	v_sub_f32_e32 v24, v24, v27
	v_cndmask_b32_e64 v37, 0, v37, s[22:23]
	v_exp_f32_e32 v35, v35
	v_mul_f32_e32 v24, 0x3fb8aa3b, v24
	v_sub_f32_e32 v25, v25, v27
	v_add_f32_e32 v39, v30, v37
	v_cndmask_b32_e64 v30, 0, v31, s[16:17]
	v_exp_f32_e32 v24, v24
	v_mul_f32_e32 v25, 0x3fb8aa3b, v25
	v_sub_f32_e32 v18, v18, v27
	v_add_f32_e32 v39, v39, v30
	;; [unrolled: 5-line block ×3, first 2 shown]
	v_cndmask_b32_e64 v34, 0, v34, s[12:13]
	v_exp_f32_e32 v18, v18
	v_mul_f32_e32 v19, 0x3fb8aa3b, v19
	v_add_f32_e32 v38, v38, v34
	v_cndmask_b32_e64 v35, 0, v35, s[14:15]
	v_exp_f32_e32 v19, v19
	v_add_f32_e32 v38, v38, v35
	v_cndmask_b32_e64 v24, 0, v24, s[8:9]
	v_add_f32_e32 v38, v38, v24
	v_cndmask_b32_e64 v25, 0, v25, s[10:11]
	v_add_f32_e32 v38, v38, v25
	v_cndmask_b32_e32 v18, 0, v18, vcc
	v_add_f32_e32 v38, v38, v18
	v_cndmask_b32_e64 v19, 0, v19, s[6:7]
	v_add_f32_e32 v38, v38, v19
	ds_bpermute_b32 v39, v46, v38
	v_cmp_gt_u32_e32 vcc, 16, v43
	s_waitcnt lgkmcnt(0)
	s_barrier
	v_add_f32_e32 v39, v38, v39
	ds_bpermute_b32 v40, v45, v39
	v_lshlrev_b32_e32 v38, 2, v28
	s_and_saveexec_b64 s[4:5], vcc
	s_cbranch_execz .LBB1158_13
; %bb.12:
	s_waitcnt lgkmcnt(0)
	v_add_f32_e32 v39, v39, v40
	v_lshl_or_b32 v40, v29, 6, v38
	ds_write2st64_b32 v40, v27, v39 offset1:1
.LBB1158_13:
	s_or_b64 exec, exec, s[4:5]
	s_load_dword s6, s[0:1], 0x94
	s_waitcnt lgkmcnt(0)
	s_barrier
	ds_read2_b32 v[40:41], v38 offset1:16
	ds_read2_b32 v[44:45], v38 offset0:32 offset1:48
	ds_read2_b32 v[46:47], v38 offset0:64 offset1:80
	s_movk_i32 s8, 0x7fff
	s_mul_i32 s7, s29, 11
	s_waitcnt lgkmcnt(2)
	v_max3_f32 v27, v40, s46, v41
	s_waitcnt lgkmcnt(1)
	v_max3_f32 v27, v27, v44, v45
	v_sub_f32_e32 v39, v40, v27
	v_sub_f32_e32 v40, v41, v27
	v_mul_f32_e32 v40, 0x3fb8aa3b, v40
	v_mul_f32_e32 v39, 0x3fb8aa3b, v39
	v_exp_f32_e32 v43, v40
	v_sub_f32_e32 v40, v44, v27
	v_exp_f32_e32 v39, v39
	v_mul_f32_e32 v40, 0x3fb8aa3b, v40
	v_exp_f32_e32 v44, v40
	ds_read2_b32 v[40:41], v38 offset0:96 offset1:112
	v_sub_f32_e32 v38, v45, v27
	v_mul_f32_e32 v38, 0x3fb8aa3b, v38
	v_exp_f32_e32 v45, v38
	s_waitcnt lgkmcnt(1)
	v_fma_f32 v38, v39, v46, 0
	v_fmac_f32_e32 v38, v43, v47
	s_waitcnt lgkmcnt(0)
	v_fmac_f32_e32 v38, v44, v40
	v_fmac_f32_e32 v38, v45, v41
	v_add_f32_e32 v40, 0x358637bd, v38
	v_div_scale_f32 v41, s[4:5], v40, v40, 1.0
	v_rcp_f32_e32 v46, v41
	s_barrier
	v_fma_f32 v47, -v41, v46, 1.0
	v_fmac_f32_e32 v46, v47, v46
	v_div_scale_f32 v47, vcc, 1.0, v40, 1.0
	v_mul_f32_e32 v48, v47, v46
	v_fma_f32 v49, -v41, v48, v47
	v_fmac_f32_e32 v48, v49, v46
	v_fma_f32 v41, -v41, v48, v47
	v_div_fmas_f32 v41, v41, v46, v48
	v_cmp_eq_u32_e32 vcc, 1, v29
	v_div_fixup_f32 v40, v41, v40, 1.0
	s_nop 0
	v_cndmask_b32_e32 v39, v39, v43, vcc
	v_cmp_eq_u32_e32 vcc, 2, v29
	s_nop 1
	v_cndmask_b32_e32 v39, v39, v44, vcc
	v_cmp_eq_u32_e32 vcc, 3, v29
	v_lshlrev_b32_e32 v29, 11, v29
	s_nop 0
	v_cndmask_b32_e32 v39, v39, v45, vcc
	v_mul_f32_e32 v40, v39, v40
	v_pk_mul_f32 v[20:21], v[40:41], v[20:21] op_sel_hi:[0,1]
	v_pk_mul_f32 v[32:33], v[40:41], v[32:33] op_sel_hi:[0,1]
	v_bfe_u32 v39, v21, 16, 1
	v_bfe_u32 v41, v20, 16, 1
	v_add3_u32 v20, v20, v41, s8
	v_add3_u32 v21, v21, v39, s8
	v_perm_b32 v44, v21, v20, s44
	v_bfe_u32 v20, v33, 16, 1
	v_bfe_u32 v21, v32, 16, 1
	v_add3_u32 v21, v32, v21, s8
	v_add3_u32 v20, v33, v20, s8
	v_perm_b32 v45, v20, v21, s44
	v_lshlrev_b32_e32 v20, 3, v42
	v_lshlrev_b32_e32 v21, 5, v28
	v_pk_mul_f32 v[22:23], v[40:41], v[22:23] op_sel_hi:[0,1]
	v_or3_b32 v20, v29, v21, v20
	v_pk_mul_f32 v[32:33], v[40:41], v[36:37] op_sel_hi:[0,1]
	v_bfe_u32 v29, v23, 16, 1
	v_bfe_u32 v36, v22, 16, 1
	v_add3_u32 v22, v22, v36, s8
	v_add3_u32 v23, v23, v29, s8
	v_perm_b32 v22, v23, v22, s44
	v_bfe_u32 v23, v33, 16, 1
	v_bfe_u32 v29, v32, 16, 1
	v_add3_u32 v29, v32, v29, s8
	v_add3_u32 v23, v33, v23, s8
	v_pk_mul_f32 v[30:31], v[40:41], v[30:31] op_sel_hi:[0,1]
	v_perm_b32 v23, v23, v29, s44
	v_bfe_u32 v29, v31, 16, 1
	v_bfe_u32 v32, v30, 16, 1
	ds_write2st64_b64 v20, v[44:45], v[22:23] offset1:1
	v_pk_mul_f32 v[22:23], v[40:41], v[34:35] op_sel_hi:[0,1]
	v_add3_u32 v30, v30, v32, s8
	v_add3_u32 v29, v31, v29, s8
	v_perm_b32 v30, v29, v30, s44
	v_bfe_u32 v29, v23, 16, 1
	v_bfe_u32 v31, v22, 16, 1
	v_add3_u32 v22, v22, v31, s8
	v_add3_u32 v23, v23, v29, s8
	v_perm_b32 v31, v23, v22, s44
	v_pk_mul_f32 v[22:23], v[40:41], v[24:25] op_sel_hi:[0,1]
	v_bfe_u32 v24, v23, 16, 1
	v_bfe_u32 v25, v22, 16, 1
	v_pk_mul_f32 v[18:19], v[40:41], v[18:19] op_sel_hi:[0,1]
	v_add3_u32 v22, v22, v25, s8
	v_add3_u32 v23, v23, v24, s8
	v_perm_b32 v22, v23, v22, s44
	v_bfe_u32 v23, v19, 16, 1
	v_bfe_u32 v24, v18, 16, 1
	v_add3_u32 v18, v18, v24, s8
	v_add3_u32 v19, v19, v23, s8
	v_perm_b32 v23, v19, v18, s44
	v_cmp_gt_u32_e32 vcc, 11, v0
	ds_write2st64_b64 v20, v[30:31], v[22:23] offset0:2 offset1:3
	s_and_saveexec_b64 s[4:5], vcc
	s_cbranch_execz .LBB1158_15
; %bb.14:
	s_mov_b32 s49, 0
	v_mov_b32_e32 v29, 0
	v_lshl_add_u64 v[18:19], s[48:49], 0, v[28:29]
	v_mov_b32_e32 v22, s7
	v_mad_u64_u32 v[18:19], s[10:11], s2, v22, v[18:19]
	s_mul_i32 s3, s3, s7
	v_mov_b32_e32 v28, s28
	s_load_dwordx4 s[12:15], s[0:1], 0x58
	v_add_u32_e32 v23, s3, v19
	v_mad_u64_u32 v[18:19], s[10:11], v18, s6, v[28:29]
	v_mov_b32_e32 v22, v19
	v_mad_u64_u32 v[22:23], s[10:11], v23, s6, v[22:23]
	v_mov_b32_e32 v19, v22
	v_lshlrev_b64 v[18:19], 2, v[18:19]
	s_waitcnt lgkmcnt(0)
	v_lshl_add_u64 v[22:23], s[14:15], 0, v[18:19]
	v_lshl_add_u64 v[18:19], s[12:13], 0, v[18:19]
	global_store_dword v[22:23], v27, off
	global_store_dword v[18:19], v38, off
.LBB1158_15:
	s_or_b64 exec, exec, s[4:5]
	s_waitcnt vmcnt(3)
	v_cvt_pk_f32_fp8_e32 v[18:19], v14
	v_cvt_pk_f32_fp8_sdwa v[22:23], v14 src0_sel:WORD_1
	s_mov_b32 s4, 0x7060302
	v_lshl_or_b32 v14, v42, 9, v21
	s_waitcnt lgkmcnt(0)
	s_barrier
	v_perm_b32 v18, v19, v18, s4
	v_perm_b32 v19, v23, v22, s4
	v_cvt_pk_f32_fp8_e32 v[28:29], v15
	ds_read_b128 v[22:25], v14
	v_cvt_pk_f32_fp8_sdwa v[36:37], v15 src0_sel:WORD_1
	s_load_dword s10, s[42:43], 0x0
	v_perm_b32 v38, v29, v28, s4
	ds_read_b128 v[28:31], v14 offset:16
	v_perm_b32 v39, v37, v36, s4
	s_waitcnt lgkmcnt(0)
	v_mfma_f32_16x16x16_bf16 v[32:35], v[18:19], v[22:23], 0
	v_cvt_pk_f32_fp8_e32 v[18:19], v16
	v_cvt_pk_f32_fp8_sdwa v[36:37], v16 src0_sel:WORD_1
	v_cmp_gt_u32_e32 vcc, 64, v0
	v_mfma_f32_16x16x16_bf16 v[22:25], v[38:39], v[24:25], v[32:35]
	v_perm_b32 v18, v19, v18, s4
	v_perm_b32 v19, v37, v36, s4
	s_waitcnt vmcnt(2)
	v_cvt_pk_f32_fp8_sdwa v[36:37], v10 src0_sel:WORD_1
	v_cvt_pk_f32_fp8_e32 v[32:33], v17
	v_cvt_pk_f32_fp8_sdwa v[16:17], v17 src0_sel:WORD_1
	v_cvt_pk_f32_fp8_e32 v[34:35], v10
	s_mov_b32 s3, 0
	v_perm_b32 v32, v33, v32, s4
	v_perm_b32 v33, v17, v16, s4
	v_mfma_f32_16x16x16_bf16 v[16:19], v[18:19], v[28:29], v[22:25]
	v_perm_b32 v34, v35, v34, s4
	v_perm_b32 v35, v37, v36, s4
	v_cvt_pk_f32_fp8_e32 v[28:29], v11
	ds_read_b128 v[22:25], v14 offset:2048
	v_cvt_pk_f32_fp8_sdwa v[10:11], v11 src0_sel:WORD_1
	v_mfma_f32_16x16x16_bf16 v[16:19], v[32:33], v[30:31], v[16:19]
	v_perm_b32 v32, v29, v28, s4
	ds_read_b128 v[28:31], v14 offset:2064
	v_perm_b32 v33, v11, v10, s4
	s_waitcnt lgkmcnt(1)
	v_mfma_f32_16x16x16_bf16 v[16:19], v[34:35], v[22:23], v[16:19]
	v_cvt_pk_f32_fp8_e32 v[10:11], v12
	v_cvt_pk_f32_fp8_sdwa v[22:23], v12 src0_sel:WORD_1
	v_mov_b32_e32 v27, 0
	v_mfma_f32_16x16x16_bf16 v[16:19], v[32:33], v[24:25], v[16:19]
	v_cvt_pk_f32_fp8_e32 v[24:25], v13
	v_perm_b32 v10, v11, v10, s4
	v_perm_b32 v11, v23, v22, s4
	v_cvt_pk_f32_fp8_sdwa v[12:13], v13 src0_sel:WORD_1
	v_perm_b32 v22, v25, v24, s4
	s_waitcnt vmcnt(1)
	v_cvt_pk_f32_fp8_e32 v[24:25], v6
	v_cvt_pk_f32_fp8_sdwa v[32:33], v6 src0_sel:WORD_1
	v_perm_b32 v23, v13, v12, s4
	s_waitcnt lgkmcnt(0)
	v_mfma_f32_16x16x16_bf16 v[10:13], v[10:11], v[28:29], v[16:19]
	v_perm_b32 v28, v25, v24, s4
	v_perm_b32 v29, v33, v32, s4
	v_cvt_pk_f32_fp8_e32 v[24:25], v7
	ds_read_b128 v[16:19], v14 offset:4096
	v_cvt_pk_f32_fp8_sdwa v[6:7], v7 src0_sel:WORD_1
	v_mfma_f32_16x16x16_bf16 v[10:13], v[22:23], v[30:31], v[10:13]
	v_perm_b32 v30, v25, v24, s4
	ds_read_b128 v[22:25], v14 offset:4112
	v_perm_b32 v31, v7, v6, s4
	s_waitcnt lgkmcnt(1)
	v_mfma_f32_16x16x16_bf16 v[10:13], v[28:29], v[16:17], v[10:13]
	v_cvt_pk_f32_fp8_e32 v[6:7], v8
	v_cvt_pk_f32_fp8_sdwa v[16:17], v8 src0_sel:WORD_1
	s_waitcnt vmcnt(0)
	v_cvt_pk_f32_fp8_sdwa v[28:29], v2 src0_sel:WORD_1
	v_mfma_f32_16x16x16_bf16 v[10:13], v[30:31], v[18:19], v[10:13]
	v_cvt_pk_f32_fp8_e32 v[18:19], v9
	v_perm_b32 v6, v7, v6, s4
	v_perm_b32 v7, v17, v16, s4
	v_cvt_pk_f32_fp8_sdwa v[8:9], v9 src0_sel:WORD_1
	v_perm_b32 v16, v19, v18, s4
	v_cvt_pk_f32_fp8_e32 v[18:19], v2
	v_perm_b32 v17, v9, v8, s4
	s_waitcnt lgkmcnt(0)
	v_mfma_f32_16x16x16_bf16 v[6:9], v[6:7], v[22:23], v[10:13]
	v_perm_b32 v18, v19, v18, s4
	v_perm_b32 v19, v29, v28, s4
	v_cvt_pk_f32_fp8_e32 v[22:23], v3
	ds_read_b128 v[10:13], v14 offset:6144
	v_cvt_pk_f32_fp8_sdwa v[2:3], v3 src0_sel:WORD_1
	v_mfma_f32_16x16x16_bf16 v[6:9], v[16:17], v[24:25], v[6:9]
	v_perm_b32 v22, v23, v22, s4
	ds_read_b128 v[14:17], v14 offset:6160
	v_perm_b32 v23, v3, v2, s4
	s_waitcnt lgkmcnt(1)
	v_mfma_f32_16x16x16_bf16 v[6:9], v[18:19], v[10:11], v[6:9]
	v_cvt_pk_f32_fp8_e32 v[2:3], v4
	v_cvt_pk_f32_fp8_sdwa v[10:11], v4 src0_sel:WORD_1
	s_waitcnt lgkmcnt(0)
	v_mfma_f32_16x16x16_bf16 v[6:9], v[22:23], v[12:13], v[6:9]
	v_perm_b32 v2, v3, v2, s4
	v_perm_b32 v3, v11, v10, s4
	v_cvt_pk_f32_fp8_e32 v[10:11], v5
	v_cvt_pk_f32_fp8_sdwa v[4:5], v5 src0_sel:WORD_1
	s_barrier
	v_perm_b32 v10, v11, v10, s4
	v_perm_b32 v11, v5, v4, s4
	v_mfma_f32_16x16x16_bf16 v[2:5], v[2:3], v[14:15], v[6:9]
	s_nop 0
	v_mfma_f32_16x16x16_bf16 v[2:5], v[10:11], v[16:17], v[2:5]
	s_nop 6
	v_pk_mul_f32 v[2:3], v[2:3], s[10:11] op_sel_hi:[1,0]
	v_pk_mul_f32 v[4:5], v[4:5], s[10:11] op_sel_hi:[1,0]
	v_bfe_u32 v6, v3, 16, 1
	v_bfe_u32 v7, v2, 16, 1
	v_add3_u32 v2, v2, v7, s8
	v_add3_u32 v3, v3, v6, s8
	v_perm_b32 v2, v3, v2, s4
	v_bfe_u32 v3, v5, 16, 1
	v_bfe_u32 v6, v4, 16, 1
	v_add3_u32 v4, v4, v6, s8
	v_add3_u32 v3, v5, v3, s8
	v_perm_b32 v3, v3, v4, s4
	s_and_b64 s[4:5], vcc, s[30:31]
	ds_write_b64 v20, v[2:3]
	s_waitcnt lgkmcnt(0)
	s_barrier
	s_and_saveexec_b64 s[8:9], s[4:5]
	s_cbranch_execz .LBB1158_18
; %bb.16:
	s_load_dwordx2 s[4:5], s[0:1], 0x68
	s_lshl_b32 s0, s6, 6
	s_mul_i32 s1, s7, s2
	s_mul_hi_u32 s7, s1, s0
	s_mul_i32 s6, s1, s0
	v_lshlrev_b32_e32 v0, 10, v0
	s_lshl_b64 s[6:7], s[6:7], 1
	v_and_b32_e32 v0, 0x1800, v0
	v_lshlrev_b32_e32 v2, 5, v42
	v_and_b32_e32 v1, 16, v1
	s_waitcnt lgkmcnt(0)
	s_add_u32 s1, s4, s6
	v_or3_b32 v2, v0, v2, v1
	s_addc_u32 s4, s5, s7
	s_lshl_b32 s2, s28, 6
	s_lshl_b64 s[2:3], s[2:3], 1
	ds_read_b128 v[4:7], v2 offset:128
	ds_read_b128 v[8:11], v2
	s_add_u32 s2, s1, s2
	s_addc_u32 s3, s4, s3
	v_add_u32_e32 v3, s48, v42
	v_lshl_add_u64 v[0:1], s[2:3], 0, v[26:27]
	v_mad_u64_u32 v[12:13], s[2:3], v3, s0, 0
	v_lshl_add_u64 v[12:13], v[12:13], 1, v[0:1]
	v_add_u32_e32 v3, 4, v3
	s_waitcnt lgkmcnt(0)
	global_store_dwordx4 v[12:13], v[8:11], off
	v_cmp_ne_u32_e32 vcc, 3, v42
	s_nop 0
	v_mad_u64_u32 v[8:9], s[2:3], v3, s0, 0
	v_lshl_add_u64 v[8:9], v[8:9], 1, v[0:1]
	global_store_dwordx4 v[8:9], v[4:7], off
	s_and_b64 exec, exec, vcc
	s_cbranch_execz .LBB1158_18
; %bb.17:
	ds_read_b128 v[2:5], v2 offset:256
	v_add3_u32 v6, s48, v42, 8
	v_mad_u64_u32 v[6:7], s[0:1], v6, s0, 0
	v_lshl_add_u64 v[0:1], v[6:7], 1, v[0:1]
	s_waitcnt lgkmcnt(0)
	global_store_dwordx4 v[0:1], v[2:5], off
.LBB1158_18:
	s_endpgm
	.section	.rodata,"a",@progbits
	.p2align	6, 0x0
	.amdhsa_kernel _Z39paged_attention_ll4mi_QKV_mfma16_kernelI14__hip_bfloat16hLN4vllm18Fp8KVCacheDataTypeE1ES0_Li16ELi64ELi256ELb0ELi11EEvPKT_PKT0_S8_ifPKiSA_SA_iPKfiiiPfSD_PS3_PT2_iSC_SC_
		.amdhsa_group_segment_fixed_size 8192
		.amdhsa_private_segment_fixed_size 0
		.amdhsa_kernarg_size 400
		.amdhsa_user_sgpr_count 2
		.amdhsa_user_sgpr_dispatch_ptr 0
		.amdhsa_user_sgpr_queue_ptr 0
		.amdhsa_user_sgpr_kernarg_segment_ptr 1
		.amdhsa_user_sgpr_dispatch_id 0
		.amdhsa_user_sgpr_kernarg_preload_length 0
		.amdhsa_user_sgpr_kernarg_preload_offset 0
		.amdhsa_user_sgpr_private_segment_size 0
		.amdhsa_uses_dynamic_stack 0
		.amdhsa_enable_private_segment 0
		.amdhsa_system_sgpr_workgroup_id_x 1
		.amdhsa_system_sgpr_workgroup_id_y 1
		.amdhsa_system_sgpr_workgroup_id_z 1
		.amdhsa_system_sgpr_workgroup_info 0
		.amdhsa_system_vgpr_workitem_id 0
		.amdhsa_next_free_vgpr 58
		.amdhsa_next_free_sgpr 50
		.amdhsa_accum_offset 60
		.amdhsa_reserve_vcc 1
		.amdhsa_float_round_mode_32 0
		.amdhsa_float_round_mode_16_64 0
		.amdhsa_float_denorm_mode_32 3
		.amdhsa_float_denorm_mode_16_64 3
		.amdhsa_dx10_clamp 1
		.amdhsa_ieee_mode 1
		.amdhsa_fp16_overflow 0
		.amdhsa_tg_split 0
		.amdhsa_exception_fp_ieee_invalid_op 0
		.amdhsa_exception_fp_denorm_src 0
		.amdhsa_exception_fp_ieee_div_zero 0
		.amdhsa_exception_fp_ieee_overflow 0
		.amdhsa_exception_fp_ieee_underflow 0
		.amdhsa_exception_fp_ieee_inexact 0
		.amdhsa_exception_int_div_zero 0
	.end_amdhsa_kernel
	.section	.text._Z39paged_attention_ll4mi_QKV_mfma16_kernelI14__hip_bfloat16hLN4vllm18Fp8KVCacheDataTypeE1ES0_Li16ELi64ELi256ELb0ELi11EEvPKT_PKT0_S8_ifPKiSA_SA_iPKfiiiPfSD_PS3_PT2_iSC_SC_,"axG",@progbits,_Z39paged_attention_ll4mi_QKV_mfma16_kernelI14__hip_bfloat16hLN4vllm18Fp8KVCacheDataTypeE1ES0_Li16ELi64ELi256ELb0ELi11EEvPKT_PKT0_S8_ifPKiSA_SA_iPKfiiiPfSD_PS3_PT2_iSC_SC_,comdat
.Lfunc_end1158:
	.size	_Z39paged_attention_ll4mi_QKV_mfma16_kernelI14__hip_bfloat16hLN4vllm18Fp8KVCacheDataTypeE1ES0_Li16ELi64ELi256ELb0ELi11EEvPKT_PKT0_S8_ifPKiSA_SA_iPKfiiiPfSD_PS3_PT2_iSC_SC_, .Lfunc_end1158-_Z39paged_attention_ll4mi_QKV_mfma16_kernelI14__hip_bfloat16hLN4vllm18Fp8KVCacheDataTypeE1ES0_Li16ELi64ELi256ELb0ELi11EEvPKT_PKT0_S8_ifPKiSA_SA_iPKfiiiPfSD_PS3_PT2_iSC_SC_
                                        ; -- End function
	.section	.AMDGPU.csdata,"",@progbits
; Kernel info:
; codeLenInByte = 4856
; NumSgprs: 56
; NumVgprs: 58
; NumAgprs: 0
; TotalNumVgprs: 58
; ScratchSize: 0
; MemoryBound: 0
; FloatMode: 240
; IeeeMode: 1
; LDSByteSize: 8192 bytes/workgroup (compile time only)
; SGPRBlocks: 6
; VGPRBlocks: 7
; NumSGPRsForWavesPerEU: 56
; NumVGPRsForWavesPerEU: 58
; AccumOffset: 60
; Occupancy: 8
; WaveLimiterHint : 1
; COMPUTE_PGM_RSRC2:SCRATCH_EN: 0
; COMPUTE_PGM_RSRC2:USER_SGPR: 2
; COMPUTE_PGM_RSRC2:TRAP_HANDLER: 0
; COMPUTE_PGM_RSRC2:TGID_X_EN: 1
; COMPUTE_PGM_RSRC2:TGID_Y_EN: 1
; COMPUTE_PGM_RSRC2:TGID_Z_EN: 1
; COMPUTE_PGM_RSRC2:TIDIG_COMP_CNT: 0
; COMPUTE_PGM_RSRC3_GFX90A:ACCUM_OFFSET: 14
; COMPUTE_PGM_RSRC3_GFX90A:TG_SPLIT: 0
	.section	.text._Z39paged_attention_ll4mi_QKV_mfma16_kernelI14__hip_bfloat16hLN4vllm18Fp8KVCacheDataTypeE1ES0_Li16ELi64ELi256ELb0ELi12EEvPKT_PKT0_S8_ifPKiSA_SA_iPKfiiiPfSD_PS3_PT2_iSC_SC_,"axG",@progbits,_Z39paged_attention_ll4mi_QKV_mfma16_kernelI14__hip_bfloat16hLN4vllm18Fp8KVCacheDataTypeE1ES0_Li16ELi64ELi256ELb0ELi12EEvPKT_PKT0_S8_ifPKiSA_SA_iPKfiiiPfSD_PS3_PT2_iSC_SC_,comdat
	.protected	_Z39paged_attention_ll4mi_QKV_mfma16_kernelI14__hip_bfloat16hLN4vllm18Fp8KVCacheDataTypeE1ES0_Li16ELi64ELi256ELb0ELi12EEvPKT_PKT0_S8_ifPKiSA_SA_iPKfiiiPfSD_PS3_PT2_iSC_SC_ ; -- Begin function _Z39paged_attention_ll4mi_QKV_mfma16_kernelI14__hip_bfloat16hLN4vllm18Fp8KVCacheDataTypeE1ES0_Li16ELi64ELi256ELb0ELi12EEvPKT_PKT0_S8_ifPKiSA_SA_iPKfiiiPfSD_PS3_PT2_iSC_SC_
	.globl	_Z39paged_attention_ll4mi_QKV_mfma16_kernelI14__hip_bfloat16hLN4vllm18Fp8KVCacheDataTypeE1ES0_Li16ELi64ELi256ELb0ELi12EEvPKT_PKT0_S8_ifPKiSA_SA_iPKfiiiPfSD_PS3_PT2_iSC_SC_
	.p2align	8
	.type	_Z39paged_attention_ll4mi_QKV_mfma16_kernelI14__hip_bfloat16hLN4vllm18Fp8KVCacheDataTypeE1ES0_Li16ELi64ELi256ELb0ELi12EEvPKT_PKT0_S8_ifPKiSA_SA_iPKfiiiPfSD_PS3_PT2_iSC_SC_,@function
_Z39paged_attention_ll4mi_QKV_mfma16_kernelI14__hip_bfloat16hLN4vllm18Fp8KVCacheDataTypeE1ES0_Li16ELi64ELi256ELb0ELi12EEvPKT_PKT0_S8_ifPKiSA_SA_iPKfiiiPfSD_PS3_PT2_iSC_SC_: ; @_Z39paged_attention_ll4mi_QKV_mfma16_kernelI14__hip_bfloat16hLN4vllm18Fp8KVCacheDataTypeE1ES0_Li16ELi64ELi256ELb0ELi12EEvPKT_PKT0_S8_ifPKiSA_SA_iPKfiiiPfSD_PS3_PT2_iSC_SC_
; %bb.0:
	s_load_dwordx2 s[12:13], s[0:1], 0x30
	s_mov_b32 s28, s3
	s_mov_b64 s[6:7], 0
	s_waitcnt lgkmcnt(0)
	s_cmp_lg_u64 s[12:13], 0
	s_cselect_b64 s[14:15], -1, 0
	s_and_b64 vcc, exec, s[14:15]
	s_cbranch_vccz .LBB1159_7
; %bb.1:
	s_add_i32 s8, s2, 1
	s_mov_b32 s9, 0
	s_lshl_b64 s[10:11], s[8:9], 2
	s_add_u32 s10, s12, s10
	s_mov_b32 s3, s9
	s_addc_u32 s11, s13, s11
	s_lshl_b64 s[8:9], s[2:3], 2
	s_add_u32 s8, s12, s8
	s_addc_u32 s9, s13, s9
	s_load_dword s5, s[10:11], 0x0
	s_load_dword s16, s[8:9], 0x0
	s_waitcnt lgkmcnt(0)
	s_sub_i32 s5, s5, s16
	s_cmp_eq_u32 s5, 1
	s_cselect_b64 s[8:9], -1, 0
	s_andn2_b64 vcc, exec, s[6:7]
	s_cbranch_vccnz .LBB1159_3
.LBB1159_2:
	s_mov_b32 s3, 0
	s_mov_b64 s[8:9], -1
.LBB1159_3:
	s_andn2_b64 vcc, exec, s[8:9]
	s_cbranch_vccnz .LBB1159_17
; %bb.4:
	s_load_dwordx2 s[6:7], s[0:1], 0x28
	s_lshl_b64 s[16:17], s[2:3], 2
	s_waitcnt lgkmcnt(0)
	s_add_u32 s6, s6, s16
	s_addc_u32 s7, s7, s17
	s_load_dword s33, s[6:7], 0x0
	s_lshl_b32 s5, s28, 8
	s_waitcnt lgkmcnt(0)
	s_cmp_ge_i32 s5, s33
	s_cbranch_scc1 .LBB1159_17
; %bb.5:
	s_load_dwordx2 s[6:7], s[0:1], 0x20
	s_load_dword s8, s[0:1], 0x38
	s_add_i32 s9, s33, 15
	s_ashr_i32 s10, s9, 31
	v_and_b32_e32 v1, 0xcf, v0
	s_lshr_b32 s10, s10, 28
	v_add_u32_e32 v1, s5, v1
	s_add_i32 s9, s9, s10
	v_ashrrev_i32_e32 v2, 31, v1
	s_ashr_i32 s18, s9, 4
	v_lshrrev_b32_e32 v4, 28, v2
	s_add_i32 s18, s18, -1
	s_waitcnt lgkmcnt(0)
	s_mul_i32 s8, s2, s8
	s_mov_b32 s9, 0
	v_add_u32_e32 v2, v1, v4
	s_lshl_b64 s[8:9], s[8:9], 2
	v_ashrrev_i32_e32 v2, 4, v2
	v_mov_b32_e32 v5, s18
	v_cmp_gt_i32_e32 vcc, s33, v1
	s_add_u32 s6, s6, s8
	s_addc_u32 s7, s7, s9
	v_cndmask_b32_e32 v2, v5, v2, vcc
	v_ashrrev_i32_e32 v3, 31, v2
	v_lshl_add_u64 v[6:7], v[2:3], 2, s[6:7]
	v_or_b32_e32 v2, 16, v1
	v_add_u32_e32 v3, v2, v4
	v_ashrrev_i32_e32 v3, 4, v3
	v_cmp_gt_i32_e32 vcc, s33, v2
	s_load_dwordx4 s[8:11], s[0:1], 0x8
	s_nop 0
	v_cndmask_b32_e32 v2, v5, v3, vcc
	v_ashrrev_i32_e32 v3, 31, v2
	v_lshl_add_u64 v[8:9], v[2:3], 2, s[6:7]
	v_or_b32_e32 v2, 32, v1
	v_add_u32_e32 v3, v2, v4
	v_ashrrev_i32_e32 v3, 4, v3
	v_cmp_gt_i32_e32 vcc, s33, v2
	v_or_b32_e32 v1, 48, v1
	s_nop 0
	v_cndmask_b32_e32 v2, v5, v3, vcc
	v_ashrrev_i32_e32 v3, 31, v2
	v_lshl_add_u64 v[10:11], v[2:3], 2, s[6:7]
	v_add_u32_e32 v2, v1, v4
	v_ashrrev_i32_e32 v2, 4, v2
	v_cmp_gt_i32_e32 vcc, s33, v1
	s_nop 1
	v_cndmask_b32_e32 v2, v5, v2, vcc
	v_ashrrev_i32_e32 v3, 31, v2
	v_lshl_add_u64 v[14:15], v[2:3], 2, s[6:7]
	global_load_dword v4, v[6:7], off
	global_load_dword v3, v[8:9], off
	;; [unrolled: 1-line block ×4, first 2 shown]
	s_andn2_b64 vcc, exec, s[14:15]
	s_cbranch_vccnz .LBB1159_8
; %bb.6:
	s_add_u32 s12, s12, s16
	s_addc_u32 s13, s13, s17
	s_load_dword s14, s[12:13], 0x0
	s_branch .LBB1159_9
.LBB1159_7:
	s_mov_b64 s[8:9], 0
	s_branch .LBB1159_2
.LBB1159_8:
	s_mov_b32 s14, s2
.LBB1159_9:
	s_load_dwordx4 s[44:47], s[0:1], 0x48
	v_and_b32_e32 v28, 15, v0
	s_movk_i32 s12, 0xc0
	v_lshlrev_b32_e32 v5, 3, v28
	v_cmp_gt_u32_e32 vcc, s12, v0
	v_cmp_gt_u32_e64 s[30:31], 8, v28
	v_lshrrev_b32_e32 v29, 6, v0
	v_and_b32_e32 v43, 63, v0
	v_bfe_u32 v1, v0, 4, 2
	s_mul_i32 s48, s4, 12
	s_and_b64 s[16:17], vcc, s[30:31]
	v_lshlrev_b32_e32 v26, 1, v5
	v_lshlrev_b32_e32 v42, 4, v0
	s_and_saveexec_b64 s[12:13], s[16:17]
	s_cbranch_execz .LBB1159_11
; %bb.10:
	s_load_dwordx2 s[16:17], s[0:1], 0x0
	s_waitcnt lgkmcnt(0)
	s_ashr_i32 s15, s44, 31
	s_mul_hi_u32 s19, s14, s44
	s_mul_i32 s15, s14, s15
	s_add_i32 s15, s19, s15
	s_mul_i32 s14, s14, s44
	v_lshl_or_b32 v5, v29, 2, v1
	s_lshl_b64 s[14:15], s[14:15], 1
	s_add_u32 s14, s16, s14
	v_add_lshl_u32 v6, v5, s48, 6
	s_addc_u32 s15, s17, s15
	v_ashrrev_i32_e32 v7, 31, v6
	v_lshl_add_u64 v[6:7], v[6:7], 1, s[14:15]
	v_mov_b32_e32 v27, 0
	v_lshl_add_u64 v[6:7], v[6:7], 0, v[26:27]
	global_load_dwordx4 v[6:9], v[6:7], off
	v_lshlrev_b32_e32 v11, 8, v28
	v_lshlrev_b32_e32 v5, 5, v5
	v_and_b32_e32 v10, 16, v42
	v_and_b32_e32 v11, 0xe00, v11
	v_or3_b32 v5, v11, v5, v10
	s_waitcnt vmcnt(0)
	ds_write_b128 v5, v[6:9]
.LBB1159_11:
	s_or_b64 exec, exec, s[12:13]
	s_waitcnt lgkmcnt(0)
	s_mul_i32 s4, s4, s46
	s_add_u32 s8, s8, s4
	s_addc_u32 s9, s9, 0
	v_and_b32_e32 v8, 48, v0
	v_and_b32_e32 v30, 0xf0, v42
	v_mov_b32_e32 v31, 0
	v_lshl_add_u64 v[6:7], s[8:9], 0, v[30:31]
	v_lshlrev_b32_e32 v30, 4, v8
	v_or_b32_e32 v8, s5, v8
	v_lshl_add_u64 v[10:11], v[6:7], 0, v[30:31]
	v_ashrrev_i32_e32 v6, 4, v8
	v_mov_b32_e32 v27, s18
	v_cmp_gt_i32_e32 vcc, s33, v8
	s_load_dword s29, s[0:1], 0x98
	s_load_dwordx4 s[40:43], s[0:1], 0x80
	v_cndmask_b32_e32 v6, v27, v6, vcc
	v_ashrrev_i32_e32 v7, 31, v6
	v_lshl_add_u64 v[6:7], v[6:7], 2, s[6:7]
	s_waitcnt lgkmcnt(0)
	s_barrier
	s_waitcnt vmcnt(3)
	v_mad_i64_i32 v[4:5], s[8:9], v4, s45, v[10:11]
	global_load_dword v38, v[6:7], off
	global_load_dwordx4 v[22:25], v[4:5], off
	s_waitcnt vmcnt(4)
	v_mad_i64_i32 v[4:5], s[8:9], v3, s45, v[10:11]
	global_load_dwordx4 v[18:21], v[4:5], off
	s_waitcnt vmcnt(4)
	v_mad_i64_i32 v[2:3], s[8:9], v2, s45, v[10:11]
	global_load_dwordx4 v[14:17], v[2:3], off
	v_add_u32_e32 v4, -12, v28
	v_cmp_gt_u32_e32 vcc, 12, v28
	v_or_b32_e32 v13, 64, v8
	s_waitcnt vmcnt(4)
	v_mad_i64_i32 v[10:11], s[12:13], v12, s45, v[10:11]
	v_cndmask_b32_e32 v2, v4, v28, vcc
	v_lshlrev_b32_e32 v2, 5, v2
	v_lshl_add_u32 v2, v1, 9, v2
	v_or_b32_e32 v33, 0x80, v8
	v_or_b32_e32 v35, 0xc0, v8
	v_ashrrev_i32_e32 v32, 4, v13
	ds_read_b128 v[6:9], v2
	ds_read_b128 v[2:5], v2 offset:16
	v_cmp_gt_i32_e32 vcc, s33, v13
	global_load_dwordx4 v[10:13], v[10:11], off
	v_ashrrev_i32_e32 v34, 4, v33
	v_cndmask_b32_e32 v32, v27, v32, vcc
	v_cmp_gt_i32_e32 vcc, s33, v33
	v_ashrrev_i32_e32 v36, 4, v35
	v_ashrrev_i32_e32 v33, 31, v32
	v_cndmask_b32_e32 v34, v27, v34, vcc
	v_cmp_gt_i32_e32 vcc, s33, v35
	v_ashrrev_i32_e32 v35, 31, v34
	v_lshl_add_u64 v[32:33], v[32:33], 2, s[6:7]
	v_cndmask_b32_e32 v36, v27, v36, vcc
	v_ashrrev_i32_e32 v37, 31, v36
	v_lshl_add_u64 v[34:35], v[34:35], 2, s[6:7]
	v_lshl_add_u64 v[36:37], v[36:37], 2, s[6:7]
	s_add_u32 s8, s10, s4
	s_load_dword s4, s[40:41], 0x0
	global_load_dword v45, v[32:33], off
	global_load_dword v27, v[34:35], off
	;; [unrolled: 1-line block ×3, first 2 shown]
	v_lshlrev_b32_e32 v30, 4, v28
	s_addc_u32 s9, s11, 0
	v_lshl_or_b32 v30, v29, 8, v30
	s_mov_b32 s44, 0x7060302
	v_lshl_add_u64 v[30:31], s[8:9], 0, v[30:31]
	s_load_dword s14, s[0:1], 0x1c
	s_mov_b32 s46, 0xff7fffff
	s_waitcnt vmcnt(7)
	v_mad_i64_i32 v[32:33], s[6:7], v38, s45, v[30:31]
	s_waitcnt vmcnt(6)
	v_cvt_pk_f32_fp8_e32 v[34:35], v22
	v_cvt_pk_f32_fp8_sdwa v[36:37], v22 src0_sel:WORD_1
	v_cvt_pk_f32_fp8_e32 v[38:39], v23
	v_cvt_pk_f32_fp8_sdwa v[40:41], v23 src0_sel:WORD_1
	v_perm_b32 v34, v35, v34, s44
	v_perm_b32 v35, v37, v36, s44
	s_waitcnt vmcnt(5)
	v_cvt_pk_f32_fp8_e32 v[22:23], v18
	v_cvt_pk_f32_fp8_sdwa v[52:53], v18 src0_sel:WORD_1
	v_perm_b32 v38, v39, v38, s44
	v_perm_b32 v39, v41, v40, s44
	v_cvt_pk_f32_fp8_e32 v[46:47], v24
	v_cvt_pk_f32_fp8_sdwa v[48:49], v24 src0_sel:WORD_1
	v_cvt_pk_f32_fp8_e32 v[50:51], v25
	v_cvt_pk_f32_fp8_sdwa v[54:55], v25 src0_sel:WORD_1
	v_perm_b32 v36, v23, v22, s44
	s_waitcnt lgkmcnt(0)
	v_mfma_f32_16x16x16_bf16 v[22:25], v[34:35], v[6:7], 0
	v_cvt_pk_f32_fp8_e32 v[56:57], v19
	v_perm_b32 v37, v53, v52, s44
	v_cvt_pk_f32_fp8_sdwa v[18:19], v19 src0_sel:WORD_1
	v_mfma_f32_16x16x16_bf16 v[22:25], v[38:39], v[8:9], v[22:25]
	v_perm_b32 v38, v47, v46, s44
	v_perm_b32 v39, v49, v48, s44
	v_cvt_pk_f32_fp8_e32 v[40:41], v20
	v_perm_b32 v52, v57, v56, s44
	v_perm_b32 v53, v19, v18, s44
	v_cvt_pk_f32_fp8_sdwa v[18:19], v20 src0_sel:WORD_1
	v_mfma_f32_16x16x16_bf16 v[34:37], v[36:37], v[6:7], 0
	v_cvt_pk_f32_fp8_e32 v[46:47], v21
	v_perm_b32 v48, v51, v50, s44
	v_perm_b32 v49, v55, v54, s44
	v_mfma_f32_16x16x16_bf16 v[22:25], v[38:39], v[2:3], v[22:25]
	v_cvt_pk_f32_fp8_sdwa v[38:39], v21 src0_sel:WORD_1
	v_perm_b32 v40, v41, v40, s44
	v_perm_b32 v41, v19, v18, s44
	v_mfma_f32_16x16x16_bf16 v[34:37], v[52:53], v[8:9], v[34:37]
	v_perm_b32 v46, v47, v46, s44
	v_perm_b32 v47, v39, v38, s44
	s_waitcnt vmcnt(4)
	v_cvt_pk_f32_fp8_e32 v[38:39], v14
	v_mfma_f32_16x16x16_bf16 v[18:21], v[48:49], v[4:5], v[22:25]
	v_cvt_pk_f32_fp8_sdwa v[50:51], v17 src0_sel:WORD_1
	v_mov_b32_e32 v48, s14
	v_mul_f32_e32 v48, s4, v48
	v_mfma_f32_16x16x16_bf16 v[22:25], v[40:41], v[2:3], v[34:37]
	v_cvt_pk_f32_fp8_sdwa v[40:41], v14 src0_sel:WORD_1
	v_mfma_f32_16x16x16_bf16 v[34:37], v[46:47], v[4:5], v[22:25]
	v_cvt_pk_f32_fp8_sdwa v[46:47], v16 src0_sel:WORD_1
	s_nop 3
	v_cvt_pk_f32_fp8_e32 v[22:23], v15
	v_perm_b32 v24, v39, v38, s44
	v_perm_b32 v25, v41, v40, s44
	v_cvt_pk_f32_fp8_sdwa v[14:15], v15 src0_sel:WORD_1
	v_perm_b32 v38, v23, v22, s44
	v_cvt_pk_f32_fp8_e32 v[40:41], v16
	v_mfma_f32_16x16x16_bf16 v[22:25], v[24:25], v[6:7], 0
	v_perm_b32 v39, v15, v14, s44
	v_perm_b32 v40, v41, v40, s44
	;; [unrolled: 1-line block ×3, first 2 shown]
	v_cvt_pk_f32_fp8_e32 v[46:47], v17
	v_mfma_f32_16x16x16_bf16 v[14:17], v[38:39], v[8:9], v[22:25]
	s_waitcnt vmcnt(3)
	v_cvt_pk_f32_fp8_sdwa v[38:39], v10 src0_sel:WORD_1
	v_pk_mul_f32 v[36:37], v[48:49], v[36:37] op_sel_hi:[0,1]
	v_perm_b32 v24, v47, v46, s44
	v_perm_b32 v25, v51, v50, s44
	v_pk_mul_f32 v[22:23], v[48:49], v[20:21] op_sel_hi:[0,1]
	v_mfma_f32_16x16x16_bf16 v[14:17], v[40:41], v[2:3], v[14:17]
	v_pk_mul_f32 v[20:21], v[48:49], v[18:19] op_sel_hi:[0,1]
	v_cvt_pk_f32_fp8_e32 v[18:19], v10
	v_cvt_pk_f32_fp8_e32 v[46:47], v12
	v_mfma_f32_16x16x16_bf16 v[14:17], v[24:25], v[4:5], v[14:17]
	v_cvt_pk_f32_fp8_e32 v[24:25], v11
	v_perm_b32 v18, v19, v18, s44
	v_perm_b32 v19, v39, v38, s44
	v_cvt_pk_f32_fp8_sdwa v[10:11], v11 src0_sel:WORD_1
	v_perm_b32 v24, v25, v24, s44
	v_cvt_pk_f32_fp8_sdwa v[50:51], v12 src0_sel:WORD_1
	v_mfma_f32_16x16x16_bf16 v[38:41], v[18:19], v[6:7], 0
	v_perm_b32 v25, v11, v10, s44
	v_perm_b32 v10, v47, v46, s44
	;; [unrolled: 1-line block ×3, first 2 shown]
	v_cvt_pk_f32_fp8_e32 v[18:19], v13
	v_cvt_pk_f32_fp8_sdwa v[12:13], v13 src0_sel:WORD_1
	v_mfma_f32_16x16x16_bf16 v[6:9], v[24:25], v[8:9], v[38:41]
	v_perm_b32 v18, v19, v18, s44
	v_perm_b32 v19, v13, v12, s44
	v_mfma_f32_16x16x16_bf16 v[6:9], v[10:11], v[2:3], v[6:9]
	v_pk_mul_f32 v[40:41], v[48:49], v[34:35] op_sel_hi:[0,1]
	v_pk_mul_f32 v[38:39], v[48:49], v[14:15] op_sel_hi:[0,1]
	;; [unrolled: 1-line block ×3, first 2 shown]
	v_mfma_f32_16x16x16_bf16 v[2:5], v[18:19], v[4:5], v[6:9]
	s_nop 6
	v_pk_mul_f32 v[24:25], v[48:49], v[2:3] op_sel_hi:[0,1]
	v_and_b32_e32 v2, 0xc0, v0
	v_add_u32_e32 v2, s5, v2
	v_lshl_or_b32 v2, v1, 2, v2
	v_pk_mul_f32 v[18:19], v[48:49], v[4:5] op_sel_hi:[0,1]
	v_or_b32_e32 v5, 1, v2
	v_mov_b32_e32 v3, 0xff7fffff
	v_cmp_gt_i32_e64 s[4:5], s33, v2
	v_cmp_gt_i32_e64 s[34:35], s33, v5
	v_or_b32_e32 v6, 3, v2
	v_cndmask_b32_e64 v4, v3, v20, s[4:5]
	v_cndmask_b32_e64 v5, v3, v21, s[34:35]
	v_max3_f32 v4, v4, s46, v5
	v_or_b32_e32 v5, 2, v2
	v_cmp_gt_i32_e64 s[36:37], s33, v5
	v_cmp_gt_i32_e64 s[38:39], s33, v6
	s_nop 0
	v_cndmask_b32_e64 v5, v3, v22, s[36:37]
	v_cndmask_b32_e64 v6, v3, v23, s[38:39]
	v_max3_f32 v4, v4, v5, v6
	v_or_b32_e32 v5, 16, v2
	v_or_b32_e32 v6, 17, v2
	v_cmp_gt_i32_e64 s[24:25], s33, v5
	v_cmp_gt_i32_e64 s[26:27], s33, v6
	s_nop 0
	v_cndmask_b32_e64 v5, v3, v40, s[24:25]
	v_cndmask_b32_e64 v6, v3, v41, s[26:27]
	v_max3_f32 v4, v4, v5, v6
	v_or_b32_e32 v5, 18, v2
	;; [unrolled: 8-line block ×6, first 2 shown]
	v_or_b32_e32 v2, 51, v2
	v_cmp_gt_i32_e32 vcc, s33, v5
	v_cmp_gt_i32_e64 s[6:7], s33, v2
	s_nop 0
	v_cndmask_b32_e32 v5, v3, v18, vcc
	v_cndmask_b32_e64 v2, v3, v19, s[6:7]
	v_max3_f32 v4, v4, v5, v2
	v_mbcnt_lo_u32_b32 v2, -1, 0
	v_mbcnt_hi_u32_b32 v5, -1, v2
	v_and_b32_e32 v2, 64, v5
	v_add_u32_e32 v6, 64, v2
	v_xor_b32_e32 v2, 32, v5
	v_cmp_lt_i32_e64 s[40:41], v2, v6
	s_nop 1
	v_cndmask_b32_e64 v2, v5, v2, s[40:41]
	v_lshlrev_b32_e32 v46, 2, v2
	ds_bpermute_b32 v7, v46, v4
	s_waitcnt vmcnt(2)
	v_mad_i64_i32 v[2:3], s[40:41], v45, s45, v[30:31]
	global_load_dwordx4 v[14:17], v[32:33], off
	global_load_dwordx4 v[10:13], v[2:3], off
	v_xor_b32_e32 v3, 16, v5
	v_cmp_lt_i32_e64 s[40:41], v3, v6
	s_waitcnt lgkmcnt(0)
	v_max_f32_e32 v2, v7, v7
	v_max_f32_e32 v2, v4, v2
	v_cndmask_b32_e64 v3, v5, v3, s[40:41]
	v_lshlrev_b32_e32 v45, 2, v3
	ds_bpermute_b32 v3, v45, v2
	s_waitcnt vmcnt(3)
	v_mad_i64_i32 v[32:33], s[40:41], v27, s45, v[30:31]
	s_waitcnt vmcnt(2)
	v_mad_i64_i32 v[30:31], s[40:41], v44, s45, v[30:31]
	s_waitcnt lgkmcnt(0)
	v_max_f32_e32 v3, v3, v3
	v_max_f32_e32 v27, v2, v3
	v_sub_f32_e32 v2, v20, v27
	v_mul_f32_e32 v2, 0x3fb8aa3b, v2
	v_exp_f32_e32 v20, v2
	v_sub_f32_e32 v2, v21, v27
	v_mul_f32_e32 v2, 0x3fb8aa3b, v2
	v_exp_f32_e32 v21, v2
	global_load_dwordx4 v[6:9], v[32:33], off
	global_load_dwordx4 v[2:5], v[30:31], off
	v_sub_f32_e32 v22, v22, v27
	v_mul_f32_e32 v22, 0x3fb8aa3b, v22
	v_sub_f32_e32 v23, v23, v27
	v_exp_f32_e32 v22, v22
	v_mul_f32_e32 v23, 0x3fb8aa3b, v23
	v_exp_f32_e32 v23, v23
	v_cndmask_b32_e64 v20, 0, v20, s[4:5]
	v_add_f32_e32 v30, 0, v20
	v_cndmask_b32_e64 v21, 0, v21, s[34:35]
	v_add_f32_e32 v30, v30, v21
	;; [unrolled: 2-line block ×3, first 2 shown]
	v_cndmask_b32_e64 v33, 0, v23, s[38:39]
	v_sub_f32_e32 v23, v40, v27
	v_sub_f32_e32 v30, v41, v27
	v_mul_f32_e32 v23, 0x3fb8aa3b, v23
	v_mul_f32_e32 v30, 0x3fb8aa3b, v30
	v_exp_f32_e32 v23, v23
	v_exp_f32_e32 v30, v30
	v_add_f32_e32 v31, v22, v33
	v_sub_f32_e32 v34, v34, v27
	v_cndmask_b32_e64 v22, 0, v23, s[24:25]
	v_cndmask_b32_e64 v23, 0, v30, s[26:27]
	v_sub_f32_e32 v30, v36, v27
	v_mul_f32_e32 v30, 0x3fb8aa3b, v30
	v_exp_f32_e32 v30, v30
	v_sub_f32_e32 v36, v37, v27
	v_add_f32_e32 v31, v31, v22
	v_mul_f32_e32 v36, 0x3fb8aa3b, v36
	v_exp_f32_e32 v37, v36
	v_add_f32_e32 v31, v31, v23
	v_cndmask_b32_e64 v36, 0, v30, s[20:21]
	v_add_f32_e32 v30, v31, v36
	v_sub_f32_e32 v31, v38, v27
	v_mul_f32_e32 v31, 0x3fb8aa3b, v31
	v_sub_f32_e32 v38, v39, v27
	v_exp_f32_e32 v31, v31
	v_mul_f32_e32 v38, 0x3fb8aa3b, v38
	v_exp_f32_e32 v38, v38
	v_mul_f32_e32 v34, 0x3fb8aa3b, v34
	v_sub_f32_e32 v35, v35, v27
	v_exp_f32_e32 v34, v34
	v_mul_f32_e32 v35, 0x3fb8aa3b, v35
	v_sub_f32_e32 v24, v24, v27
	v_cndmask_b32_e64 v37, 0, v37, s[22:23]
	v_exp_f32_e32 v35, v35
	v_mul_f32_e32 v24, 0x3fb8aa3b, v24
	v_sub_f32_e32 v25, v25, v27
	v_add_f32_e32 v39, v30, v37
	v_cndmask_b32_e64 v30, 0, v31, s[16:17]
	v_exp_f32_e32 v24, v24
	v_mul_f32_e32 v25, 0x3fb8aa3b, v25
	v_sub_f32_e32 v18, v18, v27
	v_add_f32_e32 v39, v39, v30
	;; [unrolled: 5-line block ×3, first 2 shown]
	v_cndmask_b32_e64 v34, 0, v34, s[12:13]
	v_exp_f32_e32 v18, v18
	v_mul_f32_e32 v19, 0x3fb8aa3b, v19
	v_add_f32_e32 v38, v38, v34
	v_cndmask_b32_e64 v35, 0, v35, s[14:15]
	v_exp_f32_e32 v19, v19
	v_add_f32_e32 v38, v38, v35
	v_cndmask_b32_e64 v24, 0, v24, s[8:9]
	v_add_f32_e32 v38, v38, v24
	v_cndmask_b32_e64 v25, 0, v25, s[10:11]
	v_add_f32_e32 v38, v38, v25
	v_cndmask_b32_e32 v18, 0, v18, vcc
	v_add_f32_e32 v38, v38, v18
	v_cndmask_b32_e64 v19, 0, v19, s[6:7]
	v_add_f32_e32 v38, v38, v19
	ds_bpermute_b32 v39, v46, v38
	v_cmp_gt_u32_e32 vcc, 16, v43
	s_waitcnt lgkmcnt(0)
	s_barrier
	v_add_f32_e32 v39, v38, v39
	ds_bpermute_b32 v40, v45, v39
	v_lshlrev_b32_e32 v38, 2, v28
	s_and_saveexec_b64 s[4:5], vcc
	s_cbranch_execz .LBB1159_13
; %bb.12:
	s_waitcnt lgkmcnt(0)
	v_add_f32_e32 v39, v39, v40
	v_lshl_or_b32 v40, v29, 6, v38
	ds_write2st64_b32 v40, v27, v39 offset1:1
.LBB1159_13:
	s_or_b64 exec, exec, s[4:5]
	s_load_dword s6, s[0:1], 0x94
	s_waitcnt lgkmcnt(0)
	s_barrier
	ds_read2_b32 v[40:41], v38 offset1:16
	ds_read2_b32 v[44:45], v38 offset0:32 offset1:48
	ds_read2_b32 v[46:47], v38 offset0:64 offset1:80
	s_movk_i32 s8, 0x7fff
	s_mul_i32 s7, s29, 12
	s_waitcnt lgkmcnt(2)
	v_max3_f32 v27, v40, s46, v41
	s_waitcnt lgkmcnt(1)
	v_max3_f32 v27, v27, v44, v45
	v_sub_f32_e32 v39, v40, v27
	v_sub_f32_e32 v40, v41, v27
	v_mul_f32_e32 v40, 0x3fb8aa3b, v40
	v_mul_f32_e32 v39, 0x3fb8aa3b, v39
	v_exp_f32_e32 v43, v40
	v_sub_f32_e32 v40, v44, v27
	v_exp_f32_e32 v39, v39
	v_mul_f32_e32 v40, 0x3fb8aa3b, v40
	v_exp_f32_e32 v44, v40
	ds_read2_b32 v[40:41], v38 offset0:96 offset1:112
	v_sub_f32_e32 v38, v45, v27
	v_mul_f32_e32 v38, 0x3fb8aa3b, v38
	v_exp_f32_e32 v45, v38
	s_waitcnt lgkmcnt(1)
	v_fma_f32 v38, v39, v46, 0
	v_fmac_f32_e32 v38, v43, v47
	s_waitcnt lgkmcnt(0)
	v_fmac_f32_e32 v38, v44, v40
	v_fmac_f32_e32 v38, v45, v41
	v_add_f32_e32 v40, 0x358637bd, v38
	v_div_scale_f32 v41, s[4:5], v40, v40, 1.0
	v_rcp_f32_e32 v46, v41
	s_barrier
	v_fma_f32 v47, -v41, v46, 1.0
	v_fmac_f32_e32 v46, v47, v46
	v_div_scale_f32 v47, vcc, 1.0, v40, 1.0
	v_mul_f32_e32 v48, v47, v46
	v_fma_f32 v49, -v41, v48, v47
	v_fmac_f32_e32 v48, v49, v46
	v_fma_f32 v41, -v41, v48, v47
	v_div_fmas_f32 v41, v41, v46, v48
	v_cmp_eq_u32_e32 vcc, 1, v29
	v_div_fixup_f32 v40, v41, v40, 1.0
	s_nop 0
	v_cndmask_b32_e32 v39, v39, v43, vcc
	v_cmp_eq_u32_e32 vcc, 2, v29
	s_nop 1
	v_cndmask_b32_e32 v39, v39, v44, vcc
	v_cmp_eq_u32_e32 vcc, 3, v29
	v_lshlrev_b32_e32 v29, 11, v29
	s_nop 0
	v_cndmask_b32_e32 v39, v39, v45, vcc
	v_mul_f32_e32 v40, v39, v40
	v_pk_mul_f32 v[20:21], v[40:41], v[20:21] op_sel_hi:[0,1]
	v_pk_mul_f32 v[32:33], v[40:41], v[32:33] op_sel_hi:[0,1]
	v_bfe_u32 v39, v21, 16, 1
	v_bfe_u32 v41, v20, 16, 1
	v_add3_u32 v20, v20, v41, s8
	v_add3_u32 v21, v21, v39, s8
	v_perm_b32 v44, v21, v20, s44
	v_bfe_u32 v20, v33, 16, 1
	v_bfe_u32 v21, v32, 16, 1
	v_add3_u32 v21, v32, v21, s8
	v_add3_u32 v20, v33, v20, s8
	v_perm_b32 v45, v20, v21, s44
	v_lshlrev_b32_e32 v20, 3, v1
	v_lshlrev_b32_e32 v21, 5, v28
	v_pk_mul_f32 v[22:23], v[40:41], v[22:23] op_sel_hi:[0,1]
	v_or3_b32 v20, v29, v21, v20
	v_pk_mul_f32 v[32:33], v[40:41], v[36:37] op_sel_hi:[0,1]
	v_bfe_u32 v29, v23, 16, 1
	v_bfe_u32 v36, v22, 16, 1
	v_add3_u32 v22, v22, v36, s8
	v_add3_u32 v23, v23, v29, s8
	v_perm_b32 v22, v23, v22, s44
	v_bfe_u32 v23, v33, 16, 1
	v_bfe_u32 v29, v32, 16, 1
	v_add3_u32 v29, v32, v29, s8
	v_add3_u32 v23, v33, v23, s8
	v_pk_mul_f32 v[30:31], v[40:41], v[30:31] op_sel_hi:[0,1]
	v_perm_b32 v23, v23, v29, s44
	v_bfe_u32 v29, v31, 16, 1
	v_bfe_u32 v32, v30, 16, 1
	ds_write2st64_b64 v20, v[44:45], v[22:23] offset1:1
	v_pk_mul_f32 v[22:23], v[40:41], v[34:35] op_sel_hi:[0,1]
	v_add3_u32 v30, v30, v32, s8
	v_add3_u32 v29, v31, v29, s8
	v_perm_b32 v30, v29, v30, s44
	v_bfe_u32 v29, v23, 16, 1
	v_bfe_u32 v31, v22, 16, 1
	v_add3_u32 v22, v22, v31, s8
	v_add3_u32 v23, v23, v29, s8
	v_perm_b32 v31, v23, v22, s44
	v_pk_mul_f32 v[22:23], v[40:41], v[24:25] op_sel_hi:[0,1]
	v_bfe_u32 v24, v23, 16, 1
	v_bfe_u32 v25, v22, 16, 1
	v_pk_mul_f32 v[18:19], v[40:41], v[18:19] op_sel_hi:[0,1]
	v_add3_u32 v22, v22, v25, s8
	v_add3_u32 v23, v23, v24, s8
	v_perm_b32 v22, v23, v22, s44
	v_bfe_u32 v23, v19, 16, 1
	v_bfe_u32 v24, v18, 16, 1
	v_add3_u32 v18, v18, v24, s8
	v_add3_u32 v19, v19, v23, s8
	v_perm_b32 v23, v19, v18, s44
	v_cmp_gt_u32_e32 vcc, 12, v0
	ds_write2st64_b64 v20, v[30:31], v[22:23] offset0:2 offset1:3
	s_and_saveexec_b64 s[4:5], vcc
	s_cbranch_execz .LBB1159_15
; %bb.14:
	s_mov_b32 s49, 0
	v_mov_b32_e32 v29, 0
	v_lshl_add_u64 v[18:19], s[48:49], 0, v[28:29]
	v_mov_b32_e32 v22, s7
	v_mad_u64_u32 v[18:19], s[10:11], s2, v22, v[18:19]
	s_mul_i32 s3, s3, s7
	v_mov_b32_e32 v28, s28
	s_load_dwordx4 s[12:15], s[0:1], 0x58
	v_add_u32_e32 v23, s3, v19
	v_mad_u64_u32 v[18:19], s[10:11], v18, s6, v[28:29]
	v_mov_b32_e32 v22, v19
	v_mad_u64_u32 v[22:23], s[10:11], v23, s6, v[22:23]
	v_mov_b32_e32 v19, v22
	v_lshlrev_b64 v[18:19], 2, v[18:19]
	s_waitcnt lgkmcnt(0)
	v_lshl_add_u64 v[22:23], s[14:15], 0, v[18:19]
	v_lshl_add_u64 v[18:19], s[12:13], 0, v[18:19]
	global_store_dword v[22:23], v27, off
	global_store_dword v[18:19], v38, off
.LBB1159_15:
	s_or_b64 exec, exec, s[4:5]
	s_waitcnt vmcnt(3)
	v_cvt_pk_f32_fp8_e32 v[18:19], v14
	v_cvt_pk_f32_fp8_sdwa v[22:23], v14 src0_sel:WORD_1
	s_mov_b32 s4, 0x7060302
	v_lshl_or_b32 v14, v1, 9, v21
	s_waitcnt lgkmcnt(0)
	s_barrier
	v_perm_b32 v18, v19, v18, s4
	v_perm_b32 v19, v23, v22, s4
	v_cvt_pk_f32_fp8_e32 v[28:29], v15
	ds_read_b128 v[22:25], v14
	v_cvt_pk_f32_fp8_sdwa v[36:37], v15 src0_sel:WORD_1
	s_load_dword s10, s[42:43], 0x0
	v_perm_b32 v38, v29, v28, s4
	ds_read_b128 v[28:31], v14 offset:16
	v_perm_b32 v39, v37, v36, s4
	s_waitcnt lgkmcnt(0)
	v_mfma_f32_16x16x16_bf16 v[32:35], v[18:19], v[22:23], 0
	v_cvt_pk_f32_fp8_e32 v[18:19], v16
	v_cvt_pk_f32_fp8_sdwa v[36:37], v16 src0_sel:WORD_1
	v_cmp_gt_u32_e32 vcc, 64, v0
	v_mfma_f32_16x16x16_bf16 v[22:25], v[38:39], v[24:25], v[32:35]
	v_perm_b32 v18, v19, v18, s4
	v_perm_b32 v19, v37, v36, s4
	s_waitcnt vmcnt(2)
	v_cvt_pk_f32_fp8_sdwa v[36:37], v10 src0_sel:WORD_1
	v_cvt_pk_f32_fp8_e32 v[32:33], v17
	v_cvt_pk_f32_fp8_sdwa v[16:17], v17 src0_sel:WORD_1
	v_cvt_pk_f32_fp8_e32 v[34:35], v10
	s_mov_b32 s3, 0
	v_perm_b32 v32, v33, v32, s4
	v_perm_b32 v33, v17, v16, s4
	v_mfma_f32_16x16x16_bf16 v[16:19], v[18:19], v[28:29], v[22:25]
	v_perm_b32 v34, v35, v34, s4
	v_perm_b32 v35, v37, v36, s4
	v_cvt_pk_f32_fp8_e32 v[28:29], v11
	ds_read_b128 v[22:25], v14 offset:2048
	v_cvt_pk_f32_fp8_sdwa v[10:11], v11 src0_sel:WORD_1
	v_mfma_f32_16x16x16_bf16 v[16:19], v[32:33], v[30:31], v[16:19]
	v_perm_b32 v32, v29, v28, s4
	ds_read_b128 v[28:31], v14 offset:2064
	v_perm_b32 v33, v11, v10, s4
	s_waitcnt lgkmcnt(1)
	v_mfma_f32_16x16x16_bf16 v[16:19], v[34:35], v[22:23], v[16:19]
	v_cvt_pk_f32_fp8_e32 v[10:11], v12
	v_cvt_pk_f32_fp8_sdwa v[22:23], v12 src0_sel:WORD_1
	v_mov_b32_e32 v27, 0
	v_mfma_f32_16x16x16_bf16 v[16:19], v[32:33], v[24:25], v[16:19]
	v_cvt_pk_f32_fp8_e32 v[24:25], v13
	v_perm_b32 v10, v11, v10, s4
	v_perm_b32 v11, v23, v22, s4
	v_cvt_pk_f32_fp8_sdwa v[12:13], v13 src0_sel:WORD_1
	v_perm_b32 v22, v25, v24, s4
	s_waitcnt vmcnt(1)
	v_cvt_pk_f32_fp8_e32 v[24:25], v6
	v_cvt_pk_f32_fp8_sdwa v[32:33], v6 src0_sel:WORD_1
	v_perm_b32 v23, v13, v12, s4
	s_waitcnt lgkmcnt(0)
	v_mfma_f32_16x16x16_bf16 v[10:13], v[10:11], v[28:29], v[16:19]
	v_perm_b32 v28, v25, v24, s4
	v_perm_b32 v29, v33, v32, s4
	v_cvt_pk_f32_fp8_e32 v[24:25], v7
	ds_read_b128 v[16:19], v14 offset:4096
	v_cvt_pk_f32_fp8_sdwa v[6:7], v7 src0_sel:WORD_1
	v_mfma_f32_16x16x16_bf16 v[10:13], v[22:23], v[30:31], v[10:13]
	v_perm_b32 v30, v25, v24, s4
	ds_read_b128 v[22:25], v14 offset:4112
	v_perm_b32 v31, v7, v6, s4
	s_waitcnt lgkmcnt(1)
	v_mfma_f32_16x16x16_bf16 v[10:13], v[28:29], v[16:17], v[10:13]
	v_cvt_pk_f32_fp8_e32 v[6:7], v8
	v_cvt_pk_f32_fp8_sdwa v[16:17], v8 src0_sel:WORD_1
	s_waitcnt vmcnt(0)
	v_cvt_pk_f32_fp8_sdwa v[28:29], v2 src0_sel:WORD_1
	v_mfma_f32_16x16x16_bf16 v[10:13], v[30:31], v[18:19], v[10:13]
	v_cvt_pk_f32_fp8_e32 v[18:19], v9
	v_perm_b32 v6, v7, v6, s4
	v_perm_b32 v7, v17, v16, s4
	v_cvt_pk_f32_fp8_sdwa v[8:9], v9 src0_sel:WORD_1
	v_perm_b32 v16, v19, v18, s4
	v_cvt_pk_f32_fp8_e32 v[18:19], v2
	v_perm_b32 v17, v9, v8, s4
	s_waitcnt lgkmcnt(0)
	v_mfma_f32_16x16x16_bf16 v[6:9], v[6:7], v[22:23], v[10:13]
	v_perm_b32 v18, v19, v18, s4
	v_perm_b32 v19, v29, v28, s4
	v_cvt_pk_f32_fp8_e32 v[22:23], v3
	ds_read_b128 v[10:13], v14 offset:6144
	v_cvt_pk_f32_fp8_sdwa v[2:3], v3 src0_sel:WORD_1
	v_mfma_f32_16x16x16_bf16 v[6:9], v[16:17], v[24:25], v[6:9]
	v_perm_b32 v22, v23, v22, s4
	ds_read_b128 v[14:17], v14 offset:6160
	v_perm_b32 v23, v3, v2, s4
	s_waitcnt lgkmcnt(1)
	v_mfma_f32_16x16x16_bf16 v[6:9], v[18:19], v[10:11], v[6:9]
	v_cvt_pk_f32_fp8_e32 v[2:3], v4
	v_cvt_pk_f32_fp8_sdwa v[10:11], v4 src0_sel:WORD_1
	s_waitcnt lgkmcnt(0)
	v_mfma_f32_16x16x16_bf16 v[6:9], v[22:23], v[12:13], v[6:9]
	v_perm_b32 v2, v3, v2, s4
	v_perm_b32 v3, v11, v10, s4
	v_cvt_pk_f32_fp8_e32 v[10:11], v5
	v_cvt_pk_f32_fp8_sdwa v[4:5], v5 src0_sel:WORD_1
	s_barrier
	v_perm_b32 v10, v11, v10, s4
	v_perm_b32 v11, v5, v4, s4
	v_mfma_f32_16x16x16_bf16 v[2:5], v[2:3], v[14:15], v[6:9]
	s_nop 0
	v_mfma_f32_16x16x16_bf16 v[2:5], v[10:11], v[16:17], v[2:5]
	s_nop 6
	v_pk_mul_f32 v[2:3], v[2:3], s[10:11] op_sel_hi:[1,0]
	v_pk_mul_f32 v[4:5], v[4:5], s[10:11] op_sel_hi:[1,0]
	v_bfe_u32 v6, v3, 16, 1
	v_bfe_u32 v7, v2, 16, 1
	v_add3_u32 v2, v2, v7, s8
	v_add3_u32 v3, v3, v6, s8
	v_perm_b32 v2, v3, v2, s4
	v_bfe_u32 v3, v5, 16, 1
	v_bfe_u32 v6, v4, 16, 1
	v_add3_u32 v4, v4, v6, s8
	v_add3_u32 v3, v5, v3, s8
	v_perm_b32 v3, v3, v4, s4
	s_and_b64 s[4:5], vcc, s[30:31]
	ds_write_b64 v20, v[2:3]
	s_waitcnt lgkmcnt(0)
	s_barrier
	s_and_saveexec_b64 s[8:9], s[4:5]
	s_cbranch_execz .LBB1159_17
; %bb.16:
	s_load_dwordx2 s[0:1], s[0:1], 0x68
	s_lshl_b32 s6, s6, 6
	s_mul_i32 s2, s7, s2
	s_mul_hi_u32 s5, s2, s6
	s_mul_i32 s4, s2, s6
	s_lshl_b64 s[4:5], s[4:5], 1
	s_waitcnt lgkmcnt(0)
	s_add_u32 s4, s0, s4
	v_lshlrev_b32_e32 v0, 10, v0
	s_addc_u32 s5, s1, s5
	s_lshl_b32 s2, s28, 6
	v_and_b32_e32 v0, 0x1800, v0
	v_lshlrev_b32_e32 v2, 5, v1
	v_and_b32_e32 v3, 16, v42
	s_lshl_b64 s[0:1], s[2:3], 1
	v_or3_b32 v0, v0, v2, v3
	s_add_u32 s0, s4, s0
	ds_read_b128 v[2:5], v0
	ds_read_b128 v[6:9], v0 offset:128
	ds_read_b128 v[10:13], v0 offset:256
	s_addc_u32 s1, s5, s1
	v_or_b32_e32 v16, s48, v1
	v_lshl_add_u64 v[0:1], s[0:1], 0, v[26:27]
	v_mad_u64_u32 v[14:15], s[0:1], v16, s6, 0
	v_lshl_add_u64 v[14:15], v[14:15], 1, v[0:1]
	s_waitcnt lgkmcnt(2)
	global_store_dwordx4 v[14:15], v[2:5], off
	s_nop 1
	v_add_u32_e32 v2, 4, v16
	v_mad_u64_u32 v[2:3], s[0:1], v2, s6, 0
	v_lshl_add_u64 v[2:3], v[2:3], 1, v[0:1]
	s_waitcnt lgkmcnt(1)
	global_store_dwordx4 v[2:3], v[6:9], off
	v_add_u32_e32 v2, 8, v16
	v_mad_u64_u32 v[2:3], s[0:1], v2, s6, 0
	v_lshl_add_u64 v[0:1], v[2:3], 1, v[0:1]
	s_waitcnt lgkmcnt(0)
	global_store_dwordx4 v[0:1], v[10:13], off
.LBB1159_17:
	s_endpgm
	.section	.rodata,"a",@progbits
	.p2align	6, 0x0
	.amdhsa_kernel _Z39paged_attention_ll4mi_QKV_mfma16_kernelI14__hip_bfloat16hLN4vllm18Fp8KVCacheDataTypeE1ES0_Li16ELi64ELi256ELb0ELi12EEvPKT_PKT0_S8_ifPKiSA_SA_iPKfiiiPfSD_PS3_PT2_iSC_SC_
		.amdhsa_group_segment_fixed_size 8192
		.amdhsa_private_segment_fixed_size 0
		.amdhsa_kernarg_size 400
		.amdhsa_user_sgpr_count 2
		.amdhsa_user_sgpr_dispatch_ptr 0
		.amdhsa_user_sgpr_queue_ptr 0
		.amdhsa_user_sgpr_kernarg_segment_ptr 1
		.amdhsa_user_sgpr_dispatch_id 0
		.amdhsa_user_sgpr_kernarg_preload_length 0
		.amdhsa_user_sgpr_kernarg_preload_offset 0
		.amdhsa_user_sgpr_private_segment_size 0
		.amdhsa_uses_dynamic_stack 0
		.amdhsa_enable_private_segment 0
		.amdhsa_system_sgpr_workgroup_id_x 1
		.amdhsa_system_sgpr_workgroup_id_y 1
		.amdhsa_system_sgpr_workgroup_id_z 1
		.amdhsa_system_sgpr_workgroup_info 0
		.amdhsa_system_vgpr_workitem_id 0
		.amdhsa_next_free_vgpr 58
		.amdhsa_next_free_sgpr 50
		.amdhsa_accum_offset 60
		.amdhsa_reserve_vcc 1
		.amdhsa_float_round_mode_32 0
		.amdhsa_float_round_mode_16_64 0
		.amdhsa_float_denorm_mode_32 3
		.amdhsa_float_denorm_mode_16_64 3
		.amdhsa_dx10_clamp 1
		.amdhsa_ieee_mode 1
		.amdhsa_fp16_overflow 0
		.amdhsa_tg_split 0
		.amdhsa_exception_fp_ieee_invalid_op 0
		.amdhsa_exception_fp_denorm_src 0
		.amdhsa_exception_fp_ieee_div_zero 0
		.amdhsa_exception_fp_ieee_overflow 0
		.amdhsa_exception_fp_ieee_underflow 0
		.amdhsa_exception_fp_ieee_inexact 0
		.amdhsa_exception_int_div_zero 0
	.end_amdhsa_kernel
	.section	.text._Z39paged_attention_ll4mi_QKV_mfma16_kernelI14__hip_bfloat16hLN4vllm18Fp8KVCacheDataTypeE1ES0_Li16ELi64ELi256ELb0ELi12EEvPKT_PKT0_S8_ifPKiSA_SA_iPKfiiiPfSD_PS3_PT2_iSC_SC_,"axG",@progbits,_Z39paged_attention_ll4mi_QKV_mfma16_kernelI14__hip_bfloat16hLN4vllm18Fp8KVCacheDataTypeE1ES0_Li16ELi64ELi256ELb0ELi12EEvPKT_PKT0_S8_ifPKiSA_SA_iPKfiiiPfSD_PS3_PT2_iSC_SC_,comdat
.Lfunc_end1159:
	.size	_Z39paged_attention_ll4mi_QKV_mfma16_kernelI14__hip_bfloat16hLN4vllm18Fp8KVCacheDataTypeE1ES0_Li16ELi64ELi256ELb0ELi12EEvPKT_PKT0_S8_ifPKiSA_SA_iPKfiiiPfSD_PS3_PT2_iSC_SC_, .Lfunc_end1159-_Z39paged_attention_ll4mi_QKV_mfma16_kernelI14__hip_bfloat16hLN4vllm18Fp8KVCacheDataTypeE1ES0_Li16ELi64ELi256ELb0ELi12EEvPKT_PKT0_S8_ifPKiSA_SA_iPKfiiiPfSD_PS3_PT2_iSC_SC_
                                        ; -- End function
	.section	.AMDGPU.csdata,"",@progbits
; Kernel info:
; codeLenInByte = 4848
; NumSgprs: 56
; NumVgprs: 58
; NumAgprs: 0
; TotalNumVgprs: 58
; ScratchSize: 0
; MemoryBound: 0
; FloatMode: 240
; IeeeMode: 1
; LDSByteSize: 8192 bytes/workgroup (compile time only)
; SGPRBlocks: 6
; VGPRBlocks: 7
; NumSGPRsForWavesPerEU: 56
; NumVGPRsForWavesPerEU: 58
; AccumOffset: 60
; Occupancy: 8
; WaveLimiterHint : 1
; COMPUTE_PGM_RSRC2:SCRATCH_EN: 0
; COMPUTE_PGM_RSRC2:USER_SGPR: 2
; COMPUTE_PGM_RSRC2:TRAP_HANDLER: 0
; COMPUTE_PGM_RSRC2:TGID_X_EN: 1
; COMPUTE_PGM_RSRC2:TGID_Y_EN: 1
; COMPUTE_PGM_RSRC2:TGID_Z_EN: 1
; COMPUTE_PGM_RSRC2:TIDIG_COMP_CNT: 0
; COMPUTE_PGM_RSRC3_GFX90A:ACCUM_OFFSET: 14
; COMPUTE_PGM_RSRC3_GFX90A:TG_SPLIT: 0
	.section	.text._Z39paged_attention_ll4mi_QKV_mfma16_kernelI14__hip_bfloat16hLN4vllm18Fp8KVCacheDataTypeE1ES0_Li16ELi64ELi256ELb0ELi13EEvPKT_PKT0_S8_ifPKiSA_SA_iPKfiiiPfSD_PS3_PT2_iSC_SC_,"axG",@progbits,_Z39paged_attention_ll4mi_QKV_mfma16_kernelI14__hip_bfloat16hLN4vllm18Fp8KVCacheDataTypeE1ES0_Li16ELi64ELi256ELb0ELi13EEvPKT_PKT0_S8_ifPKiSA_SA_iPKfiiiPfSD_PS3_PT2_iSC_SC_,comdat
	.protected	_Z39paged_attention_ll4mi_QKV_mfma16_kernelI14__hip_bfloat16hLN4vllm18Fp8KVCacheDataTypeE1ES0_Li16ELi64ELi256ELb0ELi13EEvPKT_PKT0_S8_ifPKiSA_SA_iPKfiiiPfSD_PS3_PT2_iSC_SC_ ; -- Begin function _Z39paged_attention_ll4mi_QKV_mfma16_kernelI14__hip_bfloat16hLN4vllm18Fp8KVCacheDataTypeE1ES0_Li16ELi64ELi256ELb0ELi13EEvPKT_PKT0_S8_ifPKiSA_SA_iPKfiiiPfSD_PS3_PT2_iSC_SC_
	.globl	_Z39paged_attention_ll4mi_QKV_mfma16_kernelI14__hip_bfloat16hLN4vllm18Fp8KVCacheDataTypeE1ES0_Li16ELi64ELi256ELb0ELi13EEvPKT_PKT0_S8_ifPKiSA_SA_iPKfiiiPfSD_PS3_PT2_iSC_SC_
	.p2align	8
	.type	_Z39paged_attention_ll4mi_QKV_mfma16_kernelI14__hip_bfloat16hLN4vllm18Fp8KVCacheDataTypeE1ES0_Li16ELi64ELi256ELb0ELi13EEvPKT_PKT0_S8_ifPKiSA_SA_iPKfiiiPfSD_PS3_PT2_iSC_SC_,@function
_Z39paged_attention_ll4mi_QKV_mfma16_kernelI14__hip_bfloat16hLN4vllm18Fp8KVCacheDataTypeE1ES0_Li16ELi64ELi256ELb0ELi13EEvPKT_PKT0_S8_ifPKiSA_SA_iPKfiiiPfSD_PS3_PT2_iSC_SC_: ; @_Z39paged_attention_ll4mi_QKV_mfma16_kernelI14__hip_bfloat16hLN4vllm18Fp8KVCacheDataTypeE1ES0_Li16ELi64ELi256ELb0ELi13EEvPKT_PKT0_S8_ifPKiSA_SA_iPKfiiiPfSD_PS3_PT2_iSC_SC_
; %bb.0:
	s_load_dwordx2 s[12:13], s[0:1], 0x30
	s_mov_b32 s28, s3
	s_mov_b64 s[6:7], 0
	s_waitcnt lgkmcnt(0)
	s_cmp_lg_u64 s[12:13], 0
	s_cselect_b64 s[14:15], -1, 0
	s_and_b64 vcc, exec, s[14:15]
	s_cbranch_vccz .LBB1160_7
; %bb.1:
	s_add_i32 s8, s2, 1
	s_mov_b32 s9, 0
	s_lshl_b64 s[10:11], s[8:9], 2
	s_add_u32 s10, s12, s10
	s_mov_b32 s3, s9
	s_addc_u32 s11, s13, s11
	s_lshl_b64 s[8:9], s[2:3], 2
	s_add_u32 s8, s12, s8
	s_addc_u32 s9, s13, s9
	s_load_dword s5, s[10:11], 0x0
	s_load_dword s16, s[8:9], 0x0
	s_waitcnt lgkmcnt(0)
	s_sub_i32 s5, s5, s16
	s_cmp_eq_u32 s5, 1
	s_cselect_b64 s[8:9], -1, 0
	s_andn2_b64 vcc, exec, s[6:7]
	s_cbranch_vccnz .LBB1160_3
.LBB1160_2:
	s_mov_b32 s3, 0
	s_mov_b64 s[8:9], -1
.LBB1160_3:
	s_andn2_b64 vcc, exec, s[8:9]
	s_cbranch_vccnz .LBB1160_18
; %bb.4:
	s_load_dwordx2 s[6:7], s[0:1], 0x28
	s_lshl_b64 s[16:17], s[2:3], 2
	s_waitcnt lgkmcnt(0)
	s_add_u32 s6, s6, s16
	s_addc_u32 s7, s7, s17
	s_load_dword s33, s[6:7], 0x0
	s_lshl_b32 s5, s28, 8
	s_waitcnt lgkmcnt(0)
	s_cmp_ge_i32 s5, s33
	s_cbranch_scc1 .LBB1160_18
; %bb.5:
	s_load_dwordx2 s[6:7], s[0:1], 0x20
	s_load_dword s8, s[0:1], 0x38
	s_add_i32 s9, s33, 15
	s_ashr_i32 s10, s9, 31
	v_and_b32_e32 v1, 0xcf, v0
	s_lshr_b32 s10, s10, 28
	v_add_u32_e32 v1, s5, v1
	s_add_i32 s9, s9, s10
	v_ashrrev_i32_e32 v2, 31, v1
	s_ashr_i32 s18, s9, 4
	v_lshrrev_b32_e32 v4, 28, v2
	s_add_i32 s18, s18, -1
	s_waitcnt lgkmcnt(0)
	s_mul_i32 s8, s2, s8
	s_mov_b32 s9, 0
	v_add_u32_e32 v2, v1, v4
	s_lshl_b64 s[8:9], s[8:9], 2
	v_ashrrev_i32_e32 v2, 4, v2
	v_mov_b32_e32 v5, s18
	v_cmp_gt_i32_e32 vcc, s33, v1
	s_add_u32 s6, s6, s8
	s_addc_u32 s7, s7, s9
	v_cndmask_b32_e32 v2, v5, v2, vcc
	v_ashrrev_i32_e32 v3, 31, v2
	v_lshl_add_u64 v[6:7], v[2:3], 2, s[6:7]
	v_or_b32_e32 v2, 16, v1
	v_add_u32_e32 v3, v2, v4
	v_ashrrev_i32_e32 v3, 4, v3
	v_cmp_gt_i32_e32 vcc, s33, v2
	s_load_dwordx4 s[8:11], s[0:1], 0x8
	s_nop 0
	v_cndmask_b32_e32 v2, v5, v3, vcc
	v_ashrrev_i32_e32 v3, 31, v2
	v_lshl_add_u64 v[8:9], v[2:3], 2, s[6:7]
	v_or_b32_e32 v2, 32, v1
	v_add_u32_e32 v3, v2, v4
	v_ashrrev_i32_e32 v3, 4, v3
	v_cmp_gt_i32_e32 vcc, s33, v2
	v_or_b32_e32 v1, 48, v1
	s_nop 0
	v_cndmask_b32_e32 v2, v5, v3, vcc
	v_ashrrev_i32_e32 v3, 31, v2
	v_lshl_add_u64 v[10:11], v[2:3], 2, s[6:7]
	v_add_u32_e32 v2, v1, v4
	v_ashrrev_i32_e32 v2, 4, v2
	v_cmp_gt_i32_e32 vcc, s33, v1
	s_nop 1
	v_cndmask_b32_e32 v2, v5, v2, vcc
	v_ashrrev_i32_e32 v3, 31, v2
	v_lshl_add_u64 v[14:15], v[2:3], 2, s[6:7]
	global_load_dword v4, v[6:7], off
	global_load_dword v3, v[8:9], off
	;; [unrolled: 1-line block ×4, first 2 shown]
	s_andn2_b64 vcc, exec, s[14:15]
	s_cbranch_vccnz .LBB1160_8
; %bb.6:
	s_add_u32 s12, s12, s16
	s_addc_u32 s13, s13, s17
	s_load_dword s14, s[12:13], 0x0
	s_branch .LBB1160_9
.LBB1160_7:
	s_mov_b64 s[8:9], 0
	s_branch .LBB1160_2
.LBB1160_8:
	s_mov_b32 s14, s2
.LBB1160_9:
	s_load_dwordx4 s[44:47], s[0:1], 0x48
	v_lshrrev_b32_e32 v29, 6, v0
	v_bfe_u32 v42, v0, 4, 2
	v_lshl_or_b32 v5, v29, 2, v42
	v_and_b32_e32 v28, 15, v0
	v_lshlrev_b32_e32 v1, 3, v28
	v_cmp_gt_u32_e32 vcc, 13, v5
	v_cmp_gt_u32_e64 s[30:31], 8, v28
	v_and_b32_e32 v43, 63, v0
	s_mul_i32 s48, s4, 13
	s_and_b64 s[16:17], s[30:31], vcc
	v_lshlrev_b32_e32 v26, 1, v1
	v_lshlrev_b32_e32 v1, 4, v0
	s_and_saveexec_b64 s[12:13], s[16:17]
	s_cbranch_execz .LBB1160_11
; %bb.10:
	s_load_dwordx2 s[16:17], s[0:1], 0x0
	s_waitcnt lgkmcnt(0)
	s_ashr_i32 s15, s44, 31
	s_mul_hi_u32 s19, s14, s44
	s_mul_i32 s15, s14, s15
	s_add_i32 s15, s19, s15
	s_mul_i32 s14, s14, s44
	s_lshl_b64 s[14:15], s[14:15], 1
	s_add_u32 s14, s16, s14
	v_add_lshl_u32 v6, v5, s48, 6
	s_addc_u32 s15, s17, s15
	v_ashrrev_i32_e32 v7, 31, v6
	v_lshl_add_u64 v[6:7], v[6:7], 1, s[14:15]
	v_mov_b32_e32 v27, 0
	v_lshl_add_u64 v[6:7], v[6:7], 0, v[26:27]
	global_load_dwordx4 v[6:9], v[6:7], off
	v_lshlrev_b32_e32 v11, 8, v28
	v_lshlrev_b32_e32 v5, 5, v5
	v_and_b32_e32 v10, 16, v1
	v_and_b32_e32 v11, 0xe00, v11
	v_or3_b32 v5, v11, v5, v10
	s_waitcnt vmcnt(0)
	ds_write_b128 v5, v[6:9]
.LBB1160_11:
	s_or_b64 exec, exec, s[12:13]
	s_waitcnt lgkmcnt(0)
	s_mul_i32 s4, s4, s46
	s_add_u32 s8, s8, s4
	s_addc_u32 s9, s9, 0
	v_and_b32_e32 v8, 48, v0
	v_and_b32_e32 v30, 0xf0, v1
	v_mov_b32_e32 v31, 0
	v_lshl_add_u64 v[6:7], s[8:9], 0, v[30:31]
	v_lshlrev_b32_e32 v30, 4, v8
	v_or_b32_e32 v8, s5, v8
	v_lshl_add_u64 v[10:11], v[6:7], 0, v[30:31]
	v_ashrrev_i32_e32 v6, 4, v8
	v_mov_b32_e32 v27, s18
	v_cmp_gt_i32_e32 vcc, s33, v8
	s_load_dword s29, s[0:1], 0x98
	s_load_dwordx4 s[40:43], s[0:1], 0x80
	v_cndmask_b32_e32 v6, v27, v6, vcc
	v_ashrrev_i32_e32 v7, 31, v6
	v_lshl_add_u64 v[6:7], v[6:7], 2, s[6:7]
	s_waitcnt lgkmcnt(0)
	s_barrier
	s_waitcnt vmcnt(3)
	v_mad_i64_i32 v[4:5], s[8:9], v4, s45, v[10:11]
	global_load_dword v38, v[6:7], off
	global_load_dwordx4 v[22:25], v[4:5], off
	s_waitcnt vmcnt(4)
	v_mad_i64_i32 v[4:5], s[8:9], v3, s45, v[10:11]
	global_load_dwordx4 v[18:21], v[4:5], off
	s_waitcnt vmcnt(4)
	v_mad_i64_i32 v[2:3], s[8:9], v2, s45, v[10:11]
	global_load_dwordx4 v[14:17], v[2:3], off
	v_add_u32_e32 v4, -13, v28
	v_cmp_gt_u32_e32 vcc, 13, v28
	v_or_b32_e32 v13, 64, v8
	s_waitcnt vmcnt(4)
	v_mad_i64_i32 v[10:11], s[12:13], v12, s45, v[10:11]
	v_cndmask_b32_e32 v2, v4, v28, vcc
	v_lshlrev_b32_e32 v2, 5, v2
	v_lshl_add_u32 v2, v42, 9, v2
	v_or_b32_e32 v33, 0x80, v8
	v_or_b32_e32 v35, 0xc0, v8
	v_ashrrev_i32_e32 v32, 4, v13
	ds_read_b128 v[6:9], v2
	ds_read_b128 v[2:5], v2 offset:16
	v_cmp_gt_i32_e32 vcc, s33, v13
	global_load_dwordx4 v[10:13], v[10:11], off
	v_ashrrev_i32_e32 v34, 4, v33
	v_cndmask_b32_e32 v32, v27, v32, vcc
	v_cmp_gt_i32_e32 vcc, s33, v33
	v_ashrrev_i32_e32 v36, 4, v35
	v_ashrrev_i32_e32 v33, 31, v32
	v_cndmask_b32_e32 v34, v27, v34, vcc
	v_cmp_gt_i32_e32 vcc, s33, v35
	v_ashrrev_i32_e32 v35, 31, v34
	v_lshl_add_u64 v[32:33], v[32:33], 2, s[6:7]
	v_cndmask_b32_e32 v36, v27, v36, vcc
	v_ashrrev_i32_e32 v37, 31, v36
	v_lshl_add_u64 v[34:35], v[34:35], 2, s[6:7]
	v_lshl_add_u64 v[36:37], v[36:37], 2, s[6:7]
	s_add_u32 s8, s10, s4
	s_load_dword s4, s[40:41], 0x0
	global_load_dword v45, v[32:33], off
	global_load_dword v27, v[34:35], off
	;; [unrolled: 1-line block ×3, first 2 shown]
	v_lshlrev_b32_e32 v30, 4, v28
	s_addc_u32 s9, s11, 0
	v_lshl_or_b32 v30, v29, 8, v30
	s_mov_b32 s44, 0x7060302
	v_lshl_add_u64 v[30:31], s[8:9], 0, v[30:31]
	s_load_dword s14, s[0:1], 0x1c
	s_mov_b32 s46, 0xff7fffff
	s_waitcnt vmcnt(7)
	v_mad_i64_i32 v[32:33], s[6:7], v38, s45, v[30:31]
	s_waitcnt vmcnt(6)
	v_cvt_pk_f32_fp8_e32 v[34:35], v22
	v_cvt_pk_f32_fp8_sdwa v[36:37], v22 src0_sel:WORD_1
	v_cvt_pk_f32_fp8_e32 v[38:39], v23
	v_cvt_pk_f32_fp8_sdwa v[40:41], v23 src0_sel:WORD_1
	v_perm_b32 v34, v35, v34, s44
	v_perm_b32 v35, v37, v36, s44
	s_waitcnt vmcnt(5)
	v_cvt_pk_f32_fp8_e32 v[22:23], v18
	v_cvt_pk_f32_fp8_sdwa v[52:53], v18 src0_sel:WORD_1
	v_perm_b32 v38, v39, v38, s44
	v_perm_b32 v39, v41, v40, s44
	v_cvt_pk_f32_fp8_e32 v[46:47], v24
	v_cvt_pk_f32_fp8_sdwa v[48:49], v24 src0_sel:WORD_1
	v_cvt_pk_f32_fp8_e32 v[50:51], v25
	v_cvt_pk_f32_fp8_sdwa v[54:55], v25 src0_sel:WORD_1
	v_perm_b32 v36, v23, v22, s44
	s_waitcnt lgkmcnt(0)
	v_mfma_f32_16x16x16_bf16 v[22:25], v[34:35], v[6:7], 0
	v_cvt_pk_f32_fp8_e32 v[56:57], v19
	v_perm_b32 v37, v53, v52, s44
	v_cvt_pk_f32_fp8_sdwa v[18:19], v19 src0_sel:WORD_1
	v_mfma_f32_16x16x16_bf16 v[22:25], v[38:39], v[8:9], v[22:25]
	v_perm_b32 v38, v47, v46, s44
	v_perm_b32 v39, v49, v48, s44
	v_cvt_pk_f32_fp8_e32 v[40:41], v20
	v_perm_b32 v52, v57, v56, s44
	v_perm_b32 v53, v19, v18, s44
	v_cvt_pk_f32_fp8_sdwa v[18:19], v20 src0_sel:WORD_1
	v_mfma_f32_16x16x16_bf16 v[34:37], v[36:37], v[6:7], 0
	v_cvt_pk_f32_fp8_e32 v[46:47], v21
	v_perm_b32 v48, v51, v50, s44
	v_perm_b32 v49, v55, v54, s44
	v_mfma_f32_16x16x16_bf16 v[22:25], v[38:39], v[2:3], v[22:25]
	v_cvt_pk_f32_fp8_sdwa v[38:39], v21 src0_sel:WORD_1
	v_perm_b32 v40, v41, v40, s44
	v_perm_b32 v41, v19, v18, s44
	v_mfma_f32_16x16x16_bf16 v[34:37], v[52:53], v[8:9], v[34:37]
	v_perm_b32 v46, v47, v46, s44
	v_perm_b32 v47, v39, v38, s44
	s_waitcnt vmcnt(4)
	v_cvt_pk_f32_fp8_e32 v[38:39], v14
	v_mfma_f32_16x16x16_bf16 v[18:21], v[48:49], v[4:5], v[22:25]
	v_cvt_pk_f32_fp8_sdwa v[50:51], v17 src0_sel:WORD_1
	v_mov_b32_e32 v48, s14
	v_mul_f32_e32 v48, s4, v48
	v_mfma_f32_16x16x16_bf16 v[22:25], v[40:41], v[2:3], v[34:37]
	v_cvt_pk_f32_fp8_sdwa v[40:41], v14 src0_sel:WORD_1
	v_mfma_f32_16x16x16_bf16 v[34:37], v[46:47], v[4:5], v[22:25]
	v_cvt_pk_f32_fp8_sdwa v[46:47], v16 src0_sel:WORD_1
	s_nop 3
	v_cvt_pk_f32_fp8_e32 v[22:23], v15
	v_perm_b32 v24, v39, v38, s44
	v_perm_b32 v25, v41, v40, s44
	v_cvt_pk_f32_fp8_sdwa v[14:15], v15 src0_sel:WORD_1
	v_perm_b32 v38, v23, v22, s44
	v_cvt_pk_f32_fp8_e32 v[40:41], v16
	v_mfma_f32_16x16x16_bf16 v[22:25], v[24:25], v[6:7], 0
	v_perm_b32 v39, v15, v14, s44
	v_perm_b32 v40, v41, v40, s44
	;; [unrolled: 1-line block ×3, first 2 shown]
	v_cvt_pk_f32_fp8_e32 v[46:47], v17
	v_mfma_f32_16x16x16_bf16 v[14:17], v[38:39], v[8:9], v[22:25]
	s_waitcnt vmcnt(3)
	v_cvt_pk_f32_fp8_sdwa v[38:39], v10 src0_sel:WORD_1
	v_pk_mul_f32 v[36:37], v[48:49], v[36:37] op_sel_hi:[0,1]
	v_perm_b32 v24, v47, v46, s44
	v_perm_b32 v25, v51, v50, s44
	v_pk_mul_f32 v[22:23], v[48:49], v[20:21] op_sel_hi:[0,1]
	v_mfma_f32_16x16x16_bf16 v[14:17], v[40:41], v[2:3], v[14:17]
	v_pk_mul_f32 v[20:21], v[48:49], v[18:19] op_sel_hi:[0,1]
	v_cvt_pk_f32_fp8_e32 v[18:19], v10
	v_cvt_pk_f32_fp8_e32 v[46:47], v12
	v_mfma_f32_16x16x16_bf16 v[14:17], v[24:25], v[4:5], v[14:17]
	v_cvt_pk_f32_fp8_e32 v[24:25], v11
	v_perm_b32 v18, v19, v18, s44
	v_perm_b32 v19, v39, v38, s44
	v_cvt_pk_f32_fp8_sdwa v[10:11], v11 src0_sel:WORD_1
	v_perm_b32 v24, v25, v24, s44
	v_cvt_pk_f32_fp8_sdwa v[50:51], v12 src0_sel:WORD_1
	v_mfma_f32_16x16x16_bf16 v[38:41], v[18:19], v[6:7], 0
	v_perm_b32 v25, v11, v10, s44
	v_perm_b32 v10, v47, v46, s44
	;; [unrolled: 1-line block ×3, first 2 shown]
	v_cvt_pk_f32_fp8_e32 v[18:19], v13
	v_cvt_pk_f32_fp8_sdwa v[12:13], v13 src0_sel:WORD_1
	v_mfma_f32_16x16x16_bf16 v[6:9], v[24:25], v[8:9], v[38:41]
	v_perm_b32 v18, v19, v18, s44
	v_perm_b32 v19, v13, v12, s44
	v_mfma_f32_16x16x16_bf16 v[6:9], v[10:11], v[2:3], v[6:9]
	v_pk_mul_f32 v[40:41], v[48:49], v[34:35] op_sel_hi:[0,1]
	v_pk_mul_f32 v[38:39], v[48:49], v[14:15] op_sel_hi:[0,1]
	;; [unrolled: 1-line block ×3, first 2 shown]
	v_mfma_f32_16x16x16_bf16 v[2:5], v[18:19], v[4:5], v[6:9]
	s_nop 6
	v_pk_mul_f32 v[24:25], v[48:49], v[2:3] op_sel_hi:[0,1]
	v_and_b32_e32 v2, 0xc0, v0
	v_add_u32_e32 v2, s5, v2
	v_lshl_or_b32 v2, v42, 2, v2
	v_pk_mul_f32 v[18:19], v[48:49], v[4:5] op_sel_hi:[0,1]
	v_or_b32_e32 v5, 1, v2
	v_mov_b32_e32 v3, 0xff7fffff
	v_cmp_gt_i32_e64 s[4:5], s33, v2
	v_cmp_gt_i32_e64 s[34:35], s33, v5
	v_or_b32_e32 v6, 3, v2
	v_cndmask_b32_e64 v4, v3, v20, s[4:5]
	v_cndmask_b32_e64 v5, v3, v21, s[34:35]
	v_max3_f32 v4, v4, s46, v5
	v_or_b32_e32 v5, 2, v2
	v_cmp_gt_i32_e64 s[36:37], s33, v5
	v_cmp_gt_i32_e64 s[38:39], s33, v6
	s_nop 0
	v_cndmask_b32_e64 v5, v3, v22, s[36:37]
	v_cndmask_b32_e64 v6, v3, v23, s[38:39]
	v_max3_f32 v4, v4, v5, v6
	v_or_b32_e32 v5, 16, v2
	v_or_b32_e32 v6, 17, v2
	v_cmp_gt_i32_e64 s[24:25], s33, v5
	v_cmp_gt_i32_e64 s[26:27], s33, v6
	s_nop 0
	v_cndmask_b32_e64 v5, v3, v40, s[24:25]
	v_cndmask_b32_e64 v6, v3, v41, s[26:27]
	v_max3_f32 v4, v4, v5, v6
	v_or_b32_e32 v5, 18, v2
	;; [unrolled: 8-line block ×6, first 2 shown]
	v_or_b32_e32 v2, 51, v2
	v_cmp_gt_i32_e32 vcc, s33, v5
	v_cmp_gt_i32_e64 s[6:7], s33, v2
	s_nop 0
	v_cndmask_b32_e32 v5, v3, v18, vcc
	v_cndmask_b32_e64 v2, v3, v19, s[6:7]
	v_max3_f32 v4, v4, v5, v2
	v_mbcnt_lo_u32_b32 v2, -1, 0
	v_mbcnt_hi_u32_b32 v5, -1, v2
	v_and_b32_e32 v2, 64, v5
	v_add_u32_e32 v6, 64, v2
	v_xor_b32_e32 v2, 32, v5
	v_cmp_lt_i32_e64 s[40:41], v2, v6
	s_nop 1
	v_cndmask_b32_e64 v2, v5, v2, s[40:41]
	v_lshlrev_b32_e32 v46, 2, v2
	ds_bpermute_b32 v7, v46, v4
	s_waitcnt vmcnt(2)
	v_mad_i64_i32 v[2:3], s[40:41], v45, s45, v[30:31]
	global_load_dwordx4 v[14:17], v[32:33], off
	global_load_dwordx4 v[10:13], v[2:3], off
	v_xor_b32_e32 v3, 16, v5
	v_cmp_lt_i32_e64 s[40:41], v3, v6
	s_waitcnt lgkmcnt(0)
	v_max_f32_e32 v2, v7, v7
	v_max_f32_e32 v2, v4, v2
	v_cndmask_b32_e64 v3, v5, v3, s[40:41]
	v_lshlrev_b32_e32 v45, 2, v3
	ds_bpermute_b32 v3, v45, v2
	s_waitcnt vmcnt(3)
	v_mad_i64_i32 v[32:33], s[40:41], v27, s45, v[30:31]
	s_waitcnt vmcnt(2)
	v_mad_i64_i32 v[30:31], s[40:41], v44, s45, v[30:31]
	s_waitcnt lgkmcnt(0)
	v_max_f32_e32 v3, v3, v3
	v_max_f32_e32 v27, v2, v3
	v_sub_f32_e32 v2, v20, v27
	v_mul_f32_e32 v2, 0x3fb8aa3b, v2
	v_exp_f32_e32 v20, v2
	v_sub_f32_e32 v2, v21, v27
	v_mul_f32_e32 v2, 0x3fb8aa3b, v2
	v_exp_f32_e32 v21, v2
	global_load_dwordx4 v[6:9], v[32:33], off
	global_load_dwordx4 v[2:5], v[30:31], off
	v_sub_f32_e32 v22, v22, v27
	v_mul_f32_e32 v22, 0x3fb8aa3b, v22
	v_sub_f32_e32 v23, v23, v27
	v_exp_f32_e32 v22, v22
	v_mul_f32_e32 v23, 0x3fb8aa3b, v23
	v_exp_f32_e32 v23, v23
	v_cndmask_b32_e64 v20, 0, v20, s[4:5]
	v_add_f32_e32 v30, 0, v20
	v_cndmask_b32_e64 v21, 0, v21, s[34:35]
	v_add_f32_e32 v30, v30, v21
	;; [unrolled: 2-line block ×3, first 2 shown]
	v_cndmask_b32_e64 v33, 0, v23, s[38:39]
	v_sub_f32_e32 v23, v40, v27
	v_sub_f32_e32 v30, v41, v27
	v_mul_f32_e32 v23, 0x3fb8aa3b, v23
	v_mul_f32_e32 v30, 0x3fb8aa3b, v30
	v_exp_f32_e32 v23, v23
	v_exp_f32_e32 v30, v30
	v_add_f32_e32 v31, v22, v33
	v_sub_f32_e32 v34, v34, v27
	v_cndmask_b32_e64 v22, 0, v23, s[24:25]
	v_cndmask_b32_e64 v23, 0, v30, s[26:27]
	v_sub_f32_e32 v30, v36, v27
	v_mul_f32_e32 v30, 0x3fb8aa3b, v30
	v_exp_f32_e32 v30, v30
	v_sub_f32_e32 v36, v37, v27
	v_add_f32_e32 v31, v31, v22
	v_mul_f32_e32 v36, 0x3fb8aa3b, v36
	v_exp_f32_e32 v37, v36
	v_add_f32_e32 v31, v31, v23
	v_cndmask_b32_e64 v36, 0, v30, s[20:21]
	v_add_f32_e32 v30, v31, v36
	v_sub_f32_e32 v31, v38, v27
	v_mul_f32_e32 v31, 0x3fb8aa3b, v31
	v_sub_f32_e32 v38, v39, v27
	v_exp_f32_e32 v31, v31
	v_mul_f32_e32 v38, 0x3fb8aa3b, v38
	v_exp_f32_e32 v38, v38
	v_mul_f32_e32 v34, 0x3fb8aa3b, v34
	v_sub_f32_e32 v35, v35, v27
	v_exp_f32_e32 v34, v34
	v_mul_f32_e32 v35, 0x3fb8aa3b, v35
	v_sub_f32_e32 v24, v24, v27
	v_cndmask_b32_e64 v37, 0, v37, s[22:23]
	v_exp_f32_e32 v35, v35
	v_mul_f32_e32 v24, 0x3fb8aa3b, v24
	v_sub_f32_e32 v25, v25, v27
	v_add_f32_e32 v39, v30, v37
	v_cndmask_b32_e64 v30, 0, v31, s[16:17]
	v_exp_f32_e32 v24, v24
	v_mul_f32_e32 v25, 0x3fb8aa3b, v25
	v_sub_f32_e32 v18, v18, v27
	v_add_f32_e32 v39, v39, v30
	;; [unrolled: 5-line block ×3, first 2 shown]
	v_cndmask_b32_e64 v34, 0, v34, s[12:13]
	v_exp_f32_e32 v18, v18
	v_mul_f32_e32 v19, 0x3fb8aa3b, v19
	v_add_f32_e32 v38, v38, v34
	v_cndmask_b32_e64 v35, 0, v35, s[14:15]
	v_exp_f32_e32 v19, v19
	v_add_f32_e32 v38, v38, v35
	v_cndmask_b32_e64 v24, 0, v24, s[8:9]
	v_add_f32_e32 v38, v38, v24
	v_cndmask_b32_e64 v25, 0, v25, s[10:11]
	v_add_f32_e32 v38, v38, v25
	v_cndmask_b32_e32 v18, 0, v18, vcc
	v_add_f32_e32 v38, v38, v18
	v_cndmask_b32_e64 v19, 0, v19, s[6:7]
	v_add_f32_e32 v38, v38, v19
	ds_bpermute_b32 v39, v46, v38
	v_cmp_gt_u32_e64 s[6:7], 16, v43
	s_waitcnt lgkmcnt(0)
	s_barrier
	v_add_f32_e32 v39, v38, v39
	ds_bpermute_b32 v40, v45, v39
	v_lshlrev_b32_e32 v38, 2, v28
	s_and_saveexec_b64 s[4:5], s[6:7]
	s_cbranch_execz .LBB1160_13
; %bb.12:
	s_waitcnt lgkmcnt(0)
	v_add_f32_e32 v39, v39, v40
	v_lshl_or_b32 v40, v29, 6, v38
	ds_write2st64_b32 v40, v27, v39 offset1:1
.LBB1160_13:
	s_or_b64 exec, exec, s[4:5]
	s_load_dword s8, s[0:1], 0x94
	s_waitcnt lgkmcnt(0)
	s_barrier
	ds_read2_b32 v[40:41], v38 offset1:16
	ds_read2_b32 v[44:45], v38 offset0:32 offset1:48
	ds_read2_b32 v[46:47], v38 offset0:64 offset1:80
	s_movk_i32 s10, 0x7fff
	s_mul_i32 s9, s29, 13
	s_waitcnt lgkmcnt(2)
	v_max3_f32 v27, v40, s46, v41
	s_waitcnt lgkmcnt(1)
	v_max3_f32 v27, v27, v44, v45
	v_sub_f32_e32 v39, v40, v27
	v_sub_f32_e32 v40, v41, v27
	v_mul_f32_e32 v40, 0x3fb8aa3b, v40
	v_mul_f32_e32 v39, 0x3fb8aa3b, v39
	v_exp_f32_e32 v43, v40
	v_sub_f32_e32 v40, v44, v27
	v_exp_f32_e32 v39, v39
	v_mul_f32_e32 v40, 0x3fb8aa3b, v40
	v_exp_f32_e32 v44, v40
	ds_read2_b32 v[40:41], v38 offset0:96 offset1:112
	v_sub_f32_e32 v38, v45, v27
	v_mul_f32_e32 v38, 0x3fb8aa3b, v38
	v_exp_f32_e32 v45, v38
	s_waitcnt lgkmcnt(1)
	v_fma_f32 v38, v39, v46, 0
	v_fmac_f32_e32 v38, v43, v47
	s_waitcnt lgkmcnt(0)
	v_fmac_f32_e32 v38, v44, v40
	v_fmac_f32_e32 v38, v45, v41
	v_add_f32_e32 v40, 0x358637bd, v38
	v_div_scale_f32 v41, s[4:5], v40, v40, 1.0
	v_rcp_f32_e32 v46, v41
	s_barrier
	v_fma_f32 v47, -v41, v46, 1.0
	v_fmac_f32_e32 v46, v47, v46
	v_div_scale_f32 v47, vcc, 1.0, v40, 1.0
	v_mul_f32_e32 v48, v47, v46
	v_fma_f32 v49, -v41, v48, v47
	v_fmac_f32_e32 v48, v49, v46
	v_fma_f32 v41, -v41, v48, v47
	v_div_fmas_f32 v41, v41, v46, v48
	v_cmp_eq_u32_e32 vcc, 1, v29
	v_div_fixup_f32 v40, v41, v40, 1.0
	s_nop 0
	v_cndmask_b32_e32 v39, v39, v43, vcc
	v_cmp_eq_u32_e32 vcc, 2, v29
	s_nop 1
	v_cndmask_b32_e32 v39, v39, v44, vcc
	v_cmp_eq_u32_e32 vcc, 3, v29
	v_lshlrev_b32_e32 v29, 11, v29
	s_nop 0
	v_cndmask_b32_e32 v39, v39, v45, vcc
	v_mul_f32_e32 v40, v39, v40
	v_pk_mul_f32 v[20:21], v[40:41], v[20:21] op_sel_hi:[0,1]
	v_pk_mul_f32 v[32:33], v[40:41], v[32:33] op_sel_hi:[0,1]
	v_bfe_u32 v39, v21, 16, 1
	v_bfe_u32 v41, v20, 16, 1
	v_add3_u32 v20, v20, v41, s10
	v_add3_u32 v21, v21, v39, s10
	v_perm_b32 v44, v21, v20, s44
	v_bfe_u32 v20, v33, 16, 1
	v_bfe_u32 v21, v32, 16, 1
	v_add3_u32 v21, v32, v21, s10
	v_add3_u32 v20, v33, v20, s10
	v_perm_b32 v45, v20, v21, s44
	v_lshlrev_b32_e32 v20, 3, v42
	v_lshlrev_b32_e32 v21, 5, v28
	v_pk_mul_f32 v[22:23], v[40:41], v[22:23] op_sel_hi:[0,1]
	v_or3_b32 v20, v29, v21, v20
	v_pk_mul_f32 v[32:33], v[40:41], v[36:37] op_sel_hi:[0,1]
	v_bfe_u32 v29, v23, 16, 1
	v_bfe_u32 v36, v22, 16, 1
	v_add3_u32 v22, v22, v36, s10
	v_add3_u32 v23, v23, v29, s10
	v_perm_b32 v22, v23, v22, s44
	v_bfe_u32 v23, v33, 16, 1
	v_bfe_u32 v29, v32, 16, 1
	v_add3_u32 v29, v32, v29, s10
	v_add3_u32 v23, v33, v23, s10
	v_pk_mul_f32 v[30:31], v[40:41], v[30:31] op_sel_hi:[0,1]
	v_perm_b32 v23, v23, v29, s44
	v_bfe_u32 v29, v31, 16, 1
	v_bfe_u32 v32, v30, 16, 1
	ds_write2st64_b64 v20, v[44:45], v[22:23] offset1:1
	v_pk_mul_f32 v[22:23], v[40:41], v[34:35] op_sel_hi:[0,1]
	v_add3_u32 v30, v30, v32, s10
	v_add3_u32 v29, v31, v29, s10
	v_perm_b32 v30, v29, v30, s44
	v_bfe_u32 v29, v23, 16, 1
	v_bfe_u32 v31, v22, 16, 1
	v_add3_u32 v22, v22, v31, s10
	v_add3_u32 v23, v23, v29, s10
	v_perm_b32 v31, v23, v22, s44
	v_pk_mul_f32 v[22:23], v[40:41], v[24:25] op_sel_hi:[0,1]
	v_bfe_u32 v24, v23, 16, 1
	v_bfe_u32 v25, v22, 16, 1
	v_pk_mul_f32 v[18:19], v[40:41], v[18:19] op_sel_hi:[0,1]
	v_add3_u32 v22, v22, v25, s10
	v_add3_u32 v23, v23, v24, s10
	v_perm_b32 v22, v23, v22, s44
	v_bfe_u32 v23, v19, 16, 1
	v_bfe_u32 v24, v18, 16, 1
	v_add3_u32 v18, v18, v24, s10
	v_add3_u32 v19, v19, v23, s10
	v_perm_b32 v23, v19, v18, s44
	v_cmp_gt_u32_e32 vcc, 13, v0
	ds_write2st64_b64 v20, v[30:31], v[22:23] offset0:2 offset1:3
	s_and_saveexec_b64 s[4:5], vcc
	s_cbranch_execz .LBB1160_15
; %bb.14:
	s_mov_b32 s49, 0
	v_mov_b32_e32 v29, 0
	v_lshl_add_u64 v[18:19], s[48:49], 0, v[28:29]
	v_mov_b32_e32 v22, s9
	v_mad_u64_u32 v[18:19], s[16:17], s2, v22, v[18:19]
	s_mul_i32 s3, s3, s9
	v_mov_b32_e32 v28, s28
	s_load_dwordx4 s[12:15], s[0:1], 0x58
	v_add_u32_e32 v23, s3, v19
	v_mad_u64_u32 v[18:19], s[16:17], v18, s8, v[28:29]
	v_mov_b32_e32 v22, v19
	v_mad_u64_u32 v[22:23], s[16:17], v23, s8, v[22:23]
	v_mov_b32_e32 v19, v22
	v_lshlrev_b64 v[18:19], 2, v[18:19]
	s_waitcnt lgkmcnt(0)
	v_lshl_add_u64 v[22:23], s[14:15], 0, v[18:19]
	v_lshl_add_u64 v[18:19], s[12:13], 0, v[18:19]
	global_store_dword v[22:23], v27, off
	global_store_dword v[18:19], v38, off
.LBB1160_15:
	s_or_b64 exec, exec, s[4:5]
	s_waitcnt vmcnt(3)
	v_cvt_pk_f32_fp8_e32 v[18:19], v14
	v_cvt_pk_f32_fp8_sdwa v[22:23], v14 src0_sel:WORD_1
	s_mov_b32 s4, 0x7060302
	v_lshl_or_b32 v14, v42, 9, v21
	s_waitcnt lgkmcnt(0)
	s_barrier
	v_perm_b32 v18, v19, v18, s4
	v_perm_b32 v19, v23, v22, s4
	v_cvt_pk_f32_fp8_e32 v[28:29], v15
	ds_read_b128 v[22:25], v14
	v_cvt_pk_f32_fp8_sdwa v[36:37], v15 src0_sel:WORD_1
	s_load_dword s12, s[42:43], 0x0
	v_perm_b32 v38, v29, v28, s4
	ds_read_b128 v[28:31], v14 offset:16
	v_perm_b32 v39, v37, v36, s4
	s_waitcnt lgkmcnt(0)
	v_mfma_f32_16x16x16_bf16 v[32:35], v[18:19], v[22:23], 0
	v_cvt_pk_f32_fp8_e32 v[18:19], v16
	v_cvt_pk_f32_fp8_sdwa v[36:37], v16 src0_sel:WORD_1
	v_cmp_gt_u32_e32 vcc, 64, v0
	v_mfma_f32_16x16x16_bf16 v[22:25], v[38:39], v[24:25], v[32:35]
	v_perm_b32 v18, v19, v18, s4
	v_perm_b32 v19, v37, v36, s4
	s_waitcnt vmcnt(2)
	v_cvt_pk_f32_fp8_sdwa v[36:37], v10 src0_sel:WORD_1
	v_cvt_pk_f32_fp8_e32 v[32:33], v17
	v_cvt_pk_f32_fp8_sdwa v[16:17], v17 src0_sel:WORD_1
	v_cvt_pk_f32_fp8_e32 v[34:35], v10
	s_mov_b32 s3, 0
	v_perm_b32 v32, v33, v32, s4
	v_perm_b32 v33, v17, v16, s4
	v_mfma_f32_16x16x16_bf16 v[16:19], v[18:19], v[28:29], v[22:25]
	v_perm_b32 v34, v35, v34, s4
	v_perm_b32 v35, v37, v36, s4
	v_cvt_pk_f32_fp8_e32 v[28:29], v11
	ds_read_b128 v[22:25], v14 offset:2048
	v_cvt_pk_f32_fp8_sdwa v[10:11], v11 src0_sel:WORD_1
	v_mfma_f32_16x16x16_bf16 v[16:19], v[32:33], v[30:31], v[16:19]
	v_perm_b32 v32, v29, v28, s4
	ds_read_b128 v[28:31], v14 offset:2064
	v_perm_b32 v33, v11, v10, s4
	s_waitcnt lgkmcnt(1)
	v_mfma_f32_16x16x16_bf16 v[16:19], v[34:35], v[22:23], v[16:19]
	v_cvt_pk_f32_fp8_e32 v[10:11], v12
	v_cvt_pk_f32_fp8_sdwa v[22:23], v12 src0_sel:WORD_1
	v_mov_b32_e32 v27, 0
	v_mfma_f32_16x16x16_bf16 v[16:19], v[32:33], v[24:25], v[16:19]
	v_cvt_pk_f32_fp8_e32 v[24:25], v13
	v_perm_b32 v10, v11, v10, s4
	v_perm_b32 v11, v23, v22, s4
	v_cvt_pk_f32_fp8_sdwa v[12:13], v13 src0_sel:WORD_1
	v_perm_b32 v22, v25, v24, s4
	s_waitcnt vmcnt(1)
	v_cvt_pk_f32_fp8_e32 v[24:25], v6
	v_cvt_pk_f32_fp8_sdwa v[32:33], v6 src0_sel:WORD_1
	v_perm_b32 v23, v13, v12, s4
	s_waitcnt lgkmcnt(0)
	v_mfma_f32_16x16x16_bf16 v[10:13], v[10:11], v[28:29], v[16:19]
	v_perm_b32 v28, v25, v24, s4
	v_perm_b32 v29, v33, v32, s4
	v_cvt_pk_f32_fp8_e32 v[24:25], v7
	ds_read_b128 v[16:19], v14 offset:4096
	v_cvt_pk_f32_fp8_sdwa v[6:7], v7 src0_sel:WORD_1
	v_mfma_f32_16x16x16_bf16 v[10:13], v[22:23], v[30:31], v[10:13]
	v_perm_b32 v30, v25, v24, s4
	ds_read_b128 v[22:25], v14 offset:4112
	v_perm_b32 v31, v7, v6, s4
	s_waitcnt lgkmcnt(1)
	v_mfma_f32_16x16x16_bf16 v[10:13], v[28:29], v[16:17], v[10:13]
	v_cvt_pk_f32_fp8_e32 v[6:7], v8
	v_cvt_pk_f32_fp8_sdwa v[16:17], v8 src0_sel:WORD_1
	s_waitcnt vmcnt(0)
	v_cvt_pk_f32_fp8_sdwa v[28:29], v2 src0_sel:WORD_1
	v_mfma_f32_16x16x16_bf16 v[10:13], v[30:31], v[18:19], v[10:13]
	v_cvt_pk_f32_fp8_e32 v[18:19], v9
	v_perm_b32 v6, v7, v6, s4
	v_perm_b32 v7, v17, v16, s4
	v_cvt_pk_f32_fp8_sdwa v[8:9], v9 src0_sel:WORD_1
	v_perm_b32 v16, v19, v18, s4
	v_cvt_pk_f32_fp8_e32 v[18:19], v2
	v_perm_b32 v17, v9, v8, s4
	s_waitcnt lgkmcnt(0)
	v_mfma_f32_16x16x16_bf16 v[6:9], v[6:7], v[22:23], v[10:13]
	v_perm_b32 v18, v19, v18, s4
	v_perm_b32 v19, v29, v28, s4
	v_cvt_pk_f32_fp8_e32 v[22:23], v3
	ds_read_b128 v[10:13], v14 offset:6144
	v_cvt_pk_f32_fp8_sdwa v[2:3], v3 src0_sel:WORD_1
	v_mfma_f32_16x16x16_bf16 v[6:9], v[16:17], v[24:25], v[6:9]
	v_perm_b32 v22, v23, v22, s4
	ds_read_b128 v[14:17], v14 offset:6160
	v_perm_b32 v23, v3, v2, s4
	s_waitcnt lgkmcnt(1)
	v_mfma_f32_16x16x16_bf16 v[6:9], v[18:19], v[10:11], v[6:9]
	v_cvt_pk_f32_fp8_e32 v[2:3], v4
	v_cvt_pk_f32_fp8_sdwa v[10:11], v4 src0_sel:WORD_1
	s_waitcnt lgkmcnt(0)
	v_mfma_f32_16x16x16_bf16 v[6:9], v[22:23], v[12:13], v[6:9]
	v_perm_b32 v2, v3, v2, s4
	v_perm_b32 v3, v11, v10, s4
	v_cvt_pk_f32_fp8_e32 v[10:11], v5
	v_cvt_pk_f32_fp8_sdwa v[4:5], v5 src0_sel:WORD_1
	s_barrier
	v_perm_b32 v10, v11, v10, s4
	v_perm_b32 v11, v5, v4, s4
	v_mfma_f32_16x16x16_bf16 v[2:5], v[2:3], v[14:15], v[6:9]
	s_nop 0
	v_mfma_f32_16x16x16_bf16 v[2:5], v[10:11], v[16:17], v[2:5]
	s_nop 6
	v_pk_mul_f32 v[2:3], v[2:3], s[12:13] op_sel_hi:[1,0]
	v_pk_mul_f32 v[4:5], v[4:5], s[12:13] op_sel_hi:[1,0]
	v_bfe_u32 v6, v3, 16, 1
	v_bfe_u32 v7, v2, 16, 1
	v_add3_u32 v2, v2, v7, s10
	v_add3_u32 v3, v3, v6, s10
	v_perm_b32 v2, v3, v2, s4
	v_bfe_u32 v3, v5, 16, 1
	v_bfe_u32 v6, v4, 16, 1
	v_add3_u32 v4, v4, v6, s10
	v_add3_u32 v3, v5, v3, s10
	v_perm_b32 v3, v3, v4, s4
	s_and_b64 s[4:5], vcc, s[30:31]
	ds_write_b64 v20, v[2:3]
	s_waitcnt lgkmcnt(0)
	s_barrier
	s_and_saveexec_b64 s[10:11], s[4:5]
	s_cbranch_execz .LBB1160_18
; %bb.16:
	s_load_dwordx2 s[4:5], s[0:1], 0x68
	s_lshl_b32 s0, s8, 6
	s_mul_i32 s1, s9, s2
	s_mul_hi_u32 s9, s1, s0
	s_mul_i32 s8, s1, s0
	v_lshlrev_b32_e32 v0, 10, v0
	s_lshl_b64 s[8:9], s[8:9], 1
	v_and_b32_e32 v0, 0x1800, v0
	v_lshlrev_b32_e32 v2, 5, v42
	v_and_b32_e32 v1, 16, v1
	s_waitcnt lgkmcnt(0)
	s_add_u32 s1, s4, s8
	v_or3_b32 v2, v0, v2, v1
	s_addc_u32 s4, s5, s9
	s_lshl_b32 s2, s28, 6
	ds_read_b128 v[4:7], v2 offset:256
	s_lshl_b64 s[2:3], s[2:3], 1
	ds_read_b128 v[8:11], v2 offset:128
	ds_read_b128 v[12:15], v2
	s_add_u32 s2, s1, s2
	s_addc_u32 s3, s4, s3
	v_add_u32_e32 v3, s48, v42
	v_lshl_add_u64 v[0:1], s[2:3], 0, v[26:27]
	v_mad_u64_u32 v[16:17], s[2:3], v3, s0, 0
	v_lshl_add_u64 v[16:17], v[16:17], 1, v[0:1]
	s_waitcnt lgkmcnt(0)
	global_store_dwordx4 v[16:17], v[12:15], off
	s_nop 1
	v_add_u32_e32 v12, 4, v3
	v_mad_u64_u32 v[12:13], s[2:3], v12, s0, 0
	v_lshl_add_u64 v[12:13], v[12:13], 1, v[0:1]
	v_add_u32_e32 v3, 8, v3
	global_store_dwordx4 v[12:13], v[8:11], off
	s_nop 1
	v_mad_u64_u32 v[8:9], s[2:3], v3, s0, 0
	v_lshl_add_u64 v[8:9], v[8:9], 1, v[0:1]
	global_store_dwordx4 v[8:9], v[4:7], off
	s_and_b64 exec, exec, s[6:7]
	s_cbranch_execz .LBB1160_18
; %bb.17:
	ds_read_b128 v[2:5], v2 offset:384
	v_add3_u32 v6, s48, v42, 12
	v_mad_u64_u32 v[6:7], s[0:1], v6, s0, 0
	v_lshl_add_u64 v[0:1], v[6:7], 1, v[0:1]
	s_waitcnt lgkmcnt(0)
	global_store_dwordx4 v[0:1], v[2:5], off
.LBB1160_18:
	s_endpgm
	.section	.rodata,"a",@progbits
	.p2align	6, 0x0
	.amdhsa_kernel _Z39paged_attention_ll4mi_QKV_mfma16_kernelI14__hip_bfloat16hLN4vllm18Fp8KVCacheDataTypeE1ES0_Li16ELi64ELi256ELb0ELi13EEvPKT_PKT0_S8_ifPKiSA_SA_iPKfiiiPfSD_PS3_PT2_iSC_SC_
		.amdhsa_group_segment_fixed_size 8192
		.amdhsa_private_segment_fixed_size 0
		.amdhsa_kernarg_size 400
		.amdhsa_user_sgpr_count 2
		.amdhsa_user_sgpr_dispatch_ptr 0
		.amdhsa_user_sgpr_queue_ptr 0
		.amdhsa_user_sgpr_kernarg_segment_ptr 1
		.amdhsa_user_sgpr_dispatch_id 0
		.amdhsa_user_sgpr_kernarg_preload_length 0
		.amdhsa_user_sgpr_kernarg_preload_offset 0
		.amdhsa_user_sgpr_private_segment_size 0
		.amdhsa_uses_dynamic_stack 0
		.amdhsa_enable_private_segment 0
		.amdhsa_system_sgpr_workgroup_id_x 1
		.amdhsa_system_sgpr_workgroup_id_y 1
		.amdhsa_system_sgpr_workgroup_id_z 1
		.amdhsa_system_sgpr_workgroup_info 0
		.amdhsa_system_vgpr_workitem_id 0
		.amdhsa_next_free_vgpr 58
		.amdhsa_next_free_sgpr 50
		.amdhsa_accum_offset 60
		.amdhsa_reserve_vcc 1
		.amdhsa_float_round_mode_32 0
		.amdhsa_float_round_mode_16_64 0
		.amdhsa_float_denorm_mode_32 3
		.amdhsa_float_denorm_mode_16_64 3
		.amdhsa_dx10_clamp 1
		.amdhsa_ieee_mode 1
		.amdhsa_fp16_overflow 0
		.amdhsa_tg_split 0
		.amdhsa_exception_fp_ieee_invalid_op 0
		.amdhsa_exception_fp_denorm_src 0
		.amdhsa_exception_fp_ieee_div_zero 0
		.amdhsa_exception_fp_ieee_overflow 0
		.amdhsa_exception_fp_ieee_underflow 0
		.amdhsa_exception_fp_ieee_inexact 0
		.amdhsa_exception_int_div_zero 0
	.end_amdhsa_kernel
	.section	.text._Z39paged_attention_ll4mi_QKV_mfma16_kernelI14__hip_bfloat16hLN4vllm18Fp8KVCacheDataTypeE1ES0_Li16ELi64ELi256ELb0ELi13EEvPKT_PKT0_S8_ifPKiSA_SA_iPKfiiiPfSD_PS3_PT2_iSC_SC_,"axG",@progbits,_Z39paged_attention_ll4mi_QKV_mfma16_kernelI14__hip_bfloat16hLN4vllm18Fp8KVCacheDataTypeE1ES0_Li16ELi64ELi256ELb0ELi13EEvPKT_PKT0_S8_ifPKiSA_SA_iPKfiiiPfSD_PS3_PT2_iSC_SC_,comdat
.Lfunc_end1160:
	.size	_Z39paged_attention_ll4mi_QKV_mfma16_kernelI14__hip_bfloat16hLN4vllm18Fp8KVCacheDataTypeE1ES0_Li16ELi64ELi256ELb0ELi13EEvPKT_PKT0_S8_ifPKiSA_SA_iPKfiiiPfSD_PS3_PT2_iSC_SC_, .Lfunc_end1160-_Z39paged_attention_ll4mi_QKV_mfma16_kernelI14__hip_bfloat16hLN4vllm18Fp8KVCacheDataTypeE1ES0_Li16ELi64ELi256ELb0ELi13EEvPKT_PKT0_S8_ifPKiSA_SA_iPKfiiiPfSD_PS3_PT2_iSC_SC_
                                        ; -- End function
	.section	.AMDGPU.csdata,"",@progbits
; Kernel info:
; codeLenInByte = 4896
; NumSgprs: 56
; NumVgprs: 58
; NumAgprs: 0
; TotalNumVgprs: 58
; ScratchSize: 0
; MemoryBound: 0
; FloatMode: 240
; IeeeMode: 1
; LDSByteSize: 8192 bytes/workgroup (compile time only)
; SGPRBlocks: 6
; VGPRBlocks: 7
; NumSGPRsForWavesPerEU: 56
; NumVGPRsForWavesPerEU: 58
; AccumOffset: 60
; Occupancy: 8
; WaveLimiterHint : 1
; COMPUTE_PGM_RSRC2:SCRATCH_EN: 0
; COMPUTE_PGM_RSRC2:USER_SGPR: 2
; COMPUTE_PGM_RSRC2:TRAP_HANDLER: 0
; COMPUTE_PGM_RSRC2:TGID_X_EN: 1
; COMPUTE_PGM_RSRC2:TGID_Y_EN: 1
; COMPUTE_PGM_RSRC2:TGID_Z_EN: 1
; COMPUTE_PGM_RSRC2:TIDIG_COMP_CNT: 0
; COMPUTE_PGM_RSRC3_GFX90A:ACCUM_OFFSET: 14
; COMPUTE_PGM_RSRC3_GFX90A:TG_SPLIT: 0
	.section	.text._Z39paged_attention_ll4mi_QKV_mfma16_kernelI14__hip_bfloat16hLN4vllm18Fp8KVCacheDataTypeE1ES0_Li16ELi64ELi256ELb0ELi14EEvPKT_PKT0_S8_ifPKiSA_SA_iPKfiiiPfSD_PS3_PT2_iSC_SC_,"axG",@progbits,_Z39paged_attention_ll4mi_QKV_mfma16_kernelI14__hip_bfloat16hLN4vllm18Fp8KVCacheDataTypeE1ES0_Li16ELi64ELi256ELb0ELi14EEvPKT_PKT0_S8_ifPKiSA_SA_iPKfiiiPfSD_PS3_PT2_iSC_SC_,comdat
	.protected	_Z39paged_attention_ll4mi_QKV_mfma16_kernelI14__hip_bfloat16hLN4vllm18Fp8KVCacheDataTypeE1ES0_Li16ELi64ELi256ELb0ELi14EEvPKT_PKT0_S8_ifPKiSA_SA_iPKfiiiPfSD_PS3_PT2_iSC_SC_ ; -- Begin function _Z39paged_attention_ll4mi_QKV_mfma16_kernelI14__hip_bfloat16hLN4vllm18Fp8KVCacheDataTypeE1ES0_Li16ELi64ELi256ELb0ELi14EEvPKT_PKT0_S8_ifPKiSA_SA_iPKfiiiPfSD_PS3_PT2_iSC_SC_
	.globl	_Z39paged_attention_ll4mi_QKV_mfma16_kernelI14__hip_bfloat16hLN4vllm18Fp8KVCacheDataTypeE1ES0_Li16ELi64ELi256ELb0ELi14EEvPKT_PKT0_S8_ifPKiSA_SA_iPKfiiiPfSD_PS3_PT2_iSC_SC_
	.p2align	8
	.type	_Z39paged_attention_ll4mi_QKV_mfma16_kernelI14__hip_bfloat16hLN4vllm18Fp8KVCacheDataTypeE1ES0_Li16ELi64ELi256ELb0ELi14EEvPKT_PKT0_S8_ifPKiSA_SA_iPKfiiiPfSD_PS3_PT2_iSC_SC_,@function
_Z39paged_attention_ll4mi_QKV_mfma16_kernelI14__hip_bfloat16hLN4vllm18Fp8KVCacheDataTypeE1ES0_Li16ELi64ELi256ELb0ELi14EEvPKT_PKT0_S8_ifPKiSA_SA_iPKfiiiPfSD_PS3_PT2_iSC_SC_: ; @_Z39paged_attention_ll4mi_QKV_mfma16_kernelI14__hip_bfloat16hLN4vllm18Fp8KVCacheDataTypeE1ES0_Li16ELi64ELi256ELb0ELi14EEvPKT_PKT0_S8_ifPKiSA_SA_iPKfiiiPfSD_PS3_PT2_iSC_SC_
; %bb.0:
	s_load_dwordx2 s[12:13], s[0:1], 0x30
	s_mov_b32 s28, s3
	s_mov_b64 s[6:7], 0
	s_waitcnt lgkmcnt(0)
	s_cmp_lg_u64 s[12:13], 0
	s_cselect_b64 s[14:15], -1, 0
	s_and_b64 vcc, exec, s[14:15]
	s_cbranch_vccz .LBB1161_7
; %bb.1:
	s_add_i32 s8, s2, 1
	s_mov_b32 s9, 0
	s_lshl_b64 s[10:11], s[8:9], 2
	s_add_u32 s10, s12, s10
	s_mov_b32 s3, s9
	s_addc_u32 s11, s13, s11
	s_lshl_b64 s[8:9], s[2:3], 2
	s_add_u32 s8, s12, s8
	s_addc_u32 s9, s13, s9
	s_load_dword s5, s[10:11], 0x0
	s_load_dword s16, s[8:9], 0x0
	s_waitcnt lgkmcnt(0)
	s_sub_i32 s5, s5, s16
	s_cmp_eq_u32 s5, 1
	s_cselect_b64 s[8:9], -1, 0
	s_andn2_b64 vcc, exec, s[6:7]
	s_cbranch_vccnz .LBB1161_3
.LBB1161_2:
	s_mov_b32 s3, 0
	s_mov_b64 s[8:9], -1
.LBB1161_3:
	s_andn2_b64 vcc, exec, s[8:9]
	s_cbranch_vccnz .LBB1161_18
; %bb.4:
	s_load_dwordx2 s[6:7], s[0:1], 0x28
	s_lshl_b64 s[16:17], s[2:3], 2
	s_waitcnt lgkmcnt(0)
	s_add_u32 s6, s6, s16
	s_addc_u32 s7, s7, s17
	s_load_dword s33, s[6:7], 0x0
	s_lshl_b32 s5, s28, 8
	s_waitcnt lgkmcnt(0)
	s_cmp_ge_i32 s5, s33
	s_cbranch_scc1 .LBB1161_18
; %bb.5:
	s_load_dwordx2 s[6:7], s[0:1], 0x20
	s_load_dword s8, s[0:1], 0x38
	s_add_i32 s9, s33, 15
	s_ashr_i32 s10, s9, 31
	v_and_b32_e32 v1, 0xcf, v0
	s_lshr_b32 s10, s10, 28
	v_add_u32_e32 v1, s5, v1
	s_add_i32 s9, s9, s10
	v_ashrrev_i32_e32 v2, 31, v1
	s_ashr_i32 s18, s9, 4
	v_lshrrev_b32_e32 v4, 28, v2
	s_add_i32 s18, s18, -1
	s_waitcnt lgkmcnt(0)
	s_mul_i32 s8, s2, s8
	s_mov_b32 s9, 0
	v_add_u32_e32 v2, v1, v4
	s_lshl_b64 s[8:9], s[8:9], 2
	v_ashrrev_i32_e32 v2, 4, v2
	v_mov_b32_e32 v5, s18
	v_cmp_gt_i32_e32 vcc, s33, v1
	s_add_u32 s6, s6, s8
	s_addc_u32 s7, s7, s9
	v_cndmask_b32_e32 v2, v5, v2, vcc
	v_ashrrev_i32_e32 v3, 31, v2
	v_lshl_add_u64 v[6:7], v[2:3], 2, s[6:7]
	v_or_b32_e32 v2, 16, v1
	v_add_u32_e32 v3, v2, v4
	v_ashrrev_i32_e32 v3, 4, v3
	v_cmp_gt_i32_e32 vcc, s33, v2
	s_load_dwordx4 s[8:11], s[0:1], 0x8
	s_nop 0
	v_cndmask_b32_e32 v2, v5, v3, vcc
	v_ashrrev_i32_e32 v3, 31, v2
	v_lshl_add_u64 v[8:9], v[2:3], 2, s[6:7]
	v_or_b32_e32 v2, 32, v1
	v_add_u32_e32 v3, v2, v4
	v_ashrrev_i32_e32 v3, 4, v3
	v_cmp_gt_i32_e32 vcc, s33, v2
	v_or_b32_e32 v1, 48, v1
	s_nop 0
	v_cndmask_b32_e32 v2, v5, v3, vcc
	v_ashrrev_i32_e32 v3, 31, v2
	v_lshl_add_u64 v[10:11], v[2:3], 2, s[6:7]
	v_add_u32_e32 v2, v1, v4
	v_ashrrev_i32_e32 v2, 4, v2
	v_cmp_gt_i32_e32 vcc, s33, v1
	s_nop 1
	v_cndmask_b32_e32 v2, v5, v2, vcc
	v_ashrrev_i32_e32 v3, 31, v2
	v_lshl_add_u64 v[14:15], v[2:3], 2, s[6:7]
	global_load_dword v4, v[6:7], off
	global_load_dword v3, v[8:9], off
	;; [unrolled: 1-line block ×4, first 2 shown]
	s_andn2_b64 vcc, exec, s[14:15]
	s_cbranch_vccnz .LBB1161_8
; %bb.6:
	s_add_u32 s12, s12, s16
	s_addc_u32 s13, s13, s17
	s_load_dword s14, s[12:13], 0x0
	s_branch .LBB1161_9
.LBB1161_7:
	s_mov_b64 s[8:9], 0
	s_branch .LBB1161_2
.LBB1161_8:
	s_mov_b32 s14, s2
.LBB1161_9:
	s_load_dwordx4 s[44:47], s[0:1], 0x48
	v_lshrrev_b32_e32 v29, 6, v0
	v_bfe_u32 v42, v0, 4, 2
	v_lshl_or_b32 v5, v29, 2, v42
	v_and_b32_e32 v28, 15, v0
	v_lshlrev_b32_e32 v1, 3, v28
	v_cmp_gt_u32_e32 vcc, 14, v5
	v_cmp_gt_u32_e64 s[30:31], 8, v28
	v_and_b32_e32 v43, 63, v0
	s_mul_i32 s48, s4, 14
	s_and_b64 s[16:17], s[30:31], vcc
	v_lshlrev_b32_e32 v26, 1, v1
	v_lshlrev_b32_e32 v1, 4, v0
	s_and_saveexec_b64 s[12:13], s[16:17]
	s_cbranch_execz .LBB1161_11
; %bb.10:
	s_load_dwordx2 s[16:17], s[0:1], 0x0
	s_waitcnt lgkmcnt(0)
	s_ashr_i32 s15, s44, 31
	s_mul_hi_u32 s19, s14, s44
	s_mul_i32 s15, s14, s15
	s_add_i32 s15, s19, s15
	s_mul_i32 s14, s14, s44
	s_lshl_b64 s[14:15], s[14:15], 1
	s_add_u32 s14, s16, s14
	v_add_lshl_u32 v6, v5, s48, 6
	s_addc_u32 s15, s17, s15
	v_ashrrev_i32_e32 v7, 31, v6
	v_lshl_add_u64 v[6:7], v[6:7], 1, s[14:15]
	v_mov_b32_e32 v27, 0
	v_lshl_add_u64 v[6:7], v[6:7], 0, v[26:27]
	global_load_dwordx4 v[6:9], v[6:7], off
	v_lshlrev_b32_e32 v11, 8, v28
	v_lshlrev_b32_e32 v5, 5, v5
	v_and_b32_e32 v10, 16, v1
	v_and_b32_e32 v11, 0xe00, v11
	v_or3_b32 v5, v11, v5, v10
	s_waitcnt vmcnt(0)
	ds_write_b128 v5, v[6:9]
.LBB1161_11:
	s_or_b64 exec, exec, s[12:13]
	s_waitcnt lgkmcnt(0)
	s_mul_i32 s4, s4, s46
	s_add_u32 s8, s8, s4
	s_addc_u32 s9, s9, 0
	v_and_b32_e32 v8, 48, v0
	v_and_b32_e32 v30, 0xf0, v1
	v_mov_b32_e32 v31, 0
	v_lshl_add_u64 v[6:7], s[8:9], 0, v[30:31]
	v_lshlrev_b32_e32 v30, 4, v8
	v_or_b32_e32 v8, s5, v8
	v_lshl_add_u64 v[10:11], v[6:7], 0, v[30:31]
	v_ashrrev_i32_e32 v6, 4, v8
	v_mov_b32_e32 v27, s18
	v_cmp_gt_i32_e32 vcc, s33, v8
	s_load_dword s29, s[0:1], 0x98
	s_load_dwordx4 s[40:43], s[0:1], 0x80
	v_cndmask_b32_e32 v6, v27, v6, vcc
	v_ashrrev_i32_e32 v7, 31, v6
	v_lshl_add_u64 v[6:7], v[6:7], 2, s[6:7]
	s_waitcnt lgkmcnt(0)
	s_barrier
	s_waitcnt vmcnt(3)
	v_mad_i64_i32 v[4:5], s[8:9], v4, s45, v[10:11]
	global_load_dword v38, v[6:7], off
	global_load_dwordx4 v[22:25], v[4:5], off
	s_waitcnt vmcnt(4)
	v_mad_i64_i32 v[4:5], s[8:9], v3, s45, v[10:11]
	global_load_dwordx4 v[18:21], v[4:5], off
	s_waitcnt vmcnt(4)
	v_mad_i64_i32 v[2:3], s[8:9], v2, s45, v[10:11]
	global_load_dwordx4 v[14:17], v[2:3], off
	v_add_u32_e32 v4, -14, v28
	v_cmp_gt_u32_e32 vcc, 14, v28
	v_or_b32_e32 v13, 64, v8
	s_waitcnt vmcnt(4)
	v_mad_i64_i32 v[10:11], s[12:13], v12, s45, v[10:11]
	v_cndmask_b32_e32 v2, v4, v28, vcc
	v_lshlrev_b32_e32 v2, 5, v2
	v_lshl_add_u32 v2, v42, 9, v2
	v_or_b32_e32 v33, 0x80, v8
	v_or_b32_e32 v35, 0xc0, v8
	v_ashrrev_i32_e32 v32, 4, v13
	ds_read_b128 v[6:9], v2
	ds_read_b128 v[2:5], v2 offset:16
	v_cmp_gt_i32_e32 vcc, s33, v13
	global_load_dwordx4 v[10:13], v[10:11], off
	v_ashrrev_i32_e32 v34, 4, v33
	v_cndmask_b32_e32 v32, v27, v32, vcc
	v_cmp_gt_i32_e32 vcc, s33, v33
	v_ashrrev_i32_e32 v36, 4, v35
	v_ashrrev_i32_e32 v33, 31, v32
	v_cndmask_b32_e32 v34, v27, v34, vcc
	v_cmp_gt_i32_e32 vcc, s33, v35
	v_ashrrev_i32_e32 v35, 31, v34
	v_lshl_add_u64 v[32:33], v[32:33], 2, s[6:7]
	v_cndmask_b32_e32 v36, v27, v36, vcc
	v_ashrrev_i32_e32 v37, 31, v36
	v_lshl_add_u64 v[34:35], v[34:35], 2, s[6:7]
	v_lshl_add_u64 v[36:37], v[36:37], 2, s[6:7]
	s_add_u32 s8, s10, s4
	s_load_dword s4, s[40:41], 0x0
	global_load_dword v45, v[32:33], off
	global_load_dword v27, v[34:35], off
	;; [unrolled: 1-line block ×3, first 2 shown]
	v_lshlrev_b32_e32 v30, 4, v28
	s_addc_u32 s9, s11, 0
	v_lshl_or_b32 v30, v29, 8, v30
	s_mov_b32 s44, 0x7060302
	v_lshl_add_u64 v[30:31], s[8:9], 0, v[30:31]
	s_load_dword s14, s[0:1], 0x1c
	s_mov_b32 s46, 0xff7fffff
	s_waitcnt vmcnt(7)
	v_mad_i64_i32 v[32:33], s[6:7], v38, s45, v[30:31]
	s_waitcnt vmcnt(6)
	v_cvt_pk_f32_fp8_e32 v[34:35], v22
	v_cvt_pk_f32_fp8_sdwa v[36:37], v22 src0_sel:WORD_1
	v_cvt_pk_f32_fp8_e32 v[38:39], v23
	v_cvt_pk_f32_fp8_sdwa v[40:41], v23 src0_sel:WORD_1
	v_perm_b32 v34, v35, v34, s44
	v_perm_b32 v35, v37, v36, s44
	s_waitcnt vmcnt(5)
	v_cvt_pk_f32_fp8_e32 v[22:23], v18
	v_cvt_pk_f32_fp8_sdwa v[52:53], v18 src0_sel:WORD_1
	v_perm_b32 v38, v39, v38, s44
	v_perm_b32 v39, v41, v40, s44
	v_cvt_pk_f32_fp8_e32 v[46:47], v24
	v_cvt_pk_f32_fp8_sdwa v[48:49], v24 src0_sel:WORD_1
	v_cvt_pk_f32_fp8_e32 v[50:51], v25
	v_cvt_pk_f32_fp8_sdwa v[54:55], v25 src0_sel:WORD_1
	v_perm_b32 v36, v23, v22, s44
	s_waitcnt lgkmcnt(0)
	v_mfma_f32_16x16x16_bf16 v[22:25], v[34:35], v[6:7], 0
	v_cvt_pk_f32_fp8_e32 v[56:57], v19
	v_perm_b32 v37, v53, v52, s44
	v_cvt_pk_f32_fp8_sdwa v[18:19], v19 src0_sel:WORD_1
	v_mfma_f32_16x16x16_bf16 v[22:25], v[38:39], v[8:9], v[22:25]
	v_perm_b32 v38, v47, v46, s44
	v_perm_b32 v39, v49, v48, s44
	v_cvt_pk_f32_fp8_e32 v[40:41], v20
	v_perm_b32 v52, v57, v56, s44
	v_perm_b32 v53, v19, v18, s44
	v_cvt_pk_f32_fp8_sdwa v[18:19], v20 src0_sel:WORD_1
	v_mfma_f32_16x16x16_bf16 v[34:37], v[36:37], v[6:7], 0
	v_cvt_pk_f32_fp8_e32 v[46:47], v21
	v_perm_b32 v48, v51, v50, s44
	v_perm_b32 v49, v55, v54, s44
	v_mfma_f32_16x16x16_bf16 v[22:25], v[38:39], v[2:3], v[22:25]
	v_cvt_pk_f32_fp8_sdwa v[38:39], v21 src0_sel:WORD_1
	v_perm_b32 v40, v41, v40, s44
	v_perm_b32 v41, v19, v18, s44
	v_mfma_f32_16x16x16_bf16 v[34:37], v[52:53], v[8:9], v[34:37]
	v_perm_b32 v46, v47, v46, s44
	v_perm_b32 v47, v39, v38, s44
	s_waitcnt vmcnt(4)
	v_cvt_pk_f32_fp8_e32 v[38:39], v14
	v_mfma_f32_16x16x16_bf16 v[18:21], v[48:49], v[4:5], v[22:25]
	v_cvt_pk_f32_fp8_sdwa v[50:51], v17 src0_sel:WORD_1
	v_mov_b32_e32 v48, s14
	v_mul_f32_e32 v48, s4, v48
	v_mfma_f32_16x16x16_bf16 v[22:25], v[40:41], v[2:3], v[34:37]
	v_cvt_pk_f32_fp8_sdwa v[40:41], v14 src0_sel:WORD_1
	v_mfma_f32_16x16x16_bf16 v[34:37], v[46:47], v[4:5], v[22:25]
	v_cvt_pk_f32_fp8_sdwa v[46:47], v16 src0_sel:WORD_1
	s_nop 3
	v_cvt_pk_f32_fp8_e32 v[22:23], v15
	v_perm_b32 v24, v39, v38, s44
	v_perm_b32 v25, v41, v40, s44
	v_cvt_pk_f32_fp8_sdwa v[14:15], v15 src0_sel:WORD_1
	v_perm_b32 v38, v23, v22, s44
	v_cvt_pk_f32_fp8_e32 v[40:41], v16
	v_mfma_f32_16x16x16_bf16 v[22:25], v[24:25], v[6:7], 0
	v_perm_b32 v39, v15, v14, s44
	v_perm_b32 v40, v41, v40, s44
	;; [unrolled: 1-line block ×3, first 2 shown]
	v_cvt_pk_f32_fp8_e32 v[46:47], v17
	v_mfma_f32_16x16x16_bf16 v[14:17], v[38:39], v[8:9], v[22:25]
	s_waitcnt vmcnt(3)
	v_cvt_pk_f32_fp8_sdwa v[38:39], v10 src0_sel:WORD_1
	v_pk_mul_f32 v[36:37], v[48:49], v[36:37] op_sel_hi:[0,1]
	v_perm_b32 v24, v47, v46, s44
	v_perm_b32 v25, v51, v50, s44
	v_pk_mul_f32 v[22:23], v[48:49], v[20:21] op_sel_hi:[0,1]
	v_mfma_f32_16x16x16_bf16 v[14:17], v[40:41], v[2:3], v[14:17]
	v_pk_mul_f32 v[20:21], v[48:49], v[18:19] op_sel_hi:[0,1]
	v_cvt_pk_f32_fp8_e32 v[18:19], v10
	v_cvt_pk_f32_fp8_e32 v[46:47], v12
	v_mfma_f32_16x16x16_bf16 v[14:17], v[24:25], v[4:5], v[14:17]
	v_cvt_pk_f32_fp8_e32 v[24:25], v11
	v_perm_b32 v18, v19, v18, s44
	v_perm_b32 v19, v39, v38, s44
	v_cvt_pk_f32_fp8_sdwa v[10:11], v11 src0_sel:WORD_1
	v_perm_b32 v24, v25, v24, s44
	v_cvt_pk_f32_fp8_sdwa v[50:51], v12 src0_sel:WORD_1
	v_mfma_f32_16x16x16_bf16 v[38:41], v[18:19], v[6:7], 0
	v_perm_b32 v25, v11, v10, s44
	v_perm_b32 v10, v47, v46, s44
	v_perm_b32 v11, v51, v50, s44
	v_cvt_pk_f32_fp8_e32 v[18:19], v13
	v_cvt_pk_f32_fp8_sdwa v[12:13], v13 src0_sel:WORD_1
	v_mfma_f32_16x16x16_bf16 v[6:9], v[24:25], v[8:9], v[38:41]
	v_perm_b32 v18, v19, v18, s44
	v_perm_b32 v19, v13, v12, s44
	v_mfma_f32_16x16x16_bf16 v[6:9], v[10:11], v[2:3], v[6:9]
	v_pk_mul_f32 v[40:41], v[48:49], v[34:35] op_sel_hi:[0,1]
	v_pk_mul_f32 v[38:39], v[48:49], v[14:15] op_sel_hi:[0,1]
	;; [unrolled: 1-line block ×3, first 2 shown]
	v_mfma_f32_16x16x16_bf16 v[2:5], v[18:19], v[4:5], v[6:9]
	s_nop 6
	v_pk_mul_f32 v[24:25], v[48:49], v[2:3] op_sel_hi:[0,1]
	v_and_b32_e32 v2, 0xc0, v0
	v_add_u32_e32 v2, s5, v2
	v_lshl_or_b32 v2, v42, 2, v2
	v_pk_mul_f32 v[18:19], v[48:49], v[4:5] op_sel_hi:[0,1]
	v_or_b32_e32 v5, 1, v2
	v_mov_b32_e32 v3, 0xff7fffff
	v_cmp_gt_i32_e64 s[4:5], s33, v2
	v_cmp_gt_i32_e64 s[34:35], s33, v5
	v_or_b32_e32 v6, 3, v2
	v_cndmask_b32_e64 v4, v3, v20, s[4:5]
	v_cndmask_b32_e64 v5, v3, v21, s[34:35]
	v_max3_f32 v4, v4, s46, v5
	v_or_b32_e32 v5, 2, v2
	v_cmp_gt_i32_e64 s[36:37], s33, v5
	v_cmp_gt_i32_e64 s[38:39], s33, v6
	s_nop 0
	v_cndmask_b32_e64 v5, v3, v22, s[36:37]
	v_cndmask_b32_e64 v6, v3, v23, s[38:39]
	v_max3_f32 v4, v4, v5, v6
	v_or_b32_e32 v5, 16, v2
	v_or_b32_e32 v6, 17, v2
	v_cmp_gt_i32_e64 s[24:25], s33, v5
	v_cmp_gt_i32_e64 s[26:27], s33, v6
	s_nop 0
	v_cndmask_b32_e64 v5, v3, v40, s[24:25]
	v_cndmask_b32_e64 v6, v3, v41, s[26:27]
	v_max3_f32 v4, v4, v5, v6
	v_or_b32_e32 v5, 18, v2
	;; [unrolled: 8-line block ×6, first 2 shown]
	v_or_b32_e32 v2, 51, v2
	v_cmp_gt_i32_e32 vcc, s33, v5
	v_cmp_gt_i32_e64 s[6:7], s33, v2
	s_nop 0
	v_cndmask_b32_e32 v5, v3, v18, vcc
	v_cndmask_b32_e64 v2, v3, v19, s[6:7]
	v_max3_f32 v4, v4, v5, v2
	v_mbcnt_lo_u32_b32 v2, -1, 0
	v_mbcnt_hi_u32_b32 v5, -1, v2
	v_and_b32_e32 v2, 64, v5
	v_add_u32_e32 v6, 64, v2
	v_xor_b32_e32 v2, 32, v5
	v_cmp_lt_i32_e64 s[40:41], v2, v6
	s_nop 1
	v_cndmask_b32_e64 v2, v5, v2, s[40:41]
	v_lshlrev_b32_e32 v46, 2, v2
	ds_bpermute_b32 v7, v46, v4
	s_waitcnt vmcnt(2)
	v_mad_i64_i32 v[2:3], s[40:41], v45, s45, v[30:31]
	global_load_dwordx4 v[14:17], v[32:33], off
	global_load_dwordx4 v[10:13], v[2:3], off
	v_xor_b32_e32 v3, 16, v5
	v_cmp_lt_i32_e64 s[40:41], v3, v6
	s_waitcnt lgkmcnt(0)
	v_max_f32_e32 v2, v7, v7
	v_max_f32_e32 v2, v4, v2
	v_cndmask_b32_e64 v3, v5, v3, s[40:41]
	v_lshlrev_b32_e32 v45, 2, v3
	ds_bpermute_b32 v3, v45, v2
	s_waitcnt vmcnt(3)
	v_mad_i64_i32 v[32:33], s[40:41], v27, s45, v[30:31]
	s_waitcnt vmcnt(2)
	v_mad_i64_i32 v[30:31], s[40:41], v44, s45, v[30:31]
	s_waitcnt lgkmcnt(0)
	v_max_f32_e32 v3, v3, v3
	v_max_f32_e32 v27, v2, v3
	v_sub_f32_e32 v2, v20, v27
	v_mul_f32_e32 v2, 0x3fb8aa3b, v2
	v_exp_f32_e32 v20, v2
	v_sub_f32_e32 v2, v21, v27
	v_mul_f32_e32 v2, 0x3fb8aa3b, v2
	v_exp_f32_e32 v21, v2
	global_load_dwordx4 v[6:9], v[32:33], off
	global_load_dwordx4 v[2:5], v[30:31], off
	v_sub_f32_e32 v22, v22, v27
	v_mul_f32_e32 v22, 0x3fb8aa3b, v22
	v_sub_f32_e32 v23, v23, v27
	v_exp_f32_e32 v22, v22
	v_mul_f32_e32 v23, 0x3fb8aa3b, v23
	v_exp_f32_e32 v23, v23
	v_cndmask_b32_e64 v20, 0, v20, s[4:5]
	v_add_f32_e32 v30, 0, v20
	v_cndmask_b32_e64 v21, 0, v21, s[34:35]
	v_add_f32_e32 v30, v30, v21
	;; [unrolled: 2-line block ×3, first 2 shown]
	v_cndmask_b32_e64 v33, 0, v23, s[38:39]
	v_sub_f32_e32 v23, v40, v27
	v_sub_f32_e32 v30, v41, v27
	v_mul_f32_e32 v23, 0x3fb8aa3b, v23
	v_mul_f32_e32 v30, 0x3fb8aa3b, v30
	v_exp_f32_e32 v23, v23
	v_exp_f32_e32 v30, v30
	v_add_f32_e32 v31, v22, v33
	v_sub_f32_e32 v34, v34, v27
	v_cndmask_b32_e64 v22, 0, v23, s[24:25]
	v_cndmask_b32_e64 v23, 0, v30, s[26:27]
	v_sub_f32_e32 v30, v36, v27
	v_mul_f32_e32 v30, 0x3fb8aa3b, v30
	v_exp_f32_e32 v30, v30
	v_sub_f32_e32 v36, v37, v27
	v_add_f32_e32 v31, v31, v22
	v_mul_f32_e32 v36, 0x3fb8aa3b, v36
	v_exp_f32_e32 v37, v36
	v_add_f32_e32 v31, v31, v23
	v_cndmask_b32_e64 v36, 0, v30, s[20:21]
	v_add_f32_e32 v30, v31, v36
	v_sub_f32_e32 v31, v38, v27
	v_mul_f32_e32 v31, 0x3fb8aa3b, v31
	v_sub_f32_e32 v38, v39, v27
	v_exp_f32_e32 v31, v31
	v_mul_f32_e32 v38, 0x3fb8aa3b, v38
	v_exp_f32_e32 v38, v38
	v_mul_f32_e32 v34, 0x3fb8aa3b, v34
	v_sub_f32_e32 v35, v35, v27
	v_exp_f32_e32 v34, v34
	v_mul_f32_e32 v35, 0x3fb8aa3b, v35
	v_sub_f32_e32 v24, v24, v27
	v_cndmask_b32_e64 v37, 0, v37, s[22:23]
	v_exp_f32_e32 v35, v35
	v_mul_f32_e32 v24, 0x3fb8aa3b, v24
	v_sub_f32_e32 v25, v25, v27
	v_add_f32_e32 v39, v30, v37
	v_cndmask_b32_e64 v30, 0, v31, s[16:17]
	v_exp_f32_e32 v24, v24
	v_mul_f32_e32 v25, 0x3fb8aa3b, v25
	v_sub_f32_e32 v18, v18, v27
	v_add_f32_e32 v39, v39, v30
	;; [unrolled: 5-line block ×3, first 2 shown]
	v_cndmask_b32_e64 v34, 0, v34, s[12:13]
	v_exp_f32_e32 v18, v18
	v_mul_f32_e32 v19, 0x3fb8aa3b, v19
	v_add_f32_e32 v38, v38, v34
	v_cndmask_b32_e64 v35, 0, v35, s[14:15]
	v_exp_f32_e32 v19, v19
	v_add_f32_e32 v38, v38, v35
	v_cndmask_b32_e64 v24, 0, v24, s[8:9]
	v_add_f32_e32 v38, v38, v24
	v_cndmask_b32_e64 v25, 0, v25, s[10:11]
	v_add_f32_e32 v38, v38, v25
	v_cndmask_b32_e32 v18, 0, v18, vcc
	v_add_f32_e32 v38, v38, v18
	v_cndmask_b32_e64 v19, 0, v19, s[6:7]
	v_add_f32_e32 v38, v38, v19
	ds_bpermute_b32 v39, v46, v38
	v_cmp_gt_u32_e32 vcc, 16, v43
	s_waitcnt lgkmcnt(0)
	s_barrier
	v_add_f32_e32 v39, v38, v39
	ds_bpermute_b32 v40, v45, v39
	v_lshlrev_b32_e32 v38, 2, v28
	s_and_saveexec_b64 s[4:5], vcc
	s_cbranch_execz .LBB1161_13
; %bb.12:
	s_waitcnt lgkmcnt(0)
	v_add_f32_e32 v39, v39, v40
	v_lshl_or_b32 v40, v29, 6, v38
	ds_write2st64_b32 v40, v27, v39 offset1:1
.LBB1161_13:
	s_or_b64 exec, exec, s[4:5]
	s_load_dword s6, s[0:1], 0x94
	s_waitcnt lgkmcnt(0)
	s_barrier
	ds_read2_b32 v[40:41], v38 offset1:16
	ds_read2_b32 v[44:45], v38 offset0:32 offset1:48
	ds_read2_b32 v[46:47], v38 offset0:64 offset1:80
	s_movk_i32 s8, 0x7fff
	s_mul_i32 s7, s29, 14
	s_waitcnt lgkmcnt(2)
	v_max3_f32 v27, v40, s46, v41
	s_waitcnt lgkmcnt(1)
	v_max3_f32 v27, v27, v44, v45
	v_sub_f32_e32 v39, v40, v27
	v_sub_f32_e32 v40, v41, v27
	v_mul_f32_e32 v40, 0x3fb8aa3b, v40
	v_mul_f32_e32 v39, 0x3fb8aa3b, v39
	v_exp_f32_e32 v43, v40
	v_sub_f32_e32 v40, v44, v27
	v_exp_f32_e32 v39, v39
	v_mul_f32_e32 v40, 0x3fb8aa3b, v40
	v_exp_f32_e32 v44, v40
	ds_read2_b32 v[40:41], v38 offset0:96 offset1:112
	v_sub_f32_e32 v38, v45, v27
	v_mul_f32_e32 v38, 0x3fb8aa3b, v38
	v_exp_f32_e32 v45, v38
	s_waitcnt lgkmcnt(1)
	v_fma_f32 v38, v39, v46, 0
	v_fmac_f32_e32 v38, v43, v47
	s_waitcnt lgkmcnt(0)
	v_fmac_f32_e32 v38, v44, v40
	v_fmac_f32_e32 v38, v45, v41
	v_add_f32_e32 v40, 0x358637bd, v38
	v_div_scale_f32 v41, s[4:5], v40, v40, 1.0
	v_rcp_f32_e32 v46, v41
	s_barrier
	v_fma_f32 v47, -v41, v46, 1.0
	v_fmac_f32_e32 v46, v47, v46
	v_div_scale_f32 v47, vcc, 1.0, v40, 1.0
	v_mul_f32_e32 v48, v47, v46
	v_fma_f32 v49, -v41, v48, v47
	v_fmac_f32_e32 v48, v49, v46
	v_fma_f32 v41, -v41, v48, v47
	v_div_fmas_f32 v41, v41, v46, v48
	v_cmp_eq_u32_e32 vcc, 1, v29
	v_div_fixup_f32 v40, v41, v40, 1.0
	s_nop 0
	v_cndmask_b32_e32 v39, v39, v43, vcc
	v_cmp_eq_u32_e32 vcc, 2, v29
	s_nop 1
	v_cndmask_b32_e32 v39, v39, v44, vcc
	v_cmp_eq_u32_e32 vcc, 3, v29
	v_lshlrev_b32_e32 v29, 11, v29
	s_nop 0
	v_cndmask_b32_e32 v39, v39, v45, vcc
	v_mul_f32_e32 v40, v39, v40
	v_pk_mul_f32 v[20:21], v[40:41], v[20:21] op_sel_hi:[0,1]
	v_pk_mul_f32 v[32:33], v[40:41], v[32:33] op_sel_hi:[0,1]
	v_bfe_u32 v39, v21, 16, 1
	v_bfe_u32 v41, v20, 16, 1
	v_add3_u32 v20, v20, v41, s8
	v_add3_u32 v21, v21, v39, s8
	v_perm_b32 v44, v21, v20, s44
	v_bfe_u32 v20, v33, 16, 1
	v_bfe_u32 v21, v32, 16, 1
	v_add3_u32 v21, v32, v21, s8
	v_add3_u32 v20, v33, v20, s8
	v_perm_b32 v45, v20, v21, s44
	v_lshlrev_b32_e32 v20, 3, v42
	v_lshlrev_b32_e32 v21, 5, v28
	v_pk_mul_f32 v[22:23], v[40:41], v[22:23] op_sel_hi:[0,1]
	v_or3_b32 v20, v29, v21, v20
	v_pk_mul_f32 v[32:33], v[40:41], v[36:37] op_sel_hi:[0,1]
	v_bfe_u32 v29, v23, 16, 1
	v_bfe_u32 v36, v22, 16, 1
	v_add3_u32 v22, v22, v36, s8
	v_add3_u32 v23, v23, v29, s8
	v_perm_b32 v22, v23, v22, s44
	v_bfe_u32 v23, v33, 16, 1
	v_bfe_u32 v29, v32, 16, 1
	v_add3_u32 v29, v32, v29, s8
	v_add3_u32 v23, v33, v23, s8
	v_pk_mul_f32 v[30:31], v[40:41], v[30:31] op_sel_hi:[0,1]
	v_perm_b32 v23, v23, v29, s44
	v_bfe_u32 v29, v31, 16, 1
	v_bfe_u32 v32, v30, 16, 1
	ds_write2st64_b64 v20, v[44:45], v[22:23] offset1:1
	v_pk_mul_f32 v[22:23], v[40:41], v[34:35] op_sel_hi:[0,1]
	v_add3_u32 v30, v30, v32, s8
	v_add3_u32 v29, v31, v29, s8
	v_perm_b32 v30, v29, v30, s44
	v_bfe_u32 v29, v23, 16, 1
	v_bfe_u32 v31, v22, 16, 1
	v_add3_u32 v22, v22, v31, s8
	v_add3_u32 v23, v23, v29, s8
	v_perm_b32 v31, v23, v22, s44
	v_pk_mul_f32 v[22:23], v[40:41], v[24:25] op_sel_hi:[0,1]
	v_bfe_u32 v24, v23, 16, 1
	v_bfe_u32 v25, v22, 16, 1
	v_pk_mul_f32 v[18:19], v[40:41], v[18:19] op_sel_hi:[0,1]
	v_add3_u32 v22, v22, v25, s8
	v_add3_u32 v23, v23, v24, s8
	v_perm_b32 v22, v23, v22, s44
	v_bfe_u32 v23, v19, 16, 1
	v_bfe_u32 v24, v18, 16, 1
	v_add3_u32 v18, v18, v24, s8
	v_add3_u32 v19, v19, v23, s8
	v_perm_b32 v23, v19, v18, s44
	v_cmp_gt_u32_e32 vcc, 14, v0
	ds_write2st64_b64 v20, v[30:31], v[22:23] offset0:2 offset1:3
	s_and_saveexec_b64 s[4:5], vcc
	s_cbranch_execz .LBB1161_15
; %bb.14:
	s_mov_b32 s49, 0
	v_mov_b32_e32 v29, 0
	v_lshl_add_u64 v[18:19], s[48:49], 0, v[28:29]
	v_mov_b32_e32 v22, s7
	v_mad_u64_u32 v[18:19], s[10:11], s2, v22, v[18:19]
	s_mul_i32 s3, s3, s7
	v_mov_b32_e32 v28, s28
	s_load_dwordx4 s[12:15], s[0:1], 0x58
	v_add_u32_e32 v23, s3, v19
	v_mad_u64_u32 v[18:19], s[10:11], v18, s6, v[28:29]
	v_mov_b32_e32 v22, v19
	v_mad_u64_u32 v[22:23], s[10:11], v23, s6, v[22:23]
	v_mov_b32_e32 v19, v22
	v_lshlrev_b64 v[18:19], 2, v[18:19]
	s_waitcnt lgkmcnt(0)
	v_lshl_add_u64 v[22:23], s[14:15], 0, v[18:19]
	v_lshl_add_u64 v[18:19], s[12:13], 0, v[18:19]
	global_store_dword v[22:23], v27, off
	global_store_dword v[18:19], v38, off
.LBB1161_15:
	s_or_b64 exec, exec, s[4:5]
	s_waitcnt vmcnt(3)
	v_cvt_pk_f32_fp8_e32 v[18:19], v14
	v_cvt_pk_f32_fp8_sdwa v[22:23], v14 src0_sel:WORD_1
	s_mov_b32 s4, 0x7060302
	v_lshl_or_b32 v14, v42, 9, v21
	s_waitcnt lgkmcnt(0)
	s_barrier
	v_perm_b32 v18, v19, v18, s4
	v_perm_b32 v19, v23, v22, s4
	v_cvt_pk_f32_fp8_e32 v[28:29], v15
	ds_read_b128 v[22:25], v14
	v_cvt_pk_f32_fp8_sdwa v[36:37], v15 src0_sel:WORD_1
	s_load_dword s10, s[42:43], 0x0
	v_perm_b32 v38, v29, v28, s4
	ds_read_b128 v[28:31], v14 offset:16
	v_perm_b32 v39, v37, v36, s4
	s_waitcnt lgkmcnt(0)
	v_mfma_f32_16x16x16_bf16 v[32:35], v[18:19], v[22:23], 0
	v_cvt_pk_f32_fp8_e32 v[18:19], v16
	v_cvt_pk_f32_fp8_sdwa v[36:37], v16 src0_sel:WORD_1
	v_cmp_gt_u32_e32 vcc, 64, v0
	v_mfma_f32_16x16x16_bf16 v[22:25], v[38:39], v[24:25], v[32:35]
	v_perm_b32 v18, v19, v18, s4
	v_perm_b32 v19, v37, v36, s4
	s_waitcnt vmcnt(2)
	v_cvt_pk_f32_fp8_sdwa v[36:37], v10 src0_sel:WORD_1
	v_cvt_pk_f32_fp8_e32 v[32:33], v17
	v_cvt_pk_f32_fp8_sdwa v[16:17], v17 src0_sel:WORD_1
	v_cvt_pk_f32_fp8_e32 v[34:35], v10
	s_mov_b32 s3, 0
	v_perm_b32 v32, v33, v32, s4
	v_perm_b32 v33, v17, v16, s4
	v_mfma_f32_16x16x16_bf16 v[16:19], v[18:19], v[28:29], v[22:25]
	v_perm_b32 v34, v35, v34, s4
	v_perm_b32 v35, v37, v36, s4
	v_cvt_pk_f32_fp8_e32 v[28:29], v11
	ds_read_b128 v[22:25], v14 offset:2048
	v_cvt_pk_f32_fp8_sdwa v[10:11], v11 src0_sel:WORD_1
	v_mfma_f32_16x16x16_bf16 v[16:19], v[32:33], v[30:31], v[16:19]
	v_perm_b32 v32, v29, v28, s4
	ds_read_b128 v[28:31], v14 offset:2064
	v_perm_b32 v33, v11, v10, s4
	s_waitcnt lgkmcnt(1)
	v_mfma_f32_16x16x16_bf16 v[16:19], v[34:35], v[22:23], v[16:19]
	v_cvt_pk_f32_fp8_e32 v[10:11], v12
	v_cvt_pk_f32_fp8_sdwa v[22:23], v12 src0_sel:WORD_1
	v_mov_b32_e32 v27, 0
	v_mfma_f32_16x16x16_bf16 v[16:19], v[32:33], v[24:25], v[16:19]
	v_cvt_pk_f32_fp8_e32 v[24:25], v13
	v_perm_b32 v10, v11, v10, s4
	v_perm_b32 v11, v23, v22, s4
	v_cvt_pk_f32_fp8_sdwa v[12:13], v13 src0_sel:WORD_1
	v_perm_b32 v22, v25, v24, s4
	s_waitcnt vmcnt(1)
	v_cvt_pk_f32_fp8_e32 v[24:25], v6
	v_cvt_pk_f32_fp8_sdwa v[32:33], v6 src0_sel:WORD_1
	v_perm_b32 v23, v13, v12, s4
	s_waitcnt lgkmcnt(0)
	v_mfma_f32_16x16x16_bf16 v[10:13], v[10:11], v[28:29], v[16:19]
	v_perm_b32 v28, v25, v24, s4
	v_perm_b32 v29, v33, v32, s4
	v_cvt_pk_f32_fp8_e32 v[24:25], v7
	ds_read_b128 v[16:19], v14 offset:4096
	v_cvt_pk_f32_fp8_sdwa v[6:7], v7 src0_sel:WORD_1
	v_mfma_f32_16x16x16_bf16 v[10:13], v[22:23], v[30:31], v[10:13]
	v_perm_b32 v30, v25, v24, s4
	ds_read_b128 v[22:25], v14 offset:4112
	v_perm_b32 v31, v7, v6, s4
	s_waitcnt lgkmcnt(1)
	v_mfma_f32_16x16x16_bf16 v[10:13], v[28:29], v[16:17], v[10:13]
	v_cvt_pk_f32_fp8_e32 v[6:7], v8
	v_cvt_pk_f32_fp8_sdwa v[16:17], v8 src0_sel:WORD_1
	s_waitcnt vmcnt(0)
	v_cvt_pk_f32_fp8_sdwa v[28:29], v2 src0_sel:WORD_1
	v_mfma_f32_16x16x16_bf16 v[10:13], v[30:31], v[18:19], v[10:13]
	v_cvt_pk_f32_fp8_e32 v[18:19], v9
	v_perm_b32 v6, v7, v6, s4
	v_perm_b32 v7, v17, v16, s4
	v_cvt_pk_f32_fp8_sdwa v[8:9], v9 src0_sel:WORD_1
	v_perm_b32 v16, v19, v18, s4
	v_cvt_pk_f32_fp8_e32 v[18:19], v2
	v_perm_b32 v17, v9, v8, s4
	s_waitcnt lgkmcnt(0)
	v_mfma_f32_16x16x16_bf16 v[6:9], v[6:7], v[22:23], v[10:13]
	v_perm_b32 v18, v19, v18, s4
	v_perm_b32 v19, v29, v28, s4
	v_cvt_pk_f32_fp8_e32 v[22:23], v3
	ds_read_b128 v[10:13], v14 offset:6144
	v_cvt_pk_f32_fp8_sdwa v[2:3], v3 src0_sel:WORD_1
	v_mfma_f32_16x16x16_bf16 v[6:9], v[16:17], v[24:25], v[6:9]
	v_perm_b32 v22, v23, v22, s4
	ds_read_b128 v[14:17], v14 offset:6160
	v_perm_b32 v23, v3, v2, s4
	s_waitcnt lgkmcnt(1)
	v_mfma_f32_16x16x16_bf16 v[6:9], v[18:19], v[10:11], v[6:9]
	v_cvt_pk_f32_fp8_e32 v[2:3], v4
	v_cvt_pk_f32_fp8_sdwa v[10:11], v4 src0_sel:WORD_1
	s_waitcnt lgkmcnt(0)
	v_mfma_f32_16x16x16_bf16 v[6:9], v[22:23], v[12:13], v[6:9]
	v_perm_b32 v2, v3, v2, s4
	v_perm_b32 v3, v11, v10, s4
	v_cvt_pk_f32_fp8_e32 v[10:11], v5
	v_cvt_pk_f32_fp8_sdwa v[4:5], v5 src0_sel:WORD_1
	s_barrier
	v_perm_b32 v10, v11, v10, s4
	v_perm_b32 v11, v5, v4, s4
	v_mfma_f32_16x16x16_bf16 v[2:5], v[2:3], v[14:15], v[6:9]
	s_nop 0
	v_mfma_f32_16x16x16_bf16 v[2:5], v[10:11], v[16:17], v[2:5]
	s_nop 6
	v_pk_mul_f32 v[2:3], v[2:3], s[10:11] op_sel_hi:[1,0]
	v_pk_mul_f32 v[4:5], v[4:5], s[10:11] op_sel_hi:[1,0]
	v_bfe_u32 v6, v3, 16, 1
	v_bfe_u32 v7, v2, 16, 1
	v_add3_u32 v2, v2, v7, s8
	v_add3_u32 v3, v3, v6, s8
	v_perm_b32 v2, v3, v2, s4
	v_bfe_u32 v3, v5, 16, 1
	v_bfe_u32 v6, v4, 16, 1
	v_add3_u32 v4, v4, v6, s8
	v_add3_u32 v3, v5, v3, s8
	v_perm_b32 v3, v3, v4, s4
	s_and_b64 s[4:5], vcc, s[30:31]
	ds_write_b64 v20, v[2:3]
	s_waitcnt lgkmcnt(0)
	s_barrier
	s_and_saveexec_b64 s[8:9], s[4:5]
	s_cbranch_execz .LBB1161_18
; %bb.16:
	s_load_dwordx2 s[4:5], s[0:1], 0x68
	s_lshl_b32 s0, s6, 6
	s_mul_i32 s1, s7, s2
	s_mul_hi_u32 s7, s1, s0
	s_mul_i32 s6, s1, s0
	v_lshlrev_b32_e32 v0, 10, v0
	s_lshl_b64 s[6:7], s[6:7], 1
	v_and_b32_e32 v0, 0x1800, v0
	v_lshlrev_b32_e32 v2, 5, v42
	v_and_b32_e32 v1, 16, v1
	s_waitcnt lgkmcnt(0)
	s_add_u32 s1, s4, s6
	v_or3_b32 v2, v0, v2, v1
	s_addc_u32 s4, s5, s7
	s_lshl_b32 s2, s28, 6
	ds_read_b128 v[4:7], v2 offset:256
	s_lshl_b64 s[2:3], s[2:3], 1
	ds_read_b128 v[8:11], v2 offset:128
	ds_read_b128 v[12:15], v2
	s_add_u32 s2, s1, s2
	s_addc_u32 s3, s4, s3
	v_add_u32_e32 v18, s48, v42
	v_lshl_add_u64 v[0:1], s[2:3], 0, v[26:27]
	v_mad_u64_u32 v[16:17], s[2:3], v18, s0, 0
	v_lshl_add_u64 v[16:17], v[16:17], 1, v[0:1]
	s_waitcnt lgkmcnt(0)
	global_store_dwordx4 v[16:17], v[12:15], off
	v_or_b32_e32 v3, 12, v42
	v_cmp_gt_u32_e32 vcc, 14, v3
	v_add_u32_e32 v12, 4, v18
	v_mad_u64_u32 v[12:13], s[2:3], v12, s0, 0
	v_lshl_add_u64 v[12:13], v[12:13], 1, v[0:1]
	global_store_dwordx4 v[12:13], v[8:11], off
	s_nop 1
	v_add_u32_e32 v8, 8, v18
	v_mad_u64_u32 v[8:9], s[2:3], v8, s0, 0
	v_lshl_add_u64 v[8:9], v[8:9], 1, v[0:1]
	global_store_dwordx4 v[8:9], v[4:7], off
	s_and_b64 exec, exec, vcc
	s_cbranch_execz .LBB1161_18
; %bb.17:
	ds_read_b128 v[4:7], v2 offset:384
	v_add_u32_e32 v2, s48, v3
	v_mad_u64_u32 v[2:3], s[0:1], v2, s0, 0
	v_lshl_add_u64 v[0:1], v[2:3], 1, v[0:1]
	s_waitcnt lgkmcnt(0)
	global_store_dwordx4 v[0:1], v[4:7], off
.LBB1161_18:
	s_endpgm
	.section	.rodata,"a",@progbits
	.p2align	6, 0x0
	.amdhsa_kernel _Z39paged_attention_ll4mi_QKV_mfma16_kernelI14__hip_bfloat16hLN4vllm18Fp8KVCacheDataTypeE1ES0_Li16ELi64ELi256ELb0ELi14EEvPKT_PKT0_S8_ifPKiSA_SA_iPKfiiiPfSD_PS3_PT2_iSC_SC_
		.amdhsa_group_segment_fixed_size 8192
		.amdhsa_private_segment_fixed_size 0
		.amdhsa_kernarg_size 400
		.amdhsa_user_sgpr_count 2
		.amdhsa_user_sgpr_dispatch_ptr 0
		.amdhsa_user_sgpr_queue_ptr 0
		.amdhsa_user_sgpr_kernarg_segment_ptr 1
		.amdhsa_user_sgpr_dispatch_id 0
		.amdhsa_user_sgpr_kernarg_preload_length 0
		.amdhsa_user_sgpr_kernarg_preload_offset 0
		.amdhsa_user_sgpr_private_segment_size 0
		.amdhsa_uses_dynamic_stack 0
		.amdhsa_enable_private_segment 0
		.amdhsa_system_sgpr_workgroup_id_x 1
		.amdhsa_system_sgpr_workgroup_id_y 1
		.amdhsa_system_sgpr_workgroup_id_z 1
		.amdhsa_system_sgpr_workgroup_info 0
		.amdhsa_system_vgpr_workitem_id 0
		.amdhsa_next_free_vgpr 58
		.amdhsa_next_free_sgpr 50
		.amdhsa_accum_offset 60
		.amdhsa_reserve_vcc 1
		.amdhsa_float_round_mode_32 0
		.amdhsa_float_round_mode_16_64 0
		.amdhsa_float_denorm_mode_32 3
		.amdhsa_float_denorm_mode_16_64 3
		.amdhsa_dx10_clamp 1
		.amdhsa_ieee_mode 1
		.amdhsa_fp16_overflow 0
		.amdhsa_tg_split 0
		.amdhsa_exception_fp_ieee_invalid_op 0
		.amdhsa_exception_fp_denorm_src 0
		.amdhsa_exception_fp_ieee_div_zero 0
		.amdhsa_exception_fp_ieee_overflow 0
		.amdhsa_exception_fp_ieee_underflow 0
		.amdhsa_exception_fp_ieee_inexact 0
		.amdhsa_exception_int_div_zero 0
	.end_amdhsa_kernel
	.section	.text._Z39paged_attention_ll4mi_QKV_mfma16_kernelI14__hip_bfloat16hLN4vllm18Fp8KVCacheDataTypeE1ES0_Li16ELi64ELi256ELb0ELi14EEvPKT_PKT0_S8_ifPKiSA_SA_iPKfiiiPfSD_PS3_PT2_iSC_SC_,"axG",@progbits,_Z39paged_attention_ll4mi_QKV_mfma16_kernelI14__hip_bfloat16hLN4vllm18Fp8KVCacheDataTypeE1ES0_Li16ELi64ELi256ELb0ELi14EEvPKT_PKT0_S8_ifPKiSA_SA_iPKfiiiPfSD_PS3_PT2_iSC_SC_,comdat
.Lfunc_end1161:
	.size	_Z39paged_attention_ll4mi_QKV_mfma16_kernelI14__hip_bfloat16hLN4vllm18Fp8KVCacheDataTypeE1ES0_Li16ELi64ELi256ELb0ELi14EEvPKT_PKT0_S8_ifPKiSA_SA_iPKfiiiPfSD_PS3_PT2_iSC_SC_, .Lfunc_end1161-_Z39paged_attention_ll4mi_QKV_mfma16_kernelI14__hip_bfloat16hLN4vllm18Fp8KVCacheDataTypeE1ES0_Li16ELi64ELi256ELb0ELi14EEvPKT_PKT0_S8_ifPKiSA_SA_iPKfiiiPfSD_PS3_PT2_iSC_SC_
                                        ; -- End function
	.section	.AMDGPU.csdata,"",@progbits
; Kernel info:
; codeLenInByte = 4892
; NumSgprs: 56
; NumVgprs: 58
; NumAgprs: 0
; TotalNumVgprs: 58
; ScratchSize: 0
; MemoryBound: 0
; FloatMode: 240
; IeeeMode: 1
; LDSByteSize: 8192 bytes/workgroup (compile time only)
; SGPRBlocks: 6
; VGPRBlocks: 7
; NumSGPRsForWavesPerEU: 56
; NumVGPRsForWavesPerEU: 58
; AccumOffset: 60
; Occupancy: 8
; WaveLimiterHint : 1
; COMPUTE_PGM_RSRC2:SCRATCH_EN: 0
; COMPUTE_PGM_RSRC2:USER_SGPR: 2
; COMPUTE_PGM_RSRC2:TRAP_HANDLER: 0
; COMPUTE_PGM_RSRC2:TGID_X_EN: 1
; COMPUTE_PGM_RSRC2:TGID_Y_EN: 1
; COMPUTE_PGM_RSRC2:TGID_Z_EN: 1
; COMPUTE_PGM_RSRC2:TIDIG_COMP_CNT: 0
; COMPUTE_PGM_RSRC3_GFX90A:ACCUM_OFFSET: 14
; COMPUTE_PGM_RSRC3_GFX90A:TG_SPLIT: 0
	.section	.text._Z39paged_attention_ll4mi_QKV_mfma16_kernelI14__hip_bfloat16hLN4vllm18Fp8KVCacheDataTypeE1ES0_Li16ELi64ELi256ELb0ELi15EEvPKT_PKT0_S8_ifPKiSA_SA_iPKfiiiPfSD_PS3_PT2_iSC_SC_,"axG",@progbits,_Z39paged_attention_ll4mi_QKV_mfma16_kernelI14__hip_bfloat16hLN4vllm18Fp8KVCacheDataTypeE1ES0_Li16ELi64ELi256ELb0ELi15EEvPKT_PKT0_S8_ifPKiSA_SA_iPKfiiiPfSD_PS3_PT2_iSC_SC_,comdat
	.protected	_Z39paged_attention_ll4mi_QKV_mfma16_kernelI14__hip_bfloat16hLN4vllm18Fp8KVCacheDataTypeE1ES0_Li16ELi64ELi256ELb0ELi15EEvPKT_PKT0_S8_ifPKiSA_SA_iPKfiiiPfSD_PS3_PT2_iSC_SC_ ; -- Begin function _Z39paged_attention_ll4mi_QKV_mfma16_kernelI14__hip_bfloat16hLN4vllm18Fp8KVCacheDataTypeE1ES0_Li16ELi64ELi256ELb0ELi15EEvPKT_PKT0_S8_ifPKiSA_SA_iPKfiiiPfSD_PS3_PT2_iSC_SC_
	.globl	_Z39paged_attention_ll4mi_QKV_mfma16_kernelI14__hip_bfloat16hLN4vllm18Fp8KVCacheDataTypeE1ES0_Li16ELi64ELi256ELb0ELi15EEvPKT_PKT0_S8_ifPKiSA_SA_iPKfiiiPfSD_PS3_PT2_iSC_SC_
	.p2align	8
	.type	_Z39paged_attention_ll4mi_QKV_mfma16_kernelI14__hip_bfloat16hLN4vllm18Fp8KVCacheDataTypeE1ES0_Li16ELi64ELi256ELb0ELi15EEvPKT_PKT0_S8_ifPKiSA_SA_iPKfiiiPfSD_PS3_PT2_iSC_SC_,@function
_Z39paged_attention_ll4mi_QKV_mfma16_kernelI14__hip_bfloat16hLN4vllm18Fp8KVCacheDataTypeE1ES0_Li16ELi64ELi256ELb0ELi15EEvPKT_PKT0_S8_ifPKiSA_SA_iPKfiiiPfSD_PS3_PT2_iSC_SC_: ; @_Z39paged_attention_ll4mi_QKV_mfma16_kernelI14__hip_bfloat16hLN4vllm18Fp8KVCacheDataTypeE1ES0_Li16ELi64ELi256ELb0ELi15EEvPKT_PKT0_S8_ifPKiSA_SA_iPKfiiiPfSD_PS3_PT2_iSC_SC_
; %bb.0:
	s_load_dwordx2 s[12:13], s[0:1], 0x30
	s_mov_b32 s28, s3
	s_mov_b64 s[6:7], 0
	s_waitcnt lgkmcnt(0)
	s_cmp_lg_u64 s[12:13], 0
	s_cselect_b64 s[14:15], -1, 0
	s_and_b64 vcc, exec, s[14:15]
	s_cbranch_vccz .LBB1162_7
; %bb.1:
	s_add_i32 s8, s2, 1
	s_mov_b32 s9, 0
	s_lshl_b64 s[10:11], s[8:9], 2
	s_add_u32 s10, s12, s10
	s_mov_b32 s3, s9
	s_addc_u32 s11, s13, s11
	s_lshl_b64 s[8:9], s[2:3], 2
	s_add_u32 s8, s12, s8
	s_addc_u32 s9, s13, s9
	s_load_dword s5, s[10:11], 0x0
	s_load_dword s16, s[8:9], 0x0
	s_waitcnt lgkmcnt(0)
	s_sub_i32 s5, s5, s16
	s_cmp_eq_u32 s5, 1
	s_cselect_b64 s[8:9], -1, 0
	s_andn2_b64 vcc, exec, s[6:7]
	s_cbranch_vccnz .LBB1162_3
.LBB1162_2:
	s_mov_b32 s3, 0
	s_mov_b64 s[8:9], -1
.LBB1162_3:
	s_andn2_b64 vcc, exec, s[8:9]
	s_cbranch_vccnz .LBB1162_18
; %bb.4:
	s_load_dwordx2 s[6:7], s[0:1], 0x28
	s_lshl_b64 s[16:17], s[2:3], 2
	s_waitcnt lgkmcnt(0)
	s_add_u32 s6, s6, s16
	s_addc_u32 s7, s7, s17
	s_load_dword s33, s[6:7], 0x0
	s_lshl_b32 s5, s28, 8
	s_waitcnt lgkmcnt(0)
	s_cmp_ge_i32 s5, s33
	s_cbranch_scc1 .LBB1162_18
; %bb.5:
	s_load_dwordx2 s[6:7], s[0:1], 0x20
	s_load_dword s8, s[0:1], 0x38
	s_add_i32 s9, s33, 15
	s_ashr_i32 s10, s9, 31
	v_and_b32_e32 v1, 0xcf, v0
	s_lshr_b32 s10, s10, 28
	v_add_u32_e32 v1, s5, v1
	s_add_i32 s9, s9, s10
	v_ashrrev_i32_e32 v2, 31, v1
	s_ashr_i32 s18, s9, 4
	v_lshrrev_b32_e32 v4, 28, v2
	s_add_i32 s18, s18, -1
	s_waitcnt lgkmcnt(0)
	s_mul_i32 s8, s2, s8
	s_mov_b32 s9, 0
	v_add_u32_e32 v2, v1, v4
	s_lshl_b64 s[8:9], s[8:9], 2
	v_ashrrev_i32_e32 v2, 4, v2
	v_mov_b32_e32 v5, s18
	v_cmp_gt_i32_e32 vcc, s33, v1
	s_add_u32 s6, s6, s8
	s_addc_u32 s7, s7, s9
	v_cndmask_b32_e32 v2, v5, v2, vcc
	v_ashrrev_i32_e32 v3, 31, v2
	v_lshl_add_u64 v[6:7], v[2:3], 2, s[6:7]
	v_or_b32_e32 v2, 16, v1
	v_add_u32_e32 v3, v2, v4
	v_ashrrev_i32_e32 v3, 4, v3
	v_cmp_gt_i32_e32 vcc, s33, v2
	s_load_dwordx4 s[8:11], s[0:1], 0x8
	s_nop 0
	v_cndmask_b32_e32 v2, v5, v3, vcc
	v_ashrrev_i32_e32 v3, 31, v2
	v_lshl_add_u64 v[8:9], v[2:3], 2, s[6:7]
	v_or_b32_e32 v2, 32, v1
	v_add_u32_e32 v3, v2, v4
	v_ashrrev_i32_e32 v3, 4, v3
	v_cmp_gt_i32_e32 vcc, s33, v2
	v_or_b32_e32 v1, 48, v1
	s_nop 0
	v_cndmask_b32_e32 v2, v5, v3, vcc
	v_ashrrev_i32_e32 v3, 31, v2
	v_lshl_add_u64 v[10:11], v[2:3], 2, s[6:7]
	v_add_u32_e32 v2, v1, v4
	v_ashrrev_i32_e32 v2, 4, v2
	v_cmp_gt_i32_e32 vcc, s33, v1
	s_nop 1
	v_cndmask_b32_e32 v2, v5, v2, vcc
	v_ashrrev_i32_e32 v3, 31, v2
	v_lshl_add_u64 v[12:13], v[2:3], 2, s[6:7]
	global_load_dword v4, v[6:7], off
	global_load_dword v3, v[8:9], off
	;; [unrolled: 1-line block ×4, first 2 shown]
	s_andn2_b64 vcc, exec, s[14:15]
	s_cbranch_vccnz .LBB1162_8
; %bb.6:
	s_add_u32 s12, s12, s16
	s_addc_u32 s13, s13, s17
	s_load_dword s14, s[12:13], 0x0
	s_branch .LBB1162_9
.LBB1162_7:
	s_mov_b64 s[8:9], 0
	s_branch .LBB1162_2
.LBB1162_8:
	s_mov_b32 s14, s2
.LBB1162_9:
	s_load_dwordx4 s[44:47], s[0:1], 0x48
	v_lshrrev_b32_e32 v29, 6, v0
	v_bfe_u32 v42, v0, 4, 2
	v_lshl_or_b32 v5, v29, 2, v42
	v_and_b32_e32 v28, 15, v0
	v_lshlrev_b32_e32 v1, 3, v28
	v_cmp_gt_u32_e32 vcc, 15, v5
	v_cmp_gt_u32_e64 s[30:31], 8, v28
	v_and_b32_e32 v43, 63, v0
	s_mul_i32 s48, s4, 15
	s_and_b64 s[16:17], s[30:31], vcc
	v_lshlrev_b32_e32 v26, 1, v1
	v_lshlrev_b32_e32 v1, 4, v0
	s_and_saveexec_b64 s[12:13], s[16:17]
	s_cbranch_execz .LBB1162_11
; %bb.10:
	s_load_dwordx2 s[16:17], s[0:1], 0x0
	s_waitcnt lgkmcnt(0)
	s_ashr_i32 s15, s44, 31
	s_mul_hi_u32 s19, s14, s44
	s_mul_i32 s15, s14, s15
	s_add_i32 s15, s19, s15
	s_mul_i32 s14, s14, s44
	s_lshl_b64 s[14:15], s[14:15], 1
	s_add_u32 s14, s16, s14
	v_add_lshl_u32 v6, v5, s48, 6
	s_addc_u32 s15, s17, s15
	v_ashrrev_i32_e32 v7, 31, v6
	v_lshl_add_u64 v[6:7], v[6:7], 1, s[14:15]
	v_mov_b32_e32 v27, 0
	v_lshl_add_u64 v[6:7], v[6:7], 0, v[26:27]
	global_load_dwordx4 v[6:9], v[6:7], off
	v_lshlrev_b32_e32 v11, 8, v28
	v_lshlrev_b32_e32 v5, 5, v5
	v_and_b32_e32 v10, 16, v1
	v_and_b32_e32 v11, 0xe00, v11
	v_or3_b32 v5, v11, v5, v10
	s_waitcnt vmcnt(0)
	ds_write_b128 v5, v[6:9]
.LBB1162_11:
	s_or_b64 exec, exec, s[12:13]
	s_waitcnt lgkmcnt(0)
	s_mul_i32 s4, s4, s46
	s_add_u32 s8, s8, s4
	v_mov_b32_e32 v31, 0
	s_addc_u32 s9, s9, 0
	v_and_b32_e32 v8, 48, v0
	v_and_b32_e32 v30, 0xf0, v1
	v_lshl_add_u64 v[6:7], s[8:9], 0, v[30:31]
	v_lshlrev_b32_e32 v30, 4, v8
	v_lshl_add_u64 v[18:19], v[6:7], 0, v[30:31]
	s_waitcnt vmcnt(3)
	v_mad_i64_i32 v[4:5], s[8:9], v4, s45, v[18:19]
	s_load_dword s29, s[0:1], 0x98
	s_load_dwordx4 s[40:43], s[0:1], 0x80
	s_waitcnt lgkmcnt(0)
	s_barrier
	global_load_dwordx4 v[22:25], v[4:5], off
	s_waitcnt vmcnt(3)
	v_mad_i64_i32 v[4:5], s[8:9], v3, s45, v[18:19]
	global_load_dwordx4 v[10:13], v[4:5], off
	v_or_b32_e32 v6, s5, v8
	v_mov_b32_e32 v27, s18
	v_ashrrev_i32_e32 v3, 4, v6
	v_cmp_gt_i32_e32 vcc, s33, v6
	v_or_b32_e32 v21, 64, v6
	v_or_b32_e32 v33, 0x80, v6
	v_cndmask_b32_e32 v4, v27, v3, vcc
	v_ashrrev_i32_e32 v5, 31, v4
	v_lshl_add_u64 v[4:5], v[4:5], 2, s[6:7]
	s_waitcnt vmcnt(3)
	v_mad_i64_i32 v[2:3], s[8:9], v2, s45, v[18:19]
	global_load_dword v56, v[4:5], off
	v_cmp_ne_u32_e32 vcc, 15, v28
	global_load_dwordx4 v[2:5], v[2:3], off
	s_waitcnt vmcnt(4)
	v_mad_i64_i32 v[18:19], s[12:13], v20, s45, v[18:19]
	v_cndmask_b32_e32 v7, 0, v28, vcc
	v_lshlrev_b32_e32 v7, 5, v7
	v_lshl_or_b32 v7, v42, 9, v7
	v_or_b32_e32 v35, 0xc0, v6
	ds_read_b128 v[14:17], v7
	ds_read_b128 v[6:9], v7 offset:16
	v_ashrrev_i32_e32 v32, 4, v21
	v_cmp_gt_i32_e32 vcc, s33, v21
	global_load_dwordx4 v[18:21], v[18:19], off
	v_ashrrev_i32_e32 v34, 4, v33
	v_cndmask_b32_e32 v32, v27, v32, vcc
	v_cmp_gt_i32_e32 vcc, s33, v33
	v_ashrrev_i32_e32 v36, 4, v35
	v_ashrrev_i32_e32 v33, 31, v32
	v_cndmask_b32_e32 v34, v27, v34, vcc
	v_cmp_gt_i32_e32 vcc, s33, v35
	v_ashrrev_i32_e32 v35, 31, v34
	v_lshl_add_u64 v[32:33], v[32:33], 2, s[6:7]
	v_cndmask_b32_e32 v36, v27, v36, vcc
	v_ashrrev_i32_e32 v37, 31, v36
	v_lshl_add_u64 v[36:37], v[36:37], 2, s[6:7]
	s_add_u32 s8, s10, s4
	s_load_dword s4, s[40:41], 0x0
	v_lshl_add_u64 v[38:39], v[34:35], 2, s[6:7]
	global_load_dword v35, v[32:33], off
	global_load_dword v27, v[38:39], off
	;; [unrolled: 1-line block ×3, first 2 shown]
	s_mov_b32 s44, 0x7060302
	s_load_dword s14, s[0:1], 0x1c
	s_mov_b32 s46, 0xff7fffff
	v_lshlrev_b32_e32 v30, 4, v28
	s_addc_u32 s9, s11, 0
	v_lshl_or_b32 v30, v29, 8, v30
	s_waitcnt lgkmcnt(0)
	v_mov_b32_e32 v57, s14
	v_lshl_add_u64 v[30:31], s[8:9], 0, v[30:31]
	s_waitcnt vmcnt(7)
	v_cvt_pk_f32_fp8_e32 v[32:33], v22
	v_cvt_pk_f32_fp8_sdwa v[36:37], v22 src0_sel:WORD_1
	v_cvt_pk_f32_fp8_e32 v[38:39], v23
	v_cvt_pk_f32_fp8_sdwa v[40:41], v23 src0_sel:WORD_1
	v_perm_b32 v32, v33, v32, s44
	v_perm_b32 v33, v37, v36, s44
	s_waitcnt vmcnt(6)
	v_cvt_pk_f32_fp8_e32 v[22:23], v10
	v_cvt_pk_f32_fp8_sdwa v[50:51], v10 src0_sel:WORD_1
	v_cvt_pk_f32_fp8_e32 v[44:45], v24
	v_cvt_pk_f32_fp8_sdwa v[46:47], v24 src0_sel:WORD_1
	;; [unrolled: 2-line block ×3, first 2 shown]
	v_perm_b32 v36, v23, v22, s44
	v_mfma_f32_16x16x16_bf16 v[22:25], v[32:33], v[14:15], 0
	v_perm_b32 v32, v39, v38, s44
	v_perm_b32 v33, v41, v40, s44
	v_cvt_pk_f32_fp8_e32 v[54:55], v11
	v_perm_b32 v37, v51, v50, s44
	v_cvt_pk_f32_fp8_sdwa v[10:11], v11 src0_sel:WORD_1
	v_mfma_f32_16x16x16_bf16 v[22:25], v[32:33], v[16:17], v[22:25]
	v_perm_b32 v50, v55, v54, s44
	v_perm_b32 v51, v11, v10, s44
	;; [unrolled: 1-line block ×4, first 2 shown]
	v_mfma_f32_16x16x16_bf16 v[36:39], v[36:37], v[14:15], 0
	v_cvt_pk_f32_fp8_e32 v[40:41], v12
	v_cvt_pk_f32_fp8_sdwa v[10:11], v12 src0_sel:WORD_1
	v_perm_b32 v44, v49, v48, s44
	v_mfma_f32_16x16x16_bf16 v[36:39], v[50:51], v[16:17], v[36:39]
	v_cvt_pk_f32_fp8_e32 v[50:51], v13
	v_perm_b32 v45, v53, v52, s44
	v_cvt_pk_f32_fp8_sdwa v[12:13], v13 src0_sel:WORD_1
	v_mfma_f32_16x16x16_bf16 v[22:25], v[32:33], v[6:7], v[22:25]
	v_perm_b32 v32, v41, v40, s44
	v_perm_b32 v33, v11, v10, s44
	;; [unrolled: 1-line block ×4, first 2 shown]
	v_mfma_f32_16x16x16_bf16 v[44:47], v[44:45], v[8:9], v[22:25]
	s_waitcnt vmcnt(4)
	v_cvt_pk_f32_fp8_e32 v[12:13], v2
	v_cvt_pk_f32_fp8_sdwa v[48:49], v4 src0_sel:WORD_1
	v_mul_f32_e32 v50, s4, v57
	v_mfma_f32_16x16x16_bf16 v[22:25], v[32:33], v[6:7], v[36:39]
	v_cvt_pk_f32_fp8_sdwa v[32:33], v2 src0_sel:WORD_1
	v_perm_b32 v12, v13, v12, s44
	v_mad_i64_i32 v[10:11], s[6:7], v56, s45, v[30:31]
	v_mfma_f32_16x16x16_bf16 v[38:41], v[40:41], v[8:9], v[22:25]
	v_perm_b32 v13, v33, v32, s44
	v_cvt_pk_f32_fp8_e32 v[36:37], v4
	s_nop 0
	v_cvt_pk_f32_fp8_e32 v[22:23], v3
	v_cvt_pk_f32_fp8_sdwa v[2:3], v3 src0_sel:WORD_1
	v_perm_b32 v32, v23, v22, s44
	v_perm_b32 v33, v3, v2, s44
	v_mfma_f32_16x16x16_bf16 v[22:25], v[12:13], v[14:15], 0
	v_perm_b32 v12, v37, v36, s44
	v_perm_b32 v13, v49, v48, s44
	v_cvt_pk_f32_fp8_e32 v[36:37], v5
	v_cvt_pk_f32_fp8_sdwa v[48:49], v5 src0_sel:WORD_1
	v_mfma_f32_16x16x16_bf16 v[2:5], v[32:33], v[16:17], v[22:25]
	s_waitcnt vmcnt(3)
	v_cvt_pk_f32_fp8_sdwa v[32:33], v20 src0_sel:WORD_1
	s_nop 0
	v_perm_b32 v24, v37, v36, s44
	v_perm_b32 v25, v49, v48, s44
	v_pk_mul_f32 v[22:23], v[50:51], v[46:47] op_sel_hi:[0,1]
	v_mfma_f32_16x16x16_bf16 v[46:49], v[12:13], v[6:7], v[2:5]
	v_cvt_pk_f32_fp8_sdwa v[12:13], v18 src0_sel:WORD_1
	v_pk_mul_f32 v[36:37], v[50:51], v[40:41] op_sel_hi:[0,1]
	v_pk_mul_f32 v[40:41], v[50:51], v[38:39] op_sel_hi:[0,1]
	v_cvt_pk_f32_fp8_e32 v[4:5], v18
	v_pk_mul_f32 v[2:3], v[50:51], v[44:45] op_sel_hi:[0,1]
	v_mfma_f32_16x16x16_bf16 v[44:47], v[24:25], v[8:9], v[46:49]
	v_cvt_pk_f32_fp8_e32 v[24:25], v19
	v_perm_b32 v4, v5, v4, s44
	v_perm_b32 v5, v13, v12, s44
	v_cvt_pk_f32_fp8_sdwa v[12:13], v19 src0_sel:WORD_1
	v_perm_b32 v18, v25, v24, s44
	v_cvt_pk_f32_fp8_e32 v[24:25], v20
	s_nop 0
	v_pk_mul_f32 v[38:39], v[50:51], v[44:45] op_sel_hi:[0,1]
	v_perm_b32 v19, v13, v12, s44
	v_mfma_f32_16x16x16_bf16 v[12:15], v[4:5], v[14:15], 0
	v_perm_b32 v4, v25, v24, s44
	v_perm_b32 v5, v33, v32, s44
	v_cvt_pk_f32_fp8_e32 v[24:25], v21
	v_cvt_pk_f32_fp8_sdwa v[20:21], v21 src0_sel:WORD_1
	v_mfma_f32_16x16x16_bf16 v[12:15], v[18:19], v[16:17], v[12:15]
	v_pk_mul_f32 v[32:33], v[50:51], v[46:47] op_sel_hi:[0,1]
	v_perm_b32 v16, v25, v24, s44
	v_perm_b32 v17, v21, v20, s44
	v_mfma_f32_16x16x16_bf16 v[4:7], v[4:5], v[6:7], v[12:15]
	s_nop 0
	v_mfma_f32_16x16x16_bf16 v[4:7], v[16:17], v[8:9], v[4:7]
	s_nop 6
	v_pk_mul_f32 v[24:25], v[50:51], v[4:5] op_sel_hi:[0,1]
	v_and_b32_e32 v4, 0xc0, v0
	v_add_u32_e32 v4, s5, v4
	v_lshl_or_b32 v4, v42, 2, v4
	v_pk_mul_f32 v[18:19], v[50:51], v[6:7] op_sel_hi:[0,1]
	v_or_b32_e32 v7, 1, v4
	v_mov_b32_e32 v5, 0xff7fffff
	v_cmp_gt_i32_e64 s[4:5], s33, v4
	v_cmp_gt_i32_e64 s[34:35], s33, v7
	v_or_b32_e32 v8, 3, v4
	v_cndmask_b32_e64 v6, v5, v2, s[4:5]
	v_cndmask_b32_e64 v7, v5, v3, s[34:35]
	v_max3_f32 v6, v6, s46, v7
	v_or_b32_e32 v7, 2, v4
	v_cmp_gt_i32_e64 s[36:37], s33, v7
	v_cmp_gt_i32_e64 s[38:39], s33, v8
	s_nop 0
	v_cndmask_b32_e64 v7, v5, v22, s[36:37]
	v_cndmask_b32_e64 v8, v5, v23, s[38:39]
	v_max3_f32 v6, v6, v7, v8
	v_or_b32_e32 v7, 16, v4
	v_or_b32_e32 v8, 17, v4
	v_cmp_gt_i32_e64 s[24:25], s33, v7
	v_cmp_gt_i32_e64 s[26:27], s33, v8
	s_nop 0
	v_cndmask_b32_e64 v7, v5, v40, s[24:25]
	v_cndmask_b32_e64 v8, v5, v41, s[26:27]
	v_max3_f32 v6, v6, v7, v8
	v_or_b32_e32 v7, 18, v4
	;; [unrolled: 8-line block ×6, first 2 shown]
	v_or_b32_e32 v4, 51, v4
	v_cmp_gt_i32_e32 vcc, s33, v7
	v_cmp_gt_i32_e64 s[6:7], s33, v4
	s_nop 0
	v_cndmask_b32_e32 v7, v5, v18, vcc
	v_cndmask_b32_e64 v4, v5, v19, s[6:7]
	v_max3_f32 v6, v6, v7, v4
	v_mbcnt_lo_u32_b32 v4, -1, 0
	v_mbcnt_hi_u32_b32 v7, -1, v4
	v_and_b32_e32 v4, 64, v7
	v_add_u32_e32 v8, 64, v4
	v_xor_b32_e32 v4, 32, v7
	v_cmp_lt_i32_e64 s[40:41], v4, v8
	s_nop 1
	v_cndmask_b32_e64 v4, v7, v4, s[40:41]
	v_lshlrev_b32_e32 v44, 2, v4
	ds_bpermute_b32 v9, v44, v6
	s_waitcnt vmcnt(2)
	v_mad_i64_i32 v[4:5], s[40:41], v35, s45, v[30:31]
	global_load_dwordx4 v[14:17], v[10:11], off
	s_nop 0
	global_load_dwordx4 v[10:13], v[4:5], off
	v_xor_b32_e32 v5, 16, v7
	v_cmp_lt_i32_e64 s[40:41], v5, v8
	s_waitcnt lgkmcnt(0)
	v_max_f32_e32 v4, v9, v9
	v_max_f32_e32 v4, v6, v4
	v_cndmask_b32_e64 v5, v7, v5, s[40:41]
	v_lshlrev_b32_e32 v45, 2, v5
	ds_bpermute_b32 v5, v45, v4
	s_waitcnt vmcnt(3)
	v_mad_i64_i32 v[20:21], s[40:41], v27, s45, v[30:31]
	s_waitcnt vmcnt(2)
	v_mad_i64_i32 v[30:31], s[40:41], v34, s45, v[30:31]
	s_waitcnt lgkmcnt(0)
	v_max_f32_e32 v5, v5, v5
	v_max_f32_e32 v27, v4, v5
	v_sub_f32_e32 v2, v2, v27
	v_mul_f32_e32 v2, 0x3fb8aa3b, v2
	v_exp_f32_e32 v34, v2
	v_sub_f32_e32 v2, v3, v27
	v_mul_f32_e32 v2, 0x3fb8aa3b, v2
	v_exp_f32_e32 v35, v2
	global_load_dwordx4 v[6:9], v[20:21], off
	global_load_dwordx4 v[2:5], v[30:31], off
	v_sub_f32_e32 v22, v22, v27
	v_mul_f32_e32 v22, 0x3fb8aa3b, v22
	v_sub_f32_e32 v23, v23, v27
	v_exp_f32_e32 v22, v22
	v_mul_f32_e32 v23, 0x3fb8aa3b, v23
	v_exp_f32_e32 v23, v23
	v_cndmask_b32_e64 v20, 0, v34, s[4:5]
	v_add_f32_e32 v30, 0, v20
	v_cndmask_b32_e64 v21, 0, v35, s[34:35]
	v_add_f32_e32 v30, v30, v21
	;; [unrolled: 2-line block ×3, first 2 shown]
	v_cndmask_b32_e64 v35, 0, v23, s[38:39]
	v_sub_f32_e32 v23, v40, v27
	v_sub_f32_e32 v30, v41, v27
	v_mul_f32_e32 v23, 0x3fb8aa3b, v23
	v_mul_f32_e32 v30, 0x3fb8aa3b, v30
	v_exp_f32_e32 v23, v23
	v_exp_f32_e32 v30, v30
	v_add_f32_e32 v31, v22, v35
	v_sub_f32_e32 v32, v32, v27
	v_cndmask_b32_e64 v22, 0, v23, s[24:25]
	v_cndmask_b32_e64 v23, 0, v30, s[26:27]
	v_sub_f32_e32 v30, v36, v27
	v_mul_f32_e32 v30, 0x3fb8aa3b, v30
	v_exp_f32_e32 v30, v30
	v_sub_f32_e32 v36, v37, v27
	v_add_f32_e32 v31, v31, v22
	v_mul_f32_e32 v36, 0x3fb8aa3b, v36
	v_exp_f32_e32 v37, v36
	v_add_f32_e32 v31, v31, v23
	v_cndmask_b32_e64 v36, 0, v30, s[20:21]
	v_add_f32_e32 v30, v31, v36
	v_sub_f32_e32 v31, v38, v27
	v_mul_f32_e32 v31, 0x3fb8aa3b, v31
	v_sub_f32_e32 v38, v39, v27
	v_exp_f32_e32 v31, v31
	v_mul_f32_e32 v38, 0x3fb8aa3b, v38
	v_exp_f32_e32 v38, v38
	v_mul_f32_e32 v32, 0x3fb8aa3b, v32
	v_sub_f32_e32 v33, v33, v27
	v_exp_f32_e32 v32, v32
	v_mul_f32_e32 v33, 0x3fb8aa3b, v33
	v_sub_f32_e32 v24, v24, v27
	v_cndmask_b32_e64 v37, 0, v37, s[22:23]
	v_exp_f32_e32 v33, v33
	v_mul_f32_e32 v24, 0x3fb8aa3b, v24
	v_sub_f32_e32 v25, v25, v27
	v_add_f32_e32 v39, v30, v37
	v_cndmask_b32_e64 v30, 0, v31, s[16:17]
	v_exp_f32_e32 v24, v24
	v_mul_f32_e32 v25, 0x3fb8aa3b, v25
	v_sub_f32_e32 v18, v18, v27
	v_add_f32_e32 v39, v39, v30
	v_cndmask_b32_e64 v31, 0, v38, s[18:19]
	v_exp_f32_e32 v25, v25
	v_mul_f32_e32 v18, 0x3fb8aa3b, v18
	v_sub_f32_e32 v19, v19, v27
	v_add_f32_e32 v38, v39, v31
	v_cndmask_b32_e64 v32, 0, v32, s[12:13]
	v_exp_f32_e32 v18, v18
	v_mul_f32_e32 v19, 0x3fb8aa3b, v19
	v_add_f32_e32 v38, v38, v32
	v_cndmask_b32_e64 v33, 0, v33, s[14:15]
	v_exp_f32_e32 v19, v19
	v_add_f32_e32 v38, v38, v33
	v_cndmask_b32_e64 v24, 0, v24, s[8:9]
	v_add_f32_e32 v38, v38, v24
	v_cndmask_b32_e64 v25, 0, v25, s[10:11]
	v_add_f32_e32 v38, v38, v25
	v_cndmask_b32_e32 v18, 0, v18, vcc
	v_add_f32_e32 v38, v38, v18
	v_cndmask_b32_e64 v19, 0, v19, s[6:7]
	v_add_f32_e32 v38, v38, v19
	ds_bpermute_b32 v39, v44, v38
	v_cmp_gt_u32_e32 vcc, 16, v43
	s_waitcnt lgkmcnt(0)
	s_barrier
	v_add_f32_e32 v39, v38, v39
	ds_bpermute_b32 v40, v45, v39
	v_lshlrev_b32_e32 v38, 2, v28
	s_and_saveexec_b64 s[4:5], vcc
	s_cbranch_execz .LBB1162_13
; %bb.12:
	s_waitcnt lgkmcnt(0)
	v_add_f32_e32 v39, v39, v40
	v_lshl_or_b32 v40, v29, 6, v38
	ds_write2st64_b32 v40, v27, v39 offset1:1
.LBB1162_13:
	s_or_b64 exec, exec, s[4:5]
	s_load_dword s6, s[0:1], 0x94
	s_waitcnt lgkmcnt(0)
	s_barrier
	ds_read2_b32 v[40:41], v38 offset1:16
	ds_read2_b32 v[44:45], v38 offset0:32 offset1:48
	ds_read2_b32 v[46:47], v38 offset0:64 offset1:80
	s_movk_i32 s8, 0x7fff
	s_mul_i32 s7, s29, 15
	s_waitcnt lgkmcnt(2)
	v_max3_f32 v27, v40, s46, v41
	s_waitcnt lgkmcnt(1)
	v_max3_f32 v27, v27, v44, v45
	v_sub_f32_e32 v39, v40, v27
	v_sub_f32_e32 v40, v41, v27
	v_mul_f32_e32 v40, 0x3fb8aa3b, v40
	v_mul_f32_e32 v39, 0x3fb8aa3b, v39
	v_exp_f32_e32 v43, v40
	v_sub_f32_e32 v40, v44, v27
	v_exp_f32_e32 v39, v39
	v_mul_f32_e32 v40, 0x3fb8aa3b, v40
	v_exp_f32_e32 v44, v40
	ds_read2_b32 v[40:41], v38 offset0:96 offset1:112
	v_sub_f32_e32 v38, v45, v27
	v_mul_f32_e32 v38, 0x3fb8aa3b, v38
	v_exp_f32_e32 v45, v38
	s_waitcnt lgkmcnt(1)
	v_fma_f32 v38, v39, v46, 0
	v_fmac_f32_e32 v38, v43, v47
	s_waitcnt lgkmcnt(0)
	v_fmac_f32_e32 v38, v44, v40
	v_fmac_f32_e32 v38, v45, v41
	v_add_f32_e32 v40, 0x358637bd, v38
	v_div_scale_f32 v41, s[4:5], v40, v40, 1.0
	v_rcp_f32_e32 v46, v41
	s_barrier
	v_fma_f32 v47, -v41, v46, 1.0
	v_fmac_f32_e32 v46, v47, v46
	v_div_scale_f32 v47, vcc, 1.0, v40, 1.0
	v_mul_f32_e32 v48, v47, v46
	v_fma_f32 v49, -v41, v48, v47
	v_fmac_f32_e32 v48, v49, v46
	v_fma_f32 v41, -v41, v48, v47
	v_div_fmas_f32 v41, v41, v46, v48
	v_cmp_eq_u32_e32 vcc, 1, v29
	v_div_fixup_f32 v40, v41, v40, 1.0
	s_nop 0
	v_cndmask_b32_e32 v39, v39, v43, vcc
	v_cmp_eq_u32_e32 vcc, 2, v29
	s_nop 1
	v_cndmask_b32_e32 v39, v39, v44, vcc
	v_cmp_eq_u32_e32 vcc, 3, v29
	v_lshlrev_b32_e32 v29, 11, v29
	s_nop 0
	v_cndmask_b32_e32 v39, v39, v45, vcc
	v_mul_f32_e32 v40, v39, v40
	v_pk_mul_f32 v[20:21], v[40:41], v[20:21] op_sel_hi:[0,1]
	v_pk_mul_f32 v[34:35], v[40:41], v[34:35] op_sel_hi:[0,1]
	v_bfe_u32 v39, v21, 16, 1
	v_bfe_u32 v41, v20, 16, 1
	v_add3_u32 v20, v20, v41, s8
	v_add3_u32 v21, v21, v39, s8
	v_perm_b32 v44, v21, v20, s44
	v_bfe_u32 v20, v35, 16, 1
	v_bfe_u32 v21, v34, 16, 1
	v_add3_u32 v21, v34, v21, s8
	v_add3_u32 v20, v35, v20, s8
	v_perm_b32 v45, v20, v21, s44
	v_lshlrev_b32_e32 v20, 3, v42
	v_lshlrev_b32_e32 v21, 5, v28
	v_pk_mul_f32 v[22:23], v[40:41], v[22:23] op_sel_hi:[0,1]
	v_or3_b32 v20, v29, v21, v20
	v_pk_mul_f32 v[34:35], v[40:41], v[36:37] op_sel_hi:[0,1]
	v_bfe_u32 v29, v23, 16, 1
	v_bfe_u32 v36, v22, 16, 1
	v_add3_u32 v22, v22, v36, s8
	v_add3_u32 v23, v23, v29, s8
	v_perm_b32 v22, v23, v22, s44
	v_bfe_u32 v23, v35, 16, 1
	v_bfe_u32 v29, v34, 16, 1
	v_add3_u32 v29, v34, v29, s8
	v_add3_u32 v23, v35, v23, s8
	v_perm_b32 v23, v23, v29, s44
	v_pk_mul_f32 v[30:31], v[40:41], v[30:31] op_sel_hi:[0,1]
	ds_write2st64_b64 v20, v[44:45], v[22:23] offset1:1
	v_pk_mul_f32 v[22:23], v[40:41], v[32:33] op_sel_hi:[0,1]
	v_bfe_u32 v29, v31, 16, 1
	v_bfe_u32 v32, v30, 16, 1
	v_add3_u32 v30, v30, v32, s8
	v_add3_u32 v29, v31, v29, s8
	v_perm_b32 v30, v29, v30, s44
	v_bfe_u32 v29, v23, 16, 1
	v_bfe_u32 v31, v22, 16, 1
	v_add3_u32 v22, v22, v31, s8
	v_add3_u32 v23, v23, v29, s8
	v_perm_b32 v31, v23, v22, s44
	v_pk_mul_f32 v[22:23], v[40:41], v[24:25] op_sel_hi:[0,1]
	v_bfe_u32 v24, v23, 16, 1
	v_bfe_u32 v25, v22, 16, 1
	v_pk_mul_f32 v[18:19], v[40:41], v[18:19] op_sel_hi:[0,1]
	v_add3_u32 v22, v22, v25, s8
	v_add3_u32 v23, v23, v24, s8
	v_perm_b32 v22, v23, v22, s44
	v_bfe_u32 v23, v19, 16, 1
	v_bfe_u32 v24, v18, 16, 1
	v_add3_u32 v18, v18, v24, s8
	v_add3_u32 v19, v19, v23, s8
	v_perm_b32 v23, v19, v18, s44
	v_cmp_gt_u32_e32 vcc, 15, v0
	ds_write2st64_b64 v20, v[30:31], v[22:23] offset0:2 offset1:3
	s_and_saveexec_b64 s[4:5], vcc
	s_cbranch_execz .LBB1162_15
; %bb.14:
	s_mov_b32 s49, 0
	v_mov_b32_e32 v29, 0
	v_lshl_add_u64 v[18:19], s[48:49], 0, v[28:29]
	v_mov_b32_e32 v22, s7
	v_mad_u64_u32 v[18:19], s[10:11], s2, v22, v[18:19]
	s_mul_i32 s3, s3, s7
	v_mov_b32_e32 v28, s28
	s_load_dwordx4 s[12:15], s[0:1], 0x58
	v_add_u32_e32 v23, s3, v19
	v_mad_u64_u32 v[18:19], s[10:11], v18, s6, v[28:29]
	v_mov_b32_e32 v22, v19
	v_mad_u64_u32 v[22:23], s[10:11], v23, s6, v[22:23]
	v_mov_b32_e32 v19, v22
	v_lshlrev_b64 v[18:19], 2, v[18:19]
	s_waitcnt lgkmcnt(0)
	v_lshl_add_u64 v[22:23], s[14:15], 0, v[18:19]
	v_lshl_add_u64 v[18:19], s[12:13], 0, v[18:19]
	global_store_dword v[22:23], v27, off
	global_store_dword v[18:19], v38, off
.LBB1162_15:
	s_or_b64 exec, exec, s[4:5]
	s_waitcnt vmcnt(3)
	v_cvt_pk_f32_fp8_e32 v[18:19], v14
	v_cvt_pk_f32_fp8_sdwa v[22:23], v14 src0_sel:WORD_1
	s_mov_b32 s4, 0x7060302
	v_lshl_or_b32 v14, v42, 9, v21
	s_waitcnt lgkmcnt(0)
	s_barrier
	v_perm_b32 v18, v19, v18, s4
	v_perm_b32 v19, v23, v22, s4
	v_cvt_pk_f32_fp8_e32 v[28:29], v15
	ds_read_b128 v[22:25], v14
	v_cvt_pk_f32_fp8_sdwa v[36:37], v15 src0_sel:WORD_1
	s_load_dword s10, s[42:43], 0x0
	v_perm_b32 v38, v29, v28, s4
	ds_read_b128 v[28:31], v14 offset:16
	v_perm_b32 v39, v37, v36, s4
	s_waitcnt lgkmcnt(0)
	v_mfma_f32_16x16x16_bf16 v[32:35], v[18:19], v[22:23], 0
	v_cvt_pk_f32_fp8_e32 v[18:19], v16
	v_cvt_pk_f32_fp8_sdwa v[36:37], v16 src0_sel:WORD_1
	v_cmp_gt_u32_e32 vcc, 64, v0
	v_mfma_f32_16x16x16_bf16 v[22:25], v[38:39], v[24:25], v[32:35]
	v_perm_b32 v18, v19, v18, s4
	v_perm_b32 v19, v37, v36, s4
	s_waitcnt vmcnt(2)
	v_cvt_pk_f32_fp8_sdwa v[36:37], v10 src0_sel:WORD_1
	v_cvt_pk_f32_fp8_e32 v[32:33], v17
	v_cvt_pk_f32_fp8_sdwa v[16:17], v17 src0_sel:WORD_1
	v_cvt_pk_f32_fp8_e32 v[34:35], v10
	s_mov_b32 s3, 0
	v_perm_b32 v32, v33, v32, s4
	v_perm_b32 v33, v17, v16, s4
	v_mfma_f32_16x16x16_bf16 v[16:19], v[18:19], v[28:29], v[22:25]
	v_perm_b32 v34, v35, v34, s4
	v_perm_b32 v35, v37, v36, s4
	v_cvt_pk_f32_fp8_e32 v[28:29], v11
	ds_read_b128 v[22:25], v14 offset:2048
	v_cvt_pk_f32_fp8_sdwa v[10:11], v11 src0_sel:WORD_1
	v_mfma_f32_16x16x16_bf16 v[16:19], v[32:33], v[30:31], v[16:19]
	v_perm_b32 v32, v29, v28, s4
	ds_read_b128 v[28:31], v14 offset:2064
	v_perm_b32 v33, v11, v10, s4
	s_waitcnt lgkmcnt(1)
	v_mfma_f32_16x16x16_bf16 v[16:19], v[34:35], v[22:23], v[16:19]
	v_cvt_pk_f32_fp8_e32 v[10:11], v12
	v_cvt_pk_f32_fp8_sdwa v[22:23], v12 src0_sel:WORD_1
	v_mov_b32_e32 v27, 0
	v_mfma_f32_16x16x16_bf16 v[16:19], v[32:33], v[24:25], v[16:19]
	v_cvt_pk_f32_fp8_e32 v[24:25], v13
	v_perm_b32 v10, v11, v10, s4
	v_perm_b32 v11, v23, v22, s4
	v_cvt_pk_f32_fp8_sdwa v[12:13], v13 src0_sel:WORD_1
	v_perm_b32 v22, v25, v24, s4
	s_waitcnt vmcnt(1)
	v_cvt_pk_f32_fp8_e32 v[24:25], v6
	v_cvt_pk_f32_fp8_sdwa v[32:33], v6 src0_sel:WORD_1
	v_perm_b32 v23, v13, v12, s4
	s_waitcnt lgkmcnt(0)
	v_mfma_f32_16x16x16_bf16 v[10:13], v[10:11], v[28:29], v[16:19]
	v_perm_b32 v28, v25, v24, s4
	v_perm_b32 v29, v33, v32, s4
	v_cvt_pk_f32_fp8_e32 v[24:25], v7
	ds_read_b128 v[16:19], v14 offset:4096
	v_cvt_pk_f32_fp8_sdwa v[6:7], v7 src0_sel:WORD_1
	v_mfma_f32_16x16x16_bf16 v[10:13], v[22:23], v[30:31], v[10:13]
	v_perm_b32 v30, v25, v24, s4
	ds_read_b128 v[22:25], v14 offset:4112
	v_perm_b32 v31, v7, v6, s4
	s_waitcnt lgkmcnt(1)
	v_mfma_f32_16x16x16_bf16 v[10:13], v[28:29], v[16:17], v[10:13]
	v_cvt_pk_f32_fp8_e32 v[6:7], v8
	v_cvt_pk_f32_fp8_sdwa v[16:17], v8 src0_sel:WORD_1
	s_waitcnt vmcnt(0)
	v_cvt_pk_f32_fp8_sdwa v[28:29], v2 src0_sel:WORD_1
	v_mfma_f32_16x16x16_bf16 v[10:13], v[30:31], v[18:19], v[10:13]
	v_cvt_pk_f32_fp8_e32 v[18:19], v9
	v_perm_b32 v6, v7, v6, s4
	v_perm_b32 v7, v17, v16, s4
	v_cvt_pk_f32_fp8_sdwa v[8:9], v9 src0_sel:WORD_1
	v_perm_b32 v16, v19, v18, s4
	v_cvt_pk_f32_fp8_e32 v[18:19], v2
	v_perm_b32 v17, v9, v8, s4
	s_waitcnt lgkmcnt(0)
	v_mfma_f32_16x16x16_bf16 v[6:9], v[6:7], v[22:23], v[10:13]
	v_perm_b32 v18, v19, v18, s4
	v_perm_b32 v19, v29, v28, s4
	v_cvt_pk_f32_fp8_e32 v[22:23], v3
	ds_read_b128 v[10:13], v14 offset:6144
	v_cvt_pk_f32_fp8_sdwa v[2:3], v3 src0_sel:WORD_1
	v_mfma_f32_16x16x16_bf16 v[6:9], v[16:17], v[24:25], v[6:9]
	v_perm_b32 v22, v23, v22, s4
	ds_read_b128 v[14:17], v14 offset:6160
	v_perm_b32 v23, v3, v2, s4
	s_waitcnt lgkmcnt(1)
	v_mfma_f32_16x16x16_bf16 v[6:9], v[18:19], v[10:11], v[6:9]
	v_cvt_pk_f32_fp8_e32 v[2:3], v4
	v_cvt_pk_f32_fp8_sdwa v[10:11], v4 src0_sel:WORD_1
	s_waitcnt lgkmcnt(0)
	v_mfma_f32_16x16x16_bf16 v[6:9], v[22:23], v[12:13], v[6:9]
	v_perm_b32 v2, v3, v2, s4
	v_perm_b32 v3, v11, v10, s4
	v_cvt_pk_f32_fp8_e32 v[10:11], v5
	v_cvt_pk_f32_fp8_sdwa v[4:5], v5 src0_sel:WORD_1
	s_barrier
	v_perm_b32 v10, v11, v10, s4
	v_perm_b32 v11, v5, v4, s4
	v_mfma_f32_16x16x16_bf16 v[2:5], v[2:3], v[14:15], v[6:9]
	s_nop 0
	v_mfma_f32_16x16x16_bf16 v[2:5], v[10:11], v[16:17], v[2:5]
	s_nop 6
	v_pk_mul_f32 v[2:3], v[2:3], s[10:11] op_sel_hi:[1,0]
	v_pk_mul_f32 v[4:5], v[4:5], s[10:11] op_sel_hi:[1,0]
	v_bfe_u32 v6, v3, 16, 1
	v_bfe_u32 v7, v2, 16, 1
	v_add3_u32 v2, v2, v7, s8
	v_add3_u32 v3, v3, v6, s8
	v_perm_b32 v2, v3, v2, s4
	v_bfe_u32 v3, v5, 16, 1
	v_bfe_u32 v6, v4, 16, 1
	v_add3_u32 v4, v4, v6, s8
	v_add3_u32 v3, v5, v3, s8
	v_perm_b32 v3, v3, v4, s4
	s_and_b64 s[4:5], vcc, s[30:31]
	ds_write_b64 v20, v[2:3]
	s_waitcnt lgkmcnt(0)
	s_barrier
	s_and_saveexec_b64 s[8:9], s[4:5]
	s_cbranch_execz .LBB1162_18
; %bb.16:
	s_load_dwordx2 s[4:5], s[0:1], 0x68
	s_lshl_b32 s0, s6, 6
	s_mul_i32 s1, s7, s2
	s_mul_hi_u32 s7, s1, s0
	s_mul_i32 s6, s1, s0
	v_lshlrev_b32_e32 v0, 10, v0
	s_lshl_b64 s[6:7], s[6:7], 1
	v_and_b32_e32 v0, 0x1800, v0
	v_lshlrev_b32_e32 v2, 5, v42
	v_and_b32_e32 v1, 16, v1
	s_waitcnt lgkmcnt(0)
	s_add_u32 s1, s4, s6
	v_or3_b32 v2, v0, v2, v1
	s_addc_u32 s4, s5, s7
	s_lshl_b32 s2, s28, 6
	ds_read_b128 v[4:7], v2 offset:256
	s_lshl_b64 s[2:3], s[2:3], 1
	ds_read_b128 v[8:11], v2 offset:128
	ds_read_b128 v[12:15], v2
	s_add_u32 s2, s1, s2
	s_addc_u32 s3, s4, s3
	v_add_u32_e32 v3, s48, v42
	v_lshl_add_u64 v[0:1], s[2:3], 0, v[26:27]
	v_mad_u64_u32 v[16:17], s[2:3], v3, s0, 0
	v_lshl_add_u64 v[16:17], v[16:17], 1, v[0:1]
	s_waitcnt lgkmcnt(0)
	global_store_dwordx4 v[16:17], v[12:15], off
	v_cmp_ne_u32_e32 vcc, 3, v42
	s_nop 0
	v_add_u32_e32 v12, 4, v3
	v_mad_u64_u32 v[12:13], s[2:3], v12, s0, 0
	v_lshl_add_u64 v[12:13], v[12:13], 1, v[0:1]
	v_add_u32_e32 v3, 8, v3
	global_store_dwordx4 v[12:13], v[8:11], off
	s_nop 1
	v_mad_u64_u32 v[8:9], s[2:3], v3, s0, 0
	v_lshl_add_u64 v[8:9], v[8:9], 1, v[0:1]
	global_store_dwordx4 v[8:9], v[4:7], off
	s_and_b64 exec, exec, vcc
	s_cbranch_execz .LBB1162_18
; %bb.17:
	ds_read_b128 v[2:5], v2 offset:384
	v_add3_u32 v6, s48, v42, 12
	v_mad_u64_u32 v[6:7], s[0:1], v6, s0, 0
	v_lshl_add_u64 v[0:1], v[6:7], 1, v[0:1]
	s_waitcnt lgkmcnt(0)
	global_store_dwordx4 v[0:1], v[2:5], off
.LBB1162_18:
	s_endpgm
	.section	.rodata,"a",@progbits
	.p2align	6, 0x0
	.amdhsa_kernel _Z39paged_attention_ll4mi_QKV_mfma16_kernelI14__hip_bfloat16hLN4vllm18Fp8KVCacheDataTypeE1ES0_Li16ELi64ELi256ELb0ELi15EEvPKT_PKT0_S8_ifPKiSA_SA_iPKfiiiPfSD_PS3_PT2_iSC_SC_
		.amdhsa_group_segment_fixed_size 8192
		.amdhsa_private_segment_fixed_size 0
		.amdhsa_kernarg_size 400
		.amdhsa_user_sgpr_count 2
		.amdhsa_user_sgpr_dispatch_ptr 0
		.amdhsa_user_sgpr_queue_ptr 0
		.amdhsa_user_sgpr_kernarg_segment_ptr 1
		.amdhsa_user_sgpr_dispatch_id 0
		.amdhsa_user_sgpr_kernarg_preload_length 0
		.amdhsa_user_sgpr_kernarg_preload_offset 0
		.amdhsa_user_sgpr_private_segment_size 0
		.amdhsa_uses_dynamic_stack 0
		.amdhsa_enable_private_segment 0
		.amdhsa_system_sgpr_workgroup_id_x 1
		.amdhsa_system_sgpr_workgroup_id_y 1
		.amdhsa_system_sgpr_workgroup_id_z 1
		.amdhsa_system_sgpr_workgroup_info 0
		.amdhsa_system_vgpr_workitem_id 0
		.amdhsa_next_free_vgpr 58
		.amdhsa_next_free_sgpr 50
		.amdhsa_accum_offset 60
		.amdhsa_reserve_vcc 1
		.amdhsa_float_round_mode_32 0
		.amdhsa_float_round_mode_16_64 0
		.amdhsa_float_denorm_mode_32 3
		.amdhsa_float_denorm_mode_16_64 3
		.amdhsa_dx10_clamp 1
		.amdhsa_ieee_mode 1
		.amdhsa_fp16_overflow 0
		.amdhsa_tg_split 0
		.amdhsa_exception_fp_ieee_invalid_op 0
		.amdhsa_exception_fp_denorm_src 0
		.amdhsa_exception_fp_ieee_div_zero 0
		.amdhsa_exception_fp_ieee_overflow 0
		.amdhsa_exception_fp_ieee_underflow 0
		.amdhsa_exception_fp_ieee_inexact 0
		.amdhsa_exception_int_div_zero 0
	.end_amdhsa_kernel
	.section	.text._Z39paged_attention_ll4mi_QKV_mfma16_kernelI14__hip_bfloat16hLN4vllm18Fp8KVCacheDataTypeE1ES0_Li16ELi64ELi256ELb0ELi15EEvPKT_PKT0_S8_ifPKiSA_SA_iPKfiiiPfSD_PS3_PT2_iSC_SC_,"axG",@progbits,_Z39paged_attention_ll4mi_QKV_mfma16_kernelI14__hip_bfloat16hLN4vllm18Fp8KVCacheDataTypeE1ES0_Li16ELi64ELi256ELb0ELi15EEvPKT_PKT0_S8_ifPKiSA_SA_iPKfiiiPfSD_PS3_PT2_iSC_SC_,comdat
.Lfunc_end1162:
	.size	_Z39paged_attention_ll4mi_QKV_mfma16_kernelI14__hip_bfloat16hLN4vllm18Fp8KVCacheDataTypeE1ES0_Li16ELi64ELi256ELb0ELi15EEvPKT_PKT0_S8_ifPKiSA_SA_iPKfiiiPfSD_PS3_PT2_iSC_SC_, .Lfunc_end1162-_Z39paged_attention_ll4mi_QKV_mfma16_kernelI14__hip_bfloat16hLN4vllm18Fp8KVCacheDataTypeE1ES0_Li16ELi64ELi256ELb0ELi15EEvPKT_PKT0_S8_ifPKiSA_SA_iPKfiiiPfSD_PS3_PT2_iSC_SC_
                                        ; -- End function
	.section	.AMDGPU.csdata,"",@progbits
; Kernel info:
; codeLenInByte = 4904
; NumSgprs: 56
; NumVgprs: 58
; NumAgprs: 0
; TotalNumVgprs: 58
; ScratchSize: 0
; MemoryBound: 0
; FloatMode: 240
; IeeeMode: 1
; LDSByteSize: 8192 bytes/workgroup (compile time only)
; SGPRBlocks: 6
; VGPRBlocks: 7
; NumSGPRsForWavesPerEU: 56
; NumVGPRsForWavesPerEU: 58
; AccumOffset: 60
; Occupancy: 8
; WaveLimiterHint : 1
; COMPUTE_PGM_RSRC2:SCRATCH_EN: 0
; COMPUTE_PGM_RSRC2:USER_SGPR: 2
; COMPUTE_PGM_RSRC2:TRAP_HANDLER: 0
; COMPUTE_PGM_RSRC2:TGID_X_EN: 1
; COMPUTE_PGM_RSRC2:TGID_Y_EN: 1
; COMPUTE_PGM_RSRC2:TGID_Z_EN: 1
; COMPUTE_PGM_RSRC2:TIDIG_COMP_CNT: 0
; COMPUTE_PGM_RSRC3_GFX90A:ACCUM_OFFSET: 14
; COMPUTE_PGM_RSRC3_GFX90A:TG_SPLIT: 0
	.section	.text._Z39paged_attention_ll4mi_QKV_mfma16_kernelI14__hip_bfloat16hLN4vllm18Fp8KVCacheDataTypeE1ES0_Li16ELi64ELi256ELb0ELi16EEvPKT_PKT0_S8_ifPKiSA_SA_iPKfiiiPfSD_PS3_PT2_iSC_SC_,"axG",@progbits,_Z39paged_attention_ll4mi_QKV_mfma16_kernelI14__hip_bfloat16hLN4vllm18Fp8KVCacheDataTypeE1ES0_Li16ELi64ELi256ELb0ELi16EEvPKT_PKT0_S8_ifPKiSA_SA_iPKfiiiPfSD_PS3_PT2_iSC_SC_,comdat
	.protected	_Z39paged_attention_ll4mi_QKV_mfma16_kernelI14__hip_bfloat16hLN4vllm18Fp8KVCacheDataTypeE1ES0_Li16ELi64ELi256ELb0ELi16EEvPKT_PKT0_S8_ifPKiSA_SA_iPKfiiiPfSD_PS3_PT2_iSC_SC_ ; -- Begin function _Z39paged_attention_ll4mi_QKV_mfma16_kernelI14__hip_bfloat16hLN4vllm18Fp8KVCacheDataTypeE1ES0_Li16ELi64ELi256ELb0ELi16EEvPKT_PKT0_S8_ifPKiSA_SA_iPKfiiiPfSD_PS3_PT2_iSC_SC_
	.globl	_Z39paged_attention_ll4mi_QKV_mfma16_kernelI14__hip_bfloat16hLN4vllm18Fp8KVCacheDataTypeE1ES0_Li16ELi64ELi256ELb0ELi16EEvPKT_PKT0_S8_ifPKiSA_SA_iPKfiiiPfSD_PS3_PT2_iSC_SC_
	.p2align	8
	.type	_Z39paged_attention_ll4mi_QKV_mfma16_kernelI14__hip_bfloat16hLN4vllm18Fp8KVCacheDataTypeE1ES0_Li16ELi64ELi256ELb0ELi16EEvPKT_PKT0_S8_ifPKiSA_SA_iPKfiiiPfSD_PS3_PT2_iSC_SC_,@function
_Z39paged_attention_ll4mi_QKV_mfma16_kernelI14__hip_bfloat16hLN4vllm18Fp8KVCacheDataTypeE1ES0_Li16ELi64ELi256ELb0ELi16EEvPKT_PKT0_S8_ifPKiSA_SA_iPKfiiiPfSD_PS3_PT2_iSC_SC_: ; @_Z39paged_attention_ll4mi_QKV_mfma16_kernelI14__hip_bfloat16hLN4vllm18Fp8KVCacheDataTypeE1ES0_Li16ELi64ELi256ELb0ELi16EEvPKT_PKT0_S8_ifPKiSA_SA_iPKfiiiPfSD_PS3_PT2_iSC_SC_
; %bb.0:
	s_load_dwordx2 s[12:13], s[0:1], 0x30
	s_mov_b32 s28, s3
	s_mov_b64 s[6:7], 0
	s_waitcnt lgkmcnt(0)
	s_cmp_lg_u64 s[12:13], 0
	s_cselect_b64 s[14:15], -1, 0
	s_and_b64 vcc, exec, s[14:15]
	s_cbranch_vccz .LBB1163_7
; %bb.1:
	s_add_i32 s8, s2, 1
	s_mov_b32 s9, 0
	s_lshl_b64 s[10:11], s[8:9], 2
	s_add_u32 s10, s12, s10
	s_mov_b32 s3, s9
	s_addc_u32 s11, s13, s11
	s_lshl_b64 s[8:9], s[2:3], 2
	s_add_u32 s8, s12, s8
	s_addc_u32 s9, s13, s9
	s_load_dword s5, s[10:11], 0x0
	s_load_dword s16, s[8:9], 0x0
	s_waitcnt lgkmcnt(0)
	s_sub_i32 s5, s5, s16
	s_cmp_eq_u32 s5, 1
	s_cselect_b64 s[8:9], -1, 0
	s_andn2_b64 vcc, exec, s[6:7]
	s_cbranch_vccnz .LBB1163_3
.LBB1163_2:
	s_mov_b32 s3, 0
	s_mov_b64 s[8:9], -1
.LBB1163_3:
	s_andn2_b64 vcc, exec, s[8:9]
	s_cbranch_vccnz .LBB1163_17
; %bb.4:
	s_load_dwordx2 s[6:7], s[0:1], 0x28
	s_lshl_b64 s[16:17], s[2:3], 2
	s_waitcnt lgkmcnt(0)
	s_add_u32 s6, s6, s16
	s_addc_u32 s7, s7, s17
	s_load_dword s48, s[6:7], 0x0
	s_lshl_b32 s5, s28, 8
	s_waitcnt lgkmcnt(0)
	s_cmp_ge_i32 s5, s48
	s_cbranch_scc1 .LBB1163_17
; %bb.5:
	s_load_dwordx2 s[6:7], s[0:1], 0x20
	s_load_dword s8, s[0:1], 0x38
	s_add_i32 s9, s48, 15
	s_ashr_i32 s10, s9, 31
	v_and_b32_e32 v1, 0xcf, v0
	s_lshr_b32 s10, s10, 28
	v_add_u32_e32 v1, s5, v1
	s_add_i32 s9, s9, s10
	v_ashrrev_i32_e32 v2, 31, v1
	s_ashr_i32 s18, s9, 4
	v_lshrrev_b32_e32 v4, 28, v2
	s_add_i32 s18, s18, -1
	s_waitcnt lgkmcnt(0)
	s_mul_i32 s8, s2, s8
	s_mov_b32 s9, 0
	v_add_u32_e32 v2, v1, v4
	s_lshl_b64 s[8:9], s[8:9], 2
	v_ashrrev_i32_e32 v2, 4, v2
	v_mov_b32_e32 v5, s18
	v_cmp_gt_i32_e32 vcc, s48, v1
	s_add_u32 s6, s6, s8
	s_addc_u32 s7, s7, s9
	v_cndmask_b32_e32 v2, v5, v2, vcc
	v_ashrrev_i32_e32 v3, 31, v2
	v_lshl_add_u64 v[6:7], v[2:3], 2, s[6:7]
	v_or_b32_e32 v2, 16, v1
	v_add_u32_e32 v3, v2, v4
	v_ashrrev_i32_e32 v3, 4, v3
	v_cmp_gt_i32_e32 vcc, s48, v2
	s_load_dwordx4 s[8:11], s[0:1], 0x8
	s_nop 0
	v_cndmask_b32_e32 v2, v5, v3, vcc
	v_ashrrev_i32_e32 v3, 31, v2
	v_lshl_add_u64 v[8:9], v[2:3], 2, s[6:7]
	v_or_b32_e32 v2, 32, v1
	v_add_u32_e32 v3, v2, v4
	v_ashrrev_i32_e32 v3, 4, v3
	v_cmp_gt_i32_e32 vcc, s48, v2
	v_or_b32_e32 v1, 48, v1
	s_nop 0
	v_cndmask_b32_e32 v2, v5, v3, vcc
	v_ashrrev_i32_e32 v3, 31, v2
	v_lshl_add_u64 v[10:11], v[2:3], 2, s[6:7]
	v_add_u32_e32 v2, v1, v4
	v_ashrrev_i32_e32 v2, 4, v2
	v_cmp_gt_i32_e32 vcc, s48, v1
	s_nop 1
	v_cndmask_b32_e32 v2, v5, v2, vcc
	v_ashrrev_i32_e32 v3, 31, v2
	v_lshl_add_u64 v[12:13], v[2:3], 2, s[6:7]
	global_load_dword v4, v[6:7], off
	global_load_dword v3, v[8:9], off
	;; [unrolled: 1-line block ×4, first 2 shown]
	s_andn2_b64 vcc, exec, s[14:15]
	s_cbranch_vccnz .LBB1163_8
; %bb.6:
	s_add_u32 s12, s12, s16
	s_addc_u32 s13, s13, s17
	s_load_dword s14, s[12:13], 0x0
	s_branch .LBB1163_9
.LBB1163_7:
	s_mov_b64 s[8:9], 0
	s_branch .LBB1163_2
.LBB1163_8:
	s_mov_b32 s14, s2
.LBB1163_9:
	s_load_dwordx4 s[44:47], s[0:1], 0x48
	v_and_b32_e32 v43, 15, v0
	s_movk_i32 s12, 0x100
	v_lshlrev_b32_e32 v5, 3, v43
	v_cmp_gt_u32_e32 vcc, s12, v0
	v_cmp_gt_u32_e64 s[30:31], 8, v43
	v_lshrrev_b32_e32 v41, 6, v0
	v_and_b32_e32 v42, 63, v0
	v_bfe_u32 v1, v0, 4, 2
	s_lshl_b32 s29, s4, 4
	s_and_b64 s[16:17], vcc, s[30:31]
	v_lshlrev_b32_e32 v26, 1, v5
	v_lshlrev_b32_e32 v40, 4, v0
	s_and_saveexec_b64 s[12:13], s[16:17]
	s_cbranch_execz .LBB1163_11
; %bb.10:
	s_load_dwordx2 s[16:17], s[0:1], 0x0
	s_waitcnt lgkmcnt(0)
	s_ashr_i32 s15, s44, 31
	s_mul_hi_u32 s19, s14, s44
	s_mul_i32 s15, s14, s15
	s_add_i32 s15, s19, s15
	s_mul_i32 s14, s14, s44
	v_lshl_or_b32 v5, v41, 2, v1
	s_lshl_b64 s[14:15], s[14:15], 1
	s_add_u32 s14, s16, s14
	v_add_lshl_u32 v6, v5, s29, 6
	s_addc_u32 s15, s17, s15
	v_ashrrev_i32_e32 v7, 31, v6
	v_lshl_add_u64 v[6:7], v[6:7], 1, s[14:15]
	v_mov_b32_e32 v27, 0
	v_lshl_add_u64 v[6:7], v[6:7], 0, v[26:27]
	global_load_dwordx4 v[6:9], v[6:7], off
	v_lshlrev_b32_e32 v11, 8, v43
	v_lshlrev_b32_e32 v5, 5, v5
	v_and_b32_e32 v10, 16, v40
	v_and_b32_e32 v11, 0xe00, v11
	v_or3_b32 v5, v11, v5, v10
	s_waitcnt vmcnt(0)
	ds_write_b128 v5, v[6:9]
.LBB1163_11:
	s_or_b64 exec, exec, s[12:13]
	s_waitcnt lgkmcnt(0)
	s_mul_i32 s4, s4, s46
	s_add_u32 s8, s8, s4
	s_addc_u32 s9, s9, 0
	v_and_b32_e32 v8, 48, v0
	v_and_b32_e32 v28, 0xf0, v40
	v_mov_b32_e32 v29, 0
	v_lshl_add_u64 v[6:7], s[8:9], 0, v[28:29]
	v_lshlrev_b32_e32 v28, 4, v8
	v_lshl_add_u64 v[18:19], v[6:7], 0, v[28:29]
	s_waitcnt vmcnt(3)
	v_mad_i64_i32 v[4:5], s[8:9], v4, s45, v[18:19]
	s_load_dword s33, s[0:1], 0x98
	s_load_dwordx4 s[40:43], s[0:1], 0x80
	s_waitcnt lgkmcnt(0)
	s_barrier
	global_load_dwordx4 v[22:25], v[4:5], off
	s_waitcnt vmcnt(3)
	v_mad_i64_i32 v[4:5], s[8:9], v3, s45, v[18:19]
	global_load_dwordx4 v[14:17], v[4:5], off
	v_or_b32_e32 v21, s5, v8
	v_mov_b32_e32 v28, s18
	v_ashrrev_i32_e32 v3, 4, v21
	v_cmp_gt_i32_e32 vcc, s48, v21
	v_lshlrev_b32_e32 v44, 5, v43
	v_or_b32_e32 v30, 64, v21
	v_cndmask_b32_e32 v4, v28, v3, vcc
	v_ashrrev_i32_e32 v5, 31, v4
	v_lshl_add_u64 v[4:5], v[4:5], 2, s[6:7]
	s_waitcnt vmcnt(3)
	v_mad_i64_i32 v[2:3], s[8:9], v2, s45, v[18:19]
	global_load_dword v58, v[4:5], off
	v_lshl_or_b32 v27, v1, 9, v44
	global_load_dwordx4 v[2:5], v[2:3], off
	v_or_b32_e32 v32, 0x80, v21
	v_or_b32_e32 v33, 0xc0, v21
	v_ashrrev_i32_e32 v21, 4, v30
	v_cmp_gt_i32_e32 vcc, s48, v30
	s_waitcnt vmcnt(4)
	v_mad_i64_i32 v[18:19], s[12:13], v20, s45, v[18:19]
	ds_read_b128 v[10:13], v27
	ds_read_b128 v[6:9], v27 offset:16
	v_cndmask_b32_e32 v30, v28, v21, vcc
	global_load_dwordx4 v[18:21], v[18:19], off
	v_ashrrev_i32_e32 v34, 4, v32
	v_cmp_gt_i32_e32 vcc, s48, v32
	v_ashrrev_i32_e32 v35, 4, v33
	v_lshlrev_b32_e32 v31, 4, v43
	v_cndmask_b32_e32 v32, v28, v34, vcc
	v_cmp_gt_i32_e32 vcc, s48, v33
	v_ashrrev_i32_e32 v33, 31, v32
	s_add_u32 s8, s10, s4
	v_cndmask_b32_e32 v34, v28, v35, vcc
	v_lshl_or_b32 v28, v41, 8, v31
	v_ashrrev_i32_e32 v31, 31, v30
	v_ashrrev_i32_e32 v35, 31, v34
	v_lshl_add_u64 v[30:31], v[30:31], 2, s[6:7]
	v_lshl_add_u64 v[34:35], v[34:35], 2, s[6:7]
	s_load_dword s4, s[40:41], 0x0
	v_lshl_add_u64 v[36:37], v[32:33], 2, s[6:7]
	global_load_dword v45, v[30:31], off
	global_load_dword v32, v[36:37], off
	;; [unrolled: 1-line block ×3, first 2 shown]
	s_mov_b32 s44, 0x7060302
	s_load_dword s14, s[0:1], 0x1c
	s_mov_b32 s46, 0xff7fffff
	s_addc_u32 s9, s11, 0
	v_lshl_add_u64 v[28:29], s[8:9], 0, v[28:29]
	s_waitcnt lgkmcnt(0)
	v_mov_b32_e32 v59, s14
	s_waitcnt vmcnt(7)
	v_cvt_pk_f32_fp8_e32 v[30:31], v22
	v_cvt_pk_f32_fp8_sdwa v[34:35], v22 src0_sel:WORD_1
	v_cvt_pk_f32_fp8_e32 v[36:37], v23
	v_cvt_pk_f32_fp8_sdwa v[38:39], v23 src0_sel:WORD_1
	v_perm_b32 v30, v31, v30, s44
	v_perm_b32 v31, v35, v34, s44
	s_waitcnt vmcnt(6)
	v_cvt_pk_f32_fp8_e32 v[22:23], v14
	v_cvt_pk_f32_fp8_sdwa v[52:53], v14 src0_sel:WORD_1
	v_cvt_pk_f32_fp8_e32 v[46:47], v24
	v_cvt_pk_f32_fp8_sdwa v[48:49], v24 src0_sel:WORD_1
	;; [unrolled: 2-line block ×3, first 2 shown]
	v_perm_b32 v34, v23, v22, s44
	v_mfma_f32_16x16x16_bf16 v[22:25], v[30:31], v[10:11], 0
	v_perm_b32 v30, v37, v36, s44
	v_perm_b32 v31, v39, v38, s44
	v_cvt_pk_f32_fp8_e32 v[56:57], v15
	v_perm_b32 v35, v53, v52, s44
	v_cvt_pk_f32_fp8_sdwa v[14:15], v15 src0_sel:WORD_1
	v_mfma_f32_16x16x16_bf16 v[22:25], v[30:31], v[12:13], v[22:25]
	v_perm_b32 v52, v57, v56, s44
	v_perm_b32 v53, v15, v14, s44
	;; [unrolled: 1-line block ×4, first 2 shown]
	v_mfma_f32_16x16x16_bf16 v[34:37], v[34:35], v[10:11], 0
	v_cvt_pk_f32_fp8_e32 v[38:39], v16
	v_cvt_pk_f32_fp8_sdwa v[14:15], v16 src0_sel:WORD_1
	v_perm_b32 v46, v51, v50, s44
	v_mfma_f32_16x16x16_bf16 v[34:37], v[52:53], v[12:13], v[34:37]
	v_cvt_pk_f32_fp8_e32 v[52:53], v17
	v_perm_b32 v47, v55, v54, s44
	v_cvt_pk_f32_fp8_sdwa v[16:17], v17 src0_sel:WORD_1
	v_mfma_f32_16x16x16_bf16 v[22:25], v[30:31], v[6:7], v[22:25]
	v_perm_b32 v30, v39, v38, s44
	v_perm_b32 v31, v15, v14, s44
	;; [unrolled: 1-line block ×4, first 2 shown]
	v_mfma_f32_16x16x16_bf16 v[46:49], v[46:47], v[8:9], v[22:25]
	s_waitcnt vmcnt(4)
	v_cvt_pk_f32_fp8_e32 v[16:17], v2
	v_cvt_pk_f32_fp8_sdwa v[50:51], v4 src0_sel:WORD_1
	v_mul_f32_e32 v52, s4, v59
	v_mfma_f32_16x16x16_bf16 v[22:25], v[30:31], v[6:7], v[34:37]
	v_cvt_pk_f32_fp8_sdwa v[30:31], v2 src0_sel:WORD_1
	v_perm_b32 v16, v17, v16, s44
	v_mad_i64_i32 v[14:15], s[6:7], v58, s45, v[28:29]
	v_mfma_f32_16x16x16_bf16 v[36:39], v[38:39], v[8:9], v[22:25]
	v_perm_b32 v17, v31, v30, s44
	v_cvt_pk_f32_fp8_e32 v[34:35], v4
	s_nop 0
	v_cvt_pk_f32_fp8_e32 v[22:23], v3
	v_cvt_pk_f32_fp8_sdwa v[2:3], v3 src0_sel:WORD_1
	v_perm_b32 v30, v23, v22, s44
	v_perm_b32 v31, v3, v2, s44
	v_mfma_f32_16x16x16_bf16 v[22:25], v[16:17], v[10:11], 0
	v_perm_b32 v16, v35, v34, s44
	v_perm_b32 v17, v51, v50, s44
	v_cvt_pk_f32_fp8_e32 v[34:35], v5
	v_cvt_pk_f32_fp8_sdwa v[50:51], v5 src0_sel:WORD_1
	v_mfma_f32_16x16x16_bf16 v[2:5], v[30:31], v[12:13], v[22:25]
	s_waitcnt vmcnt(3)
	v_cvt_pk_f32_fp8_e32 v[30:31], v20
	s_nop 0
	v_perm_b32 v24, v35, v34, s44
	v_perm_b32 v25, v51, v50, s44
	v_pk_mul_f32 v[22:23], v[52:53], v[48:49] op_sel_hi:[0,1]
	v_mfma_f32_16x16x16_bf16 v[48:51], v[16:17], v[6:7], v[2:5]
	v_cvt_pk_f32_fp8_sdwa v[16:17], v18 src0_sel:WORD_1
	v_cvt_pk_f32_fp8_sdwa v[34:35], v20 src0_sel:WORD_1
	s_nop 0
	v_cvt_pk_f32_fp8_e32 v[4:5], v18
	v_pk_mul_f32 v[2:3], v[52:53], v[46:47] op_sel_hi:[0,1]
	v_mfma_f32_16x16x16_bf16 v[46:49], v[24:25], v[8:9], v[48:51]
	v_cvt_pk_f32_fp8_e32 v[24:25], v19
	v_perm_b32 v4, v5, v4, s44
	v_perm_b32 v5, v17, v16, s44
	v_cvt_pk_f32_fp8_sdwa v[16:17], v19 src0_sel:WORD_1
	v_perm_b32 v24, v25, v24, s44
	v_perm_b32 v25, v17, v16, s44
	v_mfma_f32_16x16x16_bf16 v[16:19], v[4:5], v[10:11], 0
	v_perm_b32 v4, v31, v30, s44
	v_perm_b32 v5, v35, v34, s44
	v_cvt_pk_f32_fp8_e32 v[30:31], v21
	v_cvt_pk_f32_fp8_sdwa v[20:21], v21 src0_sel:WORD_1
	v_mfma_f32_16x16x16_bf16 v[10:13], v[24:25], v[12:13], v[16:19]
	v_pk_mul_f32 v[34:35], v[52:53], v[38:39] op_sel_hi:[0,1]
	v_pk_mul_f32 v[38:39], v[52:53], v[36:37] op_sel_hi:[0,1]
	;; [unrolled: 1-line block ×3, first 2 shown]
	v_perm_b32 v16, v31, v30, s44
	v_perm_b32 v17, v21, v20, s44
	v_mfma_f32_16x16x16_bf16 v[4:7], v[4:5], v[6:7], v[10:13]
	v_pk_mul_f32 v[30:31], v[52:53], v[48:49] op_sel_hi:[0,1]
	v_mfma_f32_16x16x16_bf16 v[4:7], v[16:17], v[8:9], v[4:7]
	s_nop 6
	v_pk_mul_f32 v[24:25], v[52:53], v[4:5] op_sel_hi:[0,1]
	v_and_b32_e32 v4, 0xc0, v0
	v_add_u32_e32 v4, s5, v4
	v_lshl_or_b32 v4, v1, 2, v4
	v_pk_mul_f32 v[18:19], v[52:53], v[6:7] op_sel_hi:[0,1]
	v_or_b32_e32 v7, 1, v4
	v_mov_b32_e32 v5, 0xff7fffff
	v_cmp_gt_i32_e64 s[4:5], s48, v4
	v_cmp_gt_i32_e64 s[34:35], s48, v7
	v_or_b32_e32 v8, 3, v4
	v_cndmask_b32_e64 v6, v5, v2, s[4:5]
	v_cndmask_b32_e64 v7, v5, v3, s[34:35]
	v_max3_f32 v6, v6, s46, v7
	v_or_b32_e32 v7, 2, v4
	v_cmp_gt_i32_e64 s[36:37], s48, v7
	v_cmp_gt_i32_e64 s[38:39], s48, v8
	s_nop 0
	v_cndmask_b32_e64 v7, v5, v22, s[36:37]
	v_cndmask_b32_e64 v8, v5, v23, s[38:39]
	v_max3_f32 v6, v6, v7, v8
	v_or_b32_e32 v7, 16, v4
	v_or_b32_e32 v8, 17, v4
	v_cmp_gt_i32_e64 s[24:25], s48, v7
	v_cmp_gt_i32_e64 s[26:27], s48, v8
	s_nop 0
	v_cndmask_b32_e64 v7, v5, v38, s[24:25]
	v_cndmask_b32_e64 v8, v5, v39, s[26:27]
	v_max3_f32 v6, v6, v7, v8
	v_or_b32_e32 v7, 18, v4
	v_or_b32_e32 v8, 19, v4
	v_cmp_gt_i32_e64 s[20:21], s48, v7
	v_cmp_gt_i32_e64 s[22:23], s48, v8
	s_nop 0
	v_cndmask_b32_e64 v7, v5, v34, s[20:21]
	v_cndmask_b32_e64 v8, v5, v35, s[22:23]
	v_max3_f32 v6, v6, v7, v8
	v_or_b32_e32 v7, 32, v4
	v_or_b32_e32 v8, 33, v4
	v_cmp_gt_i32_e64 s[16:17], s48, v7
	v_cmp_gt_i32_e64 s[18:19], s48, v8
	s_nop 0
	v_cndmask_b32_e64 v7, v5, v36, s[16:17]
	v_cndmask_b32_e64 v8, v5, v37, s[18:19]
	v_max3_f32 v6, v6, v7, v8
	v_or_b32_e32 v7, 34, v4
	v_or_b32_e32 v8, 35, v4
	v_cmp_gt_i32_e64 s[12:13], s48, v7
	v_cmp_gt_i32_e64 s[14:15], s48, v8
	s_nop 0
	v_cndmask_b32_e64 v7, v5, v30, s[12:13]
	v_cndmask_b32_e64 v8, v5, v31, s[14:15]
	v_max3_f32 v6, v6, v7, v8
	v_or_b32_e32 v7, 48, v4
	v_or_b32_e32 v8, 49, v4
	v_cmp_gt_i32_e64 s[8:9], s48, v7
	v_cmp_gt_i32_e64 s[10:11], s48, v8
	s_nop 0
	v_cndmask_b32_e64 v7, v5, v24, s[8:9]
	v_cndmask_b32_e64 v8, v5, v25, s[10:11]
	v_max3_f32 v6, v6, v7, v8
	v_or_b32_e32 v7, 50, v4
	v_or_b32_e32 v4, 51, v4
	v_cmp_gt_i32_e32 vcc, s48, v7
	v_cmp_gt_i32_e64 s[6:7], s48, v4
	s_nop 0
	v_cndmask_b32_e32 v7, v5, v18, vcc
	v_cndmask_b32_e64 v4, v5, v19, s[6:7]
	v_max3_f32 v6, v6, v7, v4
	v_mbcnt_lo_u32_b32 v4, -1, 0
	v_mbcnt_hi_u32_b32 v7, -1, v4
	v_and_b32_e32 v4, 64, v7
	v_add_u32_e32 v8, 64, v4
	v_xor_b32_e32 v4, 32, v7
	v_cmp_lt_i32_e64 s[40:41], v4, v8
	s_nop 1
	v_cndmask_b32_e64 v4, v7, v4, s[40:41]
	v_lshlrev_b32_e32 v46, 2, v4
	ds_bpermute_b32 v9, v46, v6
	s_waitcnt vmcnt(2)
	v_mad_i64_i32 v[4:5], s[40:41], v45, s45, v[28:29]
	global_load_dwordx4 v[14:17], v[14:15], off
	s_nop 0
	global_load_dwordx4 v[10:13], v[4:5], off
	v_xor_b32_e32 v5, 16, v7
	v_cmp_lt_i32_e64 s[40:41], v5, v8
	s_waitcnt lgkmcnt(0)
	v_max_f32_e32 v4, v9, v9
	v_max_f32_e32 v4, v6, v4
	v_cndmask_b32_e64 v5, v7, v5, s[40:41]
	v_lshlrev_b32_e32 v47, 2, v5
	ds_bpermute_b32 v5, v47, v4
	s_waitcnt vmcnt(3)
	v_mad_i64_i32 v[20:21], s[40:41], v32, s45, v[28:29]
	s_waitcnt vmcnt(2)
	v_mad_i64_i32 v[28:29], s[40:41], v33, s45, v[28:29]
	s_waitcnt lgkmcnt(0)
	v_max_f32_e32 v5, v5, v5
	v_max_f32_e32 v45, v4, v5
	v_sub_f32_e32 v2, v2, v45
	v_mul_f32_e32 v2, 0x3fb8aa3b, v2
	v_exp_f32_e32 v32, v2
	v_sub_f32_e32 v2, v3, v45
	v_mul_f32_e32 v2, 0x3fb8aa3b, v2
	v_exp_f32_e32 v33, v2
	global_load_dwordx4 v[6:9], v[20:21], off
	global_load_dwordx4 v[2:5], v[28:29], off
	v_sub_f32_e32 v22, v22, v45
	v_mul_f32_e32 v22, 0x3fb8aa3b, v22
	v_sub_f32_e32 v23, v23, v45
	v_exp_f32_e32 v22, v22
	v_mul_f32_e32 v23, 0x3fb8aa3b, v23
	v_exp_f32_e32 v23, v23
	v_cndmask_b32_e64 v20, 0, v32, s[4:5]
	v_add_f32_e32 v28, 0, v20
	v_cndmask_b32_e64 v21, 0, v33, s[34:35]
	v_add_f32_e32 v28, v28, v21
	;; [unrolled: 2-line block ×3, first 2 shown]
	v_cndmask_b32_e64 v33, 0, v23, s[38:39]
	v_sub_f32_e32 v23, v38, v45
	v_sub_f32_e32 v28, v39, v45
	v_mul_f32_e32 v23, 0x3fb8aa3b, v23
	v_mul_f32_e32 v28, 0x3fb8aa3b, v28
	v_exp_f32_e32 v23, v23
	v_exp_f32_e32 v28, v28
	v_add_f32_e32 v29, v22, v33
	v_sub_f32_e32 v30, v30, v45
	v_cndmask_b32_e64 v22, 0, v23, s[24:25]
	v_cndmask_b32_e64 v23, 0, v28, s[26:27]
	v_sub_f32_e32 v28, v34, v45
	v_mul_f32_e32 v28, 0x3fb8aa3b, v28
	v_exp_f32_e32 v28, v28
	v_sub_f32_e32 v34, v35, v45
	v_add_f32_e32 v29, v29, v22
	v_mul_f32_e32 v34, 0x3fb8aa3b, v34
	v_exp_f32_e32 v35, v34
	v_add_f32_e32 v29, v29, v23
	v_cndmask_b32_e64 v34, 0, v28, s[20:21]
	v_add_f32_e32 v28, v29, v34
	v_sub_f32_e32 v29, v36, v45
	v_mul_f32_e32 v29, 0x3fb8aa3b, v29
	v_sub_f32_e32 v36, v37, v45
	v_exp_f32_e32 v29, v29
	v_mul_f32_e32 v36, 0x3fb8aa3b, v36
	v_exp_f32_e32 v36, v36
	v_mul_f32_e32 v30, 0x3fb8aa3b, v30
	v_sub_f32_e32 v31, v31, v45
	v_exp_f32_e32 v30, v30
	v_mul_f32_e32 v31, 0x3fb8aa3b, v31
	v_sub_f32_e32 v24, v24, v45
	v_cndmask_b32_e64 v35, 0, v35, s[22:23]
	v_exp_f32_e32 v31, v31
	v_mul_f32_e32 v24, 0x3fb8aa3b, v24
	v_sub_f32_e32 v25, v25, v45
	v_add_f32_e32 v37, v28, v35
	v_cndmask_b32_e64 v28, 0, v29, s[16:17]
	v_exp_f32_e32 v24, v24
	v_mul_f32_e32 v25, 0x3fb8aa3b, v25
	v_sub_f32_e32 v18, v18, v45
	v_add_f32_e32 v37, v37, v28
	;; [unrolled: 5-line block ×3, first 2 shown]
	v_cndmask_b32_e64 v30, 0, v30, s[12:13]
	v_exp_f32_e32 v18, v18
	v_mul_f32_e32 v19, 0x3fb8aa3b, v19
	v_add_f32_e32 v36, v36, v30
	v_cndmask_b32_e64 v31, 0, v31, s[14:15]
	v_exp_f32_e32 v19, v19
	v_add_f32_e32 v36, v36, v31
	v_cndmask_b32_e64 v24, 0, v24, s[8:9]
	v_add_f32_e32 v36, v36, v24
	v_cndmask_b32_e64 v25, 0, v25, s[10:11]
	v_add_f32_e32 v36, v36, v25
	v_cndmask_b32_e32 v18, 0, v18, vcc
	v_add_f32_e32 v36, v36, v18
	v_cndmask_b32_e64 v19, 0, v19, s[6:7]
	v_add_f32_e32 v36, v36, v19
	ds_bpermute_b32 v37, v46, v36
	v_cmp_gt_u32_e32 vcc, 16, v42
	s_waitcnt lgkmcnt(0)
	s_barrier
	v_add_f32_e32 v36, v36, v37
	ds_bpermute_b32 v38, v47, v36
	v_lshlrev_b32_e32 v37, 2, v43
	s_and_saveexec_b64 s[4:5], vcc
	s_cbranch_execz .LBB1163_13
; %bb.12:
	s_waitcnt lgkmcnt(0)
	v_add_f32_e32 v36, v36, v38
	v_lshl_or_b32 v38, v41, 6, v37
	ds_write2st64_b32 v38, v45, v36 offset1:1
.LBB1163_13:
	s_or_b64 exec, exec, s[4:5]
	s_load_dword s6, s[0:1], 0x94
	s_waitcnt lgkmcnt(0)
	s_barrier
	ds_read2_b32 v[38:39], v37 offset1:16
	ds_read2_b32 v[42:43], v37 offset0:32 offset1:48
	ds_read2_b32 v[46:47], v37 offset0:64 offset1:80
	s_movk_i32 s8, 0x7fff
	s_lshl_b32 s7, s33, 4
	s_waitcnt lgkmcnt(2)
	v_max3_f32 v36, v38, s46, v39
	s_waitcnt lgkmcnt(1)
	v_max3_f32 v36, v36, v42, v43
	v_sub_f32_e32 v38, v38, v36
	v_mul_f32_e32 v38, 0x3fb8aa3b, v38
	v_exp_f32_e32 v45, v38
	v_sub_f32_e32 v38, v39, v36
	v_mul_f32_e32 v38, 0x3fb8aa3b, v38
	v_exp_f32_e32 v48, v38
	;; [unrolled: 3-line block ×3, first 2 shown]
	ds_read2_b32 v[38:39], v37 offset0:96 offset1:112
	v_sub_f32_e32 v37, v43, v36
	v_mul_f32_e32 v37, 0x3fb8aa3b, v37
	v_exp_f32_e32 v43, v37
	s_waitcnt lgkmcnt(1)
	v_fma_f32 v37, v45, v46, 0
	v_fmac_f32_e32 v37, v48, v47
	s_waitcnt lgkmcnt(0)
	v_fmac_f32_e32 v37, v42, v38
	v_fmac_f32_e32 v37, v43, v39
	v_add_f32_e32 v38, 0x358637bd, v37
	v_div_scale_f32 v39, s[4:5], v38, v38, 1.0
	v_rcp_f32_e32 v46, v39
	s_barrier
	v_fma_f32 v47, -v39, v46, 1.0
	v_fmac_f32_e32 v46, v47, v46
	v_div_scale_f32 v47, vcc, 1.0, v38, 1.0
	v_mul_f32_e32 v49, v47, v46
	v_fma_f32 v50, -v39, v49, v47
	v_fmac_f32_e32 v49, v50, v46
	v_fma_f32 v39, -v39, v49, v47
	v_div_fmas_f32 v39, v39, v46, v49
	v_cmp_eq_u32_e32 vcc, 1, v41
	v_div_fixup_f32 v38, v39, v38, 1.0
	s_nop 0
	v_cndmask_b32_e32 v39, v45, v48, vcc
	v_cmp_eq_u32_e32 vcc, 2, v41
	s_nop 1
	v_cndmask_b32_e32 v39, v39, v42, vcc
	v_cmp_eq_u32_e32 vcc, 3, v41
	s_nop 1
	v_cndmask_b32_e32 v39, v39, v43, vcc
	v_mul_f32_e32 v38, v39, v38
	v_pk_mul_f32 v[20:21], v[38:39], v[20:21] op_sel_hi:[0,1]
	v_pk_mul_f32 v[32:33], v[38:39], v[32:33] op_sel_hi:[0,1]
	v_bfe_u32 v39, v21, 16, 1
	v_bfe_u32 v42, v20, 16, 1
	v_add3_u32 v20, v20, v42, s8
	v_add3_u32 v21, v21, v39, s8
	v_perm_b32 v42, v21, v20, s44
	v_bfe_u32 v20, v33, 16, 1
	v_bfe_u32 v21, v32, 16, 1
	v_add3_u32 v21, v32, v21, s8
	v_add3_u32 v20, v33, v20, s8
	v_perm_b32 v43, v20, v21, s44
	v_lshlrev_b32_e32 v20, 3, v1
	v_lshlrev_b32_e32 v21, 11, v41
	v_pk_mul_f32 v[22:23], v[38:39], v[22:23] op_sel_hi:[0,1]
	v_or3_b32 v20, v21, v44, v20
	v_pk_mul_f32 v[32:33], v[38:39], v[34:35] op_sel_hi:[0,1]
	v_bfe_u32 v21, v23, 16, 1
	v_bfe_u32 v34, v22, 16, 1
	v_add3_u32 v22, v22, v34, s8
	v_add3_u32 v21, v23, v21, s8
	v_perm_b32 v22, v21, v22, s44
	v_bfe_u32 v21, v33, 16, 1
	v_bfe_u32 v23, v32, 16, 1
	v_add3_u32 v23, v32, v23, s8
	v_add3_u32 v21, v33, v21, s8
	v_perm_b32 v23, v21, v23, s44
	v_pk_mul_f32 v[28:29], v[38:39], v[28:29] op_sel_hi:[0,1]
	ds_write2st64_b64 v20, v[42:43], v[22:23] offset1:1
	v_pk_mul_f32 v[22:23], v[38:39], v[30:31] op_sel_hi:[0,1]
	v_bfe_u32 v21, v29, 16, 1
	v_bfe_u32 v30, v28, 16, 1
	v_add3_u32 v28, v28, v30, s8
	v_add3_u32 v21, v29, v21, s8
	v_perm_b32 v28, v21, v28, s44
	v_bfe_u32 v21, v23, 16, 1
	v_bfe_u32 v29, v22, 16, 1
	v_add3_u32 v22, v22, v29, s8
	v_add3_u32 v21, v23, v21, s8
	v_perm_b32 v29, v21, v22, s44
	v_pk_mul_f32 v[22:23], v[38:39], v[24:25] op_sel_hi:[0,1]
	v_bfe_u32 v21, v23, 16, 1
	v_bfe_u32 v24, v22, 16, 1
	v_pk_mul_f32 v[18:19], v[38:39], v[18:19] op_sel_hi:[0,1]
	v_add3_u32 v22, v22, v24, s8
	v_add3_u32 v21, v23, v21, s8
	v_perm_b32 v22, v21, v22, s44
	v_bfe_u32 v21, v19, 16, 1
	v_bfe_u32 v23, v18, 16, 1
	v_add3_u32 v18, v18, v23, s8
	v_add3_u32 v19, v19, v21, s8
	v_perm_b32 v23, v19, v18, s44
	v_cmp_gt_u32_e32 vcc, 16, v0
	ds_write2st64_b64 v20, v[28:29], v[22:23] offset0:2 offset1:3
	s_and_saveexec_b64 s[4:5], vcc
	s_cbranch_execz .LBB1163_15
; %bb.14:
	v_or_b32_e32 v18, s29, v0
	v_mov_b32_e32 v19, 0
	v_mov_b32_e32 v21, s7
	v_mad_u64_u32 v[22:23], s[10:11], s2, v21, v[18:19]
	v_mov_b32_e32 v18, s28
	s_load_dwordx4 s[12:15], s[0:1], 0x58
	s_mul_i32 s3, s3, s7
	v_mad_u64_u32 v[18:19], s[10:11], v22, s6, v[18:19]
	v_add_u32_e32 v21, s3, v23
	v_mov_b32_e32 v22, v19
	v_mad_u64_u32 v[22:23], s[10:11], v21, s6, v[22:23]
	v_mov_b32_e32 v19, v22
	v_lshlrev_b64 v[18:19], 2, v[18:19]
	s_waitcnt lgkmcnt(0)
	v_lshl_add_u64 v[22:23], s[14:15], 0, v[18:19]
	v_lshl_add_u64 v[18:19], s[12:13], 0, v[18:19]
	global_store_dword v[22:23], v36, off
	global_store_dword v[18:19], v37, off
.LBB1163_15:
	s_or_b64 exec, exec, s[4:5]
	s_waitcnt vmcnt(3)
	v_cvt_pk_f32_fp8_e32 v[18:19], v14
	v_cvt_pk_f32_fp8_sdwa v[22:23], v14 src0_sel:WORD_1
	s_mov_b32 s4, 0x7060302
	s_waitcnt lgkmcnt(0)
	s_barrier
	v_perm_b32 v18, v19, v18, s4
	v_perm_b32 v19, v23, v22, s4
	v_cvt_pk_f32_fp8_e32 v[28:29], v15
	ds_read_b128 v[22:25], v27
	v_cvt_pk_f32_fp8_sdwa v[14:15], v15 src0_sel:WORD_1
	s_load_dword s10, s[42:43], 0x0
	v_perm_b32 v36, v29, v28, s4
	ds_read_b128 v[28:31], v27 offset:16
	v_perm_b32 v37, v15, v14, s4
	s_waitcnt lgkmcnt(0)
	v_mfma_f32_16x16x16_bf16 v[32:35], v[18:19], v[22:23], 0
	v_cvt_pk_f32_fp8_e32 v[14:15], v16
	v_cvt_pk_f32_fp8_sdwa v[18:19], v16 src0_sel:WORD_1
	v_cmp_gt_u32_e32 vcc, 64, v0
	v_mfma_f32_16x16x16_bf16 v[22:25], v[36:37], v[24:25], v[32:35]
	v_perm_b32 v14, v15, v14, s4
	v_perm_b32 v15, v19, v18, s4
	s_mov_b32 s3, 0
	v_cvt_pk_f32_fp8_e32 v[32:33], v17
	v_cvt_pk_f32_fp8_sdwa v[16:17], v17 src0_sel:WORD_1
	s_waitcnt vmcnt(2)
	v_cvt_pk_f32_fp8_sdwa v[34:35], v10 src0_sel:WORD_1
	v_perm_b32 v18, v33, v32, s4
	v_cvt_pk_f32_fp8_e32 v[32:33], v10
	v_perm_b32 v19, v17, v16, s4
	v_mfma_f32_16x16x16_bf16 v[14:17], v[14:15], v[28:29], v[22:25]
	v_cvt_pk_f32_fp8_e32 v[28:29], v11
	v_perm_b32 v32, v33, v32, s4
	v_perm_b32 v33, v35, v34, s4
	ds_read_b128 v[22:25], v27 offset:2048
	v_cvt_pk_f32_fp8_sdwa v[10:11], v11 src0_sel:WORD_1
	v_mfma_f32_16x16x16_bf16 v[14:17], v[18:19], v[30:31], v[14:17]
	v_perm_b32 v18, v29, v28, s4
	ds_read_b128 v[28:31], v27 offset:2064
	v_perm_b32 v19, v11, v10, s4
	s_waitcnt lgkmcnt(1)
	v_mfma_f32_16x16x16_bf16 v[14:17], v[32:33], v[22:23], v[14:17]
	v_cvt_pk_f32_fp8_e32 v[10:11], v12
	v_cvt_pk_f32_fp8_sdwa v[22:23], v12 src0_sel:WORD_1
	v_perm_b32 v10, v11, v10, s4
	v_mfma_f32_16x16x16_bf16 v[14:17], v[18:19], v[24:25], v[14:17]
	v_cvt_pk_f32_fp8_e32 v[18:19], v13
	v_perm_b32 v11, v23, v22, s4
	v_cvt_pk_f32_fp8_sdwa v[12:13], v13 src0_sel:WORD_1
	s_waitcnt vmcnt(1)
	v_cvt_pk_f32_fp8_e32 v[22:23], v6
	v_perm_b32 v18, v19, v18, s4
	v_cvt_pk_f32_fp8_sdwa v[24:25], v6 src0_sel:WORD_1
	v_perm_b32 v19, v13, v12, s4
	s_waitcnt lgkmcnt(0)
	v_mfma_f32_16x16x16_bf16 v[10:13], v[10:11], v[28:29], v[14:17]
	v_perm_b32 v28, v23, v22, s4
	v_perm_b32 v29, v25, v24, s4
	v_cvt_pk_f32_fp8_e32 v[22:23], v7
	ds_read_b128 v[14:17], v27 offset:4096
	v_cvt_pk_f32_fp8_sdwa v[6:7], v7 src0_sel:WORD_1
	v_mfma_f32_16x16x16_bf16 v[10:13], v[18:19], v[30:31], v[10:13]
	v_perm_b32 v18, v23, v22, s4
	ds_read_b128 v[22:25], v27 offset:4112
	v_perm_b32 v19, v7, v6, s4
	s_waitcnt lgkmcnt(1)
	v_mfma_f32_16x16x16_bf16 v[10:13], v[28:29], v[14:15], v[10:13]
	v_cvt_pk_f32_fp8_e32 v[6:7], v8
	v_cvt_pk_f32_fp8_sdwa v[14:15], v8 src0_sel:WORD_1
	v_perm_b32 v6, v7, v6, s4
	v_mfma_f32_16x16x16_bf16 v[10:13], v[18:19], v[16:17], v[10:13]
	v_cvt_pk_f32_fp8_e32 v[16:17], v9
	v_perm_b32 v7, v15, v14, s4
	v_cvt_pk_f32_fp8_sdwa v[8:9], v9 src0_sel:WORD_1
	s_waitcnt vmcnt(0)
	v_cvt_pk_f32_fp8_sdwa v[18:19], v2 src0_sel:WORD_1
	v_perm_b32 v14, v17, v16, s4
	v_cvt_pk_f32_fp8_e32 v[16:17], v2
	v_perm_b32 v15, v9, v8, s4
	s_waitcnt lgkmcnt(0)
	v_mfma_f32_16x16x16_bf16 v[6:9], v[6:7], v[22:23], v[10:13]
	v_perm_b32 v23, v19, v18, s4
	v_perm_b32 v22, v17, v16, s4
	v_cvt_pk_f32_fp8_e32 v[16:17], v3
	ds_read_b128 v[10:13], v27 offset:6144
	v_cvt_pk_f32_fp8_sdwa v[2:3], v3 src0_sel:WORD_1
	v_mfma_f32_16x16x16_bf16 v[6:9], v[14:15], v[24:25], v[6:9]
	v_perm_b32 v18, v17, v16, s4
	ds_read_b128 v[14:17], v27 offset:6160
	v_perm_b32 v19, v3, v2, s4
	s_waitcnt lgkmcnt(1)
	v_mfma_f32_16x16x16_bf16 v[6:9], v[22:23], v[10:11], v[6:9]
	v_cvt_pk_f32_fp8_e32 v[2:3], v4
	v_cvt_pk_f32_fp8_sdwa v[10:11], v4 src0_sel:WORD_1
	v_mov_b32_e32 v27, 0
	v_mfma_f32_16x16x16_bf16 v[6:9], v[18:19], v[12:13], v[6:9]
	v_perm_b32 v2, v3, v2, s4
	v_perm_b32 v3, v11, v10, s4
	v_cvt_pk_f32_fp8_e32 v[10:11], v5
	v_cvt_pk_f32_fp8_sdwa v[4:5], v5 src0_sel:WORD_1
	s_waitcnt lgkmcnt(0)
	s_barrier
	v_perm_b32 v10, v11, v10, s4
	v_perm_b32 v11, v5, v4, s4
	v_mfma_f32_16x16x16_bf16 v[2:5], v[2:3], v[14:15], v[6:9]
	s_nop 0
	v_mfma_f32_16x16x16_bf16 v[2:5], v[10:11], v[16:17], v[2:5]
	s_nop 6
	v_pk_mul_f32 v[2:3], v[2:3], s[10:11] op_sel_hi:[1,0]
	v_pk_mul_f32 v[4:5], v[4:5], s[10:11] op_sel_hi:[1,0]
	v_bfe_u32 v6, v3, 16, 1
	v_bfe_u32 v7, v2, 16, 1
	v_add3_u32 v2, v2, v7, s8
	v_add3_u32 v3, v3, v6, s8
	v_perm_b32 v2, v3, v2, s4
	v_bfe_u32 v3, v5, 16, 1
	v_bfe_u32 v6, v4, 16, 1
	v_add3_u32 v4, v4, v6, s8
	v_add3_u32 v3, v5, v3, s8
	v_perm_b32 v3, v3, v4, s4
	s_and_b64 s[4:5], vcc, s[30:31]
	ds_write_b64 v20, v[2:3]
	s_waitcnt lgkmcnt(0)
	s_barrier
	s_and_saveexec_b64 s[8:9], s[4:5]
	s_cbranch_execz .LBB1163_17
; %bb.16:
	s_load_dwordx2 s[0:1], s[0:1], 0x68
	s_lshl_b32 s6, s6, 6
	s_mul_i32 s2, s7, s2
	s_mul_hi_u32 s5, s2, s6
	s_mul_i32 s4, s2, s6
	s_lshl_b64 s[4:5], s[4:5], 1
	s_waitcnt lgkmcnt(0)
	s_add_u32 s4, s0, s4
	s_addc_u32 s5, s1, s5
	s_lshl_b32 s2, s28, 6
	v_lshlrev_b32_e32 v0, 10, v0
	s_lshl_b64 s[0:1], s[2:3], 1
	v_and_b32_e32 v0, 0x1800, v0
	v_lshlrev_b32_e32 v2, 5, v1
	v_and_b32_e32 v3, 16, v40
	s_add_u32 s0, s4, s0
	v_or3_b32 v0, v0, v2, v3
	s_addc_u32 s1, s5, s1
	v_or_b32_e32 v20, s29, v1
	ds_read_b128 v[2:5], v0
	ds_read_b128 v[6:9], v0 offset:128
	ds_read_b128 v[10:13], v0 offset:256
	;; [unrolled: 1-line block ×3, first 2 shown]
	v_lshl_add_u64 v[18:19], s[0:1], 0, v[26:27]
	v_mad_u64_u32 v[0:1], s[0:1], v20, s6, 0
	v_lshl_add_u64 v[0:1], v[0:1], 1, v[18:19]
	s_waitcnt lgkmcnt(3)
	global_store_dwordx4 v[0:1], v[2:5], off
	v_or_b32_e32 v0, 4, v20
	v_mad_u64_u32 v[0:1], s[0:1], v0, s6, 0
	v_lshl_add_u64 v[0:1], v[0:1], 1, v[18:19]
	s_waitcnt lgkmcnt(2)
	global_store_dwordx4 v[0:1], v[6:9], off
	v_or_b32_e32 v0, 8, v20
	;; [unrolled: 5-line block ×3, first 2 shown]
	v_mad_u64_u32 v[0:1], s[0:1], v0, s6, 0
	v_lshl_add_u64 v[0:1], v[0:1], 1, v[18:19]
	s_waitcnt lgkmcnt(0)
	global_store_dwordx4 v[0:1], v[14:17], off
.LBB1163_17:
	s_endpgm
	.section	.rodata,"a",@progbits
	.p2align	6, 0x0
	.amdhsa_kernel _Z39paged_attention_ll4mi_QKV_mfma16_kernelI14__hip_bfloat16hLN4vllm18Fp8KVCacheDataTypeE1ES0_Li16ELi64ELi256ELb0ELi16EEvPKT_PKT0_S8_ifPKiSA_SA_iPKfiiiPfSD_PS3_PT2_iSC_SC_
		.amdhsa_group_segment_fixed_size 8192
		.amdhsa_private_segment_fixed_size 0
		.amdhsa_kernarg_size 400
		.amdhsa_user_sgpr_count 2
		.amdhsa_user_sgpr_dispatch_ptr 0
		.amdhsa_user_sgpr_queue_ptr 0
		.amdhsa_user_sgpr_kernarg_segment_ptr 1
		.amdhsa_user_sgpr_dispatch_id 0
		.amdhsa_user_sgpr_kernarg_preload_length 0
		.amdhsa_user_sgpr_kernarg_preload_offset 0
		.amdhsa_user_sgpr_private_segment_size 0
		.amdhsa_uses_dynamic_stack 0
		.amdhsa_enable_private_segment 0
		.amdhsa_system_sgpr_workgroup_id_x 1
		.amdhsa_system_sgpr_workgroup_id_y 1
		.amdhsa_system_sgpr_workgroup_id_z 1
		.amdhsa_system_sgpr_workgroup_info 0
		.amdhsa_system_vgpr_workitem_id 0
		.amdhsa_next_free_vgpr 60
		.amdhsa_next_free_sgpr 49
		.amdhsa_accum_offset 60
		.amdhsa_reserve_vcc 1
		.amdhsa_float_round_mode_32 0
		.amdhsa_float_round_mode_16_64 0
		.amdhsa_float_denorm_mode_32 3
		.amdhsa_float_denorm_mode_16_64 3
		.amdhsa_dx10_clamp 1
		.amdhsa_ieee_mode 1
		.amdhsa_fp16_overflow 0
		.amdhsa_tg_split 0
		.amdhsa_exception_fp_ieee_invalid_op 0
		.amdhsa_exception_fp_denorm_src 0
		.amdhsa_exception_fp_ieee_div_zero 0
		.amdhsa_exception_fp_ieee_overflow 0
		.amdhsa_exception_fp_ieee_underflow 0
		.amdhsa_exception_fp_ieee_inexact 0
		.amdhsa_exception_int_div_zero 0
	.end_amdhsa_kernel
	.section	.text._Z39paged_attention_ll4mi_QKV_mfma16_kernelI14__hip_bfloat16hLN4vllm18Fp8KVCacheDataTypeE1ES0_Li16ELi64ELi256ELb0ELi16EEvPKT_PKT0_S8_ifPKiSA_SA_iPKfiiiPfSD_PS3_PT2_iSC_SC_,"axG",@progbits,_Z39paged_attention_ll4mi_QKV_mfma16_kernelI14__hip_bfloat16hLN4vllm18Fp8KVCacheDataTypeE1ES0_Li16ELi64ELi256ELb0ELi16EEvPKT_PKT0_S8_ifPKiSA_SA_iPKfiiiPfSD_PS3_PT2_iSC_SC_,comdat
.Lfunc_end1163:
	.size	_Z39paged_attention_ll4mi_QKV_mfma16_kernelI14__hip_bfloat16hLN4vllm18Fp8KVCacheDataTypeE1ES0_Li16ELi64ELi256ELb0ELi16EEvPKT_PKT0_S8_ifPKiSA_SA_iPKfiiiPfSD_PS3_PT2_iSC_SC_, .Lfunc_end1163-_Z39paged_attention_ll4mi_QKV_mfma16_kernelI14__hip_bfloat16hLN4vllm18Fp8KVCacheDataTypeE1ES0_Li16ELi64ELi256ELb0ELi16EEvPKT_PKT0_S8_ifPKiSA_SA_iPKfiiiPfSD_PS3_PT2_iSC_SC_
                                        ; -- End function
	.section	.AMDGPU.csdata,"",@progbits
; Kernel info:
; codeLenInByte = 4860
; NumSgprs: 55
; NumVgprs: 60
; NumAgprs: 0
; TotalNumVgprs: 60
; ScratchSize: 0
; MemoryBound: 0
; FloatMode: 240
; IeeeMode: 1
; LDSByteSize: 8192 bytes/workgroup (compile time only)
; SGPRBlocks: 6
; VGPRBlocks: 7
; NumSGPRsForWavesPerEU: 55
; NumVGPRsForWavesPerEU: 60
; AccumOffset: 60
; Occupancy: 8
; WaveLimiterHint : 1
; COMPUTE_PGM_RSRC2:SCRATCH_EN: 0
; COMPUTE_PGM_RSRC2:USER_SGPR: 2
; COMPUTE_PGM_RSRC2:TRAP_HANDLER: 0
; COMPUTE_PGM_RSRC2:TGID_X_EN: 1
; COMPUTE_PGM_RSRC2:TGID_Y_EN: 1
; COMPUTE_PGM_RSRC2:TGID_Z_EN: 1
; COMPUTE_PGM_RSRC2:TIDIG_COMP_CNT: 0
; COMPUTE_PGM_RSRC3_GFX90A:ACCUM_OFFSET: 14
; COMPUTE_PGM_RSRC3_GFX90A:TG_SPLIT: 0
	.section	.text._Z39paged_attention_ll4mi_QKV_mfma16_kernelI14__hip_bfloat16hLN4vllm18Fp8KVCacheDataTypeE1ES0_Li16ELi64ELi256ELb0ELi1EEvPKT_PKT0_S8_ifPKiSA_SA_iPKfiiiPfSD_PS3_PT2_iSC_SC_,"axG",@progbits,_Z39paged_attention_ll4mi_QKV_mfma16_kernelI14__hip_bfloat16hLN4vllm18Fp8KVCacheDataTypeE1ES0_Li16ELi64ELi256ELb0ELi1EEvPKT_PKT0_S8_ifPKiSA_SA_iPKfiiiPfSD_PS3_PT2_iSC_SC_,comdat
	.protected	_Z39paged_attention_ll4mi_QKV_mfma16_kernelI14__hip_bfloat16hLN4vllm18Fp8KVCacheDataTypeE1ES0_Li16ELi64ELi256ELb0ELi1EEvPKT_PKT0_S8_ifPKiSA_SA_iPKfiiiPfSD_PS3_PT2_iSC_SC_ ; -- Begin function _Z39paged_attention_ll4mi_QKV_mfma16_kernelI14__hip_bfloat16hLN4vllm18Fp8KVCacheDataTypeE1ES0_Li16ELi64ELi256ELb0ELi1EEvPKT_PKT0_S8_ifPKiSA_SA_iPKfiiiPfSD_PS3_PT2_iSC_SC_
	.globl	_Z39paged_attention_ll4mi_QKV_mfma16_kernelI14__hip_bfloat16hLN4vllm18Fp8KVCacheDataTypeE1ES0_Li16ELi64ELi256ELb0ELi1EEvPKT_PKT0_S8_ifPKiSA_SA_iPKfiiiPfSD_PS3_PT2_iSC_SC_
	.p2align	8
	.type	_Z39paged_attention_ll4mi_QKV_mfma16_kernelI14__hip_bfloat16hLN4vllm18Fp8KVCacheDataTypeE1ES0_Li16ELi64ELi256ELb0ELi1EEvPKT_PKT0_S8_ifPKiSA_SA_iPKfiiiPfSD_PS3_PT2_iSC_SC_,@function
_Z39paged_attention_ll4mi_QKV_mfma16_kernelI14__hip_bfloat16hLN4vllm18Fp8KVCacheDataTypeE1ES0_Li16ELi64ELi256ELb0ELi1EEvPKT_PKT0_S8_ifPKiSA_SA_iPKfiiiPfSD_PS3_PT2_iSC_SC_: ; @_Z39paged_attention_ll4mi_QKV_mfma16_kernelI14__hip_bfloat16hLN4vllm18Fp8KVCacheDataTypeE1ES0_Li16ELi64ELi256ELb0ELi1EEvPKT_PKT0_S8_ifPKiSA_SA_iPKfiiiPfSD_PS3_PT2_iSC_SC_
; %bb.0:
	s_load_dwordx2 s[12:13], s[0:1], 0x30
	s_mov_b32 s5, s3
	s_mov_b64 s[6:7], 0
	s_waitcnt lgkmcnt(0)
	s_cmp_lg_u64 s[12:13], 0
	s_cselect_b64 s[14:15], -1, 0
	s_and_b64 vcc, exec, s[14:15]
	s_cbranch_vccz .LBB1164_7
; %bb.1:
	s_add_i32 s8, s2, 1
	s_mov_b32 s9, 0
	s_lshl_b64 s[10:11], s[8:9], 2
	s_add_u32 s10, s12, s10
	s_mov_b32 s3, s9
	s_addc_u32 s11, s13, s11
	s_lshl_b64 s[8:9], s[2:3], 2
	s_add_u32 s8, s12, s8
	s_addc_u32 s9, s13, s9
	s_load_dword s16, s[10:11], 0x0
	s_load_dword s17, s[8:9], 0x0
	s_waitcnt lgkmcnt(0)
	s_sub_i32 s8, s16, s17
	s_cmp_eq_u32 s8, 1
	s_cselect_b64 s[8:9], -1, 0
	s_andn2_b64 vcc, exec, s[6:7]
	s_cbranch_vccnz .LBB1164_3
.LBB1164_2:
	s_mov_b32 s3, 0
	s_mov_b64 s[8:9], -1
.LBB1164_3:
	s_andn2_b64 vcc, exec, s[8:9]
	s_cbranch_vccnz .LBB1164_17
; %bb.4:
	s_load_dwordx2 s[6:7], s[0:1], 0x28
	s_lshl_b64 s[16:17], s[2:3], 2
	s_waitcnt lgkmcnt(0)
	s_add_u32 s6, s6, s16
	s_addc_u32 s7, s7, s17
	s_load_dword s48, s[6:7], 0x0
	s_lshl_b32 s18, s5, 8
	s_waitcnt lgkmcnt(0)
	s_cmp_ge_i32 s18, s48
	s_cbranch_scc1 .LBB1164_17
; %bb.5:
	s_load_dwordx2 s[6:7], s[0:1], 0x20
	s_load_dword s8, s[0:1], 0x38
	s_add_i32 s9, s48, 15
	s_ashr_i32 s10, s9, 31
	v_and_b32_e32 v1, 0xcf, v0
	s_lshr_b32 s10, s10, 28
	v_add_u32_e32 v1, s18, v1
	s_add_i32 s9, s9, s10
	v_ashrrev_i32_e32 v2, 31, v1
	s_ashr_i32 s19, s9, 4
	v_lshrrev_b32_e32 v4, 28, v2
	s_add_i32 s19, s19, -1
	s_waitcnt lgkmcnt(0)
	s_mul_i32 s8, s2, s8
	s_mov_b32 s9, 0
	v_add_u32_e32 v2, v1, v4
	s_lshl_b64 s[8:9], s[8:9], 2
	v_ashrrev_i32_e32 v2, 4, v2
	v_mov_b32_e32 v5, s19
	v_cmp_gt_i32_e32 vcc, s48, v1
	s_add_u32 s6, s6, s8
	s_addc_u32 s7, s7, s9
	v_cndmask_b32_e32 v2, v5, v2, vcc
	v_ashrrev_i32_e32 v3, 31, v2
	v_lshl_add_u64 v[6:7], v[2:3], 2, s[6:7]
	v_or_b32_e32 v2, 16, v1
	v_add_u32_e32 v3, v2, v4
	v_ashrrev_i32_e32 v3, 4, v3
	v_cmp_gt_i32_e32 vcc, s48, v2
	s_load_dwordx4 s[8:11], s[0:1], 0x8
	s_nop 0
	v_cndmask_b32_e32 v2, v5, v3, vcc
	v_ashrrev_i32_e32 v3, 31, v2
	v_lshl_add_u64 v[8:9], v[2:3], 2, s[6:7]
	v_or_b32_e32 v2, 32, v1
	v_add_u32_e32 v3, v2, v4
	v_ashrrev_i32_e32 v3, 4, v3
	v_cmp_gt_i32_e32 vcc, s48, v2
	v_or_b32_e32 v1, 48, v1
	s_nop 0
	v_cndmask_b32_e32 v2, v5, v3, vcc
	v_ashrrev_i32_e32 v3, 31, v2
	v_lshl_add_u64 v[10:11], v[2:3], 2, s[6:7]
	v_add_u32_e32 v2, v1, v4
	v_ashrrev_i32_e32 v2, 4, v2
	v_cmp_gt_i32_e32 vcc, s48, v1
	s_nop 1
	v_cndmask_b32_e32 v2, v5, v2, vcc
	v_ashrrev_i32_e32 v3, 31, v2
	v_lshl_add_u64 v[12:13], v[2:3], 2, s[6:7]
	global_load_dword v4, v[6:7], off
	global_load_dword v3, v[8:9], off
	;; [unrolled: 1-line block ×4, first 2 shown]
	s_andn2_b64 vcc, exec, s[14:15]
	s_cbranch_vccnz .LBB1164_8
; %bb.6:
	s_add_u32 s12, s12, s16
	s_addc_u32 s13, s13, s17
	s_load_dword s14, s[12:13], 0x0
	s_branch .LBB1164_9
.LBB1164_7:
	s_mov_b64 s[8:9], 0
	s_branch .LBB1164_2
.LBB1164_8:
	s_mov_b32 s14, s2
.LBB1164_9:
	s_load_dwordx4 s[44:47], s[0:1], 0x48
	v_lshrrev_b32_e32 v42, 6, v0
	v_bfe_u32 v40, v0, 4, 2
	v_lshl_or_b32 v1, v42, 2, v40
	v_and_b32_e32 v43, 15, v0
	v_lshlrev_b32_e32 v5, 3, v43
	v_cmp_eq_u32_e32 vcc, 0, v1
	v_cmp_gt_u32_e64 s[28:29], 8, v43
	v_and_b32_e32 v44, 63, v0
	s_and_b64 s[16:17], s[28:29], vcc
	v_lshlrev_b32_e32 v1, 1, v5
	v_lshlrev_b32_e32 v41, 4, v0
	s_and_saveexec_b64 s[12:13], s[16:17]
	s_cbranch_execz .LBB1164_11
; %bb.10:
	s_load_dwordx2 s[16:17], s[0:1], 0x0
	s_waitcnt lgkmcnt(0)
	s_ashr_i32 s15, s44, 31
	s_mul_hi_u32 s20, s14, s44
	s_mul_i32 s15, s14, s15
	s_add_i32 s15, s20, s15
	s_mul_i32 s14, s14, s44
	s_lshl_b64 s[14:15], s[14:15], 1
	s_add_u32 s16, s16, s14
	s_addc_u32 s17, s17, s15
	s_lshl_b32 s14, s4, 6
	s_ashr_i32 s15, s14, 31
	s_lshl_b64 s[14:15], s[14:15], 1
	s_add_u32 s14, s16, s14
	s_addc_u32 s15, s17, s15
	global_load_dwordx4 v[6:9], v1, s[14:15]
	v_lshlrev_b32_e32 v5, 8, v43
	v_and_b32_e32 v10, 16, v41
	s_movk_i32 s14, 0xe00
	v_and_or_b32 v5, v5, s14, v10
	s_waitcnt vmcnt(0)
	ds_write_b128 v5, v[6:9]
.LBB1164_11:
	s_or_b64 exec, exec, s[12:13]
	s_waitcnt lgkmcnt(0)
	s_mul_i32 s12, s4, s46
	s_add_u32 s8, s8, s12
	s_addc_u32 s9, s9, 0
	v_and_b32_e32 v8, 48, v0
	v_and_b32_e32 v26, 0xf0, v41
	v_mov_b32_e32 v27, 0
	v_lshl_add_u64 v[6:7], s[8:9], 0, v[26:27]
	v_lshlrev_b32_e32 v26, 4, v8
	v_lshl_add_u64 v[18:19], v[6:7], 0, v[26:27]
	s_waitcnt vmcnt(3)
	v_mad_i64_i32 v[4:5], s[8:9], v4, s45, v[18:19]
	s_barrier
	global_load_dwordx4 v[22:25], v[4:5], off
	s_waitcnt vmcnt(3)
	v_mad_i64_i32 v[4:5], s[8:9], v3, s45, v[18:19]
	global_load_dwordx4 v[14:17], v[4:5], off
	v_or_b32_e32 v21, s18, v8
	v_mov_b32_e32 v26, s19
	v_ashrrev_i32_e32 v3, 4, v21
	v_cmp_gt_i32_e32 vcc, s48, v21
	s_waitcnt vmcnt(3)
	v_mad_i64_i32 v[6:7], s[8:9], v2, s45, v[18:19]
	v_cndmask_b32_e32 v4, v26, v3, vcc
	v_ashrrev_i32_e32 v5, 31, v4
	v_lshl_add_u64 v[8:9], v[4:5], 2, s[6:7]
	global_load_dword v45, v[8:9], off
	global_load_dwordx4 v[2:5], v[6:7], off
	v_or_b32_e32 v29, 64, v21
	v_lshlrev_b32_e32 v6, 9, v40
	v_or_b32_e32 v31, 0x80, v21
	v_or_b32_e32 v33, 0xc0, v21
	v_ashrrev_i32_e32 v21, 4, v29
	s_add_u32 s8, s10, s12
	v_cmp_gt_i32_e32 vcc, s48, v29
	s_waitcnt vmcnt(4)
	v_mad_i64_i32 v[18:19], s[12:13], v20, s45, v[18:19]
	s_load_dword s14, s[0:1], 0x1c
	s_load_dwordx4 s[40:43], s[0:1], 0x80
	ds_read_b128 v[10:13], v6
	ds_read_b128 v[6:9], v6 offset:16
	v_cndmask_b32_e32 v30, v26, v21, vcc
	global_load_dwordx4 v[18:21], v[18:19], off
	v_ashrrev_i32_e32 v32, 4, v31
	v_cmp_gt_i32_e32 vcc, s48, v31
	v_ashrrev_i32_e32 v34, 4, v33
	v_lshlrev_b32_e32 v28, 4, v43
	v_cndmask_b32_e32 v32, v26, v32, vcc
	v_cmp_gt_i32_e32 vcc, s48, v33
	v_ashrrev_i32_e32 v31, 31, v30
	s_addc_u32 s9, s11, 0
	v_cndmask_b32_e32 v34, v26, v34, vcc
	v_ashrrev_i32_e32 v35, 31, v34
	v_lshl_or_b32 v26, v42, 8, v28
	v_ashrrev_i32_e32 v33, 31, v32
	v_lshl_add_u64 v[30:31], v[30:31], 2, s[6:7]
	v_lshl_add_u64 v[34:35], v[34:35], 2, s[6:7]
	;; [unrolled: 1-line block ×3, first 2 shown]
	s_waitcnt lgkmcnt(0)
	s_load_dword s8, s[40:41], 0x0
	v_lshl_add_u64 v[36:37], v[32:33], 2, s[6:7]
	global_load_dword v33, v[30:31], off
	global_load_dword v26, v[36:37], off
	;; [unrolled: 1-line block ×3, first 2 shown]
	s_mov_b32 s33, 0x7060302
	v_mov_b32_e32 v58, s14
	s_mov_b32 s44, 0xff7fffff
	s_waitcnt vmcnt(7)
	v_cvt_pk_f32_fp8_e32 v[30:31], v22
	v_cvt_pk_f32_fp8_sdwa v[34:35], v22 src0_sel:WORD_1
	v_cvt_pk_f32_fp8_e32 v[36:37], v23
	v_cvt_pk_f32_fp8_sdwa v[38:39], v23 src0_sel:WORD_1
	v_perm_b32 v30, v31, v30, s33
	v_perm_b32 v31, v35, v34, s33
	s_waitcnt vmcnt(6)
	v_cvt_pk_f32_fp8_e32 v[22:23], v14
	v_cvt_pk_f32_fp8_sdwa v[52:53], v14 src0_sel:WORD_1
	v_cvt_pk_f32_fp8_e32 v[46:47], v24
	v_cvt_pk_f32_fp8_sdwa v[48:49], v24 src0_sel:WORD_1
	;; [unrolled: 2-line block ×3, first 2 shown]
	v_perm_b32 v34, v23, v22, s33
	v_mfma_f32_16x16x16_bf16 v[22:25], v[30:31], v[10:11], 0
	v_perm_b32 v30, v37, v36, s33
	v_perm_b32 v31, v39, v38, s33
	v_cvt_pk_f32_fp8_e32 v[56:57], v15
	v_perm_b32 v35, v53, v52, s33
	v_cvt_pk_f32_fp8_sdwa v[14:15], v15 src0_sel:WORD_1
	v_mfma_f32_16x16x16_bf16 v[22:25], v[30:31], v[12:13], v[22:25]
	v_perm_b32 v30, v47, v46, s33
	v_perm_b32 v31, v49, v48, s33
	v_cvt_pk_f32_fp8_e32 v[38:39], v16
	v_perm_b32 v52, v57, v56, s33
	v_perm_b32 v53, v15, v14, s33
	v_cvt_pk_f32_fp8_sdwa v[14:15], v16 src0_sel:WORD_1
	v_mfma_f32_16x16x16_bf16 v[34:37], v[34:35], v[10:11], 0
	v_perm_b32 v38, v39, v38, s33
	v_cvt_pk_f32_fp8_e32 v[46:47], v17
	v_perm_b32 v39, v15, v14, s33
	v_mfma_f32_16x16x16_bf16 v[22:25], v[30:31], v[6:7], v[22:25]
	v_perm_b32 v30, v51, v50, s33
	v_perm_b32 v31, v55, v54, s33
	v_cvt_pk_f32_fp8_sdwa v[14:15], v17 src0_sel:WORD_1
	v_mfma_f32_16x16x16_bf16 v[34:37], v[52:53], v[12:13], v[34:37]
	s_waitcnt vmcnt(4)
	v_cvt_pk_f32_fp8_sdwa v[50:51], v4 src0_sel:WORD_1
	v_cvt_pk_f32_fp8_sdwa v[52:53], v5 src0_sel:WORD_1
	s_waitcnt lgkmcnt(0)
	v_mul_f32_e32 v16, s8, v58
	v_mfma_f32_16x16x16_bf16 v[34:37], v[38:39], v[6:7], v[34:37]
	v_perm_b32 v38, v47, v46, s33
	v_perm_b32 v39, v15, v14, s33
	v_mad_i64_i32 v[14:15], s[6:7], v45, s45, v[28:29]
	v_mfma_f32_16x16x16_bf16 v[46:49], v[30:31], v[8:9], v[22:25]
	v_cvt_pk_f32_fp8_e32 v[30:31], v3
	v_perm_b32 v30, v31, v30, s33
	s_nop 0
	v_cvt_pk_f32_fp8_e32 v[22:23], v2
	v_cvt_pk_f32_fp8_sdwa v[24:25], v2 src0_sel:WORD_1
	v_cvt_pk_f32_fp8_sdwa v[2:3], v3 src0_sel:WORD_1
	v_mfma_f32_16x16x16_bf16 v[36:39], v[38:39], v[8:9], v[34:37]
	v_perm_b32 v22, v23, v22, s33
	v_perm_b32 v23, v25, v24, s33
	;; [unrolled: 1-line block ×3, first 2 shown]
	v_cvt_pk_f32_fp8_e32 v[34:35], v4
	v_mfma_f32_16x16x16_bf16 v[22:25], v[22:23], v[10:11], 0
	v_perm_b32 v34, v35, v34, s33
	v_perm_b32 v35, v51, v50, s33
	v_cvt_pk_f32_fp8_e32 v[50:51], v5
	v_mfma_f32_16x16x16_bf16 v[2:5], v[30:31], v[12:13], v[22:25]
	s_waitcnt vmcnt(3)
	v_cvt_pk_f32_fp8_sdwa v[30:31], v18 src0_sel:WORD_1
	s_nop 0
	v_perm_b32 v24, v51, v50, s33
	v_perm_b32 v25, v53, v52, s33
	v_pk_mul_f32 v[22:23], v[16:17], v[48:49] op_sel_hi:[0,1]
	v_mfma_f32_16x16x16_bf16 v[48:51], v[34:35], v[6:7], v[2:5]
	v_cvt_pk_f32_fp8_sdwa v[34:35], v20 src0_sel:WORD_1
	s_nop 1
	v_cvt_pk_f32_fp8_e32 v[4:5], v18
	v_pk_mul_f32 v[2:3], v[16:17], v[46:47] op_sel_hi:[0,1]
	v_mfma_f32_16x16x16_bf16 v[46:49], v[24:25], v[8:9], v[48:51]
	v_cvt_pk_f32_fp8_e32 v[24:25], v19
	v_perm_b32 v4, v5, v4, s33
	v_perm_b32 v5, v31, v30, s33
	v_cvt_pk_f32_fp8_sdwa v[18:19], v19 src0_sel:WORD_1
	v_perm_b32 v24, v25, v24, s33
	v_cvt_pk_f32_fp8_e32 v[30:31], v20
	v_mfma_f32_16x16x16_bf16 v[50:53], v[4:5], v[10:11], 0
	v_perm_b32 v25, v19, v18, s33
	v_perm_b32 v4, v31, v30, s33
	;; [unrolled: 1-line block ×3, first 2 shown]
	v_cvt_pk_f32_fp8_e32 v[18:19], v21
	v_cvt_pk_f32_fp8_sdwa v[20:21], v21 src0_sel:WORD_1
	v_mfma_f32_16x16x16_bf16 v[10:13], v[24:25], v[12:13], v[50:53]
	v_pk_mul_f32 v[34:35], v[16:17], v[38:39] op_sel_hi:[0,1]
	v_perm_b32 v18, v19, v18, s33
	v_perm_b32 v19, v21, v20, s33
	v_mfma_f32_16x16x16_bf16 v[4:7], v[4:5], v[6:7], v[10:13]
	v_pk_mul_f32 v[38:39], v[16:17], v[36:37] op_sel_hi:[0,1]
	v_pk_mul_f32 v[36:37], v[16:17], v[46:47] op_sel_hi:[0,1]
	;; [unrolled: 1-line block ×3, first 2 shown]
	v_mfma_f32_16x16x16_bf16 v[4:7], v[18:19], v[8:9], v[4:7]
	s_nop 6
	v_pk_mul_f32 v[24:25], v[16:17], v[4:5] op_sel_hi:[0,1]
	v_and_b32_e32 v4, 0xc0, v0
	v_add_u32_e32 v4, s18, v4
	v_lshl_or_b32 v4, v40, 2, v4
	v_pk_mul_f32 v[18:19], v[16:17], v[6:7] op_sel_hi:[0,1]
	v_or_b32_e32 v7, 1, v4
	v_mov_b32_e32 v5, 0xff7fffff
	v_cmp_gt_i32_e64 s[30:31], s48, v4
	v_cmp_gt_i32_e64 s[34:35], s48, v7
	v_or_b32_e32 v8, 3, v4
	v_cndmask_b32_e64 v6, v5, v2, s[30:31]
	v_cndmask_b32_e64 v7, v5, v3, s[34:35]
	v_max3_f32 v6, v6, s44, v7
	v_or_b32_e32 v7, 2, v4
	v_cmp_gt_i32_e64 s[36:37], s48, v7
	v_cmp_gt_i32_e64 s[38:39], s48, v8
	s_nop 0
	v_cndmask_b32_e64 v7, v5, v22, s[36:37]
	v_cndmask_b32_e64 v8, v5, v23, s[38:39]
	v_max3_f32 v6, v6, v7, v8
	v_or_b32_e32 v7, 16, v4
	v_or_b32_e32 v8, 17, v4
	v_cmp_gt_i32_e64 s[24:25], s48, v7
	v_cmp_gt_i32_e64 s[26:27], s48, v8
	s_nop 0
	v_cndmask_b32_e64 v7, v5, v38, s[24:25]
	v_cndmask_b32_e64 v8, v5, v39, s[26:27]
	v_max3_f32 v6, v6, v7, v8
	v_or_b32_e32 v7, 18, v4
	;; [unrolled: 8-line block ×6, first 2 shown]
	v_or_b32_e32 v4, 51, v4
	v_cmp_gt_i32_e32 vcc, s48, v7
	v_cmp_gt_i32_e64 s[6:7], s48, v4
	s_nop 0
	v_cndmask_b32_e32 v7, v5, v18, vcc
	v_cndmask_b32_e64 v4, v5, v19, s[6:7]
	v_max3_f32 v6, v6, v7, v4
	v_mbcnt_lo_u32_b32 v4, -1, 0
	v_mbcnt_hi_u32_b32 v7, -1, v4
	v_and_b32_e32 v4, 64, v7
	v_add_u32_e32 v8, 64, v4
	v_xor_b32_e32 v4, 32, v7
	v_cmp_lt_i32_e64 s[40:41], v4, v8
	s_nop 1
	v_cndmask_b32_e64 v4, v7, v4, s[40:41]
	v_lshlrev_b32_e32 v45, 2, v4
	ds_bpermute_b32 v9, v45, v6
	s_waitcnt vmcnt(2)
	v_mad_i64_i32 v[4:5], s[40:41], v33, s45, v[28:29]
	global_load_dwordx4 v[14:17], v[14:15], off
	s_nop 0
	global_load_dwordx4 v[10:13], v[4:5], off
	v_xor_b32_e32 v5, 16, v7
	v_cmp_lt_i32_e64 s[40:41], v5, v8
	s_waitcnt lgkmcnt(0)
	v_max_f32_e32 v4, v9, v9
	v_max_f32_e32 v4, v6, v4
	v_cndmask_b32_e64 v5, v7, v5, s[40:41]
	v_lshlrev_b32_e32 v46, 2, v5
	ds_bpermute_b32 v5, v46, v4
	s_waitcnt vmcnt(3)
	v_mad_i64_i32 v[20:21], s[40:41], v26, s45, v[28:29]
	s_waitcnt vmcnt(2)
	v_mad_i64_i32 v[28:29], s[40:41], v32, s45, v[28:29]
	s_waitcnt lgkmcnt(0)
	v_max_f32_e32 v5, v5, v5
	v_max_f32_e32 v26, v4, v5
	v_sub_f32_e32 v2, v2, v26
	v_mul_f32_e32 v2, 0x3fb8aa3b, v2
	v_exp_f32_e32 v32, v2
	v_sub_f32_e32 v2, v3, v26
	v_mul_f32_e32 v2, 0x3fb8aa3b, v2
	v_exp_f32_e32 v33, v2
	global_load_dwordx4 v[6:9], v[20:21], off
	global_load_dwordx4 v[2:5], v[28:29], off
	v_sub_f32_e32 v22, v22, v26
	v_mul_f32_e32 v22, 0x3fb8aa3b, v22
	v_sub_f32_e32 v23, v23, v26
	v_exp_f32_e32 v22, v22
	v_mul_f32_e32 v23, 0x3fb8aa3b, v23
	v_exp_f32_e32 v23, v23
	v_cndmask_b32_e64 v20, 0, v32, s[30:31]
	v_add_f32_e32 v28, 0, v20
	v_cndmask_b32_e64 v21, 0, v33, s[34:35]
	v_add_f32_e32 v28, v28, v21
	v_cndmask_b32_e64 v32, 0, v22, s[36:37]
	v_add_f32_e32 v22, v28, v32
	v_cndmask_b32_e64 v33, 0, v23, s[38:39]
	v_sub_f32_e32 v23, v38, v26
	v_sub_f32_e32 v28, v39, v26
	v_mul_f32_e32 v23, 0x3fb8aa3b, v23
	v_mul_f32_e32 v28, 0x3fb8aa3b, v28
	v_exp_f32_e32 v23, v23
	v_exp_f32_e32 v28, v28
	v_add_f32_e32 v29, v22, v33
	v_sub_f32_e32 v30, v30, v26
	v_cndmask_b32_e64 v22, 0, v23, s[24:25]
	v_cndmask_b32_e64 v23, 0, v28, s[26:27]
	v_sub_f32_e32 v28, v34, v26
	v_mul_f32_e32 v28, 0x3fb8aa3b, v28
	v_exp_f32_e32 v28, v28
	v_sub_f32_e32 v34, v35, v26
	v_add_f32_e32 v29, v29, v22
	v_mul_f32_e32 v34, 0x3fb8aa3b, v34
	v_exp_f32_e32 v35, v34
	v_add_f32_e32 v29, v29, v23
	v_cndmask_b32_e64 v34, 0, v28, s[20:21]
	v_add_f32_e32 v28, v29, v34
	v_sub_f32_e32 v29, v36, v26
	v_mul_f32_e32 v29, 0x3fb8aa3b, v29
	v_sub_f32_e32 v36, v37, v26
	v_exp_f32_e32 v29, v29
	v_mul_f32_e32 v36, 0x3fb8aa3b, v36
	v_exp_f32_e32 v36, v36
	v_mul_f32_e32 v30, 0x3fb8aa3b, v30
	v_sub_f32_e32 v31, v31, v26
	v_exp_f32_e32 v30, v30
	v_mul_f32_e32 v31, 0x3fb8aa3b, v31
	v_sub_f32_e32 v24, v24, v26
	v_cndmask_b32_e64 v35, 0, v35, s[22:23]
	v_exp_f32_e32 v31, v31
	v_mul_f32_e32 v24, 0x3fb8aa3b, v24
	v_sub_f32_e32 v25, v25, v26
	v_add_f32_e32 v37, v28, v35
	v_cndmask_b32_e64 v28, 0, v29, s[16:17]
	v_exp_f32_e32 v24, v24
	v_mul_f32_e32 v25, 0x3fb8aa3b, v25
	v_sub_f32_e32 v18, v18, v26
	v_add_f32_e32 v37, v37, v28
	;; [unrolled: 5-line block ×3, first 2 shown]
	v_cndmask_b32_e64 v30, 0, v30, s[12:13]
	v_exp_f32_e32 v18, v18
	v_mul_f32_e32 v19, 0x3fb8aa3b, v19
	v_add_f32_e32 v36, v36, v30
	v_cndmask_b32_e64 v31, 0, v31, s[14:15]
	v_exp_f32_e32 v19, v19
	v_add_f32_e32 v36, v36, v31
	v_cndmask_b32_e64 v24, 0, v24, s[8:9]
	v_add_f32_e32 v36, v36, v24
	v_cndmask_b32_e64 v25, 0, v25, s[10:11]
	v_add_f32_e32 v36, v36, v25
	v_cndmask_b32_e32 v18, 0, v18, vcc
	v_add_f32_e32 v36, v36, v18
	v_cndmask_b32_e64 v19, 0, v19, s[6:7]
	v_add_f32_e32 v36, v36, v19
	ds_bpermute_b32 v37, v45, v36
	v_cmp_gt_u32_e64 s[6:7], 16, v44
	s_waitcnt lgkmcnt(0)
	s_barrier
	v_add_f32_e32 v37, v36, v37
	ds_bpermute_b32 v38, v46, v37
	v_lshlrev_b32_e32 v36, 2, v43
	s_and_saveexec_b64 s[8:9], s[6:7]
	s_cbranch_execz .LBB1164_13
; %bb.12:
	s_waitcnt lgkmcnt(0)
	v_add_f32_e32 v37, v37, v38
	v_lshl_or_b32 v38, v42, 6, v36
	ds_write2st64_b32 v38, v26, v37 offset1:1
.LBB1164_13:
	s_or_b64 exec, exec, s[8:9]
	s_load_dwordx2 s[8:9], s[0:1], 0x94
	s_waitcnt lgkmcnt(0)
	s_barrier
	ds_read2_b32 v[38:39], v36 offset1:16
	ds_read2_b32 v[44:45], v36 offset0:32 offset1:48
	ds_read2_b32 v[46:47], v36 offset0:64 offset1:80
	s_movk_i32 s12, 0x7fff
	s_waitcnt lgkmcnt(2)
	v_max3_f32 v26, v38, s44, v39
	s_waitcnt lgkmcnt(1)
	v_max3_f32 v26, v26, v44, v45
	v_sub_f32_e32 v37, v38, v26
	v_sub_f32_e32 v38, v39, v26
	v_mul_f32_e32 v38, 0x3fb8aa3b, v38
	v_mul_f32_e32 v37, 0x3fb8aa3b, v37
	v_exp_f32_e32 v48, v38
	v_sub_f32_e32 v38, v44, v26
	v_exp_f32_e32 v37, v37
	v_mul_f32_e32 v38, 0x3fb8aa3b, v38
	v_exp_f32_e32 v44, v38
	ds_read2_b32 v[38:39], v36 offset0:96 offset1:112
	v_sub_f32_e32 v36, v45, v26
	v_mul_f32_e32 v36, 0x3fb8aa3b, v36
	v_exp_f32_e32 v45, v36
	s_waitcnt lgkmcnt(1)
	v_fma_f32 v36, v37, v46, 0
	v_fmac_f32_e32 v36, v48, v47
	s_waitcnt lgkmcnt(0)
	v_fmac_f32_e32 v36, v44, v38
	v_fmac_f32_e32 v36, v45, v39
	v_add_f32_e32 v38, 0x358637bd, v36
	v_div_scale_f32 v39, s[10:11], v38, v38, 1.0
	v_rcp_f32_e32 v46, v39
	s_barrier
	v_fma_f32 v47, -v39, v46, 1.0
	v_fmac_f32_e32 v46, v47, v46
	v_div_scale_f32 v47, vcc, 1.0, v38, 1.0
	v_mul_f32_e32 v49, v47, v46
	v_fma_f32 v50, -v39, v49, v47
	v_fmac_f32_e32 v49, v50, v46
	v_fma_f32 v39, -v39, v49, v47
	v_div_fmas_f32 v39, v39, v46, v49
	v_cmp_eq_u32_e32 vcc, 1, v42
	v_div_fixup_f32 v38, v39, v38, 1.0
	s_nop 0
	v_cndmask_b32_e32 v37, v37, v48, vcc
	v_cmp_eq_u32_e32 vcc, 2, v42
	s_nop 1
	v_cndmask_b32_e32 v37, v37, v44, vcc
	v_cmp_eq_u32_e32 vcc, 3, v42
	s_nop 1
	v_cndmask_b32_e32 v37, v37, v45, vcc
	v_mul_f32_e32 v38, v37, v38
	v_pk_mul_f32 v[20:21], v[38:39], v[20:21] op_sel_hi:[0,1]
	v_pk_mul_f32 v[32:33], v[38:39], v[32:33] op_sel_hi:[0,1]
	v_bfe_u32 v37, v21, 16, 1
	v_bfe_u32 v39, v20, 16, 1
	v_add3_u32 v20, v20, v39, s12
	v_add3_u32 v21, v21, v37, s12
	v_perm_b32 v44, v21, v20, s33
	v_bfe_u32 v20, v33, 16, 1
	v_bfe_u32 v21, v32, 16, 1
	v_add3_u32 v21, v32, v21, s12
	v_add3_u32 v20, v33, v20, s12
	v_perm_b32 v45, v20, v21, s33
	v_lshlrev_b32_e32 v20, 3, v40
	v_lshlrev_b32_e32 v21, 5, v43
	;; [unrolled: 1-line block ×3, first 2 shown]
	v_pk_mul_f32 v[22:23], v[38:39], v[22:23] op_sel_hi:[0,1]
	v_or3_b32 v20, v32, v21, v20
	v_pk_mul_f32 v[32:33], v[38:39], v[34:35] op_sel_hi:[0,1]
	v_bfe_u32 v34, v23, 16, 1
	v_bfe_u32 v35, v22, 16, 1
	v_add3_u32 v22, v22, v35, s12
	v_add3_u32 v23, v23, v34, s12
	v_perm_b32 v22, v23, v22, s33
	v_bfe_u32 v23, v33, 16, 1
	v_bfe_u32 v34, v32, 16, 1
	v_add3_u32 v32, v32, v34, s12
	v_add3_u32 v23, v33, v23, s12
	v_perm_b32 v23, v23, v32, s33
	v_pk_mul_f32 v[28:29], v[38:39], v[28:29] op_sel_hi:[0,1]
	ds_write2st64_b64 v20, v[44:45], v[22:23] offset1:1
	v_pk_mul_f32 v[22:23], v[38:39], v[30:31] op_sel_hi:[0,1]
	v_bfe_u32 v30, v29, 16, 1
	v_bfe_u32 v31, v28, 16, 1
	v_add3_u32 v28, v28, v31, s12
	v_add3_u32 v29, v29, v30, s12
	v_perm_b32 v28, v29, v28, s33
	v_bfe_u32 v29, v23, 16, 1
	v_bfe_u32 v30, v22, 16, 1
	v_add3_u32 v22, v22, v30, s12
	v_add3_u32 v23, v23, v29, s12
	v_perm_b32 v29, v23, v22, s33
	v_pk_mul_f32 v[22:23], v[38:39], v[24:25] op_sel_hi:[0,1]
	v_bfe_u32 v24, v23, 16, 1
	v_bfe_u32 v25, v22, 16, 1
	v_pk_mul_f32 v[18:19], v[38:39], v[18:19] op_sel_hi:[0,1]
	v_add3_u32 v22, v22, v25, s12
	v_add3_u32 v23, v23, v24, s12
	v_perm_b32 v22, v23, v22, s33
	v_bfe_u32 v23, v19, 16, 1
	v_bfe_u32 v24, v18, 16, 1
	v_add3_u32 v18, v18, v24, s12
	v_add3_u32 v19, v19, v23, s12
	v_perm_b32 v23, v19, v18, s33
	v_cmp_eq_u32_e32 vcc, 0, v0
	ds_write2st64_b64 v20, v[28:29], v[22:23] offset0:2 offset1:3
	s_and_saveexec_b64 s[10:11], vcc
	s_cbranch_execz .LBB1164_15
; %bb.14:
	s_mul_i32 s3, s3, s9
	s_mul_hi_u32 s13, s2, s9
	s_add_i32 s13, s13, s3
	s_mul_i32 s3, s2, s9
	s_add_u32 s3, s3, s4
	s_addc_u32 s13, s13, 0
	s_load_dwordx4 s[16:19], s[0:1], 0x58
	s_mul_i32 s13, s13, s8
	s_mul_hi_u32 s14, s3, s8
	s_add_i32 s13, s14, s13
	s_mul_i32 s3, s3, s8
	s_add_u32 s14, s3, s5
	s_addc_u32 s15, s13, 0
	s_lshl_b64 s[14:15], s[14:15], 2
	s_waitcnt lgkmcnt(0)
	s_add_u32 s18, s18, s14
	s_addc_u32 s19, s19, s15
	s_add_u32 s14, s16, s14
	s_addc_u32 s15, s17, s15
	global_store_dword v27, v26, s[18:19]
	global_store_dword v27, v36, s[14:15]
.LBB1164_15:
	s_or_b64 exec, exec, s[10:11]
	s_waitcnt vmcnt(3)
	v_cvt_pk_f32_fp8_e32 v[18:19], v14
	v_cvt_pk_f32_fp8_sdwa v[22:23], v14 src0_sel:WORD_1
	v_cvt_pk_f32_fp8_e32 v[24:25], v15
	s_mov_b32 s10, 0x7060302
	v_lshl_or_b32 v14, v40, 9, v21
	s_waitcnt lgkmcnt(0)
	s_barrier
	v_perm_b32 v18, v19, v18, s10
	v_perm_b32 v19, v23, v22, s10
	v_cvt_pk_f32_fp8_sdwa v[26:27], v15 src0_sel:WORD_1
	v_perm_b32 v34, v25, v24, s10
	ds_read_b128 v[22:25], v14
	v_cvt_pk_f32_fp8_e32 v[36:37], v16
	v_perm_b32 v35, v27, v26, s10
	ds_read_b128 v[26:29], v14 offset:16
	v_cvt_pk_f32_fp8_sdwa v[38:39], v16 src0_sel:WORD_1
	s_waitcnt lgkmcnt(1)
	v_mfma_f32_16x16x16_bf16 v[30:33], v[18:19], v[22:23], 0
	v_perm_b32 v18, v37, v36, s10
	v_cvt_pk_f32_fp8_e32 v[36:37], v17
	v_perm_b32 v19, v39, v38, s10
	v_mfma_f32_16x16x16_bf16 v[22:25], v[34:35], v[24:25], v[30:33]
	s_waitcnt vmcnt(2)
	v_cvt_pk_f32_fp8_sdwa v[34:35], v12 src0_sel:WORD_1
	s_load_dword s14, s[42:43], 0x0
	v_cmp_gt_u32_e32 vcc, 64, v0
	v_cvt_pk_f32_fp8_sdwa v[30:31], v17 src0_sel:WORD_1
	v_perm_b32 v32, v37, v36, s10
	s_waitcnt lgkmcnt(0)
	v_mfma_f32_16x16x16_bf16 v[16:19], v[18:19], v[26:27], v[22:25]
	v_cvt_pk_f32_fp8_e32 v[26:27], v11
	v_perm_b32 v33, v31, v30, s10
	s_mov_b32 s3, 0
	v_cvt_pk_f32_fp8_e32 v[22:23], v10
	v_cvt_pk_f32_fp8_sdwa v[24:25], v10 src0_sel:WORD_1
	v_mfma_f32_16x16x16_bf16 v[16:19], v[32:33], v[28:29], v[16:19]
	v_perm_b32 v10, v23, v22, s10
	v_cvt_pk_f32_fp8_sdwa v[28:29], v11 src0_sel:WORD_1
	v_perm_b32 v11, v25, v24, s10
	ds_read_b128 v[22:25], v14 offset:2048
	v_perm_b32 v30, v27, v26, s10
	v_perm_b32 v31, v29, v28, s10
	ds_read_b128 v[26:29], v14 offset:2064
	v_cvt_pk_f32_fp8_e32 v[32:33], v12
	s_waitcnt lgkmcnt(1)
	v_mfma_f32_16x16x16_bf16 v[16:19], v[10:11], v[22:23], v[16:19]
	v_perm_b32 v11, v35, v34, s10
	v_cvt_pk_f32_fp8_e32 v[22:23], v13
	v_perm_b32 v10, v33, v32, s10
	v_mfma_f32_16x16x16_bf16 v[16:19], v[30:31], v[24:25], v[16:19]
	v_cvt_pk_f32_fp8_sdwa v[24:25], v13 src0_sel:WORD_1
	v_perm_b32 v22, v23, v22, s10
	s_waitcnt vmcnt(1)
	v_cvt_pk_f32_fp8_sdwa v[30:31], v8 src0_sel:WORD_1
	s_waitcnt lgkmcnt(0)
	v_mfma_f32_16x16x16_bf16 v[10:13], v[10:11], v[26:27], v[16:19]
	v_perm_b32 v23, v25, v24, s10
	v_cvt_pk_f32_fp8_sdwa v[24:25], v7 src0_sel:WORD_1
	s_nop 0
	v_cvt_pk_f32_fp8_e32 v[16:17], v6
	v_cvt_pk_f32_fp8_sdwa v[18:19], v6 src0_sel:WORD_1
	v_mfma_f32_16x16x16_bf16 v[10:13], v[22:23], v[28:29], v[10:13]
	v_cvt_pk_f32_fp8_e32 v[22:23], v7
	v_perm_b32 v6, v17, v16, s10
	v_perm_b32 v7, v19, v18, s10
	ds_read_b128 v[16:19], v14 offset:4096
	v_perm_b32 v26, v23, v22, s10
	v_perm_b32 v27, v25, v24, s10
	ds_read_b128 v[22:25], v14 offset:4112
	v_cvt_pk_f32_fp8_e32 v[28:29], v8
	s_waitcnt lgkmcnt(1)
	v_mfma_f32_16x16x16_bf16 v[10:13], v[6:7], v[16:17], v[10:13]
	v_perm_b32 v7, v31, v30, s10
	v_cvt_pk_f32_fp8_e32 v[16:17], v9
	v_perm_b32 v6, v29, v28, s10
	v_mfma_f32_16x16x16_bf16 v[10:13], v[26:27], v[18:19], v[10:13]
	v_cvt_pk_f32_fp8_sdwa v[18:19], v9 src0_sel:WORD_1
	v_perm_b32 v16, v17, v16, s10
	v_perm_b32 v17, v19, v18, s10
	s_waitcnt lgkmcnt(0)
	v_mfma_f32_16x16x16_bf16 v[6:9], v[6:7], v[22:23], v[10:13]
	s_waitcnt vmcnt(0)
	v_cvt_pk_f32_fp8_sdwa v[18:19], v3 src0_sel:WORD_1
	s_nop 0
	v_perm_b32 v23, v19, v18, s10
	v_cvt_pk_f32_fp8_e32 v[10:11], v2
	v_cvt_pk_f32_fp8_sdwa v[12:13], v2 src0_sel:WORD_1
	v_mfma_f32_16x16x16_bf16 v[6:9], v[16:17], v[24:25], v[6:9]
	v_cvt_pk_f32_fp8_e32 v[16:17], v3
	v_perm_b32 v2, v11, v10, s10
	v_perm_b32 v3, v13, v12, s10
	ds_read_b128 v[10:13], v14 offset:6144
	v_perm_b32 v22, v17, v16, s10
	v_cvt_pk_f32_fp8_e32 v[18:19], v4
	v_cvt_pk_f32_fp8_sdwa v[24:25], v4 src0_sel:WORD_1
	s_waitcnt lgkmcnt(0)
	v_mfma_f32_16x16x16_bf16 v[6:9], v[2:3], v[10:11], v[6:9]
	ds_read_b128 v[14:17], v14 offset:6160
	v_perm_b32 v2, v19, v18, s10
	v_perm_b32 v3, v25, v24, s10
	v_cvt_pk_f32_fp8_e32 v[10:11], v5
	v_mfma_f32_16x16x16_bf16 v[6:9], v[22:23], v[12:13], v[6:9]
	v_cvt_pk_f32_fp8_sdwa v[12:13], v5 src0_sel:WORD_1
	s_waitcnt lgkmcnt(0)
	v_perm_b32 v10, v11, v10, s10
	v_mfma_f32_16x16x16_bf16 v[2:5], v[2:3], v[14:15], v[6:9]
	v_perm_b32 v11, v13, v12, s10
	s_barrier
	s_nop 0
	v_mfma_f32_16x16x16_bf16 v[2:5], v[10:11], v[16:17], v[2:5]
	s_nop 6
	v_pk_mul_f32 v[2:3], v[2:3], s[14:15] op_sel_hi:[1,0]
	v_pk_mul_f32 v[4:5], v[4:5], s[14:15] op_sel_hi:[1,0]
	v_bfe_u32 v6, v3, 16, 1
	v_bfe_u32 v7, v2, 16, 1
	v_add3_u32 v2, v2, v7, s12
	v_add3_u32 v3, v3, v6, s12
	v_perm_b32 v2, v3, v2, s10
	v_bfe_u32 v3, v5, 16, 1
	v_bfe_u32 v6, v4, 16, 1
	v_add3_u32 v4, v4, v6, s12
	v_add3_u32 v3, v5, v3, s12
	v_perm_b32 v3, v3, v4, s10
	s_and_b64 s[10:11], s[28:29], vcc
	s_and_b64 s[6:7], s[10:11], s[6:7]
	ds_write_b64 v20, v[2:3]
	s_waitcnt lgkmcnt(0)
	s_barrier
	s_and_saveexec_b64 s[10:11], s[6:7]
	s_cbranch_execz .LBB1164_17
; %bb.16:
	s_load_dwordx2 s[0:1], s[0:1], 0x68
	s_mul_i32 s2, s9, s2
	s_lshl_b32 s8, s8, 6
	s_mul_hi_u32 s7, s2, s8
	s_mul_i32 s6, s2, s8
	s_lshl_b64 s[6:7], s[6:7], 1
	v_lshlrev_b32_e32 v0, 10, v0
	s_waitcnt lgkmcnt(0)
	s_add_u32 s6, s0, s6
	v_and_b32_e32 v0, 0x1800, v0
	v_lshlrev_b32_e32 v2, 5, v40
	v_and_b32_e32 v3, 16, v41
	s_addc_u32 s7, s1, s7
	s_lshl_b32 s2, s5, 6
	v_or3_b32 v0, v0, v2, v3
	s_lshl_b64 s[0:1], s[2:3], 1
	ds_read_b128 v[2:5], v0
	s_add_u32 s2, s6, s0
	s_addc_u32 s3, s7, s1
	s_mul_hi_u32 s1, s8, s4
	s_mul_i32 s0, s8, s4
	s_lshl_b64 s[0:1], s[0:1], 1
	s_add_u32 s0, s2, s0
	s_addc_u32 s1, s3, s1
	s_waitcnt lgkmcnt(0)
	global_store_dwordx4 v1, v[2:5], s[0:1]
.LBB1164_17:
	s_endpgm
	.section	.rodata,"a",@progbits
	.p2align	6, 0x0
	.amdhsa_kernel _Z39paged_attention_ll4mi_QKV_mfma16_kernelI14__hip_bfloat16hLN4vllm18Fp8KVCacheDataTypeE1ES0_Li16ELi64ELi256ELb0ELi1EEvPKT_PKT0_S8_ifPKiSA_SA_iPKfiiiPfSD_PS3_PT2_iSC_SC_
		.amdhsa_group_segment_fixed_size 8192
		.amdhsa_private_segment_fixed_size 0
		.amdhsa_kernarg_size 400
		.amdhsa_user_sgpr_count 2
		.amdhsa_user_sgpr_dispatch_ptr 0
		.amdhsa_user_sgpr_queue_ptr 0
		.amdhsa_user_sgpr_kernarg_segment_ptr 1
		.amdhsa_user_sgpr_dispatch_id 0
		.amdhsa_user_sgpr_kernarg_preload_length 0
		.amdhsa_user_sgpr_kernarg_preload_offset 0
		.amdhsa_user_sgpr_private_segment_size 0
		.amdhsa_uses_dynamic_stack 0
		.amdhsa_enable_private_segment 0
		.amdhsa_system_sgpr_workgroup_id_x 1
		.amdhsa_system_sgpr_workgroup_id_y 1
		.amdhsa_system_sgpr_workgroup_id_z 1
		.amdhsa_system_sgpr_workgroup_info 0
		.amdhsa_system_vgpr_workitem_id 0
		.amdhsa_next_free_vgpr 59
		.amdhsa_next_free_sgpr 49
		.amdhsa_accum_offset 60
		.amdhsa_reserve_vcc 1
		.amdhsa_float_round_mode_32 0
		.amdhsa_float_round_mode_16_64 0
		.amdhsa_float_denorm_mode_32 3
		.amdhsa_float_denorm_mode_16_64 3
		.amdhsa_dx10_clamp 1
		.amdhsa_ieee_mode 1
		.amdhsa_fp16_overflow 0
		.amdhsa_tg_split 0
		.amdhsa_exception_fp_ieee_invalid_op 0
		.amdhsa_exception_fp_denorm_src 0
		.amdhsa_exception_fp_ieee_div_zero 0
		.amdhsa_exception_fp_ieee_overflow 0
		.amdhsa_exception_fp_ieee_underflow 0
		.amdhsa_exception_fp_ieee_inexact 0
		.amdhsa_exception_int_div_zero 0
	.end_amdhsa_kernel
	.section	.text._Z39paged_attention_ll4mi_QKV_mfma16_kernelI14__hip_bfloat16hLN4vllm18Fp8KVCacheDataTypeE1ES0_Li16ELi64ELi256ELb0ELi1EEvPKT_PKT0_S8_ifPKiSA_SA_iPKfiiiPfSD_PS3_PT2_iSC_SC_,"axG",@progbits,_Z39paged_attention_ll4mi_QKV_mfma16_kernelI14__hip_bfloat16hLN4vllm18Fp8KVCacheDataTypeE1ES0_Li16ELi64ELi256ELb0ELi1EEvPKT_PKT0_S8_ifPKiSA_SA_iPKfiiiPfSD_PS3_PT2_iSC_SC_,comdat
.Lfunc_end1164:
	.size	_Z39paged_attention_ll4mi_QKV_mfma16_kernelI14__hip_bfloat16hLN4vllm18Fp8KVCacheDataTypeE1ES0_Li16ELi64ELi256ELb0ELi1EEvPKT_PKT0_S8_ifPKiSA_SA_iPKfiiiPfSD_PS3_PT2_iSC_SC_, .Lfunc_end1164-_Z39paged_attention_ll4mi_QKV_mfma16_kernelI14__hip_bfloat16hLN4vllm18Fp8KVCacheDataTypeE1ES0_Li16ELi64ELi256ELb0ELi1EEvPKT_PKT0_S8_ifPKiSA_SA_iPKfiiiPfSD_PS3_PT2_iSC_SC_
                                        ; -- End function
	.section	.AMDGPU.csdata,"",@progbits
; Kernel info:
; codeLenInByte = 4700
; NumSgprs: 55
; NumVgprs: 59
; NumAgprs: 0
; TotalNumVgprs: 59
; ScratchSize: 0
; MemoryBound: 0
; FloatMode: 240
; IeeeMode: 1
; LDSByteSize: 8192 bytes/workgroup (compile time only)
; SGPRBlocks: 6
; VGPRBlocks: 7
; NumSGPRsForWavesPerEU: 55
; NumVGPRsForWavesPerEU: 59
; AccumOffset: 60
; Occupancy: 8
; WaveLimiterHint : 1
; COMPUTE_PGM_RSRC2:SCRATCH_EN: 0
; COMPUTE_PGM_RSRC2:USER_SGPR: 2
; COMPUTE_PGM_RSRC2:TRAP_HANDLER: 0
; COMPUTE_PGM_RSRC2:TGID_X_EN: 1
; COMPUTE_PGM_RSRC2:TGID_Y_EN: 1
; COMPUTE_PGM_RSRC2:TGID_Z_EN: 1
; COMPUTE_PGM_RSRC2:TIDIG_COMP_CNT: 0
; COMPUTE_PGM_RSRC3_GFX90A:ACCUM_OFFSET: 14
; COMPUTE_PGM_RSRC3_GFX90A:TG_SPLIT: 0
	.section	.text._Z39paged_attention_ll4mi_QKV_mfma16_kernelI14__hip_bfloat16hLN4vllm18Fp8KVCacheDataTypeE1ES0_Li16ELi64ELi256ELb0ELi2EEvPKT_PKT0_S8_ifPKiSA_SA_iPKfiiiPfSD_PS3_PT2_iSC_SC_,"axG",@progbits,_Z39paged_attention_ll4mi_QKV_mfma16_kernelI14__hip_bfloat16hLN4vllm18Fp8KVCacheDataTypeE1ES0_Li16ELi64ELi256ELb0ELi2EEvPKT_PKT0_S8_ifPKiSA_SA_iPKfiiiPfSD_PS3_PT2_iSC_SC_,comdat
	.protected	_Z39paged_attention_ll4mi_QKV_mfma16_kernelI14__hip_bfloat16hLN4vllm18Fp8KVCacheDataTypeE1ES0_Li16ELi64ELi256ELb0ELi2EEvPKT_PKT0_S8_ifPKiSA_SA_iPKfiiiPfSD_PS3_PT2_iSC_SC_ ; -- Begin function _Z39paged_attention_ll4mi_QKV_mfma16_kernelI14__hip_bfloat16hLN4vllm18Fp8KVCacheDataTypeE1ES0_Li16ELi64ELi256ELb0ELi2EEvPKT_PKT0_S8_ifPKiSA_SA_iPKfiiiPfSD_PS3_PT2_iSC_SC_
	.globl	_Z39paged_attention_ll4mi_QKV_mfma16_kernelI14__hip_bfloat16hLN4vllm18Fp8KVCacheDataTypeE1ES0_Li16ELi64ELi256ELb0ELi2EEvPKT_PKT0_S8_ifPKiSA_SA_iPKfiiiPfSD_PS3_PT2_iSC_SC_
	.p2align	8
	.type	_Z39paged_attention_ll4mi_QKV_mfma16_kernelI14__hip_bfloat16hLN4vllm18Fp8KVCacheDataTypeE1ES0_Li16ELi64ELi256ELb0ELi2EEvPKT_PKT0_S8_ifPKiSA_SA_iPKfiiiPfSD_PS3_PT2_iSC_SC_,@function
_Z39paged_attention_ll4mi_QKV_mfma16_kernelI14__hip_bfloat16hLN4vllm18Fp8KVCacheDataTypeE1ES0_Li16ELi64ELi256ELb0ELi2EEvPKT_PKT0_S8_ifPKiSA_SA_iPKfiiiPfSD_PS3_PT2_iSC_SC_: ; @_Z39paged_attention_ll4mi_QKV_mfma16_kernelI14__hip_bfloat16hLN4vllm18Fp8KVCacheDataTypeE1ES0_Li16ELi64ELi256ELb0ELi2EEvPKT_PKT0_S8_ifPKiSA_SA_iPKfiiiPfSD_PS3_PT2_iSC_SC_
; %bb.0:
	s_load_dwordx2 s[12:13], s[0:1], 0x30
	s_mov_b32 s28, s3
	s_mov_b64 s[6:7], 0
	s_waitcnt lgkmcnt(0)
	s_cmp_lg_u64 s[12:13], 0
	s_cselect_b64 s[14:15], -1, 0
	s_and_b64 vcc, exec, s[14:15]
	s_cbranch_vccz .LBB1165_7
; %bb.1:
	s_add_i32 s8, s2, 1
	s_mov_b32 s9, 0
	s_lshl_b64 s[10:11], s[8:9], 2
	s_add_u32 s10, s12, s10
	s_mov_b32 s3, s9
	s_addc_u32 s11, s13, s11
	s_lshl_b64 s[8:9], s[2:3], 2
	s_add_u32 s8, s12, s8
	s_addc_u32 s9, s13, s9
	s_load_dword s5, s[10:11], 0x0
	s_load_dword s16, s[8:9], 0x0
	s_waitcnt lgkmcnt(0)
	s_sub_i32 s5, s5, s16
	s_cmp_eq_u32 s5, 1
	s_cselect_b64 s[8:9], -1, 0
	s_andn2_b64 vcc, exec, s[6:7]
	s_cbranch_vccnz .LBB1165_3
.LBB1165_2:
	s_mov_b32 s3, 0
	s_mov_b64 s[8:9], -1
.LBB1165_3:
	s_andn2_b64 vcc, exec, s[8:9]
	s_cbranch_vccnz .LBB1165_17
; %bb.4:
	s_load_dwordx2 s[6:7], s[0:1], 0x28
	s_lshl_b64 s[16:17], s[2:3], 2
	s_waitcnt lgkmcnt(0)
	s_add_u32 s6, s6, s16
	s_addc_u32 s7, s7, s17
	s_load_dword s48, s[6:7], 0x0
	s_lshl_b32 s5, s28, 8
	s_waitcnt lgkmcnt(0)
	s_cmp_ge_i32 s5, s48
	s_cbranch_scc1 .LBB1165_17
; %bb.5:
	s_load_dwordx2 s[6:7], s[0:1], 0x20
	s_load_dword s8, s[0:1], 0x38
	s_add_i32 s9, s48, 15
	s_ashr_i32 s10, s9, 31
	v_and_b32_e32 v1, 0xcf, v0
	s_lshr_b32 s10, s10, 28
	v_add_u32_e32 v1, s5, v1
	s_add_i32 s9, s9, s10
	v_ashrrev_i32_e32 v2, 31, v1
	s_ashr_i32 s18, s9, 4
	v_lshrrev_b32_e32 v4, 28, v2
	s_add_i32 s18, s18, -1
	s_waitcnt lgkmcnt(0)
	s_mul_i32 s8, s2, s8
	s_mov_b32 s9, 0
	v_add_u32_e32 v2, v1, v4
	s_lshl_b64 s[8:9], s[8:9], 2
	v_ashrrev_i32_e32 v2, 4, v2
	v_mov_b32_e32 v5, s18
	v_cmp_gt_i32_e32 vcc, s48, v1
	s_add_u32 s6, s6, s8
	s_addc_u32 s7, s7, s9
	v_cndmask_b32_e32 v2, v5, v2, vcc
	v_ashrrev_i32_e32 v3, 31, v2
	v_lshl_add_u64 v[6:7], v[2:3], 2, s[6:7]
	v_or_b32_e32 v2, 16, v1
	v_add_u32_e32 v3, v2, v4
	v_ashrrev_i32_e32 v3, 4, v3
	v_cmp_gt_i32_e32 vcc, s48, v2
	s_load_dwordx4 s[8:11], s[0:1], 0x8
	s_nop 0
	v_cndmask_b32_e32 v2, v5, v3, vcc
	v_ashrrev_i32_e32 v3, 31, v2
	v_lshl_add_u64 v[8:9], v[2:3], 2, s[6:7]
	v_or_b32_e32 v2, 32, v1
	v_add_u32_e32 v3, v2, v4
	v_ashrrev_i32_e32 v3, 4, v3
	v_cmp_gt_i32_e32 vcc, s48, v2
	v_or_b32_e32 v1, 48, v1
	s_nop 0
	v_cndmask_b32_e32 v2, v5, v3, vcc
	v_ashrrev_i32_e32 v3, 31, v2
	v_lshl_add_u64 v[10:11], v[2:3], 2, s[6:7]
	v_add_u32_e32 v2, v1, v4
	v_ashrrev_i32_e32 v2, 4, v2
	v_cmp_gt_i32_e32 vcc, s48, v1
	s_nop 1
	v_cndmask_b32_e32 v2, v5, v2, vcc
	v_ashrrev_i32_e32 v3, 31, v2
	v_lshl_add_u64 v[12:13], v[2:3], 2, s[6:7]
	global_load_dword v4, v[6:7], off
	global_load_dword v3, v[8:9], off
	;; [unrolled: 1-line block ×4, first 2 shown]
	s_andn2_b64 vcc, exec, s[14:15]
	s_cbranch_vccnz .LBB1165_8
; %bb.6:
	s_add_u32 s12, s12, s16
	s_addc_u32 s13, s13, s17
	s_load_dword s14, s[12:13], 0x0
	s_branch .LBB1165_9
.LBB1165_7:
	s_mov_b64 s[8:9], 0
	s_branch .LBB1165_2
.LBB1165_8:
	s_mov_b32 s14, s2
.LBB1165_9:
	s_load_dwordx4 s[44:47], s[0:1], 0x48
	v_lshrrev_b32_e32 v42, 6, v0
	v_bfe_u32 v1, v0, 4, 2
	v_lshl_or_b32 v5, v42, 2, v1
	v_and_b32_e32 v43, 15, v0
	v_lshlrev_b32_e32 v6, 3, v43
	v_cmp_gt_u32_e32 vcc, 2, v5
	v_cmp_gt_u32_e64 s[30:31], 8, v43
	v_and_b32_e32 v41, 63, v0
	s_lshl_b32 s29, s4, 1
	s_and_b64 s[16:17], s[30:31], vcc
	v_lshlrev_b32_e32 v26, 1, v6
	v_lshlrev_b32_e32 v40, 4, v0
	s_and_saveexec_b64 s[12:13], s[16:17]
	s_cbranch_execz .LBB1165_11
; %bb.10:
	s_load_dwordx2 s[16:17], s[0:1], 0x0
	s_waitcnt lgkmcnt(0)
	s_ashr_i32 s15, s44, 31
	s_mul_hi_u32 s19, s14, s44
	s_mul_i32 s15, s14, s15
	s_add_i32 s15, s19, s15
	s_mul_i32 s14, s14, s44
	s_lshl_b64 s[14:15], s[14:15], 1
	s_add_u32 s14, s16, s14
	v_add_lshl_u32 v6, v1, s29, 6
	s_addc_u32 s15, s17, s15
	v_ashrrev_i32_e32 v7, 31, v6
	v_lshl_add_u64 v[6:7], v[6:7], 1, s[14:15]
	v_mov_b32_e32 v27, 0
	v_lshl_add_u64 v[6:7], v[6:7], 0, v[26:27]
	global_load_dwordx4 v[6:9], v[6:7], off
	v_lshlrev_b32_e32 v11, 8, v43
	v_lshlrev_b32_e32 v5, 5, v5
	v_and_b32_e32 v10, 16, v40
	v_and_b32_e32 v11, 0xe00, v11
	v_or3_b32 v5, v11, v5, v10
	s_waitcnt vmcnt(0)
	ds_write_b128 v5, v[6:9]
.LBB1165_11:
	s_or_b64 exec, exec, s[12:13]
	s_waitcnt lgkmcnt(0)
	s_mul_i32 s4, s4, s46
	s_add_u32 s8, s8, s4
	s_addc_u32 s9, s9, 0
	v_and_b32_e32 v8, 48, v0
	v_and_b32_e32 v28, 0xf0, v40
	v_mov_b32_e32 v29, 0
	v_lshl_add_u64 v[6:7], s[8:9], 0, v[28:29]
	v_lshlrev_b32_e32 v28, 4, v8
	v_lshl_add_u64 v[18:19], v[6:7], 0, v[28:29]
	s_waitcnt vmcnt(3)
	v_mad_i64_i32 v[4:5], s[8:9], v4, s45, v[18:19]
	s_load_dword s33, s[0:1], 0x98
	s_load_dwordx4 s[40:43], s[0:1], 0x80
	s_waitcnt lgkmcnt(0)
	s_barrier
	global_load_dwordx4 v[22:25], v[4:5], off
	s_waitcnt vmcnt(3)
	v_mad_i64_i32 v[4:5], s[8:9], v3, s45, v[18:19]
	global_load_dwordx4 v[10:13], v[4:5], off
	v_or_b32_e32 v6, s5, v8
	v_mov_b32_e32 v27, s18
	v_ashrrev_i32_e32 v3, 4, v6
	v_cmp_gt_i32_e32 vcc, s48, v6
	v_and_b32_e32 v7, 1, v0
	v_lshlrev_b32_e32 v7, 5, v7
	v_cndmask_b32_e32 v4, v27, v3, vcc
	v_ashrrev_i32_e32 v5, 31, v4
	v_lshl_add_u64 v[4:5], v[4:5], 2, s[6:7]
	s_waitcnt vmcnt(3)
	v_mad_i64_i32 v[2:3], s[8:9], v2, s45, v[18:19]
	global_load_dword v56, v[4:5], off
	v_lshl_or_b32 v7, v1, 9, v7
	global_load_dwordx4 v[2:5], v[2:3], off
	v_or_b32_e32 v21, 64, v6
	s_waitcnt vmcnt(4)
	v_mad_i64_i32 v[18:19], s[12:13], v20, s45, v[18:19]
	v_or_b32_e32 v31, 0x80, v6
	v_or_b32_e32 v33, 0xc0, v6
	ds_read_b128 v[14:17], v7
	ds_read_b128 v[6:9], v7 offset:16
	v_ashrrev_i32_e32 v30, 4, v21
	v_cmp_gt_i32_e32 vcc, s48, v21
	global_load_dwordx4 v[18:21], v[18:19], off
	v_ashrrev_i32_e32 v32, 4, v31
	v_cndmask_b32_e32 v30, v27, v30, vcc
	v_cmp_gt_i32_e32 vcc, s48, v31
	v_ashrrev_i32_e32 v34, 4, v33
	v_ashrrev_i32_e32 v31, 31, v30
	v_cndmask_b32_e32 v32, v27, v32, vcc
	v_cmp_gt_i32_e32 vcc, s48, v33
	v_ashrrev_i32_e32 v33, 31, v32
	v_lshl_add_u64 v[30:31], v[30:31], 2, s[6:7]
	v_cndmask_b32_e32 v34, v27, v34, vcc
	v_ashrrev_i32_e32 v35, 31, v34
	v_lshl_add_u64 v[34:35], v[34:35], 2, s[6:7]
	s_add_u32 s8, s10, s4
	s_load_dword s4, s[40:41], 0x0
	v_lshl_add_u64 v[36:37], v[32:33], 2, s[6:7]
	global_load_dword v33, v[30:31], off
	global_load_dword v27, v[36:37], off
	;; [unrolled: 1-line block ×3, first 2 shown]
	s_mov_b32 s44, 0x7060302
	s_load_dword s14, s[0:1], 0x1c
	s_mov_b32 s46, 0xff7fffff
	v_lshlrev_b32_e32 v28, 4, v43
	s_addc_u32 s9, s11, 0
	v_lshl_or_b32 v28, v42, 8, v28
	s_waitcnt lgkmcnt(0)
	v_mov_b32_e32 v57, s14
	v_lshl_add_u64 v[28:29], s[8:9], 0, v[28:29]
	s_waitcnt vmcnt(7)
	v_cvt_pk_f32_fp8_e32 v[30:31], v22
	v_cvt_pk_f32_fp8_sdwa v[34:35], v22 src0_sel:WORD_1
	v_cvt_pk_f32_fp8_e32 v[36:37], v23
	v_cvt_pk_f32_fp8_sdwa v[38:39], v23 src0_sel:WORD_1
	v_perm_b32 v30, v31, v30, s44
	v_perm_b32 v31, v35, v34, s44
	s_waitcnt vmcnt(6)
	v_cvt_pk_f32_fp8_e32 v[22:23], v10
	v_cvt_pk_f32_fp8_sdwa v[50:51], v10 src0_sel:WORD_1
	v_cvt_pk_f32_fp8_e32 v[44:45], v24
	v_cvt_pk_f32_fp8_sdwa v[46:47], v24 src0_sel:WORD_1
	;; [unrolled: 2-line block ×3, first 2 shown]
	v_perm_b32 v34, v23, v22, s44
	v_mfma_f32_16x16x16_bf16 v[22:25], v[30:31], v[14:15], 0
	v_perm_b32 v30, v37, v36, s44
	v_perm_b32 v31, v39, v38, s44
	v_cvt_pk_f32_fp8_e32 v[54:55], v11
	v_perm_b32 v35, v51, v50, s44
	v_cvt_pk_f32_fp8_sdwa v[10:11], v11 src0_sel:WORD_1
	v_mfma_f32_16x16x16_bf16 v[22:25], v[30:31], v[16:17], v[22:25]
	v_perm_b32 v50, v55, v54, s44
	v_perm_b32 v51, v11, v10, s44
	;; [unrolled: 1-line block ×4, first 2 shown]
	v_mfma_f32_16x16x16_bf16 v[34:37], v[34:35], v[14:15], 0
	v_cvt_pk_f32_fp8_e32 v[38:39], v12
	v_cvt_pk_f32_fp8_sdwa v[10:11], v12 src0_sel:WORD_1
	v_perm_b32 v44, v49, v48, s44
	v_mfma_f32_16x16x16_bf16 v[34:37], v[50:51], v[16:17], v[34:37]
	v_cvt_pk_f32_fp8_e32 v[50:51], v13
	v_perm_b32 v45, v53, v52, s44
	v_cvt_pk_f32_fp8_sdwa v[12:13], v13 src0_sel:WORD_1
	v_mfma_f32_16x16x16_bf16 v[22:25], v[30:31], v[6:7], v[22:25]
	v_perm_b32 v30, v39, v38, s44
	v_perm_b32 v31, v11, v10, s44
	;; [unrolled: 1-line block ×4, first 2 shown]
	v_mfma_f32_16x16x16_bf16 v[44:47], v[44:45], v[8:9], v[22:25]
	s_waitcnt vmcnt(4)
	v_cvt_pk_f32_fp8_e32 v[12:13], v2
	v_cvt_pk_f32_fp8_sdwa v[48:49], v4 src0_sel:WORD_1
	v_mul_f32_e32 v50, s4, v57
	v_mfma_f32_16x16x16_bf16 v[22:25], v[30:31], v[6:7], v[34:37]
	v_cvt_pk_f32_fp8_sdwa v[30:31], v2 src0_sel:WORD_1
	v_perm_b32 v12, v13, v12, s44
	v_mad_i64_i32 v[10:11], s[6:7], v56, s45, v[28:29]
	v_mfma_f32_16x16x16_bf16 v[36:39], v[38:39], v[8:9], v[22:25]
	v_perm_b32 v13, v31, v30, s44
	v_cvt_pk_f32_fp8_e32 v[34:35], v4
	s_nop 0
	v_cvt_pk_f32_fp8_e32 v[22:23], v3
	v_cvt_pk_f32_fp8_sdwa v[2:3], v3 src0_sel:WORD_1
	v_perm_b32 v30, v23, v22, s44
	v_perm_b32 v31, v3, v2, s44
	v_mfma_f32_16x16x16_bf16 v[22:25], v[12:13], v[14:15], 0
	v_perm_b32 v12, v35, v34, s44
	v_perm_b32 v13, v49, v48, s44
	v_cvt_pk_f32_fp8_e32 v[34:35], v5
	v_cvt_pk_f32_fp8_sdwa v[48:49], v5 src0_sel:WORD_1
	v_mfma_f32_16x16x16_bf16 v[2:5], v[30:31], v[16:17], v[22:25]
	s_waitcnt vmcnt(3)
	v_cvt_pk_f32_fp8_sdwa v[30:31], v20 src0_sel:WORD_1
	s_nop 0
	v_perm_b32 v24, v35, v34, s44
	v_perm_b32 v25, v49, v48, s44
	v_pk_mul_f32 v[22:23], v[50:51], v[46:47] op_sel_hi:[0,1]
	v_mfma_f32_16x16x16_bf16 v[46:49], v[12:13], v[6:7], v[2:5]
	v_cvt_pk_f32_fp8_sdwa v[12:13], v18 src0_sel:WORD_1
	v_pk_mul_f32 v[34:35], v[50:51], v[38:39] op_sel_hi:[0,1]
	v_pk_mul_f32 v[38:39], v[50:51], v[36:37] op_sel_hi:[0,1]
	v_cvt_pk_f32_fp8_e32 v[4:5], v18
	v_pk_mul_f32 v[2:3], v[50:51], v[44:45] op_sel_hi:[0,1]
	v_mfma_f32_16x16x16_bf16 v[44:47], v[24:25], v[8:9], v[46:49]
	v_cvt_pk_f32_fp8_e32 v[24:25], v19
	v_perm_b32 v4, v5, v4, s44
	v_perm_b32 v5, v13, v12, s44
	v_cvt_pk_f32_fp8_sdwa v[12:13], v19 src0_sel:WORD_1
	v_perm_b32 v18, v25, v24, s44
	v_cvt_pk_f32_fp8_e32 v[24:25], v20
	s_nop 0
	v_pk_mul_f32 v[36:37], v[50:51], v[44:45] op_sel_hi:[0,1]
	v_perm_b32 v19, v13, v12, s44
	v_mfma_f32_16x16x16_bf16 v[12:15], v[4:5], v[14:15], 0
	v_perm_b32 v4, v25, v24, s44
	v_perm_b32 v5, v31, v30, s44
	v_cvt_pk_f32_fp8_e32 v[24:25], v21
	v_cvt_pk_f32_fp8_sdwa v[20:21], v21 src0_sel:WORD_1
	v_mfma_f32_16x16x16_bf16 v[12:15], v[18:19], v[16:17], v[12:15]
	v_pk_mul_f32 v[30:31], v[50:51], v[46:47] op_sel_hi:[0,1]
	v_perm_b32 v16, v25, v24, s44
	v_perm_b32 v17, v21, v20, s44
	v_mfma_f32_16x16x16_bf16 v[4:7], v[4:5], v[6:7], v[12:15]
	s_nop 0
	v_mfma_f32_16x16x16_bf16 v[4:7], v[16:17], v[8:9], v[4:7]
	s_nop 6
	v_pk_mul_f32 v[24:25], v[50:51], v[4:5] op_sel_hi:[0,1]
	v_and_b32_e32 v4, 0xc0, v0
	v_add_u32_e32 v4, s5, v4
	v_lshl_or_b32 v4, v1, 2, v4
	v_pk_mul_f32 v[18:19], v[50:51], v[6:7] op_sel_hi:[0,1]
	v_or_b32_e32 v7, 1, v4
	v_mov_b32_e32 v5, 0xff7fffff
	v_cmp_gt_i32_e64 s[4:5], s48, v4
	v_cmp_gt_i32_e64 s[34:35], s48, v7
	v_or_b32_e32 v8, 3, v4
	v_cndmask_b32_e64 v6, v5, v2, s[4:5]
	v_cndmask_b32_e64 v7, v5, v3, s[34:35]
	v_max3_f32 v6, v6, s46, v7
	v_or_b32_e32 v7, 2, v4
	v_cmp_gt_i32_e64 s[36:37], s48, v7
	v_cmp_gt_i32_e64 s[38:39], s48, v8
	s_nop 0
	v_cndmask_b32_e64 v7, v5, v22, s[36:37]
	v_cndmask_b32_e64 v8, v5, v23, s[38:39]
	v_max3_f32 v6, v6, v7, v8
	v_or_b32_e32 v7, 16, v4
	v_or_b32_e32 v8, 17, v4
	v_cmp_gt_i32_e64 s[24:25], s48, v7
	v_cmp_gt_i32_e64 s[26:27], s48, v8
	s_nop 0
	v_cndmask_b32_e64 v7, v5, v38, s[24:25]
	v_cndmask_b32_e64 v8, v5, v39, s[26:27]
	v_max3_f32 v6, v6, v7, v8
	v_or_b32_e32 v7, 18, v4
	;; [unrolled: 8-line block ×6, first 2 shown]
	v_or_b32_e32 v4, 51, v4
	v_cmp_gt_i32_e32 vcc, s48, v7
	v_cmp_gt_i32_e64 s[6:7], s48, v4
	s_nop 0
	v_cndmask_b32_e32 v7, v5, v18, vcc
	v_cndmask_b32_e64 v4, v5, v19, s[6:7]
	v_max3_f32 v6, v6, v7, v4
	v_mbcnt_lo_u32_b32 v4, -1, 0
	v_mbcnt_hi_u32_b32 v7, -1, v4
	v_and_b32_e32 v4, 64, v7
	v_add_u32_e32 v8, 64, v4
	v_xor_b32_e32 v4, 32, v7
	v_cmp_lt_i32_e64 s[40:41], v4, v8
	s_nop 1
	v_cndmask_b32_e64 v4, v7, v4, s[40:41]
	v_lshlrev_b32_e32 v44, 2, v4
	ds_bpermute_b32 v9, v44, v6
	s_waitcnt vmcnt(2)
	v_mad_i64_i32 v[4:5], s[40:41], v33, s45, v[28:29]
	global_load_dwordx4 v[14:17], v[10:11], off
	s_nop 0
	global_load_dwordx4 v[10:13], v[4:5], off
	v_xor_b32_e32 v5, 16, v7
	v_cmp_lt_i32_e64 s[40:41], v5, v8
	s_waitcnt lgkmcnt(0)
	v_max_f32_e32 v4, v9, v9
	v_max_f32_e32 v4, v6, v4
	v_cndmask_b32_e64 v5, v7, v5, s[40:41]
	v_lshlrev_b32_e32 v45, 2, v5
	ds_bpermute_b32 v5, v45, v4
	s_waitcnt vmcnt(3)
	v_mad_i64_i32 v[20:21], s[40:41], v27, s45, v[28:29]
	s_waitcnt vmcnt(2)
	v_mad_i64_i32 v[28:29], s[40:41], v32, s45, v[28:29]
	s_waitcnt lgkmcnt(0)
	v_max_f32_e32 v5, v5, v5
	v_max_f32_e32 v27, v4, v5
	v_sub_f32_e32 v2, v2, v27
	v_mul_f32_e32 v2, 0x3fb8aa3b, v2
	v_exp_f32_e32 v32, v2
	v_sub_f32_e32 v2, v3, v27
	v_mul_f32_e32 v2, 0x3fb8aa3b, v2
	v_exp_f32_e32 v33, v2
	global_load_dwordx4 v[6:9], v[20:21], off
	global_load_dwordx4 v[2:5], v[28:29], off
	v_sub_f32_e32 v22, v22, v27
	v_mul_f32_e32 v22, 0x3fb8aa3b, v22
	v_sub_f32_e32 v23, v23, v27
	v_exp_f32_e32 v22, v22
	v_mul_f32_e32 v23, 0x3fb8aa3b, v23
	v_exp_f32_e32 v23, v23
	v_cndmask_b32_e64 v20, 0, v32, s[4:5]
	v_add_f32_e32 v28, 0, v20
	v_cndmask_b32_e64 v21, 0, v33, s[34:35]
	v_add_f32_e32 v28, v28, v21
	;; [unrolled: 2-line block ×3, first 2 shown]
	v_cndmask_b32_e64 v33, 0, v23, s[38:39]
	v_sub_f32_e32 v23, v38, v27
	v_sub_f32_e32 v28, v39, v27
	v_mul_f32_e32 v23, 0x3fb8aa3b, v23
	v_mul_f32_e32 v28, 0x3fb8aa3b, v28
	v_exp_f32_e32 v23, v23
	v_exp_f32_e32 v28, v28
	v_add_f32_e32 v29, v22, v33
	v_sub_f32_e32 v30, v30, v27
	v_cndmask_b32_e64 v22, 0, v23, s[24:25]
	v_cndmask_b32_e64 v23, 0, v28, s[26:27]
	v_sub_f32_e32 v28, v34, v27
	v_mul_f32_e32 v28, 0x3fb8aa3b, v28
	v_exp_f32_e32 v28, v28
	v_sub_f32_e32 v34, v35, v27
	v_add_f32_e32 v29, v29, v22
	v_mul_f32_e32 v34, 0x3fb8aa3b, v34
	v_exp_f32_e32 v35, v34
	v_add_f32_e32 v29, v29, v23
	v_cndmask_b32_e64 v34, 0, v28, s[20:21]
	v_add_f32_e32 v28, v29, v34
	v_sub_f32_e32 v29, v36, v27
	v_mul_f32_e32 v29, 0x3fb8aa3b, v29
	v_sub_f32_e32 v36, v37, v27
	v_exp_f32_e32 v29, v29
	v_mul_f32_e32 v36, 0x3fb8aa3b, v36
	v_exp_f32_e32 v36, v36
	v_mul_f32_e32 v30, 0x3fb8aa3b, v30
	v_sub_f32_e32 v31, v31, v27
	v_exp_f32_e32 v30, v30
	v_mul_f32_e32 v31, 0x3fb8aa3b, v31
	v_sub_f32_e32 v24, v24, v27
	v_cndmask_b32_e64 v35, 0, v35, s[22:23]
	v_exp_f32_e32 v31, v31
	v_mul_f32_e32 v24, 0x3fb8aa3b, v24
	v_sub_f32_e32 v25, v25, v27
	v_add_f32_e32 v37, v28, v35
	v_cndmask_b32_e64 v28, 0, v29, s[16:17]
	v_exp_f32_e32 v24, v24
	v_mul_f32_e32 v25, 0x3fb8aa3b, v25
	v_sub_f32_e32 v18, v18, v27
	v_add_f32_e32 v37, v37, v28
	;; [unrolled: 5-line block ×3, first 2 shown]
	v_cndmask_b32_e64 v30, 0, v30, s[12:13]
	v_exp_f32_e32 v18, v18
	v_mul_f32_e32 v19, 0x3fb8aa3b, v19
	v_add_f32_e32 v36, v36, v30
	v_cndmask_b32_e64 v31, 0, v31, s[14:15]
	v_exp_f32_e32 v19, v19
	v_add_f32_e32 v36, v36, v31
	v_cndmask_b32_e64 v24, 0, v24, s[8:9]
	v_add_f32_e32 v36, v36, v24
	v_cndmask_b32_e64 v25, 0, v25, s[10:11]
	v_add_f32_e32 v36, v36, v25
	v_cndmask_b32_e32 v18, 0, v18, vcc
	v_add_f32_e32 v36, v36, v18
	v_cndmask_b32_e64 v19, 0, v19, s[6:7]
	v_add_f32_e32 v36, v36, v19
	ds_bpermute_b32 v37, v44, v36
	v_cmp_gt_u32_e32 vcc, 16, v41
	s_waitcnt lgkmcnt(0)
	s_barrier
	v_add_f32_e32 v37, v36, v37
	ds_bpermute_b32 v38, v45, v37
	v_lshlrev_b32_e32 v36, 2, v43
	s_and_saveexec_b64 s[4:5], vcc
	s_cbranch_execz .LBB1165_13
; %bb.12:
	s_waitcnt lgkmcnt(0)
	v_add_f32_e32 v37, v37, v38
	v_lshl_or_b32 v38, v42, 6, v36
	ds_write2st64_b32 v38, v27, v37 offset1:1
.LBB1165_13:
	s_or_b64 exec, exec, s[4:5]
	s_load_dword s6, s[0:1], 0x94
	s_waitcnt lgkmcnt(0)
	s_barrier
	ds_read2_b32 v[38:39], v36 offset1:16
	ds_read2_b32 v[44:45], v36 offset0:32 offset1:48
	ds_read2_b32 v[46:47], v36 offset0:64 offset1:80
	s_movk_i32 s8, 0x7fff
	s_lshl_b32 s7, s33, 1
	s_waitcnt lgkmcnt(2)
	v_max3_f32 v27, v38, s46, v39
	s_waitcnt lgkmcnt(1)
	v_max3_f32 v27, v27, v44, v45
	v_sub_f32_e32 v37, v38, v27
	v_sub_f32_e32 v38, v39, v27
	v_mul_f32_e32 v38, 0x3fb8aa3b, v38
	v_mul_f32_e32 v37, 0x3fb8aa3b, v37
	v_exp_f32_e32 v48, v38
	v_sub_f32_e32 v38, v44, v27
	v_exp_f32_e32 v37, v37
	v_mul_f32_e32 v38, 0x3fb8aa3b, v38
	v_exp_f32_e32 v44, v38
	ds_read2_b32 v[38:39], v36 offset0:96 offset1:112
	v_sub_f32_e32 v36, v45, v27
	v_mul_f32_e32 v36, 0x3fb8aa3b, v36
	v_exp_f32_e32 v45, v36
	s_waitcnt lgkmcnt(1)
	v_fma_f32 v36, v37, v46, 0
	v_fmac_f32_e32 v36, v48, v47
	s_waitcnt lgkmcnt(0)
	v_fmac_f32_e32 v36, v44, v38
	v_fmac_f32_e32 v36, v45, v39
	v_add_f32_e32 v38, 0x358637bd, v36
	v_div_scale_f32 v39, s[4:5], v38, v38, 1.0
	v_rcp_f32_e32 v46, v39
	s_barrier
	v_fma_f32 v47, -v39, v46, 1.0
	v_fmac_f32_e32 v46, v47, v46
	v_div_scale_f32 v47, vcc, 1.0, v38, 1.0
	v_mul_f32_e32 v49, v47, v46
	v_fma_f32 v50, -v39, v49, v47
	v_fmac_f32_e32 v49, v50, v46
	v_fma_f32 v39, -v39, v49, v47
	v_div_fmas_f32 v39, v39, v46, v49
	v_cmp_eq_u32_e32 vcc, 1, v42
	v_div_fixup_f32 v38, v39, v38, 1.0
	s_nop 0
	v_cndmask_b32_e32 v37, v37, v48, vcc
	v_cmp_eq_u32_e32 vcc, 2, v42
	s_nop 1
	v_cndmask_b32_e32 v37, v37, v44, vcc
	v_cmp_eq_u32_e32 vcc, 3, v42
	s_nop 1
	v_cndmask_b32_e32 v37, v37, v45, vcc
	v_mul_f32_e32 v38, v37, v38
	v_pk_mul_f32 v[20:21], v[38:39], v[20:21] op_sel_hi:[0,1]
	v_pk_mul_f32 v[32:33], v[38:39], v[32:33] op_sel_hi:[0,1]
	v_bfe_u32 v37, v21, 16, 1
	v_bfe_u32 v39, v20, 16, 1
	v_add3_u32 v20, v20, v39, s8
	v_add3_u32 v21, v21, v37, s8
	v_perm_b32 v44, v21, v20, s44
	v_bfe_u32 v20, v33, 16, 1
	v_bfe_u32 v21, v32, 16, 1
	v_add3_u32 v21, v32, v21, s8
	v_add3_u32 v20, v33, v20, s8
	v_perm_b32 v45, v20, v21, s44
	v_lshlrev_b32_e32 v20, 3, v1
	v_lshlrev_b32_e32 v21, 5, v43
	;; [unrolled: 1-line block ×3, first 2 shown]
	v_pk_mul_f32 v[22:23], v[38:39], v[22:23] op_sel_hi:[0,1]
	v_or3_b32 v20, v32, v21, v20
	v_pk_mul_f32 v[32:33], v[38:39], v[34:35] op_sel_hi:[0,1]
	v_bfe_u32 v34, v23, 16, 1
	v_bfe_u32 v35, v22, 16, 1
	v_add3_u32 v22, v22, v35, s8
	v_add3_u32 v23, v23, v34, s8
	v_perm_b32 v22, v23, v22, s44
	v_bfe_u32 v23, v33, 16, 1
	v_bfe_u32 v34, v32, 16, 1
	v_add3_u32 v32, v32, v34, s8
	v_add3_u32 v23, v33, v23, s8
	v_perm_b32 v23, v23, v32, s44
	v_pk_mul_f32 v[28:29], v[38:39], v[28:29] op_sel_hi:[0,1]
	ds_write2st64_b64 v20, v[44:45], v[22:23] offset1:1
	v_pk_mul_f32 v[22:23], v[38:39], v[30:31] op_sel_hi:[0,1]
	v_bfe_u32 v30, v29, 16, 1
	v_bfe_u32 v31, v28, 16, 1
	v_add3_u32 v28, v28, v31, s8
	v_add3_u32 v29, v29, v30, s8
	v_perm_b32 v28, v29, v28, s44
	v_bfe_u32 v29, v23, 16, 1
	v_bfe_u32 v30, v22, 16, 1
	v_add3_u32 v22, v22, v30, s8
	v_add3_u32 v23, v23, v29, s8
	v_perm_b32 v29, v23, v22, s44
	v_pk_mul_f32 v[22:23], v[38:39], v[24:25] op_sel_hi:[0,1]
	v_bfe_u32 v24, v23, 16, 1
	v_bfe_u32 v25, v22, 16, 1
	v_pk_mul_f32 v[18:19], v[38:39], v[18:19] op_sel_hi:[0,1]
	v_add3_u32 v22, v22, v25, s8
	v_add3_u32 v23, v23, v24, s8
	v_perm_b32 v22, v23, v22, s44
	v_bfe_u32 v23, v19, 16, 1
	v_bfe_u32 v24, v18, 16, 1
	v_add3_u32 v18, v18, v24, s8
	v_add3_u32 v19, v19, v23, s8
	v_perm_b32 v23, v19, v18, s44
	v_cmp_gt_u32_e32 vcc, 2, v0
	ds_write2st64_b64 v20, v[28:29], v[22:23] offset0:2 offset1:3
	s_and_saveexec_b64 s[4:5], vcc
	s_cbranch_execz .LBB1165_15
; %bb.14:
	v_or_b32_e32 v18, s29, v0
	v_mov_b32_e32 v19, 0
	v_mov_b32_e32 v22, s7
	v_mad_u64_u32 v[22:23], s[10:11], s2, v22, v[18:19]
	v_mov_b32_e32 v18, s28
	s_load_dwordx4 s[12:15], s[0:1], 0x58
	s_mul_i32 s3, s3, s7
	v_mad_u64_u32 v[18:19], s[10:11], v22, s6, v[18:19]
	v_add_u32_e32 v23, s3, v23
	v_mov_b32_e32 v22, v19
	v_mad_u64_u32 v[22:23], s[10:11], v23, s6, v[22:23]
	v_mov_b32_e32 v19, v22
	v_lshlrev_b64 v[18:19], 2, v[18:19]
	s_waitcnt lgkmcnt(0)
	v_lshl_add_u64 v[22:23], s[14:15], 0, v[18:19]
	v_lshl_add_u64 v[18:19], s[12:13], 0, v[18:19]
	global_store_dword v[22:23], v27, off
	global_store_dword v[18:19], v36, off
.LBB1165_15:
	s_or_b64 exec, exec, s[4:5]
	s_waitcnt vmcnt(3)
	v_cvt_pk_f32_fp8_e32 v[18:19], v14
	v_cvt_pk_f32_fp8_sdwa v[22:23], v14 src0_sel:WORD_1
	s_mov_b32 s4, 0x7060302
	v_lshl_or_b32 v14, v1, 9, v21
	s_waitcnt lgkmcnt(0)
	s_barrier
	v_perm_b32 v18, v19, v18, s4
	v_perm_b32 v19, v23, v22, s4
	v_cvt_pk_f32_fp8_e32 v[28:29], v15
	ds_read_b128 v[22:25], v14
	v_cvt_pk_f32_fp8_sdwa v[36:37], v15 src0_sel:WORD_1
	s_load_dword s10, s[42:43], 0x0
	v_perm_b32 v38, v29, v28, s4
	ds_read_b128 v[28:31], v14 offset:16
	v_perm_b32 v39, v37, v36, s4
	s_waitcnt lgkmcnt(0)
	v_mfma_f32_16x16x16_bf16 v[32:35], v[18:19], v[22:23], 0
	v_cvt_pk_f32_fp8_e32 v[18:19], v16
	v_cvt_pk_f32_fp8_sdwa v[36:37], v16 src0_sel:WORD_1
	v_cmp_gt_u32_e32 vcc, 64, v0
	v_mfma_f32_16x16x16_bf16 v[22:25], v[38:39], v[24:25], v[32:35]
	v_perm_b32 v18, v19, v18, s4
	v_perm_b32 v19, v37, v36, s4
	s_waitcnt vmcnt(2)
	v_cvt_pk_f32_fp8_sdwa v[36:37], v10 src0_sel:WORD_1
	v_cvt_pk_f32_fp8_e32 v[32:33], v17
	v_cvt_pk_f32_fp8_sdwa v[16:17], v17 src0_sel:WORD_1
	v_cvt_pk_f32_fp8_e32 v[34:35], v10
	s_mov_b32 s3, 0
	v_perm_b32 v32, v33, v32, s4
	v_perm_b32 v33, v17, v16, s4
	v_mfma_f32_16x16x16_bf16 v[16:19], v[18:19], v[28:29], v[22:25]
	v_perm_b32 v34, v35, v34, s4
	v_perm_b32 v35, v37, v36, s4
	v_cvt_pk_f32_fp8_e32 v[28:29], v11
	ds_read_b128 v[22:25], v14 offset:2048
	v_cvt_pk_f32_fp8_sdwa v[10:11], v11 src0_sel:WORD_1
	v_mfma_f32_16x16x16_bf16 v[16:19], v[32:33], v[30:31], v[16:19]
	v_perm_b32 v32, v29, v28, s4
	ds_read_b128 v[28:31], v14 offset:2064
	v_perm_b32 v33, v11, v10, s4
	s_waitcnt lgkmcnt(1)
	v_mfma_f32_16x16x16_bf16 v[16:19], v[34:35], v[22:23], v[16:19]
	v_cvt_pk_f32_fp8_e32 v[10:11], v12
	v_cvt_pk_f32_fp8_sdwa v[22:23], v12 src0_sel:WORD_1
	v_mov_b32_e32 v27, 0
	v_mfma_f32_16x16x16_bf16 v[16:19], v[32:33], v[24:25], v[16:19]
	v_cvt_pk_f32_fp8_e32 v[24:25], v13
	v_perm_b32 v10, v11, v10, s4
	v_perm_b32 v11, v23, v22, s4
	v_cvt_pk_f32_fp8_sdwa v[12:13], v13 src0_sel:WORD_1
	v_perm_b32 v22, v25, v24, s4
	s_waitcnt vmcnt(1)
	v_cvt_pk_f32_fp8_e32 v[24:25], v6
	v_cvt_pk_f32_fp8_sdwa v[32:33], v6 src0_sel:WORD_1
	v_perm_b32 v23, v13, v12, s4
	s_waitcnt lgkmcnt(0)
	v_mfma_f32_16x16x16_bf16 v[10:13], v[10:11], v[28:29], v[16:19]
	v_perm_b32 v28, v25, v24, s4
	v_perm_b32 v29, v33, v32, s4
	v_cvt_pk_f32_fp8_e32 v[24:25], v7
	ds_read_b128 v[16:19], v14 offset:4096
	v_cvt_pk_f32_fp8_sdwa v[6:7], v7 src0_sel:WORD_1
	v_mfma_f32_16x16x16_bf16 v[10:13], v[22:23], v[30:31], v[10:13]
	v_perm_b32 v30, v25, v24, s4
	ds_read_b128 v[22:25], v14 offset:4112
	v_perm_b32 v31, v7, v6, s4
	s_waitcnt lgkmcnt(1)
	v_mfma_f32_16x16x16_bf16 v[10:13], v[28:29], v[16:17], v[10:13]
	v_cvt_pk_f32_fp8_e32 v[6:7], v8
	v_cvt_pk_f32_fp8_sdwa v[16:17], v8 src0_sel:WORD_1
	s_waitcnt vmcnt(0)
	v_cvt_pk_f32_fp8_sdwa v[28:29], v2 src0_sel:WORD_1
	v_mfma_f32_16x16x16_bf16 v[10:13], v[30:31], v[18:19], v[10:13]
	v_cvt_pk_f32_fp8_e32 v[18:19], v9
	v_perm_b32 v6, v7, v6, s4
	v_perm_b32 v7, v17, v16, s4
	v_cvt_pk_f32_fp8_sdwa v[8:9], v9 src0_sel:WORD_1
	v_perm_b32 v16, v19, v18, s4
	v_cvt_pk_f32_fp8_e32 v[18:19], v2
	v_perm_b32 v17, v9, v8, s4
	s_waitcnt lgkmcnt(0)
	v_mfma_f32_16x16x16_bf16 v[6:9], v[6:7], v[22:23], v[10:13]
	v_perm_b32 v18, v19, v18, s4
	v_perm_b32 v19, v29, v28, s4
	v_cvt_pk_f32_fp8_e32 v[22:23], v3
	ds_read_b128 v[10:13], v14 offset:6144
	v_cvt_pk_f32_fp8_sdwa v[2:3], v3 src0_sel:WORD_1
	v_mfma_f32_16x16x16_bf16 v[6:9], v[16:17], v[24:25], v[6:9]
	v_perm_b32 v22, v23, v22, s4
	ds_read_b128 v[14:17], v14 offset:6160
	v_perm_b32 v23, v3, v2, s4
	s_waitcnt lgkmcnt(1)
	v_mfma_f32_16x16x16_bf16 v[6:9], v[18:19], v[10:11], v[6:9]
	v_cvt_pk_f32_fp8_e32 v[2:3], v4
	v_cvt_pk_f32_fp8_sdwa v[10:11], v4 src0_sel:WORD_1
	s_waitcnt lgkmcnt(0)
	v_mfma_f32_16x16x16_bf16 v[6:9], v[22:23], v[12:13], v[6:9]
	v_perm_b32 v2, v3, v2, s4
	v_perm_b32 v3, v11, v10, s4
	v_cvt_pk_f32_fp8_e32 v[10:11], v5
	v_cvt_pk_f32_fp8_sdwa v[4:5], v5 src0_sel:WORD_1
	s_barrier
	v_perm_b32 v10, v11, v10, s4
	v_perm_b32 v11, v5, v4, s4
	v_mfma_f32_16x16x16_bf16 v[2:5], v[2:3], v[14:15], v[6:9]
	s_nop 0
	v_mfma_f32_16x16x16_bf16 v[2:5], v[10:11], v[16:17], v[2:5]
	s_nop 6
	v_pk_mul_f32 v[2:3], v[2:3], s[10:11] op_sel_hi:[1,0]
	v_pk_mul_f32 v[4:5], v[4:5], s[10:11] op_sel_hi:[1,0]
	v_bfe_u32 v6, v3, 16, 1
	v_bfe_u32 v7, v2, 16, 1
	v_add3_u32 v2, v2, v7, s8
	v_add3_u32 v3, v3, v6, s8
	v_perm_b32 v2, v3, v2, s4
	v_bfe_u32 v3, v5, 16, 1
	v_bfe_u32 v6, v4, 16, 1
	v_add3_u32 v4, v4, v6, s8
	v_add3_u32 v3, v5, v3, s8
	v_perm_b32 v3, v3, v4, s4
	v_cmp_gt_u32_e64 s[4:5], 32, v41
	s_and_b64 s[4:5], s[4:5], vcc
	s_and_b64 s[4:5], s[4:5], s[30:31]
	ds_write_b64 v20, v[2:3]
	s_waitcnt lgkmcnt(0)
	s_barrier
	s_and_saveexec_b64 s[8:9], s[4:5]
	s_cbranch_execz .LBB1165_17
; %bb.16:
	s_load_dwordx2 s[0:1], s[0:1], 0x68
	s_mul_i32 s2, s7, s2
	s_lshl_b32 s6, s6, 6
	s_mul_hi_u32 s5, s2, s6
	s_mul_i32 s4, s2, s6
	v_lshlrev_b32_e32 v0, 10, v0
	s_lshl_b64 s[4:5], s[4:5], 1
	v_and_b32_e32 v0, 0x1800, v0
	v_lshlrev_b32_e32 v2, 5, v1
	v_and_b32_e32 v3, 16, v40
	s_waitcnt lgkmcnt(0)
	s_add_u32 s4, s0, s4
	v_or3_b32 v0, v0, v2, v3
	s_addc_u32 s5, s1, s5
	s_lshl_b32 s2, s28, 6
	ds_read_b128 v[2:5], v0
	s_lshl_b64 s[0:1], s[2:3], 1
	s_add_u32 s0, s4, s0
	v_or_b32_e32 v0, s29, v1
	s_addc_u32 s1, s5, s1
	v_mad_u64_u32 v[0:1], s[2:3], s6, v0, 0
	v_lshl_add_u64 v[0:1], v[0:1], 1, s[0:1]
	v_lshl_add_u64 v[0:1], v[0:1], 0, v[26:27]
	s_waitcnt lgkmcnt(0)
	global_store_dwordx4 v[0:1], v[2:5], off
.LBB1165_17:
	s_endpgm
	.section	.rodata,"a",@progbits
	.p2align	6, 0x0
	.amdhsa_kernel _Z39paged_attention_ll4mi_QKV_mfma16_kernelI14__hip_bfloat16hLN4vllm18Fp8KVCacheDataTypeE1ES0_Li16ELi64ELi256ELb0ELi2EEvPKT_PKT0_S8_ifPKiSA_SA_iPKfiiiPfSD_PS3_PT2_iSC_SC_
		.amdhsa_group_segment_fixed_size 8192
		.amdhsa_private_segment_fixed_size 0
		.amdhsa_kernarg_size 400
		.amdhsa_user_sgpr_count 2
		.amdhsa_user_sgpr_dispatch_ptr 0
		.amdhsa_user_sgpr_queue_ptr 0
		.amdhsa_user_sgpr_kernarg_segment_ptr 1
		.amdhsa_user_sgpr_dispatch_id 0
		.amdhsa_user_sgpr_kernarg_preload_length 0
		.amdhsa_user_sgpr_kernarg_preload_offset 0
		.amdhsa_user_sgpr_private_segment_size 0
		.amdhsa_uses_dynamic_stack 0
		.amdhsa_enable_private_segment 0
		.amdhsa_system_sgpr_workgroup_id_x 1
		.amdhsa_system_sgpr_workgroup_id_y 1
		.amdhsa_system_sgpr_workgroup_id_z 1
		.amdhsa_system_sgpr_workgroup_info 0
		.amdhsa_system_vgpr_workitem_id 0
		.amdhsa_next_free_vgpr 58
		.amdhsa_next_free_sgpr 49
		.amdhsa_accum_offset 60
		.amdhsa_reserve_vcc 1
		.amdhsa_float_round_mode_32 0
		.amdhsa_float_round_mode_16_64 0
		.amdhsa_float_denorm_mode_32 3
		.amdhsa_float_denorm_mode_16_64 3
		.amdhsa_dx10_clamp 1
		.amdhsa_ieee_mode 1
		.amdhsa_fp16_overflow 0
		.amdhsa_tg_split 0
		.amdhsa_exception_fp_ieee_invalid_op 0
		.amdhsa_exception_fp_denorm_src 0
		.amdhsa_exception_fp_ieee_div_zero 0
		.amdhsa_exception_fp_ieee_overflow 0
		.amdhsa_exception_fp_ieee_underflow 0
		.amdhsa_exception_fp_ieee_inexact 0
		.amdhsa_exception_int_div_zero 0
	.end_amdhsa_kernel
	.section	.text._Z39paged_attention_ll4mi_QKV_mfma16_kernelI14__hip_bfloat16hLN4vllm18Fp8KVCacheDataTypeE1ES0_Li16ELi64ELi256ELb0ELi2EEvPKT_PKT0_S8_ifPKiSA_SA_iPKfiiiPfSD_PS3_PT2_iSC_SC_,"axG",@progbits,_Z39paged_attention_ll4mi_QKV_mfma16_kernelI14__hip_bfloat16hLN4vllm18Fp8KVCacheDataTypeE1ES0_Li16ELi64ELi256ELb0ELi2EEvPKT_PKT0_S8_ifPKiSA_SA_iPKfiiiPfSD_PS3_PT2_iSC_SC_,comdat
.Lfunc_end1165:
	.size	_Z39paged_attention_ll4mi_QKV_mfma16_kernelI14__hip_bfloat16hLN4vllm18Fp8KVCacheDataTypeE1ES0_Li16ELi64ELi256ELb0ELi2EEvPKT_PKT0_S8_ifPKiSA_SA_iPKfiiiPfSD_PS3_PT2_iSC_SC_, .Lfunc_end1165-_Z39paged_attention_ll4mi_QKV_mfma16_kernelI14__hip_bfloat16hLN4vllm18Fp8KVCacheDataTypeE1ES0_Li16ELi64ELi256ELb0ELi2EEvPKT_PKT0_S8_ifPKiSA_SA_iPKfiiiPfSD_PS3_PT2_iSC_SC_
                                        ; -- End function
	.section	.AMDGPU.csdata,"",@progbits
; Kernel info:
; codeLenInByte = 4768
; NumSgprs: 55
; NumVgprs: 58
; NumAgprs: 0
; TotalNumVgprs: 58
; ScratchSize: 0
; MemoryBound: 0
; FloatMode: 240
; IeeeMode: 1
; LDSByteSize: 8192 bytes/workgroup (compile time only)
; SGPRBlocks: 6
; VGPRBlocks: 7
; NumSGPRsForWavesPerEU: 55
; NumVGPRsForWavesPerEU: 58
; AccumOffset: 60
; Occupancy: 8
; WaveLimiterHint : 1
; COMPUTE_PGM_RSRC2:SCRATCH_EN: 0
; COMPUTE_PGM_RSRC2:USER_SGPR: 2
; COMPUTE_PGM_RSRC2:TRAP_HANDLER: 0
; COMPUTE_PGM_RSRC2:TGID_X_EN: 1
; COMPUTE_PGM_RSRC2:TGID_Y_EN: 1
; COMPUTE_PGM_RSRC2:TGID_Z_EN: 1
; COMPUTE_PGM_RSRC2:TIDIG_COMP_CNT: 0
; COMPUTE_PGM_RSRC3_GFX90A:ACCUM_OFFSET: 14
; COMPUTE_PGM_RSRC3_GFX90A:TG_SPLIT: 0
	.section	.text._Z39paged_attention_ll4mi_QKV_mfma16_kernelI14__hip_bfloat16hLN4vllm18Fp8KVCacheDataTypeE1ES0_Li16ELi64ELi256ELb0ELi3EEvPKT_PKT0_S8_ifPKiSA_SA_iPKfiiiPfSD_PS3_PT2_iSC_SC_,"axG",@progbits,_Z39paged_attention_ll4mi_QKV_mfma16_kernelI14__hip_bfloat16hLN4vllm18Fp8KVCacheDataTypeE1ES0_Li16ELi64ELi256ELb0ELi3EEvPKT_PKT0_S8_ifPKiSA_SA_iPKfiiiPfSD_PS3_PT2_iSC_SC_,comdat
	.protected	_Z39paged_attention_ll4mi_QKV_mfma16_kernelI14__hip_bfloat16hLN4vllm18Fp8KVCacheDataTypeE1ES0_Li16ELi64ELi256ELb0ELi3EEvPKT_PKT0_S8_ifPKiSA_SA_iPKfiiiPfSD_PS3_PT2_iSC_SC_ ; -- Begin function _Z39paged_attention_ll4mi_QKV_mfma16_kernelI14__hip_bfloat16hLN4vllm18Fp8KVCacheDataTypeE1ES0_Li16ELi64ELi256ELb0ELi3EEvPKT_PKT0_S8_ifPKiSA_SA_iPKfiiiPfSD_PS3_PT2_iSC_SC_
	.globl	_Z39paged_attention_ll4mi_QKV_mfma16_kernelI14__hip_bfloat16hLN4vllm18Fp8KVCacheDataTypeE1ES0_Li16ELi64ELi256ELb0ELi3EEvPKT_PKT0_S8_ifPKiSA_SA_iPKfiiiPfSD_PS3_PT2_iSC_SC_
	.p2align	8
	.type	_Z39paged_attention_ll4mi_QKV_mfma16_kernelI14__hip_bfloat16hLN4vllm18Fp8KVCacheDataTypeE1ES0_Li16ELi64ELi256ELb0ELi3EEvPKT_PKT0_S8_ifPKiSA_SA_iPKfiiiPfSD_PS3_PT2_iSC_SC_,@function
_Z39paged_attention_ll4mi_QKV_mfma16_kernelI14__hip_bfloat16hLN4vllm18Fp8KVCacheDataTypeE1ES0_Li16ELi64ELi256ELb0ELi3EEvPKT_PKT0_S8_ifPKiSA_SA_iPKfiiiPfSD_PS3_PT2_iSC_SC_: ; @_Z39paged_attention_ll4mi_QKV_mfma16_kernelI14__hip_bfloat16hLN4vllm18Fp8KVCacheDataTypeE1ES0_Li16ELi64ELi256ELb0ELi3EEvPKT_PKT0_S8_ifPKiSA_SA_iPKfiiiPfSD_PS3_PT2_iSC_SC_
; %bb.0:
	s_load_dwordx2 s[12:13], s[0:1], 0x30
	s_mov_b32 s28, s3
	s_mov_b64 s[6:7], 0
	s_waitcnt lgkmcnt(0)
	s_cmp_lg_u64 s[12:13], 0
	s_cselect_b64 s[14:15], -1, 0
	s_and_b64 vcc, exec, s[14:15]
	s_cbranch_vccz .LBB1166_7
; %bb.1:
	s_add_i32 s8, s2, 1
	s_mov_b32 s9, 0
	s_lshl_b64 s[10:11], s[8:9], 2
	s_add_u32 s10, s12, s10
	s_mov_b32 s3, s9
	s_addc_u32 s11, s13, s11
	s_lshl_b64 s[8:9], s[2:3], 2
	s_add_u32 s8, s12, s8
	s_addc_u32 s9, s13, s9
	s_load_dword s5, s[10:11], 0x0
	s_load_dword s16, s[8:9], 0x0
	s_waitcnt lgkmcnt(0)
	s_sub_i32 s5, s5, s16
	s_cmp_eq_u32 s5, 1
	s_cselect_b64 s[8:9], -1, 0
	s_andn2_b64 vcc, exec, s[6:7]
	s_cbranch_vccnz .LBB1166_3
.LBB1166_2:
	s_mov_b32 s3, 0
	s_mov_b64 s[8:9], -1
.LBB1166_3:
	s_andn2_b64 vcc, exec, s[8:9]
	s_cbranch_vccnz .LBB1166_17
; %bb.4:
	s_load_dwordx2 s[6:7], s[0:1], 0x28
	s_lshl_b64 s[16:17], s[2:3], 2
	s_waitcnt lgkmcnt(0)
	s_add_u32 s6, s6, s16
	s_addc_u32 s7, s7, s17
	s_load_dword s33, s[6:7], 0x0
	s_lshl_b32 s5, s28, 8
	s_waitcnt lgkmcnt(0)
	s_cmp_ge_i32 s5, s33
	s_cbranch_scc1 .LBB1166_17
; %bb.5:
	s_add_i32 s9, s33, 15
	s_load_dwordx2 s[6:7], s[0:1], 0x20
	s_load_dword s8, s[0:1], 0x38
	s_ashr_i32 s10, s9, 31
	v_and_b32_e32 v1, 0xcf, v0
	s_lshr_b32 s10, s10, 28
	v_add_u32_e32 v1, s5, v1
	s_add_i32 s9, s9, s10
	v_ashrrev_i32_e32 v2, 31, v1
	s_ashr_i32 s18, s9, 4
	v_lshrrev_b32_e32 v6, 28, v2
	s_add_i32 s18, s18, -1
	v_add_u32_e32 v2, v1, v6
	v_or_b32_e32 v4, 16, v1
	s_waitcnt lgkmcnt(0)
	s_mul_i32 s8, s2, s8
	s_mov_b32 s9, 0
	v_ashrrev_i32_e32 v2, 4, v2
	v_mov_b32_e32 v7, s18
	v_cmp_gt_i32_e32 vcc, s33, v1
	v_add_u32_e32 v5, v4, v6
	s_lshl_b64 s[8:9], s[8:9], 2
	v_cndmask_b32_e32 v2, v7, v2, vcc
	v_ashrrev_i32_e32 v5, 4, v5
	v_cmp_gt_i32_e32 vcc, s33, v4
	s_add_u32 s6, s6, s8
	s_addc_u32 s7, s7, s9
	v_cndmask_b32_e32 v4, v7, v5, vcc
	v_ashrrev_i32_e32 v5, 31, v4
	v_lshl_add_u64 v[8:9], v[4:5], 2, s[6:7]
	v_or_b32_e32 v4, 32, v1
	v_add_u32_e32 v5, v4, v6
	v_ashrrev_i32_e32 v5, 4, v5
	v_cmp_gt_i32_e32 vcc, s33, v4
	v_or_b32_e32 v1, 48, v1
	v_ashrrev_i32_e32 v3, 31, v2
	v_cndmask_b32_e32 v4, v7, v5, vcc
	v_ashrrev_i32_e32 v5, 31, v4
	v_lshl_add_u64 v[10:11], v[4:5], 2, s[6:7]
	v_add_u32_e32 v4, v1, v6
	v_ashrrev_i32_e32 v4, 4, v4
	v_cmp_gt_i32_e32 vcc, s33, v1
	v_lshl_add_u64 v[2:3], v[2:3], 2, s[6:7]
	s_load_dwordx4 s[8:11], s[0:1], 0x8
	v_cndmask_b32_e32 v4, v7, v4, vcc
	v_ashrrev_i32_e32 v5, 31, v4
	v_lshl_add_u64 v[12:13], v[4:5], 2, s[6:7]
	global_load_dword v7, v[2:3], off
	global_load_dword v6, v[8:9], off
	;; [unrolled: 1-line block ×4, first 2 shown]
	s_andn2_b64 vcc, exec, s[14:15]
	s_cbranch_vccnz .LBB1166_8
; %bb.6:
	s_add_u32 s12, s12, s16
	s_addc_u32 s13, s13, s17
	s_load_dword s14, s[12:13], 0x0
	s_branch .LBB1166_9
.LBB1166_7:
	s_mov_b64 s[8:9], 0
	s_branch .LBB1166_2
.LBB1166_8:
	s_mov_b32 s14, s2
.LBB1166_9:
	s_load_dwordx4 s[44:47], s[0:1], 0x48
	v_lshrrev_b32_e32 v29, 6, v0
	v_bfe_u32 v42, v0, 4, 2
	v_lshl_or_b32 v2, v29, 2, v42
	v_and_b32_e32 v28, 15, v0
	s_mul_i32 s48, s4, 3
	v_lshlrev_b32_e32 v3, 3, v28
	v_cmp_gt_u32_e32 vcc, 3, v2
	v_cmp_gt_u32_e64 s[30:31], 8, v28
	v_and_b32_e32 v44, 63, v0
	v_add_u32_e32 v1, s48, v42
	s_and_b64 s[16:17], s[30:31], vcc
	v_lshlrev_b32_e32 v26, 1, v3
	v_lshlrev_b32_e32 v43, 4, v0
	s_and_saveexec_b64 s[12:13], s[16:17]
	s_cbranch_execz .LBB1166_11
; %bb.10:
	s_load_dwordx2 s[16:17], s[0:1], 0x0
	s_waitcnt lgkmcnt(0)
	s_ashr_i32 s15, s44, 31
	s_mul_hi_u32 s19, s14, s44
	s_mul_i32 s15, s14, s15
	s_add_i32 s15, s19, s15
	s_mul_i32 s14, s14, s44
	s_lshl_b64 s[14:15], s[14:15], 1
	s_add_u32 s14, s16, s14
	v_lshlrev_b32_e32 v8, 6, v1
	s_addc_u32 s15, s17, s15
	v_ashrrev_i32_e32 v9, 31, v8
	v_lshl_add_u64 v[8:9], v[8:9], 1, s[14:15]
	v_mov_b32_e32 v27, 0
	v_lshl_add_u64 v[8:9], v[8:9], 0, v[26:27]
	global_load_dwordx4 v[8:11], v[8:9], off
	v_lshlrev_b32_e32 v12, 8, v28
	v_lshlrev_b32_e32 v2, 5, v2
	v_and_b32_e32 v3, 16, v43
	v_and_b32_e32 v12, 0xe00, v12
	v_or3_b32 v2, v12, v2, v3
	s_waitcnt vmcnt(0)
	ds_write_b128 v2, v[8:11]
.LBB1166_11:
	s_or_b64 exec, exec, s[12:13]
	s_waitcnt lgkmcnt(0)
	s_mul_i32 s4, s4, s46
	s_add_u32 s8, s8, s4
	s_addc_u32 s9, s9, 0
	v_and_b32_e32 v10, 48, v0
	v_and_b32_e32 v30, 0xf0, v43
	v_mov_b32_e32 v31, 0
	v_lshl_add_u64 v[2:3], s[8:9], 0, v[30:31]
	v_lshlrev_b32_e32 v30, 4, v10
	v_lshl_add_u64 v[2:3], v[2:3], 0, v[30:31]
	v_or_b32_e32 v12, s5, v10
	s_waitcnt vmcnt(3)
	v_mad_i64_i32 v[8:9], s[8:9], v7, s45, v[2:3]
	v_ashrrev_i32_e32 v7, 4, v12
	v_mov_b32_e32 v13, s18
	v_cmp_gt_i32_e32 vcc, s33, v12
	s_load_dword s29, s[0:1], 0x98
	s_load_dwordx4 s[40:43], s[0:1], 0x80
	v_cndmask_b32_e32 v10, v13, v7, vcc
	v_ashrrev_i32_e32 v11, 31, v10
	v_lshl_add_u64 v[10:11], v[10:11], 2, s[6:7]
	s_waitcnt lgkmcnt(0)
	s_barrier
	global_load_dword v38, v[10:11], off
	global_load_dwordx4 v[22:25], v[8:9], off
	s_waitcnt vmcnt(4)
	v_mad_i64_i32 v[6:7], s[8:9], v6, s45, v[2:3]
	global_load_dwordx4 v[18:21], v[6:7], off
	s_waitcnt vmcnt(4)
	v_mad_i64_i32 v[6:7], s[8:9], v5, s45, v[2:3]
	global_load_dwordx4 v[14:17], v[6:7], off
	v_mul_lo_u16_e32 v8, 0x56, v28
	v_mov_b32_e32 v9, 3
	v_mul_lo_u16_sdwa v5, v8, v9 dst_sel:DWORD dst_unused:UNUSED_PAD src0_sel:BYTE_1 src1_sel:DWORD
	v_or_b32_e32 v6, 64, v12
	v_mov_b32_e32 v10, 5
	v_sub_u16_e32 v5, v28, v5
	v_or_b32_e32 v7, 0x80, v12
	v_ashrrev_i32_e32 v9, 4, v6
	s_add_u32 s8, s10, s4
	v_cmp_gt_i32_e32 vcc, s33, v6
	v_or_b32_e32 v8, 0xc0, v12
	v_lshlrev_b32_sdwa v5, v10, v5 dst_sel:DWORD dst_unused:UNUSED_PAD src0_sel:DWORD src1_sel:BYTE_0
	v_ashrrev_i32_e32 v10, 4, v7
	v_cndmask_b32_e32 v32, v13, v9, vcc
	v_cmp_gt_i32_e32 vcc, s33, v7
	s_addc_u32 s9, s11, 0
	s_waitcnt vmcnt(4)
	v_mad_i64_i32 v[2:3], s[10:11], v4, s45, v[2:3]
	v_ashrrev_i32_e32 v12, 4, v8
	v_cndmask_b32_e32 v34, v13, v10, vcc
	v_cmp_gt_i32_e32 vcc, s33, v8
	global_load_dwordx4 v[6:9], v[2:3], off
	v_ashrrev_i32_e32 v33, 31, v32
	v_cndmask_b32_e32 v36, v13, v12, vcc
	v_ashrrev_i32_e32 v35, 31, v34
	v_ashrrev_i32_e32 v37, 31, v36
	v_lshlrev_b32_e32 v11, 4, v28
	v_lshl_add_u32 v5, v42, 9, v5
	v_lshl_add_u64 v[32:33], v[32:33], 2, s[6:7]
	v_lshl_add_u64 v[34:35], v[34:35], 2, s[6:7]
	;; [unrolled: 1-line block ×3, first 2 shown]
	v_lshl_or_b32 v30, v29, 8, v11
	ds_read_b128 v[10:13], v5
	ds_read_b128 v[2:5], v5 offset:16
	s_load_dword s4, s[40:41], 0x0
	global_load_dword v46, v[32:33], off
	global_load_dword v27, v[34:35], off
	;; [unrolled: 1-line block ×3, first 2 shown]
	s_mov_b32 s44, 0x7060302
	v_lshl_add_u64 v[30:31], s[8:9], 0, v[30:31]
	s_load_dword s12, s[0:1], 0x1c
	s_mov_b32 s46, 0xff7fffff
	s_waitcnt vmcnt(7)
	v_mad_i64_i32 v[32:33], s[6:7], v38, s45, v[30:31]
	s_waitcnt vmcnt(6)
	v_cvt_pk_f32_fp8_e32 v[34:35], v22
	v_cvt_pk_f32_fp8_sdwa v[36:37], v22 src0_sel:WORD_1
	v_cvt_pk_f32_fp8_e32 v[38:39], v23
	v_cvt_pk_f32_fp8_sdwa v[40:41], v23 src0_sel:WORD_1
	v_perm_b32 v34, v35, v34, s44
	v_perm_b32 v35, v37, v36, s44
	s_waitcnt vmcnt(5)
	v_cvt_pk_f32_fp8_e32 v[22:23], v18
	v_cvt_pk_f32_fp8_e32 v[48:49], v24
	v_cvt_pk_f32_fp8_sdwa v[50:51], v24 src0_sel:WORD_1
	v_perm_b32 v38, v39, v38, s44
	v_perm_b32 v39, v41, v40, s44
	v_cvt_pk_f32_fp8_e32 v[52:53], v25
	v_cvt_pk_f32_fp8_sdwa v[54:55], v18 src0_sel:WORD_1
	v_cvt_pk_f32_fp8_sdwa v[56:57], v25 src0_sel:WORD_1
	v_perm_b32 v36, v23, v22, s44
	s_waitcnt lgkmcnt(0)
	v_mfma_f32_16x16x16_bf16 v[22:25], v[34:35], v[10:11], 0
	v_perm_b32 v40, v49, v48, s44
	v_perm_b32 v41, v51, v50, s44
	v_cvt_pk_f32_fp8_e32 v[58:59], v19
	v_perm_b32 v37, v55, v54, s44
	v_cvt_pk_f32_fp8_sdwa v[18:19], v19 src0_sel:WORD_1
	v_mfma_f32_16x16x16_bf16 v[22:25], v[38:39], v[12:13], v[22:25]
	v_perm_b32 v38, v53, v52, s44
	v_perm_b32 v39, v57, v56, s44
	v_cvt_pk_f32_fp8_e32 v[54:55], v20
	v_cvt_pk_f32_fp8_sdwa v[48:49], v20 src0_sel:WORD_1
	v_mfma_f32_16x16x16_bf16 v[22:25], v[40:41], v[2:3], v[22:25]
	v_perm_b32 v52, v59, v58, s44
	v_perm_b32 v53, v19, v18, s44
	v_cvt_pk_f32_fp8_e32 v[50:51], v21
	v_mfma_f32_16x16x16_bf16 v[34:37], v[36:37], v[10:11], 0
	v_mfma_f32_16x16x16_bf16 v[38:41], v[38:39], v[4:5], v[22:25]
	s_nop 2
	v_perm_b32 v22, v55, v54, s44
	v_perm_b32 v23, v49, v48, s44
	v_cvt_pk_f32_fp8_sdwa v[24:25], v21 src0_sel:WORD_1
	v_mfma_f32_16x16x16_bf16 v[18:21], v[52:53], v[12:13], v[34:37]
	s_waitcnt vmcnt(4)
	v_cvt_pk_f32_fp8_sdwa v[48:49], v14 src0_sel:WORD_1
	v_cvt_pk_f32_fp8_sdwa v[52:53], v17 src0_sel:WORD_1
	v_perm_b32 v34, v51, v50, s44
	v_perm_b32 v35, v25, v24, s44
	v_mfma_f32_16x16x16_bf16 v[18:21], v[22:23], v[2:3], v[18:21]
	v_cvt_pk_f32_fp8_e32 v[22:23], v14
	v_mov_b32_e32 v36, s12
	v_mul_f32_e32 v24, s4, v36
	v_mfma_f32_16x16x16_bf16 v[34:37], v[34:35], v[4:5], v[18:21]
	v_cvt_pk_f32_fp8_sdwa v[50:51], v16 src0_sel:WORD_1
	s_nop 1
	v_cvt_pk_f32_fp8_e32 v[18:19], v15
	v_perm_b32 v20, v23, v22, s44
	v_perm_b32 v21, v49, v48, s44
	v_cvt_pk_f32_fp8_sdwa v[14:15], v15 src0_sel:WORD_1
	v_perm_b32 v22, v19, v18, s44
	v_cvt_pk_f32_fp8_e32 v[48:49], v16
	v_mfma_f32_16x16x16_bf16 v[18:21], v[20:21], v[10:11], 0
	v_perm_b32 v23, v15, v14, s44
	v_perm_b32 v48, v49, v48, s44
	;; [unrolled: 1-line block ×3, first 2 shown]
	v_cvt_pk_f32_fp8_e32 v[50:51], v17
	v_mfma_f32_16x16x16_bf16 v[14:17], v[22:23], v[12:13], v[18:21]
	v_pk_mul_f32 v[22:23], v[24:25], v[40:41] op_sel_hi:[0,1]
	s_waitcnt vmcnt(3)
	v_cvt_pk_f32_fp8_sdwa v[40:41], v6 src0_sel:WORD_1
	v_perm_b32 v18, v51, v50, s44
	v_perm_b32 v19, v53, v52, s44
	v_mfma_f32_16x16x16_bf16 v[14:17], v[48:49], v[2:3], v[14:17]
	v_pk_mul_f32 v[20:21], v[24:25], v[38:39] op_sel_hi:[0,1]
	v_cvt_pk_f32_fp8_e32 v[38:39], v6
	v_cvt_pk_f32_fp8_e32 v[48:49], v8
	v_mfma_f32_16x16x16_bf16 v[14:17], v[18:19], v[4:5], v[14:17]
	v_cvt_pk_f32_fp8_e32 v[18:19], v7
	v_perm_b32 v38, v39, v38, s44
	v_perm_b32 v39, v41, v40, s44
	v_cvt_pk_f32_fp8_sdwa v[6:7], v7 src0_sel:WORD_1
	v_perm_b32 v18, v19, v18, s44
	v_cvt_pk_f32_fp8_sdwa v[50:51], v8 src0_sel:WORD_1
	v_mfma_f32_16x16x16_bf16 v[38:41], v[38:39], v[10:11], 0
	v_perm_b32 v19, v7, v6, s44
	v_perm_b32 v10, v49, v48, s44
	;; [unrolled: 1-line block ×3, first 2 shown]
	v_cvt_pk_f32_fp8_e32 v[48:49], v9
	v_cvt_pk_f32_fp8_sdwa v[50:51], v9 src0_sel:WORD_1
	v_mfma_f32_16x16x16_bf16 v[6:9], v[18:19], v[12:13], v[38:41]
	v_pk_mul_f32 v[36:37], v[24:25], v[36:37] op_sel_hi:[0,1]
	v_perm_b32 v12, v49, v48, s44
	v_perm_b32 v13, v51, v50, s44
	v_mfma_f32_16x16x16_bf16 v[6:9], v[10:11], v[2:3], v[6:9]
	v_pk_mul_f32 v[40:41], v[24:25], v[34:35] op_sel_hi:[0,1]
	v_pk_mul_f32 v[34:35], v[24:25], v[16:17] op_sel_hi:[0,1]
	;; [unrolled: 1-line block ×3, first 2 shown]
	v_mfma_f32_16x16x16_bf16 v[2:5], v[12:13], v[4:5], v[6:9]
	s_nop 6
	v_pk_mul_f32 v[18:19], v[24:25], v[4:5] op_sel_hi:[0,1]
	v_pk_mul_f32 v[24:25], v[24:25], v[2:3] op_sel_hi:[0,1]
	v_and_b32_e32 v2, 0xc0, v0
	v_add_u32_e32 v2, s5, v2
	v_lshl_or_b32 v2, v42, 2, v2
	v_or_b32_e32 v5, 1, v2
	v_mov_b32_e32 v3, 0xff7fffff
	v_cmp_gt_i32_e64 s[4:5], s33, v2
	v_cmp_gt_i32_e64 s[34:35], s33, v5
	v_or_b32_e32 v6, 3, v2
	v_cndmask_b32_e64 v4, v3, v20, s[4:5]
	v_cndmask_b32_e64 v5, v3, v21, s[34:35]
	v_max3_f32 v4, v4, s46, v5
	v_or_b32_e32 v5, 2, v2
	v_cmp_gt_i32_e64 s[36:37], s33, v5
	v_cmp_gt_i32_e64 s[38:39], s33, v6
	s_nop 0
	v_cndmask_b32_e64 v5, v3, v22, s[36:37]
	v_cndmask_b32_e64 v6, v3, v23, s[38:39]
	v_max3_f32 v4, v4, v5, v6
	v_or_b32_e32 v5, 16, v2
	v_or_b32_e32 v6, 17, v2
	v_cmp_gt_i32_e64 s[24:25], s33, v5
	v_cmp_gt_i32_e64 s[26:27], s33, v6
	s_nop 0
	v_cndmask_b32_e64 v5, v3, v40, s[24:25]
	v_cndmask_b32_e64 v6, v3, v41, s[26:27]
	v_max3_f32 v4, v4, v5, v6
	v_or_b32_e32 v5, 18, v2
	v_or_b32_e32 v6, 19, v2
	v_cmp_gt_i32_e64 s[20:21], s33, v5
	v_cmp_gt_i32_e64 s[22:23], s33, v6
	s_nop 0
	v_cndmask_b32_e64 v5, v3, v36, s[20:21]
	v_cndmask_b32_e64 v6, v3, v37, s[22:23]
	v_max3_f32 v4, v4, v5, v6
	v_or_b32_e32 v5, 32, v2
	v_or_b32_e32 v6, 33, v2
	v_cmp_gt_i32_e64 s[16:17], s33, v5
	v_cmp_gt_i32_e64 s[18:19], s33, v6
	s_nop 0
	v_cndmask_b32_e64 v5, v3, v38, s[16:17]
	v_cndmask_b32_e64 v6, v3, v39, s[18:19]
	v_max3_f32 v4, v4, v5, v6
	v_or_b32_e32 v5, 34, v2
	v_or_b32_e32 v6, 35, v2
	v_cmp_gt_i32_e64 s[12:13], s33, v5
	v_cmp_gt_i32_e64 s[14:15], s33, v6
	s_nop 0
	v_cndmask_b32_e64 v5, v3, v34, s[12:13]
	v_cndmask_b32_e64 v6, v3, v35, s[14:15]
	v_max3_f32 v4, v4, v5, v6
	v_or_b32_e32 v5, 48, v2
	v_or_b32_e32 v6, 49, v2
	v_cmp_gt_i32_e64 s[8:9], s33, v5
	v_cmp_gt_i32_e64 s[10:11], s33, v6
	s_nop 0
	v_cndmask_b32_e64 v5, v3, v24, s[8:9]
	v_cndmask_b32_e64 v6, v3, v25, s[10:11]
	v_max3_f32 v4, v4, v5, v6
	v_or_b32_e32 v5, 50, v2
	v_or_b32_e32 v2, 51, v2
	v_cmp_gt_i32_e32 vcc, s33, v5
	v_cmp_gt_i32_e64 s[6:7], s33, v2
	s_nop 0
	v_cndmask_b32_e32 v5, v3, v18, vcc
	v_cndmask_b32_e64 v2, v3, v19, s[6:7]
	v_max3_f32 v4, v4, v5, v2
	v_mbcnt_lo_u32_b32 v2, -1, 0
	v_mbcnt_hi_u32_b32 v5, -1, v2
	v_and_b32_e32 v2, 64, v5
	v_add_u32_e32 v6, 64, v2
	v_xor_b32_e32 v2, 32, v5
	v_cmp_lt_i32_e64 s[40:41], v2, v6
	s_nop 1
	v_cndmask_b32_e64 v2, v5, v2, s[40:41]
	v_lshlrev_b32_e32 v47, 2, v2
	ds_bpermute_b32 v7, v47, v4
	s_waitcnt vmcnt(2)
	v_mad_i64_i32 v[2:3], s[40:41], v46, s45, v[30:31]
	global_load_dwordx4 v[14:17], v[32:33], off
	global_load_dwordx4 v[10:13], v[2:3], off
	v_xor_b32_e32 v3, 16, v5
	v_cmp_lt_i32_e64 s[40:41], v3, v6
	s_waitcnt lgkmcnt(0)
	v_max_f32_e32 v2, v7, v7
	v_max_f32_e32 v2, v4, v2
	v_cndmask_b32_e64 v3, v5, v3, s[40:41]
	v_lshlrev_b32_e32 v46, 2, v3
	ds_bpermute_b32 v3, v46, v2
	s_waitcnt vmcnt(3)
	v_mad_i64_i32 v[32:33], s[40:41], v27, s45, v[30:31]
	s_waitcnt vmcnt(2)
	v_mad_i64_i32 v[30:31], s[40:41], v45, s45, v[30:31]
	s_waitcnt lgkmcnt(0)
	v_max_f32_e32 v3, v3, v3
	v_max_f32_e32 v27, v2, v3
	v_sub_f32_e32 v2, v20, v27
	v_mul_f32_e32 v2, 0x3fb8aa3b, v2
	v_exp_f32_e32 v20, v2
	v_sub_f32_e32 v2, v21, v27
	v_mul_f32_e32 v2, 0x3fb8aa3b, v2
	v_exp_f32_e32 v21, v2
	global_load_dwordx4 v[6:9], v[32:33], off
	global_load_dwordx4 v[2:5], v[30:31], off
	v_sub_f32_e32 v22, v22, v27
	v_mul_f32_e32 v22, 0x3fb8aa3b, v22
	v_sub_f32_e32 v23, v23, v27
	v_exp_f32_e32 v22, v22
	v_mul_f32_e32 v23, 0x3fb8aa3b, v23
	v_exp_f32_e32 v23, v23
	v_cndmask_b32_e64 v20, 0, v20, s[4:5]
	v_add_f32_e32 v30, 0, v20
	v_cndmask_b32_e64 v21, 0, v21, s[34:35]
	v_add_f32_e32 v30, v30, v21
	v_cndmask_b32_e64 v32, 0, v22, s[36:37]
	v_add_f32_e32 v22, v30, v32
	v_cndmask_b32_e64 v33, 0, v23, s[38:39]
	v_sub_f32_e32 v23, v40, v27
	v_sub_f32_e32 v30, v41, v27
	v_mul_f32_e32 v23, 0x3fb8aa3b, v23
	v_mul_f32_e32 v30, 0x3fb8aa3b, v30
	v_exp_f32_e32 v23, v23
	v_exp_f32_e32 v30, v30
	v_add_f32_e32 v31, v22, v33
	v_sub_f32_e32 v34, v34, v27
	v_cndmask_b32_e64 v22, 0, v23, s[24:25]
	v_cndmask_b32_e64 v23, 0, v30, s[26:27]
	v_sub_f32_e32 v30, v36, v27
	v_mul_f32_e32 v30, 0x3fb8aa3b, v30
	v_exp_f32_e32 v30, v30
	v_sub_f32_e32 v36, v37, v27
	v_add_f32_e32 v31, v31, v22
	v_mul_f32_e32 v36, 0x3fb8aa3b, v36
	v_exp_f32_e32 v37, v36
	v_add_f32_e32 v31, v31, v23
	v_cndmask_b32_e64 v36, 0, v30, s[20:21]
	v_add_f32_e32 v30, v31, v36
	v_sub_f32_e32 v31, v38, v27
	v_mul_f32_e32 v31, 0x3fb8aa3b, v31
	v_sub_f32_e32 v38, v39, v27
	v_exp_f32_e32 v31, v31
	v_mul_f32_e32 v38, 0x3fb8aa3b, v38
	v_exp_f32_e32 v38, v38
	v_mul_f32_e32 v34, 0x3fb8aa3b, v34
	v_sub_f32_e32 v35, v35, v27
	v_exp_f32_e32 v34, v34
	v_mul_f32_e32 v35, 0x3fb8aa3b, v35
	v_sub_f32_e32 v24, v24, v27
	v_cndmask_b32_e64 v37, 0, v37, s[22:23]
	v_exp_f32_e32 v35, v35
	v_mul_f32_e32 v24, 0x3fb8aa3b, v24
	v_sub_f32_e32 v25, v25, v27
	v_add_f32_e32 v39, v30, v37
	v_cndmask_b32_e64 v30, 0, v31, s[16:17]
	v_exp_f32_e32 v24, v24
	v_mul_f32_e32 v25, 0x3fb8aa3b, v25
	v_sub_f32_e32 v18, v18, v27
	v_add_f32_e32 v39, v39, v30
	;; [unrolled: 5-line block ×3, first 2 shown]
	v_cndmask_b32_e64 v34, 0, v34, s[12:13]
	v_exp_f32_e32 v18, v18
	v_mul_f32_e32 v19, 0x3fb8aa3b, v19
	v_add_f32_e32 v38, v38, v34
	v_cndmask_b32_e64 v35, 0, v35, s[14:15]
	v_exp_f32_e32 v19, v19
	v_add_f32_e32 v38, v38, v35
	v_cndmask_b32_e64 v24, 0, v24, s[8:9]
	v_add_f32_e32 v38, v38, v24
	v_cndmask_b32_e64 v25, 0, v25, s[10:11]
	v_add_f32_e32 v38, v38, v25
	v_cndmask_b32_e32 v18, 0, v18, vcc
	v_add_f32_e32 v38, v38, v18
	v_cndmask_b32_e64 v19, 0, v19, s[6:7]
	v_add_f32_e32 v38, v38, v19
	ds_bpermute_b32 v39, v47, v38
	v_cmp_gt_u32_e32 vcc, 16, v44
	s_waitcnt lgkmcnt(0)
	s_barrier
	v_add_f32_e32 v39, v38, v39
	ds_bpermute_b32 v40, v46, v39
	v_lshlrev_b32_e32 v38, 2, v28
	s_and_saveexec_b64 s[4:5], vcc
	s_cbranch_execz .LBB1166_13
; %bb.12:
	s_waitcnt lgkmcnt(0)
	v_add_f32_e32 v39, v39, v40
	v_lshl_or_b32 v40, v29, 6, v38
	ds_write2st64_b32 v40, v27, v39 offset1:1
.LBB1166_13:
	s_or_b64 exec, exec, s[4:5]
	s_load_dword s6, s[0:1], 0x94
	s_waitcnt lgkmcnt(0)
	s_barrier
	ds_read2_b32 v[40:41], v38 offset1:16
	ds_read2_b32 v[44:45], v38 offset0:32 offset1:48
	ds_read2_b32 v[46:47], v38 offset0:64 offset1:80
	s_movk_i32 s8, 0x7fff
	s_mul_i32 s7, s29, 3
	s_waitcnt lgkmcnt(2)
	v_max3_f32 v27, v40, s46, v41
	s_waitcnt lgkmcnt(1)
	v_max3_f32 v27, v27, v44, v45
	v_sub_f32_e32 v39, v40, v27
	v_sub_f32_e32 v40, v41, v27
	v_mul_f32_e32 v40, 0x3fb8aa3b, v40
	v_mul_f32_e32 v39, 0x3fb8aa3b, v39
	v_exp_f32_e32 v48, v40
	v_sub_f32_e32 v40, v44, v27
	v_exp_f32_e32 v39, v39
	v_mul_f32_e32 v40, 0x3fb8aa3b, v40
	v_exp_f32_e32 v44, v40
	ds_read2_b32 v[40:41], v38 offset0:96 offset1:112
	v_sub_f32_e32 v38, v45, v27
	v_mul_f32_e32 v38, 0x3fb8aa3b, v38
	v_exp_f32_e32 v45, v38
	s_waitcnt lgkmcnt(1)
	v_fma_f32 v38, v39, v46, 0
	v_fmac_f32_e32 v38, v48, v47
	s_waitcnt lgkmcnt(0)
	v_fmac_f32_e32 v38, v44, v40
	v_fmac_f32_e32 v38, v45, v41
	v_add_f32_e32 v40, 0x358637bd, v38
	v_div_scale_f32 v41, s[4:5], v40, v40, 1.0
	v_rcp_f32_e32 v46, v41
	s_barrier
	v_fma_f32 v47, -v41, v46, 1.0
	v_fmac_f32_e32 v46, v47, v46
	v_div_scale_f32 v47, vcc, 1.0, v40, 1.0
	v_mul_f32_e32 v49, v47, v46
	v_fma_f32 v50, -v41, v49, v47
	v_fmac_f32_e32 v49, v50, v46
	v_fma_f32 v41, -v41, v49, v47
	v_div_fmas_f32 v41, v41, v46, v49
	v_cmp_eq_u32_e32 vcc, 1, v29
	v_div_fixup_f32 v40, v41, v40, 1.0
	s_nop 0
	v_cndmask_b32_e32 v39, v39, v48, vcc
	v_cmp_eq_u32_e32 vcc, 2, v29
	s_nop 1
	v_cndmask_b32_e32 v39, v39, v44, vcc
	v_cmp_eq_u32_e32 vcc, 3, v29
	v_lshlrev_b32_e32 v29, 11, v29
	s_nop 0
	v_cndmask_b32_e32 v39, v39, v45, vcc
	v_mul_f32_e32 v40, v39, v40
	v_pk_mul_f32 v[20:21], v[40:41], v[20:21] op_sel_hi:[0,1]
	v_pk_mul_f32 v[32:33], v[40:41], v[32:33] op_sel_hi:[0,1]
	v_bfe_u32 v39, v21, 16, 1
	v_bfe_u32 v41, v20, 16, 1
	v_add3_u32 v20, v20, v41, s8
	v_add3_u32 v21, v21, v39, s8
	v_perm_b32 v44, v21, v20, s44
	v_bfe_u32 v20, v33, 16, 1
	v_bfe_u32 v21, v32, 16, 1
	v_add3_u32 v21, v32, v21, s8
	v_add3_u32 v20, v33, v20, s8
	v_perm_b32 v45, v20, v21, s44
	v_lshlrev_b32_e32 v20, 3, v42
	v_lshlrev_b32_e32 v21, 5, v28
	v_pk_mul_f32 v[22:23], v[40:41], v[22:23] op_sel_hi:[0,1]
	v_or3_b32 v20, v29, v21, v20
	v_pk_mul_f32 v[32:33], v[40:41], v[36:37] op_sel_hi:[0,1]
	v_bfe_u32 v29, v23, 16, 1
	v_bfe_u32 v36, v22, 16, 1
	v_add3_u32 v22, v22, v36, s8
	v_add3_u32 v23, v23, v29, s8
	v_perm_b32 v22, v23, v22, s44
	v_bfe_u32 v23, v33, 16, 1
	v_bfe_u32 v29, v32, 16, 1
	v_add3_u32 v29, v32, v29, s8
	v_add3_u32 v23, v33, v23, s8
	v_pk_mul_f32 v[30:31], v[40:41], v[30:31] op_sel_hi:[0,1]
	v_perm_b32 v23, v23, v29, s44
	v_bfe_u32 v29, v31, 16, 1
	v_bfe_u32 v32, v30, 16, 1
	ds_write2st64_b64 v20, v[44:45], v[22:23] offset1:1
	v_pk_mul_f32 v[22:23], v[40:41], v[34:35] op_sel_hi:[0,1]
	v_add3_u32 v30, v30, v32, s8
	v_add3_u32 v29, v31, v29, s8
	v_perm_b32 v30, v29, v30, s44
	v_bfe_u32 v29, v23, 16, 1
	v_bfe_u32 v31, v22, 16, 1
	v_add3_u32 v22, v22, v31, s8
	v_add3_u32 v23, v23, v29, s8
	v_perm_b32 v31, v23, v22, s44
	v_pk_mul_f32 v[22:23], v[40:41], v[24:25] op_sel_hi:[0,1]
	v_bfe_u32 v24, v23, 16, 1
	v_bfe_u32 v25, v22, 16, 1
	v_pk_mul_f32 v[18:19], v[40:41], v[18:19] op_sel_hi:[0,1]
	v_add3_u32 v22, v22, v25, s8
	v_add3_u32 v23, v23, v24, s8
	v_perm_b32 v22, v23, v22, s44
	v_bfe_u32 v23, v19, 16, 1
	v_bfe_u32 v24, v18, 16, 1
	v_add3_u32 v18, v18, v24, s8
	v_add3_u32 v19, v19, v23, s8
	v_perm_b32 v23, v19, v18, s44
	v_cmp_gt_u32_e32 vcc, 3, v0
	ds_write2st64_b64 v20, v[30:31], v[22:23] offset0:2 offset1:3
	s_and_saveexec_b64 s[4:5], vcc
	s_cbranch_execz .LBB1166_15
; %bb.14:
	s_mov_b32 s49, 0
	v_mov_b32_e32 v29, 0
	v_lshl_add_u64 v[18:19], s[48:49], 0, v[28:29]
	v_mov_b32_e32 v22, s7
	v_mad_u64_u32 v[18:19], s[10:11], s2, v22, v[18:19]
	s_mul_i32 s3, s3, s7
	v_mov_b32_e32 v28, s28
	s_load_dwordx4 s[12:15], s[0:1], 0x58
	v_add_u32_e32 v23, s3, v19
	v_mad_u64_u32 v[18:19], s[10:11], v18, s6, v[28:29]
	v_mov_b32_e32 v22, v19
	v_mad_u64_u32 v[22:23], s[10:11], v23, s6, v[22:23]
	v_mov_b32_e32 v19, v22
	v_lshlrev_b64 v[18:19], 2, v[18:19]
	s_waitcnt lgkmcnt(0)
	v_lshl_add_u64 v[22:23], s[14:15], 0, v[18:19]
	v_lshl_add_u64 v[18:19], s[12:13], 0, v[18:19]
	global_store_dword v[22:23], v27, off
	global_store_dword v[18:19], v38, off
.LBB1166_15:
	s_or_b64 exec, exec, s[4:5]
	s_waitcnt vmcnt(3)
	v_cvt_pk_f32_fp8_e32 v[18:19], v14
	v_cvt_pk_f32_fp8_sdwa v[22:23], v14 src0_sel:WORD_1
	s_mov_b32 s4, 0x7060302
	v_lshl_or_b32 v14, v42, 9, v21
	s_waitcnt lgkmcnt(0)
	s_barrier
	v_perm_b32 v18, v19, v18, s4
	v_perm_b32 v19, v23, v22, s4
	v_cvt_pk_f32_fp8_e32 v[28:29], v15
	ds_read_b128 v[22:25], v14
	v_cvt_pk_f32_fp8_sdwa v[36:37], v15 src0_sel:WORD_1
	s_load_dword s10, s[42:43], 0x0
	v_perm_b32 v38, v29, v28, s4
	ds_read_b128 v[28:31], v14 offset:16
	v_perm_b32 v39, v37, v36, s4
	s_waitcnt lgkmcnt(0)
	v_mfma_f32_16x16x16_bf16 v[32:35], v[18:19], v[22:23], 0
	v_cvt_pk_f32_fp8_e32 v[18:19], v16
	v_cvt_pk_f32_fp8_sdwa v[36:37], v16 src0_sel:WORD_1
	v_cmp_gt_u32_e32 vcc, 64, v0
	v_mfma_f32_16x16x16_bf16 v[22:25], v[38:39], v[24:25], v[32:35]
	v_perm_b32 v18, v19, v18, s4
	v_perm_b32 v19, v37, v36, s4
	s_waitcnt vmcnt(2)
	v_cvt_pk_f32_fp8_sdwa v[36:37], v10 src0_sel:WORD_1
	v_cvt_pk_f32_fp8_e32 v[32:33], v17
	v_cvt_pk_f32_fp8_sdwa v[16:17], v17 src0_sel:WORD_1
	v_cvt_pk_f32_fp8_e32 v[34:35], v10
	s_mov_b32 s3, 0
	v_perm_b32 v32, v33, v32, s4
	v_perm_b32 v33, v17, v16, s4
	v_mfma_f32_16x16x16_bf16 v[16:19], v[18:19], v[28:29], v[22:25]
	v_perm_b32 v34, v35, v34, s4
	v_perm_b32 v35, v37, v36, s4
	v_cvt_pk_f32_fp8_e32 v[28:29], v11
	ds_read_b128 v[22:25], v14 offset:2048
	v_cvt_pk_f32_fp8_sdwa v[10:11], v11 src0_sel:WORD_1
	v_mfma_f32_16x16x16_bf16 v[16:19], v[32:33], v[30:31], v[16:19]
	v_perm_b32 v32, v29, v28, s4
	ds_read_b128 v[28:31], v14 offset:2064
	v_perm_b32 v33, v11, v10, s4
	s_waitcnt lgkmcnt(1)
	v_mfma_f32_16x16x16_bf16 v[16:19], v[34:35], v[22:23], v[16:19]
	v_cvt_pk_f32_fp8_e32 v[10:11], v12
	v_cvt_pk_f32_fp8_sdwa v[22:23], v12 src0_sel:WORD_1
	v_mov_b32_e32 v27, 0
	v_mfma_f32_16x16x16_bf16 v[16:19], v[32:33], v[24:25], v[16:19]
	v_cvt_pk_f32_fp8_e32 v[24:25], v13
	v_perm_b32 v10, v11, v10, s4
	v_perm_b32 v11, v23, v22, s4
	v_cvt_pk_f32_fp8_sdwa v[12:13], v13 src0_sel:WORD_1
	v_perm_b32 v22, v25, v24, s4
	s_waitcnt vmcnt(1)
	v_cvt_pk_f32_fp8_e32 v[24:25], v6
	v_cvt_pk_f32_fp8_sdwa v[32:33], v6 src0_sel:WORD_1
	v_perm_b32 v23, v13, v12, s4
	s_waitcnt lgkmcnt(0)
	v_mfma_f32_16x16x16_bf16 v[10:13], v[10:11], v[28:29], v[16:19]
	v_perm_b32 v28, v25, v24, s4
	v_perm_b32 v29, v33, v32, s4
	v_cvt_pk_f32_fp8_e32 v[24:25], v7
	ds_read_b128 v[16:19], v14 offset:4096
	v_cvt_pk_f32_fp8_sdwa v[6:7], v7 src0_sel:WORD_1
	v_mfma_f32_16x16x16_bf16 v[10:13], v[22:23], v[30:31], v[10:13]
	v_perm_b32 v30, v25, v24, s4
	ds_read_b128 v[22:25], v14 offset:4112
	v_perm_b32 v31, v7, v6, s4
	s_waitcnt lgkmcnt(1)
	v_mfma_f32_16x16x16_bf16 v[10:13], v[28:29], v[16:17], v[10:13]
	v_cvt_pk_f32_fp8_e32 v[6:7], v8
	v_cvt_pk_f32_fp8_sdwa v[16:17], v8 src0_sel:WORD_1
	s_waitcnt vmcnt(0)
	v_cvt_pk_f32_fp8_sdwa v[28:29], v2 src0_sel:WORD_1
	v_mfma_f32_16x16x16_bf16 v[10:13], v[30:31], v[18:19], v[10:13]
	v_cvt_pk_f32_fp8_e32 v[18:19], v9
	v_perm_b32 v6, v7, v6, s4
	v_perm_b32 v7, v17, v16, s4
	v_cvt_pk_f32_fp8_sdwa v[8:9], v9 src0_sel:WORD_1
	v_perm_b32 v16, v19, v18, s4
	v_cvt_pk_f32_fp8_e32 v[18:19], v2
	v_perm_b32 v17, v9, v8, s4
	s_waitcnt lgkmcnt(0)
	v_mfma_f32_16x16x16_bf16 v[6:9], v[6:7], v[22:23], v[10:13]
	v_perm_b32 v18, v19, v18, s4
	v_perm_b32 v19, v29, v28, s4
	v_cvt_pk_f32_fp8_e32 v[22:23], v3
	ds_read_b128 v[10:13], v14 offset:6144
	v_cvt_pk_f32_fp8_sdwa v[2:3], v3 src0_sel:WORD_1
	v_mfma_f32_16x16x16_bf16 v[6:9], v[16:17], v[24:25], v[6:9]
	v_perm_b32 v22, v23, v22, s4
	ds_read_b128 v[14:17], v14 offset:6160
	v_perm_b32 v23, v3, v2, s4
	s_waitcnt lgkmcnt(1)
	v_mfma_f32_16x16x16_bf16 v[6:9], v[18:19], v[10:11], v[6:9]
	v_cvt_pk_f32_fp8_e32 v[2:3], v4
	v_cvt_pk_f32_fp8_sdwa v[10:11], v4 src0_sel:WORD_1
	s_waitcnt lgkmcnt(0)
	v_mfma_f32_16x16x16_bf16 v[6:9], v[22:23], v[12:13], v[6:9]
	v_perm_b32 v2, v3, v2, s4
	v_perm_b32 v3, v11, v10, s4
	v_cvt_pk_f32_fp8_e32 v[10:11], v5
	v_cvt_pk_f32_fp8_sdwa v[4:5], v5 src0_sel:WORD_1
	s_barrier
	v_perm_b32 v10, v11, v10, s4
	v_perm_b32 v11, v5, v4, s4
	v_mfma_f32_16x16x16_bf16 v[2:5], v[2:3], v[14:15], v[6:9]
	s_nop 0
	v_mfma_f32_16x16x16_bf16 v[2:5], v[10:11], v[16:17], v[2:5]
	s_nop 6
	v_pk_mul_f32 v[2:3], v[2:3], s[10:11] op_sel_hi:[1,0]
	v_pk_mul_f32 v[4:5], v[4:5], s[10:11] op_sel_hi:[1,0]
	v_bfe_u32 v6, v3, 16, 1
	v_bfe_u32 v7, v2, 16, 1
	v_add3_u32 v2, v2, v7, s8
	v_add3_u32 v3, v3, v6, s8
	v_perm_b32 v2, v3, v2, s4
	v_bfe_u32 v3, v5, 16, 1
	v_bfe_u32 v6, v4, 16, 1
	v_add3_u32 v4, v4, v6, s8
	v_add3_u32 v3, v5, v3, s8
	v_perm_b32 v3, v3, v4, s4
	v_cmp_ne_u32_e64 s[4:5], 3, v42
	s_and_b64 s[4:5], s[4:5], vcc
	s_and_b64 s[4:5], s[4:5], s[30:31]
	ds_write_b64 v20, v[2:3]
	s_waitcnt lgkmcnt(0)
	s_barrier
	s_and_saveexec_b64 s[8:9], s[4:5]
	s_cbranch_execz .LBB1166_17
; %bb.16:
	s_load_dwordx2 s[0:1], s[0:1], 0x68
	s_mul_i32 s2, s7, s2
	s_lshl_b32 s6, s6, 6
	s_mul_hi_u32 s5, s2, s6
	s_mul_i32 s4, s2, s6
	v_lshlrev_b32_e32 v0, 10, v0
	s_lshl_b64 s[4:5], s[4:5], 1
	v_and_b32_e32 v0, 0x1800, v0
	v_lshlrev_b32_e32 v2, 5, v42
	v_and_b32_e32 v3, 16, v43
	s_waitcnt lgkmcnt(0)
	s_add_u32 s4, s0, s4
	v_or3_b32 v0, v0, v2, v3
	s_addc_u32 s5, s1, s5
	s_lshl_b32 s2, s28, 6
	ds_read_b128 v[2:5], v0
	s_lshl_b64 s[0:1], s[2:3], 1
	s_add_u32 s0, s4, s0
	s_addc_u32 s1, s5, s1
	v_mad_u64_u32 v[0:1], s[2:3], s6, v1, 0
	v_lshl_add_u64 v[0:1], v[0:1], 1, s[0:1]
	v_lshl_add_u64 v[0:1], v[0:1], 0, v[26:27]
	s_waitcnt lgkmcnt(0)
	global_store_dwordx4 v[0:1], v[2:5], off
.LBB1166_17:
	s_endpgm
	.section	.rodata,"a",@progbits
	.p2align	6, 0x0
	.amdhsa_kernel _Z39paged_attention_ll4mi_QKV_mfma16_kernelI14__hip_bfloat16hLN4vllm18Fp8KVCacheDataTypeE1ES0_Li16ELi64ELi256ELb0ELi3EEvPKT_PKT0_S8_ifPKiSA_SA_iPKfiiiPfSD_PS3_PT2_iSC_SC_
		.amdhsa_group_segment_fixed_size 8192
		.amdhsa_private_segment_fixed_size 0
		.amdhsa_kernarg_size 400
		.amdhsa_user_sgpr_count 2
		.amdhsa_user_sgpr_dispatch_ptr 0
		.amdhsa_user_sgpr_queue_ptr 0
		.amdhsa_user_sgpr_kernarg_segment_ptr 1
		.amdhsa_user_sgpr_dispatch_id 0
		.amdhsa_user_sgpr_kernarg_preload_length 0
		.amdhsa_user_sgpr_kernarg_preload_offset 0
		.amdhsa_user_sgpr_private_segment_size 0
		.amdhsa_uses_dynamic_stack 0
		.amdhsa_enable_private_segment 0
		.amdhsa_system_sgpr_workgroup_id_x 1
		.amdhsa_system_sgpr_workgroup_id_y 1
		.amdhsa_system_sgpr_workgroup_id_z 1
		.amdhsa_system_sgpr_workgroup_info 0
		.amdhsa_system_vgpr_workitem_id 0
		.amdhsa_next_free_vgpr 60
		.amdhsa_next_free_sgpr 50
		.amdhsa_accum_offset 60
		.amdhsa_reserve_vcc 1
		.amdhsa_float_round_mode_32 0
		.amdhsa_float_round_mode_16_64 0
		.amdhsa_float_denorm_mode_32 3
		.amdhsa_float_denorm_mode_16_64 3
		.amdhsa_dx10_clamp 1
		.amdhsa_ieee_mode 1
		.amdhsa_fp16_overflow 0
		.amdhsa_tg_split 0
		.amdhsa_exception_fp_ieee_invalid_op 0
		.amdhsa_exception_fp_denorm_src 0
		.amdhsa_exception_fp_ieee_div_zero 0
		.amdhsa_exception_fp_ieee_overflow 0
		.amdhsa_exception_fp_ieee_underflow 0
		.amdhsa_exception_fp_ieee_inexact 0
		.amdhsa_exception_int_div_zero 0
	.end_amdhsa_kernel
	.section	.text._Z39paged_attention_ll4mi_QKV_mfma16_kernelI14__hip_bfloat16hLN4vllm18Fp8KVCacheDataTypeE1ES0_Li16ELi64ELi256ELb0ELi3EEvPKT_PKT0_S8_ifPKiSA_SA_iPKfiiiPfSD_PS3_PT2_iSC_SC_,"axG",@progbits,_Z39paged_attention_ll4mi_QKV_mfma16_kernelI14__hip_bfloat16hLN4vllm18Fp8KVCacheDataTypeE1ES0_Li16ELi64ELi256ELb0ELi3EEvPKT_PKT0_S8_ifPKiSA_SA_iPKfiiiPfSD_PS3_PT2_iSC_SC_,comdat
.Lfunc_end1166:
	.size	_Z39paged_attention_ll4mi_QKV_mfma16_kernelI14__hip_bfloat16hLN4vllm18Fp8KVCacheDataTypeE1ES0_Li16ELi64ELi256ELb0ELi3EEvPKT_PKT0_S8_ifPKiSA_SA_iPKfiiiPfSD_PS3_PT2_iSC_SC_, .Lfunc_end1166-_Z39paged_attention_ll4mi_QKV_mfma16_kernelI14__hip_bfloat16hLN4vllm18Fp8KVCacheDataTypeE1ES0_Li16ELi64ELi256ELb0ELi3EEvPKT_PKT0_S8_ifPKiSA_SA_iPKfiiiPfSD_PS3_PT2_iSC_SC_
                                        ; -- End function
	.section	.AMDGPU.csdata,"",@progbits
; Kernel info:
; codeLenInByte = 4780
; NumSgprs: 56
; NumVgprs: 60
; NumAgprs: 0
; TotalNumVgprs: 60
; ScratchSize: 0
; MemoryBound: 0
; FloatMode: 240
; IeeeMode: 1
; LDSByteSize: 8192 bytes/workgroup (compile time only)
; SGPRBlocks: 6
; VGPRBlocks: 7
; NumSGPRsForWavesPerEU: 56
; NumVGPRsForWavesPerEU: 60
; AccumOffset: 60
; Occupancy: 8
; WaveLimiterHint : 1
; COMPUTE_PGM_RSRC2:SCRATCH_EN: 0
; COMPUTE_PGM_RSRC2:USER_SGPR: 2
; COMPUTE_PGM_RSRC2:TRAP_HANDLER: 0
; COMPUTE_PGM_RSRC2:TGID_X_EN: 1
; COMPUTE_PGM_RSRC2:TGID_Y_EN: 1
; COMPUTE_PGM_RSRC2:TGID_Z_EN: 1
; COMPUTE_PGM_RSRC2:TIDIG_COMP_CNT: 0
; COMPUTE_PGM_RSRC3_GFX90A:ACCUM_OFFSET: 14
; COMPUTE_PGM_RSRC3_GFX90A:TG_SPLIT: 0
	.section	.text._Z39paged_attention_ll4mi_QKV_mfma16_kernelI14__hip_bfloat16hLN4vllm18Fp8KVCacheDataTypeE1ES0_Li16ELi64ELi256ELb0ELi4EEvPKT_PKT0_S8_ifPKiSA_SA_iPKfiiiPfSD_PS3_PT2_iSC_SC_,"axG",@progbits,_Z39paged_attention_ll4mi_QKV_mfma16_kernelI14__hip_bfloat16hLN4vllm18Fp8KVCacheDataTypeE1ES0_Li16ELi64ELi256ELb0ELi4EEvPKT_PKT0_S8_ifPKiSA_SA_iPKfiiiPfSD_PS3_PT2_iSC_SC_,comdat
	.protected	_Z39paged_attention_ll4mi_QKV_mfma16_kernelI14__hip_bfloat16hLN4vllm18Fp8KVCacheDataTypeE1ES0_Li16ELi64ELi256ELb0ELi4EEvPKT_PKT0_S8_ifPKiSA_SA_iPKfiiiPfSD_PS3_PT2_iSC_SC_ ; -- Begin function _Z39paged_attention_ll4mi_QKV_mfma16_kernelI14__hip_bfloat16hLN4vllm18Fp8KVCacheDataTypeE1ES0_Li16ELi64ELi256ELb0ELi4EEvPKT_PKT0_S8_ifPKiSA_SA_iPKfiiiPfSD_PS3_PT2_iSC_SC_
	.globl	_Z39paged_attention_ll4mi_QKV_mfma16_kernelI14__hip_bfloat16hLN4vllm18Fp8KVCacheDataTypeE1ES0_Li16ELi64ELi256ELb0ELi4EEvPKT_PKT0_S8_ifPKiSA_SA_iPKfiiiPfSD_PS3_PT2_iSC_SC_
	.p2align	8
	.type	_Z39paged_attention_ll4mi_QKV_mfma16_kernelI14__hip_bfloat16hLN4vllm18Fp8KVCacheDataTypeE1ES0_Li16ELi64ELi256ELb0ELi4EEvPKT_PKT0_S8_ifPKiSA_SA_iPKfiiiPfSD_PS3_PT2_iSC_SC_,@function
_Z39paged_attention_ll4mi_QKV_mfma16_kernelI14__hip_bfloat16hLN4vllm18Fp8KVCacheDataTypeE1ES0_Li16ELi64ELi256ELb0ELi4EEvPKT_PKT0_S8_ifPKiSA_SA_iPKfiiiPfSD_PS3_PT2_iSC_SC_: ; @_Z39paged_attention_ll4mi_QKV_mfma16_kernelI14__hip_bfloat16hLN4vllm18Fp8KVCacheDataTypeE1ES0_Li16ELi64ELi256ELb0ELi4EEvPKT_PKT0_S8_ifPKiSA_SA_iPKfiiiPfSD_PS3_PT2_iSC_SC_
; %bb.0:
	s_load_dwordx2 s[6:7], s[0:1], 0x30
	s_mov_b32 s26, s3
	s_mov_b64 s[8:9], 0
	s_waitcnt lgkmcnt(0)
	s_cmp_lg_u64 s[6:7], 0
	s_cselect_b64 s[14:15], -1, 0
	s_and_b64 vcc, exec, s[14:15]
	s_cbranch_vccz .LBB1167_7
; %bb.1:
	s_add_i32 s10, s2, 1
	s_mov_b32 s11, 0
	s_lshl_b64 s[12:13], s[10:11], 2
	s_add_u32 s12, s6, s12
	s_mov_b32 s3, s11
	s_addc_u32 s13, s7, s13
	s_lshl_b64 s[10:11], s[2:3], 2
	s_add_u32 s10, s6, s10
	s_addc_u32 s11, s7, s11
	s_load_dword s5, s[12:13], 0x0
	s_load_dword s16, s[10:11], 0x0
	s_waitcnt lgkmcnt(0)
	s_sub_i32 s5, s5, s16
	s_cmp_eq_u32 s5, 1
	s_cselect_b64 s[10:11], -1, 0
	s_andn2_b64 vcc, exec, s[8:9]
	s_cbranch_vccnz .LBB1167_3
.LBB1167_2:
	s_mov_b32 s3, 0
	s_mov_b64 s[10:11], -1
.LBB1167_3:
	s_andn2_b64 vcc, exec, s[10:11]
	s_cbranch_vccnz .LBB1167_17
; %bb.4:
	s_load_dwordx2 s[8:9], s[0:1], 0x28
	s_lshl_b64 s[16:17], s[2:3], 2
	s_waitcnt lgkmcnt(0)
	s_add_u32 s8, s8, s16
	s_addc_u32 s9, s9, s17
	s_load_dword s5, s[8:9], 0x0
	s_lshl_b32 s18, s26, 8
	s_waitcnt lgkmcnt(0)
	s_cmp_ge_i32 s18, s5
	s_cbranch_scc1 .LBB1167_17
; %bb.5:
	s_load_dwordx2 s[8:9], s[0:1], 0x20
	s_load_dword s10, s[0:1], 0x38
	s_add_i32 s11, s5, 15
	s_ashr_i32 s12, s11, 31
	v_and_b32_e32 v1, 0xcf, v0
	s_lshr_b32 s12, s12, 28
	v_add_u32_e32 v1, s18, v1
	s_add_i32 s11, s11, s12
	v_ashrrev_i32_e32 v2, 31, v1
	s_ashr_i32 s19, s11, 4
	v_lshrrev_b32_e32 v4, 28, v2
	s_add_i32 s19, s19, -1
	s_waitcnt lgkmcnt(0)
	s_mul_i32 s10, s2, s10
	s_mov_b32 s11, 0
	v_add_u32_e32 v2, v1, v4
	s_lshl_b64 s[10:11], s[10:11], 2
	v_ashrrev_i32_e32 v2, 4, v2
	v_mov_b32_e32 v5, s19
	v_cmp_gt_i32_e32 vcc, s5, v1
	s_add_u32 s12, s8, s10
	s_addc_u32 s13, s9, s11
	v_cndmask_b32_e32 v2, v5, v2, vcc
	v_ashrrev_i32_e32 v3, 31, v2
	v_lshl_add_u64 v[6:7], v[2:3], 2, s[12:13]
	v_or_b32_e32 v2, 16, v1
	v_add_u32_e32 v3, v2, v4
	v_ashrrev_i32_e32 v3, 4, v3
	v_cmp_gt_i32_e32 vcc, s5, v2
	s_load_dwordx4 s[8:11], s[0:1], 0x8
	s_nop 0
	v_cndmask_b32_e32 v2, v5, v3, vcc
	v_ashrrev_i32_e32 v3, 31, v2
	v_lshl_add_u64 v[8:9], v[2:3], 2, s[12:13]
	v_or_b32_e32 v2, 32, v1
	v_add_u32_e32 v3, v2, v4
	v_ashrrev_i32_e32 v3, 4, v3
	v_cmp_gt_i32_e32 vcc, s5, v2
	v_or_b32_e32 v1, 48, v1
	s_nop 0
	v_cndmask_b32_e32 v2, v5, v3, vcc
	v_ashrrev_i32_e32 v3, 31, v2
	v_lshl_add_u64 v[10:11], v[2:3], 2, s[12:13]
	v_add_u32_e32 v2, v1, v4
	v_ashrrev_i32_e32 v2, 4, v2
	v_cmp_gt_i32_e32 vcc, s5, v1
	s_nop 1
	v_cndmask_b32_e32 v2, v5, v2, vcc
	v_ashrrev_i32_e32 v3, 31, v2
	v_lshl_add_u64 v[12:13], v[2:3], 2, s[12:13]
	global_load_dword v4, v[6:7], off
	global_load_dword v3, v[8:9], off
	;; [unrolled: 1-line block ×4, first 2 shown]
	s_andn2_b64 vcc, exec, s[14:15]
	s_cbranch_vccnz .LBB1167_8
; %bb.6:
	s_add_u32 s6, s6, s16
	s_addc_u32 s7, s7, s17
	s_load_dword s14, s[6:7], 0x0
	s_branch .LBB1167_9
.LBB1167_7:
	s_mov_b64 s[10:11], 0
	s_branch .LBB1167_2
.LBB1167_8:
	s_mov_b32 s14, s2
.LBB1167_9:
	s_load_dwordx4 s[44:47], s[0:1], 0x48
	v_and_b32_e32 v44, 15, v0
	v_bfe_u32 v42, v0, 4, 2
	s_lshl_b32 s27, s4, 2
	v_lshlrev_b32_e32 v5, 3, v44
	v_cmp_gt_u32_e32 vcc, 64, v0
	v_cmp_gt_u32_e64 s[6:7], 8, v44
	v_lshrrev_b32_e32 v43, 6, v0
	v_and_b32_e32 v45, 63, v0
	v_or_b32_e32 v1, s27, v42
	s_and_b64 s[48:49], vcc, s[6:7]
	v_lshlrev_b32_e32 v26, 1, v5
	v_lshlrev_b32_e32 v40, 5, v42
	;; [unrolled: 1-line block ×3, first 2 shown]
	s_and_saveexec_b64 s[6:7], s[48:49]
	s_cbranch_execz .LBB1167_11
; %bb.10:
	s_load_dwordx2 s[16:17], s[0:1], 0x0
	s_waitcnt lgkmcnt(0)
	s_ashr_i32 s15, s44, 31
	s_mul_hi_u32 s20, s14, s44
	s_mul_i32 s15, s14, s15
	s_add_i32 s15, s20, s15
	s_mul_i32 s14, s14, s44
	s_lshl_b64 s[14:15], s[14:15], 1
	s_add_u32 s14, s16, s14
	v_lshlrev_b32_e32 v6, 6, v1
	s_addc_u32 s15, s17, s15
	v_ashrrev_i32_e32 v7, 31, v6
	v_lshl_add_u64 v[6:7], v[6:7], 1, s[14:15]
	v_mov_b32_e32 v27, 0
	v_lshl_add_u64 v[6:7], v[6:7], 0, v[26:27]
	global_load_dwordx4 v[6:9], v[6:7], off
	v_lshlrev_b32_e32 v11, 8, v44
	v_lshl_or_b32 v5, v43, 7, v40
	v_and_b32_e32 v10, 16, v41
	v_and_b32_e32 v11, 0xe00, v11
	v_or3_b32 v5, v11, v5, v10
	s_waitcnt vmcnt(0)
	ds_write_b128 v5, v[6:9]
.LBB1167_11:
	s_or_b64 exec, exec, s[6:7]
	s_waitcnt lgkmcnt(0)
	s_mul_i32 s4, s4, s46
	s_add_u32 s6, s8, s4
	s_addc_u32 s7, s9, 0
	v_and_b32_e32 v8, 48, v0
	v_and_b32_e32 v28, 0xf0, v41
	v_mov_b32_e32 v29, 0
	v_lshl_add_u64 v[6:7], s[6:7], 0, v[28:29]
	v_lshlrev_b32_e32 v28, 4, v8
	v_lshl_add_u64 v[18:19], v[6:7], 0, v[28:29]
	s_waitcnt vmcnt(3)
	v_mad_i64_i32 v[4:5], s[6:7], v4, s45, v[18:19]
	s_load_dword s33, s[0:1], 0x98
	s_load_dwordx4 s[40:43], s[0:1], 0x80
	s_waitcnt lgkmcnt(0)
	s_barrier
	global_load_dwordx4 v[22:25], v[4:5], off
	s_waitcnt vmcnt(3)
	v_mad_i64_i32 v[4:5], s[6:7], v3, s45, v[18:19]
	global_load_dwordx4 v[10:13], v[4:5], off
	v_or_b32_e32 v6, s18, v8
	v_mov_b32_e32 v27, s19
	v_ashrrev_i32_e32 v3, 4, v6
	v_cmp_gt_i32_e32 vcc, s5, v6
	v_and_b32_e32 v7, 3, v0
	v_lshlrev_b32_e32 v7, 5, v7
	v_cndmask_b32_e32 v4, v27, v3, vcc
	v_ashrrev_i32_e32 v5, 31, v4
	v_lshl_add_u64 v[4:5], v[4:5], 2, s[12:13]
	s_waitcnt vmcnt(3)
	v_mad_i64_i32 v[2:3], s[6:7], v2, s45, v[18:19]
	global_load_dword v58, v[4:5], off
	v_lshl_or_b32 v7, v42, 9, v7
	global_load_dwordx4 v[2:5], v[2:3], off
	v_or_b32_e32 v21, 64, v6
	s_waitcnt vmcnt(4)
	v_mad_i64_i32 v[18:19], s[8:9], v20, s45, v[18:19]
	v_or_b32_e32 v31, 0x80, v6
	v_or_b32_e32 v33, 0xc0, v6
	ds_read_b128 v[14:17], v7
	ds_read_b128 v[6:9], v7 offset:16
	v_ashrrev_i32_e32 v30, 4, v21
	v_cmp_gt_i32_e32 vcc, s5, v21
	global_load_dwordx4 v[18:21], v[18:19], off
	v_ashrrev_i32_e32 v32, 4, v31
	v_cndmask_b32_e32 v30, v27, v30, vcc
	v_cmp_gt_i32_e32 vcc, s5, v31
	v_ashrrev_i32_e32 v34, 4, v33
	v_ashrrev_i32_e32 v31, 31, v30
	v_cndmask_b32_e32 v32, v27, v32, vcc
	v_cmp_gt_i32_e32 vcc, s5, v33
	v_ashrrev_i32_e32 v33, 31, v32
	v_lshl_add_u64 v[30:31], v[30:31], 2, s[12:13]
	v_cndmask_b32_e32 v34, v27, v34, vcc
	v_ashrrev_i32_e32 v35, 31, v34
	v_lshl_add_u64 v[34:35], v[34:35], 2, s[12:13]
	s_add_u32 s6, s10, s4
	s_load_dword s4, s[40:41], 0x0
	v_lshl_add_u64 v[36:37], v[32:33], 2, s[12:13]
	global_load_dword v33, v[30:31], off
	global_load_dword v27, v[36:37], off
	;; [unrolled: 1-line block ×3, first 2 shown]
	s_mov_b32 s44, 0x7060302
	s_load_dword s14, s[0:1], 0x1c
	s_mov_b32 s40, 0xff7fffff
	v_lshlrev_b32_e32 v28, 4, v44
	s_addc_u32 s7, s11, 0
	v_lshl_or_b32 v28, v43, 8, v28
	s_waitcnt lgkmcnt(0)
	v_mov_b32_e32 v59, s14
	v_lshl_add_u64 v[28:29], s[6:7], 0, v[28:29]
	s_waitcnt vmcnt(7)
	v_cvt_pk_f32_fp8_e32 v[30:31], v22
	v_cvt_pk_f32_fp8_sdwa v[34:35], v22 src0_sel:WORD_1
	v_cvt_pk_f32_fp8_e32 v[36:37], v23
	v_cvt_pk_f32_fp8_sdwa v[38:39], v23 src0_sel:WORD_1
	v_perm_b32 v30, v31, v30, s44
	v_perm_b32 v31, v35, v34, s44
	s_waitcnt vmcnt(6)
	v_cvt_pk_f32_fp8_e32 v[22:23], v10
	v_cvt_pk_f32_fp8_sdwa v[52:53], v10 src0_sel:WORD_1
	v_cvt_pk_f32_fp8_e32 v[46:47], v24
	v_cvt_pk_f32_fp8_sdwa v[48:49], v24 src0_sel:WORD_1
	;; [unrolled: 2-line block ×3, first 2 shown]
	v_perm_b32 v34, v23, v22, s44
	v_mfma_f32_16x16x16_bf16 v[22:25], v[30:31], v[14:15], 0
	v_perm_b32 v30, v37, v36, s44
	v_perm_b32 v31, v39, v38, s44
	v_cvt_pk_f32_fp8_e32 v[56:57], v11
	v_perm_b32 v35, v53, v52, s44
	v_cvt_pk_f32_fp8_sdwa v[10:11], v11 src0_sel:WORD_1
	v_mfma_f32_16x16x16_bf16 v[22:25], v[30:31], v[16:17], v[22:25]
	v_perm_b32 v52, v57, v56, s44
	v_perm_b32 v53, v11, v10, s44
	v_perm_b32 v30, v47, v46, s44
	v_perm_b32 v31, v49, v48, s44
	v_mfma_f32_16x16x16_bf16 v[34:37], v[34:35], v[14:15], 0
	v_cvt_pk_f32_fp8_e32 v[38:39], v12
	v_cvt_pk_f32_fp8_sdwa v[10:11], v12 src0_sel:WORD_1
	v_perm_b32 v46, v51, v50, s44
	v_mfma_f32_16x16x16_bf16 v[34:37], v[52:53], v[16:17], v[34:37]
	v_cvt_pk_f32_fp8_e32 v[52:53], v13
	v_perm_b32 v47, v55, v54, s44
	v_cvt_pk_f32_fp8_sdwa v[12:13], v13 src0_sel:WORD_1
	v_mfma_f32_16x16x16_bf16 v[22:25], v[30:31], v[6:7], v[22:25]
	v_perm_b32 v30, v39, v38, s44
	v_perm_b32 v31, v11, v10, s44
	;; [unrolled: 1-line block ×4, first 2 shown]
	v_mfma_f32_16x16x16_bf16 v[46:49], v[46:47], v[8:9], v[22:25]
	s_waitcnt vmcnt(4)
	v_cvt_pk_f32_fp8_e32 v[12:13], v2
	v_cvt_pk_f32_fp8_sdwa v[50:51], v4 src0_sel:WORD_1
	v_mul_f32_e32 v52, s4, v59
	v_mfma_f32_16x16x16_bf16 v[22:25], v[30:31], v[6:7], v[34:37]
	v_cvt_pk_f32_fp8_sdwa v[30:31], v2 src0_sel:WORD_1
	v_perm_b32 v12, v13, v12, s44
	v_mad_i64_i32 v[10:11], s[6:7], v58, s45, v[28:29]
	v_mfma_f32_16x16x16_bf16 v[36:39], v[38:39], v[8:9], v[22:25]
	v_perm_b32 v13, v31, v30, s44
	v_cvt_pk_f32_fp8_e32 v[34:35], v4
	s_nop 0
	v_cvt_pk_f32_fp8_e32 v[22:23], v3
	v_cvt_pk_f32_fp8_sdwa v[2:3], v3 src0_sel:WORD_1
	v_perm_b32 v30, v23, v22, s44
	v_perm_b32 v31, v3, v2, s44
	v_mfma_f32_16x16x16_bf16 v[22:25], v[12:13], v[14:15], 0
	v_perm_b32 v12, v35, v34, s44
	v_perm_b32 v13, v51, v50, s44
	v_cvt_pk_f32_fp8_e32 v[34:35], v5
	v_cvt_pk_f32_fp8_sdwa v[50:51], v5 src0_sel:WORD_1
	v_mfma_f32_16x16x16_bf16 v[2:5], v[30:31], v[16:17], v[22:25]
	s_waitcnt vmcnt(3)
	v_cvt_pk_f32_fp8_sdwa v[30:31], v20 src0_sel:WORD_1
	s_nop 0
	v_perm_b32 v24, v35, v34, s44
	v_perm_b32 v25, v51, v50, s44
	v_pk_mul_f32 v[22:23], v[52:53], v[48:49] op_sel_hi:[0,1]
	v_mfma_f32_16x16x16_bf16 v[48:51], v[12:13], v[6:7], v[2:5]
	v_cvt_pk_f32_fp8_sdwa v[12:13], v18 src0_sel:WORD_1
	v_pk_mul_f32 v[34:35], v[52:53], v[38:39] op_sel_hi:[0,1]
	v_pk_mul_f32 v[38:39], v[52:53], v[36:37] op_sel_hi:[0,1]
	v_cvt_pk_f32_fp8_e32 v[4:5], v18
	v_pk_mul_f32 v[2:3], v[52:53], v[46:47] op_sel_hi:[0,1]
	v_mfma_f32_16x16x16_bf16 v[46:49], v[24:25], v[8:9], v[48:51]
	v_cvt_pk_f32_fp8_e32 v[24:25], v19
	v_perm_b32 v4, v5, v4, s44
	v_perm_b32 v5, v13, v12, s44
	v_cvt_pk_f32_fp8_sdwa v[12:13], v19 src0_sel:WORD_1
	v_perm_b32 v18, v25, v24, s44
	v_cvt_pk_f32_fp8_e32 v[24:25], v20
	s_nop 0
	v_pk_mul_f32 v[36:37], v[52:53], v[46:47] op_sel_hi:[0,1]
	v_perm_b32 v19, v13, v12, s44
	v_mfma_f32_16x16x16_bf16 v[12:15], v[4:5], v[14:15], 0
	v_perm_b32 v4, v25, v24, s44
	v_perm_b32 v5, v31, v30, s44
	v_cvt_pk_f32_fp8_e32 v[24:25], v21
	v_cvt_pk_f32_fp8_sdwa v[20:21], v21 src0_sel:WORD_1
	v_mfma_f32_16x16x16_bf16 v[12:15], v[18:19], v[16:17], v[12:15]
	v_pk_mul_f32 v[30:31], v[52:53], v[48:49] op_sel_hi:[0,1]
	v_perm_b32 v16, v25, v24, s44
	v_perm_b32 v17, v21, v20, s44
	v_mfma_f32_16x16x16_bf16 v[4:7], v[4:5], v[6:7], v[12:15]
	s_nop 0
	v_mfma_f32_16x16x16_bf16 v[4:7], v[16:17], v[8:9], v[4:7]
	s_nop 6
	v_pk_mul_f32 v[24:25], v[52:53], v[4:5] op_sel_hi:[0,1]
	v_and_b32_e32 v4, 0xc0, v0
	v_add_u32_e32 v4, s18, v4
	v_lshl_or_b32 v4, v42, 2, v4
	v_pk_mul_f32 v[18:19], v[52:53], v[6:7] op_sel_hi:[0,1]
	v_or_b32_e32 v7, 1, v4
	v_mov_b32_e32 v5, 0xff7fffff
	v_cmp_gt_i32_e64 s[28:29], s5, v4
	v_cmp_gt_i32_e64 s[30:31], s5, v7
	v_or_b32_e32 v8, 3, v4
	v_cndmask_b32_e64 v6, v5, v2, s[28:29]
	v_cndmask_b32_e64 v7, v5, v3, s[30:31]
	v_max3_f32 v6, v6, s40, v7
	v_or_b32_e32 v7, 2, v4
	v_cmp_gt_i32_e64 s[34:35], s5, v7
	v_cmp_gt_i32_e64 s[36:37], s5, v8
	s_nop 0
	v_cndmask_b32_e64 v7, v5, v22, s[34:35]
	v_cndmask_b32_e64 v8, v5, v23, s[36:37]
	v_max3_f32 v6, v6, v7, v8
	v_or_b32_e32 v7, 16, v4
	v_or_b32_e32 v8, 17, v4
	v_cmp_gt_i32_e64 s[22:23], s5, v7
	v_cmp_gt_i32_e64 s[24:25], s5, v8
	s_nop 0
	v_cndmask_b32_e64 v7, v5, v38, s[22:23]
	v_cndmask_b32_e64 v8, v5, v39, s[24:25]
	v_max3_f32 v6, v6, v7, v8
	v_or_b32_e32 v7, 18, v4
	;; [unrolled: 8-line block ×6, first 2 shown]
	v_or_b32_e32 v4, 51, v4
	v_cmp_gt_i32_e32 vcc, s5, v7
	v_cmp_gt_i32_e64 s[4:5], s5, v4
	s_nop 0
	v_cndmask_b32_e32 v7, v5, v18, vcc
	v_cndmask_b32_e64 v4, v5, v19, s[4:5]
	v_max3_f32 v6, v6, v7, v4
	v_mbcnt_lo_u32_b32 v4, -1, 0
	v_mbcnt_hi_u32_b32 v7, -1, v4
	v_and_b32_e32 v4, 64, v7
	v_add_u32_e32 v8, 64, v4
	v_xor_b32_e32 v4, 32, v7
	v_cmp_lt_i32_e64 s[38:39], v4, v8
	s_nop 1
	v_cndmask_b32_e64 v4, v7, v4, s[38:39]
	v_lshlrev_b32_e32 v46, 2, v4
	ds_bpermute_b32 v9, v46, v6
	s_waitcnt vmcnt(2)
	v_mad_i64_i32 v[4:5], s[38:39], v33, s45, v[28:29]
	global_load_dwordx4 v[14:17], v[10:11], off
	s_nop 0
	global_load_dwordx4 v[10:13], v[4:5], off
	v_xor_b32_e32 v5, 16, v7
	v_cmp_lt_i32_e64 s[38:39], v5, v8
	s_waitcnt lgkmcnt(0)
	v_max_f32_e32 v4, v9, v9
	v_max_f32_e32 v4, v6, v4
	v_cndmask_b32_e64 v5, v7, v5, s[38:39]
	v_lshlrev_b32_e32 v47, 2, v5
	ds_bpermute_b32 v5, v47, v4
	s_waitcnt vmcnt(3)
	v_mad_i64_i32 v[20:21], s[38:39], v27, s45, v[28:29]
	s_waitcnt vmcnt(2)
	v_mad_i64_i32 v[28:29], s[38:39], v32, s45, v[28:29]
	s_waitcnt lgkmcnt(0)
	v_max_f32_e32 v5, v5, v5
	v_max_f32_e32 v27, v4, v5
	v_sub_f32_e32 v2, v2, v27
	v_mul_f32_e32 v2, 0x3fb8aa3b, v2
	v_exp_f32_e32 v32, v2
	v_sub_f32_e32 v2, v3, v27
	v_mul_f32_e32 v2, 0x3fb8aa3b, v2
	v_exp_f32_e32 v33, v2
	global_load_dwordx4 v[6:9], v[20:21], off
	global_load_dwordx4 v[2:5], v[28:29], off
	v_sub_f32_e32 v22, v22, v27
	v_mul_f32_e32 v22, 0x3fb8aa3b, v22
	v_sub_f32_e32 v23, v23, v27
	v_exp_f32_e32 v22, v22
	v_mul_f32_e32 v23, 0x3fb8aa3b, v23
	v_exp_f32_e32 v23, v23
	v_cndmask_b32_e64 v20, 0, v32, s[28:29]
	v_add_f32_e32 v28, 0, v20
	v_cndmask_b32_e64 v21, 0, v33, s[30:31]
	v_add_f32_e32 v28, v28, v21
	;; [unrolled: 2-line block ×3, first 2 shown]
	v_cndmask_b32_e64 v33, 0, v23, s[36:37]
	v_sub_f32_e32 v23, v38, v27
	v_sub_f32_e32 v28, v39, v27
	v_mul_f32_e32 v23, 0x3fb8aa3b, v23
	v_mul_f32_e32 v28, 0x3fb8aa3b, v28
	v_exp_f32_e32 v23, v23
	v_exp_f32_e32 v28, v28
	v_add_f32_e32 v29, v22, v33
	v_sub_f32_e32 v30, v30, v27
	v_cndmask_b32_e64 v22, 0, v23, s[22:23]
	v_cndmask_b32_e64 v23, 0, v28, s[24:25]
	v_sub_f32_e32 v28, v34, v27
	v_mul_f32_e32 v28, 0x3fb8aa3b, v28
	v_exp_f32_e32 v28, v28
	v_sub_f32_e32 v34, v35, v27
	v_add_f32_e32 v29, v29, v22
	v_mul_f32_e32 v34, 0x3fb8aa3b, v34
	v_exp_f32_e32 v35, v34
	v_add_f32_e32 v29, v29, v23
	v_cndmask_b32_e64 v34, 0, v28, s[18:19]
	v_add_f32_e32 v28, v29, v34
	v_sub_f32_e32 v29, v36, v27
	v_mul_f32_e32 v29, 0x3fb8aa3b, v29
	v_sub_f32_e32 v36, v37, v27
	v_exp_f32_e32 v29, v29
	v_mul_f32_e32 v36, 0x3fb8aa3b, v36
	v_exp_f32_e32 v36, v36
	v_mul_f32_e32 v30, 0x3fb8aa3b, v30
	v_sub_f32_e32 v31, v31, v27
	v_exp_f32_e32 v30, v30
	v_mul_f32_e32 v31, 0x3fb8aa3b, v31
	v_sub_f32_e32 v24, v24, v27
	v_cndmask_b32_e64 v35, 0, v35, s[20:21]
	v_exp_f32_e32 v31, v31
	v_mul_f32_e32 v24, 0x3fb8aa3b, v24
	v_sub_f32_e32 v25, v25, v27
	v_add_f32_e32 v37, v28, v35
	v_cndmask_b32_e64 v28, 0, v29, s[14:15]
	v_exp_f32_e32 v24, v24
	v_mul_f32_e32 v25, 0x3fb8aa3b, v25
	v_sub_f32_e32 v18, v18, v27
	v_add_f32_e32 v37, v37, v28
	;; [unrolled: 5-line block ×3, first 2 shown]
	v_cndmask_b32_e64 v30, 0, v30, s[10:11]
	v_exp_f32_e32 v18, v18
	v_mul_f32_e32 v19, 0x3fb8aa3b, v19
	v_add_f32_e32 v36, v36, v30
	v_cndmask_b32_e64 v31, 0, v31, s[12:13]
	v_exp_f32_e32 v19, v19
	v_add_f32_e32 v36, v36, v31
	v_cndmask_b32_e64 v24, 0, v24, s[6:7]
	v_add_f32_e32 v36, v36, v24
	v_cndmask_b32_e64 v25, 0, v25, s[8:9]
	v_add_f32_e32 v36, v36, v25
	v_cndmask_b32_e32 v18, 0, v18, vcc
	v_add_f32_e32 v36, v36, v18
	v_cndmask_b32_e64 v19, 0, v19, s[4:5]
	v_add_f32_e32 v36, v36, v19
	ds_bpermute_b32 v37, v46, v36
	v_cmp_gt_u32_e32 vcc, 16, v45
	s_waitcnt lgkmcnt(0)
	s_barrier
	v_add_f32_e32 v37, v36, v37
	ds_bpermute_b32 v38, v47, v37
	v_lshlrev_b32_e32 v36, 2, v44
	s_and_saveexec_b64 s[4:5], vcc
	s_cbranch_execz .LBB1167_13
; %bb.12:
	s_waitcnt lgkmcnt(0)
	v_add_f32_e32 v37, v37, v38
	v_lshl_or_b32 v38, v43, 6, v36
	ds_write2st64_b32 v38, v27, v37 offset1:1
.LBB1167_13:
	s_or_b64 exec, exec, s[4:5]
	s_load_dword s6, s[0:1], 0x94
	s_waitcnt lgkmcnt(0)
	s_barrier
	ds_read2_b32 v[38:39], v36 offset1:16
	ds_read2_b32 v[46:47], v36 offset0:32 offset1:48
	ds_read2_b32 v[48:49], v36 offset0:64 offset1:80
	s_movk_i32 s8, 0x7fff
	s_lshl_b32 s7, s33, 2
	s_waitcnt lgkmcnt(2)
	v_max3_f32 v27, v38, s40, v39
	s_waitcnt lgkmcnt(1)
	v_max3_f32 v27, v27, v46, v47
	v_sub_f32_e32 v37, v38, v27
	v_sub_f32_e32 v38, v39, v27
	v_mul_f32_e32 v38, 0x3fb8aa3b, v38
	v_mul_f32_e32 v37, 0x3fb8aa3b, v37
	v_exp_f32_e32 v45, v38
	v_sub_f32_e32 v38, v46, v27
	v_exp_f32_e32 v37, v37
	v_mul_f32_e32 v38, 0x3fb8aa3b, v38
	v_exp_f32_e32 v46, v38
	ds_read2_b32 v[38:39], v36 offset0:96 offset1:112
	v_sub_f32_e32 v36, v47, v27
	v_mul_f32_e32 v36, 0x3fb8aa3b, v36
	v_exp_f32_e32 v47, v36
	s_waitcnt lgkmcnt(1)
	v_fma_f32 v36, v37, v48, 0
	v_fmac_f32_e32 v36, v45, v49
	s_waitcnt lgkmcnt(0)
	v_fmac_f32_e32 v36, v46, v38
	v_fmac_f32_e32 v36, v47, v39
	v_add_f32_e32 v38, 0x358637bd, v36
	v_div_scale_f32 v39, s[4:5], v38, v38, 1.0
	v_rcp_f32_e32 v48, v39
	s_barrier
	v_fma_f32 v49, -v39, v48, 1.0
	v_fmac_f32_e32 v48, v49, v48
	v_div_scale_f32 v49, vcc, 1.0, v38, 1.0
	v_mul_f32_e32 v50, v49, v48
	v_fma_f32 v51, -v39, v50, v49
	v_fmac_f32_e32 v50, v51, v48
	v_fma_f32 v39, -v39, v50, v49
	v_div_fmas_f32 v39, v39, v48, v50
	v_cmp_eq_u32_e32 vcc, 1, v43
	v_div_fixup_f32 v38, v39, v38, 1.0
	s_nop 0
	v_cndmask_b32_e32 v37, v37, v45, vcc
	v_cmp_eq_u32_e32 vcc, 2, v43
	s_nop 1
	v_cndmask_b32_e32 v37, v37, v46, vcc
	v_cmp_eq_u32_e32 vcc, 3, v43
	s_nop 1
	v_cndmask_b32_e32 v37, v37, v47, vcc
	v_mul_f32_e32 v38, v37, v38
	v_pk_mul_f32 v[20:21], v[38:39], v[20:21] op_sel_hi:[0,1]
	v_pk_mul_f32 v[32:33], v[38:39], v[32:33] op_sel_hi:[0,1]
	v_bfe_u32 v37, v21, 16, 1
	v_bfe_u32 v39, v20, 16, 1
	v_add3_u32 v20, v20, v39, s8
	v_add3_u32 v21, v21, v37, s8
	v_perm_b32 v46, v21, v20, s44
	v_bfe_u32 v20, v33, 16, 1
	v_bfe_u32 v21, v32, 16, 1
	v_add3_u32 v21, v32, v21, s8
	v_add3_u32 v20, v33, v20, s8
	v_perm_b32 v47, v20, v21, s44
	v_lshlrev_b32_e32 v20, 3, v42
	v_lshlrev_b32_e32 v21, 5, v44
	;; [unrolled: 1-line block ×3, first 2 shown]
	v_pk_mul_f32 v[22:23], v[38:39], v[22:23] op_sel_hi:[0,1]
	v_or3_b32 v20, v32, v21, v20
	v_pk_mul_f32 v[32:33], v[38:39], v[34:35] op_sel_hi:[0,1]
	v_bfe_u32 v34, v23, 16, 1
	v_bfe_u32 v35, v22, 16, 1
	v_add3_u32 v22, v22, v35, s8
	v_add3_u32 v23, v23, v34, s8
	v_perm_b32 v22, v23, v22, s44
	v_bfe_u32 v23, v33, 16, 1
	v_bfe_u32 v34, v32, 16, 1
	v_add3_u32 v32, v32, v34, s8
	v_add3_u32 v23, v33, v23, s8
	v_perm_b32 v23, v23, v32, s44
	v_pk_mul_f32 v[28:29], v[38:39], v[28:29] op_sel_hi:[0,1]
	ds_write2st64_b64 v20, v[46:47], v[22:23] offset1:1
	v_pk_mul_f32 v[22:23], v[38:39], v[30:31] op_sel_hi:[0,1]
	v_bfe_u32 v30, v29, 16, 1
	v_bfe_u32 v31, v28, 16, 1
	v_add3_u32 v28, v28, v31, s8
	v_add3_u32 v29, v29, v30, s8
	v_perm_b32 v28, v29, v28, s44
	v_bfe_u32 v29, v23, 16, 1
	v_bfe_u32 v30, v22, 16, 1
	v_add3_u32 v22, v22, v30, s8
	v_add3_u32 v23, v23, v29, s8
	v_perm_b32 v29, v23, v22, s44
	v_pk_mul_f32 v[22:23], v[38:39], v[24:25] op_sel_hi:[0,1]
	v_bfe_u32 v24, v23, 16, 1
	v_bfe_u32 v25, v22, 16, 1
	v_pk_mul_f32 v[18:19], v[38:39], v[18:19] op_sel_hi:[0,1]
	v_add3_u32 v22, v22, v25, s8
	v_add3_u32 v23, v23, v24, s8
	v_perm_b32 v22, v23, v22, s44
	v_bfe_u32 v23, v19, 16, 1
	v_bfe_u32 v24, v18, 16, 1
	v_add3_u32 v18, v18, v24, s8
	v_add3_u32 v19, v19, v23, s8
	v_perm_b32 v23, v19, v18, s44
	v_cmp_gt_u32_e32 vcc, 4, v0
	ds_write2st64_b64 v20, v[28:29], v[22:23] offset0:2 offset1:3
	s_and_saveexec_b64 s[4:5], vcc
	s_cbranch_execz .LBB1167_15
; %bb.14:
	v_or_b32_e32 v18, s27, v0
	v_mov_b32_e32 v19, 0
	v_mov_b32_e32 v22, s7
	v_mad_u64_u32 v[22:23], s[10:11], s2, v22, v[18:19]
	v_mov_b32_e32 v18, s26
	s_load_dwordx4 s[12:15], s[0:1], 0x58
	s_mul_i32 s3, s3, s7
	v_mad_u64_u32 v[18:19], s[10:11], v22, s6, v[18:19]
	v_add_u32_e32 v23, s3, v23
	v_mov_b32_e32 v22, v19
	v_mad_u64_u32 v[22:23], s[10:11], v23, s6, v[22:23]
	v_mov_b32_e32 v19, v22
	v_lshlrev_b64 v[18:19], 2, v[18:19]
	s_waitcnt lgkmcnt(0)
	v_lshl_add_u64 v[22:23], s[14:15], 0, v[18:19]
	v_lshl_add_u64 v[18:19], s[12:13], 0, v[18:19]
	global_store_dword v[22:23], v27, off
	global_store_dword v[18:19], v36, off
.LBB1167_15:
	s_or_b64 exec, exec, s[4:5]
	s_waitcnt vmcnt(3)
	v_cvt_pk_f32_fp8_e32 v[18:19], v14
	v_cvt_pk_f32_fp8_sdwa v[22:23], v14 src0_sel:WORD_1
	s_mov_b32 s4, 0x7060302
	v_lshl_or_b32 v14, v42, 9, v21
	s_waitcnt lgkmcnt(0)
	s_barrier
	v_perm_b32 v18, v19, v18, s4
	v_perm_b32 v19, v23, v22, s4
	v_cvt_pk_f32_fp8_e32 v[28:29], v15
	ds_read_b128 v[22:25], v14
	v_cvt_pk_f32_fp8_sdwa v[36:37], v15 src0_sel:WORD_1
	s_load_dword s10, s[42:43], 0x0
	v_perm_b32 v38, v29, v28, s4
	ds_read_b128 v[28:31], v14 offset:16
	v_perm_b32 v39, v37, v36, s4
	s_waitcnt lgkmcnt(0)
	v_mfma_f32_16x16x16_bf16 v[32:35], v[18:19], v[22:23], 0
	v_cvt_pk_f32_fp8_e32 v[18:19], v16
	v_cvt_pk_f32_fp8_sdwa v[36:37], v16 src0_sel:WORD_1
	s_mov_b32 s3, 0
	v_mfma_f32_16x16x16_bf16 v[22:25], v[38:39], v[24:25], v[32:35]
	v_perm_b32 v18, v19, v18, s4
	v_perm_b32 v19, v37, v36, s4
	s_waitcnt vmcnt(2)
	v_cvt_pk_f32_fp8_sdwa v[36:37], v10 src0_sel:WORD_1
	v_cvt_pk_f32_fp8_e32 v[32:33], v17
	v_cvt_pk_f32_fp8_sdwa v[16:17], v17 src0_sel:WORD_1
	v_cvt_pk_f32_fp8_e32 v[34:35], v10
	v_mov_b32_e32 v27, 0
	v_perm_b32 v32, v33, v32, s4
	v_perm_b32 v33, v17, v16, s4
	v_mfma_f32_16x16x16_bf16 v[16:19], v[18:19], v[28:29], v[22:25]
	v_perm_b32 v34, v35, v34, s4
	v_perm_b32 v35, v37, v36, s4
	v_cvt_pk_f32_fp8_e32 v[28:29], v11
	ds_read_b128 v[22:25], v14 offset:2048
	v_cvt_pk_f32_fp8_sdwa v[10:11], v11 src0_sel:WORD_1
	v_mfma_f32_16x16x16_bf16 v[16:19], v[32:33], v[30:31], v[16:19]
	v_perm_b32 v32, v29, v28, s4
	ds_read_b128 v[28:31], v14 offset:2064
	v_perm_b32 v33, v11, v10, s4
	s_waitcnt lgkmcnt(1)
	v_mfma_f32_16x16x16_bf16 v[16:19], v[34:35], v[22:23], v[16:19]
	v_cvt_pk_f32_fp8_e32 v[10:11], v12
	v_cvt_pk_f32_fp8_sdwa v[22:23], v12 src0_sel:WORD_1
	v_perm_b32 v10, v11, v10, s4
	v_mfma_f32_16x16x16_bf16 v[16:19], v[32:33], v[24:25], v[16:19]
	v_cvt_pk_f32_fp8_e32 v[24:25], v13
	v_perm_b32 v11, v23, v22, s4
	v_cvt_pk_f32_fp8_sdwa v[12:13], v13 src0_sel:WORD_1
	s_waitcnt vmcnt(1)
	v_cvt_pk_f32_fp8_sdwa v[32:33], v6 src0_sel:WORD_1
	v_perm_b32 v22, v25, v24, s4
	v_cvt_pk_f32_fp8_e32 v[24:25], v6
	v_perm_b32 v23, v13, v12, s4
	s_waitcnt lgkmcnt(0)
	v_mfma_f32_16x16x16_bf16 v[10:13], v[10:11], v[28:29], v[16:19]
	v_perm_b32 v29, v33, v32, s4
	v_perm_b32 v28, v25, v24, s4
	v_cvt_pk_f32_fp8_e32 v[24:25], v7
	ds_read_b128 v[16:19], v14 offset:4096
	v_cvt_pk_f32_fp8_sdwa v[6:7], v7 src0_sel:WORD_1
	v_mfma_f32_16x16x16_bf16 v[10:13], v[22:23], v[30:31], v[10:13]
	v_perm_b32 v30, v25, v24, s4
	ds_read_b128 v[22:25], v14 offset:4112
	v_perm_b32 v31, v7, v6, s4
	s_waitcnt lgkmcnt(1)
	v_mfma_f32_16x16x16_bf16 v[10:13], v[28:29], v[16:17], v[10:13]
	v_cvt_pk_f32_fp8_e32 v[6:7], v8
	v_cvt_pk_f32_fp8_sdwa v[16:17], v8 src0_sel:WORD_1
	s_waitcnt vmcnt(0)
	v_cvt_pk_f32_fp8_sdwa v[28:29], v2 src0_sel:WORD_1
	v_mfma_f32_16x16x16_bf16 v[10:13], v[30:31], v[18:19], v[10:13]
	v_cvt_pk_f32_fp8_e32 v[18:19], v9
	v_perm_b32 v6, v7, v6, s4
	v_perm_b32 v7, v17, v16, s4
	v_cvt_pk_f32_fp8_sdwa v[8:9], v9 src0_sel:WORD_1
	v_perm_b32 v16, v19, v18, s4
	v_cvt_pk_f32_fp8_e32 v[18:19], v2
	v_perm_b32 v17, v9, v8, s4
	s_waitcnt lgkmcnt(0)
	v_mfma_f32_16x16x16_bf16 v[6:9], v[6:7], v[22:23], v[10:13]
	v_perm_b32 v18, v19, v18, s4
	v_perm_b32 v19, v29, v28, s4
	v_cvt_pk_f32_fp8_e32 v[22:23], v3
	ds_read_b128 v[10:13], v14 offset:6144
	v_cvt_pk_f32_fp8_sdwa v[2:3], v3 src0_sel:WORD_1
	v_mfma_f32_16x16x16_bf16 v[6:9], v[16:17], v[24:25], v[6:9]
	v_perm_b32 v22, v23, v22, s4
	ds_read_b128 v[14:17], v14 offset:6160
	v_perm_b32 v23, v3, v2, s4
	s_waitcnt lgkmcnt(1)
	v_mfma_f32_16x16x16_bf16 v[6:9], v[18:19], v[10:11], v[6:9]
	v_cvt_pk_f32_fp8_e32 v[2:3], v4
	v_cvt_pk_f32_fp8_sdwa v[10:11], v4 src0_sel:WORD_1
	s_waitcnt lgkmcnt(0)
	v_mfma_f32_16x16x16_bf16 v[6:9], v[22:23], v[12:13], v[6:9]
	v_perm_b32 v2, v3, v2, s4
	v_perm_b32 v3, v11, v10, s4
	v_cvt_pk_f32_fp8_e32 v[10:11], v5
	v_cvt_pk_f32_fp8_sdwa v[4:5], v5 src0_sel:WORD_1
	s_barrier
	v_perm_b32 v10, v11, v10, s4
	v_perm_b32 v11, v5, v4, s4
	v_mfma_f32_16x16x16_bf16 v[2:5], v[2:3], v[14:15], v[6:9]
	s_nop 0
	v_mfma_f32_16x16x16_bf16 v[2:5], v[10:11], v[16:17], v[2:5]
	s_nop 6
	v_pk_mul_f32 v[2:3], v[2:3], s[10:11] op_sel_hi:[1,0]
	v_pk_mul_f32 v[4:5], v[4:5], s[10:11] op_sel_hi:[1,0]
	v_bfe_u32 v6, v3, 16, 1
	v_bfe_u32 v7, v2, 16, 1
	v_add3_u32 v2, v2, v7, s8
	v_add3_u32 v3, v3, v6, s8
	v_perm_b32 v2, v3, v2, s4
	v_bfe_u32 v3, v5, 16, 1
	v_bfe_u32 v6, v4, 16, 1
	v_add3_u32 v4, v4, v6, s8
	v_add3_u32 v3, v5, v3, s8
	v_perm_b32 v3, v3, v4, s4
	ds_write_b64 v20, v[2:3]
	s_waitcnt lgkmcnt(0)
	s_barrier
	s_and_saveexec_b64 s[4:5], s[48:49]
	s_cbranch_execz .LBB1167_17
; %bb.16:
	s_load_dwordx2 s[0:1], s[0:1], 0x68
	s_lshl_b32 s6, s6, 6
	s_mul_i32 s2, s7, s2
	s_mul_hi_u32 s5, s2, s6
	s_mul_i32 s4, s2, s6
	v_lshlrev_b32_e32 v0, 10, v0
	s_lshl_b64 s[4:5], s[4:5], 1
	v_and_b32_e32 v0, 0x1800, v0
	v_and_b32_e32 v2, 16, v41
	s_waitcnt lgkmcnt(0)
	s_add_u32 s4, s0, s4
	v_or3_b32 v0, v0, v40, v2
	s_addc_u32 s5, s1, s5
	s_lshl_b32 s2, s26, 6
	ds_read_b128 v[2:5], v0
	s_lshl_b64 s[0:1], s[2:3], 1
	s_add_u32 s0, s4, s0
	s_addc_u32 s1, s5, s1
	v_mad_u64_u32 v[0:1], s[2:3], s6, v1, 0
	v_lshl_add_u64 v[0:1], v[0:1], 1, s[0:1]
	v_lshl_add_u64 v[0:1], v[0:1], 0, v[26:27]
	s_waitcnt lgkmcnt(0)
	global_store_dwordx4 v[0:1], v[2:5], off
.LBB1167_17:
	s_endpgm
	.section	.rodata,"a",@progbits
	.p2align	6, 0x0
	.amdhsa_kernel _Z39paged_attention_ll4mi_QKV_mfma16_kernelI14__hip_bfloat16hLN4vllm18Fp8KVCacheDataTypeE1ES0_Li16ELi64ELi256ELb0ELi4EEvPKT_PKT0_S8_ifPKiSA_SA_iPKfiiiPfSD_PS3_PT2_iSC_SC_
		.amdhsa_group_segment_fixed_size 8192
		.amdhsa_private_segment_fixed_size 0
		.amdhsa_kernarg_size 400
		.amdhsa_user_sgpr_count 2
		.amdhsa_user_sgpr_dispatch_ptr 0
		.amdhsa_user_sgpr_queue_ptr 0
		.amdhsa_user_sgpr_kernarg_segment_ptr 1
		.amdhsa_user_sgpr_dispatch_id 0
		.amdhsa_user_sgpr_kernarg_preload_length 0
		.amdhsa_user_sgpr_kernarg_preload_offset 0
		.amdhsa_user_sgpr_private_segment_size 0
		.amdhsa_uses_dynamic_stack 0
		.amdhsa_enable_private_segment 0
		.amdhsa_system_sgpr_workgroup_id_x 1
		.amdhsa_system_sgpr_workgroup_id_y 1
		.amdhsa_system_sgpr_workgroup_id_z 1
		.amdhsa_system_sgpr_workgroup_info 0
		.amdhsa_system_vgpr_workitem_id 0
		.amdhsa_next_free_vgpr 60
		.amdhsa_next_free_sgpr 50
		.amdhsa_accum_offset 60
		.amdhsa_reserve_vcc 1
		.amdhsa_float_round_mode_32 0
		.amdhsa_float_round_mode_16_64 0
		.amdhsa_float_denorm_mode_32 3
		.amdhsa_float_denorm_mode_16_64 3
		.amdhsa_dx10_clamp 1
		.amdhsa_ieee_mode 1
		.amdhsa_fp16_overflow 0
		.amdhsa_tg_split 0
		.amdhsa_exception_fp_ieee_invalid_op 0
		.amdhsa_exception_fp_denorm_src 0
		.amdhsa_exception_fp_ieee_div_zero 0
		.amdhsa_exception_fp_ieee_overflow 0
		.amdhsa_exception_fp_ieee_underflow 0
		.amdhsa_exception_fp_ieee_inexact 0
		.amdhsa_exception_int_div_zero 0
	.end_amdhsa_kernel
	.section	.text._Z39paged_attention_ll4mi_QKV_mfma16_kernelI14__hip_bfloat16hLN4vllm18Fp8KVCacheDataTypeE1ES0_Li16ELi64ELi256ELb0ELi4EEvPKT_PKT0_S8_ifPKiSA_SA_iPKfiiiPfSD_PS3_PT2_iSC_SC_,"axG",@progbits,_Z39paged_attention_ll4mi_QKV_mfma16_kernelI14__hip_bfloat16hLN4vllm18Fp8KVCacheDataTypeE1ES0_Li16ELi64ELi256ELb0ELi4EEvPKT_PKT0_S8_ifPKiSA_SA_iPKfiiiPfSD_PS3_PT2_iSC_SC_,comdat
.Lfunc_end1167:
	.size	_Z39paged_attention_ll4mi_QKV_mfma16_kernelI14__hip_bfloat16hLN4vllm18Fp8KVCacheDataTypeE1ES0_Li16ELi64ELi256ELb0ELi4EEvPKT_PKT0_S8_ifPKiSA_SA_iPKfiiiPfSD_PS3_PT2_iSC_SC_, .Lfunc_end1167-_Z39paged_attention_ll4mi_QKV_mfma16_kernelI14__hip_bfloat16hLN4vllm18Fp8KVCacheDataTypeE1ES0_Li16ELi64ELi256ELb0ELi4EEvPKT_PKT0_S8_ifPKiSA_SA_iPKfiiiPfSD_PS3_PT2_iSC_SC_
                                        ; -- End function
	.section	.AMDGPU.csdata,"",@progbits
; Kernel info:
; codeLenInByte = 4740
; NumSgprs: 56
; NumVgprs: 60
; NumAgprs: 0
; TotalNumVgprs: 60
; ScratchSize: 0
; MemoryBound: 0
; FloatMode: 240
; IeeeMode: 1
; LDSByteSize: 8192 bytes/workgroup (compile time only)
; SGPRBlocks: 6
; VGPRBlocks: 7
; NumSGPRsForWavesPerEU: 56
; NumVGPRsForWavesPerEU: 60
; AccumOffset: 60
; Occupancy: 8
; WaveLimiterHint : 1
; COMPUTE_PGM_RSRC2:SCRATCH_EN: 0
; COMPUTE_PGM_RSRC2:USER_SGPR: 2
; COMPUTE_PGM_RSRC2:TRAP_HANDLER: 0
; COMPUTE_PGM_RSRC2:TGID_X_EN: 1
; COMPUTE_PGM_RSRC2:TGID_Y_EN: 1
; COMPUTE_PGM_RSRC2:TGID_Z_EN: 1
; COMPUTE_PGM_RSRC2:TIDIG_COMP_CNT: 0
; COMPUTE_PGM_RSRC3_GFX90A:ACCUM_OFFSET: 14
; COMPUTE_PGM_RSRC3_GFX90A:TG_SPLIT: 0
	.section	.text._Z38paged_attention_ll4mi_QKV_mfma4_kernelI14__hip_bfloat16hLN4vllm18Fp8KVCacheDataTypeE1EhLi32ELi64ELi256ELb1ELi1EEvPKT_PKT0_S8_ifPKiSA_SA_iPKfiiiPfSD_PS3_PT2_iSC_SC_,"axG",@progbits,_Z38paged_attention_ll4mi_QKV_mfma4_kernelI14__hip_bfloat16hLN4vllm18Fp8KVCacheDataTypeE1EhLi32ELi64ELi256ELb1ELi1EEvPKT_PKT0_S8_ifPKiSA_SA_iPKfiiiPfSD_PS3_PT2_iSC_SC_,comdat
	.protected	_Z38paged_attention_ll4mi_QKV_mfma4_kernelI14__hip_bfloat16hLN4vllm18Fp8KVCacheDataTypeE1EhLi32ELi64ELi256ELb1ELi1EEvPKT_PKT0_S8_ifPKiSA_SA_iPKfiiiPfSD_PS3_PT2_iSC_SC_ ; -- Begin function _Z38paged_attention_ll4mi_QKV_mfma4_kernelI14__hip_bfloat16hLN4vllm18Fp8KVCacheDataTypeE1EhLi32ELi64ELi256ELb1ELi1EEvPKT_PKT0_S8_ifPKiSA_SA_iPKfiiiPfSD_PS3_PT2_iSC_SC_
	.globl	_Z38paged_attention_ll4mi_QKV_mfma4_kernelI14__hip_bfloat16hLN4vllm18Fp8KVCacheDataTypeE1EhLi32ELi64ELi256ELb1ELi1EEvPKT_PKT0_S8_ifPKiSA_SA_iPKfiiiPfSD_PS3_PT2_iSC_SC_
	.p2align	8
	.type	_Z38paged_attention_ll4mi_QKV_mfma4_kernelI14__hip_bfloat16hLN4vllm18Fp8KVCacheDataTypeE1EhLi32ELi64ELi256ELb1ELi1EEvPKT_PKT0_S8_ifPKiSA_SA_iPKfiiiPfSD_PS3_PT2_iSC_SC_,@function
_Z38paged_attention_ll4mi_QKV_mfma4_kernelI14__hip_bfloat16hLN4vllm18Fp8KVCacheDataTypeE1EhLi32ELi64ELi256ELb1ELi1EEvPKT_PKT0_S8_ifPKiSA_SA_iPKfiiiPfSD_PS3_PT2_iSC_SC_: ; @_Z38paged_attention_ll4mi_QKV_mfma4_kernelI14__hip_bfloat16hLN4vllm18Fp8KVCacheDataTypeE1EhLi32ELi64ELi256ELb1ELi1EEvPKT_PKT0_S8_ifPKiSA_SA_iPKfiiiPfSD_PS3_PT2_iSC_SC_
; %bb.0:
	s_load_dwordx2 s[8:9], s[0:1], 0x30
	s_mov_b32 s20, s3
	s_mov_b64 s[6:7], 0
	s_waitcnt lgkmcnt(0)
	s_cmp_lg_u64 s[8:9], 0
	s_cselect_b64 s[10:11], -1, 0
	s_and_b64 vcc, exec, s[10:11]
	s_cbranch_vccz .LBB1168_10
; %bb.1:
	s_add_i32 s12, s2, 1
	s_mov_b32 s13, 0
	s_lshl_b64 s[14:15], s[12:13], 2
	s_add_u32 s14, s8, s14
	s_mov_b32 s3, s13
	s_addc_u32 s15, s9, s15
	s_lshl_b64 s[12:13], s[2:3], 2
	s_add_u32 s12, s8, s12
	s_addc_u32 s13, s9, s13
	s_load_dword s5, s[14:15], 0x0
	s_load_dword s16, s[12:13], 0x0
	s_waitcnt lgkmcnt(0)
	s_sub_i32 s5, s5, s16
	s_cmp_eq_u32 s5, 1
	s_cselect_b64 s[12:13], -1, 0
	s_andn2_b64 vcc, exec, s[6:7]
	s_cbranch_vccnz .LBB1168_3
.LBB1168_2:
	s_mov_b32 s3, 0
	s_mov_b64 s[12:13], -1
.LBB1168_3:
	s_andn2_b64 vcc, exec, s[12:13]
	s_cbranch_vccnz .LBB1168_25
; %bb.4:
	s_load_dword s5, s[0:1], 0x9c
	s_load_dwordx2 s[6:7], s[0:1], 0x28
	s_add_u32 s24, s0, 0x90
	s_addc_u32 s25, s1, 0
	s_lshl_b64 s[28:29], s[2:3], 2
	s_waitcnt lgkmcnt(0)
	s_and_b32 s5, s5, 0xffff
	s_add_u32 s6, s6, s28
	s_addc_u32 s7, s7, s29
	s_load_dword s3, s[6:7], 0x0
	s_mul_i32 s5, s20, s5
	s_waitcnt lgkmcnt(0)
	s_cmp_ge_i32 s5, s3
	s_cbranch_scc1 .LBB1168_25
; %bb.5:
	v_and_b32_e32 v2, 0xc0, v0
	v_add_u32_e32 v4, s5, v2
	v_lshrrev_b32_e32 v1, 6, v0
	v_cmp_gt_i32_e64 s[6:7], s3, v4
	v_cmp_le_i32_e32 vcc, s3, v4
                                        ; implicit-def: $sgpr30
                                        ; implicit-def: $sgpr21
	s_and_saveexec_b64 s[12:13], vcc
	s_xor_b64 s[12:13], exec, s[12:13]
	s_cbranch_execz .LBB1168_7
; %bb.6:
	v_mul_u32_u24_e32 v2, 20, v1
	v_or_b32_e32 v2, 0xa00, v2
	v_mov_b32_e32 v3, 0xa50
	v_mov_b32_e32 v4, 0xff7fffff
	v_mad_u32_u24 v3, v1, 20, v3
	ds_write2_b32 v2, v4, v4 offset1:1
	v_mov_b32_e32 v2, 0
	ds_write2_b32 v3, v2, v2 offset1:1
	v_mov_b32_e32 v3, 0xa08
	s_mov_b32 s21, 0xff7fffff
	s_mov_b32 s30, 0
	v_mad_u32_u24 v3, v1, 20, v3
	v_mov_b32_e32 v5, 0xa58
	v_mad_u32_u24 v5, v1, 20, v5
	ds_write2_b32 v3, v4, v4 offset1:1
	ds_write2_b32 v5, v2, v2 offset1:1
                                        ; implicit-def: $vgpr4
.LBB1168_7:
	s_or_saveexec_b64 s[26:27], s[12:13]
	s_load_dwordx2 s[22:23], s[0:1], 0x68
	s_load_dwordx4 s[16:19], s[0:1], 0x58
	s_load_dword s33, s[24:25], 0x4
	s_load_dwordx4 s[12:15], s[0:1], 0x80
	v_and_b32_e32 v32, 63, v0
	v_and_b32_e32 v33, 3, v0
	v_mov_b32_e32 v21, s30
	v_mov_b32_e32 v24, s21
	;; [unrolled: 1-line block ×5, first 2 shown]
                                        ; implicit-def: $vgpr6_vgpr7
                                        ; implicit-def: $vgpr2_vgpr3
                                        ; implicit-def: $vgpr14_vgpr15
                                        ; implicit-def: $vgpr10_vgpr11
	s_xor_b64 exec, exec, s[26:27]
	s_cbranch_execz .LBB1168_19
; %bb.8:
	s_load_dwordx2 s[30:31], s[0:1], 0x20
	s_load_dword s21, s[0:1], 0x38
	s_add_i32 s34, s3, 31
	s_ashr_i32 s35, s34, 31
	s_lshr_b32 s35, s35, 27
	v_add_u32_e32 v34, s5, v0
	s_add_i32 s34, s34, s35
	v_ashrrev_i32_e32 v2, 31, v34
	s_ashr_i32 s34, s34, 5
	v_lshrrev_b32_e32 v2, 27, v2
	s_add_i32 s36, s34, -1
	s_waitcnt lgkmcnt(0)
	s_mul_i32 s34, s2, s21
	s_mov_b32 s35, 0
	v_add_u32_e32 v2, v34, v2
	s_lshl_b64 s[34:35], s[34:35], 2
	v_ashrrev_i32_e32 v2, 5, v2
	v_mov_b32_e32 v3, s36
	v_cmp_gt_i32_e32 vcc, s3, v34
	s_add_u32 s30, s30, s34
	s_addc_u32 s31, s31, s35
	v_cndmask_b32_e32 v2, v3, v2, vcc
	v_ashrrev_i32_e32 v3, 31, v2
	v_lshl_add_u64 v[6:7], v[2:3], 2, s[30:31]
	v_ashrrev_i32_e32 v2, 31, v4
	v_lshrrev_b32_e32 v2, 27, v2
	v_add_u32_e32 v2, v4, v2
	v_ashrrev_i32_e32 v8, 5, v2
	v_min_i32_e32 v2, s36, v8
	v_ashrrev_i32_e32 v3, 31, v2
	v_lshl_add_u64 v[4:5], v[2:3], 2, s[30:31]
	v_add_u32_e32 v2, 1, v8
	v_min_i32_e32 v2, s36, v2
	v_ashrrev_i32_e32 v3, 31, v2
	v_lshl_add_u64 v[8:9], v[2:3], 2, s[30:31]
	global_load_dword v3, v[6:7], off
	global_load_dword v2, v[4:5], off
	;; [unrolled: 1-line block ×3, first 2 shown]
	s_load_dwordx2 s[34:35], s[0:1], 0x8
	s_andn2_b64 vcc, exec, s[10:11]
	s_cbranch_vccnz .LBB1168_11
; %bb.9:
	s_add_u32 s8, s8, s28
	s_addc_u32 s9, s9, s29
	s_load_dword s5, s[8:9], 0x0
	s_branch .LBB1168_12
.LBB1168_10:
	s_mov_b64 s[12:13], 0
	s_branch .LBB1168_2
.LBB1168_11:
	s_mov_b32 s5, s2
.LBB1168_12:
	s_load_dwordx2 s[28:29], s[0:1], 0x10
	s_load_dwordx4 s[8:11], s[0:1], 0x48
	v_cmp_eq_u32_e32 vcc, 0, v33
	s_mov_b32 s31, 0
	v_mov_b32_e32 v31, 0
	v_mov_b32_e32 v10, 0
	;; [unrolled: 1-line block ×5, first 2 shown]
	s_and_saveexec_b64 s[36:37], vcc
	s_cbranch_execz .LBB1168_14
; %bb.13:
	s_load_dwordx2 s[38:39], s[0:1], 0x0
	s_waitcnt lgkmcnt(0)
	s_ashr_i32 s11, s8, 31
	s_mul_hi_u32 s21, s5, s8
	s_mul_i32 s11, s5, s11
	s_add_i32 s41, s21, s11
	s_mul_i32 s40, s5, s8
	s_lshl_b64 s[40:41], s[40:41], 1
	s_add_u32 s5, s38, s40
	s_addc_u32 s8, s39, s41
	s_lshl_b32 s30, s4, 6
	s_lshl_b64 s[38:39], s[30:31], 1
	s_add_u32 s38, s5, s38
	s_addc_u32 s39, s8, s39
	v_lshlrev_b32_e32 v4, 2, v32
	global_load_dwordx4 v[10:13], v4, s[38:39]
.LBB1168_14:
	s_or_b64 exec, exec, s[36:37]
	s_waitcnt lgkmcnt(0)
	s_mul_i32 s8, s4, s10
	s_add_u32 s10, s8, s34
	s_addc_u32 s11, 0, s35
	v_mov_b64_e32 v[4:5], s[10:11]
	s_waitcnt vmcnt(2)
	v_mad_i64_i32 v[4:5], s[10:11], v3, s9, v[4:5]
	v_lshlrev_b32_e32 v3, 4, v0
	v_and_b32_e32 v30, 0x1f0, v3
	v_lshl_add_u64 v[4:5], v[4:5], 0, v[30:31]
	global_load_dwordx4 v[26:29], v[4:5], off
	global_load_dwordx4 v[22:25], v[4:5], off offset:512
	global_load_dwordx4 v[18:21], v[4:5], off offset:1024
	;; [unrolled: 1-line block ×3, first 2 shown]
	v_mov_b32_e32 v30, 0
	s_and_saveexec_b64 s[10:11], vcc
	s_cbranch_execz .LBB1168_16
; %bb.15:
	s_load_dwordx2 s[34:35], s[0:1], 0x40
	s_mov_b32 s5, s31
	s_lshl_b64 s[30:31], s[4:5], 2
	v_mov_b32_e32 v31, 1.0
	s_waitcnt lgkmcnt(0)
	s_add_u32 s30, s34, s30
	s_addc_u32 s31, s35, s31
	s_load_dword s5, s[30:31], 0x0
	s_waitcnt lgkmcnt(0)
	v_mov_b32_e32 v30, s5
.LBB1168_16:
	s_or_b64 exec, exec, s[10:11]
	s_load_dword s5, s[0:1], 0x1c
	s_add_u32 s0, s28, s8
	s_waitcnt vmcnt(5)
	v_mul_hi_i32 v3, v2, s9
	s_addc_u32 s1, s29, 0
	v_lshlrev_b32_e32 v36, 5, v32
	v_mov_b32_e32 v37, 0
	v_ashrrev_i32_e32 v3, 31, v3
	v_lshl_add_u64 v[38:39], s[0:1], 0, v[36:37]
	v_lshrrev_b32_e32 v36, 29, v3
	v_mad_i64_i32 v[2:3], s[0:1], v2, s9, v[36:37]
	s_waitcnt vmcnt(4)
	v_mul_hi_i32 v36, v35, s9
	v_ashrrev_i32_e32 v36, 31, v36
	v_lshrrev_b32_e32 v36, 29, v36
	v_and_b32_e32 v2, -8, v2
	v_mad_i64_i32 v[36:37], s[0:1], v35, s9, v[36:37]
	v_lshl_add_u64 v[40:41], v[38:39], 0, v[2:3]
	v_and_b32_e32 v36, -8, v36
	global_load_dwordx4 v[2:5], v[40:41], off offset:16
	global_load_dwordx4 v[6:9], v[40:41], off
	v_lshl_add_u64 v[36:37], v[38:39], 0, v[36:37]
	s_waitcnt vmcnt(5)
	v_cvt_pk_f32_fp8_e32 v[38:39], v26
	v_cvt_pk_f32_fp8_sdwa v[40:41], v26 src0_sel:WORD_1
	v_cvt_pk_f32_fp8_e32 v[42:43], v27
	v_cvt_pk_f32_fp8_sdwa v[26:27], v27 src0_sel:WORD_1
	s_mov_b32 s0, 0x7060302
	v_perm_b32 v38, v39, v38, s0
	v_perm_b32 v39, v41, v40, s0
	;; [unrolled: 1-line block ×3, first 2 shown]
	v_cvt_pk_f32_fp8_e32 v[26:27], v28
	v_mfma_f32_4x4x4_16b_bf16 a[0:3], v[10:11], v[38:39], 0 cbsz:4
	v_cvt_pk_f32_fp8_sdwa v[38:39], v28 src0_sel:WORD_1
	v_perm_b32 v40, v43, v42, s0
	v_perm_b32 v26, v27, v26, s0
	s_load_dword s1, s[12:13], 0x0
	v_mfma_f32_4x4x4_16b_bf16 a[0:3], v[12:13], v[40:41], a[0:3] cbsz:4
	v_cvt_pk_f32_fp8_e32 v[40:41], v29
	v_cvt_pk_f32_fp8_sdwa v[28:29], v29 src0_sel:WORD_1
	v_perm_b32 v27, v39, v38, s0
	v_cmp_eq_u32_e32 vcc, 1, v33
	v_perm_b32 v38, v41, v40, s0
	v_mfma_f32_4x4x4_16b_bf16 a[0:3], v[10:11], v[26:27], a[0:3] cbsz:4 abid:1
	v_perm_b32 v39, v29, v28, s0
	s_waitcnt vmcnt(4)
	v_cvt_pk_f32_fp8_e32 v[26:27], v22
	v_cvt_pk_f32_fp8_sdwa v[28:29], v22 src0_sel:WORD_1
	v_mfma_f32_4x4x4_16b_bf16 a[0:3], v[12:13], v[38:39], a[0:3] cbsz:4 abid:1
	v_cvt_pk_f32_fp8_e32 v[38:39], v23
	v_cvt_pk_f32_fp8_sdwa v[22:23], v23 src0_sel:WORD_1
	v_perm_b32 v26, v27, v26, s0
	v_perm_b32 v27, v29, v28, s0
	v_perm_b32 v28, v39, v38, s0
	v_perm_b32 v29, v23, v22, s0
	v_mfma_f32_4x4x4_16b_bf16 a[0:3], v[10:11], v[26:27], a[0:3] cbsz:4 abid:2
	v_cvt_pk_f32_fp8_e32 v[22:23], v24
	v_cvt_pk_f32_fp8_sdwa v[26:27], v24 src0_sel:WORD_1
	v_mfma_f32_4x4x4_16b_bf16 a[0:3], v[12:13], v[28:29], a[0:3] cbsz:4 abid:2
	v_cvt_pk_f32_fp8_e32 v[28:29], v25
	v_cvt_pk_f32_fp8_sdwa v[24:25], v25 src0_sel:WORD_1
	v_perm_b32 v22, v23, v22, s0
	v_perm_b32 v23, v27, v26, s0
	v_perm_b32 v26, v29, v28, s0
	v_perm_b32 v27, v25, v24, s0
	v_mfma_f32_4x4x4_16b_bf16 a[0:3], v[10:11], v[22:23], a[0:3] cbsz:4 abid:3
	s_waitcnt vmcnt(3)
	v_cvt_pk_f32_fp8_e32 v[22:23], v18
	v_cvt_pk_f32_fp8_sdwa v[24:25], v18 src0_sel:WORD_1
	v_mfma_f32_4x4x4_16b_bf16 a[0:3], v[12:13], v[26:27], a[0:3] cbsz:4 abid:3
	v_cvt_pk_f32_fp8_e32 v[26:27], v19
	v_cvt_pk_f32_fp8_sdwa v[18:19], v19 src0_sel:WORD_1
	v_perm_b32 v22, v23, v22, s0
	v_perm_b32 v23, v25, v24, s0
	v_perm_b32 v24, v27, v26, s0
	v_perm_b32 v25, v19, v18, s0
	v_mfma_f32_4x4x4_16b_bf16 a[0:3], v[10:11], v[22:23], a[0:3] cbsz:4 abid:4
	v_cvt_pk_f32_fp8_e32 v[18:19], v20
	v_cvt_pk_f32_fp8_sdwa v[22:23], v20 src0_sel:WORD_1
	v_mfma_f32_4x4x4_16b_bf16 a[0:3], v[12:13], v[24:25], a[0:3] cbsz:4 abid:4
	v_cvt_pk_f32_fp8_e32 v[24:25], v21
	v_cvt_pk_f32_fp8_sdwa v[20:21], v21 src0_sel:WORD_1
	v_perm_b32 v18, v19, v18, s0
	v_perm_b32 v19, v23, v22, s0
	v_perm_b32 v22, v25, v24, s0
	v_perm_b32 v23, v21, v20, s0
	v_mfma_f32_4x4x4_16b_bf16 a[0:3], v[10:11], v[18:19], a[0:3] cbsz:4 abid:5
	;; [unrolled: 21-line block ×3, first 2 shown]
	s_waitcnt lgkmcnt(0)
	v_mov_b32_e32 v10, s5
	v_mov_b32_e32 v25, 0xff7fffff
	v_mfma_f32_4x4x4_16b_bf16 a[0:3], v[12:13], v[18:19], a[0:3] cbsz:4 abid:7
	v_mul_f32_e32 v18, s1, v10
	s_nop 3
	v_accvgpr_read_b32 v11, a1
	v_accvgpr_read_b32 v10, a0
	v_pk_mul_f32 v[20:21], v[10:11], v[18:19] op_sel_hi:[1,0]
	global_load_dwordx4 v[10:13], v[36:37], off offset:16
	global_load_dwordx4 v[14:17], v[36:37], off
	v_accvgpr_read_b32 v23, a3
	v_accvgpr_read_b32 v22, a2
	v_pk_mul_f32 v[18:19], v[22:23], v[18:19] op_sel_hi:[1,0]
	v_mfma_f32_4x4x1_16b_f32 a[0:3], v20, v31, 0
	v_cndmask_b32_e64 v20, 0, 1.0, vcc
	v_cmp_eq_u32_e32 vcc, 2, v33
	s_nop 0
	v_mfma_f32_4x4x1_16b_f32 a[0:3], v21, v20, a[0:3]
	v_cndmask_b32_e64 v20, 0, 1.0, vcc
	v_cmp_eq_u32_e32 vcc, 3, v33
	s_nop 0
	v_mfma_f32_4x4x1_16b_f32 a[0:3], v18, v20, a[0:3]
	v_cndmask_b32_e64 v18, 0, 1.0, vcc
	s_nop 1
	v_mfma_f32_4x4x1_16b_f32 a[0:3], v19, v18, a[0:3]
	v_and_b32_e32 v18, -4, v34
	v_subrev_u32_e32 v19, s3, v18
	v_add_u32_e32 v20, 1, v19
	v_cvt_f32_i32_e32 v20, v20
	v_add_u32_e32 v21, 2, v19
	v_cvt_f32_i32_e32 v21, v21
	v_accvgpr_read_b32 v22, a0
	v_fma_f32 v20, v30, v20, v22
	v_accvgpr_read_b32 v22, a1
	v_fma_f32 v21, v30, v21, v22
	v_add_u32_e32 v22, 3, v19
	v_cvt_f32_i32_e32 v22, v22
	v_add_u32_e32 v19, 4, v19
	v_max_f32_e32 v24, 0xff7fffff, v20
	v_cmp_gt_i32_e32 vcc, s3, v18
	v_cvt_f32_i32_e32 v19, v19
	v_accvgpr_read_b32 v23, a2
	v_cndmask_b32_e32 v24, v25, v24, vcc
	v_or_b32_e32 v25, 1, v18
	v_max_f32_e32 v26, v24, v21
	v_cmp_gt_i32_e64 s[0:1], s3, v25
	v_fma_f32 v22, v30, v22, v23
	v_or_b32_e32 v18, 2, v18
	v_cndmask_b32_e64 v24, v24, v26, s[0:1]
	v_accvgpr_read_b32 v23, a3
	v_max_f32_e32 v25, v24, v22
	v_cmp_gt_i32_e64 s[8:9], s3, v18
	v_fmac_f32_e32 v23, v30, v19
	v_lshlrev_b32_e32 v19, 2, v0
	v_cndmask_b32_e64 v18, v24, v25, s[8:9]
	v_or_b32_e32 v24, 3, v34
	v_max_f32_e32 v25, v18, v23
	v_cmp_gt_i32_e64 s[10:11], s3, v24
	v_and_or_b32 v19, v19, 48, v33
	s_nop 0
	v_cndmask_b32_e64 v18, v18, v25, s[10:11]
	;;#ASMSTART
	v_nop
 v_nop
 v_max_f32_dpp v18, v18, v18 row_ror:4
	;;#ASMEND
	v_lshlrev_b32_e32 v25, 2, v19
	;;#ASMSTART
	v_nop
 v_nop
 v_max_f32_dpp v18, v18, v18 row_ror:8
	;;#ASMEND
	ds_bpermute_b32 v18, v25, v18
	s_waitcnt lgkmcnt(0)
	;;#ASMSTART
	v_nop
 v_nop
 v_max_f32_dpp v18, v18, v18 row_ror:4
	;;#ASMEND
	s_nop 0
	;;#ASMSTART
	v_nop
 v_nop
 v_max_f32_dpp v24, v18, v18 row_ror:8
	;;#ASMEND
	s_nop 0
	v_sub_f32_e32 v18, v20, v24
	v_mul_f32_e32 v18, 0x3fb8aa3b, v18
	v_sub_f32_e32 v19, v21, v24
	v_exp_f32_e32 v18, v18
	v_mul_f32_e32 v19, 0x3fb8aa3b, v19
	v_sub_f32_e32 v21, v22, v24
	v_exp_f32_e32 v19, v19
	;; [unrolled: 3-line block ×3, first 2 shown]
	v_mul_f32_e32 v22, 0x3fb8aa3b, v22
	v_exp_f32_e32 v22, v22
	v_cndmask_b32_e32 v18, 0, v18, vcc
	v_add_f32_e32 v20, 0, v18
	v_cndmask_b32_e64 v19, 0, v19, s[0:1]
	v_add_f32_e32 v23, v20, v19
	v_cndmask_b32_e64 v20, 0, v21, s[8:9]
	;; [unrolled: 2-line block ×3, first 2 shown]
	v_add_f32_e32 v22, v23, v21
	;;#ASMSTART
	v_nop
 v_nop
 v_add_f32_dpp v22, v22, v22 row_ror:4
	;;#ASMEND
	v_cmp_gt_u32_e32 vcc, 4, v32
	;;#ASMSTART
	v_nop
 v_nop
 v_add_f32_dpp v22, v22, v22 row_ror:8
	;;#ASMEND
	ds_bpermute_b32 v22, v25, v22
	s_waitcnt lgkmcnt(0)
	;;#ASMSTART
	v_nop
 v_nop
 v_add_f32_dpp v22, v22, v22 row_ror:4
	;;#ASMEND
	s_nop 0
	;;#ASMSTART
	v_nop
 v_nop
 v_add_f32_dpp v22, v22, v22 row_ror:8
	;;#ASMEND
	s_and_saveexec_b64 s[0:1], vcc
	s_cbranch_execz .LBB1168_18
; %bb.17:
	v_mul_u32_u24_e32 v23, 20, v1
	v_lshl_add_u32 v23, v33, 2, v23
	v_add_u32_e32 v23, 0x800, v23
	ds_write2_b32 v23, v24, v22 offset0:128 offset1:148
.LBB1168_18:
	s_or_b64 exec, exec, s[0:1]
.LBB1168_19:
	s_or_b64 exec, exec, s[26:27]
	s_waitcnt lgkmcnt(0)
	s_barrier
	s_load_dword s0, s[24:25], 0x8
	v_lshlrev_b32_e32 v22, 2, v33
	v_add_u32_e32 v30, 0x800, v22
	ds_read2_b32 v[22:23], v30 offset0:128 offset1:133
	ds_read2_b32 v[26:27], v30 offset0:138 offset1:143
	s_mul_i32 s1, s33, s2
	s_waitcnt lgkmcnt(0)
	s_mul_i32 s0, s1, s0
	s_mov_b32 s1, 0xff7fffff
	v_max3_f32 v25, v22, s1, v23
	v_max3_f32 v25, v25, v26, v27
	v_sub_f32_e32 v22, v22, v25
	ds_read2_b32 v[28:29], v30 offset0:148 offset1:153
	v_mul_f32_e32 v22, 0x3fb8aa3b, v22
	v_sub_f32_e32 v23, v23, v25
	v_sub_f32_e32 v26, v26, v25
	v_exp_f32_e32 v34, v22
	v_mul_f32_e32 v23, 0x3fb8aa3b, v23
	v_mul_f32_e32 v26, 0x3fb8aa3b, v26
	v_exp_f32_e32 v23, v23
	ds_read2_b32 v[30:31], v30 offset0:158 offset1:163
	v_exp_f32_e32 v35, v26
	v_sub_f32_e32 v26, v27, v25
	v_mul_f32_e32 v26, 0x3fb8aa3b, v26
	v_exp_f32_e32 v27, v26
	s_waitcnt lgkmcnt(1)
	v_fma_f32 v26, v34, v28, 0
	v_fmac_f32_e32 v26, v23, v29
	s_waitcnt lgkmcnt(0)
	v_fmac_f32_e32 v26, v35, v30
	v_mov_b32_e32 v22, 0
	v_fmac_f32_e32 v26, v27, v31
	s_mov_b32 s1, 0
	v_cmp_eq_u32_e32 vcc, 0, v33
	s_and_saveexec_b64 s[2:3], vcc
	s_cbranch_execz .LBB1168_21
; %bb.20:
	s_lshl_b64 s[8:9], s[0:1], 2
	s_add_u32 s5, s16, s8
	s_mov_b32 s21, s1
	s_addc_u32 s12, s17, s9
	s_lshl_b64 s[10:11], s[20:21], 2
	s_add_u32 s5, s5, s10
	s_addc_u32 s12, s12, s11
	s_add_u32 s8, s18, s8
	s_addc_u32 s9, s19, s9
	;; [unrolled: 2-line block ×3, first 2 shown]
	s_mul_i32 s8, s33, s4
	s_mov_b32 s9, s1
	s_lshl_b64 s[8:9], s[8:9], 2
	s_add_u32 s10, s5, s8
	s_addc_u32 s11, s12, s9
	s_add_u32 s8, s13, s8
	s_addc_u32 s9, s16, s9
	global_store_dword v22, v25, s[8:9]
	global_store_dword v22, v26, s[10:11]
.LBB1168_21:
	s_or_b64 exec, exec, s[2:3]
	v_mov_b32_e32 v23, 0
	s_and_saveexec_b64 s[2:3], s[6:7]
	s_cbranch_execz .LBB1168_23
; %bb.22:
	v_add_f32_e32 v22, 0x358637bd, v26
	v_div_scale_f32 v23, s[6:7], v22, v22, 1.0
	v_rcp_f32_e32 v26, v23
	v_div_scale_f32 v27, vcc, 1.0, v22, 1.0
	v_sub_f32_e32 v24, v24, v25
	v_fma_f32 v28, -v23, v26, 1.0
	v_fmac_f32_e32 v26, v28, v26
	v_mul_f32_e32 v28, v27, v26
	v_fma_f32 v29, -v23, v28, v27
	v_mul_f32_e32 v24, 0x3fb8aa3b, v24
	v_fmac_f32_e32 v28, v29, v26
	v_exp_f32_e32 v24, v24
	v_fma_f32 v23, -v23, v28, v27
	v_div_fmas_f32 v23, v23, v26, v28
	v_div_fixup_f32 v22, v23, v22, 1.0
	v_mul_f32_e32 v22, v24, v22
	v_pk_mul_f32 v[18:19], v[18:19], v[22:23] op_sel_hi:[1,0]
	v_pk_mul_f32 v[20:21], v[20:21], v[22:23] op_sel_hi:[1,0]
	v_bfe_u32 v22, v19, 16, 1
	v_bfe_u32 v23, v18, 16, 1
	s_movk_i32 s1, 0x7fff
	v_add3_u32 v18, v18, v23, s1
	v_add3_u32 v19, v19, v22, s1
	s_mov_b32 s5, 0x7060302
	v_perm_b32 v18, v19, v18, s5
	v_bfe_u32 v19, v21, 16, 1
	v_bfe_u32 v22, v20, 16, 1
	v_add3_u32 v22, v20, v22, s1
	v_add3_u32 v19, v21, v19, s1
	s_waitcnt vmcnt(2)
	v_cvt_pk_f32_fp8_e32 v[20:21], v6
	v_perm_b32 v19, v19, v22, s5
	v_cvt_pk_f32_fp8_sdwa v[22:23], v6 src0_sel:WORD_1
	v_cvt_pk_f32_fp8_e32 v[24:25], v7
	v_perm_b32 v6, v21, v20, s5
	v_cvt_pk_f32_fp8_sdwa v[20:21], v7 src0_sel:WORD_1
	v_perm_b32 v7, v23, v22, s5
	v_perm_b32 v22, v25, v24, s5
	s_load_dword s6, s[14:15], 0x0
	v_mfma_f32_4x4x4_16b_bf16 a[0:3], v[18:19], v[6:7], 0 cbsz:4
	v_perm_b32 v23, v21, v20, s5
	v_cvt_pk_f32_fp8_e32 v[6:7], v8
	v_cvt_pk_f32_fp8_sdwa v[20:21], v8 src0_sel:WORD_1
	v_mfma_f32_4x4x4_16b_bf16 a[0:3], v[18:19], v[22:23], a[0:3] cbsz:4 abid:1
	v_cvt_pk_f32_fp8_e32 v[22:23], v9
	v_cvt_pk_f32_fp8_sdwa v[8:9], v9 src0_sel:WORD_1
	v_perm_b32 v6, v7, v6, s5
	v_perm_b32 v7, v21, v20, s5
	;; [unrolled: 1-line block ×4, first 2 shown]
	v_mfma_f32_4x4x4_16b_bf16 a[0:3], v[18:19], v[6:7], a[0:3] cbsz:4 abid:2
	v_cvt_pk_f32_fp8_e32 v[6:7], v2
	v_cvt_pk_f32_fp8_sdwa v[8:9], v2 src0_sel:WORD_1
	v_mfma_f32_4x4x4_16b_bf16 a[0:3], v[18:19], v[20:21], a[0:3] cbsz:4 abid:3
	v_cvt_pk_f32_fp8_e32 v[20:21], v3
	v_perm_b32 v2, v7, v6, s5
	v_cvt_pk_f32_fp8_sdwa v[6:7], v3 src0_sel:WORD_1
	v_perm_b32 v3, v9, v8, s5
	v_perm_b32 v8, v21, v20, s5
	;; [unrolled: 1-line block ×3, first 2 shown]
	v_mfma_f32_4x4x4_16b_bf16 a[0:3], v[18:19], v[2:3], a[0:3] cbsz:4 abid:4
	v_cvt_pk_f32_fp8_e32 v[2:3], v4
	v_cvt_pk_f32_fp8_sdwa v[6:7], v4 src0_sel:WORD_1
	v_mfma_f32_4x4x4_16b_bf16 a[0:3], v[18:19], v[8:9], a[0:3] cbsz:4 abid:5
	v_cvt_pk_f32_fp8_e32 v[8:9], v5
	v_cvt_pk_f32_fp8_sdwa v[4:5], v5 src0_sel:WORD_1
	v_perm_b32 v2, v3, v2, s5
	v_perm_b32 v3, v7, v6, s5
	;; [unrolled: 1-line block ×4, first 2 shown]
	v_mfma_f32_4x4x4_16b_bf16 a[0:3], v[18:19], v[2:3], a[0:3] cbsz:4 abid:6
	s_waitcnt vmcnt(0)
	v_cvt_pk_f32_fp8_e32 v[2:3], v14
	v_cvt_pk_f32_fp8_sdwa v[4:5], v14 src0_sel:WORD_1
	v_mfma_f32_4x4x4_16b_bf16 a[0:3], v[18:19], v[6:7], a[0:3] cbsz:4 abid:7
	v_cvt_pk_f32_fp8_e32 v[6:7], v15
	v_cvt_pk_f32_fp8_sdwa v[8:9], v15 src0_sel:WORD_1
	v_perm_b32 v2, v3, v2, s5
	v_perm_b32 v3, v5, v4, s5
	;; [unrolled: 1-line block ×4, first 2 shown]
	v_mfma_f32_4x4x4_16b_bf16 a[0:3], v[18:19], v[2:3], a[0:3] cbsz:4 abid:8
	v_cvt_pk_f32_fp8_e32 v[2:3], v16
	v_cvt_pk_f32_fp8_e32 v[6:7], v17
	v_mfma_f32_4x4x4_16b_bf16 a[0:3], v[18:19], v[4:5], a[0:3] cbsz:4 abid:9
	v_cvt_pk_f32_fp8_sdwa v[4:5], v16 src0_sel:WORD_1
	v_cvt_pk_f32_fp8_sdwa v[8:9], v17 src0_sel:WORD_1
	v_perm_b32 v2, v3, v2, s5
	v_perm_b32 v3, v5, v4, s5
	v_perm_b32 v4, v7, v6, s5
	s_nop 0
	v_mfma_f32_4x4x4_16b_bf16 a[0:3], v[18:19], v[2:3], a[0:3] cbsz:4 abid:10
	v_perm_b32 v5, v9, v8, s5
	v_cvt_pk_f32_fp8_e32 v[2:3], v10
	v_cvt_pk_f32_fp8_e32 v[6:7], v11
	v_mfma_f32_4x4x4_16b_bf16 a[0:3], v[18:19], v[4:5], a[0:3] cbsz:4 abid:11
	v_cvt_pk_f32_fp8_sdwa v[4:5], v10 src0_sel:WORD_1
	v_cvt_pk_f32_fp8_sdwa v[8:9], v11 src0_sel:WORD_1
	v_perm_b32 v2, v3, v2, s5
	v_perm_b32 v3, v5, v4, s5
	v_perm_b32 v4, v7, v6, s5
	s_nop 0
	v_mfma_f32_4x4x4_16b_bf16 a[0:3], v[18:19], v[2:3], a[0:3] cbsz:4 abid:12
	v_perm_b32 v5, v9, v8, s5
	;; [unrolled: 11-line block ×3, first 2 shown]
	s_nop 1
	v_mfma_f32_4x4x4_16b_bf16 a[0:3], v[18:19], v[4:5], a[0:3] cbsz:4 abid:15
	s_nop 4
	v_accvgpr_read_b32 v5, a1
	v_accvgpr_read_b32 v4, a0
	v_accvgpr_read_b32 v3, a3
	v_accvgpr_read_b32 v2, a2
	s_waitcnt lgkmcnt(0)
	v_pk_mul_f32 v[4:5], v[4:5], s[6:7] op_sel_hi:[1,0]
	v_pk_mul_f32 v[2:3], v[2:3], s[6:7] op_sel_hi:[1,0]
	v_bfe_u32 v6, v5, 16, 1
	v_bfe_u32 v7, v4, 16, 1
	v_add3_u32 v4, v4, v7, s1
	v_add3_u32 v5, v5, v6, s1
	v_bfe_u32 v6, v3, 16, 1
	v_bfe_u32 v7, v2, 16, 1
	v_add3_u32 v2, v2, v7, s1
	v_add3_u32 v3, v3, v6, s1
	v_perm_b32 v23, v3, v2, s5
	v_perm_b32 v22, v5, v4, s5
.LBB1168_23:
	s_or_b64 exec, exec, s[2:3]
	v_lshlrev_b32_e32 v1, 3, v1
	v_mad_u32_u24 v1, v32, 40, v1
	v_cmp_gt_u32_e32 vcc, 64, v0
	ds_write_b64 v1, v[22:23]
	s_waitcnt lgkmcnt(0)
	s_barrier
	s_and_saveexec_b64 s[2:3], vcc
	s_cbranch_execz .LBB1168_25
; %bb.24:
	s_waitcnt vmcnt(2)
	v_mul_u32_u24_e32 v6, 40, v32
	ds_read2_b64 v[2:5], v6 offset1:1
	ds_read2_b64 v[6:9], v6 offset0:2 offset1:3
	s_lshl_b32 s0, s0, 6
	s_mov_b32 s1, 0
	s_lshl_b64 s[2:3], s[0:1], 1
	s_waitcnt lgkmcnt(1)
	v_lshlrev_b32_e32 v2, 16, v2
	v_add_f32_e32 v2, 0, v2
	s_add_u32 s2, s22, s2
	v_and_b32_e32 v2, 0xffff0000, v2
	v_lshlrev_b32_e32 v3, 16, v4
	s_addc_u32 s3, s23, s3
	s_lshl_b32 s0, s20, 6
	v_add_f32_e32 v2, v2, v3
	s_lshl_b64 s[0:1], s[0:1], 1
	v_and_b32_e32 v2, 0xffff0000, v2
	s_waitcnt lgkmcnt(0)
	v_lshlrev_b32_e32 v3, 16, v6
	s_add_u32 s0, s2, s0
	s_mul_i32 s2, s4, s33
	v_add_f32_e32 v2, v2, v3
	s_addc_u32 s1, s3, s1
	v_lshl_or_b32 v0, s2, 6, v0
	v_mov_b32_e32 v1, 0
	v_and_b32_e32 v2, 0xffff0000, v2
	v_lshlrev_b32_e32 v3, 16, v8
	v_lshl_add_u64 v[0:1], v[0:1], 1, s[0:1]
	v_add_f32_e32 v2, v2, v3
	global_store_short_d16_hi v[0:1], v2, off
.LBB1168_25:
	s_endpgm
	.section	.rodata,"a",@progbits
	.p2align	6, 0x0
	.amdhsa_kernel _Z38paged_attention_ll4mi_QKV_mfma4_kernelI14__hip_bfloat16hLN4vllm18Fp8KVCacheDataTypeE1EhLi32ELi64ELi256ELb1ELi1EEvPKT_PKT0_S8_ifPKiSA_SA_iPKfiiiPfSD_PS3_PT2_iSC_SC_
		.amdhsa_group_segment_fixed_size 2720
		.amdhsa_private_segment_fixed_size 0
		.amdhsa_kernarg_size 400
		.amdhsa_user_sgpr_count 2
		.amdhsa_user_sgpr_dispatch_ptr 0
		.amdhsa_user_sgpr_queue_ptr 0
		.amdhsa_user_sgpr_kernarg_segment_ptr 1
		.amdhsa_user_sgpr_dispatch_id 0
		.amdhsa_user_sgpr_kernarg_preload_length 0
		.amdhsa_user_sgpr_kernarg_preload_offset 0
		.amdhsa_user_sgpr_private_segment_size 0
		.amdhsa_uses_dynamic_stack 0
		.amdhsa_enable_private_segment 0
		.amdhsa_system_sgpr_workgroup_id_x 1
		.amdhsa_system_sgpr_workgroup_id_y 1
		.amdhsa_system_sgpr_workgroup_id_z 1
		.amdhsa_system_sgpr_workgroup_info 0
		.amdhsa_system_vgpr_workitem_id 0
		.amdhsa_next_free_vgpr 48
		.amdhsa_next_free_sgpr 42
		.amdhsa_accum_offset 44
		.amdhsa_reserve_vcc 1
		.amdhsa_float_round_mode_32 0
		.amdhsa_float_round_mode_16_64 0
		.amdhsa_float_denorm_mode_32 3
		.amdhsa_float_denorm_mode_16_64 3
		.amdhsa_dx10_clamp 1
		.amdhsa_ieee_mode 1
		.amdhsa_fp16_overflow 0
		.amdhsa_tg_split 0
		.amdhsa_exception_fp_ieee_invalid_op 0
		.amdhsa_exception_fp_denorm_src 0
		.amdhsa_exception_fp_ieee_div_zero 0
		.amdhsa_exception_fp_ieee_overflow 0
		.amdhsa_exception_fp_ieee_underflow 0
		.amdhsa_exception_fp_ieee_inexact 0
		.amdhsa_exception_int_div_zero 0
	.end_amdhsa_kernel
	.section	.text._Z38paged_attention_ll4mi_QKV_mfma4_kernelI14__hip_bfloat16hLN4vllm18Fp8KVCacheDataTypeE1EhLi32ELi64ELi256ELb1ELi1EEvPKT_PKT0_S8_ifPKiSA_SA_iPKfiiiPfSD_PS3_PT2_iSC_SC_,"axG",@progbits,_Z38paged_attention_ll4mi_QKV_mfma4_kernelI14__hip_bfloat16hLN4vllm18Fp8KVCacheDataTypeE1EhLi32ELi64ELi256ELb1ELi1EEvPKT_PKT0_S8_ifPKiSA_SA_iPKfiiiPfSD_PS3_PT2_iSC_SC_,comdat
.Lfunc_end1168:
	.size	_Z38paged_attention_ll4mi_QKV_mfma4_kernelI14__hip_bfloat16hLN4vllm18Fp8KVCacheDataTypeE1EhLi32ELi64ELi256ELb1ELi1EEvPKT_PKT0_S8_ifPKiSA_SA_iPKfiiiPfSD_PS3_PT2_iSC_SC_, .Lfunc_end1168-_Z38paged_attention_ll4mi_QKV_mfma4_kernelI14__hip_bfloat16hLN4vllm18Fp8KVCacheDataTypeE1EhLi32ELi64ELi256ELb1ELi1EEvPKT_PKT0_S8_ifPKiSA_SA_iPKfiiiPfSD_PS3_PT2_iSC_SC_
                                        ; -- End function
	.section	.AMDGPU.csdata,"",@progbits
; Kernel info:
; codeLenInByte = 3904
; NumSgprs: 48
; NumVgprs: 44
; NumAgprs: 4
; TotalNumVgprs: 48
; ScratchSize: 0
; MemoryBound: 0
; FloatMode: 240
; IeeeMode: 1
; LDSByteSize: 2720 bytes/workgroup (compile time only)
; SGPRBlocks: 5
; VGPRBlocks: 5
; NumSGPRsForWavesPerEU: 48
; NumVGPRsForWavesPerEU: 48
; AccumOffset: 44
; Occupancy: 8
; WaveLimiterHint : 1
; COMPUTE_PGM_RSRC2:SCRATCH_EN: 0
; COMPUTE_PGM_RSRC2:USER_SGPR: 2
; COMPUTE_PGM_RSRC2:TRAP_HANDLER: 0
; COMPUTE_PGM_RSRC2:TGID_X_EN: 1
; COMPUTE_PGM_RSRC2:TGID_Y_EN: 1
; COMPUTE_PGM_RSRC2:TGID_Z_EN: 1
; COMPUTE_PGM_RSRC2:TIDIG_COMP_CNT: 0
; COMPUTE_PGM_RSRC3_GFX90A:ACCUM_OFFSET: 10
; COMPUTE_PGM_RSRC3_GFX90A:TG_SPLIT: 0
	.section	.text._Z38paged_attention_ll4mi_QKV_mfma4_kernelI14__hip_bfloat16hLN4vllm18Fp8KVCacheDataTypeE1EhLi32ELi64ELi256ELb1ELi2EEvPKT_PKT0_S8_ifPKiSA_SA_iPKfiiiPfSD_PS3_PT2_iSC_SC_,"axG",@progbits,_Z38paged_attention_ll4mi_QKV_mfma4_kernelI14__hip_bfloat16hLN4vllm18Fp8KVCacheDataTypeE1EhLi32ELi64ELi256ELb1ELi2EEvPKT_PKT0_S8_ifPKiSA_SA_iPKfiiiPfSD_PS3_PT2_iSC_SC_,comdat
	.protected	_Z38paged_attention_ll4mi_QKV_mfma4_kernelI14__hip_bfloat16hLN4vllm18Fp8KVCacheDataTypeE1EhLi32ELi64ELi256ELb1ELi2EEvPKT_PKT0_S8_ifPKiSA_SA_iPKfiiiPfSD_PS3_PT2_iSC_SC_ ; -- Begin function _Z38paged_attention_ll4mi_QKV_mfma4_kernelI14__hip_bfloat16hLN4vllm18Fp8KVCacheDataTypeE1EhLi32ELi64ELi256ELb1ELi2EEvPKT_PKT0_S8_ifPKiSA_SA_iPKfiiiPfSD_PS3_PT2_iSC_SC_
	.globl	_Z38paged_attention_ll4mi_QKV_mfma4_kernelI14__hip_bfloat16hLN4vllm18Fp8KVCacheDataTypeE1EhLi32ELi64ELi256ELb1ELi2EEvPKT_PKT0_S8_ifPKiSA_SA_iPKfiiiPfSD_PS3_PT2_iSC_SC_
	.p2align	8
	.type	_Z38paged_attention_ll4mi_QKV_mfma4_kernelI14__hip_bfloat16hLN4vllm18Fp8KVCacheDataTypeE1EhLi32ELi64ELi256ELb1ELi2EEvPKT_PKT0_S8_ifPKiSA_SA_iPKfiiiPfSD_PS3_PT2_iSC_SC_,@function
_Z38paged_attention_ll4mi_QKV_mfma4_kernelI14__hip_bfloat16hLN4vllm18Fp8KVCacheDataTypeE1EhLi32ELi64ELi256ELb1ELi2EEvPKT_PKT0_S8_ifPKiSA_SA_iPKfiiiPfSD_PS3_PT2_iSC_SC_: ; @_Z38paged_attention_ll4mi_QKV_mfma4_kernelI14__hip_bfloat16hLN4vllm18Fp8KVCacheDataTypeE1EhLi32ELi64ELi256ELb1ELi2EEvPKT_PKT0_S8_ifPKiSA_SA_iPKfiiiPfSD_PS3_PT2_iSC_SC_
; %bb.0:
	s_load_dwordx2 s[16:17], s[0:1], 0x30
	s_mov_b32 s20, s3
	s_mov_b64 s[6:7], 0
	s_waitcnt lgkmcnt(0)
	s_cmp_lg_u64 s[16:17], 0
	s_cselect_b64 s[18:19], -1, 0
	s_and_b64 vcc, exec, s[18:19]
	s_cbranch_vccz .LBB1169_10
; %bb.1:
	s_add_i32 s8, s2, 1
	s_mov_b32 s9, 0
	s_lshl_b64 s[10:11], s[8:9], 2
	s_add_u32 s10, s16, s10
	s_mov_b32 s3, s9
	s_addc_u32 s11, s17, s11
	s_lshl_b64 s[8:9], s[2:3], 2
	s_add_u32 s8, s16, s8
	s_addc_u32 s9, s17, s9
	s_load_dword s5, s[10:11], 0x0
	s_load_dword s12, s[8:9], 0x0
	s_waitcnt lgkmcnt(0)
	s_sub_i32 s5, s5, s12
	s_cmp_eq_u32 s5, 1
	s_cselect_b64 s[8:9], -1, 0
	s_andn2_b64 vcc, exec, s[6:7]
	s_cbranch_vccnz .LBB1169_3
.LBB1169_2:
	s_mov_b32 s3, 0
	s_mov_b64 s[8:9], -1
.LBB1169_3:
	s_andn2_b64 vcc, exec, s[8:9]
	s_cbranch_vccnz .LBB1169_25
; %bb.4:
	s_load_dword s5, s[0:1], 0x9c
	s_load_dwordx2 s[6:7], s[0:1], 0x28
	s_add_u32 s24, s0, 0x90
	s_addc_u32 s25, s1, 0
	s_lshl_b64 s[28:29], s[2:3], 2
	s_waitcnt lgkmcnt(0)
	s_and_b32 s5, s5, 0xffff
	s_add_u32 s6, s6, s28
	s_addc_u32 s7, s7, s29
	s_load_dword s3, s[6:7], 0x0
	s_mul_i32 s5, s20, s5
	s_waitcnt lgkmcnt(0)
	s_cmp_ge_i32 s5, s3
	s_cbranch_scc1 .LBB1169_25
; %bb.5:
	v_and_b32_e32 v2, 0xc0, v0
	v_add_u32_e32 v4, s5, v2
	v_lshrrev_b32_e32 v1, 6, v0
	v_cmp_gt_i32_e64 s[6:7], s3, v4
	v_cmp_le_i32_e32 vcc, s3, v4
                                        ; implicit-def: $sgpr30
                                        ; implicit-def: $sgpr21
	s_and_saveexec_b64 s[8:9], vcc
	s_xor_b64 s[8:9], exec, s[8:9]
	s_cbranch_execz .LBB1169_7
; %bb.6:
	v_mul_u32_u24_e32 v2, 20, v1
	v_or_b32_e32 v2, 0xa00, v2
	v_mov_b32_e32 v3, 0xa50
	v_mov_b32_e32 v4, 0xff7fffff
	v_mad_u32_u24 v3, v1, 20, v3
	ds_write2_b32 v2, v4, v4 offset1:1
	v_mov_b32_e32 v2, 0
	ds_write2_b32 v3, v2, v2 offset1:1
	v_mov_b32_e32 v3, 0xa08
	s_mov_b32 s21, 0xff7fffff
	s_mov_b32 s30, 0
	v_mad_u32_u24 v3, v1, 20, v3
	v_mov_b32_e32 v5, 0xa58
	v_mad_u32_u24 v5, v1, 20, v5
	ds_write2_b32 v3, v4, v4 offset1:1
	ds_write2_b32 v5, v2, v2 offset1:1
                                        ; implicit-def: $vgpr4
.LBB1169_7:
	s_or_saveexec_b64 s[26:27], s[8:9]
	s_load_dwordx2 s[22:23], s[0:1], 0x68
	s_load_dwordx4 s[12:15], s[0:1], 0x58
	s_load_dword s38, s[24:25], 0x4
	s_load_dwordx4 s[8:11], s[0:1], 0x80
	v_and_b32_e32 v38, 63, v0
	v_and_b32_e32 v39, 3, v0
	s_lshl_b32 s33, s4, 1
	v_mov_b32_e32 v21, s30
	v_mov_b32_e32 v24, s21
	;; [unrolled: 1-line block ×5, first 2 shown]
                                        ; implicit-def: $vgpr14_vgpr15
                                        ; implicit-def: $vgpr10_vgpr11
                                        ; implicit-def: $vgpr6_vgpr7
                                        ; implicit-def: $vgpr2_vgpr3
	s_xor_b64 exec, exec, s[26:27]
	s_cbranch_execz .LBB1169_19
; %bb.8:
	s_load_dwordx2 s[30:31], s[0:1], 0x20
	s_load_dword s21, s[0:1], 0x38
	s_add_i32 s34, s3, 31
	s_ashr_i32 s35, s34, 31
	s_lshr_b32 s35, s35, 27
	v_add_u32_e32 v40, s5, v0
	s_add_i32 s34, s34, s35
	v_ashrrev_i32_e32 v2, 31, v40
	s_ashr_i32 s34, s34, 5
	v_lshrrev_b32_e32 v2, 27, v2
	s_add_i32 s36, s34, -1
	s_waitcnt lgkmcnt(0)
	s_mul_i32 s34, s2, s21
	s_mov_b32 s35, 0
	v_add_u32_e32 v2, v40, v2
	s_lshl_b64 s[34:35], s[34:35], 2
	v_ashrrev_i32_e32 v2, 5, v2
	v_mov_b32_e32 v3, s36
	v_cmp_gt_i32_e32 vcc, s3, v40
	s_add_u32 s30, s30, s34
	s_addc_u32 s31, s31, s35
	v_cndmask_b32_e32 v2, v3, v2, vcc
	v_ashrrev_i32_e32 v3, 31, v2
	v_lshl_add_u64 v[6:7], v[2:3], 2, s[30:31]
	v_ashrrev_i32_e32 v2, 31, v4
	v_lshrrev_b32_e32 v2, 27, v2
	v_add_u32_e32 v2, v4, v2
	v_ashrrev_i32_e32 v4, 5, v2
	v_min_i32_e32 v2, s36, v4
	v_ashrrev_i32_e32 v3, 31, v2
	v_lshl_add_u64 v[8:9], v[2:3], 2, s[30:31]
	v_add_u32_e32 v2, 1, v4
	v_min_i32_e32 v2, s36, v2
	v_ashrrev_i32_e32 v3, 31, v2
	v_lshl_add_u64 v[10:11], v[2:3], 2, s[30:31]
	global_load_dword v2, v[6:7], off
	global_load_dword v5, v[8:9], off
	;; [unrolled: 1-line block ×3, first 2 shown]
	s_load_dwordx2 s[30:31], s[0:1], 0x8
	s_andn2_b64 vcc, exec, s[18:19]
	s_cbranch_vccnz .LBB1169_11
; %bb.9:
	s_add_u32 s16, s16, s28
	s_addc_u32 s17, s17, s29
	s_load_dword s5, s[16:17], 0x0
	s_branch .LBB1169_12
.LBB1169_10:
	s_mov_b64 s[8:9], 0
	s_branch .LBB1169_2
.LBB1169_11:
	s_mov_b32 s5, s2
.LBB1169_12:
	s_load_dwordx2 s[28:29], s[0:1], 0x10
	s_load_dwordx4 s[16:19], s[0:1], 0x48
	v_cmp_gt_u32_e32 vcc, 2, v39
	s_mov_b32 s37, 0
	v_mov_b32_e32 v3, 0
	v_mov_b32_e32 v18, 0
	;; [unrolled: 1-line block ×5, first 2 shown]
	s_and_saveexec_b64 s[34:35], vcc
	s_cbranch_execz .LBB1169_14
; %bb.13:
	s_load_dwordx2 s[40:41], s[0:1], 0x0
	s_waitcnt lgkmcnt(0)
	s_ashr_i32 s19, s16, 31
	s_mul_hi_u32 s21, s5, s16
	s_mul_i32 s19, s5, s19
	s_add_i32 s43, s21, s19
	s_mul_i32 s42, s5, s16
	s_lshl_b64 s[42:43], s[42:43], 1
	s_add_u32 s5, s40, s42
	s_addc_u32 s16, s41, s43
	s_lshl_b32 s36, s4, 7
	s_lshl_b64 s[36:37], s[36:37], 1
	s_add_u32 s36, s5, s36
	v_lshlrev_b32_e32 v6, 3, v39
	v_lshrrev_b32_e32 v7, 2, v38
	s_addc_u32 s37, s16, s37
	v_add_lshl_u32 v6, v6, v7, 4
	global_load_dwordx4 v[18:21], v6, s[36:37]
.LBB1169_14:
	s_or_b64 exec, exec, s[34:35]
	s_waitcnt lgkmcnt(0)
	s_mul_i32 s16, s4, s18
	s_add_u32 s4, s16, s30
	s_addc_u32 s5, 0, s31
	v_mov_b64_e32 v[6:7], s[4:5]
	s_waitcnt vmcnt(2)
	v_mad_i64_i32 v[6:7], s[4:5], v2, s17, v[6:7]
	v_lshlrev_b32_e32 v2, 4, v0
	v_and_b32_e32 v2, 0x1f0, v2
	v_lshl_add_u64 v[6:7], v[6:7], 0, v[2:3]
	global_load_dwordx4 v[34:37], v[6:7], off
	global_load_dwordx4 v[30:33], v[6:7], off offset:512
	global_load_dwordx4 v[26:29], v[6:7], off offset:1024
	;; [unrolled: 1-line block ×3, first 2 shown]
	v_mov_b32_e32 v41, 0
	s_and_saveexec_b64 s[4:5], vcc
	s_cbranch_execz .LBB1169_16
; %bb.15:
	s_load_dwordx2 s[18:19], s[0:1], 0x40
	v_or_b32_e32 v6, s33, v39
	v_mov_b32_e32 v7, 0
	s_waitcnt lgkmcnt(0)
	v_lshl_add_u64 v[6:7], v[6:7], 2, s[18:19]
	global_load_dword v41, v[6:7], off
.LBB1169_16:
	s_or_b64 exec, exec, s[4:5]
	s_waitcnt vmcnt(5)
	v_mul_hi_i32 v6, v5, s17
	s_load_dword s4, s[0:1], 0x1c
	s_add_u32 s0, s28, s16
	v_ashrrev_i32_e32 v6, 31, v6
	s_addc_u32 s1, s29, 0
	v_lshlrev_b32_e32 v2, 5, v38
	v_lshrrev_b32_e32 v6, 29, v6
	v_mov_b32_e32 v7, 0
	v_lshl_add_u64 v[2:3], s[0:1], 0, v[2:3]
	v_mad_i64_i32 v[8:9], s[0:1], v5, s17, v[6:7]
	s_waitcnt vmcnt(4)
	v_mul_hi_i32 v5, v4, s17
	v_ashrrev_i32_e32 v5, 31, v5
	v_lshrrev_b32_e32 v6, 29, v5
	v_mad_i64_i32 v[4:5], s[0:1], v4, s17, v[6:7]
	v_and_b32_e32 v8, -8, v8
	v_and_b32_e32 v4, -8, v4
	v_lshl_add_u64 v[8:9], v[2:3], 0, v[8:9]
	v_lshl_add_u64 v[42:43], v[2:3], 0, v[4:5]
	global_load_dwordx4 v[10:13], v[8:9], off offset:16
	global_load_dwordx4 v[14:17], v[8:9], off
	global_load_dwordx4 v[2:5], v[42:43], off offset:16
	s_nop 0
	global_load_dwordx4 v[6:9], v[42:43], off
	s_waitcnt vmcnt(7)
	v_cvt_pk_f32_fp8_e32 v[42:43], v34
	v_cvt_pk_f32_fp8_sdwa v[44:45], v34 src0_sel:WORD_1
	s_mov_b32 s0, 0x7060302
	v_cvt_pk_f32_fp8_e32 v[46:47], v35
	v_perm_b32 v34, v43, v42, s0
	v_cvt_pk_f32_fp8_sdwa v[42:43], v35 src0_sel:WORD_1
	v_perm_b32 v35, v45, v44, s0
	v_perm_b32 v44, v47, v46, s0
	v_cmp_eq_u32_e32 vcc, 0, v39
	v_mfma_f32_4x4x4_16b_bf16 a[0:3], v[18:19], v[34:35], 0 cbsz:4
	v_perm_b32 v45, v43, v42, s0
	v_cvt_pk_f32_fp8_e32 v[34:35], v36
	v_cvt_pk_f32_fp8_sdwa v[42:43], v36 src0_sel:WORD_1
	v_mfma_f32_4x4x4_16b_bf16 a[0:3], v[20:21], v[44:45], a[0:3] cbsz:4
	v_cvt_pk_f32_fp8_e32 v[44:45], v37
	v_cvt_pk_f32_fp8_sdwa v[36:37], v37 src0_sel:WORD_1
	v_perm_b32 v34, v35, v34, s0
	v_perm_b32 v35, v43, v42, s0
	v_perm_b32 v42, v45, v44, s0
	v_perm_b32 v43, v37, v36, s0
	v_mfma_f32_4x4x4_16b_bf16 a[0:3], v[18:19], v[34:35], a[0:3] cbsz:4 abid:1
	s_waitcnt vmcnt(6)
	v_cvt_pk_f32_fp8_e32 v[34:35], v30
	v_cvt_pk_f32_fp8_sdwa v[36:37], v30 src0_sel:WORD_1
	v_mfma_f32_4x4x4_16b_bf16 a[0:3], v[20:21], v[42:43], a[0:3] cbsz:4 abid:1
	v_cvt_pk_f32_fp8_e32 v[42:43], v31
	v_perm_b32 v30, v35, v34, s0
	v_cvt_pk_f32_fp8_sdwa v[34:35], v31 src0_sel:WORD_1
	v_perm_b32 v31, v37, v36, s0
	v_perm_b32 v36, v43, v42, s0
	v_perm_b32 v37, v35, v34, s0
	v_mfma_f32_4x4x4_16b_bf16 a[0:3], v[18:19], v[30:31], a[0:3] cbsz:4 abid:2
	v_cvt_pk_f32_fp8_e32 v[30:31], v32
	v_cvt_pk_f32_fp8_sdwa v[34:35], v32 src0_sel:WORD_1
	v_mfma_f32_4x4x4_16b_bf16 a[0:3], v[20:21], v[36:37], a[0:3] cbsz:4 abid:2
	v_cvt_pk_f32_fp8_e32 v[36:37], v33
	v_cvt_pk_f32_fp8_sdwa v[32:33], v33 src0_sel:WORD_1
	v_perm_b32 v30, v31, v30, s0
	v_perm_b32 v31, v35, v34, s0
	v_perm_b32 v34, v37, v36, s0
	v_perm_b32 v35, v33, v32, s0
	v_mfma_f32_4x4x4_16b_bf16 a[0:3], v[18:19], v[30:31], a[0:3] cbsz:4 abid:3
	s_waitcnt vmcnt(5)
	v_cvt_pk_f32_fp8_e32 v[30:31], v26
	v_cvt_pk_f32_fp8_sdwa v[32:33], v26 src0_sel:WORD_1
	v_mfma_f32_4x4x4_16b_bf16 a[0:3], v[20:21], v[34:35], a[0:3] cbsz:4 abid:3
	v_cvt_pk_f32_fp8_e32 v[34:35], v27
	v_perm_b32 v26, v31, v30, s0
	v_cvt_pk_f32_fp8_sdwa v[30:31], v27 src0_sel:WORD_1
	v_perm_b32 v27, v33, v32, s0
	v_perm_b32 v32, v35, v34, s0
	v_perm_b32 v33, v31, v30, s0
	v_mfma_f32_4x4x4_16b_bf16 a[0:3], v[18:19], v[26:27], a[0:3] cbsz:4 abid:4
	v_cvt_pk_f32_fp8_e32 v[26:27], v28
	v_cvt_pk_f32_fp8_sdwa v[30:31], v28 src0_sel:WORD_1
	v_mfma_f32_4x4x4_16b_bf16 a[0:3], v[20:21], v[32:33], a[0:3] cbsz:4 abid:4
	;; [unrolled: 21-line block ×3, first 2 shown]
	v_cvt_pk_f32_fp8_e32 v[28:29], v25
	v_cvt_pk_f32_fp8_sdwa v[24:25], v25 src0_sel:WORD_1
	v_perm_b32 v22, v23, v22, s0
	v_perm_b32 v23, v27, v26, s0
	;; [unrolled: 1-line block ×4, first 2 shown]
	v_mfma_f32_4x4x4_16b_bf16 a[0:3], v[18:19], v[22:23], a[0:3] cbsz:4 abid:7
	s_load_dword s0, s[8:9], 0x0
	s_waitcnt lgkmcnt(0)
	v_mov_b32_e32 v18, s4
	v_mfma_f32_4x4x4_16b_bf16 a[0:3], v[20:21], v[26:27], a[0:3] cbsz:4 abid:7
	v_mov_b32_e32 v25, 0xff7fffff
	v_mul_f32_e32 v20, s0, v18
	s_nop 2
	v_accvgpr_read_b32 v23, a1
	v_accvgpr_read_b32 v22, a0
	v_pk_mul_f32 v[22:23], v[22:23], v[20:21] op_sel_hi:[1,0]
	v_accvgpr_read_b32 v19, a3
	v_accvgpr_read_b32 v18, a2
	v_pk_mul_f32 v[18:19], v[18:19], v[20:21] op_sel_hi:[1,0]
	v_cndmask_b32_e64 v20, 0, 1.0, vcc
	v_cmp_eq_u32_e32 vcc, 1, v39
	s_nop 0
	v_mfma_f32_4x4x1_16b_f32 a[0:3], v22, v20, 0
	v_cndmask_b32_e64 v20, 0, 1.0, vcc
	v_cmp_eq_u32_e32 vcc, 2, v39
	s_nop 0
	v_mfma_f32_4x4x1_16b_f32 a[0:3], v23, v20, a[0:3]
	;; [unrolled: 4-line block ×3, first 2 shown]
	v_cndmask_b32_e64 v18, 0, 1.0, vcc
	s_nop 1
	v_mfma_f32_4x4x1_16b_f32 a[0:3], v19, v18, a[0:3]
	v_and_b32_e32 v18, -4, v40
	v_subrev_u32_e32 v19, s3, v18
	v_add_u32_e32 v20, 1, v19
	v_cvt_f32_i32_e32 v20, v20
	v_add_u32_e32 v21, 2, v19
	v_cvt_f32_i32_e32 v21, v21
	v_accvgpr_read_b32 v22, a0
	v_fma_f32 v20, v41, v20, v22
	v_accvgpr_read_b32 v22, a1
	v_fma_f32 v21, v41, v21, v22
	v_add_u32_e32 v22, 3, v19
	v_cvt_f32_i32_e32 v22, v22
	v_add_u32_e32 v19, 4, v19
	v_max_f32_e32 v24, 0xff7fffff, v20
	v_cmp_gt_i32_e32 vcc, s3, v18
	v_cvt_f32_i32_e32 v19, v19
	v_accvgpr_read_b32 v23, a2
	v_cndmask_b32_e32 v24, v25, v24, vcc
	v_or_b32_e32 v25, 1, v18
	v_max_f32_e32 v26, v24, v21
	v_cmp_gt_i32_e64 s[0:1], s3, v25
	v_fma_f32 v22, v41, v22, v23
	v_or_b32_e32 v18, 2, v18
	v_cndmask_b32_e64 v24, v24, v26, s[0:1]
	v_accvgpr_read_b32 v23, a3
	v_max_f32_e32 v25, v24, v22
	v_cmp_gt_i32_e64 s[4:5], s3, v18
	v_fmac_f32_e32 v23, v41, v19
	v_lshlrev_b32_e32 v19, 2, v0
	v_cndmask_b32_e64 v18, v24, v25, s[4:5]
	v_or_b32_e32 v24, 3, v40
	v_max_f32_e32 v25, v18, v23
	v_cmp_gt_i32_e64 s[8:9], s3, v24
	v_and_or_b32 v19, v19, 48, v39
	s_nop 0
	v_cndmask_b32_e64 v18, v18, v25, s[8:9]
	;;#ASMSTART
	v_nop
 v_nop
 v_max_f32_dpp v18, v18, v18 row_ror:4
	;;#ASMEND
	v_lshlrev_b32_e32 v25, 2, v19
	;;#ASMSTART
	v_nop
 v_nop
 v_max_f32_dpp v18, v18, v18 row_ror:8
	;;#ASMEND
	ds_bpermute_b32 v18, v25, v18
	s_waitcnt lgkmcnt(0)
	;;#ASMSTART
	v_nop
 v_nop
 v_max_f32_dpp v18, v18, v18 row_ror:4
	;;#ASMEND
	s_nop 0
	;;#ASMSTART
	v_nop
 v_nop
 v_max_f32_dpp v24, v18, v18 row_ror:8
	;;#ASMEND
	s_nop 0
	v_sub_f32_e32 v18, v20, v24
	v_mul_f32_e32 v18, 0x3fb8aa3b, v18
	v_sub_f32_e32 v19, v21, v24
	v_exp_f32_e32 v18, v18
	v_mul_f32_e32 v19, 0x3fb8aa3b, v19
	v_sub_f32_e32 v21, v22, v24
	v_exp_f32_e32 v19, v19
	;; [unrolled: 3-line block ×3, first 2 shown]
	v_mul_f32_e32 v22, 0x3fb8aa3b, v22
	v_exp_f32_e32 v22, v22
	v_cndmask_b32_e32 v18, 0, v18, vcc
	v_add_f32_e32 v20, 0, v18
	v_cndmask_b32_e64 v19, 0, v19, s[0:1]
	v_add_f32_e32 v23, v20, v19
	v_cndmask_b32_e64 v20, 0, v21, s[4:5]
	;; [unrolled: 2-line block ×3, first 2 shown]
	v_add_f32_e32 v22, v23, v21
	;;#ASMSTART
	v_nop
 v_nop
 v_add_f32_dpp v22, v22, v22 row_ror:4
	;;#ASMEND
	v_cmp_gt_u32_e32 vcc, 4, v38
	;;#ASMSTART
	v_nop
 v_nop
 v_add_f32_dpp v22, v22, v22 row_ror:8
	;;#ASMEND
	ds_bpermute_b32 v22, v25, v22
	s_waitcnt lgkmcnt(0)
	;;#ASMSTART
	v_nop
 v_nop
 v_add_f32_dpp v22, v22, v22 row_ror:4
	;;#ASMEND
	s_nop 0
	;;#ASMSTART
	v_nop
 v_nop
 v_add_f32_dpp v22, v22, v22 row_ror:8
	;;#ASMEND
	s_and_saveexec_b64 s[0:1], vcc
	s_cbranch_execz .LBB1169_18
; %bb.17:
	v_mul_u32_u24_e32 v23, 20, v1
	v_lshl_add_u32 v23, v39, 2, v23
	v_add_u32_e32 v23, 0x800, v23
	ds_write2_b32 v23, v24, v22 offset0:128 offset1:148
.LBB1169_18:
	s_or_b64 exec, exec, s[0:1]
.LBB1169_19:
	s_or_b64 exec, exec, s[26:27]
	s_waitcnt lgkmcnt(0)
	s_barrier
	s_load_dword s0, s[24:25], 0x8
	v_lshlrev_b32_e32 v22, 2, v39
	v_add_u32_e32 v30, 0x800, v22
	ds_read2_b32 v[22:23], v30 offset0:128 offset1:133
	ds_read2_b32 v[26:27], v30 offset0:138 offset1:143
	s_mul_i32 s1, s2, s38
	s_waitcnt lgkmcnt(0)
	s_mul_i32 s1, s1, s0
	s_lshl_b32 s0, s1, 1
	s_mov_b32 s1, 0xff7fffff
	v_max3_f32 v25, v22, s1, v23
	v_max3_f32 v25, v25, v26, v27
	v_sub_f32_e32 v22, v22, v25
	v_mul_f32_e32 v22, 0x3fb8aa3b, v22
	ds_read2_b32 v[28:29], v30 offset0:148 offset1:153
	v_exp_f32_e32 v31, v22
	v_sub_f32_e32 v22, v23, v25
	v_sub_f32_e32 v26, v26, v25
	v_mul_f32_e32 v22, 0x3fb8aa3b, v22
	v_mul_f32_e32 v26, 0x3fb8aa3b, v26
	v_exp_f32_e32 v32, v22
	ds_read2_b32 v[22:23], v30 offset0:158 offset1:163
	v_exp_f32_e32 v30, v26
	v_sub_f32_e32 v26, v27, v25
	v_mul_f32_e32 v26, 0x3fb8aa3b, v26
	v_exp_f32_e32 v27, v26
	s_waitcnt lgkmcnt(1)
	v_fma_f32 v26, v31, v28, 0
	v_fmac_f32_e32 v26, v32, v29
	s_waitcnt lgkmcnt(0)
	v_fmac_f32_e32 v26, v30, v22
	v_fmac_f32_e32 v26, v27, v23
	v_cmp_gt_u32_e32 vcc, 2, v39
	s_and_saveexec_b64 s[2:3], vcc
	s_cbranch_execz .LBB1169_21
; %bb.20:
	s_mov_b32 s1, 0
	s_lshl_b64 s[4:5], s[0:1], 2
	s_add_u32 s12, s12, s4
	s_mov_b32 s21, s1
	s_addc_u32 s13, s13, s5
	s_lshl_b64 s[8:9], s[20:21], 2
	s_add_u32 s12, s12, s8
	s_addc_u32 s13, s13, s9
	s_add_u32 s1, s14, s4
	s_addc_u32 s5, s15, s5
	v_or_b32_e32 v22, s33, v39
	s_add_u32 s4, s1, s8
	v_mul_lo_u32 v22, s38, v22
	v_mov_b32_e32 v23, 0
	s_addc_u32 s5, s5, s9
	v_lshlrev_b64 v[22:23], 2, v[22:23]
	v_lshl_add_u64 v[28:29], s[12:13], 0, v[22:23]
	v_lshl_add_u64 v[22:23], s[4:5], 0, v[22:23]
	global_store_dword v[22:23], v25, off
	global_store_dword v[28:29], v26, off
.LBB1169_21:
	s_or_b64 exec, exec, s[2:3]
	v_mov_b32_e32 v22, 0
	v_mov_b32_e32 v23, 0
	s_and_saveexec_b64 s[2:3], s[6:7]
	s_cbranch_execz .LBB1169_23
; %bb.22:
	v_add_f32_e32 v22, 0x358637bd, v26
	v_div_scale_f32 v23, s[4:5], v22, v22, 1.0
	v_rcp_f32_e32 v26, v23
	v_div_scale_f32 v27, vcc, 1.0, v22, 1.0
	v_sub_f32_e32 v24, v24, v25
	v_fma_f32 v28, -v23, v26, 1.0
	v_fmac_f32_e32 v26, v28, v26
	v_mul_f32_e32 v28, v27, v26
	v_fma_f32 v29, -v23, v28, v27
	v_mul_f32_e32 v24, 0x3fb8aa3b, v24
	v_fmac_f32_e32 v28, v29, v26
	v_exp_f32_e32 v24, v24
	v_fma_f32 v23, -v23, v28, v27
	v_div_fmas_f32 v23, v23, v26, v28
	v_div_fixup_f32 v22, v23, v22, 1.0
	v_mul_f32_e32 v22, v24, v22
	v_pk_mul_f32 v[18:19], v[18:19], v[22:23] op_sel_hi:[1,0]
	v_pk_mul_f32 v[20:21], v[20:21], v[22:23] op_sel_hi:[1,0]
	v_bfe_u32 v22, v19, 16, 1
	v_bfe_u32 v23, v18, 16, 1
	s_movk_i32 s1, 0x7fff
	v_add3_u32 v18, v18, v23, s1
	v_add3_u32 v19, v19, v22, s1
	s_mov_b32 s5, 0x7060302
	v_perm_b32 v18, v19, v18, s5
	v_bfe_u32 v19, v21, 16, 1
	v_bfe_u32 v22, v20, 16, 1
	v_add3_u32 v22, v20, v22, s1
	v_add3_u32 v19, v21, v19, s1
	s_waitcnt vmcnt(2)
	v_cvt_pk_f32_fp8_e32 v[20:21], v14
	v_perm_b32 v19, v19, v22, s5
	v_cvt_pk_f32_fp8_sdwa v[22:23], v14 src0_sel:WORD_1
	v_cvt_pk_f32_fp8_e32 v[24:25], v15
	v_perm_b32 v14, v21, v20, s5
	v_cvt_pk_f32_fp8_sdwa v[20:21], v15 src0_sel:WORD_1
	v_perm_b32 v15, v23, v22, s5
	v_perm_b32 v22, v25, v24, s5
	s_load_dword s4, s[10:11], 0x0
	v_mfma_f32_4x4x4_16b_bf16 a[0:3], v[18:19], v[14:15], 0 cbsz:4
	v_perm_b32 v23, v21, v20, s5
	v_cvt_pk_f32_fp8_e32 v[14:15], v16
	v_cvt_pk_f32_fp8_sdwa v[20:21], v16 src0_sel:WORD_1
	v_mfma_f32_4x4x4_16b_bf16 a[0:3], v[18:19], v[22:23], a[0:3] cbsz:4 abid:1
	v_cvt_pk_f32_fp8_e32 v[22:23], v17
	v_cvt_pk_f32_fp8_sdwa v[16:17], v17 src0_sel:WORD_1
	v_perm_b32 v14, v15, v14, s5
	v_perm_b32 v15, v21, v20, s5
	;; [unrolled: 1-line block ×4, first 2 shown]
	v_mfma_f32_4x4x4_16b_bf16 a[0:3], v[18:19], v[14:15], a[0:3] cbsz:4 abid:2
	v_cvt_pk_f32_fp8_e32 v[14:15], v10
	v_cvt_pk_f32_fp8_sdwa v[16:17], v10 src0_sel:WORD_1
	v_mfma_f32_4x4x4_16b_bf16 a[0:3], v[18:19], v[20:21], a[0:3] cbsz:4 abid:3
	v_cvt_pk_f32_fp8_e32 v[20:21], v11
	v_perm_b32 v10, v15, v14, s5
	v_cvt_pk_f32_fp8_sdwa v[14:15], v11 src0_sel:WORD_1
	v_perm_b32 v11, v17, v16, s5
	v_perm_b32 v16, v21, v20, s5
	;; [unrolled: 1-line block ×3, first 2 shown]
	v_mfma_f32_4x4x4_16b_bf16 a[0:3], v[18:19], v[10:11], a[0:3] cbsz:4 abid:4
	v_cvt_pk_f32_fp8_e32 v[10:11], v12
	v_cvt_pk_f32_fp8_sdwa v[14:15], v12 src0_sel:WORD_1
	v_mfma_f32_4x4x4_16b_bf16 a[0:3], v[18:19], v[16:17], a[0:3] cbsz:4 abid:5
	v_cvt_pk_f32_fp8_e32 v[16:17], v13
	v_cvt_pk_f32_fp8_sdwa v[12:13], v13 src0_sel:WORD_1
	v_perm_b32 v10, v11, v10, s5
	v_perm_b32 v11, v15, v14, s5
	;; [unrolled: 1-line block ×4, first 2 shown]
	v_mfma_f32_4x4x4_16b_bf16 a[0:3], v[18:19], v[10:11], a[0:3] cbsz:4 abid:6
	s_waitcnt vmcnt(0)
	v_cvt_pk_f32_fp8_e32 v[10:11], v6
	v_cvt_pk_f32_fp8_sdwa v[12:13], v6 src0_sel:WORD_1
	v_mfma_f32_4x4x4_16b_bf16 a[0:3], v[18:19], v[14:15], a[0:3] cbsz:4 abid:7
	v_cvt_pk_f32_fp8_e32 v[14:15], v7
	v_perm_b32 v6, v11, v10, s5
	v_cvt_pk_f32_fp8_sdwa v[10:11], v7 src0_sel:WORD_1
	v_perm_b32 v7, v13, v12, s5
	v_perm_b32 v12, v15, v14, s5
	;; [unrolled: 1-line block ×3, first 2 shown]
	v_mfma_f32_4x4x4_16b_bf16 a[0:3], v[18:19], v[6:7], a[0:3] cbsz:4 abid:8
	v_cvt_pk_f32_fp8_e32 v[6:7], v8
	v_cvt_pk_f32_fp8_sdwa v[10:11], v8 src0_sel:WORD_1
	v_mfma_f32_4x4x4_16b_bf16 a[0:3], v[18:19], v[12:13], a[0:3] cbsz:4 abid:9
	v_cvt_pk_f32_fp8_e32 v[12:13], v9
	v_cvt_pk_f32_fp8_sdwa v[8:9], v9 src0_sel:WORD_1
	v_perm_b32 v6, v7, v6, s5
	v_perm_b32 v7, v11, v10, s5
	;; [unrolled: 1-line block ×4, first 2 shown]
	v_mfma_f32_4x4x4_16b_bf16 a[0:3], v[18:19], v[6:7], a[0:3] cbsz:4 abid:10
	v_cvt_pk_f32_fp8_e32 v[6:7], v2
	v_cvt_pk_f32_fp8_sdwa v[8:9], v2 src0_sel:WORD_1
	v_mfma_f32_4x4x4_16b_bf16 a[0:3], v[18:19], v[10:11], a[0:3] cbsz:4 abid:11
	v_cvt_pk_f32_fp8_e32 v[10:11], v3
	v_perm_b32 v2, v7, v6, s5
	v_cvt_pk_f32_fp8_sdwa v[6:7], v3 src0_sel:WORD_1
	v_perm_b32 v3, v9, v8, s5
	v_perm_b32 v8, v11, v10, s5
	;; [unrolled: 1-line block ×3, first 2 shown]
	v_mfma_f32_4x4x4_16b_bf16 a[0:3], v[18:19], v[2:3], a[0:3] cbsz:4 abid:12
	v_cvt_pk_f32_fp8_e32 v[2:3], v4
	v_cvt_pk_f32_fp8_sdwa v[6:7], v4 src0_sel:WORD_1
	v_mfma_f32_4x4x4_16b_bf16 a[0:3], v[18:19], v[8:9], a[0:3] cbsz:4 abid:13
	v_cvt_pk_f32_fp8_e32 v[8:9], v5
	v_cvt_pk_f32_fp8_sdwa v[4:5], v5 src0_sel:WORD_1
	v_perm_b32 v2, v3, v2, s5
	v_perm_b32 v3, v7, v6, s5
	;; [unrolled: 1-line block ×4, first 2 shown]
	v_mfma_f32_4x4x4_16b_bf16 a[0:3], v[18:19], v[2:3], a[0:3] cbsz:4 abid:14
	s_nop 1
	v_mfma_f32_4x4x4_16b_bf16 a[0:3], v[18:19], v[6:7], a[0:3] cbsz:4 abid:15
	s_nop 4
	v_accvgpr_read_b32 v5, a1
	v_accvgpr_read_b32 v4, a0
	;; [unrolled: 1-line block ×4, first 2 shown]
	s_waitcnt lgkmcnt(0)
	v_pk_mul_f32 v[4:5], v[4:5], s[4:5] op_sel_hi:[1,0]
	v_pk_mul_f32 v[2:3], v[2:3], s[4:5] op_sel_hi:[1,0]
	v_bfe_u32 v6, v5, 16, 1
	v_bfe_u32 v7, v4, 16, 1
	v_add3_u32 v4, v4, v7, s1
	v_add3_u32 v5, v5, v6, s1
	v_bfe_u32 v6, v3, 16, 1
	v_bfe_u32 v7, v2, 16, 1
	v_add3_u32 v2, v2, v7, s1
	v_add3_u32 v3, v3, v6, s1
	v_perm_b32 v23, v3, v2, s5
	v_perm_b32 v22, v5, v4, s5
.LBB1169_23:
	s_or_b64 exec, exec, s[2:3]
	v_lshlrev_b32_e32 v1, 3, v1
	v_mad_u32_u24 v1, v38, 40, v1
	v_cmp_gt_u32_e32 vcc, 64, v0
	ds_write_b64 v1, v[22:23]
	s_waitcnt lgkmcnt(0)
	s_barrier
	s_and_saveexec_b64 s[2:3], vcc
	s_cbranch_execz .LBB1169_25
; %bb.24:
	v_mul_u32_u24_e32 v1, 40, v38
	s_waitcnt vmcnt(1)
	ds_read2_b64 v[2:5], v1 offset1:1
	s_waitcnt vmcnt(0)
	ds_read2_b64 v[6:9], v1 offset0:2 offset1:3
	s_mov_b32 s1, 0
	s_lshl_b32 s0, s0, 6
	s_lshl_b64 s[2:3], s[0:1], 1
	s_waitcnt lgkmcnt(1)
	v_and_b32_e32 v1, 0xffff0000, v2
	v_add_f32_e32 v1, 0, v1
	v_and_b32_e32 v3, 0xffff0000, v4
	v_and_b32_e32 v1, 0xffff0000, v1
	v_add_f32_e32 v1, v1, v3
	s_waitcnt lgkmcnt(0)
	v_and_b32_e32 v5, 0xffff0000, v6
	v_and_b32_e32 v1, 0xffff0000, v1
	v_add_f32_e32 v1, v1, v5
	v_and_b32_e32 v1, 0xffff0000, v1
	v_and_b32_e32 v3, 0xffff0000, v8
	v_add_f32_e32 v7, v1, v3
	v_lshlrev_b32_e32 v1, 16, v2
	s_add_u32 s2, s22, s2
	v_add_f32_e32 v1, 0, v1
	s_addc_u32 s3, s23, s3
	s_lshl_b32 s0, s20, 6
	v_and_b32_e32 v1, 0xffff0000, v1
	v_lshlrev_b32_e32 v2, 16, v4
	s_lshl_b64 s[0:1], s[0:1], 1
	v_add_f32_e32 v1, v1, v2
	s_add_u32 s0, s2, s0
	v_and_b32_e32 v1, 0xffff0000, v1
	v_lshlrev_b32_e32 v2, 16, v6
	s_addc_u32 s1, s3, s1
	s_lshl_b32 s2, s38, 6
	v_add_f32_e32 v1, v1, v2
	v_and_b32_e32 v1, 0xffff0000, v1
	v_lshlrev_b32_e32 v2, 16, v8
	s_mul_i32 s3, s2, s33
	v_add_f32_e32 v1, v1, v2
	v_or_b32_e32 v2, s3, v0
	v_mov_b32_e32 v3, 0
	s_add_i32 s3, s3, s2
	v_lshl_add_u64 v[4:5], v[2:3], 1, s[0:1]
	v_or_b32_e32 v2, s3, v0
	global_store_short_d16_hi v[4:5], v1, off
	v_lshl_add_u64 v[0:1], v[2:3], 1, s[0:1]
	global_store_short_d16_hi v[0:1], v7, off
.LBB1169_25:
	s_endpgm
	.section	.rodata,"a",@progbits
	.p2align	6, 0x0
	.amdhsa_kernel _Z38paged_attention_ll4mi_QKV_mfma4_kernelI14__hip_bfloat16hLN4vllm18Fp8KVCacheDataTypeE1EhLi32ELi64ELi256ELb1ELi2EEvPKT_PKT0_S8_ifPKiSA_SA_iPKfiiiPfSD_PS3_PT2_iSC_SC_
		.amdhsa_group_segment_fixed_size 2720
		.amdhsa_private_segment_fixed_size 0
		.amdhsa_kernarg_size 400
		.amdhsa_user_sgpr_count 2
		.amdhsa_user_sgpr_dispatch_ptr 0
		.amdhsa_user_sgpr_queue_ptr 0
		.amdhsa_user_sgpr_kernarg_segment_ptr 1
		.amdhsa_user_sgpr_dispatch_id 0
		.amdhsa_user_sgpr_kernarg_preload_length 0
		.amdhsa_user_sgpr_kernarg_preload_offset 0
		.amdhsa_user_sgpr_private_segment_size 0
		.amdhsa_uses_dynamic_stack 0
		.amdhsa_enable_private_segment 0
		.amdhsa_system_sgpr_workgroup_id_x 1
		.amdhsa_system_sgpr_workgroup_id_y 1
		.amdhsa_system_sgpr_workgroup_id_z 1
		.amdhsa_system_sgpr_workgroup_info 0
		.amdhsa_system_vgpr_workitem_id 0
		.amdhsa_next_free_vgpr 52
		.amdhsa_next_free_sgpr 44
		.amdhsa_accum_offset 48
		.amdhsa_reserve_vcc 1
		.amdhsa_float_round_mode_32 0
		.amdhsa_float_round_mode_16_64 0
		.amdhsa_float_denorm_mode_32 3
		.amdhsa_float_denorm_mode_16_64 3
		.amdhsa_dx10_clamp 1
		.amdhsa_ieee_mode 1
		.amdhsa_fp16_overflow 0
		.amdhsa_tg_split 0
		.amdhsa_exception_fp_ieee_invalid_op 0
		.amdhsa_exception_fp_denorm_src 0
		.amdhsa_exception_fp_ieee_div_zero 0
		.amdhsa_exception_fp_ieee_overflow 0
		.amdhsa_exception_fp_ieee_underflow 0
		.amdhsa_exception_fp_ieee_inexact 0
		.amdhsa_exception_int_div_zero 0
	.end_amdhsa_kernel
	.section	.text._Z38paged_attention_ll4mi_QKV_mfma4_kernelI14__hip_bfloat16hLN4vllm18Fp8KVCacheDataTypeE1EhLi32ELi64ELi256ELb1ELi2EEvPKT_PKT0_S8_ifPKiSA_SA_iPKfiiiPfSD_PS3_PT2_iSC_SC_,"axG",@progbits,_Z38paged_attention_ll4mi_QKV_mfma4_kernelI14__hip_bfloat16hLN4vllm18Fp8KVCacheDataTypeE1EhLi32ELi64ELi256ELb1ELi2EEvPKT_PKT0_S8_ifPKiSA_SA_iPKfiiiPfSD_PS3_PT2_iSC_SC_,comdat
.Lfunc_end1169:
	.size	_Z38paged_attention_ll4mi_QKV_mfma4_kernelI14__hip_bfloat16hLN4vllm18Fp8KVCacheDataTypeE1EhLi32ELi64ELi256ELb1ELi2EEvPKT_PKT0_S8_ifPKiSA_SA_iPKfiiiPfSD_PS3_PT2_iSC_SC_, .Lfunc_end1169-_Z38paged_attention_ll4mi_QKV_mfma4_kernelI14__hip_bfloat16hLN4vllm18Fp8KVCacheDataTypeE1EhLi32ELi64ELi256ELb1ELi2EEvPKT_PKT0_S8_ifPKiSA_SA_iPKfiiiPfSD_PS3_PT2_iSC_SC_
                                        ; -- End function
	.section	.AMDGPU.csdata,"",@progbits
; Kernel info:
; codeLenInByte = 4032
; NumSgprs: 50
; NumVgprs: 48
; NumAgprs: 4
; TotalNumVgprs: 52
; ScratchSize: 0
; MemoryBound: 0
; FloatMode: 240
; IeeeMode: 1
; LDSByteSize: 2720 bytes/workgroup (compile time only)
; SGPRBlocks: 6
; VGPRBlocks: 6
; NumSGPRsForWavesPerEU: 50
; NumVGPRsForWavesPerEU: 52
; AccumOffset: 48
; Occupancy: 8
; WaveLimiterHint : 1
; COMPUTE_PGM_RSRC2:SCRATCH_EN: 0
; COMPUTE_PGM_RSRC2:USER_SGPR: 2
; COMPUTE_PGM_RSRC2:TRAP_HANDLER: 0
; COMPUTE_PGM_RSRC2:TGID_X_EN: 1
; COMPUTE_PGM_RSRC2:TGID_Y_EN: 1
; COMPUTE_PGM_RSRC2:TGID_Z_EN: 1
; COMPUTE_PGM_RSRC2:TIDIG_COMP_CNT: 0
; COMPUTE_PGM_RSRC3_GFX90A:ACCUM_OFFSET: 11
; COMPUTE_PGM_RSRC3_GFX90A:TG_SPLIT: 0
	.section	.text._Z38paged_attention_ll4mi_QKV_mfma4_kernelI14__hip_bfloat16hLN4vllm18Fp8KVCacheDataTypeE1EhLi32ELi64ELi256ELb1ELi3EEvPKT_PKT0_S8_ifPKiSA_SA_iPKfiiiPfSD_PS3_PT2_iSC_SC_,"axG",@progbits,_Z38paged_attention_ll4mi_QKV_mfma4_kernelI14__hip_bfloat16hLN4vllm18Fp8KVCacheDataTypeE1EhLi32ELi64ELi256ELb1ELi3EEvPKT_PKT0_S8_ifPKiSA_SA_iPKfiiiPfSD_PS3_PT2_iSC_SC_,comdat
	.protected	_Z38paged_attention_ll4mi_QKV_mfma4_kernelI14__hip_bfloat16hLN4vllm18Fp8KVCacheDataTypeE1EhLi32ELi64ELi256ELb1ELi3EEvPKT_PKT0_S8_ifPKiSA_SA_iPKfiiiPfSD_PS3_PT2_iSC_SC_ ; -- Begin function _Z38paged_attention_ll4mi_QKV_mfma4_kernelI14__hip_bfloat16hLN4vllm18Fp8KVCacheDataTypeE1EhLi32ELi64ELi256ELb1ELi3EEvPKT_PKT0_S8_ifPKiSA_SA_iPKfiiiPfSD_PS3_PT2_iSC_SC_
	.globl	_Z38paged_attention_ll4mi_QKV_mfma4_kernelI14__hip_bfloat16hLN4vllm18Fp8KVCacheDataTypeE1EhLi32ELi64ELi256ELb1ELi3EEvPKT_PKT0_S8_ifPKiSA_SA_iPKfiiiPfSD_PS3_PT2_iSC_SC_
	.p2align	8
	.type	_Z38paged_attention_ll4mi_QKV_mfma4_kernelI14__hip_bfloat16hLN4vllm18Fp8KVCacheDataTypeE1EhLi32ELi64ELi256ELb1ELi3EEvPKT_PKT0_S8_ifPKiSA_SA_iPKfiiiPfSD_PS3_PT2_iSC_SC_,@function
_Z38paged_attention_ll4mi_QKV_mfma4_kernelI14__hip_bfloat16hLN4vllm18Fp8KVCacheDataTypeE1EhLi32ELi64ELi256ELb1ELi3EEvPKT_PKT0_S8_ifPKiSA_SA_iPKfiiiPfSD_PS3_PT2_iSC_SC_: ; @_Z38paged_attention_ll4mi_QKV_mfma4_kernelI14__hip_bfloat16hLN4vllm18Fp8KVCacheDataTypeE1EhLi32ELi64ELi256ELb1ELi3EEvPKT_PKT0_S8_ifPKiSA_SA_iPKfiiiPfSD_PS3_PT2_iSC_SC_
; %bb.0:
	s_load_dwordx2 s[16:17], s[0:1], 0x30
	s_mov_b32 s20, s3
	s_mov_b64 s[6:7], 0
	s_waitcnt lgkmcnt(0)
	s_cmp_lg_u64 s[16:17], 0
	s_cselect_b64 s[18:19], -1, 0
	s_and_b64 vcc, exec, s[18:19]
	s_cbranch_vccz .LBB1170_10
; %bb.1:
	s_add_i32 s8, s2, 1
	s_mov_b32 s9, 0
	s_lshl_b64 s[10:11], s[8:9], 2
	s_add_u32 s10, s16, s10
	s_mov_b32 s3, s9
	s_addc_u32 s11, s17, s11
	s_lshl_b64 s[8:9], s[2:3], 2
	s_add_u32 s8, s16, s8
	s_addc_u32 s9, s17, s9
	s_load_dword s5, s[10:11], 0x0
	s_load_dword s12, s[8:9], 0x0
	s_waitcnt lgkmcnt(0)
	s_sub_i32 s5, s5, s12
	s_cmp_eq_u32 s5, 1
	s_cselect_b64 s[8:9], -1, 0
	s_andn2_b64 vcc, exec, s[6:7]
	s_cbranch_vccnz .LBB1170_3
.LBB1170_2:
	s_mov_b32 s3, 0
	s_mov_b64 s[8:9], -1
.LBB1170_3:
	s_andn2_b64 vcc, exec, s[8:9]
	s_cbranch_vccnz .LBB1170_25
; %bb.4:
	s_load_dword s5, s[0:1], 0x9c
	s_load_dwordx2 s[6:7], s[0:1], 0x28
	s_add_u32 s24, s0, 0x90
	s_addc_u32 s25, s1, 0
	s_lshl_b64 s[28:29], s[2:3], 2
	s_waitcnt lgkmcnt(0)
	s_and_b32 s5, s5, 0xffff
	s_add_u32 s6, s6, s28
	s_addc_u32 s7, s7, s29
	s_load_dword s3, s[6:7], 0x0
	s_mul_i32 s5, s20, s5
	s_waitcnt lgkmcnt(0)
	s_cmp_ge_i32 s5, s3
	s_cbranch_scc1 .LBB1170_25
; %bb.5:
	v_and_b32_e32 v2, 0xc0, v0
	v_add_u32_e32 v4, s5, v2
	v_lshrrev_b32_e32 v1, 6, v0
	v_cmp_gt_i32_e64 s[6:7], s3, v4
	v_cmp_le_i32_e32 vcc, s3, v4
                                        ; implicit-def: $sgpr30
                                        ; implicit-def: $sgpr21
	s_and_saveexec_b64 s[8:9], vcc
	s_xor_b64 s[8:9], exec, s[8:9]
	s_cbranch_execz .LBB1170_7
; %bb.6:
	v_mul_u32_u24_e32 v2, 20, v1
	v_or_b32_e32 v2, 0xa00, v2
	v_mov_b32_e32 v3, 0xa50
	v_mov_b32_e32 v4, 0xff7fffff
	v_mad_u32_u24 v3, v1, 20, v3
	ds_write2_b32 v2, v4, v4 offset1:1
	v_mov_b32_e32 v2, 0
	ds_write2_b32 v3, v2, v2 offset1:1
	v_mov_b32_e32 v3, 0xa08
	s_mov_b32 s21, 0xff7fffff
	s_mov_b32 s30, 0
	v_mad_u32_u24 v3, v1, 20, v3
	v_mov_b32_e32 v5, 0xa58
	v_mad_u32_u24 v5, v1, 20, v5
	ds_write2_b32 v3, v4, v4 offset1:1
	ds_write2_b32 v5, v2, v2 offset1:1
                                        ; implicit-def: $vgpr4
.LBB1170_7:
	s_or_saveexec_b64 s[26:27], s[8:9]
	s_load_dwordx2 s[22:23], s[0:1], 0x68
	s_load_dwordx4 s[12:15], s[0:1], 0x58
	s_load_dword s38, s[24:25], 0x4
	s_load_dwordx4 s[8:11], s[0:1], 0x80
	v_and_b32_e32 v32, 63, v0
	v_and_b32_e32 v33, 3, v0
	s_mul_i32 s33, s4, 3
	v_mov_b32_e32 v21, s30
	v_mov_b32_e32 v24, s21
	v_mov_b32_e32 v20, s30
	v_mov_b32_e32 v19, s30
	v_mov_b32_e32 v18, s30
                                        ; implicit-def: $vgpr6_vgpr7
                                        ; implicit-def: $vgpr2_vgpr3
                                        ; implicit-def: $vgpr14_vgpr15
                                        ; implicit-def: $vgpr10_vgpr11
	s_xor_b64 exec, exec, s[26:27]
	s_cbranch_execz .LBB1170_19
; %bb.8:
	s_load_dwordx2 s[30:31], s[0:1], 0x20
	s_load_dword s21, s[0:1], 0x38
	s_add_i32 s34, s3, 31
	s_ashr_i32 s35, s34, 31
	s_lshr_b32 s35, s35, 27
	v_add_u32_e32 v34, s5, v0
	s_add_i32 s34, s34, s35
	v_ashrrev_i32_e32 v2, 31, v34
	s_ashr_i32 s34, s34, 5
	v_lshrrev_b32_e32 v2, 27, v2
	s_add_i32 s36, s34, -1
	s_waitcnt lgkmcnt(0)
	s_mul_i32 s34, s2, s21
	s_mov_b32 s35, 0
	v_add_u32_e32 v2, v34, v2
	s_lshl_b64 s[34:35], s[34:35], 2
	v_ashrrev_i32_e32 v2, 5, v2
	v_mov_b32_e32 v3, s36
	v_cmp_gt_i32_e32 vcc, s3, v34
	s_add_u32 s30, s30, s34
	s_addc_u32 s31, s31, s35
	v_cndmask_b32_e32 v2, v3, v2, vcc
	v_ashrrev_i32_e32 v3, 31, v2
	v_lshl_add_u64 v[6:7], v[2:3], 2, s[30:31]
	v_ashrrev_i32_e32 v2, 31, v4
	v_lshrrev_b32_e32 v2, 27, v2
	v_add_u32_e32 v2, v4, v2
	v_ashrrev_i32_e32 v4, 5, v2
	v_min_i32_e32 v2, s36, v4
	v_ashrrev_i32_e32 v3, 31, v2
	v_lshl_add_u64 v[8:9], v[2:3], 2, s[30:31]
	v_add_u32_e32 v2, 1, v4
	v_min_i32_e32 v2, s36, v2
	v_ashrrev_i32_e32 v3, 31, v2
	v_lshl_add_u64 v[10:11], v[2:3], 2, s[30:31]
	global_load_dword v2, v[6:7], off
	global_load_dword v4, v[8:9], off
	;; [unrolled: 1-line block ×3, first 2 shown]
	s_load_dwordx2 s[30:31], s[0:1], 0x8
	s_andn2_b64 vcc, exec, s[18:19]
	s_cbranch_vccnz .LBB1170_11
; %bb.9:
	s_add_u32 s16, s16, s28
	s_addc_u32 s17, s17, s29
	s_load_dword s5, s[16:17], 0x0
	s_branch .LBB1170_12
.LBB1170_10:
	s_mov_b64 s[8:9], 0
	s_branch .LBB1170_2
.LBB1170_11:
	s_mov_b32 s5, s2
.LBB1170_12:
	s_load_dwordx2 s[28:29], s[0:1], 0x10
	s_load_dwordx4 s[16:19], s[0:1], 0x48
	v_cmp_ne_u32_e32 vcc, 3, v33
	s_mov_b32 s37, 0
	v_mov_b32_e32 v3, 0
	v_mov_b32_e32 v10, 0
	;; [unrolled: 1-line block ×5, first 2 shown]
	s_and_saveexec_b64 s[34:35], vcc
	s_cbranch_execz .LBB1170_14
; %bb.13:
	s_load_dwordx2 s[40:41], s[0:1], 0x0
	s_waitcnt lgkmcnt(0)
	s_ashr_i32 s19, s16, 31
	s_mul_hi_u32 s21, s5, s16
	s_mul_i32 s19, s5, s19
	s_add_i32 s43, s21, s19
	s_mul_i32 s42, s5, s16
	s_lshl_b64 s[42:43], s[42:43], 1
	s_add_u32 s5, s40, s42
	s_mul_i32 s36, s4, 0xc0
	s_addc_u32 s16, s41, s43
	s_lshl_b64 s[36:37], s[36:37], 1
	s_add_u32 s36, s5, s36
	v_lshlrev_b32_e32 v5, 3, v33
	v_lshrrev_b32_e32 v6, 2, v32
	s_addc_u32 s37, s16, s37
	v_add_lshl_u32 v5, v5, v6, 4
	global_load_dwordx4 v[10:13], v5, s[36:37]
.LBB1170_14:
	s_or_b64 exec, exec, s[34:35]
	s_waitcnt lgkmcnt(0)
	s_mul_i32 s16, s4, s18
	s_add_u32 s4, s16, s30
	s_addc_u32 s5, 0, s31
	v_mov_b64_e32 v[6:7], s[4:5]
	s_waitcnt vmcnt(2)
	v_mad_i64_i32 v[6:7], s[4:5], v2, s17, v[6:7]
	v_lshlrev_b32_e32 v2, 4, v0
	v_and_b32_e32 v2, 0x1f0, v2
	v_lshl_add_u64 v[6:7], v[6:7], 0, v[2:3]
	global_load_dwordx4 v[26:29], v[6:7], off
	global_load_dwordx4 v[22:25], v[6:7], off offset:512
	global_load_dwordx4 v[18:21], v[6:7], off offset:1024
	;; [unrolled: 1-line block ×3, first 2 shown]
	v_mov_b32_e32 v31, 1.0
	v_mov_b32_e32 v30, 0
	s_and_saveexec_b64 s[4:5], vcc
	s_cbranch_execz .LBB1170_16
; %bb.15:
	s_load_dwordx2 s[18:19], s[0:1], 0x40
	v_add_u32_e32 v30, s33, v33
	v_mov_b32_e32 v31, 0
	s_waitcnt lgkmcnt(0)
	v_lshl_add_u64 v[6:7], v[30:31], 2, s[18:19]
	global_load_dword v30, v[6:7], off
.LBB1170_16:
	s_or_b64 exec, exec, s[4:5]
	s_load_dword s4, s[0:1], 0x1c
	s_add_u32 s0, s28, s16
	s_addc_u32 s1, s29, 0
	v_lshlrev_b32_e32 v2, 5, v32
	v_lshl_add_u64 v[36:37], s[0:1], 0, v[2:3]
	s_waitcnt vmcnt(5)
	v_mul_hi_i32 v2, v4, s17
	v_ashrrev_i32_e32 v2, 31, v2
	v_lshrrev_b32_e32 v38, 29, v2
	v_mov_b32_e32 v39, 0
	v_mad_i64_i32 v[2:3], s[0:1], v4, s17, v[38:39]
	s_waitcnt vmcnt(4)
	v_mul_hi_i32 v38, v35, s17
	v_ashrrev_i32_e32 v38, 31, v38
	v_lshrrev_b32_e32 v38, 29, v38
	v_mad_i64_i32 v[38:39], s[0:1], v35, s17, v[38:39]
	v_and_b32_e32 v2, -8, v2
	v_and_b32_e32 v38, -8, v38
	v_lshl_add_u64 v[40:41], v[36:37], 0, v[2:3]
	v_lshl_add_u64 v[36:37], v[36:37], 0, v[38:39]
	s_waitcnt vmcnt(3)
	v_cvt_pk_f32_fp8_e32 v[38:39], v26
	global_load_dwordx4 v[2:5], v[40:41], off offset:16
	global_load_dwordx4 v[6:9], v[40:41], off
	v_cvt_pk_f32_fp8_sdwa v[40:41], v26 src0_sel:WORD_1
	s_mov_b32 s0, 0x7060302
	v_perm_b32 v26, v39, v38, s0
	v_cvt_pk_f32_fp8_sdwa v[38:39], v27 src0_sel:WORD_1
	v_cvt_pk_f32_fp8_e32 v[42:43], v27
	v_perm_b32 v27, v41, v40, s0
	v_cmp_eq_u32_e32 vcc, 0, v33
	v_perm_b32 v41, v39, v38, s0
	v_mfma_f32_4x4x4_16b_bf16 a[0:3], v[10:11], v[26:27], 0 cbsz:4
	v_cvt_pk_f32_fp8_e32 v[26:27], v28
	v_cvt_pk_f32_fp8_sdwa v[38:39], v28 src0_sel:WORD_1
	v_perm_b32 v40, v43, v42, s0
	v_perm_b32 v26, v27, v26, s0
	s_nop 0
	v_mfma_f32_4x4x4_16b_bf16 a[0:3], v[12:13], v[40:41], a[0:3] cbsz:4
	v_cvt_pk_f32_fp8_e32 v[40:41], v29
	v_cvt_pk_f32_fp8_sdwa v[28:29], v29 src0_sel:WORD_1
	v_perm_b32 v27, v39, v38, s0
	v_perm_b32 v38, v41, v40, s0
	s_nop 0
	v_mfma_f32_4x4x4_16b_bf16 a[0:3], v[10:11], v[26:27], a[0:3] cbsz:4 abid:1
	s_waitcnt vmcnt(4)
	v_cvt_pk_f32_fp8_e32 v[26:27], v22
	v_perm_b32 v39, v29, v28, s0
	v_cvt_pk_f32_fp8_sdwa v[28:29], v22 src0_sel:WORD_1
	v_perm_b32 v22, v27, v26, s0
	v_cvt_pk_f32_fp8_sdwa v[26:27], v23 src0_sel:WORD_1
	v_mfma_f32_4x4x4_16b_bf16 a[0:3], v[12:13], v[38:39], a[0:3] cbsz:4 abid:1
	v_cvt_pk_f32_fp8_e32 v[38:39], v23
	v_perm_b32 v23, v29, v28, s0
	v_perm_b32 v29, v27, v26, s0
	v_cvt_pk_f32_fp8_sdwa v[26:27], v24 src0_sel:WORD_1
	v_mfma_f32_4x4x4_16b_bf16 a[0:3], v[10:11], v[22:23], a[0:3] cbsz:4 abid:2
	v_cvt_pk_f32_fp8_e32 v[22:23], v24
	v_perm_b32 v28, v39, v38, s0
	v_perm_b32 v22, v23, v22, s0
	s_nop 0
	v_mfma_f32_4x4x4_16b_bf16 a[0:3], v[12:13], v[28:29], a[0:3] cbsz:4 abid:2
	v_cvt_pk_f32_fp8_e32 v[28:29], v25
	v_cvt_pk_f32_fp8_sdwa v[24:25], v25 src0_sel:WORD_1
	v_perm_b32 v23, v27, v26, s0
	v_perm_b32 v26, v29, v28, s0
	s_nop 0
	v_mfma_f32_4x4x4_16b_bf16 a[0:3], v[10:11], v[22:23], a[0:3] cbsz:4 abid:3
	s_waitcnt vmcnt(3)
	v_cvt_pk_f32_fp8_e32 v[22:23], v18
	v_perm_b32 v27, v25, v24, s0
	v_cvt_pk_f32_fp8_sdwa v[24:25], v18 src0_sel:WORD_1
	v_perm_b32 v18, v23, v22, s0
	v_cvt_pk_f32_fp8_sdwa v[22:23], v19 src0_sel:WORD_1
	v_mfma_f32_4x4x4_16b_bf16 a[0:3], v[12:13], v[26:27], a[0:3] cbsz:4 abid:3
	v_cvt_pk_f32_fp8_e32 v[26:27], v19
	v_perm_b32 v19, v25, v24, s0
	v_perm_b32 v25, v23, v22, s0
	v_cvt_pk_f32_fp8_sdwa v[22:23], v20 src0_sel:WORD_1
	v_mfma_f32_4x4x4_16b_bf16 a[0:3], v[10:11], v[18:19], a[0:3] cbsz:4 abid:4
	v_cvt_pk_f32_fp8_e32 v[18:19], v20
	v_perm_b32 v24, v27, v26, s0
	v_perm_b32 v18, v19, v18, s0
	s_nop 0
	v_mfma_f32_4x4x4_16b_bf16 a[0:3], v[12:13], v[24:25], a[0:3] cbsz:4 abid:4
	v_cvt_pk_f32_fp8_e32 v[24:25], v21
	v_cvt_pk_f32_fp8_sdwa v[20:21], v21 src0_sel:WORD_1
	v_perm_b32 v19, v23, v22, s0
	v_perm_b32 v22, v25, v24, s0
	s_nop 0
	v_mfma_f32_4x4x4_16b_bf16 a[0:3], v[10:11], v[18:19], a[0:3] cbsz:4 abid:5
	s_waitcnt vmcnt(2)
	v_cvt_pk_f32_fp8_e32 v[18:19], v14
	v_perm_b32 v23, v21, v20, s0
	v_cvt_pk_f32_fp8_sdwa v[20:21], v14 src0_sel:WORD_1
	v_mov_b32_e32 v25, 0xff7fffff
	v_mfma_f32_4x4x4_16b_bf16 a[0:3], v[12:13], v[22:23], a[0:3] cbsz:4 abid:5
	v_cvt_pk_f32_fp8_e32 v[22:23], v15
	v_perm_b32 v14, v19, v18, s0
	v_cvt_pk_f32_fp8_sdwa v[18:19], v15 src0_sel:WORD_1
	v_perm_b32 v15, v21, v20, s0
	v_perm_b32 v20, v23, v22, s0
	;; [unrolled: 1-line block ×3, first 2 shown]
	v_mfma_f32_4x4x4_16b_bf16 a[0:3], v[10:11], v[14:15], a[0:3] cbsz:4 abid:6
	v_cvt_pk_f32_fp8_e32 v[14:15], v16
	v_cvt_pk_f32_fp8_sdwa v[18:19], v16 src0_sel:WORD_1
	v_mfma_f32_4x4x4_16b_bf16 a[0:3], v[12:13], v[20:21], a[0:3] cbsz:4 abid:6
	v_cvt_pk_f32_fp8_e32 v[20:21], v17
	v_cvt_pk_f32_fp8_sdwa v[16:17], v17 src0_sel:WORD_1
	v_perm_b32 v14, v15, v14, s0
	v_perm_b32 v15, v19, v18, s0
	;; [unrolled: 1-line block ×4, first 2 shown]
	v_mfma_f32_4x4x4_16b_bf16 a[0:3], v[10:11], v[14:15], a[0:3] cbsz:4 abid:7
	s_load_dword s0, s[8:9], 0x0
	s_waitcnt lgkmcnt(0)
	v_mov_b32_e32 v10, s4
	v_mfma_f32_4x4x4_16b_bf16 a[0:3], v[12:13], v[18:19], a[0:3] cbsz:4 abid:7
	v_mul_f32_e32 v12, s0, v10
	s_nop 3
	v_accvgpr_read_b32 v15, a1
	v_accvgpr_read_b32 v14, a0
	v_pk_mul_f32 v[14:15], v[14:15], v[12:13] op_sel_hi:[1,0]
	v_accvgpr_read_b32 v11, a3
	v_accvgpr_read_b32 v10, a2
	v_pk_mul_f32 v[18:19], v[10:11], v[12:13] op_sel_hi:[1,0]
	v_cndmask_b32_e64 v10, 0, 1.0, vcc
	v_cmp_eq_u32_e32 vcc, 1, v33
	s_nop 0
	v_mfma_f32_4x4x1_16b_f32 a[0:3], v14, v10, 0
	v_cndmask_b32_e64 v10, 0, 1.0, vcc
	v_cmp_eq_u32_e32 vcc, 2, v33
	s_nop 0
	v_mfma_f32_4x4x1_16b_f32 a[0:3], v15, v10, a[0:3]
	v_cndmask_b32_e64 v10, 0, 1.0, vcc
	s_nop 1
	v_mfma_f32_4x4x1_16b_f32 a[0:3], v18, v10, a[0:3]
	global_load_dwordx4 v[10:13], v[36:37], off offset:16
	global_load_dwordx4 v[14:17], v[36:37], off
	v_and_b32_e32 v18, -4, v34
	v_mfma_f32_4x4x1_16b_f32 a[0:3], v19, v31, a[0:3]
	v_subrev_u32_e32 v19, s3, v18
	v_add_u32_e32 v20, 1, v19
	v_cvt_f32_i32_e32 v20, v20
	v_add_u32_e32 v21, 2, v19
	v_cvt_f32_i32_e32 v21, v21
	v_accvgpr_read_b32 v22, a0
	v_fma_f32 v20, v30, v20, v22
	v_accvgpr_read_b32 v22, a1
	v_fma_f32 v21, v30, v21, v22
	v_add_u32_e32 v22, 3, v19
	v_cvt_f32_i32_e32 v22, v22
	v_add_u32_e32 v19, 4, v19
	v_max_f32_e32 v24, 0xff7fffff, v20
	v_cmp_gt_i32_e32 vcc, s3, v18
	v_cvt_f32_i32_e32 v19, v19
	v_accvgpr_read_b32 v23, a2
	v_cndmask_b32_e32 v24, v25, v24, vcc
	v_or_b32_e32 v25, 1, v18
	v_max_f32_e32 v26, v24, v21
	v_cmp_gt_i32_e64 s[0:1], s3, v25
	v_fma_f32 v22, v30, v22, v23
	v_or_b32_e32 v18, 2, v18
	v_cndmask_b32_e64 v24, v24, v26, s[0:1]
	v_accvgpr_read_b32 v23, a3
	v_max_f32_e32 v25, v24, v22
	v_cmp_gt_i32_e64 s[4:5], s3, v18
	v_fmac_f32_e32 v23, v30, v19
	v_lshlrev_b32_e32 v19, 2, v0
	v_cndmask_b32_e64 v18, v24, v25, s[4:5]
	v_or_b32_e32 v24, 3, v34
	v_max_f32_e32 v25, v18, v23
	v_cmp_gt_i32_e64 s[8:9], s3, v24
	v_and_or_b32 v19, v19, 48, v33
	s_nop 0
	v_cndmask_b32_e64 v18, v18, v25, s[8:9]
	;;#ASMSTART
	v_nop
 v_nop
 v_max_f32_dpp v18, v18, v18 row_ror:4
	;;#ASMEND
	v_lshlrev_b32_e32 v25, 2, v19
	;;#ASMSTART
	v_nop
 v_nop
 v_max_f32_dpp v18, v18, v18 row_ror:8
	;;#ASMEND
	ds_bpermute_b32 v18, v25, v18
	s_waitcnt lgkmcnt(0)
	;;#ASMSTART
	v_nop
 v_nop
 v_max_f32_dpp v18, v18, v18 row_ror:4
	;;#ASMEND
	s_nop 0
	;;#ASMSTART
	v_nop
 v_nop
 v_max_f32_dpp v24, v18, v18 row_ror:8
	;;#ASMEND
	s_nop 0
	v_sub_f32_e32 v18, v20, v24
	v_mul_f32_e32 v18, 0x3fb8aa3b, v18
	v_sub_f32_e32 v19, v21, v24
	v_exp_f32_e32 v18, v18
	v_mul_f32_e32 v19, 0x3fb8aa3b, v19
	v_sub_f32_e32 v21, v22, v24
	v_exp_f32_e32 v19, v19
	;; [unrolled: 3-line block ×3, first 2 shown]
	v_mul_f32_e32 v22, 0x3fb8aa3b, v22
	v_exp_f32_e32 v22, v22
	v_cndmask_b32_e32 v18, 0, v18, vcc
	v_add_f32_e32 v20, 0, v18
	v_cndmask_b32_e64 v19, 0, v19, s[0:1]
	v_add_f32_e32 v23, v20, v19
	v_cndmask_b32_e64 v20, 0, v21, s[4:5]
	v_add_f32_e32 v23, v23, v20
	v_cndmask_b32_e64 v21, 0, v22, s[8:9]
	v_add_f32_e32 v22, v23, v21
	;;#ASMSTART
	v_nop
 v_nop
 v_add_f32_dpp v22, v22, v22 row_ror:4
	;;#ASMEND
	v_cmp_gt_u32_e32 vcc, 4, v32
	;;#ASMSTART
	v_nop
 v_nop
 v_add_f32_dpp v22, v22, v22 row_ror:8
	;;#ASMEND
	ds_bpermute_b32 v22, v25, v22
	s_waitcnt lgkmcnt(0)
	;;#ASMSTART
	v_nop
 v_nop
 v_add_f32_dpp v22, v22, v22 row_ror:4
	;;#ASMEND
	s_nop 0
	;;#ASMSTART
	v_nop
 v_nop
 v_add_f32_dpp v22, v22, v22 row_ror:8
	;;#ASMEND
	s_and_saveexec_b64 s[0:1], vcc
	s_cbranch_execz .LBB1170_18
; %bb.17:
	v_mul_u32_u24_e32 v23, 20, v1
	v_lshl_add_u32 v23, v33, 2, v23
	v_add_u32_e32 v23, 0x800, v23
	ds_write2_b32 v23, v24, v22 offset0:128 offset1:148
.LBB1170_18:
	s_or_b64 exec, exec, s[0:1]
.LBB1170_19:
	s_or_b64 exec, exec, s[26:27]
	s_waitcnt lgkmcnt(0)
	s_barrier
	s_load_dword s0, s[24:25], 0x8
	v_lshlrev_b32_e32 v22, 2, v33
	v_add_u32_e32 v30, 0x800, v22
	ds_read2_b32 v[22:23], v30 offset0:128 offset1:133
	ds_read2_b32 v[26:27], v30 offset0:138 offset1:143
	s_mul_i32 s1, s2, s38
	s_waitcnt lgkmcnt(0)
	s_mul_i32 s0, s1, s0
	s_mov_b32 s1, 0xff7fffff
	v_max3_f32 v25, v22, s1, v23
	v_max3_f32 v25, v25, v26, v27
	v_sub_f32_e32 v22, v22, v25
	v_mul_f32_e32 v22, 0x3fb8aa3b, v22
	ds_read2_b32 v[28:29], v30 offset0:148 offset1:153
	v_exp_f32_e32 v31, v22
	v_sub_f32_e32 v22, v23, v25
	v_sub_f32_e32 v26, v26, v25
	v_mul_f32_e32 v22, 0x3fb8aa3b, v22
	v_mul_f32_e32 v26, 0x3fb8aa3b, v26
	v_exp_f32_e32 v34, v22
	ds_read2_b32 v[22:23], v30 offset0:158 offset1:163
	v_exp_f32_e32 v30, v26
	v_sub_f32_e32 v26, v27, v25
	v_mul_f32_e32 v26, 0x3fb8aa3b, v26
	v_exp_f32_e32 v27, v26
	s_waitcnt lgkmcnt(1)
	v_fma_f32 v26, v31, v28, 0
	v_fmac_f32_e32 v26, v34, v29
	s_waitcnt lgkmcnt(0)
	v_fmac_f32_e32 v26, v30, v22
	s_mul_i32 s0, s0, 3
	v_fmac_f32_e32 v26, v27, v23
	v_cmp_ne_u32_e32 vcc, 3, v33
	s_and_saveexec_b64 s[2:3], vcc
	s_cbranch_execz .LBB1170_21
; %bb.20:
	s_mov_b32 s1, 0
	s_lshl_b64 s[4:5], s[0:1], 2
	s_add_u32 s12, s12, s4
	s_mov_b32 s21, s1
	s_addc_u32 s13, s13, s5
	s_lshl_b64 s[8:9], s[20:21], 2
	s_add_u32 s12, s12, s8
	s_addc_u32 s13, s13, s9
	s_add_u32 s1, s14, s4
	s_addc_u32 s5, s15, s5
	v_add_u32_e32 v22, s33, v33
	s_add_u32 s4, s1, s8
	v_mul_lo_u32 v22, s38, v22
	v_mov_b32_e32 v23, 0
	s_addc_u32 s5, s5, s9
	v_lshlrev_b64 v[22:23], 2, v[22:23]
	v_lshl_add_u64 v[28:29], s[12:13], 0, v[22:23]
	v_lshl_add_u64 v[22:23], s[4:5], 0, v[22:23]
	global_store_dword v[22:23], v25, off
	global_store_dword v[28:29], v26, off
.LBB1170_21:
	s_or_b64 exec, exec, s[2:3]
	v_mov_b32_e32 v22, 0
	v_mov_b32_e32 v23, 0
	s_and_saveexec_b64 s[2:3], s[6:7]
	s_cbranch_execz .LBB1170_23
; %bb.22:
	v_add_f32_e32 v22, 0x358637bd, v26
	v_div_scale_f32 v23, s[4:5], v22, v22, 1.0
	v_rcp_f32_e32 v26, v23
	v_div_scale_f32 v27, vcc, 1.0, v22, 1.0
	v_sub_f32_e32 v24, v24, v25
	v_fma_f32 v28, -v23, v26, 1.0
	v_fmac_f32_e32 v26, v28, v26
	v_mul_f32_e32 v28, v27, v26
	v_fma_f32 v29, -v23, v28, v27
	v_mul_f32_e32 v24, 0x3fb8aa3b, v24
	v_fmac_f32_e32 v28, v29, v26
	v_exp_f32_e32 v24, v24
	v_fma_f32 v23, -v23, v28, v27
	v_div_fmas_f32 v23, v23, v26, v28
	v_div_fixup_f32 v22, v23, v22, 1.0
	v_mul_f32_e32 v22, v24, v22
	v_pk_mul_f32 v[18:19], v[18:19], v[22:23] op_sel_hi:[1,0]
	v_pk_mul_f32 v[20:21], v[20:21], v[22:23] op_sel_hi:[1,0]
	v_bfe_u32 v22, v19, 16, 1
	v_bfe_u32 v23, v18, 16, 1
	s_movk_i32 s1, 0x7fff
	v_add3_u32 v18, v18, v23, s1
	v_add3_u32 v19, v19, v22, s1
	s_mov_b32 s5, 0x7060302
	v_perm_b32 v18, v19, v18, s5
	v_bfe_u32 v19, v21, 16, 1
	v_bfe_u32 v22, v20, 16, 1
	v_add3_u32 v22, v20, v22, s1
	v_add3_u32 v19, v21, v19, s1
	s_waitcnt vmcnt(2)
	v_cvt_pk_f32_fp8_e32 v[20:21], v6
	v_perm_b32 v19, v19, v22, s5
	v_cvt_pk_f32_fp8_sdwa v[22:23], v6 src0_sel:WORD_1
	v_cvt_pk_f32_fp8_e32 v[24:25], v7
	v_perm_b32 v6, v21, v20, s5
	v_cvt_pk_f32_fp8_sdwa v[20:21], v7 src0_sel:WORD_1
	v_perm_b32 v7, v23, v22, s5
	v_perm_b32 v22, v25, v24, s5
	s_load_dword s4, s[10:11], 0x0
	v_mfma_f32_4x4x4_16b_bf16 a[0:3], v[18:19], v[6:7], 0 cbsz:4
	v_perm_b32 v23, v21, v20, s5
	v_cvt_pk_f32_fp8_e32 v[6:7], v8
	v_cvt_pk_f32_fp8_sdwa v[20:21], v8 src0_sel:WORD_1
	v_mfma_f32_4x4x4_16b_bf16 a[0:3], v[18:19], v[22:23], a[0:3] cbsz:4 abid:1
	v_cvt_pk_f32_fp8_e32 v[22:23], v9
	v_cvt_pk_f32_fp8_sdwa v[8:9], v9 src0_sel:WORD_1
	v_perm_b32 v6, v7, v6, s5
	v_perm_b32 v7, v21, v20, s5
	;; [unrolled: 1-line block ×4, first 2 shown]
	v_mfma_f32_4x4x4_16b_bf16 a[0:3], v[18:19], v[6:7], a[0:3] cbsz:4 abid:2
	v_cvt_pk_f32_fp8_e32 v[6:7], v2
	v_cvt_pk_f32_fp8_sdwa v[8:9], v2 src0_sel:WORD_1
	v_mfma_f32_4x4x4_16b_bf16 a[0:3], v[18:19], v[20:21], a[0:3] cbsz:4 abid:3
	v_cvt_pk_f32_fp8_e32 v[20:21], v3
	v_perm_b32 v2, v7, v6, s5
	v_cvt_pk_f32_fp8_sdwa v[6:7], v3 src0_sel:WORD_1
	v_perm_b32 v3, v9, v8, s5
	v_perm_b32 v8, v21, v20, s5
	;; [unrolled: 1-line block ×3, first 2 shown]
	v_mfma_f32_4x4x4_16b_bf16 a[0:3], v[18:19], v[2:3], a[0:3] cbsz:4 abid:4
	v_cvt_pk_f32_fp8_e32 v[2:3], v4
	v_cvt_pk_f32_fp8_sdwa v[6:7], v4 src0_sel:WORD_1
	v_mfma_f32_4x4x4_16b_bf16 a[0:3], v[18:19], v[8:9], a[0:3] cbsz:4 abid:5
	v_cvt_pk_f32_fp8_e32 v[8:9], v5
	v_cvt_pk_f32_fp8_sdwa v[4:5], v5 src0_sel:WORD_1
	v_perm_b32 v2, v3, v2, s5
	v_perm_b32 v3, v7, v6, s5
	;; [unrolled: 1-line block ×4, first 2 shown]
	v_mfma_f32_4x4x4_16b_bf16 a[0:3], v[18:19], v[2:3], a[0:3] cbsz:4 abid:6
	s_waitcnt vmcnt(0)
	v_cvt_pk_f32_fp8_e32 v[2:3], v14
	v_cvt_pk_f32_fp8_sdwa v[4:5], v14 src0_sel:WORD_1
	v_mfma_f32_4x4x4_16b_bf16 a[0:3], v[18:19], v[6:7], a[0:3] cbsz:4 abid:7
	v_cvt_pk_f32_fp8_e32 v[6:7], v15
	v_cvt_pk_f32_fp8_sdwa v[8:9], v15 src0_sel:WORD_1
	v_perm_b32 v2, v3, v2, s5
	v_perm_b32 v3, v5, v4, s5
	;; [unrolled: 1-line block ×4, first 2 shown]
	v_mfma_f32_4x4x4_16b_bf16 a[0:3], v[18:19], v[2:3], a[0:3] cbsz:4 abid:8
	v_cvt_pk_f32_fp8_e32 v[2:3], v16
	v_cvt_pk_f32_fp8_e32 v[6:7], v17
	v_mfma_f32_4x4x4_16b_bf16 a[0:3], v[18:19], v[4:5], a[0:3] cbsz:4 abid:9
	v_cvt_pk_f32_fp8_sdwa v[4:5], v16 src0_sel:WORD_1
	v_cvt_pk_f32_fp8_sdwa v[8:9], v17 src0_sel:WORD_1
	v_perm_b32 v2, v3, v2, s5
	v_perm_b32 v3, v5, v4, s5
	v_perm_b32 v4, v7, v6, s5
	s_nop 0
	v_mfma_f32_4x4x4_16b_bf16 a[0:3], v[18:19], v[2:3], a[0:3] cbsz:4 abid:10
	v_perm_b32 v5, v9, v8, s5
	v_cvt_pk_f32_fp8_e32 v[2:3], v10
	v_cvt_pk_f32_fp8_e32 v[6:7], v11
	v_mfma_f32_4x4x4_16b_bf16 a[0:3], v[18:19], v[4:5], a[0:3] cbsz:4 abid:11
	v_cvt_pk_f32_fp8_sdwa v[4:5], v10 src0_sel:WORD_1
	v_cvt_pk_f32_fp8_sdwa v[8:9], v11 src0_sel:WORD_1
	v_perm_b32 v2, v3, v2, s5
	v_perm_b32 v3, v5, v4, s5
	v_perm_b32 v4, v7, v6, s5
	s_nop 0
	v_mfma_f32_4x4x4_16b_bf16 a[0:3], v[18:19], v[2:3], a[0:3] cbsz:4 abid:12
	v_perm_b32 v5, v9, v8, s5
	;; [unrolled: 11-line block ×3, first 2 shown]
	s_nop 1
	v_mfma_f32_4x4x4_16b_bf16 a[0:3], v[18:19], v[4:5], a[0:3] cbsz:4 abid:15
	s_nop 4
	v_accvgpr_read_b32 v5, a1
	v_accvgpr_read_b32 v4, a0
	;; [unrolled: 1-line block ×4, first 2 shown]
	s_waitcnt lgkmcnt(0)
	v_pk_mul_f32 v[4:5], v[4:5], s[4:5] op_sel_hi:[1,0]
	v_pk_mul_f32 v[2:3], v[2:3], s[4:5] op_sel_hi:[1,0]
	v_bfe_u32 v6, v5, 16, 1
	v_bfe_u32 v7, v4, 16, 1
	v_add3_u32 v4, v4, v7, s1
	v_add3_u32 v5, v5, v6, s1
	v_bfe_u32 v6, v3, 16, 1
	v_bfe_u32 v7, v2, 16, 1
	v_add3_u32 v2, v2, v7, s1
	v_add3_u32 v3, v3, v6, s1
	v_perm_b32 v23, v3, v2, s5
	v_perm_b32 v22, v5, v4, s5
.LBB1170_23:
	s_or_b64 exec, exec, s[2:3]
	v_lshlrev_b32_e32 v1, 3, v1
	v_mad_u32_u24 v1, v32, 40, v1
	v_cmp_gt_u32_e32 vcc, 64, v0
	ds_write_b64 v1, v[22:23]
	s_waitcnt lgkmcnt(0)
	s_barrier
	s_and_saveexec_b64 s[2:3], vcc
	s_cbranch_execz .LBB1170_25
; %bb.24:
	v_mul_u32_u24_e32 v1, 40, v32
	s_waitcnt vmcnt(3)
	ds_read2_b64 v[2:5], v1 offset1:1
	s_waitcnt vmcnt(2)
	ds_read2_b64 v[6:9], v1 offset0:2 offset1:3
	s_mov_b32 s1, 0
	s_lshl_b32 s0, s0, 6
	s_lshl_b64 s[2:3], s[0:1], 1
	s_waitcnt lgkmcnt(1)
	v_and_b32_e32 v1, 0xffff0000, v2
	v_lshlrev_b32_e32 v3, 16, v3
	v_add_f32_e32 v1, 0, v1
	v_add_f32_e32 v3, 0, v3
	v_and_b32_e32 v1, 0xffff0000, v1
	s_waitcnt vmcnt(1)
	v_and_b32_e32 v10, 0xffff0000, v4
	v_and_b32_e32 v3, 0xffff0000, v3
	v_add_f32_e32 v1, v1, v10
	v_lshlrev_b32_e32 v5, 16, v5
	v_and_b32_e32 v1, 0xffff0000, v1
	v_add_f32_e32 v3, v3, v5
	s_waitcnt lgkmcnt(0)
	v_and_b32_e32 v5, 0xffff0000, v6
	v_and_b32_e32 v3, 0xffff0000, v3
	v_add_f32_e32 v1, v1, v5
	v_lshlrev_b32_e32 v5, 16, v7
	v_and_b32_e32 v1, 0xffff0000, v1
	v_add_f32_e32 v3, v3, v5
	v_and_b32_e32 v5, 0xffff0000, v8
	v_lshlrev_b32_e32 v2, 16, v2
	v_and_b32_e32 v3, 0xffff0000, v3
	v_add_f32_e32 v1, v1, v5
	v_lshlrev_b32_e32 v5, 16, v9
	s_add_u32 s2, s22, s2
	v_add_f32_e32 v2, 0, v2
	v_add_f32_e32 v7, v3, v5
	s_addc_u32 s3, s23, s3
	s_lshl_b32 s0, s20, 6
	v_and_b32_e32 v2, 0xffff0000, v2
	v_lshlrev_b32_e32 v3, 16, v4
	s_lshl_b64 s[0:1], s[0:1], 1
	v_add_f32_e32 v2, v2, v3
	s_add_u32 s0, s2, s0
	v_and_b32_e32 v2, 0xffff0000, v2
	v_lshlrev_b32_e32 v3, 16, v6
	s_addc_u32 s1, s3, s1
	s_lshl_b32 s2, s38, 6
	v_add_f32_e32 v2, v2, v3
	v_and_b32_e32 v2, 0xffff0000, v2
	v_lshlrev_b32_e32 v3, 16, v8
	s_mul_i32 s3, s2, s33
	v_add_f32_e32 v6, v2, v3
	v_or_b32_e32 v2, s3, v0
	v_mov_b32_e32 v3, 0
	s_add_i32 s3, s3, s2
	v_lshl_add_u64 v[4:5], v[2:3], 1, s[0:1]
	v_or_b32_e32 v2, s3, v0
	s_add_i32 s3, s3, s2
	global_store_short_d16_hi v[4:5], v6, off
	v_lshl_add_u64 v[4:5], v[2:3], 1, s[0:1]
	v_or_b32_e32 v2, s3, v0
	global_store_short_d16_hi v[4:5], v1, off
	v_lshl_add_u64 v[0:1], v[2:3], 1, s[0:1]
	global_store_short_d16_hi v[0:1], v7, off
.LBB1170_25:
	s_endpgm
	.section	.rodata,"a",@progbits
	.p2align	6, 0x0
	.amdhsa_kernel _Z38paged_attention_ll4mi_QKV_mfma4_kernelI14__hip_bfloat16hLN4vllm18Fp8KVCacheDataTypeE1EhLi32ELi64ELi256ELb1ELi3EEvPKT_PKT0_S8_ifPKiSA_SA_iPKfiiiPfSD_PS3_PT2_iSC_SC_
		.amdhsa_group_segment_fixed_size 2720
		.amdhsa_private_segment_fixed_size 0
		.amdhsa_kernarg_size 400
		.amdhsa_user_sgpr_count 2
		.amdhsa_user_sgpr_dispatch_ptr 0
		.amdhsa_user_sgpr_queue_ptr 0
		.amdhsa_user_sgpr_kernarg_segment_ptr 1
		.amdhsa_user_sgpr_dispatch_id 0
		.amdhsa_user_sgpr_kernarg_preload_length 0
		.amdhsa_user_sgpr_kernarg_preload_offset 0
		.amdhsa_user_sgpr_private_segment_size 0
		.amdhsa_uses_dynamic_stack 0
		.amdhsa_enable_private_segment 0
		.amdhsa_system_sgpr_workgroup_id_x 1
		.amdhsa_system_sgpr_workgroup_id_y 1
		.amdhsa_system_sgpr_workgroup_id_z 1
		.amdhsa_system_sgpr_workgroup_info 0
		.amdhsa_system_vgpr_workitem_id 0
		.amdhsa_next_free_vgpr 48
		.amdhsa_next_free_sgpr 44
		.amdhsa_accum_offset 44
		.amdhsa_reserve_vcc 1
		.amdhsa_float_round_mode_32 0
		.amdhsa_float_round_mode_16_64 0
		.amdhsa_float_denorm_mode_32 3
		.amdhsa_float_denorm_mode_16_64 3
		.amdhsa_dx10_clamp 1
		.amdhsa_ieee_mode 1
		.amdhsa_fp16_overflow 0
		.amdhsa_tg_split 0
		.amdhsa_exception_fp_ieee_invalid_op 0
		.amdhsa_exception_fp_denorm_src 0
		.amdhsa_exception_fp_ieee_div_zero 0
		.amdhsa_exception_fp_ieee_overflow 0
		.amdhsa_exception_fp_ieee_underflow 0
		.amdhsa_exception_fp_ieee_inexact 0
		.amdhsa_exception_int_div_zero 0
	.end_amdhsa_kernel
	.section	.text._Z38paged_attention_ll4mi_QKV_mfma4_kernelI14__hip_bfloat16hLN4vllm18Fp8KVCacheDataTypeE1EhLi32ELi64ELi256ELb1ELi3EEvPKT_PKT0_S8_ifPKiSA_SA_iPKfiiiPfSD_PS3_PT2_iSC_SC_,"axG",@progbits,_Z38paged_attention_ll4mi_QKV_mfma4_kernelI14__hip_bfloat16hLN4vllm18Fp8KVCacheDataTypeE1EhLi32ELi64ELi256ELb1ELi3EEvPKT_PKT0_S8_ifPKiSA_SA_iPKfiiiPfSD_PS3_PT2_iSC_SC_,comdat
.Lfunc_end1170:
	.size	_Z38paged_attention_ll4mi_QKV_mfma4_kernelI14__hip_bfloat16hLN4vllm18Fp8KVCacheDataTypeE1EhLi32ELi64ELi256ELb1ELi3EEvPKT_PKT0_S8_ifPKiSA_SA_iPKfiiiPfSD_PS3_PT2_iSC_SC_, .Lfunc_end1170-_Z38paged_attention_ll4mi_QKV_mfma4_kernelI14__hip_bfloat16hLN4vllm18Fp8KVCacheDataTypeE1EhLi32ELi64ELi256ELb1ELi3EEvPKT_PKT0_S8_ifPKiSA_SA_iPKfiiiPfSD_PS3_PT2_iSC_SC_
                                        ; -- End function
	.section	.AMDGPU.csdata,"",@progbits
; Kernel info:
; codeLenInByte = 4140
; NumSgprs: 50
; NumVgprs: 44
; NumAgprs: 4
; TotalNumVgprs: 48
; ScratchSize: 0
; MemoryBound: 0
; FloatMode: 240
; IeeeMode: 1
; LDSByteSize: 2720 bytes/workgroup (compile time only)
; SGPRBlocks: 6
; VGPRBlocks: 5
; NumSGPRsForWavesPerEU: 50
; NumVGPRsForWavesPerEU: 48
; AccumOffset: 44
; Occupancy: 8
; WaveLimiterHint : 1
; COMPUTE_PGM_RSRC2:SCRATCH_EN: 0
; COMPUTE_PGM_RSRC2:USER_SGPR: 2
; COMPUTE_PGM_RSRC2:TRAP_HANDLER: 0
; COMPUTE_PGM_RSRC2:TGID_X_EN: 1
; COMPUTE_PGM_RSRC2:TGID_Y_EN: 1
; COMPUTE_PGM_RSRC2:TGID_Z_EN: 1
; COMPUTE_PGM_RSRC2:TIDIG_COMP_CNT: 0
; COMPUTE_PGM_RSRC3_GFX90A:ACCUM_OFFSET: 10
; COMPUTE_PGM_RSRC3_GFX90A:TG_SPLIT: 0
	.section	.text._Z38paged_attention_ll4mi_QKV_mfma4_kernelI14__hip_bfloat16hLN4vllm18Fp8KVCacheDataTypeE1EhLi32ELi64ELi256ELb1ELi4EEvPKT_PKT0_S8_ifPKiSA_SA_iPKfiiiPfSD_PS3_PT2_iSC_SC_,"axG",@progbits,_Z38paged_attention_ll4mi_QKV_mfma4_kernelI14__hip_bfloat16hLN4vllm18Fp8KVCacheDataTypeE1EhLi32ELi64ELi256ELb1ELi4EEvPKT_PKT0_S8_ifPKiSA_SA_iPKfiiiPfSD_PS3_PT2_iSC_SC_,comdat
	.protected	_Z38paged_attention_ll4mi_QKV_mfma4_kernelI14__hip_bfloat16hLN4vllm18Fp8KVCacheDataTypeE1EhLi32ELi64ELi256ELb1ELi4EEvPKT_PKT0_S8_ifPKiSA_SA_iPKfiiiPfSD_PS3_PT2_iSC_SC_ ; -- Begin function _Z38paged_attention_ll4mi_QKV_mfma4_kernelI14__hip_bfloat16hLN4vllm18Fp8KVCacheDataTypeE1EhLi32ELi64ELi256ELb1ELi4EEvPKT_PKT0_S8_ifPKiSA_SA_iPKfiiiPfSD_PS3_PT2_iSC_SC_
	.globl	_Z38paged_attention_ll4mi_QKV_mfma4_kernelI14__hip_bfloat16hLN4vllm18Fp8KVCacheDataTypeE1EhLi32ELi64ELi256ELb1ELi4EEvPKT_PKT0_S8_ifPKiSA_SA_iPKfiiiPfSD_PS3_PT2_iSC_SC_
	.p2align	8
	.type	_Z38paged_attention_ll4mi_QKV_mfma4_kernelI14__hip_bfloat16hLN4vllm18Fp8KVCacheDataTypeE1EhLi32ELi64ELi256ELb1ELi4EEvPKT_PKT0_S8_ifPKiSA_SA_iPKfiiiPfSD_PS3_PT2_iSC_SC_,@function
_Z38paged_attention_ll4mi_QKV_mfma4_kernelI14__hip_bfloat16hLN4vllm18Fp8KVCacheDataTypeE1EhLi32ELi64ELi256ELb1ELi4EEvPKT_PKT0_S8_ifPKiSA_SA_iPKfiiiPfSD_PS3_PT2_iSC_SC_: ; @_Z38paged_attention_ll4mi_QKV_mfma4_kernelI14__hip_bfloat16hLN4vllm18Fp8KVCacheDataTypeE1EhLi32ELi64ELi256ELb1ELi4EEvPKT_PKT0_S8_ifPKiSA_SA_iPKfiiiPfSD_PS3_PT2_iSC_SC_
; %bb.0:
	s_load_dwordx2 s[16:17], s[0:1], 0x30
	s_mov_b32 s24, s3
	s_mov_b64 s[6:7], 0
	s_waitcnt lgkmcnt(0)
	s_cmp_lg_u64 s[16:17], 0
	s_cselect_b64 s[18:19], -1, 0
	s_and_b64 vcc, exec, s[18:19]
	s_cbranch_vccz .LBB1171_18
; %bb.1:
	s_add_i32 s8, s2, 1
	s_mov_b32 s9, 0
	s_lshl_b64 s[10:11], s[8:9], 2
	s_add_u32 s10, s16, s10
	s_mov_b32 s3, s9
	s_addc_u32 s11, s17, s11
	s_lshl_b64 s[8:9], s[2:3], 2
	s_add_u32 s8, s16, s8
	s_addc_u32 s9, s17, s9
	s_load_dword s5, s[10:11], 0x0
	s_load_dword s12, s[8:9], 0x0
	s_mov_b64 s[34:35], s[2:3]
	s_waitcnt lgkmcnt(0)
	s_sub_i32 s5, s5, s12
	s_cmp_eq_u32 s5, 1
	s_cselect_b64 s[8:9], -1, 0
	s_andn2_b64 vcc, exec, s[6:7]
	s_cbranch_vccnz .LBB1171_3
.LBB1171_2:
	s_mov_b32 s3, 0
	s_mov_b64 s[8:9], -1
	s_mov_b64 s[34:35], s[2:3]
.LBB1171_3:
	s_andn2_b64 vcc, exec, s[8:9]
	s_cbranch_vccnz .LBB1171_17
; %bb.4:
	s_load_dword s3, s[0:1], 0x9c
	s_load_dwordx2 s[6:7], s[0:1], 0x28
	s_add_u32 s28, s0, 0x90
	s_addc_u32 s29, s1, 0
	s_lshl_b64 s[42:43], s[34:35], 2
	s_waitcnt lgkmcnt(0)
	s_and_b32 s5, s3, 0xffff
	s_add_u32 s6, s6, s42
	s_addc_u32 s7, s7, s43
	s_load_dword s3, s[6:7], 0x0
	s_mul_i32 s5, s24, s5
	s_waitcnt lgkmcnt(0)
	s_cmp_ge_i32 s5, s3
	s_cbranch_scc1 .LBB1171_17
; %bb.5:
	v_and_b32_e32 v2, 0xc0, v0
	v_and_b32_e32 v25, 3, v0
	s_lshl_b32 s33, s4, 2
	v_add_u32_e32 v4, s5, v2
	v_lshrrev_b32_e32 v1, 6, v0
	v_cmp_gt_i32_e64 s[6:7], s3, v4
	v_cmp_le_i32_e32 vcc, s3, v4
	v_or_b32_e32 v18, s33, v25
                                        ; implicit-def: $sgpr21
                                        ; implicit-def: $sgpr20
	s_and_saveexec_b64 s[8:9], vcc
	s_xor_b64 s[8:9], exec, s[8:9]
	s_cbranch_execz .LBB1171_7
; %bb.6:
	v_mul_u32_u24_e32 v2, 20, v1
	v_or_b32_e32 v2, 0xa00, v2
	v_mov_b32_e32 v3, 0xa50
	v_mov_b32_e32 v4, 0xff7fffff
	v_mad_u32_u24 v3, v1, 20, v3
	ds_write2_b32 v2, v4, v4 offset1:1
	v_mov_b32_e32 v2, 0
	ds_write2_b32 v3, v2, v2 offset1:1
	v_mov_b32_e32 v3, 0xa08
	s_mov_b32 s20, 0xff7fffff
	s_mov_b32 s21, 0
	v_mad_u32_u24 v3, v1, 20, v3
	v_mov_b32_e32 v5, 0xa58
	v_or_b32_e32 v18, s33, v25
	v_mad_u32_u24 v5, v1, 20, v5
	ds_write2_b32 v3, v4, v4 offset1:1
	ds_write2_b32 v5, v2, v2 offset1:1
                                        ; implicit-def: $vgpr4
.LBB1171_7:
	s_or_saveexec_b64 s[30:31], s[8:9]
	s_load_dwordx2 s[26:27], s[0:1], 0x68
	s_load_dwordx4 s[12:15], s[0:1], 0x58
	s_load_dword s44, s[28:29], 0x4
	s_load_dwordx4 s[8:11], s[0:1], 0x80
	v_and_b32_e32 v24, 63, v0
	v_mov_b32_e32 v23, s21
	v_mov_b32_e32 v26, s20
	;; [unrolled: 1-line block ×5, first 2 shown]
                                        ; implicit-def: $vgpr14_vgpr15
                                        ; implicit-def: $vgpr6_vgpr7
                                        ; implicit-def: $vgpr10_vgpr11
                                        ; implicit-def: $vgpr2_vgpr3
	s_xor_b64 exec, exec, s[30:31]
	s_cbranch_execz .LBB1171_13
; %bb.8:
	s_load_dwordx2 s[20:21], s[0:1], 0x20
	s_load_dword s22, s[0:1], 0x38
	s_add_i32 s23, s3, 31
	s_ashr_i32 s25, s23, 31
	s_lshr_b32 s25, s25, 27
	v_add_u32_e32 v20, s5, v0
	s_add_i32 s23, s23, s25
	v_ashrrev_i32_e32 v2, 31, v20
	s_ashr_i32 s23, s23, 5
	v_lshrrev_b32_e32 v2, 27, v2
	s_add_i32 s25, s23, -1
	s_waitcnt lgkmcnt(0)
	s_mul_i32 s36, s2, s22
	s_mov_b32 s37, 0
	v_add_u32_e32 v2, v20, v2
	s_lshl_b64 s[22:23], s[36:37], 2
	v_ashrrev_i32_e32 v2, 5, v2
	v_mov_b32_e32 v3, s25
	v_cmp_gt_i32_e32 vcc, s3, v20
	s_add_u32 s20, s20, s22
	s_addc_u32 s21, s21, s23
	v_cndmask_b32_e32 v2, v3, v2, vcc
	v_ashrrev_i32_e32 v3, 31, v2
	v_lshl_add_u64 v[6:7], v[2:3], 2, s[20:21]
	v_ashrrev_i32_e32 v2, 31, v4
	v_lshrrev_b32_e32 v2, 27, v2
	v_add_u32_e32 v2, v4, v2
	v_ashrrev_i32_e32 v4, 5, v2
	v_min_i32_e32 v2, s25, v4
	v_ashrrev_i32_e32 v3, 31, v2
	v_lshl_add_u64 v[8:9], v[2:3], 2, s[20:21]
	v_add_u32_e32 v2, 1, v4
	v_min_i32_e32 v2, s25, v2
	v_ashrrev_i32_e32 v3, 31, v2
	v_lshl_add_u64 v[10:11], v[2:3], 2, s[20:21]
	global_load_dword v4, v[6:7], off
	global_load_dword v3, v[8:9], off
	;; [unrolled: 1-line block ×3, first 2 shown]
	s_load_dwordx2 s[40:41], s[0:1], 0x40
	s_load_dwordx4 s[20:23], s[0:1], 0x0
	s_load_dwordx2 s[38:39], s[0:1], 0x10
	s_andn2_b64 vcc, exec, s[18:19]
	s_cbranch_vccnz .LBB1171_10
; %bb.9:
	s_add_u32 s16, s16, s42
	s_addc_u32 s17, s17, s43
	s_load_dword s36, s[16:17], 0x0
	s_waitcnt lgkmcnt(0)
	s_mov_b64 s[34:35], s[36:37]
.LBB1171_10:
	s_load_dwordx4 s[16:19], s[0:1], 0x48
	s_waitcnt lgkmcnt(0)
	s_load_dword s19, s[0:1], 0x1c
                                        ; kill: killed $sgpr0 killed $sgpr1
	v_cmp_eq_u32_e32 vcc, 0, v25
	s_ashr_i32 s1, s16, 31
	s_mul_hi_u32 s5, s34, s16
	s_mul_i32 s1, s34, s1
	s_mul_i32 s25, s35, s16
	s_add_i32 s1, s5, s1
	s_mul_i32 s0, s34, s16
	s_add_i32 s1, s1, s25
	s_lshl_b64 s[0:1], s[0:1], 1
	s_add_u32 s5, s20, s0
	s_addc_u32 s16, s21, s1
	s_lshl_b32 s36, s4, 8
	s_lshl_b64 s[0:1], s[36:37], 1
	s_add_u32 s0, s5, s0
	s_addc_u32 s1, s16, s1
	s_mul_i32 s16, s4, s18
	s_add_u32 s4, s16, s22
	s_addc_u32 s5, 0, s23
	v_mov_b64_e32 v[6:7], s[4:5]
	s_waitcnt vmcnt(2)
	v_mad_i64_i32 v[4:5], s[4:5], v4, s17, v[6:7]
	v_lshlrev_b32_e32 v6, 4, v0
	v_and_b32_e32 v6, 0x1f0, v6
	v_mov_b32_e32 v7, 0
	v_lshl_add_u64 v[4:5], v[4:5], 0, v[6:7]
	global_load_dwordx4 v[10:13], v[4:5], off
	global_load_dwordx4 v[26:29], v[4:5], off offset:512
	global_load_dwordx4 v[30:33], v[4:5], off offset:1024
	;; [unrolled: 1-line block ×3, first 2 shown]
	v_lshrrev_b32_e32 v4, 2, v24
	v_lshlrev_b32_e32 v5, 3, v25
	v_add_lshl_u32 v4, v5, v4, 4
	global_load_dwordx4 v[38:41], v4, s[0:1]
	v_mov_b32_e32 v19, v7
	v_lshl_add_u64 v[4:5], v[18:19], 2, s[40:41]
	global_load_dword v19, v[4:5], off
	s_waitcnt vmcnt(7)
	v_mul_hi_i32 v4, v3, s17
	s_add_u32 s0, s38, s16
	s_waitcnt vmcnt(6)
	v_mul_hi_i32 v5, v2, s17
	v_ashrrev_i32_e32 v8, 31, v4
	s_addc_u32 s1, s39, 0
	v_lshlrev_b32_e32 v6, 5, v24
	v_ashrrev_i32_e32 v14, 31, v5
	v_lshl_add_u64 v[4:5], s[0:1], 0, v[6:7]
	v_lshrrev_b32_e32 v6, 29, v8
	v_mad_i64_i32 v[8:9], s[0:1], v3, s17, v[6:7]
	v_and_b32_e32 v8, -8, v8
	v_lshrrev_b32_e32 v6, 29, v14
	v_lshl_add_u64 v[22:23], v[4:5], 0, v[8:9]
	v_mad_i64_i32 v[2:3], s[0:1], v2, s17, v[6:7]
	global_load_dwordx4 v[6:9], v[22:23], off offset:16
	global_load_dwordx4 v[14:17], v[22:23], off
	s_mov_b32 s4, 0x7060302
	v_and_b32_e32 v2, -8, v2
	v_lshl_add_u64 v[42:43], v[4:5], 0, v[2:3]
	s_waitcnt lgkmcnt(0)
	v_mov_b32_e32 v21, s19
	s_waitcnt vmcnt(7)
	v_cvt_pk_f32_fp8_e32 v[22:23], v10
	v_cvt_pk_f32_fp8_sdwa v[44:45], v10 src0_sel:WORD_1
	v_cvt_pk_f32_fp8_e32 v[46:47], v11
	v_cvt_pk_f32_fp8_sdwa v[48:49], v11 src0_sel:WORD_1
	;; [unrolled: 2-line block ×3, first 2 shown]
	v_perm_b32 v22, v23, v22, s4
	v_perm_b32 v23, v45, v44, s4
	v_cvt_pk_f32_fp8_e32 v[54:55], v13
	v_cvt_pk_f32_fp8_sdwa v[56:57], v13 src0_sel:WORD_1
	s_waitcnt vmcnt(3)
	v_mfma_f32_4x4x4_16b_bf16 a[0:3], v[38:39], v[22:23], 0 cbsz:4
	v_perm_b32 v44, v47, v46, s4
	v_perm_b32 v45, v49, v48, s4
	v_cvt_pk_f32_fp8_e32 v[58:59], v26
	v_cvt_pk_f32_fp8_sdwa v[60:61], v26 src0_sel:WORD_1
	v_mfma_f32_4x4x4_16b_bf16 a[0:3], v[40:41], v[44:45], a[0:3] cbsz:4
	v_perm_b32 v48, v51, v50, s4
	v_perm_b32 v49, v53, v52, s4
	v_cvt_pk_f32_fp8_e32 v[62:63], v27
	v_cvt_pk_f32_fp8_sdwa v[26:27], v27 src0_sel:WORD_1
	v_mfma_f32_4x4x4_16b_bf16 a[0:3], v[38:39], v[48:49], a[0:3] cbsz:4 abid:1
	global_load_dwordx4 v[2:5], v[42:43], off offset:16
	global_load_dwordx4 v[10:13], v[42:43], off
	v_perm_b32 v52, v55, v54, s4
	v_perm_b32 v53, v57, v56, s4
	v_cvt_pk_f32_fp8_e32 v[64:65], v28
	v_cvt_pk_f32_fp8_sdwa v[66:67], v28 src0_sel:WORD_1
	v_mfma_f32_4x4x4_16b_bf16 a[0:3], v[40:41], v[52:53], a[0:3] cbsz:4 abid:1
	v_perm_b32 v54, v59, v58, s4
	v_perm_b32 v55, v61, v60, s4
	v_cvt_pk_f32_fp8_e32 v[68:69], v29
	v_cvt_pk_f32_fp8_sdwa v[28:29], v29 src0_sel:WORD_1
	v_mfma_f32_4x4x4_16b_bf16 a[0:3], v[38:39], v[54:55], a[0:3] cbsz:4 abid:2
	;; [unrolled: 5-line block ×8, first 2 shown]
	v_perm_b32 v44, v81, v80, s4
	v_perm_b32 v45, v33, v32, s4
	v_perm_b32 v22, v43, v42, s4
	v_perm_b32 v23, v47, v46, s4
	v_mfma_f32_4x4x4_16b_bf16 a[0:3], v[40:41], v[44:45], a[0:3] cbsz:4 abid:5
	v_cvt_pk_f32_fp8_e32 v[56:57], v36
	v_cvt_pk_f32_fp8_sdwa v[26:27], v36 src0_sel:WORD_1
	v_mfma_f32_4x4x4_16b_bf16 a[0:3], v[38:39], v[22:23], a[0:3] cbsz:4 abid:6
	v_perm_b32 v28, v51, v50, s4
	v_perm_b32 v29, v35, v34, s4
	v_cvt_pk_f32_fp8_e32 v[22:23], v37
	v_perm_b32 v30, v57, v56, s4
	v_mfma_f32_4x4x4_16b_bf16 a[0:3], v[40:41], v[28:29], a[0:3] cbsz:4 abid:6
	v_cvt_pk_f32_fp8_sdwa v[28:29], v37 src0_sel:WORD_1
	v_perm_b32 v31, v27, v26, s4
	s_load_dword s0, s[8:9], 0x0
	v_perm_b32 v22, v23, v22, s4
	v_mfma_f32_4x4x4_16b_bf16 a[0:3], v[38:39], v[30:31], a[0:3] cbsz:4 abid:7
	v_perm_b32 v23, v29, v28, s4
	s_waitcnt lgkmcnt(0)
	v_mul_f32_e32 v26, s0, v21
	v_mfma_f32_4x4x4_16b_bf16 a[0:3], v[40:41], v[22:23], a[0:3] cbsz:4 abid:7
	v_cndmask_b32_e64 v21, 0, 1.0, vcc
	v_cmp_eq_u32_e32 vcc, 1, v25
	s_nop 2
	v_accvgpr_read_b32 v29, a1
	v_accvgpr_read_b32 v28, a0
	v_pk_mul_f32 v[28:29], v[28:29], v[26:27] op_sel_hi:[1,0]
	v_accvgpr_read_b32 v23, a3
	v_accvgpr_read_b32 v22, a2
	v_pk_mul_f32 v[22:23], v[22:23], v[26:27] op_sel_hi:[1,0]
	v_mfma_f32_4x4x1_16b_f32 a[0:3], v28, v21, 0
	v_cndmask_b32_e64 v21, 0, 1.0, vcc
	v_cmp_eq_u32_e32 vcc, 2, v25
	s_nop 0
	v_mfma_f32_4x4x1_16b_f32 a[0:3], v29, v21, a[0:3]
	v_cndmask_b32_e64 v21, 0, 1.0, vcc
	v_cmp_eq_u32_e32 vcc, 3, v25
	s_nop 0
	v_mfma_f32_4x4x1_16b_f32 a[0:3], v22, v21, a[0:3]
	v_cndmask_b32_e64 v21, 0, 1.0, vcc
	s_nop 1
	v_mfma_f32_4x4x1_16b_f32 a[0:3], v23, v21, a[0:3]
	v_and_b32_e32 v21, -4, v20
	v_subrev_u32_e32 v22, s3, v21
	v_add_u32_e32 v23, 1, v22
	v_cvt_f32_i32_e32 v23, v23
	v_add_u32_e32 v26, 2, v22
	v_cvt_f32_i32_e32 v26, v26
	v_accvgpr_read_b32 v27, a0
	s_waitcnt vmcnt(4)
	v_fma_f32 v23, v19, v23, v27
	v_accvgpr_read_b32 v27, a1
	v_fma_f32 v27, v19, v26, v27
	v_add_u32_e32 v26, 3, v22
	v_add_u32_e32 v22, 4, v22
	v_cvt_f32_i32_e32 v26, v26
	v_cvt_f32_i32_e32 v22, v22
	v_accvgpr_read_b32 v28, a2
	v_accvgpr_read_b32 v29, a3
	v_fma_f32 v28, v19, v26, v28
	v_fmac_f32_e32 v29, v19, v22
	v_max_f32_e32 v22, 0xff7fffff, v23
	v_mov_b32_e32 v26, 0xff7fffff
	v_cmp_gt_i32_e32 vcc, s3, v21
	v_or_b32_e32 v20, 3, v20
	v_cmp_gt_i32_e64 s[8:9], s3, v20
	v_cndmask_b32_e32 v22, v26, v22, vcc
	v_or_b32_e32 v26, 1, v21
	v_max_f32_e32 v30, v22, v27
	v_cmp_gt_i32_e64 s[0:1], s3, v26
	v_or_b32_e32 v21, 2, v21
	v_cmp_gt_i32_e64 s[4:5], s3, v21
	v_cndmask_b32_e64 v22, v22, v30, s[0:1]
	v_max_f32_e32 v26, v22, v28
	v_cndmask_b32_e64 v21, v22, v26, s[4:5]
	v_max_f32_e32 v22, v21, v29
	v_lshlrev_b32_e32 v19, 2, v0
	v_cndmask_b32_e64 v20, v21, v22, s[8:9]
	v_and_or_b32 v19, v19, 48, v25
	;;#ASMSTART
	v_nop
 v_nop
 v_max_f32_dpp v20, v20, v20 row_ror:4
	;;#ASMEND
	v_lshlrev_b32_e32 v19, 2, v19
	;;#ASMSTART
	v_nop
 v_nop
 v_max_f32_dpp v20, v20, v20 row_ror:8
	;;#ASMEND
	ds_bpermute_b32 v20, v19, v20
	s_waitcnt lgkmcnt(0)
	;;#ASMSTART
	v_nop
 v_nop
 v_max_f32_dpp v20, v20, v20 row_ror:4
	;;#ASMEND
	s_nop 0
	;;#ASMSTART
	v_nop
 v_nop
 v_max_f32_dpp v26, v20, v20 row_ror:8
	;;#ASMEND
	s_nop 0
	v_sub_f32_e32 v20, v23, v26
	v_mul_f32_e32 v20, 0x3fb8aa3b, v20
	v_sub_f32_e32 v21, v27, v26
	v_exp_f32_e32 v20, v20
	v_mul_f32_e32 v21, 0x3fb8aa3b, v21
	v_sub_f32_e32 v23, v28, v26
	v_exp_f32_e32 v21, v21
	;; [unrolled: 3-line block ×3, first 2 shown]
	v_mul_f32_e32 v27, 0x3fb8aa3b, v27
	v_exp_f32_e32 v27, v27
	v_cndmask_b32_e32 v20, 0, v20, vcc
	v_add_f32_e32 v22, 0, v20
	v_cndmask_b32_e64 v21, 0, v21, s[0:1]
	v_add_f32_e32 v28, v22, v21
	v_cndmask_b32_e64 v22, 0, v23, s[4:5]
	;; [unrolled: 2-line block ×3, first 2 shown]
	v_add_f32_e32 v27, v28, v23
	;;#ASMSTART
	v_nop
 v_nop
 v_add_f32_dpp v27, v27, v27 row_ror:4
	;;#ASMEND
	v_cmp_gt_u32_e32 vcc, 4, v24
	;;#ASMSTART
	v_nop
 v_nop
 v_add_f32_dpp v27, v27, v27 row_ror:8
	;;#ASMEND
	ds_bpermute_b32 v19, v19, v27
	s_waitcnt lgkmcnt(0)
	;;#ASMSTART
	v_nop
 v_nop
 v_add_f32_dpp v19, v19, v19 row_ror:4
	;;#ASMEND
	s_nop 0
	;;#ASMSTART
	v_nop
 v_nop
 v_add_f32_dpp v19, v19, v19 row_ror:8
	;;#ASMEND
	s_and_saveexec_b64 s[0:1], vcc
	s_cbranch_execz .LBB1171_12
; %bb.11:
	v_mul_u32_u24_e32 v27, 20, v1
	v_lshl_add_u32 v27, v25, 2, v27
	v_add_u32_e32 v27, 0x800, v27
	ds_write2_b32 v27, v26, v19 offset0:128 offset1:148
.LBB1171_12:
	s_or_b64 exec, exec, s[0:1]
.LBB1171_13:
	s_or_b64 exec, exec, s[30:31]
	v_lshlrev_b32_e32 v19, 2, v25
	v_add_u32_e32 v19, 0x800, v19
	s_waitcnt lgkmcnt(0)
	s_barrier
	s_load_dword s0, s[28:29], 0x8
	ds_read2_b32 v[28:29], v19 offset0:128 offset1:133
	ds_read2_b32 v[30:31], v19 offset0:138 offset1:143
	s_mov_b32 s4, 0xff7fffff
	s_mul_i32 s1, s2, s44
	ds_read2_b32 v[32:33], v19 offset0:148 offset1:153
	s_waitcnt lgkmcnt(0)
	v_max3_f32 v25, v28, s4, v29
	s_mul_i32 s1, s1, s0
	v_max3_f32 v25, v25, v30, v31
	s_lshl_b32 s0, s1, 2
	s_mov_b32 s1, 0
	v_sub_f32_e32 v27, v28, v25
	v_sub_f32_e32 v28, v29, v25
	s_lshl_b64 s[2:3], s[0:1], 2
	v_mul_f32_e32 v27, 0x3fb8aa3b, v27
	v_mul_f32_e32 v28, 0x3fb8aa3b, v28
	s_mov_b32 s25, s1
	s_add_u32 s1, s12, s2
	v_exp_f32_e32 v27, v27
	v_exp_f32_e32 v34, v28
	ds_read2_b32 v[28:29], v19 offset0:158 offset1:163
	v_sub_f32_e32 v19, v30, v25
	s_addc_u32 s8, s13, s3
	v_mul_f32_e32 v19, 0x3fb8aa3b, v19
	v_sub_f32_e32 v30, v31, v25
	s_add_u32 s4, s14, s2
	v_exp_f32_e32 v19, v19
	v_mul_f32_e32 v30, 0x3fb8aa3b, v30
	s_addc_u32 s5, s15, s3
	s_lshl_b64 s[2:3], s[24:25], 2
	v_exp_f32_e32 v30, v30
	s_add_u32 s4, s4, s2
	v_fma_f32 v27, v27, v32, 0
	s_addc_u32 s5, s5, s3
	v_fmac_f32_e32 v27, v34, v33
	s_waitcnt lgkmcnt(0)
	v_fmac_f32_e32 v27, v19, v28
	s_add_u32 s2, s1, s2
	v_mul_lo_u32 v18, s44, v18
	v_mov_b32_e32 v19, 0
	v_fmac_f32_e32 v27, v30, v29
	s_addc_u32 s3, s8, s3
	v_lshlrev_b64 v[28:29], 2, v[18:19]
	v_lshl_add_u64 v[30:31], s[4:5], 0, v[28:29]
	v_lshl_add_u64 v[28:29], s[2:3], 0, v[28:29]
	v_mov_b32_e32 v18, v19
	global_store_dword v[30:31], v25, off
	global_store_dword v[28:29], v27, off
	s_and_saveexec_b64 s[2:3], s[6:7]
	s_cbranch_execz .LBB1171_15
; %bb.14:
	v_add_f32_e32 v18, 0x358637bd, v27
	v_div_scale_f32 v19, s[4:5], v18, v18, 1.0
	v_rcp_f32_e32 v27, v19
	v_div_scale_f32 v28, vcc, 1.0, v18, 1.0
	v_sub_f32_e32 v25, v26, v25
	v_fma_f32 v29, -v19, v27, 1.0
	v_fmac_f32_e32 v27, v29, v27
	v_mul_f32_e32 v29, v28, v27
	v_fma_f32 v30, -v19, v29, v28
	v_mul_f32_e32 v25, 0x3fb8aa3b, v25
	v_fmac_f32_e32 v29, v30, v27
	v_exp_f32_e32 v25, v25
	v_fma_f32 v19, -v19, v29, v28
	v_div_fmas_f32 v19, v19, v27, v29
	v_div_fixup_f32 v18, v19, v18, 1.0
	v_mul_f32_e32 v18, v25, v18
	v_pk_mul_f32 v[22:23], v[22:23], v[18:19] op_sel_hi:[1,0]
	v_pk_mul_f32 v[18:19], v[20:21], v[18:19] op_sel_hi:[1,0]
	s_movk_i32 s1, 0x7fff
	v_bfe_u32 v20, v19, 16, 1
	v_bfe_u32 v21, v18, 16, 1
	v_add3_u32 v19, v19, v20, s1
	v_bfe_u32 v20, v22, 16, 1
	v_add3_u32 v18, v18, v21, s1
	s_mov_b32 s5, 0x7060302
	v_add3_u32 v22, v22, v20, s1
	s_waitcnt vmcnt(4)
	v_cvt_pk_f32_fp8_e32 v[20:21], v14
	v_perm_b32 v18, v19, v18, s5
	v_bfe_u32 v19, v23, 16, 1
	v_add3_u32 v19, v23, v19, s1
	v_perm_b32 v19, v19, v22, s5
	v_cvt_pk_f32_fp8_sdwa v[22:23], v14 src0_sel:WORD_1
	v_perm_b32 v14, v21, v20, s5
	v_cvt_pk_f32_fp8_sdwa v[20:21], v15 src0_sel:WORD_1
	v_cvt_pk_f32_fp8_e32 v[26:27], v15
	v_perm_b32 v15, v23, v22, s5
	s_load_dword s4, s[10:11], 0x0
	v_perm_b32 v23, v21, v20, s5
	v_mfma_f32_4x4x4_16b_bf16 a[0:3], v[18:19], v[14:15], 0 cbsz:4
	v_cvt_pk_f32_fp8_e32 v[14:15], v16
	v_cvt_pk_f32_fp8_sdwa v[20:21], v16 src0_sel:WORD_1
	v_perm_b32 v22, v27, v26, s5
	v_perm_b32 v14, v15, v14, s5
	s_nop 0
	v_mfma_f32_4x4x4_16b_bf16 a[0:3], v[18:19], v[22:23], a[0:3] cbsz:4 abid:1
	v_cvt_pk_f32_fp8_e32 v[22:23], v17
	v_cvt_pk_f32_fp8_sdwa v[16:17], v17 src0_sel:WORD_1
	v_perm_b32 v15, v21, v20, s5
	v_perm_b32 v20, v23, v22, s5
	s_nop 0
	v_mfma_f32_4x4x4_16b_bf16 a[0:3], v[18:19], v[14:15], a[0:3] cbsz:4 abid:2
	v_cvt_pk_f32_fp8_e32 v[14:15], v6
	v_perm_b32 v21, v17, v16, s5
	v_cvt_pk_f32_fp8_sdwa v[16:17], v6 src0_sel:WORD_1
	v_perm_b32 v6, v15, v14, s5
	v_mfma_f32_4x4x4_16b_bf16 a[0:3], v[18:19], v[20:21], a[0:3] cbsz:4 abid:3
	v_cvt_pk_f32_fp8_e32 v[20:21], v7
	v_cvt_pk_f32_fp8_sdwa v[14:15], v7 src0_sel:WORD_1
	v_perm_b32 v7, v17, v16, s5
	v_perm_b32 v16, v21, v20, s5
	s_nop 0
	v_mfma_f32_4x4x4_16b_bf16 a[0:3], v[18:19], v[6:7], a[0:3] cbsz:4 abid:4
	v_perm_b32 v17, v15, v14, s5
	v_cvt_pk_f32_fp8_e32 v[6:7], v8
	v_cvt_pk_f32_fp8_sdwa v[14:15], v8 src0_sel:WORD_1
	v_mfma_f32_4x4x4_16b_bf16 a[0:3], v[18:19], v[16:17], a[0:3] cbsz:4 abid:5
	v_cvt_pk_f32_fp8_e32 v[16:17], v9
	v_cvt_pk_f32_fp8_sdwa v[8:9], v9 src0_sel:WORD_1
	v_perm_b32 v6, v7, v6, s5
	v_perm_b32 v7, v15, v14, s5
	;; [unrolled: 1-line block ×4, first 2 shown]
	v_mfma_f32_4x4x4_16b_bf16 a[0:3], v[18:19], v[6:7], a[0:3] cbsz:4 abid:6
	s_waitcnt vmcnt(2)
	v_cvt_pk_f32_fp8_e32 v[6:7], v10
	v_cvt_pk_f32_fp8_sdwa v[8:9], v10 src0_sel:WORD_1
	v_mfma_f32_4x4x4_16b_bf16 a[0:3], v[18:19], v[14:15], a[0:3] cbsz:4 abid:7
	v_cvt_pk_f32_fp8_e32 v[14:15], v11
	v_cvt_pk_f32_fp8_sdwa v[10:11], v11 src0_sel:WORD_1
	v_perm_b32 v6, v7, v6, s5
	v_perm_b32 v7, v9, v8, s5
	;; [unrolled: 1-line block ×4, first 2 shown]
	v_mfma_f32_4x4x4_16b_bf16 a[0:3], v[18:19], v[6:7], a[0:3] cbsz:4 abid:8
	v_cvt_pk_f32_fp8_e32 v[6:7], v12
	v_cvt_pk_f32_fp8_e32 v[10:11], v13
	v_mfma_f32_4x4x4_16b_bf16 a[0:3], v[18:19], v[8:9], a[0:3] cbsz:4 abid:9
	v_cvt_pk_f32_fp8_sdwa v[8:9], v12 src0_sel:WORD_1
	v_cvt_pk_f32_fp8_sdwa v[12:13], v13 src0_sel:WORD_1
	v_perm_b32 v6, v7, v6, s5
	v_perm_b32 v7, v9, v8, s5
	;; [unrolled: 1-line block ×3, first 2 shown]
	s_nop 0
	v_mfma_f32_4x4x4_16b_bf16 a[0:3], v[18:19], v[6:7], a[0:3] cbsz:4 abid:10
	v_cvt_pk_f32_fp8_e32 v[6:7], v2
	v_perm_b32 v9, v13, v12, s5
	v_cvt_pk_f32_fp8_e32 v[10:11], v3
	s_nop 0
	v_mfma_f32_4x4x4_16b_bf16 a[0:3], v[18:19], v[8:9], a[0:3] cbsz:4 abid:11
	v_cvt_pk_f32_fp8_sdwa v[8:9], v2 src0_sel:WORD_1
	v_perm_b32 v2, v7, v6, s5
	v_cvt_pk_f32_fp8_sdwa v[6:7], v3 src0_sel:WORD_1
	v_perm_b32 v3, v9, v8, s5
	v_perm_b32 v8, v11, v10, s5
	s_nop 0
	v_mfma_f32_4x4x4_16b_bf16 a[0:3], v[18:19], v[2:3], a[0:3] cbsz:4 abid:12
	v_perm_b32 v9, v7, v6, s5
	v_cvt_pk_f32_fp8_e32 v[2:3], v4
	v_cvt_pk_f32_fp8_sdwa v[6:7], v4 src0_sel:WORD_1
	v_mfma_f32_4x4x4_16b_bf16 a[0:3], v[18:19], v[8:9], a[0:3] cbsz:4 abid:13
	v_cvt_pk_f32_fp8_e32 v[8:9], v5
	v_cvt_pk_f32_fp8_sdwa v[4:5], v5 src0_sel:WORD_1
	v_perm_b32 v2, v3, v2, s5
	v_perm_b32 v3, v7, v6, s5
	;; [unrolled: 1-line block ×4, first 2 shown]
	v_mfma_f32_4x4x4_16b_bf16 a[0:3], v[18:19], v[2:3], a[0:3] cbsz:4 abid:14
	s_nop 1
	v_mfma_f32_4x4x4_16b_bf16 a[0:3], v[18:19], v[6:7], a[0:3] cbsz:4 abid:15
	s_nop 4
	v_accvgpr_read_b32 v5, a1
	v_accvgpr_read_b32 v4, a0
	;; [unrolled: 1-line block ×4, first 2 shown]
	s_waitcnt lgkmcnt(0)
	v_pk_mul_f32 v[4:5], v[4:5], s[4:5] op_sel_hi:[1,0]
	v_pk_mul_f32 v[2:3], v[2:3], s[4:5] op_sel_hi:[1,0]
	v_bfe_u32 v6, v5, 16, 1
	v_bfe_u32 v7, v4, 16, 1
	v_add3_u32 v4, v4, v7, s1
	v_add3_u32 v5, v5, v6, s1
	v_bfe_u32 v6, v3, 16, 1
	v_bfe_u32 v7, v2, 16, 1
	v_add3_u32 v2, v2, v7, s1
	v_add3_u32 v3, v3, v6, s1
	v_perm_b32 v19, v3, v2, s5
	v_perm_b32 v18, v5, v4, s5
.LBB1171_15:
	s_or_b64 exec, exec, s[2:3]
	v_lshlrev_b32_e32 v1, 3, v1
	v_mad_u32_u24 v1, v24, 40, v1
	v_cmp_gt_u32_e32 vcc, 64, v0
	ds_write_b64 v1, v[18:19]
	s_waitcnt lgkmcnt(0)
	s_barrier
	s_and_saveexec_b64 s[2:3], vcc
	s_cbranch_execz .LBB1171_17
; %bb.16:
	v_mul_u32_u24_e32 v1, 40, v24
	s_waitcnt vmcnt(3)
	ds_read2_b64 v[2:5], v1 offset1:1
	ds_read2_b64 v[6:9], v1 offset0:2 offset1:3
	s_mov_b32 s1, 0
	s_lshl_b32 s0, s0, 6
	s_lshl_b64 s[2:3], s[0:1], 1
	s_waitcnt lgkmcnt(1)
	v_lshlrev_b32_e32 v1, 16, v2
	v_and_b32_e32 v2, 0xffff0000, v2
	v_add_f32_e32 v1, 0, v1
	v_add_f32_e32 v2, 0, v2
	s_waitcnt vmcnt(2)
	v_lshlrev_b32_e32 v10, 16, v3
	v_and_b32_e32 v3, 0xffff0000, v3
	v_and_b32_e32 v1, 0xffff0000, v1
	;; [unrolled: 1-line block ×3, first 2 shown]
	v_add_f32_e32 v3, 0, v3
	v_lshlrev_b32_e32 v11, 16, v4
	v_and_b32_e32 v4, 0xffff0000, v4
	v_add_f32_e32 v10, 0, v10
	v_and_b32_e32 v3, 0xffff0000, v3
	v_add_f32_e32 v1, v1, v11
	v_add_f32_e32 v2, v2, v4
	v_lshlrev_b32_e32 v4, 16, v5
	v_and_b32_e32 v5, 0xffff0000, v5
	v_and_b32_e32 v10, 0xffff0000, v10
	;; [unrolled: 1-line block ×3, first 2 shown]
	v_add_f32_e32 v3, v3, v5
	s_waitcnt lgkmcnt(0)
	v_lshlrev_b32_e32 v5, 16, v6
	v_and_b32_e32 v2, 0xffff0000, v2
	v_add_f32_e32 v4, v10, v4
	v_add_f32_e32 v1, v1, v5
	v_and_b32_e32 v5, 0xffff0000, v6
	v_and_b32_e32 v4, 0xffff0000, v4
	v_add_f32_e32 v2, v2, v5
	v_lshlrev_b32_e32 v5, 16, v7
	s_add_u32 s2, s26, s2
	v_and_b32_e32 v3, 0xffff0000, v3
	v_add_f32_e32 v4, v4, v5
	v_and_b32_e32 v5, 0xffff0000, v7
	s_addc_u32 s3, s27, s3
	s_lshl_b32 s0, s24, 6
	v_and_b32_e32 v1, 0xffff0000, v1
	v_add_f32_e32 v3, v3, v5
	v_lshlrev_b32_e32 v5, 16, v8
	s_lshl_b64 s[0:1], s[0:1], 1
	v_and_b32_e32 v2, 0xffff0000, v2
	v_add_f32_e32 v1, v1, v5
	v_and_b32_e32 v5, 0xffff0000, v8
	s_add_u32 s0, s2, s0
	v_and_b32_e32 v4, 0xffff0000, v4
	v_add_f32_e32 v6, v2, v5
	v_lshlrev_b32_e32 v2, 16, v9
	s_addc_u32 s1, s3, s1
	s_lshl_b32 s2, s44, 6
	v_and_b32_e32 v3, 0xffff0000, v3
	v_add_f32_e32 v7, v4, v2
	v_and_b32_e32 v2, 0xffff0000, v9
	s_mul_i32 s3, s2, s33
	v_add_f32_e32 v8, v3, v2
	v_or_b32_e32 v2, s3, v0
	v_mov_b32_e32 v3, 0
	s_add_i32 s3, s3, s2
	v_lshl_add_u64 v[4:5], v[2:3], 1, s[0:1]
	v_or_b32_e32 v2, s3, v0
	s_add_i32 s3, s3, s2
	global_store_short_d16_hi v[4:5], v1, off
	v_lshl_add_u64 v[4:5], v[2:3], 1, s[0:1]
	v_or_b32_e32 v2, s3, v0
	s_add_i32 s3, s3, s2
	global_store_short_d16_hi v[4:5], v6, off
	v_lshl_add_u64 v[4:5], v[2:3], 1, s[0:1]
	v_or_b32_e32 v2, s3, v0
	v_lshl_add_u64 v[0:1], v[2:3], 1, s[0:1]
	global_store_short_d16_hi v[4:5], v7, off
	global_store_short_d16_hi v[0:1], v8, off
.LBB1171_17:
	s_endpgm
.LBB1171_18:
	s_mov_b64 s[8:9], 0
                                        ; implicit-def: $sgpr34_sgpr35
	s_branch .LBB1171_2
	.section	.rodata,"a",@progbits
	.p2align	6, 0x0
	.amdhsa_kernel _Z38paged_attention_ll4mi_QKV_mfma4_kernelI14__hip_bfloat16hLN4vllm18Fp8KVCacheDataTypeE1EhLi32ELi64ELi256ELb1ELi4EEvPKT_PKT0_S8_ifPKiSA_SA_iPKfiiiPfSD_PS3_PT2_iSC_SC_
		.amdhsa_group_segment_fixed_size 2720
		.amdhsa_private_segment_fixed_size 0
		.amdhsa_kernarg_size 400
		.amdhsa_user_sgpr_count 2
		.amdhsa_user_sgpr_dispatch_ptr 0
		.amdhsa_user_sgpr_queue_ptr 0
		.amdhsa_user_sgpr_kernarg_segment_ptr 1
		.amdhsa_user_sgpr_dispatch_id 0
		.amdhsa_user_sgpr_kernarg_preload_length 0
		.amdhsa_user_sgpr_kernarg_preload_offset 0
		.amdhsa_user_sgpr_private_segment_size 0
		.amdhsa_uses_dynamic_stack 0
		.amdhsa_enable_private_segment 0
		.amdhsa_system_sgpr_workgroup_id_x 1
		.amdhsa_system_sgpr_workgroup_id_y 1
		.amdhsa_system_sgpr_workgroup_id_z 1
		.amdhsa_system_sgpr_workgroup_info 0
		.amdhsa_system_vgpr_workitem_id 0
		.amdhsa_next_free_vgpr 88
		.amdhsa_next_free_sgpr 45
		.amdhsa_accum_offset 84
		.amdhsa_reserve_vcc 1
		.amdhsa_float_round_mode_32 0
		.amdhsa_float_round_mode_16_64 0
		.amdhsa_float_denorm_mode_32 3
		.amdhsa_float_denorm_mode_16_64 3
		.amdhsa_dx10_clamp 1
		.amdhsa_ieee_mode 1
		.amdhsa_fp16_overflow 0
		.amdhsa_tg_split 0
		.amdhsa_exception_fp_ieee_invalid_op 0
		.amdhsa_exception_fp_denorm_src 0
		.amdhsa_exception_fp_ieee_div_zero 0
		.amdhsa_exception_fp_ieee_overflow 0
		.amdhsa_exception_fp_ieee_underflow 0
		.amdhsa_exception_fp_ieee_inexact 0
		.amdhsa_exception_int_div_zero 0
	.end_amdhsa_kernel
	.section	.text._Z38paged_attention_ll4mi_QKV_mfma4_kernelI14__hip_bfloat16hLN4vllm18Fp8KVCacheDataTypeE1EhLi32ELi64ELi256ELb1ELi4EEvPKT_PKT0_S8_ifPKiSA_SA_iPKfiiiPfSD_PS3_PT2_iSC_SC_,"axG",@progbits,_Z38paged_attention_ll4mi_QKV_mfma4_kernelI14__hip_bfloat16hLN4vllm18Fp8KVCacheDataTypeE1EhLi32ELi64ELi256ELb1ELi4EEvPKT_PKT0_S8_ifPKiSA_SA_iPKfiiiPfSD_PS3_PT2_iSC_SC_,comdat
.Lfunc_end1171:
	.size	_Z38paged_attention_ll4mi_QKV_mfma4_kernelI14__hip_bfloat16hLN4vllm18Fp8KVCacheDataTypeE1EhLi32ELi64ELi256ELb1ELi4EEvPKT_PKT0_S8_ifPKiSA_SA_iPKfiiiPfSD_PS3_PT2_iSC_SC_, .Lfunc_end1171-_Z38paged_attention_ll4mi_QKV_mfma4_kernelI14__hip_bfloat16hLN4vllm18Fp8KVCacheDataTypeE1EhLi32ELi64ELi256ELb1ELi4EEvPKT_PKT0_S8_ifPKiSA_SA_iPKfiiiPfSD_PS3_PT2_iSC_SC_
                                        ; -- End function
	.section	.AMDGPU.csdata,"",@progbits
; Kernel info:
; codeLenInByte = 4140
; NumSgprs: 51
; NumVgprs: 82
; NumAgprs: 4
; TotalNumVgprs: 88
; ScratchSize: 0
; MemoryBound: 0
; FloatMode: 240
; IeeeMode: 1
; LDSByteSize: 2720 bytes/workgroup (compile time only)
; SGPRBlocks: 6
; VGPRBlocks: 10
; NumSGPRsForWavesPerEU: 51
; NumVGPRsForWavesPerEU: 88
; AccumOffset: 84
; Occupancy: 5
; WaveLimiterHint : 1
; COMPUTE_PGM_RSRC2:SCRATCH_EN: 0
; COMPUTE_PGM_RSRC2:USER_SGPR: 2
; COMPUTE_PGM_RSRC2:TRAP_HANDLER: 0
; COMPUTE_PGM_RSRC2:TGID_X_EN: 1
; COMPUTE_PGM_RSRC2:TGID_Y_EN: 1
; COMPUTE_PGM_RSRC2:TGID_Z_EN: 1
; COMPUTE_PGM_RSRC2:TIDIG_COMP_CNT: 0
; COMPUTE_PGM_RSRC3_GFX90A:ACCUM_OFFSET: 20
; COMPUTE_PGM_RSRC3_GFX90A:TG_SPLIT: 0
	.section	.text._Z39paged_attention_ll4mi_QKV_mfma16_kernelI14__hip_bfloat16hLN4vllm18Fp8KVCacheDataTypeE1EhLi32ELi64ELi256ELb1ELi5EEvPKT_PKT0_S8_ifPKiSA_SA_iPKfiiiPfSD_PS3_PT2_iSC_SC_,"axG",@progbits,_Z39paged_attention_ll4mi_QKV_mfma16_kernelI14__hip_bfloat16hLN4vllm18Fp8KVCacheDataTypeE1EhLi32ELi64ELi256ELb1ELi5EEvPKT_PKT0_S8_ifPKiSA_SA_iPKfiiiPfSD_PS3_PT2_iSC_SC_,comdat
	.protected	_Z39paged_attention_ll4mi_QKV_mfma16_kernelI14__hip_bfloat16hLN4vllm18Fp8KVCacheDataTypeE1EhLi32ELi64ELi256ELb1ELi5EEvPKT_PKT0_S8_ifPKiSA_SA_iPKfiiiPfSD_PS3_PT2_iSC_SC_ ; -- Begin function _Z39paged_attention_ll4mi_QKV_mfma16_kernelI14__hip_bfloat16hLN4vllm18Fp8KVCacheDataTypeE1EhLi32ELi64ELi256ELb1ELi5EEvPKT_PKT0_S8_ifPKiSA_SA_iPKfiiiPfSD_PS3_PT2_iSC_SC_
	.globl	_Z39paged_attention_ll4mi_QKV_mfma16_kernelI14__hip_bfloat16hLN4vllm18Fp8KVCacheDataTypeE1EhLi32ELi64ELi256ELb1ELi5EEvPKT_PKT0_S8_ifPKiSA_SA_iPKfiiiPfSD_PS3_PT2_iSC_SC_
	.p2align	8
	.type	_Z39paged_attention_ll4mi_QKV_mfma16_kernelI14__hip_bfloat16hLN4vllm18Fp8KVCacheDataTypeE1EhLi32ELi64ELi256ELb1ELi5EEvPKT_PKT0_S8_ifPKiSA_SA_iPKfiiiPfSD_PS3_PT2_iSC_SC_,@function
_Z39paged_attention_ll4mi_QKV_mfma16_kernelI14__hip_bfloat16hLN4vllm18Fp8KVCacheDataTypeE1EhLi32ELi64ELi256ELb1ELi5EEvPKT_PKT0_S8_ifPKiSA_SA_iPKfiiiPfSD_PS3_PT2_iSC_SC_: ; @_Z39paged_attention_ll4mi_QKV_mfma16_kernelI14__hip_bfloat16hLN4vllm18Fp8KVCacheDataTypeE1EhLi32ELi64ELi256ELb1ELi5EEvPKT_PKT0_S8_ifPKiSA_SA_iPKfiiiPfSD_PS3_PT2_iSC_SC_
; %bb.0:
	s_load_dwordx2 s[6:7], s[0:1], 0x30
	s_mov_b32 s28, s3
	s_mov_b64 s[8:9], 0
	s_waitcnt lgkmcnt(0)
	s_cmp_lg_u64 s[6:7], 0
	s_cselect_b64 s[10:11], -1, 0
	s_and_b64 vcc, exec, s[10:11]
	s_cbranch_vccz .LBB1172_7
; %bb.1:
	s_add_i32 s12, s2, 1
	s_mov_b32 s13, 0
	s_lshl_b64 s[14:15], s[12:13], 2
	s_add_u32 s14, s6, s14
	s_mov_b32 s3, s13
	s_addc_u32 s15, s7, s15
	s_lshl_b64 s[12:13], s[2:3], 2
	s_add_u32 s12, s6, s12
	s_addc_u32 s13, s7, s13
	s_load_dword s5, s[14:15], 0x0
	s_load_dword s16, s[12:13], 0x0
	s_waitcnt lgkmcnt(0)
	s_sub_i32 s5, s5, s16
	s_cmp_eq_u32 s5, 1
	s_cselect_b64 s[12:13], -1, 0
	s_andn2_b64 vcc, exec, s[8:9]
	s_cbranch_vccnz .LBB1172_3
.LBB1172_2:
	s_mov_b32 s3, 0
	s_mov_b64 s[12:13], -1
.LBB1172_3:
	s_andn2_b64 vcc, exec, s[12:13]
	s_cbranch_vccnz .LBB1172_20
; %bb.4:
	s_load_dwordx2 s[8:9], s[0:1], 0x28
	s_lshl_b64 s[12:13], s[2:3], 2
	s_waitcnt lgkmcnt(0)
	s_add_u32 s8, s8, s12
	s_addc_u32 s9, s9, s13
	s_load_dword s29, s[8:9], 0x0
	s_lshl_b32 s16, s28, 8
	s_waitcnt lgkmcnt(0)
	s_cmp_ge_i32 s16, s29
	s_cbranch_scc1 .LBB1172_20
; %bb.5:
	s_load_dwordx2 s[8:9], s[0:1], 0x20
	s_load_dword s5, s[0:1], 0x38
	s_add_i32 s14, s29, 31
	s_ashr_i32 s15, s14, 31
	v_and_b32_e32 v1, 0xcf, v0
	s_lshr_b32 s15, s15, 27
	v_add_u32_e32 v1, s16, v1
	s_add_i32 s14, s14, s15
	v_ashrrev_i32_e32 v2, 31, v1
	s_ashr_i32 s17, s14, 5
	v_lshrrev_b32_e32 v4, 27, v2
	s_add_i32 s17, s17, -1
	s_waitcnt lgkmcnt(0)
	s_mul_i32 s14, s2, s5
	s_mov_b32 s15, 0
	v_add_u32_e32 v2, v1, v4
	s_lshl_b64 s[14:15], s[14:15], 2
	v_ashrrev_i32_e32 v2, 5, v2
	v_mov_b32_e32 v5, s17
	v_cmp_gt_i32_e32 vcc, s29, v1
	s_add_u32 s8, s8, s14
	s_addc_u32 s9, s9, s15
	v_cndmask_b32_e32 v2, v5, v2, vcc
	v_ashrrev_i32_e32 v3, 31, v2
	v_lshl_add_u64 v[6:7], v[2:3], 2, s[8:9]
	v_or_b32_e32 v2, 16, v1
	v_add_u32_e32 v3, v2, v4
	v_ashrrev_i32_e32 v3, 5, v3
	v_cmp_gt_i32_e32 vcc, s29, v2
	s_load_dwordx2 s[14:15], s[0:1], 0x8
	s_nop 0
	v_cndmask_b32_e32 v2, v5, v3, vcc
	v_ashrrev_i32_e32 v3, 31, v2
	v_lshl_add_u64 v[8:9], v[2:3], 2, s[8:9]
	v_or_b32_e32 v2, 32, v1
	v_add_u32_e32 v3, v2, v4
	v_ashrrev_i32_e32 v3, 5, v3
	v_cmp_gt_i32_e32 vcc, s29, v2
	v_or_b32_e32 v1, 48, v1
	s_nop 0
	v_cndmask_b32_e32 v2, v5, v3, vcc
	v_ashrrev_i32_e32 v3, 31, v2
	v_lshl_add_u64 v[10:11], v[2:3], 2, s[8:9]
	v_add_u32_e32 v2, v1, v4
	v_ashrrev_i32_e32 v2, 5, v2
	v_cmp_gt_i32_e32 vcc, s29, v1
	s_nop 1
	v_cndmask_b32_e32 v2, v5, v2, vcc
	v_ashrrev_i32_e32 v3, 31, v2
	v_lshl_add_u64 v[12:13], v[2:3], 2, s[8:9]
	global_load_dword v5, v[6:7], off
	global_load_dword v4, v[8:9], off
	;; [unrolled: 1-line block ×4, first 2 shown]
	s_andn2_b64 vcc, exec, s[10:11]
	s_cbranch_vccnz .LBB1172_8
; %bb.6:
	s_add_u32 s6, s6, s12
	s_addc_u32 s7, s7, s13
	s_load_dword s5, s[6:7], 0x0
	s_branch .LBB1172_9
.LBB1172_7:
	s_mov_b64 s[12:13], 0
	s_branch .LBB1172_2
.LBB1172_8:
	s_mov_b32 s5, s2
.LBB1172_9:
	s_load_dwordx2 s[10:11], s[0:1], 0x10
	s_load_dwordx4 s[44:47], s[0:1], 0x48
	v_lshrrev_b32_e32 v29, 6, v0
	v_bfe_u32 v42, v0, 4, 2
	v_lshl_or_b32 v6, v29, 2, v42
	v_and_b32_e32 v28, 15, v0
	v_lshlrev_b32_e32 v1, 3, v28
	v_cmp_gt_u32_e32 vcc, 5, v6
	v_cmp_gt_u32_e64 s[30:31], 8, v28
	s_mul_i32 s48, s4, 5
	s_and_b64 s[12:13], s[30:31], vcc
	v_lshlrev_b32_e32 v26, 1, v1
	v_lshlrev_b32_e32 v1, 4, v0
	s_and_saveexec_b64 s[6:7], s[12:13]
	s_cbranch_execz .LBB1172_11
; %bb.10:
	s_load_dwordx2 s[12:13], s[0:1], 0x0
	s_waitcnt lgkmcnt(0)
	s_ashr_i32 s18, s44, 31
	s_mul_hi_u32 s19, s5, s44
	s_mul_i32 s18, s5, s18
	s_add_i32 s19, s19, s18
	s_mul_i32 s18, s5, s44
	s_lshl_b64 s[18:19], s[18:19], 1
	s_add_u32 s12, s12, s18
	v_add_lshl_u32 v8, v6, s48, 6
	s_addc_u32 s13, s13, s19
	v_ashrrev_i32_e32 v9, 31, v8
	v_lshl_add_u64 v[8:9], v[8:9], 1, s[12:13]
	v_mov_b32_e32 v27, 0
	v_lshl_add_u64 v[8:9], v[8:9], 0, v[26:27]
	global_load_dwordx4 v[8:11], v[8:9], off
	v_lshlrev_b32_e32 v12, 8, v28
	v_lshlrev_b32_e32 v6, 5, v6
	v_and_b32_e32 v7, 16, v1
	v_and_b32_e32 v12, 0xe00, v12
	v_or3_b32 v6, v12, v6, v7
	s_waitcnt vmcnt(0)
	ds_write_b128 v6, v[8:11]
.LBB1172_11:
	s_or_b64 exec, exec, s[6:7]
	s_waitcnt lgkmcnt(0)
	s_mul_i32 s12, s4, s46
	s_add_u32 s4, s14, s12
	s_addc_u32 s5, s15, 0
	v_mov_b32_e32 v31, 0
	v_mov_b64_e32 v[6:7], s[4:5]
	v_lshlrev_b32_e32 v10, 4, v28
	v_and_b32_e32 v27, 48, v0
	s_waitcnt vmcnt(3)
	v_mad_i64_i32 v[8:9], s[4:5], v5, s45, v[6:7]
	v_mov_b32_e32 v11, v31
	s_waitcnt vmcnt(2)
	v_mad_i64_i32 v[4:5], s[4:5], v4, s45, v[6:7]
	v_or_b32_e32 v12, 0x100, v10
	v_mov_b32_e32 v13, v31
	v_lshlrev_b32_e32 v30, 5, v27
	v_lshl_add_u64 v[8:9], v[8:9], 0, v[10:11]
	v_lshl_add_u64 v[4:5], v[4:5], 0, v[12:13]
	;; [unrolled: 1-line block ×4, first 2 shown]
	s_barrier
	global_load_dwordx4 v[22:25], v[8:9], off
	global_load_dwordx4 v[18:21], v[4:5], off
	s_waitcnt vmcnt(3)
	v_mad_i64_i32 v[4:5], s[4:5], v3, s45, v[6:7]
	v_lshl_add_u64 v[4:5], v[4:5], 0, v[10:11]
	s_waitcnt vmcnt(2)
	v_mad_i64_i32 v[2:3], s[4:5], v2, s45, v[6:7]
	v_lshl_add_u64 v[4:5], v[4:5], 0, v[30:31]
	v_lshl_add_u64 v[2:3], v[2:3], 0, v[12:13]
	;; [unrolled: 1-line block ×3, first 2 shown]
	global_load_dwordx4 v[14:17], v[4:5], off
	global_load_dwordx4 v[6:9], v[2:3], off
	v_mul_lo_u16_e32 v2, 52, v28
	v_mov_b32_e32 v3, 5
	v_mul_lo_u16_sdwa v2, v2, v3 dst_sel:DWORD dst_unused:UNUSED_PAD src0_sel:BYTE_1 src1_sel:DWORD
	v_sub_u16_e32 v2, v28, v2
	v_lshlrev_b32_sdwa v2, v3, v2 dst_sel:DWORD dst_unused:UNUSED_PAD src0_sel:DWORD src1_sel:BYTE_0
	v_lshl_add_u32 v2, v42, 9, v2
	ds_read_b128 v[10:13], v2
	ds_read_b128 v[2:5], v2 offset:16
	v_and_b32_e32 v43, 63, v0
	v_cmp_gt_u32_e32 vcc, 5, v28
	v_mov_b32_e32 v44, 0
	s_and_saveexec_b64 s[4:5], vcc
	s_cbranch_execz .LBB1172_13
; %bb.12:
	s_load_dwordx2 s[6:7], s[0:1], 0x40
	v_add_u32_e32 v32, s48, v28
	v_ashrrev_i32_e32 v33, 31, v32
	s_waitcnt lgkmcnt(0)
	v_lshl_add_u64 v[32:33], v[32:33], 2, s[6:7]
	global_load_dword v44, v[32:33], off
.LBB1172_13:
	s_or_b64 exec, exec, s[4:5]
	s_ashr_i32 s4, s16, 31
	v_or_b32_e32 v45, s16, v27
	s_lshr_b32 s13, s4, 27
	v_add_u32_e32 v27, s13, v45
	v_ashrrev_i32_e32 v27, 5, v27
	s_waitcnt vmcnt(3)
	v_cvt_pk_f32_fp8_e32 v[34:35], v22
	v_cvt_pk_f32_fp8_sdwa v[36:37], v22 src0_sel:WORD_1
	s_waitcnt vmcnt(2)
	v_cvt_pk_f32_fp8_e32 v[56:57], v20
	v_cvt_pk_f32_fp8_sdwa v[58:59], v20 src0_sel:WORD_1
	v_mov_b32_e32 v20, s17
	v_cmp_gt_i32_e32 vcc, s29, v45
	v_cvt_pk_f32_fp8_e32 v[48:49], v18
	v_cvt_pk_f32_fp8_sdwa v[50:51], v18 src0_sel:WORD_1
	v_cndmask_b32_e32 v18, v20, v27, vcc
	v_cvt_pk_f32_fp8_e32 v[52:53], v19
	v_cvt_pk_f32_fp8_sdwa v[54:55], v19 src0_sel:WORD_1
	v_ashrrev_i32_e32 v19, 31, v18
	v_lshl_add_u64 v[18:19], v[18:19], 2, s[8:9]
	s_mov_b32 s33, 0x7060302
	v_cvt_pk_f32_fp8_e32 v[32:33], v23
	v_cvt_pk_f32_fp8_sdwa v[22:23], v23 src0_sel:WORD_1
	global_load_dword v70, v[18:19], off
	v_perm_b32 v18, v35, v34, s33
	v_perm_b32 v19, v37, v36, s33
	v_cvt_pk_f32_fp8_e32 v[60:61], v21
	v_cvt_pk_f32_fp8_sdwa v[62:63], v21 src0_sel:WORD_1
	v_or_b32_e32 v21, 64, v45
	v_or_b32_e32 v34, 0x80, v45
	;; [unrolled: 1-line block ×3, first 2 shown]
	v_cmp_gt_i32_e32 vcc, s29, v21
	v_add_u32_e32 v21, s13, v21
	v_cmp_gt_i32_e64 s[4:5], s29, v34
	v_add_u32_e32 v34, s13, v34
	v_cmp_gt_i32_e64 s[6:7], s29, v35
	v_add_u32_e32 v35, s13, v35
	v_cvt_pk_f32_fp8_e32 v[38:39], v24
	v_cvt_pk_f32_fp8_sdwa v[40:41], v24 src0_sel:WORD_1
	v_cvt_pk_f32_fp8_e32 v[46:47], v25
	v_ashrrev_i32_e32 v21, 5, v21
	v_ashrrev_i32_e32 v34, 5, v34
	;; [unrolled: 1-line block ×3, first 2 shown]
	v_perm_b32 v32, v33, v32, s33
	v_perm_b32 v33, v23, v22, s33
	;; [unrolled: 1-line block ×4, first 2 shown]
	v_cvt_pk_f32_fp8_sdwa v[24:25], v25 src0_sel:WORD_1
	v_cndmask_b32_e32 v36, v20, v21, vcc
	v_cndmask_b32_e64 v64, v20, v34, s[4:5]
	v_cndmask_b32_e64 v66, v20, v35, s[6:7]
	s_waitcnt lgkmcnt(1)
	v_mfma_f32_16x16x16_bf16 v[18:21], v[18:19], v[10:11], 0
	v_perm_b32 v38, v39, v38, s33
	v_perm_b32 v39, v41, v40, s33
	;; [unrolled: 1-line block ×5, first 2 shown]
	s_load_dword s14, s[0:1], 0x1c
	s_load_dwordx4 s[40:43], s[0:1], 0x80
	v_perm_b32 v69, v25, v24, s33
	v_mfma_f32_16x16x16_bf16 v[22:25], v[22:23], v[10:11], 0
	s_add_u32 s10, s10, s12
	v_and_b32_e32 v30, 16, v0
	v_lshlrev_b32_e32 v27, 5, v28
	v_mfma_f32_16x16x16_bf16 v[32:35], v[32:33], v[12:13], v[18:21]
	s_addc_u32 s11, s11, 0
	v_lshl_add_u64 v[40:41], s[10:11], 0, v[30:31]
	v_lshl_or_b32 v30, v29, 9, v27
	v_ashrrev_i32_e32 v37, 31, v36
	v_ashrrev_i32_e32 v65, 31, v64
	;; [unrolled: 1-line block ×3, first 2 shown]
	v_perm_b32 v48, v57, v56, s33
	v_perm_b32 v49, v59, v58, s33
	v_mfma_f32_16x16x16_bf16 v[20:23], v[46:47], v[12:13], v[22:25]
	v_lshl_add_u64 v[18:19], v[40:41], 0, v[30:31]
	s_waitcnt lgkmcnt(0)
	s_load_dword s6, s[40:41], 0x0
	v_perm_b32 v50, v61, v60, s33
	v_mfma_f32_16x16x16_bf16 v[30:33], v[38:39], v[2:3], v[32:35]
	v_lshl_add_u64 v[24:25], v[36:37], 2, s[8:9]
	v_lshl_add_u64 v[36:37], v[66:67], 2, s[8:9]
	v_perm_b32 v51, v63, v62, s33
	v_lshl_add_u64 v[34:35], v[64:65], 2, s[8:9]
	global_load_dword v47, v[24:25], off
	global_load_dword v45, v[34:35], off
	;; [unrolled: 1-line block ×3, first 2 shown]
	s_waitcnt vmcnt(5)
	v_cvt_pk_f32_fp8_e32 v[34:35], v14
	v_cvt_pk_f32_fp8_sdwa v[36:37], v14 src0_sel:WORD_1
	v_mfma_f32_16x16x16_bf16 v[20:23], v[48:49], v[2:3], v[20:23]
	v_cvt_pk_f32_fp8_e32 v[38:39], v15
	v_perm_b32 v34, v35, v34, s33
	v_perm_b32 v35, v37, v36, s33
	v_cvt_pk_f32_fp8_sdwa v[14:15], v15 src0_sel:WORD_1
	v_mov_b32_e32 v40, s14
	s_waitcnt lgkmcnt(0)
	v_mul_f32_e32 v48, s6, v40
	v_mfma_f32_16x16x16_bf16 v[20:23], v[50:51], v[4:5], v[20:23]
	v_perm_b32 v38, v39, v38, s33
	v_cvt_pk_f32_fp8_e32 v[40:41], v16
	v_cvt_pk_f32_fp8_sdwa v[50:51], v16 src0_sel:WORD_1
	v_perm_b32 v39, v15, v14, s33
	v_mfma_f32_16x16x16_bf16 v[34:37], v[34:35], v[10:11], 0
	v_perm_b32 v40, v41, v40, s33
	v_perm_b32 v41, v51, v50, s33
	v_cvt_pk_f32_fp8_e32 v[50:51], v17
	v_cvt_pk_f32_fp8_sdwa v[52:53], v17 src0_sel:WORD_1
	v_mfma_f32_16x16x16_bf16 v[30:33], v[68:69], v[4:5], v[30:33]
	s_mov_b32 s44, 0xff7fffff
	s_waitcnt vmcnt(3)
	v_mad_i64_i32 v[24:25], s[4:5], v70, s45, v[18:19]
	v_mfma_f32_16x16x16_bf16 v[14:17], v[38:39], v[12:13], v[34:37]
	s_nop 2
	v_perm_b32 v34, v51, v50, s33
	v_perm_b32 v35, v53, v52, s33
	v_mfma_f32_16x16x16_bf16 v[14:17], v[40:41], v[2:3], v[14:17]
	v_pk_mul_f32 v[38:39], v[48:49], v[30:31] op_sel_hi:[0,1]
	v_cvt_pk_f32_fp8_e32 v[30:31], v6
	v_cvt_pk_f32_fp8_sdwa v[36:37], v6 src0_sel:WORD_1
	v_mfma_f32_16x16x16_bf16 v[14:17], v[34:35], v[4:5], v[14:17]
	v_cvt_pk_f32_fp8_e32 v[34:35], v7
	v_perm_b32 v30, v31, v30, s33
	v_perm_b32 v31, v37, v36, s33
	v_cvt_pk_f32_fp8_sdwa v[6:7], v7 src0_sel:WORD_1
	v_perm_b32 v40, v35, v34, s33
	v_cvt_pk_f32_fp8_e32 v[50:51], v8
	v_cvt_pk_f32_fp8_sdwa v[52:53], v8 src0_sel:WORD_1
	v_perm_b32 v41, v7, v6, s33
	v_mfma_f32_16x16x16_bf16 v[34:37], v[30:31], v[10:11], 0
	v_perm_b32 v10, v51, v50, s33
	v_perm_b32 v11, v53, v52, s33
	v_cvt_pk_f32_fp8_e32 v[30:31], v9
	v_cvt_pk_f32_fp8_sdwa v[50:51], v9 src0_sel:WORD_1
	v_mfma_f32_16x16x16_bf16 v[6:9], v[40:41], v[12:13], v[34:37]
	v_pk_mul_f32 v[40:41], v[48:49], v[20:21] op_sel_hi:[0,1]
	v_perm_b32 v12, v31, v30, s33
	v_perm_b32 v13, v51, v50, s33
	v_mfma_f32_16x16x16_bf16 v[6:9], v[10:11], v[2:3], v[6:9]
	v_pk_mul_f32 v[36:37], v[48:49], v[22:23] op_sel_hi:[0,1]
	v_pk_mul_f32 v[32:33], v[48:49], v[32:33] op_sel_hi:[0,1]
	;; [unrolled: 1-line block ×3, first 2 shown]
	v_mfma_f32_16x16x16_bf16 v[2:5], v[12:13], v[4:5], v[6:9]
	v_pk_mul_f32 v[34:35], v[48:49], v[14:15] op_sel_hi:[0,1]
	s_nop 5
	v_pk_mul_f32 v[22:23], v[48:49], v[2:3] op_sel_hi:[0,1]
	v_and_b32_e32 v2, 0xc0, v0
	v_add_u32_e32 v2, s16, v2
	v_lshl_or_b32 v2, v42, 2, v2
	v_or_b32_e32 v3, 1, v2
	v_pk_mul_f32 v[20:21], v[48:49], v[4:5] op_sel_hi:[0,1]
	v_subrev_u32_e32 v4, s29, v3
	v_add_u32_e32 v6, 1, v4
	v_add_u32_e32 v7, 2, v4
	;; [unrolled: 1-line block ×3, first 2 shown]
	v_cvt_f32_i32_e32 v6, v6
	v_cvt_f32_i32_e32 v7, v7
	;; [unrolled: 1-line block ×3, first 2 shown]
	v_add_u32_e32 v9, 19, v4
	v_fmac_f32_e32 v39, v44, v6
	v_fma_f32 v32, v44, v7, v32
	v_fmac_f32_e32 v33, v44, v8
	v_add_u32_e32 v6, 16, v4
	v_add_u32_e32 v7, 17, v4
	;; [unrolled: 1-line block ×3, first 2 shown]
	v_cvt_f32_i32_e32 v6, v6
	v_cvt_f32_i32_e32 v7, v7
	;; [unrolled: 1-line block ×4, first 2 shown]
	v_fma_f32 v40, v44, v6, v40
	v_fmac_f32_e32 v41, v44, v7
	v_fma_f32 v36, v44, v8, v36
	v_add_u32_e32 v6, 32, v4
	v_add_u32_e32 v7, 33, v4
	;; [unrolled: 1-line block ×3, first 2 shown]
	v_cvt_f32_i32_e32 v6, v6
	v_cvt_f32_i32_e32 v7, v7
	;; [unrolled: 1-line block ×4, first 2 shown]
	v_fmac_f32_e32 v37, v44, v9
	v_add_u32_e32 v9, 35, v4
	v_fma_f32 v48, v44, v6, v34
	v_fmac_f32_e32 v35, v44, v7
	v_fma_f32 v30, v44, v8, v30
	v_add_u32_e32 v6, 48, v4
	v_add_u32_e32 v7, 49, v4
	;; [unrolled: 1-line block ×4, first 2 shown]
	v_cvt_f32_i32_e32 v4, v4
	v_cvt_f32_i32_e32 v6, v6
	;; [unrolled: 1-line block ×3, first 2 shown]
	v_fma_f32 v5, v44, v5, v38
	v_fmac_f32_e32 v21, v44, v4
	v_mov_b32_e32 v4, 0xff7fffff
	v_cmp_gt_i32_e64 s[4:5], s29, v2
	v_cmp_gt_i32_e64 s[34:35], s29, v3
	v_fma_f32 v22, v44, v6, v22
	v_cndmask_b32_e64 v6, v4, v5, s[4:5]
	v_cndmask_b32_e64 v3, v4, v39, s[34:35]
	v_fmac_f32_e32 v23, v44, v7
	v_max3_f32 v3, v6, s44, v3
	v_or_b32_e32 v6, 2, v2
	v_or_b32_e32 v7, 3, v2
	v_cmp_gt_i32_e64 s[36:37], s29, v6
	v_cmp_gt_i32_e64 s[38:39], s29, v7
	v_cvt_f32_i32_e32 v9, v9
	v_cndmask_b32_e64 v6, v4, v32, s[36:37]
	v_cndmask_b32_e64 v7, v4, v33, s[38:39]
	v_max3_f32 v3, v3, v6, v7
	v_or_b32_e32 v6, 16, v2
	v_or_b32_e32 v7, 17, v2
	v_cmp_gt_i32_e64 s[24:25], s29, v6
	v_cmp_gt_i32_e64 s[26:27], s29, v7
	v_fmac_f32_e32 v31, v44, v9
	v_cndmask_b32_e64 v6, v4, v40, s[24:25]
	v_cndmask_b32_e64 v7, v4, v41, s[26:27]
	v_max3_f32 v3, v3, v6, v7
	v_or_b32_e32 v6, 18, v2
	v_or_b32_e32 v7, 19, v2
	v_cmp_gt_i32_e64 s[20:21], s29, v6
	v_cmp_gt_i32_e64 s[22:23], s29, v7
	v_cvt_f32_i32_e32 v8, v8
	v_cndmask_b32_e64 v6, v4, v36, s[20:21]
	v_cndmask_b32_e64 v7, v4, v37, s[22:23]
	v_max3_f32 v3, v3, v6, v7
	v_or_b32_e32 v6, 32, v2
	v_or_b32_e32 v7, 33, v2
	v_cmp_gt_i32_e64 s[16:17], s29, v6
	v_cmp_gt_i32_e64 s[18:19], s29, v7
	v_fma_f32 v20, v44, v8, v20
	v_cndmask_b32_e64 v6, v4, v48, s[16:17]
	v_cndmask_b32_e64 v7, v4, v35, s[18:19]
	v_max3_f32 v3, v3, v6, v7
	v_or_b32_e32 v6, 34, v2
	v_or_b32_e32 v7, 35, v2
	v_cmp_gt_i32_e64 s[12:13], s29, v6
	v_cmp_gt_i32_e64 s[14:15], s29, v7
	s_nop 0
	v_cndmask_b32_e64 v6, v4, v30, s[12:13]
	v_cndmask_b32_e64 v7, v4, v31, s[14:15]
	v_max3_f32 v3, v3, v6, v7
	v_or_b32_e32 v6, 48, v2
	v_or_b32_e32 v7, 49, v2
	v_cmp_gt_i32_e64 s[8:9], s29, v6
	v_cmp_gt_i32_e64 s[10:11], s29, v7
	s_nop 0
	v_cndmask_b32_e64 v6, v4, v22, s[8:9]
	v_cndmask_b32_e64 v7, v4, v23, s[10:11]
	v_max3_f32 v3, v3, v6, v7
	v_or_b32_e32 v6, 50, v2
	v_or_b32_e32 v2, 51, v2
	v_cmp_gt_i32_e32 vcc, s29, v6
	v_cmp_gt_i32_e64 s[6:7], s29, v2
	s_nop 0
	v_cndmask_b32_e32 v6, v4, v20, vcc
	v_cndmask_b32_e64 v2, v4, v21, s[6:7]
	v_max3_f32 v4, v3, v6, v2
	v_mbcnt_lo_u32_b32 v2, -1, 0
	v_mbcnt_hi_u32_b32 v6, -1, v2
	v_and_b32_e32 v2, 64, v6
	v_add_u32_e32 v7, 64, v2
	v_xor_b32_e32 v2, 32, v6
	v_cmp_lt_i32_e64 s[40:41], v2, v7
	s_nop 1
	v_cndmask_b32_e64 v2, v6, v2, s[40:41]
	v_lshlrev_b32_e32 v44, 2, v2
	ds_bpermute_b32 v8, v44, v4
	s_waitcnt vmcnt(2)
	v_mad_i64_i32 v[2:3], s[40:41], v47, s45, v[18:19]
	global_load_dwordx4 v[14:17], v[24:25], off
	global_load_dwordx4 v[10:13], v[2:3], off
	v_xor_b32_e32 v3, 16, v6
	v_cmp_lt_i32_e64 s[40:41], v3, v7
	s_waitcnt lgkmcnt(0)
	v_max_f32_e32 v2, v8, v8
	v_max_f32_e32 v2, v4, v2
	v_cndmask_b32_e64 v3, v6, v3, s[40:41]
	v_lshlrev_b32_e32 v47, 2, v3
	ds_bpermute_b32 v3, v47, v2
	s_waitcnt vmcnt(3)
	v_mad_i64_i32 v[24:25], s[40:41], v45, s45, v[18:19]
	s_waitcnt vmcnt(2)
	v_mad_i64_i32 v[18:19], s[40:41], v46, s45, v[18:19]
	s_waitcnt lgkmcnt(0)
	v_max_f32_e32 v3, v3, v3
	v_max_f32_e32 v34, v2, v3
	v_sub_f32_e32 v2, v5, v34
	v_mul_f32_e32 v2, 0x3fb8aa3b, v2
	v_exp_f32_e32 v38, v2
	v_sub_f32_e32 v2, v39, v34
	v_mul_f32_e32 v2, 0x3fb8aa3b, v2
	v_exp_f32_e32 v39, v2
	global_load_dwordx4 v[6:9], v[24:25], off
	global_load_dwordx4 v[2:5], v[18:19], off
	v_sub_f32_e32 v25, v32, v34
	v_sub_f32_e32 v32, v33, v34
	v_mul_f32_e32 v25, 0x3fb8aa3b, v25
	v_mul_f32_e32 v32, 0x3fb8aa3b, v32
	v_exp_f32_e32 v25, v25
	v_exp_f32_e32 v32, v32
	v_cndmask_b32_e64 v18, 0, v38, s[4:5]
	v_cndmask_b32_e64 v19, 0, v39, s[34:35]
	;; [unrolled: 1-line block ×4, first 2 shown]
	v_sub_f32_e32 v25, v40, v34
	v_sub_f32_e32 v32, v41, v34
	v_mul_f32_e32 v25, 0x3fb8aa3b, v25
	v_mul_f32_e32 v32, 0x3fb8aa3b, v32
	v_exp_f32_e32 v25, v25
	v_exp_f32_e32 v32, v32
	v_add_f32_e32 v24, 0, v18
	v_add_f32_e32 v24, v24, v19
	;; [unrolled: 1-line block ×4, first 2 shown]
	v_cndmask_b32_e64 v24, 0, v25, s[24:25]
	v_cndmask_b32_e64 v25, 0, v32, s[26:27]
	v_sub_f32_e32 v32, v36, v34
	v_mul_f32_e32 v32, 0x3fb8aa3b, v32
	v_exp_f32_e32 v32, v32
	v_sub_f32_e32 v36, v37, v34
	v_add_f32_e32 v33, v33, v24
	v_mul_f32_e32 v36, 0x3fb8aa3b, v36
	v_exp_f32_e32 v37, v36
	v_add_f32_e32 v33, v33, v25
	v_cndmask_b32_e64 v36, 0, v32, s[20:21]
	v_add_f32_e32 v32, v33, v36
	v_sub_f32_e32 v33, v48, v34
	v_mul_f32_e32 v33, 0x3fb8aa3b, v33
	v_sub_f32_e32 v35, v35, v34
	v_exp_f32_e32 v33, v33
	v_mul_f32_e32 v35, 0x3fb8aa3b, v35
	v_sub_f32_e32 v30, v30, v34
	v_exp_f32_e32 v35, v35
	;; [unrolled: 3-line block ×3, first 2 shown]
	v_mul_f32_e32 v31, 0x3fb8aa3b, v31
	v_sub_f32_e32 v22, v22, v34
	v_cndmask_b32_e64 v37, 0, v37, s[22:23]
	v_exp_f32_e32 v31, v31
	v_mul_f32_e32 v22, 0x3fb8aa3b, v22
	v_sub_f32_e32 v23, v23, v34
	v_add_f32_e32 v40, v32, v37
	v_cndmask_b32_e64 v32, 0, v33, s[16:17]
	v_exp_f32_e32 v22, v22
	v_mul_f32_e32 v23, 0x3fb8aa3b, v23
	v_sub_f32_e32 v20, v20, v34
	v_add_f32_e32 v40, v40, v32
	;; [unrolled: 5-line block ×3, first 2 shown]
	v_cndmask_b32_e64 v30, 0, v30, s[12:13]
	v_exp_f32_e32 v20, v20
	v_mul_f32_e32 v21, 0x3fb8aa3b, v21
	v_add_f32_e32 v35, v35, v30
	v_cndmask_b32_e64 v31, 0, v31, s[14:15]
	v_exp_f32_e32 v21, v21
	v_add_f32_e32 v35, v35, v31
	v_cndmask_b32_e64 v22, 0, v22, s[8:9]
	v_add_f32_e32 v35, v35, v22
	v_cndmask_b32_e64 v23, 0, v23, s[10:11]
	v_add_f32_e32 v35, v35, v23
	v_cndmask_b32_e32 v20, 0, v20, vcc
	v_add_f32_e32 v35, v35, v20
	v_cndmask_b32_e64 v21, 0, v21, s[6:7]
	v_add_f32_e32 v35, v35, v21
	ds_bpermute_b32 v40, v44, v35
	s_load_dword s9, s[0:1], 0x98
	v_cmp_gt_u32_e64 s[6:7], 16, v43
	s_waitcnt lgkmcnt(0)
	s_barrier
	v_add_f32_e32 v40, v35, v40
	ds_bpermute_b32 v41, v47, v40
	v_lshlrev_b32_e32 v35, 2, v28
	s_waitcnt lgkmcnt(0)
	s_and_saveexec_b64 s[4:5], s[6:7]
	s_cbranch_execz .LBB1172_15
; %bb.14:
	v_add_f32_e32 v40, v40, v41
	v_lshl_or_b32 v41, v29, 6, v35
	ds_write2st64_b32 v41, v34, v40 offset1:1
.LBB1172_15:
	s_or_b64 exec, exec, s[4:5]
	s_load_dword s8, s[0:1], 0x94
	s_waitcnt lgkmcnt(0)
	s_barrier
	ds_read2_b32 v[40:41], v35 offset1:16
	ds_read2_b32 v[44:45], v35 offset0:32 offset1:48
	ds_read2_b32 v[46:47], v35 offset0:64 offset1:80
	s_movk_i32 s10, 0x7fff
	s_mul_i32 s9, s9, 5
	s_waitcnt lgkmcnt(2)
	v_max3_f32 v34, v40, s44, v41
	s_waitcnt lgkmcnt(1)
	v_max3_f32 v34, v34, v44, v45
	v_sub_f32_e32 v40, v40, v34
	v_mul_f32_e32 v40, 0x3fb8aa3b, v40
	v_exp_f32_e32 v43, v40
	v_sub_f32_e32 v40, v41, v34
	v_mul_f32_e32 v40, 0x3fb8aa3b, v40
	v_exp_f32_e32 v48, v40
	;; [unrolled: 3-line block ×3, first 2 shown]
	ds_read2_b32 v[40:41], v35 offset0:96 offset1:112
	v_sub_f32_e32 v35, v45, v34
	v_mul_f32_e32 v35, 0x3fb8aa3b, v35
	v_exp_f32_e32 v45, v35
	s_waitcnt lgkmcnt(1)
	v_fma_f32 v35, v43, v46, 0
	v_fmac_f32_e32 v35, v48, v47
	s_waitcnt lgkmcnt(0)
	v_fmac_f32_e32 v35, v44, v40
	v_fmac_f32_e32 v35, v45, v41
	v_add_f32_e32 v40, 0x358637bd, v35
	v_div_scale_f32 v41, s[4:5], v40, v40, 1.0
	v_rcp_f32_e32 v46, v41
	s_barrier
	v_fma_f32 v47, -v41, v46, 1.0
	v_fmac_f32_e32 v46, v47, v46
	v_div_scale_f32 v47, vcc, 1.0, v40, 1.0
	v_mul_f32_e32 v49, v47, v46
	v_fma_f32 v50, -v41, v49, v47
	v_fmac_f32_e32 v49, v50, v46
	v_fma_f32 v41, -v41, v49, v47
	v_div_fmas_f32 v41, v41, v46, v49
	v_cmp_eq_u32_e32 vcc, 1, v29
	v_div_fixup_f32 v40, v41, v40, 1.0
	s_nop 0
	v_cndmask_b32_e32 v41, v43, v48, vcc
	v_cmp_eq_u32_e32 vcc, 2, v29
	s_nop 1
	v_cndmask_b32_e32 v41, v41, v44, vcc
	v_cmp_eq_u32_e32 vcc, 3, v29
	s_nop 1
	v_cndmask_b32_e32 v41, v41, v45, vcc
	v_mul_f32_e32 v40, v41, v40
	v_pk_mul_f32 v[18:19], v[40:41], v[18:19] op_sel_hi:[0,1]
	v_pk_mul_f32 v[38:39], v[40:41], v[38:39] op_sel_hi:[0,1]
	v_bfe_u32 v41, v19, 16, 1
	v_bfe_u32 v43, v18, 16, 1
	v_add3_u32 v18, v18, v43, s10
	v_add3_u32 v19, v19, v41, s10
	v_perm_b32 v44, v19, v18, s33
	v_bfe_u32 v18, v39, 16, 1
	v_bfe_u32 v19, v38, 16, 1
	v_add3_u32 v19, v38, v19, s10
	v_add3_u32 v18, v39, v18, s10
	v_perm_b32 v45, v18, v19, s33
	v_lshlrev_b32_e32 v18, 3, v42
	v_lshlrev_b32_e32 v19, 11, v29
	v_pk_mul_f32 v[24:25], v[40:41], v[24:25] op_sel_hi:[0,1]
	v_or3_b32 v18, v19, v27, v18
	v_bfe_u32 v19, v25, 16, 1
	v_bfe_u32 v29, v24, 16, 1
	v_pk_mul_f32 v[36:37], v[40:41], v[36:37] op_sel_hi:[0,1]
	v_add3_u32 v24, v24, v29, s10
	v_add3_u32 v19, v25, v19, s10
	v_perm_b32 v24, v19, v24, s33
	v_bfe_u32 v19, v37, 16, 1
	v_bfe_u32 v25, v36, 16, 1
	v_add3_u32 v25, v36, v25, s10
	v_add3_u32 v19, v37, v19, s10
	v_perm_b32 v25, v19, v25, s33
	ds_write2st64_b64 v18, v[44:45], v[24:25] offset1:1
	v_pk_mul_f32 v[24:25], v[40:41], v[30:31] op_sel_hi:[0,1]
	v_pk_mul_f32 v[30:31], v[40:41], v[32:33] op_sel_hi:[0,1]
	v_bfe_u32 v19, v31, 16, 1
	v_bfe_u32 v29, v30, 16, 1
	v_add3_u32 v29, v30, v29, s10
	v_add3_u32 v19, v31, v19, s10
	v_perm_b32 v30, v19, v29, s33
	v_bfe_u32 v19, v25, 16, 1
	v_bfe_u32 v29, v24, 16, 1
	v_add3_u32 v24, v24, v29, s10
	v_add3_u32 v19, v25, v19, s10
	v_pk_mul_f32 v[22:23], v[40:41], v[22:23] op_sel_hi:[0,1]
	v_perm_b32 v31, v19, v24, s33
	v_bfe_u32 v19, v23, 16, 1
	v_bfe_u32 v24, v22, 16, 1
	v_pk_mul_f32 v[20:21], v[40:41], v[20:21] op_sel_hi:[0,1]
	v_add3_u32 v22, v22, v24, s10
	v_add3_u32 v19, v23, v19, s10
	v_perm_b32 v22, v19, v22, s33
	v_bfe_u32 v19, v21, 16, 1
	v_bfe_u32 v23, v20, 16, 1
	v_add3_u32 v20, v20, v23, s10
	v_add3_u32 v19, v21, v19, s10
	v_perm_b32 v23, v19, v20, s33
	v_cmp_gt_u32_e32 vcc, 5, v0
	ds_write2st64_b64 v18, v[30:31], v[22:23] offset0:2 offset1:3
	s_and_saveexec_b64 s[4:5], vcc
	s_cbranch_execz .LBB1172_17
; %bb.16:
	s_mov_b32 s49, 0
	v_mov_b32_e32 v29, 0
	v_lshl_add_u64 v[20:21], s[48:49], 0, v[28:29]
	v_mov_b32_e32 v19, s9
	v_mad_u64_u32 v[20:21], s[16:17], s2, v19, v[20:21]
	s_mul_i32 s3, s3, s9
	v_mov_b32_e32 v28, s28
	s_load_dwordx4 s[12:15], s[0:1], 0x58
	v_add_u32_e32 v19, s3, v21
	v_mad_u64_u32 v[20:21], s[16:17], v20, s8, v[28:29]
	v_mov_b32_e32 v22, v21
	v_mad_u64_u32 v[22:23], s[16:17], v19, s8, v[22:23]
	v_mov_b32_e32 v21, v22
	v_lshlrev_b64 v[20:21], 2, v[20:21]
	s_waitcnt lgkmcnt(0)
	v_lshl_add_u64 v[22:23], s[14:15], 0, v[20:21]
	v_lshl_add_u64 v[20:21], s[12:13], 0, v[20:21]
	global_store_dword v[22:23], v34, off
	global_store_dword v[20:21], v35, off
.LBB1172_17:
	s_or_b64 exec, exec, s[4:5]
	s_waitcnt vmcnt(3)
	v_cvt_pk_f32_fp8_e32 v[20:21], v14
	v_cvt_pk_f32_fp8_sdwa v[22:23], v14 src0_sel:WORD_1
	s_mov_b32 s4, 0x7060302
	v_lshl_or_b32 v14, v42, 9, v27
	s_waitcnt lgkmcnt(0)
	s_barrier
	v_perm_b32 v24, v21, v20, s4
	v_perm_b32 v25, v23, v22, s4
	v_cvt_pk_f32_fp8_e32 v[28:29], v15
	ds_read_b128 v[20:23], v14
	v_cvt_pk_f32_fp8_sdwa v[36:37], v15 src0_sel:WORD_1
	s_load_dword s12, s[42:43], 0x0
	v_perm_b32 v38, v29, v28, s4
	ds_read_b128 v[28:31], v14 offset:16
	v_perm_b32 v39, v37, v36, s4
	s_waitcnt lgkmcnt(0)
	v_mfma_f32_16x16x16_bf16 v[32:35], v[24:25], v[20:21], 0
	v_cvt_pk_f32_fp8_e32 v[24:25], v16
	v_cvt_pk_f32_fp8_sdwa v[36:37], v16 src0_sel:WORD_1
	v_cmp_gt_u32_e32 vcc, 64, v0
	v_mfma_f32_16x16x16_bf16 v[20:23], v[38:39], v[22:23], v[32:35]
	v_perm_b32 v24, v25, v24, s4
	v_perm_b32 v25, v37, v36, s4
	s_mov_b32 s3, 0
	v_cvt_pk_f32_fp8_e32 v[32:33], v17
	v_cvt_pk_f32_fp8_sdwa v[16:17], v17 src0_sel:WORD_1
	s_waitcnt vmcnt(2)
	v_cvt_pk_f32_fp8_sdwa v[34:35], v10 src0_sel:WORD_1
	v_mfma_f32_16x16x16_bf16 v[20:23], v[24:25], v[28:29], v[20:23]
	v_perm_b32 v36, v33, v32, s4
	v_cvt_pk_f32_fp8_e32 v[32:33], v10
	v_perm_b32 v37, v17, v16, s4
	v_perm_b32 v17, v35, v34, s4
	v_cvt_pk_f32_fp8_e32 v[24:25], v11
	v_perm_b32 v16, v33, v32, s4
	ds_read_b128 v[32:35], v14 offset:2048
	v_cvt_pk_f32_fp8_sdwa v[10:11], v11 src0_sel:WORD_1
	v_mfma_f32_16x16x16_bf16 v[20:23], v[36:37], v[30:31], v[20:23]
	ds_read_b128 v[28:31], v14 offset:2064
	v_perm_b32 v24, v25, v24, s4
	v_perm_b32 v25, v11, v10, s4
	s_waitcnt lgkmcnt(1)
	v_mfma_f32_16x16x16_bf16 v[20:23], v[16:17], v[32:33], v[20:23]
	v_cvt_pk_f32_fp8_e32 v[10:11], v12
	v_cvt_pk_f32_fp8_sdwa v[16:17], v12 src0_sel:WORD_1
	s_waitcnt vmcnt(1)
	v_cvt_pk_f32_fp8_sdwa v[32:33], v6 src0_sel:WORD_1
	v_mfma_f32_16x16x16_bf16 v[20:23], v[24:25], v[34:35], v[20:23]
	v_cvt_pk_f32_fp8_e32 v[24:25], v13
	v_perm_b32 v10, v11, v10, s4
	v_perm_b32 v11, v17, v16, s4
	v_cvt_pk_f32_fp8_sdwa v[12:13], v13 src0_sel:WORD_1
	v_perm_b32 v16, v25, v24, s4
	v_cvt_pk_f32_fp8_e32 v[24:25], v6
	v_mov_b32_e32 v27, 0
	v_perm_b32 v17, v13, v12, s4
	s_waitcnt lgkmcnt(0)
	v_mfma_f32_16x16x16_bf16 v[10:13], v[10:11], v[28:29], v[20:23]
	v_perm_b32 v24, v25, v24, s4
	v_perm_b32 v25, v33, v32, s4
	v_cvt_pk_f32_fp8_e32 v[28:29], v7
	ds_read_b128 v[20:23], v14 offset:4096
	v_cvt_pk_f32_fp8_sdwa v[6:7], v7 src0_sel:WORD_1
	v_mfma_f32_16x16x16_bf16 v[10:13], v[16:17], v[30:31], v[10:13]
	v_perm_b32 v16, v29, v28, s4
	ds_read_b128 v[28:31], v14 offset:4112
	v_perm_b32 v17, v7, v6, s4
	s_waitcnt lgkmcnt(1)
	v_mfma_f32_16x16x16_bf16 v[10:13], v[24:25], v[20:21], v[10:13]
	v_cvt_pk_f32_fp8_e32 v[6:7], v8
	v_cvt_pk_f32_fp8_sdwa v[20:21], v8 src0_sel:WORD_1
	v_perm_b32 v6, v7, v6, s4
	v_mfma_f32_16x16x16_bf16 v[10:13], v[16:17], v[22:23], v[10:13]
	v_cvt_pk_f32_fp8_e32 v[16:17], v9
	v_perm_b32 v7, v21, v20, s4
	v_cvt_pk_f32_fp8_sdwa v[8:9], v9 src0_sel:WORD_1
	s_waitcnt vmcnt(0)
	v_cvt_pk_f32_fp8_e32 v[20:21], v2
	v_perm_b32 v16, v17, v16, s4
	v_cvt_pk_f32_fp8_sdwa v[22:23], v2 src0_sel:WORD_1
	v_perm_b32 v17, v9, v8, s4
	s_waitcnt lgkmcnt(0)
	v_mfma_f32_16x16x16_bf16 v[6:9], v[6:7], v[28:29], v[10:13]
	v_perm_b32 v20, v21, v20, s4
	v_perm_b32 v21, v23, v22, s4
	v_cvt_pk_f32_fp8_e32 v[22:23], v3
	ds_read_b128 v[10:13], v14 offset:6144
	v_cvt_pk_f32_fp8_sdwa v[2:3], v3 src0_sel:WORD_1
	v_mfma_f32_16x16x16_bf16 v[6:9], v[16:17], v[30:31], v[6:9]
	v_perm_b32 v22, v23, v22, s4
	ds_read_b128 v[14:17], v14 offset:6160
	v_perm_b32 v23, v3, v2, s4
	s_waitcnt lgkmcnt(1)
	v_mfma_f32_16x16x16_bf16 v[6:9], v[20:21], v[10:11], v[6:9]
	v_cvt_pk_f32_fp8_e32 v[2:3], v4
	v_cvt_pk_f32_fp8_sdwa v[10:11], v4 src0_sel:WORD_1
	s_waitcnt lgkmcnt(0)
	v_mfma_f32_16x16x16_bf16 v[6:9], v[22:23], v[12:13], v[6:9]
	v_perm_b32 v2, v3, v2, s4
	v_perm_b32 v3, v11, v10, s4
	v_cvt_pk_f32_fp8_e32 v[10:11], v5
	v_cvt_pk_f32_fp8_sdwa v[4:5], v5 src0_sel:WORD_1
	s_barrier
	v_perm_b32 v10, v11, v10, s4
	v_perm_b32 v11, v5, v4, s4
	v_mfma_f32_16x16x16_bf16 v[2:5], v[2:3], v[14:15], v[6:9]
	s_nop 0
	v_mfma_f32_16x16x16_bf16 v[2:5], v[10:11], v[16:17], v[2:5]
	s_nop 6
	v_pk_mul_f32 v[2:3], v[2:3], s[12:13] op_sel_hi:[1,0]
	v_pk_mul_f32 v[4:5], v[4:5], s[12:13] op_sel_hi:[1,0]
	v_bfe_u32 v6, v3, 16, 1
	v_bfe_u32 v7, v2, 16, 1
	v_add3_u32 v2, v2, v7, s10
	v_add3_u32 v3, v3, v6, s10
	v_perm_b32 v2, v3, v2, s4
	v_bfe_u32 v3, v5, 16, 1
	v_bfe_u32 v6, v4, 16, 1
	v_add3_u32 v4, v4, v6, s10
	v_add3_u32 v3, v5, v3, s10
	v_perm_b32 v3, v3, v4, s4
	s_and_b64 s[4:5], vcc, s[30:31]
	ds_write_b64 v18, v[2:3]
	s_waitcnt lgkmcnt(0)
	s_barrier
	s_and_saveexec_b64 s[10:11], s[4:5]
	s_cbranch_execz .LBB1172_20
; %bb.18:
	s_load_dwordx2 s[4:5], s[0:1], 0x68
	s_lshl_b32 s0, s8, 6
	s_mul_i32 s1, s9, s2
	s_mul_hi_u32 s9, s1, s0
	s_mul_i32 s8, s1, s0
	v_lshlrev_b32_e32 v0, 10, v0
	s_lshl_b64 s[8:9], s[8:9], 1
	v_and_b32_e32 v0, 0x1800, v0
	v_lshlrev_b32_e32 v2, 5, v42
	v_and_b32_e32 v1, 16, v1
	s_waitcnt lgkmcnt(0)
	s_add_u32 s1, s4, s8
	v_or3_b32 v2, v0, v2, v1
	s_addc_u32 s4, s5, s9
	s_lshl_b32 s2, s28, 6
	s_lshl_b64 s[2:3], s[2:3], 1
	ds_read_b128 v[4:7], v2
	s_add_u32 s2, s1, s2
	s_addc_u32 s3, s4, s3
	v_add_u32_e32 v3, s48, v42
	v_lshl_add_u64 v[0:1], s[2:3], 0, v[26:27]
	v_mad_u64_u32 v[8:9], s[2:3], v3, s0, 0
	v_lshl_add_u64 v[8:9], v[8:9], 1, v[0:1]
	s_waitcnt lgkmcnt(0)
	global_store_dwordx4 v[8:9], v[4:7], off
	s_and_b64 exec, exec, s[6:7]
	s_cbranch_execz .LBB1172_20
; %bb.19:
	ds_read_b128 v[2:5], v2 offset:128
	v_add3_u32 v6, s48, v42, 4
	v_mad_u64_u32 v[6:7], s[0:1], v6, s0, 0
	v_lshl_add_u64 v[0:1], v[6:7], 1, v[0:1]
	s_waitcnt lgkmcnt(0)
	global_store_dwordx4 v[0:1], v[2:5], off
.LBB1172_20:
	s_endpgm
	.section	.rodata,"a",@progbits
	.p2align	6, 0x0
	.amdhsa_kernel _Z39paged_attention_ll4mi_QKV_mfma16_kernelI14__hip_bfloat16hLN4vllm18Fp8KVCacheDataTypeE1EhLi32ELi64ELi256ELb1ELi5EEvPKT_PKT0_S8_ifPKiSA_SA_iPKfiiiPfSD_PS3_PT2_iSC_SC_
		.amdhsa_group_segment_fixed_size 8192
		.amdhsa_private_segment_fixed_size 0
		.amdhsa_kernarg_size 400
		.amdhsa_user_sgpr_count 2
		.amdhsa_user_sgpr_dispatch_ptr 0
		.amdhsa_user_sgpr_queue_ptr 0
		.amdhsa_user_sgpr_kernarg_segment_ptr 1
		.amdhsa_user_sgpr_dispatch_id 0
		.amdhsa_user_sgpr_kernarg_preload_length 0
		.amdhsa_user_sgpr_kernarg_preload_offset 0
		.amdhsa_user_sgpr_private_segment_size 0
		.amdhsa_uses_dynamic_stack 0
		.amdhsa_enable_private_segment 0
		.amdhsa_system_sgpr_workgroup_id_x 1
		.amdhsa_system_sgpr_workgroup_id_y 1
		.amdhsa_system_sgpr_workgroup_id_z 1
		.amdhsa_system_sgpr_workgroup_info 0
		.amdhsa_system_vgpr_workitem_id 0
		.amdhsa_next_free_vgpr 71
		.amdhsa_next_free_sgpr 50
		.amdhsa_accum_offset 72
		.amdhsa_reserve_vcc 1
		.amdhsa_float_round_mode_32 0
		.amdhsa_float_round_mode_16_64 0
		.amdhsa_float_denorm_mode_32 3
		.amdhsa_float_denorm_mode_16_64 3
		.amdhsa_dx10_clamp 1
		.amdhsa_ieee_mode 1
		.amdhsa_fp16_overflow 0
		.amdhsa_tg_split 0
		.amdhsa_exception_fp_ieee_invalid_op 0
		.amdhsa_exception_fp_denorm_src 0
		.amdhsa_exception_fp_ieee_div_zero 0
		.amdhsa_exception_fp_ieee_overflow 0
		.amdhsa_exception_fp_ieee_underflow 0
		.amdhsa_exception_fp_ieee_inexact 0
		.amdhsa_exception_int_div_zero 0
	.end_amdhsa_kernel
	.section	.text._Z39paged_attention_ll4mi_QKV_mfma16_kernelI14__hip_bfloat16hLN4vllm18Fp8KVCacheDataTypeE1EhLi32ELi64ELi256ELb1ELi5EEvPKT_PKT0_S8_ifPKiSA_SA_iPKfiiiPfSD_PS3_PT2_iSC_SC_,"axG",@progbits,_Z39paged_attention_ll4mi_QKV_mfma16_kernelI14__hip_bfloat16hLN4vllm18Fp8KVCacheDataTypeE1EhLi32ELi64ELi256ELb1ELi5EEvPKT_PKT0_S8_ifPKiSA_SA_iPKfiiiPfSD_PS3_PT2_iSC_SC_,comdat
.Lfunc_end1172:
	.size	_Z39paged_attention_ll4mi_QKV_mfma16_kernelI14__hip_bfloat16hLN4vllm18Fp8KVCacheDataTypeE1EhLi32ELi64ELi256ELb1ELi5EEvPKT_PKT0_S8_ifPKiSA_SA_iPKfiiiPfSD_PS3_PT2_iSC_SC_, .Lfunc_end1172-_Z39paged_attention_ll4mi_QKV_mfma16_kernelI14__hip_bfloat16hLN4vllm18Fp8KVCacheDataTypeE1EhLi32ELi64ELi256ELb1ELi5EEvPKT_PKT0_S8_ifPKiSA_SA_iPKfiiiPfSD_PS3_PT2_iSC_SC_
                                        ; -- End function
	.section	.AMDGPU.csdata,"",@progbits
; Kernel info:
; codeLenInByte = 5212
; NumSgprs: 56
; NumVgprs: 71
; NumAgprs: 0
; TotalNumVgprs: 71
; ScratchSize: 0
; MemoryBound: 0
; FloatMode: 240
; IeeeMode: 1
; LDSByteSize: 8192 bytes/workgroup (compile time only)
; SGPRBlocks: 6
; VGPRBlocks: 8
; NumSGPRsForWavesPerEU: 56
; NumVGPRsForWavesPerEU: 71
; AccumOffset: 72
; Occupancy: 7
; WaveLimiterHint : 1
; COMPUTE_PGM_RSRC2:SCRATCH_EN: 0
; COMPUTE_PGM_RSRC2:USER_SGPR: 2
; COMPUTE_PGM_RSRC2:TRAP_HANDLER: 0
; COMPUTE_PGM_RSRC2:TGID_X_EN: 1
; COMPUTE_PGM_RSRC2:TGID_Y_EN: 1
; COMPUTE_PGM_RSRC2:TGID_Z_EN: 1
; COMPUTE_PGM_RSRC2:TIDIG_COMP_CNT: 0
; COMPUTE_PGM_RSRC3_GFX90A:ACCUM_OFFSET: 17
; COMPUTE_PGM_RSRC3_GFX90A:TG_SPLIT: 0
	.section	.text._Z39paged_attention_ll4mi_QKV_mfma16_kernelI14__hip_bfloat16hLN4vllm18Fp8KVCacheDataTypeE1EhLi32ELi64ELi256ELb1ELi6EEvPKT_PKT0_S8_ifPKiSA_SA_iPKfiiiPfSD_PS3_PT2_iSC_SC_,"axG",@progbits,_Z39paged_attention_ll4mi_QKV_mfma16_kernelI14__hip_bfloat16hLN4vllm18Fp8KVCacheDataTypeE1EhLi32ELi64ELi256ELb1ELi6EEvPKT_PKT0_S8_ifPKiSA_SA_iPKfiiiPfSD_PS3_PT2_iSC_SC_,comdat
	.protected	_Z39paged_attention_ll4mi_QKV_mfma16_kernelI14__hip_bfloat16hLN4vllm18Fp8KVCacheDataTypeE1EhLi32ELi64ELi256ELb1ELi6EEvPKT_PKT0_S8_ifPKiSA_SA_iPKfiiiPfSD_PS3_PT2_iSC_SC_ ; -- Begin function _Z39paged_attention_ll4mi_QKV_mfma16_kernelI14__hip_bfloat16hLN4vllm18Fp8KVCacheDataTypeE1EhLi32ELi64ELi256ELb1ELi6EEvPKT_PKT0_S8_ifPKiSA_SA_iPKfiiiPfSD_PS3_PT2_iSC_SC_
	.globl	_Z39paged_attention_ll4mi_QKV_mfma16_kernelI14__hip_bfloat16hLN4vllm18Fp8KVCacheDataTypeE1EhLi32ELi64ELi256ELb1ELi6EEvPKT_PKT0_S8_ifPKiSA_SA_iPKfiiiPfSD_PS3_PT2_iSC_SC_
	.p2align	8
	.type	_Z39paged_attention_ll4mi_QKV_mfma16_kernelI14__hip_bfloat16hLN4vllm18Fp8KVCacheDataTypeE1EhLi32ELi64ELi256ELb1ELi6EEvPKT_PKT0_S8_ifPKiSA_SA_iPKfiiiPfSD_PS3_PT2_iSC_SC_,@function
_Z39paged_attention_ll4mi_QKV_mfma16_kernelI14__hip_bfloat16hLN4vllm18Fp8KVCacheDataTypeE1EhLi32ELi64ELi256ELb1ELi6EEvPKT_PKT0_S8_ifPKiSA_SA_iPKfiiiPfSD_PS3_PT2_iSC_SC_: ; @_Z39paged_attention_ll4mi_QKV_mfma16_kernelI14__hip_bfloat16hLN4vllm18Fp8KVCacheDataTypeE1EhLi32ELi64ELi256ELb1ELi6EEvPKT_PKT0_S8_ifPKiSA_SA_iPKfiiiPfSD_PS3_PT2_iSC_SC_
; %bb.0:
	s_load_dwordx2 s[6:7], s[0:1], 0x30
	s_mov_b32 s28, s3
	s_mov_b64 s[8:9], 0
	s_waitcnt lgkmcnt(0)
	s_cmp_lg_u64 s[6:7], 0
	s_cselect_b64 s[10:11], -1, 0
	s_and_b64 vcc, exec, s[10:11]
	s_cbranch_vccz .LBB1173_7
; %bb.1:
	s_add_i32 s12, s2, 1
	s_mov_b32 s13, 0
	s_lshl_b64 s[14:15], s[12:13], 2
	s_add_u32 s14, s6, s14
	s_mov_b32 s3, s13
	s_addc_u32 s15, s7, s15
	s_lshl_b64 s[12:13], s[2:3], 2
	s_add_u32 s12, s6, s12
	s_addc_u32 s13, s7, s13
	s_load_dword s5, s[14:15], 0x0
	s_load_dword s16, s[12:13], 0x0
	s_waitcnt lgkmcnt(0)
	s_sub_i32 s5, s5, s16
	s_cmp_eq_u32 s5, 1
	s_cselect_b64 s[12:13], -1, 0
	s_andn2_b64 vcc, exec, s[8:9]
	s_cbranch_vccnz .LBB1173_3
.LBB1173_2:
	s_mov_b32 s3, 0
	s_mov_b64 s[12:13], -1
.LBB1173_3:
	s_andn2_b64 vcc, exec, s[12:13]
	s_cbranch_vccnz .LBB1173_20
; %bb.4:
	s_load_dwordx2 s[8:9], s[0:1], 0x28
	s_lshl_b64 s[12:13], s[2:3], 2
	s_waitcnt lgkmcnt(0)
	s_add_u32 s8, s8, s12
	s_addc_u32 s9, s9, s13
	s_load_dword s29, s[8:9], 0x0
	s_lshl_b32 s16, s28, 8
	s_waitcnt lgkmcnt(0)
	s_cmp_ge_i32 s16, s29
	s_cbranch_scc1 .LBB1173_20
; %bb.5:
	s_load_dwordx2 s[8:9], s[0:1], 0x20
	s_load_dword s5, s[0:1], 0x38
	s_add_i32 s14, s29, 31
	s_ashr_i32 s15, s14, 31
	v_and_b32_e32 v1, 0xcf, v0
	s_lshr_b32 s15, s15, 27
	v_add_u32_e32 v1, s16, v1
	s_add_i32 s14, s14, s15
	v_ashrrev_i32_e32 v2, 31, v1
	s_ashr_i32 s17, s14, 5
	v_lshrrev_b32_e32 v4, 27, v2
	s_add_i32 s17, s17, -1
	s_waitcnt lgkmcnt(0)
	s_mul_i32 s14, s2, s5
	s_mov_b32 s15, 0
	v_add_u32_e32 v2, v1, v4
	s_lshl_b64 s[14:15], s[14:15], 2
	v_ashrrev_i32_e32 v2, 5, v2
	v_mov_b32_e32 v5, s17
	v_cmp_gt_i32_e32 vcc, s29, v1
	s_add_u32 s8, s8, s14
	s_addc_u32 s9, s9, s15
	v_cndmask_b32_e32 v2, v5, v2, vcc
	v_ashrrev_i32_e32 v3, 31, v2
	v_lshl_add_u64 v[6:7], v[2:3], 2, s[8:9]
	v_or_b32_e32 v2, 16, v1
	v_add_u32_e32 v3, v2, v4
	v_ashrrev_i32_e32 v3, 5, v3
	v_cmp_gt_i32_e32 vcc, s29, v2
	s_load_dwordx2 s[14:15], s[0:1], 0x8
	s_nop 0
	v_cndmask_b32_e32 v2, v5, v3, vcc
	v_ashrrev_i32_e32 v3, 31, v2
	v_lshl_add_u64 v[8:9], v[2:3], 2, s[8:9]
	v_or_b32_e32 v2, 32, v1
	v_add_u32_e32 v3, v2, v4
	v_ashrrev_i32_e32 v3, 5, v3
	v_cmp_gt_i32_e32 vcc, s29, v2
	v_or_b32_e32 v1, 48, v1
	s_nop 0
	v_cndmask_b32_e32 v2, v5, v3, vcc
	v_ashrrev_i32_e32 v3, 31, v2
	v_lshl_add_u64 v[10:11], v[2:3], 2, s[8:9]
	v_add_u32_e32 v2, v1, v4
	v_ashrrev_i32_e32 v2, 5, v2
	v_cmp_gt_i32_e32 vcc, s29, v1
	s_nop 1
	v_cndmask_b32_e32 v2, v5, v2, vcc
	v_ashrrev_i32_e32 v3, 31, v2
	v_lshl_add_u64 v[12:13], v[2:3], 2, s[8:9]
	global_load_dword v5, v[6:7], off
	global_load_dword v4, v[8:9], off
	;; [unrolled: 1-line block ×4, first 2 shown]
	s_andn2_b64 vcc, exec, s[10:11]
	s_cbranch_vccnz .LBB1173_8
; %bb.6:
	s_add_u32 s6, s6, s12
	s_addc_u32 s7, s7, s13
	s_load_dword s5, s[6:7], 0x0
	s_branch .LBB1173_9
.LBB1173_7:
	s_mov_b64 s[12:13], 0
	s_branch .LBB1173_2
.LBB1173_8:
	s_mov_b32 s5, s2
.LBB1173_9:
	s_load_dwordx2 s[10:11], s[0:1], 0x10
	s_load_dwordx4 s[44:47], s[0:1], 0x48
	v_lshrrev_b32_e32 v29, 6, v0
	v_bfe_u32 v42, v0, 4, 2
	v_lshl_or_b32 v6, v29, 2, v42
	v_and_b32_e32 v28, 15, v0
	v_lshlrev_b32_e32 v1, 3, v28
	v_cmp_gt_u32_e32 vcc, 6, v6
	v_cmp_gt_u32_e64 s[30:31], 8, v28
	s_mul_i32 s48, s4, 6
	s_and_b64 s[12:13], s[30:31], vcc
	v_lshlrev_b32_e32 v26, 1, v1
	v_lshlrev_b32_e32 v1, 4, v0
	s_and_saveexec_b64 s[6:7], s[12:13]
	s_cbranch_execz .LBB1173_11
; %bb.10:
	s_load_dwordx2 s[12:13], s[0:1], 0x0
	s_waitcnt lgkmcnt(0)
	s_ashr_i32 s18, s44, 31
	s_mul_hi_u32 s19, s5, s44
	s_mul_i32 s18, s5, s18
	s_add_i32 s19, s19, s18
	s_mul_i32 s18, s5, s44
	s_lshl_b64 s[18:19], s[18:19], 1
	s_add_u32 s12, s12, s18
	v_add_lshl_u32 v8, v6, s48, 6
	s_addc_u32 s13, s13, s19
	v_ashrrev_i32_e32 v9, 31, v8
	v_lshl_add_u64 v[8:9], v[8:9], 1, s[12:13]
	v_mov_b32_e32 v27, 0
	v_lshl_add_u64 v[8:9], v[8:9], 0, v[26:27]
	global_load_dwordx4 v[8:11], v[8:9], off
	v_lshlrev_b32_e32 v12, 8, v28
	v_lshlrev_b32_e32 v6, 5, v6
	v_and_b32_e32 v7, 16, v1
	v_and_b32_e32 v12, 0xe00, v12
	v_or3_b32 v6, v12, v6, v7
	s_waitcnt vmcnt(0)
	ds_write_b128 v6, v[8:11]
.LBB1173_11:
	s_or_b64 exec, exec, s[6:7]
	s_waitcnt lgkmcnt(0)
	s_mul_i32 s12, s4, s46
	s_add_u32 s4, s14, s12
	s_addc_u32 s5, s15, 0
	v_mov_b32_e32 v31, 0
	v_mov_b64_e32 v[6:7], s[4:5]
	v_lshlrev_b32_e32 v10, 4, v28
	v_and_b32_e32 v27, 48, v0
	s_waitcnt vmcnt(3)
	v_mad_i64_i32 v[8:9], s[4:5], v5, s45, v[6:7]
	v_mov_b32_e32 v11, v31
	s_waitcnt vmcnt(2)
	v_mad_i64_i32 v[4:5], s[4:5], v4, s45, v[6:7]
	v_or_b32_e32 v12, 0x100, v10
	v_mov_b32_e32 v13, v31
	v_lshlrev_b32_e32 v30, 5, v27
	v_lshl_add_u64 v[8:9], v[8:9], 0, v[10:11]
	v_lshl_add_u64 v[4:5], v[4:5], 0, v[12:13]
	;; [unrolled: 1-line block ×4, first 2 shown]
	s_barrier
	global_load_dwordx4 v[22:25], v[8:9], off
	global_load_dwordx4 v[18:21], v[4:5], off
	s_waitcnt vmcnt(3)
	v_mad_i64_i32 v[4:5], s[4:5], v3, s45, v[6:7]
	v_lshl_add_u64 v[4:5], v[4:5], 0, v[10:11]
	s_waitcnt vmcnt(2)
	v_mad_i64_i32 v[2:3], s[4:5], v2, s45, v[6:7]
	v_lshl_add_u64 v[4:5], v[4:5], 0, v[30:31]
	v_lshl_add_u64 v[2:3], v[2:3], 0, v[12:13]
	;; [unrolled: 1-line block ×3, first 2 shown]
	global_load_dwordx4 v[14:17], v[4:5], off
	global_load_dwordx4 v[6:9], v[2:3], off
	v_mul_lo_u16_e32 v2, 43, v28
	v_mov_b32_e32 v3, 6
	v_mul_lo_u16_sdwa v2, v2, v3 dst_sel:DWORD dst_unused:UNUSED_PAD src0_sel:BYTE_1 src1_sel:DWORD
	v_sub_u16_e32 v2, v28, v2
	v_mov_b32_e32 v3, 5
	v_lshlrev_b32_sdwa v2, v3, v2 dst_sel:DWORD dst_unused:UNUSED_PAD src0_sel:DWORD src1_sel:BYTE_0
	v_lshl_add_u32 v2, v42, 9, v2
	ds_read_b128 v[10:13], v2
	ds_read_b128 v[2:5], v2 offset:16
	v_and_b32_e32 v43, 63, v0
	v_cmp_gt_u32_e32 vcc, 6, v28
	v_mov_b32_e32 v44, 0
	s_and_saveexec_b64 s[4:5], vcc
	s_cbranch_execz .LBB1173_13
; %bb.12:
	s_load_dwordx2 s[6:7], s[0:1], 0x40
	v_add_u32_e32 v32, s48, v28
	v_ashrrev_i32_e32 v33, 31, v32
	s_waitcnt lgkmcnt(0)
	v_lshl_add_u64 v[32:33], v[32:33], 2, s[6:7]
	global_load_dword v44, v[32:33], off
.LBB1173_13:
	s_or_b64 exec, exec, s[4:5]
	s_ashr_i32 s4, s16, 31
	v_or_b32_e32 v45, s16, v27
	s_lshr_b32 s13, s4, 27
	v_add_u32_e32 v27, s13, v45
	v_ashrrev_i32_e32 v27, 5, v27
	s_waitcnt vmcnt(3)
	v_cvt_pk_f32_fp8_e32 v[34:35], v22
	v_cvt_pk_f32_fp8_sdwa v[36:37], v22 src0_sel:WORD_1
	s_waitcnt vmcnt(2)
	v_cvt_pk_f32_fp8_e32 v[56:57], v20
	v_cvt_pk_f32_fp8_sdwa v[58:59], v20 src0_sel:WORD_1
	v_mov_b32_e32 v20, s17
	v_cmp_gt_i32_e32 vcc, s29, v45
	v_cvt_pk_f32_fp8_e32 v[48:49], v18
	v_cvt_pk_f32_fp8_sdwa v[50:51], v18 src0_sel:WORD_1
	v_cndmask_b32_e32 v18, v20, v27, vcc
	v_cvt_pk_f32_fp8_e32 v[52:53], v19
	v_cvt_pk_f32_fp8_sdwa v[54:55], v19 src0_sel:WORD_1
	v_ashrrev_i32_e32 v19, 31, v18
	v_lshl_add_u64 v[18:19], v[18:19], 2, s[8:9]
	s_mov_b32 s33, 0x7060302
	v_cvt_pk_f32_fp8_e32 v[32:33], v23
	v_cvt_pk_f32_fp8_sdwa v[22:23], v23 src0_sel:WORD_1
	global_load_dword v70, v[18:19], off
	v_perm_b32 v18, v35, v34, s33
	v_perm_b32 v19, v37, v36, s33
	v_cvt_pk_f32_fp8_e32 v[60:61], v21
	v_cvt_pk_f32_fp8_sdwa v[62:63], v21 src0_sel:WORD_1
	v_or_b32_e32 v21, 64, v45
	v_or_b32_e32 v34, 0x80, v45
	;; [unrolled: 1-line block ×3, first 2 shown]
	v_cmp_gt_i32_e32 vcc, s29, v21
	v_add_u32_e32 v21, s13, v21
	v_cmp_gt_i32_e64 s[4:5], s29, v34
	v_add_u32_e32 v34, s13, v34
	v_cmp_gt_i32_e64 s[6:7], s29, v35
	v_add_u32_e32 v35, s13, v35
	v_cvt_pk_f32_fp8_e32 v[38:39], v24
	v_cvt_pk_f32_fp8_sdwa v[40:41], v24 src0_sel:WORD_1
	v_cvt_pk_f32_fp8_e32 v[46:47], v25
	v_ashrrev_i32_e32 v21, 5, v21
	v_ashrrev_i32_e32 v34, 5, v34
	v_ashrrev_i32_e32 v35, 5, v35
	v_perm_b32 v32, v33, v32, s33
	v_perm_b32 v33, v23, v22, s33
	;; [unrolled: 1-line block ×4, first 2 shown]
	v_cvt_pk_f32_fp8_sdwa v[24:25], v25 src0_sel:WORD_1
	v_cndmask_b32_e32 v36, v20, v21, vcc
	v_cndmask_b32_e64 v64, v20, v34, s[4:5]
	v_cndmask_b32_e64 v66, v20, v35, s[6:7]
	s_waitcnt lgkmcnt(1)
	v_mfma_f32_16x16x16_bf16 v[18:21], v[18:19], v[10:11], 0
	v_perm_b32 v38, v39, v38, s33
	v_perm_b32 v39, v41, v40, s33
	;; [unrolled: 1-line block ×5, first 2 shown]
	s_load_dword s14, s[0:1], 0x1c
	s_load_dwordx4 s[40:43], s[0:1], 0x80
	v_perm_b32 v69, v25, v24, s33
	v_mfma_f32_16x16x16_bf16 v[22:25], v[22:23], v[10:11], 0
	s_add_u32 s10, s10, s12
	v_and_b32_e32 v30, 16, v0
	v_lshlrev_b32_e32 v27, 5, v28
	v_mfma_f32_16x16x16_bf16 v[32:35], v[32:33], v[12:13], v[18:21]
	s_addc_u32 s11, s11, 0
	v_lshl_add_u64 v[40:41], s[10:11], 0, v[30:31]
	v_lshl_or_b32 v30, v29, 9, v27
	v_ashrrev_i32_e32 v37, 31, v36
	v_ashrrev_i32_e32 v65, 31, v64
	;; [unrolled: 1-line block ×3, first 2 shown]
	v_perm_b32 v48, v57, v56, s33
	v_perm_b32 v49, v59, v58, s33
	v_mfma_f32_16x16x16_bf16 v[20:23], v[46:47], v[12:13], v[22:25]
	v_lshl_add_u64 v[18:19], v[40:41], 0, v[30:31]
	s_waitcnt lgkmcnt(0)
	s_load_dword s6, s[40:41], 0x0
	v_perm_b32 v50, v61, v60, s33
	v_mfma_f32_16x16x16_bf16 v[30:33], v[38:39], v[2:3], v[32:35]
	v_lshl_add_u64 v[24:25], v[36:37], 2, s[8:9]
	v_lshl_add_u64 v[36:37], v[66:67], 2, s[8:9]
	v_perm_b32 v51, v63, v62, s33
	v_lshl_add_u64 v[34:35], v[64:65], 2, s[8:9]
	global_load_dword v47, v[24:25], off
	global_load_dword v45, v[34:35], off
	;; [unrolled: 1-line block ×3, first 2 shown]
	s_waitcnt vmcnt(5)
	v_cvt_pk_f32_fp8_e32 v[34:35], v14
	v_cvt_pk_f32_fp8_sdwa v[36:37], v14 src0_sel:WORD_1
	v_mfma_f32_16x16x16_bf16 v[20:23], v[48:49], v[2:3], v[20:23]
	v_cvt_pk_f32_fp8_e32 v[38:39], v15
	v_perm_b32 v34, v35, v34, s33
	v_perm_b32 v35, v37, v36, s33
	v_cvt_pk_f32_fp8_sdwa v[14:15], v15 src0_sel:WORD_1
	v_mov_b32_e32 v40, s14
	s_waitcnt lgkmcnt(0)
	v_mul_f32_e32 v48, s6, v40
	v_mfma_f32_16x16x16_bf16 v[20:23], v[50:51], v[4:5], v[20:23]
	v_perm_b32 v38, v39, v38, s33
	v_cvt_pk_f32_fp8_e32 v[40:41], v16
	v_cvt_pk_f32_fp8_sdwa v[50:51], v16 src0_sel:WORD_1
	v_perm_b32 v39, v15, v14, s33
	v_mfma_f32_16x16x16_bf16 v[34:37], v[34:35], v[10:11], 0
	v_perm_b32 v40, v41, v40, s33
	v_perm_b32 v41, v51, v50, s33
	v_cvt_pk_f32_fp8_e32 v[50:51], v17
	v_cvt_pk_f32_fp8_sdwa v[52:53], v17 src0_sel:WORD_1
	v_mfma_f32_16x16x16_bf16 v[30:33], v[68:69], v[4:5], v[30:33]
	s_mov_b32 s44, 0xff7fffff
	s_waitcnt vmcnt(3)
	v_mad_i64_i32 v[24:25], s[4:5], v70, s45, v[18:19]
	v_mfma_f32_16x16x16_bf16 v[14:17], v[38:39], v[12:13], v[34:37]
	s_nop 2
	v_perm_b32 v34, v51, v50, s33
	v_perm_b32 v35, v53, v52, s33
	v_mfma_f32_16x16x16_bf16 v[14:17], v[40:41], v[2:3], v[14:17]
	v_pk_mul_f32 v[38:39], v[48:49], v[30:31] op_sel_hi:[0,1]
	v_cvt_pk_f32_fp8_e32 v[30:31], v6
	v_cvt_pk_f32_fp8_sdwa v[36:37], v6 src0_sel:WORD_1
	v_mfma_f32_16x16x16_bf16 v[14:17], v[34:35], v[4:5], v[14:17]
	v_cvt_pk_f32_fp8_e32 v[34:35], v7
	v_perm_b32 v30, v31, v30, s33
	v_perm_b32 v31, v37, v36, s33
	v_cvt_pk_f32_fp8_sdwa v[6:7], v7 src0_sel:WORD_1
	v_perm_b32 v40, v35, v34, s33
	v_cvt_pk_f32_fp8_e32 v[50:51], v8
	v_cvt_pk_f32_fp8_sdwa v[52:53], v8 src0_sel:WORD_1
	v_perm_b32 v41, v7, v6, s33
	v_mfma_f32_16x16x16_bf16 v[34:37], v[30:31], v[10:11], 0
	v_perm_b32 v10, v51, v50, s33
	v_perm_b32 v11, v53, v52, s33
	v_cvt_pk_f32_fp8_e32 v[30:31], v9
	v_cvt_pk_f32_fp8_sdwa v[50:51], v9 src0_sel:WORD_1
	v_mfma_f32_16x16x16_bf16 v[6:9], v[40:41], v[12:13], v[34:37]
	v_pk_mul_f32 v[40:41], v[48:49], v[20:21] op_sel_hi:[0,1]
	v_perm_b32 v12, v31, v30, s33
	v_perm_b32 v13, v51, v50, s33
	v_mfma_f32_16x16x16_bf16 v[6:9], v[10:11], v[2:3], v[6:9]
	v_pk_mul_f32 v[36:37], v[48:49], v[22:23] op_sel_hi:[0,1]
	v_pk_mul_f32 v[32:33], v[48:49], v[32:33] op_sel_hi:[0,1]
	;; [unrolled: 1-line block ×3, first 2 shown]
	v_mfma_f32_16x16x16_bf16 v[2:5], v[12:13], v[4:5], v[6:9]
	v_pk_mul_f32 v[34:35], v[48:49], v[14:15] op_sel_hi:[0,1]
	s_nop 5
	v_pk_mul_f32 v[22:23], v[48:49], v[2:3] op_sel_hi:[0,1]
	v_and_b32_e32 v2, 0xc0, v0
	v_add_u32_e32 v2, s16, v2
	v_lshl_or_b32 v2, v42, 2, v2
	v_or_b32_e32 v3, 1, v2
	v_pk_mul_f32 v[20:21], v[48:49], v[4:5] op_sel_hi:[0,1]
	v_subrev_u32_e32 v4, s29, v3
	v_add_u32_e32 v6, 1, v4
	v_add_u32_e32 v7, 2, v4
	;; [unrolled: 1-line block ×3, first 2 shown]
	v_cvt_f32_i32_e32 v6, v6
	v_cvt_f32_i32_e32 v7, v7
	;; [unrolled: 1-line block ×3, first 2 shown]
	v_add_u32_e32 v9, 19, v4
	v_fmac_f32_e32 v39, v44, v6
	v_fma_f32 v32, v44, v7, v32
	v_fmac_f32_e32 v33, v44, v8
	v_add_u32_e32 v6, 16, v4
	v_add_u32_e32 v7, 17, v4
	v_add_u32_e32 v8, 18, v4
	v_cvt_f32_i32_e32 v6, v6
	v_cvt_f32_i32_e32 v7, v7
	;; [unrolled: 1-line block ×4, first 2 shown]
	v_fma_f32 v40, v44, v6, v40
	v_fmac_f32_e32 v41, v44, v7
	v_fma_f32 v36, v44, v8, v36
	v_add_u32_e32 v6, 32, v4
	v_add_u32_e32 v7, 33, v4
	v_add_u32_e32 v8, 34, v4
	v_cvt_f32_i32_e32 v6, v6
	v_cvt_f32_i32_e32 v7, v7
	;; [unrolled: 1-line block ×4, first 2 shown]
	v_fmac_f32_e32 v37, v44, v9
	v_add_u32_e32 v9, 35, v4
	v_fma_f32 v48, v44, v6, v34
	v_fmac_f32_e32 v35, v44, v7
	v_fma_f32 v30, v44, v8, v30
	v_add_u32_e32 v6, 48, v4
	v_add_u32_e32 v7, 49, v4
	v_add_u32_e32 v8, 50, v4
	v_add_u32_e32 v4, 51, v4
	v_cvt_f32_i32_e32 v4, v4
	v_cvt_f32_i32_e32 v6, v6
	;; [unrolled: 1-line block ×3, first 2 shown]
	v_fma_f32 v5, v44, v5, v38
	v_fmac_f32_e32 v21, v44, v4
	v_mov_b32_e32 v4, 0xff7fffff
	v_cmp_gt_i32_e64 s[4:5], s29, v2
	v_cmp_gt_i32_e64 s[34:35], s29, v3
	v_fma_f32 v22, v44, v6, v22
	v_cndmask_b32_e64 v6, v4, v5, s[4:5]
	v_cndmask_b32_e64 v3, v4, v39, s[34:35]
	v_fmac_f32_e32 v23, v44, v7
	v_max3_f32 v3, v6, s44, v3
	v_or_b32_e32 v6, 2, v2
	v_or_b32_e32 v7, 3, v2
	v_cmp_gt_i32_e64 s[36:37], s29, v6
	v_cmp_gt_i32_e64 s[38:39], s29, v7
	v_cvt_f32_i32_e32 v9, v9
	v_cndmask_b32_e64 v6, v4, v32, s[36:37]
	v_cndmask_b32_e64 v7, v4, v33, s[38:39]
	v_max3_f32 v3, v3, v6, v7
	v_or_b32_e32 v6, 16, v2
	v_or_b32_e32 v7, 17, v2
	v_cmp_gt_i32_e64 s[24:25], s29, v6
	v_cmp_gt_i32_e64 s[26:27], s29, v7
	v_fmac_f32_e32 v31, v44, v9
	v_cndmask_b32_e64 v6, v4, v40, s[24:25]
	v_cndmask_b32_e64 v7, v4, v41, s[26:27]
	v_max3_f32 v3, v3, v6, v7
	v_or_b32_e32 v6, 18, v2
	v_or_b32_e32 v7, 19, v2
	v_cmp_gt_i32_e64 s[20:21], s29, v6
	v_cmp_gt_i32_e64 s[22:23], s29, v7
	v_cvt_f32_i32_e32 v8, v8
	v_cndmask_b32_e64 v6, v4, v36, s[20:21]
	v_cndmask_b32_e64 v7, v4, v37, s[22:23]
	v_max3_f32 v3, v3, v6, v7
	v_or_b32_e32 v6, 32, v2
	v_or_b32_e32 v7, 33, v2
	v_cmp_gt_i32_e64 s[16:17], s29, v6
	v_cmp_gt_i32_e64 s[18:19], s29, v7
	v_fma_f32 v20, v44, v8, v20
	v_cndmask_b32_e64 v6, v4, v48, s[16:17]
	v_cndmask_b32_e64 v7, v4, v35, s[18:19]
	v_max3_f32 v3, v3, v6, v7
	v_or_b32_e32 v6, 34, v2
	v_or_b32_e32 v7, 35, v2
	v_cmp_gt_i32_e64 s[12:13], s29, v6
	v_cmp_gt_i32_e64 s[14:15], s29, v7
	s_nop 0
	v_cndmask_b32_e64 v6, v4, v30, s[12:13]
	v_cndmask_b32_e64 v7, v4, v31, s[14:15]
	v_max3_f32 v3, v3, v6, v7
	v_or_b32_e32 v6, 48, v2
	v_or_b32_e32 v7, 49, v2
	v_cmp_gt_i32_e64 s[8:9], s29, v6
	v_cmp_gt_i32_e64 s[10:11], s29, v7
	s_nop 0
	v_cndmask_b32_e64 v6, v4, v22, s[8:9]
	v_cndmask_b32_e64 v7, v4, v23, s[10:11]
	v_max3_f32 v3, v3, v6, v7
	v_or_b32_e32 v6, 50, v2
	v_or_b32_e32 v2, 51, v2
	v_cmp_gt_i32_e32 vcc, s29, v6
	v_cmp_gt_i32_e64 s[6:7], s29, v2
	s_nop 0
	v_cndmask_b32_e32 v6, v4, v20, vcc
	v_cndmask_b32_e64 v2, v4, v21, s[6:7]
	v_max3_f32 v4, v3, v6, v2
	v_mbcnt_lo_u32_b32 v2, -1, 0
	v_mbcnt_hi_u32_b32 v6, -1, v2
	v_and_b32_e32 v2, 64, v6
	v_add_u32_e32 v7, 64, v2
	v_xor_b32_e32 v2, 32, v6
	v_cmp_lt_i32_e64 s[40:41], v2, v7
	s_nop 1
	v_cndmask_b32_e64 v2, v6, v2, s[40:41]
	v_lshlrev_b32_e32 v44, 2, v2
	ds_bpermute_b32 v8, v44, v4
	s_waitcnt vmcnt(2)
	v_mad_i64_i32 v[2:3], s[40:41], v47, s45, v[18:19]
	global_load_dwordx4 v[14:17], v[24:25], off
	global_load_dwordx4 v[10:13], v[2:3], off
	v_xor_b32_e32 v3, 16, v6
	v_cmp_lt_i32_e64 s[40:41], v3, v7
	s_waitcnt lgkmcnt(0)
	v_max_f32_e32 v2, v8, v8
	v_max_f32_e32 v2, v4, v2
	v_cndmask_b32_e64 v3, v6, v3, s[40:41]
	v_lshlrev_b32_e32 v47, 2, v3
	ds_bpermute_b32 v3, v47, v2
	s_waitcnt vmcnt(3)
	v_mad_i64_i32 v[24:25], s[40:41], v45, s45, v[18:19]
	s_waitcnt vmcnt(2)
	v_mad_i64_i32 v[18:19], s[40:41], v46, s45, v[18:19]
	s_waitcnt lgkmcnt(0)
	v_max_f32_e32 v3, v3, v3
	v_max_f32_e32 v34, v2, v3
	v_sub_f32_e32 v2, v5, v34
	v_mul_f32_e32 v2, 0x3fb8aa3b, v2
	v_exp_f32_e32 v38, v2
	v_sub_f32_e32 v2, v39, v34
	v_mul_f32_e32 v2, 0x3fb8aa3b, v2
	v_exp_f32_e32 v39, v2
	global_load_dwordx4 v[6:9], v[24:25], off
	global_load_dwordx4 v[2:5], v[18:19], off
	v_sub_f32_e32 v25, v32, v34
	v_sub_f32_e32 v32, v33, v34
	v_mul_f32_e32 v25, 0x3fb8aa3b, v25
	v_mul_f32_e32 v32, 0x3fb8aa3b, v32
	v_exp_f32_e32 v25, v25
	v_exp_f32_e32 v32, v32
	v_cndmask_b32_e64 v18, 0, v38, s[4:5]
	v_cndmask_b32_e64 v19, 0, v39, s[34:35]
	;; [unrolled: 1-line block ×4, first 2 shown]
	v_sub_f32_e32 v25, v40, v34
	v_sub_f32_e32 v32, v41, v34
	v_mul_f32_e32 v25, 0x3fb8aa3b, v25
	v_mul_f32_e32 v32, 0x3fb8aa3b, v32
	v_exp_f32_e32 v25, v25
	v_exp_f32_e32 v32, v32
	v_add_f32_e32 v24, 0, v18
	v_add_f32_e32 v24, v24, v19
	;; [unrolled: 1-line block ×4, first 2 shown]
	v_cndmask_b32_e64 v24, 0, v25, s[24:25]
	v_cndmask_b32_e64 v25, 0, v32, s[26:27]
	v_sub_f32_e32 v32, v36, v34
	v_mul_f32_e32 v32, 0x3fb8aa3b, v32
	v_exp_f32_e32 v32, v32
	v_sub_f32_e32 v36, v37, v34
	v_add_f32_e32 v33, v33, v24
	v_mul_f32_e32 v36, 0x3fb8aa3b, v36
	v_exp_f32_e32 v37, v36
	v_add_f32_e32 v33, v33, v25
	v_cndmask_b32_e64 v36, 0, v32, s[20:21]
	v_add_f32_e32 v32, v33, v36
	v_sub_f32_e32 v33, v48, v34
	v_mul_f32_e32 v33, 0x3fb8aa3b, v33
	v_sub_f32_e32 v35, v35, v34
	v_exp_f32_e32 v33, v33
	v_mul_f32_e32 v35, 0x3fb8aa3b, v35
	v_sub_f32_e32 v30, v30, v34
	v_exp_f32_e32 v35, v35
	;; [unrolled: 3-line block ×3, first 2 shown]
	v_mul_f32_e32 v31, 0x3fb8aa3b, v31
	v_sub_f32_e32 v22, v22, v34
	v_cndmask_b32_e64 v37, 0, v37, s[22:23]
	v_exp_f32_e32 v31, v31
	v_mul_f32_e32 v22, 0x3fb8aa3b, v22
	v_sub_f32_e32 v23, v23, v34
	v_add_f32_e32 v40, v32, v37
	v_cndmask_b32_e64 v32, 0, v33, s[16:17]
	v_exp_f32_e32 v22, v22
	v_mul_f32_e32 v23, 0x3fb8aa3b, v23
	v_sub_f32_e32 v20, v20, v34
	v_add_f32_e32 v40, v40, v32
	;; [unrolled: 5-line block ×3, first 2 shown]
	v_cndmask_b32_e64 v30, 0, v30, s[12:13]
	v_exp_f32_e32 v20, v20
	v_mul_f32_e32 v21, 0x3fb8aa3b, v21
	v_add_f32_e32 v35, v35, v30
	v_cndmask_b32_e64 v31, 0, v31, s[14:15]
	v_exp_f32_e32 v21, v21
	v_add_f32_e32 v35, v35, v31
	v_cndmask_b32_e64 v22, 0, v22, s[8:9]
	v_add_f32_e32 v35, v35, v22
	v_cndmask_b32_e64 v23, 0, v23, s[10:11]
	v_add_f32_e32 v35, v35, v23
	v_cndmask_b32_e32 v20, 0, v20, vcc
	v_add_f32_e32 v35, v35, v20
	v_cndmask_b32_e64 v21, 0, v21, s[6:7]
	v_add_f32_e32 v35, v35, v21
	ds_bpermute_b32 v40, v44, v35
	s_load_dword s7, s[0:1], 0x98
	v_cmp_gt_u32_e32 vcc, 16, v43
	s_waitcnt lgkmcnt(0)
	s_barrier
	v_add_f32_e32 v40, v35, v40
	ds_bpermute_b32 v41, v47, v40
	v_lshlrev_b32_e32 v35, 2, v28
	s_waitcnt lgkmcnt(0)
	s_and_saveexec_b64 s[4:5], vcc
	s_cbranch_execz .LBB1173_15
; %bb.14:
	v_add_f32_e32 v40, v40, v41
	v_lshl_or_b32 v41, v29, 6, v35
	ds_write2st64_b32 v41, v34, v40 offset1:1
.LBB1173_15:
	s_or_b64 exec, exec, s[4:5]
	s_load_dword s6, s[0:1], 0x94
	s_waitcnt lgkmcnt(0)
	s_barrier
	ds_read2_b32 v[40:41], v35 offset1:16
	ds_read2_b32 v[44:45], v35 offset0:32 offset1:48
	ds_read2_b32 v[46:47], v35 offset0:64 offset1:80
	s_movk_i32 s8, 0x7fff
	s_mul_i32 s7, s7, 6
	s_waitcnt lgkmcnt(2)
	v_max3_f32 v34, v40, s44, v41
	s_waitcnt lgkmcnt(1)
	v_max3_f32 v34, v34, v44, v45
	v_sub_f32_e32 v40, v40, v34
	v_mul_f32_e32 v40, 0x3fb8aa3b, v40
	v_exp_f32_e32 v43, v40
	v_sub_f32_e32 v40, v41, v34
	v_mul_f32_e32 v40, 0x3fb8aa3b, v40
	v_exp_f32_e32 v48, v40
	;; [unrolled: 3-line block ×3, first 2 shown]
	ds_read2_b32 v[40:41], v35 offset0:96 offset1:112
	v_sub_f32_e32 v35, v45, v34
	v_mul_f32_e32 v35, 0x3fb8aa3b, v35
	v_exp_f32_e32 v45, v35
	s_waitcnt lgkmcnt(1)
	v_fma_f32 v35, v43, v46, 0
	v_fmac_f32_e32 v35, v48, v47
	s_waitcnt lgkmcnt(0)
	v_fmac_f32_e32 v35, v44, v40
	v_fmac_f32_e32 v35, v45, v41
	v_add_f32_e32 v40, 0x358637bd, v35
	v_div_scale_f32 v41, s[4:5], v40, v40, 1.0
	v_rcp_f32_e32 v46, v41
	s_barrier
	v_fma_f32 v47, -v41, v46, 1.0
	v_fmac_f32_e32 v46, v47, v46
	v_div_scale_f32 v47, vcc, 1.0, v40, 1.0
	v_mul_f32_e32 v49, v47, v46
	v_fma_f32 v50, -v41, v49, v47
	v_fmac_f32_e32 v49, v50, v46
	v_fma_f32 v41, -v41, v49, v47
	v_div_fmas_f32 v41, v41, v46, v49
	v_cmp_eq_u32_e32 vcc, 1, v29
	v_div_fixup_f32 v40, v41, v40, 1.0
	s_nop 0
	v_cndmask_b32_e32 v41, v43, v48, vcc
	v_cmp_eq_u32_e32 vcc, 2, v29
	s_nop 1
	v_cndmask_b32_e32 v41, v41, v44, vcc
	v_cmp_eq_u32_e32 vcc, 3, v29
	s_nop 1
	v_cndmask_b32_e32 v41, v41, v45, vcc
	v_mul_f32_e32 v40, v41, v40
	v_pk_mul_f32 v[18:19], v[40:41], v[18:19] op_sel_hi:[0,1]
	v_pk_mul_f32 v[38:39], v[40:41], v[38:39] op_sel_hi:[0,1]
	v_bfe_u32 v41, v19, 16, 1
	v_bfe_u32 v43, v18, 16, 1
	v_add3_u32 v18, v18, v43, s8
	v_add3_u32 v19, v19, v41, s8
	v_perm_b32 v44, v19, v18, s33
	v_bfe_u32 v18, v39, 16, 1
	v_bfe_u32 v19, v38, 16, 1
	v_add3_u32 v19, v38, v19, s8
	v_add3_u32 v18, v39, v18, s8
	v_perm_b32 v45, v18, v19, s33
	v_lshlrev_b32_e32 v18, 3, v42
	v_lshlrev_b32_e32 v19, 11, v29
	v_pk_mul_f32 v[24:25], v[40:41], v[24:25] op_sel_hi:[0,1]
	v_or3_b32 v18, v19, v27, v18
	v_bfe_u32 v19, v25, 16, 1
	v_bfe_u32 v29, v24, 16, 1
	v_pk_mul_f32 v[36:37], v[40:41], v[36:37] op_sel_hi:[0,1]
	v_add3_u32 v24, v24, v29, s8
	v_add3_u32 v19, v25, v19, s8
	v_perm_b32 v24, v19, v24, s33
	v_bfe_u32 v19, v37, 16, 1
	v_bfe_u32 v25, v36, 16, 1
	v_add3_u32 v25, v36, v25, s8
	v_add3_u32 v19, v37, v19, s8
	v_perm_b32 v25, v19, v25, s33
	ds_write2st64_b64 v18, v[44:45], v[24:25] offset1:1
	v_pk_mul_f32 v[24:25], v[40:41], v[30:31] op_sel_hi:[0,1]
	v_pk_mul_f32 v[30:31], v[40:41], v[32:33] op_sel_hi:[0,1]
	v_bfe_u32 v19, v31, 16, 1
	v_bfe_u32 v29, v30, 16, 1
	v_add3_u32 v29, v30, v29, s8
	v_add3_u32 v19, v31, v19, s8
	v_perm_b32 v30, v19, v29, s33
	v_bfe_u32 v19, v25, 16, 1
	v_bfe_u32 v29, v24, 16, 1
	v_add3_u32 v24, v24, v29, s8
	v_add3_u32 v19, v25, v19, s8
	v_pk_mul_f32 v[22:23], v[40:41], v[22:23] op_sel_hi:[0,1]
	v_perm_b32 v31, v19, v24, s33
	v_bfe_u32 v19, v23, 16, 1
	v_bfe_u32 v24, v22, 16, 1
	v_pk_mul_f32 v[20:21], v[40:41], v[20:21] op_sel_hi:[0,1]
	v_add3_u32 v22, v22, v24, s8
	v_add3_u32 v19, v23, v19, s8
	v_perm_b32 v22, v19, v22, s33
	v_bfe_u32 v19, v21, 16, 1
	v_bfe_u32 v23, v20, 16, 1
	v_add3_u32 v20, v20, v23, s8
	v_add3_u32 v19, v21, v19, s8
	v_perm_b32 v23, v19, v20, s33
	v_cmp_gt_u32_e32 vcc, 6, v0
	ds_write2st64_b64 v18, v[30:31], v[22:23] offset0:2 offset1:3
	s_and_saveexec_b64 s[4:5], vcc
	s_cbranch_execz .LBB1173_17
; %bb.16:
	s_mov_b32 s49, 0
	v_mov_b32_e32 v29, 0
	v_lshl_add_u64 v[20:21], s[48:49], 0, v[28:29]
	v_mov_b32_e32 v19, s7
	v_mad_u64_u32 v[20:21], s[10:11], s2, v19, v[20:21]
	s_mul_i32 s3, s3, s7
	v_mov_b32_e32 v28, s28
	s_load_dwordx4 s[12:15], s[0:1], 0x58
	v_add_u32_e32 v19, s3, v21
	v_mad_u64_u32 v[20:21], s[10:11], v20, s6, v[28:29]
	v_mov_b32_e32 v22, v21
	v_mad_u64_u32 v[22:23], s[10:11], v19, s6, v[22:23]
	v_mov_b32_e32 v21, v22
	v_lshlrev_b64 v[20:21], 2, v[20:21]
	s_waitcnt lgkmcnt(0)
	v_lshl_add_u64 v[22:23], s[14:15], 0, v[20:21]
	v_lshl_add_u64 v[20:21], s[12:13], 0, v[20:21]
	global_store_dword v[22:23], v34, off
	global_store_dword v[20:21], v35, off
.LBB1173_17:
	s_or_b64 exec, exec, s[4:5]
	s_waitcnt vmcnt(3)
	v_cvt_pk_f32_fp8_e32 v[20:21], v14
	v_cvt_pk_f32_fp8_sdwa v[22:23], v14 src0_sel:WORD_1
	s_mov_b32 s4, 0x7060302
	v_lshl_or_b32 v14, v42, 9, v27
	s_waitcnt lgkmcnt(0)
	s_barrier
	v_perm_b32 v24, v21, v20, s4
	v_perm_b32 v25, v23, v22, s4
	v_cvt_pk_f32_fp8_e32 v[28:29], v15
	ds_read_b128 v[20:23], v14
	v_cvt_pk_f32_fp8_sdwa v[36:37], v15 src0_sel:WORD_1
	s_load_dword s10, s[42:43], 0x0
	v_perm_b32 v38, v29, v28, s4
	ds_read_b128 v[28:31], v14 offset:16
	v_perm_b32 v39, v37, v36, s4
	s_waitcnt lgkmcnt(0)
	v_mfma_f32_16x16x16_bf16 v[32:35], v[24:25], v[20:21], 0
	v_cvt_pk_f32_fp8_e32 v[24:25], v16
	v_cvt_pk_f32_fp8_sdwa v[36:37], v16 src0_sel:WORD_1
	v_cmp_gt_u32_e32 vcc, 64, v0
	v_mfma_f32_16x16x16_bf16 v[20:23], v[38:39], v[22:23], v[32:35]
	v_perm_b32 v24, v25, v24, s4
	v_perm_b32 v25, v37, v36, s4
	s_mov_b32 s3, 0
	v_cvt_pk_f32_fp8_e32 v[32:33], v17
	v_cvt_pk_f32_fp8_sdwa v[16:17], v17 src0_sel:WORD_1
	s_waitcnt vmcnt(2)
	v_cvt_pk_f32_fp8_sdwa v[34:35], v10 src0_sel:WORD_1
	v_mfma_f32_16x16x16_bf16 v[20:23], v[24:25], v[28:29], v[20:23]
	v_perm_b32 v36, v33, v32, s4
	v_cvt_pk_f32_fp8_e32 v[32:33], v10
	v_perm_b32 v37, v17, v16, s4
	v_perm_b32 v17, v35, v34, s4
	v_cvt_pk_f32_fp8_e32 v[24:25], v11
	v_perm_b32 v16, v33, v32, s4
	ds_read_b128 v[32:35], v14 offset:2048
	v_cvt_pk_f32_fp8_sdwa v[10:11], v11 src0_sel:WORD_1
	v_mfma_f32_16x16x16_bf16 v[20:23], v[36:37], v[30:31], v[20:23]
	ds_read_b128 v[28:31], v14 offset:2064
	v_perm_b32 v24, v25, v24, s4
	v_perm_b32 v25, v11, v10, s4
	s_waitcnt lgkmcnt(1)
	v_mfma_f32_16x16x16_bf16 v[20:23], v[16:17], v[32:33], v[20:23]
	v_cvt_pk_f32_fp8_e32 v[10:11], v12
	v_cvt_pk_f32_fp8_sdwa v[16:17], v12 src0_sel:WORD_1
	s_waitcnt vmcnt(1)
	v_cvt_pk_f32_fp8_sdwa v[32:33], v6 src0_sel:WORD_1
	v_mfma_f32_16x16x16_bf16 v[20:23], v[24:25], v[34:35], v[20:23]
	v_cvt_pk_f32_fp8_e32 v[24:25], v13
	v_perm_b32 v10, v11, v10, s4
	v_perm_b32 v11, v17, v16, s4
	v_cvt_pk_f32_fp8_sdwa v[12:13], v13 src0_sel:WORD_1
	v_perm_b32 v16, v25, v24, s4
	v_cvt_pk_f32_fp8_e32 v[24:25], v6
	v_mov_b32_e32 v27, 0
	v_perm_b32 v17, v13, v12, s4
	s_waitcnt lgkmcnt(0)
	v_mfma_f32_16x16x16_bf16 v[10:13], v[10:11], v[28:29], v[20:23]
	v_perm_b32 v24, v25, v24, s4
	v_perm_b32 v25, v33, v32, s4
	v_cvt_pk_f32_fp8_e32 v[28:29], v7
	ds_read_b128 v[20:23], v14 offset:4096
	v_cvt_pk_f32_fp8_sdwa v[6:7], v7 src0_sel:WORD_1
	v_mfma_f32_16x16x16_bf16 v[10:13], v[16:17], v[30:31], v[10:13]
	v_perm_b32 v16, v29, v28, s4
	ds_read_b128 v[28:31], v14 offset:4112
	v_perm_b32 v17, v7, v6, s4
	s_waitcnt lgkmcnt(1)
	v_mfma_f32_16x16x16_bf16 v[10:13], v[24:25], v[20:21], v[10:13]
	v_cvt_pk_f32_fp8_e32 v[6:7], v8
	v_cvt_pk_f32_fp8_sdwa v[20:21], v8 src0_sel:WORD_1
	v_perm_b32 v6, v7, v6, s4
	v_mfma_f32_16x16x16_bf16 v[10:13], v[16:17], v[22:23], v[10:13]
	v_cvt_pk_f32_fp8_e32 v[16:17], v9
	v_perm_b32 v7, v21, v20, s4
	v_cvt_pk_f32_fp8_sdwa v[8:9], v9 src0_sel:WORD_1
	s_waitcnt vmcnt(0)
	v_cvt_pk_f32_fp8_e32 v[20:21], v2
	v_perm_b32 v16, v17, v16, s4
	v_cvt_pk_f32_fp8_sdwa v[22:23], v2 src0_sel:WORD_1
	v_perm_b32 v17, v9, v8, s4
	s_waitcnt lgkmcnt(0)
	v_mfma_f32_16x16x16_bf16 v[6:9], v[6:7], v[28:29], v[10:13]
	v_perm_b32 v20, v21, v20, s4
	v_perm_b32 v21, v23, v22, s4
	v_cvt_pk_f32_fp8_e32 v[22:23], v3
	ds_read_b128 v[10:13], v14 offset:6144
	v_cvt_pk_f32_fp8_sdwa v[2:3], v3 src0_sel:WORD_1
	v_mfma_f32_16x16x16_bf16 v[6:9], v[16:17], v[30:31], v[6:9]
	v_perm_b32 v22, v23, v22, s4
	ds_read_b128 v[14:17], v14 offset:6160
	v_perm_b32 v23, v3, v2, s4
	s_waitcnt lgkmcnt(1)
	v_mfma_f32_16x16x16_bf16 v[6:9], v[20:21], v[10:11], v[6:9]
	v_cvt_pk_f32_fp8_e32 v[2:3], v4
	v_cvt_pk_f32_fp8_sdwa v[10:11], v4 src0_sel:WORD_1
	s_waitcnt lgkmcnt(0)
	v_mfma_f32_16x16x16_bf16 v[6:9], v[22:23], v[12:13], v[6:9]
	v_perm_b32 v2, v3, v2, s4
	v_perm_b32 v3, v11, v10, s4
	v_cvt_pk_f32_fp8_e32 v[10:11], v5
	v_cvt_pk_f32_fp8_sdwa v[4:5], v5 src0_sel:WORD_1
	s_barrier
	v_perm_b32 v10, v11, v10, s4
	v_perm_b32 v11, v5, v4, s4
	v_mfma_f32_16x16x16_bf16 v[2:5], v[2:3], v[14:15], v[6:9]
	s_nop 0
	v_mfma_f32_16x16x16_bf16 v[2:5], v[10:11], v[16:17], v[2:5]
	s_nop 6
	v_pk_mul_f32 v[2:3], v[2:3], s[10:11] op_sel_hi:[1,0]
	v_pk_mul_f32 v[4:5], v[4:5], s[10:11] op_sel_hi:[1,0]
	v_bfe_u32 v6, v3, 16, 1
	v_bfe_u32 v7, v2, 16, 1
	v_add3_u32 v2, v2, v7, s8
	v_add3_u32 v3, v3, v6, s8
	v_perm_b32 v2, v3, v2, s4
	v_bfe_u32 v3, v5, 16, 1
	v_bfe_u32 v6, v4, 16, 1
	v_add3_u32 v4, v4, v6, s8
	v_add3_u32 v3, v5, v3, s8
	v_perm_b32 v3, v3, v4, s4
	s_and_b64 s[4:5], vcc, s[30:31]
	ds_write_b64 v18, v[2:3]
	s_waitcnt lgkmcnt(0)
	s_barrier
	s_and_saveexec_b64 s[8:9], s[4:5]
	s_cbranch_execz .LBB1173_20
; %bb.18:
	s_load_dwordx2 s[4:5], s[0:1], 0x68
	s_lshl_b32 s0, s6, 6
	s_mul_i32 s1, s7, s2
	s_mul_hi_u32 s7, s1, s0
	s_mul_i32 s6, s1, s0
	v_lshlrev_b32_e32 v0, 10, v0
	s_lshl_b64 s[6:7], s[6:7], 1
	v_and_b32_e32 v0, 0x1800, v0
	v_lshlrev_b32_e32 v3, 5, v42
	v_and_b32_e32 v1, 16, v1
	s_waitcnt lgkmcnt(0)
	s_add_u32 s1, s4, s6
	v_or3_b32 v3, v0, v3, v1
	s_addc_u32 s4, s5, s7
	s_lshl_b32 s2, s28, 6
	s_lshl_b64 s[2:3], s[2:3], 1
	ds_read_b128 v[4:7], v3
	s_add_u32 s2, s1, s2
	s_addc_u32 s3, s4, s3
	v_add_u32_e32 v8, s48, v42
	v_or_b32_e32 v2, 4, v42
	v_lshl_add_u64 v[0:1], s[2:3], 0, v[26:27]
	v_mad_u64_u32 v[8:9], s[2:3], v8, s0, 0
	v_lshl_add_u64 v[8:9], v[8:9], 1, v[0:1]
	v_cmp_gt_u32_e32 vcc, 6, v2
	s_waitcnt lgkmcnt(0)
	global_store_dwordx4 v[8:9], v[4:7], off
	s_and_b64 exec, exec, vcc
	s_cbranch_execz .LBB1173_20
; %bb.19:
	ds_read_b128 v[4:7], v3 offset:128
	v_add_u32_e32 v2, s48, v2
	v_mad_u64_u32 v[2:3], s[0:1], v2, s0, 0
	v_lshl_add_u64 v[0:1], v[2:3], 1, v[0:1]
	s_waitcnt lgkmcnt(0)
	global_store_dwordx4 v[0:1], v[4:7], off
.LBB1173_20:
	s_endpgm
	.section	.rodata,"a",@progbits
	.p2align	6, 0x0
	.amdhsa_kernel _Z39paged_attention_ll4mi_QKV_mfma16_kernelI14__hip_bfloat16hLN4vllm18Fp8KVCacheDataTypeE1EhLi32ELi64ELi256ELb1ELi6EEvPKT_PKT0_S8_ifPKiSA_SA_iPKfiiiPfSD_PS3_PT2_iSC_SC_
		.amdhsa_group_segment_fixed_size 8192
		.amdhsa_private_segment_fixed_size 0
		.amdhsa_kernarg_size 400
		.amdhsa_user_sgpr_count 2
		.amdhsa_user_sgpr_dispatch_ptr 0
		.amdhsa_user_sgpr_queue_ptr 0
		.amdhsa_user_sgpr_kernarg_segment_ptr 1
		.amdhsa_user_sgpr_dispatch_id 0
		.amdhsa_user_sgpr_kernarg_preload_length 0
		.amdhsa_user_sgpr_kernarg_preload_offset 0
		.amdhsa_user_sgpr_private_segment_size 0
		.amdhsa_uses_dynamic_stack 0
		.amdhsa_enable_private_segment 0
		.amdhsa_system_sgpr_workgroup_id_x 1
		.amdhsa_system_sgpr_workgroup_id_y 1
		.amdhsa_system_sgpr_workgroup_id_z 1
		.amdhsa_system_sgpr_workgroup_info 0
		.amdhsa_system_vgpr_workitem_id 0
		.amdhsa_next_free_vgpr 71
		.amdhsa_next_free_sgpr 50
		.amdhsa_accum_offset 72
		.amdhsa_reserve_vcc 1
		.amdhsa_float_round_mode_32 0
		.amdhsa_float_round_mode_16_64 0
		.amdhsa_float_denorm_mode_32 3
		.amdhsa_float_denorm_mode_16_64 3
		.amdhsa_dx10_clamp 1
		.amdhsa_ieee_mode 1
		.amdhsa_fp16_overflow 0
		.amdhsa_tg_split 0
		.amdhsa_exception_fp_ieee_invalid_op 0
		.amdhsa_exception_fp_denorm_src 0
		.amdhsa_exception_fp_ieee_div_zero 0
		.amdhsa_exception_fp_ieee_overflow 0
		.amdhsa_exception_fp_ieee_underflow 0
		.amdhsa_exception_fp_ieee_inexact 0
		.amdhsa_exception_int_div_zero 0
	.end_amdhsa_kernel
	.section	.text._Z39paged_attention_ll4mi_QKV_mfma16_kernelI14__hip_bfloat16hLN4vllm18Fp8KVCacheDataTypeE1EhLi32ELi64ELi256ELb1ELi6EEvPKT_PKT0_S8_ifPKiSA_SA_iPKfiiiPfSD_PS3_PT2_iSC_SC_,"axG",@progbits,_Z39paged_attention_ll4mi_QKV_mfma16_kernelI14__hip_bfloat16hLN4vllm18Fp8KVCacheDataTypeE1EhLi32ELi64ELi256ELb1ELi6EEvPKT_PKT0_S8_ifPKiSA_SA_iPKfiiiPfSD_PS3_PT2_iSC_SC_,comdat
.Lfunc_end1173:
	.size	_Z39paged_attention_ll4mi_QKV_mfma16_kernelI14__hip_bfloat16hLN4vllm18Fp8KVCacheDataTypeE1EhLi32ELi64ELi256ELb1ELi6EEvPKT_PKT0_S8_ifPKiSA_SA_iPKfiiiPfSD_PS3_PT2_iSC_SC_, .Lfunc_end1173-_Z39paged_attention_ll4mi_QKV_mfma16_kernelI14__hip_bfloat16hLN4vllm18Fp8KVCacheDataTypeE1EhLi32ELi64ELi256ELb1ELi6EEvPKT_PKT0_S8_ifPKiSA_SA_iPKfiiiPfSD_PS3_PT2_iSC_SC_
                                        ; -- End function
	.section	.AMDGPU.csdata,"",@progbits
; Kernel info:
; codeLenInByte = 5216
; NumSgprs: 56
; NumVgprs: 71
; NumAgprs: 0
; TotalNumVgprs: 71
; ScratchSize: 0
; MemoryBound: 0
; FloatMode: 240
; IeeeMode: 1
; LDSByteSize: 8192 bytes/workgroup (compile time only)
; SGPRBlocks: 6
; VGPRBlocks: 8
; NumSGPRsForWavesPerEU: 56
; NumVGPRsForWavesPerEU: 71
; AccumOffset: 72
; Occupancy: 7
; WaveLimiterHint : 1
; COMPUTE_PGM_RSRC2:SCRATCH_EN: 0
; COMPUTE_PGM_RSRC2:USER_SGPR: 2
; COMPUTE_PGM_RSRC2:TRAP_HANDLER: 0
; COMPUTE_PGM_RSRC2:TGID_X_EN: 1
; COMPUTE_PGM_RSRC2:TGID_Y_EN: 1
; COMPUTE_PGM_RSRC2:TGID_Z_EN: 1
; COMPUTE_PGM_RSRC2:TIDIG_COMP_CNT: 0
; COMPUTE_PGM_RSRC3_GFX90A:ACCUM_OFFSET: 17
; COMPUTE_PGM_RSRC3_GFX90A:TG_SPLIT: 0
	.section	.text._Z39paged_attention_ll4mi_QKV_mfma16_kernelI14__hip_bfloat16hLN4vllm18Fp8KVCacheDataTypeE1EhLi32ELi64ELi256ELb1ELi7EEvPKT_PKT0_S8_ifPKiSA_SA_iPKfiiiPfSD_PS3_PT2_iSC_SC_,"axG",@progbits,_Z39paged_attention_ll4mi_QKV_mfma16_kernelI14__hip_bfloat16hLN4vllm18Fp8KVCacheDataTypeE1EhLi32ELi64ELi256ELb1ELi7EEvPKT_PKT0_S8_ifPKiSA_SA_iPKfiiiPfSD_PS3_PT2_iSC_SC_,comdat
	.protected	_Z39paged_attention_ll4mi_QKV_mfma16_kernelI14__hip_bfloat16hLN4vllm18Fp8KVCacheDataTypeE1EhLi32ELi64ELi256ELb1ELi7EEvPKT_PKT0_S8_ifPKiSA_SA_iPKfiiiPfSD_PS3_PT2_iSC_SC_ ; -- Begin function _Z39paged_attention_ll4mi_QKV_mfma16_kernelI14__hip_bfloat16hLN4vllm18Fp8KVCacheDataTypeE1EhLi32ELi64ELi256ELb1ELi7EEvPKT_PKT0_S8_ifPKiSA_SA_iPKfiiiPfSD_PS3_PT2_iSC_SC_
	.globl	_Z39paged_attention_ll4mi_QKV_mfma16_kernelI14__hip_bfloat16hLN4vllm18Fp8KVCacheDataTypeE1EhLi32ELi64ELi256ELb1ELi7EEvPKT_PKT0_S8_ifPKiSA_SA_iPKfiiiPfSD_PS3_PT2_iSC_SC_
	.p2align	8
	.type	_Z39paged_attention_ll4mi_QKV_mfma16_kernelI14__hip_bfloat16hLN4vllm18Fp8KVCacheDataTypeE1EhLi32ELi64ELi256ELb1ELi7EEvPKT_PKT0_S8_ifPKiSA_SA_iPKfiiiPfSD_PS3_PT2_iSC_SC_,@function
_Z39paged_attention_ll4mi_QKV_mfma16_kernelI14__hip_bfloat16hLN4vllm18Fp8KVCacheDataTypeE1EhLi32ELi64ELi256ELb1ELi7EEvPKT_PKT0_S8_ifPKiSA_SA_iPKfiiiPfSD_PS3_PT2_iSC_SC_: ; @_Z39paged_attention_ll4mi_QKV_mfma16_kernelI14__hip_bfloat16hLN4vllm18Fp8KVCacheDataTypeE1EhLi32ELi64ELi256ELb1ELi7EEvPKT_PKT0_S8_ifPKiSA_SA_iPKfiiiPfSD_PS3_PT2_iSC_SC_
; %bb.0:
	s_load_dwordx2 s[6:7], s[0:1], 0x30
	s_mov_b32 s28, s3
	s_mov_b64 s[8:9], 0
	s_waitcnt lgkmcnt(0)
	s_cmp_lg_u64 s[6:7], 0
	s_cselect_b64 s[10:11], -1, 0
	s_and_b64 vcc, exec, s[10:11]
	s_cbranch_vccz .LBB1174_7
; %bb.1:
	s_add_i32 s12, s2, 1
	s_mov_b32 s13, 0
	s_lshl_b64 s[14:15], s[12:13], 2
	s_add_u32 s14, s6, s14
	s_mov_b32 s3, s13
	s_addc_u32 s15, s7, s15
	s_lshl_b64 s[12:13], s[2:3], 2
	s_add_u32 s12, s6, s12
	s_addc_u32 s13, s7, s13
	s_load_dword s5, s[14:15], 0x0
	s_load_dword s16, s[12:13], 0x0
	s_waitcnt lgkmcnt(0)
	s_sub_i32 s5, s5, s16
	s_cmp_eq_u32 s5, 1
	s_cselect_b64 s[12:13], -1, 0
	s_andn2_b64 vcc, exec, s[8:9]
	s_cbranch_vccnz .LBB1174_3
.LBB1174_2:
	s_mov_b32 s3, 0
	s_mov_b64 s[12:13], -1
.LBB1174_3:
	s_andn2_b64 vcc, exec, s[12:13]
	s_cbranch_vccnz .LBB1174_20
; %bb.4:
	s_load_dwordx2 s[8:9], s[0:1], 0x28
	s_lshl_b64 s[12:13], s[2:3], 2
	s_waitcnt lgkmcnt(0)
	s_add_u32 s8, s8, s12
	s_addc_u32 s9, s9, s13
	s_load_dword s29, s[8:9], 0x0
	s_lshl_b32 s16, s28, 8
	s_waitcnt lgkmcnt(0)
	s_cmp_ge_i32 s16, s29
	s_cbranch_scc1 .LBB1174_20
; %bb.5:
	s_load_dwordx2 s[8:9], s[0:1], 0x20
	s_load_dword s5, s[0:1], 0x38
	s_add_i32 s14, s29, 31
	s_ashr_i32 s15, s14, 31
	v_and_b32_e32 v1, 0xcf, v0
	s_lshr_b32 s15, s15, 27
	v_add_u32_e32 v1, s16, v1
	s_add_i32 s14, s14, s15
	v_ashrrev_i32_e32 v2, 31, v1
	s_ashr_i32 s17, s14, 5
	v_lshrrev_b32_e32 v4, 27, v2
	s_add_i32 s17, s17, -1
	s_waitcnt lgkmcnt(0)
	s_mul_i32 s14, s2, s5
	s_mov_b32 s15, 0
	v_add_u32_e32 v2, v1, v4
	s_lshl_b64 s[14:15], s[14:15], 2
	v_ashrrev_i32_e32 v2, 5, v2
	v_mov_b32_e32 v5, s17
	v_cmp_gt_i32_e32 vcc, s29, v1
	s_add_u32 s8, s8, s14
	s_addc_u32 s9, s9, s15
	v_cndmask_b32_e32 v2, v5, v2, vcc
	v_ashrrev_i32_e32 v3, 31, v2
	v_lshl_add_u64 v[6:7], v[2:3], 2, s[8:9]
	v_or_b32_e32 v2, 16, v1
	v_add_u32_e32 v3, v2, v4
	v_ashrrev_i32_e32 v3, 5, v3
	v_cmp_gt_i32_e32 vcc, s29, v2
	s_load_dwordx2 s[14:15], s[0:1], 0x8
	s_nop 0
	v_cndmask_b32_e32 v2, v5, v3, vcc
	v_ashrrev_i32_e32 v3, 31, v2
	v_lshl_add_u64 v[8:9], v[2:3], 2, s[8:9]
	v_or_b32_e32 v2, 32, v1
	v_add_u32_e32 v3, v2, v4
	v_ashrrev_i32_e32 v3, 5, v3
	v_cmp_gt_i32_e32 vcc, s29, v2
	v_or_b32_e32 v1, 48, v1
	s_nop 0
	v_cndmask_b32_e32 v2, v5, v3, vcc
	v_ashrrev_i32_e32 v3, 31, v2
	v_lshl_add_u64 v[10:11], v[2:3], 2, s[8:9]
	v_add_u32_e32 v2, v1, v4
	v_ashrrev_i32_e32 v2, 5, v2
	v_cmp_gt_i32_e32 vcc, s29, v1
	s_nop 1
	v_cndmask_b32_e32 v2, v5, v2, vcc
	v_ashrrev_i32_e32 v3, 31, v2
	v_lshl_add_u64 v[12:13], v[2:3], 2, s[8:9]
	global_load_dword v5, v[6:7], off
	global_load_dword v4, v[8:9], off
	;; [unrolled: 1-line block ×4, first 2 shown]
	s_andn2_b64 vcc, exec, s[10:11]
	s_cbranch_vccnz .LBB1174_8
; %bb.6:
	s_add_u32 s6, s6, s12
	s_addc_u32 s7, s7, s13
	s_load_dword s5, s[6:7], 0x0
	s_branch .LBB1174_9
.LBB1174_7:
	s_mov_b64 s[12:13], 0
	s_branch .LBB1174_2
.LBB1174_8:
	s_mov_b32 s5, s2
.LBB1174_9:
	s_load_dwordx2 s[10:11], s[0:1], 0x10
	s_load_dwordx4 s[44:47], s[0:1], 0x48
	v_lshrrev_b32_e32 v29, 6, v0
	v_bfe_u32 v42, v0, 4, 2
	v_lshl_or_b32 v6, v29, 2, v42
	v_and_b32_e32 v28, 15, v0
	v_lshlrev_b32_e32 v1, 3, v28
	v_cmp_gt_u32_e32 vcc, 7, v6
	v_cmp_gt_u32_e64 s[30:31], 8, v28
	s_mul_i32 s48, s4, 7
	s_and_b64 s[12:13], s[30:31], vcc
	v_lshlrev_b32_e32 v26, 1, v1
	v_lshlrev_b32_e32 v1, 4, v0
	s_and_saveexec_b64 s[6:7], s[12:13]
	s_cbranch_execz .LBB1174_11
; %bb.10:
	s_load_dwordx2 s[12:13], s[0:1], 0x0
	s_waitcnt lgkmcnt(0)
	s_ashr_i32 s18, s44, 31
	s_mul_hi_u32 s19, s5, s44
	s_mul_i32 s18, s5, s18
	s_add_i32 s19, s19, s18
	s_mul_i32 s18, s5, s44
	s_lshl_b64 s[18:19], s[18:19], 1
	s_add_u32 s12, s12, s18
	v_add_lshl_u32 v8, v6, s48, 6
	s_addc_u32 s13, s13, s19
	v_ashrrev_i32_e32 v9, 31, v8
	v_lshl_add_u64 v[8:9], v[8:9], 1, s[12:13]
	v_mov_b32_e32 v27, 0
	v_lshl_add_u64 v[8:9], v[8:9], 0, v[26:27]
	global_load_dwordx4 v[8:11], v[8:9], off
	v_lshlrev_b32_e32 v12, 8, v28
	v_lshlrev_b32_e32 v6, 5, v6
	v_and_b32_e32 v7, 16, v1
	v_and_b32_e32 v12, 0xe00, v12
	v_or3_b32 v6, v12, v6, v7
	s_waitcnt vmcnt(0)
	ds_write_b128 v6, v[8:11]
.LBB1174_11:
	s_or_b64 exec, exec, s[6:7]
	s_waitcnt lgkmcnt(0)
	s_mul_i32 s12, s4, s46
	s_add_u32 s4, s14, s12
	s_addc_u32 s5, s15, 0
	v_mov_b32_e32 v31, 0
	v_mov_b64_e32 v[6:7], s[4:5]
	v_lshlrev_b32_e32 v10, 4, v28
	v_and_b32_e32 v27, 48, v0
	s_waitcnt vmcnt(3)
	v_mad_i64_i32 v[8:9], s[4:5], v5, s45, v[6:7]
	v_mov_b32_e32 v11, v31
	s_waitcnt vmcnt(2)
	v_mad_i64_i32 v[4:5], s[4:5], v4, s45, v[6:7]
	v_or_b32_e32 v12, 0x100, v10
	v_mov_b32_e32 v13, v31
	v_lshlrev_b32_e32 v30, 5, v27
	v_lshl_add_u64 v[8:9], v[8:9], 0, v[10:11]
	v_lshl_add_u64 v[4:5], v[4:5], 0, v[12:13]
	;; [unrolled: 1-line block ×4, first 2 shown]
	s_barrier
	global_load_dwordx4 v[22:25], v[8:9], off
	global_load_dwordx4 v[18:21], v[4:5], off
	s_waitcnt vmcnt(3)
	v_mad_i64_i32 v[4:5], s[4:5], v3, s45, v[6:7]
	v_lshl_add_u64 v[4:5], v[4:5], 0, v[10:11]
	s_waitcnt vmcnt(2)
	v_mad_i64_i32 v[2:3], s[4:5], v2, s45, v[6:7]
	v_lshl_add_u64 v[4:5], v[4:5], 0, v[30:31]
	v_lshl_add_u64 v[2:3], v[2:3], 0, v[12:13]
	;; [unrolled: 1-line block ×3, first 2 shown]
	global_load_dwordx4 v[14:17], v[4:5], off
	global_load_dwordx4 v[6:9], v[2:3], off
	v_mul_lo_u16_e32 v2, 37, v28
	v_mov_b32_e32 v3, 7
	v_mul_lo_u16_sdwa v2, v2, v3 dst_sel:DWORD dst_unused:UNUSED_PAD src0_sel:BYTE_1 src1_sel:DWORD
	v_sub_u16_e32 v2, v28, v2
	v_mov_b32_e32 v3, 5
	v_lshlrev_b32_sdwa v2, v3, v2 dst_sel:DWORD dst_unused:UNUSED_PAD src0_sel:DWORD src1_sel:BYTE_0
	v_lshl_add_u32 v2, v42, 9, v2
	ds_read_b128 v[10:13], v2
	ds_read_b128 v[2:5], v2 offset:16
	v_and_b32_e32 v43, 63, v0
	v_cmp_gt_u32_e32 vcc, 7, v28
	v_mov_b32_e32 v44, 0
	s_and_saveexec_b64 s[4:5], vcc
	s_cbranch_execz .LBB1174_13
; %bb.12:
	s_load_dwordx2 s[6:7], s[0:1], 0x40
	v_add_u32_e32 v32, s48, v28
	v_ashrrev_i32_e32 v33, 31, v32
	s_waitcnt lgkmcnt(0)
	v_lshl_add_u64 v[32:33], v[32:33], 2, s[6:7]
	global_load_dword v44, v[32:33], off
.LBB1174_13:
	s_or_b64 exec, exec, s[4:5]
	s_ashr_i32 s4, s16, 31
	v_or_b32_e32 v45, s16, v27
	s_lshr_b32 s13, s4, 27
	v_add_u32_e32 v27, s13, v45
	v_ashrrev_i32_e32 v27, 5, v27
	s_waitcnt vmcnt(3)
	v_cvt_pk_f32_fp8_e32 v[34:35], v22
	v_cvt_pk_f32_fp8_sdwa v[36:37], v22 src0_sel:WORD_1
	s_waitcnt vmcnt(2)
	v_cvt_pk_f32_fp8_e32 v[56:57], v20
	v_cvt_pk_f32_fp8_sdwa v[58:59], v20 src0_sel:WORD_1
	v_mov_b32_e32 v20, s17
	v_cmp_gt_i32_e32 vcc, s29, v45
	v_cvt_pk_f32_fp8_e32 v[48:49], v18
	v_cvt_pk_f32_fp8_sdwa v[50:51], v18 src0_sel:WORD_1
	v_cndmask_b32_e32 v18, v20, v27, vcc
	v_cvt_pk_f32_fp8_e32 v[52:53], v19
	v_cvt_pk_f32_fp8_sdwa v[54:55], v19 src0_sel:WORD_1
	v_ashrrev_i32_e32 v19, 31, v18
	v_lshl_add_u64 v[18:19], v[18:19], 2, s[8:9]
	s_mov_b32 s33, 0x7060302
	v_cvt_pk_f32_fp8_e32 v[32:33], v23
	v_cvt_pk_f32_fp8_sdwa v[22:23], v23 src0_sel:WORD_1
	global_load_dword v70, v[18:19], off
	v_perm_b32 v18, v35, v34, s33
	v_perm_b32 v19, v37, v36, s33
	v_cvt_pk_f32_fp8_e32 v[60:61], v21
	v_cvt_pk_f32_fp8_sdwa v[62:63], v21 src0_sel:WORD_1
	v_or_b32_e32 v21, 64, v45
	v_or_b32_e32 v34, 0x80, v45
	;; [unrolled: 1-line block ×3, first 2 shown]
	v_cmp_gt_i32_e32 vcc, s29, v21
	v_add_u32_e32 v21, s13, v21
	v_cmp_gt_i32_e64 s[4:5], s29, v34
	v_add_u32_e32 v34, s13, v34
	v_cmp_gt_i32_e64 s[6:7], s29, v35
	v_add_u32_e32 v35, s13, v35
	v_cvt_pk_f32_fp8_e32 v[38:39], v24
	v_cvt_pk_f32_fp8_sdwa v[40:41], v24 src0_sel:WORD_1
	v_cvt_pk_f32_fp8_e32 v[46:47], v25
	v_ashrrev_i32_e32 v21, 5, v21
	v_ashrrev_i32_e32 v34, 5, v34
	;; [unrolled: 1-line block ×3, first 2 shown]
	v_perm_b32 v32, v33, v32, s33
	v_perm_b32 v33, v23, v22, s33
	v_perm_b32 v22, v49, v48, s33
	v_perm_b32 v23, v51, v50, s33
	v_cvt_pk_f32_fp8_sdwa v[24:25], v25 src0_sel:WORD_1
	v_cndmask_b32_e32 v36, v20, v21, vcc
	v_cndmask_b32_e64 v64, v20, v34, s[4:5]
	v_cndmask_b32_e64 v66, v20, v35, s[6:7]
	s_waitcnt lgkmcnt(1)
	v_mfma_f32_16x16x16_bf16 v[18:21], v[18:19], v[10:11], 0
	v_perm_b32 v38, v39, v38, s33
	v_perm_b32 v39, v41, v40, s33
	;; [unrolled: 1-line block ×5, first 2 shown]
	s_load_dword s14, s[0:1], 0x1c
	s_load_dwordx4 s[40:43], s[0:1], 0x80
	v_perm_b32 v69, v25, v24, s33
	v_mfma_f32_16x16x16_bf16 v[22:25], v[22:23], v[10:11], 0
	s_add_u32 s10, s10, s12
	v_and_b32_e32 v30, 16, v0
	v_lshlrev_b32_e32 v27, 5, v28
	v_mfma_f32_16x16x16_bf16 v[32:35], v[32:33], v[12:13], v[18:21]
	s_addc_u32 s11, s11, 0
	v_lshl_add_u64 v[40:41], s[10:11], 0, v[30:31]
	v_lshl_or_b32 v30, v29, 9, v27
	v_ashrrev_i32_e32 v37, 31, v36
	v_ashrrev_i32_e32 v65, 31, v64
	;; [unrolled: 1-line block ×3, first 2 shown]
	v_perm_b32 v48, v57, v56, s33
	v_perm_b32 v49, v59, v58, s33
	v_mfma_f32_16x16x16_bf16 v[20:23], v[46:47], v[12:13], v[22:25]
	v_lshl_add_u64 v[18:19], v[40:41], 0, v[30:31]
	s_waitcnt lgkmcnt(0)
	s_load_dword s6, s[40:41], 0x0
	v_perm_b32 v50, v61, v60, s33
	v_mfma_f32_16x16x16_bf16 v[30:33], v[38:39], v[2:3], v[32:35]
	v_lshl_add_u64 v[24:25], v[36:37], 2, s[8:9]
	v_lshl_add_u64 v[36:37], v[66:67], 2, s[8:9]
	v_perm_b32 v51, v63, v62, s33
	v_lshl_add_u64 v[34:35], v[64:65], 2, s[8:9]
	global_load_dword v47, v[24:25], off
	global_load_dword v45, v[34:35], off
	;; [unrolled: 1-line block ×3, first 2 shown]
	s_waitcnt vmcnt(5)
	v_cvt_pk_f32_fp8_e32 v[34:35], v14
	v_cvt_pk_f32_fp8_sdwa v[36:37], v14 src0_sel:WORD_1
	v_mfma_f32_16x16x16_bf16 v[20:23], v[48:49], v[2:3], v[20:23]
	v_cvt_pk_f32_fp8_e32 v[38:39], v15
	v_perm_b32 v34, v35, v34, s33
	v_perm_b32 v35, v37, v36, s33
	v_cvt_pk_f32_fp8_sdwa v[14:15], v15 src0_sel:WORD_1
	v_mov_b32_e32 v40, s14
	s_waitcnt lgkmcnt(0)
	v_mul_f32_e32 v48, s6, v40
	v_mfma_f32_16x16x16_bf16 v[20:23], v[50:51], v[4:5], v[20:23]
	v_perm_b32 v38, v39, v38, s33
	v_cvt_pk_f32_fp8_e32 v[40:41], v16
	v_cvt_pk_f32_fp8_sdwa v[50:51], v16 src0_sel:WORD_1
	v_perm_b32 v39, v15, v14, s33
	v_mfma_f32_16x16x16_bf16 v[34:37], v[34:35], v[10:11], 0
	v_perm_b32 v40, v41, v40, s33
	v_perm_b32 v41, v51, v50, s33
	v_cvt_pk_f32_fp8_e32 v[50:51], v17
	v_cvt_pk_f32_fp8_sdwa v[52:53], v17 src0_sel:WORD_1
	v_mfma_f32_16x16x16_bf16 v[30:33], v[68:69], v[4:5], v[30:33]
	s_mov_b32 s44, 0xff7fffff
	s_waitcnt vmcnt(3)
	v_mad_i64_i32 v[24:25], s[4:5], v70, s45, v[18:19]
	v_mfma_f32_16x16x16_bf16 v[14:17], v[38:39], v[12:13], v[34:37]
	s_nop 2
	v_perm_b32 v34, v51, v50, s33
	v_perm_b32 v35, v53, v52, s33
	v_mfma_f32_16x16x16_bf16 v[14:17], v[40:41], v[2:3], v[14:17]
	v_pk_mul_f32 v[38:39], v[48:49], v[30:31] op_sel_hi:[0,1]
	v_cvt_pk_f32_fp8_e32 v[30:31], v6
	v_cvt_pk_f32_fp8_sdwa v[36:37], v6 src0_sel:WORD_1
	v_mfma_f32_16x16x16_bf16 v[14:17], v[34:35], v[4:5], v[14:17]
	v_cvt_pk_f32_fp8_e32 v[34:35], v7
	v_perm_b32 v30, v31, v30, s33
	v_perm_b32 v31, v37, v36, s33
	v_cvt_pk_f32_fp8_sdwa v[6:7], v7 src0_sel:WORD_1
	v_perm_b32 v40, v35, v34, s33
	v_cvt_pk_f32_fp8_e32 v[50:51], v8
	v_cvt_pk_f32_fp8_sdwa v[52:53], v8 src0_sel:WORD_1
	v_perm_b32 v41, v7, v6, s33
	v_mfma_f32_16x16x16_bf16 v[34:37], v[30:31], v[10:11], 0
	v_perm_b32 v10, v51, v50, s33
	v_perm_b32 v11, v53, v52, s33
	v_cvt_pk_f32_fp8_e32 v[30:31], v9
	v_cvt_pk_f32_fp8_sdwa v[50:51], v9 src0_sel:WORD_1
	v_mfma_f32_16x16x16_bf16 v[6:9], v[40:41], v[12:13], v[34:37]
	v_pk_mul_f32 v[40:41], v[48:49], v[20:21] op_sel_hi:[0,1]
	v_perm_b32 v12, v31, v30, s33
	v_perm_b32 v13, v51, v50, s33
	v_mfma_f32_16x16x16_bf16 v[6:9], v[10:11], v[2:3], v[6:9]
	v_pk_mul_f32 v[36:37], v[48:49], v[22:23] op_sel_hi:[0,1]
	v_pk_mul_f32 v[32:33], v[48:49], v[32:33] op_sel_hi:[0,1]
	;; [unrolled: 1-line block ×3, first 2 shown]
	v_mfma_f32_16x16x16_bf16 v[2:5], v[12:13], v[4:5], v[6:9]
	v_pk_mul_f32 v[34:35], v[48:49], v[14:15] op_sel_hi:[0,1]
	s_nop 5
	v_pk_mul_f32 v[22:23], v[48:49], v[2:3] op_sel_hi:[0,1]
	v_and_b32_e32 v2, 0xc0, v0
	v_add_u32_e32 v2, s16, v2
	v_lshl_or_b32 v2, v42, 2, v2
	v_or_b32_e32 v3, 1, v2
	v_pk_mul_f32 v[20:21], v[48:49], v[4:5] op_sel_hi:[0,1]
	v_subrev_u32_e32 v4, s29, v3
	v_add_u32_e32 v6, 1, v4
	v_add_u32_e32 v7, 2, v4
	;; [unrolled: 1-line block ×3, first 2 shown]
	v_cvt_f32_i32_e32 v6, v6
	v_cvt_f32_i32_e32 v7, v7
	;; [unrolled: 1-line block ×3, first 2 shown]
	v_add_u32_e32 v9, 19, v4
	v_fmac_f32_e32 v39, v44, v6
	v_fma_f32 v32, v44, v7, v32
	v_fmac_f32_e32 v33, v44, v8
	v_add_u32_e32 v6, 16, v4
	v_add_u32_e32 v7, 17, v4
	;; [unrolled: 1-line block ×3, first 2 shown]
	v_cvt_f32_i32_e32 v6, v6
	v_cvt_f32_i32_e32 v7, v7
	;; [unrolled: 1-line block ×4, first 2 shown]
	v_fma_f32 v40, v44, v6, v40
	v_fmac_f32_e32 v41, v44, v7
	v_fma_f32 v36, v44, v8, v36
	v_add_u32_e32 v6, 32, v4
	v_add_u32_e32 v7, 33, v4
	v_add_u32_e32 v8, 34, v4
	v_cvt_f32_i32_e32 v6, v6
	v_cvt_f32_i32_e32 v7, v7
	;; [unrolled: 1-line block ×4, first 2 shown]
	v_fmac_f32_e32 v37, v44, v9
	v_add_u32_e32 v9, 35, v4
	v_fma_f32 v48, v44, v6, v34
	v_fmac_f32_e32 v35, v44, v7
	v_fma_f32 v30, v44, v8, v30
	v_add_u32_e32 v6, 48, v4
	v_add_u32_e32 v7, 49, v4
	;; [unrolled: 1-line block ×4, first 2 shown]
	v_cvt_f32_i32_e32 v4, v4
	v_cvt_f32_i32_e32 v6, v6
	;; [unrolled: 1-line block ×3, first 2 shown]
	v_fma_f32 v5, v44, v5, v38
	v_fmac_f32_e32 v21, v44, v4
	v_mov_b32_e32 v4, 0xff7fffff
	v_cmp_gt_i32_e64 s[4:5], s29, v2
	v_cmp_gt_i32_e64 s[34:35], s29, v3
	v_fma_f32 v22, v44, v6, v22
	v_cndmask_b32_e64 v6, v4, v5, s[4:5]
	v_cndmask_b32_e64 v3, v4, v39, s[34:35]
	v_fmac_f32_e32 v23, v44, v7
	v_max3_f32 v3, v6, s44, v3
	v_or_b32_e32 v6, 2, v2
	v_or_b32_e32 v7, 3, v2
	v_cmp_gt_i32_e64 s[36:37], s29, v6
	v_cmp_gt_i32_e64 s[38:39], s29, v7
	v_cvt_f32_i32_e32 v9, v9
	v_cndmask_b32_e64 v6, v4, v32, s[36:37]
	v_cndmask_b32_e64 v7, v4, v33, s[38:39]
	v_max3_f32 v3, v3, v6, v7
	v_or_b32_e32 v6, 16, v2
	v_or_b32_e32 v7, 17, v2
	v_cmp_gt_i32_e64 s[24:25], s29, v6
	v_cmp_gt_i32_e64 s[26:27], s29, v7
	v_fmac_f32_e32 v31, v44, v9
	v_cndmask_b32_e64 v6, v4, v40, s[24:25]
	v_cndmask_b32_e64 v7, v4, v41, s[26:27]
	v_max3_f32 v3, v3, v6, v7
	v_or_b32_e32 v6, 18, v2
	v_or_b32_e32 v7, 19, v2
	v_cmp_gt_i32_e64 s[20:21], s29, v6
	v_cmp_gt_i32_e64 s[22:23], s29, v7
	v_cvt_f32_i32_e32 v8, v8
	v_cndmask_b32_e64 v6, v4, v36, s[20:21]
	v_cndmask_b32_e64 v7, v4, v37, s[22:23]
	v_max3_f32 v3, v3, v6, v7
	v_or_b32_e32 v6, 32, v2
	v_or_b32_e32 v7, 33, v2
	v_cmp_gt_i32_e64 s[16:17], s29, v6
	v_cmp_gt_i32_e64 s[18:19], s29, v7
	v_fma_f32 v20, v44, v8, v20
	v_cndmask_b32_e64 v6, v4, v48, s[16:17]
	v_cndmask_b32_e64 v7, v4, v35, s[18:19]
	v_max3_f32 v3, v3, v6, v7
	v_or_b32_e32 v6, 34, v2
	v_or_b32_e32 v7, 35, v2
	v_cmp_gt_i32_e64 s[12:13], s29, v6
	v_cmp_gt_i32_e64 s[14:15], s29, v7
	s_nop 0
	v_cndmask_b32_e64 v6, v4, v30, s[12:13]
	v_cndmask_b32_e64 v7, v4, v31, s[14:15]
	v_max3_f32 v3, v3, v6, v7
	v_or_b32_e32 v6, 48, v2
	v_or_b32_e32 v7, 49, v2
	v_cmp_gt_i32_e64 s[8:9], s29, v6
	v_cmp_gt_i32_e64 s[10:11], s29, v7
	s_nop 0
	v_cndmask_b32_e64 v6, v4, v22, s[8:9]
	v_cndmask_b32_e64 v7, v4, v23, s[10:11]
	v_max3_f32 v3, v3, v6, v7
	v_or_b32_e32 v6, 50, v2
	v_or_b32_e32 v2, 51, v2
	v_cmp_gt_i32_e32 vcc, s29, v6
	v_cmp_gt_i32_e64 s[6:7], s29, v2
	s_nop 0
	v_cndmask_b32_e32 v6, v4, v20, vcc
	v_cndmask_b32_e64 v2, v4, v21, s[6:7]
	v_max3_f32 v4, v3, v6, v2
	v_mbcnt_lo_u32_b32 v2, -1, 0
	v_mbcnt_hi_u32_b32 v6, -1, v2
	v_and_b32_e32 v2, 64, v6
	v_add_u32_e32 v7, 64, v2
	v_xor_b32_e32 v2, 32, v6
	v_cmp_lt_i32_e64 s[40:41], v2, v7
	s_nop 1
	v_cndmask_b32_e64 v2, v6, v2, s[40:41]
	v_lshlrev_b32_e32 v44, 2, v2
	ds_bpermute_b32 v8, v44, v4
	s_waitcnt vmcnt(2)
	v_mad_i64_i32 v[2:3], s[40:41], v47, s45, v[18:19]
	global_load_dwordx4 v[14:17], v[24:25], off
	global_load_dwordx4 v[10:13], v[2:3], off
	v_xor_b32_e32 v3, 16, v6
	v_cmp_lt_i32_e64 s[40:41], v3, v7
	s_waitcnt lgkmcnt(0)
	v_max_f32_e32 v2, v8, v8
	v_max_f32_e32 v2, v4, v2
	v_cndmask_b32_e64 v3, v6, v3, s[40:41]
	v_lshlrev_b32_e32 v47, 2, v3
	ds_bpermute_b32 v3, v47, v2
	s_waitcnt vmcnt(3)
	v_mad_i64_i32 v[24:25], s[40:41], v45, s45, v[18:19]
	s_waitcnt vmcnt(2)
	v_mad_i64_i32 v[18:19], s[40:41], v46, s45, v[18:19]
	s_waitcnt lgkmcnt(0)
	v_max_f32_e32 v3, v3, v3
	v_max_f32_e32 v34, v2, v3
	v_sub_f32_e32 v2, v5, v34
	v_mul_f32_e32 v2, 0x3fb8aa3b, v2
	v_exp_f32_e32 v38, v2
	v_sub_f32_e32 v2, v39, v34
	v_mul_f32_e32 v2, 0x3fb8aa3b, v2
	v_exp_f32_e32 v39, v2
	global_load_dwordx4 v[6:9], v[24:25], off
	global_load_dwordx4 v[2:5], v[18:19], off
	v_sub_f32_e32 v25, v32, v34
	v_sub_f32_e32 v32, v33, v34
	v_mul_f32_e32 v25, 0x3fb8aa3b, v25
	v_mul_f32_e32 v32, 0x3fb8aa3b, v32
	v_exp_f32_e32 v25, v25
	v_exp_f32_e32 v32, v32
	v_cndmask_b32_e64 v18, 0, v38, s[4:5]
	v_cndmask_b32_e64 v19, 0, v39, s[34:35]
	;; [unrolled: 1-line block ×4, first 2 shown]
	v_sub_f32_e32 v25, v40, v34
	v_sub_f32_e32 v32, v41, v34
	v_mul_f32_e32 v25, 0x3fb8aa3b, v25
	v_mul_f32_e32 v32, 0x3fb8aa3b, v32
	v_exp_f32_e32 v25, v25
	v_exp_f32_e32 v32, v32
	v_add_f32_e32 v24, 0, v18
	v_add_f32_e32 v24, v24, v19
	;; [unrolled: 1-line block ×4, first 2 shown]
	v_cndmask_b32_e64 v24, 0, v25, s[24:25]
	v_cndmask_b32_e64 v25, 0, v32, s[26:27]
	v_sub_f32_e32 v32, v36, v34
	v_mul_f32_e32 v32, 0x3fb8aa3b, v32
	v_exp_f32_e32 v32, v32
	v_sub_f32_e32 v36, v37, v34
	v_add_f32_e32 v33, v33, v24
	v_mul_f32_e32 v36, 0x3fb8aa3b, v36
	v_exp_f32_e32 v37, v36
	v_add_f32_e32 v33, v33, v25
	v_cndmask_b32_e64 v36, 0, v32, s[20:21]
	v_add_f32_e32 v32, v33, v36
	v_sub_f32_e32 v33, v48, v34
	v_mul_f32_e32 v33, 0x3fb8aa3b, v33
	v_sub_f32_e32 v35, v35, v34
	v_exp_f32_e32 v33, v33
	v_mul_f32_e32 v35, 0x3fb8aa3b, v35
	v_sub_f32_e32 v30, v30, v34
	v_exp_f32_e32 v35, v35
	;; [unrolled: 3-line block ×3, first 2 shown]
	v_mul_f32_e32 v31, 0x3fb8aa3b, v31
	v_sub_f32_e32 v22, v22, v34
	v_cndmask_b32_e64 v37, 0, v37, s[22:23]
	v_exp_f32_e32 v31, v31
	v_mul_f32_e32 v22, 0x3fb8aa3b, v22
	v_sub_f32_e32 v23, v23, v34
	v_add_f32_e32 v40, v32, v37
	v_cndmask_b32_e64 v32, 0, v33, s[16:17]
	v_exp_f32_e32 v22, v22
	v_mul_f32_e32 v23, 0x3fb8aa3b, v23
	v_sub_f32_e32 v20, v20, v34
	v_add_f32_e32 v40, v40, v32
	;; [unrolled: 5-line block ×3, first 2 shown]
	v_cndmask_b32_e64 v30, 0, v30, s[12:13]
	v_exp_f32_e32 v20, v20
	v_mul_f32_e32 v21, 0x3fb8aa3b, v21
	v_add_f32_e32 v35, v35, v30
	v_cndmask_b32_e64 v31, 0, v31, s[14:15]
	v_exp_f32_e32 v21, v21
	v_add_f32_e32 v35, v35, v31
	v_cndmask_b32_e64 v22, 0, v22, s[8:9]
	v_add_f32_e32 v35, v35, v22
	v_cndmask_b32_e64 v23, 0, v23, s[10:11]
	v_add_f32_e32 v35, v35, v23
	v_cndmask_b32_e32 v20, 0, v20, vcc
	v_add_f32_e32 v35, v35, v20
	v_cndmask_b32_e64 v21, 0, v21, s[6:7]
	v_add_f32_e32 v35, v35, v21
	ds_bpermute_b32 v40, v44, v35
	s_load_dword s7, s[0:1], 0x98
	v_cmp_gt_u32_e32 vcc, 16, v43
	s_waitcnt lgkmcnt(0)
	s_barrier
	v_add_f32_e32 v40, v35, v40
	ds_bpermute_b32 v41, v47, v40
	v_lshlrev_b32_e32 v35, 2, v28
	s_waitcnt lgkmcnt(0)
	s_and_saveexec_b64 s[4:5], vcc
	s_cbranch_execz .LBB1174_15
; %bb.14:
	v_add_f32_e32 v40, v40, v41
	v_lshl_or_b32 v41, v29, 6, v35
	ds_write2st64_b32 v41, v34, v40 offset1:1
.LBB1174_15:
	s_or_b64 exec, exec, s[4:5]
	s_load_dword s6, s[0:1], 0x94
	s_waitcnt lgkmcnt(0)
	s_barrier
	ds_read2_b32 v[40:41], v35 offset1:16
	ds_read2_b32 v[44:45], v35 offset0:32 offset1:48
	ds_read2_b32 v[46:47], v35 offset0:64 offset1:80
	s_movk_i32 s8, 0x7fff
	s_mul_i32 s7, s7, 7
	s_waitcnt lgkmcnt(2)
	v_max3_f32 v34, v40, s44, v41
	s_waitcnt lgkmcnt(1)
	v_max3_f32 v34, v34, v44, v45
	v_sub_f32_e32 v40, v40, v34
	v_mul_f32_e32 v40, 0x3fb8aa3b, v40
	v_exp_f32_e32 v43, v40
	v_sub_f32_e32 v40, v41, v34
	v_mul_f32_e32 v40, 0x3fb8aa3b, v40
	v_exp_f32_e32 v48, v40
	v_sub_f32_e32 v40, v44, v34
	v_mul_f32_e32 v40, 0x3fb8aa3b, v40
	v_exp_f32_e32 v44, v40
	ds_read2_b32 v[40:41], v35 offset0:96 offset1:112
	v_sub_f32_e32 v35, v45, v34
	v_mul_f32_e32 v35, 0x3fb8aa3b, v35
	v_exp_f32_e32 v45, v35
	s_waitcnt lgkmcnt(1)
	v_fma_f32 v35, v43, v46, 0
	v_fmac_f32_e32 v35, v48, v47
	s_waitcnt lgkmcnt(0)
	v_fmac_f32_e32 v35, v44, v40
	v_fmac_f32_e32 v35, v45, v41
	v_add_f32_e32 v40, 0x358637bd, v35
	v_div_scale_f32 v41, s[4:5], v40, v40, 1.0
	v_rcp_f32_e32 v46, v41
	s_barrier
	v_fma_f32 v47, -v41, v46, 1.0
	v_fmac_f32_e32 v46, v47, v46
	v_div_scale_f32 v47, vcc, 1.0, v40, 1.0
	v_mul_f32_e32 v49, v47, v46
	v_fma_f32 v50, -v41, v49, v47
	v_fmac_f32_e32 v49, v50, v46
	v_fma_f32 v41, -v41, v49, v47
	v_div_fmas_f32 v41, v41, v46, v49
	v_cmp_eq_u32_e32 vcc, 1, v29
	v_div_fixup_f32 v40, v41, v40, 1.0
	s_nop 0
	v_cndmask_b32_e32 v41, v43, v48, vcc
	v_cmp_eq_u32_e32 vcc, 2, v29
	s_nop 1
	v_cndmask_b32_e32 v41, v41, v44, vcc
	v_cmp_eq_u32_e32 vcc, 3, v29
	s_nop 1
	v_cndmask_b32_e32 v41, v41, v45, vcc
	v_mul_f32_e32 v40, v41, v40
	v_pk_mul_f32 v[18:19], v[40:41], v[18:19] op_sel_hi:[0,1]
	v_pk_mul_f32 v[38:39], v[40:41], v[38:39] op_sel_hi:[0,1]
	v_bfe_u32 v41, v19, 16, 1
	v_bfe_u32 v43, v18, 16, 1
	v_add3_u32 v18, v18, v43, s8
	v_add3_u32 v19, v19, v41, s8
	v_perm_b32 v44, v19, v18, s33
	v_bfe_u32 v18, v39, 16, 1
	v_bfe_u32 v19, v38, 16, 1
	v_add3_u32 v19, v38, v19, s8
	v_add3_u32 v18, v39, v18, s8
	v_perm_b32 v45, v18, v19, s33
	v_lshlrev_b32_e32 v18, 3, v42
	v_lshlrev_b32_e32 v19, 11, v29
	v_pk_mul_f32 v[24:25], v[40:41], v[24:25] op_sel_hi:[0,1]
	v_or3_b32 v18, v19, v27, v18
	v_bfe_u32 v19, v25, 16, 1
	v_bfe_u32 v29, v24, 16, 1
	v_pk_mul_f32 v[36:37], v[40:41], v[36:37] op_sel_hi:[0,1]
	v_add3_u32 v24, v24, v29, s8
	v_add3_u32 v19, v25, v19, s8
	v_perm_b32 v24, v19, v24, s33
	v_bfe_u32 v19, v37, 16, 1
	v_bfe_u32 v25, v36, 16, 1
	v_add3_u32 v25, v36, v25, s8
	v_add3_u32 v19, v37, v19, s8
	v_perm_b32 v25, v19, v25, s33
	ds_write2st64_b64 v18, v[44:45], v[24:25] offset1:1
	v_pk_mul_f32 v[24:25], v[40:41], v[30:31] op_sel_hi:[0,1]
	v_pk_mul_f32 v[30:31], v[40:41], v[32:33] op_sel_hi:[0,1]
	v_bfe_u32 v19, v31, 16, 1
	v_bfe_u32 v29, v30, 16, 1
	v_add3_u32 v29, v30, v29, s8
	v_add3_u32 v19, v31, v19, s8
	v_perm_b32 v30, v19, v29, s33
	v_bfe_u32 v19, v25, 16, 1
	v_bfe_u32 v29, v24, 16, 1
	v_add3_u32 v24, v24, v29, s8
	v_add3_u32 v19, v25, v19, s8
	v_pk_mul_f32 v[22:23], v[40:41], v[22:23] op_sel_hi:[0,1]
	v_perm_b32 v31, v19, v24, s33
	v_bfe_u32 v19, v23, 16, 1
	v_bfe_u32 v24, v22, 16, 1
	v_pk_mul_f32 v[20:21], v[40:41], v[20:21] op_sel_hi:[0,1]
	v_add3_u32 v22, v22, v24, s8
	v_add3_u32 v19, v23, v19, s8
	v_perm_b32 v22, v19, v22, s33
	v_bfe_u32 v19, v21, 16, 1
	v_bfe_u32 v23, v20, 16, 1
	v_add3_u32 v20, v20, v23, s8
	v_add3_u32 v19, v21, v19, s8
	v_perm_b32 v23, v19, v20, s33
	v_cmp_gt_u32_e32 vcc, 7, v0
	ds_write2st64_b64 v18, v[30:31], v[22:23] offset0:2 offset1:3
	s_and_saveexec_b64 s[4:5], vcc
	s_cbranch_execz .LBB1174_17
; %bb.16:
	s_mov_b32 s49, 0
	v_mov_b32_e32 v29, 0
	v_lshl_add_u64 v[20:21], s[48:49], 0, v[28:29]
	v_mov_b32_e32 v19, s7
	v_mad_u64_u32 v[20:21], s[10:11], s2, v19, v[20:21]
	s_mul_i32 s3, s3, s7
	v_mov_b32_e32 v28, s28
	s_load_dwordx4 s[12:15], s[0:1], 0x58
	v_add_u32_e32 v19, s3, v21
	v_mad_u64_u32 v[20:21], s[10:11], v20, s6, v[28:29]
	v_mov_b32_e32 v22, v21
	v_mad_u64_u32 v[22:23], s[10:11], v19, s6, v[22:23]
	v_mov_b32_e32 v21, v22
	v_lshlrev_b64 v[20:21], 2, v[20:21]
	s_waitcnt lgkmcnt(0)
	v_lshl_add_u64 v[22:23], s[14:15], 0, v[20:21]
	v_lshl_add_u64 v[20:21], s[12:13], 0, v[20:21]
	global_store_dword v[22:23], v34, off
	global_store_dword v[20:21], v35, off
.LBB1174_17:
	s_or_b64 exec, exec, s[4:5]
	s_waitcnt vmcnt(3)
	v_cvt_pk_f32_fp8_e32 v[20:21], v14
	v_cvt_pk_f32_fp8_sdwa v[22:23], v14 src0_sel:WORD_1
	s_mov_b32 s4, 0x7060302
	v_lshl_or_b32 v14, v42, 9, v27
	s_waitcnt lgkmcnt(0)
	s_barrier
	v_perm_b32 v24, v21, v20, s4
	v_perm_b32 v25, v23, v22, s4
	v_cvt_pk_f32_fp8_e32 v[28:29], v15
	ds_read_b128 v[20:23], v14
	v_cvt_pk_f32_fp8_sdwa v[36:37], v15 src0_sel:WORD_1
	s_load_dword s10, s[42:43], 0x0
	v_perm_b32 v38, v29, v28, s4
	ds_read_b128 v[28:31], v14 offset:16
	v_perm_b32 v39, v37, v36, s4
	s_waitcnt lgkmcnt(0)
	v_mfma_f32_16x16x16_bf16 v[32:35], v[24:25], v[20:21], 0
	v_cvt_pk_f32_fp8_e32 v[24:25], v16
	v_cvt_pk_f32_fp8_sdwa v[36:37], v16 src0_sel:WORD_1
	v_cmp_gt_u32_e32 vcc, 64, v0
	v_mfma_f32_16x16x16_bf16 v[20:23], v[38:39], v[22:23], v[32:35]
	v_perm_b32 v24, v25, v24, s4
	v_perm_b32 v25, v37, v36, s4
	s_mov_b32 s3, 0
	v_cvt_pk_f32_fp8_e32 v[32:33], v17
	v_cvt_pk_f32_fp8_sdwa v[16:17], v17 src0_sel:WORD_1
	s_waitcnt vmcnt(2)
	v_cvt_pk_f32_fp8_sdwa v[34:35], v10 src0_sel:WORD_1
	v_mfma_f32_16x16x16_bf16 v[20:23], v[24:25], v[28:29], v[20:23]
	v_perm_b32 v36, v33, v32, s4
	v_cvt_pk_f32_fp8_e32 v[32:33], v10
	v_perm_b32 v37, v17, v16, s4
	v_perm_b32 v17, v35, v34, s4
	v_cvt_pk_f32_fp8_e32 v[24:25], v11
	v_perm_b32 v16, v33, v32, s4
	ds_read_b128 v[32:35], v14 offset:2048
	v_cvt_pk_f32_fp8_sdwa v[10:11], v11 src0_sel:WORD_1
	v_mfma_f32_16x16x16_bf16 v[20:23], v[36:37], v[30:31], v[20:23]
	ds_read_b128 v[28:31], v14 offset:2064
	v_perm_b32 v24, v25, v24, s4
	v_perm_b32 v25, v11, v10, s4
	s_waitcnt lgkmcnt(1)
	v_mfma_f32_16x16x16_bf16 v[20:23], v[16:17], v[32:33], v[20:23]
	v_cvt_pk_f32_fp8_e32 v[10:11], v12
	v_cvt_pk_f32_fp8_sdwa v[16:17], v12 src0_sel:WORD_1
	s_waitcnt vmcnt(1)
	v_cvt_pk_f32_fp8_sdwa v[32:33], v6 src0_sel:WORD_1
	v_mfma_f32_16x16x16_bf16 v[20:23], v[24:25], v[34:35], v[20:23]
	v_cvt_pk_f32_fp8_e32 v[24:25], v13
	v_perm_b32 v10, v11, v10, s4
	v_perm_b32 v11, v17, v16, s4
	v_cvt_pk_f32_fp8_sdwa v[12:13], v13 src0_sel:WORD_1
	v_perm_b32 v16, v25, v24, s4
	v_cvt_pk_f32_fp8_e32 v[24:25], v6
	v_mov_b32_e32 v27, 0
	v_perm_b32 v17, v13, v12, s4
	s_waitcnt lgkmcnt(0)
	v_mfma_f32_16x16x16_bf16 v[10:13], v[10:11], v[28:29], v[20:23]
	v_perm_b32 v24, v25, v24, s4
	v_perm_b32 v25, v33, v32, s4
	v_cvt_pk_f32_fp8_e32 v[28:29], v7
	ds_read_b128 v[20:23], v14 offset:4096
	v_cvt_pk_f32_fp8_sdwa v[6:7], v7 src0_sel:WORD_1
	v_mfma_f32_16x16x16_bf16 v[10:13], v[16:17], v[30:31], v[10:13]
	v_perm_b32 v16, v29, v28, s4
	ds_read_b128 v[28:31], v14 offset:4112
	v_perm_b32 v17, v7, v6, s4
	s_waitcnt lgkmcnt(1)
	v_mfma_f32_16x16x16_bf16 v[10:13], v[24:25], v[20:21], v[10:13]
	v_cvt_pk_f32_fp8_e32 v[6:7], v8
	v_cvt_pk_f32_fp8_sdwa v[20:21], v8 src0_sel:WORD_1
	v_perm_b32 v6, v7, v6, s4
	v_mfma_f32_16x16x16_bf16 v[10:13], v[16:17], v[22:23], v[10:13]
	v_cvt_pk_f32_fp8_e32 v[16:17], v9
	v_perm_b32 v7, v21, v20, s4
	v_cvt_pk_f32_fp8_sdwa v[8:9], v9 src0_sel:WORD_1
	s_waitcnt vmcnt(0)
	v_cvt_pk_f32_fp8_e32 v[20:21], v2
	v_perm_b32 v16, v17, v16, s4
	v_cvt_pk_f32_fp8_sdwa v[22:23], v2 src0_sel:WORD_1
	v_perm_b32 v17, v9, v8, s4
	s_waitcnt lgkmcnt(0)
	v_mfma_f32_16x16x16_bf16 v[6:9], v[6:7], v[28:29], v[10:13]
	v_perm_b32 v20, v21, v20, s4
	v_perm_b32 v21, v23, v22, s4
	v_cvt_pk_f32_fp8_e32 v[22:23], v3
	ds_read_b128 v[10:13], v14 offset:6144
	v_cvt_pk_f32_fp8_sdwa v[2:3], v3 src0_sel:WORD_1
	v_mfma_f32_16x16x16_bf16 v[6:9], v[16:17], v[30:31], v[6:9]
	v_perm_b32 v22, v23, v22, s4
	ds_read_b128 v[14:17], v14 offset:6160
	v_perm_b32 v23, v3, v2, s4
	s_waitcnt lgkmcnt(1)
	v_mfma_f32_16x16x16_bf16 v[6:9], v[20:21], v[10:11], v[6:9]
	v_cvt_pk_f32_fp8_e32 v[2:3], v4
	v_cvt_pk_f32_fp8_sdwa v[10:11], v4 src0_sel:WORD_1
	s_waitcnt lgkmcnt(0)
	v_mfma_f32_16x16x16_bf16 v[6:9], v[22:23], v[12:13], v[6:9]
	v_perm_b32 v2, v3, v2, s4
	v_perm_b32 v3, v11, v10, s4
	v_cvt_pk_f32_fp8_e32 v[10:11], v5
	v_cvt_pk_f32_fp8_sdwa v[4:5], v5 src0_sel:WORD_1
	s_barrier
	v_perm_b32 v10, v11, v10, s4
	v_perm_b32 v11, v5, v4, s4
	v_mfma_f32_16x16x16_bf16 v[2:5], v[2:3], v[14:15], v[6:9]
	s_nop 0
	v_mfma_f32_16x16x16_bf16 v[2:5], v[10:11], v[16:17], v[2:5]
	s_nop 6
	v_pk_mul_f32 v[2:3], v[2:3], s[10:11] op_sel_hi:[1,0]
	v_pk_mul_f32 v[4:5], v[4:5], s[10:11] op_sel_hi:[1,0]
	v_bfe_u32 v6, v3, 16, 1
	v_bfe_u32 v7, v2, 16, 1
	v_add3_u32 v2, v2, v7, s8
	v_add3_u32 v3, v3, v6, s8
	v_perm_b32 v2, v3, v2, s4
	v_bfe_u32 v3, v5, 16, 1
	v_bfe_u32 v6, v4, 16, 1
	v_add3_u32 v4, v4, v6, s8
	v_add3_u32 v3, v5, v3, s8
	v_perm_b32 v3, v3, v4, s4
	s_and_b64 s[4:5], vcc, s[30:31]
	ds_write_b64 v18, v[2:3]
	s_waitcnt lgkmcnt(0)
	s_barrier
	s_and_saveexec_b64 s[8:9], s[4:5]
	s_cbranch_execz .LBB1174_20
; %bb.18:
	s_load_dwordx2 s[4:5], s[0:1], 0x68
	s_lshl_b32 s0, s6, 6
	s_mul_i32 s1, s7, s2
	s_mul_hi_u32 s7, s1, s0
	s_mul_i32 s6, s1, s0
	v_lshlrev_b32_e32 v0, 10, v0
	s_lshl_b64 s[6:7], s[6:7], 1
	v_and_b32_e32 v0, 0x1800, v0
	v_lshlrev_b32_e32 v2, 5, v42
	v_and_b32_e32 v1, 16, v1
	s_waitcnt lgkmcnt(0)
	s_add_u32 s1, s4, s6
	v_or3_b32 v2, v0, v2, v1
	s_addc_u32 s4, s5, s7
	s_lshl_b32 s2, s28, 6
	s_lshl_b64 s[2:3], s[2:3], 1
	ds_read_b128 v[4:7], v2
	s_add_u32 s2, s1, s2
	s_addc_u32 s3, s4, s3
	v_add_u32_e32 v3, s48, v42
	v_lshl_add_u64 v[0:1], s[2:3], 0, v[26:27]
	v_mad_u64_u32 v[8:9], s[2:3], v3, s0, 0
	v_lshl_add_u64 v[8:9], v[8:9], 1, v[0:1]
	v_cmp_ne_u32_e32 vcc, 3, v42
	s_waitcnt lgkmcnt(0)
	global_store_dwordx4 v[8:9], v[4:7], off
	s_and_b64 exec, exec, vcc
	s_cbranch_execz .LBB1174_20
; %bb.19:
	ds_read_b128 v[2:5], v2 offset:128
	v_add3_u32 v6, s48, v42, 4
	v_mad_u64_u32 v[6:7], s[0:1], v6, s0, 0
	v_lshl_add_u64 v[0:1], v[6:7], 1, v[0:1]
	s_waitcnt lgkmcnt(0)
	global_store_dwordx4 v[0:1], v[2:5], off
.LBB1174_20:
	s_endpgm
	.section	.rodata,"a",@progbits
	.p2align	6, 0x0
	.amdhsa_kernel _Z39paged_attention_ll4mi_QKV_mfma16_kernelI14__hip_bfloat16hLN4vllm18Fp8KVCacheDataTypeE1EhLi32ELi64ELi256ELb1ELi7EEvPKT_PKT0_S8_ifPKiSA_SA_iPKfiiiPfSD_PS3_PT2_iSC_SC_
		.amdhsa_group_segment_fixed_size 8192
		.amdhsa_private_segment_fixed_size 0
		.amdhsa_kernarg_size 400
		.amdhsa_user_sgpr_count 2
		.amdhsa_user_sgpr_dispatch_ptr 0
		.amdhsa_user_sgpr_queue_ptr 0
		.amdhsa_user_sgpr_kernarg_segment_ptr 1
		.amdhsa_user_sgpr_dispatch_id 0
		.amdhsa_user_sgpr_kernarg_preload_length 0
		.amdhsa_user_sgpr_kernarg_preload_offset 0
		.amdhsa_user_sgpr_private_segment_size 0
		.amdhsa_uses_dynamic_stack 0
		.amdhsa_enable_private_segment 0
		.amdhsa_system_sgpr_workgroup_id_x 1
		.amdhsa_system_sgpr_workgroup_id_y 1
		.amdhsa_system_sgpr_workgroup_id_z 1
		.amdhsa_system_sgpr_workgroup_info 0
		.amdhsa_system_vgpr_workitem_id 0
		.amdhsa_next_free_vgpr 71
		.amdhsa_next_free_sgpr 50
		.amdhsa_accum_offset 72
		.amdhsa_reserve_vcc 1
		.amdhsa_float_round_mode_32 0
		.amdhsa_float_round_mode_16_64 0
		.amdhsa_float_denorm_mode_32 3
		.amdhsa_float_denorm_mode_16_64 3
		.amdhsa_dx10_clamp 1
		.amdhsa_ieee_mode 1
		.amdhsa_fp16_overflow 0
		.amdhsa_tg_split 0
		.amdhsa_exception_fp_ieee_invalid_op 0
		.amdhsa_exception_fp_denorm_src 0
		.amdhsa_exception_fp_ieee_div_zero 0
		.amdhsa_exception_fp_ieee_overflow 0
		.amdhsa_exception_fp_ieee_underflow 0
		.amdhsa_exception_fp_ieee_inexact 0
		.amdhsa_exception_int_div_zero 0
	.end_amdhsa_kernel
	.section	.text._Z39paged_attention_ll4mi_QKV_mfma16_kernelI14__hip_bfloat16hLN4vllm18Fp8KVCacheDataTypeE1EhLi32ELi64ELi256ELb1ELi7EEvPKT_PKT0_S8_ifPKiSA_SA_iPKfiiiPfSD_PS3_PT2_iSC_SC_,"axG",@progbits,_Z39paged_attention_ll4mi_QKV_mfma16_kernelI14__hip_bfloat16hLN4vllm18Fp8KVCacheDataTypeE1EhLi32ELi64ELi256ELb1ELi7EEvPKT_PKT0_S8_ifPKiSA_SA_iPKfiiiPfSD_PS3_PT2_iSC_SC_,comdat
.Lfunc_end1174:
	.size	_Z39paged_attention_ll4mi_QKV_mfma16_kernelI14__hip_bfloat16hLN4vllm18Fp8KVCacheDataTypeE1EhLi32ELi64ELi256ELb1ELi7EEvPKT_PKT0_S8_ifPKiSA_SA_iPKfiiiPfSD_PS3_PT2_iSC_SC_, .Lfunc_end1174-_Z39paged_attention_ll4mi_QKV_mfma16_kernelI14__hip_bfloat16hLN4vllm18Fp8KVCacheDataTypeE1EhLi32ELi64ELi256ELb1ELi7EEvPKT_PKT0_S8_ifPKiSA_SA_iPKfiiiPfSD_PS3_PT2_iSC_SC_
                                        ; -- End function
	.section	.AMDGPU.csdata,"",@progbits
; Kernel info:
; codeLenInByte = 5216
; NumSgprs: 56
; NumVgprs: 71
; NumAgprs: 0
; TotalNumVgprs: 71
; ScratchSize: 0
; MemoryBound: 0
; FloatMode: 240
; IeeeMode: 1
; LDSByteSize: 8192 bytes/workgroup (compile time only)
; SGPRBlocks: 6
; VGPRBlocks: 8
; NumSGPRsForWavesPerEU: 56
; NumVGPRsForWavesPerEU: 71
; AccumOffset: 72
; Occupancy: 7
; WaveLimiterHint : 1
; COMPUTE_PGM_RSRC2:SCRATCH_EN: 0
; COMPUTE_PGM_RSRC2:USER_SGPR: 2
; COMPUTE_PGM_RSRC2:TRAP_HANDLER: 0
; COMPUTE_PGM_RSRC2:TGID_X_EN: 1
; COMPUTE_PGM_RSRC2:TGID_Y_EN: 1
; COMPUTE_PGM_RSRC2:TGID_Z_EN: 1
; COMPUTE_PGM_RSRC2:TIDIG_COMP_CNT: 0
; COMPUTE_PGM_RSRC3_GFX90A:ACCUM_OFFSET: 17
; COMPUTE_PGM_RSRC3_GFX90A:TG_SPLIT: 0
	.section	.text._Z39paged_attention_ll4mi_QKV_mfma16_kernelI14__hip_bfloat16hLN4vllm18Fp8KVCacheDataTypeE1EhLi32ELi64ELi256ELb1ELi8EEvPKT_PKT0_S8_ifPKiSA_SA_iPKfiiiPfSD_PS3_PT2_iSC_SC_,"axG",@progbits,_Z39paged_attention_ll4mi_QKV_mfma16_kernelI14__hip_bfloat16hLN4vllm18Fp8KVCacheDataTypeE1EhLi32ELi64ELi256ELb1ELi8EEvPKT_PKT0_S8_ifPKiSA_SA_iPKfiiiPfSD_PS3_PT2_iSC_SC_,comdat
	.protected	_Z39paged_attention_ll4mi_QKV_mfma16_kernelI14__hip_bfloat16hLN4vllm18Fp8KVCacheDataTypeE1EhLi32ELi64ELi256ELb1ELi8EEvPKT_PKT0_S8_ifPKiSA_SA_iPKfiiiPfSD_PS3_PT2_iSC_SC_ ; -- Begin function _Z39paged_attention_ll4mi_QKV_mfma16_kernelI14__hip_bfloat16hLN4vllm18Fp8KVCacheDataTypeE1EhLi32ELi64ELi256ELb1ELi8EEvPKT_PKT0_S8_ifPKiSA_SA_iPKfiiiPfSD_PS3_PT2_iSC_SC_
	.globl	_Z39paged_attention_ll4mi_QKV_mfma16_kernelI14__hip_bfloat16hLN4vllm18Fp8KVCacheDataTypeE1EhLi32ELi64ELi256ELb1ELi8EEvPKT_PKT0_S8_ifPKiSA_SA_iPKfiiiPfSD_PS3_PT2_iSC_SC_
	.p2align	8
	.type	_Z39paged_attention_ll4mi_QKV_mfma16_kernelI14__hip_bfloat16hLN4vllm18Fp8KVCacheDataTypeE1EhLi32ELi64ELi256ELb1ELi8EEvPKT_PKT0_S8_ifPKiSA_SA_iPKfiiiPfSD_PS3_PT2_iSC_SC_,@function
_Z39paged_attention_ll4mi_QKV_mfma16_kernelI14__hip_bfloat16hLN4vllm18Fp8KVCacheDataTypeE1EhLi32ELi64ELi256ELb1ELi8EEvPKT_PKT0_S8_ifPKiSA_SA_iPKfiiiPfSD_PS3_PT2_iSC_SC_: ; @_Z39paged_attention_ll4mi_QKV_mfma16_kernelI14__hip_bfloat16hLN4vllm18Fp8KVCacheDataTypeE1EhLi32ELi64ELi256ELb1ELi8EEvPKT_PKT0_S8_ifPKiSA_SA_iPKfiiiPfSD_PS3_PT2_iSC_SC_
; %bb.0:
	s_load_dwordx2 s[8:9], s[0:1], 0x30
	s_mov_b32 s28, s3
	s_mov_b64 s[6:7], 0
	s_waitcnt lgkmcnt(0)
	s_cmp_lg_u64 s[8:9], 0
	s_cselect_b64 s[10:11], -1, 0
	s_and_b64 vcc, exec, s[10:11]
	s_cbranch_vccz .LBB1175_7
; %bb.1:
	s_add_i32 s12, s2, 1
	s_mov_b32 s13, 0
	s_lshl_b64 s[14:15], s[12:13], 2
	s_add_u32 s14, s8, s14
	s_mov_b32 s3, s13
	s_addc_u32 s15, s9, s15
	s_lshl_b64 s[12:13], s[2:3], 2
	s_add_u32 s12, s8, s12
	s_addc_u32 s13, s9, s13
	s_load_dword s5, s[14:15], 0x0
	s_load_dword s16, s[12:13], 0x0
	s_waitcnt lgkmcnt(0)
	s_sub_i32 s5, s5, s16
	s_cmp_eq_u32 s5, 1
	s_cselect_b64 s[12:13], -1, 0
	s_andn2_b64 vcc, exec, s[6:7]
	s_cbranch_vccnz .LBB1175_3
.LBB1175_2:
	s_mov_b32 s3, 0
	s_mov_b64 s[12:13], -1
.LBB1175_3:
	s_andn2_b64 vcc, exec, s[12:13]
	s_cbranch_vccnz .LBB1175_19
; %bb.4:
	s_load_dwordx2 s[6:7], s[0:1], 0x28
	s_lshl_b64 s[12:13], s[2:3], 2
	s_waitcnt lgkmcnt(0)
	s_add_u32 s6, s6, s12
	s_addc_u32 s7, s7, s13
	s_load_dword s33, s[6:7], 0x0
	s_lshl_b32 s16, s28, 8
	s_waitcnt lgkmcnt(0)
	s_cmp_ge_i32 s16, s33
	s_cbranch_scc1 .LBB1175_19
; %bb.5:
	s_load_dwordx2 s[6:7], s[0:1], 0x20
	s_load_dword s5, s[0:1], 0x38
	s_add_i32 s14, s33, 31
	s_ashr_i32 s15, s14, 31
	v_and_b32_e32 v1, 0xcf, v0
	s_lshr_b32 s15, s15, 27
	v_add_u32_e32 v1, s16, v1
	s_add_i32 s14, s14, s15
	v_ashrrev_i32_e32 v2, 31, v1
	s_ashr_i32 s17, s14, 5
	v_lshrrev_b32_e32 v4, 27, v2
	s_add_i32 s17, s17, -1
	s_waitcnt lgkmcnt(0)
	s_mul_i32 s14, s2, s5
	s_mov_b32 s15, 0
	v_add_u32_e32 v2, v1, v4
	s_lshl_b64 s[14:15], s[14:15], 2
	v_ashrrev_i32_e32 v2, 5, v2
	v_mov_b32_e32 v5, s17
	v_cmp_gt_i32_e32 vcc, s33, v1
	s_add_u32 s6, s6, s14
	s_addc_u32 s7, s7, s15
	v_cndmask_b32_e32 v2, v5, v2, vcc
	v_ashrrev_i32_e32 v3, 31, v2
	v_lshl_add_u64 v[6:7], v[2:3], 2, s[6:7]
	v_or_b32_e32 v2, 16, v1
	v_add_u32_e32 v3, v2, v4
	v_ashrrev_i32_e32 v3, 5, v3
	v_cmp_gt_i32_e32 vcc, s33, v2
	s_load_dwordx2 s[14:15], s[0:1], 0x8
	s_nop 0
	v_cndmask_b32_e32 v2, v5, v3, vcc
	v_ashrrev_i32_e32 v3, 31, v2
	v_lshl_add_u64 v[8:9], v[2:3], 2, s[6:7]
	v_or_b32_e32 v2, 32, v1
	v_add_u32_e32 v3, v2, v4
	v_ashrrev_i32_e32 v3, 5, v3
	v_cmp_gt_i32_e32 vcc, s33, v2
	v_or_b32_e32 v1, 48, v1
	s_nop 0
	v_cndmask_b32_e32 v2, v5, v3, vcc
	v_ashrrev_i32_e32 v3, 31, v2
	v_lshl_add_u64 v[10:11], v[2:3], 2, s[6:7]
	v_add_u32_e32 v2, v1, v4
	v_ashrrev_i32_e32 v2, 5, v2
	v_cmp_gt_i32_e32 vcc, s33, v1
	s_nop 1
	v_cndmask_b32_e32 v2, v5, v2, vcc
	v_ashrrev_i32_e32 v3, 31, v2
	v_lshl_add_u64 v[12:13], v[2:3], 2, s[6:7]
	global_load_dword v5, v[6:7], off
	global_load_dword v4, v[8:9], off
	;; [unrolled: 1-line block ×4, first 2 shown]
	s_andn2_b64 vcc, exec, s[10:11]
	s_cbranch_vccnz .LBB1175_8
; %bb.6:
	s_add_u32 s8, s8, s12
	s_addc_u32 s9, s9, s13
	s_load_dword s5, s[8:9], 0x0
	s_branch .LBB1175_9
.LBB1175_7:
	s_mov_b64 s[12:13], 0
	s_branch .LBB1175_2
.LBB1175_8:
	s_mov_b32 s5, s2
.LBB1175_9:
	s_load_dwordx2 s[8:9], s[0:1], 0x10
	s_load_dwordx4 s[44:47], s[0:1], 0x48
	v_and_b32_e32 v42, 15, v0
	s_movk_i32 s10, 0x80
	v_lshlrev_b32_e32 v6, 3, v42
	v_cmp_gt_u32_e32 vcc, s10, v0
	v_cmp_gt_u32_e64 s[30:31], 8, v42
	v_lshrrev_b32_e32 v41, 6, v0
	v_bfe_u32 v1, v0, 4, 2
	s_lshl_b32 s29, s4, 3
	s_and_b64 s[12:13], vcc, s[30:31]
	v_lshlrev_b32_e32 v26, 1, v6
	v_lshlrev_b32_e32 v40, 4, v0
	s_and_saveexec_b64 s[10:11], s[12:13]
	s_cbranch_execz .LBB1175_11
; %bb.10:
	s_load_dwordx2 s[12:13], s[0:1], 0x0
	s_waitcnt lgkmcnt(0)
	s_ashr_i32 s18, s44, 31
	s_mul_hi_u32 s19, s5, s44
	s_mul_i32 s18, s5, s18
	s_add_i32 s19, s19, s18
	s_mul_i32 s18, s5, s44
	v_lshl_or_b32 v10, v41, 2, v1
	s_lshl_b64 s[18:19], s[18:19], 1
	s_add_u32 s12, s12, s18
	v_add_lshl_u32 v6, v10, s29, 6
	s_addc_u32 s13, s13, s19
	v_ashrrev_i32_e32 v7, 31, v6
	v_lshl_add_u64 v[6:7], v[6:7], 1, s[12:13]
	v_mov_b32_e32 v27, 0
	v_lshl_add_u64 v[6:7], v[6:7], 0, v[26:27]
	global_load_dwordx4 v[6:9], v[6:7], off
	v_lshlrev_b32_e32 v12, 8, v42
	v_lshlrev_b32_e32 v10, 5, v10
	v_and_b32_e32 v11, 16, v40
	v_and_b32_e32 v12, 0xe00, v12
	v_or3_b32 v10, v12, v10, v11
	s_waitcnt vmcnt(0)
	ds_write_b128 v10, v[6:9]
.LBB1175_11:
	s_or_b64 exec, exec, s[10:11]
	s_waitcnt lgkmcnt(0)
	s_mul_i32 s10, s4, s46
	s_add_u32 s4, s14, s10
	s_addc_u32 s5, s15, 0
	v_mov_b32_e32 v29, 0
	v_mov_b64_e32 v[6:7], s[4:5]
	v_lshlrev_b32_e32 v10, 4, v42
	v_and_b32_e32 v27, 48, v0
	s_waitcnt vmcnt(3)
	v_mad_i64_i32 v[8:9], s[4:5], v5, s45, v[6:7]
	v_mov_b32_e32 v11, v29
	s_waitcnt vmcnt(2)
	v_mad_i64_i32 v[4:5], s[4:5], v4, s45, v[6:7]
	v_or_b32_e32 v12, 0x100, v10
	v_mov_b32_e32 v13, v29
	v_lshlrev_b32_e32 v28, 5, v27
	v_lshl_add_u64 v[8:9], v[8:9], 0, v[10:11]
	v_lshl_add_u64 v[4:5], v[4:5], 0, v[12:13]
	;; [unrolled: 1-line block ×4, first 2 shown]
	s_barrier
	global_load_dwordx4 v[22:25], v[8:9], off
	global_load_dwordx4 v[18:21], v[4:5], off
	s_waitcnt vmcnt(3)
	v_mad_i64_i32 v[4:5], s[4:5], v3, s45, v[6:7]
	v_lshl_add_u64 v[4:5], v[4:5], 0, v[10:11]
	s_waitcnt vmcnt(2)
	v_mad_i64_i32 v[2:3], s[4:5], v2, s45, v[6:7]
	v_lshl_add_u64 v[4:5], v[4:5], 0, v[28:29]
	v_lshl_add_u64 v[2:3], v[2:3], 0, v[12:13]
	;; [unrolled: 1-line block ×3, first 2 shown]
	global_load_dwordx4 v[14:17], v[4:5], off
	global_load_dwordx4 v[6:9], v[2:3], off
	v_and_b32_e32 v2, 7, v0
	v_lshlrev_b32_e32 v2, 5, v2
	v_lshl_or_b32 v2, v1, 9, v2
	ds_read_b128 v[10:13], v2
	ds_read_b128 v[2:5], v2 offset:16
	v_and_b32_e32 v43, 63, v0
	v_mov_b32_e32 v44, 0
	s_and_saveexec_b64 s[4:5], s[30:31]
	s_cbranch_execz .LBB1175_13
; %bb.12:
	s_load_dwordx2 s[12:13], s[0:1], 0x40
	v_or_b32_e32 v30, s29, v42
	v_ashrrev_i32_e32 v31, 31, v30
	s_waitcnt lgkmcnt(0)
	v_lshl_add_u64 v[30:31], v[30:31], 2, s[12:13]
	global_load_dword v44, v[30:31], off
.LBB1175_13:
	s_or_b64 exec, exec, s[4:5]
	s_ashr_i32 s4, s16, 31
	v_or_b32_e32 v45, s16, v27
	s_lshr_b32 s4, s4, 27
	v_add_u32_e32 v27, s4, v45
	v_ashrrev_i32_e32 v27, 5, v27
	v_mov_b32_e32 v65, s17
	v_cmp_gt_i32_e32 vcc, s33, v45
	s_waitcnt vmcnt(3)
	v_cvt_pk_f32_fp8_sdwa v[32:33], v22 src0_sel:WORD_1
	v_cvt_pk_f32_fp8_e32 v[34:35], v23
	v_cndmask_b32_e32 v30, v65, v27, vcc
	v_ashrrev_i32_e32 v31, 31, v30
	v_lshl_add_u64 v[30:31], v[30:31], 2, s[6:7]
	global_load_dword v72, v[30:31], off
	v_cvt_pk_f32_fp8_e32 v[30:31], v22
	v_cvt_pk_f32_fp8_sdwa v[22:23], v23 src0_sel:WORD_1
	s_waitcnt vmcnt(3)
	v_cvt_pk_f32_fp8_e32 v[48:49], v18
	v_cvt_pk_f32_fp8_sdwa v[50:51], v18 src0_sel:WORD_1
	v_or_b32_e32 v18, 64, v45
	v_cvt_pk_f32_fp8_e32 v[56:57], v20
	v_cvt_pk_f32_fp8_sdwa v[58:59], v20 src0_sel:WORD_1
	v_cvt_pk_f32_fp8_e32 v[60:61], v21
	v_cvt_pk_f32_fp8_sdwa v[62:63], v21 src0_sel:WORD_1
	v_or_b32_e32 v20, 0xc0, v45
	v_add_u32_e32 v21, s4, v18
	s_mov_b32 s44, 0x7060302
	v_cvt_pk_f32_fp8_e32 v[52:53], v19
	v_cvt_pk_f32_fp8_sdwa v[54:55], v19 src0_sel:WORD_1
	v_or_b32_e32 v19, 0x80, v45
	v_add_u32_e32 v64, s4, v20
	v_ashrrev_i32_e32 v21, 5, v21
	v_cmp_gt_i32_e32 vcc, s33, v18
	v_add_u32_e32 v45, s4, v19
	v_ashrrev_i32_e32 v67, 5, v64
	v_cndmask_b32_e32 v64, v65, v21, vcc
	v_cmp_gt_i32_e32 vcc, s33, v19
	v_perm_b32 v18, v31, v30, s44
	v_perm_b32 v19, v33, v32, s44
	v_cvt_pk_f32_fp8_sdwa v[38:39], v24 src0_sel:WORD_1
	v_perm_b32 v31, v23, v22, s44
	v_perm_b32 v22, v49, v48, s44
	;; [unrolled: 1-line block ×3, first 2 shown]
	v_cvt_pk_f32_fp8_e32 v[36:37], v24
	v_cvt_pk_f32_fp8_e32 v[46:47], v25
	v_cvt_pk_f32_fp8_sdwa v[24:25], v25 src0_sel:WORD_1
	v_ashrrev_i32_e32 v45, 5, v45
	v_perm_b32 v30, v35, v34, s44
	v_cndmask_b32_e32 v66, v65, v45, vcc
	v_cmp_gt_i32_e32 vcc, s33, v20
	v_perm_b32 v35, v39, v38, s44
	s_waitcnt lgkmcnt(1)
	v_mfma_f32_16x16x16_bf16 v[18:21], v[18:19], v[10:11], 0
	v_perm_b32 v38, v53, v52, s44
	v_perm_b32 v39, v55, v54, s44
	;; [unrolled: 1-line block ×4, first 2 shown]
	v_mfma_f32_16x16x16_bf16 v[22:25], v[22:23], v[10:11], 0
	s_load_dword s11, s[0:1], 0x1c
	s_load_dwordx4 s[40:43], s[0:1], 0x80
	v_perm_b32 v36, v47, v46, s44
	v_perm_b32 v46, v57, v56, s44
	;; [unrolled: 1-line block ×3, first 2 shown]
	v_mfma_f32_16x16x16_bf16 v[30:33], v[30:31], v[12:13], v[18:21]
	s_add_u32 s4, s8, s10
	v_and_b32_e32 v28, 16, v0
	v_lshlrev_b32_e32 v27, 5, v42
	v_mfma_f32_16x16x16_bf16 v[20:23], v[38:39], v[12:13], v[22:25]
	s_addc_u32 s5, s9, 0
	v_cndmask_b32_e32 v68, v65, v67, vcc
	v_lshl_add_u64 v[70:71], s[4:5], 0, v[28:29]
	v_lshl_or_b32 v28, v41, 9, v27
	v_ashrrev_i32_e32 v65, 31, v64
	v_ashrrev_i32_e32 v67, 31, v66
	;; [unrolled: 1-line block ×3, first 2 shown]
	v_lshl_add_u64 v[18:19], v[70:71], 0, v[28:29]
	s_waitcnt lgkmcnt(0)
	v_mfma_f32_16x16x16_bf16 v[28:31], v[34:35], v[2:3], v[30:33]
	v_lshl_add_u64 v[24:25], v[64:65], 2, s[6:7]
	v_lshl_add_u64 v[34:35], v[68:69], 2, s[6:7]
	s_load_dword s8, s[40:41], 0x0
	v_lshl_add_u64 v[32:33], v[66:67], 2, s[6:7]
	v_mfma_f32_16x16x16_bf16 v[20:23], v[46:47], v[2:3], v[20:23]
	global_load_dword v47, v[24:25], off
	global_load_dword v45, v[32:33], off
	;; [unrolled: 1-line block ×3, first 2 shown]
	s_waitcnt vmcnt(5)
	v_cvt_pk_f32_fp8_e32 v[32:33], v14
	v_cvt_pk_f32_fp8_sdwa v[34:35], v14 src0_sel:WORD_1
	v_perm_b32 v48, v61, v60, s44
	v_perm_b32 v49, v63, v62, s44
	v_mfma_f32_16x16x16_bf16 v[28:31], v[36:37], v[4:5], v[28:31]
	v_cvt_pk_f32_fp8_e32 v[36:37], v15
	v_perm_b32 v32, v33, v32, s44
	v_perm_b32 v33, v35, v34, s44
	v_cvt_pk_f32_fp8_sdwa v[14:15], v15 src0_sel:WORD_1
	v_mov_b32_e32 v38, s11
	s_waitcnt lgkmcnt(0)
	v_mul_f32_e32 v50, s8, v38
	v_mfma_f32_16x16x16_bf16 v[20:23], v[48:49], v[4:5], v[20:23]
	v_perm_b32 v36, v37, v36, s44
	v_cvt_pk_f32_fp8_e32 v[38:39], v16
	v_cvt_pk_f32_fp8_sdwa v[48:49], v16 src0_sel:WORD_1
	v_perm_b32 v37, v15, v14, s44
	v_mfma_f32_16x16x16_bf16 v[32:35], v[32:33], v[10:11], 0
	v_perm_b32 v38, v39, v38, s44
	v_perm_b32 v39, v49, v48, s44
	v_cvt_pk_f32_fp8_e32 v[48:49], v17
	v_cvt_pk_f32_fp8_sdwa v[52:53], v17 src0_sel:WORD_1
	v_mfma_f32_16x16x16_bf16 v[14:17], v[36:37], v[12:13], v[32:35]
	v_pk_mul_f32 v[36:37], v[50:51], v[28:29] op_sel_hi:[0,1]
	s_waitcnt vmcnt(4)
	v_cvt_pk_f32_fp8_e32 v[28:29], v6
	v_pk_mul_f32 v[30:31], v[50:51], v[30:31] op_sel_hi:[0,1]
	v_perm_b32 v32, v49, v48, s44
	v_perm_b32 v33, v53, v52, s44
	v_mfma_f32_16x16x16_bf16 v[14:17], v[38:39], v[2:3], v[14:17]
	v_cvt_pk_f32_fp8_sdwa v[34:35], v6 src0_sel:WORD_1
	v_perm_b32 v28, v29, v28, s44
	v_cvt_pk_f32_fp8_e32 v[48:49], v8
	v_mfma_f32_16x16x16_bf16 v[14:17], v[32:33], v[4:5], v[14:17]
	v_cvt_pk_f32_fp8_e32 v[32:33], v7
	v_perm_b32 v29, v35, v34, s44
	v_cvt_pk_f32_fp8_sdwa v[6:7], v7 src0_sel:WORD_1
	v_cvt_pk_f32_fp8_sdwa v[52:53], v8 src0_sel:WORD_1
	v_perm_b32 v38, v33, v32, s44
	v_mfma_f32_16x16x16_bf16 v[32:35], v[28:29], v[10:11], 0
	v_perm_b32 v39, v7, v6, s44
	v_perm_b32 v10, v49, v48, s44
	;; [unrolled: 1-line block ×3, first 2 shown]
	v_cvt_pk_f32_fp8_e32 v[28:29], v9
	v_cvt_pk_f32_fp8_sdwa v[48:49], v9 src0_sel:WORD_1
	v_mfma_f32_16x16x16_bf16 v[6:9], v[38:39], v[12:13], v[32:35]
	v_pk_mul_f32 v[38:39], v[50:51], v[20:21] op_sel_hi:[0,1]
	v_perm_b32 v12, v29, v28, s44
	v_perm_b32 v13, v49, v48, s44
	v_mfma_f32_16x16x16_bf16 v[6:9], v[10:11], v[2:3], v[6:9]
	v_pk_mul_f32 v[34:35], v[50:51], v[22:23] op_sel_hi:[0,1]
	v_pk_mul_f32 v[28:29], v[50:51], v[16:17] op_sel_hi:[0,1]
	;; [unrolled: 1-line block ×3, first 2 shown]
	v_mfma_f32_16x16x16_bf16 v[2:5], v[12:13], v[4:5], v[6:9]
	s_waitcnt vmcnt(3)
	v_mad_i64_i32 v[24:25], s[4:5], v72, s45, v[18:19]
	s_mov_b32 s46, 0xff7fffff
	s_nop 3
	v_pk_mul_f32 v[22:23], v[50:51], v[2:3] op_sel_hi:[0,1]
	v_and_b32_e32 v2, 0xc0, v0
	v_add_u32_e32 v2, s16, v2
	v_lshl_or_b32 v2, v1, 2, v2
	v_or_b32_e32 v3, 1, v2
	v_pk_mul_f32 v[20:21], v[50:51], v[4:5] op_sel_hi:[0,1]
	v_subrev_u32_e32 v4, s33, v3
	v_add_u32_e32 v6, 1, v4
	v_add_u32_e32 v7, 2, v4
	;; [unrolled: 1-line block ×3, first 2 shown]
	v_cvt_f32_i32_e32 v6, v6
	v_cvt_f32_i32_e32 v7, v7
	;; [unrolled: 1-line block ×3, first 2 shown]
	v_add_u32_e32 v9, 19, v4
	v_fmac_f32_e32 v37, v44, v6
	v_fma_f32 v30, v44, v7, v30
	v_fmac_f32_e32 v31, v44, v8
	v_add_u32_e32 v6, 16, v4
	v_add_u32_e32 v7, 17, v4
	;; [unrolled: 1-line block ×3, first 2 shown]
	v_cvt_f32_i32_e32 v6, v6
	v_cvt_f32_i32_e32 v7, v7
	;; [unrolled: 1-line block ×4, first 2 shown]
	v_fma_f32 v38, v44, v6, v38
	v_fmac_f32_e32 v39, v44, v7
	v_fma_f32 v34, v44, v8, v34
	v_add_u32_e32 v6, 32, v4
	v_add_u32_e32 v7, 33, v4
	;; [unrolled: 1-line block ×3, first 2 shown]
	v_cvt_f32_i32_e32 v6, v6
	v_cvt_f32_i32_e32 v7, v7
	;; [unrolled: 1-line block ×4, first 2 shown]
	v_fmac_f32_e32 v35, v44, v9
	v_add_u32_e32 v9, 35, v4
	v_fma_f32 v48, v44, v6, v32
	v_fmac_f32_e32 v33, v44, v7
	v_fma_f32 v28, v44, v8, v28
	v_add_u32_e32 v6, 48, v4
	v_add_u32_e32 v7, 49, v4
	;; [unrolled: 1-line block ×4, first 2 shown]
	v_cvt_f32_i32_e32 v4, v4
	v_cvt_f32_i32_e32 v6, v6
	;; [unrolled: 1-line block ×3, first 2 shown]
	v_fma_f32 v5, v44, v5, v36
	v_fmac_f32_e32 v21, v44, v4
	v_mov_b32_e32 v4, 0xff7fffff
	v_cmp_gt_i32_e64 s[4:5], s33, v2
	v_cmp_gt_i32_e64 s[34:35], s33, v3
	v_fma_f32 v22, v44, v6, v22
	v_cndmask_b32_e64 v6, v4, v5, s[4:5]
	v_cndmask_b32_e64 v3, v4, v37, s[34:35]
	v_fmac_f32_e32 v23, v44, v7
	v_max3_f32 v3, v6, s46, v3
	v_or_b32_e32 v6, 2, v2
	v_or_b32_e32 v7, 3, v2
	v_cmp_gt_i32_e64 s[36:37], s33, v6
	v_cmp_gt_i32_e64 s[38:39], s33, v7
	v_cvt_f32_i32_e32 v9, v9
	v_cndmask_b32_e64 v6, v4, v30, s[36:37]
	v_cndmask_b32_e64 v7, v4, v31, s[38:39]
	v_max3_f32 v3, v3, v6, v7
	v_or_b32_e32 v6, 16, v2
	v_or_b32_e32 v7, 17, v2
	v_cmp_gt_i32_e64 s[24:25], s33, v6
	v_cmp_gt_i32_e64 s[26:27], s33, v7
	v_fmac_f32_e32 v29, v44, v9
	v_cndmask_b32_e64 v6, v4, v38, s[24:25]
	v_cndmask_b32_e64 v7, v4, v39, s[26:27]
	v_max3_f32 v3, v3, v6, v7
	v_or_b32_e32 v6, 18, v2
	v_or_b32_e32 v7, 19, v2
	v_cmp_gt_i32_e64 s[20:21], s33, v6
	v_cmp_gt_i32_e64 s[22:23], s33, v7
	v_cvt_f32_i32_e32 v8, v8
	v_cndmask_b32_e64 v6, v4, v34, s[20:21]
	v_cndmask_b32_e64 v7, v4, v35, s[22:23]
	v_max3_f32 v3, v3, v6, v7
	v_or_b32_e32 v6, 32, v2
	v_or_b32_e32 v7, 33, v2
	v_cmp_gt_i32_e64 s[16:17], s33, v6
	v_cmp_gt_i32_e64 s[18:19], s33, v7
	v_fma_f32 v20, v44, v8, v20
	v_cndmask_b32_e64 v6, v4, v48, s[16:17]
	v_cndmask_b32_e64 v7, v4, v33, s[18:19]
	v_max3_f32 v3, v3, v6, v7
	v_or_b32_e32 v6, 34, v2
	v_or_b32_e32 v7, 35, v2
	v_cmp_gt_i32_e64 s[12:13], s33, v6
	v_cmp_gt_i32_e64 s[14:15], s33, v7
	s_nop 0
	v_cndmask_b32_e64 v6, v4, v28, s[12:13]
	v_cndmask_b32_e64 v7, v4, v29, s[14:15]
	v_max3_f32 v3, v3, v6, v7
	v_or_b32_e32 v6, 48, v2
	v_or_b32_e32 v7, 49, v2
	v_cmp_gt_i32_e64 s[8:9], s33, v6
	v_cmp_gt_i32_e64 s[10:11], s33, v7
	s_nop 0
	v_cndmask_b32_e64 v6, v4, v22, s[8:9]
	v_cndmask_b32_e64 v7, v4, v23, s[10:11]
	v_max3_f32 v3, v3, v6, v7
	v_or_b32_e32 v6, 50, v2
	v_or_b32_e32 v2, 51, v2
	v_cmp_gt_i32_e32 vcc, s33, v6
	v_cmp_gt_i32_e64 s[6:7], s33, v2
	s_nop 0
	v_cndmask_b32_e32 v6, v4, v20, vcc
	v_cndmask_b32_e64 v2, v4, v21, s[6:7]
	v_max3_f32 v4, v3, v6, v2
	v_mbcnt_lo_u32_b32 v2, -1, 0
	v_mbcnt_hi_u32_b32 v6, -1, v2
	v_and_b32_e32 v2, 64, v6
	v_add_u32_e32 v7, 64, v2
	v_xor_b32_e32 v2, 32, v6
	v_cmp_lt_i32_e64 s[40:41], v2, v7
	s_nop 1
	v_cndmask_b32_e64 v2, v6, v2, s[40:41]
	v_lshlrev_b32_e32 v44, 2, v2
	ds_bpermute_b32 v8, v44, v4
	s_waitcnt vmcnt(2)
	v_mad_i64_i32 v[2:3], s[40:41], v47, s45, v[18:19]
	global_load_dwordx4 v[14:17], v[24:25], off
	global_load_dwordx4 v[10:13], v[2:3], off
	v_xor_b32_e32 v3, 16, v6
	v_cmp_lt_i32_e64 s[40:41], v3, v7
	s_waitcnt lgkmcnt(0)
	v_max_f32_e32 v2, v8, v8
	v_max_f32_e32 v2, v4, v2
	v_cndmask_b32_e64 v3, v6, v3, s[40:41]
	v_lshlrev_b32_e32 v47, 2, v3
	ds_bpermute_b32 v3, v47, v2
	s_waitcnt vmcnt(3)
	v_mad_i64_i32 v[24:25], s[40:41], v45, s45, v[18:19]
	s_waitcnt vmcnt(2)
	v_mad_i64_i32 v[18:19], s[40:41], v46, s45, v[18:19]
	s_waitcnt lgkmcnt(0)
	v_max_f32_e32 v3, v3, v3
	v_max_f32_e32 v32, v2, v3
	v_sub_f32_e32 v2, v5, v32
	v_mul_f32_e32 v2, 0x3fb8aa3b, v2
	v_exp_f32_e32 v36, v2
	v_sub_f32_e32 v2, v37, v32
	v_mul_f32_e32 v2, 0x3fb8aa3b, v2
	v_exp_f32_e32 v37, v2
	global_load_dwordx4 v[6:9], v[24:25], off
	global_load_dwordx4 v[2:5], v[18:19], off
	v_sub_f32_e32 v25, v30, v32
	v_sub_f32_e32 v30, v31, v32
	v_mul_f32_e32 v25, 0x3fb8aa3b, v25
	v_mul_f32_e32 v30, 0x3fb8aa3b, v30
	v_exp_f32_e32 v25, v25
	v_exp_f32_e32 v30, v30
	v_cndmask_b32_e64 v18, 0, v36, s[4:5]
	v_cndmask_b32_e64 v19, 0, v37, s[34:35]
	;; [unrolled: 1-line block ×4, first 2 shown]
	v_sub_f32_e32 v25, v38, v32
	v_sub_f32_e32 v30, v39, v32
	v_mul_f32_e32 v25, 0x3fb8aa3b, v25
	v_mul_f32_e32 v30, 0x3fb8aa3b, v30
	v_exp_f32_e32 v25, v25
	v_exp_f32_e32 v30, v30
	v_add_f32_e32 v24, 0, v18
	v_add_f32_e32 v24, v24, v19
	;; [unrolled: 1-line block ×4, first 2 shown]
	v_cndmask_b32_e64 v24, 0, v25, s[24:25]
	v_cndmask_b32_e64 v25, 0, v30, s[26:27]
	v_sub_f32_e32 v30, v34, v32
	v_mul_f32_e32 v30, 0x3fb8aa3b, v30
	v_exp_f32_e32 v30, v30
	v_sub_f32_e32 v34, v35, v32
	v_add_f32_e32 v31, v31, v24
	v_mul_f32_e32 v34, 0x3fb8aa3b, v34
	v_exp_f32_e32 v35, v34
	v_add_f32_e32 v31, v31, v25
	v_cndmask_b32_e64 v34, 0, v30, s[20:21]
	v_add_f32_e32 v30, v31, v34
	v_sub_f32_e32 v31, v48, v32
	v_mul_f32_e32 v31, 0x3fb8aa3b, v31
	v_sub_f32_e32 v33, v33, v32
	v_exp_f32_e32 v31, v31
	v_mul_f32_e32 v33, 0x3fb8aa3b, v33
	v_sub_f32_e32 v28, v28, v32
	v_exp_f32_e32 v33, v33
	;; [unrolled: 3-line block ×3, first 2 shown]
	v_mul_f32_e32 v29, 0x3fb8aa3b, v29
	v_sub_f32_e32 v22, v22, v32
	v_cndmask_b32_e64 v35, 0, v35, s[22:23]
	v_exp_f32_e32 v29, v29
	v_mul_f32_e32 v22, 0x3fb8aa3b, v22
	v_sub_f32_e32 v23, v23, v32
	v_add_f32_e32 v38, v30, v35
	v_cndmask_b32_e64 v30, 0, v31, s[16:17]
	v_exp_f32_e32 v22, v22
	v_mul_f32_e32 v23, 0x3fb8aa3b, v23
	v_sub_f32_e32 v20, v20, v32
	v_add_f32_e32 v38, v38, v30
	;; [unrolled: 5-line block ×3, first 2 shown]
	v_cndmask_b32_e64 v28, 0, v28, s[12:13]
	v_exp_f32_e32 v20, v20
	v_mul_f32_e32 v21, 0x3fb8aa3b, v21
	v_add_f32_e32 v33, v33, v28
	v_cndmask_b32_e64 v29, 0, v29, s[14:15]
	v_exp_f32_e32 v21, v21
	v_add_f32_e32 v33, v33, v29
	v_cndmask_b32_e64 v22, 0, v22, s[8:9]
	v_add_f32_e32 v33, v33, v22
	v_cndmask_b32_e64 v23, 0, v23, s[10:11]
	v_add_f32_e32 v33, v33, v23
	v_cndmask_b32_e32 v20, 0, v20, vcc
	v_add_f32_e32 v33, v33, v20
	v_cndmask_b32_e64 v21, 0, v21, s[6:7]
	v_add_f32_e32 v33, v33, v21
	ds_bpermute_b32 v38, v44, v33
	s_load_dword s7, s[0:1], 0x98
	v_cmp_gt_u32_e32 vcc, 16, v43
	s_waitcnt lgkmcnt(0)
	s_barrier
	v_add_f32_e32 v38, v33, v38
	ds_bpermute_b32 v39, v47, v38
	v_lshlrev_b32_e32 v33, 2, v42
	s_waitcnt lgkmcnt(0)
	s_and_saveexec_b64 s[4:5], vcc
	s_cbranch_execz .LBB1175_15
; %bb.14:
	v_add_f32_e32 v38, v38, v39
	v_lshl_or_b32 v39, v41, 6, v33
	ds_write2st64_b32 v39, v32, v38 offset1:1
.LBB1175_15:
	s_or_b64 exec, exec, s[4:5]
	s_load_dword s6, s[0:1], 0x94
	s_waitcnt lgkmcnt(0)
	s_barrier
	ds_read2_b32 v[38:39], v33 offset1:16
	ds_read2_b32 v[42:43], v33 offset0:32 offset1:48
	ds_read2_b32 v[44:45], v33 offset0:64 offset1:80
	s_movk_i32 s8, 0x7fff
	s_lshl_b32 s7, s7, 3
	s_waitcnt lgkmcnt(2)
	v_max3_f32 v32, v38, s46, v39
	s_waitcnt lgkmcnt(1)
	v_max3_f32 v32, v32, v42, v43
	v_sub_f32_e32 v38, v38, v32
	v_mul_f32_e32 v38, 0x3fb8aa3b, v38
	v_exp_f32_e32 v46, v38
	v_sub_f32_e32 v38, v39, v32
	v_mul_f32_e32 v38, 0x3fb8aa3b, v38
	v_exp_f32_e32 v47, v38
	;; [unrolled: 3-line block ×3, first 2 shown]
	ds_read2_b32 v[38:39], v33 offset0:96 offset1:112
	v_sub_f32_e32 v33, v43, v32
	v_mul_f32_e32 v33, 0x3fb8aa3b, v33
	v_exp_f32_e32 v43, v33
	s_waitcnt lgkmcnt(1)
	v_fma_f32 v33, v46, v44, 0
	v_fmac_f32_e32 v33, v47, v45
	s_waitcnt lgkmcnt(0)
	v_fmac_f32_e32 v33, v42, v38
	v_fmac_f32_e32 v33, v43, v39
	v_add_f32_e32 v38, 0x358637bd, v33
	v_div_scale_f32 v39, s[4:5], v38, v38, 1.0
	v_rcp_f32_e32 v44, v39
	s_barrier
	v_fma_f32 v45, -v39, v44, 1.0
	v_fmac_f32_e32 v44, v45, v44
	v_div_scale_f32 v45, vcc, 1.0, v38, 1.0
	v_mul_f32_e32 v48, v45, v44
	v_fma_f32 v49, -v39, v48, v45
	v_fmac_f32_e32 v48, v49, v44
	v_fma_f32 v39, -v39, v48, v45
	v_div_fmas_f32 v39, v39, v44, v48
	v_cmp_eq_u32_e32 vcc, 1, v41
	v_div_fixup_f32 v38, v39, v38, 1.0
	s_nop 0
	v_cndmask_b32_e32 v39, v46, v47, vcc
	v_cmp_eq_u32_e32 vcc, 2, v41
	s_nop 1
	v_cndmask_b32_e32 v39, v39, v42, vcc
	v_cmp_eq_u32_e32 vcc, 3, v41
	s_nop 1
	v_cndmask_b32_e32 v39, v39, v43, vcc
	v_mul_f32_e32 v38, v39, v38
	v_pk_mul_f32 v[18:19], v[38:39], v[18:19] op_sel_hi:[0,1]
	v_pk_mul_f32 v[36:37], v[38:39], v[36:37] op_sel_hi:[0,1]
	v_bfe_u32 v39, v19, 16, 1
	v_bfe_u32 v42, v18, 16, 1
	v_add3_u32 v18, v18, v42, s8
	v_add3_u32 v19, v19, v39, s8
	v_perm_b32 v42, v19, v18, s44
	v_bfe_u32 v18, v37, 16, 1
	v_bfe_u32 v19, v36, 16, 1
	v_add3_u32 v19, v36, v19, s8
	v_add3_u32 v18, v37, v18, s8
	v_perm_b32 v43, v18, v19, s44
	v_lshlrev_b32_e32 v18, 3, v1
	v_lshlrev_b32_e32 v19, 11, v41
	v_pk_mul_f32 v[24:25], v[38:39], v[24:25] op_sel_hi:[0,1]
	v_or3_b32 v18, v19, v27, v18
	v_bfe_u32 v19, v25, 16, 1
	v_bfe_u32 v36, v24, 16, 1
	v_pk_mul_f32 v[34:35], v[38:39], v[34:35] op_sel_hi:[0,1]
	v_add3_u32 v24, v24, v36, s8
	v_add3_u32 v19, v25, v19, s8
	v_perm_b32 v24, v19, v24, s44
	v_bfe_u32 v19, v35, 16, 1
	v_bfe_u32 v25, v34, 16, 1
	v_add3_u32 v25, v34, v25, s8
	v_add3_u32 v19, v35, v19, s8
	v_perm_b32 v25, v19, v25, s44
	ds_write2st64_b64 v18, v[42:43], v[24:25] offset1:1
	v_pk_mul_f32 v[24:25], v[38:39], v[28:29] op_sel_hi:[0,1]
	v_pk_mul_f32 v[28:29], v[38:39], v[30:31] op_sel_hi:[0,1]
	v_bfe_u32 v19, v29, 16, 1
	v_bfe_u32 v30, v28, 16, 1
	v_add3_u32 v28, v28, v30, s8
	v_add3_u32 v19, v29, v19, s8
	v_perm_b32 v28, v19, v28, s44
	v_bfe_u32 v19, v25, 16, 1
	v_bfe_u32 v29, v24, 16, 1
	v_add3_u32 v24, v24, v29, s8
	v_add3_u32 v19, v25, v19, s8
	v_pk_mul_f32 v[22:23], v[38:39], v[22:23] op_sel_hi:[0,1]
	v_perm_b32 v29, v19, v24, s44
	v_bfe_u32 v19, v23, 16, 1
	v_bfe_u32 v24, v22, 16, 1
	v_pk_mul_f32 v[20:21], v[38:39], v[20:21] op_sel_hi:[0,1]
	v_add3_u32 v22, v22, v24, s8
	v_add3_u32 v19, v23, v19, s8
	v_perm_b32 v22, v19, v22, s44
	v_bfe_u32 v19, v21, 16, 1
	v_bfe_u32 v23, v20, 16, 1
	v_add3_u32 v20, v20, v23, s8
	v_add3_u32 v19, v21, v19, s8
	v_perm_b32 v23, v19, v20, s44
	v_cmp_gt_u32_e32 vcc, 8, v0
	ds_write2st64_b64 v18, v[28:29], v[22:23] offset0:2 offset1:3
	s_and_saveexec_b64 s[4:5], vcc
	s_cbranch_execz .LBB1175_17
; %bb.16:
	v_or_b32_e32 v20, s29, v0
	v_mov_b32_e32 v21, 0
	v_mov_b32_e32 v19, s7
	v_mad_u64_u32 v[22:23], s[10:11], s2, v19, v[20:21]
	v_mov_b32_e32 v20, s28
	s_load_dwordx4 s[12:15], s[0:1], 0x58
	s_mul_i32 s3, s3, s7
	v_mad_u64_u32 v[20:21], s[10:11], v22, s6, v[20:21]
	v_add_u32_e32 v19, s3, v23
	v_mov_b32_e32 v22, v21
	v_mad_u64_u32 v[22:23], s[10:11], v19, s6, v[22:23]
	v_mov_b32_e32 v21, v22
	v_lshlrev_b64 v[20:21], 2, v[20:21]
	s_waitcnt lgkmcnt(0)
	v_lshl_add_u64 v[22:23], s[14:15], 0, v[20:21]
	v_lshl_add_u64 v[20:21], s[12:13], 0, v[20:21]
	global_store_dword v[22:23], v32, off
	global_store_dword v[20:21], v33, off
.LBB1175_17:
	s_or_b64 exec, exec, s[4:5]
	s_waitcnt vmcnt(3)
	v_cvt_pk_f32_fp8_e32 v[20:21], v14
	v_cvt_pk_f32_fp8_sdwa v[22:23], v14 src0_sel:WORD_1
	s_mov_b32 s4, 0x7060302
	v_lshl_or_b32 v14, v1, 9, v27
	s_waitcnt lgkmcnt(0)
	s_barrier
	v_perm_b32 v24, v21, v20, s4
	v_perm_b32 v25, v23, v22, s4
	v_cvt_pk_f32_fp8_e32 v[28:29], v15
	ds_read_b128 v[20:23], v14
	v_cvt_pk_f32_fp8_sdwa v[36:37], v15 src0_sel:WORD_1
	s_load_dword s10, s[42:43], 0x0
	v_perm_b32 v38, v29, v28, s4
	ds_read_b128 v[28:31], v14 offset:16
	v_perm_b32 v39, v37, v36, s4
	s_waitcnt lgkmcnt(0)
	v_mfma_f32_16x16x16_bf16 v[32:35], v[24:25], v[20:21], 0
	v_cvt_pk_f32_fp8_e32 v[24:25], v16
	v_cvt_pk_f32_fp8_sdwa v[36:37], v16 src0_sel:WORD_1
	v_cmp_gt_u32_e32 vcc, 64, v0
	v_mfma_f32_16x16x16_bf16 v[20:23], v[38:39], v[22:23], v[32:35]
	v_perm_b32 v24, v25, v24, s4
	v_perm_b32 v25, v37, v36, s4
	s_mov_b32 s3, 0
	v_cvt_pk_f32_fp8_e32 v[32:33], v17
	v_cvt_pk_f32_fp8_sdwa v[16:17], v17 src0_sel:WORD_1
	s_waitcnt vmcnt(2)
	v_cvt_pk_f32_fp8_sdwa v[34:35], v10 src0_sel:WORD_1
	v_mfma_f32_16x16x16_bf16 v[20:23], v[24:25], v[28:29], v[20:23]
	v_perm_b32 v36, v33, v32, s4
	v_cvt_pk_f32_fp8_e32 v[32:33], v10
	v_perm_b32 v37, v17, v16, s4
	v_perm_b32 v17, v35, v34, s4
	v_cvt_pk_f32_fp8_e32 v[24:25], v11
	v_perm_b32 v16, v33, v32, s4
	ds_read_b128 v[32:35], v14 offset:2048
	v_cvt_pk_f32_fp8_sdwa v[10:11], v11 src0_sel:WORD_1
	v_mfma_f32_16x16x16_bf16 v[20:23], v[36:37], v[30:31], v[20:23]
	ds_read_b128 v[28:31], v14 offset:2064
	v_perm_b32 v24, v25, v24, s4
	v_perm_b32 v25, v11, v10, s4
	s_waitcnt lgkmcnt(1)
	v_mfma_f32_16x16x16_bf16 v[20:23], v[16:17], v[32:33], v[20:23]
	v_cvt_pk_f32_fp8_e32 v[10:11], v12
	v_cvt_pk_f32_fp8_sdwa v[16:17], v12 src0_sel:WORD_1
	s_waitcnt vmcnt(1)
	v_cvt_pk_f32_fp8_sdwa v[32:33], v6 src0_sel:WORD_1
	v_mfma_f32_16x16x16_bf16 v[20:23], v[24:25], v[34:35], v[20:23]
	v_cvt_pk_f32_fp8_e32 v[24:25], v13
	v_perm_b32 v10, v11, v10, s4
	v_perm_b32 v11, v17, v16, s4
	v_cvt_pk_f32_fp8_sdwa v[12:13], v13 src0_sel:WORD_1
	v_perm_b32 v16, v25, v24, s4
	v_cvt_pk_f32_fp8_e32 v[24:25], v6
	v_mov_b32_e32 v27, 0
	v_perm_b32 v17, v13, v12, s4
	s_waitcnt lgkmcnt(0)
	v_mfma_f32_16x16x16_bf16 v[10:13], v[10:11], v[28:29], v[20:23]
	v_perm_b32 v24, v25, v24, s4
	v_perm_b32 v25, v33, v32, s4
	v_cvt_pk_f32_fp8_e32 v[28:29], v7
	ds_read_b128 v[20:23], v14 offset:4096
	v_cvt_pk_f32_fp8_sdwa v[6:7], v7 src0_sel:WORD_1
	v_mfma_f32_16x16x16_bf16 v[10:13], v[16:17], v[30:31], v[10:13]
	v_perm_b32 v16, v29, v28, s4
	ds_read_b128 v[28:31], v14 offset:4112
	v_perm_b32 v17, v7, v6, s4
	s_waitcnt lgkmcnt(1)
	v_mfma_f32_16x16x16_bf16 v[10:13], v[24:25], v[20:21], v[10:13]
	v_cvt_pk_f32_fp8_e32 v[6:7], v8
	v_cvt_pk_f32_fp8_sdwa v[20:21], v8 src0_sel:WORD_1
	v_perm_b32 v6, v7, v6, s4
	v_mfma_f32_16x16x16_bf16 v[10:13], v[16:17], v[22:23], v[10:13]
	v_cvt_pk_f32_fp8_e32 v[16:17], v9
	v_perm_b32 v7, v21, v20, s4
	v_cvt_pk_f32_fp8_sdwa v[8:9], v9 src0_sel:WORD_1
	s_waitcnt vmcnt(0)
	v_cvt_pk_f32_fp8_e32 v[20:21], v2
	v_perm_b32 v16, v17, v16, s4
	v_cvt_pk_f32_fp8_sdwa v[22:23], v2 src0_sel:WORD_1
	v_perm_b32 v17, v9, v8, s4
	s_waitcnt lgkmcnt(0)
	v_mfma_f32_16x16x16_bf16 v[6:9], v[6:7], v[28:29], v[10:13]
	v_perm_b32 v20, v21, v20, s4
	v_perm_b32 v21, v23, v22, s4
	v_cvt_pk_f32_fp8_e32 v[22:23], v3
	ds_read_b128 v[10:13], v14 offset:6144
	v_cvt_pk_f32_fp8_sdwa v[2:3], v3 src0_sel:WORD_1
	v_mfma_f32_16x16x16_bf16 v[6:9], v[16:17], v[30:31], v[6:9]
	v_perm_b32 v22, v23, v22, s4
	ds_read_b128 v[14:17], v14 offset:6160
	v_perm_b32 v23, v3, v2, s4
	s_waitcnt lgkmcnt(1)
	v_mfma_f32_16x16x16_bf16 v[6:9], v[20:21], v[10:11], v[6:9]
	v_cvt_pk_f32_fp8_e32 v[2:3], v4
	v_cvt_pk_f32_fp8_sdwa v[10:11], v4 src0_sel:WORD_1
	s_waitcnt lgkmcnt(0)
	v_mfma_f32_16x16x16_bf16 v[6:9], v[22:23], v[12:13], v[6:9]
	v_perm_b32 v2, v3, v2, s4
	v_perm_b32 v3, v11, v10, s4
	v_cvt_pk_f32_fp8_e32 v[10:11], v5
	v_cvt_pk_f32_fp8_sdwa v[4:5], v5 src0_sel:WORD_1
	s_barrier
	v_perm_b32 v10, v11, v10, s4
	v_perm_b32 v11, v5, v4, s4
	v_mfma_f32_16x16x16_bf16 v[2:5], v[2:3], v[14:15], v[6:9]
	s_nop 0
	v_mfma_f32_16x16x16_bf16 v[2:5], v[10:11], v[16:17], v[2:5]
	s_nop 6
	v_pk_mul_f32 v[2:3], v[2:3], s[10:11] op_sel_hi:[1,0]
	v_pk_mul_f32 v[4:5], v[4:5], s[10:11] op_sel_hi:[1,0]
	v_bfe_u32 v6, v3, 16, 1
	v_bfe_u32 v7, v2, 16, 1
	v_add3_u32 v2, v2, v7, s8
	v_add3_u32 v3, v3, v6, s8
	v_perm_b32 v2, v3, v2, s4
	v_bfe_u32 v3, v5, 16, 1
	v_bfe_u32 v6, v4, 16, 1
	v_add3_u32 v4, v4, v6, s8
	v_add3_u32 v3, v5, v3, s8
	v_perm_b32 v3, v3, v4, s4
	s_and_b64 s[4:5], vcc, s[30:31]
	ds_write_b64 v18, v[2:3]
	s_waitcnt lgkmcnt(0)
	s_barrier
	s_and_saveexec_b64 s[8:9], s[4:5]
	s_cbranch_execz .LBB1175_19
; %bb.18:
	s_load_dwordx2 s[0:1], s[0:1], 0x68
	s_lshl_b32 s6, s6, 6
	s_mul_i32 s2, s7, s2
	s_mul_hi_u32 s5, s2, s6
	s_mul_i32 s4, s2, s6
	s_lshl_b64 s[4:5], s[4:5], 1
	v_lshlrev_b32_e32 v0, 10, v0
	s_waitcnt lgkmcnt(0)
	s_add_u32 s4, s0, s4
	v_and_b32_e32 v0, 0x1800, v0
	v_lshlrev_b32_e32 v2, 5, v1
	v_and_b32_e32 v3, 16, v40
	s_addc_u32 s5, s1, s5
	s_lshl_b32 s2, s28, 6
	v_or3_b32 v0, v0, v2, v3
	s_lshl_b64 s[0:1], s[2:3], 1
	ds_read_b128 v[2:5], v0
	ds_read_b128 v[6:9], v0 offset:128
	s_add_u32 s0, s4, s0
	s_addc_u32 s1, s5, s1
	v_or_b32_e32 v12, s29, v1
	v_lshl_add_u64 v[10:11], s[0:1], 0, v[26:27]
	v_mad_u64_u32 v[0:1], s[0:1], v12, s6, 0
	v_lshl_add_u64 v[0:1], v[0:1], 1, v[10:11]
	s_waitcnt lgkmcnt(1)
	global_store_dwordx4 v[0:1], v[2:5], off
	v_or_b32_e32 v0, 4, v12
	v_mad_u64_u32 v[0:1], s[0:1], v0, s6, 0
	v_lshl_add_u64 v[0:1], v[0:1], 1, v[10:11]
	s_waitcnt lgkmcnt(0)
	global_store_dwordx4 v[0:1], v[6:9], off
.LBB1175_19:
	s_endpgm
	.section	.rodata,"a",@progbits
	.p2align	6, 0x0
	.amdhsa_kernel _Z39paged_attention_ll4mi_QKV_mfma16_kernelI14__hip_bfloat16hLN4vllm18Fp8KVCacheDataTypeE1EhLi32ELi64ELi256ELb1ELi8EEvPKT_PKT0_S8_ifPKiSA_SA_iPKfiiiPfSD_PS3_PT2_iSC_SC_
		.amdhsa_group_segment_fixed_size 8192
		.amdhsa_private_segment_fixed_size 0
		.amdhsa_kernarg_size 400
		.amdhsa_user_sgpr_count 2
		.amdhsa_user_sgpr_dispatch_ptr 0
		.amdhsa_user_sgpr_queue_ptr 0
		.amdhsa_user_sgpr_kernarg_segment_ptr 1
		.amdhsa_user_sgpr_dispatch_id 0
		.amdhsa_user_sgpr_kernarg_preload_length 0
		.amdhsa_user_sgpr_kernarg_preload_offset 0
		.amdhsa_user_sgpr_private_segment_size 0
		.amdhsa_uses_dynamic_stack 0
		.amdhsa_enable_private_segment 0
		.amdhsa_system_sgpr_workgroup_id_x 1
		.amdhsa_system_sgpr_workgroup_id_y 1
		.amdhsa_system_sgpr_workgroup_id_z 1
		.amdhsa_system_sgpr_workgroup_info 0
		.amdhsa_system_vgpr_workitem_id 0
		.amdhsa_next_free_vgpr 73
		.amdhsa_next_free_sgpr 48
		.amdhsa_accum_offset 76
		.amdhsa_reserve_vcc 1
		.amdhsa_float_round_mode_32 0
		.amdhsa_float_round_mode_16_64 0
		.amdhsa_float_denorm_mode_32 3
		.amdhsa_float_denorm_mode_16_64 3
		.amdhsa_dx10_clamp 1
		.amdhsa_ieee_mode 1
		.amdhsa_fp16_overflow 0
		.amdhsa_tg_split 0
		.amdhsa_exception_fp_ieee_invalid_op 0
		.amdhsa_exception_fp_denorm_src 0
		.amdhsa_exception_fp_ieee_div_zero 0
		.amdhsa_exception_fp_ieee_overflow 0
		.amdhsa_exception_fp_ieee_underflow 0
		.amdhsa_exception_fp_ieee_inexact 0
		.amdhsa_exception_int_div_zero 0
	.end_amdhsa_kernel
	.section	.text._Z39paged_attention_ll4mi_QKV_mfma16_kernelI14__hip_bfloat16hLN4vllm18Fp8KVCacheDataTypeE1EhLi32ELi64ELi256ELb1ELi8EEvPKT_PKT0_S8_ifPKiSA_SA_iPKfiiiPfSD_PS3_PT2_iSC_SC_,"axG",@progbits,_Z39paged_attention_ll4mi_QKV_mfma16_kernelI14__hip_bfloat16hLN4vllm18Fp8KVCacheDataTypeE1EhLi32ELi64ELi256ELb1ELi8EEvPKT_PKT0_S8_ifPKiSA_SA_iPKfiiiPfSD_PS3_PT2_iSC_SC_,comdat
.Lfunc_end1175:
	.size	_Z39paged_attention_ll4mi_QKV_mfma16_kernelI14__hip_bfloat16hLN4vllm18Fp8KVCacheDataTypeE1EhLi32ELi64ELi256ELb1ELi8EEvPKT_PKT0_S8_ifPKiSA_SA_iPKfiiiPfSD_PS3_PT2_iSC_SC_, .Lfunc_end1175-_Z39paged_attention_ll4mi_QKV_mfma16_kernelI14__hip_bfloat16hLN4vllm18Fp8KVCacheDataTypeE1EhLi32ELi64ELi256ELb1ELi8EEvPKT_PKT0_S8_ifPKiSA_SA_iPKfiiiPfSD_PS3_PT2_iSC_SC_
                                        ; -- End function
	.section	.AMDGPU.csdata,"",@progbits
; Kernel info:
; codeLenInByte = 5152
; NumSgprs: 54
; NumVgprs: 73
; NumAgprs: 0
; TotalNumVgprs: 73
; ScratchSize: 0
; MemoryBound: 0
; FloatMode: 240
; IeeeMode: 1
; LDSByteSize: 8192 bytes/workgroup (compile time only)
; SGPRBlocks: 6
; VGPRBlocks: 9
; NumSGPRsForWavesPerEU: 54
; NumVGPRsForWavesPerEU: 73
; AccumOffset: 76
; Occupancy: 6
; WaveLimiterHint : 1
; COMPUTE_PGM_RSRC2:SCRATCH_EN: 0
; COMPUTE_PGM_RSRC2:USER_SGPR: 2
; COMPUTE_PGM_RSRC2:TRAP_HANDLER: 0
; COMPUTE_PGM_RSRC2:TGID_X_EN: 1
; COMPUTE_PGM_RSRC2:TGID_Y_EN: 1
; COMPUTE_PGM_RSRC2:TGID_Z_EN: 1
; COMPUTE_PGM_RSRC2:TIDIG_COMP_CNT: 0
; COMPUTE_PGM_RSRC3_GFX90A:ACCUM_OFFSET: 18
; COMPUTE_PGM_RSRC3_GFX90A:TG_SPLIT: 0
	.section	.text._Z39paged_attention_ll4mi_QKV_mfma16_kernelI14__hip_bfloat16hLN4vllm18Fp8KVCacheDataTypeE1EhLi32ELi64ELi256ELb1ELi9EEvPKT_PKT0_S8_ifPKiSA_SA_iPKfiiiPfSD_PS3_PT2_iSC_SC_,"axG",@progbits,_Z39paged_attention_ll4mi_QKV_mfma16_kernelI14__hip_bfloat16hLN4vllm18Fp8KVCacheDataTypeE1EhLi32ELi64ELi256ELb1ELi9EEvPKT_PKT0_S8_ifPKiSA_SA_iPKfiiiPfSD_PS3_PT2_iSC_SC_,comdat
	.protected	_Z39paged_attention_ll4mi_QKV_mfma16_kernelI14__hip_bfloat16hLN4vllm18Fp8KVCacheDataTypeE1EhLi32ELi64ELi256ELb1ELi9EEvPKT_PKT0_S8_ifPKiSA_SA_iPKfiiiPfSD_PS3_PT2_iSC_SC_ ; -- Begin function _Z39paged_attention_ll4mi_QKV_mfma16_kernelI14__hip_bfloat16hLN4vllm18Fp8KVCacheDataTypeE1EhLi32ELi64ELi256ELb1ELi9EEvPKT_PKT0_S8_ifPKiSA_SA_iPKfiiiPfSD_PS3_PT2_iSC_SC_
	.globl	_Z39paged_attention_ll4mi_QKV_mfma16_kernelI14__hip_bfloat16hLN4vllm18Fp8KVCacheDataTypeE1EhLi32ELi64ELi256ELb1ELi9EEvPKT_PKT0_S8_ifPKiSA_SA_iPKfiiiPfSD_PS3_PT2_iSC_SC_
	.p2align	8
	.type	_Z39paged_attention_ll4mi_QKV_mfma16_kernelI14__hip_bfloat16hLN4vllm18Fp8KVCacheDataTypeE1EhLi32ELi64ELi256ELb1ELi9EEvPKT_PKT0_S8_ifPKiSA_SA_iPKfiiiPfSD_PS3_PT2_iSC_SC_,@function
_Z39paged_attention_ll4mi_QKV_mfma16_kernelI14__hip_bfloat16hLN4vllm18Fp8KVCacheDataTypeE1EhLi32ELi64ELi256ELb1ELi9EEvPKT_PKT0_S8_ifPKiSA_SA_iPKfiiiPfSD_PS3_PT2_iSC_SC_: ; @_Z39paged_attention_ll4mi_QKV_mfma16_kernelI14__hip_bfloat16hLN4vllm18Fp8KVCacheDataTypeE1EhLi32ELi64ELi256ELb1ELi9EEvPKT_PKT0_S8_ifPKiSA_SA_iPKfiiiPfSD_PS3_PT2_iSC_SC_
; %bb.0:
	s_load_dwordx2 s[6:7], s[0:1], 0x30
	s_mov_b32 s28, s3
	s_mov_b64 s[8:9], 0
	s_waitcnt lgkmcnt(0)
	s_cmp_lg_u64 s[6:7], 0
	s_cselect_b64 s[10:11], -1, 0
	s_and_b64 vcc, exec, s[10:11]
	s_cbranch_vccz .LBB1176_7
; %bb.1:
	s_add_i32 s12, s2, 1
	s_mov_b32 s13, 0
	s_lshl_b64 s[14:15], s[12:13], 2
	s_add_u32 s14, s6, s14
	s_mov_b32 s3, s13
	s_addc_u32 s15, s7, s15
	s_lshl_b64 s[12:13], s[2:3], 2
	s_add_u32 s12, s6, s12
	s_addc_u32 s13, s7, s13
	s_load_dword s5, s[14:15], 0x0
	s_load_dword s16, s[12:13], 0x0
	s_waitcnt lgkmcnt(0)
	s_sub_i32 s5, s5, s16
	s_cmp_eq_u32 s5, 1
	s_cselect_b64 s[12:13], -1, 0
	s_andn2_b64 vcc, exec, s[8:9]
	s_cbranch_vccnz .LBB1176_3
.LBB1176_2:
	s_mov_b32 s3, 0
	s_mov_b64 s[12:13], -1
.LBB1176_3:
	s_andn2_b64 vcc, exec, s[12:13]
	s_cbranch_vccnz .LBB1176_20
; %bb.4:
	s_load_dwordx2 s[8:9], s[0:1], 0x28
	s_lshl_b64 s[12:13], s[2:3], 2
	s_waitcnt lgkmcnt(0)
	s_add_u32 s8, s8, s12
	s_addc_u32 s9, s9, s13
	s_load_dword s29, s[8:9], 0x0
	s_lshl_b32 s16, s28, 8
	s_waitcnt lgkmcnt(0)
	s_cmp_ge_i32 s16, s29
	s_cbranch_scc1 .LBB1176_20
; %bb.5:
	s_load_dwordx2 s[8:9], s[0:1], 0x20
	s_load_dword s5, s[0:1], 0x38
	s_add_i32 s14, s29, 31
	s_ashr_i32 s15, s14, 31
	v_and_b32_e32 v1, 0xcf, v0
	s_lshr_b32 s15, s15, 27
	v_add_u32_e32 v1, s16, v1
	s_add_i32 s14, s14, s15
	v_ashrrev_i32_e32 v2, 31, v1
	s_ashr_i32 s17, s14, 5
	v_lshrrev_b32_e32 v4, 27, v2
	s_add_i32 s17, s17, -1
	s_waitcnt lgkmcnt(0)
	s_mul_i32 s14, s2, s5
	s_mov_b32 s15, 0
	v_add_u32_e32 v2, v1, v4
	s_lshl_b64 s[14:15], s[14:15], 2
	v_ashrrev_i32_e32 v2, 5, v2
	v_mov_b32_e32 v5, s17
	v_cmp_gt_i32_e32 vcc, s29, v1
	s_add_u32 s8, s8, s14
	s_addc_u32 s9, s9, s15
	v_cndmask_b32_e32 v2, v5, v2, vcc
	v_ashrrev_i32_e32 v3, 31, v2
	v_lshl_add_u64 v[6:7], v[2:3], 2, s[8:9]
	v_or_b32_e32 v2, 16, v1
	v_add_u32_e32 v3, v2, v4
	v_ashrrev_i32_e32 v3, 5, v3
	v_cmp_gt_i32_e32 vcc, s29, v2
	s_load_dwordx2 s[14:15], s[0:1], 0x8
	s_nop 0
	v_cndmask_b32_e32 v2, v5, v3, vcc
	v_ashrrev_i32_e32 v3, 31, v2
	v_lshl_add_u64 v[8:9], v[2:3], 2, s[8:9]
	v_or_b32_e32 v2, 32, v1
	v_add_u32_e32 v3, v2, v4
	v_ashrrev_i32_e32 v3, 5, v3
	v_cmp_gt_i32_e32 vcc, s29, v2
	v_or_b32_e32 v1, 48, v1
	s_nop 0
	v_cndmask_b32_e32 v2, v5, v3, vcc
	v_ashrrev_i32_e32 v3, 31, v2
	v_lshl_add_u64 v[10:11], v[2:3], 2, s[8:9]
	v_add_u32_e32 v2, v1, v4
	v_ashrrev_i32_e32 v2, 5, v2
	v_cmp_gt_i32_e32 vcc, s29, v1
	s_nop 1
	v_cndmask_b32_e32 v2, v5, v2, vcc
	v_ashrrev_i32_e32 v3, 31, v2
	v_lshl_add_u64 v[12:13], v[2:3], 2, s[8:9]
	global_load_dword v5, v[6:7], off
	global_load_dword v4, v[8:9], off
	;; [unrolled: 1-line block ×4, first 2 shown]
	s_andn2_b64 vcc, exec, s[10:11]
	s_cbranch_vccnz .LBB1176_8
; %bb.6:
	s_add_u32 s6, s6, s12
	s_addc_u32 s7, s7, s13
	s_load_dword s5, s[6:7], 0x0
	s_branch .LBB1176_9
.LBB1176_7:
	s_mov_b64 s[12:13], 0
	s_branch .LBB1176_2
.LBB1176_8:
	s_mov_b32 s5, s2
.LBB1176_9:
	s_load_dwordx2 s[10:11], s[0:1], 0x10
	s_load_dwordx4 s[44:47], s[0:1], 0x48
	v_lshrrev_b32_e32 v29, 6, v0
	v_bfe_u32 v42, v0, 4, 2
	v_lshl_or_b32 v6, v29, 2, v42
	v_and_b32_e32 v28, 15, v0
	v_lshlrev_b32_e32 v1, 3, v28
	v_cmp_gt_u32_e32 vcc, 9, v6
	v_cmp_gt_u32_e64 s[30:31], 8, v28
	s_mul_i32 s48, s4, 9
	s_and_b64 s[12:13], s[30:31], vcc
	v_lshlrev_b32_e32 v26, 1, v1
	v_lshlrev_b32_e32 v1, 4, v0
	s_and_saveexec_b64 s[6:7], s[12:13]
	s_cbranch_execz .LBB1176_11
; %bb.10:
	s_load_dwordx2 s[12:13], s[0:1], 0x0
	s_waitcnt lgkmcnt(0)
	s_ashr_i32 s18, s44, 31
	s_mul_hi_u32 s19, s5, s44
	s_mul_i32 s18, s5, s18
	s_add_i32 s19, s19, s18
	s_mul_i32 s18, s5, s44
	s_lshl_b64 s[18:19], s[18:19], 1
	s_add_u32 s12, s12, s18
	v_add_lshl_u32 v8, v6, s48, 6
	s_addc_u32 s13, s13, s19
	v_ashrrev_i32_e32 v9, 31, v8
	v_lshl_add_u64 v[8:9], v[8:9], 1, s[12:13]
	v_mov_b32_e32 v27, 0
	v_lshl_add_u64 v[8:9], v[8:9], 0, v[26:27]
	global_load_dwordx4 v[8:11], v[8:9], off
	v_lshlrev_b32_e32 v12, 8, v28
	v_lshlrev_b32_e32 v6, 5, v6
	v_and_b32_e32 v7, 16, v1
	v_and_b32_e32 v12, 0xe00, v12
	v_or3_b32 v6, v12, v6, v7
	s_waitcnt vmcnt(0)
	ds_write_b128 v6, v[8:11]
.LBB1176_11:
	s_or_b64 exec, exec, s[6:7]
	s_waitcnt lgkmcnt(0)
	s_mul_i32 s12, s4, s46
	s_add_u32 s4, s14, s12
	s_addc_u32 s5, s15, 0
	v_mov_b32_e32 v31, 0
	v_mov_b64_e32 v[6:7], s[4:5]
	v_lshlrev_b32_e32 v10, 4, v28
	v_and_b32_e32 v27, 48, v0
	s_waitcnt vmcnt(3)
	v_mad_i64_i32 v[8:9], s[4:5], v5, s45, v[6:7]
	v_mov_b32_e32 v11, v31
	s_waitcnt vmcnt(2)
	v_mad_i64_i32 v[4:5], s[4:5], v4, s45, v[6:7]
	v_or_b32_e32 v12, 0x100, v10
	v_mov_b32_e32 v13, v31
	v_lshlrev_b32_e32 v30, 5, v27
	v_lshl_add_u64 v[8:9], v[8:9], 0, v[10:11]
	v_lshl_add_u64 v[4:5], v[4:5], 0, v[12:13]
	;; [unrolled: 1-line block ×4, first 2 shown]
	s_barrier
	global_load_dwordx4 v[22:25], v[8:9], off
	global_load_dwordx4 v[18:21], v[4:5], off
	s_waitcnt vmcnt(3)
	v_mad_i64_i32 v[4:5], s[4:5], v3, s45, v[6:7]
	v_lshl_add_u64 v[4:5], v[4:5], 0, v[10:11]
	s_waitcnt vmcnt(2)
	v_mad_i64_i32 v[2:3], s[4:5], v2, s45, v[6:7]
	v_lshl_add_u64 v[4:5], v[4:5], 0, v[30:31]
	v_lshl_add_u64 v[2:3], v[2:3], 0, v[12:13]
	;; [unrolled: 1-line block ×3, first 2 shown]
	global_load_dwordx4 v[14:17], v[4:5], off
	global_load_dwordx4 v[6:9], v[2:3], off
	v_add_u32_e32 v2, -9, v28
	v_cmp_gt_u32_e32 vcc, 9, v28
	v_and_b32_e32 v43, 63, v0
	v_mov_b32_e32 v44, 0
	v_cndmask_b32_e32 v2, v2, v28, vcc
	v_lshlrev_b32_e32 v2, 5, v2
	v_lshl_add_u32 v2, v42, 9, v2
	ds_read_b128 v[10:13], v2
	ds_read_b128 v[2:5], v2 offset:16
	s_and_saveexec_b64 s[4:5], vcc
	s_cbranch_execz .LBB1176_13
; %bb.12:
	s_load_dwordx2 s[6:7], s[0:1], 0x40
	v_add_u32_e32 v32, s48, v28
	v_ashrrev_i32_e32 v33, 31, v32
	s_waitcnt lgkmcnt(0)
	v_lshl_add_u64 v[32:33], v[32:33], 2, s[6:7]
	global_load_dword v44, v[32:33], off
.LBB1176_13:
	s_or_b64 exec, exec, s[4:5]
	s_ashr_i32 s4, s16, 31
	v_or_b32_e32 v45, s16, v27
	s_lshr_b32 s13, s4, 27
	v_add_u32_e32 v27, s13, v45
	v_ashrrev_i32_e32 v27, 5, v27
	s_waitcnt vmcnt(3)
	v_cvt_pk_f32_fp8_e32 v[34:35], v22
	v_cvt_pk_f32_fp8_sdwa v[36:37], v22 src0_sel:WORD_1
	s_waitcnt vmcnt(2)
	v_cvt_pk_f32_fp8_e32 v[56:57], v20
	v_cvt_pk_f32_fp8_sdwa v[58:59], v20 src0_sel:WORD_1
	v_mov_b32_e32 v20, s17
	v_cmp_gt_i32_e32 vcc, s29, v45
	v_cvt_pk_f32_fp8_e32 v[48:49], v18
	v_cvt_pk_f32_fp8_sdwa v[50:51], v18 src0_sel:WORD_1
	v_cndmask_b32_e32 v18, v20, v27, vcc
	v_cvt_pk_f32_fp8_e32 v[52:53], v19
	v_cvt_pk_f32_fp8_sdwa v[54:55], v19 src0_sel:WORD_1
	v_ashrrev_i32_e32 v19, 31, v18
	v_lshl_add_u64 v[18:19], v[18:19], 2, s[8:9]
	s_mov_b32 s33, 0x7060302
	v_cvt_pk_f32_fp8_e32 v[32:33], v23
	v_cvt_pk_f32_fp8_sdwa v[22:23], v23 src0_sel:WORD_1
	global_load_dword v70, v[18:19], off
	v_perm_b32 v18, v35, v34, s33
	v_perm_b32 v19, v37, v36, s33
	v_cvt_pk_f32_fp8_e32 v[60:61], v21
	v_cvt_pk_f32_fp8_sdwa v[62:63], v21 src0_sel:WORD_1
	v_or_b32_e32 v21, 64, v45
	v_or_b32_e32 v34, 0x80, v45
	;; [unrolled: 1-line block ×3, first 2 shown]
	v_cmp_gt_i32_e32 vcc, s29, v21
	v_add_u32_e32 v21, s13, v21
	v_cmp_gt_i32_e64 s[4:5], s29, v34
	v_add_u32_e32 v34, s13, v34
	v_cmp_gt_i32_e64 s[6:7], s29, v35
	v_add_u32_e32 v35, s13, v35
	v_cvt_pk_f32_fp8_e32 v[38:39], v24
	v_cvt_pk_f32_fp8_sdwa v[40:41], v24 src0_sel:WORD_1
	v_cvt_pk_f32_fp8_e32 v[46:47], v25
	v_ashrrev_i32_e32 v21, 5, v21
	v_ashrrev_i32_e32 v34, 5, v34
	;; [unrolled: 1-line block ×3, first 2 shown]
	v_perm_b32 v32, v33, v32, s33
	v_perm_b32 v33, v23, v22, s33
	;; [unrolled: 1-line block ×4, first 2 shown]
	v_cvt_pk_f32_fp8_sdwa v[24:25], v25 src0_sel:WORD_1
	v_cndmask_b32_e32 v36, v20, v21, vcc
	v_cndmask_b32_e64 v64, v20, v34, s[4:5]
	v_cndmask_b32_e64 v66, v20, v35, s[6:7]
	s_waitcnt lgkmcnt(1)
	v_mfma_f32_16x16x16_bf16 v[18:21], v[18:19], v[10:11], 0
	v_perm_b32 v38, v39, v38, s33
	v_perm_b32 v39, v41, v40, s33
	;; [unrolled: 1-line block ×5, first 2 shown]
	s_load_dword s14, s[0:1], 0x1c
	s_load_dwordx4 s[40:43], s[0:1], 0x80
	v_perm_b32 v69, v25, v24, s33
	v_mfma_f32_16x16x16_bf16 v[22:25], v[22:23], v[10:11], 0
	s_add_u32 s10, s10, s12
	v_and_b32_e32 v30, 16, v0
	v_lshlrev_b32_e32 v27, 5, v28
	v_mfma_f32_16x16x16_bf16 v[32:35], v[32:33], v[12:13], v[18:21]
	s_addc_u32 s11, s11, 0
	v_lshl_add_u64 v[40:41], s[10:11], 0, v[30:31]
	v_lshl_or_b32 v30, v29, 9, v27
	v_ashrrev_i32_e32 v37, 31, v36
	v_ashrrev_i32_e32 v65, 31, v64
	;; [unrolled: 1-line block ×3, first 2 shown]
	v_perm_b32 v48, v57, v56, s33
	v_perm_b32 v49, v59, v58, s33
	v_mfma_f32_16x16x16_bf16 v[20:23], v[46:47], v[12:13], v[22:25]
	v_lshl_add_u64 v[18:19], v[40:41], 0, v[30:31]
	s_waitcnt lgkmcnt(0)
	s_load_dword s6, s[40:41], 0x0
	v_perm_b32 v50, v61, v60, s33
	v_mfma_f32_16x16x16_bf16 v[30:33], v[38:39], v[2:3], v[32:35]
	v_lshl_add_u64 v[24:25], v[36:37], 2, s[8:9]
	v_lshl_add_u64 v[36:37], v[66:67], 2, s[8:9]
	v_perm_b32 v51, v63, v62, s33
	v_lshl_add_u64 v[34:35], v[64:65], 2, s[8:9]
	global_load_dword v47, v[24:25], off
	global_load_dword v45, v[34:35], off
	;; [unrolled: 1-line block ×3, first 2 shown]
	s_waitcnt vmcnt(5)
	v_cvt_pk_f32_fp8_e32 v[34:35], v14
	v_cvt_pk_f32_fp8_sdwa v[36:37], v14 src0_sel:WORD_1
	v_mfma_f32_16x16x16_bf16 v[20:23], v[48:49], v[2:3], v[20:23]
	v_cvt_pk_f32_fp8_e32 v[38:39], v15
	v_perm_b32 v34, v35, v34, s33
	v_perm_b32 v35, v37, v36, s33
	v_cvt_pk_f32_fp8_sdwa v[14:15], v15 src0_sel:WORD_1
	v_mov_b32_e32 v40, s14
	s_waitcnt lgkmcnt(0)
	v_mul_f32_e32 v48, s6, v40
	v_mfma_f32_16x16x16_bf16 v[20:23], v[50:51], v[4:5], v[20:23]
	v_perm_b32 v38, v39, v38, s33
	v_cvt_pk_f32_fp8_e32 v[40:41], v16
	v_cvt_pk_f32_fp8_sdwa v[50:51], v16 src0_sel:WORD_1
	v_perm_b32 v39, v15, v14, s33
	v_mfma_f32_16x16x16_bf16 v[34:37], v[34:35], v[10:11], 0
	v_perm_b32 v40, v41, v40, s33
	v_perm_b32 v41, v51, v50, s33
	v_cvt_pk_f32_fp8_e32 v[50:51], v17
	v_cvt_pk_f32_fp8_sdwa v[52:53], v17 src0_sel:WORD_1
	v_mfma_f32_16x16x16_bf16 v[30:33], v[68:69], v[4:5], v[30:33]
	s_mov_b32 s44, 0xff7fffff
	s_waitcnt vmcnt(3)
	v_mad_i64_i32 v[24:25], s[4:5], v70, s45, v[18:19]
	v_mfma_f32_16x16x16_bf16 v[14:17], v[38:39], v[12:13], v[34:37]
	s_nop 2
	v_perm_b32 v34, v51, v50, s33
	v_perm_b32 v35, v53, v52, s33
	v_mfma_f32_16x16x16_bf16 v[14:17], v[40:41], v[2:3], v[14:17]
	v_pk_mul_f32 v[38:39], v[48:49], v[30:31] op_sel_hi:[0,1]
	v_cvt_pk_f32_fp8_e32 v[30:31], v6
	v_cvt_pk_f32_fp8_sdwa v[36:37], v6 src0_sel:WORD_1
	v_mfma_f32_16x16x16_bf16 v[14:17], v[34:35], v[4:5], v[14:17]
	v_cvt_pk_f32_fp8_e32 v[34:35], v7
	v_perm_b32 v30, v31, v30, s33
	v_perm_b32 v31, v37, v36, s33
	v_cvt_pk_f32_fp8_sdwa v[6:7], v7 src0_sel:WORD_1
	v_perm_b32 v40, v35, v34, s33
	v_cvt_pk_f32_fp8_e32 v[50:51], v8
	v_cvt_pk_f32_fp8_sdwa v[52:53], v8 src0_sel:WORD_1
	v_perm_b32 v41, v7, v6, s33
	v_mfma_f32_16x16x16_bf16 v[34:37], v[30:31], v[10:11], 0
	v_perm_b32 v10, v51, v50, s33
	v_perm_b32 v11, v53, v52, s33
	v_cvt_pk_f32_fp8_e32 v[30:31], v9
	v_cvt_pk_f32_fp8_sdwa v[50:51], v9 src0_sel:WORD_1
	v_mfma_f32_16x16x16_bf16 v[6:9], v[40:41], v[12:13], v[34:37]
	v_pk_mul_f32 v[40:41], v[48:49], v[20:21] op_sel_hi:[0,1]
	v_perm_b32 v12, v31, v30, s33
	v_perm_b32 v13, v51, v50, s33
	v_mfma_f32_16x16x16_bf16 v[6:9], v[10:11], v[2:3], v[6:9]
	v_pk_mul_f32 v[36:37], v[48:49], v[22:23] op_sel_hi:[0,1]
	v_pk_mul_f32 v[32:33], v[48:49], v[32:33] op_sel_hi:[0,1]
	;; [unrolled: 1-line block ×3, first 2 shown]
	v_mfma_f32_16x16x16_bf16 v[2:5], v[12:13], v[4:5], v[6:9]
	v_pk_mul_f32 v[34:35], v[48:49], v[14:15] op_sel_hi:[0,1]
	s_nop 5
	v_pk_mul_f32 v[22:23], v[48:49], v[2:3] op_sel_hi:[0,1]
	v_and_b32_e32 v2, 0xc0, v0
	v_add_u32_e32 v2, s16, v2
	v_lshl_or_b32 v2, v42, 2, v2
	v_or_b32_e32 v3, 1, v2
	v_pk_mul_f32 v[20:21], v[48:49], v[4:5] op_sel_hi:[0,1]
	v_subrev_u32_e32 v4, s29, v3
	v_add_u32_e32 v6, 1, v4
	v_add_u32_e32 v7, 2, v4
	;; [unrolled: 1-line block ×3, first 2 shown]
	v_cvt_f32_i32_e32 v6, v6
	v_cvt_f32_i32_e32 v7, v7
	;; [unrolled: 1-line block ×3, first 2 shown]
	v_add_u32_e32 v9, 19, v4
	v_fmac_f32_e32 v39, v44, v6
	v_fma_f32 v32, v44, v7, v32
	v_fmac_f32_e32 v33, v44, v8
	v_add_u32_e32 v6, 16, v4
	v_add_u32_e32 v7, 17, v4
	;; [unrolled: 1-line block ×3, first 2 shown]
	v_cvt_f32_i32_e32 v6, v6
	v_cvt_f32_i32_e32 v7, v7
	;; [unrolled: 1-line block ×4, first 2 shown]
	v_fma_f32 v40, v44, v6, v40
	v_fmac_f32_e32 v41, v44, v7
	v_fma_f32 v36, v44, v8, v36
	v_add_u32_e32 v6, 32, v4
	v_add_u32_e32 v7, 33, v4
	;; [unrolled: 1-line block ×3, first 2 shown]
	v_cvt_f32_i32_e32 v6, v6
	v_cvt_f32_i32_e32 v7, v7
	;; [unrolled: 1-line block ×4, first 2 shown]
	v_fmac_f32_e32 v37, v44, v9
	v_add_u32_e32 v9, 35, v4
	v_fma_f32 v48, v44, v6, v34
	v_fmac_f32_e32 v35, v44, v7
	v_fma_f32 v30, v44, v8, v30
	v_add_u32_e32 v6, 48, v4
	v_add_u32_e32 v7, 49, v4
	;; [unrolled: 1-line block ×4, first 2 shown]
	v_cvt_f32_i32_e32 v4, v4
	v_cvt_f32_i32_e32 v6, v6
	;; [unrolled: 1-line block ×3, first 2 shown]
	v_fma_f32 v5, v44, v5, v38
	v_fmac_f32_e32 v21, v44, v4
	v_mov_b32_e32 v4, 0xff7fffff
	v_cmp_gt_i32_e64 s[4:5], s29, v2
	v_cmp_gt_i32_e64 s[34:35], s29, v3
	v_fma_f32 v22, v44, v6, v22
	v_cndmask_b32_e64 v6, v4, v5, s[4:5]
	v_cndmask_b32_e64 v3, v4, v39, s[34:35]
	v_fmac_f32_e32 v23, v44, v7
	v_max3_f32 v3, v6, s44, v3
	v_or_b32_e32 v6, 2, v2
	v_or_b32_e32 v7, 3, v2
	v_cmp_gt_i32_e64 s[36:37], s29, v6
	v_cmp_gt_i32_e64 s[38:39], s29, v7
	v_cvt_f32_i32_e32 v9, v9
	v_cndmask_b32_e64 v6, v4, v32, s[36:37]
	v_cndmask_b32_e64 v7, v4, v33, s[38:39]
	v_max3_f32 v3, v3, v6, v7
	v_or_b32_e32 v6, 16, v2
	v_or_b32_e32 v7, 17, v2
	v_cmp_gt_i32_e64 s[24:25], s29, v6
	v_cmp_gt_i32_e64 s[26:27], s29, v7
	v_fmac_f32_e32 v31, v44, v9
	v_cndmask_b32_e64 v6, v4, v40, s[24:25]
	v_cndmask_b32_e64 v7, v4, v41, s[26:27]
	v_max3_f32 v3, v3, v6, v7
	v_or_b32_e32 v6, 18, v2
	v_or_b32_e32 v7, 19, v2
	v_cmp_gt_i32_e64 s[20:21], s29, v6
	v_cmp_gt_i32_e64 s[22:23], s29, v7
	v_cvt_f32_i32_e32 v8, v8
	v_cndmask_b32_e64 v6, v4, v36, s[20:21]
	v_cndmask_b32_e64 v7, v4, v37, s[22:23]
	v_max3_f32 v3, v3, v6, v7
	v_or_b32_e32 v6, 32, v2
	v_or_b32_e32 v7, 33, v2
	v_cmp_gt_i32_e64 s[16:17], s29, v6
	v_cmp_gt_i32_e64 s[18:19], s29, v7
	v_fma_f32 v20, v44, v8, v20
	v_cndmask_b32_e64 v6, v4, v48, s[16:17]
	v_cndmask_b32_e64 v7, v4, v35, s[18:19]
	v_max3_f32 v3, v3, v6, v7
	v_or_b32_e32 v6, 34, v2
	v_or_b32_e32 v7, 35, v2
	v_cmp_gt_i32_e64 s[12:13], s29, v6
	v_cmp_gt_i32_e64 s[14:15], s29, v7
	s_nop 0
	v_cndmask_b32_e64 v6, v4, v30, s[12:13]
	v_cndmask_b32_e64 v7, v4, v31, s[14:15]
	v_max3_f32 v3, v3, v6, v7
	v_or_b32_e32 v6, 48, v2
	v_or_b32_e32 v7, 49, v2
	v_cmp_gt_i32_e64 s[8:9], s29, v6
	v_cmp_gt_i32_e64 s[10:11], s29, v7
	s_nop 0
	v_cndmask_b32_e64 v6, v4, v22, s[8:9]
	v_cndmask_b32_e64 v7, v4, v23, s[10:11]
	v_max3_f32 v3, v3, v6, v7
	v_or_b32_e32 v6, 50, v2
	v_or_b32_e32 v2, 51, v2
	v_cmp_gt_i32_e32 vcc, s29, v6
	v_cmp_gt_i32_e64 s[6:7], s29, v2
	s_nop 0
	v_cndmask_b32_e32 v6, v4, v20, vcc
	v_cndmask_b32_e64 v2, v4, v21, s[6:7]
	v_max3_f32 v4, v3, v6, v2
	v_mbcnt_lo_u32_b32 v2, -1, 0
	v_mbcnt_hi_u32_b32 v6, -1, v2
	v_and_b32_e32 v2, 64, v6
	v_add_u32_e32 v7, 64, v2
	v_xor_b32_e32 v2, 32, v6
	v_cmp_lt_i32_e64 s[40:41], v2, v7
	s_nop 1
	v_cndmask_b32_e64 v2, v6, v2, s[40:41]
	v_lshlrev_b32_e32 v44, 2, v2
	ds_bpermute_b32 v8, v44, v4
	s_waitcnt vmcnt(2)
	v_mad_i64_i32 v[2:3], s[40:41], v47, s45, v[18:19]
	global_load_dwordx4 v[14:17], v[24:25], off
	global_load_dwordx4 v[10:13], v[2:3], off
	v_xor_b32_e32 v3, 16, v6
	v_cmp_lt_i32_e64 s[40:41], v3, v7
	s_waitcnt lgkmcnt(0)
	v_max_f32_e32 v2, v8, v8
	v_max_f32_e32 v2, v4, v2
	v_cndmask_b32_e64 v3, v6, v3, s[40:41]
	v_lshlrev_b32_e32 v47, 2, v3
	ds_bpermute_b32 v3, v47, v2
	s_waitcnt vmcnt(3)
	v_mad_i64_i32 v[24:25], s[40:41], v45, s45, v[18:19]
	s_waitcnt vmcnt(2)
	v_mad_i64_i32 v[18:19], s[40:41], v46, s45, v[18:19]
	s_waitcnt lgkmcnt(0)
	v_max_f32_e32 v3, v3, v3
	v_max_f32_e32 v34, v2, v3
	v_sub_f32_e32 v2, v5, v34
	v_mul_f32_e32 v2, 0x3fb8aa3b, v2
	v_exp_f32_e32 v38, v2
	v_sub_f32_e32 v2, v39, v34
	v_mul_f32_e32 v2, 0x3fb8aa3b, v2
	v_exp_f32_e32 v39, v2
	global_load_dwordx4 v[6:9], v[24:25], off
	global_load_dwordx4 v[2:5], v[18:19], off
	v_sub_f32_e32 v25, v32, v34
	v_sub_f32_e32 v32, v33, v34
	v_mul_f32_e32 v25, 0x3fb8aa3b, v25
	v_mul_f32_e32 v32, 0x3fb8aa3b, v32
	v_exp_f32_e32 v25, v25
	v_exp_f32_e32 v32, v32
	v_cndmask_b32_e64 v18, 0, v38, s[4:5]
	v_cndmask_b32_e64 v19, 0, v39, s[34:35]
	;; [unrolled: 1-line block ×4, first 2 shown]
	v_sub_f32_e32 v25, v40, v34
	v_sub_f32_e32 v32, v41, v34
	v_mul_f32_e32 v25, 0x3fb8aa3b, v25
	v_mul_f32_e32 v32, 0x3fb8aa3b, v32
	v_exp_f32_e32 v25, v25
	v_exp_f32_e32 v32, v32
	v_add_f32_e32 v24, 0, v18
	v_add_f32_e32 v24, v24, v19
	;; [unrolled: 1-line block ×4, first 2 shown]
	v_cndmask_b32_e64 v24, 0, v25, s[24:25]
	v_cndmask_b32_e64 v25, 0, v32, s[26:27]
	v_sub_f32_e32 v32, v36, v34
	v_mul_f32_e32 v32, 0x3fb8aa3b, v32
	v_exp_f32_e32 v32, v32
	v_sub_f32_e32 v36, v37, v34
	v_add_f32_e32 v33, v33, v24
	v_mul_f32_e32 v36, 0x3fb8aa3b, v36
	v_exp_f32_e32 v37, v36
	v_add_f32_e32 v33, v33, v25
	v_cndmask_b32_e64 v36, 0, v32, s[20:21]
	v_add_f32_e32 v32, v33, v36
	v_sub_f32_e32 v33, v48, v34
	v_mul_f32_e32 v33, 0x3fb8aa3b, v33
	v_sub_f32_e32 v35, v35, v34
	v_exp_f32_e32 v33, v33
	v_mul_f32_e32 v35, 0x3fb8aa3b, v35
	v_sub_f32_e32 v30, v30, v34
	v_exp_f32_e32 v35, v35
	;; [unrolled: 3-line block ×3, first 2 shown]
	v_mul_f32_e32 v31, 0x3fb8aa3b, v31
	v_sub_f32_e32 v22, v22, v34
	v_cndmask_b32_e64 v37, 0, v37, s[22:23]
	v_exp_f32_e32 v31, v31
	v_mul_f32_e32 v22, 0x3fb8aa3b, v22
	v_sub_f32_e32 v23, v23, v34
	v_add_f32_e32 v40, v32, v37
	v_cndmask_b32_e64 v32, 0, v33, s[16:17]
	v_exp_f32_e32 v22, v22
	v_mul_f32_e32 v23, 0x3fb8aa3b, v23
	v_sub_f32_e32 v20, v20, v34
	v_add_f32_e32 v40, v40, v32
	;; [unrolled: 5-line block ×3, first 2 shown]
	v_cndmask_b32_e64 v30, 0, v30, s[12:13]
	v_exp_f32_e32 v20, v20
	v_mul_f32_e32 v21, 0x3fb8aa3b, v21
	v_add_f32_e32 v35, v35, v30
	v_cndmask_b32_e64 v31, 0, v31, s[14:15]
	v_exp_f32_e32 v21, v21
	v_add_f32_e32 v35, v35, v31
	v_cndmask_b32_e64 v22, 0, v22, s[8:9]
	v_add_f32_e32 v35, v35, v22
	v_cndmask_b32_e64 v23, 0, v23, s[10:11]
	v_add_f32_e32 v35, v35, v23
	v_cndmask_b32_e32 v20, 0, v20, vcc
	v_add_f32_e32 v35, v35, v20
	v_cndmask_b32_e64 v21, 0, v21, s[6:7]
	v_add_f32_e32 v35, v35, v21
	ds_bpermute_b32 v40, v44, v35
	s_load_dword s9, s[0:1], 0x98
	v_cmp_gt_u32_e64 s[6:7], 16, v43
	s_waitcnt lgkmcnt(0)
	s_barrier
	v_add_f32_e32 v40, v35, v40
	ds_bpermute_b32 v41, v47, v40
	v_lshlrev_b32_e32 v35, 2, v28
	s_waitcnt lgkmcnt(0)
	s_and_saveexec_b64 s[4:5], s[6:7]
	s_cbranch_execz .LBB1176_15
; %bb.14:
	v_add_f32_e32 v40, v40, v41
	v_lshl_or_b32 v41, v29, 6, v35
	ds_write2st64_b32 v41, v34, v40 offset1:1
.LBB1176_15:
	s_or_b64 exec, exec, s[4:5]
	s_load_dword s8, s[0:1], 0x94
	s_waitcnt lgkmcnt(0)
	s_barrier
	ds_read2_b32 v[40:41], v35 offset1:16
	ds_read2_b32 v[44:45], v35 offset0:32 offset1:48
	ds_read2_b32 v[46:47], v35 offset0:64 offset1:80
	s_movk_i32 s10, 0x7fff
	s_mul_i32 s9, s9, 9
	s_waitcnt lgkmcnt(2)
	v_max3_f32 v34, v40, s44, v41
	s_waitcnt lgkmcnt(1)
	v_max3_f32 v34, v34, v44, v45
	v_sub_f32_e32 v40, v40, v34
	v_mul_f32_e32 v40, 0x3fb8aa3b, v40
	v_exp_f32_e32 v43, v40
	v_sub_f32_e32 v40, v41, v34
	v_mul_f32_e32 v40, 0x3fb8aa3b, v40
	v_exp_f32_e32 v48, v40
	;; [unrolled: 3-line block ×3, first 2 shown]
	ds_read2_b32 v[40:41], v35 offset0:96 offset1:112
	v_sub_f32_e32 v35, v45, v34
	v_mul_f32_e32 v35, 0x3fb8aa3b, v35
	v_exp_f32_e32 v45, v35
	s_waitcnt lgkmcnt(1)
	v_fma_f32 v35, v43, v46, 0
	v_fmac_f32_e32 v35, v48, v47
	s_waitcnt lgkmcnt(0)
	v_fmac_f32_e32 v35, v44, v40
	v_fmac_f32_e32 v35, v45, v41
	v_add_f32_e32 v40, 0x358637bd, v35
	v_div_scale_f32 v41, s[4:5], v40, v40, 1.0
	v_rcp_f32_e32 v46, v41
	s_barrier
	v_fma_f32 v47, -v41, v46, 1.0
	v_fmac_f32_e32 v46, v47, v46
	v_div_scale_f32 v47, vcc, 1.0, v40, 1.0
	v_mul_f32_e32 v49, v47, v46
	v_fma_f32 v50, -v41, v49, v47
	v_fmac_f32_e32 v49, v50, v46
	v_fma_f32 v41, -v41, v49, v47
	v_div_fmas_f32 v41, v41, v46, v49
	v_cmp_eq_u32_e32 vcc, 1, v29
	v_div_fixup_f32 v40, v41, v40, 1.0
	s_nop 0
	v_cndmask_b32_e32 v41, v43, v48, vcc
	v_cmp_eq_u32_e32 vcc, 2, v29
	s_nop 1
	v_cndmask_b32_e32 v41, v41, v44, vcc
	v_cmp_eq_u32_e32 vcc, 3, v29
	s_nop 1
	v_cndmask_b32_e32 v41, v41, v45, vcc
	v_mul_f32_e32 v40, v41, v40
	v_pk_mul_f32 v[18:19], v[40:41], v[18:19] op_sel_hi:[0,1]
	v_pk_mul_f32 v[38:39], v[40:41], v[38:39] op_sel_hi:[0,1]
	v_bfe_u32 v41, v19, 16, 1
	v_bfe_u32 v43, v18, 16, 1
	v_add3_u32 v18, v18, v43, s10
	v_add3_u32 v19, v19, v41, s10
	v_perm_b32 v44, v19, v18, s33
	v_bfe_u32 v18, v39, 16, 1
	v_bfe_u32 v19, v38, 16, 1
	v_add3_u32 v19, v38, v19, s10
	v_add3_u32 v18, v39, v18, s10
	v_perm_b32 v45, v18, v19, s33
	v_lshlrev_b32_e32 v18, 3, v42
	v_lshlrev_b32_e32 v19, 11, v29
	v_pk_mul_f32 v[24:25], v[40:41], v[24:25] op_sel_hi:[0,1]
	v_or3_b32 v18, v19, v27, v18
	v_bfe_u32 v19, v25, 16, 1
	v_bfe_u32 v29, v24, 16, 1
	v_pk_mul_f32 v[36:37], v[40:41], v[36:37] op_sel_hi:[0,1]
	v_add3_u32 v24, v24, v29, s10
	v_add3_u32 v19, v25, v19, s10
	v_perm_b32 v24, v19, v24, s33
	v_bfe_u32 v19, v37, 16, 1
	v_bfe_u32 v25, v36, 16, 1
	v_add3_u32 v25, v36, v25, s10
	v_add3_u32 v19, v37, v19, s10
	v_perm_b32 v25, v19, v25, s33
	ds_write2st64_b64 v18, v[44:45], v[24:25] offset1:1
	v_pk_mul_f32 v[24:25], v[40:41], v[30:31] op_sel_hi:[0,1]
	v_pk_mul_f32 v[30:31], v[40:41], v[32:33] op_sel_hi:[0,1]
	v_bfe_u32 v19, v31, 16, 1
	v_bfe_u32 v29, v30, 16, 1
	v_add3_u32 v29, v30, v29, s10
	v_add3_u32 v19, v31, v19, s10
	v_perm_b32 v30, v19, v29, s33
	v_bfe_u32 v19, v25, 16, 1
	v_bfe_u32 v29, v24, 16, 1
	v_add3_u32 v24, v24, v29, s10
	v_add3_u32 v19, v25, v19, s10
	v_pk_mul_f32 v[22:23], v[40:41], v[22:23] op_sel_hi:[0,1]
	v_perm_b32 v31, v19, v24, s33
	v_bfe_u32 v19, v23, 16, 1
	v_bfe_u32 v24, v22, 16, 1
	v_pk_mul_f32 v[20:21], v[40:41], v[20:21] op_sel_hi:[0,1]
	v_add3_u32 v22, v22, v24, s10
	v_add3_u32 v19, v23, v19, s10
	v_perm_b32 v22, v19, v22, s33
	v_bfe_u32 v19, v21, 16, 1
	v_bfe_u32 v23, v20, 16, 1
	v_add3_u32 v20, v20, v23, s10
	v_add3_u32 v19, v21, v19, s10
	v_perm_b32 v23, v19, v20, s33
	v_cmp_gt_u32_e32 vcc, 9, v0
	ds_write2st64_b64 v18, v[30:31], v[22:23] offset0:2 offset1:3
	s_and_saveexec_b64 s[4:5], vcc
	s_cbranch_execz .LBB1176_17
; %bb.16:
	s_mov_b32 s49, 0
	v_mov_b32_e32 v29, 0
	v_lshl_add_u64 v[20:21], s[48:49], 0, v[28:29]
	v_mov_b32_e32 v19, s9
	v_mad_u64_u32 v[20:21], s[16:17], s2, v19, v[20:21]
	s_mul_i32 s3, s3, s9
	v_mov_b32_e32 v28, s28
	s_load_dwordx4 s[12:15], s[0:1], 0x58
	v_add_u32_e32 v19, s3, v21
	v_mad_u64_u32 v[20:21], s[16:17], v20, s8, v[28:29]
	v_mov_b32_e32 v22, v21
	v_mad_u64_u32 v[22:23], s[16:17], v19, s8, v[22:23]
	v_mov_b32_e32 v21, v22
	v_lshlrev_b64 v[20:21], 2, v[20:21]
	s_waitcnt lgkmcnt(0)
	v_lshl_add_u64 v[22:23], s[14:15], 0, v[20:21]
	v_lshl_add_u64 v[20:21], s[12:13], 0, v[20:21]
	global_store_dword v[22:23], v34, off
	global_store_dword v[20:21], v35, off
.LBB1176_17:
	s_or_b64 exec, exec, s[4:5]
	s_waitcnt vmcnt(3)
	v_cvt_pk_f32_fp8_e32 v[20:21], v14
	v_cvt_pk_f32_fp8_sdwa v[22:23], v14 src0_sel:WORD_1
	s_mov_b32 s4, 0x7060302
	v_lshl_or_b32 v14, v42, 9, v27
	s_waitcnt lgkmcnt(0)
	s_barrier
	v_perm_b32 v24, v21, v20, s4
	v_perm_b32 v25, v23, v22, s4
	v_cvt_pk_f32_fp8_e32 v[28:29], v15
	ds_read_b128 v[20:23], v14
	v_cvt_pk_f32_fp8_sdwa v[36:37], v15 src0_sel:WORD_1
	s_load_dword s12, s[42:43], 0x0
	v_perm_b32 v38, v29, v28, s4
	ds_read_b128 v[28:31], v14 offset:16
	v_perm_b32 v39, v37, v36, s4
	s_waitcnt lgkmcnt(0)
	v_mfma_f32_16x16x16_bf16 v[32:35], v[24:25], v[20:21], 0
	v_cvt_pk_f32_fp8_e32 v[24:25], v16
	v_cvt_pk_f32_fp8_sdwa v[36:37], v16 src0_sel:WORD_1
	v_cmp_gt_u32_e32 vcc, 64, v0
	v_mfma_f32_16x16x16_bf16 v[20:23], v[38:39], v[22:23], v[32:35]
	v_perm_b32 v24, v25, v24, s4
	v_perm_b32 v25, v37, v36, s4
	s_mov_b32 s3, 0
	v_cvt_pk_f32_fp8_e32 v[32:33], v17
	v_cvt_pk_f32_fp8_sdwa v[16:17], v17 src0_sel:WORD_1
	s_waitcnt vmcnt(2)
	v_cvt_pk_f32_fp8_sdwa v[34:35], v10 src0_sel:WORD_1
	v_mfma_f32_16x16x16_bf16 v[20:23], v[24:25], v[28:29], v[20:23]
	v_perm_b32 v36, v33, v32, s4
	v_cvt_pk_f32_fp8_e32 v[32:33], v10
	v_perm_b32 v37, v17, v16, s4
	v_perm_b32 v17, v35, v34, s4
	v_cvt_pk_f32_fp8_e32 v[24:25], v11
	v_perm_b32 v16, v33, v32, s4
	ds_read_b128 v[32:35], v14 offset:2048
	v_cvt_pk_f32_fp8_sdwa v[10:11], v11 src0_sel:WORD_1
	v_mfma_f32_16x16x16_bf16 v[20:23], v[36:37], v[30:31], v[20:23]
	ds_read_b128 v[28:31], v14 offset:2064
	v_perm_b32 v24, v25, v24, s4
	v_perm_b32 v25, v11, v10, s4
	s_waitcnt lgkmcnt(1)
	v_mfma_f32_16x16x16_bf16 v[20:23], v[16:17], v[32:33], v[20:23]
	v_cvt_pk_f32_fp8_e32 v[10:11], v12
	v_cvt_pk_f32_fp8_sdwa v[16:17], v12 src0_sel:WORD_1
	s_waitcnt vmcnt(1)
	v_cvt_pk_f32_fp8_sdwa v[32:33], v6 src0_sel:WORD_1
	v_mfma_f32_16x16x16_bf16 v[20:23], v[24:25], v[34:35], v[20:23]
	v_cvt_pk_f32_fp8_e32 v[24:25], v13
	v_perm_b32 v10, v11, v10, s4
	v_perm_b32 v11, v17, v16, s4
	v_cvt_pk_f32_fp8_sdwa v[12:13], v13 src0_sel:WORD_1
	v_perm_b32 v16, v25, v24, s4
	v_cvt_pk_f32_fp8_e32 v[24:25], v6
	v_mov_b32_e32 v27, 0
	v_perm_b32 v17, v13, v12, s4
	s_waitcnt lgkmcnt(0)
	v_mfma_f32_16x16x16_bf16 v[10:13], v[10:11], v[28:29], v[20:23]
	v_perm_b32 v24, v25, v24, s4
	v_perm_b32 v25, v33, v32, s4
	v_cvt_pk_f32_fp8_e32 v[28:29], v7
	ds_read_b128 v[20:23], v14 offset:4096
	v_cvt_pk_f32_fp8_sdwa v[6:7], v7 src0_sel:WORD_1
	v_mfma_f32_16x16x16_bf16 v[10:13], v[16:17], v[30:31], v[10:13]
	v_perm_b32 v16, v29, v28, s4
	ds_read_b128 v[28:31], v14 offset:4112
	v_perm_b32 v17, v7, v6, s4
	s_waitcnt lgkmcnt(1)
	v_mfma_f32_16x16x16_bf16 v[10:13], v[24:25], v[20:21], v[10:13]
	v_cvt_pk_f32_fp8_e32 v[6:7], v8
	v_cvt_pk_f32_fp8_sdwa v[20:21], v8 src0_sel:WORD_1
	v_perm_b32 v6, v7, v6, s4
	v_mfma_f32_16x16x16_bf16 v[10:13], v[16:17], v[22:23], v[10:13]
	v_cvt_pk_f32_fp8_e32 v[16:17], v9
	v_perm_b32 v7, v21, v20, s4
	v_cvt_pk_f32_fp8_sdwa v[8:9], v9 src0_sel:WORD_1
	s_waitcnt vmcnt(0)
	v_cvt_pk_f32_fp8_e32 v[20:21], v2
	v_perm_b32 v16, v17, v16, s4
	v_cvt_pk_f32_fp8_sdwa v[22:23], v2 src0_sel:WORD_1
	v_perm_b32 v17, v9, v8, s4
	s_waitcnt lgkmcnt(0)
	v_mfma_f32_16x16x16_bf16 v[6:9], v[6:7], v[28:29], v[10:13]
	v_perm_b32 v20, v21, v20, s4
	v_perm_b32 v21, v23, v22, s4
	v_cvt_pk_f32_fp8_e32 v[22:23], v3
	ds_read_b128 v[10:13], v14 offset:6144
	v_cvt_pk_f32_fp8_sdwa v[2:3], v3 src0_sel:WORD_1
	v_mfma_f32_16x16x16_bf16 v[6:9], v[16:17], v[30:31], v[6:9]
	v_perm_b32 v22, v23, v22, s4
	ds_read_b128 v[14:17], v14 offset:6160
	v_perm_b32 v23, v3, v2, s4
	s_waitcnt lgkmcnt(1)
	v_mfma_f32_16x16x16_bf16 v[6:9], v[20:21], v[10:11], v[6:9]
	v_cvt_pk_f32_fp8_e32 v[2:3], v4
	v_cvt_pk_f32_fp8_sdwa v[10:11], v4 src0_sel:WORD_1
	s_waitcnt lgkmcnt(0)
	v_mfma_f32_16x16x16_bf16 v[6:9], v[22:23], v[12:13], v[6:9]
	v_perm_b32 v2, v3, v2, s4
	v_perm_b32 v3, v11, v10, s4
	v_cvt_pk_f32_fp8_e32 v[10:11], v5
	v_cvt_pk_f32_fp8_sdwa v[4:5], v5 src0_sel:WORD_1
	s_barrier
	v_perm_b32 v10, v11, v10, s4
	v_perm_b32 v11, v5, v4, s4
	v_mfma_f32_16x16x16_bf16 v[2:5], v[2:3], v[14:15], v[6:9]
	s_nop 0
	v_mfma_f32_16x16x16_bf16 v[2:5], v[10:11], v[16:17], v[2:5]
	s_nop 6
	v_pk_mul_f32 v[2:3], v[2:3], s[12:13] op_sel_hi:[1,0]
	v_pk_mul_f32 v[4:5], v[4:5], s[12:13] op_sel_hi:[1,0]
	v_bfe_u32 v6, v3, 16, 1
	v_bfe_u32 v7, v2, 16, 1
	v_add3_u32 v2, v2, v7, s10
	v_add3_u32 v3, v3, v6, s10
	v_perm_b32 v2, v3, v2, s4
	v_bfe_u32 v3, v5, 16, 1
	v_bfe_u32 v6, v4, 16, 1
	v_add3_u32 v4, v4, v6, s10
	v_add3_u32 v3, v5, v3, s10
	v_perm_b32 v3, v3, v4, s4
	s_and_b64 s[4:5], vcc, s[30:31]
	ds_write_b64 v18, v[2:3]
	s_waitcnt lgkmcnt(0)
	s_barrier
	s_and_saveexec_b64 s[10:11], s[4:5]
	s_cbranch_execz .LBB1176_20
; %bb.18:
	s_load_dwordx2 s[4:5], s[0:1], 0x68
	s_lshl_b32 s0, s8, 6
	s_mul_i32 s1, s9, s2
	s_mul_hi_u32 s9, s1, s0
	s_mul_i32 s8, s1, s0
	v_lshlrev_b32_e32 v0, 10, v0
	s_lshl_b64 s[8:9], s[8:9], 1
	v_and_b32_e32 v0, 0x1800, v0
	v_lshlrev_b32_e32 v2, 5, v42
	v_and_b32_e32 v1, 16, v1
	s_waitcnt lgkmcnt(0)
	s_add_u32 s1, s4, s8
	v_or3_b32 v2, v0, v2, v1
	s_addc_u32 s4, s5, s9
	s_lshl_b32 s2, s28, 6
	s_lshl_b64 s[2:3], s[2:3], 1
	ds_read_b128 v[4:7], v2 offset:128
	ds_read_b128 v[8:11], v2
	s_add_u32 s2, s1, s2
	s_addc_u32 s3, s4, s3
	v_add_u32_e32 v3, s48, v42
	v_lshl_add_u64 v[0:1], s[2:3], 0, v[26:27]
	v_mad_u64_u32 v[12:13], s[2:3], v3, s0, 0
	v_lshl_add_u64 v[12:13], v[12:13], 1, v[0:1]
	v_add_u32_e32 v3, 4, v3
	s_waitcnt lgkmcnt(0)
	global_store_dwordx4 v[12:13], v[8:11], off
	s_nop 1
	v_mad_u64_u32 v[8:9], s[2:3], v3, s0, 0
	v_lshl_add_u64 v[8:9], v[8:9], 1, v[0:1]
	global_store_dwordx4 v[8:9], v[4:7], off
	s_and_b64 exec, exec, s[6:7]
	s_cbranch_execz .LBB1176_20
; %bb.19:
	ds_read_b128 v[2:5], v2 offset:256
	v_add3_u32 v6, s48, v42, 8
	v_mad_u64_u32 v[6:7], s[0:1], v6, s0, 0
	v_lshl_add_u64 v[0:1], v[6:7], 1, v[0:1]
	s_waitcnt lgkmcnt(0)
	global_store_dwordx4 v[0:1], v[2:5], off
.LBB1176_20:
	s_endpgm
	.section	.rodata,"a",@progbits
	.p2align	6, 0x0
	.amdhsa_kernel _Z39paged_attention_ll4mi_QKV_mfma16_kernelI14__hip_bfloat16hLN4vllm18Fp8KVCacheDataTypeE1EhLi32ELi64ELi256ELb1ELi9EEvPKT_PKT0_S8_ifPKiSA_SA_iPKfiiiPfSD_PS3_PT2_iSC_SC_
		.amdhsa_group_segment_fixed_size 8192
		.amdhsa_private_segment_fixed_size 0
		.amdhsa_kernarg_size 400
		.amdhsa_user_sgpr_count 2
		.amdhsa_user_sgpr_dispatch_ptr 0
		.amdhsa_user_sgpr_queue_ptr 0
		.amdhsa_user_sgpr_kernarg_segment_ptr 1
		.amdhsa_user_sgpr_dispatch_id 0
		.amdhsa_user_sgpr_kernarg_preload_length 0
		.amdhsa_user_sgpr_kernarg_preload_offset 0
		.amdhsa_user_sgpr_private_segment_size 0
		.amdhsa_uses_dynamic_stack 0
		.amdhsa_enable_private_segment 0
		.amdhsa_system_sgpr_workgroup_id_x 1
		.amdhsa_system_sgpr_workgroup_id_y 1
		.amdhsa_system_sgpr_workgroup_id_z 1
		.amdhsa_system_sgpr_workgroup_info 0
		.amdhsa_system_vgpr_workitem_id 0
		.amdhsa_next_free_vgpr 71
		.amdhsa_next_free_sgpr 50
		.amdhsa_accum_offset 72
		.amdhsa_reserve_vcc 1
		.amdhsa_float_round_mode_32 0
		.amdhsa_float_round_mode_16_64 0
		.amdhsa_float_denorm_mode_32 3
		.amdhsa_float_denorm_mode_16_64 3
		.amdhsa_dx10_clamp 1
		.amdhsa_ieee_mode 1
		.amdhsa_fp16_overflow 0
		.amdhsa_tg_split 0
		.amdhsa_exception_fp_ieee_invalid_op 0
		.amdhsa_exception_fp_denorm_src 0
		.amdhsa_exception_fp_ieee_div_zero 0
		.amdhsa_exception_fp_ieee_overflow 0
		.amdhsa_exception_fp_ieee_underflow 0
		.amdhsa_exception_fp_ieee_inexact 0
		.amdhsa_exception_int_div_zero 0
	.end_amdhsa_kernel
	.section	.text._Z39paged_attention_ll4mi_QKV_mfma16_kernelI14__hip_bfloat16hLN4vllm18Fp8KVCacheDataTypeE1EhLi32ELi64ELi256ELb1ELi9EEvPKT_PKT0_S8_ifPKiSA_SA_iPKfiiiPfSD_PS3_PT2_iSC_SC_,"axG",@progbits,_Z39paged_attention_ll4mi_QKV_mfma16_kernelI14__hip_bfloat16hLN4vllm18Fp8KVCacheDataTypeE1EhLi32ELi64ELi256ELb1ELi9EEvPKT_PKT0_S8_ifPKiSA_SA_iPKfiiiPfSD_PS3_PT2_iSC_SC_,comdat
.Lfunc_end1176:
	.size	_Z39paged_attention_ll4mi_QKV_mfma16_kernelI14__hip_bfloat16hLN4vllm18Fp8KVCacheDataTypeE1EhLi32ELi64ELi256ELb1ELi9EEvPKT_PKT0_S8_ifPKiSA_SA_iPKfiiiPfSD_PS3_PT2_iSC_SC_, .Lfunc_end1176-_Z39paged_attention_ll4mi_QKV_mfma16_kernelI14__hip_bfloat16hLN4vllm18Fp8KVCacheDataTypeE1EhLi32ELi64ELi256ELb1ELi9EEvPKT_PKT0_S8_ifPKiSA_SA_iPKfiiiPfSD_PS3_PT2_iSC_SC_
                                        ; -- End function
	.section	.AMDGPU.csdata,"",@progbits
; Kernel info:
; codeLenInByte = 5236
; NumSgprs: 56
; NumVgprs: 71
; NumAgprs: 0
; TotalNumVgprs: 71
; ScratchSize: 0
; MemoryBound: 0
; FloatMode: 240
; IeeeMode: 1
; LDSByteSize: 8192 bytes/workgroup (compile time only)
; SGPRBlocks: 6
; VGPRBlocks: 8
; NumSGPRsForWavesPerEU: 56
; NumVGPRsForWavesPerEU: 71
; AccumOffset: 72
; Occupancy: 7
; WaveLimiterHint : 1
; COMPUTE_PGM_RSRC2:SCRATCH_EN: 0
; COMPUTE_PGM_RSRC2:USER_SGPR: 2
; COMPUTE_PGM_RSRC2:TRAP_HANDLER: 0
; COMPUTE_PGM_RSRC2:TGID_X_EN: 1
; COMPUTE_PGM_RSRC2:TGID_Y_EN: 1
; COMPUTE_PGM_RSRC2:TGID_Z_EN: 1
; COMPUTE_PGM_RSRC2:TIDIG_COMP_CNT: 0
; COMPUTE_PGM_RSRC3_GFX90A:ACCUM_OFFSET: 17
; COMPUTE_PGM_RSRC3_GFX90A:TG_SPLIT: 0
	.section	.text._Z39paged_attention_ll4mi_QKV_mfma16_kernelI14__hip_bfloat16hLN4vllm18Fp8KVCacheDataTypeE1EhLi32ELi64ELi256ELb1ELi10EEvPKT_PKT0_S8_ifPKiSA_SA_iPKfiiiPfSD_PS3_PT2_iSC_SC_,"axG",@progbits,_Z39paged_attention_ll4mi_QKV_mfma16_kernelI14__hip_bfloat16hLN4vllm18Fp8KVCacheDataTypeE1EhLi32ELi64ELi256ELb1ELi10EEvPKT_PKT0_S8_ifPKiSA_SA_iPKfiiiPfSD_PS3_PT2_iSC_SC_,comdat
	.protected	_Z39paged_attention_ll4mi_QKV_mfma16_kernelI14__hip_bfloat16hLN4vllm18Fp8KVCacheDataTypeE1EhLi32ELi64ELi256ELb1ELi10EEvPKT_PKT0_S8_ifPKiSA_SA_iPKfiiiPfSD_PS3_PT2_iSC_SC_ ; -- Begin function _Z39paged_attention_ll4mi_QKV_mfma16_kernelI14__hip_bfloat16hLN4vllm18Fp8KVCacheDataTypeE1EhLi32ELi64ELi256ELb1ELi10EEvPKT_PKT0_S8_ifPKiSA_SA_iPKfiiiPfSD_PS3_PT2_iSC_SC_
	.globl	_Z39paged_attention_ll4mi_QKV_mfma16_kernelI14__hip_bfloat16hLN4vllm18Fp8KVCacheDataTypeE1EhLi32ELi64ELi256ELb1ELi10EEvPKT_PKT0_S8_ifPKiSA_SA_iPKfiiiPfSD_PS3_PT2_iSC_SC_
	.p2align	8
	.type	_Z39paged_attention_ll4mi_QKV_mfma16_kernelI14__hip_bfloat16hLN4vllm18Fp8KVCacheDataTypeE1EhLi32ELi64ELi256ELb1ELi10EEvPKT_PKT0_S8_ifPKiSA_SA_iPKfiiiPfSD_PS3_PT2_iSC_SC_,@function
_Z39paged_attention_ll4mi_QKV_mfma16_kernelI14__hip_bfloat16hLN4vllm18Fp8KVCacheDataTypeE1EhLi32ELi64ELi256ELb1ELi10EEvPKT_PKT0_S8_ifPKiSA_SA_iPKfiiiPfSD_PS3_PT2_iSC_SC_: ; @_Z39paged_attention_ll4mi_QKV_mfma16_kernelI14__hip_bfloat16hLN4vllm18Fp8KVCacheDataTypeE1EhLi32ELi64ELi256ELb1ELi10EEvPKT_PKT0_S8_ifPKiSA_SA_iPKfiiiPfSD_PS3_PT2_iSC_SC_
; %bb.0:
	s_load_dwordx2 s[6:7], s[0:1], 0x30
	s_mov_b32 s28, s3
	s_mov_b64 s[8:9], 0
	s_waitcnt lgkmcnt(0)
	s_cmp_lg_u64 s[6:7], 0
	s_cselect_b64 s[10:11], -1, 0
	s_and_b64 vcc, exec, s[10:11]
	s_cbranch_vccz .LBB1177_7
; %bb.1:
	s_add_i32 s12, s2, 1
	s_mov_b32 s13, 0
	s_lshl_b64 s[14:15], s[12:13], 2
	s_add_u32 s14, s6, s14
	s_mov_b32 s3, s13
	s_addc_u32 s15, s7, s15
	s_lshl_b64 s[12:13], s[2:3], 2
	s_add_u32 s12, s6, s12
	s_addc_u32 s13, s7, s13
	s_load_dword s5, s[14:15], 0x0
	s_load_dword s16, s[12:13], 0x0
	s_waitcnt lgkmcnt(0)
	s_sub_i32 s5, s5, s16
	s_cmp_eq_u32 s5, 1
	s_cselect_b64 s[12:13], -1, 0
	s_andn2_b64 vcc, exec, s[8:9]
	s_cbranch_vccnz .LBB1177_3
.LBB1177_2:
	s_mov_b32 s3, 0
	s_mov_b64 s[12:13], -1
.LBB1177_3:
	s_andn2_b64 vcc, exec, s[12:13]
	s_cbranch_vccnz .LBB1177_20
; %bb.4:
	s_load_dwordx2 s[8:9], s[0:1], 0x28
	s_lshl_b64 s[12:13], s[2:3], 2
	s_waitcnt lgkmcnt(0)
	s_add_u32 s8, s8, s12
	s_addc_u32 s9, s9, s13
	s_load_dword s29, s[8:9], 0x0
	s_lshl_b32 s16, s28, 8
	s_waitcnt lgkmcnt(0)
	s_cmp_ge_i32 s16, s29
	s_cbranch_scc1 .LBB1177_20
; %bb.5:
	s_load_dwordx2 s[8:9], s[0:1], 0x20
	s_load_dword s5, s[0:1], 0x38
	s_add_i32 s14, s29, 31
	s_ashr_i32 s15, s14, 31
	v_and_b32_e32 v1, 0xcf, v0
	s_lshr_b32 s15, s15, 27
	v_add_u32_e32 v1, s16, v1
	s_add_i32 s14, s14, s15
	v_ashrrev_i32_e32 v2, 31, v1
	s_ashr_i32 s17, s14, 5
	v_lshrrev_b32_e32 v4, 27, v2
	s_add_i32 s17, s17, -1
	s_waitcnt lgkmcnt(0)
	s_mul_i32 s14, s2, s5
	s_mov_b32 s15, 0
	v_add_u32_e32 v2, v1, v4
	s_lshl_b64 s[14:15], s[14:15], 2
	v_ashrrev_i32_e32 v2, 5, v2
	v_mov_b32_e32 v5, s17
	v_cmp_gt_i32_e32 vcc, s29, v1
	s_add_u32 s8, s8, s14
	s_addc_u32 s9, s9, s15
	v_cndmask_b32_e32 v2, v5, v2, vcc
	v_ashrrev_i32_e32 v3, 31, v2
	v_lshl_add_u64 v[6:7], v[2:3], 2, s[8:9]
	v_or_b32_e32 v2, 16, v1
	v_add_u32_e32 v3, v2, v4
	v_ashrrev_i32_e32 v3, 5, v3
	v_cmp_gt_i32_e32 vcc, s29, v2
	s_load_dwordx2 s[14:15], s[0:1], 0x8
	s_nop 0
	v_cndmask_b32_e32 v2, v5, v3, vcc
	v_ashrrev_i32_e32 v3, 31, v2
	v_lshl_add_u64 v[8:9], v[2:3], 2, s[8:9]
	v_or_b32_e32 v2, 32, v1
	v_add_u32_e32 v3, v2, v4
	v_ashrrev_i32_e32 v3, 5, v3
	v_cmp_gt_i32_e32 vcc, s29, v2
	v_or_b32_e32 v1, 48, v1
	s_nop 0
	v_cndmask_b32_e32 v2, v5, v3, vcc
	v_ashrrev_i32_e32 v3, 31, v2
	v_lshl_add_u64 v[10:11], v[2:3], 2, s[8:9]
	v_add_u32_e32 v2, v1, v4
	v_ashrrev_i32_e32 v2, 5, v2
	v_cmp_gt_i32_e32 vcc, s29, v1
	s_nop 1
	v_cndmask_b32_e32 v2, v5, v2, vcc
	v_ashrrev_i32_e32 v3, 31, v2
	v_lshl_add_u64 v[12:13], v[2:3], 2, s[8:9]
	global_load_dword v5, v[6:7], off
	global_load_dword v4, v[8:9], off
	;; [unrolled: 1-line block ×4, first 2 shown]
	s_andn2_b64 vcc, exec, s[10:11]
	s_cbranch_vccnz .LBB1177_8
; %bb.6:
	s_add_u32 s6, s6, s12
	s_addc_u32 s7, s7, s13
	s_load_dword s5, s[6:7], 0x0
	s_branch .LBB1177_9
.LBB1177_7:
	s_mov_b64 s[12:13], 0
	s_branch .LBB1177_2
.LBB1177_8:
	s_mov_b32 s5, s2
.LBB1177_9:
	s_load_dwordx2 s[10:11], s[0:1], 0x10
	s_load_dwordx4 s[44:47], s[0:1], 0x48
	v_lshrrev_b32_e32 v29, 6, v0
	v_bfe_u32 v42, v0, 4, 2
	v_lshl_or_b32 v6, v29, 2, v42
	v_and_b32_e32 v28, 15, v0
	v_lshlrev_b32_e32 v1, 3, v28
	v_cmp_gt_u32_e32 vcc, 10, v6
	v_cmp_gt_u32_e64 s[30:31], 8, v28
	s_mul_i32 s48, s4, 10
	s_and_b64 s[12:13], s[30:31], vcc
	v_lshlrev_b32_e32 v26, 1, v1
	v_lshlrev_b32_e32 v1, 4, v0
	s_and_saveexec_b64 s[6:7], s[12:13]
	s_cbranch_execz .LBB1177_11
; %bb.10:
	s_load_dwordx2 s[12:13], s[0:1], 0x0
	s_waitcnt lgkmcnt(0)
	s_ashr_i32 s18, s44, 31
	s_mul_hi_u32 s19, s5, s44
	s_mul_i32 s18, s5, s18
	s_add_i32 s19, s19, s18
	s_mul_i32 s18, s5, s44
	s_lshl_b64 s[18:19], s[18:19], 1
	s_add_u32 s12, s12, s18
	v_add_lshl_u32 v8, v6, s48, 6
	s_addc_u32 s13, s13, s19
	v_ashrrev_i32_e32 v9, 31, v8
	v_lshl_add_u64 v[8:9], v[8:9], 1, s[12:13]
	v_mov_b32_e32 v27, 0
	v_lshl_add_u64 v[8:9], v[8:9], 0, v[26:27]
	global_load_dwordx4 v[8:11], v[8:9], off
	v_lshlrev_b32_e32 v12, 8, v28
	v_lshlrev_b32_e32 v6, 5, v6
	v_and_b32_e32 v7, 16, v1
	v_and_b32_e32 v12, 0xe00, v12
	v_or3_b32 v6, v12, v6, v7
	s_waitcnt vmcnt(0)
	ds_write_b128 v6, v[8:11]
.LBB1177_11:
	s_or_b64 exec, exec, s[6:7]
	s_waitcnt lgkmcnt(0)
	s_mul_i32 s12, s4, s46
	s_add_u32 s4, s14, s12
	s_addc_u32 s5, s15, 0
	v_mov_b32_e32 v31, 0
	v_mov_b64_e32 v[6:7], s[4:5]
	v_lshlrev_b32_e32 v10, 4, v28
	v_and_b32_e32 v27, 48, v0
	s_waitcnt vmcnt(3)
	v_mad_i64_i32 v[8:9], s[4:5], v5, s45, v[6:7]
	v_mov_b32_e32 v11, v31
	s_waitcnt vmcnt(2)
	v_mad_i64_i32 v[4:5], s[4:5], v4, s45, v[6:7]
	v_or_b32_e32 v12, 0x100, v10
	v_mov_b32_e32 v13, v31
	v_lshlrev_b32_e32 v30, 5, v27
	v_lshl_add_u64 v[8:9], v[8:9], 0, v[10:11]
	v_lshl_add_u64 v[4:5], v[4:5], 0, v[12:13]
	;; [unrolled: 1-line block ×4, first 2 shown]
	s_barrier
	global_load_dwordx4 v[22:25], v[8:9], off
	global_load_dwordx4 v[18:21], v[4:5], off
	s_waitcnt vmcnt(3)
	v_mad_i64_i32 v[4:5], s[4:5], v3, s45, v[6:7]
	v_lshl_add_u64 v[4:5], v[4:5], 0, v[10:11]
	s_waitcnt vmcnt(2)
	v_mad_i64_i32 v[2:3], s[4:5], v2, s45, v[6:7]
	v_lshl_add_u64 v[4:5], v[4:5], 0, v[30:31]
	v_lshl_add_u64 v[2:3], v[2:3], 0, v[12:13]
	v_lshl_add_u64 v[2:3], v[2:3], 0, v[30:31]
	global_load_dwordx4 v[14:17], v[4:5], off
	global_load_dwordx4 v[6:9], v[2:3], off
	v_add_u32_e32 v2, -10, v28
	v_cmp_gt_u32_e32 vcc, 10, v28
	v_and_b32_e32 v43, 63, v0
	v_mov_b32_e32 v44, 0
	v_cndmask_b32_e32 v2, v2, v28, vcc
	v_lshlrev_b32_e32 v2, 5, v2
	v_lshl_add_u32 v2, v42, 9, v2
	ds_read_b128 v[10:13], v2
	ds_read_b128 v[2:5], v2 offset:16
	s_and_saveexec_b64 s[4:5], vcc
	s_cbranch_execz .LBB1177_13
; %bb.12:
	s_load_dwordx2 s[6:7], s[0:1], 0x40
	v_add_u32_e32 v32, s48, v28
	v_ashrrev_i32_e32 v33, 31, v32
	s_waitcnt lgkmcnt(0)
	v_lshl_add_u64 v[32:33], v[32:33], 2, s[6:7]
	global_load_dword v44, v[32:33], off
.LBB1177_13:
	s_or_b64 exec, exec, s[4:5]
	s_ashr_i32 s4, s16, 31
	v_or_b32_e32 v45, s16, v27
	s_lshr_b32 s13, s4, 27
	v_add_u32_e32 v27, s13, v45
	v_ashrrev_i32_e32 v27, 5, v27
	s_waitcnt vmcnt(3)
	v_cvt_pk_f32_fp8_e32 v[34:35], v22
	v_cvt_pk_f32_fp8_sdwa v[36:37], v22 src0_sel:WORD_1
	s_waitcnt vmcnt(2)
	v_cvt_pk_f32_fp8_e32 v[56:57], v20
	v_cvt_pk_f32_fp8_sdwa v[58:59], v20 src0_sel:WORD_1
	v_mov_b32_e32 v20, s17
	v_cmp_gt_i32_e32 vcc, s29, v45
	v_cvt_pk_f32_fp8_e32 v[48:49], v18
	v_cvt_pk_f32_fp8_sdwa v[50:51], v18 src0_sel:WORD_1
	v_cndmask_b32_e32 v18, v20, v27, vcc
	v_cvt_pk_f32_fp8_e32 v[52:53], v19
	v_cvt_pk_f32_fp8_sdwa v[54:55], v19 src0_sel:WORD_1
	v_ashrrev_i32_e32 v19, 31, v18
	v_lshl_add_u64 v[18:19], v[18:19], 2, s[8:9]
	s_mov_b32 s33, 0x7060302
	v_cvt_pk_f32_fp8_e32 v[32:33], v23
	v_cvt_pk_f32_fp8_sdwa v[22:23], v23 src0_sel:WORD_1
	global_load_dword v70, v[18:19], off
	v_perm_b32 v18, v35, v34, s33
	v_perm_b32 v19, v37, v36, s33
	v_cvt_pk_f32_fp8_e32 v[60:61], v21
	v_cvt_pk_f32_fp8_sdwa v[62:63], v21 src0_sel:WORD_1
	v_or_b32_e32 v21, 64, v45
	v_or_b32_e32 v34, 0x80, v45
	;; [unrolled: 1-line block ×3, first 2 shown]
	v_cmp_gt_i32_e32 vcc, s29, v21
	v_add_u32_e32 v21, s13, v21
	v_cmp_gt_i32_e64 s[4:5], s29, v34
	v_add_u32_e32 v34, s13, v34
	v_cmp_gt_i32_e64 s[6:7], s29, v35
	v_add_u32_e32 v35, s13, v35
	v_cvt_pk_f32_fp8_e32 v[38:39], v24
	v_cvt_pk_f32_fp8_sdwa v[40:41], v24 src0_sel:WORD_1
	v_cvt_pk_f32_fp8_e32 v[46:47], v25
	v_ashrrev_i32_e32 v21, 5, v21
	v_ashrrev_i32_e32 v34, 5, v34
	;; [unrolled: 1-line block ×3, first 2 shown]
	v_perm_b32 v32, v33, v32, s33
	v_perm_b32 v33, v23, v22, s33
	;; [unrolled: 1-line block ×4, first 2 shown]
	v_cvt_pk_f32_fp8_sdwa v[24:25], v25 src0_sel:WORD_1
	v_cndmask_b32_e32 v36, v20, v21, vcc
	v_cndmask_b32_e64 v64, v20, v34, s[4:5]
	v_cndmask_b32_e64 v66, v20, v35, s[6:7]
	s_waitcnt lgkmcnt(1)
	v_mfma_f32_16x16x16_bf16 v[18:21], v[18:19], v[10:11], 0
	v_perm_b32 v38, v39, v38, s33
	v_perm_b32 v39, v41, v40, s33
	;; [unrolled: 1-line block ×5, first 2 shown]
	s_load_dword s14, s[0:1], 0x1c
	s_load_dwordx4 s[40:43], s[0:1], 0x80
	v_perm_b32 v69, v25, v24, s33
	v_mfma_f32_16x16x16_bf16 v[22:25], v[22:23], v[10:11], 0
	s_add_u32 s10, s10, s12
	v_and_b32_e32 v30, 16, v0
	v_lshlrev_b32_e32 v27, 5, v28
	v_mfma_f32_16x16x16_bf16 v[32:35], v[32:33], v[12:13], v[18:21]
	s_addc_u32 s11, s11, 0
	v_lshl_add_u64 v[40:41], s[10:11], 0, v[30:31]
	v_lshl_or_b32 v30, v29, 9, v27
	v_ashrrev_i32_e32 v37, 31, v36
	v_ashrrev_i32_e32 v65, 31, v64
	;; [unrolled: 1-line block ×3, first 2 shown]
	v_perm_b32 v48, v57, v56, s33
	v_perm_b32 v49, v59, v58, s33
	v_mfma_f32_16x16x16_bf16 v[20:23], v[46:47], v[12:13], v[22:25]
	v_lshl_add_u64 v[18:19], v[40:41], 0, v[30:31]
	s_waitcnt lgkmcnt(0)
	s_load_dword s6, s[40:41], 0x0
	v_perm_b32 v50, v61, v60, s33
	v_mfma_f32_16x16x16_bf16 v[30:33], v[38:39], v[2:3], v[32:35]
	v_lshl_add_u64 v[24:25], v[36:37], 2, s[8:9]
	v_lshl_add_u64 v[36:37], v[66:67], 2, s[8:9]
	v_perm_b32 v51, v63, v62, s33
	v_lshl_add_u64 v[34:35], v[64:65], 2, s[8:9]
	global_load_dword v47, v[24:25], off
	global_load_dword v45, v[34:35], off
	;; [unrolled: 1-line block ×3, first 2 shown]
	s_waitcnt vmcnt(5)
	v_cvt_pk_f32_fp8_e32 v[34:35], v14
	v_cvt_pk_f32_fp8_sdwa v[36:37], v14 src0_sel:WORD_1
	v_mfma_f32_16x16x16_bf16 v[20:23], v[48:49], v[2:3], v[20:23]
	v_cvt_pk_f32_fp8_e32 v[38:39], v15
	v_perm_b32 v34, v35, v34, s33
	v_perm_b32 v35, v37, v36, s33
	v_cvt_pk_f32_fp8_sdwa v[14:15], v15 src0_sel:WORD_1
	v_mov_b32_e32 v40, s14
	s_waitcnt lgkmcnt(0)
	v_mul_f32_e32 v48, s6, v40
	v_mfma_f32_16x16x16_bf16 v[20:23], v[50:51], v[4:5], v[20:23]
	v_perm_b32 v38, v39, v38, s33
	v_cvt_pk_f32_fp8_e32 v[40:41], v16
	v_cvt_pk_f32_fp8_sdwa v[50:51], v16 src0_sel:WORD_1
	v_perm_b32 v39, v15, v14, s33
	v_mfma_f32_16x16x16_bf16 v[34:37], v[34:35], v[10:11], 0
	v_perm_b32 v40, v41, v40, s33
	v_perm_b32 v41, v51, v50, s33
	v_cvt_pk_f32_fp8_e32 v[50:51], v17
	v_cvt_pk_f32_fp8_sdwa v[52:53], v17 src0_sel:WORD_1
	v_mfma_f32_16x16x16_bf16 v[30:33], v[68:69], v[4:5], v[30:33]
	s_mov_b32 s44, 0xff7fffff
	s_waitcnt vmcnt(3)
	v_mad_i64_i32 v[24:25], s[4:5], v70, s45, v[18:19]
	v_mfma_f32_16x16x16_bf16 v[14:17], v[38:39], v[12:13], v[34:37]
	s_nop 2
	v_perm_b32 v34, v51, v50, s33
	v_perm_b32 v35, v53, v52, s33
	v_mfma_f32_16x16x16_bf16 v[14:17], v[40:41], v[2:3], v[14:17]
	v_pk_mul_f32 v[38:39], v[48:49], v[30:31] op_sel_hi:[0,1]
	v_cvt_pk_f32_fp8_e32 v[30:31], v6
	v_cvt_pk_f32_fp8_sdwa v[36:37], v6 src0_sel:WORD_1
	v_mfma_f32_16x16x16_bf16 v[14:17], v[34:35], v[4:5], v[14:17]
	v_cvt_pk_f32_fp8_e32 v[34:35], v7
	v_perm_b32 v30, v31, v30, s33
	v_perm_b32 v31, v37, v36, s33
	v_cvt_pk_f32_fp8_sdwa v[6:7], v7 src0_sel:WORD_1
	v_perm_b32 v40, v35, v34, s33
	v_cvt_pk_f32_fp8_e32 v[50:51], v8
	v_cvt_pk_f32_fp8_sdwa v[52:53], v8 src0_sel:WORD_1
	v_perm_b32 v41, v7, v6, s33
	v_mfma_f32_16x16x16_bf16 v[34:37], v[30:31], v[10:11], 0
	v_perm_b32 v10, v51, v50, s33
	v_perm_b32 v11, v53, v52, s33
	v_cvt_pk_f32_fp8_e32 v[30:31], v9
	v_cvt_pk_f32_fp8_sdwa v[50:51], v9 src0_sel:WORD_1
	v_mfma_f32_16x16x16_bf16 v[6:9], v[40:41], v[12:13], v[34:37]
	v_pk_mul_f32 v[40:41], v[48:49], v[20:21] op_sel_hi:[0,1]
	v_perm_b32 v12, v31, v30, s33
	v_perm_b32 v13, v51, v50, s33
	v_mfma_f32_16x16x16_bf16 v[6:9], v[10:11], v[2:3], v[6:9]
	v_pk_mul_f32 v[36:37], v[48:49], v[22:23] op_sel_hi:[0,1]
	v_pk_mul_f32 v[32:33], v[48:49], v[32:33] op_sel_hi:[0,1]
	v_pk_mul_f32 v[30:31], v[48:49], v[16:17] op_sel_hi:[0,1]
	v_mfma_f32_16x16x16_bf16 v[2:5], v[12:13], v[4:5], v[6:9]
	v_pk_mul_f32 v[34:35], v[48:49], v[14:15] op_sel_hi:[0,1]
	s_nop 5
	v_pk_mul_f32 v[22:23], v[48:49], v[2:3] op_sel_hi:[0,1]
	v_and_b32_e32 v2, 0xc0, v0
	v_add_u32_e32 v2, s16, v2
	v_lshl_or_b32 v2, v42, 2, v2
	v_or_b32_e32 v3, 1, v2
	v_pk_mul_f32 v[20:21], v[48:49], v[4:5] op_sel_hi:[0,1]
	v_subrev_u32_e32 v4, s29, v3
	v_add_u32_e32 v6, 1, v4
	v_add_u32_e32 v7, 2, v4
	;; [unrolled: 1-line block ×3, first 2 shown]
	v_cvt_f32_i32_e32 v6, v6
	v_cvt_f32_i32_e32 v7, v7
	;; [unrolled: 1-line block ×3, first 2 shown]
	v_add_u32_e32 v9, 19, v4
	v_fmac_f32_e32 v39, v44, v6
	v_fma_f32 v32, v44, v7, v32
	v_fmac_f32_e32 v33, v44, v8
	v_add_u32_e32 v6, 16, v4
	v_add_u32_e32 v7, 17, v4
	;; [unrolled: 1-line block ×3, first 2 shown]
	v_cvt_f32_i32_e32 v6, v6
	v_cvt_f32_i32_e32 v7, v7
	;; [unrolled: 1-line block ×4, first 2 shown]
	v_fma_f32 v40, v44, v6, v40
	v_fmac_f32_e32 v41, v44, v7
	v_fma_f32 v36, v44, v8, v36
	v_add_u32_e32 v6, 32, v4
	v_add_u32_e32 v7, 33, v4
	;; [unrolled: 1-line block ×3, first 2 shown]
	v_cvt_f32_i32_e32 v6, v6
	v_cvt_f32_i32_e32 v7, v7
	;; [unrolled: 1-line block ×4, first 2 shown]
	v_fmac_f32_e32 v37, v44, v9
	v_add_u32_e32 v9, 35, v4
	v_fma_f32 v48, v44, v6, v34
	v_fmac_f32_e32 v35, v44, v7
	v_fma_f32 v30, v44, v8, v30
	v_add_u32_e32 v6, 48, v4
	v_add_u32_e32 v7, 49, v4
	;; [unrolled: 1-line block ×4, first 2 shown]
	v_cvt_f32_i32_e32 v4, v4
	v_cvt_f32_i32_e32 v6, v6
	v_cvt_f32_i32_e32 v7, v7
	v_fma_f32 v5, v44, v5, v38
	v_fmac_f32_e32 v21, v44, v4
	v_mov_b32_e32 v4, 0xff7fffff
	v_cmp_gt_i32_e64 s[4:5], s29, v2
	v_cmp_gt_i32_e64 s[34:35], s29, v3
	v_fma_f32 v22, v44, v6, v22
	v_cndmask_b32_e64 v6, v4, v5, s[4:5]
	v_cndmask_b32_e64 v3, v4, v39, s[34:35]
	v_fmac_f32_e32 v23, v44, v7
	v_max3_f32 v3, v6, s44, v3
	v_or_b32_e32 v6, 2, v2
	v_or_b32_e32 v7, 3, v2
	v_cmp_gt_i32_e64 s[36:37], s29, v6
	v_cmp_gt_i32_e64 s[38:39], s29, v7
	v_cvt_f32_i32_e32 v9, v9
	v_cndmask_b32_e64 v6, v4, v32, s[36:37]
	v_cndmask_b32_e64 v7, v4, v33, s[38:39]
	v_max3_f32 v3, v3, v6, v7
	v_or_b32_e32 v6, 16, v2
	v_or_b32_e32 v7, 17, v2
	v_cmp_gt_i32_e64 s[24:25], s29, v6
	v_cmp_gt_i32_e64 s[26:27], s29, v7
	v_fmac_f32_e32 v31, v44, v9
	v_cndmask_b32_e64 v6, v4, v40, s[24:25]
	v_cndmask_b32_e64 v7, v4, v41, s[26:27]
	v_max3_f32 v3, v3, v6, v7
	v_or_b32_e32 v6, 18, v2
	v_or_b32_e32 v7, 19, v2
	v_cmp_gt_i32_e64 s[20:21], s29, v6
	v_cmp_gt_i32_e64 s[22:23], s29, v7
	v_cvt_f32_i32_e32 v8, v8
	v_cndmask_b32_e64 v6, v4, v36, s[20:21]
	v_cndmask_b32_e64 v7, v4, v37, s[22:23]
	v_max3_f32 v3, v3, v6, v7
	v_or_b32_e32 v6, 32, v2
	v_or_b32_e32 v7, 33, v2
	v_cmp_gt_i32_e64 s[16:17], s29, v6
	v_cmp_gt_i32_e64 s[18:19], s29, v7
	v_fma_f32 v20, v44, v8, v20
	v_cndmask_b32_e64 v6, v4, v48, s[16:17]
	v_cndmask_b32_e64 v7, v4, v35, s[18:19]
	v_max3_f32 v3, v3, v6, v7
	v_or_b32_e32 v6, 34, v2
	v_or_b32_e32 v7, 35, v2
	v_cmp_gt_i32_e64 s[12:13], s29, v6
	v_cmp_gt_i32_e64 s[14:15], s29, v7
	s_nop 0
	v_cndmask_b32_e64 v6, v4, v30, s[12:13]
	v_cndmask_b32_e64 v7, v4, v31, s[14:15]
	v_max3_f32 v3, v3, v6, v7
	v_or_b32_e32 v6, 48, v2
	v_or_b32_e32 v7, 49, v2
	v_cmp_gt_i32_e64 s[8:9], s29, v6
	v_cmp_gt_i32_e64 s[10:11], s29, v7
	s_nop 0
	v_cndmask_b32_e64 v6, v4, v22, s[8:9]
	v_cndmask_b32_e64 v7, v4, v23, s[10:11]
	v_max3_f32 v3, v3, v6, v7
	v_or_b32_e32 v6, 50, v2
	v_or_b32_e32 v2, 51, v2
	v_cmp_gt_i32_e32 vcc, s29, v6
	v_cmp_gt_i32_e64 s[6:7], s29, v2
	s_nop 0
	v_cndmask_b32_e32 v6, v4, v20, vcc
	v_cndmask_b32_e64 v2, v4, v21, s[6:7]
	v_max3_f32 v4, v3, v6, v2
	v_mbcnt_lo_u32_b32 v2, -1, 0
	v_mbcnt_hi_u32_b32 v6, -1, v2
	v_and_b32_e32 v2, 64, v6
	v_add_u32_e32 v7, 64, v2
	v_xor_b32_e32 v2, 32, v6
	v_cmp_lt_i32_e64 s[40:41], v2, v7
	s_nop 1
	v_cndmask_b32_e64 v2, v6, v2, s[40:41]
	v_lshlrev_b32_e32 v44, 2, v2
	ds_bpermute_b32 v8, v44, v4
	s_waitcnt vmcnt(2)
	v_mad_i64_i32 v[2:3], s[40:41], v47, s45, v[18:19]
	global_load_dwordx4 v[14:17], v[24:25], off
	global_load_dwordx4 v[10:13], v[2:3], off
	v_xor_b32_e32 v3, 16, v6
	v_cmp_lt_i32_e64 s[40:41], v3, v7
	s_waitcnt lgkmcnt(0)
	v_max_f32_e32 v2, v8, v8
	v_max_f32_e32 v2, v4, v2
	v_cndmask_b32_e64 v3, v6, v3, s[40:41]
	v_lshlrev_b32_e32 v47, 2, v3
	ds_bpermute_b32 v3, v47, v2
	s_waitcnt vmcnt(3)
	v_mad_i64_i32 v[24:25], s[40:41], v45, s45, v[18:19]
	s_waitcnt vmcnt(2)
	v_mad_i64_i32 v[18:19], s[40:41], v46, s45, v[18:19]
	s_waitcnt lgkmcnt(0)
	v_max_f32_e32 v3, v3, v3
	v_max_f32_e32 v34, v2, v3
	v_sub_f32_e32 v2, v5, v34
	v_mul_f32_e32 v2, 0x3fb8aa3b, v2
	v_exp_f32_e32 v38, v2
	v_sub_f32_e32 v2, v39, v34
	v_mul_f32_e32 v2, 0x3fb8aa3b, v2
	v_exp_f32_e32 v39, v2
	global_load_dwordx4 v[6:9], v[24:25], off
	global_load_dwordx4 v[2:5], v[18:19], off
	v_sub_f32_e32 v25, v32, v34
	v_sub_f32_e32 v32, v33, v34
	v_mul_f32_e32 v25, 0x3fb8aa3b, v25
	v_mul_f32_e32 v32, 0x3fb8aa3b, v32
	v_exp_f32_e32 v25, v25
	v_exp_f32_e32 v32, v32
	v_cndmask_b32_e64 v18, 0, v38, s[4:5]
	v_cndmask_b32_e64 v19, 0, v39, s[34:35]
	;; [unrolled: 1-line block ×4, first 2 shown]
	v_sub_f32_e32 v25, v40, v34
	v_sub_f32_e32 v32, v41, v34
	v_mul_f32_e32 v25, 0x3fb8aa3b, v25
	v_mul_f32_e32 v32, 0x3fb8aa3b, v32
	v_exp_f32_e32 v25, v25
	v_exp_f32_e32 v32, v32
	v_add_f32_e32 v24, 0, v18
	v_add_f32_e32 v24, v24, v19
	;; [unrolled: 1-line block ×4, first 2 shown]
	v_cndmask_b32_e64 v24, 0, v25, s[24:25]
	v_cndmask_b32_e64 v25, 0, v32, s[26:27]
	v_sub_f32_e32 v32, v36, v34
	v_mul_f32_e32 v32, 0x3fb8aa3b, v32
	v_exp_f32_e32 v32, v32
	v_sub_f32_e32 v36, v37, v34
	v_add_f32_e32 v33, v33, v24
	v_mul_f32_e32 v36, 0x3fb8aa3b, v36
	v_exp_f32_e32 v37, v36
	v_add_f32_e32 v33, v33, v25
	v_cndmask_b32_e64 v36, 0, v32, s[20:21]
	v_add_f32_e32 v32, v33, v36
	v_sub_f32_e32 v33, v48, v34
	v_mul_f32_e32 v33, 0x3fb8aa3b, v33
	v_sub_f32_e32 v35, v35, v34
	v_exp_f32_e32 v33, v33
	v_mul_f32_e32 v35, 0x3fb8aa3b, v35
	v_sub_f32_e32 v30, v30, v34
	v_exp_f32_e32 v35, v35
	;; [unrolled: 3-line block ×3, first 2 shown]
	v_mul_f32_e32 v31, 0x3fb8aa3b, v31
	v_sub_f32_e32 v22, v22, v34
	v_cndmask_b32_e64 v37, 0, v37, s[22:23]
	v_exp_f32_e32 v31, v31
	v_mul_f32_e32 v22, 0x3fb8aa3b, v22
	v_sub_f32_e32 v23, v23, v34
	v_add_f32_e32 v40, v32, v37
	v_cndmask_b32_e64 v32, 0, v33, s[16:17]
	v_exp_f32_e32 v22, v22
	v_mul_f32_e32 v23, 0x3fb8aa3b, v23
	v_sub_f32_e32 v20, v20, v34
	v_add_f32_e32 v40, v40, v32
	;; [unrolled: 5-line block ×3, first 2 shown]
	v_cndmask_b32_e64 v30, 0, v30, s[12:13]
	v_exp_f32_e32 v20, v20
	v_mul_f32_e32 v21, 0x3fb8aa3b, v21
	v_add_f32_e32 v35, v35, v30
	v_cndmask_b32_e64 v31, 0, v31, s[14:15]
	v_exp_f32_e32 v21, v21
	v_add_f32_e32 v35, v35, v31
	v_cndmask_b32_e64 v22, 0, v22, s[8:9]
	v_add_f32_e32 v35, v35, v22
	v_cndmask_b32_e64 v23, 0, v23, s[10:11]
	v_add_f32_e32 v35, v35, v23
	v_cndmask_b32_e32 v20, 0, v20, vcc
	v_add_f32_e32 v35, v35, v20
	v_cndmask_b32_e64 v21, 0, v21, s[6:7]
	v_add_f32_e32 v35, v35, v21
	ds_bpermute_b32 v40, v44, v35
	s_load_dword s7, s[0:1], 0x98
	v_cmp_gt_u32_e32 vcc, 16, v43
	s_waitcnt lgkmcnt(0)
	s_barrier
	v_add_f32_e32 v40, v35, v40
	ds_bpermute_b32 v41, v47, v40
	v_lshlrev_b32_e32 v35, 2, v28
	s_waitcnt lgkmcnt(0)
	s_and_saveexec_b64 s[4:5], vcc
	s_cbranch_execz .LBB1177_15
; %bb.14:
	v_add_f32_e32 v40, v40, v41
	v_lshl_or_b32 v41, v29, 6, v35
	ds_write2st64_b32 v41, v34, v40 offset1:1
.LBB1177_15:
	s_or_b64 exec, exec, s[4:5]
	s_load_dword s6, s[0:1], 0x94
	s_waitcnt lgkmcnt(0)
	s_barrier
	ds_read2_b32 v[40:41], v35 offset1:16
	ds_read2_b32 v[44:45], v35 offset0:32 offset1:48
	ds_read2_b32 v[46:47], v35 offset0:64 offset1:80
	s_movk_i32 s8, 0x7fff
	s_mul_i32 s7, s7, 10
	s_waitcnt lgkmcnt(2)
	v_max3_f32 v34, v40, s44, v41
	s_waitcnt lgkmcnt(1)
	v_max3_f32 v34, v34, v44, v45
	v_sub_f32_e32 v40, v40, v34
	v_mul_f32_e32 v40, 0x3fb8aa3b, v40
	v_exp_f32_e32 v43, v40
	v_sub_f32_e32 v40, v41, v34
	v_mul_f32_e32 v40, 0x3fb8aa3b, v40
	v_exp_f32_e32 v48, v40
	;; [unrolled: 3-line block ×3, first 2 shown]
	ds_read2_b32 v[40:41], v35 offset0:96 offset1:112
	v_sub_f32_e32 v35, v45, v34
	v_mul_f32_e32 v35, 0x3fb8aa3b, v35
	v_exp_f32_e32 v45, v35
	s_waitcnt lgkmcnt(1)
	v_fma_f32 v35, v43, v46, 0
	v_fmac_f32_e32 v35, v48, v47
	s_waitcnt lgkmcnt(0)
	v_fmac_f32_e32 v35, v44, v40
	v_fmac_f32_e32 v35, v45, v41
	v_add_f32_e32 v40, 0x358637bd, v35
	v_div_scale_f32 v41, s[4:5], v40, v40, 1.0
	v_rcp_f32_e32 v46, v41
	s_barrier
	v_fma_f32 v47, -v41, v46, 1.0
	v_fmac_f32_e32 v46, v47, v46
	v_div_scale_f32 v47, vcc, 1.0, v40, 1.0
	v_mul_f32_e32 v49, v47, v46
	v_fma_f32 v50, -v41, v49, v47
	v_fmac_f32_e32 v49, v50, v46
	v_fma_f32 v41, -v41, v49, v47
	v_div_fmas_f32 v41, v41, v46, v49
	v_cmp_eq_u32_e32 vcc, 1, v29
	v_div_fixup_f32 v40, v41, v40, 1.0
	s_nop 0
	v_cndmask_b32_e32 v41, v43, v48, vcc
	v_cmp_eq_u32_e32 vcc, 2, v29
	s_nop 1
	v_cndmask_b32_e32 v41, v41, v44, vcc
	v_cmp_eq_u32_e32 vcc, 3, v29
	s_nop 1
	v_cndmask_b32_e32 v41, v41, v45, vcc
	v_mul_f32_e32 v40, v41, v40
	v_pk_mul_f32 v[18:19], v[40:41], v[18:19] op_sel_hi:[0,1]
	v_pk_mul_f32 v[38:39], v[40:41], v[38:39] op_sel_hi:[0,1]
	v_bfe_u32 v41, v19, 16, 1
	v_bfe_u32 v43, v18, 16, 1
	v_add3_u32 v18, v18, v43, s8
	v_add3_u32 v19, v19, v41, s8
	v_perm_b32 v44, v19, v18, s33
	v_bfe_u32 v18, v39, 16, 1
	v_bfe_u32 v19, v38, 16, 1
	v_add3_u32 v19, v38, v19, s8
	v_add3_u32 v18, v39, v18, s8
	v_perm_b32 v45, v18, v19, s33
	v_lshlrev_b32_e32 v18, 3, v42
	v_lshlrev_b32_e32 v19, 11, v29
	v_pk_mul_f32 v[24:25], v[40:41], v[24:25] op_sel_hi:[0,1]
	v_or3_b32 v18, v19, v27, v18
	v_bfe_u32 v19, v25, 16, 1
	v_bfe_u32 v29, v24, 16, 1
	v_pk_mul_f32 v[36:37], v[40:41], v[36:37] op_sel_hi:[0,1]
	v_add3_u32 v24, v24, v29, s8
	v_add3_u32 v19, v25, v19, s8
	v_perm_b32 v24, v19, v24, s33
	v_bfe_u32 v19, v37, 16, 1
	v_bfe_u32 v25, v36, 16, 1
	v_add3_u32 v25, v36, v25, s8
	v_add3_u32 v19, v37, v19, s8
	v_perm_b32 v25, v19, v25, s33
	ds_write2st64_b64 v18, v[44:45], v[24:25] offset1:1
	v_pk_mul_f32 v[24:25], v[40:41], v[30:31] op_sel_hi:[0,1]
	v_pk_mul_f32 v[30:31], v[40:41], v[32:33] op_sel_hi:[0,1]
	v_bfe_u32 v19, v31, 16, 1
	v_bfe_u32 v29, v30, 16, 1
	v_add3_u32 v29, v30, v29, s8
	v_add3_u32 v19, v31, v19, s8
	v_perm_b32 v30, v19, v29, s33
	v_bfe_u32 v19, v25, 16, 1
	v_bfe_u32 v29, v24, 16, 1
	v_add3_u32 v24, v24, v29, s8
	v_add3_u32 v19, v25, v19, s8
	v_pk_mul_f32 v[22:23], v[40:41], v[22:23] op_sel_hi:[0,1]
	v_perm_b32 v31, v19, v24, s33
	v_bfe_u32 v19, v23, 16, 1
	v_bfe_u32 v24, v22, 16, 1
	v_pk_mul_f32 v[20:21], v[40:41], v[20:21] op_sel_hi:[0,1]
	v_add3_u32 v22, v22, v24, s8
	v_add3_u32 v19, v23, v19, s8
	v_perm_b32 v22, v19, v22, s33
	v_bfe_u32 v19, v21, 16, 1
	v_bfe_u32 v23, v20, 16, 1
	v_add3_u32 v20, v20, v23, s8
	v_add3_u32 v19, v21, v19, s8
	v_perm_b32 v23, v19, v20, s33
	v_cmp_gt_u32_e32 vcc, 10, v0
	ds_write2st64_b64 v18, v[30:31], v[22:23] offset0:2 offset1:3
	s_and_saveexec_b64 s[4:5], vcc
	s_cbranch_execz .LBB1177_17
; %bb.16:
	s_mov_b32 s49, 0
	v_mov_b32_e32 v29, 0
	v_lshl_add_u64 v[20:21], s[48:49], 0, v[28:29]
	v_mov_b32_e32 v19, s7
	v_mad_u64_u32 v[20:21], s[10:11], s2, v19, v[20:21]
	s_mul_i32 s3, s3, s7
	v_mov_b32_e32 v28, s28
	s_load_dwordx4 s[12:15], s[0:1], 0x58
	v_add_u32_e32 v19, s3, v21
	v_mad_u64_u32 v[20:21], s[10:11], v20, s6, v[28:29]
	v_mov_b32_e32 v22, v21
	v_mad_u64_u32 v[22:23], s[10:11], v19, s6, v[22:23]
	v_mov_b32_e32 v21, v22
	v_lshlrev_b64 v[20:21], 2, v[20:21]
	s_waitcnt lgkmcnt(0)
	v_lshl_add_u64 v[22:23], s[14:15], 0, v[20:21]
	v_lshl_add_u64 v[20:21], s[12:13], 0, v[20:21]
	global_store_dword v[22:23], v34, off
	global_store_dword v[20:21], v35, off
.LBB1177_17:
	s_or_b64 exec, exec, s[4:5]
	s_waitcnt vmcnt(3)
	v_cvt_pk_f32_fp8_e32 v[20:21], v14
	v_cvt_pk_f32_fp8_sdwa v[22:23], v14 src0_sel:WORD_1
	s_mov_b32 s4, 0x7060302
	v_lshl_or_b32 v14, v42, 9, v27
	s_waitcnt lgkmcnt(0)
	s_barrier
	v_perm_b32 v24, v21, v20, s4
	v_perm_b32 v25, v23, v22, s4
	v_cvt_pk_f32_fp8_e32 v[28:29], v15
	ds_read_b128 v[20:23], v14
	v_cvt_pk_f32_fp8_sdwa v[36:37], v15 src0_sel:WORD_1
	s_load_dword s10, s[42:43], 0x0
	v_perm_b32 v38, v29, v28, s4
	ds_read_b128 v[28:31], v14 offset:16
	v_perm_b32 v39, v37, v36, s4
	s_waitcnt lgkmcnt(0)
	v_mfma_f32_16x16x16_bf16 v[32:35], v[24:25], v[20:21], 0
	v_cvt_pk_f32_fp8_e32 v[24:25], v16
	v_cvt_pk_f32_fp8_sdwa v[36:37], v16 src0_sel:WORD_1
	v_cmp_gt_u32_e32 vcc, 64, v0
	v_mfma_f32_16x16x16_bf16 v[20:23], v[38:39], v[22:23], v[32:35]
	v_perm_b32 v24, v25, v24, s4
	v_perm_b32 v25, v37, v36, s4
	s_mov_b32 s3, 0
	v_cvt_pk_f32_fp8_e32 v[32:33], v17
	v_cvt_pk_f32_fp8_sdwa v[16:17], v17 src0_sel:WORD_1
	s_waitcnt vmcnt(2)
	v_cvt_pk_f32_fp8_sdwa v[34:35], v10 src0_sel:WORD_1
	v_mfma_f32_16x16x16_bf16 v[20:23], v[24:25], v[28:29], v[20:23]
	v_perm_b32 v36, v33, v32, s4
	v_cvt_pk_f32_fp8_e32 v[32:33], v10
	v_perm_b32 v37, v17, v16, s4
	v_perm_b32 v17, v35, v34, s4
	v_cvt_pk_f32_fp8_e32 v[24:25], v11
	v_perm_b32 v16, v33, v32, s4
	ds_read_b128 v[32:35], v14 offset:2048
	v_cvt_pk_f32_fp8_sdwa v[10:11], v11 src0_sel:WORD_1
	v_mfma_f32_16x16x16_bf16 v[20:23], v[36:37], v[30:31], v[20:23]
	ds_read_b128 v[28:31], v14 offset:2064
	v_perm_b32 v24, v25, v24, s4
	v_perm_b32 v25, v11, v10, s4
	s_waitcnt lgkmcnt(1)
	v_mfma_f32_16x16x16_bf16 v[20:23], v[16:17], v[32:33], v[20:23]
	v_cvt_pk_f32_fp8_e32 v[10:11], v12
	v_cvt_pk_f32_fp8_sdwa v[16:17], v12 src0_sel:WORD_1
	s_waitcnt vmcnt(1)
	v_cvt_pk_f32_fp8_sdwa v[32:33], v6 src0_sel:WORD_1
	v_mfma_f32_16x16x16_bf16 v[20:23], v[24:25], v[34:35], v[20:23]
	v_cvt_pk_f32_fp8_e32 v[24:25], v13
	v_perm_b32 v10, v11, v10, s4
	v_perm_b32 v11, v17, v16, s4
	v_cvt_pk_f32_fp8_sdwa v[12:13], v13 src0_sel:WORD_1
	v_perm_b32 v16, v25, v24, s4
	v_cvt_pk_f32_fp8_e32 v[24:25], v6
	v_mov_b32_e32 v27, 0
	v_perm_b32 v17, v13, v12, s4
	s_waitcnt lgkmcnt(0)
	v_mfma_f32_16x16x16_bf16 v[10:13], v[10:11], v[28:29], v[20:23]
	v_perm_b32 v24, v25, v24, s4
	v_perm_b32 v25, v33, v32, s4
	v_cvt_pk_f32_fp8_e32 v[28:29], v7
	ds_read_b128 v[20:23], v14 offset:4096
	v_cvt_pk_f32_fp8_sdwa v[6:7], v7 src0_sel:WORD_1
	v_mfma_f32_16x16x16_bf16 v[10:13], v[16:17], v[30:31], v[10:13]
	v_perm_b32 v16, v29, v28, s4
	ds_read_b128 v[28:31], v14 offset:4112
	v_perm_b32 v17, v7, v6, s4
	s_waitcnt lgkmcnt(1)
	v_mfma_f32_16x16x16_bf16 v[10:13], v[24:25], v[20:21], v[10:13]
	v_cvt_pk_f32_fp8_e32 v[6:7], v8
	v_cvt_pk_f32_fp8_sdwa v[20:21], v8 src0_sel:WORD_1
	v_perm_b32 v6, v7, v6, s4
	v_mfma_f32_16x16x16_bf16 v[10:13], v[16:17], v[22:23], v[10:13]
	v_cvt_pk_f32_fp8_e32 v[16:17], v9
	v_perm_b32 v7, v21, v20, s4
	v_cvt_pk_f32_fp8_sdwa v[8:9], v9 src0_sel:WORD_1
	s_waitcnt vmcnt(0)
	v_cvt_pk_f32_fp8_e32 v[20:21], v2
	v_perm_b32 v16, v17, v16, s4
	v_cvt_pk_f32_fp8_sdwa v[22:23], v2 src0_sel:WORD_1
	v_perm_b32 v17, v9, v8, s4
	s_waitcnt lgkmcnt(0)
	v_mfma_f32_16x16x16_bf16 v[6:9], v[6:7], v[28:29], v[10:13]
	v_perm_b32 v20, v21, v20, s4
	v_perm_b32 v21, v23, v22, s4
	v_cvt_pk_f32_fp8_e32 v[22:23], v3
	ds_read_b128 v[10:13], v14 offset:6144
	v_cvt_pk_f32_fp8_sdwa v[2:3], v3 src0_sel:WORD_1
	v_mfma_f32_16x16x16_bf16 v[6:9], v[16:17], v[30:31], v[6:9]
	v_perm_b32 v22, v23, v22, s4
	ds_read_b128 v[14:17], v14 offset:6160
	v_perm_b32 v23, v3, v2, s4
	s_waitcnt lgkmcnt(1)
	v_mfma_f32_16x16x16_bf16 v[6:9], v[20:21], v[10:11], v[6:9]
	v_cvt_pk_f32_fp8_e32 v[2:3], v4
	v_cvt_pk_f32_fp8_sdwa v[10:11], v4 src0_sel:WORD_1
	s_waitcnt lgkmcnt(0)
	v_mfma_f32_16x16x16_bf16 v[6:9], v[22:23], v[12:13], v[6:9]
	v_perm_b32 v2, v3, v2, s4
	v_perm_b32 v3, v11, v10, s4
	v_cvt_pk_f32_fp8_e32 v[10:11], v5
	v_cvt_pk_f32_fp8_sdwa v[4:5], v5 src0_sel:WORD_1
	s_barrier
	v_perm_b32 v10, v11, v10, s4
	v_perm_b32 v11, v5, v4, s4
	v_mfma_f32_16x16x16_bf16 v[2:5], v[2:3], v[14:15], v[6:9]
	s_nop 0
	v_mfma_f32_16x16x16_bf16 v[2:5], v[10:11], v[16:17], v[2:5]
	s_nop 6
	v_pk_mul_f32 v[2:3], v[2:3], s[10:11] op_sel_hi:[1,0]
	v_pk_mul_f32 v[4:5], v[4:5], s[10:11] op_sel_hi:[1,0]
	v_bfe_u32 v6, v3, 16, 1
	v_bfe_u32 v7, v2, 16, 1
	v_add3_u32 v2, v2, v7, s8
	v_add3_u32 v3, v3, v6, s8
	v_perm_b32 v2, v3, v2, s4
	v_bfe_u32 v3, v5, 16, 1
	v_bfe_u32 v6, v4, 16, 1
	v_add3_u32 v4, v4, v6, s8
	v_add3_u32 v3, v5, v3, s8
	v_perm_b32 v3, v3, v4, s4
	s_and_b64 s[4:5], vcc, s[30:31]
	ds_write_b64 v18, v[2:3]
	s_waitcnt lgkmcnt(0)
	s_barrier
	s_and_saveexec_b64 s[8:9], s[4:5]
	s_cbranch_execz .LBB1177_20
; %bb.18:
	s_load_dwordx2 s[4:5], s[0:1], 0x68
	s_lshl_b32 s0, s6, 6
	s_mul_i32 s1, s7, s2
	s_mul_hi_u32 s7, s1, s0
	s_mul_i32 s6, s1, s0
	v_lshlrev_b32_e32 v0, 10, v0
	s_lshl_b64 s[6:7], s[6:7], 1
	v_and_b32_e32 v0, 0x1800, v0
	v_lshlrev_b32_e32 v2, 5, v42
	v_and_b32_e32 v1, 16, v1
	s_waitcnt lgkmcnt(0)
	s_add_u32 s1, s4, s6
	v_or3_b32 v2, v0, v2, v1
	s_addc_u32 s4, s5, s7
	s_lshl_b32 s2, s28, 6
	s_lshl_b64 s[2:3], s[2:3], 1
	ds_read_b128 v[4:7], v2 offset:128
	ds_read_b128 v[8:11], v2
	s_add_u32 s2, s1, s2
	s_addc_u32 s3, s4, s3
	v_add_u32_e32 v14, s48, v42
	v_lshl_add_u64 v[0:1], s[2:3], 0, v[26:27]
	v_mad_u64_u32 v[12:13], s[2:3], v14, s0, 0
	v_lshl_add_u64 v[12:13], v[12:13], 1, v[0:1]
	s_waitcnt lgkmcnt(0)
	global_store_dwordx4 v[12:13], v[8:11], off
	v_or_b32_e32 v3, 8, v42
	v_cmp_gt_u32_e32 vcc, 10, v3
	v_add_u32_e32 v8, 4, v14
	v_mad_u64_u32 v[8:9], s[2:3], v8, s0, 0
	v_lshl_add_u64 v[8:9], v[8:9], 1, v[0:1]
	global_store_dwordx4 v[8:9], v[4:7], off
	s_and_b64 exec, exec, vcc
	s_cbranch_execz .LBB1177_20
; %bb.19:
	ds_read_b128 v[4:7], v2 offset:256
	v_add_u32_e32 v2, s48, v3
	v_mad_u64_u32 v[2:3], s[0:1], v2, s0, 0
	v_lshl_add_u64 v[0:1], v[2:3], 1, v[0:1]
	s_waitcnt lgkmcnt(0)
	global_store_dwordx4 v[0:1], v[4:7], off
.LBB1177_20:
	s_endpgm
	.section	.rodata,"a",@progbits
	.p2align	6, 0x0
	.amdhsa_kernel _Z39paged_attention_ll4mi_QKV_mfma16_kernelI14__hip_bfloat16hLN4vllm18Fp8KVCacheDataTypeE1EhLi32ELi64ELi256ELb1ELi10EEvPKT_PKT0_S8_ifPKiSA_SA_iPKfiiiPfSD_PS3_PT2_iSC_SC_
		.amdhsa_group_segment_fixed_size 8192
		.amdhsa_private_segment_fixed_size 0
		.amdhsa_kernarg_size 400
		.amdhsa_user_sgpr_count 2
		.amdhsa_user_sgpr_dispatch_ptr 0
		.amdhsa_user_sgpr_queue_ptr 0
		.amdhsa_user_sgpr_kernarg_segment_ptr 1
		.amdhsa_user_sgpr_dispatch_id 0
		.amdhsa_user_sgpr_kernarg_preload_length 0
		.amdhsa_user_sgpr_kernarg_preload_offset 0
		.amdhsa_user_sgpr_private_segment_size 0
		.amdhsa_uses_dynamic_stack 0
		.amdhsa_enable_private_segment 0
		.amdhsa_system_sgpr_workgroup_id_x 1
		.amdhsa_system_sgpr_workgroup_id_y 1
		.amdhsa_system_sgpr_workgroup_id_z 1
		.amdhsa_system_sgpr_workgroup_info 0
		.amdhsa_system_vgpr_workitem_id 0
		.amdhsa_next_free_vgpr 71
		.amdhsa_next_free_sgpr 50
		.amdhsa_accum_offset 72
		.amdhsa_reserve_vcc 1
		.amdhsa_float_round_mode_32 0
		.amdhsa_float_round_mode_16_64 0
		.amdhsa_float_denorm_mode_32 3
		.amdhsa_float_denorm_mode_16_64 3
		.amdhsa_dx10_clamp 1
		.amdhsa_ieee_mode 1
		.amdhsa_fp16_overflow 0
		.amdhsa_tg_split 0
		.amdhsa_exception_fp_ieee_invalid_op 0
		.amdhsa_exception_fp_denorm_src 0
		.amdhsa_exception_fp_ieee_div_zero 0
		.amdhsa_exception_fp_ieee_overflow 0
		.amdhsa_exception_fp_ieee_underflow 0
		.amdhsa_exception_fp_ieee_inexact 0
		.amdhsa_exception_int_div_zero 0
	.end_amdhsa_kernel
	.section	.text._Z39paged_attention_ll4mi_QKV_mfma16_kernelI14__hip_bfloat16hLN4vllm18Fp8KVCacheDataTypeE1EhLi32ELi64ELi256ELb1ELi10EEvPKT_PKT0_S8_ifPKiSA_SA_iPKfiiiPfSD_PS3_PT2_iSC_SC_,"axG",@progbits,_Z39paged_attention_ll4mi_QKV_mfma16_kernelI14__hip_bfloat16hLN4vllm18Fp8KVCacheDataTypeE1EhLi32ELi64ELi256ELb1ELi10EEvPKT_PKT0_S8_ifPKiSA_SA_iPKfiiiPfSD_PS3_PT2_iSC_SC_,comdat
.Lfunc_end1177:
	.size	_Z39paged_attention_ll4mi_QKV_mfma16_kernelI14__hip_bfloat16hLN4vllm18Fp8KVCacheDataTypeE1EhLi32ELi64ELi256ELb1ELi10EEvPKT_PKT0_S8_ifPKiSA_SA_iPKfiiiPfSD_PS3_PT2_iSC_SC_, .Lfunc_end1177-_Z39paged_attention_ll4mi_QKV_mfma16_kernelI14__hip_bfloat16hLN4vllm18Fp8KVCacheDataTypeE1EhLi32ELi64ELi256ELb1ELi10EEvPKT_PKT0_S8_ifPKiSA_SA_iPKfiiiPfSD_PS3_PT2_iSC_SC_
                                        ; -- End function
	.section	.AMDGPU.csdata,"",@progbits
; Kernel info:
; codeLenInByte = 5232
; NumSgprs: 56
; NumVgprs: 71
; NumAgprs: 0
; TotalNumVgprs: 71
; ScratchSize: 0
; MemoryBound: 0
; FloatMode: 240
; IeeeMode: 1
; LDSByteSize: 8192 bytes/workgroup (compile time only)
; SGPRBlocks: 6
; VGPRBlocks: 8
; NumSGPRsForWavesPerEU: 56
; NumVGPRsForWavesPerEU: 71
; AccumOffset: 72
; Occupancy: 7
; WaveLimiterHint : 1
; COMPUTE_PGM_RSRC2:SCRATCH_EN: 0
; COMPUTE_PGM_RSRC2:USER_SGPR: 2
; COMPUTE_PGM_RSRC2:TRAP_HANDLER: 0
; COMPUTE_PGM_RSRC2:TGID_X_EN: 1
; COMPUTE_PGM_RSRC2:TGID_Y_EN: 1
; COMPUTE_PGM_RSRC2:TGID_Z_EN: 1
; COMPUTE_PGM_RSRC2:TIDIG_COMP_CNT: 0
; COMPUTE_PGM_RSRC3_GFX90A:ACCUM_OFFSET: 17
; COMPUTE_PGM_RSRC3_GFX90A:TG_SPLIT: 0
	.section	.text._Z39paged_attention_ll4mi_QKV_mfma16_kernelI14__hip_bfloat16hLN4vllm18Fp8KVCacheDataTypeE1EhLi32ELi64ELi256ELb1ELi11EEvPKT_PKT0_S8_ifPKiSA_SA_iPKfiiiPfSD_PS3_PT2_iSC_SC_,"axG",@progbits,_Z39paged_attention_ll4mi_QKV_mfma16_kernelI14__hip_bfloat16hLN4vllm18Fp8KVCacheDataTypeE1EhLi32ELi64ELi256ELb1ELi11EEvPKT_PKT0_S8_ifPKiSA_SA_iPKfiiiPfSD_PS3_PT2_iSC_SC_,comdat
	.protected	_Z39paged_attention_ll4mi_QKV_mfma16_kernelI14__hip_bfloat16hLN4vllm18Fp8KVCacheDataTypeE1EhLi32ELi64ELi256ELb1ELi11EEvPKT_PKT0_S8_ifPKiSA_SA_iPKfiiiPfSD_PS3_PT2_iSC_SC_ ; -- Begin function _Z39paged_attention_ll4mi_QKV_mfma16_kernelI14__hip_bfloat16hLN4vllm18Fp8KVCacheDataTypeE1EhLi32ELi64ELi256ELb1ELi11EEvPKT_PKT0_S8_ifPKiSA_SA_iPKfiiiPfSD_PS3_PT2_iSC_SC_
	.globl	_Z39paged_attention_ll4mi_QKV_mfma16_kernelI14__hip_bfloat16hLN4vllm18Fp8KVCacheDataTypeE1EhLi32ELi64ELi256ELb1ELi11EEvPKT_PKT0_S8_ifPKiSA_SA_iPKfiiiPfSD_PS3_PT2_iSC_SC_
	.p2align	8
	.type	_Z39paged_attention_ll4mi_QKV_mfma16_kernelI14__hip_bfloat16hLN4vllm18Fp8KVCacheDataTypeE1EhLi32ELi64ELi256ELb1ELi11EEvPKT_PKT0_S8_ifPKiSA_SA_iPKfiiiPfSD_PS3_PT2_iSC_SC_,@function
_Z39paged_attention_ll4mi_QKV_mfma16_kernelI14__hip_bfloat16hLN4vllm18Fp8KVCacheDataTypeE1EhLi32ELi64ELi256ELb1ELi11EEvPKT_PKT0_S8_ifPKiSA_SA_iPKfiiiPfSD_PS3_PT2_iSC_SC_: ; @_Z39paged_attention_ll4mi_QKV_mfma16_kernelI14__hip_bfloat16hLN4vllm18Fp8KVCacheDataTypeE1EhLi32ELi64ELi256ELb1ELi11EEvPKT_PKT0_S8_ifPKiSA_SA_iPKfiiiPfSD_PS3_PT2_iSC_SC_
; %bb.0:
	s_load_dwordx2 s[6:7], s[0:1], 0x30
	s_mov_b32 s28, s3
	s_mov_b64 s[8:9], 0
	s_waitcnt lgkmcnt(0)
	s_cmp_lg_u64 s[6:7], 0
	s_cselect_b64 s[10:11], -1, 0
	s_and_b64 vcc, exec, s[10:11]
	s_cbranch_vccz .LBB1178_7
; %bb.1:
	s_add_i32 s12, s2, 1
	s_mov_b32 s13, 0
	s_lshl_b64 s[14:15], s[12:13], 2
	s_add_u32 s14, s6, s14
	s_mov_b32 s3, s13
	s_addc_u32 s15, s7, s15
	s_lshl_b64 s[12:13], s[2:3], 2
	s_add_u32 s12, s6, s12
	s_addc_u32 s13, s7, s13
	s_load_dword s5, s[14:15], 0x0
	s_load_dword s16, s[12:13], 0x0
	s_waitcnt lgkmcnt(0)
	s_sub_i32 s5, s5, s16
	s_cmp_eq_u32 s5, 1
	s_cselect_b64 s[12:13], -1, 0
	s_andn2_b64 vcc, exec, s[8:9]
	s_cbranch_vccnz .LBB1178_3
.LBB1178_2:
	s_mov_b32 s3, 0
	s_mov_b64 s[12:13], -1
.LBB1178_3:
	s_andn2_b64 vcc, exec, s[12:13]
	s_cbranch_vccnz .LBB1178_20
; %bb.4:
	s_load_dwordx2 s[8:9], s[0:1], 0x28
	s_lshl_b64 s[12:13], s[2:3], 2
	s_waitcnt lgkmcnt(0)
	s_add_u32 s8, s8, s12
	s_addc_u32 s9, s9, s13
	s_load_dword s29, s[8:9], 0x0
	s_lshl_b32 s16, s28, 8
	s_waitcnt lgkmcnt(0)
	s_cmp_ge_i32 s16, s29
	s_cbranch_scc1 .LBB1178_20
; %bb.5:
	s_load_dwordx2 s[8:9], s[0:1], 0x20
	s_load_dword s5, s[0:1], 0x38
	s_add_i32 s14, s29, 31
	s_ashr_i32 s15, s14, 31
	v_and_b32_e32 v1, 0xcf, v0
	s_lshr_b32 s15, s15, 27
	v_add_u32_e32 v1, s16, v1
	s_add_i32 s14, s14, s15
	v_ashrrev_i32_e32 v2, 31, v1
	s_ashr_i32 s17, s14, 5
	v_lshrrev_b32_e32 v4, 27, v2
	s_add_i32 s17, s17, -1
	s_waitcnt lgkmcnt(0)
	s_mul_i32 s14, s2, s5
	s_mov_b32 s15, 0
	v_add_u32_e32 v2, v1, v4
	s_lshl_b64 s[14:15], s[14:15], 2
	v_ashrrev_i32_e32 v2, 5, v2
	v_mov_b32_e32 v5, s17
	v_cmp_gt_i32_e32 vcc, s29, v1
	s_add_u32 s8, s8, s14
	s_addc_u32 s9, s9, s15
	v_cndmask_b32_e32 v2, v5, v2, vcc
	v_ashrrev_i32_e32 v3, 31, v2
	v_lshl_add_u64 v[6:7], v[2:3], 2, s[8:9]
	v_or_b32_e32 v2, 16, v1
	v_add_u32_e32 v3, v2, v4
	v_ashrrev_i32_e32 v3, 5, v3
	v_cmp_gt_i32_e32 vcc, s29, v2
	s_load_dwordx2 s[14:15], s[0:1], 0x8
	s_nop 0
	v_cndmask_b32_e32 v2, v5, v3, vcc
	v_ashrrev_i32_e32 v3, 31, v2
	v_lshl_add_u64 v[8:9], v[2:3], 2, s[8:9]
	v_or_b32_e32 v2, 32, v1
	v_add_u32_e32 v3, v2, v4
	v_ashrrev_i32_e32 v3, 5, v3
	v_cmp_gt_i32_e32 vcc, s29, v2
	v_or_b32_e32 v1, 48, v1
	s_nop 0
	v_cndmask_b32_e32 v2, v5, v3, vcc
	v_ashrrev_i32_e32 v3, 31, v2
	v_lshl_add_u64 v[10:11], v[2:3], 2, s[8:9]
	v_add_u32_e32 v2, v1, v4
	v_ashrrev_i32_e32 v2, 5, v2
	v_cmp_gt_i32_e32 vcc, s29, v1
	s_nop 1
	v_cndmask_b32_e32 v2, v5, v2, vcc
	v_ashrrev_i32_e32 v3, 31, v2
	v_lshl_add_u64 v[12:13], v[2:3], 2, s[8:9]
	global_load_dword v5, v[6:7], off
	global_load_dword v4, v[8:9], off
	;; [unrolled: 1-line block ×4, first 2 shown]
	s_andn2_b64 vcc, exec, s[10:11]
	s_cbranch_vccnz .LBB1178_8
; %bb.6:
	s_add_u32 s6, s6, s12
	s_addc_u32 s7, s7, s13
	s_load_dword s5, s[6:7], 0x0
	s_branch .LBB1178_9
.LBB1178_7:
	s_mov_b64 s[12:13], 0
	s_branch .LBB1178_2
.LBB1178_8:
	s_mov_b32 s5, s2
.LBB1178_9:
	s_load_dwordx2 s[10:11], s[0:1], 0x10
	s_load_dwordx4 s[44:47], s[0:1], 0x48
	v_lshrrev_b32_e32 v29, 6, v0
	v_bfe_u32 v42, v0, 4, 2
	v_lshl_or_b32 v6, v29, 2, v42
	v_and_b32_e32 v28, 15, v0
	v_lshlrev_b32_e32 v1, 3, v28
	v_cmp_gt_u32_e32 vcc, 11, v6
	v_cmp_gt_u32_e64 s[30:31], 8, v28
	s_mul_i32 s48, s4, 11
	s_and_b64 s[12:13], s[30:31], vcc
	v_lshlrev_b32_e32 v26, 1, v1
	v_lshlrev_b32_e32 v1, 4, v0
	s_and_saveexec_b64 s[6:7], s[12:13]
	s_cbranch_execz .LBB1178_11
; %bb.10:
	s_load_dwordx2 s[12:13], s[0:1], 0x0
	s_waitcnt lgkmcnt(0)
	s_ashr_i32 s18, s44, 31
	s_mul_hi_u32 s19, s5, s44
	s_mul_i32 s18, s5, s18
	s_add_i32 s19, s19, s18
	s_mul_i32 s18, s5, s44
	s_lshl_b64 s[18:19], s[18:19], 1
	s_add_u32 s12, s12, s18
	v_add_lshl_u32 v8, v6, s48, 6
	s_addc_u32 s13, s13, s19
	v_ashrrev_i32_e32 v9, 31, v8
	v_lshl_add_u64 v[8:9], v[8:9], 1, s[12:13]
	v_mov_b32_e32 v27, 0
	v_lshl_add_u64 v[8:9], v[8:9], 0, v[26:27]
	global_load_dwordx4 v[8:11], v[8:9], off
	v_lshlrev_b32_e32 v12, 8, v28
	v_lshlrev_b32_e32 v6, 5, v6
	v_and_b32_e32 v7, 16, v1
	v_and_b32_e32 v12, 0xe00, v12
	v_or3_b32 v6, v12, v6, v7
	s_waitcnt vmcnt(0)
	ds_write_b128 v6, v[8:11]
.LBB1178_11:
	s_or_b64 exec, exec, s[6:7]
	s_waitcnt lgkmcnt(0)
	s_mul_i32 s12, s4, s46
	s_add_u32 s4, s14, s12
	s_addc_u32 s5, s15, 0
	v_mov_b32_e32 v31, 0
	v_mov_b64_e32 v[6:7], s[4:5]
	v_lshlrev_b32_e32 v10, 4, v28
	v_and_b32_e32 v27, 48, v0
	s_waitcnt vmcnt(3)
	v_mad_i64_i32 v[8:9], s[4:5], v5, s45, v[6:7]
	v_mov_b32_e32 v11, v31
	s_waitcnt vmcnt(2)
	v_mad_i64_i32 v[4:5], s[4:5], v4, s45, v[6:7]
	v_or_b32_e32 v12, 0x100, v10
	v_mov_b32_e32 v13, v31
	v_lshlrev_b32_e32 v30, 5, v27
	v_lshl_add_u64 v[8:9], v[8:9], 0, v[10:11]
	v_lshl_add_u64 v[4:5], v[4:5], 0, v[12:13]
	;; [unrolled: 1-line block ×4, first 2 shown]
	s_barrier
	global_load_dwordx4 v[22:25], v[8:9], off
	global_load_dwordx4 v[18:21], v[4:5], off
	s_waitcnt vmcnt(3)
	v_mad_i64_i32 v[4:5], s[4:5], v3, s45, v[6:7]
	v_lshl_add_u64 v[4:5], v[4:5], 0, v[10:11]
	s_waitcnt vmcnt(2)
	v_mad_i64_i32 v[2:3], s[4:5], v2, s45, v[6:7]
	v_lshl_add_u64 v[4:5], v[4:5], 0, v[30:31]
	v_lshl_add_u64 v[2:3], v[2:3], 0, v[12:13]
	v_lshl_add_u64 v[2:3], v[2:3], 0, v[30:31]
	global_load_dwordx4 v[14:17], v[4:5], off
	global_load_dwordx4 v[6:9], v[2:3], off
	v_add_u32_e32 v2, -11, v28
	v_cmp_gt_u32_e32 vcc, 11, v28
	v_and_b32_e32 v43, 63, v0
	v_mov_b32_e32 v44, 0
	v_cndmask_b32_e32 v2, v2, v28, vcc
	v_lshlrev_b32_e32 v2, 5, v2
	v_lshl_add_u32 v2, v42, 9, v2
	ds_read_b128 v[10:13], v2
	ds_read_b128 v[2:5], v2 offset:16
	s_and_saveexec_b64 s[4:5], vcc
	s_cbranch_execz .LBB1178_13
; %bb.12:
	s_load_dwordx2 s[6:7], s[0:1], 0x40
	v_add_u32_e32 v32, s48, v28
	v_ashrrev_i32_e32 v33, 31, v32
	s_waitcnt lgkmcnt(0)
	v_lshl_add_u64 v[32:33], v[32:33], 2, s[6:7]
	global_load_dword v44, v[32:33], off
.LBB1178_13:
	s_or_b64 exec, exec, s[4:5]
	s_ashr_i32 s4, s16, 31
	v_or_b32_e32 v45, s16, v27
	s_lshr_b32 s13, s4, 27
	v_add_u32_e32 v27, s13, v45
	v_ashrrev_i32_e32 v27, 5, v27
	s_waitcnt vmcnt(3)
	v_cvt_pk_f32_fp8_e32 v[34:35], v22
	v_cvt_pk_f32_fp8_sdwa v[36:37], v22 src0_sel:WORD_1
	s_waitcnt vmcnt(2)
	v_cvt_pk_f32_fp8_e32 v[56:57], v20
	v_cvt_pk_f32_fp8_sdwa v[58:59], v20 src0_sel:WORD_1
	v_mov_b32_e32 v20, s17
	v_cmp_gt_i32_e32 vcc, s29, v45
	v_cvt_pk_f32_fp8_e32 v[48:49], v18
	v_cvt_pk_f32_fp8_sdwa v[50:51], v18 src0_sel:WORD_1
	v_cndmask_b32_e32 v18, v20, v27, vcc
	v_cvt_pk_f32_fp8_e32 v[52:53], v19
	v_cvt_pk_f32_fp8_sdwa v[54:55], v19 src0_sel:WORD_1
	v_ashrrev_i32_e32 v19, 31, v18
	v_lshl_add_u64 v[18:19], v[18:19], 2, s[8:9]
	s_mov_b32 s33, 0x7060302
	v_cvt_pk_f32_fp8_e32 v[32:33], v23
	v_cvt_pk_f32_fp8_sdwa v[22:23], v23 src0_sel:WORD_1
	global_load_dword v70, v[18:19], off
	v_perm_b32 v18, v35, v34, s33
	v_perm_b32 v19, v37, v36, s33
	v_cvt_pk_f32_fp8_e32 v[60:61], v21
	v_cvt_pk_f32_fp8_sdwa v[62:63], v21 src0_sel:WORD_1
	v_or_b32_e32 v21, 64, v45
	v_or_b32_e32 v34, 0x80, v45
	;; [unrolled: 1-line block ×3, first 2 shown]
	v_cmp_gt_i32_e32 vcc, s29, v21
	v_add_u32_e32 v21, s13, v21
	v_cmp_gt_i32_e64 s[4:5], s29, v34
	v_add_u32_e32 v34, s13, v34
	v_cmp_gt_i32_e64 s[6:7], s29, v35
	v_add_u32_e32 v35, s13, v35
	v_cvt_pk_f32_fp8_e32 v[38:39], v24
	v_cvt_pk_f32_fp8_sdwa v[40:41], v24 src0_sel:WORD_1
	v_cvt_pk_f32_fp8_e32 v[46:47], v25
	v_ashrrev_i32_e32 v21, 5, v21
	v_ashrrev_i32_e32 v34, 5, v34
	;; [unrolled: 1-line block ×3, first 2 shown]
	v_perm_b32 v32, v33, v32, s33
	v_perm_b32 v33, v23, v22, s33
	;; [unrolled: 1-line block ×4, first 2 shown]
	v_cvt_pk_f32_fp8_sdwa v[24:25], v25 src0_sel:WORD_1
	v_cndmask_b32_e32 v36, v20, v21, vcc
	v_cndmask_b32_e64 v64, v20, v34, s[4:5]
	v_cndmask_b32_e64 v66, v20, v35, s[6:7]
	s_waitcnt lgkmcnt(1)
	v_mfma_f32_16x16x16_bf16 v[18:21], v[18:19], v[10:11], 0
	v_perm_b32 v38, v39, v38, s33
	v_perm_b32 v39, v41, v40, s33
	;; [unrolled: 1-line block ×5, first 2 shown]
	s_load_dword s14, s[0:1], 0x1c
	s_load_dwordx4 s[40:43], s[0:1], 0x80
	v_perm_b32 v69, v25, v24, s33
	v_mfma_f32_16x16x16_bf16 v[22:25], v[22:23], v[10:11], 0
	s_add_u32 s10, s10, s12
	v_and_b32_e32 v30, 16, v0
	v_lshlrev_b32_e32 v27, 5, v28
	v_mfma_f32_16x16x16_bf16 v[32:35], v[32:33], v[12:13], v[18:21]
	s_addc_u32 s11, s11, 0
	v_lshl_add_u64 v[40:41], s[10:11], 0, v[30:31]
	v_lshl_or_b32 v30, v29, 9, v27
	v_ashrrev_i32_e32 v37, 31, v36
	v_ashrrev_i32_e32 v65, 31, v64
	;; [unrolled: 1-line block ×3, first 2 shown]
	v_perm_b32 v48, v57, v56, s33
	v_perm_b32 v49, v59, v58, s33
	v_mfma_f32_16x16x16_bf16 v[20:23], v[46:47], v[12:13], v[22:25]
	v_lshl_add_u64 v[18:19], v[40:41], 0, v[30:31]
	s_waitcnt lgkmcnt(0)
	s_load_dword s6, s[40:41], 0x0
	v_perm_b32 v50, v61, v60, s33
	v_mfma_f32_16x16x16_bf16 v[30:33], v[38:39], v[2:3], v[32:35]
	v_lshl_add_u64 v[24:25], v[36:37], 2, s[8:9]
	v_lshl_add_u64 v[36:37], v[66:67], 2, s[8:9]
	v_perm_b32 v51, v63, v62, s33
	v_lshl_add_u64 v[34:35], v[64:65], 2, s[8:9]
	global_load_dword v47, v[24:25], off
	global_load_dword v45, v[34:35], off
	;; [unrolled: 1-line block ×3, first 2 shown]
	s_waitcnt vmcnt(5)
	v_cvt_pk_f32_fp8_e32 v[34:35], v14
	v_cvt_pk_f32_fp8_sdwa v[36:37], v14 src0_sel:WORD_1
	v_mfma_f32_16x16x16_bf16 v[20:23], v[48:49], v[2:3], v[20:23]
	v_cvt_pk_f32_fp8_e32 v[38:39], v15
	v_perm_b32 v34, v35, v34, s33
	v_perm_b32 v35, v37, v36, s33
	v_cvt_pk_f32_fp8_sdwa v[14:15], v15 src0_sel:WORD_1
	v_mov_b32_e32 v40, s14
	s_waitcnt lgkmcnt(0)
	v_mul_f32_e32 v48, s6, v40
	v_mfma_f32_16x16x16_bf16 v[20:23], v[50:51], v[4:5], v[20:23]
	v_perm_b32 v38, v39, v38, s33
	v_cvt_pk_f32_fp8_e32 v[40:41], v16
	v_cvt_pk_f32_fp8_sdwa v[50:51], v16 src0_sel:WORD_1
	v_perm_b32 v39, v15, v14, s33
	v_mfma_f32_16x16x16_bf16 v[34:37], v[34:35], v[10:11], 0
	v_perm_b32 v40, v41, v40, s33
	v_perm_b32 v41, v51, v50, s33
	v_cvt_pk_f32_fp8_e32 v[50:51], v17
	v_cvt_pk_f32_fp8_sdwa v[52:53], v17 src0_sel:WORD_1
	v_mfma_f32_16x16x16_bf16 v[30:33], v[68:69], v[4:5], v[30:33]
	s_mov_b32 s44, 0xff7fffff
	s_waitcnt vmcnt(3)
	v_mad_i64_i32 v[24:25], s[4:5], v70, s45, v[18:19]
	v_mfma_f32_16x16x16_bf16 v[14:17], v[38:39], v[12:13], v[34:37]
	s_nop 2
	v_perm_b32 v34, v51, v50, s33
	v_perm_b32 v35, v53, v52, s33
	v_mfma_f32_16x16x16_bf16 v[14:17], v[40:41], v[2:3], v[14:17]
	v_pk_mul_f32 v[38:39], v[48:49], v[30:31] op_sel_hi:[0,1]
	v_cvt_pk_f32_fp8_e32 v[30:31], v6
	v_cvt_pk_f32_fp8_sdwa v[36:37], v6 src0_sel:WORD_1
	v_mfma_f32_16x16x16_bf16 v[14:17], v[34:35], v[4:5], v[14:17]
	v_cvt_pk_f32_fp8_e32 v[34:35], v7
	v_perm_b32 v30, v31, v30, s33
	v_perm_b32 v31, v37, v36, s33
	v_cvt_pk_f32_fp8_sdwa v[6:7], v7 src0_sel:WORD_1
	v_perm_b32 v40, v35, v34, s33
	v_cvt_pk_f32_fp8_e32 v[50:51], v8
	v_cvt_pk_f32_fp8_sdwa v[52:53], v8 src0_sel:WORD_1
	v_perm_b32 v41, v7, v6, s33
	v_mfma_f32_16x16x16_bf16 v[34:37], v[30:31], v[10:11], 0
	v_perm_b32 v10, v51, v50, s33
	v_perm_b32 v11, v53, v52, s33
	v_cvt_pk_f32_fp8_e32 v[30:31], v9
	v_cvt_pk_f32_fp8_sdwa v[50:51], v9 src0_sel:WORD_1
	v_mfma_f32_16x16x16_bf16 v[6:9], v[40:41], v[12:13], v[34:37]
	v_pk_mul_f32 v[40:41], v[48:49], v[20:21] op_sel_hi:[0,1]
	v_perm_b32 v12, v31, v30, s33
	v_perm_b32 v13, v51, v50, s33
	v_mfma_f32_16x16x16_bf16 v[6:9], v[10:11], v[2:3], v[6:9]
	v_pk_mul_f32 v[36:37], v[48:49], v[22:23] op_sel_hi:[0,1]
	v_pk_mul_f32 v[32:33], v[48:49], v[32:33] op_sel_hi:[0,1]
	;; [unrolled: 1-line block ×3, first 2 shown]
	v_mfma_f32_16x16x16_bf16 v[2:5], v[12:13], v[4:5], v[6:9]
	v_pk_mul_f32 v[34:35], v[48:49], v[14:15] op_sel_hi:[0,1]
	s_nop 5
	v_pk_mul_f32 v[22:23], v[48:49], v[2:3] op_sel_hi:[0,1]
	v_and_b32_e32 v2, 0xc0, v0
	v_add_u32_e32 v2, s16, v2
	v_lshl_or_b32 v2, v42, 2, v2
	v_or_b32_e32 v3, 1, v2
	v_pk_mul_f32 v[20:21], v[48:49], v[4:5] op_sel_hi:[0,1]
	v_subrev_u32_e32 v4, s29, v3
	v_add_u32_e32 v6, 1, v4
	v_add_u32_e32 v7, 2, v4
	;; [unrolled: 1-line block ×3, first 2 shown]
	v_cvt_f32_i32_e32 v6, v6
	v_cvt_f32_i32_e32 v7, v7
	v_cvt_f32_i32_e32 v8, v8
	v_add_u32_e32 v9, 19, v4
	v_fmac_f32_e32 v39, v44, v6
	v_fma_f32 v32, v44, v7, v32
	v_fmac_f32_e32 v33, v44, v8
	v_add_u32_e32 v6, 16, v4
	v_add_u32_e32 v7, 17, v4
	v_add_u32_e32 v8, 18, v4
	v_cvt_f32_i32_e32 v6, v6
	v_cvt_f32_i32_e32 v7, v7
	;; [unrolled: 1-line block ×4, first 2 shown]
	v_fma_f32 v40, v44, v6, v40
	v_fmac_f32_e32 v41, v44, v7
	v_fma_f32 v36, v44, v8, v36
	v_add_u32_e32 v6, 32, v4
	v_add_u32_e32 v7, 33, v4
	;; [unrolled: 1-line block ×3, first 2 shown]
	v_cvt_f32_i32_e32 v6, v6
	v_cvt_f32_i32_e32 v7, v7
	;; [unrolled: 1-line block ×4, first 2 shown]
	v_fmac_f32_e32 v37, v44, v9
	v_add_u32_e32 v9, 35, v4
	v_fma_f32 v48, v44, v6, v34
	v_fmac_f32_e32 v35, v44, v7
	v_fma_f32 v30, v44, v8, v30
	v_add_u32_e32 v6, 48, v4
	v_add_u32_e32 v7, 49, v4
	;; [unrolled: 1-line block ×4, first 2 shown]
	v_cvt_f32_i32_e32 v4, v4
	v_cvt_f32_i32_e32 v6, v6
	;; [unrolled: 1-line block ×3, first 2 shown]
	v_fma_f32 v5, v44, v5, v38
	v_fmac_f32_e32 v21, v44, v4
	v_mov_b32_e32 v4, 0xff7fffff
	v_cmp_gt_i32_e64 s[4:5], s29, v2
	v_cmp_gt_i32_e64 s[34:35], s29, v3
	v_fma_f32 v22, v44, v6, v22
	v_cndmask_b32_e64 v6, v4, v5, s[4:5]
	v_cndmask_b32_e64 v3, v4, v39, s[34:35]
	v_fmac_f32_e32 v23, v44, v7
	v_max3_f32 v3, v6, s44, v3
	v_or_b32_e32 v6, 2, v2
	v_or_b32_e32 v7, 3, v2
	v_cmp_gt_i32_e64 s[36:37], s29, v6
	v_cmp_gt_i32_e64 s[38:39], s29, v7
	v_cvt_f32_i32_e32 v9, v9
	v_cndmask_b32_e64 v6, v4, v32, s[36:37]
	v_cndmask_b32_e64 v7, v4, v33, s[38:39]
	v_max3_f32 v3, v3, v6, v7
	v_or_b32_e32 v6, 16, v2
	v_or_b32_e32 v7, 17, v2
	v_cmp_gt_i32_e64 s[24:25], s29, v6
	v_cmp_gt_i32_e64 s[26:27], s29, v7
	v_fmac_f32_e32 v31, v44, v9
	v_cndmask_b32_e64 v6, v4, v40, s[24:25]
	v_cndmask_b32_e64 v7, v4, v41, s[26:27]
	v_max3_f32 v3, v3, v6, v7
	v_or_b32_e32 v6, 18, v2
	v_or_b32_e32 v7, 19, v2
	v_cmp_gt_i32_e64 s[20:21], s29, v6
	v_cmp_gt_i32_e64 s[22:23], s29, v7
	v_cvt_f32_i32_e32 v8, v8
	v_cndmask_b32_e64 v6, v4, v36, s[20:21]
	v_cndmask_b32_e64 v7, v4, v37, s[22:23]
	v_max3_f32 v3, v3, v6, v7
	v_or_b32_e32 v6, 32, v2
	v_or_b32_e32 v7, 33, v2
	v_cmp_gt_i32_e64 s[16:17], s29, v6
	v_cmp_gt_i32_e64 s[18:19], s29, v7
	v_fma_f32 v20, v44, v8, v20
	v_cndmask_b32_e64 v6, v4, v48, s[16:17]
	v_cndmask_b32_e64 v7, v4, v35, s[18:19]
	v_max3_f32 v3, v3, v6, v7
	v_or_b32_e32 v6, 34, v2
	v_or_b32_e32 v7, 35, v2
	v_cmp_gt_i32_e64 s[12:13], s29, v6
	v_cmp_gt_i32_e64 s[14:15], s29, v7
	s_nop 0
	v_cndmask_b32_e64 v6, v4, v30, s[12:13]
	v_cndmask_b32_e64 v7, v4, v31, s[14:15]
	v_max3_f32 v3, v3, v6, v7
	v_or_b32_e32 v6, 48, v2
	v_or_b32_e32 v7, 49, v2
	v_cmp_gt_i32_e64 s[8:9], s29, v6
	v_cmp_gt_i32_e64 s[10:11], s29, v7
	s_nop 0
	v_cndmask_b32_e64 v6, v4, v22, s[8:9]
	v_cndmask_b32_e64 v7, v4, v23, s[10:11]
	v_max3_f32 v3, v3, v6, v7
	v_or_b32_e32 v6, 50, v2
	v_or_b32_e32 v2, 51, v2
	v_cmp_gt_i32_e32 vcc, s29, v6
	v_cmp_gt_i32_e64 s[6:7], s29, v2
	s_nop 0
	v_cndmask_b32_e32 v6, v4, v20, vcc
	v_cndmask_b32_e64 v2, v4, v21, s[6:7]
	v_max3_f32 v4, v3, v6, v2
	v_mbcnt_lo_u32_b32 v2, -1, 0
	v_mbcnt_hi_u32_b32 v6, -1, v2
	v_and_b32_e32 v2, 64, v6
	v_add_u32_e32 v7, 64, v2
	v_xor_b32_e32 v2, 32, v6
	v_cmp_lt_i32_e64 s[40:41], v2, v7
	s_nop 1
	v_cndmask_b32_e64 v2, v6, v2, s[40:41]
	v_lshlrev_b32_e32 v44, 2, v2
	ds_bpermute_b32 v8, v44, v4
	s_waitcnt vmcnt(2)
	v_mad_i64_i32 v[2:3], s[40:41], v47, s45, v[18:19]
	global_load_dwordx4 v[14:17], v[24:25], off
	global_load_dwordx4 v[10:13], v[2:3], off
	v_xor_b32_e32 v3, 16, v6
	v_cmp_lt_i32_e64 s[40:41], v3, v7
	s_waitcnt lgkmcnt(0)
	v_max_f32_e32 v2, v8, v8
	v_max_f32_e32 v2, v4, v2
	v_cndmask_b32_e64 v3, v6, v3, s[40:41]
	v_lshlrev_b32_e32 v47, 2, v3
	ds_bpermute_b32 v3, v47, v2
	s_waitcnt vmcnt(3)
	v_mad_i64_i32 v[24:25], s[40:41], v45, s45, v[18:19]
	s_waitcnt vmcnt(2)
	v_mad_i64_i32 v[18:19], s[40:41], v46, s45, v[18:19]
	s_waitcnt lgkmcnt(0)
	v_max_f32_e32 v3, v3, v3
	v_max_f32_e32 v34, v2, v3
	v_sub_f32_e32 v2, v5, v34
	v_mul_f32_e32 v2, 0x3fb8aa3b, v2
	v_exp_f32_e32 v38, v2
	v_sub_f32_e32 v2, v39, v34
	v_mul_f32_e32 v2, 0x3fb8aa3b, v2
	v_exp_f32_e32 v39, v2
	global_load_dwordx4 v[6:9], v[24:25], off
	global_load_dwordx4 v[2:5], v[18:19], off
	v_sub_f32_e32 v25, v32, v34
	v_sub_f32_e32 v32, v33, v34
	v_mul_f32_e32 v25, 0x3fb8aa3b, v25
	v_mul_f32_e32 v32, 0x3fb8aa3b, v32
	v_exp_f32_e32 v25, v25
	v_exp_f32_e32 v32, v32
	v_cndmask_b32_e64 v18, 0, v38, s[4:5]
	v_cndmask_b32_e64 v19, 0, v39, s[34:35]
	;; [unrolled: 1-line block ×4, first 2 shown]
	v_sub_f32_e32 v25, v40, v34
	v_sub_f32_e32 v32, v41, v34
	v_mul_f32_e32 v25, 0x3fb8aa3b, v25
	v_mul_f32_e32 v32, 0x3fb8aa3b, v32
	v_exp_f32_e32 v25, v25
	v_exp_f32_e32 v32, v32
	v_add_f32_e32 v24, 0, v18
	v_add_f32_e32 v24, v24, v19
	;; [unrolled: 1-line block ×4, first 2 shown]
	v_cndmask_b32_e64 v24, 0, v25, s[24:25]
	v_cndmask_b32_e64 v25, 0, v32, s[26:27]
	v_sub_f32_e32 v32, v36, v34
	v_mul_f32_e32 v32, 0x3fb8aa3b, v32
	v_exp_f32_e32 v32, v32
	v_sub_f32_e32 v36, v37, v34
	v_add_f32_e32 v33, v33, v24
	v_mul_f32_e32 v36, 0x3fb8aa3b, v36
	v_exp_f32_e32 v37, v36
	v_add_f32_e32 v33, v33, v25
	v_cndmask_b32_e64 v36, 0, v32, s[20:21]
	v_add_f32_e32 v32, v33, v36
	v_sub_f32_e32 v33, v48, v34
	v_mul_f32_e32 v33, 0x3fb8aa3b, v33
	v_sub_f32_e32 v35, v35, v34
	v_exp_f32_e32 v33, v33
	v_mul_f32_e32 v35, 0x3fb8aa3b, v35
	v_sub_f32_e32 v30, v30, v34
	v_exp_f32_e32 v35, v35
	;; [unrolled: 3-line block ×3, first 2 shown]
	v_mul_f32_e32 v31, 0x3fb8aa3b, v31
	v_sub_f32_e32 v22, v22, v34
	v_cndmask_b32_e64 v37, 0, v37, s[22:23]
	v_exp_f32_e32 v31, v31
	v_mul_f32_e32 v22, 0x3fb8aa3b, v22
	v_sub_f32_e32 v23, v23, v34
	v_add_f32_e32 v40, v32, v37
	v_cndmask_b32_e64 v32, 0, v33, s[16:17]
	v_exp_f32_e32 v22, v22
	v_mul_f32_e32 v23, 0x3fb8aa3b, v23
	v_sub_f32_e32 v20, v20, v34
	v_add_f32_e32 v40, v40, v32
	;; [unrolled: 5-line block ×3, first 2 shown]
	v_cndmask_b32_e64 v30, 0, v30, s[12:13]
	v_exp_f32_e32 v20, v20
	v_mul_f32_e32 v21, 0x3fb8aa3b, v21
	v_add_f32_e32 v35, v35, v30
	v_cndmask_b32_e64 v31, 0, v31, s[14:15]
	v_exp_f32_e32 v21, v21
	v_add_f32_e32 v35, v35, v31
	v_cndmask_b32_e64 v22, 0, v22, s[8:9]
	v_add_f32_e32 v35, v35, v22
	v_cndmask_b32_e64 v23, 0, v23, s[10:11]
	v_add_f32_e32 v35, v35, v23
	v_cndmask_b32_e32 v20, 0, v20, vcc
	v_add_f32_e32 v35, v35, v20
	v_cndmask_b32_e64 v21, 0, v21, s[6:7]
	v_add_f32_e32 v35, v35, v21
	ds_bpermute_b32 v40, v44, v35
	s_load_dword s7, s[0:1], 0x98
	v_cmp_gt_u32_e32 vcc, 16, v43
	s_waitcnt lgkmcnt(0)
	s_barrier
	v_add_f32_e32 v40, v35, v40
	ds_bpermute_b32 v41, v47, v40
	v_lshlrev_b32_e32 v35, 2, v28
	s_waitcnt lgkmcnt(0)
	s_and_saveexec_b64 s[4:5], vcc
	s_cbranch_execz .LBB1178_15
; %bb.14:
	v_add_f32_e32 v40, v40, v41
	v_lshl_or_b32 v41, v29, 6, v35
	ds_write2st64_b32 v41, v34, v40 offset1:1
.LBB1178_15:
	s_or_b64 exec, exec, s[4:5]
	s_load_dword s6, s[0:1], 0x94
	s_waitcnt lgkmcnt(0)
	s_barrier
	ds_read2_b32 v[40:41], v35 offset1:16
	ds_read2_b32 v[44:45], v35 offset0:32 offset1:48
	ds_read2_b32 v[46:47], v35 offset0:64 offset1:80
	s_movk_i32 s8, 0x7fff
	s_mul_i32 s7, s7, 11
	s_waitcnt lgkmcnt(2)
	v_max3_f32 v34, v40, s44, v41
	s_waitcnt lgkmcnt(1)
	v_max3_f32 v34, v34, v44, v45
	v_sub_f32_e32 v40, v40, v34
	v_mul_f32_e32 v40, 0x3fb8aa3b, v40
	v_exp_f32_e32 v43, v40
	v_sub_f32_e32 v40, v41, v34
	v_mul_f32_e32 v40, 0x3fb8aa3b, v40
	v_exp_f32_e32 v48, v40
	v_sub_f32_e32 v40, v44, v34
	v_mul_f32_e32 v40, 0x3fb8aa3b, v40
	v_exp_f32_e32 v44, v40
	ds_read2_b32 v[40:41], v35 offset0:96 offset1:112
	v_sub_f32_e32 v35, v45, v34
	v_mul_f32_e32 v35, 0x3fb8aa3b, v35
	v_exp_f32_e32 v45, v35
	s_waitcnt lgkmcnt(1)
	v_fma_f32 v35, v43, v46, 0
	v_fmac_f32_e32 v35, v48, v47
	s_waitcnt lgkmcnt(0)
	v_fmac_f32_e32 v35, v44, v40
	v_fmac_f32_e32 v35, v45, v41
	v_add_f32_e32 v40, 0x358637bd, v35
	v_div_scale_f32 v41, s[4:5], v40, v40, 1.0
	v_rcp_f32_e32 v46, v41
	s_barrier
	v_fma_f32 v47, -v41, v46, 1.0
	v_fmac_f32_e32 v46, v47, v46
	v_div_scale_f32 v47, vcc, 1.0, v40, 1.0
	v_mul_f32_e32 v49, v47, v46
	v_fma_f32 v50, -v41, v49, v47
	v_fmac_f32_e32 v49, v50, v46
	v_fma_f32 v41, -v41, v49, v47
	v_div_fmas_f32 v41, v41, v46, v49
	v_cmp_eq_u32_e32 vcc, 1, v29
	v_div_fixup_f32 v40, v41, v40, 1.0
	s_nop 0
	v_cndmask_b32_e32 v41, v43, v48, vcc
	v_cmp_eq_u32_e32 vcc, 2, v29
	s_nop 1
	v_cndmask_b32_e32 v41, v41, v44, vcc
	v_cmp_eq_u32_e32 vcc, 3, v29
	s_nop 1
	v_cndmask_b32_e32 v41, v41, v45, vcc
	v_mul_f32_e32 v40, v41, v40
	v_pk_mul_f32 v[18:19], v[40:41], v[18:19] op_sel_hi:[0,1]
	v_pk_mul_f32 v[38:39], v[40:41], v[38:39] op_sel_hi:[0,1]
	v_bfe_u32 v41, v19, 16, 1
	v_bfe_u32 v43, v18, 16, 1
	v_add3_u32 v18, v18, v43, s8
	v_add3_u32 v19, v19, v41, s8
	v_perm_b32 v44, v19, v18, s33
	v_bfe_u32 v18, v39, 16, 1
	v_bfe_u32 v19, v38, 16, 1
	v_add3_u32 v19, v38, v19, s8
	v_add3_u32 v18, v39, v18, s8
	v_perm_b32 v45, v18, v19, s33
	v_lshlrev_b32_e32 v18, 3, v42
	v_lshlrev_b32_e32 v19, 11, v29
	v_pk_mul_f32 v[24:25], v[40:41], v[24:25] op_sel_hi:[0,1]
	v_or3_b32 v18, v19, v27, v18
	v_bfe_u32 v19, v25, 16, 1
	v_bfe_u32 v29, v24, 16, 1
	v_pk_mul_f32 v[36:37], v[40:41], v[36:37] op_sel_hi:[0,1]
	v_add3_u32 v24, v24, v29, s8
	v_add3_u32 v19, v25, v19, s8
	v_perm_b32 v24, v19, v24, s33
	v_bfe_u32 v19, v37, 16, 1
	v_bfe_u32 v25, v36, 16, 1
	v_add3_u32 v25, v36, v25, s8
	v_add3_u32 v19, v37, v19, s8
	v_perm_b32 v25, v19, v25, s33
	ds_write2st64_b64 v18, v[44:45], v[24:25] offset1:1
	v_pk_mul_f32 v[24:25], v[40:41], v[30:31] op_sel_hi:[0,1]
	v_pk_mul_f32 v[30:31], v[40:41], v[32:33] op_sel_hi:[0,1]
	v_bfe_u32 v19, v31, 16, 1
	v_bfe_u32 v29, v30, 16, 1
	v_add3_u32 v29, v30, v29, s8
	v_add3_u32 v19, v31, v19, s8
	v_perm_b32 v30, v19, v29, s33
	v_bfe_u32 v19, v25, 16, 1
	v_bfe_u32 v29, v24, 16, 1
	v_add3_u32 v24, v24, v29, s8
	v_add3_u32 v19, v25, v19, s8
	v_pk_mul_f32 v[22:23], v[40:41], v[22:23] op_sel_hi:[0,1]
	v_perm_b32 v31, v19, v24, s33
	v_bfe_u32 v19, v23, 16, 1
	v_bfe_u32 v24, v22, 16, 1
	v_pk_mul_f32 v[20:21], v[40:41], v[20:21] op_sel_hi:[0,1]
	v_add3_u32 v22, v22, v24, s8
	v_add3_u32 v19, v23, v19, s8
	v_perm_b32 v22, v19, v22, s33
	v_bfe_u32 v19, v21, 16, 1
	v_bfe_u32 v23, v20, 16, 1
	v_add3_u32 v20, v20, v23, s8
	v_add3_u32 v19, v21, v19, s8
	v_perm_b32 v23, v19, v20, s33
	v_cmp_gt_u32_e32 vcc, 11, v0
	ds_write2st64_b64 v18, v[30:31], v[22:23] offset0:2 offset1:3
	s_and_saveexec_b64 s[4:5], vcc
	s_cbranch_execz .LBB1178_17
; %bb.16:
	s_mov_b32 s49, 0
	v_mov_b32_e32 v29, 0
	v_lshl_add_u64 v[20:21], s[48:49], 0, v[28:29]
	v_mov_b32_e32 v19, s7
	v_mad_u64_u32 v[20:21], s[10:11], s2, v19, v[20:21]
	s_mul_i32 s3, s3, s7
	v_mov_b32_e32 v28, s28
	s_load_dwordx4 s[12:15], s[0:1], 0x58
	v_add_u32_e32 v19, s3, v21
	v_mad_u64_u32 v[20:21], s[10:11], v20, s6, v[28:29]
	v_mov_b32_e32 v22, v21
	v_mad_u64_u32 v[22:23], s[10:11], v19, s6, v[22:23]
	v_mov_b32_e32 v21, v22
	v_lshlrev_b64 v[20:21], 2, v[20:21]
	s_waitcnt lgkmcnt(0)
	v_lshl_add_u64 v[22:23], s[14:15], 0, v[20:21]
	v_lshl_add_u64 v[20:21], s[12:13], 0, v[20:21]
	global_store_dword v[22:23], v34, off
	global_store_dword v[20:21], v35, off
.LBB1178_17:
	s_or_b64 exec, exec, s[4:5]
	s_waitcnt vmcnt(3)
	v_cvt_pk_f32_fp8_e32 v[20:21], v14
	v_cvt_pk_f32_fp8_sdwa v[22:23], v14 src0_sel:WORD_1
	s_mov_b32 s4, 0x7060302
	v_lshl_or_b32 v14, v42, 9, v27
	s_waitcnt lgkmcnt(0)
	s_barrier
	v_perm_b32 v24, v21, v20, s4
	v_perm_b32 v25, v23, v22, s4
	v_cvt_pk_f32_fp8_e32 v[28:29], v15
	ds_read_b128 v[20:23], v14
	v_cvt_pk_f32_fp8_sdwa v[36:37], v15 src0_sel:WORD_1
	s_load_dword s10, s[42:43], 0x0
	v_perm_b32 v38, v29, v28, s4
	ds_read_b128 v[28:31], v14 offset:16
	v_perm_b32 v39, v37, v36, s4
	s_waitcnt lgkmcnt(0)
	v_mfma_f32_16x16x16_bf16 v[32:35], v[24:25], v[20:21], 0
	v_cvt_pk_f32_fp8_e32 v[24:25], v16
	v_cvt_pk_f32_fp8_sdwa v[36:37], v16 src0_sel:WORD_1
	v_cmp_gt_u32_e32 vcc, 64, v0
	v_mfma_f32_16x16x16_bf16 v[20:23], v[38:39], v[22:23], v[32:35]
	v_perm_b32 v24, v25, v24, s4
	v_perm_b32 v25, v37, v36, s4
	s_mov_b32 s3, 0
	v_cvt_pk_f32_fp8_e32 v[32:33], v17
	v_cvt_pk_f32_fp8_sdwa v[16:17], v17 src0_sel:WORD_1
	s_waitcnt vmcnt(2)
	v_cvt_pk_f32_fp8_sdwa v[34:35], v10 src0_sel:WORD_1
	v_mfma_f32_16x16x16_bf16 v[20:23], v[24:25], v[28:29], v[20:23]
	v_perm_b32 v36, v33, v32, s4
	v_cvt_pk_f32_fp8_e32 v[32:33], v10
	v_perm_b32 v37, v17, v16, s4
	v_perm_b32 v17, v35, v34, s4
	v_cvt_pk_f32_fp8_e32 v[24:25], v11
	v_perm_b32 v16, v33, v32, s4
	ds_read_b128 v[32:35], v14 offset:2048
	v_cvt_pk_f32_fp8_sdwa v[10:11], v11 src0_sel:WORD_1
	v_mfma_f32_16x16x16_bf16 v[20:23], v[36:37], v[30:31], v[20:23]
	ds_read_b128 v[28:31], v14 offset:2064
	v_perm_b32 v24, v25, v24, s4
	v_perm_b32 v25, v11, v10, s4
	s_waitcnt lgkmcnt(1)
	v_mfma_f32_16x16x16_bf16 v[20:23], v[16:17], v[32:33], v[20:23]
	v_cvt_pk_f32_fp8_e32 v[10:11], v12
	v_cvt_pk_f32_fp8_sdwa v[16:17], v12 src0_sel:WORD_1
	s_waitcnt vmcnt(1)
	v_cvt_pk_f32_fp8_sdwa v[32:33], v6 src0_sel:WORD_1
	v_mfma_f32_16x16x16_bf16 v[20:23], v[24:25], v[34:35], v[20:23]
	v_cvt_pk_f32_fp8_e32 v[24:25], v13
	v_perm_b32 v10, v11, v10, s4
	v_perm_b32 v11, v17, v16, s4
	v_cvt_pk_f32_fp8_sdwa v[12:13], v13 src0_sel:WORD_1
	v_perm_b32 v16, v25, v24, s4
	v_cvt_pk_f32_fp8_e32 v[24:25], v6
	v_mov_b32_e32 v27, 0
	v_perm_b32 v17, v13, v12, s4
	s_waitcnt lgkmcnt(0)
	v_mfma_f32_16x16x16_bf16 v[10:13], v[10:11], v[28:29], v[20:23]
	v_perm_b32 v24, v25, v24, s4
	v_perm_b32 v25, v33, v32, s4
	v_cvt_pk_f32_fp8_e32 v[28:29], v7
	ds_read_b128 v[20:23], v14 offset:4096
	v_cvt_pk_f32_fp8_sdwa v[6:7], v7 src0_sel:WORD_1
	v_mfma_f32_16x16x16_bf16 v[10:13], v[16:17], v[30:31], v[10:13]
	v_perm_b32 v16, v29, v28, s4
	ds_read_b128 v[28:31], v14 offset:4112
	v_perm_b32 v17, v7, v6, s4
	s_waitcnt lgkmcnt(1)
	v_mfma_f32_16x16x16_bf16 v[10:13], v[24:25], v[20:21], v[10:13]
	v_cvt_pk_f32_fp8_e32 v[6:7], v8
	v_cvt_pk_f32_fp8_sdwa v[20:21], v8 src0_sel:WORD_1
	v_perm_b32 v6, v7, v6, s4
	v_mfma_f32_16x16x16_bf16 v[10:13], v[16:17], v[22:23], v[10:13]
	v_cvt_pk_f32_fp8_e32 v[16:17], v9
	v_perm_b32 v7, v21, v20, s4
	v_cvt_pk_f32_fp8_sdwa v[8:9], v9 src0_sel:WORD_1
	s_waitcnt vmcnt(0)
	v_cvt_pk_f32_fp8_e32 v[20:21], v2
	v_perm_b32 v16, v17, v16, s4
	v_cvt_pk_f32_fp8_sdwa v[22:23], v2 src0_sel:WORD_1
	v_perm_b32 v17, v9, v8, s4
	s_waitcnt lgkmcnt(0)
	v_mfma_f32_16x16x16_bf16 v[6:9], v[6:7], v[28:29], v[10:13]
	v_perm_b32 v20, v21, v20, s4
	v_perm_b32 v21, v23, v22, s4
	v_cvt_pk_f32_fp8_e32 v[22:23], v3
	ds_read_b128 v[10:13], v14 offset:6144
	v_cvt_pk_f32_fp8_sdwa v[2:3], v3 src0_sel:WORD_1
	v_mfma_f32_16x16x16_bf16 v[6:9], v[16:17], v[30:31], v[6:9]
	v_perm_b32 v22, v23, v22, s4
	ds_read_b128 v[14:17], v14 offset:6160
	v_perm_b32 v23, v3, v2, s4
	s_waitcnt lgkmcnt(1)
	v_mfma_f32_16x16x16_bf16 v[6:9], v[20:21], v[10:11], v[6:9]
	v_cvt_pk_f32_fp8_e32 v[2:3], v4
	v_cvt_pk_f32_fp8_sdwa v[10:11], v4 src0_sel:WORD_1
	s_waitcnt lgkmcnt(0)
	v_mfma_f32_16x16x16_bf16 v[6:9], v[22:23], v[12:13], v[6:9]
	v_perm_b32 v2, v3, v2, s4
	v_perm_b32 v3, v11, v10, s4
	v_cvt_pk_f32_fp8_e32 v[10:11], v5
	v_cvt_pk_f32_fp8_sdwa v[4:5], v5 src0_sel:WORD_1
	s_barrier
	v_perm_b32 v10, v11, v10, s4
	v_perm_b32 v11, v5, v4, s4
	v_mfma_f32_16x16x16_bf16 v[2:5], v[2:3], v[14:15], v[6:9]
	s_nop 0
	v_mfma_f32_16x16x16_bf16 v[2:5], v[10:11], v[16:17], v[2:5]
	s_nop 6
	v_pk_mul_f32 v[2:3], v[2:3], s[10:11] op_sel_hi:[1,0]
	v_pk_mul_f32 v[4:5], v[4:5], s[10:11] op_sel_hi:[1,0]
	v_bfe_u32 v6, v3, 16, 1
	v_bfe_u32 v7, v2, 16, 1
	v_add3_u32 v2, v2, v7, s8
	v_add3_u32 v3, v3, v6, s8
	v_perm_b32 v2, v3, v2, s4
	v_bfe_u32 v3, v5, 16, 1
	v_bfe_u32 v6, v4, 16, 1
	v_add3_u32 v4, v4, v6, s8
	v_add3_u32 v3, v5, v3, s8
	v_perm_b32 v3, v3, v4, s4
	s_and_b64 s[4:5], vcc, s[30:31]
	ds_write_b64 v18, v[2:3]
	s_waitcnt lgkmcnt(0)
	s_barrier
	s_and_saveexec_b64 s[8:9], s[4:5]
	s_cbranch_execz .LBB1178_20
; %bb.18:
	s_load_dwordx2 s[4:5], s[0:1], 0x68
	s_lshl_b32 s0, s6, 6
	s_mul_i32 s1, s7, s2
	s_mul_hi_u32 s7, s1, s0
	s_mul_i32 s6, s1, s0
	v_lshlrev_b32_e32 v0, 10, v0
	s_lshl_b64 s[6:7], s[6:7], 1
	v_and_b32_e32 v0, 0x1800, v0
	v_lshlrev_b32_e32 v2, 5, v42
	v_and_b32_e32 v1, 16, v1
	s_waitcnt lgkmcnt(0)
	s_add_u32 s1, s4, s6
	v_or3_b32 v2, v0, v2, v1
	s_addc_u32 s4, s5, s7
	s_lshl_b32 s2, s28, 6
	s_lshl_b64 s[2:3], s[2:3], 1
	ds_read_b128 v[4:7], v2 offset:128
	ds_read_b128 v[8:11], v2
	s_add_u32 s2, s1, s2
	s_addc_u32 s3, s4, s3
	v_add_u32_e32 v3, s48, v42
	v_lshl_add_u64 v[0:1], s[2:3], 0, v[26:27]
	v_mad_u64_u32 v[12:13], s[2:3], v3, s0, 0
	v_lshl_add_u64 v[12:13], v[12:13], 1, v[0:1]
	v_add_u32_e32 v3, 4, v3
	s_waitcnt lgkmcnt(0)
	global_store_dwordx4 v[12:13], v[8:11], off
	v_cmp_ne_u32_e32 vcc, 3, v42
	s_nop 0
	v_mad_u64_u32 v[8:9], s[2:3], v3, s0, 0
	v_lshl_add_u64 v[8:9], v[8:9], 1, v[0:1]
	global_store_dwordx4 v[8:9], v[4:7], off
	s_and_b64 exec, exec, vcc
	s_cbranch_execz .LBB1178_20
; %bb.19:
	ds_read_b128 v[2:5], v2 offset:256
	v_add3_u32 v6, s48, v42, 8
	v_mad_u64_u32 v[6:7], s[0:1], v6, s0, 0
	v_lshl_add_u64 v[0:1], v[6:7], 1, v[0:1]
	s_waitcnt lgkmcnt(0)
	global_store_dwordx4 v[0:1], v[2:5], off
.LBB1178_20:
	s_endpgm
	.section	.rodata,"a",@progbits
	.p2align	6, 0x0
	.amdhsa_kernel _Z39paged_attention_ll4mi_QKV_mfma16_kernelI14__hip_bfloat16hLN4vllm18Fp8KVCacheDataTypeE1EhLi32ELi64ELi256ELb1ELi11EEvPKT_PKT0_S8_ifPKiSA_SA_iPKfiiiPfSD_PS3_PT2_iSC_SC_
		.amdhsa_group_segment_fixed_size 8192
		.amdhsa_private_segment_fixed_size 0
		.amdhsa_kernarg_size 400
		.amdhsa_user_sgpr_count 2
		.amdhsa_user_sgpr_dispatch_ptr 0
		.amdhsa_user_sgpr_queue_ptr 0
		.amdhsa_user_sgpr_kernarg_segment_ptr 1
		.amdhsa_user_sgpr_dispatch_id 0
		.amdhsa_user_sgpr_kernarg_preload_length 0
		.amdhsa_user_sgpr_kernarg_preload_offset 0
		.amdhsa_user_sgpr_private_segment_size 0
		.amdhsa_uses_dynamic_stack 0
		.amdhsa_enable_private_segment 0
		.amdhsa_system_sgpr_workgroup_id_x 1
		.amdhsa_system_sgpr_workgroup_id_y 1
		.amdhsa_system_sgpr_workgroup_id_z 1
		.amdhsa_system_sgpr_workgroup_info 0
		.amdhsa_system_vgpr_workitem_id 0
		.amdhsa_next_free_vgpr 71
		.amdhsa_next_free_sgpr 50
		.amdhsa_accum_offset 72
		.amdhsa_reserve_vcc 1
		.amdhsa_float_round_mode_32 0
		.amdhsa_float_round_mode_16_64 0
		.amdhsa_float_denorm_mode_32 3
		.amdhsa_float_denorm_mode_16_64 3
		.amdhsa_dx10_clamp 1
		.amdhsa_ieee_mode 1
		.amdhsa_fp16_overflow 0
		.amdhsa_tg_split 0
		.amdhsa_exception_fp_ieee_invalid_op 0
		.amdhsa_exception_fp_denorm_src 0
		.amdhsa_exception_fp_ieee_div_zero 0
		.amdhsa_exception_fp_ieee_overflow 0
		.amdhsa_exception_fp_ieee_underflow 0
		.amdhsa_exception_fp_ieee_inexact 0
		.amdhsa_exception_int_div_zero 0
	.end_amdhsa_kernel
	.section	.text._Z39paged_attention_ll4mi_QKV_mfma16_kernelI14__hip_bfloat16hLN4vllm18Fp8KVCacheDataTypeE1EhLi32ELi64ELi256ELb1ELi11EEvPKT_PKT0_S8_ifPKiSA_SA_iPKfiiiPfSD_PS3_PT2_iSC_SC_,"axG",@progbits,_Z39paged_attention_ll4mi_QKV_mfma16_kernelI14__hip_bfloat16hLN4vllm18Fp8KVCacheDataTypeE1EhLi32ELi64ELi256ELb1ELi11EEvPKT_PKT0_S8_ifPKiSA_SA_iPKfiiiPfSD_PS3_PT2_iSC_SC_,comdat
.Lfunc_end1178:
	.size	_Z39paged_attention_ll4mi_QKV_mfma16_kernelI14__hip_bfloat16hLN4vllm18Fp8KVCacheDataTypeE1EhLi32ELi64ELi256ELb1ELi11EEvPKT_PKT0_S8_ifPKiSA_SA_iPKfiiiPfSD_PS3_PT2_iSC_SC_, .Lfunc_end1178-_Z39paged_attention_ll4mi_QKV_mfma16_kernelI14__hip_bfloat16hLN4vllm18Fp8KVCacheDataTypeE1EhLi32ELi64ELi256ELb1ELi11EEvPKT_PKT0_S8_ifPKiSA_SA_iPKfiiiPfSD_PS3_PT2_iSC_SC_
                                        ; -- End function
	.section	.AMDGPU.csdata,"",@progbits
; Kernel info:
; codeLenInByte = 5236
; NumSgprs: 56
; NumVgprs: 71
; NumAgprs: 0
; TotalNumVgprs: 71
; ScratchSize: 0
; MemoryBound: 0
; FloatMode: 240
; IeeeMode: 1
; LDSByteSize: 8192 bytes/workgroup (compile time only)
; SGPRBlocks: 6
; VGPRBlocks: 8
; NumSGPRsForWavesPerEU: 56
; NumVGPRsForWavesPerEU: 71
; AccumOffset: 72
; Occupancy: 7
; WaveLimiterHint : 1
; COMPUTE_PGM_RSRC2:SCRATCH_EN: 0
; COMPUTE_PGM_RSRC2:USER_SGPR: 2
; COMPUTE_PGM_RSRC2:TRAP_HANDLER: 0
; COMPUTE_PGM_RSRC2:TGID_X_EN: 1
; COMPUTE_PGM_RSRC2:TGID_Y_EN: 1
; COMPUTE_PGM_RSRC2:TGID_Z_EN: 1
; COMPUTE_PGM_RSRC2:TIDIG_COMP_CNT: 0
; COMPUTE_PGM_RSRC3_GFX90A:ACCUM_OFFSET: 17
; COMPUTE_PGM_RSRC3_GFX90A:TG_SPLIT: 0
	.section	.text._Z39paged_attention_ll4mi_QKV_mfma16_kernelI14__hip_bfloat16hLN4vllm18Fp8KVCacheDataTypeE1EhLi32ELi64ELi256ELb1ELi12EEvPKT_PKT0_S8_ifPKiSA_SA_iPKfiiiPfSD_PS3_PT2_iSC_SC_,"axG",@progbits,_Z39paged_attention_ll4mi_QKV_mfma16_kernelI14__hip_bfloat16hLN4vllm18Fp8KVCacheDataTypeE1EhLi32ELi64ELi256ELb1ELi12EEvPKT_PKT0_S8_ifPKiSA_SA_iPKfiiiPfSD_PS3_PT2_iSC_SC_,comdat
	.protected	_Z39paged_attention_ll4mi_QKV_mfma16_kernelI14__hip_bfloat16hLN4vllm18Fp8KVCacheDataTypeE1EhLi32ELi64ELi256ELb1ELi12EEvPKT_PKT0_S8_ifPKiSA_SA_iPKfiiiPfSD_PS3_PT2_iSC_SC_ ; -- Begin function _Z39paged_attention_ll4mi_QKV_mfma16_kernelI14__hip_bfloat16hLN4vllm18Fp8KVCacheDataTypeE1EhLi32ELi64ELi256ELb1ELi12EEvPKT_PKT0_S8_ifPKiSA_SA_iPKfiiiPfSD_PS3_PT2_iSC_SC_
	.globl	_Z39paged_attention_ll4mi_QKV_mfma16_kernelI14__hip_bfloat16hLN4vllm18Fp8KVCacheDataTypeE1EhLi32ELi64ELi256ELb1ELi12EEvPKT_PKT0_S8_ifPKiSA_SA_iPKfiiiPfSD_PS3_PT2_iSC_SC_
	.p2align	8
	.type	_Z39paged_attention_ll4mi_QKV_mfma16_kernelI14__hip_bfloat16hLN4vllm18Fp8KVCacheDataTypeE1EhLi32ELi64ELi256ELb1ELi12EEvPKT_PKT0_S8_ifPKiSA_SA_iPKfiiiPfSD_PS3_PT2_iSC_SC_,@function
_Z39paged_attention_ll4mi_QKV_mfma16_kernelI14__hip_bfloat16hLN4vllm18Fp8KVCacheDataTypeE1EhLi32ELi64ELi256ELb1ELi12EEvPKT_PKT0_S8_ifPKiSA_SA_iPKfiiiPfSD_PS3_PT2_iSC_SC_: ; @_Z39paged_attention_ll4mi_QKV_mfma16_kernelI14__hip_bfloat16hLN4vllm18Fp8KVCacheDataTypeE1EhLi32ELi64ELi256ELb1ELi12EEvPKT_PKT0_S8_ifPKiSA_SA_iPKfiiiPfSD_PS3_PT2_iSC_SC_
; %bb.0:
	s_load_dwordx2 s[6:7], s[0:1], 0x30
	s_mov_b32 s28, s3
	s_mov_b64 s[8:9], 0
	s_waitcnt lgkmcnt(0)
	s_cmp_lg_u64 s[6:7], 0
	s_cselect_b64 s[10:11], -1, 0
	s_and_b64 vcc, exec, s[10:11]
	s_cbranch_vccz .LBB1179_7
; %bb.1:
	s_add_i32 s12, s2, 1
	s_mov_b32 s13, 0
	s_lshl_b64 s[14:15], s[12:13], 2
	s_add_u32 s14, s6, s14
	s_mov_b32 s3, s13
	s_addc_u32 s15, s7, s15
	s_lshl_b64 s[12:13], s[2:3], 2
	s_add_u32 s12, s6, s12
	s_addc_u32 s13, s7, s13
	s_load_dword s5, s[14:15], 0x0
	s_load_dword s16, s[12:13], 0x0
	s_waitcnt lgkmcnt(0)
	s_sub_i32 s5, s5, s16
	s_cmp_eq_u32 s5, 1
	s_cselect_b64 s[12:13], -1, 0
	s_andn2_b64 vcc, exec, s[8:9]
	s_cbranch_vccnz .LBB1179_3
.LBB1179_2:
	s_mov_b32 s3, 0
	s_mov_b64 s[12:13], -1
.LBB1179_3:
	s_andn2_b64 vcc, exec, s[12:13]
	s_cbranch_vccnz .LBB1179_19
; %bb.4:
	s_load_dwordx2 s[8:9], s[0:1], 0x28
	s_lshl_b64 s[12:13], s[2:3], 2
	s_waitcnt lgkmcnt(0)
	s_add_u32 s8, s8, s12
	s_addc_u32 s9, s9, s13
	s_load_dword s29, s[8:9], 0x0
	s_lshl_b32 s16, s28, 8
	s_waitcnt lgkmcnt(0)
	s_cmp_ge_i32 s16, s29
	s_cbranch_scc1 .LBB1179_19
; %bb.5:
	s_load_dwordx2 s[8:9], s[0:1], 0x20
	s_load_dword s5, s[0:1], 0x38
	s_add_i32 s14, s29, 31
	s_ashr_i32 s15, s14, 31
	v_and_b32_e32 v1, 0xcf, v0
	s_lshr_b32 s15, s15, 27
	v_add_u32_e32 v1, s16, v1
	s_add_i32 s14, s14, s15
	v_ashrrev_i32_e32 v2, 31, v1
	s_ashr_i32 s17, s14, 5
	v_lshrrev_b32_e32 v4, 27, v2
	s_add_i32 s17, s17, -1
	s_waitcnt lgkmcnt(0)
	s_mul_i32 s14, s2, s5
	s_mov_b32 s15, 0
	v_add_u32_e32 v2, v1, v4
	s_lshl_b64 s[14:15], s[14:15], 2
	v_ashrrev_i32_e32 v2, 5, v2
	v_mov_b32_e32 v5, s17
	v_cmp_gt_i32_e32 vcc, s29, v1
	s_add_u32 s8, s8, s14
	s_addc_u32 s9, s9, s15
	v_cndmask_b32_e32 v2, v5, v2, vcc
	v_ashrrev_i32_e32 v3, 31, v2
	v_lshl_add_u64 v[6:7], v[2:3], 2, s[8:9]
	v_or_b32_e32 v2, 16, v1
	v_add_u32_e32 v3, v2, v4
	v_ashrrev_i32_e32 v3, 5, v3
	v_cmp_gt_i32_e32 vcc, s29, v2
	s_load_dwordx2 s[14:15], s[0:1], 0x8
	s_nop 0
	v_cndmask_b32_e32 v2, v5, v3, vcc
	v_ashrrev_i32_e32 v3, 31, v2
	v_lshl_add_u64 v[8:9], v[2:3], 2, s[8:9]
	v_or_b32_e32 v2, 32, v1
	v_add_u32_e32 v3, v2, v4
	v_ashrrev_i32_e32 v3, 5, v3
	v_cmp_gt_i32_e32 vcc, s29, v2
	v_or_b32_e32 v1, 48, v1
	s_nop 0
	v_cndmask_b32_e32 v2, v5, v3, vcc
	v_ashrrev_i32_e32 v3, 31, v2
	v_lshl_add_u64 v[10:11], v[2:3], 2, s[8:9]
	v_add_u32_e32 v2, v1, v4
	v_ashrrev_i32_e32 v2, 5, v2
	v_cmp_gt_i32_e32 vcc, s29, v1
	s_nop 1
	v_cndmask_b32_e32 v2, v5, v2, vcc
	v_ashrrev_i32_e32 v3, 31, v2
	v_lshl_add_u64 v[12:13], v[2:3], 2, s[8:9]
	global_load_dword v5, v[6:7], off
	global_load_dword v4, v[8:9], off
	;; [unrolled: 1-line block ×4, first 2 shown]
	s_andn2_b64 vcc, exec, s[10:11]
	s_cbranch_vccnz .LBB1179_8
; %bb.6:
	s_add_u32 s6, s6, s12
	s_addc_u32 s7, s7, s13
	s_load_dword s5, s[6:7], 0x0
	s_branch .LBB1179_9
.LBB1179_7:
	s_mov_b64 s[12:13], 0
	s_branch .LBB1179_2
.LBB1179_8:
	s_mov_b32 s5, s2
.LBB1179_9:
	s_load_dwordx2 s[10:11], s[0:1], 0x10
	s_load_dwordx4 s[44:47], s[0:1], 0x48
	v_and_b32_e32 v28, 15, v0
	s_movk_i32 s6, 0xc0
	v_lshlrev_b32_e32 v6, 3, v28
	v_cmp_gt_u32_e32 vcc, s6, v0
	v_cmp_gt_u32_e64 s[30:31], 8, v28
	v_lshrrev_b32_e32 v29, 6, v0
	v_bfe_u32 v1, v0, 4, 2
	s_mul_i32 s48, s4, 12
	s_and_b64 s[12:13], vcc, s[30:31]
	v_lshlrev_b32_e32 v26, 1, v6
	v_lshlrev_b32_e32 v42, 4, v0
	s_and_saveexec_b64 s[6:7], s[12:13]
	s_cbranch_execz .LBB1179_11
; %bb.10:
	s_load_dwordx2 s[12:13], s[0:1], 0x0
	s_waitcnt lgkmcnt(0)
	s_ashr_i32 s18, s44, 31
	s_mul_hi_u32 s19, s5, s44
	s_mul_i32 s18, s5, s18
	s_add_i32 s19, s19, s18
	s_mul_i32 s18, s5, s44
	v_lshl_or_b32 v10, v29, 2, v1
	s_lshl_b64 s[18:19], s[18:19], 1
	s_add_u32 s12, s12, s18
	v_add_lshl_u32 v6, v10, s48, 6
	s_addc_u32 s13, s13, s19
	v_ashrrev_i32_e32 v7, 31, v6
	v_lshl_add_u64 v[6:7], v[6:7], 1, s[12:13]
	v_mov_b32_e32 v27, 0
	v_lshl_add_u64 v[6:7], v[6:7], 0, v[26:27]
	global_load_dwordx4 v[6:9], v[6:7], off
	v_lshlrev_b32_e32 v12, 8, v28
	v_lshlrev_b32_e32 v10, 5, v10
	v_and_b32_e32 v11, 16, v42
	v_and_b32_e32 v12, 0xe00, v12
	v_or3_b32 v10, v12, v10, v11
	s_waitcnt vmcnt(0)
	ds_write_b128 v10, v[6:9]
.LBB1179_11:
	s_or_b64 exec, exec, s[6:7]
	s_waitcnt lgkmcnt(0)
	s_mul_i32 s12, s4, s46
	s_add_u32 s4, s14, s12
	s_addc_u32 s5, s15, 0
	v_mov_b32_e32 v31, 0
	v_mov_b64_e32 v[6:7], s[4:5]
	v_lshlrev_b32_e32 v10, 4, v28
	v_and_b32_e32 v27, 48, v0
	s_waitcnt vmcnt(3)
	v_mad_i64_i32 v[8:9], s[4:5], v5, s45, v[6:7]
	v_mov_b32_e32 v11, v31
	s_waitcnt vmcnt(2)
	v_mad_i64_i32 v[4:5], s[4:5], v4, s45, v[6:7]
	v_or_b32_e32 v12, 0x100, v10
	v_mov_b32_e32 v13, v31
	v_lshlrev_b32_e32 v30, 5, v27
	v_lshl_add_u64 v[8:9], v[8:9], 0, v[10:11]
	v_lshl_add_u64 v[4:5], v[4:5], 0, v[12:13]
	v_lshl_add_u64 v[8:9], v[8:9], 0, v[30:31]
	v_lshl_add_u64 v[4:5], v[4:5], 0, v[30:31]
	s_barrier
	global_load_dwordx4 v[22:25], v[8:9], off
	global_load_dwordx4 v[18:21], v[4:5], off
	s_waitcnt vmcnt(3)
	v_mad_i64_i32 v[4:5], s[4:5], v3, s45, v[6:7]
	v_lshl_add_u64 v[4:5], v[4:5], 0, v[10:11]
	s_waitcnt vmcnt(2)
	v_mad_i64_i32 v[2:3], s[4:5], v2, s45, v[6:7]
	v_lshl_add_u64 v[4:5], v[4:5], 0, v[30:31]
	v_lshl_add_u64 v[2:3], v[2:3], 0, v[12:13]
	;; [unrolled: 1-line block ×3, first 2 shown]
	global_load_dwordx4 v[14:17], v[4:5], off
	global_load_dwordx4 v[6:9], v[2:3], off
	v_add_u32_e32 v2, -12, v28
	v_cmp_gt_u32_e32 vcc, 12, v28
	v_and_b32_e32 v43, 63, v0
	v_mov_b32_e32 v44, 0
	v_cndmask_b32_e32 v2, v2, v28, vcc
	v_lshlrev_b32_e32 v2, 5, v2
	v_lshl_add_u32 v2, v1, 9, v2
	ds_read_b128 v[10:13], v2
	ds_read_b128 v[2:5], v2 offset:16
	s_and_saveexec_b64 s[4:5], vcc
	s_cbranch_execz .LBB1179_13
; %bb.12:
	s_load_dwordx2 s[6:7], s[0:1], 0x40
	v_add_u32_e32 v32, s48, v28
	v_ashrrev_i32_e32 v33, 31, v32
	s_waitcnt lgkmcnt(0)
	v_lshl_add_u64 v[32:33], v[32:33], 2, s[6:7]
	global_load_dword v44, v[32:33], off
.LBB1179_13:
	s_or_b64 exec, exec, s[4:5]
	s_ashr_i32 s4, s16, 31
	v_or_b32_e32 v45, s16, v27
	s_lshr_b32 s13, s4, 27
	v_add_u32_e32 v27, s13, v45
	v_ashrrev_i32_e32 v27, 5, v27
	s_waitcnt vmcnt(3)
	v_cvt_pk_f32_fp8_e32 v[34:35], v22
	v_cvt_pk_f32_fp8_sdwa v[36:37], v22 src0_sel:WORD_1
	s_waitcnt vmcnt(2)
	v_cvt_pk_f32_fp8_e32 v[56:57], v20
	v_cvt_pk_f32_fp8_sdwa v[58:59], v20 src0_sel:WORD_1
	v_mov_b32_e32 v20, s17
	v_cmp_gt_i32_e32 vcc, s29, v45
	v_cvt_pk_f32_fp8_e32 v[48:49], v18
	v_cvt_pk_f32_fp8_sdwa v[50:51], v18 src0_sel:WORD_1
	v_cndmask_b32_e32 v18, v20, v27, vcc
	v_cvt_pk_f32_fp8_e32 v[52:53], v19
	v_cvt_pk_f32_fp8_sdwa v[54:55], v19 src0_sel:WORD_1
	v_ashrrev_i32_e32 v19, 31, v18
	v_lshl_add_u64 v[18:19], v[18:19], 2, s[8:9]
	s_mov_b32 s33, 0x7060302
	v_cvt_pk_f32_fp8_e32 v[32:33], v23
	v_cvt_pk_f32_fp8_sdwa v[22:23], v23 src0_sel:WORD_1
	global_load_dword v70, v[18:19], off
	v_perm_b32 v18, v35, v34, s33
	v_perm_b32 v19, v37, v36, s33
	v_cvt_pk_f32_fp8_e32 v[60:61], v21
	v_cvt_pk_f32_fp8_sdwa v[62:63], v21 src0_sel:WORD_1
	v_or_b32_e32 v21, 64, v45
	v_or_b32_e32 v34, 0x80, v45
	;; [unrolled: 1-line block ×3, first 2 shown]
	v_cmp_gt_i32_e32 vcc, s29, v21
	v_add_u32_e32 v21, s13, v21
	v_cmp_gt_i32_e64 s[4:5], s29, v34
	v_add_u32_e32 v34, s13, v34
	v_cmp_gt_i32_e64 s[6:7], s29, v35
	v_add_u32_e32 v35, s13, v35
	v_cvt_pk_f32_fp8_e32 v[38:39], v24
	v_cvt_pk_f32_fp8_sdwa v[40:41], v24 src0_sel:WORD_1
	v_cvt_pk_f32_fp8_e32 v[46:47], v25
	v_ashrrev_i32_e32 v21, 5, v21
	v_ashrrev_i32_e32 v34, 5, v34
	;; [unrolled: 1-line block ×3, first 2 shown]
	v_perm_b32 v32, v33, v32, s33
	v_perm_b32 v33, v23, v22, s33
	;; [unrolled: 1-line block ×4, first 2 shown]
	v_cvt_pk_f32_fp8_sdwa v[24:25], v25 src0_sel:WORD_1
	v_cndmask_b32_e32 v36, v20, v21, vcc
	v_cndmask_b32_e64 v64, v20, v34, s[4:5]
	v_cndmask_b32_e64 v66, v20, v35, s[6:7]
	s_waitcnt lgkmcnt(1)
	v_mfma_f32_16x16x16_bf16 v[18:21], v[18:19], v[10:11], 0
	v_perm_b32 v38, v39, v38, s33
	v_perm_b32 v39, v41, v40, s33
	;; [unrolled: 1-line block ×5, first 2 shown]
	s_load_dword s14, s[0:1], 0x1c
	s_load_dwordx4 s[40:43], s[0:1], 0x80
	v_perm_b32 v69, v25, v24, s33
	v_mfma_f32_16x16x16_bf16 v[22:25], v[22:23], v[10:11], 0
	s_add_u32 s10, s10, s12
	v_and_b32_e32 v30, 16, v0
	v_lshlrev_b32_e32 v27, 5, v28
	v_mfma_f32_16x16x16_bf16 v[32:35], v[32:33], v[12:13], v[18:21]
	s_addc_u32 s11, s11, 0
	v_lshl_add_u64 v[40:41], s[10:11], 0, v[30:31]
	v_lshl_or_b32 v30, v29, 9, v27
	v_ashrrev_i32_e32 v37, 31, v36
	v_ashrrev_i32_e32 v65, 31, v64
	;; [unrolled: 1-line block ×3, first 2 shown]
	v_perm_b32 v48, v57, v56, s33
	v_perm_b32 v49, v59, v58, s33
	v_mfma_f32_16x16x16_bf16 v[20:23], v[46:47], v[12:13], v[22:25]
	v_lshl_add_u64 v[18:19], v[40:41], 0, v[30:31]
	s_waitcnt lgkmcnt(0)
	s_load_dword s6, s[40:41], 0x0
	v_perm_b32 v50, v61, v60, s33
	v_mfma_f32_16x16x16_bf16 v[30:33], v[38:39], v[2:3], v[32:35]
	v_lshl_add_u64 v[24:25], v[36:37], 2, s[8:9]
	v_lshl_add_u64 v[36:37], v[66:67], 2, s[8:9]
	v_perm_b32 v51, v63, v62, s33
	v_lshl_add_u64 v[34:35], v[64:65], 2, s[8:9]
	global_load_dword v47, v[24:25], off
	global_load_dword v45, v[34:35], off
	;; [unrolled: 1-line block ×3, first 2 shown]
	s_waitcnt vmcnt(5)
	v_cvt_pk_f32_fp8_e32 v[34:35], v14
	v_cvt_pk_f32_fp8_sdwa v[36:37], v14 src0_sel:WORD_1
	v_mfma_f32_16x16x16_bf16 v[20:23], v[48:49], v[2:3], v[20:23]
	v_cvt_pk_f32_fp8_e32 v[38:39], v15
	v_perm_b32 v34, v35, v34, s33
	v_perm_b32 v35, v37, v36, s33
	v_cvt_pk_f32_fp8_sdwa v[14:15], v15 src0_sel:WORD_1
	v_mov_b32_e32 v40, s14
	s_waitcnt lgkmcnt(0)
	v_mul_f32_e32 v48, s6, v40
	v_mfma_f32_16x16x16_bf16 v[20:23], v[50:51], v[4:5], v[20:23]
	v_perm_b32 v38, v39, v38, s33
	v_cvt_pk_f32_fp8_e32 v[40:41], v16
	v_cvt_pk_f32_fp8_sdwa v[50:51], v16 src0_sel:WORD_1
	v_perm_b32 v39, v15, v14, s33
	v_mfma_f32_16x16x16_bf16 v[34:37], v[34:35], v[10:11], 0
	v_perm_b32 v40, v41, v40, s33
	v_perm_b32 v41, v51, v50, s33
	v_cvt_pk_f32_fp8_e32 v[50:51], v17
	v_cvt_pk_f32_fp8_sdwa v[52:53], v17 src0_sel:WORD_1
	v_mfma_f32_16x16x16_bf16 v[30:33], v[68:69], v[4:5], v[30:33]
	s_mov_b32 s44, 0xff7fffff
	s_waitcnt vmcnt(3)
	v_mad_i64_i32 v[24:25], s[4:5], v70, s45, v[18:19]
	v_mfma_f32_16x16x16_bf16 v[14:17], v[38:39], v[12:13], v[34:37]
	s_nop 2
	v_perm_b32 v34, v51, v50, s33
	v_perm_b32 v35, v53, v52, s33
	v_mfma_f32_16x16x16_bf16 v[14:17], v[40:41], v[2:3], v[14:17]
	v_pk_mul_f32 v[38:39], v[48:49], v[30:31] op_sel_hi:[0,1]
	v_cvt_pk_f32_fp8_e32 v[30:31], v6
	v_cvt_pk_f32_fp8_sdwa v[36:37], v6 src0_sel:WORD_1
	v_mfma_f32_16x16x16_bf16 v[14:17], v[34:35], v[4:5], v[14:17]
	v_cvt_pk_f32_fp8_e32 v[34:35], v7
	v_perm_b32 v30, v31, v30, s33
	v_perm_b32 v31, v37, v36, s33
	v_cvt_pk_f32_fp8_sdwa v[6:7], v7 src0_sel:WORD_1
	v_perm_b32 v40, v35, v34, s33
	v_cvt_pk_f32_fp8_e32 v[50:51], v8
	v_cvt_pk_f32_fp8_sdwa v[52:53], v8 src0_sel:WORD_1
	v_perm_b32 v41, v7, v6, s33
	v_mfma_f32_16x16x16_bf16 v[34:37], v[30:31], v[10:11], 0
	v_perm_b32 v10, v51, v50, s33
	v_perm_b32 v11, v53, v52, s33
	v_cvt_pk_f32_fp8_e32 v[30:31], v9
	v_cvt_pk_f32_fp8_sdwa v[50:51], v9 src0_sel:WORD_1
	v_mfma_f32_16x16x16_bf16 v[6:9], v[40:41], v[12:13], v[34:37]
	v_pk_mul_f32 v[40:41], v[48:49], v[20:21] op_sel_hi:[0,1]
	v_perm_b32 v12, v31, v30, s33
	v_perm_b32 v13, v51, v50, s33
	v_mfma_f32_16x16x16_bf16 v[6:9], v[10:11], v[2:3], v[6:9]
	v_pk_mul_f32 v[36:37], v[48:49], v[22:23] op_sel_hi:[0,1]
	v_pk_mul_f32 v[32:33], v[48:49], v[32:33] op_sel_hi:[0,1]
	;; [unrolled: 1-line block ×3, first 2 shown]
	v_mfma_f32_16x16x16_bf16 v[2:5], v[12:13], v[4:5], v[6:9]
	v_pk_mul_f32 v[34:35], v[48:49], v[14:15] op_sel_hi:[0,1]
	s_nop 5
	v_pk_mul_f32 v[22:23], v[48:49], v[2:3] op_sel_hi:[0,1]
	v_and_b32_e32 v2, 0xc0, v0
	v_add_u32_e32 v2, s16, v2
	v_lshl_or_b32 v2, v1, 2, v2
	v_or_b32_e32 v3, 1, v2
	v_pk_mul_f32 v[20:21], v[48:49], v[4:5] op_sel_hi:[0,1]
	v_subrev_u32_e32 v4, s29, v3
	v_add_u32_e32 v6, 1, v4
	v_add_u32_e32 v7, 2, v4
	;; [unrolled: 1-line block ×3, first 2 shown]
	v_cvt_f32_i32_e32 v6, v6
	v_cvt_f32_i32_e32 v7, v7
	;; [unrolled: 1-line block ×3, first 2 shown]
	v_add_u32_e32 v9, 19, v4
	v_fmac_f32_e32 v39, v44, v6
	v_fma_f32 v32, v44, v7, v32
	v_fmac_f32_e32 v33, v44, v8
	v_add_u32_e32 v6, 16, v4
	v_add_u32_e32 v7, 17, v4
	v_add_u32_e32 v8, 18, v4
	v_cvt_f32_i32_e32 v6, v6
	v_cvt_f32_i32_e32 v7, v7
	v_cvt_f32_i32_e32 v8, v8
	v_cvt_f32_i32_e32 v9, v9
	v_fma_f32 v40, v44, v6, v40
	v_fmac_f32_e32 v41, v44, v7
	v_fma_f32 v36, v44, v8, v36
	v_add_u32_e32 v6, 32, v4
	v_add_u32_e32 v7, 33, v4
	;; [unrolled: 1-line block ×3, first 2 shown]
	v_cvt_f32_i32_e32 v6, v6
	v_cvt_f32_i32_e32 v7, v7
	;; [unrolled: 1-line block ×4, first 2 shown]
	v_fmac_f32_e32 v37, v44, v9
	v_add_u32_e32 v9, 35, v4
	v_fma_f32 v48, v44, v6, v34
	v_fmac_f32_e32 v35, v44, v7
	v_fma_f32 v30, v44, v8, v30
	v_add_u32_e32 v6, 48, v4
	v_add_u32_e32 v7, 49, v4
	;; [unrolled: 1-line block ×4, first 2 shown]
	v_cvt_f32_i32_e32 v4, v4
	v_cvt_f32_i32_e32 v6, v6
	;; [unrolled: 1-line block ×3, first 2 shown]
	v_fma_f32 v5, v44, v5, v38
	v_fmac_f32_e32 v21, v44, v4
	v_mov_b32_e32 v4, 0xff7fffff
	v_cmp_gt_i32_e64 s[4:5], s29, v2
	v_cmp_gt_i32_e64 s[34:35], s29, v3
	v_fma_f32 v22, v44, v6, v22
	v_cndmask_b32_e64 v6, v4, v5, s[4:5]
	v_cndmask_b32_e64 v3, v4, v39, s[34:35]
	v_fmac_f32_e32 v23, v44, v7
	v_max3_f32 v3, v6, s44, v3
	v_or_b32_e32 v6, 2, v2
	v_or_b32_e32 v7, 3, v2
	v_cmp_gt_i32_e64 s[36:37], s29, v6
	v_cmp_gt_i32_e64 s[38:39], s29, v7
	v_cvt_f32_i32_e32 v9, v9
	v_cndmask_b32_e64 v6, v4, v32, s[36:37]
	v_cndmask_b32_e64 v7, v4, v33, s[38:39]
	v_max3_f32 v3, v3, v6, v7
	v_or_b32_e32 v6, 16, v2
	v_or_b32_e32 v7, 17, v2
	v_cmp_gt_i32_e64 s[24:25], s29, v6
	v_cmp_gt_i32_e64 s[26:27], s29, v7
	v_fmac_f32_e32 v31, v44, v9
	v_cndmask_b32_e64 v6, v4, v40, s[24:25]
	v_cndmask_b32_e64 v7, v4, v41, s[26:27]
	v_max3_f32 v3, v3, v6, v7
	v_or_b32_e32 v6, 18, v2
	v_or_b32_e32 v7, 19, v2
	v_cmp_gt_i32_e64 s[20:21], s29, v6
	v_cmp_gt_i32_e64 s[22:23], s29, v7
	v_cvt_f32_i32_e32 v8, v8
	v_cndmask_b32_e64 v6, v4, v36, s[20:21]
	v_cndmask_b32_e64 v7, v4, v37, s[22:23]
	v_max3_f32 v3, v3, v6, v7
	v_or_b32_e32 v6, 32, v2
	v_or_b32_e32 v7, 33, v2
	v_cmp_gt_i32_e64 s[16:17], s29, v6
	v_cmp_gt_i32_e64 s[18:19], s29, v7
	v_fma_f32 v20, v44, v8, v20
	v_cndmask_b32_e64 v6, v4, v48, s[16:17]
	v_cndmask_b32_e64 v7, v4, v35, s[18:19]
	v_max3_f32 v3, v3, v6, v7
	v_or_b32_e32 v6, 34, v2
	v_or_b32_e32 v7, 35, v2
	v_cmp_gt_i32_e64 s[12:13], s29, v6
	v_cmp_gt_i32_e64 s[14:15], s29, v7
	s_nop 0
	v_cndmask_b32_e64 v6, v4, v30, s[12:13]
	v_cndmask_b32_e64 v7, v4, v31, s[14:15]
	v_max3_f32 v3, v3, v6, v7
	v_or_b32_e32 v6, 48, v2
	v_or_b32_e32 v7, 49, v2
	v_cmp_gt_i32_e64 s[8:9], s29, v6
	v_cmp_gt_i32_e64 s[10:11], s29, v7
	s_nop 0
	v_cndmask_b32_e64 v6, v4, v22, s[8:9]
	v_cndmask_b32_e64 v7, v4, v23, s[10:11]
	v_max3_f32 v3, v3, v6, v7
	v_or_b32_e32 v6, 50, v2
	v_or_b32_e32 v2, 51, v2
	v_cmp_gt_i32_e32 vcc, s29, v6
	v_cmp_gt_i32_e64 s[6:7], s29, v2
	s_nop 0
	v_cndmask_b32_e32 v6, v4, v20, vcc
	v_cndmask_b32_e64 v2, v4, v21, s[6:7]
	v_max3_f32 v4, v3, v6, v2
	v_mbcnt_lo_u32_b32 v2, -1, 0
	v_mbcnt_hi_u32_b32 v6, -1, v2
	v_and_b32_e32 v2, 64, v6
	v_add_u32_e32 v7, 64, v2
	v_xor_b32_e32 v2, 32, v6
	v_cmp_lt_i32_e64 s[40:41], v2, v7
	s_nop 1
	v_cndmask_b32_e64 v2, v6, v2, s[40:41]
	v_lshlrev_b32_e32 v44, 2, v2
	ds_bpermute_b32 v8, v44, v4
	s_waitcnt vmcnt(2)
	v_mad_i64_i32 v[2:3], s[40:41], v47, s45, v[18:19]
	global_load_dwordx4 v[14:17], v[24:25], off
	global_load_dwordx4 v[10:13], v[2:3], off
	v_xor_b32_e32 v3, 16, v6
	v_cmp_lt_i32_e64 s[40:41], v3, v7
	s_waitcnt lgkmcnt(0)
	v_max_f32_e32 v2, v8, v8
	v_max_f32_e32 v2, v4, v2
	v_cndmask_b32_e64 v3, v6, v3, s[40:41]
	v_lshlrev_b32_e32 v47, 2, v3
	ds_bpermute_b32 v3, v47, v2
	s_waitcnt vmcnt(3)
	v_mad_i64_i32 v[24:25], s[40:41], v45, s45, v[18:19]
	s_waitcnt vmcnt(2)
	v_mad_i64_i32 v[18:19], s[40:41], v46, s45, v[18:19]
	s_waitcnt lgkmcnt(0)
	v_max_f32_e32 v3, v3, v3
	v_max_f32_e32 v34, v2, v3
	v_sub_f32_e32 v2, v5, v34
	v_mul_f32_e32 v2, 0x3fb8aa3b, v2
	v_exp_f32_e32 v38, v2
	v_sub_f32_e32 v2, v39, v34
	v_mul_f32_e32 v2, 0x3fb8aa3b, v2
	v_exp_f32_e32 v39, v2
	global_load_dwordx4 v[6:9], v[24:25], off
	global_load_dwordx4 v[2:5], v[18:19], off
	v_sub_f32_e32 v25, v32, v34
	v_sub_f32_e32 v32, v33, v34
	v_mul_f32_e32 v25, 0x3fb8aa3b, v25
	v_mul_f32_e32 v32, 0x3fb8aa3b, v32
	v_exp_f32_e32 v25, v25
	v_exp_f32_e32 v32, v32
	v_cndmask_b32_e64 v18, 0, v38, s[4:5]
	v_cndmask_b32_e64 v19, 0, v39, s[34:35]
	;; [unrolled: 1-line block ×4, first 2 shown]
	v_sub_f32_e32 v25, v40, v34
	v_sub_f32_e32 v32, v41, v34
	v_mul_f32_e32 v25, 0x3fb8aa3b, v25
	v_mul_f32_e32 v32, 0x3fb8aa3b, v32
	v_exp_f32_e32 v25, v25
	v_exp_f32_e32 v32, v32
	v_add_f32_e32 v24, 0, v18
	v_add_f32_e32 v24, v24, v19
	;; [unrolled: 1-line block ×4, first 2 shown]
	v_cndmask_b32_e64 v24, 0, v25, s[24:25]
	v_cndmask_b32_e64 v25, 0, v32, s[26:27]
	v_sub_f32_e32 v32, v36, v34
	v_mul_f32_e32 v32, 0x3fb8aa3b, v32
	v_exp_f32_e32 v32, v32
	v_sub_f32_e32 v36, v37, v34
	v_add_f32_e32 v33, v33, v24
	v_mul_f32_e32 v36, 0x3fb8aa3b, v36
	v_exp_f32_e32 v37, v36
	v_add_f32_e32 v33, v33, v25
	v_cndmask_b32_e64 v36, 0, v32, s[20:21]
	v_add_f32_e32 v32, v33, v36
	v_sub_f32_e32 v33, v48, v34
	v_mul_f32_e32 v33, 0x3fb8aa3b, v33
	v_sub_f32_e32 v35, v35, v34
	v_exp_f32_e32 v33, v33
	v_mul_f32_e32 v35, 0x3fb8aa3b, v35
	v_sub_f32_e32 v30, v30, v34
	v_exp_f32_e32 v35, v35
	;; [unrolled: 3-line block ×3, first 2 shown]
	v_mul_f32_e32 v31, 0x3fb8aa3b, v31
	v_sub_f32_e32 v22, v22, v34
	v_cndmask_b32_e64 v37, 0, v37, s[22:23]
	v_exp_f32_e32 v31, v31
	v_mul_f32_e32 v22, 0x3fb8aa3b, v22
	v_sub_f32_e32 v23, v23, v34
	v_add_f32_e32 v40, v32, v37
	v_cndmask_b32_e64 v32, 0, v33, s[16:17]
	v_exp_f32_e32 v22, v22
	v_mul_f32_e32 v23, 0x3fb8aa3b, v23
	v_sub_f32_e32 v20, v20, v34
	v_add_f32_e32 v40, v40, v32
	;; [unrolled: 5-line block ×3, first 2 shown]
	v_cndmask_b32_e64 v30, 0, v30, s[12:13]
	v_exp_f32_e32 v20, v20
	v_mul_f32_e32 v21, 0x3fb8aa3b, v21
	v_add_f32_e32 v35, v35, v30
	v_cndmask_b32_e64 v31, 0, v31, s[14:15]
	v_exp_f32_e32 v21, v21
	v_add_f32_e32 v35, v35, v31
	v_cndmask_b32_e64 v22, 0, v22, s[8:9]
	v_add_f32_e32 v35, v35, v22
	v_cndmask_b32_e64 v23, 0, v23, s[10:11]
	v_add_f32_e32 v35, v35, v23
	v_cndmask_b32_e32 v20, 0, v20, vcc
	v_add_f32_e32 v35, v35, v20
	v_cndmask_b32_e64 v21, 0, v21, s[6:7]
	v_add_f32_e32 v35, v35, v21
	ds_bpermute_b32 v40, v44, v35
	s_load_dword s7, s[0:1], 0x98
	v_cmp_gt_u32_e32 vcc, 16, v43
	s_waitcnt lgkmcnt(0)
	s_barrier
	v_add_f32_e32 v40, v35, v40
	ds_bpermute_b32 v41, v47, v40
	v_lshlrev_b32_e32 v35, 2, v28
	s_waitcnt lgkmcnt(0)
	s_and_saveexec_b64 s[4:5], vcc
	s_cbranch_execz .LBB1179_15
; %bb.14:
	v_add_f32_e32 v40, v40, v41
	v_lshl_or_b32 v41, v29, 6, v35
	ds_write2st64_b32 v41, v34, v40 offset1:1
.LBB1179_15:
	s_or_b64 exec, exec, s[4:5]
	s_load_dword s6, s[0:1], 0x94
	s_waitcnt lgkmcnt(0)
	s_barrier
	ds_read2_b32 v[40:41], v35 offset1:16
	ds_read2_b32 v[44:45], v35 offset0:32 offset1:48
	ds_read2_b32 v[46:47], v35 offset0:64 offset1:80
	s_movk_i32 s8, 0x7fff
	s_mul_i32 s7, s7, 12
	s_waitcnt lgkmcnt(2)
	v_max3_f32 v34, v40, s44, v41
	s_waitcnt lgkmcnt(1)
	v_max3_f32 v34, v34, v44, v45
	v_sub_f32_e32 v40, v40, v34
	v_mul_f32_e32 v40, 0x3fb8aa3b, v40
	v_exp_f32_e32 v43, v40
	v_sub_f32_e32 v40, v41, v34
	v_mul_f32_e32 v40, 0x3fb8aa3b, v40
	v_exp_f32_e32 v48, v40
	;; [unrolled: 3-line block ×3, first 2 shown]
	ds_read2_b32 v[40:41], v35 offset0:96 offset1:112
	v_sub_f32_e32 v35, v45, v34
	v_mul_f32_e32 v35, 0x3fb8aa3b, v35
	v_exp_f32_e32 v45, v35
	s_waitcnt lgkmcnt(1)
	v_fma_f32 v35, v43, v46, 0
	v_fmac_f32_e32 v35, v48, v47
	s_waitcnt lgkmcnt(0)
	v_fmac_f32_e32 v35, v44, v40
	v_fmac_f32_e32 v35, v45, v41
	v_add_f32_e32 v40, 0x358637bd, v35
	v_div_scale_f32 v41, s[4:5], v40, v40, 1.0
	v_rcp_f32_e32 v46, v41
	s_barrier
	v_fma_f32 v47, -v41, v46, 1.0
	v_fmac_f32_e32 v46, v47, v46
	v_div_scale_f32 v47, vcc, 1.0, v40, 1.0
	v_mul_f32_e32 v49, v47, v46
	v_fma_f32 v50, -v41, v49, v47
	v_fmac_f32_e32 v49, v50, v46
	v_fma_f32 v41, -v41, v49, v47
	v_div_fmas_f32 v41, v41, v46, v49
	v_cmp_eq_u32_e32 vcc, 1, v29
	v_div_fixup_f32 v40, v41, v40, 1.0
	s_nop 0
	v_cndmask_b32_e32 v41, v43, v48, vcc
	v_cmp_eq_u32_e32 vcc, 2, v29
	s_nop 1
	v_cndmask_b32_e32 v41, v41, v44, vcc
	v_cmp_eq_u32_e32 vcc, 3, v29
	s_nop 1
	v_cndmask_b32_e32 v41, v41, v45, vcc
	v_mul_f32_e32 v40, v41, v40
	v_pk_mul_f32 v[18:19], v[40:41], v[18:19] op_sel_hi:[0,1]
	v_pk_mul_f32 v[38:39], v[40:41], v[38:39] op_sel_hi:[0,1]
	v_bfe_u32 v41, v19, 16, 1
	v_bfe_u32 v43, v18, 16, 1
	v_add3_u32 v18, v18, v43, s8
	v_add3_u32 v19, v19, v41, s8
	v_perm_b32 v44, v19, v18, s33
	v_bfe_u32 v18, v39, 16, 1
	v_bfe_u32 v19, v38, 16, 1
	v_add3_u32 v19, v38, v19, s8
	v_add3_u32 v18, v39, v18, s8
	v_perm_b32 v45, v18, v19, s33
	v_lshlrev_b32_e32 v18, 3, v1
	v_lshlrev_b32_e32 v19, 11, v29
	v_pk_mul_f32 v[24:25], v[40:41], v[24:25] op_sel_hi:[0,1]
	v_or3_b32 v18, v19, v27, v18
	v_bfe_u32 v19, v25, 16, 1
	v_bfe_u32 v29, v24, 16, 1
	v_pk_mul_f32 v[36:37], v[40:41], v[36:37] op_sel_hi:[0,1]
	v_add3_u32 v24, v24, v29, s8
	v_add3_u32 v19, v25, v19, s8
	v_perm_b32 v24, v19, v24, s33
	v_bfe_u32 v19, v37, 16, 1
	v_bfe_u32 v25, v36, 16, 1
	v_add3_u32 v25, v36, v25, s8
	v_add3_u32 v19, v37, v19, s8
	v_perm_b32 v25, v19, v25, s33
	ds_write2st64_b64 v18, v[44:45], v[24:25] offset1:1
	v_pk_mul_f32 v[24:25], v[40:41], v[30:31] op_sel_hi:[0,1]
	v_pk_mul_f32 v[30:31], v[40:41], v[32:33] op_sel_hi:[0,1]
	v_bfe_u32 v19, v31, 16, 1
	v_bfe_u32 v29, v30, 16, 1
	v_add3_u32 v29, v30, v29, s8
	v_add3_u32 v19, v31, v19, s8
	v_perm_b32 v30, v19, v29, s33
	v_bfe_u32 v19, v25, 16, 1
	v_bfe_u32 v29, v24, 16, 1
	v_add3_u32 v24, v24, v29, s8
	v_add3_u32 v19, v25, v19, s8
	v_pk_mul_f32 v[22:23], v[40:41], v[22:23] op_sel_hi:[0,1]
	v_perm_b32 v31, v19, v24, s33
	v_bfe_u32 v19, v23, 16, 1
	v_bfe_u32 v24, v22, 16, 1
	v_pk_mul_f32 v[20:21], v[40:41], v[20:21] op_sel_hi:[0,1]
	v_add3_u32 v22, v22, v24, s8
	v_add3_u32 v19, v23, v19, s8
	v_perm_b32 v22, v19, v22, s33
	v_bfe_u32 v19, v21, 16, 1
	v_bfe_u32 v23, v20, 16, 1
	v_add3_u32 v20, v20, v23, s8
	v_add3_u32 v19, v21, v19, s8
	v_perm_b32 v23, v19, v20, s33
	v_cmp_gt_u32_e32 vcc, 12, v0
	ds_write2st64_b64 v18, v[30:31], v[22:23] offset0:2 offset1:3
	s_and_saveexec_b64 s[4:5], vcc
	s_cbranch_execz .LBB1179_17
; %bb.16:
	s_mov_b32 s49, 0
	v_mov_b32_e32 v29, 0
	v_lshl_add_u64 v[20:21], s[48:49], 0, v[28:29]
	v_mov_b32_e32 v19, s7
	v_mad_u64_u32 v[20:21], s[10:11], s2, v19, v[20:21]
	s_mul_i32 s3, s3, s7
	v_mov_b32_e32 v28, s28
	s_load_dwordx4 s[12:15], s[0:1], 0x58
	v_add_u32_e32 v19, s3, v21
	v_mad_u64_u32 v[20:21], s[10:11], v20, s6, v[28:29]
	v_mov_b32_e32 v22, v21
	v_mad_u64_u32 v[22:23], s[10:11], v19, s6, v[22:23]
	v_mov_b32_e32 v21, v22
	v_lshlrev_b64 v[20:21], 2, v[20:21]
	s_waitcnt lgkmcnt(0)
	v_lshl_add_u64 v[22:23], s[14:15], 0, v[20:21]
	v_lshl_add_u64 v[20:21], s[12:13], 0, v[20:21]
	global_store_dword v[22:23], v34, off
	global_store_dword v[20:21], v35, off
.LBB1179_17:
	s_or_b64 exec, exec, s[4:5]
	s_waitcnt vmcnt(3)
	v_cvt_pk_f32_fp8_e32 v[20:21], v14
	v_cvt_pk_f32_fp8_sdwa v[22:23], v14 src0_sel:WORD_1
	s_mov_b32 s4, 0x7060302
	v_lshl_or_b32 v14, v1, 9, v27
	s_waitcnt lgkmcnt(0)
	s_barrier
	v_perm_b32 v24, v21, v20, s4
	v_perm_b32 v25, v23, v22, s4
	v_cvt_pk_f32_fp8_e32 v[28:29], v15
	ds_read_b128 v[20:23], v14
	v_cvt_pk_f32_fp8_sdwa v[36:37], v15 src0_sel:WORD_1
	s_load_dword s10, s[42:43], 0x0
	v_perm_b32 v38, v29, v28, s4
	ds_read_b128 v[28:31], v14 offset:16
	v_perm_b32 v39, v37, v36, s4
	s_waitcnt lgkmcnt(0)
	v_mfma_f32_16x16x16_bf16 v[32:35], v[24:25], v[20:21], 0
	v_cvt_pk_f32_fp8_e32 v[24:25], v16
	v_cvt_pk_f32_fp8_sdwa v[36:37], v16 src0_sel:WORD_1
	v_cmp_gt_u32_e32 vcc, 64, v0
	v_mfma_f32_16x16x16_bf16 v[20:23], v[38:39], v[22:23], v[32:35]
	v_perm_b32 v24, v25, v24, s4
	v_perm_b32 v25, v37, v36, s4
	s_mov_b32 s3, 0
	v_cvt_pk_f32_fp8_e32 v[32:33], v17
	v_cvt_pk_f32_fp8_sdwa v[16:17], v17 src0_sel:WORD_1
	s_waitcnt vmcnt(2)
	v_cvt_pk_f32_fp8_sdwa v[34:35], v10 src0_sel:WORD_1
	v_mfma_f32_16x16x16_bf16 v[20:23], v[24:25], v[28:29], v[20:23]
	v_perm_b32 v36, v33, v32, s4
	v_cvt_pk_f32_fp8_e32 v[32:33], v10
	v_perm_b32 v37, v17, v16, s4
	v_perm_b32 v17, v35, v34, s4
	v_cvt_pk_f32_fp8_e32 v[24:25], v11
	v_perm_b32 v16, v33, v32, s4
	ds_read_b128 v[32:35], v14 offset:2048
	v_cvt_pk_f32_fp8_sdwa v[10:11], v11 src0_sel:WORD_1
	v_mfma_f32_16x16x16_bf16 v[20:23], v[36:37], v[30:31], v[20:23]
	ds_read_b128 v[28:31], v14 offset:2064
	v_perm_b32 v24, v25, v24, s4
	v_perm_b32 v25, v11, v10, s4
	s_waitcnt lgkmcnt(1)
	v_mfma_f32_16x16x16_bf16 v[20:23], v[16:17], v[32:33], v[20:23]
	v_cvt_pk_f32_fp8_e32 v[10:11], v12
	v_cvt_pk_f32_fp8_sdwa v[16:17], v12 src0_sel:WORD_1
	s_waitcnt vmcnt(1)
	v_cvt_pk_f32_fp8_sdwa v[32:33], v6 src0_sel:WORD_1
	v_mfma_f32_16x16x16_bf16 v[20:23], v[24:25], v[34:35], v[20:23]
	v_cvt_pk_f32_fp8_e32 v[24:25], v13
	v_perm_b32 v10, v11, v10, s4
	v_perm_b32 v11, v17, v16, s4
	v_cvt_pk_f32_fp8_sdwa v[12:13], v13 src0_sel:WORD_1
	v_perm_b32 v16, v25, v24, s4
	v_cvt_pk_f32_fp8_e32 v[24:25], v6
	v_mov_b32_e32 v27, 0
	v_perm_b32 v17, v13, v12, s4
	s_waitcnt lgkmcnt(0)
	v_mfma_f32_16x16x16_bf16 v[10:13], v[10:11], v[28:29], v[20:23]
	v_perm_b32 v24, v25, v24, s4
	v_perm_b32 v25, v33, v32, s4
	v_cvt_pk_f32_fp8_e32 v[28:29], v7
	ds_read_b128 v[20:23], v14 offset:4096
	v_cvt_pk_f32_fp8_sdwa v[6:7], v7 src0_sel:WORD_1
	v_mfma_f32_16x16x16_bf16 v[10:13], v[16:17], v[30:31], v[10:13]
	v_perm_b32 v16, v29, v28, s4
	ds_read_b128 v[28:31], v14 offset:4112
	v_perm_b32 v17, v7, v6, s4
	s_waitcnt lgkmcnt(1)
	v_mfma_f32_16x16x16_bf16 v[10:13], v[24:25], v[20:21], v[10:13]
	v_cvt_pk_f32_fp8_e32 v[6:7], v8
	v_cvt_pk_f32_fp8_sdwa v[20:21], v8 src0_sel:WORD_1
	v_perm_b32 v6, v7, v6, s4
	v_mfma_f32_16x16x16_bf16 v[10:13], v[16:17], v[22:23], v[10:13]
	v_cvt_pk_f32_fp8_e32 v[16:17], v9
	v_perm_b32 v7, v21, v20, s4
	v_cvt_pk_f32_fp8_sdwa v[8:9], v9 src0_sel:WORD_1
	s_waitcnt vmcnt(0)
	v_cvt_pk_f32_fp8_e32 v[20:21], v2
	v_perm_b32 v16, v17, v16, s4
	v_cvt_pk_f32_fp8_sdwa v[22:23], v2 src0_sel:WORD_1
	v_perm_b32 v17, v9, v8, s4
	s_waitcnt lgkmcnt(0)
	v_mfma_f32_16x16x16_bf16 v[6:9], v[6:7], v[28:29], v[10:13]
	v_perm_b32 v20, v21, v20, s4
	v_perm_b32 v21, v23, v22, s4
	v_cvt_pk_f32_fp8_e32 v[22:23], v3
	ds_read_b128 v[10:13], v14 offset:6144
	v_cvt_pk_f32_fp8_sdwa v[2:3], v3 src0_sel:WORD_1
	v_mfma_f32_16x16x16_bf16 v[6:9], v[16:17], v[30:31], v[6:9]
	v_perm_b32 v22, v23, v22, s4
	ds_read_b128 v[14:17], v14 offset:6160
	v_perm_b32 v23, v3, v2, s4
	s_waitcnt lgkmcnt(1)
	v_mfma_f32_16x16x16_bf16 v[6:9], v[20:21], v[10:11], v[6:9]
	v_cvt_pk_f32_fp8_e32 v[2:3], v4
	v_cvt_pk_f32_fp8_sdwa v[10:11], v4 src0_sel:WORD_1
	s_waitcnt lgkmcnt(0)
	v_mfma_f32_16x16x16_bf16 v[6:9], v[22:23], v[12:13], v[6:9]
	v_perm_b32 v2, v3, v2, s4
	v_perm_b32 v3, v11, v10, s4
	v_cvt_pk_f32_fp8_e32 v[10:11], v5
	v_cvt_pk_f32_fp8_sdwa v[4:5], v5 src0_sel:WORD_1
	s_barrier
	v_perm_b32 v10, v11, v10, s4
	v_perm_b32 v11, v5, v4, s4
	v_mfma_f32_16x16x16_bf16 v[2:5], v[2:3], v[14:15], v[6:9]
	s_nop 0
	v_mfma_f32_16x16x16_bf16 v[2:5], v[10:11], v[16:17], v[2:5]
	s_nop 6
	v_pk_mul_f32 v[2:3], v[2:3], s[10:11] op_sel_hi:[1,0]
	v_pk_mul_f32 v[4:5], v[4:5], s[10:11] op_sel_hi:[1,0]
	v_bfe_u32 v6, v3, 16, 1
	v_bfe_u32 v7, v2, 16, 1
	v_add3_u32 v2, v2, v7, s8
	v_add3_u32 v3, v3, v6, s8
	v_perm_b32 v2, v3, v2, s4
	v_bfe_u32 v3, v5, 16, 1
	v_bfe_u32 v6, v4, 16, 1
	v_add3_u32 v4, v4, v6, s8
	v_add3_u32 v3, v5, v3, s8
	v_perm_b32 v3, v3, v4, s4
	s_and_b64 s[4:5], vcc, s[30:31]
	ds_write_b64 v18, v[2:3]
	s_waitcnt lgkmcnt(0)
	s_barrier
	s_and_saveexec_b64 s[8:9], s[4:5]
	s_cbranch_execz .LBB1179_19
; %bb.18:
	s_load_dwordx2 s[0:1], s[0:1], 0x68
	s_lshl_b32 s6, s6, 6
	s_mul_i32 s2, s7, s2
	s_mul_hi_u32 s5, s2, s6
	s_mul_i32 s4, s2, s6
	s_lshl_b64 s[4:5], s[4:5], 1
	s_waitcnt lgkmcnt(0)
	s_add_u32 s4, s0, s4
	v_lshlrev_b32_e32 v0, 10, v0
	s_addc_u32 s5, s1, s5
	s_lshl_b32 s2, s28, 6
	v_and_b32_e32 v0, 0x1800, v0
	v_lshlrev_b32_e32 v2, 5, v1
	v_and_b32_e32 v3, 16, v42
	s_lshl_b64 s[0:1], s[2:3], 1
	v_or3_b32 v0, v0, v2, v3
	s_add_u32 s0, s4, s0
	ds_read_b128 v[2:5], v0
	ds_read_b128 v[6:9], v0 offset:128
	ds_read_b128 v[10:13], v0 offset:256
	s_addc_u32 s1, s5, s1
	v_or_b32_e32 v16, s48, v1
	v_lshl_add_u64 v[0:1], s[0:1], 0, v[26:27]
	v_mad_u64_u32 v[14:15], s[0:1], v16, s6, 0
	v_lshl_add_u64 v[14:15], v[14:15], 1, v[0:1]
	s_waitcnt lgkmcnt(2)
	global_store_dwordx4 v[14:15], v[2:5], off
	s_nop 1
	v_add_u32_e32 v2, 4, v16
	v_mad_u64_u32 v[2:3], s[0:1], v2, s6, 0
	v_lshl_add_u64 v[2:3], v[2:3], 1, v[0:1]
	s_waitcnt lgkmcnt(1)
	global_store_dwordx4 v[2:3], v[6:9], off
	v_add_u32_e32 v2, 8, v16
	v_mad_u64_u32 v[2:3], s[0:1], v2, s6, 0
	v_lshl_add_u64 v[0:1], v[2:3], 1, v[0:1]
	s_waitcnt lgkmcnt(0)
	global_store_dwordx4 v[0:1], v[10:13], off
.LBB1179_19:
	s_endpgm
	.section	.rodata,"a",@progbits
	.p2align	6, 0x0
	.amdhsa_kernel _Z39paged_attention_ll4mi_QKV_mfma16_kernelI14__hip_bfloat16hLN4vllm18Fp8KVCacheDataTypeE1EhLi32ELi64ELi256ELb1ELi12EEvPKT_PKT0_S8_ifPKiSA_SA_iPKfiiiPfSD_PS3_PT2_iSC_SC_
		.amdhsa_group_segment_fixed_size 8192
		.amdhsa_private_segment_fixed_size 0
		.amdhsa_kernarg_size 400
		.amdhsa_user_sgpr_count 2
		.amdhsa_user_sgpr_dispatch_ptr 0
		.amdhsa_user_sgpr_queue_ptr 0
		.amdhsa_user_sgpr_kernarg_segment_ptr 1
		.amdhsa_user_sgpr_dispatch_id 0
		.amdhsa_user_sgpr_kernarg_preload_length 0
		.amdhsa_user_sgpr_kernarg_preload_offset 0
		.amdhsa_user_sgpr_private_segment_size 0
		.amdhsa_uses_dynamic_stack 0
		.amdhsa_enable_private_segment 0
		.amdhsa_system_sgpr_workgroup_id_x 1
		.amdhsa_system_sgpr_workgroup_id_y 1
		.amdhsa_system_sgpr_workgroup_id_z 1
		.amdhsa_system_sgpr_workgroup_info 0
		.amdhsa_system_vgpr_workitem_id 0
		.amdhsa_next_free_vgpr 71
		.amdhsa_next_free_sgpr 50
		.amdhsa_accum_offset 72
		.amdhsa_reserve_vcc 1
		.amdhsa_float_round_mode_32 0
		.amdhsa_float_round_mode_16_64 0
		.amdhsa_float_denorm_mode_32 3
		.amdhsa_float_denorm_mode_16_64 3
		.amdhsa_dx10_clamp 1
		.amdhsa_ieee_mode 1
		.amdhsa_fp16_overflow 0
		.amdhsa_tg_split 0
		.amdhsa_exception_fp_ieee_invalid_op 0
		.amdhsa_exception_fp_denorm_src 0
		.amdhsa_exception_fp_ieee_div_zero 0
		.amdhsa_exception_fp_ieee_overflow 0
		.amdhsa_exception_fp_ieee_underflow 0
		.amdhsa_exception_fp_ieee_inexact 0
		.amdhsa_exception_int_div_zero 0
	.end_amdhsa_kernel
	.section	.text._Z39paged_attention_ll4mi_QKV_mfma16_kernelI14__hip_bfloat16hLN4vllm18Fp8KVCacheDataTypeE1EhLi32ELi64ELi256ELb1ELi12EEvPKT_PKT0_S8_ifPKiSA_SA_iPKfiiiPfSD_PS3_PT2_iSC_SC_,"axG",@progbits,_Z39paged_attention_ll4mi_QKV_mfma16_kernelI14__hip_bfloat16hLN4vllm18Fp8KVCacheDataTypeE1EhLi32ELi64ELi256ELb1ELi12EEvPKT_PKT0_S8_ifPKiSA_SA_iPKfiiiPfSD_PS3_PT2_iSC_SC_,comdat
.Lfunc_end1179:
	.size	_Z39paged_attention_ll4mi_QKV_mfma16_kernelI14__hip_bfloat16hLN4vllm18Fp8KVCacheDataTypeE1EhLi32ELi64ELi256ELb1ELi12EEvPKT_PKT0_S8_ifPKiSA_SA_iPKfiiiPfSD_PS3_PT2_iSC_SC_, .Lfunc_end1179-_Z39paged_attention_ll4mi_QKV_mfma16_kernelI14__hip_bfloat16hLN4vllm18Fp8KVCacheDataTypeE1EhLi32ELi64ELi256ELb1ELi12EEvPKT_PKT0_S8_ifPKiSA_SA_iPKfiiiPfSD_PS3_PT2_iSC_SC_
                                        ; -- End function
	.section	.AMDGPU.csdata,"",@progbits
; Kernel info:
; codeLenInByte = 5228
; NumSgprs: 56
; NumVgprs: 71
; NumAgprs: 0
; TotalNumVgprs: 71
; ScratchSize: 0
; MemoryBound: 0
; FloatMode: 240
; IeeeMode: 1
; LDSByteSize: 8192 bytes/workgroup (compile time only)
; SGPRBlocks: 6
; VGPRBlocks: 8
; NumSGPRsForWavesPerEU: 56
; NumVGPRsForWavesPerEU: 71
; AccumOffset: 72
; Occupancy: 7
; WaveLimiterHint : 1
; COMPUTE_PGM_RSRC2:SCRATCH_EN: 0
; COMPUTE_PGM_RSRC2:USER_SGPR: 2
; COMPUTE_PGM_RSRC2:TRAP_HANDLER: 0
; COMPUTE_PGM_RSRC2:TGID_X_EN: 1
; COMPUTE_PGM_RSRC2:TGID_Y_EN: 1
; COMPUTE_PGM_RSRC2:TGID_Z_EN: 1
; COMPUTE_PGM_RSRC2:TIDIG_COMP_CNT: 0
; COMPUTE_PGM_RSRC3_GFX90A:ACCUM_OFFSET: 17
; COMPUTE_PGM_RSRC3_GFX90A:TG_SPLIT: 0
	.section	.text._Z39paged_attention_ll4mi_QKV_mfma16_kernelI14__hip_bfloat16hLN4vllm18Fp8KVCacheDataTypeE1EhLi32ELi64ELi256ELb1ELi13EEvPKT_PKT0_S8_ifPKiSA_SA_iPKfiiiPfSD_PS3_PT2_iSC_SC_,"axG",@progbits,_Z39paged_attention_ll4mi_QKV_mfma16_kernelI14__hip_bfloat16hLN4vllm18Fp8KVCacheDataTypeE1EhLi32ELi64ELi256ELb1ELi13EEvPKT_PKT0_S8_ifPKiSA_SA_iPKfiiiPfSD_PS3_PT2_iSC_SC_,comdat
	.protected	_Z39paged_attention_ll4mi_QKV_mfma16_kernelI14__hip_bfloat16hLN4vllm18Fp8KVCacheDataTypeE1EhLi32ELi64ELi256ELb1ELi13EEvPKT_PKT0_S8_ifPKiSA_SA_iPKfiiiPfSD_PS3_PT2_iSC_SC_ ; -- Begin function _Z39paged_attention_ll4mi_QKV_mfma16_kernelI14__hip_bfloat16hLN4vllm18Fp8KVCacheDataTypeE1EhLi32ELi64ELi256ELb1ELi13EEvPKT_PKT0_S8_ifPKiSA_SA_iPKfiiiPfSD_PS3_PT2_iSC_SC_
	.globl	_Z39paged_attention_ll4mi_QKV_mfma16_kernelI14__hip_bfloat16hLN4vllm18Fp8KVCacheDataTypeE1EhLi32ELi64ELi256ELb1ELi13EEvPKT_PKT0_S8_ifPKiSA_SA_iPKfiiiPfSD_PS3_PT2_iSC_SC_
	.p2align	8
	.type	_Z39paged_attention_ll4mi_QKV_mfma16_kernelI14__hip_bfloat16hLN4vllm18Fp8KVCacheDataTypeE1EhLi32ELi64ELi256ELb1ELi13EEvPKT_PKT0_S8_ifPKiSA_SA_iPKfiiiPfSD_PS3_PT2_iSC_SC_,@function
_Z39paged_attention_ll4mi_QKV_mfma16_kernelI14__hip_bfloat16hLN4vllm18Fp8KVCacheDataTypeE1EhLi32ELi64ELi256ELb1ELi13EEvPKT_PKT0_S8_ifPKiSA_SA_iPKfiiiPfSD_PS3_PT2_iSC_SC_: ; @_Z39paged_attention_ll4mi_QKV_mfma16_kernelI14__hip_bfloat16hLN4vllm18Fp8KVCacheDataTypeE1EhLi32ELi64ELi256ELb1ELi13EEvPKT_PKT0_S8_ifPKiSA_SA_iPKfiiiPfSD_PS3_PT2_iSC_SC_
; %bb.0:
	s_load_dwordx2 s[6:7], s[0:1], 0x30
	s_mov_b32 s28, s3
	s_mov_b64 s[8:9], 0
	s_waitcnt lgkmcnt(0)
	s_cmp_lg_u64 s[6:7], 0
	s_cselect_b64 s[10:11], -1, 0
	s_and_b64 vcc, exec, s[10:11]
	s_cbranch_vccz .LBB1180_7
; %bb.1:
	s_add_i32 s12, s2, 1
	s_mov_b32 s13, 0
	s_lshl_b64 s[14:15], s[12:13], 2
	s_add_u32 s14, s6, s14
	s_mov_b32 s3, s13
	s_addc_u32 s15, s7, s15
	s_lshl_b64 s[12:13], s[2:3], 2
	s_add_u32 s12, s6, s12
	s_addc_u32 s13, s7, s13
	s_load_dword s5, s[14:15], 0x0
	s_load_dword s16, s[12:13], 0x0
	s_waitcnt lgkmcnt(0)
	s_sub_i32 s5, s5, s16
	s_cmp_eq_u32 s5, 1
	s_cselect_b64 s[12:13], -1, 0
	s_andn2_b64 vcc, exec, s[8:9]
	s_cbranch_vccnz .LBB1180_3
.LBB1180_2:
	s_mov_b32 s3, 0
	s_mov_b64 s[12:13], -1
.LBB1180_3:
	s_andn2_b64 vcc, exec, s[12:13]
	s_cbranch_vccnz .LBB1180_20
; %bb.4:
	s_load_dwordx2 s[8:9], s[0:1], 0x28
	s_lshl_b64 s[12:13], s[2:3], 2
	s_waitcnt lgkmcnt(0)
	s_add_u32 s8, s8, s12
	s_addc_u32 s9, s9, s13
	s_load_dword s29, s[8:9], 0x0
	s_lshl_b32 s16, s28, 8
	s_waitcnt lgkmcnt(0)
	s_cmp_ge_i32 s16, s29
	s_cbranch_scc1 .LBB1180_20
; %bb.5:
	s_load_dwordx2 s[8:9], s[0:1], 0x20
	s_load_dword s5, s[0:1], 0x38
	s_add_i32 s14, s29, 31
	s_ashr_i32 s15, s14, 31
	v_and_b32_e32 v1, 0xcf, v0
	s_lshr_b32 s15, s15, 27
	v_add_u32_e32 v1, s16, v1
	s_add_i32 s14, s14, s15
	v_ashrrev_i32_e32 v2, 31, v1
	s_ashr_i32 s17, s14, 5
	v_lshrrev_b32_e32 v4, 27, v2
	s_add_i32 s17, s17, -1
	s_waitcnt lgkmcnt(0)
	s_mul_i32 s14, s2, s5
	s_mov_b32 s15, 0
	v_add_u32_e32 v2, v1, v4
	s_lshl_b64 s[14:15], s[14:15], 2
	v_ashrrev_i32_e32 v2, 5, v2
	v_mov_b32_e32 v5, s17
	v_cmp_gt_i32_e32 vcc, s29, v1
	s_add_u32 s8, s8, s14
	s_addc_u32 s9, s9, s15
	v_cndmask_b32_e32 v2, v5, v2, vcc
	v_ashrrev_i32_e32 v3, 31, v2
	v_lshl_add_u64 v[6:7], v[2:3], 2, s[8:9]
	v_or_b32_e32 v2, 16, v1
	v_add_u32_e32 v3, v2, v4
	v_ashrrev_i32_e32 v3, 5, v3
	v_cmp_gt_i32_e32 vcc, s29, v2
	s_load_dwordx2 s[14:15], s[0:1], 0x8
	s_nop 0
	v_cndmask_b32_e32 v2, v5, v3, vcc
	v_ashrrev_i32_e32 v3, 31, v2
	v_lshl_add_u64 v[8:9], v[2:3], 2, s[8:9]
	v_or_b32_e32 v2, 32, v1
	v_add_u32_e32 v3, v2, v4
	v_ashrrev_i32_e32 v3, 5, v3
	v_cmp_gt_i32_e32 vcc, s29, v2
	v_or_b32_e32 v1, 48, v1
	s_nop 0
	v_cndmask_b32_e32 v2, v5, v3, vcc
	v_ashrrev_i32_e32 v3, 31, v2
	v_lshl_add_u64 v[10:11], v[2:3], 2, s[8:9]
	v_add_u32_e32 v2, v1, v4
	v_ashrrev_i32_e32 v2, 5, v2
	v_cmp_gt_i32_e32 vcc, s29, v1
	s_nop 1
	v_cndmask_b32_e32 v2, v5, v2, vcc
	v_ashrrev_i32_e32 v3, 31, v2
	v_lshl_add_u64 v[12:13], v[2:3], 2, s[8:9]
	global_load_dword v5, v[6:7], off
	global_load_dword v4, v[8:9], off
	;; [unrolled: 1-line block ×4, first 2 shown]
	s_andn2_b64 vcc, exec, s[10:11]
	s_cbranch_vccnz .LBB1180_8
; %bb.6:
	s_add_u32 s6, s6, s12
	s_addc_u32 s7, s7, s13
	s_load_dword s5, s[6:7], 0x0
	s_branch .LBB1180_9
.LBB1180_7:
	s_mov_b64 s[12:13], 0
	s_branch .LBB1180_2
.LBB1180_8:
	s_mov_b32 s5, s2
.LBB1180_9:
	s_load_dwordx2 s[10:11], s[0:1], 0x10
	s_load_dwordx4 s[44:47], s[0:1], 0x48
	v_lshrrev_b32_e32 v29, 6, v0
	v_bfe_u32 v42, v0, 4, 2
	v_lshl_or_b32 v6, v29, 2, v42
	v_and_b32_e32 v28, 15, v0
	v_lshlrev_b32_e32 v1, 3, v28
	v_cmp_gt_u32_e32 vcc, 13, v6
	v_cmp_gt_u32_e64 s[30:31], 8, v28
	s_mul_i32 s48, s4, 13
	s_and_b64 s[12:13], s[30:31], vcc
	v_lshlrev_b32_e32 v26, 1, v1
	v_lshlrev_b32_e32 v1, 4, v0
	s_and_saveexec_b64 s[6:7], s[12:13]
	s_cbranch_execz .LBB1180_11
; %bb.10:
	s_load_dwordx2 s[12:13], s[0:1], 0x0
	s_waitcnt lgkmcnt(0)
	s_ashr_i32 s18, s44, 31
	s_mul_hi_u32 s19, s5, s44
	s_mul_i32 s18, s5, s18
	s_add_i32 s19, s19, s18
	s_mul_i32 s18, s5, s44
	s_lshl_b64 s[18:19], s[18:19], 1
	s_add_u32 s12, s12, s18
	v_add_lshl_u32 v8, v6, s48, 6
	s_addc_u32 s13, s13, s19
	v_ashrrev_i32_e32 v9, 31, v8
	v_lshl_add_u64 v[8:9], v[8:9], 1, s[12:13]
	v_mov_b32_e32 v27, 0
	v_lshl_add_u64 v[8:9], v[8:9], 0, v[26:27]
	global_load_dwordx4 v[8:11], v[8:9], off
	v_lshlrev_b32_e32 v12, 8, v28
	v_lshlrev_b32_e32 v6, 5, v6
	v_and_b32_e32 v7, 16, v1
	v_and_b32_e32 v12, 0xe00, v12
	v_or3_b32 v6, v12, v6, v7
	s_waitcnt vmcnt(0)
	ds_write_b128 v6, v[8:11]
.LBB1180_11:
	s_or_b64 exec, exec, s[6:7]
	s_waitcnt lgkmcnt(0)
	s_mul_i32 s12, s4, s46
	s_add_u32 s4, s14, s12
	s_addc_u32 s5, s15, 0
	v_mov_b32_e32 v31, 0
	v_mov_b64_e32 v[6:7], s[4:5]
	v_lshlrev_b32_e32 v10, 4, v28
	v_and_b32_e32 v27, 48, v0
	s_waitcnt vmcnt(3)
	v_mad_i64_i32 v[8:9], s[4:5], v5, s45, v[6:7]
	v_mov_b32_e32 v11, v31
	s_waitcnt vmcnt(2)
	v_mad_i64_i32 v[4:5], s[4:5], v4, s45, v[6:7]
	v_or_b32_e32 v12, 0x100, v10
	v_mov_b32_e32 v13, v31
	v_lshlrev_b32_e32 v30, 5, v27
	v_lshl_add_u64 v[8:9], v[8:9], 0, v[10:11]
	v_lshl_add_u64 v[4:5], v[4:5], 0, v[12:13]
	;; [unrolled: 1-line block ×4, first 2 shown]
	s_barrier
	global_load_dwordx4 v[22:25], v[8:9], off
	global_load_dwordx4 v[18:21], v[4:5], off
	s_waitcnt vmcnt(3)
	v_mad_i64_i32 v[4:5], s[4:5], v3, s45, v[6:7]
	v_lshl_add_u64 v[4:5], v[4:5], 0, v[10:11]
	s_waitcnt vmcnt(2)
	v_mad_i64_i32 v[2:3], s[4:5], v2, s45, v[6:7]
	v_lshl_add_u64 v[4:5], v[4:5], 0, v[30:31]
	v_lshl_add_u64 v[2:3], v[2:3], 0, v[12:13]
	;; [unrolled: 1-line block ×3, first 2 shown]
	global_load_dwordx4 v[14:17], v[4:5], off
	global_load_dwordx4 v[6:9], v[2:3], off
	v_add_u32_e32 v2, -13, v28
	v_cmp_gt_u32_e32 vcc, 13, v28
	v_and_b32_e32 v43, 63, v0
	v_mov_b32_e32 v44, 0
	v_cndmask_b32_e32 v2, v2, v28, vcc
	v_lshlrev_b32_e32 v2, 5, v2
	v_lshl_add_u32 v2, v42, 9, v2
	ds_read_b128 v[10:13], v2
	ds_read_b128 v[2:5], v2 offset:16
	s_and_saveexec_b64 s[4:5], vcc
	s_cbranch_execz .LBB1180_13
; %bb.12:
	s_load_dwordx2 s[6:7], s[0:1], 0x40
	v_add_u32_e32 v32, s48, v28
	v_ashrrev_i32_e32 v33, 31, v32
	s_waitcnt lgkmcnt(0)
	v_lshl_add_u64 v[32:33], v[32:33], 2, s[6:7]
	global_load_dword v44, v[32:33], off
.LBB1180_13:
	s_or_b64 exec, exec, s[4:5]
	s_ashr_i32 s4, s16, 31
	v_or_b32_e32 v45, s16, v27
	s_lshr_b32 s13, s4, 27
	v_add_u32_e32 v27, s13, v45
	v_ashrrev_i32_e32 v27, 5, v27
	s_waitcnt vmcnt(3)
	v_cvt_pk_f32_fp8_e32 v[34:35], v22
	v_cvt_pk_f32_fp8_sdwa v[36:37], v22 src0_sel:WORD_1
	s_waitcnt vmcnt(2)
	v_cvt_pk_f32_fp8_e32 v[56:57], v20
	v_cvt_pk_f32_fp8_sdwa v[58:59], v20 src0_sel:WORD_1
	v_mov_b32_e32 v20, s17
	v_cmp_gt_i32_e32 vcc, s29, v45
	v_cvt_pk_f32_fp8_e32 v[48:49], v18
	v_cvt_pk_f32_fp8_sdwa v[50:51], v18 src0_sel:WORD_1
	v_cndmask_b32_e32 v18, v20, v27, vcc
	v_cvt_pk_f32_fp8_e32 v[52:53], v19
	v_cvt_pk_f32_fp8_sdwa v[54:55], v19 src0_sel:WORD_1
	v_ashrrev_i32_e32 v19, 31, v18
	v_lshl_add_u64 v[18:19], v[18:19], 2, s[8:9]
	s_mov_b32 s33, 0x7060302
	v_cvt_pk_f32_fp8_e32 v[32:33], v23
	v_cvt_pk_f32_fp8_sdwa v[22:23], v23 src0_sel:WORD_1
	global_load_dword v70, v[18:19], off
	v_perm_b32 v18, v35, v34, s33
	v_perm_b32 v19, v37, v36, s33
	v_cvt_pk_f32_fp8_e32 v[60:61], v21
	v_cvt_pk_f32_fp8_sdwa v[62:63], v21 src0_sel:WORD_1
	v_or_b32_e32 v21, 64, v45
	v_or_b32_e32 v34, 0x80, v45
	;; [unrolled: 1-line block ×3, first 2 shown]
	v_cmp_gt_i32_e32 vcc, s29, v21
	v_add_u32_e32 v21, s13, v21
	v_cmp_gt_i32_e64 s[4:5], s29, v34
	v_add_u32_e32 v34, s13, v34
	v_cmp_gt_i32_e64 s[6:7], s29, v35
	v_add_u32_e32 v35, s13, v35
	v_cvt_pk_f32_fp8_e32 v[38:39], v24
	v_cvt_pk_f32_fp8_sdwa v[40:41], v24 src0_sel:WORD_1
	v_cvt_pk_f32_fp8_e32 v[46:47], v25
	v_ashrrev_i32_e32 v21, 5, v21
	v_ashrrev_i32_e32 v34, 5, v34
	v_ashrrev_i32_e32 v35, 5, v35
	v_perm_b32 v32, v33, v32, s33
	v_perm_b32 v33, v23, v22, s33
	;; [unrolled: 1-line block ×4, first 2 shown]
	v_cvt_pk_f32_fp8_sdwa v[24:25], v25 src0_sel:WORD_1
	v_cndmask_b32_e32 v36, v20, v21, vcc
	v_cndmask_b32_e64 v64, v20, v34, s[4:5]
	v_cndmask_b32_e64 v66, v20, v35, s[6:7]
	s_waitcnt lgkmcnt(1)
	v_mfma_f32_16x16x16_bf16 v[18:21], v[18:19], v[10:11], 0
	v_perm_b32 v38, v39, v38, s33
	v_perm_b32 v39, v41, v40, s33
	;; [unrolled: 1-line block ×5, first 2 shown]
	s_load_dword s14, s[0:1], 0x1c
	s_load_dwordx4 s[40:43], s[0:1], 0x80
	v_perm_b32 v69, v25, v24, s33
	v_mfma_f32_16x16x16_bf16 v[22:25], v[22:23], v[10:11], 0
	s_add_u32 s10, s10, s12
	v_and_b32_e32 v30, 16, v0
	v_lshlrev_b32_e32 v27, 5, v28
	v_mfma_f32_16x16x16_bf16 v[32:35], v[32:33], v[12:13], v[18:21]
	s_addc_u32 s11, s11, 0
	v_lshl_add_u64 v[40:41], s[10:11], 0, v[30:31]
	v_lshl_or_b32 v30, v29, 9, v27
	v_ashrrev_i32_e32 v37, 31, v36
	v_ashrrev_i32_e32 v65, 31, v64
	;; [unrolled: 1-line block ×3, first 2 shown]
	v_perm_b32 v48, v57, v56, s33
	v_perm_b32 v49, v59, v58, s33
	v_mfma_f32_16x16x16_bf16 v[20:23], v[46:47], v[12:13], v[22:25]
	v_lshl_add_u64 v[18:19], v[40:41], 0, v[30:31]
	s_waitcnt lgkmcnt(0)
	s_load_dword s6, s[40:41], 0x0
	v_perm_b32 v50, v61, v60, s33
	v_mfma_f32_16x16x16_bf16 v[30:33], v[38:39], v[2:3], v[32:35]
	v_lshl_add_u64 v[24:25], v[36:37], 2, s[8:9]
	v_lshl_add_u64 v[36:37], v[66:67], 2, s[8:9]
	v_perm_b32 v51, v63, v62, s33
	v_lshl_add_u64 v[34:35], v[64:65], 2, s[8:9]
	global_load_dword v47, v[24:25], off
	global_load_dword v45, v[34:35], off
	global_load_dword v46, v[36:37], off
	s_waitcnt vmcnt(5)
	v_cvt_pk_f32_fp8_e32 v[34:35], v14
	v_cvt_pk_f32_fp8_sdwa v[36:37], v14 src0_sel:WORD_1
	v_mfma_f32_16x16x16_bf16 v[20:23], v[48:49], v[2:3], v[20:23]
	v_cvt_pk_f32_fp8_e32 v[38:39], v15
	v_perm_b32 v34, v35, v34, s33
	v_perm_b32 v35, v37, v36, s33
	v_cvt_pk_f32_fp8_sdwa v[14:15], v15 src0_sel:WORD_1
	v_mov_b32_e32 v40, s14
	s_waitcnt lgkmcnt(0)
	v_mul_f32_e32 v48, s6, v40
	v_mfma_f32_16x16x16_bf16 v[20:23], v[50:51], v[4:5], v[20:23]
	v_perm_b32 v38, v39, v38, s33
	v_cvt_pk_f32_fp8_e32 v[40:41], v16
	v_cvt_pk_f32_fp8_sdwa v[50:51], v16 src0_sel:WORD_1
	v_perm_b32 v39, v15, v14, s33
	v_mfma_f32_16x16x16_bf16 v[34:37], v[34:35], v[10:11], 0
	v_perm_b32 v40, v41, v40, s33
	v_perm_b32 v41, v51, v50, s33
	v_cvt_pk_f32_fp8_e32 v[50:51], v17
	v_cvt_pk_f32_fp8_sdwa v[52:53], v17 src0_sel:WORD_1
	v_mfma_f32_16x16x16_bf16 v[30:33], v[68:69], v[4:5], v[30:33]
	s_mov_b32 s44, 0xff7fffff
	s_waitcnt vmcnt(3)
	v_mad_i64_i32 v[24:25], s[4:5], v70, s45, v[18:19]
	v_mfma_f32_16x16x16_bf16 v[14:17], v[38:39], v[12:13], v[34:37]
	s_nop 2
	v_perm_b32 v34, v51, v50, s33
	v_perm_b32 v35, v53, v52, s33
	v_mfma_f32_16x16x16_bf16 v[14:17], v[40:41], v[2:3], v[14:17]
	v_pk_mul_f32 v[38:39], v[48:49], v[30:31] op_sel_hi:[0,1]
	v_cvt_pk_f32_fp8_e32 v[30:31], v6
	v_cvt_pk_f32_fp8_sdwa v[36:37], v6 src0_sel:WORD_1
	v_mfma_f32_16x16x16_bf16 v[14:17], v[34:35], v[4:5], v[14:17]
	v_cvt_pk_f32_fp8_e32 v[34:35], v7
	v_perm_b32 v30, v31, v30, s33
	v_perm_b32 v31, v37, v36, s33
	v_cvt_pk_f32_fp8_sdwa v[6:7], v7 src0_sel:WORD_1
	v_perm_b32 v40, v35, v34, s33
	v_cvt_pk_f32_fp8_e32 v[50:51], v8
	v_cvt_pk_f32_fp8_sdwa v[52:53], v8 src0_sel:WORD_1
	v_perm_b32 v41, v7, v6, s33
	v_mfma_f32_16x16x16_bf16 v[34:37], v[30:31], v[10:11], 0
	v_perm_b32 v10, v51, v50, s33
	v_perm_b32 v11, v53, v52, s33
	v_cvt_pk_f32_fp8_e32 v[30:31], v9
	v_cvt_pk_f32_fp8_sdwa v[50:51], v9 src0_sel:WORD_1
	v_mfma_f32_16x16x16_bf16 v[6:9], v[40:41], v[12:13], v[34:37]
	v_pk_mul_f32 v[40:41], v[48:49], v[20:21] op_sel_hi:[0,1]
	v_perm_b32 v12, v31, v30, s33
	v_perm_b32 v13, v51, v50, s33
	v_mfma_f32_16x16x16_bf16 v[6:9], v[10:11], v[2:3], v[6:9]
	v_pk_mul_f32 v[36:37], v[48:49], v[22:23] op_sel_hi:[0,1]
	v_pk_mul_f32 v[32:33], v[48:49], v[32:33] op_sel_hi:[0,1]
	;; [unrolled: 1-line block ×3, first 2 shown]
	v_mfma_f32_16x16x16_bf16 v[2:5], v[12:13], v[4:5], v[6:9]
	v_pk_mul_f32 v[34:35], v[48:49], v[14:15] op_sel_hi:[0,1]
	s_nop 5
	v_pk_mul_f32 v[22:23], v[48:49], v[2:3] op_sel_hi:[0,1]
	v_and_b32_e32 v2, 0xc0, v0
	v_add_u32_e32 v2, s16, v2
	v_lshl_or_b32 v2, v42, 2, v2
	v_or_b32_e32 v3, 1, v2
	v_pk_mul_f32 v[20:21], v[48:49], v[4:5] op_sel_hi:[0,1]
	v_subrev_u32_e32 v4, s29, v3
	v_add_u32_e32 v6, 1, v4
	v_add_u32_e32 v7, 2, v4
	;; [unrolled: 1-line block ×3, first 2 shown]
	v_cvt_f32_i32_e32 v6, v6
	v_cvt_f32_i32_e32 v7, v7
	;; [unrolled: 1-line block ×3, first 2 shown]
	v_add_u32_e32 v9, 19, v4
	v_fmac_f32_e32 v39, v44, v6
	v_fma_f32 v32, v44, v7, v32
	v_fmac_f32_e32 v33, v44, v8
	v_add_u32_e32 v6, 16, v4
	v_add_u32_e32 v7, 17, v4
	;; [unrolled: 1-line block ×3, first 2 shown]
	v_cvt_f32_i32_e32 v6, v6
	v_cvt_f32_i32_e32 v7, v7
	;; [unrolled: 1-line block ×4, first 2 shown]
	v_fma_f32 v40, v44, v6, v40
	v_fmac_f32_e32 v41, v44, v7
	v_fma_f32 v36, v44, v8, v36
	v_add_u32_e32 v6, 32, v4
	v_add_u32_e32 v7, 33, v4
	;; [unrolled: 1-line block ×3, first 2 shown]
	v_cvt_f32_i32_e32 v6, v6
	v_cvt_f32_i32_e32 v7, v7
	;; [unrolled: 1-line block ×4, first 2 shown]
	v_fmac_f32_e32 v37, v44, v9
	v_add_u32_e32 v9, 35, v4
	v_fma_f32 v48, v44, v6, v34
	v_fmac_f32_e32 v35, v44, v7
	v_fma_f32 v30, v44, v8, v30
	v_add_u32_e32 v6, 48, v4
	v_add_u32_e32 v7, 49, v4
	;; [unrolled: 1-line block ×4, first 2 shown]
	v_cvt_f32_i32_e32 v4, v4
	v_cvt_f32_i32_e32 v6, v6
	;; [unrolled: 1-line block ×3, first 2 shown]
	v_fma_f32 v5, v44, v5, v38
	v_fmac_f32_e32 v21, v44, v4
	v_mov_b32_e32 v4, 0xff7fffff
	v_cmp_gt_i32_e64 s[4:5], s29, v2
	v_cmp_gt_i32_e64 s[34:35], s29, v3
	v_fma_f32 v22, v44, v6, v22
	v_cndmask_b32_e64 v6, v4, v5, s[4:5]
	v_cndmask_b32_e64 v3, v4, v39, s[34:35]
	v_fmac_f32_e32 v23, v44, v7
	v_max3_f32 v3, v6, s44, v3
	v_or_b32_e32 v6, 2, v2
	v_or_b32_e32 v7, 3, v2
	v_cmp_gt_i32_e64 s[36:37], s29, v6
	v_cmp_gt_i32_e64 s[38:39], s29, v7
	v_cvt_f32_i32_e32 v9, v9
	v_cndmask_b32_e64 v6, v4, v32, s[36:37]
	v_cndmask_b32_e64 v7, v4, v33, s[38:39]
	v_max3_f32 v3, v3, v6, v7
	v_or_b32_e32 v6, 16, v2
	v_or_b32_e32 v7, 17, v2
	v_cmp_gt_i32_e64 s[24:25], s29, v6
	v_cmp_gt_i32_e64 s[26:27], s29, v7
	v_fmac_f32_e32 v31, v44, v9
	v_cndmask_b32_e64 v6, v4, v40, s[24:25]
	v_cndmask_b32_e64 v7, v4, v41, s[26:27]
	v_max3_f32 v3, v3, v6, v7
	v_or_b32_e32 v6, 18, v2
	v_or_b32_e32 v7, 19, v2
	v_cmp_gt_i32_e64 s[20:21], s29, v6
	v_cmp_gt_i32_e64 s[22:23], s29, v7
	v_cvt_f32_i32_e32 v8, v8
	v_cndmask_b32_e64 v6, v4, v36, s[20:21]
	v_cndmask_b32_e64 v7, v4, v37, s[22:23]
	v_max3_f32 v3, v3, v6, v7
	v_or_b32_e32 v6, 32, v2
	v_or_b32_e32 v7, 33, v2
	v_cmp_gt_i32_e64 s[16:17], s29, v6
	v_cmp_gt_i32_e64 s[18:19], s29, v7
	v_fma_f32 v20, v44, v8, v20
	v_cndmask_b32_e64 v6, v4, v48, s[16:17]
	v_cndmask_b32_e64 v7, v4, v35, s[18:19]
	v_max3_f32 v3, v3, v6, v7
	v_or_b32_e32 v6, 34, v2
	v_or_b32_e32 v7, 35, v2
	v_cmp_gt_i32_e64 s[12:13], s29, v6
	v_cmp_gt_i32_e64 s[14:15], s29, v7
	s_nop 0
	v_cndmask_b32_e64 v6, v4, v30, s[12:13]
	v_cndmask_b32_e64 v7, v4, v31, s[14:15]
	v_max3_f32 v3, v3, v6, v7
	v_or_b32_e32 v6, 48, v2
	v_or_b32_e32 v7, 49, v2
	v_cmp_gt_i32_e64 s[8:9], s29, v6
	v_cmp_gt_i32_e64 s[10:11], s29, v7
	s_nop 0
	v_cndmask_b32_e64 v6, v4, v22, s[8:9]
	v_cndmask_b32_e64 v7, v4, v23, s[10:11]
	v_max3_f32 v3, v3, v6, v7
	v_or_b32_e32 v6, 50, v2
	v_or_b32_e32 v2, 51, v2
	v_cmp_gt_i32_e32 vcc, s29, v6
	v_cmp_gt_i32_e64 s[6:7], s29, v2
	s_nop 0
	v_cndmask_b32_e32 v6, v4, v20, vcc
	v_cndmask_b32_e64 v2, v4, v21, s[6:7]
	v_max3_f32 v4, v3, v6, v2
	v_mbcnt_lo_u32_b32 v2, -1, 0
	v_mbcnt_hi_u32_b32 v6, -1, v2
	v_and_b32_e32 v2, 64, v6
	v_add_u32_e32 v7, 64, v2
	v_xor_b32_e32 v2, 32, v6
	v_cmp_lt_i32_e64 s[40:41], v2, v7
	s_nop 1
	v_cndmask_b32_e64 v2, v6, v2, s[40:41]
	v_lshlrev_b32_e32 v44, 2, v2
	ds_bpermute_b32 v8, v44, v4
	s_waitcnt vmcnt(2)
	v_mad_i64_i32 v[2:3], s[40:41], v47, s45, v[18:19]
	global_load_dwordx4 v[14:17], v[24:25], off
	global_load_dwordx4 v[10:13], v[2:3], off
	v_xor_b32_e32 v3, 16, v6
	v_cmp_lt_i32_e64 s[40:41], v3, v7
	s_waitcnt lgkmcnt(0)
	v_max_f32_e32 v2, v8, v8
	v_max_f32_e32 v2, v4, v2
	v_cndmask_b32_e64 v3, v6, v3, s[40:41]
	v_lshlrev_b32_e32 v47, 2, v3
	ds_bpermute_b32 v3, v47, v2
	s_waitcnt vmcnt(3)
	v_mad_i64_i32 v[24:25], s[40:41], v45, s45, v[18:19]
	s_waitcnt vmcnt(2)
	v_mad_i64_i32 v[18:19], s[40:41], v46, s45, v[18:19]
	s_waitcnt lgkmcnt(0)
	v_max_f32_e32 v3, v3, v3
	v_max_f32_e32 v34, v2, v3
	v_sub_f32_e32 v2, v5, v34
	v_mul_f32_e32 v2, 0x3fb8aa3b, v2
	v_exp_f32_e32 v38, v2
	v_sub_f32_e32 v2, v39, v34
	v_mul_f32_e32 v2, 0x3fb8aa3b, v2
	v_exp_f32_e32 v39, v2
	global_load_dwordx4 v[6:9], v[24:25], off
	global_load_dwordx4 v[2:5], v[18:19], off
	v_sub_f32_e32 v25, v32, v34
	v_sub_f32_e32 v32, v33, v34
	v_mul_f32_e32 v25, 0x3fb8aa3b, v25
	v_mul_f32_e32 v32, 0x3fb8aa3b, v32
	v_exp_f32_e32 v25, v25
	v_exp_f32_e32 v32, v32
	v_cndmask_b32_e64 v18, 0, v38, s[4:5]
	v_cndmask_b32_e64 v19, 0, v39, s[34:35]
	;; [unrolled: 1-line block ×4, first 2 shown]
	v_sub_f32_e32 v25, v40, v34
	v_sub_f32_e32 v32, v41, v34
	v_mul_f32_e32 v25, 0x3fb8aa3b, v25
	v_mul_f32_e32 v32, 0x3fb8aa3b, v32
	v_exp_f32_e32 v25, v25
	v_exp_f32_e32 v32, v32
	v_add_f32_e32 v24, 0, v18
	v_add_f32_e32 v24, v24, v19
	;; [unrolled: 1-line block ×4, first 2 shown]
	v_cndmask_b32_e64 v24, 0, v25, s[24:25]
	v_cndmask_b32_e64 v25, 0, v32, s[26:27]
	v_sub_f32_e32 v32, v36, v34
	v_mul_f32_e32 v32, 0x3fb8aa3b, v32
	v_exp_f32_e32 v32, v32
	v_sub_f32_e32 v36, v37, v34
	v_add_f32_e32 v33, v33, v24
	v_mul_f32_e32 v36, 0x3fb8aa3b, v36
	v_exp_f32_e32 v37, v36
	v_add_f32_e32 v33, v33, v25
	v_cndmask_b32_e64 v36, 0, v32, s[20:21]
	v_add_f32_e32 v32, v33, v36
	v_sub_f32_e32 v33, v48, v34
	v_mul_f32_e32 v33, 0x3fb8aa3b, v33
	v_sub_f32_e32 v35, v35, v34
	v_exp_f32_e32 v33, v33
	v_mul_f32_e32 v35, 0x3fb8aa3b, v35
	v_sub_f32_e32 v30, v30, v34
	v_exp_f32_e32 v35, v35
	;; [unrolled: 3-line block ×3, first 2 shown]
	v_mul_f32_e32 v31, 0x3fb8aa3b, v31
	v_sub_f32_e32 v22, v22, v34
	v_cndmask_b32_e64 v37, 0, v37, s[22:23]
	v_exp_f32_e32 v31, v31
	v_mul_f32_e32 v22, 0x3fb8aa3b, v22
	v_sub_f32_e32 v23, v23, v34
	v_add_f32_e32 v40, v32, v37
	v_cndmask_b32_e64 v32, 0, v33, s[16:17]
	v_exp_f32_e32 v22, v22
	v_mul_f32_e32 v23, 0x3fb8aa3b, v23
	v_sub_f32_e32 v20, v20, v34
	v_add_f32_e32 v40, v40, v32
	;; [unrolled: 5-line block ×3, first 2 shown]
	v_cndmask_b32_e64 v30, 0, v30, s[12:13]
	v_exp_f32_e32 v20, v20
	v_mul_f32_e32 v21, 0x3fb8aa3b, v21
	v_add_f32_e32 v35, v35, v30
	v_cndmask_b32_e64 v31, 0, v31, s[14:15]
	v_exp_f32_e32 v21, v21
	v_add_f32_e32 v35, v35, v31
	v_cndmask_b32_e64 v22, 0, v22, s[8:9]
	v_add_f32_e32 v35, v35, v22
	v_cndmask_b32_e64 v23, 0, v23, s[10:11]
	v_add_f32_e32 v35, v35, v23
	v_cndmask_b32_e32 v20, 0, v20, vcc
	v_add_f32_e32 v35, v35, v20
	v_cndmask_b32_e64 v21, 0, v21, s[6:7]
	v_add_f32_e32 v35, v35, v21
	ds_bpermute_b32 v40, v44, v35
	s_load_dword s9, s[0:1], 0x98
	v_cmp_gt_u32_e64 s[6:7], 16, v43
	s_waitcnt lgkmcnt(0)
	s_barrier
	v_add_f32_e32 v40, v35, v40
	ds_bpermute_b32 v41, v47, v40
	v_lshlrev_b32_e32 v35, 2, v28
	s_waitcnt lgkmcnt(0)
	s_and_saveexec_b64 s[4:5], s[6:7]
	s_cbranch_execz .LBB1180_15
; %bb.14:
	v_add_f32_e32 v40, v40, v41
	v_lshl_or_b32 v41, v29, 6, v35
	ds_write2st64_b32 v41, v34, v40 offset1:1
.LBB1180_15:
	s_or_b64 exec, exec, s[4:5]
	s_load_dword s8, s[0:1], 0x94
	s_waitcnt lgkmcnt(0)
	s_barrier
	ds_read2_b32 v[40:41], v35 offset1:16
	ds_read2_b32 v[44:45], v35 offset0:32 offset1:48
	ds_read2_b32 v[46:47], v35 offset0:64 offset1:80
	s_movk_i32 s10, 0x7fff
	s_mul_i32 s9, s9, 13
	s_waitcnt lgkmcnt(2)
	v_max3_f32 v34, v40, s44, v41
	s_waitcnt lgkmcnt(1)
	v_max3_f32 v34, v34, v44, v45
	v_sub_f32_e32 v40, v40, v34
	v_mul_f32_e32 v40, 0x3fb8aa3b, v40
	v_exp_f32_e32 v43, v40
	v_sub_f32_e32 v40, v41, v34
	v_mul_f32_e32 v40, 0x3fb8aa3b, v40
	v_exp_f32_e32 v48, v40
	;; [unrolled: 3-line block ×3, first 2 shown]
	ds_read2_b32 v[40:41], v35 offset0:96 offset1:112
	v_sub_f32_e32 v35, v45, v34
	v_mul_f32_e32 v35, 0x3fb8aa3b, v35
	v_exp_f32_e32 v45, v35
	s_waitcnt lgkmcnt(1)
	v_fma_f32 v35, v43, v46, 0
	v_fmac_f32_e32 v35, v48, v47
	s_waitcnt lgkmcnt(0)
	v_fmac_f32_e32 v35, v44, v40
	v_fmac_f32_e32 v35, v45, v41
	v_add_f32_e32 v40, 0x358637bd, v35
	v_div_scale_f32 v41, s[4:5], v40, v40, 1.0
	v_rcp_f32_e32 v46, v41
	s_barrier
	v_fma_f32 v47, -v41, v46, 1.0
	v_fmac_f32_e32 v46, v47, v46
	v_div_scale_f32 v47, vcc, 1.0, v40, 1.0
	v_mul_f32_e32 v49, v47, v46
	v_fma_f32 v50, -v41, v49, v47
	v_fmac_f32_e32 v49, v50, v46
	v_fma_f32 v41, -v41, v49, v47
	v_div_fmas_f32 v41, v41, v46, v49
	v_cmp_eq_u32_e32 vcc, 1, v29
	v_div_fixup_f32 v40, v41, v40, 1.0
	s_nop 0
	v_cndmask_b32_e32 v41, v43, v48, vcc
	v_cmp_eq_u32_e32 vcc, 2, v29
	s_nop 1
	v_cndmask_b32_e32 v41, v41, v44, vcc
	v_cmp_eq_u32_e32 vcc, 3, v29
	s_nop 1
	v_cndmask_b32_e32 v41, v41, v45, vcc
	v_mul_f32_e32 v40, v41, v40
	v_pk_mul_f32 v[18:19], v[40:41], v[18:19] op_sel_hi:[0,1]
	v_pk_mul_f32 v[38:39], v[40:41], v[38:39] op_sel_hi:[0,1]
	v_bfe_u32 v41, v19, 16, 1
	v_bfe_u32 v43, v18, 16, 1
	v_add3_u32 v18, v18, v43, s10
	v_add3_u32 v19, v19, v41, s10
	v_perm_b32 v44, v19, v18, s33
	v_bfe_u32 v18, v39, 16, 1
	v_bfe_u32 v19, v38, 16, 1
	v_add3_u32 v19, v38, v19, s10
	v_add3_u32 v18, v39, v18, s10
	v_perm_b32 v45, v18, v19, s33
	v_lshlrev_b32_e32 v18, 3, v42
	v_lshlrev_b32_e32 v19, 11, v29
	v_pk_mul_f32 v[24:25], v[40:41], v[24:25] op_sel_hi:[0,1]
	v_or3_b32 v18, v19, v27, v18
	v_bfe_u32 v19, v25, 16, 1
	v_bfe_u32 v29, v24, 16, 1
	v_pk_mul_f32 v[36:37], v[40:41], v[36:37] op_sel_hi:[0,1]
	v_add3_u32 v24, v24, v29, s10
	v_add3_u32 v19, v25, v19, s10
	v_perm_b32 v24, v19, v24, s33
	v_bfe_u32 v19, v37, 16, 1
	v_bfe_u32 v25, v36, 16, 1
	v_add3_u32 v25, v36, v25, s10
	v_add3_u32 v19, v37, v19, s10
	v_perm_b32 v25, v19, v25, s33
	ds_write2st64_b64 v18, v[44:45], v[24:25] offset1:1
	v_pk_mul_f32 v[24:25], v[40:41], v[30:31] op_sel_hi:[0,1]
	v_pk_mul_f32 v[30:31], v[40:41], v[32:33] op_sel_hi:[0,1]
	v_bfe_u32 v19, v31, 16, 1
	v_bfe_u32 v29, v30, 16, 1
	v_add3_u32 v29, v30, v29, s10
	v_add3_u32 v19, v31, v19, s10
	v_perm_b32 v30, v19, v29, s33
	v_bfe_u32 v19, v25, 16, 1
	v_bfe_u32 v29, v24, 16, 1
	v_add3_u32 v24, v24, v29, s10
	v_add3_u32 v19, v25, v19, s10
	v_pk_mul_f32 v[22:23], v[40:41], v[22:23] op_sel_hi:[0,1]
	v_perm_b32 v31, v19, v24, s33
	v_bfe_u32 v19, v23, 16, 1
	v_bfe_u32 v24, v22, 16, 1
	v_pk_mul_f32 v[20:21], v[40:41], v[20:21] op_sel_hi:[0,1]
	v_add3_u32 v22, v22, v24, s10
	v_add3_u32 v19, v23, v19, s10
	v_perm_b32 v22, v19, v22, s33
	v_bfe_u32 v19, v21, 16, 1
	v_bfe_u32 v23, v20, 16, 1
	v_add3_u32 v20, v20, v23, s10
	v_add3_u32 v19, v21, v19, s10
	v_perm_b32 v23, v19, v20, s33
	v_cmp_gt_u32_e32 vcc, 13, v0
	ds_write2st64_b64 v18, v[30:31], v[22:23] offset0:2 offset1:3
	s_and_saveexec_b64 s[4:5], vcc
	s_cbranch_execz .LBB1180_17
; %bb.16:
	s_mov_b32 s49, 0
	v_mov_b32_e32 v29, 0
	v_lshl_add_u64 v[20:21], s[48:49], 0, v[28:29]
	v_mov_b32_e32 v19, s9
	v_mad_u64_u32 v[20:21], s[16:17], s2, v19, v[20:21]
	s_mul_i32 s3, s3, s9
	v_mov_b32_e32 v28, s28
	s_load_dwordx4 s[12:15], s[0:1], 0x58
	v_add_u32_e32 v19, s3, v21
	v_mad_u64_u32 v[20:21], s[16:17], v20, s8, v[28:29]
	v_mov_b32_e32 v22, v21
	v_mad_u64_u32 v[22:23], s[16:17], v19, s8, v[22:23]
	v_mov_b32_e32 v21, v22
	v_lshlrev_b64 v[20:21], 2, v[20:21]
	s_waitcnt lgkmcnt(0)
	v_lshl_add_u64 v[22:23], s[14:15], 0, v[20:21]
	v_lshl_add_u64 v[20:21], s[12:13], 0, v[20:21]
	global_store_dword v[22:23], v34, off
	global_store_dword v[20:21], v35, off
.LBB1180_17:
	s_or_b64 exec, exec, s[4:5]
	s_waitcnt vmcnt(3)
	v_cvt_pk_f32_fp8_e32 v[20:21], v14
	v_cvt_pk_f32_fp8_sdwa v[22:23], v14 src0_sel:WORD_1
	s_mov_b32 s4, 0x7060302
	v_lshl_or_b32 v14, v42, 9, v27
	s_waitcnt lgkmcnt(0)
	s_barrier
	v_perm_b32 v24, v21, v20, s4
	v_perm_b32 v25, v23, v22, s4
	v_cvt_pk_f32_fp8_e32 v[28:29], v15
	ds_read_b128 v[20:23], v14
	v_cvt_pk_f32_fp8_sdwa v[36:37], v15 src0_sel:WORD_1
	s_load_dword s12, s[42:43], 0x0
	v_perm_b32 v38, v29, v28, s4
	ds_read_b128 v[28:31], v14 offset:16
	v_perm_b32 v39, v37, v36, s4
	s_waitcnt lgkmcnt(0)
	v_mfma_f32_16x16x16_bf16 v[32:35], v[24:25], v[20:21], 0
	v_cvt_pk_f32_fp8_e32 v[24:25], v16
	v_cvt_pk_f32_fp8_sdwa v[36:37], v16 src0_sel:WORD_1
	v_cmp_gt_u32_e32 vcc, 64, v0
	v_mfma_f32_16x16x16_bf16 v[20:23], v[38:39], v[22:23], v[32:35]
	v_perm_b32 v24, v25, v24, s4
	v_perm_b32 v25, v37, v36, s4
	s_mov_b32 s3, 0
	v_cvt_pk_f32_fp8_e32 v[32:33], v17
	v_cvt_pk_f32_fp8_sdwa v[16:17], v17 src0_sel:WORD_1
	s_waitcnt vmcnt(2)
	v_cvt_pk_f32_fp8_sdwa v[34:35], v10 src0_sel:WORD_1
	v_mfma_f32_16x16x16_bf16 v[20:23], v[24:25], v[28:29], v[20:23]
	v_perm_b32 v36, v33, v32, s4
	v_cvt_pk_f32_fp8_e32 v[32:33], v10
	v_perm_b32 v37, v17, v16, s4
	v_perm_b32 v17, v35, v34, s4
	v_cvt_pk_f32_fp8_e32 v[24:25], v11
	v_perm_b32 v16, v33, v32, s4
	ds_read_b128 v[32:35], v14 offset:2048
	v_cvt_pk_f32_fp8_sdwa v[10:11], v11 src0_sel:WORD_1
	v_mfma_f32_16x16x16_bf16 v[20:23], v[36:37], v[30:31], v[20:23]
	ds_read_b128 v[28:31], v14 offset:2064
	v_perm_b32 v24, v25, v24, s4
	v_perm_b32 v25, v11, v10, s4
	s_waitcnt lgkmcnt(1)
	v_mfma_f32_16x16x16_bf16 v[20:23], v[16:17], v[32:33], v[20:23]
	v_cvt_pk_f32_fp8_e32 v[10:11], v12
	v_cvt_pk_f32_fp8_sdwa v[16:17], v12 src0_sel:WORD_1
	s_waitcnt vmcnt(1)
	v_cvt_pk_f32_fp8_sdwa v[32:33], v6 src0_sel:WORD_1
	v_mfma_f32_16x16x16_bf16 v[20:23], v[24:25], v[34:35], v[20:23]
	v_cvt_pk_f32_fp8_e32 v[24:25], v13
	v_perm_b32 v10, v11, v10, s4
	v_perm_b32 v11, v17, v16, s4
	v_cvt_pk_f32_fp8_sdwa v[12:13], v13 src0_sel:WORD_1
	v_perm_b32 v16, v25, v24, s4
	v_cvt_pk_f32_fp8_e32 v[24:25], v6
	v_mov_b32_e32 v27, 0
	v_perm_b32 v17, v13, v12, s4
	s_waitcnt lgkmcnt(0)
	v_mfma_f32_16x16x16_bf16 v[10:13], v[10:11], v[28:29], v[20:23]
	v_perm_b32 v24, v25, v24, s4
	v_perm_b32 v25, v33, v32, s4
	v_cvt_pk_f32_fp8_e32 v[28:29], v7
	ds_read_b128 v[20:23], v14 offset:4096
	v_cvt_pk_f32_fp8_sdwa v[6:7], v7 src0_sel:WORD_1
	v_mfma_f32_16x16x16_bf16 v[10:13], v[16:17], v[30:31], v[10:13]
	v_perm_b32 v16, v29, v28, s4
	ds_read_b128 v[28:31], v14 offset:4112
	v_perm_b32 v17, v7, v6, s4
	s_waitcnt lgkmcnt(1)
	v_mfma_f32_16x16x16_bf16 v[10:13], v[24:25], v[20:21], v[10:13]
	v_cvt_pk_f32_fp8_e32 v[6:7], v8
	v_cvt_pk_f32_fp8_sdwa v[20:21], v8 src0_sel:WORD_1
	v_perm_b32 v6, v7, v6, s4
	v_mfma_f32_16x16x16_bf16 v[10:13], v[16:17], v[22:23], v[10:13]
	v_cvt_pk_f32_fp8_e32 v[16:17], v9
	v_perm_b32 v7, v21, v20, s4
	v_cvt_pk_f32_fp8_sdwa v[8:9], v9 src0_sel:WORD_1
	s_waitcnt vmcnt(0)
	v_cvt_pk_f32_fp8_e32 v[20:21], v2
	v_perm_b32 v16, v17, v16, s4
	v_cvt_pk_f32_fp8_sdwa v[22:23], v2 src0_sel:WORD_1
	v_perm_b32 v17, v9, v8, s4
	s_waitcnt lgkmcnt(0)
	v_mfma_f32_16x16x16_bf16 v[6:9], v[6:7], v[28:29], v[10:13]
	v_perm_b32 v20, v21, v20, s4
	v_perm_b32 v21, v23, v22, s4
	v_cvt_pk_f32_fp8_e32 v[22:23], v3
	ds_read_b128 v[10:13], v14 offset:6144
	v_cvt_pk_f32_fp8_sdwa v[2:3], v3 src0_sel:WORD_1
	v_mfma_f32_16x16x16_bf16 v[6:9], v[16:17], v[30:31], v[6:9]
	v_perm_b32 v22, v23, v22, s4
	ds_read_b128 v[14:17], v14 offset:6160
	v_perm_b32 v23, v3, v2, s4
	s_waitcnt lgkmcnt(1)
	v_mfma_f32_16x16x16_bf16 v[6:9], v[20:21], v[10:11], v[6:9]
	v_cvt_pk_f32_fp8_e32 v[2:3], v4
	v_cvt_pk_f32_fp8_sdwa v[10:11], v4 src0_sel:WORD_1
	s_waitcnt lgkmcnt(0)
	v_mfma_f32_16x16x16_bf16 v[6:9], v[22:23], v[12:13], v[6:9]
	v_perm_b32 v2, v3, v2, s4
	v_perm_b32 v3, v11, v10, s4
	v_cvt_pk_f32_fp8_e32 v[10:11], v5
	v_cvt_pk_f32_fp8_sdwa v[4:5], v5 src0_sel:WORD_1
	s_barrier
	v_perm_b32 v10, v11, v10, s4
	v_perm_b32 v11, v5, v4, s4
	v_mfma_f32_16x16x16_bf16 v[2:5], v[2:3], v[14:15], v[6:9]
	s_nop 0
	v_mfma_f32_16x16x16_bf16 v[2:5], v[10:11], v[16:17], v[2:5]
	s_nop 6
	v_pk_mul_f32 v[2:3], v[2:3], s[12:13] op_sel_hi:[1,0]
	v_pk_mul_f32 v[4:5], v[4:5], s[12:13] op_sel_hi:[1,0]
	v_bfe_u32 v6, v3, 16, 1
	v_bfe_u32 v7, v2, 16, 1
	v_add3_u32 v2, v2, v7, s10
	v_add3_u32 v3, v3, v6, s10
	v_perm_b32 v2, v3, v2, s4
	v_bfe_u32 v3, v5, 16, 1
	v_bfe_u32 v6, v4, 16, 1
	v_add3_u32 v4, v4, v6, s10
	v_add3_u32 v3, v5, v3, s10
	v_perm_b32 v3, v3, v4, s4
	s_and_b64 s[4:5], vcc, s[30:31]
	ds_write_b64 v18, v[2:3]
	s_waitcnt lgkmcnt(0)
	s_barrier
	s_and_saveexec_b64 s[10:11], s[4:5]
	s_cbranch_execz .LBB1180_20
; %bb.18:
	s_load_dwordx2 s[4:5], s[0:1], 0x68
	s_lshl_b32 s0, s8, 6
	s_mul_i32 s1, s9, s2
	s_mul_hi_u32 s9, s1, s0
	s_mul_i32 s8, s1, s0
	v_lshlrev_b32_e32 v0, 10, v0
	s_lshl_b64 s[8:9], s[8:9], 1
	v_and_b32_e32 v0, 0x1800, v0
	v_lshlrev_b32_e32 v2, 5, v42
	v_and_b32_e32 v1, 16, v1
	s_waitcnt lgkmcnt(0)
	s_add_u32 s1, s4, s8
	v_or3_b32 v2, v0, v2, v1
	s_addc_u32 s4, s5, s9
	s_lshl_b32 s2, s28, 6
	ds_read_b128 v[4:7], v2 offset:256
	s_lshl_b64 s[2:3], s[2:3], 1
	ds_read_b128 v[8:11], v2 offset:128
	ds_read_b128 v[12:15], v2
	s_add_u32 s2, s1, s2
	s_addc_u32 s3, s4, s3
	v_add_u32_e32 v3, s48, v42
	v_lshl_add_u64 v[0:1], s[2:3], 0, v[26:27]
	v_mad_u64_u32 v[16:17], s[2:3], v3, s0, 0
	v_lshl_add_u64 v[16:17], v[16:17], 1, v[0:1]
	s_waitcnt lgkmcnt(0)
	global_store_dwordx4 v[16:17], v[12:15], off
	s_nop 1
	v_add_u32_e32 v12, 4, v3
	v_mad_u64_u32 v[12:13], s[2:3], v12, s0, 0
	v_lshl_add_u64 v[12:13], v[12:13], 1, v[0:1]
	v_add_u32_e32 v3, 8, v3
	global_store_dwordx4 v[12:13], v[8:11], off
	s_nop 1
	v_mad_u64_u32 v[8:9], s[2:3], v3, s0, 0
	v_lshl_add_u64 v[8:9], v[8:9], 1, v[0:1]
	global_store_dwordx4 v[8:9], v[4:7], off
	s_and_b64 exec, exec, s[6:7]
	s_cbranch_execz .LBB1180_20
; %bb.19:
	ds_read_b128 v[2:5], v2 offset:384
	v_add3_u32 v6, s48, v42, 12
	v_mad_u64_u32 v[6:7], s[0:1], v6, s0, 0
	v_lshl_add_u64 v[0:1], v[6:7], 1, v[0:1]
	s_waitcnt lgkmcnt(0)
	global_store_dwordx4 v[0:1], v[2:5], off
.LBB1180_20:
	s_endpgm
	.section	.rodata,"a",@progbits
	.p2align	6, 0x0
	.amdhsa_kernel _Z39paged_attention_ll4mi_QKV_mfma16_kernelI14__hip_bfloat16hLN4vllm18Fp8KVCacheDataTypeE1EhLi32ELi64ELi256ELb1ELi13EEvPKT_PKT0_S8_ifPKiSA_SA_iPKfiiiPfSD_PS3_PT2_iSC_SC_
		.amdhsa_group_segment_fixed_size 8192
		.amdhsa_private_segment_fixed_size 0
		.amdhsa_kernarg_size 400
		.amdhsa_user_sgpr_count 2
		.amdhsa_user_sgpr_dispatch_ptr 0
		.amdhsa_user_sgpr_queue_ptr 0
		.amdhsa_user_sgpr_kernarg_segment_ptr 1
		.amdhsa_user_sgpr_dispatch_id 0
		.amdhsa_user_sgpr_kernarg_preload_length 0
		.amdhsa_user_sgpr_kernarg_preload_offset 0
		.amdhsa_user_sgpr_private_segment_size 0
		.amdhsa_uses_dynamic_stack 0
		.amdhsa_enable_private_segment 0
		.amdhsa_system_sgpr_workgroup_id_x 1
		.amdhsa_system_sgpr_workgroup_id_y 1
		.amdhsa_system_sgpr_workgroup_id_z 1
		.amdhsa_system_sgpr_workgroup_info 0
		.amdhsa_system_vgpr_workitem_id 0
		.amdhsa_next_free_vgpr 71
		.amdhsa_next_free_sgpr 50
		.amdhsa_accum_offset 72
		.amdhsa_reserve_vcc 1
		.amdhsa_float_round_mode_32 0
		.amdhsa_float_round_mode_16_64 0
		.amdhsa_float_denorm_mode_32 3
		.amdhsa_float_denorm_mode_16_64 3
		.amdhsa_dx10_clamp 1
		.amdhsa_ieee_mode 1
		.amdhsa_fp16_overflow 0
		.amdhsa_tg_split 0
		.amdhsa_exception_fp_ieee_invalid_op 0
		.amdhsa_exception_fp_denorm_src 0
		.amdhsa_exception_fp_ieee_div_zero 0
		.amdhsa_exception_fp_ieee_overflow 0
		.amdhsa_exception_fp_ieee_underflow 0
		.amdhsa_exception_fp_ieee_inexact 0
		.amdhsa_exception_int_div_zero 0
	.end_amdhsa_kernel
	.section	.text._Z39paged_attention_ll4mi_QKV_mfma16_kernelI14__hip_bfloat16hLN4vllm18Fp8KVCacheDataTypeE1EhLi32ELi64ELi256ELb1ELi13EEvPKT_PKT0_S8_ifPKiSA_SA_iPKfiiiPfSD_PS3_PT2_iSC_SC_,"axG",@progbits,_Z39paged_attention_ll4mi_QKV_mfma16_kernelI14__hip_bfloat16hLN4vllm18Fp8KVCacheDataTypeE1EhLi32ELi64ELi256ELb1ELi13EEvPKT_PKT0_S8_ifPKiSA_SA_iPKfiiiPfSD_PS3_PT2_iSC_SC_,comdat
.Lfunc_end1180:
	.size	_Z39paged_attention_ll4mi_QKV_mfma16_kernelI14__hip_bfloat16hLN4vllm18Fp8KVCacheDataTypeE1EhLi32ELi64ELi256ELb1ELi13EEvPKT_PKT0_S8_ifPKiSA_SA_iPKfiiiPfSD_PS3_PT2_iSC_SC_, .Lfunc_end1180-_Z39paged_attention_ll4mi_QKV_mfma16_kernelI14__hip_bfloat16hLN4vllm18Fp8KVCacheDataTypeE1EhLi32ELi64ELi256ELb1ELi13EEvPKT_PKT0_S8_ifPKiSA_SA_iPKfiiiPfSD_PS3_PT2_iSC_SC_
                                        ; -- End function
	.section	.AMDGPU.csdata,"",@progbits
; Kernel info:
; codeLenInByte = 5276
; NumSgprs: 56
; NumVgprs: 71
; NumAgprs: 0
; TotalNumVgprs: 71
; ScratchSize: 0
; MemoryBound: 0
; FloatMode: 240
; IeeeMode: 1
; LDSByteSize: 8192 bytes/workgroup (compile time only)
; SGPRBlocks: 6
; VGPRBlocks: 8
; NumSGPRsForWavesPerEU: 56
; NumVGPRsForWavesPerEU: 71
; AccumOffset: 72
; Occupancy: 7
; WaveLimiterHint : 1
; COMPUTE_PGM_RSRC2:SCRATCH_EN: 0
; COMPUTE_PGM_RSRC2:USER_SGPR: 2
; COMPUTE_PGM_RSRC2:TRAP_HANDLER: 0
; COMPUTE_PGM_RSRC2:TGID_X_EN: 1
; COMPUTE_PGM_RSRC2:TGID_Y_EN: 1
; COMPUTE_PGM_RSRC2:TGID_Z_EN: 1
; COMPUTE_PGM_RSRC2:TIDIG_COMP_CNT: 0
; COMPUTE_PGM_RSRC3_GFX90A:ACCUM_OFFSET: 17
; COMPUTE_PGM_RSRC3_GFX90A:TG_SPLIT: 0
	.section	.text._Z39paged_attention_ll4mi_QKV_mfma16_kernelI14__hip_bfloat16hLN4vllm18Fp8KVCacheDataTypeE1EhLi32ELi64ELi256ELb1ELi14EEvPKT_PKT0_S8_ifPKiSA_SA_iPKfiiiPfSD_PS3_PT2_iSC_SC_,"axG",@progbits,_Z39paged_attention_ll4mi_QKV_mfma16_kernelI14__hip_bfloat16hLN4vllm18Fp8KVCacheDataTypeE1EhLi32ELi64ELi256ELb1ELi14EEvPKT_PKT0_S8_ifPKiSA_SA_iPKfiiiPfSD_PS3_PT2_iSC_SC_,comdat
	.protected	_Z39paged_attention_ll4mi_QKV_mfma16_kernelI14__hip_bfloat16hLN4vllm18Fp8KVCacheDataTypeE1EhLi32ELi64ELi256ELb1ELi14EEvPKT_PKT0_S8_ifPKiSA_SA_iPKfiiiPfSD_PS3_PT2_iSC_SC_ ; -- Begin function _Z39paged_attention_ll4mi_QKV_mfma16_kernelI14__hip_bfloat16hLN4vllm18Fp8KVCacheDataTypeE1EhLi32ELi64ELi256ELb1ELi14EEvPKT_PKT0_S8_ifPKiSA_SA_iPKfiiiPfSD_PS3_PT2_iSC_SC_
	.globl	_Z39paged_attention_ll4mi_QKV_mfma16_kernelI14__hip_bfloat16hLN4vllm18Fp8KVCacheDataTypeE1EhLi32ELi64ELi256ELb1ELi14EEvPKT_PKT0_S8_ifPKiSA_SA_iPKfiiiPfSD_PS3_PT2_iSC_SC_
	.p2align	8
	.type	_Z39paged_attention_ll4mi_QKV_mfma16_kernelI14__hip_bfloat16hLN4vllm18Fp8KVCacheDataTypeE1EhLi32ELi64ELi256ELb1ELi14EEvPKT_PKT0_S8_ifPKiSA_SA_iPKfiiiPfSD_PS3_PT2_iSC_SC_,@function
_Z39paged_attention_ll4mi_QKV_mfma16_kernelI14__hip_bfloat16hLN4vllm18Fp8KVCacheDataTypeE1EhLi32ELi64ELi256ELb1ELi14EEvPKT_PKT0_S8_ifPKiSA_SA_iPKfiiiPfSD_PS3_PT2_iSC_SC_: ; @_Z39paged_attention_ll4mi_QKV_mfma16_kernelI14__hip_bfloat16hLN4vllm18Fp8KVCacheDataTypeE1EhLi32ELi64ELi256ELb1ELi14EEvPKT_PKT0_S8_ifPKiSA_SA_iPKfiiiPfSD_PS3_PT2_iSC_SC_
; %bb.0:
	s_load_dwordx2 s[6:7], s[0:1], 0x30
	s_mov_b32 s28, s3
	s_mov_b64 s[8:9], 0
	s_waitcnt lgkmcnt(0)
	s_cmp_lg_u64 s[6:7], 0
	s_cselect_b64 s[10:11], -1, 0
	s_and_b64 vcc, exec, s[10:11]
	s_cbranch_vccz .LBB1181_7
; %bb.1:
	s_add_i32 s12, s2, 1
	s_mov_b32 s13, 0
	s_lshl_b64 s[14:15], s[12:13], 2
	s_add_u32 s14, s6, s14
	s_mov_b32 s3, s13
	s_addc_u32 s15, s7, s15
	s_lshl_b64 s[12:13], s[2:3], 2
	s_add_u32 s12, s6, s12
	s_addc_u32 s13, s7, s13
	s_load_dword s5, s[14:15], 0x0
	s_load_dword s16, s[12:13], 0x0
	s_waitcnt lgkmcnt(0)
	s_sub_i32 s5, s5, s16
	s_cmp_eq_u32 s5, 1
	s_cselect_b64 s[12:13], -1, 0
	s_andn2_b64 vcc, exec, s[8:9]
	s_cbranch_vccnz .LBB1181_3
.LBB1181_2:
	s_mov_b32 s3, 0
	s_mov_b64 s[12:13], -1
.LBB1181_3:
	s_andn2_b64 vcc, exec, s[12:13]
	s_cbranch_vccnz .LBB1181_20
; %bb.4:
	s_load_dwordx2 s[8:9], s[0:1], 0x28
	s_lshl_b64 s[12:13], s[2:3], 2
	s_waitcnt lgkmcnt(0)
	s_add_u32 s8, s8, s12
	s_addc_u32 s9, s9, s13
	s_load_dword s29, s[8:9], 0x0
	s_lshl_b32 s16, s28, 8
	s_waitcnt lgkmcnt(0)
	s_cmp_ge_i32 s16, s29
	s_cbranch_scc1 .LBB1181_20
; %bb.5:
	s_load_dwordx2 s[8:9], s[0:1], 0x20
	s_load_dword s5, s[0:1], 0x38
	s_add_i32 s14, s29, 31
	s_ashr_i32 s15, s14, 31
	v_and_b32_e32 v1, 0xcf, v0
	s_lshr_b32 s15, s15, 27
	v_add_u32_e32 v1, s16, v1
	s_add_i32 s14, s14, s15
	v_ashrrev_i32_e32 v2, 31, v1
	s_ashr_i32 s17, s14, 5
	v_lshrrev_b32_e32 v4, 27, v2
	s_add_i32 s17, s17, -1
	s_waitcnt lgkmcnt(0)
	s_mul_i32 s14, s2, s5
	s_mov_b32 s15, 0
	v_add_u32_e32 v2, v1, v4
	s_lshl_b64 s[14:15], s[14:15], 2
	v_ashrrev_i32_e32 v2, 5, v2
	v_mov_b32_e32 v5, s17
	v_cmp_gt_i32_e32 vcc, s29, v1
	s_add_u32 s8, s8, s14
	s_addc_u32 s9, s9, s15
	v_cndmask_b32_e32 v2, v5, v2, vcc
	v_ashrrev_i32_e32 v3, 31, v2
	v_lshl_add_u64 v[6:7], v[2:3], 2, s[8:9]
	v_or_b32_e32 v2, 16, v1
	v_add_u32_e32 v3, v2, v4
	v_ashrrev_i32_e32 v3, 5, v3
	v_cmp_gt_i32_e32 vcc, s29, v2
	s_load_dwordx2 s[14:15], s[0:1], 0x8
	s_nop 0
	v_cndmask_b32_e32 v2, v5, v3, vcc
	v_ashrrev_i32_e32 v3, 31, v2
	v_lshl_add_u64 v[8:9], v[2:3], 2, s[8:9]
	v_or_b32_e32 v2, 32, v1
	v_add_u32_e32 v3, v2, v4
	v_ashrrev_i32_e32 v3, 5, v3
	v_cmp_gt_i32_e32 vcc, s29, v2
	v_or_b32_e32 v1, 48, v1
	s_nop 0
	v_cndmask_b32_e32 v2, v5, v3, vcc
	v_ashrrev_i32_e32 v3, 31, v2
	v_lshl_add_u64 v[10:11], v[2:3], 2, s[8:9]
	v_add_u32_e32 v2, v1, v4
	v_ashrrev_i32_e32 v2, 5, v2
	v_cmp_gt_i32_e32 vcc, s29, v1
	s_nop 1
	v_cndmask_b32_e32 v2, v5, v2, vcc
	v_ashrrev_i32_e32 v3, 31, v2
	v_lshl_add_u64 v[12:13], v[2:3], 2, s[8:9]
	global_load_dword v5, v[6:7], off
	global_load_dword v4, v[8:9], off
	;; [unrolled: 1-line block ×4, first 2 shown]
	s_andn2_b64 vcc, exec, s[10:11]
	s_cbranch_vccnz .LBB1181_8
; %bb.6:
	s_add_u32 s6, s6, s12
	s_addc_u32 s7, s7, s13
	s_load_dword s5, s[6:7], 0x0
	s_branch .LBB1181_9
.LBB1181_7:
	s_mov_b64 s[12:13], 0
	s_branch .LBB1181_2
.LBB1181_8:
	s_mov_b32 s5, s2
.LBB1181_9:
	s_load_dwordx2 s[10:11], s[0:1], 0x10
	s_load_dwordx4 s[44:47], s[0:1], 0x48
	v_lshrrev_b32_e32 v29, 6, v0
	v_bfe_u32 v42, v0, 4, 2
	v_lshl_or_b32 v6, v29, 2, v42
	v_and_b32_e32 v28, 15, v0
	v_lshlrev_b32_e32 v1, 3, v28
	v_cmp_gt_u32_e32 vcc, 14, v6
	v_cmp_gt_u32_e64 s[30:31], 8, v28
	s_mul_i32 s48, s4, 14
	s_and_b64 s[12:13], s[30:31], vcc
	v_lshlrev_b32_e32 v26, 1, v1
	v_lshlrev_b32_e32 v1, 4, v0
	s_and_saveexec_b64 s[6:7], s[12:13]
	s_cbranch_execz .LBB1181_11
; %bb.10:
	s_load_dwordx2 s[12:13], s[0:1], 0x0
	s_waitcnt lgkmcnt(0)
	s_ashr_i32 s18, s44, 31
	s_mul_hi_u32 s19, s5, s44
	s_mul_i32 s18, s5, s18
	s_add_i32 s19, s19, s18
	s_mul_i32 s18, s5, s44
	s_lshl_b64 s[18:19], s[18:19], 1
	s_add_u32 s12, s12, s18
	v_add_lshl_u32 v8, v6, s48, 6
	s_addc_u32 s13, s13, s19
	v_ashrrev_i32_e32 v9, 31, v8
	v_lshl_add_u64 v[8:9], v[8:9], 1, s[12:13]
	v_mov_b32_e32 v27, 0
	v_lshl_add_u64 v[8:9], v[8:9], 0, v[26:27]
	global_load_dwordx4 v[8:11], v[8:9], off
	v_lshlrev_b32_e32 v12, 8, v28
	v_lshlrev_b32_e32 v6, 5, v6
	v_and_b32_e32 v7, 16, v1
	v_and_b32_e32 v12, 0xe00, v12
	v_or3_b32 v6, v12, v6, v7
	s_waitcnt vmcnt(0)
	ds_write_b128 v6, v[8:11]
.LBB1181_11:
	s_or_b64 exec, exec, s[6:7]
	s_waitcnt lgkmcnt(0)
	s_mul_i32 s12, s4, s46
	s_add_u32 s4, s14, s12
	s_addc_u32 s5, s15, 0
	v_mov_b32_e32 v31, 0
	v_mov_b64_e32 v[6:7], s[4:5]
	v_lshlrev_b32_e32 v10, 4, v28
	v_and_b32_e32 v27, 48, v0
	s_waitcnt vmcnt(3)
	v_mad_i64_i32 v[8:9], s[4:5], v5, s45, v[6:7]
	v_mov_b32_e32 v11, v31
	s_waitcnt vmcnt(2)
	v_mad_i64_i32 v[4:5], s[4:5], v4, s45, v[6:7]
	v_or_b32_e32 v12, 0x100, v10
	v_mov_b32_e32 v13, v31
	v_lshlrev_b32_e32 v30, 5, v27
	v_lshl_add_u64 v[8:9], v[8:9], 0, v[10:11]
	v_lshl_add_u64 v[4:5], v[4:5], 0, v[12:13]
	;; [unrolled: 1-line block ×4, first 2 shown]
	s_barrier
	global_load_dwordx4 v[22:25], v[8:9], off
	global_load_dwordx4 v[18:21], v[4:5], off
	s_waitcnt vmcnt(3)
	v_mad_i64_i32 v[4:5], s[4:5], v3, s45, v[6:7]
	v_lshl_add_u64 v[4:5], v[4:5], 0, v[10:11]
	s_waitcnt vmcnt(2)
	v_mad_i64_i32 v[2:3], s[4:5], v2, s45, v[6:7]
	v_lshl_add_u64 v[4:5], v[4:5], 0, v[30:31]
	v_lshl_add_u64 v[2:3], v[2:3], 0, v[12:13]
	;; [unrolled: 1-line block ×3, first 2 shown]
	global_load_dwordx4 v[14:17], v[4:5], off
	global_load_dwordx4 v[6:9], v[2:3], off
	v_add_u32_e32 v2, -14, v28
	v_cmp_gt_u32_e32 vcc, 14, v28
	v_and_b32_e32 v43, 63, v0
	v_mov_b32_e32 v44, 0
	v_cndmask_b32_e32 v2, v2, v28, vcc
	v_lshlrev_b32_e32 v2, 5, v2
	v_lshl_add_u32 v2, v42, 9, v2
	ds_read_b128 v[10:13], v2
	ds_read_b128 v[2:5], v2 offset:16
	s_and_saveexec_b64 s[4:5], vcc
	s_cbranch_execz .LBB1181_13
; %bb.12:
	s_load_dwordx2 s[6:7], s[0:1], 0x40
	v_add_u32_e32 v32, s48, v28
	v_ashrrev_i32_e32 v33, 31, v32
	s_waitcnt lgkmcnt(0)
	v_lshl_add_u64 v[32:33], v[32:33], 2, s[6:7]
	global_load_dword v44, v[32:33], off
.LBB1181_13:
	s_or_b64 exec, exec, s[4:5]
	s_ashr_i32 s4, s16, 31
	v_or_b32_e32 v45, s16, v27
	s_lshr_b32 s13, s4, 27
	v_add_u32_e32 v27, s13, v45
	v_ashrrev_i32_e32 v27, 5, v27
	s_waitcnt vmcnt(3)
	v_cvt_pk_f32_fp8_e32 v[34:35], v22
	v_cvt_pk_f32_fp8_sdwa v[36:37], v22 src0_sel:WORD_1
	s_waitcnt vmcnt(2)
	v_cvt_pk_f32_fp8_e32 v[56:57], v20
	v_cvt_pk_f32_fp8_sdwa v[58:59], v20 src0_sel:WORD_1
	v_mov_b32_e32 v20, s17
	v_cmp_gt_i32_e32 vcc, s29, v45
	v_cvt_pk_f32_fp8_e32 v[48:49], v18
	v_cvt_pk_f32_fp8_sdwa v[50:51], v18 src0_sel:WORD_1
	v_cndmask_b32_e32 v18, v20, v27, vcc
	v_cvt_pk_f32_fp8_e32 v[52:53], v19
	v_cvt_pk_f32_fp8_sdwa v[54:55], v19 src0_sel:WORD_1
	v_ashrrev_i32_e32 v19, 31, v18
	v_lshl_add_u64 v[18:19], v[18:19], 2, s[8:9]
	s_mov_b32 s33, 0x7060302
	v_cvt_pk_f32_fp8_e32 v[32:33], v23
	v_cvt_pk_f32_fp8_sdwa v[22:23], v23 src0_sel:WORD_1
	global_load_dword v70, v[18:19], off
	v_perm_b32 v18, v35, v34, s33
	v_perm_b32 v19, v37, v36, s33
	v_cvt_pk_f32_fp8_e32 v[60:61], v21
	v_cvt_pk_f32_fp8_sdwa v[62:63], v21 src0_sel:WORD_1
	v_or_b32_e32 v21, 64, v45
	v_or_b32_e32 v34, 0x80, v45
	;; [unrolled: 1-line block ×3, first 2 shown]
	v_cmp_gt_i32_e32 vcc, s29, v21
	v_add_u32_e32 v21, s13, v21
	v_cmp_gt_i32_e64 s[4:5], s29, v34
	v_add_u32_e32 v34, s13, v34
	v_cmp_gt_i32_e64 s[6:7], s29, v35
	v_add_u32_e32 v35, s13, v35
	v_cvt_pk_f32_fp8_e32 v[38:39], v24
	v_cvt_pk_f32_fp8_sdwa v[40:41], v24 src0_sel:WORD_1
	v_cvt_pk_f32_fp8_e32 v[46:47], v25
	v_ashrrev_i32_e32 v21, 5, v21
	v_ashrrev_i32_e32 v34, 5, v34
	;; [unrolled: 1-line block ×3, first 2 shown]
	v_perm_b32 v32, v33, v32, s33
	v_perm_b32 v33, v23, v22, s33
	;; [unrolled: 1-line block ×4, first 2 shown]
	v_cvt_pk_f32_fp8_sdwa v[24:25], v25 src0_sel:WORD_1
	v_cndmask_b32_e32 v36, v20, v21, vcc
	v_cndmask_b32_e64 v64, v20, v34, s[4:5]
	v_cndmask_b32_e64 v66, v20, v35, s[6:7]
	s_waitcnt lgkmcnt(1)
	v_mfma_f32_16x16x16_bf16 v[18:21], v[18:19], v[10:11], 0
	v_perm_b32 v38, v39, v38, s33
	v_perm_b32 v39, v41, v40, s33
	;; [unrolled: 1-line block ×5, first 2 shown]
	s_load_dword s14, s[0:1], 0x1c
	s_load_dwordx4 s[40:43], s[0:1], 0x80
	v_perm_b32 v69, v25, v24, s33
	v_mfma_f32_16x16x16_bf16 v[22:25], v[22:23], v[10:11], 0
	s_add_u32 s10, s10, s12
	v_and_b32_e32 v30, 16, v0
	v_lshlrev_b32_e32 v27, 5, v28
	v_mfma_f32_16x16x16_bf16 v[32:35], v[32:33], v[12:13], v[18:21]
	s_addc_u32 s11, s11, 0
	v_lshl_add_u64 v[40:41], s[10:11], 0, v[30:31]
	v_lshl_or_b32 v30, v29, 9, v27
	v_ashrrev_i32_e32 v37, 31, v36
	v_ashrrev_i32_e32 v65, 31, v64
	;; [unrolled: 1-line block ×3, first 2 shown]
	v_perm_b32 v48, v57, v56, s33
	v_perm_b32 v49, v59, v58, s33
	v_mfma_f32_16x16x16_bf16 v[20:23], v[46:47], v[12:13], v[22:25]
	v_lshl_add_u64 v[18:19], v[40:41], 0, v[30:31]
	s_waitcnt lgkmcnt(0)
	s_load_dword s6, s[40:41], 0x0
	v_perm_b32 v50, v61, v60, s33
	v_mfma_f32_16x16x16_bf16 v[30:33], v[38:39], v[2:3], v[32:35]
	v_lshl_add_u64 v[24:25], v[36:37], 2, s[8:9]
	v_lshl_add_u64 v[36:37], v[66:67], 2, s[8:9]
	v_perm_b32 v51, v63, v62, s33
	v_lshl_add_u64 v[34:35], v[64:65], 2, s[8:9]
	global_load_dword v47, v[24:25], off
	global_load_dword v45, v[34:35], off
	global_load_dword v46, v[36:37], off
	s_waitcnt vmcnt(5)
	v_cvt_pk_f32_fp8_e32 v[34:35], v14
	v_cvt_pk_f32_fp8_sdwa v[36:37], v14 src0_sel:WORD_1
	v_mfma_f32_16x16x16_bf16 v[20:23], v[48:49], v[2:3], v[20:23]
	v_cvt_pk_f32_fp8_e32 v[38:39], v15
	v_perm_b32 v34, v35, v34, s33
	v_perm_b32 v35, v37, v36, s33
	v_cvt_pk_f32_fp8_sdwa v[14:15], v15 src0_sel:WORD_1
	v_mov_b32_e32 v40, s14
	s_waitcnt lgkmcnt(0)
	v_mul_f32_e32 v48, s6, v40
	v_mfma_f32_16x16x16_bf16 v[20:23], v[50:51], v[4:5], v[20:23]
	v_perm_b32 v38, v39, v38, s33
	v_cvt_pk_f32_fp8_e32 v[40:41], v16
	v_cvt_pk_f32_fp8_sdwa v[50:51], v16 src0_sel:WORD_1
	v_perm_b32 v39, v15, v14, s33
	v_mfma_f32_16x16x16_bf16 v[34:37], v[34:35], v[10:11], 0
	v_perm_b32 v40, v41, v40, s33
	v_perm_b32 v41, v51, v50, s33
	v_cvt_pk_f32_fp8_e32 v[50:51], v17
	v_cvt_pk_f32_fp8_sdwa v[52:53], v17 src0_sel:WORD_1
	v_mfma_f32_16x16x16_bf16 v[30:33], v[68:69], v[4:5], v[30:33]
	s_mov_b32 s44, 0xff7fffff
	s_waitcnt vmcnt(3)
	v_mad_i64_i32 v[24:25], s[4:5], v70, s45, v[18:19]
	v_mfma_f32_16x16x16_bf16 v[14:17], v[38:39], v[12:13], v[34:37]
	s_nop 2
	v_perm_b32 v34, v51, v50, s33
	v_perm_b32 v35, v53, v52, s33
	v_mfma_f32_16x16x16_bf16 v[14:17], v[40:41], v[2:3], v[14:17]
	v_pk_mul_f32 v[38:39], v[48:49], v[30:31] op_sel_hi:[0,1]
	v_cvt_pk_f32_fp8_e32 v[30:31], v6
	v_cvt_pk_f32_fp8_sdwa v[36:37], v6 src0_sel:WORD_1
	v_mfma_f32_16x16x16_bf16 v[14:17], v[34:35], v[4:5], v[14:17]
	v_cvt_pk_f32_fp8_e32 v[34:35], v7
	v_perm_b32 v30, v31, v30, s33
	v_perm_b32 v31, v37, v36, s33
	v_cvt_pk_f32_fp8_sdwa v[6:7], v7 src0_sel:WORD_1
	v_perm_b32 v40, v35, v34, s33
	v_cvt_pk_f32_fp8_e32 v[50:51], v8
	v_cvt_pk_f32_fp8_sdwa v[52:53], v8 src0_sel:WORD_1
	v_perm_b32 v41, v7, v6, s33
	v_mfma_f32_16x16x16_bf16 v[34:37], v[30:31], v[10:11], 0
	v_perm_b32 v10, v51, v50, s33
	v_perm_b32 v11, v53, v52, s33
	v_cvt_pk_f32_fp8_e32 v[30:31], v9
	v_cvt_pk_f32_fp8_sdwa v[50:51], v9 src0_sel:WORD_1
	v_mfma_f32_16x16x16_bf16 v[6:9], v[40:41], v[12:13], v[34:37]
	v_pk_mul_f32 v[40:41], v[48:49], v[20:21] op_sel_hi:[0,1]
	v_perm_b32 v12, v31, v30, s33
	v_perm_b32 v13, v51, v50, s33
	v_mfma_f32_16x16x16_bf16 v[6:9], v[10:11], v[2:3], v[6:9]
	v_pk_mul_f32 v[36:37], v[48:49], v[22:23] op_sel_hi:[0,1]
	v_pk_mul_f32 v[32:33], v[48:49], v[32:33] op_sel_hi:[0,1]
	;; [unrolled: 1-line block ×3, first 2 shown]
	v_mfma_f32_16x16x16_bf16 v[2:5], v[12:13], v[4:5], v[6:9]
	v_pk_mul_f32 v[34:35], v[48:49], v[14:15] op_sel_hi:[0,1]
	s_nop 5
	v_pk_mul_f32 v[22:23], v[48:49], v[2:3] op_sel_hi:[0,1]
	v_and_b32_e32 v2, 0xc0, v0
	v_add_u32_e32 v2, s16, v2
	v_lshl_or_b32 v2, v42, 2, v2
	v_or_b32_e32 v3, 1, v2
	v_pk_mul_f32 v[20:21], v[48:49], v[4:5] op_sel_hi:[0,1]
	v_subrev_u32_e32 v4, s29, v3
	v_add_u32_e32 v6, 1, v4
	v_add_u32_e32 v7, 2, v4
	;; [unrolled: 1-line block ×3, first 2 shown]
	v_cvt_f32_i32_e32 v6, v6
	v_cvt_f32_i32_e32 v7, v7
	;; [unrolled: 1-line block ×3, first 2 shown]
	v_add_u32_e32 v9, 19, v4
	v_fmac_f32_e32 v39, v44, v6
	v_fma_f32 v32, v44, v7, v32
	v_fmac_f32_e32 v33, v44, v8
	v_add_u32_e32 v6, 16, v4
	v_add_u32_e32 v7, 17, v4
	;; [unrolled: 1-line block ×3, first 2 shown]
	v_cvt_f32_i32_e32 v6, v6
	v_cvt_f32_i32_e32 v7, v7
	;; [unrolled: 1-line block ×4, first 2 shown]
	v_fma_f32 v40, v44, v6, v40
	v_fmac_f32_e32 v41, v44, v7
	v_fma_f32 v36, v44, v8, v36
	v_add_u32_e32 v6, 32, v4
	v_add_u32_e32 v7, 33, v4
	v_add_u32_e32 v8, 34, v4
	v_cvt_f32_i32_e32 v6, v6
	v_cvt_f32_i32_e32 v7, v7
	;; [unrolled: 1-line block ×4, first 2 shown]
	v_fmac_f32_e32 v37, v44, v9
	v_add_u32_e32 v9, 35, v4
	v_fma_f32 v48, v44, v6, v34
	v_fmac_f32_e32 v35, v44, v7
	v_fma_f32 v30, v44, v8, v30
	v_add_u32_e32 v6, 48, v4
	v_add_u32_e32 v7, 49, v4
	;; [unrolled: 1-line block ×4, first 2 shown]
	v_cvt_f32_i32_e32 v4, v4
	v_cvt_f32_i32_e32 v6, v6
	;; [unrolled: 1-line block ×3, first 2 shown]
	v_fma_f32 v5, v44, v5, v38
	v_fmac_f32_e32 v21, v44, v4
	v_mov_b32_e32 v4, 0xff7fffff
	v_cmp_gt_i32_e64 s[4:5], s29, v2
	v_cmp_gt_i32_e64 s[34:35], s29, v3
	v_fma_f32 v22, v44, v6, v22
	v_cndmask_b32_e64 v6, v4, v5, s[4:5]
	v_cndmask_b32_e64 v3, v4, v39, s[34:35]
	v_fmac_f32_e32 v23, v44, v7
	v_max3_f32 v3, v6, s44, v3
	v_or_b32_e32 v6, 2, v2
	v_or_b32_e32 v7, 3, v2
	v_cmp_gt_i32_e64 s[36:37], s29, v6
	v_cmp_gt_i32_e64 s[38:39], s29, v7
	v_cvt_f32_i32_e32 v9, v9
	v_cndmask_b32_e64 v6, v4, v32, s[36:37]
	v_cndmask_b32_e64 v7, v4, v33, s[38:39]
	v_max3_f32 v3, v3, v6, v7
	v_or_b32_e32 v6, 16, v2
	v_or_b32_e32 v7, 17, v2
	v_cmp_gt_i32_e64 s[24:25], s29, v6
	v_cmp_gt_i32_e64 s[26:27], s29, v7
	v_fmac_f32_e32 v31, v44, v9
	v_cndmask_b32_e64 v6, v4, v40, s[24:25]
	v_cndmask_b32_e64 v7, v4, v41, s[26:27]
	v_max3_f32 v3, v3, v6, v7
	v_or_b32_e32 v6, 18, v2
	v_or_b32_e32 v7, 19, v2
	v_cmp_gt_i32_e64 s[20:21], s29, v6
	v_cmp_gt_i32_e64 s[22:23], s29, v7
	v_cvt_f32_i32_e32 v8, v8
	v_cndmask_b32_e64 v6, v4, v36, s[20:21]
	v_cndmask_b32_e64 v7, v4, v37, s[22:23]
	v_max3_f32 v3, v3, v6, v7
	v_or_b32_e32 v6, 32, v2
	v_or_b32_e32 v7, 33, v2
	v_cmp_gt_i32_e64 s[16:17], s29, v6
	v_cmp_gt_i32_e64 s[18:19], s29, v7
	v_fma_f32 v20, v44, v8, v20
	v_cndmask_b32_e64 v6, v4, v48, s[16:17]
	v_cndmask_b32_e64 v7, v4, v35, s[18:19]
	v_max3_f32 v3, v3, v6, v7
	v_or_b32_e32 v6, 34, v2
	v_or_b32_e32 v7, 35, v2
	v_cmp_gt_i32_e64 s[12:13], s29, v6
	v_cmp_gt_i32_e64 s[14:15], s29, v7
	s_nop 0
	v_cndmask_b32_e64 v6, v4, v30, s[12:13]
	v_cndmask_b32_e64 v7, v4, v31, s[14:15]
	v_max3_f32 v3, v3, v6, v7
	v_or_b32_e32 v6, 48, v2
	v_or_b32_e32 v7, 49, v2
	v_cmp_gt_i32_e64 s[8:9], s29, v6
	v_cmp_gt_i32_e64 s[10:11], s29, v7
	s_nop 0
	v_cndmask_b32_e64 v6, v4, v22, s[8:9]
	v_cndmask_b32_e64 v7, v4, v23, s[10:11]
	v_max3_f32 v3, v3, v6, v7
	v_or_b32_e32 v6, 50, v2
	v_or_b32_e32 v2, 51, v2
	v_cmp_gt_i32_e32 vcc, s29, v6
	v_cmp_gt_i32_e64 s[6:7], s29, v2
	s_nop 0
	v_cndmask_b32_e32 v6, v4, v20, vcc
	v_cndmask_b32_e64 v2, v4, v21, s[6:7]
	v_max3_f32 v4, v3, v6, v2
	v_mbcnt_lo_u32_b32 v2, -1, 0
	v_mbcnt_hi_u32_b32 v6, -1, v2
	v_and_b32_e32 v2, 64, v6
	v_add_u32_e32 v7, 64, v2
	v_xor_b32_e32 v2, 32, v6
	v_cmp_lt_i32_e64 s[40:41], v2, v7
	s_nop 1
	v_cndmask_b32_e64 v2, v6, v2, s[40:41]
	v_lshlrev_b32_e32 v44, 2, v2
	ds_bpermute_b32 v8, v44, v4
	s_waitcnt vmcnt(2)
	v_mad_i64_i32 v[2:3], s[40:41], v47, s45, v[18:19]
	global_load_dwordx4 v[14:17], v[24:25], off
	global_load_dwordx4 v[10:13], v[2:3], off
	v_xor_b32_e32 v3, 16, v6
	v_cmp_lt_i32_e64 s[40:41], v3, v7
	s_waitcnt lgkmcnt(0)
	v_max_f32_e32 v2, v8, v8
	v_max_f32_e32 v2, v4, v2
	v_cndmask_b32_e64 v3, v6, v3, s[40:41]
	v_lshlrev_b32_e32 v47, 2, v3
	ds_bpermute_b32 v3, v47, v2
	s_waitcnt vmcnt(3)
	v_mad_i64_i32 v[24:25], s[40:41], v45, s45, v[18:19]
	s_waitcnt vmcnt(2)
	v_mad_i64_i32 v[18:19], s[40:41], v46, s45, v[18:19]
	s_waitcnt lgkmcnt(0)
	v_max_f32_e32 v3, v3, v3
	v_max_f32_e32 v34, v2, v3
	v_sub_f32_e32 v2, v5, v34
	v_mul_f32_e32 v2, 0x3fb8aa3b, v2
	v_exp_f32_e32 v38, v2
	v_sub_f32_e32 v2, v39, v34
	v_mul_f32_e32 v2, 0x3fb8aa3b, v2
	v_exp_f32_e32 v39, v2
	global_load_dwordx4 v[6:9], v[24:25], off
	global_load_dwordx4 v[2:5], v[18:19], off
	v_sub_f32_e32 v25, v32, v34
	v_sub_f32_e32 v32, v33, v34
	v_mul_f32_e32 v25, 0x3fb8aa3b, v25
	v_mul_f32_e32 v32, 0x3fb8aa3b, v32
	v_exp_f32_e32 v25, v25
	v_exp_f32_e32 v32, v32
	v_cndmask_b32_e64 v18, 0, v38, s[4:5]
	v_cndmask_b32_e64 v19, 0, v39, s[34:35]
	;; [unrolled: 1-line block ×4, first 2 shown]
	v_sub_f32_e32 v25, v40, v34
	v_sub_f32_e32 v32, v41, v34
	v_mul_f32_e32 v25, 0x3fb8aa3b, v25
	v_mul_f32_e32 v32, 0x3fb8aa3b, v32
	v_exp_f32_e32 v25, v25
	v_exp_f32_e32 v32, v32
	v_add_f32_e32 v24, 0, v18
	v_add_f32_e32 v24, v24, v19
	;; [unrolled: 1-line block ×4, first 2 shown]
	v_cndmask_b32_e64 v24, 0, v25, s[24:25]
	v_cndmask_b32_e64 v25, 0, v32, s[26:27]
	v_sub_f32_e32 v32, v36, v34
	v_mul_f32_e32 v32, 0x3fb8aa3b, v32
	v_exp_f32_e32 v32, v32
	v_sub_f32_e32 v36, v37, v34
	v_add_f32_e32 v33, v33, v24
	v_mul_f32_e32 v36, 0x3fb8aa3b, v36
	v_exp_f32_e32 v37, v36
	v_add_f32_e32 v33, v33, v25
	v_cndmask_b32_e64 v36, 0, v32, s[20:21]
	v_add_f32_e32 v32, v33, v36
	v_sub_f32_e32 v33, v48, v34
	v_mul_f32_e32 v33, 0x3fb8aa3b, v33
	v_sub_f32_e32 v35, v35, v34
	v_exp_f32_e32 v33, v33
	v_mul_f32_e32 v35, 0x3fb8aa3b, v35
	v_sub_f32_e32 v30, v30, v34
	v_exp_f32_e32 v35, v35
	;; [unrolled: 3-line block ×3, first 2 shown]
	v_mul_f32_e32 v31, 0x3fb8aa3b, v31
	v_sub_f32_e32 v22, v22, v34
	v_cndmask_b32_e64 v37, 0, v37, s[22:23]
	v_exp_f32_e32 v31, v31
	v_mul_f32_e32 v22, 0x3fb8aa3b, v22
	v_sub_f32_e32 v23, v23, v34
	v_add_f32_e32 v40, v32, v37
	v_cndmask_b32_e64 v32, 0, v33, s[16:17]
	v_exp_f32_e32 v22, v22
	v_mul_f32_e32 v23, 0x3fb8aa3b, v23
	v_sub_f32_e32 v20, v20, v34
	v_add_f32_e32 v40, v40, v32
	v_cndmask_b32_e64 v33, 0, v35, s[18:19]
	v_exp_f32_e32 v23, v23
	v_mul_f32_e32 v20, 0x3fb8aa3b, v20
	v_sub_f32_e32 v21, v21, v34
	v_add_f32_e32 v35, v40, v33
	v_cndmask_b32_e64 v30, 0, v30, s[12:13]
	v_exp_f32_e32 v20, v20
	v_mul_f32_e32 v21, 0x3fb8aa3b, v21
	v_add_f32_e32 v35, v35, v30
	v_cndmask_b32_e64 v31, 0, v31, s[14:15]
	v_exp_f32_e32 v21, v21
	v_add_f32_e32 v35, v35, v31
	v_cndmask_b32_e64 v22, 0, v22, s[8:9]
	v_add_f32_e32 v35, v35, v22
	v_cndmask_b32_e64 v23, 0, v23, s[10:11]
	v_add_f32_e32 v35, v35, v23
	v_cndmask_b32_e32 v20, 0, v20, vcc
	v_add_f32_e32 v35, v35, v20
	v_cndmask_b32_e64 v21, 0, v21, s[6:7]
	v_add_f32_e32 v35, v35, v21
	ds_bpermute_b32 v40, v44, v35
	s_load_dword s7, s[0:1], 0x98
	v_cmp_gt_u32_e32 vcc, 16, v43
	s_waitcnt lgkmcnt(0)
	s_barrier
	v_add_f32_e32 v40, v35, v40
	ds_bpermute_b32 v41, v47, v40
	v_lshlrev_b32_e32 v35, 2, v28
	s_waitcnt lgkmcnt(0)
	s_and_saveexec_b64 s[4:5], vcc
	s_cbranch_execz .LBB1181_15
; %bb.14:
	v_add_f32_e32 v40, v40, v41
	v_lshl_or_b32 v41, v29, 6, v35
	ds_write2st64_b32 v41, v34, v40 offset1:1
.LBB1181_15:
	s_or_b64 exec, exec, s[4:5]
	s_load_dword s6, s[0:1], 0x94
	s_waitcnt lgkmcnt(0)
	s_barrier
	ds_read2_b32 v[40:41], v35 offset1:16
	ds_read2_b32 v[44:45], v35 offset0:32 offset1:48
	ds_read2_b32 v[46:47], v35 offset0:64 offset1:80
	s_movk_i32 s8, 0x7fff
	s_mul_i32 s7, s7, 14
	s_waitcnt lgkmcnt(2)
	v_max3_f32 v34, v40, s44, v41
	s_waitcnt lgkmcnt(1)
	v_max3_f32 v34, v34, v44, v45
	v_sub_f32_e32 v40, v40, v34
	v_mul_f32_e32 v40, 0x3fb8aa3b, v40
	v_exp_f32_e32 v43, v40
	v_sub_f32_e32 v40, v41, v34
	v_mul_f32_e32 v40, 0x3fb8aa3b, v40
	v_exp_f32_e32 v48, v40
	;; [unrolled: 3-line block ×3, first 2 shown]
	ds_read2_b32 v[40:41], v35 offset0:96 offset1:112
	v_sub_f32_e32 v35, v45, v34
	v_mul_f32_e32 v35, 0x3fb8aa3b, v35
	v_exp_f32_e32 v45, v35
	s_waitcnt lgkmcnt(1)
	v_fma_f32 v35, v43, v46, 0
	v_fmac_f32_e32 v35, v48, v47
	s_waitcnt lgkmcnt(0)
	v_fmac_f32_e32 v35, v44, v40
	v_fmac_f32_e32 v35, v45, v41
	v_add_f32_e32 v40, 0x358637bd, v35
	v_div_scale_f32 v41, s[4:5], v40, v40, 1.0
	v_rcp_f32_e32 v46, v41
	s_barrier
	v_fma_f32 v47, -v41, v46, 1.0
	v_fmac_f32_e32 v46, v47, v46
	v_div_scale_f32 v47, vcc, 1.0, v40, 1.0
	v_mul_f32_e32 v49, v47, v46
	v_fma_f32 v50, -v41, v49, v47
	v_fmac_f32_e32 v49, v50, v46
	v_fma_f32 v41, -v41, v49, v47
	v_div_fmas_f32 v41, v41, v46, v49
	v_cmp_eq_u32_e32 vcc, 1, v29
	v_div_fixup_f32 v40, v41, v40, 1.0
	s_nop 0
	v_cndmask_b32_e32 v41, v43, v48, vcc
	v_cmp_eq_u32_e32 vcc, 2, v29
	s_nop 1
	v_cndmask_b32_e32 v41, v41, v44, vcc
	v_cmp_eq_u32_e32 vcc, 3, v29
	s_nop 1
	v_cndmask_b32_e32 v41, v41, v45, vcc
	v_mul_f32_e32 v40, v41, v40
	v_pk_mul_f32 v[18:19], v[40:41], v[18:19] op_sel_hi:[0,1]
	v_pk_mul_f32 v[38:39], v[40:41], v[38:39] op_sel_hi:[0,1]
	v_bfe_u32 v41, v19, 16, 1
	v_bfe_u32 v43, v18, 16, 1
	v_add3_u32 v18, v18, v43, s8
	v_add3_u32 v19, v19, v41, s8
	v_perm_b32 v44, v19, v18, s33
	v_bfe_u32 v18, v39, 16, 1
	v_bfe_u32 v19, v38, 16, 1
	v_add3_u32 v19, v38, v19, s8
	v_add3_u32 v18, v39, v18, s8
	v_perm_b32 v45, v18, v19, s33
	v_lshlrev_b32_e32 v18, 3, v42
	v_lshlrev_b32_e32 v19, 11, v29
	v_pk_mul_f32 v[24:25], v[40:41], v[24:25] op_sel_hi:[0,1]
	v_or3_b32 v18, v19, v27, v18
	v_bfe_u32 v19, v25, 16, 1
	v_bfe_u32 v29, v24, 16, 1
	v_pk_mul_f32 v[36:37], v[40:41], v[36:37] op_sel_hi:[0,1]
	v_add3_u32 v24, v24, v29, s8
	v_add3_u32 v19, v25, v19, s8
	v_perm_b32 v24, v19, v24, s33
	v_bfe_u32 v19, v37, 16, 1
	v_bfe_u32 v25, v36, 16, 1
	v_add3_u32 v25, v36, v25, s8
	v_add3_u32 v19, v37, v19, s8
	v_perm_b32 v25, v19, v25, s33
	ds_write2st64_b64 v18, v[44:45], v[24:25] offset1:1
	v_pk_mul_f32 v[24:25], v[40:41], v[30:31] op_sel_hi:[0,1]
	v_pk_mul_f32 v[30:31], v[40:41], v[32:33] op_sel_hi:[0,1]
	v_bfe_u32 v19, v31, 16, 1
	v_bfe_u32 v29, v30, 16, 1
	v_add3_u32 v29, v30, v29, s8
	v_add3_u32 v19, v31, v19, s8
	v_perm_b32 v30, v19, v29, s33
	v_bfe_u32 v19, v25, 16, 1
	v_bfe_u32 v29, v24, 16, 1
	v_add3_u32 v24, v24, v29, s8
	v_add3_u32 v19, v25, v19, s8
	v_pk_mul_f32 v[22:23], v[40:41], v[22:23] op_sel_hi:[0,1]
	v_perm_b32 v31, v19, v24, s33
	v_bfe_u32 v19, v23, 16, 1
	v_bfe_u32 v24, v22, 16, 1
	v_pk_mul_f32 v[20:21], v[40:41], v[20:21] op_sel_hi:[0,1]
	v_add3_u32 v22, v22, v24, s8
	v_add3_u32 v19, v23, v19, s8
	v_perm_b32 v22, v19, v22, s33
	v_bfe_u32 v19, v21, 16, 1
	v_bfe_u32 v23, v20, 16, 1
	v_add3_u32 v20, v20, v23, s8
	v_add3_u32 v19, v21, v19, s8
	v_perm_b32 v23, v19, v20, s33
	v_cmp_gt_u32_e32 vcc, 14, v0
	ds_write2st64_b64 v18, v[30:31], v[22:23] offset0:2 offset1:3
	s_and_saveexec_b64 s[4:5], vcc
	s_cbranch_execz .LBB1181_17
; %bb.16:
	s_mov_b32 s49, 0
	v_mov_b32_e32 v29, 0
	v_lshl_add_u64 v[20:21], s[48:49], 0, v[28:29]
	v_mov_b32_e32 v19, s7
	v_mad_u64_u32 v[20:21], s[10:11], s2, v19, v[20:21]
	s_mul_i32 s3, s3, s7
	v_mov_b32_e32 v28, s28
	s_load_dwordx4 s[12:15], s[0:1], 0x58
	v_add_u32_e32 v19, s3, v21
	v_mad_u64_u32 v[20:21], s[10:11], v20, s6, v[28:29]
	v_mov_b32_e32 v22, v21
	v_mad_u64_u32 v[22:23], s[10:11], v19, s6, v[22:23]
	v_mov_b32_e32 v21, v22
	v_lshlrev_b64 v[20:21], 2, v[20:21]
	s_waitcnt lgkmcnt(0)
	v_lshl_add_u64 v[22:23], s[14:15], 0, v[20:21]
	v_lshl_add_u64 v[20:21], s[12:13], 0, v[20:21]
	global_store_dword v[22:23], v34, off
	global_store_dword v[20:21], v35, off
.LBB1181_17:
	s_or_b64 exec, exec, s[4:5]
	s_waitcnt vmcnt(3)
	v_cvt_pk_f32_fp8_e32 v[20:21], v14
	v_cvt_pk_f32_fp8_sdwa v[22:23], v14 src0_sel:WORD_1
	s_mov_b32 s4, 0x7060302
	v_lshl_or_b32 v14, v42, 9, v27
	s_waitcnt lgkmcnt(0)
	s_barrier
	v_perm_b32 v24, v21, v20, s4
	v_perm_b32 v25, v23, v22, s4
	v_cvt_pk_f32_fp8_e32 v[28:29], v15
	ds_read_b128 v[20:23], v14
	v_cvt_pk_f32_fp8_sdwa v[36:37], v15 src0_sel:WORD_1
	s_load_dword s10, s[42:43], 0x0
	v_perm_b32 v38, v29, v28, s4
	ds_read_b128 v[28:31], v14 offset:16
	v_perm_b32 v39, v37, v36, s4
	s_waitcnt lgkmcnt(0)
	v_mfma_f32_16x16x16_bf16 v[32:35], v[24:25], v[20:21], 0
	v_cvt_pk_f32_fp8_e32 v[24:25], v16
	v_cvt_pk_f32_fp8_sdwa v[36:37], v16 src0_sel:WORD_1
	v_cmp_gt_u32_e32 vcc, 64, v0
	v_mfma_f32_16x16x16_bf16 v[20:23], v[38:39], v[22:23], v[32:35]
	v_perm_b32 v24, v25, v24, s4
	v_perm_b32 v25, v37, v36, s4
	s_mov_b32 s3, 0
	v_cvt_pk_f32_fp8_e32 v[32:33], v17
	v_cvt_pk_f32_fp8_sdwa v[16:17], v17 src0_sel:WORD_1
	s_waitcnt vmcnt(2)
	v_cvt_pk_f32_fp8_sdwa v[34:35], v10 src0_sel:WORD_1
	v_mfma_f32_16x16x16_bf16 v[20:23], v[24:25], v[28:29], v[20:23]
	v_perm_b32 v36, v33, v32, s4
	v_cvt_pk_f32_fp8_e32 v[32:33], v10
	v_perm_b32 v37, v17, v16, s4
	v_perm_b32 v17, v35, v34, s4
	v_cvt_pk_f32_fp8_e32 v[24:25], v11
	v_perm_b32 v16, v33, v32, s4
	ds_read_b128 v[32:35], v14 offset:2048
	v_cvt_pk_f32_fp8_sdwa v[10:11], v11 src0_sel:WORD_1
	v_mfma_f32_16x16x16_bf16 v[20:23], v[36:37], v[30:31], v[20:23]
	ds_read_b128 v[28:31], v14 offset:2064
	v_perm_b32 v24, v25, v24, s4
	v_perm_b32 v25, v11, v10, s4
	s_waitcnt lgkmcnt(1)
	v_mfma_f32_16x16x16_bf16 v[20:23], v[16:17], v[32:33], v[20:23]
	v_cvt_pk_f32_fp8_e32 v[10:11], v12
	v_cvt_pk_f32_fp8_sdwa v[16:17], v12 src0_sel:WORD_1
	s_waitcnt vmcnt(1)
	v_cvt_pk_f32_fp8_sdwa v[32:33], v6 src0_sel:WORD_1
	v_mfma_f32_16x16x16_bf16 v[20:23], v[24:25], v[34:35], v[20:23]
	v_cvt_pk_f32_fp8_e32 v[24:25], v13
	v_perm_b32 v10, v11, v10, s4
	v_perm_b32 v11, v17, v16, s4
	v_cvt_pk_f32_fp8_sdwa v[12:13], v13 src0_sel:WORD_1
	v_perm_b32 v16, v25, v24, s4
	v_cvt_pk_f32_fp8_e32 v[24:25], v6
	v_mov_b32_e32 v27, 0
	v_perm_b32 v17, v13, v12, s4
	s_waitcnt lgkmcnt(0)
	v_mfma_f32_16x16x16_bf16 v[10:13], v[10:11], v[28:29], v[20:23]
	v_perm_b32 v24, v25, v24, s4
	v_perm_b32 v25, v33, v32, s4
	v_cvt_pk_f32_fp8_e32 v[28:29], v7
	ds_read_b128 v[20:23], v14 offset:4096
	v_cvt_pk_f32_fp8_sdwa v[6:7], v7 src0_sel:WORD_1
	v_mfma_f32_16x16x16_bf16 v[10:13], v[16:17], v[30:31], v[10:13]
	v_perm_b32 v16, v29, v28, s4
	ds_read_b128 v[28:31], v14 offset:4112
	v_perm_b32 v17, v7, v6, s4
	s_waitcnt lgkmcnt(1)
	v_mfma_f32_16x16x16_bf16 v[10:13], v[24:25], v[20:21], v[10:13]
	v_cvt_pk_f32_fp8_e32 v[6:7], v8
	v_cvt_pk_f32_fp8_sdwa v[20:21], v8 src0_sel:WORD_1
	v_perm_b32 v6, v7, v6, s4
	v_mfma_f32_16x16x16_bf16 v[10:13], v[16:17], v[22:23], v[10:13]
	v_cvt_pk_f32_fp8_e32 v[16:17], v9
	v_perm_b32 v7, v21, v20, s4
	v_cvt_pk_f32_fp8_sdwa v[8:9], v9 src0_sel:WORD_1
	s_waitcnt vmcnt(0)
	v_cvt_pk_f32_fp8_e32 v[20:21], v2
	v_perm_b32 v16, v17, v16, s4
	v_cvt_pk_f32_fp8_sdwa v[22:23], v2 src0_sel:WORD_1
	v_perm_b32 v17, v9, v8, s4
	s_waitcnt lgkmcnt(0)
	v_mfma_f32_16x16x16_bf16 v[6:9], v[6:7], v[28:29], v[10:13]
	v_perm_b32 v20, v21, v20, s4
	v_perm_b32 v21, v23, v22, s4
	v_cvt_pk_f32_fp8_e32 v[22:23], v3
	ds_read_b128 v[10:13], v14 offset:6144
	v_cvt_pk_f32_fp8_sdwa v[2:3], v3 src0_sel:WORD_1
	v_mfma_f32_16x16x16_bf16 v[6:9], v[16:17], v[30:31], v[6:9]
	v_perm_b32 v22, v23, v22, s4
	ds_read_b128 v[14:17], v14 offset:6160
	v_perm_b32 v23, v3, v2, s4
	s_waitcnt lgkmcnt(1)
	v_mfma_f32_16x16x16_bf16 v[6:9], v[20:21], v[10:11], v[6:9]
	v_cvt_pk_f32_fp8_e32 v[2:3], v4
	v_cvt_pk_f32_fp8_sdwa v[10:11], v4 src0_sel:WORD_1
	s_waitcnt lgkmcnt(0)
	v_mfma_f32_16x16x16_bf16 v[6:9], v[22:23], v[12:13], v[6:9]
	v_perm_b32 v2, v3, v2, s4
	v_perm_b32 v3, v11, v10, s4
	v_cvt_pk_f32_fp8_e32 v[10:11], v5
	v_cvt_pk_f32_fp8_sdwa v[4:5], v5 src0_sel:WORD_1
	s_barrier
	v_perm_b32 v10, v11, v10, s4
	v_perm_b32 v11, v5, v4, s4
	v_mfma_f32_16x16x16_bf16 v[2:5], v[2:3], v[14:15], v[6:9]
	s_nop 0
	v_mfma_f32_16x16x16_bf16 v[2:5], v[10:11], v[16:17], v[2:5]
	s_nop 6
	v_pk_mul_f32 v[2:3], v[2:3], s[10:11] op_sel_hi:[1,0]
	v_pk_mul_f32 v[4:5], v[4:5], s[10:11] op_sel_hi:[1,0]
	v_bfe_u32 v6, v3, 16, 1
	v_bfe_u32 v7, v2, 16, 1
	v_add3_u32 v2, v2, v7, s8
	v_add3_u32 v3, v3, v6, s8
	v_perm_b32 v2, v3, v2, s4
	v_bfe_u32 v3, v5, 16, 1
	v_bfe_u32 v6, v4, 16, 1
	v_add3_u32 v4, v4, v6, s8
	v_add3_u32 v3, v5, v3, s8
	v_perm_b32 v3, v3, v4, s4
	s_and_b64 s[4:5], vcc, s[30:31]
	ds_write_b64 v18, v[2:3]
	s_waitcnt lgkmcnt(0)
	s_barrier
	s_and_saveexec_b64 s[8:9], s[4:5]
	s_cbranch_execz .LBB1181_20
; %bb.18:
	s_load_dwordx2 s[4:5], s[0:1], 0x68
	s_lshl_b32 s0, s6, 6
	s_mul_i32 s1, s7, s2
	s_mul_hi_u32 s7, s1, s0
	s_mul_i32 s6, s1, s0
	v_lshlrev_b32_e32 v0, 10, v0
	s_lshl_b64 s[6:7], s[6:7], 1
	v_and_b32_e32 v0, 0x1800, v0
	v_lshlrev_b32_e32 v2, 5, v42
	v_and_b32_e32 v1, 16, v1
	s_waitcnt lgkmcnt(0)
	s_add_u32 s1, s4, s6
	v_or3_b32 v2, v0, v2, v1
	s_addc_u32 s4, s5, s7
	s_lshl_b32 s2, s28, 6
	ds_read_b128 v[4:7], v2 offset:256
	s_lshl_b64 s[2:3], s[2:3], 1
	ds_read_b128 v[8:11], v2 offset:128
	ds_read_b128 v[12:15], v2
	s_add_u32 s2, s1, s2
	s_addc_u32 s3, s4, s3
	v_add_u32_e32 v18, s48, v42
	v_lshl_add_u64 v[0:1], s[2:3], 0, v[26:27]
	v_mad_u64_u32 v[16:17], s[2:3], v18, s0, 0
	v_lshl_add_u64 v[16:17], v[16:17], 1, v[0:1]
	s_waitcnt lgkmcnt(0)
	global_store_dwordx4 v[16:17], v[12:15], off
	v_or_b32_e32 v3, 12, v42
	v_cmp_gt_u32_e32 vcc, 14, v3
	v_add_u32_e32 v12, 4, v18
	v_mad_u64_u32 v[12:13], s[2:3], v12, s0, 0
	v_lshl_add_u64 v[12:13], v[12:13], 1, v[0:1]
	global_store_dwordx4 v[12:13], v[8:11], off
	s_nop 1
	v_add_u32_e32 v8, 8, v18
	v_mad_u64_u32 v[8:9], s[2:3], v8, s0, 0
	v_lshl_add_u64 v[8:9], v[8:9], 1, v[0:1]
	global_store_dwordx4 v[8:9], v[4:7], off
	s_and_b64 exec, exec, vcc
	s_cbranch_execz .LBB1181_20
; %bb.19:
	ds_read_b128 v[4:7], v2 offset:384
	v_add_u32_e32 v2, s48, v3
	v_mad_u64_u32 v[2:3], s[0:1], v2, s0, 0
	v_lshl_add_u64 v[0:1], v[2:3], 1, v[0:1]
	s_waitcnt lgkmcnt(0)
	global_store_dwordx4 v[0:1], v[4:7], off
.LBB1181_20:
	s_endpgm
	.section	.rodata,"a",@progbits
	.p2align	6, 0x0
	.amdhsa_kernel _Z39paged_attention_ll4mi_QKV_mfma16_kernelI14__hip_bfloat16hLN4vllm18Fp8KVCacheDataTypeE1EhLi32ELi64ELi256ELb1ELi14EEvPKT_PKT0_S8_ifPKiSA_SA_iPKfiiiPfSD_PS3_PT2_iSC_SC_
		.amdhsa_group_segment_fixed_size 8192
		.amdhsa_private_segment_fixed_size 0
		.amdhsa_kernarg_size 400
		.amdhsa_user_sgpr_count 2
		.amdhsa_user_sgpr_dispatch_ptr 0
		.amdhsa_user_sgpr_queue_ptr 0
		.amdhsa_user_sgpr_kernarg_segment_ptr 1
		.amdhsa_user_sgpr_dispatch_id 0
		.amdhsa_user_sgpr_kernarg_preload_length 0
		.amdhsa_user_sgpr_kernarg_preload_offset 0
		.amdhsa_user_sgpr_private_segment_size 0
		.amdhsa_uses_dynamic_stack 0
		.amdhsa_enable_private_segment 0
		.amdhsa_system_sgpr_workgroup_id_x 1
		.amdhsa_system_sgpr_workgroup_id_y 1
		.amdhsa_system_sgpr_workgroup_id_z 1
		.amdhsa_system_sgpr_workgroup_info 0
		.amdhsa_system_vgpr_workitem_id 0
		.amdhsa_next_free_vgpr 71
		.amdhsa_next_free_sgpr 50
		.amdhsa_accum_offset 72
		.amdhsa_reserve_vcc 1
		.amdhsa_float_round_mode_32 0
		.amdhsa_float_round_mode_16_64 0
		.amdhsa_float_denorm_mode_32 3
		.amdhsa_float_denorm_mode_16_64 3
		.amdhsa_dx10_clamp 1
		.amdhsa_ieee_mode 1
		.amdhsa_fp16_overflow 0
		.amdhsa_tg_split 0
		.amdhsa_exception_fp_ieee_invalid_op 0
		.amdhsa_exception_fp_denorm_src 0
		.amdhsa_exception_fp_ieee_div_zero 0
		.amdhsa_exception_fp_ieee_overflow 0
		.amdhsa_exception_fp_ieee_underflow 0
		.amdhsa_exception_fp_ieee_inexact 0
		.amdhsa_exception_int_div_zero 0
	.end_amdhsa_kernel
	.section	.text._Z39paged_attention_ll4mi_QKV_mfma16_kernelI14__hip_bfloat16hLN4vllm18Fp8KVCacheDataTypeE1EhLi32ELi64ELi256ELb1ELi14EEvPKT_PKT0_S8_ifPKiSA_SA_iPKfiiiPfSD_PS3_PT2_iSC_SC_,"axG",@progbits,_Z39paged_attention_ll4mi_QKV_mfma16_kernelI14__hip_bfloat16hLN4vllm18Fp8KVCacheDataTypeE1EhLi32ELi64ELi256ELb1ELi14EEvPKT_PKT0_S8_ifPKiSA_SA_iPKfiiiPfSD_PS3_PT2_iSC_SC_,comdat
.Lfunc_end1181:
	.size	_Z39paged_attention_ll4mi_QKV_mfma16_kernelI14__hip_bfloat16hLN4vllm18Fp8KVCacheDataTypeE1EhLi32ELi64ELi256ELb1ELi14EEvPKT_PKT0_S8_ifPKiSA_SA_iPKfiiiPfSD_PS3_PT2_iSC_SC_, .Lfunc_end1181-_Z39paged_attention_ll4mi_QKV_mfma16_kernelI14__hip_bfloat16hLN4vllm18Fp8KVCacheDataTypeE1EhLi32ELi64ELi256ELb1ELi14EEvPKT_PKT0_S8_ifPKiSA_SA_iPKfiiiPfSD_PS3_PT2_iSC_SC_
                                        ; -- End function
	.section	.AMDGPU.csdata,"",@progbits
; Kernel info:
; codeLenInByte = 5272
; NumSgprs: 56
; NumVgprs: 71
; NumAgprs: 0
; TotalNumVgprs: 71
; ScratchSize: 0
; MemoryBound: 0
; FloatMode: 240
; IeeeMode: 1
; LDSByteSize: 8192 bytes/workgroup (compile time only)
; SGPRBlocks: 6
; VGPRBlocks: 8
; NumSGPRsForWavesPerEU: 56
; NumVGPRsForWavesPerEU: 71
; AccumOffset: 72
; Occupancy: 7
; WaveLimiterHint : 1
; COMPUTE_PGM_RSRC2:SCRATCH_EN: 0
; COMPUTE_PGM_RSRC2:USER_SGPR: 2
; COMPUTE_PGM_RSRC2:TRAP_HANDLER: 0
; COMPUTE_PGM_RSRC2:TGID_X_EN: 1
; COMPUTE_PGM_RSRC2:TGID_Y_EN: 1
; COMPUTE_PGM_RSRC2:TGID_Z_EN: 1
; COMPUTE_PGM_RSRC2:TIDIG_COMP_CNT: 0
; COMPUTE_PGM_RSRC3_GFX90A:ACCUM_OFFSET: 17
; COMPUTE_PGM_RSRC3_GFX90A:TG_SPLIT: 0
	.section	.text._Z39paged_attention_ll4mi_QKV_mfma16_kernelI14__hip_bfloat16hLN4vllm18Fp8KVCacheDataTypeE1EhLi32ELi64ELi256ELb1ELi15EEvPKT_PKT0_S8_ifPKiSA_SA_iPKfiiiPfSD_PS3_PT2_iSC_SC_,"axG",@progbits,_Z39paged_attention_ll4mi_QKV_mfma16_kernelI14__hip_bfloat16hLN4vllm18Fp8KVCacheDataTypeE1EhLi32ELi64ELi256ELb1ELi15EEvPKT_PKT0_S8_ifPKiSA_SA_iPKfiiiPfSD_PS3_PT2_iSC_SC_,comdat
	.protected	_Z39paged_attention_ll4mi_QKV_mfma16_kernelI14__hip_bfloat16hLN4vllm18Fp8KVCacheDataTypeE1EhLi32ELi64ELi256ELb1ELi15EEvPKT_PKT0_S8_ifPKiSA_SA_iPKfiiiPfSD_PS3_PT2_iSC_SC_ ; -- Begin function _Z39paged_attention_ll4mi_QKV_mfma16_kernelI14__hip_bfloat16hLN4vllm18Fp8KVCacheDataTypeE1EhLi32ELi64ELi256ELb1ELi15EEvPKT_PKT0_S8_ifPKiSA_SA_iPKfiiiPfSD_PS3_PT2_iSC_SC_
	.globl	_Z39paged_attention_ll4mi_QKV_mfma16_kernelI14__hip_bfloat16hLN4vllm18Fp8KVCacheDataTypeE1EhLi32ELi64ELi256ELb1ELi15EEvPKT_PKT0_S8_ifPKiSA_SA_iPKfiiiPfSD_PS3_PT2_iSC_SC_
	.p2align	8
	.type	_Z39paged_attention_ll4mi_QKV_mfma16_kernelI14__hip_bfloat16hLN4vllm18Fp8KVCacheDataTypeE1EhLi32ELi64ELi256ELb1ELi15EEvPKT_PKT0_S8_ifPKiSA_SA_iPKfiiiPfSD_PS3_PT2_iSC_SC_,@function
_Z39paged_attention_ll4mi_QKV_mfma16_kernelI14__hip_bfloat16hLN4vllm18Fp8KVCacheDataTypeE1EhLi32ELi64ELi256ELb1ELi15EEvPKT_PKT0_S8_ifPKiSA_SA_iPKfiiiPfSD_PS3_PT2_iSC_SC_: ; @_Z39paged_attention_ll4mi_QKV_mfma16_kernelI14__hip_bfloat16hLN4vllm18Fp8KVCacheDataTypeE1EhLi32ELi64ELi256ELb1ELi15EEvPKT_PKT0_S8_ifPKiSA_SA_iPKfiiiPfSD_PS3_PT2_iSC_SC_
; %bb.0:
	s_load_dwordx2 s[6:7], s[0:1], 0x30
	s_mov_b32 s28, s3
	s_mov_b64 s[8:9], 0
	s_waitcnt lgkmcnt(0)
	s_cmp_lg_u64 s[6:7], 0
	s_cselect_b64 s[10:11], -1, 0
	s_and_b64 vcc, exec, s[10:11]
	s_cbranch_vccz .LBB1182_7
; %bb.1:
	s_add_i32 s12, s2, 1
	s_mov_b32 s13, 0
	s_lshl_b64 s[14:15], s[12:13], 2
	s_add_u32 s14, s6, s14
	s_mov_b32 s3, s13
	s_addc_u32 s15, s7, s15
	s_lshl_b64 s[12:13], s[2:3], 2
	s_add_u32 s12, s6, s12
	s_addc_u32 s13, s7, s13
	s_load_dword s5, s[14:15], 0x0
	s_load_dword s16, s[12:13], 0x0
	s_waitcnt lgkmcnt(0)
	s_sub_i32 s5, s5, s16
	s_cmp_eq_u32 s5, 1
	s_cselect_b64 s[12:13], -1, 0
	s_andn2_b64 vcc, exec, s[8:9]
	s_cbranch_vccnz .LBB1182_3
.LBB1182_2:
	s_mov_b32 s3, 0
	s_mov_b64 s[12:13], -1
.LBB1182_3:
	s_andn2_b64 vcc, exec, s[12:13]
	s_cbranch_vccnz .LBB1182_20
; %bb.4:
	s_load_dwordx2 s[8:9], s[0:1], 0x28
	s_lshl_b64 s[12:13], s[2:3], 2
	s_waitcnt lgkmcnt(0)
	s_add_u32 s8, s8, s12
	s_addc_u32 s9, s9, s13
	s_load_dword s29, s[8:9], 0x0
	s_lshl_b32 s16, s28, 8
	s_waitcnt lgkmcnt(0)
	s_cmp_ge_i32 s16, s29
	s_cbranch_scc1 .LBB1182_20
; %bb.5:
	s_load_dwordx2 s[8:9], s[0:1], 0x20
	s_load_dword s5, s[0:1], 0x38
	s_add_i32 s14, s29, 31
	s_ashr_i32 s15, s14, 31
	v_and_b32_e32 v1, 0xcf, v0
	s_lshr_b32 s15, s15, 27
	v_add_u32_e32 v1, s16, v1
	s_add_i32 s14, s14, s15
	v_ashrrev_i32_e32 v2, 31, v1
	s_ashr_i32 s17, s14, 5
	v_lshrrev_b32_e32 v4, 27, v2
	s_add_i32 s17, s17, -1
	s_waitcnt lgkmcnt(0)
	s_mul_i32 s14, s2, s5
	s_mov_b32 s15, 0
	v_add_u32_e32 v2, v1, v4
	s_lshl_b64 s[14:15], s[14:15], 2
	v_ashrrev_i32_e32 v2, 5, v2
	v_mov_b32_e32 v5, s17
	v_cmp_gt_i32_e32 vcc, s29, v1
	s_add_u32 s8, s8, s14
	s_addc_u32 s9, s9, s15
	v_cndmask_b32_e32 v2, v5, v2, vcc
	v_ashrrev_i32_e32 v3, 31, v2
	v_lshl_add_u64 v[6:7], v[2:3], 2, s[8:9]
	v_or_b32_e32 v2, 16, v1
	v_add_u32_e32 v3, v2, v4
	v_ashrrev_i32_e32 v3, 5, v3
	v_cmp_gt_i32_e32 vcc, s29, v2
	s_load_dwordx2 s[14:15], s[0:1], 0x8
	s_nop 0
	v_cndmask_b32_e32 v2, v5, v3, vcc
	v_ashrrev_i32_e32 v3, 31, v2
	v_lshl_add_u64 v[8:9], v[2:3], 2, s[8:9]
	v_or_b32_e32 v2, 32, v1
	v_add_u32_e32 v3, v2, v4
	v_ashrrev_i32_e32 v3, 5, v3
	v_cmp_gt_i32_e32 vcc, s29, v2
	v_or_b32_e32 v1, 48, v1
	s_nop 0
	v_cndmask_b32_e32 v2, v5, v3, vcc
	v_ashrrev_i32_e32 v3, 31, v2
	v_lshl_add_u64 v[10:11], v[2:3], 2, s[8:9]
	v_add_u32_e32 v2, v1, v4
	v_ashrrev_i32_e32 v2, 5, v2
	v_cmp_gt_i32_e32 vcc, s29, v1
	s_nop 1
	v_cndmask_b32_e32 v2, v5, v2, vcc
	v_ashrrev_i32_e32 v3, 31, v2
	v_lshl_add_u64 v[12:13], v[2:3], 2, s[8:9]
	global_load_dword v5, v[6:7], off
	global_load_dword v4, v[8:9], off
	;; [unrolled: 1-line block ×4, first 2 shown]
	s_andn2_b64 vcc, exec, s[10:11]
	s_cbranch_vccnz .LBB1182_8
; %bb.6:
	s_add_u32 s6, s6, s12
	s_addc_u32 s7, s7, s13
	s_load_dword s5, s[6:7], 0x0
	s_branch .LBB1182_9
.LBB1182_7:
	s_mov_b64 s[12:13], 0
	s_branch .LBB1182_2
.LBB1182_8:
	s_mov_b32 s5, s2
.LBB1182_9:
	s_load_dwordx2 s[10:11], s[0:1], 0x10
	s_load_dwordx4 s[44:47], s[0:1], 0x48
	v_lshrrev_b32_e32 v29, 6, v0
	v_bfe_u32 v42, v0, 4, 2
	v_lshl_or_b32 v6, v29, 2, v42
	v_and_b32_e32 v28, 15, v0
	v_lshlrev_b32_e32 v1, 3, v28
	v_cmp_gt_u32_e32 vcc, 15, v6
	v_cmp_gt_u32_e64 s[30:31], 8, v28
	s_mul_i32 s48, s4, 15
	s_and_b64 s[12:13], s[30:31], vcc
	v_lshlrev_b32_e32 v26, 1, v1
	v_lshlrev_b32_e32 v1, 4, v0
	s_and_saveexec_b64 s[6:7], s[12:13]
	s_cbranch_execz .LBB1182_11
; %bb.10:
	s_load_dwordx2 s[12:13], s[0:1], 0x0
	s_waitcnt lgkmcnt(0)
	s_ashr_i32 s18, s44, 31
	s_mul_hi_u32 s19, s5, s44
	s_mul_i32 s18, s5, s18
	s_add_i32 s19, s19, s18
	s_mul_i32 s18, s5, s44
	s_lshl_b64 s[18:19], s[18:19], 1
	s_add_u32 s12, s12, s18
	v_add_lshl_u32 v8, v6, s48, 6
	s_addc_u32 s13, s13, s19
	v_ashrrev_i32_e32 v9, 31, v8
	v_lshl_add_u64 v[8:9], v[8:9], 1, s[12:13]
	v_mov_b32_e32 v27, 0
	v_lshl_add_u64 v[8:9], v[8:9], 0, v[26:27]
	global_load_dwordx4 v[8:11], v[8:9], off
	v_lshlrev_b32_e32 v12, 8, v28
	v_lshlrev_b32_e32 v6, 5, v6
	v_and_b32_e32 v7, 16, v1
	v_and_b32_e32 v12, 0xe00, v12
	v_or3_b32 v6, v12, v6, v7
	s_waitcnt vmcnt(0)
	ds_write_b128 v6, v[8:11]
.LBB1182_11:
	s_or_b64 exec, exec, s[6:7]
	s_waitcnt lgkmcnt(0)
	s_mul_i32 s12, s4, s46
	s_add_u32 s4, s14, s12
	s_addc_u32 s5, s15, 0
	v_mov_b32_e32 v31, 0
	v_mov_b64_e32 v[6:7], s[4:5]
	v_lshlrev_b32_e32 v10, 4, v28
	v_and_b32_e32 v27, 48, v0
	s_waitcnt vmcnt(3)
	v_mad_i64_i32 v[8:9], s[4:5], v5, s45, v[6:7]
	v_mov_b32_e32 v11, v31
	s_waitcnt vmcnt(2)
	v_mad_i64_i32 v[4:5], s[4:5], v4, s45, v[6:7]
	v_or_b32_e32 v12, 0x100, v10
	v_mov_b32_e32 v13, v31
	v_lshlrev_b32_e32 v30, 5, v27
	v_lshl_add_u64 v[8:9], v[8:9], 0, v[10:11]
	v_lshl_add_u64 v[4:5], v[4:5], 0, v[12:13]
	;; [unrolled: 1-line block ×4, first 2 shown]
	s_barrier
	global_load_dwordx4 v[22:25], v[8:9], off
	global_load_dwordx4 v[18:21], v[4:5], off
	s_waitcnt vmcnt(3)
	v_mad_i64_i32 v[4:5], s[4:5], v3, s45, v[6:7]
	v_lshl_add_u64 v[4:5], v[4:5], 0, v[10:11]
	s_waitcnt vmcnt(2)
	v_mad_i64_i32 v[2:3], s[4:5], v2, s45, v[6:7]
	v_lshl_add_u64 v[4:5], v[4:5], 0, v[30:31]
	v_lshl_add_u64 v[2:3], v[2:3], 0, v[12:13]
	;; [unrolled: 1-line block ×3, first 2 shown]
	global_load_dwordx4 v[14:17], v[4:5], off
	global_load_dwordx4 v[6:9], v[2:3], off
	v_cmp_ne_u32_e32 vcc, 15, v28
	v_and_b32_e32 v43, 63, v0
	v_mov_b32_e32 v44, 0
	v_cndmask_b32_e32 v2, 0, v28, vcc
	v_lshlrev_b32_e32 v2, 5, v2
	v_lshl_or_b32 v2, v42, 9, v2
	ds_read_b128 v[10:13], v2
	ds_read_b128 v[2:5], v2 offset:16
	s_and_saveexec_b64 s[4:5], vcc
	s_cbranch_execz .LBB1182_13
; %bb.12:
	s_load_dwordx2 s[6:7], s[0:1], 0x40
	v_add_u32_e32 v32, s48, v28
	v_ashrrev_i32_e32 v33, 31, v32
	s_waitcnt lgkmcnt(0)
	v_lshl_add_u64 v[32:33], v[32:33], 2, s[6:7]
	global_load_dword v44, v[32:33], off
.LBB1182_13:
	s_or_b64 exec, exec, s[4:5]
	s_ashr_i32 s4, s16, 31
	v_or_b32_e32 v45, s16, v27
	s_lshr_b32 s13, s4, 27
	v_add_u32_e32 v27, s13, v45
	v_ashrrev_i32_e32 v27, 5, v27
	s_waitcnt vmcnt(3)
	v_cvt_pk_f32_fp8_e32 v[34:35], v22
	v_cvt_pk_f32_fp8_sdwa v[36:37], v22 src0_sel:WORD_1
	s_waitcnt vmcnt(2)
	v_cvt_pk_f32_fp8_e32 v[56:57], v20
	v_cvt_pk_f32_fp8_sdwa v[58:59], v20 src0_sel:WORD_1
	v_mov_b32_e32 v20, s17
	v_cmp_gt_i32_e32 vcc, s29, v45
	v_cvt_pk_f32_fp8_e32 v[48:49], v18
	v_cvt_pk_f32_fp8_sdwa v[50:51], v18 src0_sel:WORD_1
	v_cndmask_b32_e32 v18, v20, v27, vcc
	v_cvt_pk_f32_fp8_e32 v[52:53], v19
	v_cvt_pk_f32_fp8_sdwa v[54:55], v19 src0_sel:WORD_1
	v_ashrrev_i32_e32 v19, 31, v18
	v_lshl_add_u64 v[18:19], v[18:19], 2, s[8:9]
	s_mov_b32 s33, 0x7060302
	v_cvt_pk_f32_fp8_e32 v[32:33], v23
	v_cvt_pk_f32_fp8_sdwa v[22:23], v23 src0_sel:WORD_1
	global_load_dword v70, v[18:19], off
	v_perm_b32 v18, v35, v34, s33
	v_perm_b32 v19, v37, v36, s33
	v_cvt_pk_f32_fp8_e32 v[60:61], v21
	v_cvt_pk_f32_fp8_sdwa v[62:63], v21 src0_sel:WORD_1
	v_or_b32_e32 v21, 64, v45
	v_or_b32_e32 v34, 0x80, v45
	;; [unrolled: 1-line block ×3, first 2 shown]
	v_cmp_gt_i32_e32 vcc, s29, v21
	v_add_u32_e32 v21, s13, v21
	v_cmp_gt_i32_e64 s[4:5], s29, v34
	v_add_u32_e32 v34, s13, v34
	v_cmp_gt_i32_e64 s[6:7], s29, v35
	v_add_u32_e32 v35, s13, v35
	v_cvt_pk_f32_fp8_e32 v[38:39], v24
	v_cvt_pk_f32_fp8_sdwa v[40:41], v24 src0_sel:WORD_1
	v_cvt_pk_f32_fp8_e32 v[46:47], v25
	v_ashrrev_i32_e32 v21, 5, v21
	v_ashrrev_i32_e32 v34, 5, v34
	;; [unrolled: 1-line block ×3, first 2 shown]
	v_perm_b32 v32, v33, v32, s33
	v_perm_b32 v33, v23, v22, s33
	;; [unrolled: 1-line block ×4, first 2 shown]
	v_cvt_pk_f32_fp8_sdwa v[24:25], v25 src0_sel:WORD_1
	v_cndmask_b32_e32 v36, v20, v21, vcc
	v_cndmask_b32_e64 v64, v20, v34, s[4:5]
	v_cndmask_b32_e64 v66, v20, v35, s[6:7]
	s_waitcnt lgkmcnt(1)
	v_mfma_f32_16x16x16_bf16 v[18:21], v[18:19], v[10:11], 0
	v_perm_b32 v38, v39, v38, s33
	v_perm_b32 v39, v41, v40, s33
	;; [unrolled: 1-line block ×5, first 2 shown]
	s_load_dword s14, s[0:1], 0x1c
	s_load_dwordx4 s[40:43], s[0:1], 0x80
	v_perm_b32 v69, v25, v24, s33
	v_mfma_f32_16x16x16_bf16 v[22:25], v[22:23], v[10:11], 0
	s_add_u32 s10, s10, s12
	v_and_b32_e32 v30, 16, v0
	v_lshlrev_b32_e32 v27, 5, v28
	v_mfma_f32_16x16x16_bf16 v[32:35], v[32:33], v[12:13], v[18:21]
	s_addc_u32 s11, s11, 0
	v_lshl_add_u64 v[40:41], s[10:11], 0, v[30:31]
	v_lshl_or_b32 v30, v29, 9, v27
	v_ashrrev_i32_e32 v37, 31, v36
	v_ashrrev_i32_e32 v65, 31, v64
	;; [unrolled: 1-line block ×3, first 2 shown]
	v_perm_b32 v48, v57, v56, s33
	v_perm_b32 v49, v59, v58, s33
	v_mfma_f32_16x16x16_bf16 v[20:23], v[46:47], v[12:13], v[22:25]
	v_lshl_add_u64 v[18:19], v[40:41], 0, v[30:31]
	s_waitcnt lgkmcnt(0)
	s_load_dword s6, s[40:41], 0x0
	v_perm_b32 v50, v61, v60, s33
	v_mfma_f32_16x16x16_bf16 v[30:33], v[38:39], v[2:3], v[32:35]
	v_lshl_add_u64 v[24:25], v[36:37], 2, s[8:9]
	v_lshl_add_u64 v[36:37], v[66:67], 2, s[8:9]
	v_perm_b32 v51, v63, v62, s33
	v_lshl_add_u64 v[34:35], v[64:65], 2, s[8:9]
	global_load_dword v47, v[24:25], off
	global_load_dword v45, v[34:35], off
	;; [unrolled: 1-line block ×3, first 2 shown]
	s_waitcnt vmcnt(5)
	v_cvt_pk_f32_fp8_e32 v[34:35], v14
	v_cvt_pk_f32_fp8_sdwa v[36:37], v14 src0_sel:WORD_1
	v_mfma_f32_16x16x16_bf16 v[20:23], v[48:49], v[2:3], v[20:23]
	v_cvt_pk_f32_fp8_e32 v[38:39], v15
	v_perm_b32 v34, v35, v34, s33
	v_perm_b32 v35, v37, v36, s33
	v_cvt_pk_f32_fp8_sdwa v[14:15], v15 src0_sel:WORD_1
	v_mov_b32_e32 v40, s14
	s_waitcnt lgkmcnt(0)
	v_mul_f32_e32 v48, s6, v40
	v_mfma_f32_16x16x16_bf16 v[20:23], v[50:51], v[4:5], v[20:23]
	v_perm_b32 v38, v39, v38, s33
	v_cvt_pk_f32_fp8_e32 v[40:41], v16
	v_cvt_pk_f32_fp8_sdwa v[50:51], v16 src0_sel:WORD_1
	v_perm_b32 v39, v15, v14, s33
	v_mfma_f32_16x16x16_bf16 v[34:37], v[34:35], v[10:11], 0
	v_perm_b32 v40, v41, v40, s33
	v_perm_b32 v41, v51, v50, s33
	v_cvt_pk_f32_fp8_e32 v[50:51], v17
	v_cvt_pk_f32_fp8_sdwa v[52:53], v17 src0_sel:WORD_1
	v_mfma_f32_16x16x16_bf16 v[30:33], v[68:69], v[4:5], v[30:33]
	s_mov_b32 s44, 0xff7fffff
	s_waitcnt vmcnt(3)
	v_mad_i64_i32 v[24:25], s[4:5], v70, s45, v[18:19]
	v_mfma_f32_16x16x16_bf16 v[14:17], v[38:39], v[12:13], v[34:37]
	s_nop 2
	v_perm_b32 v34, v51, v50, s33
	v_perm_b32 v35, v53, v52, s33
	v_mfma_f32_16x16x16_bf16 v[14:17], v[40:41], v[2:3], v[14:17]
	v_pk_mul_f32 v[38:39], v[48:49], v[30:31] op_sel_hi:[0,1]
	v_cvt_pk_f32_fp8_e32 v[30:31], v6
	v_cvt_pk_f32_fp8_sdwa v[36:37], v6 src0_sel:WORD_1
	v_mfma_f32_16x16x16_bf16 v[14:17], v[34:35], v[4:5], v[14:17]
	v_cvt_pk_f32_fp8_e32 v[34:35], v7
	v_perm_b32 v30, v31, v30, s33
	v_perm_b32 v31, v37, v36, s33
	v_cvt_pk_f32_fp8_sdwa v[6:7], v7 src0_sel:WORD_1
	v_perm_b32 v40, v35, v34, s33
	v_cvt_pk_f32_fp8_e32 v[50:51], v8
	v_cvt_pk_f32_fp8_sdwa v[52:53], v8 src0_sel:WORD_1
	v_perm_b32 v41, v7, v6, s33
	v_mfma_f32_16x16x16_bf16 v[34:37], v[30:31], v[10:11], 0
	v_perm_b32 v10, v51, v50, s33
	v_perm_b32 v11, v53, v52, s33
	v_cvt_pk_f32_fp8_e32 v[30:31], v9
	v_cvt_pk_f32_fp8_sdwa v[50:51], v9 src0_sel:WORD_1
	v_mfma_f32_16x16x16_bf16 v[6:9], v[40:41], v[12:13], v[34:37]
	v_pk_mul_f32 v[40:41], v[48:49], v[20:21] op_sel_hi:[0,1]
	v_perm_b32 v12, v31, v30, s33
	v_perm_b32 v13, v51, v50, s33
	v_mfma_f32_16x16x16_bf16 v[6:9], v[10:11], v[2:3], v[6:9]
	v_pk_mul_f32 v[36:37], v[48:49], v[22:23] op_sel_hi:[0,1]
	v_pk_mul_f32 v[32:33], v[48:49], v[32:33] op_sel_hi:[0,1]
	v_pk_mul_f32 v[30:31], v[48:49], v[16:17] op_sel_hi:[0,1]
	v_mfma_f32_16x16x16_bf16 v[2:5], v[12:13], v[4:5], v[6:9]
	v_pk_mul_f32 v[34:35], v[48:49], v[14:15] op_sel_hi:[0,1]
	s_nop 5
	v_pk_mul_f32 v[22:23], v[48:49], v[2:3] op_sel_hi:[0,1]
	v_and_b32_e32 v2, 0xc0, v0
	v_add_u32_e32 v2, s16, v2
	v_lshl_or_b32 v2, v42, 2, v2
	v_or_b32_e32 v3, 1, v2
	v_pk_mul_f32 v[20:21], v[48:49], v[4:5] op_sel_hi:[0,1]
	v_subrev_u32_e32 v4, s29, v3
	v_add_u32_e32 v6, 1, v4
	v_add_u32_e32 v7, 2, v4
	;; [unrolled: 1-line block ×3, first 2 shown]
	v_cvt_f32_i32_e32 v6, v6
	v_cvt_f32_i32_e32 v7, v7
	;; [unrolled: 1-line block ×3, first 2 shown]
	v_add_u32_e32 v9, 19, v4
	v_fmac_f32_e32 v39, v44, v6
	v_fma_f32 v32, v44, v7, v32
	v_fmac_f32_e32 v33, v44, v8
	v_add_u32_e32 v6, 16, v4
	v_add_u32_e32 v7, 17, v4
	;; [unrolled: 1-line block ×3, first 2 shown]
	v_cvt_f32_i32_e32 v6, v6
	v_cvt_f32_i32_e32 v7, v7
	;; [unrolled: 1-line block ×4, first 2 shown]
	v_fma_f32 v40, v44, v6, v40
	v_fmac_f32_e32 v41, v44, v7
	v_fma_f32 v36, v44, v8, v36
	v_add_u32_e32 v6, 32, v4
	v_add_u32_e32 v7, 33, v4
	v_add_u32_e32 v8, 34, v4
	v_cvt_f32_i32_e32 v6, v6
	v_cvt_f32_i32_e32 v7, v7
	;; [unrolled: 1-line block ×4, first 2 shown]
	v_fmac_f32_e32 v37, v44, v9
	v_add_u32_e32 v9, 35, v4
	v_fma_f32 v48, v44, v6, v34
	v_fmac_f32_e32 v35, v44, v7
	v_fma_f32 v30, v44, v8, v30
	v_add_u32_e32 v6, 48, v4
	v_add_u32_e32 v7, 49, v4
	;; [unrolled: 1-line block ×4, first 2 shown]
	v_cvt_f32_i32_e32 v4, v4
	v_cvt_f32_i32_e32 v6, v6
	;; [unrolled: 1-line block ×3, first 2 shown]
	v_fma_f32 v5, v44, v5, v38
	v_fmac_f32_e32 v21, v44, v4
	v_mov_b32_e32 v4, 0xff7fffff
	v_cmp_gt_i32_e64 s[4:5], s29, v2
	v_cmp_gt_i32_e64 s[34:35], s29, v3
	v_fma_f32 v22, v44, v6, v22
	v_cndmask_b32_e64 v6, v4, v5, s[4:5]
	v_cndmask_b32_e64 v3, v4, v39, s[34:35]
	v_fmac_f32_e32 v23, v44, v7
	v_max3_f32 v3, v6, s44, v3
	v_or_b32_e32 v6, 2, v2
	v_or_b32_e32 v7, 3, v2
	v_cmp_gt_i32_e64 s[36:37], s29, v6
	v_cmp_gt_i32_e64 s[38:39], s29, v7
	v_cvt_f32_i32_e32 v9, v9
	v_cndmask_b32_e64 v6, v4, v32, s[36:37]
	v_cndmask_b32_e64 v7, v4, v33, s[38:39]
	v_max3_f32 v3, v3, v6, v7
	v_or_b32_e32 v6, 16, v2
	v_or_b32_e32 v7, 17, v2
	v_cmp_gt_i32_e64 s[24:25], s29, v6
	v_cmp_gt_i32_e64 s[26:27], s29, v7
	v_fmac_f32_e32 v31, v44, v9
	v_cndmask_b32_e64 v6, v4, v40, s[24:25]
	v_cndmask_b32_e64 v7, v4, v41, s[26:27]
	v_max3_f32 v3, v3, v6, v7
	v_or_b32_e32 v6, 18, v2
	v_or_b32_e32 v7, 19, v2
	v_cmp_gt_i32_e64 s[20:21], s29, v6
	v_cmp_gt_i32_e64 s[22:23], s29, v7
	v_cvt_f32_i32_e32 v8, v8
	v_cndmask_b32_e64 v6, v4, v36, s[20:21]
	v_cndmask_b32_e64 v7, v4, v37, s[22:23]
	v_max3_f32 v3, v3, v6, v7
	v_or_b32_e32 v6, 32, v2
	v_or_b32_e32 v7, 33, v2
	v_cmp_gt_i32_e64 s[16:17], s29, v6
	v_cmp_gt_i32_e64 s[18:19], s29, v7
	v_fma_f32 v20, v44, v8, v20
	v_cndmask_b32_e64 v6, v4, v48, s[16:17]
	v_cndmask_b32_e64 v7, v4, v35, s[18:19]
	v_max3_f32 v3, v3, v6, v7
	v_or_b32_e32 v6, 34, v2
	v_or_b32_e32 v7, 35, v2
	v_cmp_gt_i32_e64 s[12:13], s29, v6
	v_cmp_gt_i32_e64 s[14:15], s29, v7
	s_nop 0
	v_cndmask_b32_e64 v6, v4, v30, s[12:13]
	v_cndmask_b32_e64 v7, v4, v31, s[14:15]
	v_max3_f32 v3, v3, v6, v7
	v_or_b32_e32 v6, 48, v2
	v_or_b32_e32 v7, 49, v2
	v_cmp_gt_i32_e64 s[8:9], s29, v6
	v_cmp_gt_i32_e64 s[10:11], s29, v7
	s_nop 0
	v_cndmask_b32_e64 v6, v4, v22, s[8:9]
	v_cndmask_b32_e64 v7, v4, v23, s[10:11]
	v_max3_f32 v3, v3, v6, v7
	v_or_b32_e32 v6, 50, v2
	v_or_b32_e32 v2, 51, v2
	v_cmp_gt_i32_e32 vcc, s29, v6
	v_cmp_gt_i32_e64 s[6:7], s29, v2
	s_nop 0
	v_cndmask_b32_e32 v6, v4, v20, vcc
	v_cndmask_b32_e64 v2, v4, v21, s[6:7]
	v_max3_f32 v4, v3, v6, v2
	v_mbcnt_lo_u32_b32 v2, -1, 0
	v_mbcnt_hi_u32_b32 v6, -1, v2
	v_and_b32_e32 v2, 64, v6
	v_add_u32_e32 v7, 64, v2
	v_xor_b32_e32 v2, 32, v6
	v_cmp_lt_i32_e64 s[40:41], v2, v7
	s_nop 1
	v_cndmask_b32_e64 v2, v6, v2, s[40:41]
	v_lshlrev_b32_e32 v44, 2, v2
	ds_bpermute_b32 v8, v44, v4
	s_waitcnt vmcnt(2)
	v_mad_i64_i32 v[2:3], s[40:41], v47, s45, v[18:19]
	global_load_dwordx4 v[14:17], v[24:25], off
	global_load_dwordx4 v[10:13], v[2:3], off
	v_xor_b32_e32 v3, 16, v6
	v_cmp_lt_i32_e64 s[40:41], v3, v7
	s_waitcnt lgkmcnt(0)
	v_max_f32_e32 v2, v8, v8
	v_max_f32_e32 v2, v4, v2
	v_cndmask_b32_e64 v3, v6, v3, s[40:41]
	v_lshlrev_b32_e32 v47, 2, v3
	ds_bpermute_b32 v3, v47, v2
	s_waitcnt vmcnt(3)
	v_mad_i64_i32 v[24:25], s[40:41], v45, s45, v[18:19]
	s_waitcnt vmcnt(2)
	v_mad_i64_i32 v[18:19], s[40:41], v46, s45, v[18:19]
	s_waitcnt lgkmcnt(0)
	v_max_f32_e32 v3, v3, v3
	v_max_f32_e32 v34, v2, v3
	v_sub_f32_e32 v2, v5, v34
	v_mul_f32_e32 v2, 0x3fb8aa3b, v2
	v_exp_f32_e32 v38, v2
	v_sub_f32_e32 v2, v39, v34
	v_mul_f32_e32 v2, 0x3fb8aa3b, v2
	v_exp_f32_e32 v39, v2
	global_load_dwordx4 v[6:9], v[24:25], off
	global_load_dwordx4 v[2:5], v[18:19], off
	v_sub_f32_e32 v25, v32, v34
	v_sub_f32_e32 v32, v33, v34
	v_mul_f32_e32 v25, 0x3fb8aa3b, v25
	v_mul_f32_e32 v32, 0x3fb8aa3b, v32
	v_exp_f32_e32 v25, v25
	v_exp_f32_e32 v32, v32
	v_cndmask_b32_e64 v18, 0, v38, s[4:5]
	v_cndmask_b32_e64 v19, 0, v39, s[34:35]
	;; [unrolled: 1-line block ×4, first 2 shown]
	v_sub_f32_e32 v25, v40, v34
	v_sub_f32_e32 v32, v41, v34
	v_mul_f32_e32 v25, 0x3fb8aa3b, v25
	v_mul_f32_e32 v32, 0x3fb8aa3b, v32
	v_exp_f32_e32 v25, v25
	v_exp_f32_e32 v32, v32
	v_add_f32_e32 v24, 0, v18
	v_add_f32_e32 v24, v24, v19
	;; [unrolled: 1-line block ×4, first 2 shown]
	v_cndmask_b32_e64 v24, 0, v25, s[24:25]
	v_cndmask_b32_e64 v25, 0, v32, s[26:27]
	v_sub_f32_e32 v32, v36, v34
	v_mul_f32_e32 v32, 0x3fb8aa3b, v32
	v_exp_f32_e32 v32, v32
	v_sub_f32_e32 v36, v37, v34
	v_add_f32_e32 v33, v33, v24
	v_mul_f32_e32 v36, 0x3fb8aa3b, v36
	v_exp_f32_e32 v37, v36
	v_add_f32_e32 v33, v33, v25
	v_cndmask_b32_e64 v36, 0, v32, s[20:21]
	v_add_f32_e32 v32, v33, v36
	v_sub_f32_e32 v33, v48, v34
	v_mul_f32_e32 v33, 0x3fb8aa3b, v33
	v_sub_f32_e32 v35, v35, v34
	v_exp_f32_e32 v33, v33
	v_mul_f32_e32 v35, 0x3fb8aa3b, v35
	v_sub_f32_e32 v30, v30, v34
	v_exp_f32_e32 v35, v35
	;; [unrolled: 3-line block ×3, first 2 shown]
	v_mul_f32_e32 v31, 0x3fb8aa3b, v31
	v_sub_f32_e32 v22, v22, v34
	v_cndmask_b32_e64 v37, 0, v37, s[22:23]
	v_exp_f32_e32 v31, v31
	v_mul_f32_e32 v22, 0x3fb8aa3b, v22
	v_sub_f32_e32 v23, v23, v34
	v_add_f32_e32 v40, v32, v37
	v_cndmask_b32_e64 v32, 0, v33, s[16:17]
	v_exp_f32_e32 v22, v22
	v_mul_f32_e32 v23, 0x3fb8aa3b, v23
	v_sub_f32_e32 v20, v20, v34
	v_add_f32_e32 v40, v40, v32
	;; [unrolled: 5-line block ×3, first 2 shown]
	v_cndmask_b32_e64 v30, 0, v30, s[12:13]
	v_exp_f32_e32 v20, v20
	v_mul_f32_e32 v21, 0x3fb8aa3b, v21
	v_add_f32_e32 v35, v35, v30
	v_cndmask_b32_e64 v31, 0, v31, s[14:15]
	v_exp_f32_e32 v21, v21
	v_add_f32_e32 v35, v35, v31
	v_cndmask_b32_e64 v22, 0, v22, s[8:9]
	v_add_f32_e32 v35, v35, v22
	v_cndmask_b32_e64 v23, 0, v23, s[10:11]
	v_add_f32_e32 v35, v35, v23
	v_cndmask_b32_e32 v20, 0, v20, vcc
	v_add_f32_e32 v35, v35, v20
	v_cndmask_b32_e64 v21, 0, v21, s[6:7]
	v_add_f32_e32 v35, v35, v21
	ds_bpermute_b32 v40, v44, v35
	s_load_dword s7, s[0:1], 0x98
	v_cmp_gt_u32_e32 vcc, 16, v43
	s_waitcnt lgkmcnt(0)
	s_barrier
	v_add_f32_e32 v40, v35, v40
	ds_bpermute_b32 v41, v47, v40
	v_lshlrev_b32_e32 v35, 2, v28
	s_waitcnt lgkmcnt(0)
	s_and_saveexec_b64 s[4:5], vcc
	s_cbranch_execz .LBB1182_15
; %bb.14:
	v_add_f32_e32 v40, v40, v41
	v_lshl_or_b32 v41, v29, 6, v35
	ds_write2st64_b32 v41, v34, v40 offset1:1
.LBB1182_15:
	s_or_b64 exec, exec, s[4:5]
	s_load_dword s6, s[0:1], 0x94
	s_waitcnt lgkmcnt(0)
	s_barrier
	ds_read2_b32 v[40:41], v35 offset1:16
	ds_read2_b32 v[44:45], v35 offset0:32 offset1:48
	ds_read2_b32 v[46:47], v35 offset0:64 offset1:80
	s_movk_i32 s8, 0x7fff
	s_mul_i32 s7, s7, 15
	s_waitcnt lgkmcnt(2)
	v_max3_f32 v34, v40, s44, v41
	s_waitcnt lgkmcnt(1)
	v_max3_f32 v34, v34, v44, v45
	v_sub_f32_e32 v40, v40, v34
	v_mul_f32_e32 v40, 0x3fb8aa3b, v40
	v_exp_f32_e32 v43, v40
	v_sub_f32_e32 v40, v41, v34
	v_mul_f32_e32 v40, 0x3fb8aa3b, v40
	v_exp_f32_e32 v48, v40
	v_sub_f32_e32 v40, v44, v34
	v_mul_f32_e32 v40, 0x3fb8aa3b, v40
	v_exp_f32_e32 v44, v40
	ds_read2_b32 v[40:41], v35 offset0:96 offset1:112
	v_sub_f32_e32 v35, v45, v34
	v_mul_f32_e32 v35, 0x3fb8aa3b, v35
	v_exp_f32_e32 v45, v35
	s_waitcnt lgkmcnt(1)
	v_fma_f32 v35, v43, v46, 0
	v_fmac_f32_e32 v35, v48, v47
	s_waitcnt lgkmcnt(0)
	v_fmac_f32_e32 v35, v44, v40
	v_fmac_f32_e32 v35, v45, v41
	v_add_f32_e32 v40, 0x358637bd, v35
	v_div_scale_f32 v41, s[4:5], v40, v40, 1.0
	v_rcp_f32_e32 v46, v41
	s_barrier
	v_fma_f32 v47, -v41, v46, 1.0
	v_fmac_f32_e32 v46, v47, v46
	v_div_scale_f32 v47, vcc, 1.0, v40, 1.0
	v_mul_f32_e32 v49, v47, v46
	v_fma_f32 v50, -v41, v49, v47
	v_fmac_f32_e32 v49, v50, v46
	v_fma_f32 v41, -v41, v49, v47
	v_div_fmas_f32 v41, v41, v46, v49
	v_cmp_eq_u32_e32 vcc, 1, v29
	v_div_fixup_f32 v40, v41, v40, 1.0
	s_nop 0
	v_cndmask_b32_e32 v41, v43, v48, vcc
	v_cmp_eq_u32_e32 vcc, 2, v29
	s_nop 1
	v_cndmask_b32_e32 v41, v41, v44, vcc
	v_cmp_eq_u32_e32 vcc, 3, v29
	s_nop 1
	v_cndmask_b32_e32 v41, v41, v45, vcc
	v_mul_f32_e32 v40, v41, v40
	v_pk_mul_f32 v[18:19], v[40:41], v[18:19] op_sel_hi:[0,1]
	v_pk_mul_f32 v[38:39], v[40:41], v[38:39] op_sel_hi:[0,1]
	v_bfe_u32 v41, v19, 16, 1
	v_bfe_u32 v43, v18, 16, 1
	v_add3_u32 v18, v18, v43, s8
	v_add3_u32 v19, v19, v41, s8
	v_perm_b32 v44, v19, v18, s33
	v_bfe_u32 v18, v39, 16, 1
	v_bfe_u32 v19, v38, 16, 1
	v_add3_u32 v19, v38, v19, s8
	v_add3_u32 v18, v39, v18, s8
	v_perm_b32 v45, v18, v19, s33
	v_lshlrev_b32_e32 v18, 3, v42
	v_lshlrev_b32_e32 v19, 11, v29
	v_pk_mul_f32 v[24:25], v[40:41], v[24:25] op_sel_hi:[0,1]
	v_or3_b32 v18, v19, v27, v18
	v_bfe_u32 v19, v25, 16, 1
	v_bfe_u32 v29, v24, 16, 1
	v_pk_mul_f32 v[36:37], v[40:41], v[36:37] op_sel_hi:[0,1]
	v_add3_u32 v24, v24, v29, s8
	v_add3_u32 v19, v25, v19, s8
	v_perm_b32 v24, v19, v24, s33
	v_bfe_u32 v19, v37, 16, 1
	v_bfe_u32 v25, v36, 16, 1
	v_add3_u32 v25, v36, v25, s8
	v_add3_u32 v19, v37, v19, s8
	v_perm_b32 v25, v19, v25, s33
	ds_write2st64_b64 v18, v[44:45], v[24:25] offset1:1
	v_pk_mul_f32 v[24:25], v[40:41], v[30:31] op_sel_hi:[0,1]
	v_pk_mul_f32 v[30:31], v[40:41], v[32:33] op_sel_hi:[0,1]
	v_bfe_u32 v19, v31, 16, 1
	v_bfe_u32 v29, v30, 16, 1
	v_add3_u32 v29, v30, v29, s8
	v_add3_u32 v19, v31, v19, s8
	v_perm_b32 v30, v19, v29, s33
	v_bfe_u32 v19, v25, 16, 1
	v_bfe_u32 v29, v24, 16, 1
	v_add3_u32 v24, v24, v29, s8
	v_add3_u32 v19, v25, v19, s8
	v_pk_mul_f32 v[22:23], v[40:41], v[22:23] op_sel_hi:[0,1]
	v_perm_b32 v31, v19, v24, s33
	v_bfe_u32 v19, v23, 16, 1
	v_bfe_u32 v24, v22, 16, 1
	v_pk_mul_f32 v[20:21], v[40:41], v[20:21] op_sel_hi:[0,1]
	v_add3_u32 v22, v22, v24, s8
	v_add3_u32 v19, v23, v19, s8
	v_perm_b32 v22, v19, v22, s33
	v_bfe_u32 v19, v21, 16, 1
	v_bfe_u32 v23, v20, 16, 1
	v_add3_u32 v20, v20, v23, s8
	v_add3_u32 v19, v21, v19, s8
	v_perm_b32 v23, v19, v20, s33
	v_cmp_gt_u32_e32 vcc, 15, v0
	ds_write2st64_b64 v18, v[30:31], v[22:23] offset0:2 offset1:3
	s_and_saveexec_b64 s[4:5], vcc
	s_cbranch_execz .LBB1182_17
; %bb.16:
	s_mov_b32 s49, 0
	v_mov_b32_e32 v29, 0
	v_lshl_add_u64 v[20:21], s[48:49], 0, v[28:29]
	v_mov_b32_e32 v19, s7
	v_mad_u64_u32 v[20:21], s[10:11], s2, v19, v[20:21]
	s_mul_i32 s3, s3, s7
	v_mov_b32_e32 v28, s28
	s_load_dwordx4 s[12:15], s[0:1], 0x58
	v_add_u32_e32 v19, s3, v21
	v_mad_u64_u32 v[20:21], s[10:11], v20, s6, v[28:29]
	v_mov_b32_e32 v22, v21
	v_mad_u64_u32 v[22:23], s[10:11], v19, s6, v[22:23]
	v_mov_b32_e32 v21, v22
	v_lshlrev_b64 v[20:21], 2, v[20:21]
	s_waitcnt lgkmcnt(0)
	v_lshl_add_u64 v[22:23], s[14:15], 0, v[20:21]
	v_lshl_add_u64 v[20:21], s[12:13], 0, v[20:21]
	global_store_dword v[22:23], v34, off
	global_store_dword v[20:21], v35, off
.LBB1182_17:
	s_or_b64 exec, exec, s[4:5]
	s_waitcnt vmcnt(3)
	v_cvt_pk_f32_fp8_e32 v[20:21], v14
	v_cvt_pk_f32_fp8_sdwa v[22:23], v14 src0_sel:WORD_1
	s_mov_b32 s4, 0x7060302
	v_lshl_or_b32 v14, v42, 9, v27
	s_waitcnt lgkmcnt(0)
	s_barrier
	v_perm_b32 v24, v21, v20, s4
	v_perm_b32 v25, v23, v22, s4
	v_cvt_pk_f32_fp8_e32 v[28:29], v15
	ds_read_b128 v[20:23], v14
	v_cvt_pk_f32_fp8_sdwa v[36:37], v15 src0_sel:WORD_1
	s_load_dword s10, s[42:43], 0x0
	v_perm_b32 v38, v29, v28, s4
	ds_read_b128 v[28:31], v14 offset:16
	v_perm_b32 v39, v37, v36, s4
	s_waitcnt lgkmcnt(0)
	v_mfma_f32_16x16x16_bf16 v[32:35], v[24:25], v[20:21], 0
	v_cvt_pk_f32_fp8_e32 v[24:25], v16
	v_cvt_pk_f32_fp8_sdwa v[36:37], v16 src0_sel:WORD_1
	v_cmp_gt_u32_e32 vcc, 64, v0
	v_mfma_f32_16x16x16_bf16 v[20:23], v[38:39], v[22:23], v[32:35]
	v_perm_b32 v24, v25, v24, s4
	v_perm_b32 v25, v37, v36, s4
	s_mov_b32 s3, 0
	v_cvt_pk_f32_fp8_e32 v[32:33], v17
	v_cvt_pk_f32_fp8_sdwa v[16:17], v17 src0_sel:WORD_1
	s_waitcnt vmcnt(2)
	v_cvt_pk_f32_fp8_sdwa v[34:35], v10 src0_sel:WORD_1
	v_mfma_f32_16x16x16_bf16 v[20:23], v[24:25], v[28:29], v[20:23]
	v_perm_b32 v36, v33, v32, s4
	v_cvt_pk_f32_fp8_e32 v[32:33], v10
	v_perm_b32 v37, v17, v16, s4
	v_perm_b32 v17, v35, v34, s4
	v_cvt_pk_f32_fp8_e32 v[24:25], v11
	v_perm_b32 v16, v33, v32, s4
	ds_read_b128 v[32:35], v14 offset:2048
	v_cvt_pk_f32_fp8_sdwa v[10:11], v11 src0_sel:WORD_1
	v_mfma_f32_16x16x16_bf16 v[20:23], v[36:37], v[30:31], v[20:23]
	ds_read_b128 v[28:31], v14 offset:2064
	v_perm_b32 v24, v25, v24, s4
	v_perm_b32 v25, v11, v10, s4
	s_waitcnt lgkmcnt(1)
	v_mfma_f32_16x16x16_bf16 v[20:23], v[16:17], v[32:33], v[20:23]
	v_cvt_pk_f32_fp8_e32 v[10:11], v12
	v_cvt_pk_f32_fp8_sdwa v[16:17], v12 src0_sel:WORD_1
	s_waitcnt vmcnt(1)
	v_cvt_pk_f32_fp8_sdwa v[32:33], v6 src0_sel:WORD_1
	v_mfma_f32_16x16x16_bf16 v[20:23], v[24:25], v[34:35], v[20:23]
	v_cvt_pk_f32_fp8_e32 v[24:25], v13
	v_perm_b32 v10, v11, v10, s4
	v_perm_b32 v11, v17, v16, s4
	v_cvt_pk_f32_fp8_sdwa v[12:13], v13 src0_sel:WORD_1
	v_perm_b32 v16, v25, v24, s4
	v_cvt_pk_f32_fp8_e32 v[24:25], v6
	v_mov_b32_e32 v27, 0
	v_perm_b32 v17, v13, v12, s4
	s_waitcnt lgkmcnt(0)
	v_mfma_f32_16x16x16_bf16 v[10:13], v[10:11], v[28:29], v[20:23]
	v_perm_b32 v24, v25, v24, s4
	v_perm_b32 v25, v33, v32, s4
	v_cvt_pk_f32_fp8_e32 v[28:29], v7
	ds_read_b128 v[20:23], v14 offset:4096
	v_cvt_pk_f32_fp8_sdwa v[6:7], v7 src0_sel:WORD_1
	v_mfma_f32_16x16x16_bf16 v[10:13], v[16:17], v[30:31], v[10:13]
	v_perm_b32 v16, v29, v28, s4
	ds_read_b128 v[28:31], v14 offset:4112
	v_perm_b32 v17, v7, v6, s4
	s_waitcnt lgkmcnt(1)
	v_mfma_f32_16x16x16_bf16 v[10:13], v[24:25], v[20:21], v[10:13]
	v_cvt_pk_f32_fp8_e32 v[6:7], v8
	v_cvt_pk_f32_fp8_sdwa v[20:21], v8 src0_sel:WORD_1
	v_perm_b32 v6, v7, v6, s4
	v_mfma_f32_16x16x16_bf16 v[10:13], v[16:17], v[22:23], v[10:13]
	v_cvt_pk_f32_fp8_e32 v[16:17], v9
	v_perm_b32 v7, v21, v20, s4
	v_cvt_pk_f32_fp8_sdwa v[8:9], v9 src0_sel:WORD_1
	s_waitcnt vmcnt(0)
	v_cvt_pk_f32_fp8_e32 v[20:21], v2
	v_perm_b32 v16, v17, v16, s4
	v_cvt_pk_f32_fp8_sdwa v[22:23], v2 src0_sel:WORD_1
	v_perm_b32 v17, v9, v8, s4
	s_waitcnt lgkmcnt(0)
	v_mfma_f32_16x16x16_bf16 v[6:9], v[6:7], v[28:29], v[10:13]
	v_perm_b32 v20, v21, v20, s4
	v_perm_b32 v21, v23, v22, s4
	v_cvt_pk_f32_fp8_e32 v[22:23], v3
	ds_read_b128 v[10:13], v14 offset:6144
	v_cvt_pk_f32_fp8_sdwa v[2:3], v3 src0_sel:WORD_1
	v_mfma_f32_16x16x16_bf16 v[6:9], v[16:17], v[30:31], v[6:9]
	v_perm_b32 v22, v23, v22, s4
	ds_read_b128 v[14:17], v14 offset:6160
	v_perm_b32 v23, v3, v2, s4
	s_waitcnt lgkmcnt(1)
	v_mfma_f32_16x16x16_bf16 v[6:9], v[20:21], v[10:11], v[6:9]
	v_cvt_pk_f32_fp8_e32 v[2:3], v4
	v_cvt_pk_f32_fp8_sdwa v[10:11], v4 src0_sel:WORD_1
	s_waitcnt lgkmcnt(0)
	v_mfma_f32_16x16x16_bf16 v[6:9], v[22:23], v[12:13], v[6:9]
	v_perm_b32 v2, v3, v2, s4
	v_perm_b32 v3, v11, v10, s4
	v_cvt_pk_f32_fp8_e32 v[10:11], v5
	v_cvt_pk_f32_fp8_sdwa v[4:5], v5 src0_sel:WORD_1
	s_barrier
	v_perm_b32 v10, v11, v10, s4
	v_perm_b32 v11, v5, v4, s4
	v_mfma_f32_16x16x16_bf16 v[2:5], v[2:3], v[14:15], v[6:9]
	s_nop 0
	v_mfma_f32_16x16x16_bf16 v[2:5], v[10:11], v[16:17], v[2:5]
	s_nop 6
	v_pk_mul_f32 v[2:3], v[2:3], s[10:11] op_sel_hi:[1,0]
	v_pk_mul_f32 v[4:5], v[4:5], s[10:11] op_sel_hi:[1,0]
	v_bfe_u32 v6, v3, 16, 1
	v_bfe_u32 v7, v2, 16, 1
	v_add3_u32 v2, v2, v7, s8
	v_add3_u32 v3, v3, v6, s8
	v_perm_b32 v2, v3, v2, s4
	v_bfe_u32 v3, v5, 16, 1
	v_bfe_u32 v6, v4, 16, 1
	v_add3_u32 v4, v4, v6, s8
	v_add3_u32 v3, v5, v3, s8
	v_perm_b32 v3, v3, v4, s4
	s_and_b64 s[4:5], vcc, s[30:31]
	ds_write_b64 v18, v[2:3]
	s_waitcnt lgkmcnt(0)
	s_barrier
	s_and_saveexec_b64 s[8:9], s[4:5]
	s_cbranch_execz .LBB1182_20
; %bb.18:
	s_load_dwordx2 s[4:5], s[0:1], 0x68
	s_lshl_b32 s0, s6, 6
	s_mul_i32 s1, s7, s2
	s_mul_hi_u32 s7, s1, s0
	s_mul_i32 s6, s1, s0
	v_lshlrev_b32_e32 v0, 10, v0
	s_lshl_b64 s[6:7], s[6:7], 1
	v_and_b32_e32 v0, 0x1800, v0
	v_lshlrev_b32_e32 v2, 5, v42
	v_and_b32_e32 v1, 16, v1
	s_waitcnt lgkmcnt(0)
	s_add_u32 s1, s4, s6
	v_or3_b32 v2, v0, v2, v1
	s_addc_u32 s4, s5, s7
	s_lshl_b32 s2, s28, 6
	ds_read_b128 v[4:7], v2 offset:256
	s_lshl_b64 s[2:3], s[2:3], 1
	ds_read_b128 v[8:11], v2 offset:128
	ds_read_b128 v[12:15], v2
	s_add_u32 s2, s1, s2
	s_addc_u32 s3, s4, s3
	v_add_u32_e32 v3, s48, v42
	v_lshl_add_u64 v[0:1], s[2:3], 0, v[26:27]
	v_mad_u64_u32 v[16:17], s[2:3], v3, s0, 0
	v_lshl_add_u64 v[16:17], v[16:17], 1, v[0:1]
	s_waitcnt lgkmcnt(0)
	global_store_dwordx4 v[16:17], v[12:15], off
	v_cmp_ne_u32_e32 vcc, 3, v42
	s_nop 0
	v_add_u32_e32 v12, 4, v3
	v_mad_u64_u32 v[12:13], s[2:3], v12, s0, 0
	v_lshl_add_u64 v[12:13], v[12:13], 1, v[0:1]
	v_add_u32_e32 v3, 8, v3
	global_store_dwordx4 v[12:13], v[8:11], off
	s_nop 1
	v_mad_u64_u32 v[8:9], s[2:3], v3, s0, 0
	v_lshl_add_u64 v[8:9], v[8:9], 1, v[0:1]
	global_store_dwordx4 v[8:9], v[4:7], off
	s_and_b64 exec, exec, vcc
	s_cbranch_execz .LBB1182_20
; %bb.19:
	ds_read_b128 v[2:5], v2 offset:384
	v_add3_u32 v6, s48, v42, 12
	v_mad_u64_u32 v[6:7], s[0:1], v6, s0, 0
	v_lshl_add_u64 v[0:1], v[6:7], 1, v[0:1]
	s_waitcnt lgkmcnt(0)
	global_store_dwordx4 v[0:1], v[2:5], off
.LBB1182_20:
	s_endpgm
	.section	.rodata,"a",@progbits
	.p2align	6, 0x0
	.amdhsa_kernel _Z39paged_attention_ll4mi_QKV_mfma16_kernelI14__hip_bfloat16hLN4vllm18Fp8KVCacheDataTypeE1EhLi32ELi64ELi256ELb1ELi15EEvPKT_PKT0_S8_ifPKiSA_SA_iPKfiiiPfSD_PS3_PT2_iSC_SC_
		.amdhsa_group_segment_fixed_size 8192
		.amdhsa_private_segment_fixed_size 0
		.amdhsa_kernarg_size 400
		.amdhsa_user_sgpr_count 2
		.amdhsa_user_sgpr_dispatch_ptr 0
		.amdhsa_user_sgpr_queue_ptr 0
		.amdhsa_user_sgpr_kernarg_segment_ptr 1
		.amdhsa_user_sgpr_dispatch_id 0
		.amdhsa_user_sgpr_kernarg_preload_length 0
		.amdhsa_user_sgpr_kernarg_preload_offset 0
		.amdhsa_user_sgpr_private_segment_size 0
		.amdhsa_uses_dynamic_stack 0
		.amdhsa_enable_private_segment 0
		.amdhsa_system_sgpr_workgroup_id_x 1
		.amdhsa_system_sgpr_workgroup_id_y 1
		.amdhsa_system_sgpr_workgroup_id_z 1
		.amdhsa_system_sgpr_workgroup_info 0
		.amdhsa_system_vgpr_workitem_id 0
		.amdhsa_next_free_vgpr 71
		.amdhsa_next_free_sgpr 50
		.amdhsa_accum_offset 72
		.amdhsa_reserve_vcc 1
		.amdhsa_float_round_mode_32 0
		.amdhsa_float_round_mode_16_64 0
		.amdhsa_float_denorm_mode_32 3
		.amdhsa_float_denorm_mode_16_64 3
		.amdhsa_dx10_clamp 1
		.amdhsa_ieee_mode 1
		.amdhsa_fp16_overflow 0
		.amdhsa_tg_split 0
		.amdhsa_exception_fp_ieee_invalid_op 0
		.amdhsa_exception_fp_denorm_src 0
		.amdhsa_exception_fp_ieee_div_zero 0
		.amdhsa_exception_fp_ieee_overflow 0
		.amdhsa_exception_fp_ieee_underflow 0
		.amdhsa_exception_fp_ieee_inexact 0
		.amdhsa_exception_int_div_zero 0
	.end_amdhsa_kernel
	.section	.text._Z39paged_attention_ll4mi_QKV_mfma16_kernelI14__hip_bfloat16hLN4vllm18Fp8KVCacheDataTypeE1EhLi32ELi64ELi256ELb1ELi15EEvPKT_PKT0_S8_ifPKiSA_SA_iPKfiiiPfSD_PS3_PT2_iSC_SC_,"axG",@progbits,_Z39paged_attention_ll4mi_QKV_mfma16_kernelI14__hip_bfloat16hLN4vllm18Fp8KVCacheDataTypeE1EhLi32ELi64ELi256ELb1ELi15EEvPKT_PKT0_S8_ifPKiSA_SA_iPKfiiiPfSD_PS3_PT2_iSC_SC_,comdat
.Lfunc_end1182:
	.size	_Z39paged_attention_ll4mi_QKV_mfma16_kernelI14__hip_bfloat16hLN4vllm18Fp8KVCacheDataTypeE1EhLi32ELi64ELi256ELb1ELi15EEvPKT_PKT0_S8_ifPKiSA_SA_iPKfiiiPfSD_PS3_PT2_iSC_SC_, .Lfunc_end1182-_Z39paged_attention_ll4mi_QKV_mfma16_kernelI14__hip_bfloat16hLN4vllm18Fp8KVCacheDataTypeE1EhLi32ELi64ELi256ELb1ELi15EEvPKT_PKT0_S8_ifPKiSA_SA_iPKfiiiPfSD_PS3_PT2_iSC_SC_
                                        ; -- End function
	.section	.AMDGPU.csdata,"",@progbits
; Kernel info:
; codeLenInByte = 5272
; NumSgprs: 56
; NumVgprs: 71
; NumAgprs: 0
; TotalNumVgprs: 71
; ScratchSize: 0
; MemoryBound: 0
; FloatMode: 240
; IeeeMode: 1
; LDSByteSize: 8192 bytes/workgroup (compile time only)
; SGPRBlocks: 6
; VGPRBlocks: 8
; NumSGPRsForWavesPerEU: 56
; NumVGPRsForWavesPerEU: 71
; AccumOffset: 72
; Occupancy: 7
; WaveLimiterHint : 1
; COMPUTE_PGM_RSRC2:SCRATCH_EN: 0
; COMPUTE_PGM_RSRC2:USER_SGPR: 2
; COMPUTE_PGM_RSRC2:TRAP_HANDLER: 0
; COMPUTE_PGM_RSRC2:TGID_X_EN: 1
; COMPUTE_PGM_RSRC2:TGID_Y_EN: 1
; COMPUTE_PGM_RSRC2:TGID_Z_EN: 1
; COMPUTE_PGM_RSRC2:TIDIG_COMP_CNT: 0
; COMPUTE_PGM_RSRC3_GFX90A:ACCUM_OFFSET: 17
; COMPUTE_PGM_RSRC3_GFX90A:TG_SPLIT: 0
	.section	.text._Z39paged_attention_ll4mi_QKV_mfma16_kernelI14__hip_bfloat16hLN4vllm18Fp8KVCacheDataTypeE1EhLi32ELi64ELi256ELb1ELi16EEvPKT_PKT0_S8_ifPKiSA_SA_iPKfiiiPfSD_PS3_PT2_iSC_SC_,"axG",@progbits,_Z39paged_attention_ll4mi_QKV_mfma16_kernelI14__hip_bfloat16hLN4vllm18Fp8KVCacheDataTypeE1EhLi32ELi64ELi256ELb1ELi16EEvPKT_PKT0_S8_ifPKiSA_SA_iPKfiiiPfSD_PS3_PT2_iSC_SC_,comdat
	.protected	_Z39paged_attention_ll4mi_QKV_mfma16_kernelI14__hip_bfloat16hLN4vllm18Fp8KVCacheDataTypeE1EhLi32ELi64ELi256ELb1ELi16EEvPKT_PKT0_S8_ifPKiSA_SA_iPKfiiiPfSD_PS3_PT2_iSC_SC_ ; -- Begin function _Z39paged_attention_ll4mi_QKV_mfma16_kernelI14__hip_bfloat16hLN4vllm18Fp8KVCacheDataTypeE1EhLi32ELi64ELi256ELb1ELi16EEvPKT_PKT0_S8_ifPKiSA_SA_iPKfiiiPfSD_PS3_PT2_iSC_SC_
	.globl	_Z39paged_attention_ll4mi_QKV_mfma16_kernelI14__hip_bfloat16hLN4vllm18Fp8KVCacheDataTypeE1EhLi32ELi64ELi256ELb1ELi16EEvPKT_PKT0_S8_ifPKiSA_SA_iPKfiiiPfSD_PS3_PT2_iSC_SC_
	.p2align	8
	.type	_Z39paged_attention_ll4mi_QKV_mfma16_kernelI14__hip_bfloat16hLN4vllm18Fp8KVCacheDataTypeE1EhLi32ELi64ELi256ELb1ELi16EEvPKT_PKT0_S8_ifPKiSA_SA_iPKfiiiPfSD_PS3_PT2_iSC_SC_,@function
_Z39paged_attention_ll4mi_QKV_mfma16_kernelI14__hip_bfloat16hLN4vllm18Fp8KVCacheDataTypeE1EhLi32ELi64ELi256ELb1ELi16EEvPKT_PKT0_S8_ifPKiSA_SA_iPKfiiiPfSD_PS3_PT2_iSC_SC_: ; @_Z39paged_attention_ll4mi_QKV_mfma16_kernelI14__hip_bfloat16hLN4vllm18Fp8KVCacheDataTypeE1EhLi32ELi64ELi256ELb1ELi16EEvPKT_PKT0_S8_ifPKiSA_SA_iPKfiiiPfSD_PS3_PT2_iSC_SC_
; %bb.0:
	s_load_dwordx2 s[14:15], s[0:1], 0x30
	s_mov_b32 s24, s3
	s_mov_b64 s[6:7], 0
	s_waitcnt lgkmcnt(0)
	s_cmp_lg_u64 s[14:15], 0
	s_cselect_b64 s[16:17], -1, 0
	s_and_b64 vcc, exec, s[16:17]
	s_cbranch_vccz .LBB1183_7
; %bb.1:
	s_add_i32 s8, s2, 1
	s_mov_b32 s9, 0
	s_lshl_b64 s[10:11], s[8:9], 2
	s_add_u32 s10, s14, s10
	s_mov_b32 s3, s9
	s_addc_u32 s11, s15, s11
	s_lshl_b64 s[8:9], s[2:3], 2
	s_add_u32 s8, s14, s8
	s_addc_u32 s9, s15, s9
	s_load_dword s5, s[10:11], 0x0
	s_load_dword s12, s[8:9], 0x0
	s_waitcnt lgkmcnt(0)
	s_sub_i32 s5, s5, s12
	s_cmp_eq_u32 s5, 1
	s_cselect_b64 s[8:9], -1, 0
	s_andn2_b64 vcc, exec, s[6:7]
	s_cbranch_vccnz .LBB1183_3
.LBB1183_2:
	s_mov_b32 s3, 0
	s_mov_b64 s[8:9], -1
.LBB1183_3:
	s_andn2_b64 vcc, exec, s[8:9]
	s_cbranch_vccnz .LBB1183_17
; %bb.4:
	s_load_dwordx2 s[6:7], s[0:1], 0x28
	s_lshl_b64 s[18:19], s[2:3], 2
	s_waitcnt lgkmcnt(0)
	s_add_u32 s6, s6, s18
	s_addc_u32 s7, s7, s19
	s_load_dword s48, s[6:7], 0x0
	s_lshl_b32 s5, s24, 8
	s_waitcnt lgkmcnt(0)
	s_cmp_ge_i32 s5, s48
	s_cbranch_scc1 .LBB1183_17
; %bb.5:
	s_load_dwordx2 s[6:7], s[0:1], 0x20
	s_load_dword s8, s[0:1], 0x38
	s_add_i32 s9, s48, 31
	s_ashr_i32 s10, s9, 31
	v_and_b32_e32 v1, 0xcf, v0
	s_lshr_b32 s10, s10, 27
	v_add_u32_e32 v1, s5, v1
	s_add_i32 s9, s9, s10
	v_ashrrev_i32_e32 v2, 31, v1
	s_ashr_i32 s20, s9, 5
	v_lshrrev_b32_e32 v10, 27, v2
	s_add_i32 s20, s20, -1
	s_waitcnt lgkmcnt(0)
	s_mul_i32 s8, s2, s8
	s_mov_b32 s9, 0
	v_add_u32_e32 v2, v1, v10
	s_lshl_b64 s[8:9], s[8:9], 2
	v_ashrrev_i32_e32 v2, 5, v2
	v_mov_b32_e32 v11, s20
	v_cmp_gt_i32_e32 vcc, s48, v1
	s_add_u32 s6, s6, s8
	s_addc_u32 s7, s7, s9
	v_cndmask_b32_e32 v2, v11, v2, vcc
	v_ashrrev_i32_e32 v3, 31, v2
	v_lshl_add_u64 v[4:5], v[2:3], 2, s[6:7]
	v_or_b32_e32 v2, 16, v1
	v_add_u32_e32 v3, v2, v10
	v_ashrrev_i32_e32 v3, 5, v3
	v_cmp_gt_i32_e32 vcc, s48, v2
	s_nop 1
	v_cndmask_b32_e32 v2, v11, v3, vcc
	v_ashrrev_i32_e32 v3, 31, v2
	v_lshl_add_u64 v[6:7], v[2:3], 2, s[6:7]
	v_or_b32_e32 v2, 32, v1
	v_add_u32_e32 v3, v2, v10
	v_ashrrev_i32_e32 v3, 5, v3
	v_cmp_gt_i32_e32 vcc, s48, v2
	v_or_b32_e32 v1, 48, v1
	s_nop 0
	v_cndmask_b32_e32 v2, v11, v3, vcc
	v_ashrrev_i32_e32 v3, 31, v2
	v_lshl_add_u64 v[8:9], v[2:3], 2, s[6:7]
	v_add_u32_e32 v2, v1, v10
	v_ashrrev_i32_e32 v2, 5, v2
	v_cmp_gt_i32_e32 vcc, s48, v1
	s_nop 1
	v_cndmask_b32_e32 v2, v11, v2, vcc
	v_ashrrev_i32_e32 v3, 31, v2
	v_lshl_add_u64 v[10:11], v[2:3], 2, s[6:7]
	global_load_dword v3, v[4:5], off
	global_load_dword v2, v[6:7], off
	;; [unrolled: 1-line block ×4, first 2 shown]
	s_load_dwordx2 s[12:13], s[0:1], 0x40
	s_load_dwordx4 s[8:11], s[0:1], 0x8
	s_andn2_b64 vcc, exec, s[16:17]
	s_cbranch_vccnz .LBB1183_8
; %bb.6:
	s_add_u32 s14, s14, s18
	s_addc_u32 s15, s15, s19
	s_load_dword s16, s[14:15], 0x0
	s_branch .LBB1183_9
.LBB1183_7:
	s_mov_b64 s[8:9], 0
	s_branch .LBB1183_2
.LBB1183_8:
	s_mov_b32 s16, s2
.LBB1183_9:
	s_load_dwordx4 s[44:47], s[0:1], 0x48
	v_and_b32_e32 v43, 15, v0
	s_movk_i32 s14, 0x100
	v_lshlrev_b32_e32 v4, 3, v43
	v_cmp_gt_u32_e32 vcc, s14, v0
	v_cmp_gt_u32_e64 s[26:27], 8, v43
	v_lshrrev_b32_e32 v41, 6, v0
	v_and_b32_e32 v42, 63, v0
	v_bfe_u32 v1, v0, 4, 2
	s_lshl_b32 s25, s4, 4
	s_and_b64 s[18:19], vcc, s[26:27]
	v_lshlrev_b32_e32 v26, 1, v4
	v_lshlrev_b32_e32 v40, 4, v0
	s_and_saveexec_b64 s[14:15], s[18:19]
	s_cbranch_execz .LBB1183_11
; %bb.10:
	s_load_dwordx2 s[18:19], s[0:1], 0x0
	s_waitcnt lgkmcnt(0)
	s_ashr_i32 s17, s44, 31
	s_mul_hi_u32 s21, s16, s44
	s_mul_i32 s17, s16, s17
	s_add_i32 s17, s21, s17
	s_mul_i32 s16, s16, s44
	v_lshl_or_b32 v8, v41, 2, v1
	s_lshl_b64 s[16:17], s[16:17], 1
	s_add_u32 s16, s18, s16
	v_add_lshl_u32 v4, v8, s25, 6
	s_addc_u32 s17, s19, s17
	v_ashrrev_i32_e32 v5, 31, v4
	v_lshl_add_u64 v[4:5], v[4:5], 1, s[16:17]
	v_mov_b32_e32 v27, 0
	v_lshl_add_u64 v[4:5], v[4:5], 0, v[26:27]
	global_load_dwordx4 v[4:7], v[4:5], off
	v_lshlrev_b32_e32 v10, 8, v43
	v_lshlrev_b32_e32 v8, 5, v8
	v_and_b32_e32 v9, 16, v40
	v_and_b32_e32 v10, 0xe00, v10
	v_or3_b32 v8, v10, v8, v9
	s_waitcnt vmcnt(0)
	ds_write_b128 v8, v[4:7]
.LBB1183_11:
	s_or_b64 exec, exec, s[14:15]
	s_waitcnt lgkmcnt(0)
	s_mul_i32 s4, s4, s46
	s_add_u32 s8, s8, s4
	s_addc_u32 s9, s9, 0
	v_mov_b32_e32 v31, 0
	v_mov_b64_e32 v[18:19], s[8:9]
	v_and_b32_e32 v6, 48, v0
	s_waitcnt vmcnt(3)
	v_mad_i64_i32 v[4:5], s[8:9], v3, s45, v[18:19]
	v_lshlrev_b32_e32 v20, 4, v43
	v_mov_b32_e32 v21, v31
	v_lshlrev_b32_e32 v30, 5, v6
	v_lshl_add_u64 v[4:5], v[4:5], 0, v[20:21]
	v_lshl_add_u64 v[4:5], v[4:5], 0, v[30:31]
	s_load_dword s33, s[0:1], 0x98
	s_load_dwordx4 s[40:43], s[0:1], 0x80
	s_waitcnt lgkmcnt(0)
	s_barrier
	global_load_dwordx4 v[10:13], v[4:5], off
	s_waitcnt vmcnt(3)
	v_mad_i64_i32 v[2:3], s[8:9], v2, s45, v[18:19]
	v_or_b32_e32 v34, 0x100, v20
	v_mov_b32_e32 v35, v31
	v_lshl_add_u64 v[2:3], v[2:3], 0, v[34:35]
	v_lshl_add_u64 v[2:3], v[2:3], 0, v[30:31]
	global_load_dwordx4 v[14:17], v[2:3], off
	s_ashr_i32 s8, s5, 31
	v_or_b32_e32 v33, s5, v6
	s_lshr_b32 s14, s8, 27
	v_add_u32_e32 v4, s14, v33
	v_ashrrev_i32_e32 v4, 5, v4
	v_mov_b32_e32 v38, s20
	v_cmp_gt_i32_e32 vcc, s48, v33
	s_waitcnt vmcnt(3)
	v_mad_i64_i32 v[22:23], s[8:9], v22, s45, v[18:19]
	v_cndmask_b32_e32 v4, v38, v4, vcc
	v_ashrrev_i32_e32 v5, 31, v4
	v_lshlrev_b32_e32 v44, 5, v43
	v_lshl_add_u64 v[20:21], v[22:23], 0, v[20:21]
	v_lshl_add_u64 v[4:5], v[4:5], 2, s[6:7]
	v_lshl_or_b32 v27, v1, 9, v44
	v_lshl_add_u64 v[20:21], v[20:21], 0, v[30:31]
	global_load_dword v47, v[4:5], off
	ds_read_b128 v[6:9], v27
	ds_read_b128 v[2:5], v27 offset:16
	global_load_dwordx4 v[22:25], v[20:21], off
	v_or_b32_e32 v28, s25, v43
	v_ashrrev_i32_e32 v29, 31, v28
	v_lshl_add_u64 v[36:37], v[28:29], 2, s[12:13]
	v_or_b32_e32 v29, 64, v33
	v_or_b32_e32 v20, 0x80, v33
	s_waitcnt vmcnt(4)
	v_mad_i64_i32 v[18:19], s[8:9], v32, s45, v[18:19]
	v_add_u32_e32 v32, s14, v29
	v_or_b32_e32 v21, 0xc0, v33
	v_add_u32_e32 v33, s14, v20
	v_lshl_add_u64 v[18:19], v[18:19], 0, v[34:35]
	v_ashrrev_i32_e32 v32, 5, v32
	v_cmp_gt_i32_e32 vcc, s48, v29
	v_ashrrev_i32_e32 v33, 5, v33
	v_lshl_add_u64 v[18:19], v[18:19], 0, v[30:31]
	v_cndmask_b32_e32 v32, v38, v32, vcc
	v_cmp_gt_i32_e32 vcc, s48, v20
	global_load_dword v46, v[36:37], off
	v_add_u32_e32 v36, s14, v21
	v_cndmask_b32_e32 v34, v38, v33, vcc
	v_cmp_gt_i32_e32 vcc, s48, v21
	global_load_dwordx4 v[18:21], v[18:19], off
	v_ashrrev_i32_e32 v35, 5, v36
	v_cndmask_b32_e32 v36, v38, v35, vcc
	v_ashrrev_i32_e32 v33, 31, v32
	v_ashrrev_i32_e32 v35, 31, v34
	v_lshl_add_u64 v[48:49], v[32:33], 2, s[6:7]
	v_lshl_add_u64 v[50:51], v[34:35], 2, s[6:7]
	s_add_u32 s8, s10, s4
	s_addc_u32 s9, s11, 0
	v_and_b32_e32 v30, 16, v0
	s_mov_b32 s44, 0x7060302
	v_lshl_add_u64 v[38:39], s[8:9], 0, v[30:31]
	v_lshl_or_b32 v30, v41, 9, v44
	v_lshl_add_u64 v[30:31], v[38:39], 0, v[30:31]
	v_ashrrev_i32_e32 v37, 31, v36
	v_lshl_add_u64 v[36:37], v[36:37], 2, s[6:7]
	s_load_dword s15, s[0:1], 0x1c
	s_mov_b32 s46, 0xff7fffff
	s_waitcnt vmcnt(5)
	v_cvt_pk_f32_fp8_e32 v[32:33], v10
	v_cvt_pk_f32_fp8_sdwa v[34:35], v10 src0_sel:WORD_1
	v_cvt_pk_f32_fp8_e32 v[38:39], v11
	v_cvt_pk_f32_fp8_sdwa v[10:11], v11 src0_sel:WORD_1
	v_perm_b32 v32, v33, v32, s44
	v_perm_b32 v33, v35, v34, s44
	;; [unrolled: 1-line block ×4, first 2 shown]
	v_cvt_pk_f32_fp8_e32 v[52:53], v12
	v_cvt_pk_f32_fp8_sdwa v[54:55], v12 src0_sel:WORD_1
	s_waitcnt lgkmcnt(0)
	v_mfma_f32_16x16x16_bf16 v[32:35], v[32:33], v[6:7], 0
	global_load_dword v12, v[48:49], off
	global_load_dword v29, v[50:51], off
	;; [unrolled: 1-line block ×3, first 2 shown]
	v_perm_b32 v36, v53, v52, s44
	v_perm_b32 v37, v55, v54, s44
	v_mfma_f32_16x16x16_bf16 v[32:35], v[38:39], v[8:9], v[32:35]
	v_cvt_pk_f32_fp8_e32 v[38:39], v13
	v_cvt_pk_f32_fp8_sdwa v[48:49], v13 src0_sel:WORD_1
	s_waitcnt vmcnt(7)
	v_cvt_pk_f32_fp8_e32 v[50:51], v16
	v_mfma_f32_16x16x16_bf16 v[32:35], v[36:37], v[2:3], v[32:35]
	v_perm_b32 v38, v39, v38, s44
	v_perm_b32 v39, v49, v48, s44
	v_cvt_pk_f32_fp8_e32 v[36:37], v14
	v_cvt_pk_f32_fp8_sdwa v[48:49], v14 src0_sel:WORD_1
	v_mfma_f32_16x16x16_bf16 v[32:35], v[38:39], v[4:5], v[32:35]
	v_cvt_pk_f32_fp8_e32 v[38:39], v15
	v_perm_b32 v36, v37, v36, s44
	v_perm_b32 v37, v49, v48, s44
	v_cvt_pk_f32_fp8_sdwa v[14:15], v15 src0_sel:WORD_1
	v_perm_b32 v48, v39, v38, s44
	v_cvt_pk_f32_fp8_sdwa v[52:53], v16 src0_sel:WORD_1
	v_mfma_f32_16x16x16_bf16 v[36:39], v[36:37], v[6:7], 0
	v_perm_b32 v49, v15, v14, s44
	v_perm_b32 v50, v51, v50, s44
	;; [unrolled: 1-line block ×3, first 2 shown]
	v_cvt_pk_f32_fp8_e32 v[52:53], v17
	v_cvt_pk_f32_fp8_sdwa v[54:55], v17 src0_sel:WORD_1
	v_mfma_f32_16x16x16_bf16 v[14:17], v[48:49], v[8:9], v[36:39]
	s_waitcnt vmcnt(5)
	v_cvt_pk_f32_fp8_sdwa v[48:49], v22 src0_sel:WORD_1
	s_load_dword s4, s[40:41], 0x0
	v_mov_b32_e32 v13, s15
	v_perm_b32 v36, v53, v52, s44
	v_perm_b32 v37, v55, v54, s44
	v_mfma_f32_16x16x16_bf16 v[14:17], v[50:51], v[2:3], v[14:17]
	v_cvt_pk_f32_fp8_e32 v[38:39], v22
	v_cvt_pk_f32_fp8_e32 v[50:51], v24
	v_cvt_pk_f32_fp8_sdwa v[54:55], v24 src0_sel:WORD_1
	v_mfma_f32_16x16x16_bf16 v[14:17], v[36:37], v[4:5], v[14:17]
	v_cvt_pk_f32_fp8_e32 v[36:37], v23
	v_perm_b32 v38, v39, v38, s44
	v_perm_b32 v39, v49, v48, s44
	v_cvt_pk_f32_fp8_sdwa v[22:23], v23 src0_sel:WORD_1
	v_perm_b32 v48, v37, v36, s44
	v_mfma_f32_16x16x16_bf16 v[36:39], v[38:39], v[6:7], 0
	v_perm_b32 v49, v23, v22, s44
	v_perm_b32 v22, v51, v50, s44
	;; [unrolled: 1-line block ×3, first 2 shown]
	v_cvt_pk_f32_fp8_e32 v[50:51], v25
	v_cvt_pk_f32_fp8_sdwa v[54:55], v25 src0_sel:WORD_1
	v_mfma_f32_16x16x16_bf16 v[36:39], v[48:49], v[8:9], v[36:39]
	s_waitcnt lgkmcnt(0)
	v_mul_f32_e32 v52, s4, v13
	v_pk_mul_f32 v[24:25], v[52:53], v[34:35] op_sel_hi:[0,1]
	v_perm_b32 v34, v51, v50, s44
	v_perm_b32 v35, v55, v54, s44
	v_mfma_f32_16x16x16_bf16 v[48:51], v[22:23], v[2:3], v[36:39]
	s_waitcnt vmcnt(3)
	v_cvt_pk_f32_fp8_e32 v[22:23], v18
	v_cvt_pk_f32_fp8_e32 v[54:55], v20
	v_cvt_pk_f32_fp8_sdwa v[56:57], v20 src0_sel:WORD_1
	v_pk_mul_f32 v[36:37], v[52:53], v[32:33] op_sel_hi:[0,1]
	v_cvt_pk_f32_fp8_sdwa v[32:33], v18 src0_sel:WORD_1
	v_mfma_f32_16x16x16_bf16 v[48:51], v[34:35], v[4:5], v[48:51]
	v_cvt_pk_f32_fp8_e32 v[34:35], v19
	v_perm_b32 v22, v23, v22, s44
	v_perm_b32 v23, v33, v32, s44
	v_cvt_pk_f32_fp8_sdwa v[18:19], v19 src0_sel:WORD_1
	v_perm_b32 v38, v35, v34, s44
	v_mfma_f32_16x16x16_bf16 v[32:35], v[22:23], v[6:7], 0
	v_perm_b32 v39, v19, v18, s44
	v_perm_b32 v18, v55, v54, s44
	;; [unrolled: 1-line block ×3, first 2 shown]
	v_cvt_pk_f32_fp8_e32 v[22:23], v21
	v_cvt_pk_f32_fp8_sdwa v[20:21], v21 src0_sel:WORD_1
	v_mfma_f32_16x16x16_bf16 v[6:9], v[38:39], v[8:9], v[32:35]
	v_pk_mul_f32 v[38:39], v[52:53], v[14:15] op_sel_hi:[0,1]
	v_mad_i64_i32 v[10:11], s[6:7], v47, s45, v[30:31]
	s_nop 0
	v_pk_mul_f32 v[34:35], v[52:53], v[16:17] op_sel_hi:[0,1]
	v_perm_b32 v16, v23, v22, s44
	v_perm_b32 v17, v21, v20, s44
	v_mfma_f32_16x16x16_bf16 v[6:9], v[18:19], v[2:3], v[6:9]
	v_pk_mul_f32 v[22:23], v[52:53], v[50:51] op_sel_hi:[0,1]
	v_pk_mul_f32 v[32:33], v[52:53], v[48:49] op_sel_hi:[0,1]
	v_mfma_f32_16x16x16_bf16 v[2:5], v[16:17], v[4:5], v[6:9]
	s_nop 6
	v_pk_mul_f32 v[20:21], v[52:53], v[2:3] op_sel_hi:[0,1]
	v_and_b32_e32 v2, 0xc0, v0
	v_add_u32_e32 v2, s5, v2
	v_lshl_or_b32 v2, v1, 2, v2
	v_or_b32_e32 v3, 1, v2
	v_pk_mul_f32 v[18:19], v[52:53], v[4:5] op_sel_hi:[0,1]
	v_subrev_u32_e32 v4, s48, v3
	v_add_u32_e32 v6, 1, v4
	v_add_u32_e32 v7, 2, v4
	v_cvt_f32_i32_e32 v5, v4
	v_cvt_f32_i32_e32 v6, v6
	;; [unrolled: 1-line block ×3, first 2 shown]
	v_add_u32_e32 v8, 3, v4
	v_fma_f32 v9, v46, v5, v36
	v_fmac_f32_e32 v37, v46, v6
	v_fma_f32 v24, v46, v7, v24
	v_add_u32_e32 v5, 16, v4
	v_add_u32_e32 v6, 17, v4
	;; [unrolled: 1-line block ×3, first 2 shown]
	v_cvt_f32_i32_e32 v8, v8
	v_cvt_f32_i32_e32 v5, v5
	;; [unrolled: 1-line block ×4, first 2 shown]
	v_fmac_f32_e32 v25, v46, v8
	v_add_u32_e32 v8, 19, v4
	v_fma_f32 v38, v46, v5, v38
	v_fmac_f32_e32 v39, v46, v6
	v_fma_f32 v34, v46, v7, v34
	v_add_u32_e32 v5, 32, v4
	v_add_u32_e32 v6, 33, v4
	;; [unrolled: 1-line block ×3, first 2 shown]
	v_cvt_f32_i32_e32 v8, v8
	v_cvt_f32_i32_e32 v5, v5
	;; [unrolled: 1-line block ×4, first 2 shown]
	v_fmac_f32_e32 v35, v46, v8
	v_add_u32_e32 v8, 35, v4
	v_fma_f32 v32, v46, v5, v32
	v_fmac_f32_e32 v33, v46, v6
	v_fma_f32 v22, v46, v7, v22
	v_add_u32_e32 v5, 48, v4
	v_add_u32_e32 v6, 49, v4
	;; [unrolled: 1-line block ×4, first 2 shown]
	v_cvt_f32_i32_e32 v4, v4
	v_cvt_f32_i32_e32 v5, v5
	;; [unrolled: 1-line block ×3, first 2 shown]
	v_cmp_gt_i32_e64 s[4:5], s48, v2
	v_fmac_f32_e32 v19, v46, v4
	v_mov_b32_e32 v4, 0xff7fffff
	v_cmp_gt_i32_e64 s[28:29], s48, v3
	v_fma_f32 v20, v46, v5, v20
	v_cndmask_b32_e64 v5, v4, v9, s[4:5]
	v_cndmask_b32_e64 v3, v4, v37, s[28:29]
	v_fmac_f32_e32 v21, v46, v6
	v_max3_f32 v3, v5, s46, v3
	v_or_b32_e32 v5, 2, v2
	v_or_b32_e32 v6, 3, v2
	v_cmp_gt_i32_e64 s[30:31], s48, v5
	v_cmp_gt_i32_e64 s[34:35], s48, v6
	v_cvt_f32_i32_e32 v8, v8
	v_cndmask_b32_e64 v5, v4, v24, s[30:31]
	v_cndmask_b32_e64 v6, v4, v25, s[34:35]
	v_max3_f32 v3, v3, v5, v6
	v_or_b32_e32 v5, 16, v2
	v_or_b32_e32 v6, 17, v2
	v_cmp_gt_i32_e64 s[36:37], s48, v5
	v_cmp_gt_i32_e64 s[38:39], s48, v6
	v_fmac_f32_e32 v23, v46, v8
	v_cndmask_b32_e64 v5, v4, v38, s[36:37]
	v_cndmask_b32_e64 v6, v4, v39, s[38:39]
	v_max3_f32 v3, v3, v5, v6
	v_or_b32_e32 v5, 18, v2
	v_or_b32_e32 v6, 19, v2
	v_cmp_gt_i32_e64 s[20:21], s48, v5
	v_cmp_gt_i32_e64 s[22:23], s48, v6
	v_cvt_f32_i32_e32 v7, v7
	v_cndmask_b32_e64 v5, v4, v34, s[20:21]
	v_cndmask_b32_e64 v6, v4, v35, s[22:23]
	v_max3_f32 v3, v3, v5, v6
	v_or_b32_e32 v5, 32, v2
	v_or_b32_e32 v6, 33, v2
	v_cmp_gt_i32_e64 s[16:17], s48, v5
	v_cmp_gt_i32_e64 s[18:19], s48, v6
	v_fma_f32 v18, v46, v7, v18
	v_cndmask_b32_e64 v5, v4, v32, s[16:17]
	v_cndmask_b32_e64 v6, v4, v33, s[18:19]
	v_max3_f32 v3, v3, v5, v6
	v_or_b32_e32 v5, 34, v2
	v_or_b32_e32 v6, 35, v2
	v_cmp_gt_i32_e64 s[12:13], s48, v5
	v_cmp_gt_i32_e64 s[14:15], s48, v6
	s_nop 0
	v_cndmask_b32_e64 v5, v4, v22, s[12:13]
	v_cndmask_b32_e64 v6, v4, v23, s[14:15]
	v_max3_f32 v3, v3, v5, v6
	v_or_b32_e32 v5, 48, v2
	v_or_b32_e32 v6, 49, v2
	v_cmp_gt_i32_e64 s[8:9], s48, v5
	v_cmp_gt_i32_e64 s[10:11], s48, v6
	s_nop 0
	v_cndmask_b32_e64 v5, v4, v20, s[8:9]
	v_cndmask_b32_e64 v6, v4, v21, s[10:11]
	v_max3_f32 v3, v3, v5, v6
	v_or_b32_e32 v5, 50, v2
	v_or_b32_e32 v2, 51, v2
	v_cmp_gt_i32_e32 vcc, s48, v5
	v_cmp_gt_i32_e64 s[6:7], s48, v2
	s_nop 0
	v_cndmask_b32_e32 v5, v4, v18, vcc
	v_cndmask_b32_e64 v2, v4, v19, s[6:7]
	v_max3_f32 v4, v3, v5, v2
	v_mbcnt_lo_u32_b32 v2, -1, 0
	v_mbcnt_hi_u32_b32 v5, -1, v2
	v_and_b32_e32 v2, 64, v5
	v_add_u32_e32 v6, 64, v2
	v_xor_b32_e32 v2, 32, v5
	v_cmp_lt_i32_e64 s[40:41], v2, v6
	s_nop 1
	v_cndmask_b32_e64 v2, v5, v2, s[40:41]
	v_lshlrev_b32_e32 v46, 2, v2
	ds_bpermute_b32 v7, v46, v4
	s_waitcnt vmcnt(2)
	v_mad_i64_i32 v[2:3], s[40:41], v12, s45, v[30:31]
	global_load_dwordx4 v[14:17], v[10:11], off
	s_nop 0
	global_load_dwordx4 v[10:13], v[2:3], off
	s_waitcnt lgkmcnt(0)
	v_max_f32_e32 v2, v7, v7
	v_max_f32_e32 v7, v4, v2
	v_xor_b32_e32 v2, 16, v5
	v_cmp_lt_i32_e64 s[40:41], v2, v6
	s_nop 1
	v_cndmask_b32_e64 v2, v5, v2, s[40:41]
	v_lshlrev_b32_e32 v47, 2, v2
	ds_bpermute_b32 v6, v47, v7
	s_waitcnt vmcnt(3)
	v_mad_i64_i32 v[2:3], s[40:41], v29, s45, v[30:31]
	s_waitcnt vmcnt(2)
	v_mad_i64_i32 v[4:5], s[40:41], v45, s45, v[30:31]
	s_waitcnt lgkmcnt(0)
	v_max_f32_e32 v6, v6, v6
	v_max_f32_e32 v29, v7, v6
	v_sub_f32_e32 v6, v9, v29
	v_mul_f32_e32 v6, 0x3fb8aa3b, v6
	v_exp_f32_e32 v30, v6
	v_sub_f32_e32 v6, v37, v29
	v_mul_f32_e32 v6, 0x3fb8aa3b, v6
	v_exp_f32_e32 v31, v6
	global_load_dwordx4 v[6:9], v[2:3], off
	s_nop 0
	global_load_dwordx4 v[2:5], v[4:5], off
	v_sub_f32_e32 v24, v24, v29
	v_mul_f32_e32 v24, 0x3fb8aa3b, v24
	v_sub_f32_e32 v25, v25, v29
	v_exp_f32_e32 v24, v24
	v_mul_f32_e32 v25, 0x3fb8aa3b, v25
	v_exp_f32_e32 v25, v25
	v_cndmask_b32_e64 v30, 0, v30, s[4:5]
	v_add_f32_e32 v36, 0, v30
	v_cndmask_b32_e64 v31, 0, v31, s[28:29]
	v_add_f32_e32 v37, v36, v31
	;; [unrolled: 2-line block ×3, first 2 shown]
	v_cndmask_b32_e64 v37, 0, v25, s[34:35]
	v_sub_f32_e32 v25, v38, v29
	v_mul_f32_e32 v25, 0x3fb8aa3b, v25
	v_sub_f32_e32 v38, v39, v29
	v_exp_f32_e32 v25, v25
	v_mul_f32_e32 v38, 0x3fb8aa3b, v38
	v_sub_f32_e32 v34, v34, v29
	v_exp_f32_e32 v38, v38
	;; [unrolled: 3-line block ×4, first 2 shown]
	v_mul_f32_e32 v32, 0x3fb8aa3b, v32
	v_sub_f32_e32 v33, v33, v29
	v_add_f32_e32 v39, v24, v37
	v_cndmask_b32_e64 v24, 0, v25, s[36:37]
	v_exp_f32_e32 v32, v32
	v_mul_f32_e32 v33, 0x3fb8aa3b, v33
	v_sub_f32_e32 v22, v22, v29
	v_add_f32_e32 v39, v39, v24
	v_cndmask_b32_e64 v25, 0, v38, s[38:39]
	v_exp_f32_e32 v33, v33
	;; [unrolled: 5-line block ×7, first 2 shown]
	v_mul_f32_e32 v19, 0x3fb8aa3b, v19
	v_add_f32_e32 v38, v38, v22
	v_cndmask_b32_e64 v23, 0, v23, s[14:15]
	v_exp_f32_e32 v19, v19
	v_add_f32_e32 v38, v38, v23
	v_cndmask_b32_e64 v20, 0, v20, s[8:9]
	v_add_f32_e32 v38, v38, v20
	v_cndmask_b32_e64 v21, 0, v21, s[10:11]
	v_add_f32_e32 v38, v38, v21
	v_cndmask_b32_e32 v18, 0, v18, vcc
	v_add_f32_e32 v38, v38, v18
	v_cndmask_b32_e64 v19, 0, v19, s[6:7]
	v_add_f32_e32 v38, v38, v19
	ds_bpermute_b32 v39, v46, v38
	v_cmp_gt_u32_e32 vcc, 16, v42
	s_waitcnt lgkmcnt(0)
	s_barrier
	v_add_f32_e32 v38, v38, v39
	ds_bpermute_b32 v45, v47, v38
	v_lshlrev_b32_e32 v39, 2, v43
	s_and_saveexec_b64 s[4:5], vcc
	s_cbranch_execz .LBB1183_13
; %bb.12:
	s_waitcnt lgkmcnt(0)
	v_add_f32_e32 v38, v38, v45
	v_lshl_or_b32 v42, v41, 6, v39
	ds_write2st64_b32 v42, v29, v38 offset1:1
.LBB1183_13:
	s_or_b64 exec, exec, s[4:5]
	s_load_dword s6, s[0:1], 0x94
	s_waitcnt lgkmcnt(0)
	s_barrier
	ds_read2_b32 v[42:43], v39 offset1:16
	ds_read2_b32 v[46:47], v39 offset0:32 offset1:48
	ds_read2_b32 v[48:49], v39 offset0:64 offset1:80
	s_movk_i32 s8, 0x7fff
	s_lshl_b32 s7, s33, 4
	s_waitcnt lgkmcnt(2)
	v_max3_f32 v29, v42, s46, v43
	s_waitcnt lgkmcnt(1)
	v_max3_f32 v38, v29, v46, v47
	v_sub_f32_e32 v29, v42, v38
	v_sub_f32_e32 v42, v43, v38
	v_mul_f32_e32 v42, 0x3fb8aa3b, v42
	v_mul_f32_e32 v29, 0x3fb8aa3b, v29
	v_exp_f32_e32 v45, v42
	v_sub_f32_e32 v42, v46, v38
	v_exp_f32_e32 v29, v29
	v_mul_f32_e32 v42, 0x3fb8aa3b, v42
	v_exp_f32_e32 v46, v42
	ds_read2_b32 v[42:43], v39 offset0:96 offset1:112
	v_sub_f32_e32 v39, v47, v38
	v_mul_f32_e32 v39, 0x3fb8aa3b, v39
	v_exp_f32_e32 v47, v39
	s_waitcnt lgkmcnt(1)
	v_fma_f32 v39, v29, v48, 0
	v_fmac_f32_e32 v39, v45, v49
	s_waitcnt lgkmcnt(0)
	v_fmac_f32_e32 v39, v46, v42
	v_fmac_f32_e32 v39, v47, v43
	v_add_f32_e32 v42, 0x358637bd, v39
	v_div_scale_f32 v43, s[4:5], v42, v42, 1.0
	v_rcp_f32_e32 v48, v43
	s_barrier
	v_fma_f32 v49, -v43, v48, 1.0
	v_fmac_f32_e32 v48, v49, v48
	v_div_scale_f32 v49, vcc, 1.0, v42, 1.0
	v_mul_f32_e32 v50, v49, v48
	v_fma_f32 v51, -v43, v50, v49
	v_fmac_f32_e32 v50, v51, v48
	v_fma_f32 v43, -v43, v50, v49
	v_div_fmas_f32 v43, v43, v48, v50
	v_cmp_eq_u32_e32 vcc, 1, v41
	v_div_fixup_f32 v42, v43, v42, 1.0
	s_nop 0
	v_cndmask_b32_e32 v29, v29, v45, vcc
	v_cmp_eq_u32_e32 vcc, 2, v41
	s_nop 1
	v_cndmask_b32_e32 v29, v29, v46, vcc
	v_cmp_eq_u32_e32 vcc, 3, v41
	s_nop 1
	v_cndmask_b32_e32 v29, v29, v47, vcc
	v_mul_f32_e32 v42, v29, v42
	v_pk_mul_f32 v[30:31], v[42:43], v[30:31] op_sel_hi:[0,1]
	v_pk_mul_f32 v[36:37], v[42:43], v[36:37] op_sel_hi:[0,1]
	v_bfe_u32 v29, v31, 16, 1
	v_bfe_u32 v43, v30, 16, 1
	v_add3_u32 v30, v30, v43, s8
	v_add3_u32 v29, v31, v29, s8
	v_perm_b32 v46, v29, v30, s44
	v_bfe_u32 v29, v37, 16, 1
	v_bfe_u32 v30, v36, 16, 1
	v_add3_u32 v30, v36, v30, s8
	v_add3_u32 v29, v37, v29, s8
	v_perm_b32 v47, v29, v30, s44
	v_lshlrev_b32_e32 v29, 3, v1
	v_lshlrev_b32_e32 v30, 11, v41
	v_pk_mul_f32 v[24:25], v[42:43], v[24:25] op_sel_hi:[0,1]
	v_or3_b32 v30, v30, v44, v29
	v_bfe_u32 v29, v25, 16, 1
	v_bfe_u32 v31, v24, 16, 1
	v_pk_mul_f32 v[34:35], v[42:43], v[34:35] op_sel_hi:[0,1]
	v_add3_u32 v24, v24, v31, s8
	v_add3_u32 v25, v25, v29, s8
	v_perm_b32 v24, v25, v24, s44
	v_bfe_u32 v25, v35, 16, 1
	v_bfe_u32 v29, v34, 16, 1
	v_add3_u32 v29, v34, v29, s8
	v_add3_u32 v25, v35, v25, s8
	v_perm_b32 v25, v25, v29, s44
	ds_write2st64_b64 v30, v[46:47], v[24:25] offset1:1
	v_pk_mul_f32 v[24:25], v[42:43], v[32:33] op_sel_hi:[0,1]
	v_bfe_u32 v29, v25, 16, 1
	v_bfe_u32 v31, v24, 16, 1
	v_pk_mul_f32 v[22:23], v[42:43], v[22:23] op_sel_hi:[0,1]
	v_add3_u32 v24, v24, v31, s8
	v_add3_u32 v25, v25, v29, s8
	v_perm_b32 v24, v25, v24, s44
	v_bfe_u32 v25, v23, 16, 1
	v_bfe_u32 v29, v22, 16, 1
	v_add3_u32 v22, v22, v29, s8
	v_add3_u32 v23, v23, v25, s8
	v_pk_mul_f32 v[20:21], v[42:43], v[20:21] op_sel_hi:[0,1]
	v_perm_b32 v25, v23, v22, s44
	v_bfe_u32 v22, v21, 16, 1
	v_bfe_u32 v23, v20, 16, 1
	v_pk_mul_f32 v[18:19], v[42:43], v[18:19] op_sel_hi:[0,1]
	v_add3_u32 v20, v20, v23, s8
	v_add3_u32 v21, v21, v22, s8
	v_perm_b32 v20, v21, v20, s44
	v_bfe_u32 v21, v19, 16, 1
	v_bfe_u32 v22, v18, 16, 1
	v_add3_u32 v18, v18, v22, s8
	v_add3_u32 v19, v19, v21, s8
	v_perm_b32 v21, v19, v18, s44
	v_cmp_gt_u32_e32 vcc, 16, v0
	ds_write2st64_b64 v30, v[24:25], v[20:21] offset0:2 offset1:3
	s_and_saveexec_b64 s[4:5], vcc
	s_cbranch_execz .LBB1183_15
; %bb.14:
	v_mov_b32_e32 v29, 0
	v_mov_b32_e32 v18, s7
	s_mul_i32 s3, s3, s7
	v_mad_u64_u32 v[18:19], s[10:11], s2, v18, v[28:29]
	v_mov_b32_e32 v28, s24
	s_load_dwordx4 s[12:15], s[0:1], 0x58
	v_add_u32_e32 v21, s3, v19
	v_mad_u64_u32 v[18:19], s[10:11], v18, s6, v[28:29]
	v_mov_b32_e32 v20, v19
	v_mad_u64_u32 v[20:21], s[10:11], v21, s6, v[20:21]
	v_mov_b32_e32 v19, v20
	v_lshlrev_b64 v[18:19], 2, v[18:19]
	s_waitcnt lgkmcnt(0)
	v_lshl_add_u64 v[20:21], s[14:15], 0, v[18:19]
	v_lshl_add_u64 v[18:19], s[12:13], 0, v[18:19]
	global_store_dword v[20:21], v38, off
	global_store_dword v[18:19], v39, off
.LBB1183_15:
	s_or_b64 exec, exec, s[4:5]
	s_waitcnt vmcnt(3)
	v_cvt_pk_f32_fp8_e32 v[18:19], v14
	v_cvt_pk_f32_fp8_sdwa v[20:21], v14 src0_sel:WORD_1
	s_mov_b32 s4, 0x7060302
	s_waitcnt lgkmcnt(0)
	s_barrier
	v_perm_b32 v28, v19, v18, s4
	v_perm_b32 v29, v21, v20, s4
	v_cvt_pk_f32_fp8_e32 v[22:23], v15
	ds_read_b128 v[18:21], v27
	v_cvt_pk_f32_fp8_sdwa v[14:15], v15 src0_sel:WORD_1
	s_load_dword s10, s[42:43], 0x0
	v_perm_b32 v36, v23, v22, s4
	ds_read_b128 v[22:25], v27 offset:16
	v_perm_b32 v37, v15, v14, s4
	s_waitcnt lgkmcnt(0)
	v_mfma_f32_16x16x16_bf16 v[32:35], v[28:29], v[18:19], 0
	v_cvt_pk_f32_fp8_e32 v[14:15], v16
	v_cvt_pk_f32_fp8_sdwa v[28:29], v16 src0_sel:WORD_1
	v_cmp_gt_u32_e32 vcc, 64, v0
	v_mfma_f32_16x16x16_bf16 v[18:21], v[36:37], v[20:21], v[32:35]
	v_perm_b32 v14, v15, v14, s4
	v_perm_b32 v15, v29, v28, s4
	s_mov_b32 s3, 0
	v_cvt_pk_f32_fp8_e32 v[32:33], v17
	v_cvt_pk_f32_fp8_sdwa v[16:17], v17 src0_sel:WORD_1
	s_waitcnt vmcnt(2)
	v_cvt_pk_f32_fp8_sdwa v[34:35], v10 src0_sel:WORD_1
	v_perm_b32 v28, v33, v32, s4
	v_cvt_pk_f32_fp8_e32 v[32:33], v10
	v_perm_b32 v29, v17, v16, s4
	v_mfma_f32_16x16x16_bf16 v[14:17], v[14:15], v[22:23], v[18:21]
	v_cvt_pk_f32_fp8_e32 v[22:23], v11
	v_perm_b32 v32, v33, v32, s4
	v_perm_b32 v33, v35, v34, s4
	ds_read_b128 v[18:21], v27 offset:2048
	v_cvt_pk_f32_fp8_sdwa v[10:11], v11 src0_sel:WORD_1
	v_mfma_f32_16x16x16_bf16 v[14:17], v[28:29], v[24:25], v[14:17]
	v_perm_b32 v28, v23, v22, s4
	ds_read_b128 v[22:25], v27 offset:2064
	v_perm_b32 v29, v11, v10, s4
	s_waitcnt lgkmcnt(1)
	v_mfma_f32_16x16x16_bf16 v[14:17], v[32:33], v[18:19], v[14:17]
	v_cvt_pk_f32_fp8_e32 v[10:11], v12
	v_cvt_pk_f32_fp8_sdwa v[18:19], v12 src0_sel:WORD_1
	v_perm_b32 v10, v11, v10, s4
	v_mfma_f32_16x16x16_bf16 v[14:17], v[28:29], v[20:21], v[14:17]
	v_cvt_pk_f32_fp8_e32 v[20:21], v13
	v_perm_b32 v11, v19, v18, s4
	v_cvt_pk_f32_fp8_sdwa v[12:13], v13 src0_sel:WORD_1
	s_waitcnt vmcnt(1)
	v_cvt_pk_f32_fp8_sdwa v[28:29], v6 src0_sel:WORD_1
	v_perm_b32 v18, v21, v20, s4
	v_cvt_pk_f32_fp8_e32 v[20:21], v6
	v_perm_b32 v19, v13, v12, s4
	s_waitcnt lgkmcnt(0)
	v_mfma_f32_16x16x16_bf16 v[10:13], v[10:11], v[22:23], v[14:17]
	v_perm_b32 v23, v29, v28, s4
	v_perm_b32 v22, v21, v20, s4
	v_cvt_pk_f32_fp8_e32 v[20:21], v7
	ds_read_b128 v[14:17], v27 offset:4096
	v_cvt_pk_f32_fp8_sdwa v[6:7], v7 src0_sel:WORD_1
	v_mfma_f32_16x16x16_bf16 v[10:13], v[18:19], v[24:25], v[10:13]
	v_perm_b32 v24, v21, v20, s4
	ds_read_b128 v[18:21], v27 offset:4112
	v_perm_b32 v25, v7, v6, s4
	s_waitcnt lgkmcnt(1)
	v_mfma_f32_16x16x16_bf16 v[10:13], v[22:23], v[14:15], v[10:13]
	v_cvt_pk_f32_fp8_e32 v[6:7], v8
	v_cvt_pk_f32_fp8_sdwa v[14:15], v8 src0_sel:WORD_1
	s_waitcnt vmcnt(0)
	v_cvt_pk_f32_fp8_sdwa v[22:23], v2 src0_sel:WORD_1
	v_mfma_f32_16x16x16_bf16 v[10:13], v[24:25], v[16:17], v[10:13]
	v_cvt_pk_f32_fp8_e32 v[16:17], v9
	v_perm_b32 v6, v7, v6, s4
	v_perm_b32 v7, v15, v14, s4
	v_cvt_pk_f32_fp8_sdwa v[8:9], v9 src0_sel:WORD_1
	v_perm_b32 v14, v17, v16, s4
	v_cvt_pk_f32_fp8_e32 v[16:17], v2
	v_perm_b32 v15, v9, v8, s4
	s_waitcnt lgkmcnt(0)
	v_mfma_f32_16x16x16_bf16 v[6:9], v[6:7], v[18:19], v[10:13]
	v_perm_b32 v18, v17, v16, s4
	v_perm_b32 v19, v23, v22, s4
	v_cvt_pk_f32_fp8_e32 v[16:17], v3
	ds_read_b128 v[10:13], v27 offset:6144
	v_cvt_pk_f32_fp8_sdwa v[2:3], v3 src0_sel:WORD_1
	v_mfma_f32_16x16x16_bf16 v[6:9], v[14:15], v[20:21], v[6:9]
	v_perm_b32 v20, v17, v16, s4
	ds_read_b128 v[14:17], v27 offset:6160
	v_perm_b32 v21, v3, v2, s4
	s_waitcnt lgkmcnt(1)
	v_mfma_f32_16x16x16_bf16 v[6:9], v[18:19], v[10:11], v[6:9]
	v_cvt_pk_f32_fp8_e32 v[2:3], v4
	v_cvt_pk_f32_fp8_sdwa v[10:11], v4 src0_sel:WORD_1
	v_mov_b32_e32 v27, 0
	v_mfma_f32_16x16x16_bf16 v[6:9], v[20:21], v[12:13], v[6:9]
	v_perm_b32 v2, v3, v2, s4
	v_perm_b32 v3, v11, v10, s4
	v_cvt_pk_f32_fp8_e32 v[10:11], v5
	v_cvt_pk_f32_fp8_sdwa v[4:5], v5 src0_sel:WORD_1
	s_waitcnt lgkmcnt(0)
	s_barrier
	v_perm_b32 v10, v11, v10, s4
	v_perm_b32 v11, v5, v4, s4
	v_mfma_f32_16x16x16_bf16 v[2:5], v[2:3], v[14:15], v[6:9]
	s_nop 0
	v_mfma_f32_16x16x16_bf16 v[2:5], v[10:11], v[16:17], v[2:5]
	s_nop 6
	v_pk_mul_f32 v[2:3], v[2:3], s[10:11] op_sel_hi:[1,0]
	v_pk_mul_f32 v[4:5], v[4:5], s[10:11] op_sel_hi:[1,0]
	v_bfe_u32 v6, v3, 16, 1
	v_bfe_u32 v7, v2, 16, 1
	v_add3_u32 v2, v2, v7, s8
	v_add3_u32 v3, v3, v6, s8
	v_perm_b32 v2, v3, v2, s4
	v_bfe_u32 v3, v5, 16, 1
	v_bfe_u32 v6, v4, 16, 1
	v_add3_u32 v4, v4, v6, s8
	v_add3_u32 v3, v5, v3, s8
	v_perm_b32 v3, v3, v4, s4
	s_and_b64 s[4:5], vcc, s[26:27]
	ds_write_b64 v30, v[2:3]
	s_waitcnt lgkmcnt(0)
	s_barrier
	s_and_saveexec_b64 s[8:9], s[4:5]
	s_cbranch_execz .LBB1183_17
; %bb.16:
	s_load_dwordx2 s[0:1], s[0:1], 0x68
	s_lshl_b32 s6, s6, 6
	s_mul_i32 s2, s7, s2
	s_mul_hi_u32 s5, s2, s6
	s_mul_i32 s4, s2, s6
	s_lshl_b64 s[4:5], s[4:5], 1
	s_waitcnt lgkmcnt(0)
	s_add_u32 s4, s0, s4
	s_addc_u32 s5, s1, s5
	s_lshl_b32 s2, s24, 6
	v_lshlrev_b32_e32 v0, 10, v0
	s_lshl_b64 s[0:1], s[2:3], 1
	v_and_b32_e32 v0, 0x1800, v0
	v_lshlrev_b32_e32 v2, 5, v1
	v_and_b32_e32 v3, 16, v40
	s_add_u32 s0, s4, s0
	v_or3_b32 v0, v0, v2, v3
	s_addc_u32 s1, s5, s1
	v_or_b32_e32 v20, s25, v1
	ds_read_b128 v[2:5], v0
	ds_read_b128 v[6:9], v0 offset:128
	ds_read_b128 v[10:13], v0 offset:256
	;; [unrolled: 1-line block ×3, first 2 shown]
	v_lshl_add_u64 v[18:19], s[0:1], 0, v[26:27]
	v_mad_u64_u32 v[0:1], s[0:1], v20, s6, 0
	v_lshl_add_u64 v[0:1], v[0:1], 1, v[18:19]
	s_waitcnt lgkmcnt(3)
	global_store_dwordx4 v[0:1], v[2:5], off
	v_or_b32_e32 v0, 4, v20
	v_mad_u64_u32 v[0:1], s[0:1], v0, s6, 0
	v_lshl_add_u64 v[0:1], v[0:1], 1, v[18:19]
	s_waitcnt lgkmcnt(2)
	global_store_dwordx4 v[0:1], v[6:9], off
	v_or_b32_e32 v0, 8, v20
	;; [unrolled: 5-line block ×3, first 2 shown]
	v_mad_u64_u32 v[0:1], s[0:1], v0, s6, 0
	v_lshl_add_u64 v[0:1], v[0:1], 1, v[18:19]
	s_waitcnt lgkmcnt(0)
	global_store_dwordx4 v[0:1], v[14:17], off
.LBB1183_17:
	s_endpgm
	.section	.rodata,"a",@progbits
	.p2align	6, 0x0
	.amdhsa_kernel _Z39paged_attention_ll4mi_QKV_mfma16_kernelI14__hip_bfloat16hLN4vllm18Fp8KVCacheDataTypeE1EhLi32ELi64ELi256ELb1ELi16EEvPKT_PKT0_S8_ifPKiSA_SA_iPKfiiiPfSD_PS3_PT2_iSC_SC_
		.amdhsa_group_segment_fixed_size 8192
		.amdhsa_private_segment_fixed_size 0
		.amdhsa_kernarg_size 400
		.amdhsa_user_sgpr_count 2
		.amdhsa_user_sgpr_dispatch_ptr 0
		.amdhsa_user_sgpr_queue_ptr 0
		.amdhsa_user_sgpr_kernarg_segment_ptr 1
		.amdhsa_user_sgpr_dispatch_id 0
		.amdhsa_user_sgpr_kernarg_preload_length 0
		.amdhsa_user_sgpr_kernarg_preload_offset 0
		.amdhsa_user_sgpr_private_segment_size 0
		.amdhsa_uses_dynamic_stack 0
		.amdhsa_enable_private_segment 0
		.amdhsa_system_sgpr_workgroup_id_x 1
		.amdhsa_system_sgpr_workgroup_id_y 1
		.amdhsa_system_sgpr_workgroup_id_z 1
		.amdhsa_system_sgpr_workgroup_info 0
		.amdhsa_system_vgpr_workitem_id 0
		.amdhsa_next_free_vgpr 58
		.amdhsa_next_free_sgpr 49
		.amdhsa_accum_offset 60
		.amdhsa_reserve_vcc 1
		.amdhsa_float_round_mode_32 0
		.amdhsa_float_round_mode_16_64 0
		.amdhsa_float_denorm_mode_32 3
		.amdhsa_float_denorm_mode_16_64 3
		.amdhsa_dx10_clamp 1
		.amdhsa_ieee_mode 1
		.amdhsa_fp16_overflow 0
		.amdhsa_tg_split 0
		.amdhsa_exception_fp_ieee_invalid_op 0
		.amdhsa_exception_fp_denorm_src 0
		.amdhsa_exception_fp_ieee_div_zero 0
		.amdhsa_exception_fp_ieee_overflow 0
		.amdhsa_exception_fp_ieee_underflow 0
		.amdhsa_exception_fp_ieee_inexact 0
		.amdhsa_exception_int_div_zero 0
	.end_amdhsa_kernel
	.section	.text._Z39paged_attention_ll4mi_QKV_mfma16_kernelI14__hip_bfloat16hLN4vllm18Fp8KVCacheDataTypeE1EhLi32ELi64ELi256ELb1ELi16EEvPKT_PKT0_S8_ifPKiSA_SA_iPKfiiiPfSD_PS3_PT2_iSC_SC_,"axG",@progbits,_Z39paged_attention_ll4mi_QKV_mfma16_kernelI14__hip_bfloat16hLN4vllm18Fp8KVCacheDataTypeE1EhLi32ELi64ELi256ELb1ELi16EEvPKT_PKT0_S8_ifPKiSA_SA_iPKfiiiPfSD_PS3_PT2_iSC_SC_,comdat
.Lfunc_end1183:
	.size	_Z39paged_attention_ll4mi_QKV_mfma16_kernelI14__hip_bfloat16hLN4vllm18Fp8KVCacheDataTypeE1EhLi32ELi64ELi256ELb1ELi16EEvPKT_PKT0_S8_ifPKiSA_SA_iPKfiiiPfSD_PS3_PT2_iSC_SC_, .Lfunc_end1183-_Z39paged_attention_ll4mi_QKV_mfma16_kernelI14__hip_bfloat16hLN4vllm18Fp8KVCacheDataTypeE1EhLi32ELi64ELi256ELb1ELi16EEvPKT_PKT0_S8_ifPKiSA_SA_iPKfiiiPfSD_PS3_PT2_iSC_SC_
                                        ; -- End function
	.section	.AMDGPU.csdata,"",@progbits
; Kernel info:
; codeLenInByte = 5196
; NumSgprs: 55
; NumVgprs: 58
; NumAgprs: 0
; TotalNumVgprs: 58
; ScratchSize: 0
; MemoryBound: 0
; FloatMode: 240
; IeeeMode: 1
; LDSByteSize: 8192 bytes/workgroup (compile time only)
; SGPRBlocks: 6
; VGPRBlocks: 7
; NumSGPRsForWavesPerEU: 55
; NumVGPRsForWavesPerEU: 58
; AccumOffset: 60
; Occupancy: 8
; WaveLimiterHint : 1
; COMPUTE_PGM_RSRC2:SCRATCH_EN: 0
; COMPUTE_PGM_RSRC2:USER_SGPR: 2
; COMPUTE_PGM_RSRC2:TRAP_HANDLER: 0
; COMPUTE_PGM_RSRC2:TGID_X_EN: 1
; COMPUTE_PGM_RSRC2:TGID_Y_EN: 1
; COMPUTE_PGM_RSRC2:TGID_Z_EN: 1
; COMPUTE_PGM_RSRC2:TIDIG_COMP_CNT: 0
; COMPUTE_PGM_RSRC3_GFX90A:ACCUM_OFFSET: 14
; COMPUTE_PGM_RSRC3_GFX90A:TG_SPLIT: 0
	.section	.text._Z39paged_attention_ll4mi_QKV_mfma16_kernelI14__hip_bfloat16hLN4vllm18Fp8KVCacheDataTypeE1EhLi32ELi64ELi256ELb1ELi1EEvPKT_PKT0_S8_ifPKiSA_SA_iPKfiiiPfSD_PS3_PT2_iSC_SC_,"axG",@progbits,_Z39paged_attention_ll4mi_QKV_mfma16_kernelI14__hip_bfloat16hLN4vllm18Fp8KVCacheDataTypeE1EhLi32ELi64ELi256ELb1ELi1EEvPKT_PKT0_S8_ifPKiSA_SA_iPKfiiiPfSD_PS3_PT2_iSC_SC_,comdat
	.protected	_Z39paged_attention_ll4mi_QKV_mfma16_kernelI14__hip_bfloat16hLN4vllm18Fp8KVCacheDataTypeE1EhLi32ELi64ELi256ELb1ELi1EEvPKT_PKT0_S8_ifPKiSA_SA_iPKfiiiPfSD_PS3_PT2_iSC_SC_ ; -- Begin function _Z39paged_attention_ll4mi_QKV_mfma16_kernelI14__hip_bfloat16hLN4vllm18Fp8KVCacheDataTypeE1EhLi32ELi64ELi256ELb1ELi1EEvPKT_PKT0_S8_ifPKiSA_SA_iPKfiiiPfSD_PS3_PT2_iSC_SC_
	.globl	_Z39paged_attention_ll4mi_QKV_mfma16_kernelI14__hip_bfloat16hLN4vllm18Fp8KVCacheDataTypeE1EhLi32ELi64ELi256ELb1ELi1EEvPKT_PKT0_S8_ifPKiSA_SA_iPKfiiiPfSD_PS3_PT2_iSC_SC_
	.p2align	8
	.type	_Z39paged_attention_ll4mi_QKV_mfma16_kernelI14__hip_bfloat16hLN4vllm18Fp8KVCacheDataTypeE1EhLi32ELi64ELi256ELb1ELi1EEvPKT_PKT0_S8_ifPKiSA_SA_iPKfiiiPfSD_PS3_PT2_iSC_SC_,@function
_Z39paged_attention_ll4mi_QKV_mfma16_kernelI14__hip_bfloat16hLN4vllm18Fp8KVCacheDataTypeE1EhLi32ELi64ELi256ELb1ELi1EEvPKT_PKT0_S8_ifPKiSA_SA_iPKfiiiPfSD_PS3_PT2_iSC_SC_: ; @_Z39paged_attention_ll4mi_QKV_mfma16_kernelI14__hip_bfloat16hLN4vllm18Fp8KVCacheDataTypeE1EhLi32ELi64ELi256ELb1ELi1EEvPKT_PKT0_S8_ifPKiSA_SA_iPKfiiiPfSD_PS3_PT2_iSC_SC_
; %bb.0:
	s_load_dwordx2 s[6:7], s[0:1], 0x30
	s_mov_b32 s30, s3
	s_mov_b64 s[8:9], 0
	s_waitcnt lgkmcnt(0)
	s_cmp_lg_u64 s[6:7], 0
	s_cselect_b64 s[10:11], -1, 0
	s_and_b64 vcc, exec, s[10:11]
	s_cbranch_vccz .LBB1184_7
; %bb.1:
	s_add_i32 s12, s2, 1
	s_mov_b32 s13, 0
	s_lshl_b64 s[14:15], s[12:13], 2
	s_add_u32 s14, s6, s14
	s_mov_b32 s3, s13
	s_addc_u32 s15, s7, s15
	s_lshl_b64 s[12:13], s[2:3], 2
	s_add_u32 s12, s6, s12
	s_addc_u32 s13, s7, s13
	s_load_dword s5, s[14:15], 0x0
	s_load_dword s16, s[12:13], 0x0
	s_waitcnt lgkmcnt(0)
	s_sub_i32 s5, s5, s16
	s_cmp_eq_u32 s5, 1
	s_cselect_b64 s[12:13], -1, 0
	s_andn2_b64 vcc, exec, s[8:9]
	s_cbranch_vccnz .LBB1184_3
.LBB1184_2:
	s_mov_b32 s3, 0
	s_mov_b64 s[12:13], -1
.LBB1184_3:
	s_andn2_b64 vcc, exec, s[12:13]
	s_cbranch_vccnz .LBB1184_19
; %bb.4:
	s_load_dwordx2 s[8:9], s[0:1], 0x28
	s_lshl_b64 s[12:13], s[2:3], 2
	s_waitcnt lgkmcnt(0)
	s_add_u32 s8, s8, s12
	s_addc_u32 s9, s9, s13
	s_load_dword s31, s[8:9], 0x0
	s_lshl_b32 s16, s30, 8
	s_waitcnt lgkmcnt(0)
	s_cmp_ge_i32 s16, s31
	s_cbranch_scc1 .LBB1184_19
; %bb.5:
	s_load_dwordx2 s[8:9], s[0:1], 0x20
	s_load_dword s5, s[0:1], 0x38
	s_add_i32 s14, s31, 31
	s_ashr_i32 s15, s14, 31
	v_and_b32_e32 v1, 0xcf, v0
	s_lshr_b32 s15, s15, 27
	v_add_u32_e32 v1, s16, v1
	s_add_i32 s14, s14, s15
	v_ashrrev_i32_e32 v2, 31, v1
	s_ashr_i32 s17, s14, 5
	v_lshrrev_b32_e32 v4, 27, v2
	s_add_i32 s17, s17, -1
	s_waitcnt lgkmcnt(0)
	s_mul_i32 s14, s2, s5
	s_mov_b32 s15, 0
	v_add_u32_e32 v2, v1, v4
	s_lshl_b64 s[14:15], s[14:15], 2
	v_ashrrev_i32_e32 v2, 5, v2
	v_mov_b32_e32 v5, s17
	v_cmp_gt_i32_e32 vcc, s31, v1
	s_add_u32 s8, s8, s14
	s_addc_u32 s9, s9, s15
	v_cndmask_b32_e32 v2, v5, v2, vcc
	v_ashrrev_i32_e32 v3, 31, v2
	v_lshl_add_u64 v[6:7], v[2:3], 2, s[8:9]
	v_or_b32_e32 v2, 16, v1
	v_add_u32_e32 v3, v2, v4
	v_ashrrev_i32_e32 v3, 5, v3
	v_cmp_gt_i32_e32 vcc, s31, v2
	s_load_dwordx2 s[14:15], s[0:1], 0x8
	s_nop 0
	v_cndmask_b32_e32 v2, v5, v3, vcc
	v_ashrrev_i32_e32 v3, 31, v2
	v_lshl_add_u64 v[8:9], v[2:3], 2, s[8:9]
	v_or_b32_e32 v2, 32, v1
	v_add_u32_e32 v3, v2, v4
	v_ashrrev_i32_e32 v3, 5, v3
	v_cmp_gt_i32_e32 vcc, s31, v2
	v_or_b32_e32 v1, 48, v1
	s_nop 0
	v_cndmask_b32_e32 v2, v5, v3, vcc
	v_ashrrev_i32_e32 v3, 31, v2
	v_lshl_add_u64 v[10:11], v[2:3], 2, s[8:9]
	v_add_u32_e32 v2, v1, v4
	v_ashrrev_i32_e32 v2, 5, v2
	v_cmp_gt_i32_e32 vcc, s31, v1
	s_nop 1
	v_cndmask_b32_e32 v2, v5, v2, vcc
	v_ashrrev_i32_e32 v3, 31, v2
	v_lshl_add_u64 v[12:13], v[2:3], 2, s[8:9]
	global_load_dword v5, v[6:7], off
	global_load_dword v4, v[8:9], off
	;; [unrolled: 1-line block ×4, first 2 shown]
	s_andn2_b64 vcc, exec, s[10:11]
	s_cbranch_vccnz .LBB1184_8
; %bb.6:
	s_add_u32 s6, s6, s12
	s_addc_u32 s7, s7, s13
	s_load_dword s5, s[6:7], 0x0
	s_branch .LBB1184_9
.LBB1184_7:
	s_mov_b64 s[12:13], 0
	s_branch .LBB1184_2
.LBB1184_8:
	s_mov_b32 s5, s2
.LBB1184_9:
	s_load_dwordx2 s[10:11], s[0:1], 0x10
	s_load_dwordx4 s[48:51], s[0:1], 0x48
	v_lshrrev_b32_e32 v40, 6, v0
	v_bfe_u32 v38, v0, 4, 2
	v_lshl_or_b32 v1, v40, 2, v38
	v_and_b32_e32 v42, 15, v0
	v_lshlrev_b32_e32 v6, 3, v42
	v_cmp_eq_u32_e32 vcc, 0, v1
	v_cmp_gt_u32_e64 s[6:7], 8, v42
	s_and_b64 s[18:19], s[6:7], vcc
	v_lshlrev_b32_e32 v1, 1, v6
	v_lshlrev_b32_e32 v39, 4, v0
	s_and_saveexec_b64 s[12:13], s[18:19]
	s_cbranch_execz .LBB1184_11
; %bb.10:
	s_load_dwordx2 s[18:19], s[0:1], 0x0
	s_waitcnt lgkmcnt(0)
	s_ashr_i32 s20, s48, 31
	s_mul_hi_u32 s21, s5, s48
	s_mul_i32 s20, s5, s20
	s_add_i32 s21, s21, s20
	s_mul_i32 s20, s5, s48
	s_lshl_b64 s[20:21], s[20:21], 1
	s_add_u32 s5, s18, s20
	s_addc_u32 s20, s19, s21
	s_lshl_b32 s18, s4, 6
	s_ashr_i32 s19, s18, 31
	s_lshl_b64 s[18:19], s[18:19], 1
	s_add_u32 s18, s5, s18
	s_addc_u32 s19, s20, s19
	global_load_dwordx4 v[6:9], v1, s[18:19]
	v_lshlrev_b32_e32 v10, 8, v42
	v_and_b32_e32 v11, 16, v39
	s_movk_i32 s5, 0xe00
	v_and_or_b32 v10, v10, s5, v11
	s_waitcnt vmcnt(0)
	ds_write_b128 v10, v[6:9]
.LBB1184_11:
	s_or_b64 exec, exec, s[12:13]
	s_waitcnt lgkmcnt(0)
	s_mul_i32 s18, s4, s50
	s_add_u32 s12, s14, s18
	s_addc_u32 s13, s15, 0
	v_mov_b32_e32 v27, 0
	v_mov_b64_e32 v[6:7], s[12:13]
	v_lshlrev_b32_e32 v10, 4, v42
	v_and_b32_e32 v28, 48, v0
	s_waitcnt vmcnt(3)
	v_mad_i64_i32 v[8:9], s[12:13], v5, s49, v[6:7]
	v_mov_b32_e32 v11, v27
	s_waitcnt vmcnt(2)
	v_mad_i64_i32 v[4:5], s[12:13], v4, s49, v[6:7]
	v_or_b32_e32 v12, 0x100, v10
	v_mov_b32_e32 v13, v27
	v_lshlrev_b32_e32 v26, 5, v28
	v_lshl_add_u64 v[8:9], v[8:9], 0, v[10:11]
	v_lshl_add_u64 v[4:5], v[4:5], 0, v[12:13]
	;; [unrolled: 1-line block ×4, first 2 shown]
	s_barrier
	global_load_dwordx4 v[22:25], v[8:9], off
	global_load_dwordx4 v[18:21], v[4:5], off
	s_waitcnt vmcnt(3)
	v_mad_i64_i32 v[4:5], s[12:13], v3, s49, v[6:7]
	v_lshl_add_u64 v[4:5], v[4:5], 0, v[10:11]
	s_waitcnt vmcnt(2)
	v_mad_i64_i32 v[2:3], s[12:13], v2, s49, v[6:7]
	v_lshl_add_u64 v[4:5], v[4:5], 0, v[26:27]
	v_lshl_add_u64 v[2:3], v[2:3], 0, v[12:13]
	;; [unrolled: 1-line block ×3, first 2 shown]
	global_load_dwordx4 v[14:17], v[4:5], off
	global_load_dwordx4 v[6:9], v[2:3], off
	v_lshlrev_b32_e32 v2, 9, v38
	ds_read_b128 v[10:13], v2
	ds_read_b128 v[2:5], v2 offset:16
	v_and_b32_e32 v43, 63, v0
	v_cmp_eq_u32_e32 vcc, 0, v42
	v_mov_b32_e32 v44, 0
	s_and_saveexec_b64 s[12:13], vcc
	s_cbranch_execz .LBB1184_13
; %bb.12:
	s_load_dwordx2 s[14:15], s[0:1], 0x40
	s_ashr_i32 s5, s4, 31
	s_lshl_b64 s[20:21], s[4:5], 2
	s_waitcnt lgkmcnt(0)
	s_add_u32 s14, s14, s20
	s_addc_u32 s15, s15, s21
	s_load_dword s5, s[14:15], 0x0
	s_waitcnt lgkmcnt(0)
	v_mov_b32_e32 v44, s5
.LBB1184_13:
	s_or_b64 exec, exec, s[12:13]
	s_ashr_i32 s5, s16, 31
	v_or_b32_e32 v45, s16, v28
	s_lshr_b32 s12, s5, 27
	v_add_u32_e32 v26, s12, v45
	v_ashrrev_i32_e32 v26, 5, v26
	v_mov_b32_e32 v65, s17
	v_cmp_gt_i32_e32 vcc, s31, v45
	s_waitcnt vmcnt(3)
	v_cvt_pk_f32_fp8_sdwa v[30:31], v22 src0_sel:WORD_1
	v_cvt_pk_f32_fp8_e32 v[32:33], v23
	v_cndmask_b32_e32 v28, v65, v26, vcc
	v_ashrrev_i32_e32 v29, 31, v28
	v_lshl_add_u64 v[28:29], v[28:29], 2, s[8:9]
	global_load_dword v72, v[28:29], off
	v_cvt_pk_f32_fp8_e32 v[28:29], v22
	v_cvt_pk_f32_fp8_sdwa v[22:23], v23 src0_sel:WORD_1
	s_waitcnt vmcnt(3)
	v_cvt_pk_f32_fp8_e32 v[48:49], v18
	v_cvt_pk_f32_fp8_sdwa v[50:51], v18 src0_sel:WORD_1
	v_or_b32_e32 v18, 64, v45
	v_cvt_pk_f32_fp8_e32 v[56:57], v20
	v_cvt_pk_f32_fp8_sdwa v[58:59], v20 src0_sel:WORD_1
	v_cvt_pk_f32_fp8_e32 v[60:61], v21
	v_cvt_pk_f32_fp8_sdwa v[62:63], v21 src0_sel:WORD_1
	v_or_b32_e32 v20, 0xc0, v45
	v_add_u32_e32 v21, s12, v18
	s_mov_b32 s5, 0x7060302
	v_cvt_pk_f32_fp8_e32 v[52:53], v19
	v_cvt_pk_f32_fp8_sdwa v[54:55], v19 src0_sel:WORD_1
	v_or_b32_e32 v19, 0x80, v45
	v_add_u32_e32 v64, s12, v20
	v_ashrrev_i32_e32 v21, 5, v21
	v_cmp_gt_i32_e32 vcc, s31, v18
	v_add_u32_e32 v45, s12, v19
	v_ashrrev_i32_e32 v67, 5, v64
	v_cndmask_b32_e32 v64, v65, v21, vcc
	v_cmp_gt_i32_e32 vcc, s31, v19
	v_perm_b32 v18, v29, v28, s5
	v_perm_b32 v19, v31, v30, s5
	v_cvt_pk_f32_fp8_sdwa v[36:37], v24 src0_sel:WORD_1
	v_perm_b32 v29, v23, v22, s5
	v_perm_b32 v22, v49, v48, s5
	;; [unrolled: 1-line block ×3, first 2 shown]
	v_cvt_pk_f32_fp8_e32 v[34:35], v24
	v_cvt_pk_f32_fp8_e32 v[46:47], v25
	v_cvt_pk_f32_fp8_sdwa v[24:25], v25 src0_sel:WORD_1
	v_ashrrev_i32_e32 v45, 5, v45
	v_perm_b32 v28, v33, v32, s5
	v_cndmask_b32_e32 v66, v65, v45, vcc
	v_cmp_gt_i32_e32 vcc, s31, v20
	v_perm_b32 v33, v37, v36, s5
	s_waitcnt lgkmcnt(1)
	v_mfma_f32_16x16x16_bf16 v[18:21], v[18:19], v[10:11], 0
	v_perm_b32 v36, v53, v52, s5
	v_perm_b32 v37, v55, v54, s5
	;; [unrolled: 1-line block ×4, first 2 shown]
	v_mfma_f32_16x16x16_bf16 v[22:25], v[22:23], v[10:11], 0
	s_load_dword s13, s[0:1], 0x1c
	s_load_dwordx4 s[44:47], s[0:1], 0x80
	v_perm_b32 v34, v47, v46, s5
	v_perm_b32 v46, v57, v56, s5
	;; [unrolled: 1-line block ×3, first 2 shown]
	v_mfma_f32_16x16x16_bf16 v[28:31], v[28:29], v[12:13], v[18:21]
	s_add_u32 s10, s10, s18
	v_and_b32_e32 v26, 16, v0
	v_lshlrev_b32_e32 v41, 5, v42
	v_mfma_f32_16x16x16_bf16 v[20:23], v[36:37], v[12:13], v[22:25]
	s_addc_u32 s11, s11, 0
	v_cndmask_b32_e32 v68, v65, v67, vcc
	v_lshl_add_u64 v[70:71], s[10:11], 0, v[26:27]
	v_lshl_or_b32 v26, v40, 9, v41
	v_ashrrev_i32_e32 v65, 31, v64
	v_ashrrev_i32_e32 v67, 31, v66
	;; [unrolled: 1-line block ×3, first 2 shown]
	v_lshl_add_u64 v[18:19], v[70:71], 0, v[26:27]
	s_waitcnt lgkmcnt(0)
	v_mfma_f32_16x16x16_bf16 v[24:27], v[32:33], v[2:3], v[28:31]
	v_lshl_add_u64 v[32:33], v[68:69], 2, s[8:9]
	s_load_dword s10, s[44:45], 0x0
	v_perm_b32 v48, v61, v60, s5
	v_lshl_add_u64 v[28:29], v[64:65], 2, s[8:9]
	v_lshl_add_u64 v[30:31], v[66:67], 2, s[8:9]
	v_mfma_f32_16x16x16_bf16 v[20:23], v[46:47], v[2:3], v[20:23]
	global_load_dword v47, v[28:29], off
	global_load_dword v45, v[30:31], off
	;; [unrolled: 1-line block ×3, first 2 shown]
	s_waitcnt vmcnt(5)
	v_cvt_pk_f32_fp8_e32 v[30:31], v14
	v_cvt_pk_f32_fp8_sdwa v[32:33], v14 src0_sel:WORD_1
	v_perm_b32 v49, v63, v62, s5
	v_mfma_f32_16x16x16_bf16 v[26:29], v[34:35], v[4:5], v[24:27]
	v_cvt_pk_f32_fp8_e32 v[34:35], v15
	v_perm_b32 v30, v31, v30, s5
	v_perm_b32 v31, v33, v32, s5
	v_cvt_pk_f32_fp8_sdwa v[14:15], v15 src0_sel:WORD_1
	v_mov_b32_e32 v36, s13
	s_waitcnt lgkmcnt(0)
	v_mul_f32_e32 v50, s10, v36
	v_mfma_f32_16x16x16_bf16 v[20:23], v[48:49], v[4:5], v[20:23]
	v_perm_b32 v34, v35, v34, s5
	v_cvt_pk_f32_fp8_e32 v[36:37], v16
	v_cvt_pk_f32_fp8_sdwa v[48:49], v16 src0_sel:WORD_1
	v_perm_b32 v35, v15, v14, s5
	v_mfma_f32_16x16x16_bf16 v[30:33], v[30:31], v[10:11], 0
	v_perm_b32 v36, v37, v36, s5
	v_perm_b32 v37, v49, v48, s5
	v_cvt_pk_f32_fp8_e32 v[48:49], v17
	v_cvt_pk_f32_fp8_sdwa v[52:53], v17 src0_sel:WORD_1
	v_mfma_f32_16x16x16_bf16 v[14:17], v[34:35], v[12:13], v[30:33]
	v_pk_mul_f32 v[34:35], v[50:51], v[26:27] op_sel_hi:[0,1]
	s_waitcnt vmcnt(4)
	v_cvt_pk_f32_fp8_e32 v[26:27], v6
	v_pk_mul_f32 v[28:29], v[50:51], v[28:29] op_sel_hi:[0,1]
	v_perm_b32 v30, v49, v48, s5
	v_perm_b32 v31, v53, v52, s5
	v_mfma_f32_16x16x16_bf16 v[14:17], v[36:37], v[2:3], v[14:17]
	v_cvt_pk_f32_fp8_sdwa v[32:33], v6 src0_sel:WORD_1
	v_perm_b32 v26, v27, v26, s5
	v_cvt_pk_f32_fp8_e32 v[48:49], v8
	v_mfma_f32_16x16x16_bf16 v[14:17], v[30:31], v[4:5], v[14:17]
	v_cvt_pk_f32_fp8_e32 v[30:31], v7
	v_perm_b32 v27, v33, v32, s5
	v_cvt_pk_f32_fp8_sdwa v[6:7], v7 src0_sel:WORD_1
	v_cvt_pk_f32_fp8_sdwa v[52:53], v8 src0_sel:WORD_1
	v_perm_b32 v36, v31, v30, s5
	v_mfma_f32_16x16x16_bf16 v[30:33], v[26:27], v[10:11], 0
	v_perm_b32 v37, v7, v6, s5
	v_perm_b32 v10, v49, v48, s5
	;; [unrolled: 1-line block ×3, first 2 shown]
	v_cvt_pk_f32_fp8_e32 v[26:27], v9
	v_cvt_pk_f32_fp8_sdwa v[48:49], v9 src0_sel:WORD_1
	v_mfma_f32_16x16x16_bf16 v[6:9], v[36:37], v[12:13], v[30:33]
	v_pk_mul_f32 v[36:37], v[50:51], v[20:21] op_sel_hi:[0,1]
	v_perm_b32 v12, v27, v26, s5
	v_perm_b32 v13, v49, v48, s5
	v_mfma_f32_16x16x16_bf16 v[6:9], v[10:11], v[2:3], v[6:9]
	v_pk_mul_f32 v[32:33], v[50:51], v[22:23] op_sel_hi:[0,1]
	v_pk_mul_f32 v[26:27], v[50:51], v[16:17] op_sel_hi:[0,1]
	;; [unrolled: 1-line block ×3, first 2 shown]
	v_mfma_f32_16x16x16_bf16 v[2:5], v[12:13], v[4:5], v[6:9]
	s_mov_b32 s33, 0xff7fffff
	s_waitcnt vmcnt(3)
	v_mad_i64_i32 v[24:25], s[8:9], v72, s49, v[18:19]
	s_nop 3
	v_pk_mul_f32 v[22:23], v[50:51], v[2:3] op_sel_hi:[0,1]
	v_and_b32_e32 v2, 0xc0, v0
	v_add_u32_e32 v2, s16, v2
	v_lshl_or_b32 v2, v38, 2, v2
	v_or_b32_e32 v3, 1, v2
	v_pk_mul_f32 v[20:21], v[50:51], v[4:5] op_sel_hi:[0,1]
	v_subrev_u32_e32 v4, s31, v3
	v_add_u32_e32 v6, 1, v4
	v_add_u32_e32 v7, 2, v4
	;; [unrolled: 1-line block ×3, first 2 shown]
	v_cvt_f32_i32_e32 v6, v6
	v_cvt_f32_i32_e32 v7, v7
	;; [unrolled: 1-line block ×3, first 2 shown]
	v_add_u32_e32 v9, 19, v4
	v_fmac_f32_e32 v35, v44, v6
	v_fma_f32 v28, v44, v7, v28
	v_fmac_f32_e32 v29, v44, v8
	v_add_u32_e32 v6, 16, v4
	v_add_u32_e32 v7, 17, v4
	;; [unrolled: 1-line block ×3, first 2 shown]
	v_cvt_f32_i32_e32 v6, v6
	v_cvt_f32_i32_e32 v7, v7
	;; [unrolled: 1-line block ×4, first 2 shown]
	v_fma_f32 v36, v44, v6, v36
	v_fmac_f32_e32 v37, v44, v7
	v_fma_f32 v32, v44, v8, v32
	v_add_u32_e32 v6, 32, v4
	v_add_u32_e32 v7, 33, v4
	;; [unrolled: 1-line block ×3, first 2 shown]
	v_cvt_f32_i32_e32 v6, v6
	v_cvt_f32_i32_e32 v7, v7
	;; [unrolled: 1-line block ×4, first 2 shown]
	v_fmac_f32_e32 v33, v44, v9
	v_add_u32_e32 v9, 35, v4
	v_fma_f32 v48, v44, v6, v30
	v_fmac_f32_e32 v31, v44, v7
	v_fma_f32 v26, v44, v8, v26
	v_add_u32_e32 v6, 48, v4
	v_add_u32_e32 v7, 49, v4
	;; [unrolled: 1-line block ×4, first 2 shown]
	v_cvt_f32_i32_e32 v4, v4
	v_cvt_f32_i32_e32 v6, v6
	;; [unrolled: 1-line block ×3, first 2 shown]
	v_fma_f32 v5, v44, v5, v34
	v_fmac_f32_e32 v21, v44, v4
	v_mov_b32_e32 v4, 0xff7fffff
	v_cmp_gt_i32_e64 s[34:35], s31, v2
	v_cmp_gt_i32_e64 s[36:37], s31, v3
	v_fma_f32 v22, v44, v6, v22
	v_cndmask_b32_e64 v6, v4, v5, s[34:35]
	v_cndmask_b32_e64 v3, v4, v35, s[36:37]
	v_fmac_f32_e32 v23, v44, v7
	v_max3_f32 v3, v6, s33, v3
	v_or_b32_e32 v6, 2, v2
	v_or_b32_e32 v7, 3, v2
	v_cmp_gt_i32_e64 s[38:39], s31, v6
	v_cmp_gt_i32_e64 s[40:41], s31, v7
	v_cvt_f32_i32_e32 v9, v9
	v_cndmask_b32_e64 v6, v4, v28, s[38:39]
	v_cndmask_b32_e64 v7, v4, v29, s[40:41]
	v_max3_f32 v3, v3, v6, v7
	v_or_b32_e32 v6, 16, v2
	v_or_b32_e32 v7, 17, v2
	v_cmp_gt_i32_e64 s[26:27], s31, v6
	v_cmp_gt_i32_e64 s[28:29], s31, v7
	v_fmac_f32_e32 v27, v44, v9
	v_cndmask_b32_e64 v6, v4, v36, s[26:27]
	v_cndmask_b32_e64 v7, v4, v37, s[28:29]
	v_max3_f32 v3, v3, v6, v7
	v_or_b32_e32 v6, 18, v2
	v_or_b32_e32 v7, 19, v2
	v_cmp_gt_i32_e64 s[22:23], s31, v6
	v_cmp_gt_i32_e64 s[24:25], s31, v7
	v_cvt_f32_i32_e32 v8, v8
	v_cndmask_b32_e64 v6, v4, v32, s[22:23]
	v_cndmask_b32_e64 v7, v4, v33, s[24:25]
	v_max3_f32 v3, v3, v6, v7
	v_or_b32_e32 v6, 32, v2
	v_or_b32_e32 v7, 33, v2
	v_cmp_gt_i32_e64 s[18:19], s31, v6
	v_cmp_gt_i32_e64 s[20:21], s31, v7
	v_fma_f32 v20, v44, v8, v20
	v_cndmask_b32_e64 v6, v4, v48, s[18:19]
	v_cndmask_b32_e64 v7, v4, v31, s[20:21]
	v_max3_f32 v3, v3, v6, v7
	v_or_b32_e32 v6, 34, v2
	v_or_b32_e32 v7, 35, v2
	v_cmp_gt_i32_e64 s[14:15], s31, v6
	v_cmp_gt_i32_e64 s[16:17], s31, v7
	s_nop 0
	v_cndmask_b32_e64 v6, v4, v26, s[14:15]
	v_cndmask_b32_e64 v7, v4, v27, s[16:17]
	v_max3_f32 v3, v3, v6, v7
	v_or_b32_e32 v6, 48, v2
	v_or_b32_e32 v7, 49, v2
	v_cmp_gt_i32_e64 s[10:11], s31, v6
	v_cmp_gt_i32_e64 s[12:13], s31, v7
	s_nop 0
	v_cndmask_b32_e64 v6, v4, v22, s[10:11]
	v_cndmask_b32_e64 v7, v4, v23, s[12:13]
	v_max3_f32 v3, v3, v6, v7
	v_or_b32_e32 v6, 50, v2
	v_or_b32_e32 v2, 51, v2
	v_cmp_gt_i32_e32 vcc, s31, v6
	v_cmp_gt_i32_e64 s[8:9], s31, v2
	s_nop 0
	v_cndmask_b32_e32 v6, v4, v20, vcc
	v_cndmask_b32_e64 v2, v4, v21, s[8:9]
	v_max3_f32 v4, v3, v6, v2
	v_mbcnt_lo_u32_b32 v2, -1, 0
	v_mbcnt_hi_u32_b32 v6, -1, v2
	v_and_b32_e32 v2, 64, v6
	v_add_u32_e32 v7, 64, v2
	v_xor_b32_e32 v2, 32, v6
	v_cmp_lt_i32_e64 s[42:43], v2, v7
	s_nop 1
	v_cndmask_b32_e64 v2, v6, v2, s[42:43]
	v_lshlrev_b32_e32 v44, 2, v2
	ds_bpermute_b32 v8, v44, v4
	s_waitcnt vmcnt(2)
	v_mad_i64_i32 v[2:3], s[42:43], v47, s49, v[18:19]
	global_load_dwordx4 v[14:17], v[24:25], off
	global_load_dwordx4 v[10:13], v[2:3], off
	v_xor_b32_e32 v3, 16, v6
	v_cmp_lt_i32_e64 s[42:43], v3, v7
	s_waitcnt lgkmcnt(0)
	v_max_f32_e32 v2, v8, v8
	v_max_f32_e32 v2, v4, v2
	v_cndmask_b32_e64 v3, v6, v3, s[42:43]
	v_lshlrev_b32_e32 v47, 2, v3
	ds_bpermute_b32 v3, v47, v2
	s_waitcnt vmcnt(3)
	v_mad_i64_i32 v[24:25], s[42:43], v45, s49, v[18:19]
	s_waitcnt vmcnt(2)
	v_mad_i64_i32 v[18:19], s[42:43], v46, s49, v[18:19]
	s_waitcnt lgkmcnt(0)
	v_max_f32_e32 v3, v3, v3
	v_max_f32_e32 v30, v2, v3
	v_sub_f32_e32 v2, v5, v30
	v_mul_f32_e32 v2, 0x3fb8aa3b, v2
	v_exp_f32_e32 v34, v2
	v_sub_f32_e32 v2, v35, v30
	v_mul_f32_e32 v2, 0x3fb8aa3b, v2
	v_exp_f32_e32 v35, v2
	global_load_dwordx4 v[6:9], v[24:25], off
	global_load_dwordx4 v[2:5], v[18:19], off
	v_sub_f32_e32 v25, v28, v30
	v_sub_f32_e32 v28, v29, v30
	v_mul_f32_e32 v25, 0x3fb8aa3b, v25
	v_mul_f32_e32 v28, 0x3fb8aa3b, v28
	v_exp_f32_e32 v25, v25
	v_exp_f32_e32 v28, v28
	v_cndmask_b32_e64 v18, 0, v34, s[34:35]
	v_cndmask_b32_e64 v19, 0, v35, s[36:37]
	;; [unrolled: 1-line block ×4, first 2 shown]
	v_sub_f32_e32 v25, v36, v30
	v_sub_f32_e32 v28, v37, v30
	v_mul_f32_e32 v25, 0x3fb8aa3b, v25
	v_mul_f32_e32 v28, 0x3fb8aa3b, v28
	v_exp_f32_e32 v25, v25
	v_exp_f32_e32 v28, v28
	v_add_f32_e32 v24, 0, v18
	v_add_f32_e32 v24, v24, v19
	;; [unrolled: 1-line block ×4, first 2 shown]
	v_cndmask_b32_e64 v24, 0, v25, s[26:27]
	v_cndmask_b32_e64 v25, 0, v28, s[28:29]
	v_sub_f32_e32 v28, v32, v30
	v_mul_f32_e32 v28, 0x3fb8aa3b, v28
	v_exp_f32_e32 v28, v28
	v_sub_f32_e32 v32, v33, v30
	v_add_f32_e32 v29, v29, v24
	v_mul_f32_e32 v32, 0x3fb8aa3b, v32
	v_exp_f32_e32 v33, v32
	v_add_f32_e32 v29, v29, v25
	v_cndmask_b32_e64 v32, 0, v28, s[22:23]
	v_add_f32_e32 v28, v29, v32
	v_sub_f32_e32 v29, v48, v30
	v_mul_f32_e32 v29, 0x3fb8aa3b, v29
	v_sub_f32_e32 v31, v31, v30
	v_exp_f32_e32 v29, v29
	v_mul_f32_e32 v31, 0x3fb8aa3b, v31
	v_sub_f32_e32 v26, v26, v30
	v_exp_f32_e32 v31, v31
	;; [unrolled: 3-line block ×3, first 2 shown]
	v_mul_f32_e32 v27, 0x3fb8aa3b, v27
	v_sub_f32_e32 v22, v22, v30
	v_cndmask_b32_e64 v33, 0, v33, s[24:25]
	v_exp_f32_e32 v27, v27
	v_mul_f32_e32 v22, 0x3fb8aa3b, v22
	v_sub_f32_e32 v23, v23, v30
	v_add_f32_e32 v36, v28, v33
	v_cndmask_b32_e64 v28, 0, v29, s[18:19]
	v_exp_f32_e32 v22, v22
	v_mul_f32_e32 v23, 0x3fb8aa3b, v23
	v_sub_f32_e32 v20, v20, v30
	v_add_f32_e32 v36, v36, v28
	;; [unrolled: 5-line block ×3, first 2 shown]
	v_cndmask_b32_e64 v26, 0, v26, s[14:15]
	v_exp_f32_e32 v20, v20
	v_mul_f32_e32 v21, 0x3fb8aa3b, v21
	v_add_f32_e32 v31, v31, v26
	v_cndmask_b32_e64 v27, 0, v27, s[16:17]
	v_exp_f32_e32 v21, v21
	v_add_f32_e32 v31, v31, v27
	v_cndmask_b32_e64 v22, 0, v22, s[10:11]
	v_add_f32_e32 v31, v31, v22
	v_cndmask_b32_e64 v23, 0, v23, s[12:13]
	v_add_f32_e32 v31, v31, v23
	v_cndmask_b32_e32 v20, 0, v20, vcc
	v_add_f32_e32 v31, v31, v20
	v_cndmask_b32_e64 v21, 0, v21, s[8:9]
	v_add_f32_e32 v31, v31, v21
	ds_bpermute_b32 v36, v44, v31
	v_cmp_gt_u32_e64 s[8:9], 16, v43
	s_waitcnt lgkmcnt(0)
	s_barrier
	v_add_f32_e32 v36, v31, v36
	ds_bpermute_b32 v37, v47, v36
	v_lshlrev_b32_e32 v31, 2, v42
	s_and_saveexec_b64 s[10:11], s[8:9]
	s_cbranch_execz .LBB1184_15
; %bb.14:
	s_waitcnt lgkmcnt(0)
	v_add_f32_e32 v36, v36, v37
	v_lshl_or_b32 v37, v40, 6, v31
	ds_write2st64_b32 v37, v30, v36 offset1:1
.LBB1184_15:
	s_or_b64 exec, exec, s[10:11]
	s_load_dwordx2 s[10:11], s[0:1], 0x94
	s_waitcnt lgkmcnt(0)
	s_barrier
	ds_read2_b32 v[36:37], v31 offset1:16
	ds_read2_b32 v[42:43], v31 offset0:32 offset1:48
	ds_read2_b32 v[44:45], v31 offset0:64 offset1:80
	s_movk_i32 s14, 0x7fff
	s_waitcnt lgkmcnt(2)
	v_max3_f32 v30, v36, s33, v37
	s_waitcnt lgkmcnt(1)
	v_max3_f32 v30, v30, v42, v43
	v_sub_f32_e32 v36, v36, v30
	v_mul_f32_e32 v36, 0x3fb8aa3b, v36
	v_exp_f32_e32 v46, v36
	v_sub_f32_e32 v36, v37, v30
	v_mul_f32_e32 v36, 0x3fb8aa3b, v36
	v_exp_f32_e32 v47, v36
	;; [unrolled: 3-line block ×3, first 2 shown]
	ds_read2_b32 v[36:37], v31 offset0:96 offset1:112
	v_sub_f32_e32 v31, v43, v30
	v_mul_f32_e32 v31, 0x3fb8aa3b, v31
	v_exp_f32_e32 v43, v31
	s_waitcnt lgkmcnt(1)
	v_fma_f32 v31, v46, v44, 0
	v_fmac_f32_e32 v31, v47, v45
	s_waitcnt lgkmcnt(0)
	v_fmac_f32_e32 v31, v42, v36
	v_fmac_f32_e32 v31, v43, v37
	v_add_f32_e32 v37, 0x358637bd, v31
	v_div_scale_f32 v44, s[12:13], v37, v37, 1.0
	v_rcp_f32_e32 v45, v44
	s_barrier
	v_fma_f32 v48, -v44, v45, 1.0
	v_fmac_f32_e32 v45, v48, v45
	v_div_scale_f32 v48, vcc, 1.0, v37, 1.0
	v_mul_f32_e32 v49, v48, v45
	v_fma_f32 v50, -v44, v49, v48
	v_fmac_f32_e32 v49, v50, v45
	v_fma_f32 v44, -v44, v49, v48
	v_div_fmas_f32 v44, v44, v45, v49
	v_cmp_eq_u32_e32 vcc, 1, v40
	v_div_fixup_f32 v37, v44, v37, 1.0
	v_mov_b32_e32 v36, 0
	v_cndmask_b32_e32 v44, v46, v47, vcc
	v_cmp_eq_u32_e32 vcc, 2, v40
	s_nop 1
	v_cndmask_b32_e32 v42, v44, v42, vcc
	v_cmp_eq_u32_e32 vcc, 3, v40
	s_nop 1
	v_cndmask_b32_e32 v42, v42, v43, vcc
	v_mul_f32_e32 v42, v42, v37
	v_pk_mul_f32 v[18:19], v[42:43], v[18:19] op_sel_hi:[0,1]
	v_pk_mul_f32 v[34:35], v[42:43], v[34:35] op_sel_hi:[0,1]
	v_bfe_u32 v37, v19, 16, 1
	v_bfe_u32 v43, v18, 16, 1
	v_add3_u32 v18, v18, v43, s14
	v_add3_u32 v19, v19, v37, s14
	v_perm_b32 v44, v19, v18, s5
	v_bfe_u32 v18, v35, 16, 1
	v_bfe_u32 v19, v34, 16, 1
	v_add3_u32 v19, v34, v19, s14
	v_add3_u32 v18, v35, v18, s14
	v_perm_b32 v45, v18, v19, s5
	v_lshlrev_b32_e32 v18, 3, v38
	v_lshlrev_b32_e32 v19, 11, v40
	v_pk_mul_f32 v[24:25], v[42:43], v[24:25] op_sel_hi:[0,1]
	v_or3_b32 v18, v19, v41, v18
	v_bfe_u32 v19, v25, 16, 1
	v_bfe_u32 v34, v24, 16, 1
	v_pk_mul_f32 v[32:33], v[42:43], v[32:33] op_sel_hi:[0,1]
	v_add3_u32 v24, v24, v34, s14
	v_add3_u32 v19, v25, v19, s14
	v_perm_b32 v24, v19, v24, s5
	v_bfe_u32 v19, v33, 16, 1
	v_bfe_u32 v25, v32, 16, 1
	v_add3_u32 v25, v32, v25, s14
	v_add3_u32 v19, v33, v19, s14
	v_perm_b32 v25, v19, v25, s5
	ds_write2st64_b64 v18, v[44:45], v[24:25] offset1:1
	v_pk_mul_f32 v[24:25], v[42:43], v[26:27] op_sel_hi:[0,1]
	v_pk_mul_f32 v[26:27], v[42:43], v[28:29] op_sel_hi:[0,1]
	v_bfe_u32 v19, v27, 16, 1
	v_bfe_u32 v28, v26, 16, 1
	v_add3_u32 v26, v26, v28, s14
	v_add3_u32 v19, v27, v19, s14
	v_perm_b32 v26, v19, v26, s5
	v_bfe_u32 v19, v25, 16, 1
	v_bfe_u32 v27, v24, 16, 1
	v_add3_u32 v24, v24, v27, s14
	v_add3_u32 v19, v25, v19, s14
	v_pk_mul_f32 v[22:23], v[42:43], v[22:23] op_sel_hi:[0,1]
	v_perm_b32 v27, v19, v24, s5
	v_bfe_u32 v19, v23, 16, 1
	v_bfe_u32 v24, v22, 16, 1
	v_pk_mul_f32 v[20:21], v[42:43], v[20:21] op_sel_hi:[0,1]
	v_add3_u32 v22, v22, v24, s14
	v_add3_u32 v19, v23, v19, s14
	v_perm_b32 v22, v19, v22, s5
	v_bfe_u32 v19, v21, 16, 1
	v_bfe_u32 v23, v20, 16, 1
	v_add3_u32 v20, v20, v23, s14
	v_add3_u32 v19, v21, v19, s14
	v_perm_b32 v23, v19, v20, s5
	v_cmp_eq_u32_e32 vcc, 0, v0
	ds_write2st64_b64 v18, v[26:27], v[22:23] offset0:2 offset1:3
	s_and_saveexec_b64 s[12:13], vcc
	s_cbranch_execz .LBB1184_17
; %bb.16:
	s_mul_i32 s3, s3, s11
	s_mul_hi_u32 s5, s2, s11
	s_add_i32 s5, s5, s3
	s_mul_i32 s3, s2, s11
	s_add_u32 s3, s3, s4
	s_addc_u32 s5, s5, 0
	s_load_dwordx4 s[16:19], s[0:1], 0x58
	s_mul_i32 s5, s5, s10
	s_mul_hi_u32 s15, s3, s10
	s_add_i32 s15, s15, s5
	s_mul_i32 s3, s3, s10
	s_add_u32 s20, s3, s30
	s_addc_u32 s21, s15, 0
	s_lshl_b64 s[20:21], s[20:21], 2
	s_waitcnt lgkmcnt(0)
	s_add_u32 s18, s18, s20
	s_addc_u32 s19, s19, s21
	s_add_u32 s16, s16, s20
	s_addc_u32 s17, s17, s21
	global_store_dword v36, v30, s[18:19]
	global_store_dword v36, v31, s[16:17]
.LBB1184_17:
	s_or_b64 exec, exec, s[12:13]
	s_waitcnt vmcnt(3)
	v_cvt_pk_f32_fp8_e32 v[20:21], v14
	v_cvt_pk_f32_fp8_sdwa v[22:23], v14 src0_sel:WORD_1
	s_mov_b32 s5, 0x7060302
	v_lshl_or_b32 v14, v38, 9, v41
	s_waitcnt lgkmcnt(0)
	s_barrier
	v_cvt_pk_f32_fp8_e32 v[24:25], v15
	v_perm_b32 v28, v21, v20, s5
	v_perm_b32 v29, v23, v22, s5
	v_cvt_pk_f32_fp8_sdwa v[26:27], v15 src0_sel:WORD_1
	ds_read_b128 v[20:23], v14
	v_perm_b32 v32, v25, v24, s5
	v_cvt_pk_f32_fp8_e32 v[34:35], v16
	v_perm_b32 v33, v27, v26, s5
	ds_read_b128 v[24:27], v14 offset:16
	v_cvt_pk_f32_fp8_sdwa v[36:37], v16 src0_sel:WORD_1
	s_waitcnt lgkmcnt(1)
	v_mfma_f32_16x16x16_bf16 v[28:31], v[28:29], v[20:21], 0
	v_perm_b32 v34, v35, v34, s5
	s_load_dword s12, s[46:47], 0x0
	v_perm_b32 v35, v37, v36, s5
	v_cvt_pk_f32_fp8_e32 v[36:37], v17
	v_cvt_pk_f32_fp8_sdwa v[16:17], v17 src0_sel:WORD_1
	v_mfma_f32_16x16x16_bf16 v[20:23], v[32:33], v[22:23], v[28:31]
	v_cmp_gt_u32_e32 vcc, 64, v0
	s_and_b64 s[6:7], s[6:7], vcc
	s_mov_b32 s3, 0
	v_perm_b32 v28, v37, v36, s5
	v_perm_b32 v29, v17, v16, s5
	s_waitcnt lgkmcnt(0)
	v_mfma_f32_16x16x16_bf16 v[20:23], v[34:35], v[24:25], v[20:23]
	s_waitcnt vmcnt(2)
	v_cvt_pk_f32_fp8_e32 v[16:17], v10
	v_cvt_pk_f32_fp8_sdwa v[24:25], v10 src0_sel:WORD_1
	v_cvt_pk_f32_fp8_sdwa v[34:35], v12 src0_sel:WORD_1
	v_mfma_f32_16x16x16_bf16 v[20:23], v[28:29], v[26:27], v[20:23]
	v_cvt_pk_f32_fp8_e32 v[26:27], v11
	v_perm_b32 v10, v17, v16, s5
	v_cvt_pk_f32_fp8_sdwa v[16:17], v11 src0_sel:WORD_1
	v_perm_b32 v11, v25, v24, s5
	v_perm_b32 v32, v27, v26, s5
	ds_read_b128 v[24:27], v14 offset:2048
	ds_read_b128 v[28:31], v14 offset:2064
	v_perm_b32 v33, v17, v16, s5
	v_cvt_pk_f32_fp8_e32 v[16:17], v12
	s_waitcnt lgkmcnt(1)
	v_mfma_f32_16x16x16_bf16 v[20:23], v[10:11], v[24:25], v[20:23]
	v_perm_b32 v11, v35, v34, s5
	v_perm_b32 v10, v17, v16, s5
	v_cvt_pk_f32_fp8_e32 v[16:17], v13
	v_cvt_pk_f32_fp8_sdwa v[24:25], v13 src0_sel:WORD_1
	v_mfma_f32_16x16x16_bf16 v[20:23], v[32:33], v[26:27], v[20:23]
	s_and_b64 s[6:7], s[6:7], s[8:9]
	v_perm_b32 v16, v17, v16, s5
	v_perm_b32 v17, v25, v24, s5
	s_waitcnt lgkmcnt(0)
	v_mfma_f32_16x16x16_bf16 v[10:13], v[10:11], v[28:29], v[20:23]
	s_waitcnt vmcnt(1)
	v_cvt_pk_f32_fp8_sdwa v[24:25], v7 src0_sel:WORD_1
	v_cvt_pk_f32_fp8_e32 v[28:29], v8
	v_cvt_pk_f32_fp8_e32 v[20:21], v6
	v_mfma_f32_16x16x16_bf16 v[10:13], v[16:17], v[30:31], v[10:13]
	v_cvt_pk_f32_fp8_sdwa v[16:17], v6 src0_sel:WORD_1
	v_cvt_pk_f32_fp8_e32 v[22:23], v7
	v_perm_b32 v6, v21, v20, s5
	v_cvt_pk_f32_fp8_sdwa v[30:31], v8 src0_sel:WORD_1
	v_perm_b32 v7, v17, v16, s5
	v_perm_b32 v16, v23, v22, s5
	ds_read_b128 v[20:23], v14 offset:4096
	v_perm_b32 v17, v25, v24, s5
	ds_read_b128 v[24:27], v14 offset:4112
	s_waitcnt lgkmcnt(1)
	v_mfma_f32_16x16x16_bf16 v[10:13], v[6:7], v[20:21], v[10:13]
	v_perm_b32 v6, v29, v28, s5
	v_perm_b32 v7, v31, v30, s5
	v_cvt_pk_f32_fp8_e32 v[20:21], v9
	v_mfma_f32_16x16x16_bf16 v[10:13], v[16:17], v[22:23], v[10:13]
	v_cvt_pk_f32_fp8_sdwa v[16:17], v9 src0_sel:WORD_1
	v_perm_b32 v20, v21, v20, s5
	s_waitcnt lgkmcnt(0)
	v_mfma_f32_16x16x16_bf16 v[6:9], v[6:7], v[24:25], v[10:13]
	v_perm_b32 v21, v17, v16, s5
	s_waitcnt vmcnt(0)
	v_cvt_pk_f32_fp8_e32 v[16:17], v3
	v_cvt_pk_f32_fp8_sdwa v[24:25], v4 src0_sel:WORD_1
	v_cvt_pk_f32_fp8_e32 v[10:11], v2
	v_cvt_pk_f32_fp8_sdwa v[12:13], v2 src0_sel:WORD_1
	v_mfma_f32_16x16x16_bf16 v[6:9], v[20:21], v[26:27], v[6:9]
	v_cvt_pk_f32_fp8_sdwa v[20:21], v3 src0_sel:WORD_1
	v_perm_b32 v2, v11, v10, s5
	v_perm_b32 v3, v13, v12, s5
	ds_read_b128 v[10:13], v14 offset:6144
	v_perm_b32 v22, v17, v16, s5
	v_perm_b32 v23, v21, v20, s5
	v_cvt_pk_f32_fp8_e32 v[20:21], v4
	s_waitcnt lgkmcnt(0)
	v_mfma_f32_16x16x16_bf16 v[6:9], v[2:3], v[10:11], v[6:9]
	ds_read_b128 v[14:17], v14 offset:6160
	v_perm_b32 v2, v21, v20, s5
	v_perm_b32 v3, v25, v24, s5
	v_cvt_pk_f32_fp8_e32 v[10:11], v5
	v_mfma_f32_16x16x16_bf16 v[6:9], v[22:23], v[12:13], v[6:9]
	v_cvt_pk_f32_fp8_sdwa v[12:13], v5 src0_sel:WORD_1
	s_waitcnt lgkmcnt(0)
	v_perm_b32 v10, v11, v10, s5
	v_mfma_f32_16x16x16_bf16 v[2:5], v[2:3], v[14:15], v[6:9]
	v_perm_b32 v11, v13, v12, s5
	s_barrier
	s_nop 0
	v_mfma_f32_16x16x16_bf16 v[2:5], v[10:11], v[16:17], v[2:5]
	s_nop 6
	v_pk_mul_f32 v[2:3], v[2:3], s[12:13] op_sel_hi:[1,0]
	v_pk_mul_f32 v[4:5], v[4:5], s[12:13] op_sel_hi:[1,0]
	v_bfe_u32 v6, v3, 16, 1
	v_bfe_u32 v7, v2, 16, 1
	v_add3_u32 v2, v2, v7, s14
	v_add3_u32 v3, v3, v6, s14
	v_perm_b32 v2, v3, v2, s5
	v_bfe_u32 v3, v5, 16, 1
	v_bfe_u32 v6, v4, 16, 1
	v_add3_u32 v4, v4, v6, s14
	v_add3_u32 v3, v5, v3, s14
	v_perm_b32 v3, v3, v4, s5
	ds_write_b64 v18, v[2:3]
	s_waitcnt lgkmcnt(0)
	s_barrier
	s_and_saveexec_b64 s[8:9], s[6:7]
	s_cbranch_execz .LBB1184_19
; %bb.18:
	s_load_dwordx2 s[0:1], s[0:1], 0x68
	s_mul_i32 s2, s11, s2
	s_lshl_b32 s5, s10, 6
	s_mul_hi_u32 s7, s2, s5
	s_mul_i32 s6, s2, s5
	s_lshl_b64 s[6:7], s[6:7], 1
	v_lshlrev_b32_e32 v0, 10, v0
	s_waitcnt lgkmcnt(0)
	s_add_u32 s6, s0, s6
	v_and_b32_e32 v0, 0x1800, v0
	v_lshlrev_b32_e32 v2, 5, v38
	v_and_b32_e32 v3, 16, v39
	s_addc_u32 s7, s1, s7
	s_lshl_b32 s2, s30, 6
	v_or3_b32 v0, v0, v2, v3
	s_lshl_b64 s[0:1], s[2:3], 1
	ds_read_b128 v[2:5], v0
	s_add_u32 s2, s6, s0
	s_addc_u32 s3, s7, s1
	s_mul_hi_u32 s1, s5, s4
	s_mul_i32 s0, s5, s4
	s_lshl_b64 s[0:1], s[0:1], 1
	s_add_u32 s0, s2, s0
	s_addc_u32 s1, s3, s1
	s_waitcnt lgkmcnt(0)
	global_store_dwordx4 v1, v[2:5], s[0:1]
.LBB1184_19:
	s_endpgm
	.section	.rodata,"a",@progbits
	.p2align	6, 0x0
	.amdhsa_kernel _Z39paged_attention_ll4mi_QKV_mfma16_kernelI14__hip_bfloat16hLN4vllm18Fp8KVCacheDataTypeE1EhLi32ELi64ELi256ELb1ELi1EEvPKT_PKT0_S8_ifPKiSA_SA_iPKfiiiPfSD_PS3_PT2_iSC_SC_
		.amdhsa_group_segment_fixed_size 8192
		.amdhsa_private_segment_fixed_size 0
		.amdhsa_kernarg_size 400
		.amdhsa_user_sgpr_count 2
		.amdhsa_user_sgpr_dispatch_ptr 0
		.amdhsa_user_sgpr_queue_ptr 0
		.amdhsa_user_sgpr_kernarg_segment_ptr 1
		.amdhsa_user_sgpr_dispatch_id 0
		.amdhsa_user_sgpr_kernarg_preload_length 0
		.amdhsa_user_sgpr_kernarg_preload_offset 0
		.amdhsa_user_sgpr_private_segment_size 0
		.amdhsa_uses_dynamic_stack 0
		.amdhsa_enable_private_segment 0
		.amdhsa_system_sgpr_workgroup_id_x 1
		.amdhsa_system_sgpr_workgroup_id_y 1
		.amdhsa_system_sgpr_workgroup_id_z 1
		.amdhsa_system_sgpr_workgroup_info 0
		.amdhsa_system_vgpr_workitem_id 0
		.amdhsa_next_free_vgpr 73
		.amdhsa_next_free_sgpr 52
		.amdhsa_accum_offset 76
		.amdhsa_reserve_vcc 1
		.amdhsa_float_round_mode_32 0
		.amdhsa_float_round_mode_16_64 0
		.amdhsa_float_denorm_mode_32 3
		.amdhsa_float_denorm_mode_16_64 3
		.amdhsa_dx10_clamp 1
		.amdhsa_ieee_mode 1
		.amdhsa_fp16_overflow 0
		.amdhsa_tg_split 0
		.amdhsa_exception_fp_ieee_invalid_op 0
		.amdhsa_exception_fp_denorm_src 0
		.amdhsa_exception_fp_ieee_div_zero 0
		.amdhsa_exception_fp_ieee_overflow 0
		.amdhsa_exception_fp_ieee_underflow 0
		.amdhsa_exception_fp_ieee_inexact 0
		.amdhsa_exception_int_div_zero 0
	.end_amdhsa_kernel
	.section	.text._Z39paged_attention_ll4mi_QKV_mfma16_kernelI14__hip_bfloat16hLN4vllm18Fp8KVCacheDataTypeE1EhLi32ELi64ELi256ELb1ELi1EEvPKT_PKT0_S8_ifPKiSA_SA_iPKfiiiPfSD_PS3_PT2_iSC_SC_,"axG",@progbits,_Z39paged_attention_ll4mi_QKV_mfma16_kernelI14__hip_bfloat16hLN4vllm18Fp8KVCacheDataTypeE1EhLi32ELi64ELi256ELb1ELi1EEvPKT_PKT0_S8_ifPKiSA_SA_iPKfiiiPfSD_PS3_PT2_iSC_SC_,comdat
.Lfunc_end1184:
	.size	_Z39paged_attention_ll4mi_QKV_mfma16_kernelI14__hip_bfloat16hLN4vllm18Fp8KVCacheDataTypeE1EhLi32ELi64ELi256ELb1ELi1EEvPKT_PKT0_S8_ifPKiSA_SA_iPKfiiiPfSD_PS3_PT2_iSC_SC_, .Lfunc_end1184-_Z39paged_attention_ll4mi_QKV_mfma16_kernelI14__hip_bfloat16hLN4vllm18Fp8KVCacheDataTypeE1EhLi32ELi64ELi256ELb1ELi1EEvPKT_PKT0_S8_ifPKiSA_SA_iPKfiiiPfSD_PS3_PT2_iSC_SC_
                                        ; -- End function
	.section	.AMDGPU.csdata,"",@progbits
; Kernel info:
; codeLenInByte = 5060
; NumSgprs: 58
; NumVgprs: 73
; NumAgprs: 0
; TotalNumVgprs: 73
; ScratchSize: 0
; MemoryBound: 0
; FloatMode: 240
; IeeeMode: 1
; LDSByteSize: 8192 bytes/workgroup (compile time only)
; SGPRBlocks: 7
; VGPRBlocks: 9
; NumSGPRsForWavesPerEU: 58
; NumVGPRsForWavesPerEU: 73
; AccumOffset: 76
; Occupancy: 6
; WaveLimiterHint : 1
; COMPUTE_PGM_RSRC2:SCRATCH_EN: 0
; COMPUTE_PGM_RSRC2:USER_SGPR: 2
; COMPUTE_PGM_RSRC2:TRAP_HANDLER: 0
; COMPUTE_PGM_RSRC2:TGID_X_EN: 1
; COMPUTE_PGM_RSRC2:TGID_Y_EN: 1
; COMPUTE_PGM_RSRC2:TGID_Z_EN: 1
; COMPUTE_PGM_RSRC2:TIDIG_COMP_CNT: 0
; COMPUTE_PGM_RSRC3_GFX90A:ACCUM_OFFSET: 18
; COMPUTE_PGM_RSRC3_GFX90A:TG_SPLIT: 0
	.section	.text._Z39paged_attention_ll4mi_QKV_mfma16_kernelI14__hip_bfloat16hLN4vllm18Fp8KVCacheDataTypeE1EhLi32ELi64ELi256ELb1ELi2EEvPKT_PKT0_S8_ifPKiSA_SA_iPKfiiiPfSD_PS3_PT2_iSC_SC_,"axG",@progbits,_Z39paged_attention_ll4mi_QKV_mfma16_kernelI14__hip_bfloat16hLN4vllm18Fp8KVCacheDataTypeE1EhLi32ELi64ELi256ELb1ELi2EEvPKT_PKT0_S8_ifPKiSA_SA_iPKfiiiPfSD_PS3_PT2_iSC_SC_,comdat
	.protected	_Z39paged_attention_ll4mi_QKV_mfma16_kernelI14__hip_bfloat16hLN4vllm18Fp8KVCacheDataTypeE1EhLi32ELi64ELi256ELb1ELi2EEvPKT_PKT0_S8_ifPKiSA_SA_iPKfiiiPfSD_PS3_PT2_iSC_SC_ ; -- Begin function _Z39paged_attention_ll4mi_QKV_mfma16_kernelI14__hip_bfloat16hLN4vllm18Fp8KVCacheDataTypeE1EhLi32ELi64ELi256ELb1ELi2EEvPKT_PKT0_S8_ifPKiSA_SA_iPKfiiiPfSD_PS3_PT2_iSC_SC_
	.globl	_Z39paged_attention_ll4mi_QKV_mfma16_kernelI14__hip_bfloat16hLN4vllm18Fp8KVCacheDataTypeE1EhLi32ELi64ELi256ELb1ELi2EEvPKT_PKT0_S8_ifPKiSA_SA_iPKfiiiPfSD_PS3_PT2_iSC_SC_
	.p2align	8
	.type	_Z39paged_attention_ll4mi_QKV_mfma16_kernelI14__hip_bfloat16hLN4vllm18Fp8KVCacheDataTypeE1EhLi32ELi64ELi256ELb1ELi2EEvPKT_PKT0_S8_ifPKiSA_SA_iPKfiiiPfSD_PS3_PT2_iSC_SC_,@function
_Z39paged_attention_ll4mi_QKV_mfma16_kernelI14__hip_bfloat16hLN4vllm18Fp8KVCacheDataTypeE1EhLi32ELi64ELi256ELb1ELi2EEvPKT_PKT0_S8_ifPKiSA_SA_iPKfiiiPfSD_PS3_PT2_iSC_SC_: ; @_Z39paged_attention_ll4mi_QKV_mfma16_kernelI14__hip_bfloat16hLN4vllm18Fp8KVCacheDataTypeE1EhLi32ELi64ELi256ELb1ELi2EEvPKT_PKT0_S8_ifPKiSA_SA_iPKfiiiPfSD_PS3_PT2_iSC_SC_
; %bb.0:
	s_load_dwordx2 s[8:9], s[0:1], 0x30
	s_mov_b32 s28, s3
	s_mov_b64 s[6:7], 0
	s_waitcnt lgkmcnt(0)
	s_cmp_lg_u64 s[8:9], 0
	s_cselect_b64 s[10:11], -1, 0
	s_and_b64 vcc, exec, s[10:11]
	s_cbranch_vccz .LBB1185_7
; %bb.1:
	s_add_i32 s12, s2, 1
	s_mov_b32 s13, 0
	s_lshl_b64 s[14:15], s[12:13], 2
	s_add_u32 s14, s8, s14
	s_mov_b32 s3, s13
	s_addc_u32 s15, s9, s15
	s_lshl_b64 s[12:13], s[2:3], 2
	s_add_u32 s12, s8, s12
	s_addc_u32 s13, s9, s13
	s_load_dword s5, s[14:15], 0x0
	s_load_dword s16, s[12:13], 0x0
	s_waitcnt lgkmcnt(0)
	s_sub_i32 s5, s5, s16
	s_cmp_eq_u32 s5, 1
	s_cselect_b64 s[12:13], -1, 0
	s_andn2_b64 vcc, exec, s[6:7]
	s_cbranch_vccnz .LBB1185_3
.LBB1185_2:
	s_mov_b32 s3, 0
	s_mov_b64 s[12:13], -1
.LBB1185_3:
	s_andn2_b64 vcc, exec, s[12:13]
	s_cbranch_vccnz .LBB1185_19
; %bb.4:
	s_load_dwordx2 s[6:7], s[0:1], 0x28
	s_lshl_b64 s[12:13], s[2:3], 2
	s_waitcnt lgkmcnt(0)
	s_add_u32 s6, s6, s12
	s_addc_u32 s7, s7, s13
	s_load_dword s33, s[6:7], 0x0
	s_lshl_b32 s16, s28, 8
	s_waitcnt lgkmcnt(0)
	s_cmp_ge_i32 s16, s33
	s_cbranch_scc1 .LBB1185_19
; %bb.5:
	s_load_dwordx2 s[6:7], s[0:1], 0x20
	s_load_dword s5, s[0:1], 0x38
	s_add_i32 s14, s33, 31
	s_ashr_i32 s15, s14, 31
	v_and_b32_e32 v1, 0xcf, v0
	s_lshr_b32 s15, s15, 27
	v_add_u32_e32 v1, s16, v1
	s_add_i32 s14, s14, s15
	v_ashrrev_i32_e32 v2, 31, v1
	s_ashr_i32 s17, s14, 5
	v_lshrrev_b32_e32 v4, 27, v2
	s_add_i32 s17, s17, -1
	s_waitcnt lgkmcnt(0)
	s_mul_i32 s14, s2, s5
	s_mov_b32 s15, 0
	v_add_u32_e32 v2, v1, v4
	s_lshl_b64 s[14:15], s[14:15], 2
	v_ashrrev_i32_e32 v2, 5, v2
	v_mov_b32_e32 v5, s17
	v_cmp_gt_i32_e32 vcc, s33, v1
	s_add_u32 s6, s6, s14
	s_addc_u32 s7, s7, s15
	v_cndmask_b32_e32 v2, v5, v2, vcc
	v_ashrrev_i32_e32 v3, 31, v2
	v_lshl_add_u64 v[6:7], v[2:3], 2, s[6:7]
	v_or_b32_e32 v2, 16, v1
	v_add_u32_e32 v3, v2, v4
	v_ashrrev_i32_e32 v3, 5, v3
	v_cmp_gt_i32_e32 vcc, s33, v2
	s_load_dwordx2 s[14:15], s[0:1], 0x8
	s_nop 0
	v_cndmask_b32_e32 v2, v5, v3, vcc
	v_ashrrev_i32_e32 v3, 31, v2
	v_lshl_add_u64 v[8:9], v[2:3], 2, s[6:7]
	v_or_b32_e32 v2, 32, v1
	v_add_u32_e32 v3, v2, v4
	v_ashrrev_i32_e32 v3, 5, v3
	v_cmp_gt_i32_e32 vcc, s33, v2
	v_or_b32_e32 v1, 48, v1
	s_nop 0
	v_cndmask_b32_e32 v2, v5, v3, vcc
	v_ashrrev_i32_e32 v3, 31, v2
	v_lshl_add_u64 v[10:11], v[2:3], 2, s[6:7]
	v_add_u32_e32 v2, v1, v4
	v_ashrrev_i32_e32 v2, 5, v2
	v_cmp_gt_i32_e32 vcc, s33, v1
	s_nop 1
	v_cndmask_b32_e32 v2, v5, v2, vcc
	v_ashrrev_i32_e32 v3, 31, v2
	v_lshl_add_u64 v[12:13], v[2:3], 2, s[6:7]
	global_load_dword v5, v[6:7], off
	global_load_dword v4, v[8:9], off
	;; [unrolled: 1-line block ×4, first 2 shown]
	s_andn2_b64 vcc, exec, s[10:11]
	s_cbranch_vccnz .LBB1185_8
; %bb.6:
	s_add_u32 s8, s8, s12
	s_addc_u32 s9, s9, s13
	s_load_dword s5, s[8:9], 0x0
	s_branch .LBB1185_9
.LBB1185_7:
	s_mov_b64 s[12:13], 0
	s_branch .LBB1185_2
.LBB1185_8:
	s_mov_b32 s5, s2
.LBB1185_9:
	s_load_dwordx2 s[8:9], s[0:1], 0x10
	s_load_dwordx4 s[44:47], s[0:1], 0x48
	v_lshrrev_b32_e32 v42, 6, v0
	v_bfe_u32 v1, v0, 4, 2
	v_lshl_or_b32 v6, v42, 2, v1
	v_and_b32_e32 v43, 15, v0
	v_lshlrev_b32_e32 v7, 3, v43
	v_cmp_gt_u32_e32 vcc, 2, v6
	v_cmp_gt_u32_e64 s[30:31], 8, v43
	s_lshl_b32 s29, s4, 1
	s_and_b64 s[12:13], s[30:31], vcc
	v_lshlrev_b32_e32 v26, 1, v7
	v_lshlrev_b32_e32 v40, 4, v0
	s_and_saveexec_b64 s[10:11], s[12:13]
	s_cbranch_execz .LBB1185_11
; %bb.10:
	s_load_dwordx2 s[12:13], s[0:1], 0x0
	s_waitcnt lgkmcnt(0)
	s_ashr_i32 s18, s44, 31
	s_mul_hi_u32 s19, s5, s44
	s_mul_i32 s18, s5, s18
	s_add_i32 s19, s19, s18
	s_mul_i32 s18, s5, s44
	s_lshl_b64 s[18:19], s[18:19], 1
	s_add_u32 s12, s12, s18
	v_add_lshl_u32 v8, v1, s29, 6
	s_addc_u32 s13, s13, s19
	v_ashrrev_i32_e32 v9, 31, v8
	v_lshl_add_u64 v[8:9], v[8:9], 1, s[12:13]
	v_mov_b32_e32 v27, 0
	v_lshl_add_u64 v[8:9], v[8:9], 0, v[26:27]
	global_load_dwordx4 v[8:11], v[8:9], off
	v_lshlrev_b32_e32 v12, 8, v43
	v_lshlrev_b32_e32 v6, 5, v6
	v_and_b32_e32 v7, 16, v40
	v_and_b32_e32 v12, 0xe00, v12
	v_or3_b32 v6, v12, v6, v7
	s_waitcnt vmcnt(0)
	ds_write_b128 v6, v[8:11]
.LBB1185_11:
	s_or_b64 exec, exec, s[10:11]
	s_waitcnt lgkmcnt(0)
	s_mul_i32 s10, s4, s46
	s_add_u32 s4, s14, s10
	s_addc_u32 s5, s15, 0
	v_mov_b32_e32 v29, 0
	v_mov_b64_e32 v[6:7], s[4:5]
	v_lshlrev_b32_e32 v10, 4, v43
	v_and_b32_e32 v27, 48, v0
	s_waitcnt vmcnt(3)
	v_mad_i64_i32 v[8:9], s[4:5], v5, s45, v[6:7]
	v_mov_b32_e32 v11, v29
	s_waitcnt vmcnt(2)
	v_mad_i64_i32 v[4:5], s[4:5], v4, s45, v[6:7]
	v_or_b32_e32 v12, 0x100, v10
	v_mov_b32_e32 v13, v29
	v_lshlrev_b32_e32 v28, 5, v27
	v_lshl_add_u64 v[8:9], v[8:9], 0, v[10:11]
	v_lshl_add_u64 v[4:5], v[4:5], 0, v[12:13]
	;; [unrolled: 1-line block ×4, first 2 shown]
	s_barrier
	global_load_dwordx4 v[22:25], v[8:9], off
	global_load_dwordx4 v[18:21], v[4:5], off
	s_waitcnt vmcnt(3)
	v_mad_i64_i32 v[4:5], s[4:5], v3, s45, v[6:7]
	v_lshl_add_u64 v[4:5], v[4:5], 0, v[10:11]
	s_waitcnt vmcnt(2)
	v_mad_i64_i32 v[2:3], s[4:5], v2, s45, v[6:7]
	v_lshl_add_u64 v[4:5], v[4:5], 0, v[28:29]
	v_lshl_add_u64 v[2:3], v[2:3], 0, v[12:13]
	;; [unrolled: 1-line block ×3, first 2 shown]
	global_load_dwordx4 v[14:17], v[4:5], off
	global_load_dwordx4 v[6:9], v[2:3], off
	v_and_b32_e32 v2, 1, v0
	v_lshlrev_b32_e32 v2, 5, v2
	v_lshl_or_b32 v2, v1, 9, v2
	ds_read_b128 v[10:13], v2
	ds_read_b128 v[2:5], v2 offset:16
	v_and_b32_e32 v41, 63, v0
	v_cmp_gt_u32_e32 vcc, 2, v43
	v_mov_b32_e32 v44, 0
	s_and_saveexec_b64 s[4:5], vcc
	s_cbranch_execz .LBB1185_13
; %bb.12:
	s_load_dwordx2 s[12:13], s[0:1], 0x40
	v_or_b32_e32 v30, s29, v43
	v_ashrrev_i32_e32 v31, 31, v30
	s_waitcnt lgkmcnt(0)
	v_lshl_add_u64 v[30:31], v[30:31], 2, s[12:13]
	global_load_dword v44, v[30:31], off
.LBB1185_13:
	s_or_b64 exec, exec, s[4:5]
	s_ashr_i32 s4, s16, 31
	v_or_b32_e32 v45, s16, v27
	s_lshr_b32 s4, s4, 27
	v_add_u32_e32 v27, s4, v45
	v_ashrrev_i32_e32 v27, 5, v27
	v_mov_b32_e32 v65, s17
	v_cmp_gt_i32_e32 vcc, s33, v45
	s_waitcnt vmcnt(3)
	v_cvt_pk_f32_fp8_sdwa v[32:33], v22 src0_sel:WORD_1
	v_cvt_pk_f32_fp8_e32 v[34:35], v23
	v_cndmask_b32_e32 v30, v65, v27, vcc
	v_ashrrev_i32_e32 v31, 31, v30
	v_lshl_add_u64 v[30:31], v[30:31], 2, s[6:7]
	global_load_dword v72, v[30:31], off
	v_cvt_pk_f32_fp8_e32 v[30:31], v22
	v_cvt_pk_f32_fp8_sdwa v[22:23], v23 src0_sel:WORD_1
	s_waitcnt vmcnt(3)
	v_cvt_pk_f32_fp8_e32 v[48:49], v18
	v_cvt_pk_f32_fp8_sdwa v[50:51], v18 src0_sel:WORD_1
	v_or_b32_e32 v18, 64, v45
	v_cvt_pk_f32_fp8_e32 v[56:57], v20
	v_cvt_pk_f32_fp8_sdwa v[58:59], v20 src0_sel:WORD_1
	v_cvt_pk_f32_fp8_e32 v[60:61], v21
	v_cvt_pk_f32_fp8_sdwa v[62:63], v21 src0_sel:WORD_1
	v_or_b32_e32 v20, 0xc0, v45
	v_add_u32_e32 v21, s4, v18
	s_mov_b32 s44, 0x7060302
	v_cvt_pk_f32_fp8_e32 v[52:53], v19
	v_cvt_pk_f32_fp8_sdwa v[54:55], v19 src0_sel:WORD_1
	v_or_b32_e32 v19, 0x80, v45
	v_add_u32_e32 v64, s4, v20
	v_ashrrev_i32_e32 v21, 5, v21
	v_cmp_gt_i32_e32 vcc, s33, v18
	v_add_u32_e32 v45, s4, v19
	v_ashrrev_i32_e32 v67, 5, v64
	v_cndmask_b32_e32 v64, v65, v21, vcc
	v_cmp_gt_i32_e32 vcc, s33, v19
	v_perm_b32 v18, v31, v30, s44
	v_perm_b32 v19, v33, v32, s44
	v_cvt_pk_f32_fp8_sdwa v[38:39], v24 src0_sel:WORD_1
	v_perm_b32 v31, v23, v22, s44
	v_perm_b32 v22, v49, v48, s44
	;; [unrolled: 1-line block ×3, first 2 shown]
	v_cvt_pk_f32_fp8_e32 v[36:37], v24
	v_cvt_pk_f32_fp8_e32 v[46:47], v25
	v_cvt_pk_f32_fp8_sdwa v[24:25], v25 src0_sel:WORD_1
	v_ashrrev_i32_e32 v45, 5, v45
	v_perm_b32 v30, v35, v34, s44
	v_cndmask_b32_e32 v66, v65, v45, vcc
	v_cmp_gt_i32_e32 vcc, s33, v20
	v_perm_b32 v35, v39, v38, s44
	s_waitcnt lgkmcnt(1)
	v_mfma_f32_16x16x16_bf16 v[18:21], v[18:19], v[10:11], 0
	v_perm_b32 v38, v53, v52, s44
	v_perm_b32 v39, v55, v54, s44
	;; [unrolled: 1-line block ×4, first 2 shown]
	v_mfma_f32_16x16x16_bf16 v[22:25], v[22:23], v[10:11], 0
	s_load_dword s11, s[0:1], 0x1c
	s_load_dwordx4 s[40:43], s[0:1], 0x80
	v_perm_b32 v36, v47, v46, s44
	v_perm_b32 v46, v57, v56, s44
	;; [unrolled: 1-line block ×3, first 2 shown]
	v_mfma_f32_16x16x16_bf16 v[30:33], v[30:31], v[12:13], v[18:21]
	s_add_u32 s4, s8, s10
	v_and_b32_e32 v28, 16, v0
	v_lshlrev_b32_e32 v27, 5, v43
	v_mfma_f32_16x16x16_bf16 v[20:23], v[38:39], v[12:13], v[22:25]
	s_addc_u32 s5, s9, 0
	v_cndmask_b32_e32 v68, v65, v67, vcc
	v_lshl_add_u64 v[70:71], s[4:5], 0, v[28:29]
	v_lshl_or_b32 v28, v42, 9, v27
	v_ashrrev_i32_e32 v65, 31, v64
	v_ashrrev_i32_e32 v67, 31, v66
	;; [unrolled: 1-line block ×3, first 2 shown]
	v_lshl_add_u64 v[18:19], v[70:71], 0, v[28:29]
	s_waitcnt lgkmcnt(0)
	v_mfma_f32_16x16x16_bf16 v[28:31], v[34:35], v[2:3], v[30:33]
	v_lshl_add_u64 v[24:25], v[64:65], 2, s[6:7]
	v_lshl_add_u64 v[34:35], v[68:69], 2, s[6:7]
	s_load_dword s8, s[40:41], 0x0
	v_lshl_add_u64 v[32:33], v[66:67], 2, s[6:7]
	v_mfma_f32_16x16x16_bf16 v[20:23], v[46:47], v[2:3], v[20:23]
	global_load_dword v47, v[24:25], off
	global_load_dword v45, v[32:33], off
	;; [unrolled: 1-line block ×3, first 2 shown]
	s_waitcnt vmcnt(5)
	v_cvt_pk_f32_fp8_e32 v[32:33], v14
	v_cvt_pk_f32_fp8_sdwa v[34:35], v14 src0_sel:WORD_1
	v_perm_b32 v48, v61, v60, s44
	v_perm_b32 v49, v63, v62, s44
	v_mfma_f32_16x16x16_bf16 v[28:31], v[36:37], v[4:5], v[28:31]
	v_cvt_pk_f32_fp8_e32 v[36:37], v15
	v_perm_b32 v32, v33, v32, s44
	v_perm_b32 v33, v35, v34, s44
	v_cvt_pk_f32_fp8_sdwa v[14:15], v15 src0_sel:WORD_1
	v_mov_b32_e32 v38, s11
	s_waitcnt lgkmcnt(0)
	v_mul_f32_e32 v50, s8, v38
	v_mfma_f32_16x16x16_bf16 v[20:23], v[48:49], v[4:5], v[20:23]
	v_perm_b32 v36, v37, v36, s44
	v_cvt_pk_f32_fp8_e32 v[38:39], v16
	v_cvt_pk_f32_fp8_sdwa v[48:49], v16 src0_sel:WORD_1
	v_perm_b32 v37, v15, v14, s44
	v_mfma_f32_16x16x16_bf16 v[32:35], v[32:33], v[10:11], 0
	v_perm_b32 v38, v39, v38, s44
	v_perm_b32 v39, v49, v48, s44
	v_cvt_pk_f32_fp8_e32 v[48:49], v17
	v_cvt_pk_f32_fp8_sdwa v[52:53], v17 src0_sel:WORD_1
	v_mfma_f32_16x16x16_bf16 v[14:17], v[36:37], v[12:13], v[32:35]
	v_pk_mul_f32 v[36:37], v[50:51], v[28:29] op_sel_hi:[0,1]
	s_waitcnt vmcnt(4)
	v_cvt_pk_f32_fp8_e32 v[28:29], v6
	v_pk_mul_f32 v[30:31], v[50:51], v[30:31] op_sel_hi:[0,1]
	v_perm_b32 v32, v49, v48, s44
	v_perm_b32 v33, v53, v52, s44
	v_mfma_f32_16x16x16_bf16 v[14:17], v[38:39], v[2:3], v[14:17]
	v_cvt_pk_f32_fp8_sdwa v[34:35], v6 src0_sel:WORD_1
	v_perm_b32 v28, v29, v28, s44
	v_cvt_pk_f32_fp8_e32 v[48:49], v8
	v_mfma_f32_16x16x16_bf16 v[14:17], v[32:33], v[4:5], v[14:17]
	v_cvt_pk_f32_fp8_e32 v[32:33], v7
	v_perm_b32 v29, v35, v34, s44
	v_cvt_pk_f32_fp8_sdwa v[6:7], v7 src0_sel:WORD_1
	v_cvt_pk_f32_fp8_sdwa v[52:53], v8 src0_sel:WORD_1
	v_perm_b32 v38, v33, v32, s44
	v_mfma_f32_16x16x16_bf16 v[32:35], v[28:29], v[10:11], 0
	v_perm_b32 v39, v7, v6, s44
	v_perm_b32 v10, v49, v48, s44
	;; [unrolled: 1-line block ×3, first 2 shown]
	v_cvt_pk_f32_fp8_e32 v[28:29], v9
	v_cvt_pk_f32_fp8_sdwa v[48:49], v9 src0_sel:WORD_1
	v_mfma_f32_16x16x16_bf16 v[6:9], v[38:39], v[12:13], v[32:35]
	v_pk_mul_f32 v[38:39], v[50:51], v[20:21] op_sel_hi:[0,1]
	v_perm_b32 v12, v29, v28, s44
	v_perm_b32 v13, v49, v48, s44
	v_mfma_f32_16x16x16_bf16 v[6:9], v[10:11], v[2:3], v[6:9]
	v_pk_mul_f32 v[34:35], v[50:51], v[22:23] op_sel_hi:[0,1]
	v_pk_mul_f32 v[28:29], v[50:51], v[16:17] op_sel_hi:[0,1]
	;; [unrolled: 1-line block ×3, first 2 shown]
	v_mfma_f32_16x16x16_bf16 v[2:5], v[12:13], v[4:5], v[6:9]
	s_waitcnt vmcnt(3)
	v_mad_i64_i32 v[24:25], s[4:5], v72, s45, v[18:19]
	s_mov_b32 s46, 0xff7fffff
	s_nop 3
	v_pk_mul_f32 v[22:23], v[50:51], v[2:3] op_sel_hi:[0,1]
	v_and_b32_e32 v2, 0xc0, v0
	v_add_u32_e32 v2, s16, v2
	v_lshl_or_b32 v2, v1, 2, v2
	v_or_b32_e32 v3, 1, v2
	v_pk_mul_f32 v[20:21], v[50:51], v[4:5] op_sel_hi:[0,1]
	v_subrev_u32_e32 v4, s33, v3
	v_add_u32_e32 v6, 1, v4
	v_add_u32_e32 v7, 2, v4
	;; [unrolled: 1-line block ×3, first 2 shown]
	v_cvt_f32_i32_e32 v6, v6
	v_cvt_f32_i32_e32 v7, v7
	;; [unrolled: 1-line block ×3, first 2 shown]
	v_add_u32_e32 v9, 19, v4
	v_fmac_f32_e32 v37, v44, v6
	v_fma_f32 v30, v44, v7, v30
	v_fmac_f32_e32 v31, v44, v8
	v_add_u32_e32 v6, 16, v4
	v_add_u32_e32 v7, 17, v4
	;; [unrolled: 1-line block ×3, first 2 shown]
	v_cvt_f32_i32_e32 v6, v6
	v_cvt_f32_i32_e32 v7, v7
	;; [unrolled: 1-line block ×4, first 2 shown]
	v_fma_f32 v38, v44, v6, v38
	v_fmac_f32_e32 v39, v44, v7
	v_fma_f32 v34, v44, v8, v34
	v_add_u32_e32 v6, 32, v4
	v_add_u32_e32 v7, 33, v4
	v_add_u32_e32 v8, 34, v4
	v_cvt_f32_i32_e32 v6, v6
	v_cvt_f32_i32_e32 v7, v7
	;; [unrolled: 1-line block ×4, first 2 shown]
	v_fmac_f32_e32 v35, v44, v9
	v_add_u32_e32 v9, 35, v4
	v_fma_f32 v48, v44, v6, v32
	v_fmac_f32_e32 v33, v44, v7
	v_fma_f32 v28, v44, v8, v28
	v_add_u32_e32 v6, 48, v4
	v_add_u32_e32 v7, 49, v4
	;; [unrolled: 1-line block ×4, first 2 shown]
	v_cvt_f32_i32_e32 v4, v4
	v_cvt_f32_i32_e32 v6, v6
	;; [unrolled: 1-line block ×3, first 2 shown]
	v_fma_f32 v5, v44, v5, v36
	v_fmac_f32_e32 v21, v44, v4
	v_mov_b32_e32 v4, 0xff7fffff
	v_cmp_gt_i32_e64 s[4:5], s33, v2
	v_cmp_gt_i32_e64 s[34:35], s33, v3
	v_fma_f32 v22, v44, v6, v22
	v_cndmask_b32_e64 v6, v4, v5, s[4:5]
	v_cndmask_b32_e64 v3, v4, v37, s[34:35]
	v_fmac_f32_e32 v23, v44, v7
	v_max3_f32 v3, v6, s46, v3
	v_or_b32_e32 v6, 2, v2
	v_or_b32_e32 v7, 3, v2
	v_cmp_gt_i32_e64 s[36:37], s33, v6
	v_cmp_gt_i32_e64 s[38:39], s33, v7
	v_cvt_f32_i32_e32 v9, v9
	v_cndmask_b32_e64 v6, v4, v30, s[36:37]
	v_cndmask_b32_e64 v7, v4, v31, s[38:39]
	v_max3_f32 v3, v3, v6, v7
	v_or_b32_e32 v6, 16, v2
	v_or_b32_e32 v7, 17, v2
	v_cmp_gt_i32_e64 s[24:25], s33, v6
	v_cmp_gt_i32_e64 s[26:27], s33, v7
	v_fmac_f32_e32 v29, v44, v9
	v_cndmask_b32_e64 v6, v4, v38, s[24:25]
	v_cndmask_b32_e64 v7, v4, v39, s[26:27]
	v_max3_f32 v3, v3, v6, v7
	v_or_b32_e32 v6, 18, v2
	v_or_b32_e32 v7, 19, v2
	v_cmp_gt_i32_e64 s[20:21], s33, v6
	v_cmp_gt_i32_e64 s[22:23], s33, v7
	v_cvt_f32_i32_e32 v8, v8
	v_cndmask_b32_e64 v6, v4, v34, s[20:21]
	v_cndmask_b32_e64 v7, v4, v35, s[22:23]
	v_max3_f32 v3, v3, v6, v7
	v_or_b32_e32 v6, 32, v2
	v_or_b32_e32 v7, 33, v2
	v_cmp_gt_i32_e64 s[16:17], s33, v6
	v_cmp_gt_i32_e64 s[18:19], s33, v7
	v_fma_f32 v20, v44, v8, v20
	v_cndmask_b32_e64 v6, v4, v48, s[16:17]
	v_cndmask_b32_e64 v7, v4, v33, s[18:19]
	v_max3_f32 v3, v3, v6, v7
	v_or_b32_e32 v6, 34, v2
	v_or_b32_e32 v7, 35, v2
	v_cmp_gt_i32_e64 s[12:13], s33, v6
	v_cmp_gt_i32_e64 s[14:15], s33, v7
	s_nop 0
	v_cndmask_b32_e64 v6, v4, v28, s[12:13]
	v_cndmask_b32_e64 v7, v4, v29, s[14:15]
	v_max3_f32 v3, v3, v6, v7
	v_or_b32_e32 v6, 48, v2
	v_or_b32_e32 v7, 49, v2
	v_cmp_gt_i32_e64 s[8:9], s33, v6
	v_cmp_gt_i32_e64 s[10:11], s33, v7
	s_nop 0
	v_cndmask_b32_e64 v6, v4, v22, s[8:9]
	v_cndmask_b32_e64 v7, v4, v23, s[10:11]
	v_max3_f32 v3, v3, v6, v7
	v_or_b32_e32 v6, 50, v2
	v_or_b32_e32 v2, 51, v2
	v_cmp_gt_i32_e32 vcc, s33, v6
	v_cmp_gt_i32_e64 s[6:7], s33, v2
	s_nop 0
	v_cndmask_b32_e32 v6, v4, v20, vcc
	v_cndmask_b32_e64 v2, v4, v21, s[6:7]
	v_max3_f32 v4, v3, v6, v2
	v_mbcnt_lo_u32_b32 v2, -1, 0
	v_mbcnt_hi_u32_b32 v6, -1, v2
	v_and_b32_e32 v2, 64, v6
	v_add_u32_e32 v7, 64, v2
	v_xor_b32_e32 v2, 32, v6
	v_cmp_lt_i32_e64 s[40:41], v2, v7
	s_nop 1
	v_cndmask_b32_e64 v2, v6, v2, s[40:41]
	v_lshlrev_b32_e32 v44, 2, v2
	ds_bpermute_b32 v8, v44, v4
	s_waitcnt vmcnt(2)
	v_mad_i64_i32 v[2:3], s[40:41], v47, s45, v[18:19]
	global_load_dwordx4 v[14:17], v[24:25], off
	global_load_dwordx4 v[10:13], v[2:3], off
	v_xor_b32_e32 v3, 16, v6
	v_cmp_lt_i32_e64 s[40:41], v3, v7
	s_waitcnt lgkmcnt(0)
	v_max_f32_e32 v2, v8, v8
	v_max_f32_e32 v2, v4, v2
	v_cndmask_b32_e64 v3, v6, v3, s[40:41]
	v_lshlrev_b32_e32 v47, 2, v3
	ds_bpermute_b32 v3, v47, v2
	s_waitcnt vmcnt(3)
	v_mad_i64_i32 v[24:25], s[40:41], v45, s45, v[18:19]
	s_waitcnt vmcnt(2)
	v_mad_i64_i32 v[18:19], s[40:41], v46, s45, v[18:19]
	s_waitcnt lgkmcnt(0)
	v_max_f32_e32 v3, v3, v3
	v_max_f32_e32 v32, v2, v3
	v_sub_f32_e32 v2, v5, v32
	v_mul_f32_e32 v2, 0x3fb8aa3b, v2
	v_exp_f32_e32 v36, v2
	v_sub_f32_e32 v2, v37, v32
	v_mul_f32_e32 v2, 0x3fb8aa3b, v2
	v_exp_f32_e32 v37, v2
	global_load_dwordx4 v[6:9], v[24:25], off
	global_load_dwordx4 v[2:5], v[18:19], off
	v_sub_f32_e32 v25, v30, v32
	v_sub_f32_e32 v30, v31, v32
	v_mul_f32_e32 v25, 0x3fb8aa3b, v25
	v_mul_f32_e32 v30, 0x3fb8aa3b, v30
	v_exp_f32_e32 v25, v25
	v_exp_f32_e32 v30, v30
	v_cndmask_b32_e64 v18, 0, v36, s[4:5]
	v_cndmask_b32_e64 v19, 0, v37, s[34:35]
	;; [unrolled: 1-line block ×4, first 2 shown]
	v_sub_f32_e32 v25, v38, v32
	v_sub_f32_e32 v30, v39, v32
	v_mul_f32_e32 v25, 0x3fb8aa3b, v25
	v_mul_f32_e32 v30, 0x3fb8aa3b, v30
	v_exp_f32_e32 v25, v25
	v_exp_f32_e32 v30, v30
	v_add_f32_e32 v24, 0, v18
	v_add_f32_e32 v24, v24, v19
	;; [unrolled: 1-line block ×4, first 2 shown]
	v_cndmask_b32_e64 v24, 0, v25, s[24:25]
	v_cndmask_b32_e64 v25, 0, v30, s[26:27]
	v_sub_f32_e32 v30, v34, v32
	v_mul_f32_e32 v30, 0x3fb8aa3b, v30
	v_exp_f32_e32 v30, v30
	v_sub_f32_e32 v34, v35, v32
	v_add_f32_e32 v31, v31, v24
	v_mul_f32_e32 v34, 0x3fb8aa3b, v34
	v_exp_f32_e32 v35, v34
	v_add_f32_e32 v31, v31, v25
	v_cndmask_b32_e64 v34, 0, v30, s[20:21]
	v_add_f32_e32 v30, v31, v34
	v_sub_f32_e32 v31, v48, v32
	v_mul_f32_e32 v31, 0x3fb8aa3b, v31
	v_sub_f32_e32 v33, v33, v32
	v_exp_f32_e32 v31, v31
	v_mul_f32_e32 v33, 0x3fb8aa3b, v33
	v_sub_f32_e32 v28, v28, v32
	v_exp_f32_e32 v33, v33
	;; [unrolled: 3-line block ×3, first 2 shown]
	v_mul_f32_e32 v29, 0x3fb8aa3b, v29
	v_sub_f32_e32 v22, v22, v32
	v_cndmask_b32_e64 v35, 0, v35, s[22:23]
	v_exp_f32_e32 v29, v29
	v_mul_f32_e32 v22, 0x3fb8aa3b, v22
	v_sub_f32_e32 v23, v23, v32
	v_add_f32_e32 v38, v30, v35
	v_cndmask_b32_e64 v30, 0, v31, s[16:17]
	v_exp_f32_e32 v22, v22
	v_mul_f32_e32 v23, 0x3fb8aa3b, v23
	v_sub_f32_e32 v20, v20, v32
	v_add_f32_e32 v38, v38, v30
	;; [unrolled: 5-line block ×3, first 2 shown]
	v_cndmask_b32_e64 v28, 0, v28, s[12:13]
	v_exp_f32_e32 v20, v20
	v_mul_f32_e32 v21, 0x3fb8aa3b, v21
	v_add_f32_e32 v33, v33, v28
	v_cndmask_b32_e64 v29, 0, v29, s[14:15]
	v_exp_f32_e32 v21, v21
	v_add_f32_e32 v33, v33, v29
	v_cndmask_b32_e64 v22, 0, v22, s[8:9]
	v_add_f32_e32 v33, v33, v22
	v_cndmask_b32_e64 v23, 0, v23, s[10:11]
	v_add_f32_e32 v33, v33, v23
	v_cndmask_b32_e32 v20, 0, v20, vcc
	v_add_f32_e32 v33, v33, v20
	v_cndmask_b32_e64 v21, 0, v21, s[6:7]
	v_add_f32_e32 v33, v33, v21
	ds_bpermute_b32 v38, v44, v33
	s_load_dword s7, s[0:1], 0x98
	v_cmp_gt_u32_e32 vcc, 16, v41
	s_waitcnt lgkmcnt(0)
	s_barrier
	v_add_f32_e32 v38, v33, v38
	ds_bpermute_b32 v39, v47, v38
	v_lshlrev_b32_e32 v33, 2, v43
	s_waitcnt lgkmcnt(0)
	s_and_saveexec_b64 s[4:5], vcc
	s_cbranch_execz .LBB1185_15
; %bb.14:
	v_add_f32_e32 v38, v38, v39
	v_lshl_or_b32 v39, v42, 6, v33
	ds_write2st64_b32 v39, v32, v38 offset1:1
.LBB1185_15:
	s_or_b64 exec, exec, s[4:5]
	s_load_dword s6, s[0:1], 0x94
	s_waitcnt lgkmcnt(0)
	s_barrier
	ds_read2_b32 v[38:39], v33 offset1:16
	ds_read2_b32 v[44:45], v33 offset0:32 offset1:48
	ds_read2_b32 v[46:47], v33 offset0:64 offset1:80
	s_movk_i32 s8, 0x7fff
	s_lshl_b32 s7, s7, 1
	s_waitcnt lgkmcnt(2)
	v_max3_f32 v32, v38, s46, v39
	s_waitcnt lgkmcnt(1)
	v_max3_f32 v32, v32, v44, v45
	v_sub_f32_e32 v38, v38, v32
	v_mul_f32_e32 v38, 0x3fb8aa3b, v38
	v_exp_f32_e32 v43, v38
	v_sub_f32_e32 v38, v39, v32
	v_mul_f32_e32 v38, 0x3fb8aa3b, v38
	v_exp_f32_e32 v48, v38
	;; [unrolled: 3-line block ×3, first 2 shown]
	ds_read2_b32 v[38:39], v33 offset0:96 offset1:112
	v_sub_f32_e32 v33, v45, v32
	v_mul_f32_e32 v33, 0x3fb8aa3b, v33
	v_exp_f32_e32 v45, v33
	s_waitcnt lgkmcnt(1)
	v_fma_f32 v33, v43, v46, 0
	v_fmac_f32_e32 v33, v48, v47
	s_waitcnt lgkmcnt(0)
	v_fmac_f32_e32 v33, v44, v38
	v_fmac_f32_e32 v33, v45, v39
	v_add_f32_e32 v38, 0x358637bd, v33
	v_div_scale_f32 v39, s[4:5], v38, v38, 1.0
	v_rcp_f32_e32 v46, v39
	s_barrier
	v_fma_f32 v47, -v39, v46, 1.0
	v_fmac_f32_e32 v46, v47, v46
	v_div_scale_f32 v47, vcc, 1.0, v38, 1.0
	v_mul_f32_e32 v49, v47, v46
	v_fma_f32 v50, -v39, v49, v47
	v_fmac_f32_e32 v49, v50, v46
	v_fma_f32 v39, -v39, v49, v47
	v_div_fmas_f32 v39, v39, v46, v49
	v_cmp_eq_u32_e32 vcc, 1, v42
	v_div_fixup_f32 v38, v39, v38, 1.0
	s_nop 0
	v_cndmask_b32_e32 v39, v43, v48, vcc
	v_cmp_eq_u32_e32 vcc, 2, v42
	s_nop 1
	v_cndmask_b32_e32 v39, v39, v44, vcc
	v_cmp_eq_u32_e32 vcc, 3, v42
	s_nop 1
	v_cndmask_b32_e32 v39, v39, v45, vcc
	v_mul_f32_e32 v38, v39, v38
	v_pk_mul_f32 v[18:19], v[38:39], v[18:19] op_sel_hi:[0,1]
	v_pk_mul_f32 v[36:37], v[38:39], v[36:37] op_sel_hi:[0,1]
	v_bfe_u32 v39, v19, 16, 1
	v_bfe_u32 v43, v18, 16, 1
	v_add3_u32 v18, v18, v43, s8
	v_add3_u32 v19, v19, v39, s8
	v_perm_b32 v44, v19, v18, s44
	v_bfe_u32 v18, v37, 16, 1
	v_bfe_u32 v19, v36, 16, 1
	v_add3_u32 v19, v36, v19, s8
	v_add3_u32 v18, v37, v18, s8
	v_perm_b32 v45, v18, v19, s44
	v_lshlrev_b32_e32 v18, 3, v1
	v_lshlrev_b32_e32 v19, 11, v42
	v_pk_mul_f32 v[24:25], v[38:39], v[24:25] op_sel_hi:[0,1]
	v_or3_b32 v18, v19, v27, v18
	v_bfe_u32 v19, v25, 16, 1
	v_bfe_u32 v36, v24, 16, 1
	v_pk_mul_f32 v[34:35], v[38:39], v[34:35] op_sel_hi:[0,1]
	v_add3_u32 v24, v24, v36, s8
	v_add3_u32 v19, v25, v19, s8
	v_perm_b32 v24, v19, v24, s44
	v_bfe_u32 v19, v35, 16, 1
	v_bfe_u32 v25, v34, 16, 1
	v_add3_u32 v25, v34, v25, s8
	v_add3_u32 v19, v35, v19, s8
	v_perm_b32 v25, v19, v25, s44
	ds_write2st64_b64 v18, v[44:45], v[24:25] offset1:1
	v_pk_mul_f32 v[24:25], v[38:39], v[28:29] op_sel_hi:[0,1]
	v_pk_mul_f32 v[28:29], v[38:39], v[30:31] op_sel_hi:[0,1]
	v_bfe_u32 v19, v29, 16, 1
	v_bfe_u32 v30, v28, 16, 1
	v_add3_u32 v28, v28, v30, s8
	v_add3_u32 v19, v29, v19, s8
	v_perm_b32 v28, v19, v28, s44
	v_bfe_u32 v19, v25, 16, 1
	v_bfe_u32 v29, v24, 16, 1
	v_add3_u32 v24, v24, v29, s8
	v_add3_u32 v19, v25, v19, s8
	v_pk_mul_f32 v[22:23], v[38:39], v[22:23] op_sel_hi:[0,1]
	v_perm_b32 v29, v19, v24, s44
	v_bfe_u32 v19, v23, 16, 1
	v_bfe_u32 v24, v22, 16, 1
	v_pk_mul_f32 v[20:21], v[38:39], v[20:21] op_sel_hi:[0,1]
	v_add3_u32 v22, v22, v24, s8
	v_add3_u32 v19, v23, v19, s8
	v_perm_b32 v22, v19, v22, s44
	v_bfe_u32 v19, v21, 16, 1
	v_bfe_u32 v23, v20, 16, 1
	v_add3_u32 v20, v20, v23, s8
	v_add3_u32 v19, v21, v19, s8
	v_perm_b32 v23, v19, v20, s44
	v_cmp_gt_u32_e32 vcc, 2, v0
	ds_write2st64_b64 v18, v[28:29], v[22:23] offset0:2 offset1:3
	s_and_saveexec_b64 s[4:5], vcc
	s_cbranch_execz .LBB1185_17
; %bb.16:
	v_or_b32_e32 v20, s29, v0
	v_mov_b32_e32 v21, 0
	v_mov_b32_e32 v19, s7
	v_mad_u64_u32 v[22:23], s[10:11], s2, v19, v[20:21]
	v_mov_b32_e32 v20, s28
	s_load_dwordx4 s[12:15], s[0:1], 0x58
	s_mul_i32 s3, s3, s7
	v_mad_u64_u32 v[20:21], s[10:11], v22, s6, v[20:21]
	v_add_u32_e32 v19, s3, v23
	v_mov_b32_e32 v22, v21
	v_mad_u64_u32 v[22:23], s[10:11], v19, s6, v[22:23]
	v_mov_b32_e32 v21, v22
	v_lshlrev_b64 v[20:21], 2, v[20:21]
	s_waitcnt lgkmcnt(0)
	v_lshl_add_u64 v[22:23], s[14:15], 0, v[20:21]
	v_lshl_add_u64 v[20:21], s[12:13], 0, v[20:21]
	global_store_dword v[22:23], v32, off
	global_store_dword v[20:21], v33, off
.LBB1185_17:
	s_or_b64 exec, exec, s[4:5]
	s_waitcnt vmcnt(3)
	v_cvt_pk_f32_fp8_e32 v[20:21], v14
	v_cvt_pk_f32_fp8_sdwa v[22:23], v14 src0_sel:WORD_1
	s_mov_b32 s4, 0x7060302
	v_lshl_or_b32 v14, v1, 9, v27
	s_waitcnt lgkmcnt(0)
	s_barrier
	v_perm_b32 v24, v21, v20, s4
	v_perm_b32 v25, v23, v22, s4
	v_cvt_pk_f32_fp8_e32 v[28:29], v15
	ds_read_b128 v[20:23], v14
	v_cvt_pk_f32_fp8_sdwa v[36:37], v15 src0_sel:WORD_1
	s_load_dword s10, s[42:43], 0x0
	v_perm_b32 v38, v29, v28, s4
	ds_read_b128 v[28:31], v14 offset:16
	v_perm_b32 v39, v37, v36, s4
	s_waitcnt lgkmcnt(0)
	v_mfma_f32_16x16x16_bf16 v[32:35], v[24:25], v[20:21], 0
	v_cvt_pk_f32_fp8_e32 v[24:25], v16
	v_cvt_pk_f32_fp8_sdwa v[36:37], v16 src0_sel:WORD_1
	v_cmp_gt_u32_e32 vcc, 64, v0
	v_mfma_f32_16x16x16_bf16 v[20:23], v[38:39], v[22:23], v[32:35]
	v_perm_b32 v24, v25, v24, s4
	v_perm_b32 v25, v37, v36, s4
	s_mov_b32 s3, 0
	v_cvt_pk_f32_fp8_e32 v[32:33], v17
	v_cvt_pk_f32_fp8_sdwa v[16:17], v17 src0_sel:WORD_1
	s_waitcnt vmcnt(2)
	v_cvt_pk_f32_fp8_sdwa v[34:35], v10 src0_sel:WORD_1
	v_mfma_f32_16x16x16_bf16 v[20:23], v[24:25], v[28:29], v[20:23]
	v_perm_b32 v36, v33, v32, s4
	v_cvt_pk_f32_fp8_e32 v[32:33], v10
	v_perm_b32 v37, v17, v16, s4
	v_perm_b32 v17, v35, v34, s4
	v_cvt_pk_f32_fp8_e32 v[24:25], v11
	v_perm_b32 v16, v33, v32, s4
	ds_read_b128 v[32:35], v14 offset:2048
	v_cvt_pk_f32_fp8_sdwa v[10:11], v11 src0_sel:WORD_1
	v_mfma_f32_16x16x16_bf16 v[20:23], v[36:37], v[30:31], v[20:23]
	ds_read_b128 v[28:31], v14 offset:2064
	v_perm_b32 v24, v25, v24, s4
	v_perm_b32 v25, v11, v10, s4
	s_waitcnt lgkmcnt(1)
	v_mfma_f32_16x16x16_bf16 v[20:23], v[16:17], v[32:33], v[20:23]
	v_cvt_pk_f32_fp8_e32 v[10:11], v12
	v_cvt_pk_f32_fp8_sdwa v[16:17], v12 src0_sel:WORD_1
	s_waitcnt vmcnt(1)
	v_cvt_pk_f32_fp8_sdwa v[32:33], v6 src0_sel:WORD_1
	v_mfma_f32_16x16x16_bf16 v[20:23], v[24:25], v[34:35], v[20:23]
	v_cvt_pk_f32_fp8_e32 v[24:25], v13
	v_perm_b32 v10, v11, v10, s4
	v_perm_b32 v11, v17, v16, s4
	v_cvt_pk_f32_fp8_sdwa v[12:13], v13 src0_sel:WORD_1
	v_perm_b32 v16, v25, v24, s4
	v_cvt_pk_f32_fp8_e32 v[24:25], v6
	v_mov_b32_e32 v27, 0
	v_perm_b32 v17, v13, v12, s4
	s_waitcnt lgkmcnt(0)
	v_mfma_f32_16x16x16_bf16 v[10:13], v[10:11], v[28:29], v[20:23]
	v_perm_b32 v24, v25, v24, s4
	v_perm_b32 v25, v33, v32, s4
	v_cvt_pk_f32_fp8_e32 v[28:29], v7
	ds_read_b128 v[20:23], v14 offset:4096
	v_cvt_pk_f32_fp8_sdwa v[6:7], v7 src0_sel:WORD_1
	v_mfma_f32_16x16x16_bf16 v[10:13], v[16:17], v[30:31], v[10:13]
	v_perm_b32 v16, v29, v28, s4
	ds_read_b128 v[28:31], v14 offset:4112
	v_perm_b32 v17, v7, v6, s4
	s_waitcnt lgkmcnt(1)
	v_mfma_f32_16x16x16_bf16 v[10:13], v[24:25], v[20:21], v[10:13]
	v_cvt_pk_f32_fp8_e32 v[6:7], v8
	v_cvt_pk_f32_fp8_sdwa v[20:21], v8 src0_sel:WORD_1
	v_perm_b32 v6, v7, v6, s4
	v_mfma_f32_16x16x16_bf16 v[10:13], v[16:17], v[22:23], v[10:13]
	v_cvt_pk_f32_fp8_e32 v[16:17], v9
	v_perm_b32 v7, v21, v20, s4
	v_cvt_pk_f32_fp8_sdwa v[8:9], v9 src0_sel:WORD_1
	s_waitcnt vmcnt(0)
	v_cvt_pk_f32_fp8_e32 v[20:21], v2
	v_perm_b32 v16, v17, v16, s4
	v_cvt_pk_f32_fp8_sdwa v[22:23], v2 src0_sel:WORD_1
	v_perm_b32 v17, v9, v8, s4
	s_waitcnt lgkmcnt(0)
	v_mfma_f32_16x16x16_bf16 v[6:9], v[6:7], v[28:29], v[10:13]
	v_perm_b32 v20, v21, v20, s4
	v_perm_b32 v21, v23, v22, s4
	v_cvt_pk_f32_fp8_e32 v[22:23], v3
	ds_read_b128 v[10:13], v14 offset:6144
	v_cvt_pk_f32_fp8_sdwa v[2:3], v3 src0_sel:WORD_1
	v_mfma_f32_16x16x16_bf16 v[6:9], v[16:17], v[30:31], v[6:9]
	v_perm_b32 v22, v23, v22, s4
	ds_read_b128 v[14:17], v14 offset:6160
	v_perm_b32 v23, v3, v2, s4
	s_waitcnt lgkmcnt(1)
	v_mfma_f32_16x16x16_bf16 v[6:9], v[20:21], v[10:11], v[6:9]
	v_cvt_pk_f32_fp8_e32 v[2:3], v4
	v_cvt_pk_f32_fp8_sdwa v[10:11], v4 src0_sel:WORD_1
	s_waitcnt lgkmcnt(0)
	v_mfma_f32_16x16x16_bf16 v[6:9], v[22:23], v[12:13], v[6:9]
	v_perm_b32 v2, v3, v2, s4
	v_perm_b32 v3, v11, v10, s4
	v_cvt_pk_f32_fp8_e32 v[10:11], v5
	v_cvt_pk_f32_fp8_sdwa v[4:5], v5 src0_sel:WORD_1
	s_barrier
	v_perm_b32 v10, v11, v10, s4
	v_perm_b32 v11, v5, v4, s4
	v_mfma_f32_16x16x16_bf16 v[2:5], v[2:3], v[14:15], v[6:9]
	s_nop 0
	v_mfma_f32_16x16x16_bf16 v[2:5], v[10:11], v[16:17], v[2:5]
	s_nop 6
	v_pk_mul_f32 v[2:3], v[2:3], s[10:11] op_sel_hi:[1,0]
	v_pk_mul_f32 v[4:5], v[4:5], s[10:11] op_sel_hi:[1,0]
	v_bfe_u32 v6, v3, 16, 1
	v_bfe_u32 v7, v2, 16, 1
	v_add3_u32 v2, v2, v7, s8
	v_add3_u32 v3, v3, v6, s8
	v_perm_b32 v2, v3, v2, s4
	v_bfe_u32 v3, v5, 16, 1
	v_bfe_u32 v6, v4, 16, 1
	v_add3_u32 v4, v4, v6, s8
	v_add3_u32 v3, v5, v3, s8
	v_perm_b32 v3, v3, v4, s4
	v_cmp_gt_u32_e64 s[4:5], 32, v41
	s_and_b64 s[4:5], s[4:5], vcc
	s_and_b64 s[4:5], s[4:5], s[30:31]
	ds_write_b64 v18, v[2:3]
	s_waitcnt lgkmcnt(0)
	s_barrier
	s_and_saveexec_b64 s[8:9], s[4:5]
	s_cbranch_execz .LBB1185_19
; %bb.18:
	s_load_dwordx2 s[0:1], s[0:1], 0x68
	s_mul_i32 s2, s7, s2
	s_lshl_b32 s6, s6, 6
	s_mul_hi_u32 s5, s2, s6
	s_mul_i32 s4, s2, s6
	v_lshlrev_b32_e32 v0, 10, v0
	s_lshl_b64 s[4:5], s[4:5], 1
	v_and_b32_e32 v0, 0x1800, v0
	v_lshlrev_b32_e32 v2, 5, v1
	v_and_b32_e32 v3, 16, v40
	s_waitcnt lgkmcnt(0)
	s_add_u32 s4, s0, s4
	v_or3_b32 v0, v0, v2, v3
	s_addc_u32 s5, s1, s5
	s_lshl_b32 s2, s28, 6
	ds_read_b128 v[2:5], v0
	s_lshl_b64 s[0:1], s[2:3], 1
	s_add_u32 s0, s4, s0
	v_or_b32_e32 v0, s29, v1
	s_addc_u32 s1, s5, s1
	v_mad_u64_u32 v[0:1], s[2:3], s6, v0, 0
	v_lshl_add_u64 v[0:1], v[0:1], 1, s[0:1]
	v_lshl_add_u64 v[0:1], v[0:1], 0, v[26:27]
	s_waitcnt lgkmcnt(0)
	global_store_dwordx4 v[0:1], v[2:5], off
.LBB1185_19:
	s_endpgm
	.section	.rodata,"a",@progbits
	.p2align	6, 0x0
	.amdhsa_kernel _Z39paged_attention_ll4mi_QKV_mfma16_kernelI14__hip_bfloat16hLN4vllm18Fp8KVCacheDataTypeE1EhLi32ELi64ELi256ELb1ELi2EEvPKT_PKT0_S8_ifPKiSA_SA_iPKfiiiPfSD_PS3_PT2_iSC_SC_
		.amdhsa_group_segment_fixed_size 8192
		.amdhsa_private_segment_fixed_size 0
		.amdhsa_kernarg_size 400
		.amdhsa_user_sgpr_count 2
		.amdhsa_user_sgpr_dispatch_ptr 0
		.amdhsa_user_sgpr_queue_ptr 0
		.amdhsa_user_sgpr_kernarg_segment_ptr 1
		.amdhsa_user_sgpr_dispatch_id 0
		.amdhsa_user_sgpr_kernarg_preload_length 0
		.amdhsa_user_sgpr_kernarg_preload_offset 0
		.amdhsa_user_sgpr_private_segment_size 0
		.amdhsa_uses_dynamic_stack 0
		.amdhsa_enable_private_segment 0
		.amdhsa_system_sgpr_workgroup_id_x 1
		.amdhsa_system_sgpr_workgroup_id_y 1
		.amdhsa_system_sgpr_workgroup_id_z 1
		.amdhsa_system_sgpr_workgroup_info 0
		.amdhsa_system_vgpr_workitem_id 0
		.amdhsa_next_free_vgpr 73
		.amdhsa_next_free_sgpr 48
		.amdhsa_accum_offset 76
		.amdhsa_reserve_vcc 1
		.amdhsa_float_round_mode_32 0
		.amdhsa_float_round_mode_16_64 0
		.amdhsa_float_denorm_mode_32 3
		.amdhsa_float_denorm_mode_16_64 3
		.amdhsa_dx10_clamp 1
		.amdhsa_ieee_mode 1
		.amdhsa_fp16_overflow 0
		.amdhsa_tg_split 0
		.amdhsa_exception_fp_ieee_invalid_op 0
		.amdhsa_exception_fp_denorm_src 0
		.amdhsa_exception_fp_ieee_div_zero 0
		.amdhsa_exception_fp_ieee_overflow 0
		.amdhsa_exception_fp_ieee_underflow 0
		.amdhsa_exception_fp_ieee_inexact 0
		.amdhsa_exception_int_div_zero 0
	.end_amdhsa_kernel
	.section	.text._Z39paged_attention_ll4mi_QKV_mfma16_kernelI14__hip_bfloat16hLN4vllm18Fp8KVCacheDataTypeE1EhLi32ELi64ELi256ELb1ELi2EEvPKT_PKT0_S8_ifPKiSA_SA_iPKfiiiPfSD_PS3_PT2_iSC_SC_,"axG",@progbits,_Z39paged_attention_ll4mi_QKV_mfma16_kernelI14__hip_bfloat16hLN4vllm18Fp8KVCacheDataTypeE1EhLi32ELi64ELi256ELb1ELi2EEvPKT_PKT0_S8_ifPKiSA_SA_iPKfiiiPfSD_PS3_PT2_iSC_SC_,comdat
.Lfunc_end1185:
	.size	_Z39paged_attention_ll4mi_QKV_mfma16_kernelI14__hip_bfloat16hLN4vllm18Fp8KVCacheDataTypeE1EhLi32ELi64ELi256ELb1ELi2EEvPKT_PKT0_S8_ifPKiSA_SA_iPKfiiiPfSD_PS3_PT2_iSC_SC_, .Lfunc_end1185-_Z39paged_attention_ll4mi_QKV_mfma16_kernelI14__hip_bfloat16hLN4vllm18Fp8KVCacheDataTypeE1EhLi32ELi64ELi256ELb1ELi2EEvPKT_PKT0_S8_ifPKiSA_SA_iPKfiiiPfSD_PS3_PT2_iSC_SC_
                                        ; -- End function
	.section	.AMDGPU.csdata,"",@progbits
; Kernel info:
; codeLenInByte = 5124
; NumSgprs: 54
; NumVgprs: 73
; NumAgprs: 0
; TotalNumVgprs: 73
; ScratchSize: 0
; MemoryBound: 0
; FloatMode: 240
; IeeeMode: 1
; LDSByteSize: 8192 bytes/workgroup (compile time only)
; SGPRBlocks: 6
; VGPRBlocks: 9
; NumSGPRsForWavesPerEU: 54
; NumVGPRsForWavesPerEU: 73
; AccumOffset: 76
; Occupancy: 6
; WaveLimiterHint : 1
; COMPUTE_PGM_RSRC2:SCRATCH_EN: 0
; COMPUTE_PGM_RSRC2:USER_SGPR: 2
; COMPUTE_PGM_RSRC2:TRAP_HANDLER: 0
; COMPUTE_PGM_RSRC2:TGID_X_EN: 1
; COMPUTE_PGM_RSRC2:TGID_Y_EN: 1
; COMPUTE_PGM_RSRC2:TGID_Z_EN: 1
; COMPUTE_PGM_RSRC2:TIDIG_COMP_CNT: 0
; COMPUTE_PGM_RSRC3_GFX90A:ACCUM_OFFSET: 18
; COMPUTE_PGM_RSRC3_GFX90A:TG_SPLIT: 0
	.section	.text._Z39paged_attention_ll4mi_QKV_mfma16_kernelI14__hip_bfloat16hLN4vllm18Fp8KVCacheDataTypeE1EhLi32ELi64ELi256ELb1ELi3EEvPKT_PKT0_S8_ifPKiSA_SA_iPKfiiiPfSD_PS3_PT2_iSC_SC_,"axG",@progbits,_Z39paged_attention_ll4mi_QKV_mfma16_kernelI14__hip_bfloat16hLN4vllm18Fp8KVCacheDataTypeE1EhLi32ELi64ELi256ELb1ELi3EEvPKT_PKT0_S8_ifPKiSA_SA_iPKfiiiPfSD_PS3_PT2_iSC_SC_,comdat
	.protected	_Z39paged_attention_ll4mi_QKV_mfma16_kernelI14__hip_bfloat16hLN4vllm18Fp8KVCacheDataTypeE1EhLi32ELi64ELi256ELb1ELi3EEvPKT_PKT0_S8_ifPKiSA_SA_iPKfiiiPfSD_PS3_PT2_iSC_SC_ ; -- Begin function _Z39paged_attention_ll4mi_QKV_mfma16_kernelI14__hip_bfloat16hLN4vllm18Fp8KVCacheDataTypeE1EhLi32ELi64ELi256ELb1ELi3EEvPKT_PKT0_S8_ifPKiSA_SA_iPKfiiiPfSD_PS3_PT2_iSC_SC_
	.globl	_Z39paged_attention_ll4mi_QKV_mfma16_kernelI14__hip_bfloat16hLN4vllm18Fp8KVCacheDataTypeE1EhLi32ELi64ELi256ELb1ELi3EEvPKT_PKT0_S8_ifPKiSA_SA_iPKfiiiPfSD_PS3_PT2_iSC_SC_
	.p2align	8
	.type	_Z39paged_attention_ll4mi_QKV_mfma16_kernelI14__hip_bfloat16hLN4vllm18Fp8KVCacheDataTypeE1EhLi32ELi64ELi256ELb1ELi3EEvPKT_PKT0_S8_ifPKiSA_SA_iPKfiiiPfSD_PS3_PT2_iSC_SC_,@function
_Z39paged_attention_ll4mi_QKV_mfma16_kernelI14__hip_bfloat16hLN4vllm18Fp8KVCacheDataTypeE1EhLi32ELi64ELi256ELb1ELi3EEvPKT_PKT0_S8_ifPKiSA_SA_iPKfiiiPfSD_PS3_PT2_iSC_SC_: ; @_Z39paged_attention_ll4mi_QKV_mfma16_kernelI14__hip_bfloat16hLN4vllm18Fp8KVCacheDataTypeE1EhLi32ELi64ELi256ELb1ELi3EEvPKT_PKT0_S8_ifPKiSA_SA_iPKfiiiPfSD_PS3_PT2_iSC_SC_
; %bb.0:
	s_load_dwordx2 s[6:7], s[0:1], 0x30
	s_mov_b32 s28, s3
	s_mov_b64 s[8:9], 0
	s_waitcnt lgkmcnt(0)
	s_cmp_lg_u64 s[6:7], 0
	s_cselect_b64 s[10:11], -1, 0
	s_and_b64 vcc, exec, s[10:11]
	s_cbranch_vccz .LBB1186_7
; %bb.1:
	s_add_i32 s12, s2, 1
	s_mov_b32 s13, 0
	s_lshl_b64 s[14:15], s[12:13], 2
	s_add_u32 s14, s6, s14
	s_mov_b32 s3, s13
	s_addc_u32 s15, s7, s15
	s_lshl_b64 s[12:13], s[2:3], 2
	s_add_u32 s12, s6, s12
	s_addc_u32 s13, s7, s13
	s_load_dword s5, s[14:15], 0x0
	s_load_dword s16, s[12:13], 0x0
	s_waitcnt lgkmcnt(0)
	s_sub_i32 s5, s5, s16
	s_cmp_eq_u32 s5, 1
	s_cselect_b64 s[12:13], -1, 0
	s_andn2_b64 vcc, exec, s[8:9]
	s_cbranch_vccnz .LBB1186_3
.LBB1186_2:
	s_mov_b32 s3, 0
	s_mov_b64 s[12:13], -1
.LBB1186_3:
	s_andn2_b64 vcc, exec, s[12:13]
	s_cbranch_vccnz .LBB1186_19
; %bb.4:
	s_load_dwordx2 s[8:9], s[0:1], 0x28
	s_lshl_b64 s[12:13], s[2:3], 2
	s_waitcnt lgkmcnt(0)
	s_add_u32 s8, s8, s12
	s_addc_u32 s9, s9, s13
	s_load_dword s29, s[8:9], 0x0
	s_lshl_b32 s16, s28, 8
	s_waitcnt lgkmcnt(0)
	s_cmp_ge_i32 s16, s29
	s_cbranch_scc1 .LBB1186_19
; %bb.5:
	s_load_dwordx2 s[8:9], s[0:1], 0x20
	s_load_dword s5, s[0:1], 0x38
	s_add_i32 s14, s29, 31
	s_ashr_i32 s15, s14, 31
	v_and_b32_e32 v1, 0xcf, v0
	s_lshr_b32 s15, s15, 27
	v_add_u32_e32 v1, s16, v1
	s_add_i32 s14, s14, s15
	v_ashrrev_i32_e32 v2, 31, v1
	s_ashr_i32 s17, s14, 5
	v_lshrrev_b32_e32 v4, 27, v2
	s_add_i32 s17, s17, -1
	s_waitcnt lgkmcnt(0)
	s_mul_i32 s14, s2, s5
	s_mov_b32 s15, 0
	v_add_u32_e32 v2, v1, v4
	s_lshl_b64 s[14:15], s[14:15], 2
	v_ashrrev_i32_e32 v2, 5, v2
	v_mov_b32_e32 v5, s17
	v_cmp_gt_i32_e32 vcc, s29, v1
	s_add_u32 s8, s8, s14
	s_addc_u32 s9, s9, s15
	v_cndmask_b32_e32 v2, v5, v2, vcc
	v_ashrrev_i32_e32 v3, 31, v2
	v_lshl_add_u64 v[6:7], v[2:3], 2, s[8:9]
	v_or_b32_e32 v2, 16, v1
	v_add_u32_e32 v3, v2, v4
	v_ashrrev_i32_e32 v3, 5, v3
	v_cmp_gt_i32_e32 vcc, s29, v2
	s_load_dwordx2 s[14:15], s[0:1], 0x8
	s_nop 0
	v_cndmask_b32_e32 v2, v5, v3, vcc
	v_ashrrev_i32_e32 v3, 31, v2
	v_lshl_add_u64 v[8:9], v[2:3], 2, s[8:9]
	v_or_b32_e32 v2, 32, v1
	v_add_u32_e32 v3, v2, v4
	v_ashrrev_i32_e32 v3, 5, v3
	v_cmp_gt_i32_e32 vcc, s29, v2
	v_or_b32_e32 v1, 48, v1
	s_nop 0
	v_cndmask_b32_e32 v2, v5, v3, vcc
	v_ashrrev_i32_e32 v3, 31, v2
	v_lshl_add_u64 v[10:11], v[2:3], 2, s[8:9]
	v_add_u32_e32 v2, v1, v4
	v_ashrrev_i32_e32 v2, 5, v2
	v_cmp_gt_i32_e32 vcc, s29, v1
	s_nop 1
	v_cndmask_b32_e32 v2, v5, v2, vcc
	v_ashrrev_i32_e32 v3, 31, v2
	v_lshl_add_u64 v[12:13], v[2:3], 2, s[8:9]
	global_load_dword v5, v[6:7], off
	global_load_dword v4, v[8:9], off
	;; [unrolled: 1-line block ×4, first 2 shown]
	s_andn2_b64 vcc, exec, s[10:11]
	s_cbranch_vccnz .LBB1186_8
; %bb.6:
	s_add_u32 s6, s6, s12
	s_addc_u32 s7, s7, s13
	s_load_dword s5, s[6:7], 0x0
	s_branch .LBB1186_9
.LBB1186_7:
	s_mov_b64 s[12:13], 0
	s_branch .LBB1186_2
.LBB1186_8:
	s_mov_b32 s5, s2
.LBB1186_9:
	s_load_dwordx2 s[10:11], s[0:1], 0x10
	s_load_dwordx4 s[44:47], s[0:1], 0x48
	v_lshrrev_b32_e32 v29, 6, v0
	v_bfe_u32 v42, v0, 4, 2
	v_lshl_or_b32 v6, v29, 2, v42
	v_and_b32_e32 v28, 15, v0
	s_mul_i32 s48, s4, 3
	v_lshlrev_b32_e32 v7, 3, v28
	v_cmp_gt_u32_e32 vcc, 3, v6
	v_cmp_gt_u32_e64 s[30:31], 8, v28
	v_add_u32_e32 v1, s48, v42
	s_and_b64 s[12:13], s[30:31], vcc
	v_lshlrev_b32_e32 v26, 1, v7
	v_lshlrev_b32_e32 v43, 4, v0
	s_and_saveexec_b64 s[6:7], s[12:13]
	s_cbranch_execz .LBB1186_11
; %bb.10:
	s_load_dwordx2 s[12:13], s[0:1], 0x0
	s_waitcnt lgkmcnt(0)
	s_ashr_i32 s18, s44, 31
	s_mul_hi_u32 s19, s5, s44
	s_mul_i32 s18, s5, s18
	s_add_i32 s19, s19, s18
	s_mul_i32 s18, s5, s44
	s_lshl_b64 s[18:19], s[18:19], 1
	s_add_u32 s12, s12, s18
	v_lshlrev_b32_e32 v8, 6, v1
	s_addc_u32 s13, s13, s19
	v_ashrrev_i32_e32 v9, 31, v8
	v_lshl_add_u64 v[8:9], v[8:9], 1, s[12:13]
	v_mov_b32_e32 v27, 0
	v_lshl_add_u64 v[8:9], v[8:9], 0, v[26:27]
	global_load_dwordx4 v[8:11], v[8:9], off
	v_lshlrev_b32_e32 v12, 8, v28
	v_lshlrev_b32_e32 v6, 5, v6
	v_and_b32_e32 v7, 16, v43
	v_and_b32_e32 v12, 0xe00, v12
	v_or3_b32 v6, v12, v6, v7
	s_waitcnt vmcnt(0)
	ds_write_b128 v6, v[8:11]
.LBB1186_11:
	s_or_b64 exec, exec, s[6:7]
	s_waitcnt lgkmcnt(0)
	s_mul_i32 s12, s4, s46
	s_add_u32 s4, s14, s12
	s_addc_u32 s5, s15, 0
	v_mov_b32_e32 v31, 0
	v_mov_b64_e32 v[6:7], s[4:5]
	v_lshlrev_b32_e32 v10, 4, v28
	v_and_b32_e32 v27, 48, v0
	s_waitcnt vmcnt(3)
	v_mad_i64_i32 v[8:9], s[4:5], v5, s45, v[6:7]
	v_mov_b32_e32 v11, v31
	s_waitcnt vmcnt(2)
	v_mad_i64_i32 v[4:5], s[4:5], v4, s45, v[6:7]
	v_or_b32_e32 v12, 0x100, v10
	v_mov_b32_e32 v13, v31
	v_lshlrev_b32_e32 v30, 5, v27
	v_lshl_add_u64 v[8:9], v[8:9], 0, v[10:11]
	v_lshl_add_u64 v[4:5], v[4:5], 0, v[12:13]
	;; [unrolled: 1-line block ×4, first 2 shown]
	s_barrier
	global_load_dwordx4 v[22:25], v[8:9], off
	global_load_dwordx4 v[18:21], v[4:5], off
	s_waitcnt vmcnt(3)
	v_mad_i64_i32 v[4:5], s[4:5], v3, s45, v[6:7]
	v_lshl_add_u64 v[4:5], v[4:5], 0, v[10:11]
	s_waitcnt vmcnt(2)
	v_mad_i64_i32 v[2:3], s[4:5], v2, s45, v[6:7]
	v_lshl_add_u64 v[4:5], v[4:5], 0, v[30:31]
	v_lshl_add_u64 v[2:3], v[2:3], 0, v[12:13]
	;; [unrolled: 1-line block ×3, first 2 shown]
	global_load_dwordx4 v[14:17], v[4:5], off
	global_load_dwordx4 v[6:9], v[2:3], off
	v_mul_lo_u16_e32 v2, 0x56, v28
	v_mov_b32_e32 v3, 3
	v_mul_lo_u16_sdwa v2, v2, v3 dst_sel:DWORD dst_unused:UNUSED_PAD src0_sel:BYTE_1 src1_sel:DWORD
	v_sub_u16_e32 v2, v28, v2
	v_mov_b32_e32 v3, 5
	v_lshlrev_b32_sdwa v2, v3, v2 dst_sel:DWORD dst_unused:UNUSED_PAD src0_sel:DWORD src1_sel:BYTE_0
	v_lshl_add_u32 v2, v42, 9, v2
	ds_read_b128 v[10:13], v2
	ds_read_b128 v[2:5], v2 offset:16
	v_and_b32_e32 v44, 63, v0
	v_cmp_gt_u32_e32 vcc, 3, v28
	v_mov_b32_e32 v45, 0
	s_and_saveexec_b64 s[4:5], vcc
	s_cbranch_execz .LBB1186_13
; %bb.12:
	s_load_dwordx2 s[6:7], s[0:1], 0x40
	v_add_u32_e32 v32, s48, v28
	v_ashrrev_i32_e32 v33, 31, v32
	s_waitcnt lgkmcnt(0)
	v_lshl_add_u64 v[32:33], v[32:33], 2, s[6:7]
	global_load_dword v45, v[32:33], off
.LBB1186_13:
	s_or_b64 exec, exec, s[4:5]
	s_ashr_i32 s4, s16, 31
	v_or_b32_e32 v64, s16, v27
	s_lshr_b32 s13, s4, 27
	v_add_u32_e32 v27, s13, v64
	v_ashrrev_i32_e32 v27, 5, v27
	s_waitcnt vmcnt(3)
	v_cvt_pk_f32_fp8_e32 v[34:35], v22
	v_cvt_pk_f32_fp8_sdwa v[36:37], v22 src0_sel:WORD_1
	s_waitcnt vmcnt(2)
	v_cvt_pk_f32_fp8_e32 v[56:57], v20
	v_cvt_pk_f32_fp8_sdwa v[58:59], v20 src0_sel:WORD_1
	v_mov_b32_e32 v20, s17
	v_cmp_gt_i32_e32 vcc, s29, v64
	v_cvt_pk_f32_fp8_e32 v[32:33], v23
	v_cvt_pk_f32_fp8_sdwa v[22:23], v23 src0_sel:WORD_1
	v_cvt_pk_f32_fp8_e32 v[48:49], v18
	v_cvt_pk_f32_fp8_sdwa v[50:51], v18 src0_sel:WORD_1
	v_cndmask_b32_e32 v18, v20, v27, vcc
	v_cvt_pk_f32_fp8_e32 v[52:53], v19
	v_cvt_pk_f32_fp8_sdwa v[54:55], v19 src0_sel:WORD_1
	v_ashrrev_i32_e32 v19, 31, v18
	v_lshl_add_u64 v[18:19], v[18:19], 2, s[8:9]
	s_mov_b32 s33, 0x7060302
	global_load_dword v70, v[18:19], off
	v_perm_b32 v18, v35, v34, s33
	v_perm_b32 v19, v37, v36, s33
	v_cvt_pk_f32_fp8_e32 v[46:47], v25
	v_perm_b32 v32, v33, v32, s33
	v_perm_b32 v33, v23, v22, s33
	;; [unrolled: 1-line block ×4, first 2 shown]
	v_cvt_pk_f32_fp8_e32 v[38:39], v24
	v_cvt_pk_f32_fp8_sdwa v[40:41], v24 src0_sel:WORD_1
	v_cvt_pk_f32_fp8_sdwa v[24:25], v25 src0_sel:WORD_1
	v_cvt_pk_f32_fp8_e32 v[60:61], v21
	v_cvt_pk_f32_fp8_sdwa v[62:63], v21 src0_sel:WORD_1
	v_or_b32_e32 v21, 64, v64
	v_or_b32_e32 v34, 0x80, v64
	v_or_b32_e32 v35, 0xc0, v64
	v_cmp_gt_i32_e32 vcc, s29, v21
	v_add_u32_e32 v21, s13, v21
	v_cmp_gt_i32_e64 s[4:5], s29, v34
	v_add_u32_e32 v34, s13, v34
	v_cmp_gt_i32_e64 s[6:7], s29, v35
	v_add_u32_e32 v35, s13, v35
	v_ashrrev_i32_e32 v21, 5, v21
	v_ashrrev_i32_e32 v34, 5, v34
	;; [unrolled: 1-line block ×3, first 2 shown]
	v_cndmask_b32_e32 v36, v20, v21, vcc
	v_cndmask_b32_e64 v64, v20, v34, s[4:5]
	v_cndmask_b32_e64 v66, v20, v35, s[6:7]
	v_perm_b32 v68, v47, v46, s33
	s_waitcnt lgkmcnt(1)
	v_mfma_f32_16x16x16_bf16 v[18:21], v[18:19], v[10:11], 0
	v_perm_b32 v46, v53, v52, s33
	v_perm_b32 v47, v55, v54, s33
	;; [unrolled: 1-line block ×3, first 2 shown]
	v_mfma_f32_16x16x16_bf16 v[22:25], v[22:23], v[10:11], 0
	v_perm_b32 v38, v39, v38, s33
	v_perm_b32 v39, v41, v40, s33
	s_load_dword s14, s[0:1], 0x1c
	s_load_dwordx4 s[40:43], s[0:1], 0x80
	v_perm_b32 v48, v57, v56, s33
	v_perm_b32 v49, v59, v58, s33
	v_mfma_f32_16x16x16_bf16 v[32:35], v[32:33], v[12:13], v[18:21]
	s_add_u32 s10, s10, s12
	v_and_b32_e32 v30, 16, v0
	v_lshlrev_b32_e32 v27, 5, v28
	v_mfma_f32_16x16x16_bf16 v[20:23], v[46:47], v[12:13], v[22:25]
	s_addc_u32 s11, s11, 0
	v_lshl_add_u64 v[40:41], s[10:11], 0, v[30:31]
	v_lshl_or_b32 v30, v29, 9, v27
	v_ashrrev_i32_e32 v37, 31, v36
	v_ashrrev_i32_e32 v65, 31, v64
	;; [unrolled: 1-line block ×3, first 2 shown]
	v_lshl_add_u64 v[18:19], v[40:41], 0, v[30:31]
	s_waitcnt lgkmcnt(0)
	v_mfma_f32_16x16x16_bf16 v[30:33], v[38:39], v[2:3], v[32:35]
	v_lshl_add_u64 v[24:25], v[36:37], 2, s[8:9]
	v_lshl_add_u64 v[36:37], v[66:67], 2, s[8:9]
	s_load_dword s6, s[40:41], 0x0
	v_lshl_add_u64 v[34:35], v[64:65], 2, s[8:9]
	v_mfma_f32_16x16x16_bf16 v[20:23], v[48:49], v[2:3], v[20:23]
	global_load_dword v48, v[24:25], off
	global_load_dword v46, v[34:35], off
	;; [unrolled: 1-line block ×3, first 2 shown]
	s_waitcnt vmcnt(5)
	v_cvt_pk_f32_fp8_e32 v[34:35], v14
	v_cvt_pk_f32_fp8_sdwa v[36:37], v14 src0_sel:WORD_1
	v_perm_b32 v50, v61, v60, s33
	v_perm_b32 v51, v63, v62, s33
	v_cvt_pk_f32_fp8_e32 v[38:39], v15
	v_perm_b32 v34, v35, v34, s33
	v_perm_b32 v35, v37, v36, s33
	v_cvt_pk_f32_fp8_sdwa v[14:15], v15 src0_sel:WORD_1
	v_mov_b32_e32 v40, s14
	s_waitcnt lgkmcnt(0)
	v_mul_f32_e32 v52, s6, v40
	v_mfma_f32_16x16x16_bf16 v[20:23], v[50:51], v[4:5], v[20:23]
	v_perm_b32 v38, v39, v38, s33
	v_cvt_pk_f32_fp8_e32 v[40:41], v16
	v_cvt_pk_f32_fp8_sdwa v[50:51], v16 src0_sel:WORD_1
	v_perm_b32 v39, v15, v14, s33
	v_mfma_f32_16x16x16_bf16 v[34:37], v[34:35], v[10:11], 0
	v_perm_b32 v40, v41, v40, s33
	v_perm_b32 v41, v51, v50, s33
	v_cvt_pk_f32_fp8_e32 v[50:51], v17
	v_cvt_pk_f32_fp8_sdwa v[54:55], v17 src0_sel:WORD_1
	v_mfma_f32_16x16x16_bf16 v[30:33], v[68:69], v[4:5], v[30:33]
	s_mov_b32 s44, 0xff7fffff
	s_waitcnt vmcnt(3)
	v_mad_i64_i32 v[24:25], s[4:5], v70, s45, v[18:19]
	v_mfma_f32_16x16x16_bf16 v[14:17], v[38:39], v[12:13], v[34:37]
	s_nop 2
	v_perm_b32 v34, v51, v50, s33
	v_perm_b32 v35, v55, v54, s33
	v_mfma_f32_16x16x16_bf16 v[14:17], v[40:41], v[2:3], v[14:17]
	v_pk_mul_f32 v[38:39], v[52:53], v[30:31] op_sel_hi:[0,1]
	v_cvt_pk_f32_fp8_e32 v[30:31], v6
	v_cvt_pk_f32_fp8_sdwa v[36:37], v6 src0_sel:WORD_1
	v_mfma_f32_16x16x16_bf16 v[14:17], v[34:35], v[4:5], v[14:17]
	v_cvt_pk_f32_fp8_e32 v[34:35], v7
	v_perm_b32 v30, v31, v30, s33
	v_perm_b32 v31, v37, v36, s33
	v_cvt_pk_f32_fp8_sdwa v[6:7], v7 src0_sel:WORD_1
	v_perm_b32 v40, v35, v34, s33
	v_cvt_pk_f32_fp8_e32 v[50:51], v8
	v_cvt_pk_f32_fp8_sdwa v[54:55], v8 src0_sel:WORD_1
	v_perm_b32 v41, v7, v6, s33
	v_mfma_f32_16x16x16_bf16 v[34:37], v[30:31], v[10:11], 0
	v_perm_b32 v10, v51, v50, s33
	v_perm_b32 v11, v55, v54, s33
	v_cvt_pk_f32_fp8_e32 v[30:31], v9
	v_cvt_pk_f32_fp8_sdwa v[50:51], v9 src0_sel:WORD_1
	v_mfma_f32_16x16x16_bf16 v[6:9], v[40:41], v[12:13], v[34:37]
	v_pk_mul_f32 v[40:41], v[52:53], v[20:21] op_sel_hi:[0,1]
	v_perm_b32 v12, v31, v30, s33
	v_perm_b32 v13, v51, v50, s33
	v_mfma_f32_16x16x16_bf16 v[6:9], v[10:11], v[2:3], v[6:9]
	v_pk_mul_f32 v[36:37], v[52:53], v[22:23] op_sel_hi:[0,1]
	v_pk_mul_f32 v[32:33], v[52:53], v[32:33] op_sel_hi:[0,1]
	v_pk_mul_f32 v[30:31], v[52:53], v[16:17] op_sel_hi:[0,1]
	v_mfma_f32_16x16x16_bf16 v[2:5], v[12:13], v[4:5], v[6:9]
	v_pk_mul_f32 v[34:35], v[52:53], v[14:15] op_sel_hi:[0,1]
	s_nop 5
	v_pk_mul_f32 v[22:23], v[52:53], v[2:3] op_sel_hi:[0,1]
	v_and_b32_e32 v2, 0xc0, v0
	v_add_u32_e32 v2, s16, v2
	v_lshl_or_b32 v2, v42, 2, v2
	v_or_b32_e32 v3, 1, v2
	v_pk_mul_f32 v[20:21], v[52:53], v[4:5] op_sel_hi:[0,1]
	v_subrev_u32_e32 v4, s29, v3
	v_add_u32_e32 v6, 1, v4
	v_add_u32_e32 v7, 2, v4
	;; [unrolled: 1-line block ×3, first 2 shown]
	v_cvt_f32_i32_e32 v6, v6
	v_cvt_f32_i32_e32 v7, v7
	;; [unrolled: 1-line block ×3, first 2 shown]
	v_add_u32_e32 v9, 19, v4
	v_fmac_f32_e32 v39, v45, v6
	v_fma_f32 v32, v45, v7, v32
	v_fmac_f32_e32 v33, v45, v8
	v_add_u32_e32 v6, 16, v4
	v_add_u32_e32 v7, 17, v4
	;; [unrolled: 1-line block ×3, first 2 shown]
	v_cvt_f32_i32_e32 v6, v6
	v_cvt_f32_i32_e32 v7, v7
	;; [unrolled: 1-line block ×4, first 2 shown]
	v_fma_f32 v40, v45, v6, v40
	v_fmac_f32_e32 v41, v45, v7
	v_fma_f32 v36, v45, v8, v36
	v_add_u32_e32 v6, 32, v4
	v_add_u32_e32 v7, 33, v4
	;; [unrolled: 1-line block ×3, first 2 shown]
	v_cvt_f32_i32_e32 v6, v6
	v_cvt_f32_i32_e32 v7, v7
	;; [unrolled: 1-line block ×4, first 2 shown]
	v_fmac_f32_e32 v37, v45, v9
	v_add_u32_e32 v9, 35, v4
	v_fma_f32 v49, v45, v6, v34
	v_fmac_f32_e32 v35, v45, v7
	v_fma_f32 v30, v45, v8, v30
	v_add_u32_e32 v6, 48, v4
	v_add_u32_e32 v7, 49, v4
	v_add_u32_e32 v8, 50, v4
	v_add_u32_e32 v4, 51, v4
	v_cvt_f32_i32_e32 v4, v4
	v_cvt_f32_i32_e32 v6, v6
	;; [unrolled: 1-line block ×3, first 2 shown]
	v_fma_f32 v5, v45, v5, v38
	v_fmac_f32_e32 v21, v45, v4
	v_mov_b32_e32 v4, 0xff7fffff
	v_cmp_gt_i32_e64 s[4:5], s29, v2
	v_cmp_gt_i32_e64 s[34:35], s29, v3
	v_fma_f32 v22, v45, v6, v22
	v_cndmask_b32_e64 v6, v4, v5, s[4:5]
	v_cndmask_b32_e64 v3, v4, v39, s[34:35]
	v_fmac_f32_e32 v23, v45, v7
	v_max3_f32 v3, v6, s44, v3
	v_or_b32_e32 v6, 2, v2
	v_or_b32_e32 v7, 3, v2
	v_cmp_gt_i32_e64 s[36:37], s29, v6
	v_cmp_gt_i32_e64 s[38:39], s29, v7
	v_cvt_f32_i32_e32 v9, v9
	v_cndmask_b32_e64 v6, v4, v32, s[36:37]
	v_cndmask_b32_e64 v7, v4, v33, s[38:39]
	v_max3_f32 v3, v3, v6, v7
	v_or_b32_e32 v6, 16, v2
	v_or_b32_e32 v7, 17, v2
	v_cmp_gt_i32_e64 s[24:25], s29, v6
	v_cmp_gt_i32_e64 s[26:27], s29, v7
	v_fmac_f32_e32 v31, v45, v9
	v_cndmask_b32_e64 v6, v4, v40, s[24:25]
	v_cndmask_b32_e64 v7, v4, v41, s[26:27]
	v_max3_f32 v3, v3, v6, v7
	v_or_b32_e32 v6, 18, v2
	v_or_b32_e32 v7, 19, v2
	v_cmp_gt_i32_e64 s[20:21], s29, v6
	v_cmp_gt_i32_e64 s[22:23], s29, v7
	v_cvt_f32_i32_e32 v8, v8
	v_cndmask_b32_e64 v6, v4, v36, s[20:21]
	v_cndmask_b32_e64 v7, v4, v37, s[22:23]
	v_max3_f32 v3, v3, v6, v7
	v_or_b32_e32 v6, 32, v2
	v_or_b32_e32 v7, 33, v2
	v_cmp_gt_i32_e64 s[16:17], s29, v6
	v_cmp_gt_i32_e64 s[18:19], s29, v7
	v_fma_f32 v20, v45, v8, v20
	v_cndmask_b32_e64 v6, v4, v49, s[16:17]
	v_cndmask_b32_e64 v7, v4, v35, s[18:19]
	v_max3_f32 v3, v3, v6, v7
	v_or_b32_e32 v6, 34, v2
	v_or_b32_e32 v7, 35, v2
	v_cmp_gt_i32_e64 s[12:13], s29, v6
	v_cmp_gt_i32_e64 s[14:15], s29, v7
	s_nop 0
	v_cndmask_b32_e64 v6, v4, v30, s[12:13]
	v_cndmask_b32_e64 v7, v4, v31, s[14:15]
	v_max3_f32 v3, v3, v6, v7
	v_or_b32_e32 v6, 48, v2
	v_or_b32_e32 v7, 49, v2
	v_cmp_gt_i32_e64 s[8:9], s29, v6
	v_cmp_gt_i32_e64 s[10:11], s29, v7
	s_nop 0
	v_cndmask_b32_e64 v6, v4, v22, s[8:9]
	v_cndmask_b32_e64 v7, v4, v23, s[10:11]
	v_max3_f32 v3, v3, v6, v7
	v_or_b32_e32 v6, 50, v2
	v_or_b32_e32 v2, 51, v2
	v_cmp_gt_i32_e32 vcc, s29, v6
	v_cmp_gt_i32_e64 s[6:7], s29, v2
	s_nop 0
	v_cndmask_b32_e32 v6, v4, v20, vcc
	v_cndmask_b32_e64 v2, v4, v21, s[6:7]
	v_max3_f32 v4, v3, v6, v2
	v_mbcnt_lo_u32_b32 v2, -1, 0
	v_mbcnt_hi_u32_b32 v6, -1, v2
	v_and_b32_e32 v2, 64, v6
	v_add_u32_e32 v7, 64, v2
	v_xor_b32_e32 v2, 32, v6
	v_cmp_lt_i32_e64 s[40:41], v2, v7
	s_nop 1
	v_cndmask_b32_e64 v2, v6, v2, s[40:41]
	v_lshlrev_b32_e32 v45, 2, v2
	ds_bpermute_b32 v8, v45, v4
	s_waitcnt vmcnt(2)
	v_mad_i64_i32 v[2:3], s[40:41], v48, s45, v[18:19]
	global_load_dwordx4 v[14:17], v[24:25], off
	global_load_dwordx4 v[10:13], v[2:3], off
	v_xor_b32_e32 v3, 16, v6
	v_cmp_lt_i32_e64 s[40:41], v3, v7
	s_waitcnt lgkmcnt(0)
	v_max_f32_e32 v2, v8, v8
	v_max_f32_e32 v2, v4, v2
	v_cndmask_b32_e64 v3, v6, v3, s[40:41]
	v_lshlrev_b32_e32 v48, 2, v3
	ds_bpermute_b32 v3, v48, v2
	s_waitcnt vmcnt(3)
	v_mad_i64_i32 v[24:25], s[40:41], v46, s45, v[18:19]
	s_waitcnt vmcnt(2)
	v_mad_i64_i32 v[18:19], s[40:41], v47, s45, v[18:19]
	s_waitcnt lgkmcnt(0)
	v_max_f32_e32 v3, v3, v3
	v_max_f32_e32 v34, v2, v3
	v_sub_f32_e32 v2, v5, v34
	v_mul_f32_e32 v2, 0x3fb8aa3b, v2
	v_exp_f32_e32 v38, v2
	v_sub_f32_e32 v2, v39, v34
	v_mul_f32_e32 v2, 0x3fb8aa3b, v2
	v_exp_f32_e32 v39, v2
	global_load_dwordx4 v[6:9], v[24:25], off
	global_load_dwordx4 v[2:5], v[18:19], off
	v_sub_f32_e32 v25, v32, v34
	v_sub_f32_e32 v32, v33, v34
	v_mul_f32_e32 v25, 0x3fb8aa3b, v25
	v_mul_f32_e32 v32, 0x3fb8aa3b, v32
	v_exp_f32_e32 v25, v25
	v_exp_f32_e32 v32, v32
	v_cndmask_b32_e64 v18, 0, v38, s[4:5]
	v_cndmask_b32_e64 v19, 0, v39, s[34:35]
	;; [unrolled: 1-line block ×4, first 2 shown]
	v_sub_f32_e32 v25, v40, v34
	v_sub_f32_e32 v32, v41, v34
	v_mul_f32_e32 v25, 0x3fb8aa3b, v25
	v_mul_f32_e32 v32, 0x3fb8aa3b, v32
	v_exp_f32_e32 v25, v25
	v_exp_f32_e32 v32, v32
	v_add_f32_e32 v24, 0, v18
	v_add_f32_e32 v24, v24, v19
	;; [unrolled: 1-line block ×4, first 2 shown]
	v_cndmask_b32_e64 v24, 0, v25, s[24:25]
	v_cndmask_b32_e64 v25, 0, v32, s[26:27]
	v_sub_f32_e32 v32, v36, v34
	v_mul_f32_e32 v32, 0x3fb8aa3b, v32
	v_exp_f32_e32 v32, v32
	v_sub_f32_e32 v36, v37, v34
	v_add_f32_e32 v33, v33, v24
	v_mul_f32_e32 v36, 0x3fb8aa3b, v36
	v_exp_f32_e32 v37, v36
	v_add_f32_e32 v33, v33, v25
	v_cndmask_b32_e64 v36, 0, v32, s[20:21]
	v_add_f32_e32 v32, v33, v36
	v_sub_f32_e32 v33, v49, v34
	v_mul_f32_e32 v33, 0x3fb8aa3b, v33
	v_sub_f32_e32 v35, v35, v34
	v_exp_f32_e32 v33, v33
	v_mul_f32_e32 v35, 0x3fb8aa3b, v35
	v_sub_f32_e32 v30, v30, v34
	v_exp_f32_e32 v35, v35
	;; [unrolled: 3-line block ×3, first 2 shown]
	v_mul_f32_e32 v31, 0x3fb8aa3b, v31
	v_sub_f32_e32 v22, v22, v34
	v_cndmask_b32_e64 v37, 0, v37, s[22:23]
	v_exp_f32_e32 v31, v31
	v_mul_f32_e32 v22, 0x3fb8aa3b, v22
	v_sub_f32_e32 v23, v23, v34
	v_add_f32_e32 v40, v32, v37
	v_cndmask_b32_e64 v32, 0, v33, s[16:17]
	v_exp_f32_e32 v22, v22
	v_mul_f32_e32 v23, 0x3fb8aa3b, v23
	v_sub_f32_e32 v20, v20, v34
	v_add_f32_e32 v40, v40, v32
	;; [unrolled: 5-line block ×3, first 2 shown]
	v_cndmask_b32_e64 v30, 0, v30, s[12:13]
	v_exp_f32_e32 v20, v20
	v_mul_f32_e32 v21, 0x3fb8aa3b, v21
	v_add_f32_e32 v35, v35, v30
	v_cndmask_b32_e64 v31, 0, v31, s[14:15]
	v_exp_f32_e32 v21, v21
	v_add_f32_e32 v35, v35, v31
	v_cndmask_b32_e64 v22, 0, v22, s[8:9]
	v_add_f32_e32 v35, v35, v22
	v_cndmask_b32_e64 v23, 0, v23, s[10:11]
	v_add_f32_e32 v35, v35, v23
	v_cndmask_b32_e32 v20, 0, v20, vcc
	v_add_f32_e32 v35, v35, v20
	v_cndmask_b32_e64 v21, 0, v21, s[6:7]
	v_add_f32_e32 v35, v35, v21
	ds_bpermute_b32 v40, v45, v35
	s_load_dword s7, s[0:1], 0x98
	v_cmp_gt_u32_e32 vcc, 16, v44
	s_waitcnt lgkmcnt(0)
	s_barrier
	v_add_f32_e32 v40, v35, v40
	ds_bpermute_b32 v41, v48, v40
	v_lshlrev_b32_e32 v35, 2, v28
	s_waitcnt lgkmcnt(0)
	s_and_saveexec_b64 s[4:5], vcc
	s_cbranch_execz .LBB1186_15
; %bb.14:
	v_add_f32_e32 v40, v40, v41
	v_lshl_or_b32 v41, v29, 6, v35
	ds_write2st64_b32 v41, v34, v40 offset1:1
.LBB1186_15:
	s_or_b64 exec, exec, s[4:5]
	s_load_dword s6, s[0:1], 0x94
	s_waitcnt lgkmcnt(0)
	s_barrier
	ds_read2_b32 v[40:41], v35 offset1:16
	ds_read2_b32 v[44:45], v35 offset0:32 offset1:48
	ds_read2_b32 v[46:47], v35 offset0:64 offset1:80
	s_movk_i32 s8, 0x7fff
	s_mul_i32 s7, s7, 3
	s_waitcnt lgkmcnt(2)
	v_max3_f32 v34, v40, s44, v41
	s_waitcnt lgkmcnt(1)
	v_max3_f32 v34, v34, v44, v45
	v_sub_f32_e32 v40, v40, v34
	v_mul_f32_e32 v40, 0x3fb8aa3b, v40
	v_exp_f32_e32 v48, v40
	v_sub_f32_e32 v40, v41, v34
	v_mul_f32_e32 v40, 0x3fb8aa3b, v40
	v_exp_f32_e32 v49, v40
	;; [unrolled: 3-line block ×3, first 2 shown]
	ds_read2_b32 v[40:41], v35 offset0:96 offset1:112
	v_sub_f32_e32 v35, v45, v34
	v_mul_f32_e32 v35, 0x3fb8aa3b, v35
	v_exp_f32_e32 v45, v35
	s_waitcnt lgkmcnt(1)
	v_fma_f32 v35, v48, v46, 0
	v_fmac_f32_e32 v35, v49, v47
	s_waitcnt lgkmcnt(0)
	v_fmac_f32_e32 v35, v44, v40
	v_fmac_f32_e32 v35, v45, v41
	v_add_f32_e32 v40, 0x358637bd, v35
	v_div_scale_f32 v41, s[4:5], v40, v40, 1.0
	v_rcp_f32_e32 v46, v41
	s_barrier
	v_fma_f32 v47, -v41, v46, 1.0
	v_fmac_f32_e32 v46, v47, v46
	v_div_scale_f32 v47, vcc, 1.0, v40, 1.0
	v_mul_f32_e32 v50, v47, v46
	v_fma_f32 v51, -v41, v50, v47
	v_fmac_f32_e32 v50, v51, v46
	v_fma_f32 v41, -v41, v50, v47
	v_div_fmas_f32 v41, v41, v46, v50
	v_cmp_eq_u32_e32 vcc, 1, v29
	v_div_fixup_f32 v40, v41, v40, 1.0
	s_nop 0
	v_cndmask_b32_e32 v41, v48, v49, vcc
	v_cmp_eq_u32_e32 vcc, 2, v29
	s_nop 1
	v_cndmask_b32_e32 v41, v41, v44, vcc
	v_cmp_eq_u32_e32 vcc, 3, v29
	s_nop 1
	v_cndmask_b32_e32 v41, v41, v45, vcc
	v_mul_f32_e32 v40, v41, v40
	v_pk_mul_f32 v[18:19], v[40:41], v[18:19] op_sel_hi:[0,1]
	v_pk_mul_f32 v[38:39], v[40:41], v[38:39] op_sel_hi:[0,1]
	v_bfe_u32 v41, v19, 16, 1
	v_bfe_u32 v44, v18, 16, 1
	v_add3_u32 v18, v18, v44, s8
	v_add3_u32 v19, v19, v41, s8
	v_perm_b32 v44, v19, v18, s33
	v_bfe_u32 v18, v39, 16, 1
	v_bfe_u32 v19, v38, 16, 1
	v_add3_u32 v19, v38, v19, s8
	v_add3_u32 v18, v39, v18, s8
	v_perm_b32 v45, v18, v19, s33
	v_lshlrev_b32_e32 v18, 3, v42
	v_lshlrev_b32_e32 v19, 11, v29
	v_pk_mul_f32 v[24:25], v[40:41], v[24:25] op_sel_hi:[0,1]
	v_or3_b32 v18, v19, v27, v18
	v_bfe_u32 v19, v25, 16, 1
	v_bfe_u32 v29, v24, 16, 1
	v_pk_mul_f32 v[36:37], v[40:41], v[36:37] op_sel_hi:[0,1]
	v_add3_u32 v24, v24, v29, s8
	v_add3_u32 v19, v25, v19, s8
	v_perm_b32 v24, v19, v24, s33
	v_bfe_u32 v19, v37, 16, 1
	v_bfe_u32 v25, v36, 16, 1
	v_add3_u32 v25, v36, v25, s8
	v_add3_u32 v19, v37, v19, s8
	v_perm_b32 v25, v19, v25, s33
	ds_write2st64_b64 v18, v[44:45], v[24:25] offset1:1
	v_pk_mul_f32 v[24:25], v[40:41], v[30:31] op_sel_hi:[0,1]
	v_pk_mul_f32 v[30:31], v[40:41], v[32:33] op_sel_hi:[0,1]
	v_bfe_u32 v19, v31, 16, 1
	v_bfe_u32 v29, v30, 16, 1
	v_add3_u32 v29, v30, v29, s8
	v_add3_u32 v19, v31, v19, s8
	v_perm_b32 v30, v19, v29, s33
	v_bfe_u32 v19, v25, 16, 1
	v_bfe_u32 v29, v24, 16, 1
	v_add3_u32 v24, v24, v29, s8
	v_add3_u32 v19, v25, v19, s8
	v_pk_mul_f32 v[22:23], v[40:41], v[22:23] op_sel_hi:[0,1]
	v_perm_b32 v31, v19, v24, s33
	v_bfe_u32 v19, v23, 16, 1
	v_bfe_u32 v24, v22, 16, 1
	v_pk_mul_f32 v[20:21], v[40:41], v[20:21] op_sel_hi:[0,1]
	v_add3_u32 v22, v22, v24, s8
	v_add3_u32 v19, v23, v19, s8
	v_perm_b32 v22, v19, v22, s33
	v_bfe_u32 v19, v21, 16, 1
	v_bfe_u32 v23, v20, 16, 1
	v_add3_u32 v20, v20, v23, s8
	v_add3_u32 v19, v21, v19, s8
	v_perm_b32 v23, v19, v20, s33
	v_cmp_gt_u32_e32 vcc, 3, v0
	ds_write2st64_b64 v18, v[30:31], v[22:23] offset0:2 offset1:3
	s_and_saveexec_b64 s[4:5], vcc
	s_cbranch_execz .LBB1186_17
; %bb.16:
	s_mov_b32 s49, 0
	v_mov_b32_e32 v29, 0
	v_lshl_add_u64 v[20:21], s[48:49], 0, v[28:29]
	v_mov_b32_e32 v19, s7
	v_mad_u64_u32 v[20:21], s[10:11], s2, v19, v[20:21]
	s_mul_i32 s3, s3, s7
	v_mov_b32_e32 v28, s28
	s_load_dwordx4 s[12:15], s[0:1], 0x58
	v_add_u32_e32 v19, s3, v21
	v_mad_u64_u32 v[20:21], s[10:11], v20, s6, v[28:29]
	v_mov_b32_e32 v22, v21
	v_mad_u64_u32 v[22:23], s[10:11], v19, s6, v[22:23]
	v_mov_b32_e32 v21, v22
	v_lshlrev_b64 v[20:21], 2, v[20:21]
	s_waitcnt lgkmcnt(0)
	v_lshl_add_u64 v[22:23], s[14:15], 0, v[20:21]
	v_lshl_add_u64 v[20:21], s[12:13], 0, v[20:21]
	global_store_dword v[22:23], v34, off
	global_store_dword v[20:21], v35, off
.LBB1186_17:
	s_or_b64 exec, exec, s[4:5]
	s_waitcnt vmcnt(3)
	v_cvt_pk_f32_fp8_e32 v[20:21], v14
	v_cvt_pk_f32_fp8_sdwa v[22:23], v14 src0_sel:WORD_1
	s_mov_b32 s4, 0x7060302
	v_lshl_or_b32 v14, v42, 9, v27
	s_waitcnt lgkmcnt(0)
	s_barrier
	v_perm_b32 v24, v21, v20, s4
	v_perm_b32 v25, v23, v22, s4
	v_cvt_pk_f32_fp8_e32 v[28:29], v15
	ds_read_b128 v[20:23], v14
	v_cvt_pk_f32_fp8_sdwa v[36:37], v15 src0_sel:WORD_1
	s_load_dword s10, s[42:43], 0x0
	v_perm_b32 v38, v29, v28, s4
	ds_read_b128 v[28:31], v14 offset:16
	v_perm_b32 v39, v37, v36, s4
	s_waitcnt lgkmcnt(0)
	v_mfma_f32_16x16x16_bf16 v[32:35], v[24:25], v[20:21], 0
	v_cvt_pk_f32_fp8_e32 v[24:25], v16
	v_cvt_pk_f32_fp8_sdwa v[36:37], v16 src0_sel:WORD_1
	v_cmp_gt_u32_e32 vcc, 64, v0
	v_mfma_f32_16x16x16_bf16 v[20:23], v[38:39], v[22:23], v[32:35]
	v_perm_b32 v24, v25, v24, s4
	v_perm_b32 v25, v37, v36, s4
	s_mov_b32 s3, 0
	v_cvt_pk_f32_fp8_e32 v[32:33], v17
	v_cvt_pk_f32_fp8_sdwa v[16:17], v17 src0_sel:WORD_1
	s_waitcnt vmcnt(2)
	v_cvt_pk_f32_fp8_sdwa v[34:35], v10 src0_sel:WORD_1
	v_mfma_f32_16x16x16_bf16 v[20:23], v[24:25], v[28:29], v[20:23]
	v_perm_b32 v36, v33, v32, s4
	v_cvt_pk_f32_fp8_e32 v[32:33], v10
	v_perm_b32 v37, v17, v16, s4
	v_perm_b32 v17, v35, v34, s4
	v_cvt_pk_f32_fp8_e32 v[24:25], v11
	v_perm_b32 v16, v33, v32, s4
	ds_read_b128 v[32:35], v14 offset:2048
	v_cvt_pk_f32_fp8_sdwa v[10:11], v11 src0_sel:WORD_1
	v_mfma_f32_16x16x16_bf16 v[20:23], v[36:37], v[30:31], v[20:23]
	ds_read_b128 v[28:31], v14 offset:2064
	v_perm_b32 v24, v25, v24, s4
	v_perm_b32 v25, v11, v10, s4
	s_waitcnt lgkmcnt(1)
	v_mfma_f32_16x16x16_bf16 v[20:23], v[16:17], v[32:33], v[20:23]
	v_cvt_pk_f32_fp8_e32 v[10:11], v12
	v_cvt_pk_f32_fp8_sdwa v[16:17], v12 src0_sel:WORD_1
	s_waitcnt vmcnt(1)
	v_cvt_pk_f32_fp8_sdwa v[32:33], v6 src0_sel:WORD_1
	v_mfma_f32_16x16x16_bf16 v[20:23], v[24:25], v[34:35], v[20:23]
	v_cvt_pk_f32_fp8_e32 v[24:25], v13
	v_perm_b32 v10, v11, v10, s4
	v_perm_b32 v11, v17, v16, s4
	v_cvt_pk_f32_fp8_sdwa v[12:13], v13 src0_sel:WORD_1
	v_perm_b32 v16, v25, v24, s4
	v_cvt_pk_f32_fp8_e32 v[24:25], v6
	v_mov_b32_e32 v27, 0
	v_perm_b32 v17, v13, v12, s4
	s_waitcnt lgkmcnt(0)
	v_mfma_f32_16x16x16_bf16 v[10:13], v[10:11], v[28:29], v[20:23]
	v_perm_b32 v24, v25, v24, s4
	v_perm_b32 v25, v33, v32, s4
	v_cvt_pk_f32_fp8_e32 v[28:29], v7
	ds_read_b128 v[20:23], v14 offset:4096
	v_cvt_pk_f32_fp8_sdwa v[6:7], v7 src0_sel:WORD_1
	v_mfma_f32_16x16x16_bf16 v[10:13], v[16:17], v[30:31], v[10:13]
	v_perm_b32 v16, v29, v28, s4
	ds_read_b128 v[28:31], v14 offset:4112
	v_perm_b32 v17, v7, v6, s4
	s_waitcnt lgkmcnt(1)
	v_mfma_f32_16x16x16_bf16 v[10:13], v[24:25], v[20:21], v[10:13]
	v_cvt_pk_f32_fp8_e32 v[6:7], v8
	v_cvt_pk_f32_fp8_sdwa v[20:21], v8 src0_sel:WORD_1
	v_perm_b32 v6, v7, v6, s4
	v_mfma_f32_16x16x16_bf16 v[10:13], v[16:17], v[22:23], v[10:13]
	v_cvt_pk_f32_fp8_e32 v[16:17], v9
	v_perm_b32 v7, v21, v20, s4
	v_cvt_pk_f32_fp8_sdwa v[8:9], v9 src0_sel:WORD_1
	s_waitcnt vmcnt(0)
	v_cvt_pk_f32_fp8_e32 v[20:21], v2
	v_perm_b32 v16, v17, v16, s4
	v_cvt_pk_f32_fp8_sdwa v[22:23], v2 src0_sel:WORD_1
	v_perm_b32 v17, v9, v8, s4
	s_waitcnt lgkmcnt(0)
	v_mfma_f32_16x16x16_bf16 v[6:9], v[6:7], v[28:29], v[10:13]
	v_perm_b32 v20, v21, v20, s4
	v_perm_b32 v21, v23, v22, s4
	v_cvt_pk_f32_fp8_e32 v[22:23], v3
	ds_read_b128 v[10:13], v14 offset:6144
	v_cvt_pk_f32_fp8_sdwa v[2:3], v3 src0_sel:WORD_1
	v_mfma_f32_16x16x16_bf16 v[6:9], v[16:17], v[30:31], v[6:9]
	v_perm_b32 v22, v23, v22, s4
	ds_read_b128 v[14:17], v14 offset:6160
	v_perm_b32 v23, v3, v2, s4
	s_waitcnt lgkmcnt(1)
	v_mfma_f32_16x16x16_bf16 v[6:9], v[20:21], v[10:11], v[6:9]
	v_cvt_pk_f32_fp8_e32 v[2:3], v4
	v_cvt_pk_f32_fp8_sdwa v[10:11], v4 src0_sel:WORD_1
	s_waitcnt lgkmcnt(0)
	v_mfma_f32_16x16x16_bf16 v[6:9], v[22:23], v[12:13], v[6:9]
	v_perm_b32 v2, v3, v2, s4
	v_perm_b32 v3, v11, v10, s4
	v_cvt_pk_f32_fp8_e32 v[10:11], v5
	v_cvt_pk_f32_fp8_sdwa v[4:5], v5 src0_sel:WORD_1
	s_barrier
	v_perm_b32 v10, v11, v10, s4
	v_perm_b32 v11, v5, v4, s4
	v_mfma_f32_16x16x16_bf16 v[2:5], v[2:3], v[14:15], v[6:9]
	s_nop 0
	v_mfma_f32_16x16x16_bf16 v[2:5], v[10:11], v[16:17], v[2:5]
	s_nop 6
	v_pk_mul_f32 v[2:3], v[2:3], s[10:11] op_sel_hi:[1,0]
	v_pk_mul_f32 v[4:5], v[4:5], s[10:11] op_sel_hi:[1,0]
	v_bfe_u32 v6, v3, 16, 1
	v_bfe_u32 v7, v2, 16, 1
	v_add3_u32 v2, v2, v7, s8
	v_add3_u32 v3, v3, v6, s8
	v_perm_b32 v2, v3, v2, s4
	v_bfe_u32 v3, v5, 16, 1
	v_bfe_u32 v6, v4, 16, 1
	v_add3_u32 v4, v4, v6, s8
	v_add3_u32 v3, v5, v3, s8
	v_perm_b32 v3, v3, v4, s4
	v_cmp_ne_u32_e64 s[4:5], 3, v42
	s_and_b64 s[4:5], s[4:5], vcc
	s_and_b64 s[4:5], s[4:5], s[30:31]
	ds_write_b64 v18, v[2:3]
	s_waitcnt lgkmcnt(0)
	s_barrier
	s_and_saveexec_b64 s[8:9], s[4:5]
	s_cbranch_execz .LBB1186_19
; %bb.18:
	s_load_dwordx2 s[0:1], s[0:1], 0x68
	s_mul_i32 s2, s7, s2
	s_lshl_b32 s6, s6, 6
	s_mul_hi_u32 s5, s2, s6
	s_mul_i32 s4, s2, s6
	v_lshlrev_b32_e32 v0, 10, v0
	s_lshl_b64 s[4:5], s[4:5], 1
	v_and_b32_e32 v0, 0x1800, v0
	v_lshlrev_b32_e32 v2, 5, v42
	v_and_b32_e32 v3, 16, v43
	s_waitcnt lgkmcnt(0)
	s_add_u32 s4, s0, s4
	v_or3_b32 v0, v0, v2, v3
	s_addc_u32 s5, s1, s5
	s_lshl_b32 s2, s28, 6
	ds_read_b128 v[2:5], v0
	s_lshl_b64 s[0:1], s[2:3], 1
	s_add_u32 s0, s4, s0
	s_addc_u32 s1, s5, s1
	v_mad_u64_u32 v[0:1], s[2:3], s6, v1, 0
	v_lshl_add_u64 v[0:1], v[0:1], 1, s[0:1]
	v_lshl_add_u64 v[0:1], v[0:1], 0, v[26:27]
	s_waitcnt lgkmcnt(0)
	global_store_dwordx4 v[0:1], v[2:5], off
.LBB1186_19:
	s_endpgm
	.section	.rodata,"a",@progbits
	.p2align	6, 0x0
	.amdhsa_kernel _Z39paged_attention_ll4mi_QKV_mfma16_kernelI14__hip_bfloat16hLN4vllm18Fp8KVCacheDataTypeE1EhLi32ELi64ELi256ELb1ELi3EEvPKT_PKT0_S8_ifPKiSA_SA_iPKfiiiPfSD_PS3_PT2_iSC_SC_
		.amdhsa_group_segment_fixed_size 8192
		.amdhsa_private_segment_fixed_size 0
		.amdhsa_kernarg_size 400
		.amdhsa_user_sgpr_count 2
		.amdhsa_user_sgpr_dispatch_ptr 0
		.amdhsa_user_sgpr_queue_ptr 0
		.amdhsa_user_sgpr_kernarg_segment_ptr 1
		.amdhsa_user_sgpr_dispatch_id 0
		.amdhsa_user_sgpr_kernarg_preload_length 0
		.amdhsa_user_sgpr_kernarg_preload_offset 0
		.amdhsa_user_sgpr_private_segment_size 0
		.amdhsa_uses_dynamic_stack 0
		.amdhsa_enable_private_segment 0
		.amdhsa_system_sgpr_workgroup_id_x 1
		.amdhsa_system_sgpr_workgroup_id_y 1
		.amdhsa_system_sgpr_workgroup_id_z 1
		.amdhsa_system_sgpr_workgroup_info 0
		.amdhsa_system_vgpr_workitem_id 0
		.amdhsa_next_free_vgpr 71
		.amdhsa_next_free_sgpr 50
		.amdhsa_accum_offset 72
		.amdhsa_reserve_vcc 1
		.amdhsa_float_round_mode_32 0
		.amdhsa_float_round_mode_16_64 0
		.amdhsa_float_denorm_mode_32 3
		.amdhsa_float_denorm_mode_16_64 3
		.amdhsa_dx10_clamp 1
		.amdhsa_ieee_mode 1
		.amdhsa_fp16_overflow 0
		.amdhsa_tg_split 0
		.amdhsa_exception_fp_ieee_invalid_op 0
		.amdhsa_exception_fp_denorm_src 0
		.amdhsa_exception_fp_ieee_div_zero 0
		.amdhsa_exception_fp_ieee_overflow 0
		.amdhsa_exception_fp_ieee_underflow 0
		.amdhsa_exception_fp_ieee_inexact 0
		.amdhsa_exception_int_div_zero 0
	.end_amdhsa_kernel
	.section	.text._Z39paged_attention_ll4mi_QKV_mfma16_kernelI14__hip_bfloat16hLN4vllm18Fp8KVCacheDataTypeE1EhLi32ELi64ELi256ELb1ELi3EEvPKT_PKT0_S8_ifPKiSA_SA_iPKfiiiPfSD_PS3_PT2_iSC_SC_,"axG",@progbits,_Z39paged_attention_ll4mi_QKV_mfma16_kernelI14__hip_bfloat16hLN4vllm18Fp8KVCacheDataTypeE1EhLi32ELi64ELi256ELb1ELi3EEvPKT_PKT0_S8_ifPKiSA_SA_iPKfiiiPfSD_PS3_PT2_iSC_SC_,comdat
.Lfunc_end1186:
	.size	_Z39paged_attention_ll4mi_QKV_mfma16_kernelI14__hip_bfloat16hLN4vllm18Fp8KVCacheDataTypeE1EhLi32ELi64ELi256ELb1ELi3EEvPKT_PKT0_S8_ifPKiSA_SA_iPKfiiiPfSD_PS3_PT2_iSC_SC_, .Lfunc_end1186-_Z39paged_attention_ll4mi_QKV_mfma16_kernelI14__hip_bfloat16hLN4vllm18Fp8KVCacheDataTypeE1EhLi32ELi64ELi256ELb1ELi3EEvPKT_PKT0_S8_ifPKiSA_SA_iPKfiiiPfSD_PS3_PT2_iSC_SC_
                                        ; -- End function
	.section	.AMDGPU.csdata,"",@progbits
; Kernel info:
; codeLenInByte = 5172
; NumSgprs: 56
; NumVgprs: 71
; NumAgprs: 0
; TotalNumVgprs: 71
; ScratchSize: 0
; MemoryBound: 0
; FloatMode: 240
; IeeeMode: 1
; LDSByteSize: 8192 bytes/workgroup (compile time only)
; SGPRBlocks: 6
; VGPRBlocks: 8
; NumSGPRsForWavesPerEU: 56
; NumVGPRsForWavesPerEU: 71
; AccumOffset: 72
; Occupancy: 7
; WaveLimiterHint : 1
; COMPUTE_PGM_RSRC2:SCRATCH_EN: 0
; COMPUTE_PGM_RSRC2:USER_SGPR: 2
; COMPUTE_PGM_RSRC2:TRAP_HANDLER: 0
; COMPUTE_PGM_RSRC2:TGID_X_EN: 1
; COMPUTE_PGM_RSRC2:TGID_Y_EN: 1
; COMPUTE_PGM_RSRC2:TGID_Z_EN: 1
; COMPUTE_PGM_RSRC2:TIDIG_COMP_CNT: 0
; COMPUTE_PGM_RSRC3_GFX90A:ACCUM_OFFSET: 17
; COMPUTE_PGM_RSRC3_GFX90A:TG_SPLIT: 0
	.section	.text._Z39paged_attention_ll4mi_QKV_mfma16_kernelI14__hip_bfloat16hLN4vllm18Fp8KVCacheDataTypeE1EhLi32ELi64ELi256ELb1ELi4EEvPKT_PKT0_S8_ifPKiSA_SA_iPKfiiiPfSD_PS3_PT2_iSC_SC_,"axG",@progbits,_Z39paged_attention_ll4mi_QKV_mfma16_kernelI14__hip_bfloat16hLN4vllm18Fp8KVCacheDataTypeE1EhLi32ELi64ELi256ELb1ELi4EEvPKT_PKT0_S8_ifPKiSA_SA_iPKfiiiPfSD_PS3_PT2_iSC_SC_,comdat
	.protected	_Z39paged_attention_ll4mi_QKV_mfma16_kernelI14__hip_bfloat16hLN4vllm18Fp8KVCacheDataTypeE1EhLi32ELi64ELi256ELb1ELi4EEvPKT_PKT0_S8_ifPKiSA_SA_iPKfiiiPfSD_PS3_PT2_iSC_SC_ ; -- Begin function _Z39paged_attention_ll4mi_QKV_mfma16_kernelI14__hip_bfloat16hLN4vllm18Fp8KVCacheDataTypeE1EhLi32ELi64ELi256ELb1ELi4EEvPKT_PKT0_S8_ifPKiSA_SA_iPKfiiiPfSD_PS3_PT2_iSC_SC_
	.globl	_Z39paged_attention_ll4mi_QKV_mfma16_kernelI14__hip_bfloat16hLN4vllm18Fp8KVCacheDataTypeE1EhLi32ELi64ELi256ELb1ELi4EEvPKT_PKT0_S8_ifPKiSA_SA_iPKfiiiPfSD_PS3_PT2_iSC_SC_
	.p2align	8
	.type	_Z39paged_attention_ll4mi_QKV_mfma16_kernelI14__hip_bfloat16hLN4vllm18Fp8KVCacheDataTypeE1EhLi32ELi64ELi256ELb1ELi4EEvPKT_PKT0_S8_ifPKiSA_SA_iPKfiiiPfSD_PS3_PT2_iSC_SC_,@function
_Z39paged_attention_ll4mi_QKV_mfma16_kernelI14__hip_bfloat16hLN4vllm18Fp8KVCacheDataTypeE1EhLi32ELi64ELi256ELb1ELi4EEvPKT_PKT0_S8_ifPKiSA_SA_iPKfiiiPfSD_PS3_PT2_iSC_SC_: ; @_Z39paged_attention_ll4mi_QKV_mfma16_kernelI14__hip_bfloat16hLN4vllm18Fp8KVCacheDataTypeE1EhLi32ELi64ELi256ELb1ELi4EEvPKT_PKT0_S8_ifPKiSA_SA_iPKfiiiPfSD_PS3_PT2_iSC_SC_
; %bb.0:
	s_load_dwordx2 s[6:7], s[0:1], 0x30
	s_mov_b32 s22, s3
	s_mov_b64 s[8:9], 0
	s_waitcnt lgkmcnt(0)
	s_cmp_lg_u64 s[6:7], 0
	s_cselect_b64 s[10:11], -1, 0
	s_and_b64 vcc, exec, s[10:11]
	s_cbranch_vccz .LBB1187_7
; %bb.1:
	s_add_i32 s12, s2, 1
	s_mov_b32 s13, 0
	s_lshl_b64 s[14:15], s[12:13], 2
	s_add_u32 s14, s6, s14
	s_mov_b32 s3, s13
	s_addc_u32 s15, s7, s15
	s_lshl_b64 s[12:13], s[2:3], 2
	s_add_u32 s12, s6, s12
	s_addc_u32 s13, s7, s13
	s_load_dword s5, s[14:15], 0x0
	s_load_dword s16, s[12:13], 0x0
	s_waitcnt lgkmcnt(0)
	s_sub_i32 s5, s5, s16
	s_cmp_eq_u32 s5, 1
	s_cselect_b64 s[12:13], -1, 0
	s_andn2_b64 vcc, exec, s[8:9]
	s_cbranch_vccnz .LBB1187_3
.LBB1187_2:
	s_mov_b32 s3, 0
	s_mov_b64 s[12:13], -1
.LBB1187_3:
	s_andn2_b64 vcc, exec, s[12:13]
	s_cbranch_vccnz .LBB1187_19
; %bb.4:
	s_load_dwordx2 s[8:9], s[0:1], 0x28
	s_lshl_b64 s[12:13], s[2:3], 2
	s_waitcnt lgkmcnt(0)
	s_add_u32 s8, s8, s12
	s_addc_u32 s9, s9, s13
	s_load_dword s33, s[8:9], 0x0
	s_lshl_b32 s16, s22, 8
	s_waitcnt lgkmcnt(0)
	s_cmp_ge_i32 s16, s33
	s_cbranch_scc1 .LBB1187_19
; %bb.5:
	s_load_dwordx2 s[8:9], s[0:1], 0x20
	s_load_dword s5, s[0:1], 0x38
	s_add_i32 s14, s33, 31
	s_ashr_i32 s15, s14, 31
	v_and_b32_e32 v1, 0xcf, v0
	s_lshr_b32 s15, s15, 27
	v_add_u32_e32 v1, s16, v1
	s_add_i32 s14, s14, s15
	v_ashrrev_i32_e32 v2, 31, v1
	s_ashr_i32 s17, s14, 5
	v_lshrrev_b32_e32 v4, 27, v2
	s_add_i32 s17, s17, -1
	s_waitcnt lgkmcnt(0)
	s_mul_i32 s14, s2, s5
	s_mov_b32 s15, 0
	v_add_u32_e32 v2, v1, v4
	s_lshl_b64 s[14:15], s[14:15], 2
	v_ashrrev_i32_e32 v2, 5, v2
	v_mov_b32_e32 v5, s17
	v_cmp_gt_i32_e32 vcc, s33, v1
	s_add_u32 s8, s8, s14
	s_addc_u32 s9, s9, s15
	v_cndmask_b32_e32 v2, v5, v2, vcc
	v_ashrrev_i32_e32 v3, 31, v2
	v_lshl_add_u64 v[6:7], v[2:3], 2, s[8:9]
	v_or_b32_e32 v2, 16, v1
	v_add_u32_e32 v3, v2, v4
	v_ashrrev_i32_e32 v3, 5, v3
	v_cmp_gt_i32_e32 vcc, s33, v2
	s_load_dwordx2 s[14:15], s[0:1], 0x8
	s_nop 0
	v_cndmask_b32_e32 v2, v5, v3, vcc
	v_ashrrev_i32_e32 v3, 31, v2
	v_lshl_add_u64 v[8:9], v[2:3], 2, s[8:9]
	v_or_b32_e32 v2, 32, v1
	v_add_u32_e32 v3, v2, v4
	v_ashrrev_i32_e32 v3, 5, v3
	v_cmp_gt_i32_e32 vcc, s33, v2
	v_or_b32_e32 v1, 48, v1
	s_nop 0
	v_cndmask_b32_e32 v2, v5, v3, vcc
	v_ashrrev_i32_e32 v3, 31, v2
	v_lshl_add_u64 v[10:11], v[2:3], 2, s[8:9]
	v_add_u32_e32 v2, v1, v4
	v_ashrrev_i32_e32 v2, 5, v2
	v_cmp_gt_i32_e32 vcc, s33, v1
	s_nop 1
	v_cndmask_b32_e32 v2, v5, v2, vcc
	v_ashrrev_i32_e32 v3, 31, v2
	v_lshl_add_u64 v[12:13], v[2:3], 2, s[8:9]
	global_load_dword v5, v[6:7], off
	global_load_dword v4, v[8:9], off
	;; [unrolled: 1-line block ×4, first 2 shown]
	s_andn2_b64 vcc, exec, s[10:11]
	s_cbranch_vccnz .LBB1187_8
; %bb.6:
	s_add_u32 s6, s6, s12
	s_addc_u32 s7, s7, s13
	s_load_dword s5, s[6:7], 0x0
	s_branch .LBB1187_9
.LBB1187_7:
	s_mov_b64 s[12:13], 0
	s_branch .LBB1187_2
.LBB1187_8:
	s_mov_b32 s5, s2
.LBB1187_9:
	s_load_dwordx2 s[10:11], s[0:1], 0x10
	s_load_dwordx4 s[44:47], s[0:1], 0x48
	v_and_b32_e32 v44, 15, v0
	v_bfe_u32 v42, v0, 4, 2
	s_lshl_b32 s23, s4, 2
	v_lshlrev_b32_e32 v6, 3, v44
	v_cmp_gt_u32_e32 vcc, 64, v0
	v_cmp_gt_u32_e64 s[6:7], 8, v44
	v_lshrrev_b32_e32 v43, 6, v0
	v_or_b32_e32 v1, s23, v42
	s_and_b64 s[48:49], vcc, s[6:7]
	v_lshlrev_b32_e32 v26, 1, v6
	v_lshlrev_b32_e32 v40, 5, v42
	;; [unrolled: 1-line block ×3, first 2 shown]
	s_and_saveexec_b64 s[6:7], s[48:49]
	s_cbranch_execz .LBB1187_11
; %bb.10:
	s_load_dwordx2 s[12:13], s[0:1], 0x0
	s_waitcnt lgkmcnt(0)
	s_ashr_i32 s18, s44, 31
	s_mul_hi_u32 s19, s5, s44
	s_mul_i32 s18, s5, s18
	s_add_i32 s19, s19, s18
	s_mul_i32 s18, s5, s44
	s_lshl_b64 s[18:19], s[18:19], 1
	s_add_u32 s12, s12, s18
	v_lshlrev_b32_e32 v6, 6, v1
	s_addc_u32 s13, s13, s19
	v_ashrrev_i32_e32 v7, 31, v6
	v_lshl_add_u64 v[6:7], v[6:7], 1, s[12:13]
	v_mov_b32_e32 v27, 0
	v_lshl_add_u64 v[6:7], v[6:7], 0, v[26:27]
	global_load_dwordx4 v[6:9], v[6:7], off
	v_lshlrev_b32_e32 v12, 8, v44
	v_lshl_or_b32 v10, v43, 7, v40
	v_and_b32_e32 v11, 16, v41
	v_and_b32_e32 v12, 0xe00, v12
	v_or3_b32 v10, v12, v10, v11
	s_waitcnt vmcnt(0)
	ds_write_b128 v10, v[6:9]
.LBB1187_11:
	s_or_b64 exec, exec, s[6:7]
	s_waitcnt lgkmcnt(0)
	s_mul_i32 s6, s4, s46
	s_add_u32 s4, s14, s6
	s_addc_u32 s5, s15, 0
	v_mov_b32_e32 v29, 0
	v_mov_b64_e32 v[6:7], s[4:5]
	v_lshlrev_b32_e32 v10, 4, v44
	v_and_b32_e32 v27, 48, v0
	s_waitcnt vmcnt(3)
	v_mad_i64_i32 v[8:9], s[4:5], v5, s45, v[6:7]
	v_mov_b32_e32 v11, v29
	s_waitcnt vmcnt(2)
	v_mad_i64_i32 v[4:5], s[4:5], v4, s45, v[6:7]
	v_or_b32_e32 v12, 0x100, v10
	v_mov_b32_e32 v13, v29
	v_lshlrev_b32_e32 v28, 5, v27
	v_lshl_add_u64 v[8:9], v[8:9], 0, v[10:11]
	v_lshl_add_u64 v[4:5], v[4:5], 0, v[12:13]
	;; [unrolled: 1-line block ×4, first 2 shown]
	s_barrier
	global_load_dwordx4 v[22:25], v[8:9], off
	global_load_dwordx4 v[18:21], v[4:5], off
	s_waitcnt vmcnt(3)
	v_mad_i64_i32 v[4:5], s[4:5], v3, s45, v[6:7]
	v_lshl_add_u64 v[4:5], v[4:5], 0, v[10:11]
	s_waitcnt vmcnt(2)
	v_mad_i64_i32 v[2:3], s[4:5], v2, s45, v[6:7]
	v_lshl_add_u64 v[4:5], v[4:5], 0, v[28:29]
	v_lshl_add_u64 v[2:3], v[2:3], 0, v[12:13]
	v_lshl_add_u64 v[2:3], v[2:3], 0, v[28:29]
	global_load_dwordx4 v[14:17], v[4:5], off
	global_load_dwordx4 v[6:9], v[2:3], off
	v_and_b32_e32 v2, 3, v0
	v_lshlrev_b32_e32 v2, 5, v2
	v_lshl_or_b32 v2, v42, 9, v2
	ds_read_b128 v[10:13], v2
	ds_read_b128 v[2:5], v2 offset:16
	v_and_b32_e32 v45, 63, v0
	v_cmp_gt_u32_e32 vcc, 4, v44
	v_mov_b32_e32 v46, 0
	s_and_saveexec_b64 s[4:5], vcc
	s_cbranch_execz .LBB1187_13
; %bb.12:
	s_load_dwordx2 s[12:13], s[0:1], 0x40
	v_or_b32_e32 v30, s23, v44
	v_ashrrev_i32_e32 v31, 31, v30
	s_waitcnt lgkmcnt(0)
	v_lshl_add_u64 v[30:31], v[30:31], 2, s[12:13]
	global_load_dword v46, v[30:31], off
.LBB1187_13:
	s_or_b64 exec, exec, s[4:5]
	s_ashr_i32 s4, s16, 31
	v_or_b32_e32 v47, s16, v27
	s_lshr_b32 s4, s4, 27
	v_add_u32_e32 v27, s4, v47
	v_ashrrev_i32_e32 v27, 5, v27
	v_mov_b32_e32 v67, s17
	v_cmp_gt_i32_e32 vcc, s33, v47
	s_waitcnt vmcnt(3)
	v_cvt_pk_f32_fp8_sdwa v[32:33], v22 src0_sel:WORD_1
	v_cvt_pk_f32_fp8_e32 v[34:35], v23
	v_cndmask_b32_e32 v30, v67, v27, vcc
	v_ashrrev_i32_e32 v31, 31, v30
	v_lshl_add_u64 v[30:31], v[30:31], 2, s[8:9]
	global_load_dword v74, v[30:31], off
	v_cvt_pk_f32_fp8_e32 v[30:31], v22
	v_cvt_pk_f32_fp8_sdwa v[22:23], v23 src0_sel:WORD_1
	s_waitcnt vmcnt(3)
	v_cvt_pk_f32_fp8_e32 v[50:51], v18
	v_cvt_pk_f32_fp8_sdwa v[52:53], v18 src0_sel:WORD_1
	v_or_b32_e32 v18, 64, v47
	v_cvt_pk_f32_fp8_e32 v[58:59], v20
	v_cvt_pk_f32_fp8_sdwa v[60:61], v20 src0_sel:WORD_1
	v_cvt_pk_f32_fp8_e32 v[62:63], v21
	v_cvt_pk_f32_fp8_sdwa v[64:65], v21 src0_sel:WORD_1
	v_or_b32_e32 v20, 0xc0, v47
	v_add_u32_e32 v21, s4, v18
	s_mov_b32 s44, 0x7060302
	v_cvt_pk_f32_fp8_e32 v[54:55], v19
	v_cvt_pk_f32_fp8_sdwa v[56:57], v19 src0_sel:WORD_1
	v_or_b32_e32 v19, 0x80, v47
	v_add_u32_e32 v66, s4, v20
	v_ashrrev_i32_e32 v21, 5, v21
	v_cmp_gt_i32_e32 vcc, s33, v18
	v_add_u32_e32 v47, s4, v19
	v_ashrrev_i32_e32 v69, 5, v66
	v_cndmask_b32_e32 v66, v67, v21, vcc
	v_cmp_gt_i32_e32 vcc, s33, v19
	v_perm_b32 v18, v31, v30, s44
	v_perm_b32 v19, v33, v32, s44
	v_cvt_pk_f32_fp8_sdwa v[38:39], v24 src0_sel:WORD_1
	v_perm_b32 v31, v23, v22, s44
	v_perm_b32 v22, v51, v50, s44
	;; [unrolled: 1-line block ×3, first 2 shown]
	v_cvt_pk_f32_fp8_e32 v[36:37], v24
	v_cvt_pk_f32_fp8_e32 v[48:49], v25
	v_cvt_pk_f32_fp8_sdwa v[24:25], v25 src0_sel:WORD_1
	v_ashrrev_i32_e32 v47, 5, v47
	v_perm_b32 v30, v35, v34, s44
	v_cndmask_b32_e32 v68, v67, v47, vcc
	v_cmp_gt_i32_e32 vcc, s33, v20
	v_perm_b32 v35, v39, v38, s44
	s_waitcnt lgkmcnt(1)
	v_mfma_f32_16x16x16_bf16 v[18:21], v[18:19], v[10:11], 0
	v_perm_b32 v38, v55, v54, s44
	v_perm_b32 v39, v57, v56, s44
	;; [unrolled: 1-line block ×4, first 2 shown]
	v_mfma_f32_16x16x16_bf16 v[22:25], v[22:23], v[10:11], 0
	s_load_dword s7, s[0:1], 0x1c
	s_load_dwordx4 s[40:43], s[0:1], 0x80
	v_perm_b32 v36, v49, v48, s44
	v_perm_b32 v48, v59, v58, s44
	;; [unrolled: 1-line block ×3, first 2 shown]
	v_mfma_f32_16x16x16_bf16 v[30:33], v[30:31], v[12:13], v[18:21]
	s_add_u32 s4, s10, s6
	v_and_b32_e32 v28, 16, v0
	v_lshlrev_b32_e32 v27, 5, v44
	v_mfma_f32_16x16x16_bf16 v[20:23], v[38:39], v[12:13], v[22:25]
	s_addc_u32 s5, s11, 0
	v_cndmask_b32_e32 v70, v67, v69, vcc
	v_lshl_add_u64 v[72:73], s[4:5], 0, v[28:29]
	v_lshl_or_b32 v28, v43, 9, v27
	v_ashrrev_i32_e32 v67, 31, v66
	v_ashrrev_i32_e32 v69, 31, v68
	v_ashrrev_i32_e32 v71, 31, v70
	v_lshl_add_u64 v[18:19], v[72:73], 0, v[28:29]
	s_waitcnt lgkmcnt(0)
	v_mfma_f32_16x16x16_bf16 v[28:31], v[34:35], v[2:3], v[30:33]
	v_lshl_add_u64 v[24:25], v[66:67], 2, s[8:9]
	v_lshl_add_u64 v[34:35], v[70:71], 2, s[8:9]
	s_load_dword s6, s[40:41], 0x0
	v_lshl_add_u64 v[32:33], v[68:69], 2, s[8:9]
	v_mfma_f32_16x16x16_bf16 v[20:23], v[48:49], v[2:3], v[20:23]
	global_load_dword v49, v[24:25], off
	global_load_dword v47, v[32:33], off
	;; [unrolled: 1-line block ×3, first 2 shown]
	s_waitcnt vmcnt(5)
	v_cvt_pk_f32_fp8_e32 v[32:33], v14
	v_cvt_pk_f32_fp8_sdwa v[34:35], v14 src0_sel:WORD_1
	v_perm_b32 v50, v63, v62, s44
	v_perm_b32 v51, v65, v64, s44
	v_mfma_f32_16x16x16_bf16 v[28:31], v[36:37], v[4:5], v[28:31]
	v_cvt_pk_f32_fp8_e32 v[36:37], v15
	v_perm_b32 v32, v33, v32, s44
	v_perm_b32 v33, v35, v34, s44
	v_cvt_pk_f32_fp8_sdwa v[14:15], v15 src0_sel:WORD_1
	v_mov_b32_e32 v38, s7
	s_waitcnt lgkmcnt(0)
	v_mul_f32_e32 v52, s6, v38
	v_mfma_f32_16x16x16_bf16 v[20:23], v[50:51], v[4:5], v[20:23]
	v_perm_b32 v36, v37, v36, s44
	v_cvt_pk_f32_fp8_e32 v[38:39], v16
	v_cvt_pk_f32_fp8_sdwa v[50:51], v16 src0_sel:WORD_1
	v_perm_b32 v37, v15, v14, s44
	v_mfma_f32_16x16x16_bf16 v[32:35], v[32:33], v[10:11], 0
	v_perm_b32 v38, v39, v38, s44
	v_perm_b32 v39, v51, v50, s44
	v_cvt_pk_f32_fp8_e32 v[50:51], v17
	v_cvt_pk_f32_fp8_sdwa v[54:55], v17 src0_sel:WORD_1
	v_mfma_f32_16x16x16_bf16 v[14:17], v[36:37], v[12:13], v[32:35]
	v_pk_mul_f32 v[36:37], v[52:53], v[28:29] op_sel_hi:[0,1]
	s_waitcnt vmcnt(4)
	v_cvt_pk_f32_fp8_e32 v[28:29], v6
	v_pk_mul_f32 v[30:31], v[52:53], v[30:31] op_sel_hi:[0,1]
	v_perm_b32 v32, v51, v50, s44
	v_perm_b32 v33, v55, v54, s44
	v_mfma_f32_16x16x16_bf16 v[14:17], v[38:39], v[2:3], v[14:17]
	v_cvt_pk_f32_fp8_sdwa v[34:35], v6 src0_sel:WORD_1
	v_perm_b32 v28, v29, v28, s44
	v_cvt_pk_f32_fp8_e32 v[50:51], v8
	v_mfma_f32_16x16x16_bf16 v[14:17], v[32:33], v[4:5], v[14:17]
	v_cvt_pk_f32_fp8_e32 v[32:33], v7
	v_perm_b32 v29, v35, v34, s44
	v_cvt_pk_f32_fp8_sdwa v[6:7], v7 src0_sel:WORD_1
	v_cvt_pk_f32_fp8_sdwa v[54:55], v8 src0_sel:WORD_1
	v_perm_b32 v38, v33, v32, s44
	v_mfma_f32_16x16x16_bf16 v[32:35], v[28:29], v[10:11], 0
	v_perm_b32 v39, v7, v6, s44
	v_perm_b32 v10, v51, v50, s44
	;; [unrolled: 1-line block ×3, first 2 shown]
	v_cvt_pk_f32_fp8_e32 v[28:29], v9
	v_cvt_pk_f32_fp8_sdwa v[50:51], v9 src0_sel:WORD_1
	v_mfma_f32_16x16x16_bf16 v[6:9], v[38:39], v[12:13], v[32:35]
	v_pk_mul_f32 v[38:39], v[52:53], v[20:21] op_sel_hi:[0,1]
	v_perm_b32 v12, v29, v28, s44
	v_perm_b32 v13, v51, v50, s44
	v_mfma_f32_16x16x16_bf16 v[6:9], v[10:11], v[2:3], v[6:9]
	v_pk_mul_f32 v[34:35], v[52:53], v[22:23] op_sel_hi:[0,1]
	v_pk_mul_f32 v[28:29], v[52:53], v[16:17] op_sel_hi:[0,1]
	;; [unrolled: 1-line block ×3, first 2 shown]
	v_mfma_f32_16x16x16_bf16 v[2:5], v[12:13], v[4:5], v[6:9]
	s_mov_b32 s40, 0xff7fffff
	s_waitcnt vmcnt(3)
	v_mad_i64_i32 v[24:25], s[4:5], v74, s45, v[18:19]
	s_nop 3
	v_pk_mul_f32 v[22:23], v[52:53], v[2:3] op_sel_hi:[0,1]
	v_and_b32_e32 v2, 0xc0, v0
	v_add_u32_e32 v2, s16, v2
	v_lshl_or_b32 v2, v42, 2, v2
	v_or_b32_e32 v3, 1, v2
	v_pk_mul_f32 v[20:21], v[52:53], v[4:5] op_sel_hi:[0,1]
	v_subrev_u32_e32 v4, s33, v3
	v_add_u32_e32 v6, 1, v4
	v_add_u32_e32 v7, 2, v4
	v_cvt_f32_i32_e32 v5, v4
	v_cvt_f32_i32_e32 v6, v6
	;; [unrolled: 1-line block ×3, first 2 shown]
	v_add_u32_e32 v8, 3, v4
	v_fma_f32 v9, v46, v5, v36
	v_fmac_f32_e32 v37, v46, v6
	v_fma_f32 v30, v46, v7, v30
	v_add_u32_e32 v5, 16, v4
	v_add_u32_e32 v6, 17, v4
	;; [unrolled: 1-line block ×3, first 2 shown]
	v_cvt_f32_i32_e32 v8, v8
	v_cvt_f32_i32_e32 v5, v5
	;; [unrolled: 1-line block ×4, first 2 shown]
	v_fmac_f32_e32 v31, v46, v8
	v_add_u32_e32 v8, 19, v4
	v_fma_f32 v38, v46, v5, v38
	v_fmac_f32_e32 v39, v46, v6
	v_fma_f32 v34, v46, v7, v34
	v_add_u32_e32 v5, 32, v4
	v_add_u32_e32 v6, 33, v4
	;; [unrolled: 1-line block ×3, first 2 shown]
	v_cvt_f32_i32_e32 v8, v8
	v_cvt_f32_i32_e32 v5, v5
	;; [unrolled: 1-line block ×4, first 2 shown]
	v_fmac_f32_e32 v35, v46, v8
	v_add_u32_e32 v8, 35, v4
	v_fma_f32 v50, v46, v5, v32
	v_fmac_f32_e32 v33, v46, v6
	v_fma_f32 v28, v46, v7, v28
	v_add_u32_e32 v5, 48, v4
	v_add_u32_e32 v6, 49, v4
	;; [unrolled: 1-line block ×4, first 2 shown]
	v_cvt_f32_i32_e32 v4, v4
	v_cvt_f32_i32_e32 v5, v5
	;; [unrolled: 1-line block ×3, first 2 shown]
	v_cmp_gt_i32_e64 s[24:25], s33, v2
	v_fmac_f32_e32 v21, v46, v4
	v_mov_b32_e32 v4, 0xff7fffff
	v_cmp_gt_i32_e64 s[26:27], s33, v3
	v_fma_f32 v22, v46, v5, v22
	v_cndmask_b32_e64 v5, v4, v9, s[24:25]
	v_cndmask_b32_e64 v3, v4, v37, s[26:27]
	v_fmac_f32_e32 v23, v46, v6
	v_max3_f32 v3, v5, s40, v3
	v_or_b32_e32 v5, 2, v2
	v_or_b32_e32 v6, 3, v2
	v_cmp_gt_i32_e64 s[28:29], s33, v5
	v_cmp_gt_i32_e64 s[30:31], s33, v6
	v_cvt_f32_i32_e32 v8, v8
	v_cndmask_b32_e64 v5, v4, v30, s[28:29]
	v_cndmask_b32_e64 v6, v4, v31, s[30:31]
	v_max3_f32 v3, v3, v5, v6
	v_or_b32_e32 v5, 16, v2
	v_or_b32_e32 v6, 17, v2
	v_cmp_gt_i32_e64 s[34:35], s33, v5
	v_cmp_gt_i32_e64 s[36:37], s33, v6
	v_fmac_f32_e32 v29, v46, v8
	v_cndmask_b32_e64 v5, v4, v38, s[34:35]
	v_cndmask_b32_e64 v6, v4, v39, s[36:37]
	v_max3_f32 v3, v3, v5, v6
	v_or_b32_e32 v5, 18, v2
	v_or_b32_e32 v6, 19, v2
	v_cmp_gt_i32_e64 s[18:19], s33, v5
	v_cmp_gt_i32_e64 s[20:21], s33, v6
	v_cvt_f32_i32_e32 v7, v7
	v_cndmask_b32_e64 v5, v4, v34, s[18:19]
	v_cndmask_b32_e64 v6, v4, v35, s[20:21]
	v_max3_f32 v3, v3, v5, v6
	v_or_b32_e32 v5, 32, v2
	v_or_b32_e32 v6, 33, v2
	v_cmp_gt_i32_e64 s[14:15], s33, v5
	v_cmp_gt_i32_e64 s[16:17], s33, v6
	v_fma_f32 v20, v46, v7, v20
	v_cndmask_b32_e64 v5, v4, v50, s[14:15]
	v_cndmask_b32_e64 v6, v4, v33, s[16:17]
	v_max3_f32 v3, v3, v5, v6
	v_or_b32_e32 v5, 34, v2
	v_or_b32_e32 v6, 35, v2
	v_cmp_gt_i32_e64 s[10:11], s33, v5
	v_cmp_gt_i32_e64 s[12:13], s33, v6
	s_nop 0
	v_cndmask_b32_e64 v5, v4, v28, s[10:11]
	v_cndmask_b32_e64 v6, v4, v29, s[12:13]
	v_max3_f32 v3, v3, v5, v6
	v_or_b32_e32 v5, 48, v2
	v_or_b32_e32 v6, 49, v2
	v_cmp_gt_i32_e64 s[6:7], s33, v5
	v_cmp_gt_i32_e64 s[8:9], s33, v6
	s_nop 0
	v_cndmask_b32_e64 v5, v4, v22, s[6:7]
	v_cndmask_b32_e64 v6, v4, v23, s[8:9]
	v_max3_f32 v3, v3, v5, v6
	v_or_b32_e32 v5, 50, v2
	v_or_b32_e32 v2, 51, v2
	v_cmp_gt_i32_e32 vcc, s33, v5
	v_cmp_gt_i32_e64 s[4:5], s33, v2
	s_nop 0
	v_cndmask_b32_e32 v5, v4, v20, vcc
	v_cndmask_b32_e64 v2, v4, v21, s[4:5]
	v_max3_f32 v4, v3, v5, v2
	v_mbcnt_lo_u32_b32 v2, -1, 0
	v_mbcnt_hi_u32_b32 v5, -1, v2
	v_and_b32_e32 v2, 64, v5
	v_add_u32_e32 v6, 64, v2
	v_xor_b32_e32 v2, 32, v5
	v_cmp_lt_i32_e64 s[38:39], v2, v6
	s_nop 1
	v_cndmask_b32_e64 v2, v5, v2, s[38:39]
	v_lshlrev_b32_e32 v46, 2, v2
	ds_bpermute_b32 v7, v46, v4
	s_waitcnt vmcnt(2)
	v_mad_i64_i32 v[2:3], s[38:39], v49, s45, v[18:19]
	global_load_dwordx4 v[14:17], v[24:25], off
	global_load_dwordx4 v[10:13], v[2:3], off
	s_waitcnt lgkmcnt(0)
	v_max_f32_e32 v2, v7, v7
	v_max_f32_e32 v7, v4, v2
	v_xor_b32_e32 v2, 16, v5
	v_cmp_lt_i32_e64 s[38:39], v2, v6
	s_nop 1
	v_cndmask_b32_e64 v2, v5, v2, s[38:39]
	v_lshlrev_b32_e32 v49, 2, v2
	ds_bpermute_b32 v6, v49, v7
	s_waitcnt vmcnt(3)
	v_mad_i64_i32 v[2:3], s[38:39], v47, s45, v[18:19]
	s_waitcnt vmcnt(2)
	v_mad_i64_i32 v[4:5], s[38:39], v48, s45, v[18:19]
	s_waitcnt lgkmcnt(0)
	v_max_f32_e32 v6, v6, v6
	v_max_f32_e32 v32, v7, v6
	v_sub_f32_e32 v6, v9, v32
	v_mul_f32_e32 v6, 0x3fb8aa3b, v6
	v_exp_f32_e32 v18, v6
	v_sub_f32_e32 v6, v37, v32
	v_mul_f32_e32 v6, 0x3fb8aa3b, v6
	v_exp_f32_e32 v19, v6
	global_load_dwordx4 v[6:9], v[2:3], off
	s_nop 0
	global_load_dwordx4 v[2:5], v[4:5], off
	v_sub_f32_e32 v25, v30, v32
	v_sub_f32_e32 v30, v31, v32
	v_mul_f32_e32 v25, 0x3fb8aa3b, v25
	v_mul_f32_e32 v30, 0x3fb8aa3b, v30
	v_exp_f32_e32 v25, v25
	v_exp_f32_e32 v30, v30
	v_cndmask_b32_e64 v18, 0, v18, s[24:25]
	v_add_f32_e32 v24, 0, v18
	v_cndmask_b32_e64 v36, 0, v25, s[28:29]
	v_cndmask_b32_e64 v37, 0, v30, s[30:31]
	v_sub_f32_e32 v25, v38, v32
	v_sub_f32_e32 v30, v39, v32
	v_mul_f32_e32 v25, 0x3fb8aa3b, v25
	v_mul_f32_e32 v30, 0x3fb8aa3b, v30
	v_exp_f32_e32 v25, v25
	v_exp_f32_e32 v30, v30
	v_cndmask_b32_e64 v19, 0, v19, s[26:27]
	v_add_f32_e32 v24, v24, v19
	v_add_f32_e32 v24, v24, v36
	;; [unrolled: 1-line block ×3, first 2 shown]
	v_cndmask_b32_e64 v24, 0, v25, s[34:35]
	v_cndmask_b32_e64 v25, 0, v30, s[36:37]
	v_sub_f32_e32 v30, v34, v32
	v_mul_f32_e32 v30, 0x3fb8aa3b, v30
	v_exp_f32_e32 v30, v30
	v_sub_f32_e32 v34, v35, v32
	v_add_f32_e32 v31, v31, v24
	v_mul_f32_e32 v34, 0x3fb8aa3b, v34
	v_exp_f32_e32 v35, v34
	v_add_f32_e32 v31, v31, v25
	v_cndmask_b32_e64 v34, 0, v30, s[18:19]
	v_add_f32_e32 v30, v31, v34
	v_sub_f32_e32 v31, v50, v32
	v_mul_f32_e32 v31, 0x3fb8aa3b, v31
	v_sub_f32_e32 v33, v33, v32
	v_exp_f32_e32 v31, v31
	v_mul_f32_e32 v33, 0x3fb8aa3b, v33
	v_sub_f32_e32 v28, v28, v32
	v_exp_f32_e32 v33, v33
	;; [unrolled: 3-line block ×3, first 2 shown]
	v_mul_f32_e32 v29, 0x3fb8aa3b, v29
	v_sub_f32_e32 v22, v22, v32
	v_cndmask_b32_e64 v35, 0, v35, s[20:21]
	v_exp_f32_e32 v29, v29
	v_mul_f32_e32 v22, 0x3fb8aa3b, v22
	v_sub_f32_e32 v23, v23, v32
	v_add_f32_e32 v38, v30, v35
	v_cndmask_b32_e64 v30, 0, v31, s[14:15]
	v_exp_f32_e32 v22, v22
	v_mul_f32_e32 v23, 0x3fb8aa3b, v23
	v_sub_f32_e32 v20, v20, v32
	v_add_f32_e32 v38, v38, v30
	;; [unrolled: 5-line block ×3, first 2 shown]
	v_cndmask_b32_e64 v28, 0, v28, s[10:11]
	v_exp_f32_e32 v20, v20
	v_mul_f32_e32 v21, 0x3fb8aa3b, v21
	v_add_f32_e32 v33, v33, v28
	v_cndmask_b32_e64 v29, 0, v29, s[12:13]
	v_exp_f32_e32 v21, v21
	v_add_f32_e32 v33, v33, v29
	v_cndmask_b32_e64 v22, 0, v22, s[6:7]
	v_add_f32_e32 v33, v33, v22
	v_cndmask_b32_e64 v23, 0, v23, s[8:9]
	v_add_f32_e32 v33, v33, v23
	v_cndmask_b32_e32 v20, 0, v20, vcc
	v_add_f32_e32 v33, v33, v20
	v_cndmask_b32_e64 v21, 0, v21, s[4:5]
	v_add_f32_e32 v33, v33, v21
	ds_bpermute_b32 v38, v46, v33
	s_load_dword s7, s[0:1], 0x98
	v_cmp_gt_u32_e32 vcc, 16, v45
	s_waitcnt lgkmcnt(0)
	s_barrier
	v_add_f32_e32 v38, v33, v38
	ds_bpermute_b32 v39, v49, v38
	v_lshlrev_b32_e32 v33, 2, v44
	s_waitcnt lgkmcnt(0)
	s_and_saveexec_b64 s[4:5], vcc
	s_cbranch_execz .LBB1187_15
; %bb.14:
	v_add_f32_e32 v38, v38, v39
	v_lshl_or_b32 v39, v43, 6, v33
	ds_write2st64_b32 v39, v32, v38 offset1:1
.LBB1187_15:
	s_or_b64 exec, exec, s[4:5]
	s_load_dword s6, s[0:1], 0x94
	s_waitcnt lgkmcnt(0)
	s_barrier
	ds_read2_b32 v[38:39], v33 offset1:16
	ds_read2_b32 v[44:45], v33 offset0:32 offset1:48
	ds_read2_b32 v[46:47], v33 offset0:64 offset1:80
	s_movk_i32 s8, 0x7fff
	s_lshl_b32 s7, s7, 2
	s_waitcnt lgkmcnt(2)
	v_max3_f32 v32, v38, s40, v39
	s_waitcnt lgkmcnt(1)
	v_max3_f32 v32, v32, v44, v45
	v_sub_f32_e32 v38, v38, v32
	v_mul_f32_e32 v38, 0x3fb8aa3b, v38
	v_exp_f32_e32 v48, v38
	v_sub_f32_e32 v38, v39, v32
	v_mul_f32_e32 v38, 0x3fb8aa3b, v38
	v_exp_f32_e32 v49, v38
	;; [unrolled: 3-line block ×3, first 2 shown]
	ds_read2_b32 v[38:39], v33 offset0:96 offset1:112
	v_sub_f32_e32 v33, v45, v32
	v_mul_f32_e32 v33, 0x3fb8aa3b, v33
	v_exp_f32_e32 v45, v33
	s_waitcnt lgkmcnt(1)
	v_fma_f32 v33, v48, v46, 0
	v_fmac_f32_e32 v33, v49, v47
	s_waitcnt lgkmcnt(0)
	v_fmac_f32_e32 v33, v44, v38
	v_fmac_f32_e32 v33, v45, v39
	v_add_f32_e32 v38, 0x358637bd, v33
	v_div_scale_f32 v39, s[4:5], v38, v38, 1.0
	v_rcp_f32_e32 v46, v39
	s_barrier
	v_fma_f32 v47, -v39, v46, 1.0
	v_fmac_f32_e32 v46, v47, v46
	v_div_scale_f32 v47, vcc, 1.0, v38, 1.0
	v_mul_f32_e32 v50, v47, v46
	v_fma_f32 v51, -v39, v50, v47
	v_fmac_f32_e32 v50, v51, v46
	v_fma_f32 v39, -v39, v50, v47
	v_div_fmas_f32 v39, v39, v46, v50
	v_cmp_eq_u32_e32 vcc, 1, v43
	v_div_fixup_f32 v38, v39, v38, 1.0
	s_nop 0
	v_cndmask_b32_e32 v39, v48, v49, vcc
	v_cmp_eq_u32_e32 vcc, 2, v43
	s_nop 1
	v_cndmask_b32_e32 v39, v39, v44, vcc
	v_cmp_eq_u32_e32 vcc, 3, v43
	s_nop 1
	v_cndmask_b32_e32 v39, v39, v45, vcc
	v_mul_f32_e32 v38, v39, v38
	v_pk_mul_f32 v[18:19], v[38:39], v[18:19] op_sel_hi:[0,1]
	v_pk_mul_f32 v[36:37], v[38:39], v[36:37] op_sel_hi:[0,1]
	v_bfe_u32 v39, v19, 16, 1
	v_bfe_u32 v44, v18, 16, 1
	v_add3_u32 v18, v18, v44, s8
	v_add3_u32 v19, v19, v39, s8
	v_perm_b32 v44, v19, v18, s44
	v_bfe_u32 v18, v37, 16, 1
	v_bfe_u32 v19, v36, 16, 1
	v_add3_u32 v19, v36, v19, s8
	v_add3_u32 v18, v37, v18, s8
	v_perm_b32 v45, v18, v19, s44
	v_lshlrev_b32_e32 v18, 3, v42
	v_lshlrev_b32_e32 v19, 11, v43
	v_pk_mul_f32 v[24:25], v[38:39], v[24:25] op_sel_hi:[0,1]
	v_or3_b32 v18, v19, v27, v18
	v_bfe_u32 v19, v25, 16, 1
	v_bfe_u32 v36, v24, 16, 1
	v_pk_mul_f32 v[34:35], v[38:39], v[34:35] op_sel_hi:[0,1]
	v_add3_u32 v24, v24, v36, s8
	v_add3_u32 v19, v25, v19, s8
	v_perm_b32 v24, v19, v24, s44
	v_bfe_u32 v19, v35, 16, 1
	v_bfe_u32 v25, v34, 16, 1
	v_add3_u32 v25, v34, v25, s8
	v_add3_u32 v19, v35, v19, s8
	v_perm_b32 v25, v19, v25, s44
	ds_write2st64_b64 v18, v[44:45], v[24:25] offset1:1
	v_pk_mul_f32 v[24:25], v[38:39], v[28:29] op_sel_hi:[0,1]
	v_pk_mul_f32 v[28:29], v[38:39], v[30:31] op_sel_hi:[0,1]
	v_bfe_u32 v19, v29, 16, 1
	v_bfe_u32 v30, v28, 16, 1
	v_add3_u32 v28, v28, v30, s8
	v_add3_u32 v19, v29, v19, s8
	v_perm_b32 v28, v19, v28, s44
	v_bfe_u32 v19, v25, 16, 1
	v_bfe_u32 v29, v24, 16, 1
	v_add3_u32 v24, v24, v29, s8
	v_add3_u32 v19, v25, v19, s8
	v_pk_mul_f32 v[22:23], v[38:39], v[22:23] op_sel_hi:[0,1]
	v_perm_b32 v29, v19, v24, s44
	v_bfe_u32 v19, v23, 16, 1
	v_bfe_u32 v24, v22, 16, 1
	v_pk_mul_f32 v[20:21], v[38:39], v[20:21] op_sel_hi:[0,1]
	v_add3_u32 v22, v22, v24, s8
	v_add3_u32 v19, v23, v19, s8
	v_perm_b32 v22, v19, v22, s44
	v_bfe_u32 v19, v21, 16, 1
	v_bfe_u32 v23, v20, 16, 1
	v_add3_u32 v20, v20, v23, s8
	v_add3_u32 v19, v21, v19, s8
	v_perm_b32 v23, v19, v20, s44
	v_cmp_gt_u32_e32 vcc, 4, v0
	ds_write2st64_b64 v18, v[28:29], v[22:23] offset0:2 offset1:3
	s_and_saveexec_b64 s[4:5], vcc
	s_cbranch_execz .LBB1187_17
; %bb.16:
	v_or_b32_e32 v20, s23, v0
	v_mov_b32_e32 v21, 0
	v_mov_b32_e32 v19, s7
	v_mad_u64_u32 v[22:23], s[10:11], s2, v19, v[20:21]
	v_mov_b32_e32 v20, s22
	s_load_dwordx4 s[12:15], s[0:1], 0x58
	s_mul_i32 s3, s3, s7
	v_mad_u64_u32 v[20:21], s[10:11], v22, s6, v[20:21]
	v_add_u32_e32 v19, s3, v23
	v_mov_b32_e32 v22, v21
	v_mad_u64_u32 v[22:23], s[10:11], v19, s6, v[22:23]
	v_mov_b32_e32 v21, v22
	v_lshlrev_b64 v[20:21], 2, v[20:21]
	s_waitcnt lgkmcnt(0)
	v_lshl_add_u64 v[22:23], s[14:15], 0, v[20:21]
	v_lshl_add_u64 v[20:21], s[12:13], 0, v[20:21]
	global_store_dword v[22:23], v32, off
	global_store_dword v[20:21], v33, off
.LBB1187_17:
	s_or_b64 exec, exec, s[4:5]
	s_waitcnt vmcnt(3)
	v_cvt_pk_f32_fp8_e32 v[20:21], v14
	v_cvt_pk_f32_fp8_sdwa v[22:23], v14 src0_sel:WORD_1
	s_mov_b32 s4, 0x7060302
	v_lshl_or_b32 v14, v42, 9, v27
	s_waitcnt lgkmcnt(0)
	s_barrier
	v_perm_b32 v24, v21, v20, s4
	v_perm_b32 v25, v23, v22, s4
	v_cvt_pk_f32_fp8_e32 v[28:29], v15
	ds_read_b128 v[20:23], v14
	v_cvt_pk_f32_fp8_sdwa v[36:37], v15 src0_sel:WORD_1
	s_load_dword s10, s[42:43], 0x0
	v_perm_b32 v38, v29, v28, s4
	ds_read_b128 v[28:31], v14 offset:16
	v_perm_b32 v39, v37, v36, s4
	s_waitcnt lgkmcnt(0)
	v_mfma_f32_16x16x16_bf16 v[32:35], v[24:25], v[20:21], 0
	v_cvt_pk_f32_fp8_e32 v[24:25], v16
	v_cvt_pk_f32_fp8_sdwa v[36:37], v16 src0_sel:WORD_1
	s_mov_b32 s3, 0
	v_mfma_f32_16x16x16_bf16 v[20:23], v[38:39], v[22:23], v[32:35]
	v_perm_b32 v24, v25, v24, s4
	v_perm_b32 v25, v37, v36, s4
	v_mov_b32_e32 v27, 0
	v_cvt_pk_f32_fp8_e32 v[32:33], v17
	v_cvt_pk_f32_fp8_sdwa v[16:17], v17 src0_sel:WORD_1
	s_waitcnt vmcnt(2)
	v_cvt_pk_f32_fp8_sdwa v[34:35], v10 src0_sel:WORD_1
	v_mfma_f32_16x16x16_bf16 v[20:23], v[24:25], v[28:29], v[20:23]
	v_perm_b32 v36, v33, v32, s4
	v_cvt_pk_f32_fp8_e32 v[32:33], v10
	v_perm_b32 v37, v17, v16, s4
	v_perm_b32 v17, v35, v34, s4
	v_cvt_pk_f32_fp8_e32 v[24:25], v11
	v_perm_b32 v16, v33, v32, s4
	ds_read_b128 v[32:35], v14 offset:2048
	v_cvt_pk_f32_fp8_sdwa v[10:11], v11 src0_sel:WORD_1
	v_mfma_f32_16x16x16_bf16 v[20:23], v[36:37], v[30:31], v[20:23]
	ds_read_b128 v[28:31], v14 offset:2064
	v_perm_b32 v24, v25, v24, s4
	v_perm_b32 v25, v11, v10, s4
	s_waitcnt lgkmcnt(1)
	v_mfma_f32_16x16x16_bf16 v[20:23], v[16:17], v[32:33], v[20:23]
	v_cvt_pk_f32_fp8_e32 v[10:11], v12
	v_cvt_pk_f32_fp8_sdwa v[16:17], v12 src0_sel:WORD_1
	s_waitcnt vmcnt(1)
	v_cvt_pk_f32_fp8_sdwa v[32:33], v6 src0_sel:WORD_1
	v_mfma_f32_16x16x16_bf16 v[20:23], v[24:25], v[34:35], v[20:23]
	v_cvt_pk_f32_fp8_e32 v[24:25], v13
	v_perm_b32 v10, v11, v10, s4
	v_perm_b32 v11, v17, v16, s4
	v_cvt_pk_f32_fp8_sdwa v[12:13], v13 src0_sel:WORD_1
	v_perm_b32 v16, v25, v24, s4
	v_cvt_pk_f32_fp8_e32 v[24:25], v6
	v_perm_b32 v17, v13, v12, s4
	s_waitcnt lgkmcnt(0)
	v_mfma_f32_16x16x16_bf16 v[10:13], v[10:11], v[28:29], v[20:23]
	v_perm_b32 v24, v25, v24, s4
	v_perm_b32 v25, v33, v32, s4
	v_cvt_pk_f32_fp8_e32 v[28:29], v7
	ds_read_b128 v[20:23], v14 offset:4096
	v_cvt_pk_f32_fp8_sdwa v[6:7], v7 src0_sel:WORD_1
	v_mfma_f32_16x16x16_bf16 v[10:13], v[16:17], v[30:31], v[10:13]
	v_perm_b32 v16, v29, v28, s4
	ds_read_b128 v[28:31], v14 offset:4112
	v_perm_b32 v17, v7, v6, s4
	s_waitcnt lgkmcnt(1)
	v_mfma_f32_16x16x16_bf16 v[10:13], v[24:25], v[20:21], v[10:13]
	v_cvt_pk_f32_fp8_e32 v[6:7], v8
	v_cvt_pk_f32_fp8_sdwa v[20:21], v8 src0_sel:WORD_1
	v_perm_b32 v6, v7, v6, s4
	v_mfma_f32_16x16x16_bf16 v[10:13], v[16:17], v[22:23], v[10:13]
	v_cvt_pk_f32_fp8_e32 v[16:17], v9
	v_perm_b32 v7, v21, v20, s4
	v_cvt_pk_f32_fp8_sdwa v[8:9], v9 src0_sel:WORD_1
	s_waitcnt vmcnt(0)
	v_cvt_pk_f32_fp8_e32 v[20:21], v2
	v_perm_b32 v16, v17, v16, s4
	v_cvt_pk_f32_fp8_sdwa v[22:23], v2 src0_sel:WORD_1
	v_perm_b32 v17, v9, v8, s4
	s_waitcnt lgkmcnt(0)
	v_mfma_f32_16x16x16_bf16 v[6:9], v[6:7], v[28:29], v[10:13]
	v_perm_b32 v20, v21, v20, s4
	v_perm_b32 v21, v23, v22, s4
	v_cvt_pk_f32_fp8_e32 v[22:23], v3
	ds_read_b128 v[10:13], v14 offset:6144
	v_cvt_pk_f32_fp8_sdwa v[2:3], v3 src0_sel:WORD_1
	v_mfma_f32_16x16x16_bf16 v[6:9], v[16:17], v[30:31], v[6:9]
	v_perm_b32 v22, v23, v22, s4
	ds_read_b128 v[14:17], v14 offset:6160
	v_perm_b32 v23, v3, v2, s4
	s_waitcnt lgkmcnt(1)
	v_mfma_f32_16x16x16_bf16 v[6:9], v[20:21], v[10:11], v[6:9]
	v_cvt_pk_f32_fp8_e32 v[2:3], v4
	v_cvt_pk_f32_fp8_sdwa v[10:11], v4 src0_sel:WORD_1
	s_waitcnt lgkmcnt(0)
	v_mfma_f32_16x16x16_bf16 v[6:9], v[22:23], v[12:13], v[6:9]
	v_perm_b32 v2, v3, v2, s4
	v_perm_b32 v3, v11, v10, s4
	v_cvt_pk_f32_fp8_e32 v[10:11], v5
	v_cvt_pk_f32_fp8_sdwa v[4:5], v5 src0_sel:WORD_1
	s_barrier
	v_perm_b32 v10, v11, v10, s4
	v_perm_b32 v11, v5, v4, s4
	v_mfma_f32_16x16x16_bf16 v[2:5], v[2:3], v[14:15], v[6:9]
	s_nop 0
	v_mfma_f32_16x16x16_bf16 v[2:5], v[10:11], v[16:17], v[2:5]
	s_nop 6
	v_pk_mul_f32 v[2:3], v[2:3], s[10:11] op_sel_hi:[1,0]
	v_pk_mul_f32 v[4:5], v[4:5], s[10:11] op_sel_hi:[1,0]
	v_bfe_u32 v6, v3, 16, 1
	v_bfe_u32 v7, v2, 16, 1
	v_add3_u32 v2, v2, v7, s8
	v_add3_u32 v3, v3, v6, s8
	v_perm_b32 v2, v3, v2, s4
	v_bfe_u32 v3, v5, 16, 1
	v_bfe_u32 v6, v4, 16, 1
	v_add3_u32 v4, v4, v6, s8
	v_add3_u32 v3, v5, v3, s8
	v_perm_b32 v3, v3, v4, s4
	ds_write_b64 v18, v[2:3]
	s_waitcnt lgkmcnt(0)
	s_barrier
	s_and_saveexec_b64 s[4:5], s[48:49]
	s_cbranch_execz .LBB1187_19
; %bb.18:
	s_load_dwordx2 s[0:1], s[0:1], 0x68
	s_lshl_b32 s6, s6, 6
	s_mul_i32 s2, s7, s2
	s_mul_hi_u32 s5, s2, s6
	s_mul_i32 s4, s2, s6
	v_lshlrev_b32_e32 v0, 10, v0
	s_lshl_b64 s[4:5], s[4:5], 1
	v_and_b32_e32 v0, 0x1800, v0
	v_and_b32_e32 v2, 16, v41
	s_waitcnt lgkmcnt(0)
	s_add_u32 s4, s0, s4
	v_or3_b32 v0, v0, v40, v2
	s_addc_u32 s5, s1, s5
	s_lshl_b32 s2, s22, 6
	ds_read_b128 v[2:5], v0
	s_lshl_b64 s[0:1], s[2:3], 1
	s_add_u32 s0, s4, s0
	s_addc_u32 s1, s5, s1
	v_mad_u64_u32 v[0:1], s[2:3], s6, v1, 0
	v_lshl_add_u64 v[0:1], v[0:1], 1, s[0:1]
	v_lshl_add_u64 v[0:1], v[0:1], 0, v[26:27]
	s_waitcnt lgkmcnt(0)
	global_store_dwordx4 v[0:1], v[2:5], off
.LBB1187_19:
	s_endpgm
	.section	.rodata,"a",@progbits
	.p2align	6, 0x0
	.amdhsa_kernel _Z39paged_attention_ll4mi_QKV_mfma16_kernelI14__hip_bfloat16hLN4vllm18Fp8KVCacheDataTypeE1EhLi32ELi64ELi256ELb1ELi4EEvPKT_PKT0_S8_ifPKiSA_SA_iPKfiiiPfSD_PS3_PT2_iSC_SC_
		.amdhsa_group_segment_fixed_size 8192
		.amdhsa_private_segment_fixed_size 0
		.amdhsa_kernarg_size 400
		.amdhsa_user_sgpr_count 2
		.amdhsa_user_sgpr_dispatch_ptr 0
		.amdhsa_user_sgpr_queue_ptr 0
		.amdhsa_user_sgpr_kernarg_segment_ptr 1
		.amdhsa_user_sgpr_dispatch_id 0
		.amdhsa_user_sgpr_kernarg_preload_length 0
		.amdhsa_user_sgpr_kernarg_preload_offset 0
		.amdhsa_user_sgpr_private_segment_size 0
		.amdhsa_uses_dynamic_stack 0
		.amdhsa_enable_private_segment 0
		.amdhsa_system_sgpr_workgroup_id_x 1
		.amdhsa_system_sgpr_workgroup_id_y 1
		.amdhsa_system_sgpr_workgroup_id_z 1
		.amdhsa_system_sgpr_workgroup_info 0
		.amdhsa_system_vgpr_workitem_id 0
		.amdhsa_next_free_vgpr 75
		.amdhsa_next_free_sgpr 50
		.amdhsa_accum_offset 76
		.amdhsa_reserve_vcc 1
		.amdhsa_float_round_mode_32 0
		.amdhsa_float_round_mode_16_64 0
		.amdhsa_float_denorm_mode_32 3
		.amdhsa_float_denorm_mode_16_64 3
		.amdhsa_dx10_clamp 1
		.amdhsa_ieee_mode 1
		.amdhsa_fp16_overflow 0
		.amdhsa_tg_split 0
		.amdhsa_exception_fp_ieee_invalid_op 0
		.amdhsa_exception_fp_denorm_src 0
		.amdhsa_exception_fp_ieee_div_zero 0
		.amdhsa_exception_fp_ieee_overflow 0
		.amdhsa_exception_fp_ieee_underflow 0
		.amdhsa_exception_fp_ieee_inexact 0
		.amdhsa_exception_int_div_zero 0
	.end_amdhsa_kernel
	.section	.text._Z39paged_attention_ll4mi_QKV_mfma16_kernelI14__hip_bfloat16hLN4vllm18Fp8KVCacheDataTypeE1EhLi32ELi64ELi256ELb1ELi4EEvPKT_PKT0_S8_ifPKiSA_SA_iPKfiiiPfSD_PS3_PT2_iSC_SC_,"axG",@progbits,_Z39paged_attention_ll4mi_QKV_mfma16_kernelI14__hip_bfloat16hLN4vllm18Fp8KVCacheDataTypeE1EhLi32ELi64ELi256ELb1ELi4EEvPKT_PKT0_S8_ifPKiSA_SA_iPKfiiiPfSD_PS3_PT2_iSC_SC_,comdat
.Lfunc_end1187:
	.size	_Z39paged_attention_ll4mi_QKV_mfma16_kernelI14__hip_bfloat16hLN4vllm18Fp8KVCacheDataTypeE1EhLi32ELi64ELi256ELb1ELi4EEvPKT_PKT0_S8_ifPKiSA_SA_iPKfiiiPfSD_PS3_PT2_iSC_SC_, .Lfunc_end1187-_Z39paged_attention_ll4mi_QKV_mfma16_kernelI14__hip_bfloat16hLN4vllm18Fp8KVCacheDataTypeE1EhLi32ELi64ELi256ELb1ELi4EEvPKT_PKT0_S8_ifPKiSA_SA_iPKfiiiPfSD_PS3_PT2_iSC_SC_
                                        ; -- End function
	.section	.AMDGPU.csdata,"",@progbits
; Kernel info:
; codeLenInByte = 5104
; NumSgprs: 56
; NumVgprs: 75
; NumAgprs: 0
; TotalNumVgprs: 75
; ScratchSize: 0
; MemoryBound: 0
; FloatMode: 240
; IeeeMode: 1
; LDSByteSize: 8192 bytes/workgroup (compile time only)
; SGPRBlocks: 6
; VGPRBlocks: 9
; NumSGPRsForWavesPerEU: 56
; NumVGPRsForWavesPerEU: 75
; AccumOffset: 76
; Occupancy: 6
; WaveLimiterHint : 1
; COMPUTE_PGM_RSRC2:SCRATCH_EN: 0
; COMPUTE_PGM_RSRC2:USER_SGPR: 2
; COMPUTE_PGM_RSRC2:TRAP_HANDLER: 0
; COMPUTE_PGM_RSRC2:TGID_X_EN: 1
; COMPUTE_PGM_RSRC2:TGID_Y_EN: 1
; COMPUTE_PGM_RSRC2:TGID_Z_EN: 1
; COMPUTE_PGM_RSRC2:TIDIG_COMP_CNT: 0
; COMPUTE_PGM_RSRC3_GFX90A:ACCUM_OFFSET: 18
; COMPUTE_PGM_RSRC3_GFX90A:TG_SPLIT: 0
	.section	.text._Z38paged_attention_ll4mi_QKV_mfma4_kernelI14__hip_bfloat16hLN4vllm18Fp8KVCacheDataTypeE1EhLi32ELi64ELi256ELb0ELi1EEvPKT_PKT0_S8_ifPKiSA_SA_iPKfiiiPfSD_PS3_PT2_iSC_SC_,"axG",@progbits,_Z38paged_attention_ll4mi_QKV_mfma4_kernelI14__hip_bfloat16hLN4vllm18Fp8KVCacheDataTypeE1EhLi32ELi64ELi256ELb0ELi1EEvPKT_PKT0_S8_ifPKiSA_SA_iPKfiiiPfSD_PS3_PT2_iSC_SC_,comdat
	.protected	_Z38paged_attention_ll4mi_QKV_mfma4_kernelI14__hip_bfloat16hLN4vllm18Fp8KVCacheDataTypeE1EhLi32ELi64ELi256ELb0ELi1EEvPKT_PKT0_S8_ifPKiSA_SA_iPKfiiiPfSD_PS3_PT2_iSC_SC_ ; -- Begin function _Z38paged_attention_ll4mi_QKV_mfma4_kernelI14__hip_bfloat16hLN4vllm18Fp8KVCacheDataTypeE1EhLi32ELi64ELi256ELb0ELi1EEvPKT_PKT0_S8_ifPKiSA_SA_iPKfiiiPfSD_PS3_PT2_iSC_SC_
	.globl	_Z38paged_attention_ll4mi_QKV_mfma4_kernelI14__hip_bfloat16hLN4vllm18Fp8KVCacheDataTypeE1EhLi32ELi64ELi256ELb0ELi1EEvPKT_PKT0_S8_ifPKiSA_SA_iPKfiiiPfSD_PS3_PT2_iSC_SC_
	.p2align	8
	.type	_Z38paged_attention_ll4mi_QKV_mfma4_kernelI14__hip_bfloat16hLN4vllm18Fp8KVCacheDataTypeE1EhLi32ELi64ELi256ELb0ELi1EEvPKT_PKT0_S8_ifPKiSA_SA_iPKfiiiPfSD_PS3_PT2_iSC_SC_,@function
_Z38paged_attention_ll4mi_QKV_mfma4_kernelI14__hip_bfloat16hLN4vllm18Fp8KVCacheDataTypeE1EhLi32ELi64ELi256ELb0ELi1EEvPKT_PKT0_S8_ifPKiSA_SA_iPKfiiiPfSD_PS3_PT2_iSC_SC_: ; @_Z38paged_attention_ll4mi_QKV_mfma4_kernelI14__hip_bfloat16hLN4vllm18Fp8KVCacheDataTypeE1EhLi32ELi64ELi256ELb0ELi1EEvPKT_PKT0_S8_ifPKiSA_SA_iPKfiiiPfSD_PS3_PT2_iSC_SC_
; %bb.0:
	s_load_dwordx2 s[20:21], s[0:1], 0x30
	s_mov_b32 s24, s3
	s_mov_b64 s[6:7], 0
	s_waitcnt lgkmcnt(0)
	s_cmp_lg_u64 s[20:21], 0
	s_cselect_b64 s[22:23], -1, 0
	s_and_b64 vcc, exec, s[22:23]
	s_cbranch_vccz .LBB1188_10
; %bb.1:
	s_add_i32 s8, s2, 1
	s_mov_b32 s9, 0
	s_lshl_b64 s[10:11], s[8:9], 2
	s_add_u32 s10, s20, s10
	s_mov_b32 s3, s9
	s_addc_u32 s11, s21, s11
	s_lshl_b64 s[8:9], s[2:3], 2
	s_add_u32 s8, s20, s8
	s_addc_u32 s9, s21, s9
	s_load_dword s5, s[10:11], 0x0
	s_load_dword s12, s[8:9], 0x0
	s_waitcnt lgkmcnt(0)
	s_sub_i32 s5, s5, s12
	s_cmp_eq_u32 s5, 1
	s_cselect_b64 s[8:9], -1, 0
	s_andn2_b64 vcc, exec, s[6:7]
	s_cbranch_vccnz .LBB1188_3
.LBB1188_2:
	s_mov_b32 s3, 0
	s_mov_b64 s[8:9], -1
.LBB1188_3:
	s_andn2_b64 vcc, exec, s[8:9]
	s_cbranch_vccnz .LBB1188_23
; %bb.4:
	s_load_dword s5, s[0:1], 0x9c
	s_load_dwordx2 s[6:7], s[0:1], 0x28
	s_add_u32 s28, s0, 0x90
	s_addc_u32 s29, s1, 0
	s_lshl_b64 s[34:35], s[2:3], 2
	s_waitcnt lgkmcnt(0)
	s_and_b32 s5, s5, 0xffff
	s_add_u32 s6, s6, s34
	s_addc_u32 s7, s7, s35
	s_load_dword s3, s[6:7], 0x0
	s_mul_i32 s10, s24, s5
	s_waitcnt lgkmcnt(0)
	s_cmp_ge_i32 s10, s3
	s_cbranch_scc1 .LBB1188_23
; %bb.5:
	v_and_b32_e32 v2, 0xc0, v0
	v_add_u32_e32 v4, s10, v2
	v_lshrrev_b32_e32 v1, 6, v0
	v_cmp_gt_i32_e64 s[6:7], s3, v4
	v_cmp_le_i32_e32 vcc, s3, v4
                                        ; implicit-def: $sgpr25
                                        ; implicit-def: $sgpr11
	s_and_saveexec_b64 s[8:9], vcc
	s_xor_b64 s[8:9], exec, s[8:9]
	s_cbranch_execz .LBB1188_7
; %bb.6:
	v_mul_u32_u24_e32 v2, 20, v1
	v_or_b32_e32 v2, 0xa00, v2
	v_mov_b32_e32 v3, 0xa50
	v_mov_b32_e32 v4, 0xff7fffff
	v_mad_u32_u24 v3, v1, 20, v3
	ds_write2_b32 v2, v4, v4 offset1:1
	v_mov_b32_e32 v2, 0
	ds_write2_b32 v3, v2, v2 offset1:1
	v_mov_b32_e32 v3, 0xa08
	s_mov_b32 s11, 0xff7fffff
	s_mov_b32 s25, 0
	v_mad_u32_u24 v3, v1, 20, v3
	v_mov_b32_e32 v5, 0xa58
	v_mad_u32_u24 v5, v1, 20, v5
	ds_write2_b32 v3, v4, v4 offset1:1
	ds_write2_b32 v5, v2, v2 offset1:1
                                        ; implicit-def: $vgpr4
.LBB1188_7:
	s_or_saveexec_b64 s[30:31], s[8:9]
	s_load_dwordx2 s[26:27], s[0:1], 0x68
	s_load_dwordx4 s[16:19], s[0:1], 0x58
	s_load_dword s5, s[28:29], 0x4
	s_load_dwordx4 s[12:15], s[0:1], 0x80
	v_and_b32_e32 v30, 63, v0
	v_and_b32_e32 v31, 3, v0
	v_mov_b32_e32 v21, s25
	v_mov_b32_e32 v24, s11
	;; [unrolled: 1-line block ×5, first 2 shown]
                                        ; implicit-def: $vgpr10_vgpr11
                                        ; implicit-def: $vgpr6_vgpr7
                                        ; implicit-def: $vgpr14_vgpr15
                                        ; implicit-def: $vgpr2_vgpr3
	s_xor_b64 exec, exec, s[30:31]
	s_cbranch_execz .LBB1188_17
; %bb.8:
	s_load_dwordx2 s[8:9], s[0:1], 0x20
	s_load_dword s11, s[0:1], 0x38
	s_add_i32 s25, s3, 31
	s_ashr_i32 s33, s25, 31
	s_lshr_b32 s33, s33, 27
	v_add_u32_e32 v32, s10, v0
	s_add_i32 s25, s25, s33
	v_ashrrev_i32_e32 v2, 31, v32
	v_ashrrev_i32_e32 v5, 31, v4
	s_ashr_i32 s25, s25, 5
	v_lshrrev_b32_e32 v2, 27, v2
	v_lshrrev_b32_e32 v5, 27, v5
	s_add_i32 s25, s25, -1
	s_waitcnt lgkmcnt(0)
	s_mul_i32 s36, s2, s11
	s_mov_b32 s37, 0
	v_add_u32_e32 v2, v32, v2
	v_add_u32_e32 v4, v4, v5
	s_lshl_b64 s[36:37], s[36:37], 2
	v_ashrrev_i32_e32 v2, 5, v2
	v_mov_b32_e32 v3, s25
	v_cmp_gt_i32_e32 vcc, s3, v32
	v_ashrrev_i32_e32 v6, 5, v4
	s_add_u32 s8, s8, s36
	v_cndmask_b32_e32 v2, v3, v2, vcc
	v_min_i32_e32 v4, s25, v6
	v_add_u32_e32 v6, 1, v6
	s_addc_u32 s9, s9, s37
	v_ashrrev_i32_e32 v3, 31, v2
	v_min_i32_e32 v6, s25, v6
	v_lshl_add_u64 v[2:3], v[2:3], 2, s[8:9]
	v_ashrrev_i32_e32 v5, 31, v4
	v_ashrrev_i32_e32 v7, 31, v6
	v_lshl_add_u64 v[4:5], v[4:5], 2, s[8:9]
	v_lshl_add_u64 v[10:11], v[6:7], 2, s[8:9]
	global_load_dword v6, v[2:3], off
	global_load_dword v9, v[4:5], off
	;; [unrolled: 1-line block ×3, first 2 shown]
	s_load_dwordx4 s[8:11], s[0:1], 0x8
	s_andn2_b64 vcc, exec, s[22:23]
	s_cbranch_vccnz .LBB1188_11
; %bb.9:
	s_add_u32 s20, s20, s34
	s_addc_u32 s21, s21, s35
	s_load_dword s25, s[20:21], 0x0
	s_branch .LBB1188_12
.LBB1188_10:
	s_mov_b64 s[8:9], 0
	s_branch .LBB1188_2
.LBB1188_11:
	s_mov_b32 s25, s2
.LBB1188_12:
	s_load_dwordx4 s[20:23], s[0:1], 0x48
	v_cmp_eq_u32_e32 vcc, 0, v31
	s_mov_b32 s37, 0
	v_mov_b32_e32 v33, 0
	v_mov_b32_e32 v7, 0
	;; [unrolled: 1-line block ×6, first 2 shown]
	s_and_saveexec_b64 s[34:35], vcc
	s_cbranch_execz .LBB1188_14
; %bb.13:
	s_load_dwordx2 s[38:39], s[0:1], 0x0
	s_waitcnt lgkmcnt(0)
	s_ashr_i32 s23, s20, 31
	s_mul_hi_u32 s33, s25, s20
	s_mul_i32 s23, s25, s23
	s_add_i32 s41, s33, s23
	s_mul_i32 s40, s25, s20
	s_lshl_b64 s[40:41], s[40:41], 1
	s_add_u32 s20, s38, s40
	s_addc_u32 s23, s39, s41
	s_lshl_b32 s36, s4, 6
	s_lshl_b64 s[36:37], s[36:37], 1
	s_add_u32 s36, s20, s36
	s_addc_u32 s37, s23, s37
	v_lshlrev_b32_e32 v2, 2, v30
	global_load_dwordx4 v[2:5], v2, s[36:37]
	v_mov_b32_e32 v33, 1.0
.LBB1188_14:
	s_or_b64 exec, exec, s[34:35]
	s_waitcnt lgkmcnt(0)
	s_mul_i32 s20, s4, s22
	s_add_u32 s8, s20, s8
	s_addc_u32 s9, 0, s9
	v_mov_b64_e32 v[10:11], s[8:9]
	s_waitcnt vmcnt(2)
	v_mad_i64_i32 v[10:11], s[8:9], v6, s21, v[10:11]
	v_lshlrev_b32_e32 v6, 4, v0
	v_and_b32_e32 v6, 0x1f0, v6
	v_lshl_add_u64 v[10:11], v[10:11], 0, v[6:7]
	global_load_dwordx4 v[26:29], v[10:11], off
	global_load_dwordx4 v[22:25], v[10:11], off offset:512
	global_load_dwordx4 v[18:21], v[10:11], off offset:1024
	;; [unrolled: 1-line block ×3, first 2 shown]
	s_load_dword s9, s[0:1], 0x1c
	s_load_dword s22, s[12:13], 0x0
	s_waitcnt vmcnt(5)
	v_mul_hi_i32 v6, v9, s21
	s_add_u32 s0, s10, s20
	s_waitcnt vmcnt(4)
	v_mul_hi_i32 v10, v8, s21
	v_ashrrev_i32_e32 v12, 31, v6
	s_addc_u32 s1, s11, 0
	v_lshlrev_b32_e32 v6, 5, v30
	v_ashrrev_i32_e32 v36, 31, v10
	s_waitcnt lgkmcnt(0)
	v_mov_b32_e32 v13, s9
	v_lshl_add_u64 v[10:11], s[0:1], 0, v[6:7]
	v_lshrrev_b32_e32 v6, 29, v12
	v_mul_f32_e32 v34, s22, v13
	v_mad_i64_i32 v[12:13], s[0:1], v9, s21, v[6:7]
	v_lshrrev_b32_e32 v6, 29, v36
	v_and_b32_e32 v12, -8, v12
	v_mad_i64_i32 v[6:7], s[0:1], v8, s21, v[6:7]
	v_lshl_add_u64 v[36:37], v[10:11], 0, v[12:13]
	v_and_b32_e32 v6, -8, v6
	v_lshl_add_u64 v[38:39], v[10:11], 0, v[6:7]
	global_load_dwordx4 v[6:9], v[36:37], off offset:16
	global_load_dwordx4 v[10:13], v[36:37], off
	s_mov_b32 s8, 0x7060302
	v_and_b32_e32 v35, -4, v32
	v_cmp_eq_u32_e32 vcc, 1, v31
	s_waitcnt vmcnt(5)
	v_cvt_pk_f32_fp8_e32 v[36:37], v26
	v_cvt_pk_f32_fp8_sdwa v[40:41], v26 src0_sel:WORD_1
	v_cvt_pk_f32_fp8_e32 v[42:43], v27
	v_cvt_pk_f32_fp8_sdwa v[26:27], v27 src0_sel:WORD_1
	;; [unrolled: 2-line block ×3, first 2 shown]
	v_perm_b32 v36, v37, v36, s8
	v_perm_b32 v37, v41, v40, s8
	v_cvt_pk_f32_fp8_e32 v[48:49], v29
	v_cvt_pk_f32_fp8_sdwa v[28:29], v29 src0_sel:WORD_1
	v_mfma_f32_4x4x4_16b_bf16 a[0:3], v[2:3], v[36:37], 0 cbsz:4
	v_perm_b32 v40, v43, v42, s8
	v_perm_b32 v41, v27, v26, s8
	s_waitcnt vmcnt(4)
	v_cvt_pk_f32_fp8_e32 v[50:51], v22
	v_cvt_pk_f32_fp8_sdwa v[52:53], v22 src0_sel:WORD_1
	v_mfma_f32_4x4x4_16b_bf16 a[0:3], v[4:5], v[40:41], a[0:3] cbsz:4
	v_perm_b32 v26, v45, v44, s8
	v_perm_b32 v27, v47, v46, s8
	v_cvt_pk_f32_fp8_e32 v[54:55], v23
	v_cvt_pk_f32_fp8_sdwa v[22:23], v23 src0_sel:WORD_1
	v_mfma_f32_4x4x4_16b_bf16 a[0:3], v[2:3], v[26:27], a[0:3] cbsz:4 abid:1
	v_perm_b32 v42, v49, v48, s8
	v_perm_b32 v43, v29, v28, s8
	v_cvt_pk_f32_fp8_e32 v[56:57], v24
	v_cvt_pk_f32_fp8_sdwa v[58:59], v24 src0_sel:WORD_1
	v_mfma_f32_4x4x4_16b_bf16 a[0:3], v[4:5], v[42:43], a[0:3] cbsz:4 abid:1
	;; [unrolled: 5-line block ×3, first 2 shown]
	v_perm_b32 v44, v55, v54, s8
	v_perm_b32 v45, v23, v22, s8
	s_waitcnt vmcnt(3)
	v_cvt_pk_f32_fp8_e32 v[62:63], v18
	v_cvt_pk_f32_fp8_sdwa v[64:65], v18 src0_sel:WORD_1
	v_mfma_f32_4x4x4_16b_bf16 a[0:3], v[4:5], v[44:45], a[0:3] cbsz:4 abid:2
	v_perm_b32 v22, v57, v56, s8
	v_perm_b32 v23, v59, v58, s8
	v_cvt_pk_f32_fp8_e32 v[66:67], v19
	v_cvt_pk_f32_fp8_sdwa v[18:19], v19 src0_sel:WORD_1
	v_mfma_f32_4x4x4_16b_bf16 a[0:3], v[2:3], v[22:23], a[0:3] cbsz:4 abid:3
	v_perm_b32 v46, v61, v60, s8
	v_perm_b32 v47, v25, v24, s8
	;; [unrolled: 5-line block ×4, first 2 shown]
	s_waitcnt vmcnt(2)
	v_cvt_pk_f32_fp8_e32 v[74:75], v14
	v_cvt_pk_f32_fp8_sdwa v[76:77], v14 src0_sel:WORD_1
	v_mfma_f32_4x4x4_16b_bf16 a[0:3], v[4:5], v[36:37], a[0:3] cbsz:4 abid:4
	v_perm_b32 v18, v69, v68, s8
	v_perm_b32 v19, v71, v70, s8
	v_cvt_pk_f32_fp8_e32 v[78:79], v15
	v_cvt_pk_f32_fp8_sdwa v[14:15], v15 src0_sel:WORD_1
	v_mfma_f32_4x4x4_16b_bf16 a[0:3], v[2:3], v[18:19], a[0:3] cbsz:4 abid:5
	v_perm_b32 v26, v73, v72, s8
	v_perm_b32 v27, v21, v20, s8
	;; [unrolled: 5-line block ×4, first 2 shown]
	v_perm_b32 v14, v81, v80, s8
	v_perm_b32 v15, v83, v82, s8
	v_mfma_f32_4x4x4_16b_bf16 a[0:3], v[4:5], v[22:23], a[0:3] cbsz:4 abid:6
	v_perm_b32 v18, v85, v84, s8
	v_perm_b32 v19, v17, v16, s8
	v_mfma_f32_4x4x4_16b_bf16 a[0:3], v[2:3], v[14:15], a[0:3] cbsz:4 abid:7
	s_nop 1
	v_mfma_f32_4x4x4_16b_bf16 a[0:3], v[4:5], v[18:19], a[0:3] cbsz:4 abid:7
	s_nop 4
	v_accvgpr_read_b32 v3, a1
	v_accvgpr_read_b32 v2, a0
	v_pk_mul_f32 v[18:19], v[2:3], v[34:35] op_sel_hi:[1,0]
	global_load_dwordx4 v[2:5], v[38:39], off offset:16
	global_load_dwordx4 v[14:17], v[38:39], off
	v_accvgpr_read_b32 v21, a3
	v_accvgpr_read_b32 v20, a2
	v_pk_mul_f32 v[20:21], v[20:21], v[34:35] op_sel_hi:[1,0]
	v_mfma_f32_4x4x1_16b_f32 a[0:3], v18, v33, 0
	v_cndmask_b32_e64 v18, 0, 1.0, vcc
	v_cmp_eq_u32_e32 vcc, 2, v31
	s_nop 0
	v_mfma_f32_4x4x1_16b_f32 a[0:3], v19, v18, a[0:3]
	v_cndmask_b32_e64 v18, 0, 1.0, vcc
	v_cmp_eq_u32_e32 vcc, 3, v31
	s_nop 0
	v_mfma_f32_4x4x1_16b_f32 a[0:3], v20, v18, a[0:3]
	v_cndmask_b32_e64 v18, 0, 1.0, vcc
	v_cmp_gt_i32_e32 vcc, s3, v35
	s_nop 0
	v_mfma_f32_4x4x1_16b_f32 a[0:3], v21, v18, a[0:3]
	v_mov_b32_e32 v21, 0xff7fffff
	v_lshlrev_b32_e32 v18, 2, v0
	v_and_or_b32 v18, v18, 48, v31
	v_lshlrev_b32_e32 v26, 2, v18
	v_accvgpr_read_b32 v19, a0
	v_max_f32_e32 v20, v19, v19
	v_max_f32_e32 v20, 0xff7fffff, v20
	v_accvgpr_read_b32 v22, a1
	v_cndmask_b32_e32 v20, v21, v20, vcc
	v_or_b32_e32 v21, 1, v35
	v_max_f32_e32 v23, v22, v22
	v_max_f32_e32 v23, v20, v23
	v_cmp_gt_i32_e64 s[0:1], s3, v21
	v_or_b32_e32 v21, 2, v35
	v_cmp_gt_i32_e64 s[8:9], s3, v21
	v_cndmask_b32_e64 v20, v20, v23, s[0:1]
	v_accvgpr_read_b32 v23, a2
	v_max_f32_e32 v24, v23, v23
	v_max_f32_e32 v24, v20, v24
	v_accvgpr_read_b32 v25, a3
	v_cndmask_b32_e64 v20, v20, v24, s[8:9]
	v_or_b32_e32 v21, 3, v32
	v_max_f32_e32 v24, v25, v25
	v_max_f32_e32 v24, v20, v24
	v_cmp_gt_i32_e64 s[10:11], s3, v21
	s_nop 1
	v_cndmask_b32_e64 v20, v20, v24, s[10:11]
	;;#ASMSTART
	v_nop
 v_nop
 v_max_f32_dpp v18, v20, v20 row_ror:4
	;;#ASMEND
	s_nop 0
	;;#ASMSTART
	v_nop
 v_nop
 v_max_f32_dpp v18, v18, v18 row_ror:8
	;;#ASMEND
	ds_bpermute_b32 v18, v26, v18
	s_waitcnt lgkmcnt(0)
	;;#ASMSTART
	v_nop
 v_nop
 v_max_f32_dpp v18, v18, v18 row_ror:4
	;;#ASMEND
	s_nop 0
	;;#ASMSTART
	v_nop
 v_nop
 v_max_f32_dpp v24, v18, v18 row_ror:8
	;;#ASMEND
	s_nop 0
	v_sub_f32_e32 v18, v19, v24
	v_mul_f32_e32 v18, 0x3fb8aa3b, v18
	v_sub_f32_e32 v19, v22, v24
	v_exp_f32_e32 v18, v18
	v_mul_f32_e32 v19, 0x3fb8aa3b, v19
	v_sub_f32_e32 v21, v23, v24
	v_exp_f32_e32 v19, v19
	;; [unrolled: 3-line block ×3, first 2 shown]
	v_mul_f32_e32 v22, 0x3fb8aa3b, v22
	v_exp_f32_e32 v22, v22
	v_cndmask_b32_e32 v18, 0, v18, vcc
	v_add_f32_e32 v20, 0, v18
	v_cndmask_b32_e64 v19, 0, v19, s[0:1]
	v_add_f32_e32 v23, v20, v19
	v_cndmask_b32_e64 v20, 0, v21, s[8:9]
	;; [unrolled: 2-line block ×3, first 2 shown]
	v_add_f32_e32 v22, v23, v21
	;;#ASMSTART
	v_nop
 v_nop
 v_add_f32_dpp v22, v22, v22 row_ror:4
	;;#ASMEND
	v_cmp_gt_u32_e32 vcc, 4, v30
	;;#ASMSTART
	v_nop
 v_nop
 v_add_f32_dpp v22, v22, v22 row_ror:8
	;;#ASMEND
	ds_bpermute_b32 v22, v26, v22
	s_waitcnt lgkmcnt(0)
	;;#ASMSTART
	v_nop
 v_nop
 v_add_f32_dpp v22, v22, v22 row_ror:4
	;;#ASMEND
	s_nop 0
	;;#ASMSTART
	v_nop
 v_nop
 v_add_f32_dpp v22, v22, v22 row_ror:8
	;;#ASMEND
	s_and_saveexec_b64 s[0:1], vcc
	s_cbranch_execz .LBB1188_16
; %bb.15:
	v_mul_u32_u24_e32 v23, 20, v1
	v_lshl_add_u32 v23, v31, 2, v23
	v_add_u32_e32 v23, 0x800, v23
	ds_write2_b32 v23, v24, v22 offset0:128 offset1:148
.LBB1188_16:
	s_or_b64 exec, exec, s[0:1]
.LBB1188_17:
	s_or_b64 exec, exec, s[30:31]
	s_waitcnt lgkmcnt(0)
	s_barrier
	s_load_dword s0, s[28:29], 0x8
	v_lshlrev_b32_e32 v22, 2, v31
	v_add_u32_e32 v32, 0x800, v22
	ds_read2_b32 v[22:23], v32 offset0:128 offset1:133
	ds_read2_b32 v[26:27], v32 offset0:138 offset1:143
	s_mul_i32 s1, s5, s2
	s_waitcnt lgkmcnt(0)
	s_mul_i32 s0, s1, s0
	s_mov_b32 s1, 0xff7fffff
	v_max3_f32 v25, v22, s1, v23
	v_max3_f32 v25, v25, v26, v27
	v_sub_f32_e32 v22, v22, v25
	ds_read2_b32 v[28:29], v32 offset0:148 offset1:153
	v_mul_f32_e32 v22, 0x3fb8aa3b, v22
	v_sub_f32_e32 v23, v23, v25
	v_sub_f32_e32 v26, v26, v25
	v_exp_f32_e32 v34, v22
	v_mul_f32_e32 v23, 0x3fb8aa3b, v23
	v_mul_f32_e32 v26, 0x3fb8aa3b, v26
	v_exp_f32_e32 v23, v23
	ds_read2_b32 v[32:33], v32 offset0:158 offset1:163
	v_exp_f32_e32 v35, v26
	v_sub_f32_e32 v26, v27, v25
	v_mul_f32_e32 v26, 0x3fb8aa3b, v26
	v_exp_f32_e32 v27, v26
	s_waitcnt lgkmcnt(1)
	v_fma_f32 v26, v34, v28, 0
	v_fmac_f32_e32 v26, v23, v29
	s_waitcnt lgkmcnt(0)
	v_fmac_f32_e32 v26, v35, v32
	v_mov_b32_e32 v22, 0
	v_fmac_f32_e32 v26, v27, v33
	s_mov_b32 s1, 0
	v_cmp_eq_u32_e32 vcc, 0, v31
	s_and_saveexec_b64 s[2:3], vcc
	s_cbranch_execz .LBB1188_19
; %bb.18:
	s_lshl_b64 s[8:9], s[0:1], 2
	s_add_u32 s12, s16, s8
	s_mov_b32 s25, s1
	s_addc_u32 s13, s17, s9
	s_lshl_b64 s[10:11], s[24:25], 2
	s_add_u32 s12, s12, s10
	s_addc_u32 s13, s13, s11
	s_add_u32 s8, s18, s8
	s_addc_u32 s9, s19, s9
	;; [unrolled: 2-line block ×3, first 2 shown]
	s_mul_i32 s8, s5, s4
	s_mov_b32 s9, s1
	s_lshl_b64 s[8:9], s[8:9], 2
	s_add_u32 s10, s12, s8
	s_addc_u32 s11, s13, s9
	s_add_u32 s8, s16, s8
	s_addc_u32 s9, s17, s9
	global_store_dword v22, v25, s[8:9]
	global_store_dword v22, v26, s[10:11]
.LBB1188_19:
	s_or_b64 exec, exec, s[2:3]
	v_mov_b32_e32 v23, 0
	s_and_saveexec_b64 s[2:3], s[6:7]
	s_cbranch_execz .LBB1188_21
; %bb.20:
	v_add_f32_e32 v22, 0x358637bd, v26
	v_div_scale_f32 v23, s[6:7], v22, v22, 1.0
	v_rcp_f32_e32 v26, v23
	v_div_scale_f32 v27, vcc, 1.0, v22, 1.0
	v_sub_f32_e32 v24, v24, v25
	v_fma_f32 v28, -v23, v26, 1.0
	v_fmac_f32_e32 v26, v28, v26
	v_mul_f32_e32 v28, v27, v26
	v_fma_f32 v29, -v23, v28, v27
	v_mul_f32_e32 v24, 0x3fb8aa3b, v24
	v_fmac_f32_e32 v28, v29, v26
	v_exp_f32_e32 v24, v24
	v_fma_f32 v23, -v23, v28, v27
	v_div_fmas_f32 v23, v23, v26, v28
	v_div_fixup_f32 v22, v23, v22, 1.0
	v_mul_f32_e32 v22, v24, v22
	v_pk_mul_f32 v[18:19], v[18:19], v[22:23] op_sel_hi:[1,0]
	v_pk_mul_f32 v[20:21], v[20:21], v[22:23] op_sel_hi:[1,0]
	v_bfe_u32 v22, v19, 16, 1
	v_bfe_u32 v23, v18, 16, 1
	s_movk_i32 s1, 0x7fff
	v_add3_u32 v18, v18, v23, s1
	v_add3_u32 v19, v19, v22, s1
	s_mov_b32 s7, 0x7060302
	v_perm_b32 v18, v19, v18, s7
	v_bfe_u32 v19, v21, 16, 1
	v_bfe_u32 v22, v20, 16, 1
	v_add3_u32 v22, v20, v22, s1
	v_add3_u32 v19, v21, v19, s1
	s_waitcnt vmcnt(2)
	v_cvt_pk_f32_fp8_e32 v[20:21], v10
	v_perm_b32 v19, v19, v22, s7
	v_cvt_pk_f32_fp8_sdwa v[22:23], v10 src0_sel:WORD_1
	v_cvt_pk_f32_fp8_e32 v[24:25], v11
	v_perm_b32 v10, v21, v20, s7
	v_cvt_pk_f32_fp8_sdwa v[20:21], v11 src0_sel:WORD_1
	v_perm_b32 v11, v23, v22, s7
	v_perm_b32 v22, v25, v24, s7
	s_load_dword s6, s[14:15], 0x0
	v_mfma_f32_4x4x4_16b_bf16 a[0:3], v[18:19], v[10:11], 0 cbsz:4
	v_perm_b32 v23, v21, v20, s7
	v_cvt_pk_f32_fp8_e32 v[10:11], v12
	v_cvt_pk_f32_fp8_sdwa v[20:21], v12 src0_sel:WORD_1
	v_mfma_f32_4x4x4_16b_bf16 a[0:3], v[18:19], v[22:23], a[0:3] cbsz:4 abid:1
	v_cvt_pk_f32_fp8_e32 v[22:23], v13
	v_cvt_pk_f32_fp8_sdwa v[12:13], v13 src0_sel:WORD_1
	v_perm_b32 v10, v11, v10, s7
	v_perm_b32 v11, v21, v20, s7
	;; [unrolled: 1-line block ×4, first 2 shown]
	v_mfma_f32_4x4x4_16b_bf16 a[0:3], v[18:19], v[10:11], a[0:3] cbsz:4 abid:2
	v_cvt_pk_f32_fp8_e32 v[10:11], v6
	v_cvt_pk_f32_fp8_sdwa v[12:13], v6 src0_sel:WORD_1
	v_mfma_f32_4x4x4_16b_bf16 a[0:3], v[18:19], v[20:21], a[0:3] cbsz:4 abid:3
	v_cvt_pk_f32_fp8_e32 v[20:21], v7
	v_perm_b32 v6, v11, v10, s7
	v_cvt_pk_f32_fp8_sdwa v[10:11], v7 src0_sel:WORD_1
	v_perm_b32 v7, v13, v12, s7
	v_perm_b32 v12, v21, v20, s7
	;; [unrolled: 1-line block ×3, first 2 shown]
	v_mfma_f32_4x4x4_16b_bf16 a[0:3], v[18:19], v[6:7], a[0:3] cbsz:4 abid:4
	v_cvt_pk_f32_fp8_e32 v[6:7], v8
	v_cvt_pk_f32_fp8_sdwa v[10:11], v8 src0_sel:WORD_1
	v_mfma_f32_4x4x4_16b_bf16 a[0:3], v[18:19], v[12:13], a[0:3] cbsz:4 abid:5
	v_cvt_pk_f32_fp8_e32 v[12:13], v9
	v_cvt_pk_f32_fp8_sdwa v[8:9], v9 src0_sel:WORD_1
	v_perm_b32 v6, v7, v6, s7
	v_perm_b32 v7, v11, v10, s7
	;; [unrolled: 1-line block ×4, first 2 shown]
	v_mfma_f32_4x4x4_16b_bf16 a[0:3], v[18:19], v[6:7], a[0:3] cbsz:4 abid:6
	s_waitcnt vmcnt(0)
	v_cvt_pk_f32_fp8_e32 v[6:7], v14
	v_cvt_pk_f32_fp8_sdwa v[8:9], v14 src0_sel:WORD_1
	v_mfma_f32_4x4x4_16b_bf16 a[0:3], v[18:19], v[10:11], a[0:3] cbsz:4 abid:7
	v_cvt_pk_f32_fp8_e32 v[10:11], v15
	v_cvt_pk_f32_fp8_sdwa v[12:13], v15 src0_sel:WORD_1
	v_perm_b32 v6, v7, v6, s7
	v_perm_b32 v7, v9, v8, s7
	;; [unrolled: 1-line block ×4, first 2 shown]
	v_mfma_f32_4x4x4_16b_bf16 a[0:3], v[18:19], v[6:7], a[0:3] cbsz:4 abid:8
	v_cvt_pk_f32_fp8_e32 v[6:7], v16
	v_cvt_pk_f32_fp8_e32 v[10:11], v17
	v_mfma_f32_4x4x4_16b_bf16 a[0:3], v[18:19], v[8:9], a[0:3] cbsz:4 abid:9
	v_cvt_pk_f32_fp8_sdwa v[8:9], v16 src0_sel:WORD_1
	v_cvt_pk_f32_fp8_sdwa v[12:13], v17 src0_sel:WORD_1
	v_perm_b32 v6, v7, v6, s7
	v_perm_b32 v7, v9, v8, s7
	;; [unrolled: 1-line block ×3, first 2 shown]
	s_nop 0
	v_mfma_f32_4x4x4_16b_bf16 a[0:3], v[18:19], v[6:7], a[0:3] cbsz:4 abid:10
	v_cvt_pk_f32_fp8_e32 v[6:7], v2
	v_perm_b32 v9, v13, v12, s7
	v_cvt_pk_f32_fp8_e32 v[10:11], v3
	s_nop 0
	v_mfma_f32_4x4x4_16b_bf16 a[0:3], v[18:19], v[8:9], a[0:3] cbsz:4 abid:11
	v_cvt_pk_f32_fp8_sdwa v[8:9], v2 src0_sel:WORD_1
	v_perm_b32 v2, v7, v6, s7
	v_cvt_pk_f32_fp8_sdwa v[6:7], v3 src0_sel:WORD_1
	v_perm_b32 v3, v9, v8, s7
	v_perm_b32 v8, v11, v10, s7
	s_nop 0
	v_mfma_f32_4x4x4_16b_bf16 a[0:3], v[18:19], v[2:3], a[0:3] cbsz:4 abid:12
	v_perm_b32 v9, v7, v6, s7
	v_cvt_pk_f32_fp8_e32 v[2:3], v4
	v_cvt_pk_f32_fp8_sdwa v[6:7], v4 src0_sel:WORD_1
	v_mfma_f32_4x4x4_16b_bf16 a[0:3], v[18:19], v[8:9], a[0:3] cbsz:4 abid:13
	v_cvt_pk_f32_fp8_e32 v[8:9], v5
	v_cvt_pk_f32_fp8_sdwa v[4:5], v5 src0_sel:WORD_1
	v_perm_b32 v2, v3, v2, s7
	v_perm_b32 v3, v7, v6, s7
	v_perm_b32 v6, v9, v8, s7
	v_perm_b32 v7, v5, v4, s7
	v_mfma_f32_4x4x4_16b_bf16 a[0:3], v[18:19], v[2:3], a[0:3] cbsz:4 abid:14
	s_nop 1
	v_mfma_f32_4x4x4_16b_bf16 a[0:3], v[18:19], v[6:7], a[0:3] cbsz:4 abid:15
	s_nop 4
	v_accvgpr_read_b32 v5, a1
	v_accvgpr_read_b32 v4, a0
	;; [unrolled: 1-line block ×4, first 2 shown]
	s_waitcnt lgkmcnt(0)
	v_pk_mul_f32 v[4:5], v[4:5], s[6:7] op_sel_hi:[1,0]
	v_pk_mul_f32 v[2:3], v[2:3], s[6:7] op_sel_hi:[1,0]
	v_bfe_u32 v6, v5, 16, 1
	v_bfe_u32 v7, v4, 16, 1
	v_add3_u32 v4, v4, v7, s1
	v_add3_u32 v5, v5, v6, s1
	v_bfe_u32 v6, v3, 16, 1
	v_bfe_u32 v7, v2, 16, 1
	v_add3_u32 v2, v2, v7, s1
	v_add3_u32 v3, v3, v6, s1
	v_perm_b32 v23, v3, v2, s7
	v_perm_b32 v22, v5, v4, s7
.LBB1188_21:
	s_or_b64 exec, exec, s[2:3]
	v_lshlrev_b32_e32 v1, 3, v1
	v_mad_u32_u24 v1, v30, 40, v1
	v_cmp_gt_u32_e32 vcc, 64, v0
	ds_write_b64 v1, v[22:23]
	s_waitcnt lgkmcnt(0)
	s_barrier
	s_and_saveexec_b64 s[2:3], vcc
	s_cbranch_execz .LBB1188_23
; %bb.22:
	s_waitcnt vmcnt(3)
	v_mul_u32_u24_e32 v6, 40, v30
	s_waitcnt vmcnt(1)
	ds_read2_b64 v[2:5], v6 offset1:1
	ds_read2_b64 v[6:9], v6 offset0:2 offset1:3
	s_lshl_b32 s0, s0, 6
	s_mov_b32 s1, 0
	s_lshl_b64 s[2:3], s[0:1], 1
	s_waitcnt lgkmcnt(1)
	v_lshlrev_b32_e32 v2, 16, v2
	v_add_f32_e32 v2, 0, v2
	s_add_u32 s2, s26, s2
	v_and_b32_e32 v2, 0xffff0000, v2
	v_lshlrev_b32_e32 v3, 16, v4
	s_addc_u32 s3, s27, s3
	s_lshl_b32 s0, s24, 6
	v_add_f32_e32 v2, v2, v3
	s_lshl_b64 s[0:1], s[0:1], 1
	v_and_b32_e32 v2, 0xffff0000, v2
	s_waitcnt lgkmcnt(0)
	v_lshlrev_b32_e32 v3, 16, v6
	s_add_u32 s0, s2, s0
	s_mul_i32 s4, s4, s5
	v_add_f32_e32 v2, v2, v3
	s_addc_u32 s1, s3, s1
	v_lshl_or_b32 v0, s4, 6, v0
	v_mov_b32_e32 v1, 0
	v_and_b32_e32 v2, 0xffff0000, v2
	v_lshlrev_b32_e32 v3, 16, v8
	v_lshl_add_u64 v[0:1], v[0:1], 1, s[0:1]
	v_add_f32_e32 v2, v2, v3
	global_store_short_d16_hi v[0:1], v2, off
.LBB1188_23:
	s_endpgm
	.section	.rodata,"a",@progbits
	.p2align	6, 0x0
	.amdhsa_kernel _Z38paged_attention_ll4mi_QKV_mfma4_kernelI14__hip_bfloat16hLN4vllm18Fp8KVCacheDataTypeE1EhLi32ELi64ELi256ELb0ELi1EEvPKT_PKT0_S8_ifPKiSA_SA_iPKfiiiPfSD_PS3_PT2_iSC_SC_
		.amdhsa_group_segment_fixed_size 2720
		.amdhsa_private_segment_fixed_size 0
		.amdhsa_kernarg_size 400
		.amdhsa_user_sgpr_count 2
		.amdhsa_user_sgpr_dispatch_ptr 0
		.amdhsa_user_sgpr_queue_ptr 0
		.amdhsa_user_sgpr_kernarg_segment_ptr 1
		.amdhsa_user_sgpr_dispatch_id 0
		.amdhsa_user_sgpr_kernarg_preload_length 0
		.amdhsa_user_sgpr_kernarg_preload_offset 0
		.amdhsa_user_sgpr_private_segment_size 0
		.amdhsa_uses_dynamic_stack 0
		.amdhsa_enable_private_segment 0
		.amdhsa_system_sgpr_workgroup_id_x 1
		.amdhsa_system_sgpr_workgroup_id_y 1
		.amdhsa_system_sgpr_workgroup_id_z 1
		.amdhsa_system_sgpr_workgroup_info 0
		.amdhsa_system_vgpr_workitem_id 0
		.amdhsa_next_free_vgpr 92
		.amdhsa_next_free_sgpr 42
		.amdhsa_accum_offset 88
		.amdhsa_reserve_vcc 1
		.amdhsa_float_round_mode_32 0
		.amdhsa_float_round_mode_16_64 0
		.amdhsa_float_denorm_mode_32 3
		.amdhsa_float_denorm_mode_16_64 3
		.amdhsa_dx10_clamp 1
		.amdhsa_ieee_mode 1
		.amdhsa_fp16_overflow 0
		.amdhsa_tg_split 0
		.amdhsa_exception_fp_ieee_invalid_op 0
		.amdhsa_exception_fp_denorm_src 0
		.amdhsa_exception_fp_ieee_div_zero 0
		.amdhsa_exception_fp_ieee_overflow 0
		.amdhsa_exception_fp_ieee_underflow 0
		.amdhsa_exception_fp_ieee_inexact 0
		.amdhsa_exception_int_div_zero 0
	.end_amdhsa_kernel
	.section	.text._Z38paged_attention_ll4mi_QKV_mfma4_kernelI14__hip_bfloat16hLN4vllm18Fp8KVCacheDataTypeE1EhLi32ELi64ELi256ELb0ELi1EEvPKT_PKT0_S8_ifPKiSA_SA_iPKfiiiPfSD_PS3_PT2_iSC_SC_,"axG",@progbits,_Z38paged_attention_ll4mi_QKV_mfma4_kernelI14__hip_bfloat16hLN4vllm18Fp8KVCacheDataTypeE1EhLi32ELi64ELi256ELb0ELi1EEvPKT_PKT0_S8_ifPKiSA_SA_iPKfiiiPfSD_PS3_PT2_iSC_SC_,comdat
.Lfunc_end1188:
	.size	_Z38paged_attention_ll4mi_QKV_mfma4_kernelI14__hip_bfloat16hLN4vllm18Fp8KVCacheDataTypeE1EhLi32ELi64ELi256ELb0ELi1EEvPKT_PKT0_S8_ifPKiSA_SA_iPKfiiiPfSD_PS3_PT2_iSC_SC_, .Lfunc_end1188-_Z38paged_attention_ll4mi_QKV_mfma4_kernelI14__hip_bfloat16hLN4vllm18Fp8KVCacheDataTypeE1EhLi32ELi64ELi256ELb0ELi1EEvPKT_PKT0_S8_ifPKiSA_SA_iPKfiiiPfSD_PS3_PT2_iSC_SC_
                                        ; -- End function
	.section	.AMDGPU.csdata,"",@progbits
; Kernel info:
; codeLenInByte = 3800
; NumSgprs: 48
; NumVgprs: 86
; NumAgprs: 4
; TotalNumVgprs: 92
; ScratchSize: 0
; MemoryBound: 0
; FloatMode: 240
; IeeeMode: 1
; LDSByteSize: 2720 bytes/workgroup (compile time only)
; SGPRBlocks: 5
; VGPRBlocks: 11
; NumSGPRsForWavesPerEU: 48
; NumVGPRsForWavesPerEU: 92
; AccumOffset: 88
; Occupancy: 5
; WaveLimiterHint : 1
; COMPUTE_PGM_RSRC2:SCRATCH_EN: 0
; COMPUTE_PGM_RSRC2:USER_SGPR: 2
; COMPUTE_PGM_RSRC2:TRAP_HANDLER: 0
; COMPUTE_PGM_RSRC2:TGID_X_EN: 1
; COMPUTE_PGM_RSRC2:TGID_Y_EN: 1
; COMPUTE_PGM_RSRC2:TGID_Z_EN: 1
; COMPUTE_PGM_RSRC2:TIDIG_COMP_CNT: 0
; COMPUTE_PGM_RSRC3_GFX90A:ACCUM_OFFSET: 21
; COMPUTE_PGM_RSRC3_GFX90A:TG_SPLIT: 0
	.section	.text._Z38paged_attention_ll4mi_QKV_mfma4_kernelI14__hip_bfloat16hLN4vllm18Fp8KVCacheDataTypeE1EhLi32ELi64ELi256ELb0ELi2EEvPKT_PKT0_S8_ifPKiSA_SA_iPKfiiiPfSD_PS3_PT2_iSC_SC_,"axG",@progbits,_Z38paged_attention_ll4mi_QKV_mfma4_kernelI14__hip_bfloat16hLN4vllm18Fp8KVCacheDataTypeE1EhLi32ELi64ELi256ELb0ELi2EEvPKT_PKT0_S8_ifPKiSA_SA_iPKfiiiPfSD_PS3_PT2_iSC_SC_,comdat
	.protected	_Z38paged_attention_ll4mi_QKV_mfma4_kernelI14__hip_bfloat16hLN4vllm18Fp8KVCacheDataTypeE1EhLi32ELi64ELi256ELb0ELi2EEvPKT_PKT0_S8_ifPKiSA_SA_iPKfiiiPfSD_PS3_PT2_iSC_SC_ ; -- Begin function _Z38paged_attention_ll4mi_QKV_mfma4_kernelI14__hip_bfloat16hLN4vllm18Fp8KVCacheDataTypeE1EhLi32ELi64ELi256ELb0ELi2EEvPKT_PKT0_S8_ifPKiSA_SA_iPKfiiiPfSD_PS3_PT2_iSC_SC_
	.globl	_Z38paged_attention_ll4mi_QKV_mfma4_kernelI14__hip_bfloat16hLN4vllm18Fp8KVCacheDataTypeE1EhLi32ELi64ELi256ELb0ELi2EEvPKT_PKT0_S8_ifPKiSA_SA_iPKfiiiPfSD_PS3_PT2_iSC_SC_
	.p2align	8
	.type	_Z38paged_attention_ll4mi_QKV_mfma4_kernelI14__hip_bfloat16hLN4vllm18Fp8KVCacheDataTypeE1EhLi32ELi64ELi256ELb0ELi2EEvPKT_PKT0_S8_ifPKiSA_SA_iPKfiiiPfSD_PS3_PT2_iSC_SC_,@function
_Z38paged_attention_ll4mi_QKV_mfma4_kernelI14__hip_bfloat16hLN4vllm18Fp8KVCacheDataTypeE1EhLi32ELi64ELi256ELb0ELi2EEvPKT_PKT0_S8_ifPKiSA_SA_iPKfiiiPfSD_PS3_PT2_iSC_SC_: ; @_Z38paged_attention_ll4mi_QKV_mfma4_kernelI14__hip_bfloat16hLN4vllm18Fp8KVCacheDataTypeE1EhLi32ELi64ELi256ELb0ELi2EEvPKT_PKT0_S8_ifPKiSA_SA_iPKfiiiPfSD_PS3_PT2_iSC_SC_
; %bb.0:
	s_load_dwordx2 s[20:21], s[0:1], 0x30
	s_mov_b32 s24, s3
	s_mov_b64 s[6:7], 0
	s_waitcnt lgkmcnt(0)
	s_cmp_lg_u64 s[20:21], 0
	s_cselect_b64 s[22:23], -1, 0
	s_and_b64 vcc, exec, s[22:23]
	s_cbranch_vccz .LBB1189_10
; %bb.1:
	s_add_i32 s8, s2, 1
	s_mov_b32 s9, 0
	s_lshl_b64 s[10:11], s[8:9], 2
	s_add_u32 s10, s20, s10
	s_mov_b32 s3, s9
	s_addc_u32 s11, s21, s11
	s_lshl_b64 s[8:9], s[2:3], 2
	s_add_u32 s8, s20, s8
	s_addc_u32 s9, s21, s9
	s_load_dword s5, s[10:11], 0x0
	s_load_dword s12, s[8:9], 0x0
	s_waitcnt lgkmcnt(0)
	s_sub_i32 s5, s5, s12
	s_cmp_eq_u32 s5, 1
	s_cselect_b64 s[8:9], -1, 0
	s_andn2_b64 vcc, exec, s[6:7]
	s_cbranch_vccnz .LBB1189_3
.LBB1189_2:
	s_mov_b32 s3, 0
	s_mov_b64 s[8:9], -1
.LBB1189_3:
	s_andn2_b64 vcc, exec, s[8:9]
	s_cbranch_vccnz .LBB1189_23
; %bb.4:
	s_load_dword s5, s[0:1], 0x9c
	s_load_dwordx2 s[6:7], s[0:1], 0x28
	s_add_u32 s28, s0, 0x90
	s_addc_u32 s29, s1, 0
	s_lshl_b64 s[34:35], s[2:3], 2
	s_waitcnt lgkmcnt(0)
	s_and_b32 s5, s5, 0xffff
	s_add_u32 s6, s6, s34
	s_addc_u32 s7, s7, s35
	s_load_dword s3, s[6:7], 0x0
	s_mul_i32 s10, s24, s5
	s_waitcnt lgkmcnt(0)
	s_cmp_ge_i32 s10, s3
	s_cbranch_scc1 .LBB1189_23
; %bb.5:
	v_and_b32_e32 v2, 0xc0, v0
	v_add_u32_e32 v4, s10, v2
	v_lshrrev_b32_e32 v1, 6, v0
	v_cmp_gt_i32_e64 s[6:7], s3, v4
	v_cmp_le_i32_e32 vcc, s3, v4
                                        ; implicit-def: $sgpr25
                                        ; implicit-def: $sgpr11
	s_and_saveexec_b64 s[8:9], vcc
	s_xor_b64 s[8:9], exec, s[8:9]
	s_cbranch_execz .LBB1189_7
; %bb.6:
	v_mul_u32_u24_e32 v2, 20, v1
	v_or_b32_e32 v2, 0xa00, v2
	v_mov_b32_e32 v3, 0xa50
	v_mov_b32_e32 v4, 0xff7fffff
	v_mad_u32_u24 v3, v1, 20, v3
	ds_write2_b32 v2, v4, v4 offset1:1
	v_mov_b32_e32 v2, 0
	ds_write2_b32 v3, v2, v2 offset1:1
	v_mov_b32_e32 v3, 0xa08
	s_mov_b32 s11, 0xff7fffff
	s_mov_b32 s25, 0
	v_mad_u32_u24 v3, v1, 20, v3
	v_mov_b32_e32 v5, 0xa58
	v_mad_u32_u24 v5, v1, 20, v5
	ds_write2_b32 v3, v4, v4 offset1:1
	ds_write2_b32 v5, v2, v2 offset1:1
                                        ; implicit-def: $vgpr4
.LBB1189_7:
	s_or_saveexec_b64 s[30:31], s[8:9]
	s_load_dwordx2 s[26:27], s[0:1], 0x68
	s_load_dwordx4 s[16:19], s[0:1], 0x58
	s_load_dword s5, s[28:29], 0x4
	s_load_dwordx4 s[12:15], s[0:1], 0x80
	v_and_b32_e32 v30, 63, v0
	v_and_b32_e32 v31, 3, v0
	v_mov_b32_e32 v21, s25
	v_mov_b32_e32 v24, s11
	;; [unrolled: 1-line block ×5, first 2 shown]
                                        ; implicit-def: $vgpr6_vgpr7
                                        ; implicit-def: $vgpr2_vgpr3
                                        ; implicit-def: $vgpr14_vgpr15
                                        ; implicit-def: $vgpr10_vgpr11
	s_xor_b64 exec, exec, s[30:31]
	s_cbranch_execz .LBB1189_17
; %bb.8:
	s_load_dwordx2 s[8:9], s[0:1], 0x20
	s_load_dword s11, s[0:1], 0x38
	s_add_i32 s25, s3, 31
	s_ashr_i32 s33, s25, 31
	s_lshr_b32 s33, s33, 27
	v_add_u32_e32 v32, s10, v0
	s_add_i32 s25, s25, s33
	v_ashrrev_i32_e32 v2, 31, v32
	s_ashr_i32 s25, s25, 5
	v_lshrrev_b32_e32 v2, 27, v2
	s_add_i32 s25, s25, -1
	s_waitcnt lgkmcnt(0)
	s_mul_i32 s36, s2, s11
	s_mov_b32 s37, 0
	v_add_u32_e32 v2, v32, v2
	s_lshl_b64 s[36:37], s[36:37], 2
	v_ashrrev_i32_e32 v2, 5, v2
	v_mov_b32_e32 v3, s25
	v_cmp_gt_i32_e32 vcc, s3, v32
	s_add_u32 s8, s8, s36
	s_addc_u32 s9, s9, s37
	v_cndmask_b32_e32 v2, v3, v2, vcc
	v_ashrrev_i32_e32 v3, 31, v2
	v_lshl_add_u64 v[6:7], v[2:3], 2, s[8:9]
	v_ashrrev_i32_e32 v2, 31, v4
	v_lshrrev_b32_e32 v2, 27, v2
	v_add_u32_e32 v2, v4, v2
	v_ashrrev_i32_e32 v4, 5, v2
	v_min_i32_e32 v2, s25, v4
	v_ashrrev_i32_e32 v3, 31, v2
	v_lshl_add_u64 v[8:9], v[2:3], 2, s[8:9]
	v_add_u32_e32 v2, 1, v4
	v_min_i32_e32 v2, s25, v2
	v_ashrrev_i32_e32 v3, 31, v2
	v_lshl_add_u64 v[10:11], v[2:3], 2, s[8:9]
	global_load_dword v2, v[6:7], off
	global_load_dword v5, v[8:9], off
	;; [unrolled: 1-line block ×3, first 2 shown]
	s_load_dwordx4 s[8:11], s[0:1], 0x8
	s_andn2_b64 vcc, exec, s[22:23]
	s_cbranch_vccnz .LBB1189_11
; %bb.9:
	s_add_u32 s20, s20, s34
	s_addc_u32 s21, s21, s35
	s_load_dword s25, s[20:21], 0x0
	s_branch .LBB1189_12
.LBB1189_10:
	s_mov_b64 s[8:9], 0
	s_branch .LBB1189_2
.LBB1189_11:
	s_mov_b32 s25, s2
.LBB1189_12:
	s_load_dwordx4 s[20:23], s[0:1], 0x48
	v_cmp_gt_u32_e32 vcc, 2, v31
	s_mov_b32 s37, 0
	v_mov_b32_e32 v3, 0
	v_mov_b32_e32 v10, 0
	;; [unrolled: 1-line block ×5, first 2 shown]
	s_and_saveexec_b64 s[34:35], vcc
	s_cbranch_execz .LBB1189_14
; %bb.13:
	s_load_dwordx2 s[38:39], s[0:1], 0x0
	s_waitcnt lgkmcnt(0)
	s_ashr_i32 s23, s20, 31
	s_mul_hi_u32 s33, s25, s20
	s_mul_i32 s23, s25, s23
	s_add_i32 s41, s33, s23
	s_mul_i32 s40, s25, s20
	s_lshl_b64 s[40:41], s[40:41], 1
	s_add_u32 s20, s38, s40
	s_addc_u32 s23, s39, s41
	s_lshl_b32 s36, s4, 7
	s_lshl_b64 s[36:37], s[36:37], 1
	s_add_u32 s36, s20, s36
	v_lshlrev_b32_e32 v6, 3, v31
	v_lshrrev_b32_e32 v7, 2, v30
	s_addc_u32 s37, s23, s37
	v_add_lshl_u32 v6, v6, v7, 4
	global_load_dwordx4 v[10:13], v6, s[36:37]
.LBB1189_14:
	s_or_b64 exec, exec, s[34:35]
	s_waitcnt lgkmcnt(0)
	s_mul_i32 s20, s4, s22
	s_add_u32 s8, s20, s8
	s_addc_u32 s9, 0, s9
	v_mov_b64_e32 v[6:7], s[8:9]
	s_waitcnt vmcnt(2)
	v_mad_i64_i32 v[6:7], s[8:9], v2, s21, v[6:7]
	v_lshlrev_b32_e32 v2, 4, v0
	v_and_b32_e32 v2, 0x1f0, v2
	v_lshl_add_u64 v[6:7], v[6:7], 0, v[2:3]
	global_load_dwordx4 v[26:29], v[6:7], off
	global_load_dwordx4 v[22:25], v[6:7], off offset:512
	global_load_dwordx4 v[18:21], v[6:7], off offset:1024
	;; [unrolled: 1-line block ×3, first 2 shown]
	s_load_dword s9, s[0:1], 0x1c
	s_load_dword s22, s[12:13], 0x0
	s_waitcnt vmcnt(5)
	v_mul_hi_i32 v2, v5, s21
	s_add_u32 s0, s10, s20
	s_waitcnt vmcnt(4)
	v_mul_hi_i32 v6, v4, s21
	v_ashrrev_i32_e32 v8, 31, v2
	s_addc_u32 s1, s11, 0
	v_lshlrev_b32_e32 v2, 5, v30
	v_ashrrev_i32_e32 v35, 31, v6
	s_waitcnt lgkmcnt(0)
	v_mov_b32_e32 v9, s9
	v_lshl_add_u64 v[6:7], s[0:1], 0, v[2:3]
	v_lshrrev_b32_e32 v2, 29, v8
	v_mul_f32_e32 v34, s22, v9
	v_mad_i64_i32 v[8:9], s[0:1], v5, s21, v[2:3]
	v_lshrrev_b32_e32 v2, 29, v35
	v_and_b32_e32 v8, -8, v8
	v_mad_i64_i32 v[2:3], s[0:1], v4, s21, v[2:3]
	v_lshl_add_u64 v[36:37], v[6:7], 0, v[8:9]
	v_and_b32_e32 v2, -8, v2
	v_lshl_add_u64 v[38:39], v[6:7], 0, v[2:3]
	global_load_dwordx4 v[2:5], v[36:37], off offset:16
	global_load_dwordx4 v[6:9], v[36:37], off
	s_mov_b32 s8, 0x7060302
	v_cmp_eq_u32_e32 vcc, 0, v31
	s_waitcnt vmcnt(5)
	v_cvt_pk_f32_fp8_e32 v[36:37], v26
	v_cvt_pk_f32_fp8_sdwa v[40:41], v26 src0_sel:WORD_1
	v_cvt_pk_f32_fp8_e32 v[42:43], v27
	v_cvt_pk_f32_fp8_sdwa v[26:27], v27 src0_sel:WORD_1
	;; [unrolled: 2-line block ×3, first 2 shown]
	v_perm_b32 v36, v37, v36, s8
	v_perm_b32 v37, v41, v40, s8
	v_cvt_pk_f32_fp8_e32 v[48:49], v29
	v_cvt_pk_f32_fp8_sdwa v[28:29], v29 src0_sel:WORD_1
	v_mfma_f32_4x4x4_16b_bf16 a[0:3], v[10:11], v[36:37], 0 cbsz:4
	v_perm_b32 v40, v43, v42, s8
	v_perm_b32 v41, v27, v26, s8
	s_waitcnt vmcnt(4)
	v_cvt_pk_f32_fp8_e32 v[50:51], v22
	v_cvt_pk_f32_fp8_sdwa v[52:53], v22 src0_sel:WORD_1
	v_mfma_f32_4x4x4_16b_bf16 a[0:3], v[12:13], v[40:41], a[0:3] cbsz:4
	v_perm_b32 v26, v45, v44, s8
	v_perm_b32 v27, v47, v46, s8
	v_cvt_pk_f32_fp8_e32 v[54:55], v23
	v_cvt_pk_f32_fp8_sdwa v[22:23], v23 src0_sel:WORD_1
	v_mfma_f32_4x4x4_16b_bf16 a[0:3], v[10:11], v[26:27], a[0:3] cbsz:4 abid:1
	v_perm_b32 v42, v49, v48, s8
	v_perm_b32 v43, v29, v28, s8
	v_cvt_pk_f32_fp8_e32 v[56:57], v24
	v_cvt_pk_f32_fp8_sdwa v[58:59], v24 src0_sel:WORD_1
	v_mfma_f32_4x4x4_16b_bf16 a[0:3], v[12:13], v[42:43], a[0:3] cbsz:4 abid:1
	;; [unrolled: 5-line block ×3, first 2 shown]
	v_perm_b32 v44, v55, v54, s8
	v_perm_b32 v45, v23, v22, s8
	s_waitcnt vmcnt(3)
	v_cvt_pk_f32_fp8_e32 v[62:63], v18
	v_cvt_pk_f32_fp8_sdwa v[64:65], v18 src0_sel:WORD_1
	v_mfma_f32_4x4x4_16b_bf16 a[0:3], v[12:13], v[44:45], a[0:3] cbsz:4 abid:2
	v_perm_b32 v22, v57, v56, s8
	v_perm_b32 v23, v59, v58, s8
	v_cvt_pk_f32_fp8_e32 v[66:67], v19
	v_cvt_pk_f32_fp8_sdwa v[18:19], v19 src0_sel:WORD_1
	v_mfma_f32_4x4x4_16b_bf16 a[0:3], v[10:11], v[22:23], a[0:3] cbsz:4 abid:3
	v_perm_b32 v46, v61, v60, s8
	v_perm_b32 v47, v25, v24, s8
	;; [unrolled: 5-line block ×4, first 2 shown]
	s_waitcnt vmcnt(2)
	v_cvt_pk_f32_fp8_e32 v[74:75], v14
	v_cvt_pk_f32_fp8_sdwa v[76:77], v14 src0_sel:WORD_1
	v_mfma_f32_4x4x4_16b_bf16 a[0:3], v[12:13], v[36:37], a[0:3] cbsz:4 abid:4
	v_perm_b32 v18, v69, v68, s8
	v_perm_b32 v19, v71, v70, s8
	v_cvt_pk_f32_fp8_e32 v[78:79], v15
	v_cvt_pk_f32_fp8_sdwa v[14:15], v15 src0_sel:WORD_1
	v_mfma_f32_4x4x4_16b_bf16 a[0:3], v[10:11], v[18:19], a[0:3] cbsz:4 abid:5
	v_perm_b32 v26, v73, v72, s8
	v_perm_b32 v27, v21, v20, s8
	;; [unrolled: 5-line block ×4, first 2 shown]
	v_perm_b32 v14, v81, v80, s8
	v_perm_b32 v15, v83, v82, s8
	v_mfma_f32_4x4x4_16b_bf16 a[0:3], v[12:13], v[22:23], a[0:3] cbsz:4 abid:6
	v_perm_b32 v18, v85, v84, s8
	v_perm_b32 v19, v17, v16, s8
	v_mfma_f32_4x4x4_16b_bf16 a[0:3], v[10:11], v[14:15], a[0:3] cbsz:4 abid:7
	v_cndmask_b32_e64 v33, 0, 1.0, vcc
	v_cmp_eq_u32_e32 vcc, 1, v31
	v_mfma_f32_4x4x4_16b_bf16 a[0:3], v[12:13], v[18:19], a[0:3] cbsz:4 abid:7
	v_mov_b32_e32 v22, 0xff7fffff
	s_nop 3
	v_accvgpr_read_b32 v11, a1
	v_accvgpr_read_b32 v10, a0
	v_pk_mul_f32 v[18:19], v[10:11], v[34:35] op_sel_hi:[1,0]
	global_load_dwordx4 v[10:13], v[38:39], off offset:16
	global_load_dwordx4 v[14:17], v[38:39], off
	v_accvgpr_read_b32 v21, a3
	v_accvgpr_read_b32 v20, a2
	v_pk_mul_f32 v[20:21], v[20:21], v[34:35] op_sel_hi:[1,0]
	v_mfma_f32_4x4x1_16b_f32 a[0:3], v18, v33, 0
	v_cndmask_b32_e64 v18, 0, 1.0, vcc
	v_cmp_eq_u32_e32 vcc, 2, v31
	s_nop 0
	v_mfma_f32_4x4x1_16b_f32 a[0:3], v19, v18, a[0:3]
	v_cndmask_b32_e64 v18, 0, 1.0, vcc
	v_cmp_eq_u32_e32 vcc, 3, v31
	v_lshlrev_b32_e32 v19, 2, v0
	v_mfma_f32_4x4x1_16b_f32 a[0:3], v20, v18, a[0:3]
	v_cndmask_b32_e64 v18, 0, 1.0, vcc
	v_and_or_b32 v19, v19, 48, v31
	v_lshlrev_b32_e32 v26, 2, v19
	v_mfma_f32_4x4x1_16b_f32 a[0:3], v21, v18, a[0:3]
	v_and_b32_e32 v18, -4, v32
	v_cmp_gt_i32_e32 vcc, s3, v18
	s_nop 1
	v_accvgpr_read_b32 v20, a0
	v_max_f32_e32 v21, v20, v20
	v_max_f32_e32 v21, 0xff7fffff, v21
	v_accvgpr_read_b32 v23, a1
	v_cndmask_b32_e32 v21, v22, v21, vcc
	v_or_b32_e32 v22, 1, v18
	v_max_f32_e32 v24, v23, v23
	v_max_f32_e32 v24, v21, v24
	v_cmp_gt_i32_e64 s[0:1], s3, v22
	v_accvgpr_read_b32 v22, a2
	v_or_b32_e32 v18, 2, v18
	v_cndmask_b32_e64 v21, v21, v24, s[0:1]
	v_max_f32_e32 v24, v22, v22
	v_max_f32_e32 v24, v21, v24
	v_cmp_gt_i32_e64 s[8:9], s3, v18
	v_accvgpr_read_b32 v25, a3
	s_nop 0
	v_cndmask_b32_e64 v18, v21, v24, s[8:9]
	v_or_b32_e32 v21, 3, v32
	v_max_f32_e32 v24, v25, v25
	v_max_f32_e32 v24, v18, v24
	v_cmp_gt_i32_e64 s[10:11], s3, v21
	s_nop 1
	v_cndmask_b32_e64 v18, v18, v24, s[10:11]
	;;#ASMSTART
	v_nop
 v_nop
 v_max_f32_dpp v18, v18, v18 row_ror:4
	;;#ASMEND
	s_nop 0
	;;#ASMSTART
	v_nop
 v_nop
 v_max_f32_dpp v18, v18, v18 row_ror:8
	;;#ASMEND
	ds_bpermute_b32 v18, v26, v18
	s_waitcnt lgkmcnt(0)
	;;#ASMSTART
	v_nop
 v_nop
 v_max_f32_dpp v18, v18, v18 row_ror:4
	;;#ASMEND
	s_nop 0
	;;#ASMSTART
	v_nop
 v_nop
 v_max_f32_dpp v24, v18, v18 row_ror:8
	;;#ASMEND
	s_nop 0
	v_sub_f32_e32 v18, v20, v24
	v_mul_f32_e32 v18, 0x3fb8aa3b, v18
	v_sub_f32_e32 v19, v23, v24
	v_exp_f32_e32 v18, v18
	v_mul_f32_e32 v19, 0x3fb8aa3b, v19
	v_sub_f32_e32 v21, v22, v24
	v_exp_f32_e32 v19, v19
	;; [unrolled: 3-line block ×3, first 2 shown]
	v_mul_f32_e32 v22, 0x3fb8aa3b, v22
	v_exp_f32_e32 v22, v22
	v_cndmask_b32_e32 v18, 0, v18, vcc
	v_add_f32_e32 v20, 0, v18
	v_cndmask_b32_e64 v19, 0, v19, s[0:1]
	v_add_f32_e32 v23, v20, v19
	v_cndmask_b32_e64 v20, 0, v21, s[8:9]
	;; [unrolled: 2-line block ×3, first 2 shown]
	v_add_f32_e32 v22, v23, v21
	;;#ASMSTART
	v_nop
 v_nop
 v_add_f32_dpp v22, v22, v22 row_ror:4
	;;#ASMEND
	v_cmp_gt_u32_e32 vcc, 4, v30
	;;#ASMSTART
	v_nop
 v_nop
 v_add_f32_dpp v22, v22, v22 row_ror:8
	;;#ASMEND
	ds_bpermute_b32 v22, v26, v22
	s_waitcnt lgkmcnt(0)
	;;#ASMSTART
	v_nop
 v_nop
 v_add_f32_dpp v22, v22, v22 row_ror:4
	;;#ASMEND
	s_nop 0
	;;#ASMSTART
	v_nop
 v_nop
 v_add_f32_dpp v22, v22, v22 row_ror:8
	;;#ASMEND
	s_and_saveexec_b64 s[0:1], vcc
	s_cbranch_execz .LBB1189_16
; %bb.15:
	v_mul_u32_u24_e32 v23, 20, v1
	v_lshl_add_u32 v23, v31, 2, v23
	v_add_u32_e32 v23, 0x800, v23
	ds_write2_b32 v23, v24, v22 offset0:128 offset1:148
.LBB1189_16:
	s_or_b64 exec, exec, s[0:1]
.LBB1189_17:
	s_or_b64 exec, exec, s[30:31]
	s_waitcnt lgkmcnt(0)
	s_barrier
	s_load_dword s0, s[28:29], 0x8
	v_lshlrev_b32_e32 v22, 2, v31
	v_add_u32_e32 v32, 0x800, v22
	ds_read2_b32 v[22:23], v32 offset0:128 offset1:133
	ds_read2_b32 v[26:27], v32 offset0:138 offset1:143
	s_mul_i32 s1, s2, s5
	s_waitcnt lgkmcnt(0)
	s_mul_i32 s1, s1, s0
	s_lshl_b32 s0, s1, 1
	s_mov_b32 s1, 0xff7fffff
	v_max3_f32 v25, v22, s1, v23
	v_max3_f32 v25, v25, v26, v27
	v_sub_f32_e32 v22, v22, v25
	v_mul_f32_e32 v22, 0x3fb8aa3b, v22
	ds_read2_b32 v[28:29], v32 offset0:148 offset1:153
	v_exp_f32_e32 v33, v22
	v_sub_f32_e32 v22, v23, v25
	v_sub_f32_e32 v26, v26, v25
	v_mul_f32_e32 v22, 0x3fb8aa3b, v22
	v_mul_f32_e32 v26, 0x3fb8aa3b, v26
	v_exp_f32_e32 v34, v22
	ds_read2_b32 v[22:23], v32 offset0:158 offset1:163
	v_exp_f32_e32 v32, v26
	v_sub_f32_e32 v26, v27, v25
	v_mul_f32_e32 v26, 0x3fb8aa3b, v26
	v_exp_f32_e32 v27, v26
	s_waitcnt lgkmcnt(1)
	v_fma_f32 v26, v33, v28, 0
	v_fmac_f32_e32 v26, v34, v29
	s_waitcnt lgkmcnt(0)
	v_fmac_f32_e32 v26, v32, v22
	s_lshl_b32 s4, s4, 1
	v_fmac_f32_e32 v26, v27, v23
	v_cmp_gt_u32_e32 vcc, 2, v31
	s_and_saveexec_b64 s[2:3], vcc
	s_cbranch_execz .LBB1189_19
; %bb.18:
	s_mov_b32 s1, 0
	s_lshl_b64 s[8:9], s[0:1], 2
	s_add_u32 s12, s16, s8
	s_mov_b32 s25, s1
	s_addc_u32 s13, s17, s9
	s_lshl_b64 s[10:11], s[24:25], 2
	s_add_u32 s12, s12, s10
	s_addc_u32 s13, s13, s11
	s_add_u32 s1, s18, s8
	s_addc_u32 s9, s19, s9
	v_or_b32_e32 v22, s4, v31
	s_add_u32 s8, s1, s10
	v_mul_lo_u32 v22, s5, v22
	v_mov_b32_e32 v23, 0
	s_addc_u32 s9, s9, s11
	v_lshlrev_b64 v[22:23], 2, v[22:23]
	v_lshl_add_u64 v[28:29], s[12:13], 0, v[22:23]
	v_lshl_add_u64 v[22:23], s[8:9], 0, v[22:23]
	global_store_dword v[22:23], v25, off
	global_store_dword v[28:29], v26, off
.LBB1189_19:
	s_or_b64 exec, exec, s[2:3]
	v_mov_b32_e32 v22, 0
	v_mov_b32_e32 v23, 0
	s_and_saveexec_b64 s[2:3], s[6:7]
	s_cbranch_execz .LBB1189_21
; %bb.20:
	v_add_f32_e32 v22, 0x358637bd, v26
	v_div_scale_f32 v23, s[6:7], v22, v22, 1.0
	v_rcp_f32_e32 v26, v23
	v_div_scale_f32 v27, vcc, 1.0, v22, 1.0
	v_sub_f32_e32 v24, v24, v25
	v_fma_f32 v28, -v23, v26, 1.0
	v_fmac_f32_e32 v26, v28, v26
	v_mul_f32_e32 v28, v27, v26
	v_fma_f32 v29, -v23, v28, v27
	v_mul_f32_e32 v24, 0x3fb8aa3b, v24
	v_fmac_f32_e32 v28, v29, v26
	v_exp_f32_e32 v24, v24
	v_fma_f32 v23, -v23, v28, v27
	v_div_fmas_f32 v23, v23, v26, v28
	v_div_fixup_f32 v22, v23, v22, 1.0
	v_mul_f32_e32 v22, v24, v22
	v_pk_mul_f32 v[18:19], v[18:19], v[22:23] op_sel_hi:[1,0]
	v_pk_mul_f32 v[20:21], v[20:21], v[22:23] op_sel_hi:[1,0]
	v_bfe_u32 v22, v19, 16, 1
	v_bfe_u32 v23, v18, 16, 1
	s_movk_i32 s1, 0x7fff
	v_add3_u32 v18, v18, v23, s1
	v_add3_u32 v19, v19, v22, s1
	s_mov_b32 s7, 0x7060302
	v_perm_b32 v18, v19, v18, s7
	v_bfe_u32 v19, v21, 16, 1
	v_bfe_u32 v22, v20, 16, 1
	v_add3_u32 v22, v20, v22, s1
	v_add3_u32 v19, v21, v19, s1
	s_waitcnt vmcnt(2)
	v_cvt_pk_f32_fp8_e32 v[20:21], v6
	v_perm_b32 v19, v19, v22, s7
	v_cvt_pk_f32_fp8_sdwa v[22:23], v6 src0_sel:WORD_1
	v_cvt_pk_f32_fp8_e32 v[24:25], v7
	v_perm_b32 v6, v21, v20, s7
	v_cvt_pk_f32_fp8_sdwa v[20:21], v7 src0_sel:WORD_1
	v_perm_b32 v7, v23, v22, s7
	v_perm_b32 v22, v25, v24, s7
	s_load_dword s6, s[14:15], 0x0
	v_mfma_f32_4x4x4_16b_bf16 a[0:3], v[18:19], v[6:7], 0 cbsz:4
	v_perm_b32 v23, v21, v20, s7
	v_cvt_pk_f32_fp8_e32 v[6:7], v8
	v_cvt_pk_f32_fp8_sdwa v[20:21], v8 src0_sel:WORD_1
	v_mfma_f32_4x4x4_16b_bf16 a[0:3], v[18:19], v[22:23], a[0:3] cbsz:4 abid:1
	v_cvt_pk_f32_fp8_e32 v[22:23], v9
	v_cvt_pk_f32_fp8_sdwa v[8:9], v9 src0_sel:WORD_1
	v_perm_b32 v6, v7, v6, s7
	v_perm_b32 v7, v21, v20, s7
	;; [unrolled: 1-line block ×4, first 2 shown]
	v_mfma_f32_4x4x4_16b_bf16 a[0:3], v[18:19], v[6:7], a[0:3] cbsz:4 abid:2
	v_cvt_pk_f32_fp8_e32 v[6:7], v2
	v_cvt_pk_f32_fp8_sdwa v[8:9], v2 src0_sel:WORD_1
	v_mfma_f32_4x4x4_16b_bf16 a[0:3], v[18:19], v[20:21], a[0:3] cbsz:4 abid:3
	v_cvt_pk_f32_fp8_e32 v[20:21], v3
	v_perm_b32 v2, v7, v6, s7
	v_cvt_pk_f32_fp8_sdwa v[6:7], v3 src0_sel:WORD_1
	v_perm_b32 v3, v9, v8, s7
	v_perm_b32 v8, v21, v20, s7
	;; [unrolled: 1-line block ×3, first 2 shown]
	v_mfma_f32_4x4x4_16b_bf16 a[0:3], v[18:19], v[2:3], a[0:3] cbsz:4 abid:4
	v_cvt_pk_f32_fp8_e32 v[2:3], v4
	v_cvt_pk_f32_fp8_sdwa v[6:7], v4 src0_sel:WORD_1
	v_mfma_f32_4x4x4_16b_bf16 a[0:3], v[18:19], v[8:9], a[0:3] cbsz:4 abid:5
	v_cvt_pk_f32_fp8_e32 v[8:9], v5
	v_cvt_pk_f32_fp8_sdwa v[4:5], v5 src0_sel:WORD_1
	v_perm_b32 v2, v3, v2, s7
	v_perm_b32 v3, v7, v6, s7
	;; [unrolled: 1-line block ×4, first 2 shown]
	v_mfma_f32_4x4x4_16b_bf16 a[0:3], v[18:19], v[2:3], a[0:3] cbsz:4 abid:6
	s_waitcnt vmcnt(0)
	v_cvt_pk_f32_fp8_e32 v[2:3], v14
	v_cvt_pk_f32_fp8_sdwa v[4:5], v14 src0_sel:WORD_1
	v_mfma_f32_4x4x4_16b_bf16 a[0:3], v[18:19], v[6:7], a[0:3] cbsz:4 abid:7
	v_cvt_pk_f32_fp8_e32 v[6:7], v15
	v_cvt_pk_f32_fp8_sdwa v[8:9], v15 src0_sel:WORD_1
	v_perm_b32 v2, v3, v2, s7
	v_perm_b32 v3, v5, v4, s7
	;; [unrolled: 1-line block ×4, first 2 shown]
	v_mfma_f32_4x4x4_16b_bf16 a[0:3], v[18:19], v[2:3], a[0:3] cbsz:4 abid:8
	v_cvt_pk_f32_fp8_e32 v[2:3], v16
	v_cvt_pk_f32_fp8_e32 v[6:7], v17
	v_mfma_f32_4x4x4_16b_bf16 a[0:3], v[18:19], v[4:5], a[0:3] cbsz:4 abid:9
	v_cvt_pk_f32_fp8_sdwa v[4:5], v16 src0_sel:WORD_1
	v_cvt_pk_f32_fp8_sdwa v[8:9], v17 src0_sel:WORD_1
	v_perm_b32 v2, v3, v2, s7
	v_perm_b32 v3, v5, v4, s7
	v_perm_b32 v4, v7, v6, s7
	s_nop 0
	v_mfma_f32_4x4x4_16b_bf16 a[0:3], v[18:19], v[2:3], a[0:3] cbsz:4 abid:10
	v_perm_b32 v5, v9, v8, s7
	v_cvt_pk_f32_fp8_e32 v[2:3], v10
	v_cvt_pk_f32_fp8_e32 v[6:7], v11
	v_mfma_f32_4x4x4_16b_bf16 a[0:3], v[18:19], v[4:5], a[0:3] cbsz:4 abid:11
	v_cvt_pk_f32_fp8_sdwa v[4:5], v10 src0_sel:WORD_1
	v_cvt_pk_f32_fp8_sdwa v[8:9], v11 src0_sel:WORD_1
	v_perm_b32 v2, v3, v2, s7
	v_perm_b32 v3, v5, v4, s7
	v_perm_b32 v4, v7, v6, s7
	s_nop 0
	v_mfma_f32_4x4x4_16b_bf16 a[0:3], v[18:19], v[2:3], a[0:3] cbsz:4 abid:12
	v_perm_b32 v5, v9, v8, s7
	v_cvt_pk_f32_fp8_e32 v[2:3], v12
	v_cvt_pk_f32_fp8_e32 v[6:7], v13
	v_mfma_f32_4x4x4_16b_bf16 a[0:3], v[18:19], v[4:5], a[0:3] cbsz:4 abid:13
	v_cvt_pk_f32_fp8_sdwa v[4:5], v12 src0_sel:WORD_1
	v_cvt_pk_f32_fp8_sdwa v[8:9], v13 src0_sel:WORD_1
	v_perm_b32 v2, v3, v2, s7
	v_perm_b32 v3, v5, v4, s7
	v_perm_b32 v4, v7, v6, s7
	s_nop 0
	v_mfma_f32_4x4x4_16b_bf16 a[0:3], v[18:19], v[2:3], a[0:3] cbsz:4 abid:14
	v_perm_b32 v5, v9, v8, s7
	s_nop 1
	v_mfma_f32_4x4x4_16b_bf16 a[0:3], v[18:19], v[4:5], a[0:3] cbsz:4 abid:15
	s_nop 4
	v_accvgpr_read_b32 v5, a1
	v_accvgpr_read_b32 v4, a0
	;; [unrolled: 1-line block ×4, first 2 shown]
	s_waitcnt lgkmcnt(0)
	v_pk_mul_f32 v[4:5], v[4:5], s[6:7] op_sel_hi:[1,0]
	v_pk_mul_f32 v[2:3], v[2:3], s[6:7] op_sel_hi:[1,0]
	v_bfe_u32 v6, v5, 16, 1
	v_bfe_u32 v7, v4, 16, 1
	v_add3_u32 v4, v4, v7, s1
	v_add3_u32 v5, v5, v6, s1
	v_bfe_u32 v6, v3, 16, 1
	v_bfe_u32 v7, v2, 16, 1
	v_add3_u32 v2, v2, v7, s1
	v_add3_u32 v3, v3, v6, s1
	v_perm_b32 v23, v3, v2, s7
	v_perm_b32 v22, v5, v4, s7
.LBB1189_21:
	s_or_b64 exec, exec, s[2:3]
	v_lshlrev_b32_e32 v1, 3, v1
	v_mad_u32_u24 v1, v30, 40, v1
	v_cmp_gt_u32_e32 vcc, 64, v0
	ds_write_b64 v1, v[22:23]
	s_waitcnt lgkmcnt(0)
	s_barrier
	s_and_saveexec_b64 s[2:3], vcc
	s_cbranch_execz .LBB1189_23
; %bb.22:
	v_mul_u32_u24_e32 v1, 40, v30
	s_waitcnt vmcnt(3)
	ds_read2_b64 v[2:5], v1 offset1:1
	s_waitcnt vmcnt(2)
	ds_read2_b64 v[6:9], v1 offset0:2 offset1:3
	s_mov_b32 s1, 0
	s_lshl_b32 s0, s0, 6
	s_lshl_b64 s[2:3], s[0:1], 1
	s_waitcnt lgkmcnt(1)
	v_and_b32_e32 v1, 0xffff0000, v2
	v_add_f32_e32 v1, 0, v1
	v_and_b32_e32 v3, 0xffff0000, v4
	v_and_b32_e32 v1, 0xffff0000, v1
	v_add_f32_e32 v1, v1, v3
	s_waitcnt lgkmcnt(0)
	v_and_b32_e32 v5, 0xffff0000, v6
	v_and_b32_e32 v1, 0xffff0000, v1
	v_add_f32_e32 v1, v1, v5
	v_and_b32_e32 v1, 0xffff0000, v1
	v_and_b32_e32 v3, 0xffff0000, v8
	v_add_f32_e32 v7, v1, v3
	v_lshlrev_b32_e32 v1, 16, v2
	s_add_u32 s2, s26, s2
	v_add_f32_e32 v1, 0, v1
	s_addc_u32 s3, s27, s3
	s_lshl_b32 s0, s24, 6
	v_and_b32_e32 v1, 0xffff0000, v1
	v_lshlrev_b32_e32 v2, 16, v4
	s_lshl_b64 s[0:1], s[0:1], 1
	v_add_f32_e32 v1, v1, v2
	s_add_u32 s0, s2, s0
	v_and_b32_e32 v1, 0xffff0000, v1
	v_lshlrev_b32_e32 v2, 16, v6
	s_addc_u32 s1, s3, s1
	s_lshl_b32 s2, s5, 6
	v_add_f32_e32 v1, v1, v2
	v_and_b32_e32 v1, 0xffff0000, v1
	v_lshlrev_b32_e32 v2, 16, v8
	s_mul_i32 s3, s2, s4
	v_add_f32_e32 v1, v1, v2
	v_or_b32_e32 v2, s3, v0
	v_mov_b32_e32 v3, 0
	s_add_i32 s3, s3, s2
	v_lshl_add_u64 v[4:5], v[2:3], 1, s[0:1]
	v_or_b32_e32 v2, s3, v0
	global_store_short_d16_hi v[4:5], v1, off
	v_lshl_add_u64 v[0:1], v[2:3], 1, s[0:1]
	global_store_short_d16_hi v[0:1], v7, off
.LBB1189_23:
	s_endpgm
	.section	.rodata,"a",@progbits
	.p2align	6, 0x0
	.amdhsa_kernel _Z38paged_attention_ll4mi_QKV_mfma4_kernelI14__hip_bfloat16hLN4vllm18Fp8KVCacheDataTypeE1EhLi32ELi64ELi256ELb0ELi2EEvPKT_PKT0_S8_ifPKiSA_SA_iPKfiiiPfSD_PS3_PT2_iSC_SC_
		.amdhsa_group_segment_fixed_size 2720
		.amdhsa_private_segment_fixed_size 0
		.amdhsa_kernarg_size 400
		.amdhsa_user_sgpr_count 2
		.amdhsa_user_sgpr_dispatch_ptr 0
		.amdhsa_user_sgpr_queue_ptr 0
		.amdhsa_user_sgpr_kernarg_segment_ptr 1
		.amdhsa_user_sgpr_dispatch_id 0
		.amdhsa_user_sgpr_kernarg_preload_length 0
		.amdhsa_user_sgpr_kernarg_preload_offset 0
		.amdhsa_user_sgpr_private_segment_size 0
		.amdhsa_uses_dynamic_stack 0
		.amdhsa_enable_private_segment 0
		.amdhsa_system_sgpr_workgroup_id_x 1
		.amdhsa_system_sgpr_workgroup_id_y 1
		.amdhsa_system_sgpr_workgroup_id_z 1
		.amdhsa_system_sgpr_workgroup_info 0
		.amdhsa_system_vgpr_workitem_id 0
		.amdhsa_next_free_vgpr 92
		.amdhsa_next_free_sgpr 42
		.amdhsa_accum_offset 88
		.amdhsa_reserve_vcc 1
		.amdhsa_float_round_mode_32 0
		.amdhsa_float_round_mode_16_64 0
		.amdhsa_float_denorm_mode_32 3
		.amdhsa_float_denorm_mode_16_64 3
		.amdhsa_dx10_clamp 1
		.amdhsa_ieee_mode 1
		.amdhsa_fp16_overflow 0
		.amdhsa_tg_split 0
		.amdhsa_exception_fp_ieee_invalid_op 0
		.amdhsa_exception_fp_denorm_src 0
		.amdhsa_exception_fp_ieee_div_zero 0
		.amdhsa_exception_fp_ieee_overflow 0
		.amdhsa_exception_fp_ieee_underflow 0
		.amdhsa_exception_fp_ieee_inexact 0
		.amdhsa_exception_int_div_zero 0
	.end_amdhsa_kernel
	.section	.text._Z38paged_attention_ll4mi_QKV_mfma4_kernelI14__hip_bfloat16hLN4vllm18Fp8KVCacheDataTypeE1EhLi32ELi64ELi256ELb0ELi2EEvPKT_PKT0_S8_ifPKiSA_SA_iPKfiiiPfSD_PS3_PT2_iSC_SC_,"axG",@progbits,_Z38paged_attention_ll4mi_QKV_mfma4_kernelI14__hip_bfloat16hLN4vllm18Fp8KVCacheDataTypeE1EhLi32ELi64ELi256ELb0ELi2EEvPKT_PKT0_S8_ifPKiSA_SA_iPKfiiiPfSD_PS3_PT2_iSC_SC_,comdat
.Lfunc_end1189:
	.size	_Z38paged_attention_ll4mi_QKV_mfma4_kernelI14__hip_bfloat16hLN4vllm18Fp8KVCacheDataTypeE1EhLi32ELi64ELi256ELb0ELi2EEvPKT_PKT0_S8_ifPKiSA_SA_iPKfiiiPfSD_PS3_PT2_iSC_SC_, .Lfunc_end1189-_Z38paged_attention_ll4mi_QKV_mfma4_kernelI14__hip_bfloat16hLN4vllm18Fp8KVCacheDataTypeE1EhLi32ELi64ELi256ELb0ELi2EEvPKT_PKT0_S8_ifPKiSA_SA_iPKfiiiPfSD_PS3_PT2_iSC_SC_
                                        ; -- End function
	.section	.AMDGPU.csdata,"",@progbits
; Kernel info:
; codeLenInByte = 3928
; NumSgprs: 48
; NumVgprs: 86
; NumAgprs: 4
; TotalNumVgprs: 92
; ScratchSize: 0
; MemoryBound: 0
; FloatMode: 240
; IeeeMode: 1
; LDSByteSize: 2720 bytes/workgroup (compile time only)
; SGPRBlocks: 5
; VGPRBlocks: 11
; NumSGPRsForWavesPerEU: 48
; NumVGPRsForWavesPerEU: 92
; AccumOffset: 88
; Occupancy: 5
; WaveLimiterHint : 1
; COMPUTE_PGM_RSRC2:SCRATCH_EN: 0
; COMPUTE_PGM_RSRC2:USER_SGPR: 2
; COMPUTE_PGM_RSRC2:TRAP_HANDLER: 0
; COMPUTE_PGM_RSRC2:TGID_X_EN: 1
; COMPUTE_PGM_RSRC2:TGID_Y_EN: 1
; COMPUTE_PGM_RSRC2:TGID_Z_EN: 1
; COMPUTE_PGM_RSRC2:TIDIG_COMP_CNT: 0
; COMPUTE_PGM_RSRC3_GFX90A:ACCUM_OFFSET: 21
; COMPUTE_PGM_RSRC3_GFX90A:TG_SPLIT: 0
	.section	.text._Z38paged_attention_ll4mi_QKV_mfma4_kernelI14__hip_bfloat16hLN4vllm18Fp8KVCacheDataTypeE1EhLi32ELi64ELi256ELb0ELi3EEvPKT_PKT0_S8_ifPKiSA_SA_iPKfiiiPfSD_PS3_PT2_iSC_SC_,"axG",@progbits,_Z38paged_attention_ll4mi_QKV_mfma4_kernelI14__hip_bfloat16hLN4vllm18Fp8KVCacheDataTypeE1EhLi32ELi64ELi256ELb0ELi3EEvPKT_PKT0_S8_ifPKiSA_SA_iPKfiiiPfSD_PS3_PT2_iSC_SC_,comdat
	.protected	_Z38paged_attention_ll4mi_QKV_mfma4_kernelI14__hip_bfloat16hLN4vllm18Fp8KVCacheDataTypeE1EhLi32ELi64ELi256ELb0ELi3EEvPKT_PKT0_S8_ifPKiSA_SA_iPKfiiiPfSD_PS3_PT2_iSC_SC_ ; -- Begin function _Z38paged_attention_ll4mi_QKV_mfma4_kernelI14__hip_bfloat16hLN4vllm18Fp8KVCacheDataTypeE1EhLi32ELi64ELi256ELb0ELi3EEvPKT_PKT0_S8_ifPKiSA_SA_iPKfiiiPfSD_PS3_PT2_iSC_SC_
	.globl	_Z38paged_attention_ll4mi_QKV_mfma4_kernelI14__hip_bfloat16hLN4vllm18Fp8KVCacheDataTypeE1EhLi32ELi64ELi256ELb0ELi3EEvPKT_PKT0_S8_ifPKiSA_SA_iPKfiiiPfSD_PS3_PT2_iSC_SC_
	.p2align	8
	.type	_Z38paged_attention_ll4mi_QKV_mfma4_kernelI14__hip_bfloat16hLN4vllm18Fp8KVCacheDataTypeE1EhLi32ELi64ELi256ELb0ELi3EEvPKT_PKT0_S8_ifPKiSA_SA_iPKfiiiPfSD_PS3_PT2_iSC_SC_,@function
_Z38paged_attention_ll4mi_QKV_mfma4_kernelI14__hip_bfloat16hLN4vllm18Fp8KVCacheDataTypeE1EhLi32ELi64ELi256ELb0ELi3EEvPKT_PKT0_S8_ifPKiSA_SA_iPKfiiiPfSD_PS3_PT2_iSC_SC_: ; @_Z38paged_attention_ll4mi_QKV_mfma4_kernelI14__hip_bfloat16hLN4vllm18Fp8KVCacheDataTypeE1EhLi32ELi64ELi256ELb0ELi3EEvPKT_PKT0_S8_ifPKiSA_SA_iPKfiiiPfSD_PS3_PT2_iSC_SC_
; %bb.0:
	s_load_dwordx2 s[20:21], s[0:1], 0x30
	s_mov_b32 s24, s3
	s_mov_b64 s[6:7], 0
	s_waitcnt lgkmcnt(0)
	s_cmp_lg_u64 s[20:21], 0
	s_cselect_b64 s[22:23], -1, 0
	s_and_b64 vcc, exec, s[22:23]
	s_cbranch_vccz .LBB1190_10
; %bb.1:
	s_add_i32 s8, s2, 1
	s_mov_b32 s9, 0
	s_lshl_b64 s[10:11], s[8:9], 2
	s_add_u32 s10, s20, s10
	s_mov_b32 s3, s9
	s_addc_u32 s11, s21, s11
	s_lshl_b64 s[8:9], s[2:3], 2
	s_add_u32 s8, s20, s8
	s_addc_u32 s9, s21, s9
	s_load_dword s5, s[10:11], 0x0
	s_load_dword s12, s[8:9], 0x0
	s_waitcnt lgkmcnt(0)
	s_sub_i32 s5, s5, s12
	s_cmp_eq_u32 s5, 1
	s_cselect_b64 s[8:9], -1, 0
	s_andn2_b64 vcc, exec, s[6:7]
	s_cbranch_vccnz .LBB1190_3
.LBB1190_2:
	s_mov_b32 s3, 0
	s_mov_b64 s[8:9], -1
.LBB1190_3:
	s_andn2_b64 vcc, exec, s[8:9]
	s_cbranch_vccnz .LBB1190_23
; %bb.4:
	s_load_dword s5, s[0:1], 0x9c
	s_load_dwordx2 s[6:7], s[0:1], 0x28
	s_add_u32 s28, s0, 0x90
	s_addc_u32 s29, s1, 0
	s_lshl_b64 s[34:35], s[2:3], 2
	s_waitcnt lgkmcnt(0)
	s_and_b32 s5, s5, 0xffff
	s_add_u32 s6, s6, s34
	s_addc_u32 s7, s7, s35
	s_load_dword s3, s[6:7], 0x0
	s_mul_i32 s10, s24, s5
	s_waitcnt lgkmcnt(0)
	s_cmp_ge_i32 s10, s3
	s_cbranch_scc1 .LBB1190_23
; %bb.5:
	v_and_b32_e32 v2, 0xc0, v0
	v_add_u32_e32 v4, s10, v2
	v_lshrrev_b32_e32 v1, 6, v0
	v_cmp_gt_i32_e64 s[6:7], s3, v4
	v_cmp_le_i32_e32 vcc, s3, v4
                                        ; implicit-def: $sgpr25
                                        ; implicit-def: $sgpr11
	s_and_saveexec_b64 s[8:9], vcc
	s_xor_b64 s[8:9], exec, s[8:9]
	s_cbranch_execz .LBB1190_7
; %bb.6:
	v_mul_u32_u24_e32 v2, 20, v1
	v_or_b32_e32 v2, 0xa00, v2
	v_mov_b32_e32 v3, 0xa50
	v_mov_b32_e32 v4, 0xff7fffff
	v_mad_u32_u24 v3, v1, 20, v3
	ds_write2_b32 v2, v4, v4 offset1:1
	v_mov_b32_e32 v2, 0
	ds_write2_b32 v3, v2, v2 offset1:1
	v_mov_b32_e32 v3, 0xa08
	s_mov_b32 s11, 0xff7fffff
	s_mov_b32 s25, 0
	v_mad_u32_u24 v3, v1, 20, v3
	v_mov_b32_e32 v5, 0xa58
	v_mad_u32_u24 v5, v1, 20, v5
	ds_write2_b32 v3, v4, v4 offset1:1
	ds_write2_b32 v5, v2, v2 offset1:1
                                        ; implicit-def: $vgpr4
.LBB1190_7:
	s_or_saveexec_b64 s[30:31], s[8:9]
	s_load_dwordx2 s[26:27], s[0:1], 0x68
	s_load_dwordx4 s[16:19], s[0:1], 0x58
	s_load_dword s5, s[28:29], 0x4
	s_load_dwordx4 s[12:15], s[0:1], 0x80
	v_and_b32_e32 v30, 63, v0
	v_and_b32_e32 v31, 3, v0
	v_mov_b32_e32 v21, s25
	v_mov_b32_e32 v24, s11
	;; [unrolled: 1-line block ×5, first 2 shown]
                                        ; implicit-def: $vgpr10_vgpr11
                                        ; implicit-def: $vgpr6_vgpr7
                                        ; implicit-def: $vgpr14_vgpr15
                                        ; implicit-def: $vgpr2_vgpr3
	s_xor_b64 exec, exec, s[30:31]
	s_cbranch_execz .LBB1190_17
; %bb.8:
	s_load_dwordx2 s[8:9], s[0:1], 0x20
	s_load_dword s11, s[0:1], 0x38
	s_add_i32 s25, s3, 31
	s_ashr_i32 s33, s25, 31
	s_lshr_b32 s33, s33, 27
	v_add_u32_e32 v32, s10, v0
	s_add_i32 s25, s25, s33
	v_ashrrev_i32_e32 v2, 31, v32
	v_ashrrev_i32_e32 v5, 31, v4
	s_ashr_i32 s25, s25, 5
	v_lshrrev_b32_e32 v2, 27, v2
	v_lshrrev_b32_e32 v5, 27, v5
	s_add_i32 s25, s25, -1
	s_waitcnt lgkmcnt(0)
	s_mul_i32 s36, s2, s11
	s_mov_b32 s37, 0
	v_add_u32_e32 v2, v32, v2
	v_add_u32_e32 v4, v4, v5
	s_lshl_b64 s[36:37], s[36:37], 2
	v_ashrrev_i32_e32 v2, 5, v2
	v_mov_b32_e32 v3, s25
	v_cmp_gt_i32_e32 vcc, s3, v32
	v_ashrrev_i32_e32 v6, 5, v4
	s_add_u32 s8, s8, s36
	v_cndmask_b32_e32 v2, v3, v2, vcc
	v_min_i32_e32 v4, s25, v6
	v_add_u32_e32 v6, 1, v6
	s_addc_u32 s9, s9, s37
	v_ashrrev_i32_e32 v3, 31, v2
	v_min_i32_e32 v6, s25, v6
	v_lshl_add_u64 v[2:3], v[2:3], 2, s[8:9]
	v_ashrrev_i32_e32 v5, 31, v4
	v_ashrrev_i32_e32 v7, 31, v6
	v_lshl_add_u64 v[4:5], v[4:5], 2, s[8:9]
	v_lshl_add_u64 v[10:11], v[6:7], 2, s[8:9]
	global_load_dword v6, v[2:3], off
	global_load_dword v9, v[4:5], off
	;; [unrolled: 1-line block ×3, first 2 shown]
	s_load_dwordx4 s[8:11], s[0:1], 0x8
	s_andn2_b64 vcc, exec, s[22:23]
	s_cbranch_vccnz .LBB1190_11
; %bb.9:
	s_add_u32 s20, s20, s34
	s_addc_u32 s21, s21, s35
	s_load_dword s25, s[20:21], 0x0
	s_branch .LBB1190_12
.LBB1190_10:
	s_mov_b64 s[8:9], 0
	s_branch .LBB1190_2
.LBB1190_11:
	s_mov_b32 s25, s2
.LBB1190_12:
	s_load_dwordx4 s[20:23], s[0:1], 0x48
	v_cmp_ne_u32_e32 vcc, 3, v31
	s_mov_b32 s37, 0
	v_mov_b32_e32 v33, 1.0
	v_mov_b32_e32 v7, 0
	v_mov_b32_e32 v2, 0
	;; [unrolled: 1-line block ×5, first 2 shown]
	s_and_saveexec_b64 s[34:35], vcc
	s_cbranch_execz .LBB1190_14
; %bb.13:
	s_load_dwordx2 s[38:39], s[0:1], 0x0
	s_waitcnt lgkmcnt(0)
	s_ashr_i32 s23, s20, 31
	s_mul_hi_u32 s33, s25, s20
	s_mul_i32 s23, s25, s23
	s_add_i32 s41, s33, s23
	s_mul_i32 s40, s25, s20
	s_lshl_b64 s[40:41], s[40:41], 1
	s_add_u32 s20, s38, s40
	s_mul_i32 s36, s4, 0xc0
	s_addc_u32 s23, s39, s41
	s_lshl_b64 s[36:37], s[36:37], 1
	s_add_u32 s36, s20, s36
	v_lshlrev_b32_e32 v2, 3, v31
	v_lshrrev_b32_e32 v3, 2, v30
	s_addc_u32 s37, s23, s37
	v_add_lshl_u32 v2, v2, v3, 4
	global_load_dwordx4 v[2:5], v2, s[36:37]
	v_mov_b32_e32 v33, 0
.LBB1190_14:
	s_or_b64 exec, exec, s[34:35]
	s_waitcnt lgkmcnt(0)
	s_mul_i32 s20, s4, s22
	s_add_u32 s8, s20, s8
	s_addc_u32 s9, 0, s9
	v_mov_b64_e32 v[10:11], s[8:9]
	s_waitcnt vmcnt(2)
	v_mad_i64_i32 v[10:11], s[8:9], v6, s21, v[10:11]
	v_lshlrev_b32_e32 v6, 4, v0
	v_and_b32_e32 v6, 0x1f0, v6
	v_lshl_add_u64 v[10:11], v[10:11], 0, v[6:7]
	global_load_dwordx4 v[26:29], v[10:11], off
	global_load_dwordx4 v[22:25], v[10:11], off offset:512
	global_load_dwordx4 v[18:21], v[10:11], off offset:1024
	;; [unrolled: 1-line block ×3, first 2 shown]
	s_load_dword s9, s[0:1], 0x1c
	s_load_dword s22, s[12:13], 0x0
	s_waitcnt vmcnt(5)
	v_mul_hi_i32 v6, v9, s21
	s_add_u32 s0, s10, s20
	s_waitcnt vmcnt(4)
	v_mul_hi_i32 v10, v8, s21
	v_ashrrev_i32_e32 v12, 31, v6
	s_addc_u32 s1, s11, 0
	v_lshlrev_b32_e32 v6, 5, v30
	v_ashrrev_i32_e32 v36, 31, v10
	s_waitcnt lgkmcnt(0)
	v_mov_b32_e32 v13, s9
	v_lshl_add_u64 v[10:11], s[0:1], 0, v[6:7]
	v_lshrrev_b32_e32 v6, 29, v12
	v_mul_f32_e32 v34, s22, v13
	v_mad_i64_i32 v[12:13], s[0:1], v9, s21, v[6:7]
	v_lshrrev_b32_e32 v6, 29, v36
	v_and_b32_e32 v12, -8, v12
	v_mad_i64_i32 v[6:7], s[0:1], v8, s21, v[6:7]
	v_lshl_add_u64 v[36:37], v[10:11], 0, v[12:13]
	v_and_b32_e32 v6, -8, v6
	v_lshl_add_u64 v[38:39], v[10:11], 0, v[6:7]
	global_load_dwordx4 v[6:9], v[36:37], off offset:16
	global_load_dwordx4 v[10:13], v[36:37], off
	s_mov_b32 s8, 0x7060302
	v_cmp_eq_u32_e32 vcc, 0, v31
	s_waitcnt vmcnt(5)
	v_cvt_pk_f32_fp8_e32 v[36:37], v26
	v_cvt_pk_f32_fp8_sdwa v[40:41], v26 src0_sel:WORD_1
	v_cvt_pk_f32_fp8_e32 v[42:43], v27
	v_cvt_pk_f32_fp8_sdwa v[26:27], v27 src0_sel:WORD_1
	;; [unrolled: 2-line block ×3, first 2 shown]
	v_perm_b32 v36, v37, v36, s8
	v_perm_b32 v37, v41, v40, s8
	v_cvt_pk_f32_fp8_e32 v[48:49], v29
	v_cvt_pk_f32_fp8_sdwa v[28:29], v29 src0_sel:WORD_1
	v_mfma_f32_4x4x4_16b_bf16 a[0:3], v[2:3], v[36:37], 0 cbsz:4
	v_perm_b32 v40, v43, v42, s8
	v_perm_b32 v41, v27, v26, s8
	s_waitcnt vmcnt(4)
	v_cvt_pk_f32_fp8_e32 v[50:51], v22
	v_cvt_pk_f32_fp8_sdwa v[52:53], v22 src0_sel:WORD_1
	v_mfma_f32_4x4x4_16b_bf16 a[0:3], v[4:5], v[40:41], a[0:3] cbsz:4
	v_perm_b32 v26, v45, v44, s8
	v_perm_b32 v27, v47, v46, s8
	v_cvt_pk_f32_fp8_e32 v[54:55], v23
	v_cvt_pk_f32_fp8_sdwa v[22:23], v23 src0_sel:WORD_1
	v_mfma_f32_4x4x4_16b_bf16 a[0:3], v[2:3], v[26:27], a[0:3] cbsz:4 abid:1
	v_perm_b32 v42, v49, v48, s8
	v_perm_b32 v43, v29, v28, s8
	v_cvt_pk_f32_fp8_e32 v[56:57], v24
	v_cvt_pk_f32_fp8_sdwa v[58:59], v24 src0_sel:WORD_1
	v_mfma_f32_4x4x4_16b_bf16 a[0:3], v[4:5], v[42:43], a[0:3] cbsz:4 abid:1
	;; [unrolled: 5-line block ×3, first 2 shown]
	v_perm_b32 v44, v55, v54, s8
	v_perm_b32 v45, v23, v22, s8
	s_waitcnt vmcnt(3)
	v_cvt_pk_f32_fp8_e32 v[62:63], v18
	v_cvt_pk_f32_fp8_sdwa v[64:65], v18 src0_sel:WORD_1
	v_mfma_f32_4x4x4_16b_bf16 a[0:3], v[4:5], v[44:45], a[0:3] cbsz:4 abid:2
	v_perm_b32 v22, v57, v56, s8
	v_perm_b32 v23, v59, v58, s8
	v_cvt_pk_f32_fp8_e32 v[66:67], v19
	v_cvt_pk_f32_fp8_sdwa v[18:19], v19 src0_sel:WORD_1
	v_mfma_f32_4x4x4_16b_bf16 a[0:3], v[2:3], v[22:23], a[0:3] cbsz:4 abid:3
	v_perm_b32 v46, v61, v60, s8
	v_perm_b32 v47, v25, v24, s8
	;; [unrolled: 5-line block ×4, first 2 shown]
	s_waitcnt vmcnt(2)
	v_cvt_pk_f32_fp8_e32 v[74:75], v14
	v_cvt_pk_f32_fp8_sdwa v[76:77], v14 src0_sel:WORD_1
	v_mfma_f32_4x4x4_16b_bf16 a[0:3], v[4:5], v[36:37], a[0:3] cbsz:4 abid:4
	v_perm_b32 v18, v69, v68, s8
	v_perm_b32 v19, v71, v70, s8
	v_cvt_pk_f32_fp8_e32 v[78:79], v15
	v_cvt_pk_f32_fp8_sdwa v[14:15], v15 src0_sel:WORD_1
	v_mfma_f32_4x4x4_16b_bf16 a[0:3], v[2:3], v[18:19], a[0:3] cbsz:4 abid:5
	v_perm_b32 v26, v73, v72, s8
	v_perm_b32 v27, v21, v20, s8
	;; [unrolled: 5-line block ×4, first 2 shown]
	v_perm_b32 v14, v81, v80, s8
	v_perm_b32 v15, v83, v82, s8
	v_mfma_f32_4x4x4_16b_bf16 a[0:3], v[4:5], v[22:23], a[0:3] cbsz:4 abid:6
	v_perm_b32 v18, v85, v84, s8
	v_perm_b32 v19, v17, v16, s8
	v_mfma_f32_4x4x4_16b_bf16 a[0:3], v[2:3], v[14:15], a[0:3] cbsz:4 abid:7
	v_cndmask_b32_e64 v35, 0, 1.0, vcc
	v_cmp_eq_u32_e32 vcc, 1, v31
	v_mfma_f32_4x4x4_16b_bf16 a[0:3], v[4:5], v[18:19], a[0:3] cbsz:4 abid:7
	v_mov_b32_e32 v22, 0xff7fffff
	s_nop 3
	v_accvgpr_read_b32 v3, a1
	v_accvgpr_read_b32 v2, a0
	v_pk_mul_f32 v[18:19], v[2:3], v[34:35] op_sel_hi:[1,0]
	global_load_dwordx4 v[2:5], v[38:39], off offset:16
	global_load_dwordx4 v[14:17], v[38:39], off
	v_accvgpr_read_b32 v21, a3
	v_accvgpr_read_b32 v20, a2
	v_pk_mul_f32 v[20:21], v[20:21], v[34:35] op_sel_hi:[1,0]
	v_mfma_f32_4x4x1_16b_f32 a[0:3], v18, v35, 0
	v_cndmask_b32_e64 v18, 0, 1.0, vcc
	v_cmp_eq_u32_e32 vcc, 2, v31
	s_nop 0
	v_mfma_f32_4x4x1_16b_f32 a[0:3], v19, v18, a[0:3]
	v_cndmask_b32_e64 v18, 0, 1.0, vcc
	v_lshlrev_b32_e32 v19, 2, v0
	v_and_or_b32 v19, v19, 48, v31
	v_mfma_f32_4x4x1_16b_f32 a[0:3], v20, v18, a[0:3]
	v_and_b32_e32 v18, -4, v32
	v_cmp_gt_i32_e32 vcc, s3, v18
	v_mfma_f32_4x4x1_16b_f32 a[0:3], v21, v33, a[0:3]
	v_lshlrev_b32_e32 v26, 2, v19
	s_nop 2
	v_accvgpr_read_b32 v20, a0
	v_max_f32_e32 v21, v20, v20
	v_max_f32_e32 v21, 0xff7fffff, v21
	v_accvgpr_read_b32 v23, a1
	v_cndmask_b32_e32 v21, v22, v21, vcc
	v_or_b32_e32 v22, 1, v18
	v_max_f32_e32 v24, v23, v23
	v_max_f32_e32 v24, v21, v24
	v_cmp_gt_i32_e64 s[0:1], s3, v22
	v_accvgpr_read_b32 v22, a2
	v_or_b32_e32 v18, 2, v18
	v_cndmask_b32_e64 v21, v21, v24, s[0:1]
	v_max_f32_e32 v24, v22, v22
	v_max_f32_e32 v24, v21, v24
	v_cmp_gt_i32_e64 s[8:9], s3, v18
	v_accvgpr_read_b32 v25, a3
	s_nop 0
	v_cndmask_b32_e64 v18, v21, v24, s[8:9]
	v_or_b32_e32 v21, 3, v32
	v_max_f32_e32 v24, v25, v25
	v_max_f32_e32 v24, v18, v24
	v_cmp_gt_i32_e64 s[10:11], s3, v21
	s_nop 1
	v_cndmask_b32_e64 v18, v18, v24, s[10:11]
	;;#ASMSTART
	v_nop
 v_nop
 v_max_f32_dpp v18, v18, v18 row_ror:4
	;;#ASMEND
	s_nop 0
	;;#ASMSTART
	v_nop
 v_nop
 v_max_f32_dpp v18, v18, v18 row_ror:8
	;;#ASMEND
	ds_bpermute_b32 v18, v26, v18
	s_waitcnt lgkmcnt(0)
	;;#ASMSTART
	v_nop
 v_nop
 v_max_f32_dpp v18, v18, v18 row_ror:4
	;;#ASMEND
	s_nop 0
	;;#ASMSTART
	v_nop
 v_nop
 v_max_f32_dpp v24, v18, v18 row_ror:8
	;;#ASMEND
	s_nop 0
	v_sub_f32_e32 v18, v20, v24
	v_mul_f32_e32 v18, 0x3fb8aa3b, v18
	v_sub_f32_e32 v19, v23, v24
	v_exp_f32_e32 v18, v18
	v_mul_f32_e32 v19, 0x3fb8aa3b, v19
	v_sub_f32_e32 v21, v22, v24
	v_exp_f32_e32 v19, v19
	;; [unrolled: 3-line block ×3, first 2 shown]
	v_mul_f32_e32 v22, 0x3fb8aa3b, v22
	v_exp_f32_e32 v22, v22
	v_cndmask_b32_e32 v18, 0, v18, vcc
	v_add_f32_e32 v20, 0, v18
	v_cndmask_b32_e64 v19, 0, v19, s[0:1]
	v_add_f32_e32 v23, v20, v19
	v_cndmask_b32_e64 v20, 0, v21, s[8:9]
	;; [unrolled: 2-line block ×3, first 2 shown]
	v_add_f32_e32 v22, v23, v21
	;;#ASMSTART
	v_nop
 v_nop
 v_add_f32_dpp v22, v22, v22 row_ror:4
	;;#ASMEND
	v_cmp_gt_u32_e32 vcc, 4, v30
	;;#ASMSTART
	v_nop
 v_nop
 v_add_f32_dpp v22, v22, v22 row_ror:8
	;;#ASMEND
	ds_bpermute_b32 v22, v26, v22
	s_waitcnt lgkmcnt(0)
	;;#ASMSTART
	v_nop
 v_nop
 v_add_f32_dpp v22, v22, v22 row_ror:4
	;;#ASMEND
	s_nop 0
	;;#ASMSTART
	v_nop
 v_nop
 v_add_f32_dpp v22, v22, v22 row_ror:8
	;;#ASMEND
	s_and_saveexec_b64 s[0:1], vcc
	s_cbranch_execz .LBB1190_16
; %bb.15:
	v_mul_u32_u24_e32 v23, 20, v1
	v_lshl_add_u32 v23, v31, 2, v23
	v_add_u32_e32 v23, 0x800, v23
	ds_write2_b32 v23, v24, v22 offset0:128 offset1:148
.LBB1190_16:
	s_or_b64 exec, exec, s[0:1]
.LBB1190_17:
	s_or_b64 exec, exec, s[30:31]
	s_waitcnt lgkmcnt(0)
	s_barrier
	s_load_dword s0, s[28:29], 0x8
	v_lshlrev_b32_e32 v22, 2, v31
	v_add_u32_e32 v32, 0x800, v22
	ds_read2_b32 v[22:23], v32 offset0:128 offset1:133
	ds_read2_b32 v[26:27], v32 offset0:138 offset1:143
	s_mul_i32 s1, s2, s5
	s_waitcnt lgkmcnt(0)
	s_mul_i32 s0, s1, s0
	s_mov_b32 s1, 0xff7fffff
	v_max3_f32 v25, v22, s1, v23
	v_max3_f32 v25, v25, v26, v27
	v_sub_f32_e32 v22, v22, v25
	v_mul_f32_e32 v22, 0x3fb8aa3b, v22
	ds_read2_b32 v[28:29], v32 offset0:148 offset1:153
	v_exp_f32_e32 v33, v22
	v_sub_f32_e32 v22, v23, v25
	v_sub_f32_e32 v26, v26, v25
	v_mul_f32_e32 v22, 0x3fb8aa3b, v22
	v_mul_f32_e32 v26, 0x3fb8aa3b, v26
	v_exp_f32_e32 v34, v22
	ds_read2_b32 v[22:23], v32 offset0:158 offset1:163
	v_exp_f32_e32 v32, v26
	v_sub_f32_e32 v26, v27, v25
	v_mul_f32_e32 v26, 0x3fb8aa3b, v26
	v_exp_f32_e32 v27, v26
	s_waitcnt lgkmcnt(1)
	v_fma_f32 v26, v33, v28, 0
	v_fmac_f32_e32 v26, v34, v29
	s_waitcnt lgkmcnt(0)
	v_fmac_f32_e32 v26, v32, v22
	s_mul_i32 s4, s4, 3
	s_mul_i32 s0, s0, 3
	v_fmac_f32_e32 v26, v27, v23
	v_cmp_ne_u32_e32 vcc, 3, v31
	s_and_saveexec_b64 s[2:3], vcc
	s_cbranch_execz .LBB1190_19
; %bb.18:
	s_mov_b32 s1, 0
	s_lshl_b64 s[8:9], s[0:1], 2
	s_add_u32 s12, s16, s8
	s_mov_b32 s25, s1
	s_addc_u32 s13, s17, s9
	s_lshl_b64 s[10:11], s[24:25], 2
	s_add_u32 s12, s12, s10
	s_addc_u32 s13, s13, s11
	s_add_u32 s1, s18, s8
	s_addc_u32 s9, s19, s9
	v_add_u32_e32 v22, s4, v31
	s_add_u32 s8, s1, s10
	v_mul_lo_u32 v22, s5, v22
	v_mov_b32_e32 v23, 0
	s_addc_u32 s9, s9, s11
	v_lshlrev_b64 v[22:23], 2, v[22:23]
	v_lshl_add_u64 v[28:29], s[12:13], 0, v[22:23]
	v_lshl_add_u64 v[22:23], s[8:9], 0, v[22:23]
	global_store_dword v[22:23], v25, off
	global_store_dword v[28:29], v26, off
.LBB1190_19:
	s_or_b64 exec, exec, s[2:3]
	v_mov_b32_e32 v22, 0
	v_mov_b32_e32 v23, 0
	s_and_saveexec_b64 s[2:3], s[6:7]
	s_cbranch_execz .LBB1190_21
; %bb.20:
	v_add_f32_e32 v22, 0x358637bd, v26
	v_div_scale_f32 v23, s[6:7], v22, v22, 1.0
	v_rcp_f32_e32 v26, v23
	v_div_scale_f32 v27, vcc, 1.0, v22, 1.0
	v_sub_f32_e32 v24, v24, v25
	v_fma_f32 v28, -v23, v26, 1.0
	v_fmac_f32_e32 v26, v28, v26
	v_mul_f32_e32 v28, v27, v26
	v_fma_f32 v29, -v23, v28, v27
	v_mul_f32_e32 v24, 0x3fb8aa3b, v24
	v_fmac_f32_e32 v28, v29, v26
	v_exp_f32_e32 v24, v24
	v_fma_f32 v23, -v23, v28, v27
	v_div_fmas_f32 v23, v23, v26, v28
	v_div_fixup_f32 v22, v23, v22, 1.0
	v_mul_f32_e32 v22, v24, v22
	v_pk_mul_f32 v[18:19], v[18:19], v[22:23] op_sel_hi:[1,0]
	v_pk_mul_f32 v[20:21], v[20:21], v[22:23] op_sel_hi:[1,0]
	v_bfe_u32 v22, v19, 16, 1
	v_bfe_u32 v23, v18, 16, 1
	s_movk_i32 s1, 0x7fff
	v_add3_u32 v18, v18, v23, s1
	v_add3_u32 v19, v19, v22, s1
	s_mov_b32 s7, 0x7060302
	v_perm_b32 v18, v19, v18, s7
	v_bfe_u32 v19, v21, 16, 1
	v_bfe_u32 v22, v20, 16, 1
	v_add3_u32 v22, v20, v22, s1
	v_add3_u32 v19, v21, v19, s1
	s_waitcnt vmcnt(2)
	v_cvt_pk_f32_fp8_e32 v[20:21], v10
	v_perm_b32 v19, v19, v22, s7
	v_cvt_pk_f32_fp8_sdwa v[22:23], v10 src0_sel:WORD_1
	v_cvt_pk_f32_fp8_e32 v[24:25], v11
	v_perm_b32 v10, v21, v20, s7
	v_cvt_pk_f32_fp8_sdwa v[20:21], v11 src0_sel:WORD_1
	v_perm_b32 v11, v23, v22, s7
	v_perm_b32 v22, v25, v24, s7
	s_load_dword s6, s[14:15], 0x0
	v_mfma_f32_4x4x4_16b_bf16 a[0:3], v[18:19], v[10:11], 0 cbsz:4
	v_perm_b32 v23, v21, v20, s7
	v_cvt_pk_f32_fp8_e32 v[10:11], v12
	v_cvt_pk_f32_fp8_sdwa v[20:21], v12 src0_sel:WORD_1
	v_mfma_f32_4x4x4_16b_bf16 a[0:3], v[18:19], v[22:23], a[0:3] cbsz:4 abid:1
	v_cvt_pk_f32_fp8_e32 v[22:23], v13
	v_cvt_pk_f32_fp8_sdwa v[12:13], v13 src0_sel:WORD_1
	v_perm_b32 v10, v11, v10, s7
	v_perm_b32 v11, v21, v20, s7
	;; [unrolled: 1-line block ×4, first 2 shown]
	v_mfma_f32_4x4x4_16b_bf16 a[0:3], v[18:19], v[10:11], a[0:3] cbsz:4 abid:2
	v_cvt_pk_f32_fp8_e32 v[10:11], v6
	v_cvt_pk_f32_fp8_sdwa v[12:13], v6 src0_sel:WORD_1
	v_mfma_f32_4x4x4_16b_bf16 a[0:3], v[18:19], v[20:21], a[0:3] cbsz:4 abid:3
	v_cvt_pk_f32_fp8_e32 v[20:21], v7
	v_perm_b32 v6, v11, v10, s7
	v_cvt_pk_f32_fp8_sdwa v[10:11], v7 src0_sel:WORD_1
	v_perm_b32 v7, v13, v12, s7
	v_perm_b32 v12, v21, v20, s7
	;; [unrolled: 1-line block ×3, first 2 shown]
	v_mfma_f32_4x4x4_16b_bf16 a[0:3], v[18:19], v[6:7], a[0:3] cbsz:4 abid:4
	v_cvt_pk_f32_fp8_e32 v[6:7], v8
	v_cvt_pk_f32_fp8_sdwa v[10:11], v8 src0_sel:WORD_1
	v_mfma_f32_4x4x4_16b_bf16 a[0:3], v[18:19], v[12:13], a[0:3] cbsz:4 abid:5
	v_cvt_pk_f32_fp8_e32 v[12:13], v9
	v_cvt_pk_f32_fp8_sdwa v[8:9], v9 src0_sel:WORD_1
	v_perm_b32 v6, v7, v6, s7
	v_perm_b32 v7, v11, v10, s7
	;; [unrolled: 1-line block ×4, first 2 shown]
	v_mfma_f32_4x4x4_16b_bf16 a[0:3], v[18:19], v[6:7], a[0:3] cbsz:4 abid:6
	s_waitcnt vmcnt(0)
	v_cvt_pk_f32_fp8_e32 v[6:7], v14
	v_cvt_pk_f32_fp8_sdwa v[8:9], v14 src0_sel:WORD_1
	v_mfma_f32_4x4x4_16b_bf16 a[0:3], v[18:19], v[10:11], a[0:3] cbsz:4 abid:7
	v_cvt_pk_f32_fp8_e32 v[10:11], v15
	v_cvt_pk_f32_fp8_sdwa v[12:13], v15 src0_sel:WORD_1
	v_perm_b32 v6, v7, v6, s7
	v_perm_b32 v7, v9, v8, s7
	;; [unrolled: 1-line block ×4, first 2 shown]
	v_mfma_f32_4x4x4_16b_bf16 a[0:3], v[18:19], v[6:7], a[0:3] cbsz:4 abid:8
	v_cvt_pk_f32_fp8_e32 v[6:7], v16
	v_cvt_pk_f32_fp8_e32 v[10:11], v17
	v_mfma_f32_4x4x4_16b_bf16 a[0:3], v[18:19], v[8:9], a[0:3] cbsz:4 abid:9
	v_cvt_pk_f32_fp8_sdwa v[8:9], v16 src0_sel:WORD_1
	v_cvt_pk_f32_fp8_sdwa v[12:13], v17 src0_sel:WORD_1
	v_perm_b32 v6, v7, v6, s7
	v_perm_b32 v7, v9, v8, s7
	;; [unrolled: 1-line block ×3, first 2 shown]
	s_nop 0
	v_mfma_f32_4x4x4_16b_bf16 a[0:3], v[18:19], v[6:7], a[0:3] cbsz:4 abid:10
	v_cvt_pk_f32_fp8_e32 v[6:7], v2
	v_perm_b32 v9, v13, v12, s7
	v_cvt_pk_f32_fp8_e32 v[10:11], v3
	s_nop 0
	v_mfma_f32_4x4x4_16b_bf16 a[0:3], v[18:19], v[8:9], a[0:3] cbsz:4 abid:11
	v_cvt_pk_f32_fp8_sdwa v[8:9], v2 src0_sel:WORD_1
	v_perm_b32 v2, v7, v6, s7
	v_cvt_pk_f32_fp8_sdwa v[6:7], v3 src0_sel:WORD_1
	v_perm_b32 v3, v9, v8, s7
	v_perm_b32 v8, v11, v10, s7
	s_nop 0
	v_mfma_f32_4x4x4_16b_bf16 a[0:3], v[18:19], v[2:3], a[0:3] cbsz:4 abid:12
	v_perm_b32 v9, v7, v6, s7
	v_cvt_pk_f32_fp8_e32 v[2:3], v4
	v_cvt_pk_f32_fp8_sdwa v[6:7], v4 src0_sel:WORD_1
	v_mfma_f32_4x4x4_16b_bf16 a[0:3], v[18:19], v[8:9], a[0:3] cbsz:4 abid:13
	v_cvt_pk_f32_fp8_e32 v[8:9], v5
	v_cvt_pk_f32_fp8_sdwa v[4:5], v5 src0_sel:WORD_1
	v_perm_b32 v2, v3, v2, s7
	v_perm_b32 v3, v7, v6, s7
	;; [unrolled: 1-line block ×4, first 2 shown]
	v_mfma_f32_4x4x4_16b_bf16 a[0:3], v[18:19], v[2:3], a[0:3] cbsz:4 abid:14
	s_nop 1
	v_mfma_f32_4x4x4_16b_bf16 a[0:3], v[18:19], v[6:7], a[0:3] cbsz:4 abid:15
	s_nop 4
	v_accvgpr_read_b32 v5, a1
	v_accvgpr_read_b32 v4, a0
	;; [unrolled: 1-line block ×4, first 2 shown]
	s_waitcnt lgkmcnt(0)
	v_pk_mul_f32 v[4:5], v[4:5], s[6:7] op_sel_hi:[1,0]
	v_pk_mul_f32 v[2:3], v[2:3], s[6:7] op_sel_hi:[1,0]
	v_bfe_u32 v6, v5, 16, 1
	v_bfe_u32 v7, v4, 16, 1
	v_add3_u32 v4, v4, v7, s1
	v_add3_u32 v5, v5, v6, s1
	v_bfe_u32 v6, v3, 16, 1
	v_bfe_u32 v7, v2, 16, 1
	v_add3_u32 v2, v2, v7, s1
	v_add3_u32 v3, v3, v6, s1
	v_perm_b32 v23, v3, v2, s7
	v_perm_b32 v22, v5, v4, s7
.LBB1190_21:
	s_or_b64 exec, exec, s[2:3]
	v_lshlrev_b32_e32 v1, 3, v1
	v_mad_u32_u24 v1, v30, 40, v1
	v_cmp_gt_u32_e32 vcc, 64, v0
	ds_write_b64 v1, v[22:23]
	s_waitcnt lgkmcnt(0)
	s_barrier
	s_and_saveexec_b64 s[2:3], vcc
	s_cbranch_execz .LBB1190_23
; %bb.22:
	v_mul_u32_u24_e32 v1, 40, v30
	s_waitcnt vmcnt(1)
	ds_read2_b64 v[2:5], v1 offset1:1
	ds_read2_b64 v[6:9], v1 offset0:2 offset1:3
	s_mov_b32 s1, 0
	s_lshl_b32 s0, s0, 6
	s_lshl_b64 s[2:3], s[0:1], 1
	s_waitcnt lgkmcnt(1)
	v_and_b32_e32 v1, 0xffff0000, v2
	v_lshlrev_b32_e32 v3, 16, v3
	v_add_f32_e32 v1, 0, v1
	v_add_f32_e32 v3, 0, v3
	v_and_b32_e32 v1, 0xffff0000, v1
	v_and_b32_e32 v10, 0xffff0000, v4
	;; [unrolled: 1-line block ×3, first 2 shown]
	v_add_f32_e32 v1, v1, v10
	v_lshlrev_b32_e32 v5, 16, v5
	v_and_b32_e32 v1, 0xffff0000, v1
	v_add_f32_e32 v3, v3, v5
	s_waitcnt lgkmcnt(0)
	v_and_b32_e32 v5, 0xffff0000, v6
	v_and_b32_e32 v3, 0xffff0000, v3
	v_add_f32_e32 v1, v1, v5
	v_lshlrev_b32_e32 v5, 16, v7
	v_and_b32_e32 v1, 0xffff0000, v1
	v_add_f32_e32 v3, v3, v5
	v_and_b32_e32 v5, 0xffff0000, v8
	v_lshlrev_b32_e32 v2, 16, v2
	v_and_b32_e32 v3, 0xffff0000, v3
	v_add_f32_e32 v1, v1, v5
	v_lshlrev_b32_e32 v5, 16, v9
	s_add_u32 s2, s26, s2
	v_add_f32_e32 v2, 0, v2
	v_add_f32_e32 v7, v3, v5
	s_addc_u32 s3, s27, s3
	s_lshl_b32 s0, s24, 6
	v_and_b32_e32 v2, 0xffff0000, v2
	v_lshlrev_b32_e32 v3, 16, v4
	s_lshl_b64 s[0:1], s[0:1], 1
	v_add_f32_e32 v2, v2, v3
	s_add_u32 s0, s2, s0
	v_and_b32_e32 v2, 0xffff0000, v2
	v_lshlrev_b32_e32 v3, 16, v6
	s_addc_u32 s1, s3, s1
	s_lshl_b32 s2, s5, 6
	v_add_f32_e32 v2, v2, v3
	v_and_b32_e32 v2, 0xffff0000, v2
	v_lshlrev_b32_e32 v3, 16, v8
	s_mul_i32 s3, s2, s4
	v_add_f32_e32 v6, v2, v3
	v_or_b32_e32 v2, s3, v0
	v_mov_b32_e32 v3, 0
	s_add_i32 s3, s3, s2
	v_lshl_add_u64 v[4:5], v[2:3], 1, s[0:1]
	v_or_b32_e32 v2, s3, v0
	s_add_i32 s3, s3, s2
	global_store_short_d16_hi v[4:5], v6, off
	v_lshl_add_u64 v[4:5], v[2:3], 1, s[0:1]
	v_or_b32_e32 v2, s3, v0
	global_store_short_d16_hi v[4:5], v1, off
	v_lshl_add_u64 v[0:1], v[2:3], 1, s[0:1]
	global_store_short_d16_hi v[0:1], v7, off
.LBB1190_23:
	s_endpgm
	.section	.rodata,"a",@progbits
	.p2align	6, 0x0
	.amdhsa_kernel _Z38paged_attention_ll4mi_QKV_mfma4_kernelI14__hip_bfloat16hLN4vllm18Fp8KVCacheDataTypeE1EhLi32ELi64ELi256ELb0ELi3EEvPKT_PKT0_S8_ifPKiSA_SA_iPKfiiiPfSD_PS3_PT2_iSC_SC_
		.amdhsa_group_segment_fixed_size 2720
		.amdhsa_private_segment_fixed_size 0
		.amdhsa_kernarg_size 400
		.amdhsa_user_sgpr_count 2
		.amdhsa_user_sgpr_dispatch_ptr 0
		.amdhsa_user_sgpr_queue_ptr 0
		.amdhsa_user_sgpr_kernarg_segment_ptr 1
		.amdhsa_user_sgpr_dispatch_id 0
		.amdhsa_user_sgpr_kernarg_preload_length 0
		.amdhsa_user_sgpr_kernarg_preload_offset 0
		.amdhsa_user_sgpr_private_segment_size 0
		.amdhsa_uses_dynamic_stack 0
		.amdhsa_enable_private_segment 0
		.amdhsa_system_sgpr_workgroup_id_x 1
		.amdhsa_system_sgpr_workgroup_id_y 1
		.amdhsa_system_sgpr_workgroup_id_z 1
		.amdhsa_system_sgpr_workgroup_info 0
		.amdhsa_system_vgpr_workitem_id 0
		.amdhsa_next_free_vgpr 92
		.amdhsa_next_free_sgpr 42
		.amdhsa_accum_offset 88
		.amdhsa_reserve_vcc 1
		.amdhsa_float_round_mode_32 0
		.amdhsa_float_round_mode_16_64 0
		.amdhsa_float_denorm_mode_32 3
		.amdhsa_float_denorm_mode_16_64 3
		.amdhsa_dx10_clamp 1
		.amdhsa_ieee_mode 1
		.amdhsa_fp16_overflow 0
		.amdhsa_tg_split 0
		.amdhsa_exception_fp_ieee_invalid_op 0
		.amdhsa_exception_fp_denorm_src 0
		.amdhsa_exception_fp_ieee_div_zero 0
		.amdhsa_exception_fp_ieee_overflow 0
		.amdhsa_exception_fp_ieee_underflow 0
		.amdhsa_exception_fp_ieee_inexact 0
		.amdhsa_exception_int_div_zero 0
	.end_amdhsa_kernel
	.section	.text._Z38paged_attention_ll4mi_QKV_mfma4_kernelI14__hip_bfloat16hLN4vllm18Fp8KVCacheDataTypeE1EhLi32ELi64ELi256ELb0ELi3EEvPKT_PKT0_S8_ifPKiSA_SA_iPKfiiiPfSD_PS3_PT2_iSC_SC_,"axG",@progbits,_Z38paged_attention_ll4mi_QKV_mfma4_kernelI14__hip_bfloat16hLN4vllm18Fp8KVCacheDataTypeE1EhLi32ELi64ELi256ELb0ELi3EEvPKT_PKT0_S8_ifPKiSA_SA_iPKfiiiPfSD_PS3_PT2_iSC_SC_,comdat
.Lfunc_end1190:
	.size	_Z38paged_attention_ll4mi_QKV_mfma4_kernelI14__hip_bfloat16hLN4vllm18Fp8KVCacheDataTypeE1EhLi32ELi64ELi256ELb0ELi3EEvPKT_PKT0_S8_ifPKiSA_SA_iPKfiiiPfSD_PS3_PT2_iSC_SC_, .Lfunc_end1190-_Z38paged_attention_ll4mi_QKV_mfma4_kernelI14__hip_bfloat16hLN4vllm18Fp8KVCacheDataTypeE1EhLi32ELi64ELi256ELb0ELi3EEvPKT_PKT0_S8_ifPKiSA_SA_iPKfiiiPfSD_PS3_PT2_iSC_SC_
                                        ; -- End function
	.section	.AMDGPU.csdata,"",@progbits
; Kernel info:
; codeLenInByte = 4004
; NumSgprs: 48
; NumVgprs: 86
; NumAgprs: 4
; TotalNumVgprs: 92
; ScratchSize: 0
; MemoryBound: 0
; FloatMode: 240
; IeeeMode: 1
; LDSByteSize: 2720 bytes/workgroup (compile time only)
; SGPRBlocks: 5
; VGPRBlocks: 11
; NumSGPRsForWavesPerEU: 48
; NumVGPRsForWavesPerEU: 92
; AccumOffset: 88
; Occupancy: 5
; WaveLimiterHint : 1
; COMPUTE_PGM_RSRC2:SCRATCH_EN: 0
; COMPUTE_PGM_RSRC2:USER_SGPR: 2
; COMPUTE_PGM_RSRC2:TRAP_HANDLER: 0
; COMPUTE_PGM_RSRC2:TGID_X_EN: 1
; COMPUTE_PGM_RSRC2:TGID_Y_EN: 1
; COMPUTE_PGM_RSRC2:TGID_Z_EN: 1
; COMPUTE_PGM_RSRC2:TIDIG_COMP_CNT: 0
; COMPUTE_PGM_RSRC3_GFX90A:ACCUM_OFFSET: 21
; COMPUTE_PGM_RSRC3_GFX90A:TG_SPLIT: 0
	.section	.text._Z38paged_attention_ll4mi_QKV_mfma4_kernelI14__hip_bfloat16hLN4vllm18Fp8KVCacheDataTypeE1EhLi32ELi64ELi256ELb0ELi4EEvPKT_PKT0_S8_ifPKiSA_SA_iPKfiiiPfSD_PS3_PT2_iSC_SC_,"axG",@progbits,_Z38paged_attention_ll4mi_QKV_mfma4_kernelI14__hip_bfloat16hLN4vllm18Fp8KVCacheDataTypeE1EhLi32ELi64ELi256ELb0ELi4EEvPKT_PKT0_S8_ifPKiSA_SA_iPKfiiiPfSD_PS3_PT2_iSC_SC_,comdat
	.protected	_Z38paged_attention_ll4mi_QKV_mfma4_kernelI14__hip_bfloat16hLN4vllm18Fp8KVCacheDataTypeE1EhLi32ELi64ELi256ELb0ELi4EEvPKT_PKT0_S8_ifPKiSA_SA_iPKfiiiPfSD_PS3_PT2_iSC_SC_ ; -- Begin function _Z38paged_attention_ll4mi_QKV_mfma4_kernelI14__hip_bfloat16hLN4vllm18Fp8KVCacheDataTypeE1EhLi32ELi64ELi256ELb0ELi4EEvPKT_PKT0_S8_ifPKiSA_SA_iPKfiiiPfSD_PS3_PT2_iSC_SC_
	.globl	_Z38paged_attention_ll4mi_QKV_mfma4_kernelI14__hip_bfloat16hLN4vllm18Fp8KVCacheDataTypeE1EhLi32ELi64ELi256ELb0ELi4EEvPKT_PKT0_S8_ifPKiSA_SA_iPKfiiiPfSD_PS3_PT2_iSC_SC_
	.p2align	8
	.type	_Z38paged_attention_ll4mi_QKV_mfma4_kernelI14__hip_bfloat16hLN4vllm18Fp8KVCacheDataTypeE1EhLi32ELi64ELi256ELb0ELi4EEvPKT_PKT0_S8_ifPKiSA_SA_iPKfiiiPfSD_PS3_PT2_iSC_SC_,@function
_Z38paged_attention_ll4mi_QKV_mfma4_kernelI14__hip_bfloat16hLN4vllm18Fp8KVCacheDataTypeE1EhLi32ELi64ELi256ELb0ELi4EEvPKT_PKT0_S8_ifPKiSA_SA_iPKfiiiPfSD_PS3_PT2_iSC_SC_: ; @_Z38paged_attention_ll4mi_QKV_mfma4_kernelI14__hip_bfloat16hLN4vllm18Fp8KVCacheDataTypeE1EhLi32ELi64ELi256ELb0ELi4EEvPKT_PKT0_S8_ifPKiSA_SA_iPKfiiiPfSD_PS3_PT2_iSC_SC_
; %bb.0:
	s_load_dwordx2 s[8:9], s[0:1], 0x30
	s_mov_b32 s24, s3
	s_mov_b64 s[6:7], 0
	s_waitcnt lgkmcnt(0)
	s_cmp_lg_u64 s[8:9], 0
	s_cselect_b64 s[10:11], -1, 0
	s_and_b64 vcc, exec, s[10:11]
	s_cbranch_vccz .LBB1191_18
; %bb.1:
	s_add_i32 s12, s2, 1
	s_mov_b32 s13, 0
	s_lshl_b64 s[14:15], s[12:13], 2
	s_add_u32 s14, s8, s14
	s_mov_b32 s3, s13
	s_addc_u32 s15, s9, s15
	s_lshl_b64 s[12:13], s[2:3], 2
	s_add_u32 s12, s8, s12
	s_addc_u32 s13, s9, s13
	s_load_dword s5, s[14:15], 0x0
	s_load_dword s16, s[12:13], 0x0
	s_mov_b64 s[34:35], s[2:3]
	s_waitcnt lgkmcnt(0)
	s_sub_i32 s5, s5, s16
	s_cmp_eq_u32 s5, 1
	s_cselect_b64 s[12:13], -1, 0
	s_andn2_b64 vcc, exec, s[6:7]
	s_cbranch_vccnz .LBB1191_3
.LBB1191_2:
	s_mov_b32 s3, 0
	s_mov_b64 s[12:13], -1
	s_mov_b64 s[34:35], s[2:3]
.LBB1191_3:
	s_andn2_b64 vcc, exec, s[12:13]
	s_cbranch_vccnz .LBB1191_17
; %bb.4:
	s_load_dword s3, s[0:1], 0x9c
	s_load_dwordx2 s[6:7], s[0:1], 0x28
	s_add_u32 s28, s0, 0x90
	s_addc_u32 s29, s1, 0
	s_lshl_b64 s[40:41], s[34:35], 2
	s_waitcnt lgkmcnt(0)
	s_and_b32 s5, s3, 0xffff
	s_add_u32 s6, s6, s40
	s_addc_u32 s7, s7, s41
	s_load_dword s3, s[6:7], 0x0
	s_mul_i32 s20, s24, s5
	s_waitcnt lgkmcnt(0)
	s_cmp_ge_i32 s20, s3
	s_cbranch_scc1 .LBB1191_17
; %bb.5:
	v_and_b32_e32 v2, 0xc0, v0
	v_add_u32_e32 v4, s20, v2
	v_lshrrev_b32_e32 v1, 6, v0
	v_cmp_gt_i32_e64 s[6:7], s3, v4
	v_cmp_le_i32_e32 vcc, s3, v4
                                        ; implicit-def: $sgpr22
                                        ; implicit-def: $sgpr21
	s_and_saveexec_b64 s[12:13], vcc
	s_xor_b64 s[12:13], exec, s[12:13]
	s_cbranch_execz .LBB1191_7
; %bb.6:
	v_mul_u32_u24_e32 v2, 20, v1
	v_or_b32_e32 v2, 0xa00, v2
	v_mov_b32_e32 v3, 0xa50
	v_mov_b32_e32 v4, 0xff7fffff
	v_mad_u32_u24 v3, v1, 20, v3
	ds_write2_b32 v2, v4, v4 offset1:1
	v_mov_b32_e32 v2, 0
	ds_write2_b32 v3, v2, v2 offset1:1
	v_mov_b32_e32 v3, 0xa08
	s_mov_b32 s21, 0xff7fffff
	s_mov_b32 s22, 0
	v_mad_u32_u24 v3, v1, 20, v3
	v_mov_b32_e32 v5, 0xa58
	v_mad_u32_u24 v5, v1, 20, v5
	ds_write2_b32 v3, v4, v4 offset1:1
	ds_write2_b32 v5, v2, v2 offset1:1
                                        ; implicit-def: $vgpr4
.LBB1191_7:
	s_or_saveexec_b64 s[30:31], s[12:13]
	s_load_dwordx2 s[26:27], s[0:1], 0x68
	s_load_dwordx4 s[16:19], s[0:1], 0x58
	s_load_dword s5, s[28:29], 0x4
	s_load_dwordx4 s[12:15], s[0:1], 0x80
	v_and_b32_e32 v24, 63, v0
	v_and_b32_e32 v22, 3, v0
	v_mov_b32_e32 v21, s22
	v_mov_b32_e32 v25, s21
	;; [unrolled: 1-line block ×5, first 2 shown]
                                        ; implicit-def: $vgpr14_vgpr15
                                        ; implicit-def: $vgpr10_vgpr11
                                        ; implicit-def: $vgpr6_vgpr7
                                        ; implicit-def: $vgpr2_vgpr3
	s_xor_b64 exec, exec, s[30:31]
	s_cbranch_execz .LBB1191_13
; %bb.8:
	s_load_dwordx2 s[22:23], s[0:1], 0x20
	s_load_dword s21, s[0:1], 0x38
	s_add_i32 s25, s3, 31
	s_ashr_i32 s33, s25, 31
	s_lshr_b32 s33, s33, 27
	v_add_u32_e32 v18, s20, v0
	s_add_i32 s25, s25, s33
	v_ashrrev_i32_e32 v2, 31, v18
	s_ashr_i32 s25, s25, 5
	v_lshrrev_b32_e32 v2, 27, v2
	s_add_i32 s25, s25, -1
	s_waitcnt lgkmcnt(0)
	s_mul_i32 s36, s2, s21
	s_mov_b32 s37, 0
	v_add_u32_e32 v2, v18, v2
	s_lshl_b64 s[38:39], s[36:37], 2
	v_ashrrev_i32_e32 v2, 5, v2
	v_mov_b32_e32 v3, s25
	v_cmp_gt_i32_e32 vcc, s3, v18
	s_add_u32 s22, s22, s38
	s_addc_u32 s23, s23, s39
	v_cndmask_b32_e32 v2, v3, v2, vcc
	v_ashrrev_i32_e32 v3, 31, v2
	v_lshl_add_u64 v[6:7], v[2:3], 2, s[22:23]
	v_ashrrev_i32_e32 v2, 31, v4
	v_lshrrev_b32_e32 v2, 27, v2
	v_add_u32_e32 v2, v4, v2
	v_ashrrev_i32_e32 v4, 5, v2
	v_min_i32_e32 v2, s25, v4
	v_ashrrev_i32_e32 v3, 31, v2
	v_lshl_add_u64 v[8:9], v[2:3], 2, s[22:23]
	v_add_u32_e32 v2, 1, v4
	v_min_i32_e32 v2, s25, v2
	v_ashrrev_i32_e32 v3, 31, v2
	v_lshl_add_u64 v[10:11], v[2:3], 2, s[22:23]
	global_load_dword v4, v[6:7], off
	global_load_dword v3, v[8:9], off
	global_load_dword v2, v[10:11], off
	s_load_dwordx4 s[20:23], s[0:1], 0x0
	s_load_dwordx2 s[38:39], s[0:1], 0x10
	s_andn2_b64 vcc, exec, s[10:11]
	s_cbranch_vccnz .LBB1191_10
; %bb.9:
	s_add_u32 s8, s8, s40
	s_addc_u32 s9, s9, s41
	s_load_dword s36, s[8:9], 0x0
	s_waitcnt lgkmcnt(0)
	s_mov_b64 s[34:35], s[36:37]
.LBB1191_10:
	s_load_dwordx4 s[8:11], s[0:1], 0x48
	s_load_dword s25, s[0:1], 0x1c
	v_cmp_eq_u32_e32 vcc, 0, v22
	v_mov_b32_e32 v25, 0xff7fffff
	s_waitcnt lgkmcnt(0)
	s_ashr_i32 s1, s8, 31
	s_mul_hi_u32 s11, s34, s8
	s_mul_i32 s1, s34, s1
	s_mul_i32 s33, s35, s8
	s_add_i32 s1, s11, s1
	s_mul_i32 s0, s34, s8
	s_add_i32 s1, s1, s33
	s_lshl_b64 s[0:1], s[0:1], 1
	s_add_u32 s8, s20, s0
	s_addc_u32 s11, s21, s1
	s_lshl_b32 s36, s4, 8
	s_lshl_b64 s[0:1], s[36:37], 1
	s_add_u32 s0, s8, s0
	s_addc_u32 s1, s11, s1
	s_mul_i32 s8, s4, s10
	s_add_u32 s10, s8, s22
	s_addc_u32 s11, 0, s23
	v_mov_b64_e32 v[6:7], s[10:11]
	s_waitcnt vmcnt(2)
	v_mad_i64_i32 v[4:5], s[10:11], v4, s9, v[6:7]
	v_lshlrev_b32_e32 v6, 4, v0
	v_and_b32_e32 v6, 0x1f0, v6
	v_mov_b32_e32 v7, 0
	v_lshl_add_u64 v[4:5], v[4:5], 0, v[6:7]
	global_load_dwordx4 v[26:29], v[4:5], off
	global_load_dwordx4 v[30:33], v[4:5], off offset:512
	global_load_dwordx4 v[34:37], v[4:5], off offset:1024
	;; [unrolled: 1-line block ×3, first 2 shown]
	v_lshrrev_b32_e32 v4, 2, v24
	v_lshlrev_b32_e32 v5, 3, v22
	v_add_lshl_u32 v4, v5, v4, 4
	global_load_dwordx4 v[42:45], v4, s[0:1]
	s_waitcnt vmcnt(6)
	v_mul_hi_i32 v4, v3, s9
	s_add_u32 s0, s38, s8
	s_waitcnt vmcnt(5)
	v_mul_hi_i32 v5, v2, s9
	v_ashrrev_i32_e32 v8, 31, v4
	s_addc_u32 s1, s39, 0
	v_lshlrev_b32_e32 v6, 5, v24
	v_ashrrev_i32_e32 v10, 31, v5
	v_lshl_add_u64 v[4:5], s[0:1], 0, v[6:7]
	v_lshrrev_b32_e32 v6, 29, v8
	v_mad_i64_i32 v[8:9], s[0:1], v3, s9, v[6:7]
	v_lshrrev_b32_e32 v6, 29, v10
	v_mad_i64_i32 v[2:3], s[0:1], v2, s9, v[6:7]
	v_and_b32_e32 v8, -8, v8
	v_and_b32_e32 v2, -8, v2
	v_lshl_add_u64 v[20:21], v[4:5], 0, v[8:9]
	v_lshl_add_u64 v[46:47], v[4:5], 0, v[2:3]
	global_load_dwordx4 v[10:13], v[20:21], off offset:16
	global_load_dwordx4 v[14:17], v[20:21], off
	global_load_dwordx4 v[2:5], v[46:47], off offset:16
	global_load_dwordx4 v[6:9], v[46:47], off
	s_mov_b32 s10, 0x7060302
	s_load_dword s0, s[12:13], 0x0
	v_mov_b32_e32 v19, s25
	s_waitcnt vmcnt(8)
	v_cvt_pk_f32_fp8_e32 v[20:21], v26
	v_cvt_pk_f32_fp8_sdwa v[46:47], v26 src0_sel:WORD_1
	v_cvt_pk_f32_fp8_e32 v[48:49], v27
	v_cvt_pk_f32_fp8_sdwa v[26:27], v27 src0_sel:WORD_1
	;; [unrolled: 2-line block ×3, first 2 shown]
	v_perm_b32 v20, v21, v20, s10
	v_perm_b32 v21, v47, v46, s10
	v_cvt_pk_f32_fp8_e32 v[54:55], v29
	v_cvt_pk_f32_fp8_sdwa v[28:29], v29 src0_sel:WORD_1
	s_waitcnt vmcnt(4)
	v_mfma_f32_4x4x4_16b_bf16 a[0:3], v[42:43], v[20:21], 0 cbsz:4
	v_perm_b32 v46, v49, v48, s10
	v_perm_b32 v47, v27, v26, s10
	v_cvt_pk_f32_fp8_e32 v[56:57], v30
	v_cvt_pk_f32_fp8_sdwa v[58:59], v30 src0_sel:WORD_1
	v_mfma_f32_4x4x4_16b_bf16 a[0:3], v[44:45], v[46:47], a[0:3] cbsz:4
	v_perm_b32 v26, v51, v50, s10
	v_perm_b32 v27, v53, v52, s10
	v_cvt_pk_f32_fp8_e32 v[60:61], v31
	v_cvt_pk_f32_fp8_sdwa v[30:31], v31 src0_sel:WORD_1
	v_mfma_f32_4x4x4_16b_bf16 a[0:3], v[42:43], v[26:27], a[0:3] cbsz:4 abid:1
	v_perm_b32 v48, v55, v54, s10
	v_perm_b32 v49, v29, v28, s10
	v_cvt_pk_f32_fp8_e32 v[62:63], v32
	v_cvt_pk_f32_fp8_sdwa v[64:65], v32 src0_sel:WORD_1
	v_mfma_f32_4x4x4_16b_bf16 a[0:3], v[44:45], v[48:49], a[0:3] cbsz:4 abid:1
	v_perm_b32 v28, v57, v56, s10
	v_perm_b32 v29, v59, v58, s10
	v_cvt_pk_f32_fp8_e32 v[66:67], v33
	v_cvt_pk_f32_fp8_sdwa v[32:33], v33 src0_sel:WORD_1
	v_mfma_f32_4x4x4_16b_bf16 a[0:3], v[42:43], v[28:29], a[0:3] cbsz:4 abid:2
	v_perm_b32 v50, v61, v60, s10
	v_perm_b32 v51, v31, v30, s10
	v_cvt_pk_f32_fp8_e32 v[68:69], v34
	v_cvt_pk_f32_fp8_sdwa v[70:71], v34 src0_sel:WORD_1
	v_mfma_f32_4x4x4_16b_bf16 a[0:3], v[44:45], v[50:51], a[0:3] cbsz:4 abid:2
	v_perm_b32 v30, v63, v62, s10
	v_perm_b32 v31, v65, v64, s10
	v_cvt_pk_f32_fp8_e32 v[72:73], v35
	v_cvt_pk_f32_fp8_sdwa v[34:35], v35 src0_sel:WORD_1
	v_mfma_f32_4x4x4_16b_bf16 a[0:3], v[42:43], v[30:31], a[0:3] cbsz:4 abid:3
	v_perm_b32 v52, v67, v66, s10
	v_perm_b32 v53, v33, v32, s10
	v_cvt_pk_f32_fp8_e32 v[74:75], v36
	v_cvt_pk_f32_fp8_sdwa v[76:77], v36 src0_sel:WORD_1
	v_mfma_f32_4x4x4_16b_bf16 a[0:3], v[44:45], v[52:53], a[0:3] cbsz:4 abid:3
	v_perm_b32 v20, v69, v68, s10
	v_perm_b32 v21, v71, v70, s10
	v_cvt_pk_f32_fp8_e32 v[78:79], v37
	v_cvt_pk_f32_fp8_sdwa v[36:37], v37 src0_sel:WORD_1
	v_mfma_f32_4x4x4_16b_bf16 a[0:3], v[42:43], v[20:21], a[0:3] cbsz:4 abid:4
	v_perm_b32 v26, v73, v72, s10
	v_perm_b32 v27, v35, v34, s10
	v_cvt_pk_f32_fp8_e32 v[80:81], v38
	v_cvt_pk_f32_fp8_sdwa v[82:83], v38 src0_sel:WORD_1
	v_mfma_f32_4x4x4_16b_bf16 a[0:3], v[44:45], v[26:27], a[0:3] cbsz:4 abid:4
	v_perm_b32 v28, v75, v74, s10
	v_perm_b32 v29, v77, v76, s10
	v_cvt_pk_f32_fp8_e32 v[84:85], v39
	v_cvt_pk_f32_fp8_sdwa v[38:39], v39 src0_sel:WORD_1
	v_mfma_f32_4x4x4_16b_bf16 a[0:3], v[42:43], v[28:29], a[0:3] cbsz:4 abid:5
	v_perm_b32 v30, v79, v78, s10
	v_perm_b32 v31, v37, v36, s10
	v_cvt_pk_f32_fp8_e32 v[86:87], v40
	v_cvt_pk_f32_fp8_sdwa v[88:89], v40 src0_sel:WORD_1
	v_mfma_f32_4x4x4_16b_bf16 a[0:3], v[44:45], v[30:31], a[0:3] cbsz:4 abid:5
	v_perm_b32 v20, v81, v80, s10
	v_perm_b32 v21, v83, v82, s10
	v_cvt_pk_f32_fp8_e32 v[90:91], v41
	v_cvt_pk_f32_fp8_sdwa v[40:41], v41 src0_sel:WORD_1
	v_mfma_f32_4x4x4_16b_bf16 a[0:3], v[42:43], v[20:21], a[0:3] cbsz:4 abid:6
	v_perm_b32 v26, v85, v84, s10
	v_perm_b32 v27, v39, v38, s10
	v_perm_b32 v20, v87, v86, s10
	v_perm_b32 v21, v89, v88, s10
	v_mfma_f32_4x4x4_16b_bf16 a[0:3], v[44:45], v[26:27], a[0:3] cbsz:4 abid:6
	v_perm_b32 v26, v91, v90, s10
	v_perm_b32 v27, v41, v40, s10
	v_mfma_f32_4x4x4_16b_bf16 a[0:3], v[42:43], v[20:21], a[0:3] cbsz:4 abid:7
	s_nop 1
	v_mfma_f32_4x4x4_16b_bf16 a[0:3], v[44:45], v[26:27], a[0:3] cbsz:4 abid:7
	s_waitcnt lgkmcnt(0)
	v_mul_f32_e32 v26, s0, v19
	v_cndmask_b32_e64 v19, 0, 1.0, vcc
	v_cmp_eq_u32_e32 vcc, 1, v22
	s_nop 0
	v_accvgpr_read_b32 v29, a1
	v_accvgpr_read_b32 v28, a0
	v_pk_mul_f32 v[28:29], v[28:29], v[26:27] op_sel_hi:[1,0]
	v_accvgpr_read_b32 v21, a3
	v_accvgpr_read_b32 v20, a2
	v_pk_mul_f32 v[20:21], v[20:21], v[26:27] op_sel_hi:[1,0]
	v_mfma_f32_4x4x1_16b_f32 a[0:3], v28, v19, 0
	v_cndmask_b32_e64 v19, 0, 1.0, vcc
	v_cmp_eq_u32_e32 vcc, 2, v22
	s_nop 0
	v_mfma_f32_4x4x1_16b_f32 a[0:3], v29, v19, a[0:3]
	v_cndmask_b32_e64 v19, 0, 1.0, vcc
	v_cmp_eq_u32_e32 vcc, 3, v22
	s_nop 0
	v_mfma_f32_4x4x1_16b_f32 a[0:3], v20, v19, a[0:3]
	v_cndmask_b32_e64 v19, 0, 1.0, vcc
	v_lshlrev_b32_e32 v20, 2, v0
	v_and_or_b32 v20, v20, 48, v22
	v_mfma_f32_4x4x1_16b_f32 a[0:3], v21, v19, a[0:3]
	v_and_b32_e32 v19, -4, v18
	v_cmp_gt_i32_e32 vcc, s3, v19
	v_or_b32_e32 v18, 3, v18
	v_cmp_gt_i32_e64 s[10:11], s3, v18
	v_accvgpr_read_b32 v21, a0
	v_max_f32_e32 v23, v21, v21
	v_max_f32_e32 v23, 0xff7fffff, v23
	v_accvgpr_read_b32 v26, a1
	v_cndmask_b32_e32 v23, v25, v23, vcc
	v_or_b32_e32 v25, 1, v19
	v_max_f32_e32 v27, v26, v26
	v_max_f32_e32 v27, v23, v27
	v_cmp_gt_i32_e64 s[0:1], s3, v25
	v_or_b32_e32 v19, 2, v19
	v_cmp_gt_i32_e64 s[8:9], s3, v19
	v_cndmask_b32_e64 v23, v23, v27, s[0:1]
	v_accvgpr_read_b32 v27, a2
	v_max_f32_e32 v25, v27, v27
	v_max_f32_e32 v25, v23, v25
	v_cndmask_b32_e64 v19, v23, v25, s[8:9]
	v_accvgpr_read_b32 v23, a3
	v_max_f32_e32 v25, v23, v23
	v_max_f32_e32 v25, v19, v25
	v_cndmask_b32_e64 v18, v19, v25, s[10:11]
	;;#ASMSTART
	v_nop
 v_nop
 v_max_f32_dpp v18, v18, v18 row_ror:4
	;;#ASMEND
	v_lshlrev_b32_e32 v28, 2, v20
	;;#ASMSTART
	v_nop
 v_nop
 v_max_f32_dpp v18, v18, v18 row_ror:8
	;;#ASMEND
	ds_bpermute_b32 v18, v28, v18
	s_waitcnt lgkmcnt(0)
	;;#ASMSTART
	v_nop
 v_nop
 v_max_f32_dpp v18, v18, v18 row_ror:4
	;;#ASMEND
	s_nop 0
	;;#ASMSTART
	v_nop
 v_nop
 v_max_f32_dpp v25, v18, v18 row_ror:8
	;;#ASMEND
	s_nop 0
	v_sub_f32_e32 v18, v21, v25
	v_mul_f32_e32 v18, 0x3fb8aa3b, v18
	v_sub_f32_e32 v19, v26, v25
	v_exp_f32_e32 v18, v18
	v_mul_f32_e32 v19, 0x3fb8aa3b, v19
	v_sub_f32_e32 v21, v27, v25
	v_exp_f32_e32 v19, v19
	;; [unrolled: 3-line block ×3, first 2 shown]
	v_mul_f32_e32 v23, 0x3fb8aa3b, v23
	v_exp_f32_e32 v23, v23
	v_cndmask_b32_e32 v18, 0, v18, vcc
	v_add_f32_e32 v20, 0, v18
	v_cndmask_b32_e64 v19, 0, v19, s[0:1]
	v_add_f32_e32 v26, v20, v19
	v_cndmask_b32_e64 v20, 0, v21, s[8:9]
	;; [unrolled: 2-line block ×3, first 2 shown]
	v_add_f32_e32 v23, v26, v21
	;;#ASMSTART
	v_nop
 v_nop
 v_add_f32_dpp v23, v23, v23 row_ror:4
	;;#ASMEND
	v_cmp_gt_u32_e32 vcc, 4, v24
	;;#ASMSTART
	v_nop
 v_nop
 v_add_f32_dpp v23, v23, v23 row_ror:8
	;;#ASMEND
	ds_bpermute_b32 v23, v28, v23
	s_waitcnt lgkmcnt(0)
	;;#ASMSTART
	v_nop
 v_nop
 v_add_f32_dpp v23, v23, v23 row_ror:4
	;;#ASMEND
	s_nop 0
	;;#ASMSTART
	v_nop
 v_nop
 v_add_f32_dpp v23, v23, v23 row_ror:8
	;;#ASMEND
	s_and_saveexec_b64 s[0:1], vcc
	s_cbranch_execz .LBB1191_12
; %bb.11:
	v_mul_u32_u24_e32 v26, 20, v1
	v_lshl_add_u32 v26, v22, 2, v26
	v_add_u32_e32 v26, 0x800, v26
	ds_write2_b32 v26, v25, v23 offset0:128 offset1:148
.LBB1191_12:
	s_or_b64 exec, exec, s[0:1]
.LBB1191_13:
	s_or_b64 exec, exec, s[30:31]
	v_lshlrev_b32_e32 v23, 2, v22
	v_add_u32_e32 v23, 0x800, v23
	s_waitcnt lgkmcnt(0)
	s_barrier
	s_load_dword s0, s[28:29], 0x8
	ds_read2_b32 v[28:29], v23 offset0:128 offset1:133
	ds_read2_b32 v[30:31], v23 offset0:138 offset1:143
	s_mov_b32 s8, 0xff7fffff
	s_mul_i32 s1, s2, s5
	s_lshl_b32 s4, s4, 2
	s_waitcnt lgkmcnt(0)
	v_max3_f32 v26, v28, s8, v29
	s_mul_i32 s1, s1, s0
	v_max3_f32 v26, v26, v30, v31
	s_lshl_b32 s0, s1, 2
	s_mov_b32 s1, 0
	v_sub_f32_e32 v27, v28, v26
	v_sub_f32_e32 v28, v29, v26
	s_lshl_b64 s[2:3], s[0:1], 2
	ds_read2_b32 v[32:33], v23 offset0:148 offset1:153
	v_mul_f32_e32 v27, 0x3fb8aa3b, v27
	v_mul_f32_e32 v28, 0x3fb8aa3b, v28
	s_mov_b32 s25, s1
	s_add_u32 s1, s16, s2
	v_exp_f32_e32 v27, v27
	v_exp_f32_e32 v34, v28
	ds_read2_b32 v[28:29], v23 offset0:158 offset1:163
	v_sub_f32_e32 v23, v30, v26
	s_addc_u32 s10, s17, s3
	v_mul_f32_e32 v23, 0x3fb8aa3b, v23
	v_sub_f32_e32 v30, v31, v26
	s_add_u32 s8, s18, s2
	v_exp_f32_e32 v23, v23
	v_mul_f32_e32 v30, 0x3fb8aa3b, v30
	s_addc_u32 s9, s19, s3
	s_lshl_b64 s[2:3], s[24:25], 2
	v_exp_f32_e32 v30, v30
	s_add_u32 s8, s8, s2
	s_waitcnt lgkmcnt(1)
	v_fma_f32 v27, v27, v32, 0
	s_addc_u32 s9, s9, s3
	v_fmac_f32_e32 v27, v34, v33
	v_or_b32_e32 v22, s4, v22
	s_waitcnt lgkmcnt(0)
	v_fmac_f32_e32 v27, v23, v28
	s_add_u32 s2, s1, s2
	v_mul_lo_u32 v22, s5, v22
	v_mov_b32_e32 v23, 0
	v_fmac_f32_e32 v27, v30, v29
	s_addc_u32 s3, s10, s3
	v_lshlrev_b64 v[28:29], 2, v[22:23]
	v_lshl_add_u64 v[30:31], s[8:9], 0, v[28:29]
	v_lshl_add_u64 v[28:29], s[2:3], 0, v[28:29]
	v_mov_b32_e32 v22, v23
	global_store_dword v[30:31], v26, off
	global_store_dword v[28:29], v27, off
	s_and_saveexec_b64 s[2:3], s[6:7]
	s_cbranch_execz .LBB1191_15
; %bb.14:
	v_add_f32_e32 v22, 0x358637bd, v27
	v_div_scale_f32 v23, s[6:7], v22, v22, 1.0
	v_rcp_f32_e32 v27, v23
	v_div_scale_f32 v28, vcc, 1.0, v22, 1.0
	v_sub_f32_e32 v25, v25, v26
	v_fma_f32 v29, -v23, v27, 1.0
	v_fmac_f32_e32 v27, v29, v27
	v_mul_f32_e32 v29, v28, v27
	v_fma_f32 v30, -v23, v29, v28
	v_mul_f32_e32 v25, 0x3fb8aa3b, v25
	v_fmac_f32_e32 v29, v30, v27
	v_exp_f32_e32 v25, v25
	v_fma_f32 v23, -v23, v29, v28
	v_div_fmas_f32 v23, v23, v27, v29
	v_div_fixup_f32 v22, v23, v22, 1.0
	v_mul_f32_e32 v22, v25, v22
	v_pk_mul_f32 v[18:19], v[18:19], v[22:23] op_sel_hi:[1,0]
	v_pk_mul_f32 v[20:21], v[20:21], v[22:23] op_sel_hi:[1,0]
	v_bfe_u32 v22, v19, 16, 1
	v_bfe_u32 v23, v18, 16, 1
	s_movk_i32 s1, 0x7fff
	v_add3_u32 v18, v18, v23, s1
	v_add3_u32 v19, v19, v22, s1
	s_mov_b32 s7, 0x7060302
	v_perm_b32 v18, v19, v18, s7
	v_bfe_u32 v19, v21, 16, 1
	v_bfe_u32 v22, v20, 16, 1
	v_add3_u32 v22, v20, v22, s1
	v_add3_u32 v19, v21, v19, s1
	s_waitcnt vmcnt(4)
	v_cvt_pk_f32_fp8_e32 v[20:21], v14
	v_perm_b32 v19, v19, v22, s7
	v_cvt_pk_f32_fp8_sdwa v[22:23], v14 src0_sel:WORD_1
	v_cvt_pk_f32_fp8_e32 v[26:27], v15
	v_perm_b32 v14, v21, v20, s7
	v_cvt_pk_f32_fp8_sdwa v[20:21], v15 src0_sel:WORD_1
	v_perm_b32 v15, v23, v22, s7
	v_perm_b32 v22, v27, v26, s7
	s_load_dword s6, s[14:15], 0x0
	v_mfma_f32_4x4x4_16b_bf16 a[0:3], v[18:19], v[14:15], 0 cbsz:4
	v_perm_b32 v23, v21, v20, s7
	v_cvt_pk_f32_fp8_e32 v[14:15], v16
	v_cvt_pk_f32_fp8_sdwa v[20:21], v16 src0_sel:WORD_1
	v_mfma_f32_4x4x4_16b_bf16 a[0:3], v[18:19], v[22:23], a[0:3] cbsz:4 abid:1
	v_cvt_pk_f32_fp8_e32 v[22:23], v17
	v_cvt_pk_f32_fp8_sdwa v[16:17], v17 src0_sel:WORD_1
	v_perm_b32 v14, v15, v14, s7
	v_perm_b32 v15, v21, v20, s7
	;; [unrolled: 1-line block ×4, first 2 shown]
	v_mfma_f32_4x4x4_16b_bf16 a[0:3], v[18:19], v[14:15], a[0:3] cbsz:4 abid:2
	v_cvt_pk_f32_fp8_e32 v[14:15], v10
	v_cvt_pk_f32_fp8_sdwa v[16:17], v10 src0_sel:WORD_1
	v_mfma_f32_4x4x4_16b_bf16 a[0:3], v[18:19], v[20:21], a[0:3] cbsz:4 abid:3
	v_cvt_pk_f32_fp8_e32 v[20:21], v11
	v_perm_b32 v10, v15, v14, s7
	v_cvt_pk_f32_fp8_sdwa v[14:15], v11 src0_sel:WORD_1
	v_perm_b32 v11, v17, v16, s7
	v_perm_b32 v16, v21, v20, s7
	;; [unrolled: 1-line block ×3, first 2 shown]
	v_mfma_f32_4x4x4_16b_bf16 a[0:3], v[18:19], v[10:11], a[0:3] cbsz:4 abid:4
	v_cvt_pk_f32_fp8_e32 v[10:11], v12
	v_cvt_pk_f32_fp8_sdwa v[14:15], v12 src0_sel:WORD_1
	v_mfma_f32_4x4x4_16b_bf16 a[0:3], v[18:19], v[16:17], a[0:3] cbsz:4 abid:5
	v_cvt_pk_f32_fp8_e32 v[16:17], v13
	v_cvt_pk_f32_fp8_sdwa v[12:13], v13 src0_sel:WORD_1
	v_perm_b32 v10, v11, v10, s7
	v_perm_b32 v11, v15, v14, s7
	;; [unrolled: 1-line block ×4, first 2 shown]
	v_mfma_f32_4x4x4_16b_bf16 a[0:3], v[18:19], v[10:11], a[0:3] cbsz:4 abid:6
	s_waitcnt vmcnt(2)
	v_cvt_pk_f32_fp8_e32 v[10:11], v6
	v_cvt_pk_f32_fp8_sdwa v[12:13], v6 src0_sel:WORD_1
	v_mfma_f32_4x4x4_16b_bf16 a[0:3], v[18:19], v[14:15], a[0:3] cbsz:4 abid:7
	v_cvt_pk_f32_fp8_e32 v[14:15], v7
	v_perm_b32 v6, v11, v10, s7
	v_cvt_pk_f32_fp8_sdwa v[10:11], v7 src0_sel:WORD_1
	v_perm_b32 v7, v13, v12, s7
	v_perm_b32 v12, v15, v14, s7
	v_perm_b32 v13, v11, v10, s7
	v_mfma_f32_4x4x4_16b_bf16 a[0:3], v[18:19], v[6:7], a[0:3] cbsz:4 abid:8
	v_cvt_pk_f32_fp8_e32 v[6:7], v8
	v_cvt_pk_f32_fp8_sdwa v[10:11], v8 src0_sel:WORD_1
	v_mfma_f32_4x4x4_16b_bf16 a[0:3], v[18:19], v[12:13], a[0:3] cbsz:4 abid:9
	v_cvt_pk_f32_fp8_e32 v[12:13], v9
	v_cvt_pk_f32_fp8_sdwa v[8:9], v9 src0_sel:WORD_1
	v_perm_b32 v6, v7, v6, s7
	v_perm_b32 v7, v11, v10, s7
	;; [unrolled: 1-line block ×4, first 2 shown]
	v_mfma_f32_4x4x4_16b_bf16 a[0:3], v[18:19], v[6:7], a[0:3] cbsz:4 abid:10
	v_cvt_pk_f32_fp8_e32 v[6:7], v2
	v_cvt_pk_f32_fp8_sdwa v[8:9], v2 src0_sel:WORD_1
	v_mfma_f32_4x4x4_16b_bf16 a[0:3], v[18:19], v[10:11], a[0:3] cbsz:4 abid:11
	v_cvt_pk_f32_fp8_e32 v[10:11], v3
	v_perm_b32 v2, v7, v6, s7
	v_cvt_pk_f32_fp8_sdwa v[6:7], v3 src0_sel:WORD_1
	v_perm_b32 v3, v9, v8, s7
	v_perm_b32 v8, v11, v10, s7
	;; [unrolled: 1-line block ×3, first 2 shown]
	v_mfma_f32_4x4x4_16b_bf16 a[0:3], v[18:19], v[2:3], a[0:3] cbsz:4 abid:12
	v_cvt_pk_f32_fp8_e32 v[2:3], v4
	v_cvt_pk_f32_fp8_sdwa v[6:7], v4 src0_sel:WORD_1
	v_mfma_f32_4x4x4_16b_bf16 a[0:3], v[18:19], v[8:9], a[0:3] cbsz:4 abid:13
	v_cvt_pk_f32_fp8_e32 v[8:9], v5
	v_cvt_pk_f32_fp8_sdwa v[4:5], v5 src0_sel:WORD_1
	v_perm_b32 v2, v3, v2, s7
	v_perm_b32 v3, v7, v6, s7
	;; [unrolled: 1-line block ×4, first 2 shown]
	v_mfma_f32_4x4x4_16b_bf16 a[0:3], v[18:19], v[2:3], a[0:3] cbsz:4 abid:14
	s_nop 1
	v_mfma_f32_4x4x4_16b_bf16 a[0:3], v[18:19], v[6:7], a[0:3] cbsz:4 abid:15
	s_nop 4
	v_accvgpr_read_b32 v5, a1
	v_accvgpr_read_b32 v4, a0
	;; [unrolled: 1-line block ×4, first 2 shown]
	s_waitcnt lgkmcnt(0)
	v_pk_mul_f32 v[4:5], v[4:5], s[6:7] op_sel_hi:[1,0]
	v_pk_mul_f32 v[2:3], v[2:3], s[6:7] op_sel_hi:[1,0]
	v_bfe_u32 v6, v5, 16, 1
	v_bfe_u32 v7, v4, 16, 1
	v_add3_u32 v4, v4, v7, s1
	v_add3_u32 v5, v5, v6, s1
	v_bfe_u32 v6, v3, 16, 1
	v_bfe_u32 v7, v2, 16, 1
	v_add3_u32 v2, v2, v7, s1
	v_add3_u32 v3, v3, v6, s1
	v_perm_b32 v23, v3, v2, s7
	v_perm_b32 v22, v5, v4, s7
.LBB1191_15:
	s_or_b64 exec, exec, s[2:3]
	v_lshlrev_b32_e32 v1, 3, v1
	v_mad_u32_u24 v1, v24, 40, v1
	v_cmp_gt_u32_e32 vcc, 64, v0
	ds_write_b64 v1, v[22:23]
	s_waitcnt lgkmcnt(0)
	s_barrier
	s_and_saveexec_b64 s[2:3], vcc
	s_cbranch_execz .LBB1191_17
; %bb.16:
	v_mul_u32_u24_e32 v1, 40, v24
	s_waitcnt vmcnt(3)
	ds_read2_b64 v[2:5], v1 offset1:1
	s_waitcnt vmcnt(2)
	ds_read2_b64 v[6:9], v1 offset0:2 offset1:3
	s_mov_b32 s1, 0
	s_lshl_b32 s0, s0, 6
	s_lshl_b64 s[2:3], s[0:1], 1
	s_waitcnt lgkmcnt(1)
	v_lshlrev_b32_e32 v1, 16, v2
	v_and_b32_e32 v2, 0xffff0000, v2
	v_add_f32_e32 v1, 0, v1
	v_add_f32_e32 v2, 0, v2
	v_lshlrev_b32_e32 v10, 16, v3
	v_and_b32_e32 v3, 0xffff0000, v3
	v_and_b32_e32 v1, 0xffff0000, v1
	v_and_b32_e32 v2, 0xffff0000, v2
	v_add_f32_e32 v3, 0, v3
	v_lshlrev_b32_e32 v11, 16, v4
	v_and_b32_e32 v4, 0xffff0000, v4
	v_add_f32_e32 v10, 0, v10
	v_and_b32_e32 v3, 0xffff0000, v3
	v_add_f32_e32 v1, v1, v11
	v_add_f32_e32 v2, v2, v4
	v_lshlrev_b32_e32 v4, 16, v5
	v_and_b32_e32 v5, 0xffff0000, v5
	v_and_b32_e32 v10, 0xffff0000, v10
	;; [unrolled: 1-line block ×3, first 2 shown]
	v_add_f32_e32 v3, v3, v5
	s_waitcnt lgkmcnt(0)
	v_lshlrev_b32_e32 v5, 16, v6
	v_and_b32_e32 v2, 0xffff0000, v2
	v_add_f32_e32 v4, v10, v4
	v_add_f32_e32 v1, v1, v5
	v_and_b32_e32 v5, 0xffff0000, v6
	v_and_b32_e32 v4, 0xffff0000, v4
	v_add_f32_e32 v2, v2, v5
	v_lshlrev_b32_e32 v5, 16, v7
	s_add_u32 s2, s26, s2
	v_and_b32_e32 v3, 0xffff0000, v3
	v_add_f32_e32 v4, v4, v5
	v_and_b32_e32 v5, 0xffff0000, v7
	s_addc_u32 s3, s27, s3
	s_lshl_b32 s0, s24, 6
	v_and_b32_e32 v1, 0xffff0000, v1
	v_add_f32_e32 v3, v3, v5
	v_lshlrev_b32_e32 v5, 16, v8
	s_lshl_b64 s[0:1], s[0:1], 1
	v_and_b32_e32 v2, 0xffff0000, v2
	v_add_f32_e32 v1, v1, v5
	v_and_b32_e32 v5, 0xffff0000, v8
	s_add_u32 s0, s2, s0
	v_and_b32_e32 v4, 0xffff0000, v4
	v_add_f32_e32 v6, v2, v5
	v_lshlrev_b32_e32 v2, 16, v9
	s_addc_u32 s1, s3, s1
	s_lshl_b32 s2, s5, 6
	v_and_b32_e32 v3, 0xffff0000, v3
	v_add_f32_e32 v7, v4, v2
	v_and_b32_e32 v2, 0xffff0000, v9
	s_mul_i32 s3, s2, s4
	v_add_f32_e32 v8, v3, v2
	v_or_b32_e32 v2, s3, v0
	v_mov_b32_e32 v3, 0
	s_add_i32 s3, s3, s2
	v_lshl_add_u64 v[4:5], v[2:3], 1, s[0:1]
	v_or_b32_e32 v2, s3, v0
	s_add_i32 s3, s3, s2
	global_store_short_d16_hi v[4:5], v1, off
	v_lshl_add_u64 v[4:5], v[2:3], 1, s[0:1]
	v_or_b32_e32 v2, s3, v0
	s_add_i32 s3, s3, s2
	global_store_short_d16_hi v[4:5], v6, off
	v_lshl_add_u64 v[4:5], v[2:3], 1, s[0:1]
	v_or_b32_e32 v2, s3, v0
	v_lshl_add_u64 v[0:1], v[2:3], 1, s[0:1]
	global_store_short_d16_hi v[4:5], v7, off
	global_store_short_d16_hi v[0:1], v8, off
.LBB1191_17:
	s_endpgm
.LBB1191_18:
	s_mov_b64 s[12:13], 0
                                        ; implicit-def: $sgpr34_sgpr35
	s_branch .LBB1191_2
	.section	.rodata,"a",@progbits
	.p2align	6, 0x0
	.amdhsa_kernel _Z38paged_attention_ll4mi_QKV_mfma4_kernelI14__hip_bfloat16hLN4vllm18Fp8KVCacheDataTypeE1EhLi32ELi64ELi256ELb0ELi4EEvPKT_PKT0_S8_ifPKiSA_SA_iPKfiiiPfSD_PS3_PT2_iSC_SC_
		.amdhsa_group_segment_fixed_size 2720
		.amdhsa_private_segment_fixed_size 0
		.amdhsa_kernarg_size 400
		.amdhsa_user_sgpr_count 2
		.amdhsa_user_sgpr_dispatch_ptr 0
		.amdhsa_user_sgpr_queue_ptr 0
		.amdhsa_user_sgpr_kernarg_segment_ptr 1
		.amdhsa_user_sgpr_dispatch_id 0
		.amdhsa_user_sgpr_kernarg_preload_length 0
		.amdhsa_user_sgpr_kernarg_preload_offset 0
		.amdhsa_user_sgpr_private_segment_size 0
		.amdhsa_uses_dynamic_stack 0
		.amdhsa_enable_private_segment 0
		.amdhsa_system_sgpr_workgroup_id_x 1
		.amdhsa_system_sgpr_workgroup_id_y 1
		.amdhsa_system_sgpr_workgroup_id_z 1
		.amdhsa_system_sgpr_workgroup_info 0
		.amdhsa_system_vgpr_workitem_id 0
		.amdhsa_next_free_vgpr 96
		.amdhsa_next_free_sgpr 42
		.amdhsa_accum_offset 92
		.amdhsa_reserve_vcc 1
		.amdhsa_float_round_mode_32 0
		.amdhsa_float_round_mode_16_64 0
		.amdhsa_float_denorm_mode_32 3
		.amdhsa_float_denorm_mode_16_64 3
		.amdhsa_dx10_clamp 1
		.amdhsa_ieee_mode 1
		.amdhsa_fp16_overflow 0
		.amdhsa_tg_split 0
		.amdhsa_exception_fp_ieee_invalid_op 0
		.amdhsa_exception_fp_denorm_src 0
		.amdhsa_exception_fp_ieee_div_zero 0
		.amdhsa_exception_fp_ieee_overflow 0
		.amdhsa_exception_fp_ieee_underflow 0
		.amdhsa_exception_fp_ieee_inexact 0
		.amdhsa_exception_int_div_zero 0
	.end_amdhsa_kernel
	.section	.text._Z38paged_attention_ll4mi_QKV_mfma4_kernelI14__hip_bfloat16hLN4vllm18Fp8KVCacheDataTypeE1EhLi32ELi64ELi256ELb0ELi4EEvPKT_PKT0_S8_ifPKiSA_SA_iPKfiiiPfSD_PS3_PT2_iSC_SC_,"axG",@progbits,_Z38paged_attention_ll4mi_QKV_mfma4_kernelI14__hip_bfloat16hLN4vllm18Fp8KVCacheDataTypeE1EhLi32ELi64ELi256ELb0ELi4EEvPKT_PKT0_S8_ifPKiSA_SA_iPKfiiiPfSD_PS3_PT2_iSC_SC_,comdat
.Lfunc_end1191:
	.size	_Z38paged_attention_ll4mi_QKV_mfma4_kernelI14__hip_bfloat16hLN4vllm18Fp8KVCacheDataTypeE1EhLi32ELi64ELi256ELb0ELi4EEvPKT_PKT0_S8_ifPKiSA_SA_iPKfiiiPfSD_PS3_PT2_iSC_SC_, .Lfunc_end1191-_Z38paged_attention_ll4mi_QKV_mfma4_kernelI14__hip_bfloat16hLN4vllm18Fp8KVCacheDataTypeE1EhLi32ELi64ELi256ELb0ELi4EEvPKT_PKT0_S8_ifPKiSA_SA_iPKfiiiPfSD_PS3_PT2_iSC_SC_
                                        ; -- End function
	.section	.AMDGPU.csdata,"",@progbits
; Kernel info:
; codeLenInByte = 4032
; NumSgprs: 48
; NumVgprs: 92
; NumAgprs: 4
; TotalNumVgprs: 96
; ScratchSize: 0
; MemoryBound: 0
; FloatMode: 240
; IeeeMode: 1
; LDSByteSize: 2720 bytes/workgroup (compile time only)
; SGPRBlocks: 5
; VGPRBlocks: 11
; NumSGPRsForWavesPerEU: 48
; NumVGPRsForWavesPerEU: 96
; AccumOffset: 92
; Occupancy: 5
; WaveLimiterHint : 1
; COMPUTE_PGM_RSRC2:SCRATCH_EN: 0
; COMPUTE_PGM_RSRC2:USER_SGPR: 2
; COMPUTE_PGM_RSRC2:TRAP_HANDLER: 0
; COMPUTE_PGM_RSRC2:TGID_X_EN: 1
; COMPUTE_PGM_RSRC2:TGID_Y_EN: 1
; COMPUTE_PGM_RSRC2:TGID_Z_EN: 1
; COMPUTE_PGM_RSRC2:TIDIG_COMP_CNT: 0
; COMPUTE_PGM_RSRC3_GFX90A:ACCUM_OFFSET: 22
; COMPUTE_PGM_RSRC3_GFX90A:TG_SPLIT: 0
	.section	.text._Z39paged_attention_ll4mi_QKV_mfma16_kernelI14__hip_bfloat16hLN4vllm18Fp8KVCacheDataTypeE1EhLi32ELi64ELi256ELb0ELi5EEvPKT_PKT0_S8_ifPKiSA_SA_iPKfiiiPfSD_PS3_PT2_iSC_SC_,"axG",@progbits,_Z39paged_attention_ll4mi_QKV_mfma16_kernelI14__hip_bfloat16hLN4vllm18Fp8KVCacheDataTypeE1EhLi32ELi64ELi256ELb0ELi5EEvPKT_PKT0_S8_ifPKiSA_SA_iPKfiiiPfSD_PS3_PT2_iSC_SC_,comdat
	.protected	_Z39paged_attention_ll4mi_QKV_mfma16_kernelI14__hip_bfloat16hLN4vllm18Fp8KVCacheDataTypeE1EhLi32ELi64ELi256ELb0ELi5EEvPKT_PKT0_S8_ifPKiSA_SA_iPKfiiiPfSD_PS3_PT2_iSC_SC_ ; -- Begin function _Z39paged_attention_ll4mi_QKV_mfma16_kernelI14__hip_bfloat16hLN4vllm18Fp8KVCacheDataTypeE1EhLi32ELi64ELi256ELb0ELi5EEvPKT_PKT0_S8_ifPKiSA_SA_iPKfiiiPfSD_PS3_PT2_iSC_SC_
	.globl	_Z39paged_attention_ll4mi_QKV_mfma16_kernelI14__hip_bfloat16hLN4vllm18Fp8KVCacheDataTypeE1EhLi32ELi64ELi256ELb0ELi5EEvPKT_PKT0_S8_ifPKiSA_SA_iPKfiiiPfSD_PS3_PT2_iSC_SC_
	.p2align	8
	.type	_Z39paged_attention_ll4mi_QKV_mfma16_kernelI14__hip_bfloat16hLN4vllm18Fp8KVCacheDataTypeE1EhLi32ELi64ELi256ELb0ELi5EEvPKT_PKT0_S8_ifPKiSA_SA_iPKfiiiPfSD_PS3_PT2_iSC_SC_,@function
_Z39paged_attention_ll4mi_QKV_mfma16_kernelI14__hip_bfloat16hLN4vllm18Fp8KVCacheDataTypeE1EhLi32ELi64ELi256ELb0ELi5EEvPKT_PKT0_S8_ifPKiSA_SA_iPKfiiiPfSD_PS3_PT2_iSC_SC_: ; @_Z39paged_attention_ll4mi_QKV_mfma16_kernelI14__hip_bfloat16hLN4vllm18Fp8KVCacheDataTypeE1EhLi32ELi64ELi256ELb0ELi5EEvPKT_PKT0_S8_ifPKiSA_SA_iPKfiiiPfSD_PS3_PT2_iSC_SC_
; %bb.0:
	s_load_dwordx2 s[12:13], s[0:1], 0x30
	s_mov_b32 s28, s3
	s_mov_b64 s[6:7], 0
	s_waitcnt lgkmcnt(0)
	s_cmp_lg_u64 s[12:13], 0
	s_cselect_b64 s[14:15], -1, 0
	s_and_b64 vcc, exec, s[14:15]
	s_cbranch_vccz .LBB1192_7
; %bb.1:
	s_add_i32 s8, s2, 1
	s_mov_b32 s9, 0
	s_lshl_b64 s[10:11], s[8:9], 2
	s_add_u32 s10, s12, s10
	s_mov_b32 s3, s9
	s_addc_u32 s11, s13, s11
	s_lshl_b64 s[8:9], s[2:3], 2
	s_add_u32 s8, s12, s8
	s_addc_u32 s9, s13, s9
	s_load_dword s5, s[10:11], 0x0
	s_load_dword s16, s[8:9], 0x0
	s_waitcnt lgkmcnt(0)
	s_sub_i32 s5, s5, s16
	s_cmp_eq_u32 s5, 1
	s_cselect_b64 s[8:9], -1, 0
	s_andn2_b64 vcc, exec, s[6:7]
	s_cbranch_vccnz .LBB1192_3
.LBB1192_2:
	s_mov_b32 s3, 0
	s_mov_b64 s[8:9], -1
.LBB1192_3:
	s_andn2_b64 vcc, exec, s[8:9]
	s_cbranch_vccnz .LBB1192_18
; %bb.4:
	s_load_dwordx2 s[6:7], s[0:1], 0x28
	s_lshl_b64 s[16:17], s[2:3], 2
	s_waitcnt lgkmcnt(0)
	s_add_u32 s6, s6, s16
	s_addc_u32 s7, s7, s17
	s_load_dword s33, s[6:7], 0x0
	s_lshl_b32 s5, s28, 8
	s_waitcnt lgkmcnt(0)
	s_cmp_ge_i32 s5, s33
	s_cbranch_scc1 .LBB1192_18
; %bb.5:
	s_add_i32 s9, s33, 31
	s_load_dwordx2 s[6:7], s[0:1], 0x20
	s_load_dword s8, s[0:1], 0x38
	s_ashr_i32 s10, s9, 31
	v_and_b32_e32 v1, 0xcf, v0
	s_lshr_b32 s10, s10, 27
	v_add_u32_e32 v1, s5, v1
	s_add_i32 s9, s9, s10
	v_ashrrev_i32_e32 v2, 31, v1
	s_ashr_i32 s18, s9, 5
	v_lshrrev_b32_e32 v6, 27, v2
	s_add_i32 s18, s18, -1
	v_add_u32_e32 v2, v1, v6
	v_or_b32_e32 v4, 16, v1
	s_waitcnt lgkmcnt(0)
	s_mul_i32 s8, s2, s8
	s_mov_b32 s9, 0
	v_ashrrev_i32_e32 v2, 5, v2
	v_mov_b32_e32 v7, s18
	v_cmp_gt_i32_e32 vcc, s33, v1
	v_add_u32_e32 v5, v4, v6
	s_lshl_b64 s[8:9], s[8:9], 2
	v_cndmask_b32_e32 v2, v7, v2, vcc
	v_ashrrev_i32_e32 v5, 5, v5
	v_cmp_gt_i32_e32 vcc, s33, v4
	s_add_u32 s6, s6, s8
	s_addc_u32 s7, s7, s9
	v_cndmask_b32_e32 v4, v7, v5, vcc
	v_ashrrev_i32_e32 v5, 31, v4
	v_lshl_add_u64 v[10:11], v[4:5], 2, s[6:7]
	v_or_b32_e32 v4, 32, v1
	v_add_u32_e32 v5, v4, v6
	v_ashrrev_i32_e32 v5, 5, v5
	v_cmp_gt_i32_e32 vcc, s33, v4
	v_or_b32_e32 v1, 48, v1
	v_ashrrev_i32_e32 v3, 31, v2
	v_cndmask_b32_e32 v4, v7, v5, vcc
	v_ashrrev_i32_e32 v5, 31, v4
	v_lshl_add_u64 v[12:13], v[4:5], 2, s[6:7]
	v_add_u32_e32 v4, v1, v6
	v_ashrrev_i32_e32 v4, 5, v4
	v_cmp_gt_i32_e32 vcc, s33, v1
	v_lshl_add_u64 v[2:3], v[2:3], 2, s[6:7]
	s_load_dwordx4 s[8:11], s[0:1], 0x8
	v_cndmask_b32_e32 v4, v7, v4, vcc
	v_ashrrev_i32_e32 v5, 31, v4
	v_lshl_add_u64 v[14:15], v[4:5], 2, s[6:7]
	global_load_dword v4, v[2:3], off
	global_load_dword v8, v[10:11], off
	;; [unrolled: 1-line block ×4, first 2 shown]
	s_andn2_b64 vcc, exec, s[14:15]
	s_cbranch_vccnz .LBB1192_8
; %bb.6:
	s_add_u32 s12, s12, s16
	s_addc_u32 s13, s13, s17
	s_load_dword s14, s[12:13], 0x0
	s_branch .LBB1192_9
.LBB1192_7:
	s_mov_b64 s[8:9], 0
	s_branch .LBB1192_2
.LBB1192_8:
	s_mov_b32 s14, s2
.LBB1192_9:
	s_load_dwordx4 s[44:47], s[0:1], 0x48
	v_lshrrev_b32_e32 v29, 6, v0
	v_bfe_u32 v42, v0, 4, 2
	v_lshl_or_b32 v2, v29, 2, v42
	v_and_b32_e32 v28, 15, v0
	v_lshlrev_b32_e32 v1, 3, v28
	v_cmp_gt_u32_e32 vcc, 5, v2
	v_cmp_gt_u32_e64 s[30:31], 8, v28
	v_and_b32_e32 v43, 63, v0
	s_mul_i32 s48, s4, 5
	s_and_b64 s[16:17], s[30:31], vcc
	v_lshlrev_b32_e32 v26, 1, v1
	v_lshlrev_b32_e32 v1, 4, v0
	s_and_saveexec_b64 s[12:13], s[16:17]
	s_cbranch_execz .LBB1192_11
; %bb.10:
	s_load_dwordx2 s[16:17], s[0:1], 0x0
	s_waitcnt lgkmcnt(0)
	s_ashr_i32 s15, s44, 31
	s_mul_hi_u32 s19, s14, s44
	s_mul_i32 s15, s14, s15
	s_add_i32 s15, s19, s15
	s_mul_i32 s14, s14, s44
	s_lshl_b64 s[14:15], s[14:15], 1
	s_add_u32 s14, s16, s14
	v_add_lshl_u32 v10, v2, s48, 6
	s_addc_u32 s15, s17, s15
	v_ashrrev_i32_e32 v11, 31, v10
	v_lshl_add_u64 v[10:11], v[10:11], 1, s[14:15]
	v_mov_b32_e32 v27, 0
	v_lshl_add_u64 v[10:11], v[10:11], 0, v[26:27]
	global_load_dwordx4 v[10:13], v[10:11], off
	v_lshlrev_b32_e32 v5, 8, v28
	v_lshlrev_b32_e32 v2, 5, v2
	v_and_b32_e32 v3, 16, v1
	v_and_b32_e32 v5, 0xe00, v5
	v_or3_b32 v2, v5, v2, v3
	s_waitcnt vmcnt(0)
	ds_write_b128 v2, v[10:13]
.LBB1192_11:
	s_or_b64 exec, exec, s[12:13]
	s_waitcnt lgkmcnt(0)
	s_mul_i32 s4, s4, s46
	s_add_u32 s8, s8, s4
	s_addc_u32 s9, s9, 0
	v_mov_b32_e32 v31, 0
	v_mov_b64_e32 v[2:3], s[8:9]
	v_and_b32_e32 v14, 48, v0
	s_waitcnt vmcnt(3)
	v_mad_i64_i32 v[10:11], s[8:9], v4, s45, v[2:3]
	v_lshlrev_b32_e32 v4, 4, v28
	v_mov_b32_e32 v5, v31
	v_lshlrev_b32_e32 v30, 5, v14
	v_lshl_add_u64 v[10:11], v[10:11], 0, v[4:5]
	v_lshl_add_u64 v[10:11], v[10:11], 0, v[30:31]
	s_load_dword s29, s[0:1], 0x98
	s_load_dwordx4 s[40:43], s[0:1], 0x80
	s_waitcnt lgkmcnt(0)
	s_barrier
	global_load_dwordx4 v[10:13], v[10:11], off
	s_waitcnt vmcnt(3)
	v_mad_i64_i32 v[8:9], s[8:9], v8, s45, v[2:3]
	s_ashr_i32 s8, s5, 31
	v_or_b32_e32 v20, s5, v14
	s_lshr_b32 s12, s8, 27
	v_add_u32_e32 v14, s12, v20
	v_ashrrev_i32_e32 v14, 5, v14
	v_mov_b32_e32 v33, s18
	v_cmp_gt_i32_e32 vcc, s33, v20
	v_or_b32_e32 v18, 0x100, v4
	v_mov_b32_e32 v19, v31
	v_cndmask_b32_e32 v14, v33, v14, vcc
	v_ashrrev_i32_e32 v15, 31, v14
	v_lshl_add_u64 v[8:9], v[8:9], 0, v[18:19]
	v_lshl_add_u64 v[14:15], v[14:15], 2, s[6:7]
	v_lshl_add_u64 v[8:9], v[8:9], 0, v[30:31]
	global_load_dword v50, v[14:15], off
	v_or_b32_e32 v32, 64, v20
	global_load_dwordx4 v[14:17], v[8:9], off
	v_mul_lo_u16_e32 v8, 52, v28
	v_mov_b32_e32 v9, 5
	v_mul_lo_u16_sdwa v8, v8, v9 dst_sel:DWORD dst_unused:UNUSED_PAD src0_sel:BYTE_1 src1_sel:DWORD
	v_sub_u16_e32 v8, v28, v8
	v_or_b32_e32 v34, 0x80, v20
	v_or_b32_e32 v35, 0xc0, v20
	v_lshlrev_b32_sdwa v20, v9, v8 dst_sel:DWORD dst_unused:UNUSED_PAD src0_sel:DWORD src1_sel:BYTE_0
	s_waitcnt vmcnt(4)
	v_mad_i64_i32 v[8:9], s[8:9], v7, s45, v[2:3]
	v_lshl_add_u64 v[4:5], v[8:9], 0, v[4:5]
	v_lshl_add_u64 v[4:5], v[4:5], 0, v[30:31]
	global_load_dwordx4 v[22:25], v[4:5], off
	v_lshl_add_u32 v4, v42, 9, v20
	s_waitcnt vmcnt(4)
	v_mad_i64_i32 v[20:21], s[8:9], v6, s45, v[2:3]
	v_add_u32_e32 v36, s12, v32
	v_add_u32_e32 v37, s12, v34
	v_lshl_add_u64 v[18:19], v[20:21], 0, v[18:19]
	v_ashrrev_i32_e32 v20, 5, v36
	v_cmp_gt_i32_e32 vcc, s33, v32
	v_ashrrev_i32_e32 v21, 5, v37
	v_lshl_add_u64 v[18:19], v[18:19], 0, v[30:31]
	v_cndmask_b32_e32 v32, v33, v20, vcc
	v_cmp_gt_i32_e32 vcc, s33, v34
	ds_read_b128 v[6:9], v4
	ds_read_b128 v[2:5], v4 offset:16
	v_cndmask_b32_e32 v34, v33, v21, vcc
	global_load_dwordx4 v[18:21], v[18:19], off
	v_add_u32_e32 v38, s12, v35
	v_ashrrev_i32_e32 v36, 5, v38
	v_cmp_gt_i32_e32 vcc, s33, v35
	v_ashrrev_i32_e32 v35, 31, v34
	v_lshl_add_u64 v[44:45], v[34:35], 2, s[6:7]
	v_cndmask_b32_e32 v36, v33, v36, vcc
	v_ashrrev_i32_e32 v33, 31, v32
	v_lshl_add_u64 v[40:41], v[32:33], 2, s[6:7]
	s_add_u32 s8, s10, s4
	v_lshlrev_b32_e32 v27, 5, v28
	s_addc_u32 s9, s11, 0
	v_and_b32_e32 v30, 16, v0
	s_mov_b32 s44, 0x7060302
	v_lshl_add_u64 v[38:39], s[8:9], 0, v[30:31]
	v_lshl_or_b32 v30, v29, 9, v27
	v_lshl_add_u64 v[30:31], v[38:39], 0, v[30:31]
	v_ashrrev_i32_e32 v37, 31, v36
	v_lshl_add_u64 v[36:37], v[36:37], 2, s[6:7]
	s_load_dword s13, s[0:1], 0x1c
	s_mov_b32 s46, 0xff7fffff
	s_waitcnt vmcnt(4)
	v_cvt_pk_f32_fp8_e32 v[32:33], v10
	v_cvt_pk_f32_fp8_sdwa v[34:35], v10 src0_sel:WORD_1
	v_cvt_pk_f32_fp8_e32 v[38:39], v11
	v_cvt_pk_f32_fp8_sdwa v[10:11], v11 src0_sel:WORD_1
	v_perm_b32 v32, v33, v32, s44
	v_perm_b32 v33, v35, v34, s44
	;; [unrolled: 1-line block ×4, first 2 shown]
	v_cvt_pk_f32_fp8_e32 v[46:47], v12
	v_cvt_pk_f32_fp8_sdwa v[48:49], v12 src0_sel:WORD_1
	s_waitcnt lgkmcnt(0)
	v_mfma_f32_16x16x16_bf16 v[32:35], v[32:33], v[6:7], 0
	global_load_dword v12, v[40:41], off
	s_nop 0
	global_load_dword v44, v[44:45], off
	s_nop 0
	global_load_dword v45, v[36:37], off
	v_perm_b32 v36, v47, v46, s44
	v_perm_b32 v37, v49, v48, s44
	v_mfma_f32_16x16x16_bf16 v[32:35], v[38:39], v[8:9], v[32:35]
	v_cvt_pk_f32_fp8_e32 v[38:39], v13
	v_cvt_pk_f32_fp8_sdwa v[40:41], v13 src0_sel:WORD_1
	s_waitcnt vmcnt(6)
	v_mad_i64_i32 v[10:11], s[6:7], v50, s45, v[30:31]
	v_perm_b32 v38, v39, v38, s44
	v_perm_b32 v39, v41, v40, s44
	v_mfma_f32_16x16x16_bf16 v[32:35], v[36:37], v[2:3], v[32:35]
	s_waitcnt vmcnt(5)
	v_cvt_pk_f32_fp8_e32 v[36:37], v14
	v_cvt_pk_f32_fp8_sdwa v[40:41], v14 src0_sel:WORD_1
	v_cvt_pk_f32_fp8_e32 v[46:47], v16
	v_mfma_f32_16x16x16_bf16 v[32:35], v[38:39], v[4:5], v[32:35]
	v_cvt_pk_f32_fp8_e32 v[38:39], v15
	v_perm_b32 v36, v37, v36, s44
	v_perm_b32 v37, v41, v40, s44
	v_cvt_pk_f32_fp8_sdwa v[14:15], v15 src0_sel:WORD_1
	v_perm_b32 v40, v39, v38, s44
	v_cvt_pk_f32_fp8_sdwa v[48:49], v16 src0_sel:WORD_1
	v_mfma_f32_16x16x16_bf16 v[36:39], v[36:37], v[6:7], 0
	v_perm_b32 v41, v15, v14, s44
	v_perm_b32 v46, v47, v46, s44
	;; [unrolled: 1-line block ×3, first 2 shown]
	v_cvt_pk_f32_fp8_e32 v[48:49], v17
	v_cvt_pk_f32_fp8_sdwa v[50:51], v17 src0_sel:WORD_1
	v_mfma_f32_16x16x16_bf16 v[14:17], v[40:41], v[8:9], v[36:39]
	s_waitcnt vmcnt(4)
	v_cvt_pk_f32_fp8_sdwa v[40:41], v22 src0_sel:WORD_1
	s_load_dword s4, s[40:41], 0x0
	v_mov_b32_e32 v13, s13
	v_perm_b32 v36, v49, v48, s44
	v_perm_b32 v37, v51, v50, s44
	v_mfma_f32_16x16x16_bf16 v[14:17], v[46:47], v[2:3], v[14:17]
	v_cvt_pk_f32_fp8_e32 v[38:39], v22
	v_cvt_pk_f32_fp8_e32 v[46:47], v24
	v_cvt_pk_f32_fp8_sdwa v[48:49], v24 src0_sel:WORD_1
	v_mfma_f32_16x16x16_bf16 v[14:17], v[36:37], v[4:5], v[14:17]
	v_cvt_pk_f32_fp8_e32 v[36:37], v23
	v_perm_b32 v38, v39, v38, s44
	v_perm_b32 v39, v41, v40, s44
	v_cvt_pk_f32_fp8_sdwa v[22:23], v23 src0_sel:WORD_1
	v_perm_b32 v40, v37, v36, s44
	v_mfma_f32_16x16x16_bf16 v[36:39], v[38:39], v[6:7], 0
	v_perm_b32 v41, v23, v22, s44
	v_perm_b32 v46, v47, v46, s44
	v_perm_b32 v47, v49, v48, s44
	v_cvt_pk_f32_fp8_e32 v[48:49], v25
	v_cvt_pk_f32_fp8_sdwa v[24:25], v25 src0_sel:WORD_1
	v_mfma_f32_16x16x16_bf16 v[36:39], v[40:41], v[8:9], v[36:39]
	s_waitcnt lgkmcnt(0)
	v_mul_f32_e32 v50, s4, v13
	v_perm_b32 v40, v49, v48, s44
	v_perm_b32 v41, v25, v24, s44
	v_pk_mul_f32 v[22:23], v[50:51], v[34:35] op_sel_hi:[0,1]
	v_mfma_f32_16x16x16_bf16 v[36:39], v[46:47], v[2:3], v[36:39]
	v_pk_mul_f32 v[34:35], v[50:51], v[32:33] op_sel_hi:[0,1]
	s_waitcnt vmcnt(3)
	v_cvt_pk_f32_fp8_e32 v[24:25], v18
	v_cvt_pk_f32_fp8_sdwa v[32:33], v18 src0_sel:WORD_1
	v_mfma_f32_16x16x16_bf16 v[46:49], v[40:41], v[4:5], v[36:39]
	v_cvt_pk_f32_fp8_e32 v[40:41], v20
	v_perm_b32 v24, v25, v24, s44
	v_perm_b32 v25, v33, v32, s44
	v_cvt_pk_f32_fp8_e32 v[36:37], v19
	v_cvt_pk_f32_fp8_sdwa v[18:19], v19 src0_sel:WORD_1
	v_cvt_pk_f32_fp8_sdwa v[52:53], v20 src0_sel:WORD_1
	v_perm_b32 v32, v37, v36, s44
	v_perm_b32 v33, v19, v18, s44
	v_mfma_f32_16x16x16_bf16 v[36:39], v[24:25], v[6:7], 0
	v_perm_b32 v18, v41, v40, s44
	v_perm_b32 v19, v53, v52, s44
	v_cvt_pk_f32_fp8_e32 v[24:25], v21
	v_cvt_pk_f32_fp8_sdwa v[20:21], v21 src0_sel:WORD_1
	v_mfma_f32_16x16x16_bf16 v[6:9], v[32:33], v[8:9], v[36:39]
	v_pk_mul_f32 v[40:41], v[50:51], v[14:15] op_sel_hi:[0,1]
	v_pk_mul_f32 v[32:33], v[50:51], v[48:49] op_sel_hi:[0,1]
	s_nop 0
	v_pk_mul_f32 v[36:37], v[50:51], v[16:17] op_sel_hi:[0,1]
	v_perm_b32 v16, v25, v24, s44
	v_perm_b32 v17, v21, v20, s44
	v_mfma_f32_16x16x16_bf16 v[6:9], v[18:19], v[2:3], v[6:9]
	v_pk_mul_f32 v[38:39], v[50:51], v[46:47] op_sel_hi:[0,1]
	v_mfma_f32_16x16x16_bf16 v[2:5], v[16:17], v[4:5], v[6:9]
	s_nop 6
	v_pk_mul_f32 v[24:25], v[50:51], v[2:3] op_sel_hi:[0,1]
	v_and_b32_e32 v2, 0xc0, v0
	v_add_u32_e32 v2, s5, v2
	v_lshl_or_b32 v2, v42, 2, v2
	v_pk_mul_f32 v[18:19], v[50:51], v[4:5] op_sel_hi:[0,1]
	v_or_b32_e32 v5, 1, v2
	v_mov_b32_e32 v3, 0xff7fffff
	v_cmp_gt_i32_e64 s[4:5], s33, v2
	v_cmp_gt_i32_e64 s[34:35], s33, v5
	v_or_b32_e32 v6, 3, v2
	v_cndmask_b32_e64 v4, v3, v34, s[4:5]
	v_cndmask_b32_e64 v5, v3, v35, s[34:35]
	v_max3_f32 v4, v4, s46, v5
	v_or_b32_e32 v5, 2, v2
	v_cmp_gt_i32_e64 s[36:37], s33, v5
	v_cmp_gt_i32_e64 s[38:39], s33, v6
	s_nop 0
	v_cndmask_b32_e64 v5, v3, v22, s[36:37]
	v_cndmask_b32_e64 v6, v3, v23, s[38:39]
	v_max3_f32 v4, v4, v5, v6
	v_or_b32_e32 v5, 16, v2
	v_or_b32_e32 v6, 17, v2
	v_cmp_gt_i32_e64 s[24:25], s33, v5
	v_cmp_gt_i32_e64 s[26:27], s33, v6
	s_nop 0
	v_cndmask_b32_e64 v5, v3, v40, s[24:25]
	v_cndmask_b32_e64 v6, v3, v41, s[26:27]
	v_max3_f32 v4, v4, v5, v6
	v_or_b32_e32 v5, 18, v2
	;; [unrolled: 8-line block ×6, first 2 shown]
	v_or_b32_e32 v2, 51, v2
	v_cmp_gt_i32_e32 vcc, s33, v5
	v_cmp_gt_i32_e64 s[6:7], s33, v2
	s_nop 0
	v_cndmask_b32_e32 v5, v3, v18, vcc
	v_cndmask_b32_e64 v2, v3, v19, s[6:7]
	v_max3_f32 v4, v4, v5, v2
	v_mbcnt_lo_u32_b32 v2, -1, 0
	v_mbcnt_hi_u32_b32 v5, -1, v2
	v_and_b32_e32 v2, 64, v5
	v_add_u32_e32 v6, 64, v2
	v_xor_b32_e32 v2, 32, v5
	v_cmp_lt_i32_e64 s[40:41], v2, v6
	s_nop 1
	v_cndmask_b32_e64 v2, v5, v2, s[40:41]
	v_lshlrev_b32_e32 v46, 2, v2
	ds_bpermute_b32 v7, v46, v4
	s_waitcnt vmcnt(2)
	v_mad_i64_i32 v[2:3], s[40:41], v12, s45, v[30:31]
	global_load_dwordx4 v[14:17], v[10:11], off
	s_nop 0
	global_load_dwordx4 v[10:13], v[2:3], off
	v_xor_b32_e32 v3, 16, v5
	v_cmp_lt_i32_e64 s[40:41], v3, v6
	s_waitcnt lgkmcnt(0)
	v_max_f32_e32 v2, v7, v7
	v_max_f32_e32 v2, v4, v2
	v_cndmask_b32_e64 v3, v5, v3, s[40:41]
	v_lshlrev_b32_e32 v47, 2, v3
	ds_bpermute_b32 v3, v47, v2
	s_waitcnt vmcnt(3)
	v_mad_i64_i32 v[20:21], s[40:41], v44, s45, v[30:31]
	s_waitcnt vmcnt(2)
	v_mad_i64_i32 v[30:31], s[40:41], v45, s45, v[30:31]
	s_waitcnt lgkmcnt(0)
	v_max_f32_e32 v3, v3, v3
	v_max_f32_e32 v44, v2, v3
	v_sub_f32_e32 v2, v34, v44
	v_mul_f32_e32 v2, 0x3fb8aa3b, v2
	v_exp_f32_e32 v34, v2
	v_sub_f32_e32 v2, v35, v44
	v_mul_f32_e32 v2, 0x3fb8aa3b, v2
	v_exp_f32_e32 v35, v2
	global_load_dwordx4 v[6:9], v[20:21], off
	global_load_dwordx4 v[2:5], v[30:31], off
	v_sub_f32_e32 v22, v22, v44
	v_mul_f32_e32 v22, 0x3fb8aa3b, v22
	v_sub_f32_e32 v23, v23, v44
	v_exp_f32_e32 v22, v22
	v_mul_f32_e32 v23, 0x3fb8aa3b, v23
	v_exp_f32_e32 v23, v23
	v_cndmask_b32_e64 v20, 0, v34, s[4:5]
	v_add_f32_e32 v30, 0, v20
	v_cndmask_b32_e64 v21, 0, v35, s[34:35]
	v_add_f32_e32 v30, v30, v21
	;; [unrolled: 2-line block ×3, first 2 shown]
	v_cndmask_b32_e64 v35, 0, v23, s[38:39]
	v_sub_f32_e32 v23, v40, v44
	v_sub_f32_e32 v30, v41, v44
	v_mul_f32_e32 v23, 0x3fb8aa3b, v23
	v_mul_f32_e32 v30, 0x3fb8aa3b, v30
	v_exp_f32_e32 v23, v23
	v_exp_f32_e32 v30, v30
	v_add_f32_e32 v31, v22, v35
	v_sub_f32_e32 v32, v32, v44
	v_cndmask_b32_e64 v22, 0, v23, s[24:25]
	v_cndmask_b32_e64 v23, 0, v30, s[26:27]
	v_sub_f32_e32 v30, v36, v44
	v_mul_f32_e32 v30, 0x3fb8aa3b, v30
	v_exp_f32_e32 v30, v30
	v_sub_f32_e32 v36, v37, v44
	v_add_f32_e32 v31, v31, v22
	v_mul_f32_e32 v36, 0x3fb8aa3b, v36
	v_exp_f32_e32 v37, v36
	v_add_f32_e32 v31, v31, v23
	v_cndmask_b32_e64 v36, 0, v30, s[20:21]
	v_add_f32_e32 v30, v31, v36
	v_sub_f32_e32 v31, v38, v44
	v_mul_f32_e32 v31, 0x3fb8aa3b, v31
	v_sub_f32_e32 v38, v39, v44
	v_exp_f32_e32 v31, v31
	v_mul_f32_e32 v38, 0x3fb8aa3b, v38
	v_exp_f32_e32 v38, v38
	v_mul_f32_e32 v32, 0x3fb8aa3b, v32
	v_sub_f32_e32 v33, v33, v44
	v_exp_f32_e32 v32, v32
	v_mul_f32_e32 v33, 0x3fb8aa3b, v33
	v_sub_f32_e32 v24, v24, v44
	v_cndmask_b32_e64 v37, 0, v37, s[22:23]
	v_exp_f32_e32 v33, v33
	v_mul_f32_e32 v24, 0x3fb8aa3b, v24
	v_sub_f32_e32 v25, v25, v44
	v_add_f32_e32 v39, v30, v37
	v_cndmask_b32_e64 v30, 0, v31, s[16:17]
	v_exp_f32_e32 v24, v24
	v_mul_f32_e32 v25, 0x3fb8aa3b, v25
	v_sub_f32_e32 v18, v18, v44
	v_add_f32_e32 v39, v39, v30
	;; [unrolled: 5-line block ×3, first 2 shown]
	v_cndmask_b32_e64 v32, 0, v32, s[12:13]
	v_exp_f32_e32 v18, v18
	v_mul_f32_e32 v19, 0x3fb8aa3b, v19
	v_add_f32_e32 v38, v38, v32
	v_cndmask_b32_e64 v33, 0, v33, s[14:15]
	v_exp_f32_e32 v19, v19
	v_add_f32_e32 v38, v38, v33
	v_cndmask_b32_e64 v24, 0, v24, s[8:9]
	v_add_f32_e32 v38, v38, v24
	v_cndmask_b32_e64 v25, 0, v25, s[10:11]
	v_add_f32_e32 v38, v38, v25
	v_cndmask_b32_e32 v18, 0, v18, vcc
	v_add_f32_e32 v38, v38, v18
	v_cndmask_b32_e64 v19, 0, v19, s[6:7]
	v_add_f32_e32 v38, v38, v19
	ds_bpermute_b32 v39, v46, v38
	v_cmp_gt_u32_e64 s[6:7], 16, v43
	s_waitcnt lgkmcnt(0)
	s_barrier
	v_add_f32_e32 v38, v38, v39
	ds_bpermute_b32 v40, v47, v38
	v_lshlrev_b32_e32 v39, 2, v28
	s_and_saveexec_b64 s[4:5], s[6:7]
	s_cbranch_execz .LBB1192_13
; %bb.12:
	s_waitcnt lgkmcnt(0)
	v_add_f32_e32 v38, v38, v40
	v_lshl_or_b32 v40, v29, 6, v39
	ds_write2st64_b32 v40, v44, v38 offset1:1
.LBB1192_13:
	s_or_b64 exec, exec, s[4:5]
	s_load_dword s8, s[0:1], 0x94
	s_waitcnt lgkmcnt(0)
	s_barrier
	ds_read2_b32 v[40:41], v39 offset1:16
	ds_read2_b32 v[44:45], v39 offset0:32 offset1:48
	ds_read2_b32 v[46:47], v39 offset0:64 offset1:80
	s_movk_i32 s10, 0x7fff
	s_mul_i32 s9, s29, 5
	s_waitcnt lgkmcnt(2)
	v_max3_f32 v38, v40, s46, v41
	s_waitcnt lgkmcnt(1)
	v_max3_f32 v38, v38, v44, v45
	v_sub_f32_e32 v40, v40, v38
	v_mul_f32_e32 v40, 0x3fb8aa3b, v40
	v_exp_f32_e32 v43, v40
	v_sub_f32_e32 v40, v41, v38
	v_mul_f32_e32 v40, 0x3fb8aa3b, v40
	v_exp_f32_e32 v48, v40
	;; [unrolled: 3-line block ×3, first 2 shown]
	ds_read2_b32 v[40:41], v39 offset0:96 offset1:112
	v_sub_f32_e32 v39, v45, v38
	v_mul_f32_e32 v39, 0x3fb8aa3b, v39
	v_exp_f32_e32 v45, v39
	s_waitcnt lgkmcnt(1)
	v_fma_f32 v39, v43, v46, 0
	v_fmac_f32_e32 v39, v48, v47
	s_waitcnt lgkmcnt(0)
	v_fmac_f32_e32 v39, v44, v40
	v_fmac_f32_e32 v39, v45, v41
	v_add_f32_e32 v40, 0x358637bd, v39
	v_div_scale_f32 v41, s[4:5], v40, v40, 1.0
	v_rcp_f32_e32 v46, v41
	s_barrier
	v_fma_f32 v47, -v41, v46, 1.0
	v_fmac_f32_e32 v46, v47, v46
	v_div_scale_f32 v47, vcc, 1.0, v40, 1.0
	v_mul_f32_e32 v49, v47, v46
	v_fma_f32 v50, -v41, v49, v47
	v_fmac_f32_e32 v49, v50, v46
	v_fma_f32 v41, -v41, v49, v47
	v_div_fmas_f32 v41, v41, v46, v49
	v_cmp_eq_u32_e32 vcc, 1, v29
	v_div_fixup_f32 v40, v41, v40, 1.0
	s_nop 0
	v_cndmask_b32_e32 v41, v43, v48, vcc
	v_cmp_eq_u32_e32 vcc, 2, v29
	s_nop 1
	v_cndmask_b32_e32 v41, v41, v44, vcc
	v_cmp_eq_u32_e32 vcc, 3, v29
	s_nop 1
	v_cndmask_b32_e32 v41, v41, v45, vcc
	v_mul_f32_e32 v40, v41, v40
	v_pk_mul_f32 v[20:21], v[40:41], v[20:21] op_sel_hi:[0,1]
	v_pk_mul_f32 v[34:35], v[40:41], v[34:35] op_sel_hi:[0,1]
	v_bfe_u32 v41, v21, 16, 1
	v_bfe_u32 v43, v20, 16, 1
	v_add3_u32 v20, v20, v43, s10
	v_add3_u32 v21, v21, v41, s10
	v_perm_b32 v44, v21, v20, s44
	v_bfe_u32 v20, v35, 16, 1
	v_bfe_u32 v21, v34, 16, 1
	v_add3_u32 v21, v34, v21, s10
	v_add3_u32 v20, v35, v20, s10
	v_perm_b32 v45, v20, v21, s44
	v_lshlrev_b32_e32 v20, 3, v42
	v_lshlrev_b32_e32 v21, 11, v29
	v_pk_mul_f32 v[22:23], v[40:41], v[22:23] op_sel_hi:[0,1]
	v_or3_b32 v20, v21, v27, v20
	v_bfe_u32 v21, v23, 16, 1
	v_bfe_u32 v29, v22, 16, 1
	v_pk_mul_f32 v[34:35], v[40:41], v[36:37] op_sel_hi:[0,1]
	v_add3_u32 v22, v22, v29, s10
	v_add3_u32 v21, v23, v21, s10
	v_perm_b32 v22, v21, v22, s44
	v_bfe_u32 v21, v35, 16, 1
	v_bfe_u32 v23, v34, 16, 1
	v_add3_u32 v23, v34, v23, s10
	v_add3_u32 v21, v35, v21, s10
	v_pk_mul_f32 v[30:31], v[40:41], v[30:31] op_sel_hi:[0,1]
	v_perm_b32 v23, v21, v23, s44
	v_bfe_u32 v21, v31, 16, 1
	v_bfe_u32 v29, v30, 16, 1
	ds_write2st64_b64 v20, v[44:45], v[22:23] offset1:1
	v_pk_mul_f32 v[22:23], v[40:41], v[32:33] op_sel_hi:[0,1]
	v_add3_u32 v29, v30, v29, s10
	v_add3_u32 v21, v31, v21, s10
	v_perm_b32 v30, v21, v29, s44
	v_bfe_u32 v21, v23, 16, 1
	v_bfe_u32 v29, v22, 16, 1
	v_add3_u32 v22, v22, v29, s10
	v_add3_u32 v21, v23, v21, s10
	v_perm_b32 v31, v21, v22, s44
	v_pk_mul_f32 v[22:23], v[40:41], v[24:25] op_sel_hi:[0,1]
	v_bfe_u32 v21, v23, 16, 1
	v_bfe_u32 v24, v22, 16, 1
	v_pk_mul_f32 v[18:19], v[40:41], v[18:19] op_sel_hi:[0,1]
	v_add3_u32 v22, v22, v24, s10
	v_add3_u32 v21, v23, v21, s10
	v_perm_b32 v22, v21, v22, s44
	v_bfe_u32 v21, v19, 16, 1
	v_bfe_u32 v23, v18, 16, 1
	v_add3_u32 v18, v18, v23, s10
	v_add3_u32 v19, v19, v21, s10
	v_perm_b32 v23, v19, v18, s44
	v_cmp_gt_u32_e32 vcc, 5, v0
	ds_write2st64_b64 v20, v[30:31], v[22:23] offset0:2 offset1:3
	s_and_saveexec_b64 s[4:5], vcc
	s_cbranch_execz .LBB1192_15
; %bb.14:
	s_mov_b32 s49, 0
	v_mov_b32_e32 v29, 0
	v_lshl_add_u64 v[18:19], s[48:49], 0, v[28:29]
	v_mov_b32_e32 v21, s9
	v_mad_u64_u32 v[18:19], s[16:17], s2, v21, v[18:19]
	s_mul_i32 s3, s3, s9
	v_mov_b32_e32 v28, s28
	s_load_dwordx4 s[12:15], s[0:1], 0x58
	v_add_u32_e32 v21, s3, v19
	v_mad_u64_u32 v[18:19], s[16:17], v18, s8, v[28:29]
	v_mov_b32_e32 v22, v19
	v_mad_u64_u32 v[22:23], s[16:17], v21, s8, v[22:23]
	v_mov_b32_e32 v19, v22
	v_lshlrev_b64 v[18:19], 2, v[18:19]
	s_waitcnt lgkmcnt(0)
	v_lshl_add_u64 v[22:23], s[14:15], 0, v[18:19]
	v_lshl_add_u64 v[18:19], s[12:13], 0, v[18:19]
	global_store_dword v[22:23], v38, off
	global_store_dword v[18:19], v39, off
.LBB1192_15:
	s_or_b64 exec, exec, s[4:5]
	s_waitcnt vmcnt(3)
	v_cvt_pk_f32_fp8_e32 v[18:19], v14
	v_cvt_pk_f32_fp8_sdwa v[22:23], v14 src0_sel:WORD_1
	s_mov_b32 s4, 0x7060302
	v_lshl_or_b32 v14, v42, 9, v27
	s_waitcnt lgkmcnt(0)
	s_barrier
	v_perm_b32 v18, v19, v18, s4
	v_perm_b32 v19, v23, v22, s4
	v_cvt_pk_f32_fp8_e32 v[28:29], v15
	ds_read_b128 v[22:25], v14
	v_cvt_pk_f32_fp8_sdwa v[36:37], v15 src0_sel:WORD_1
	s_load_dword s12, s[42:43], 0x0
	v_perm_b32 v38, v29, v28, s4
	ds_read_b128 v[28:31], v14 offset:16
	v_perm_b32 v39, v37, v36, s4
	s_waitcnt lgkmcnt(0)
	v_mfma_f32_16x16x16_bf16 v[32:35], v[18:19], v[22:23], 0
	v_cvt_pk_f32_fp8_e32 v[18:19], v16
	v_cvt_pk_f32_fp8_sdwa v[36:37], v16 src0_sel:WORD_1
	v_cmp_gt_u32_e32 vcc, 64, v0
	v_mfma_f32_16x16x16_bf16 v[22:25], v[38:39], v[24:25], v[32:35]
	v_perm_b32 v18, v19, v18, s4
	v_perm_b32 v19, v37, v36, s4
	s_waitcnt vmcnt(2)
	v_cvt_pk_f32_fp8_sdwa v[36:37], v10 src0_sel:WORD_1
	v_cvt_pk_f32_fp8_e32 v[32:33], v17
	v_cvt_pk_f32_fp8_sdwa v[16:17], v17 src0_sel:WORD_1
	v_cvt_pk_f32_fp8_e32 v[34:35], v10
	s_mov_b32 s3, 0
	v_perm_b32 v32, v33, v32, s4
	v_perm_b32 v33, v17, v16, s4
	v_mfma_f32_16x16x16_bf16 v[16:19], v[18:19], v[28:29], v[22:25]
	v_perm_b32 v34, v35, v34, s4
	v_perm_b32 v35, v37, v36, s4
	v_cvt_pk_f32_fp8_e32 v[28:29], v11
	ds_read_b128 v[22:25], v14 offset:2048
	v_cvt_pk_f32_fp8_sdwa v[10:11], v11 src0_sel:WORD_1
	v_mfma_f32_16x16x16_bf16 v[16:19], v[32:33], v[30:31], v[16:19]
	v_perm_b32 v32, v29, v28, s4
	ds_read_b128 v[28:31], v14 offset:2064
	v_perm_b32 v33, v11, v10, s4
	s_waitcnt lgkmcnt(1)
	v_mfma_f32_16x16x16_bf16 v[16:19], v[34:35], v[22:23], v[16:19]
	v_cvt_pk_f32_fp8_e32 v[10:11], v12
	v_cvt_pk_f32_fp8_sdwa v[22:23], v12 src0_sel:WORD_1
	v_mov_b32_e32 v27, 0
	v_mfma_f32_16x16x16_bf16 v[16:19], v[32:33], v[24:25], v[16:19]
	v_cvt_pk_f32_fp8_e32 v[24:25], v13
	v_perm_b32 v10, v11, v10, s4
	v_perm_b32 v11, v23, v22, s4
	v_cvt_pk_f32_fp8_sdwa v[12:13], v13 src0_sel:WORD_1
	v_perm_b32 v22, v25, v24, s4
	s_waitcnt vmcnt(1)
	v_cvt_pk_f32_fp8_e32 v[24:25], v6
	v_cvt_pk_f32_fp8_sdwa v[32:33], v6 src0_sel:WORD_1
	v_perm_b32 v23, v13, v12, s4
	s_waitcnt lgkmcnt(0)
	v_mfma_f32_16x16x16_bf16 v[10:13], v[10:11], v[28:29], v[16:19]
	v_perm_b32 v28, v25, v24, s4
	v_perm_b32 v29, v33, v32, s4
	v_cvt_pk_f32_fp8_e32 v[24:25], v7
	ds_read_b128 v[16:19], v14 offset:4096
	v_cvt_pk_f32_fp8_sdwa v[6:7], v7 src0_sel:WORD_1
	v_mfma_f32_16x16x16_bf16 v[10:13], v[22:23], v[30:31], v[10:13]
	v_perm_b32 v30, v25, v24, s4
	ds_read_b128 v[22:25], v14 offset:4112
	v_perm_b32 v31, v7, v6, s4
	s_waitcnt lgkmcnt(1)
	v_mfma_f32_16x16x16_bf16 v[10:13], v[28:29], v[16:17], v[10:13]
	v_cvt_pk_f32_fp8_e32 v[6:7], v8
	v_cvt_pk_f32_fp8_sdwa v[16:17], v8 src0_sel:WORD_1
	s_waitcnt vmcnt(0)
	v_cvt_pk_f32_fp8_sdwa v[28:29], v2 src0_sel:WORD_1
	v_mfma_f32_16x16x16_bf16 v[10:13], v[30:31], v[18:19], v[10:13]
	v_cvt_pk_f32_fp8_e32 v[18:19], v9
	v_perm_b32 v6, v7, v6, s4
	v_perm_b32 v7, v17, v16, s4
	v_cvt_pk_f32_fp8_sdwa v[8:9], v9 src0_sel:WORD_1
	v_perm_b32 v16, v19, v18, s4
	v_cvt_pk_f32_fp8_e32 v[18:19], v2
	v_perm_b32 v17, v9, v8, s4
	s_waitcnt lgkmcnt(0)
	v_mfma_f32_16x16x16_bf16 v[6:9], v[6:7], v[22:23], v[10:13]
	v_perm_b32 v18, v19, v18, s4
	v_perm_b32 v19, v29, v28, s4
	v_cvt_pk_f32_fp8_e32 v[22:23], v3
	ds_read_b128 v[10:13], v14 offset:6144
	v_cvt_pk_f32_fp8_sdwa v[2:3], v3 src0_sel:WORD_1
	v_mfma_f32_16x16x16_bf16 v[6:9], v[16:17], v[24:25], v[6:9]
	v_perm_b32 v22, v23, v22, s4
	ds_read_b128 v[14:17], v14 offset:6160
	v_perm_b32 v23, v3, v2, s4
	s_waitcnt lgkmcnt(1)
	v_mfma_f32_16x16x16_bf16 v[6:9], v[18:19], v[10:11], v[6:9]
	v_cvt_pk_f32_fp8_e32 v[2:3], v4
	v_cvt_pk_f32_fp8_sdwa v[10:11], v4 src0_sel:WORD_1
	s_waitcnt lgkmcnt(0)
	v_mfma_f32_16x16x16_bf16 v[6:9], v[22:23], v[12:13], v[6:9]
	v_perm_b32 v2, v3, v2, s4
	v_perm_b32 v3, v11, v10, s4
	v_cvt_pk_f32_fp8_e32 v[10:11], v5
	v_cvt_pk_f32_fp8_sdwa v[4:5], v5 src0_sel:WORD_1
	s_barrier
	v_perm_b32 v10, v11, v10, s4
	v_perm_b32 v11, v5, v4, s4
	v_mfma_f32_16x16x16_bf16 v[2:5], v[2:3], v[14:15], v[6:9]
	s_nop 0
	v_mfma_f32_16x16x16_bf16 v[2:5], v[10:11], v[16:17], v[2:5]
	s_nop 6
	v_pk_mul_f32 v[2:3], v[2:3], s[12:13] op_sel_hi:[1,0]
	v_pk_mul_f32 v[4:5], v[4:5], s[12:13] op_sel_hi:[1,0]
	v_bfe_u32 v6, v3, 16, 1
	v_bfe_u32 v7, v2, 16, 1
	v_add3_u32 v2, v2, v7, s10
	v_add3_u32 v3, v3, v6, s10
	v_perm_b32 v2, v3, v2, s4
	v_bfe_u32 v3, v5, 16, 1
	v_bfe_u32 v6, v4, 16, 1
	v_add3_u32 v4, v4, v6, s10
	v_add3_u32 v3, v5, v3, s10
	v_perm_b32 v3, v3, v4, s4
	s_and_b64 s[4:5], vcc, s[30:31]
	ds_write_b64 v20, v[2:3]
	s_waitcnt lgkmcnt(0)
	s_barrier
	s_and_saveexec_b64 s[10:11], s[4:5]
	s_cbranch_execz .LBB1192_18
; %bb.16:
	s_load_dwordx2 s[4:5], s[0:1], 0x68
	s_lshl_b32 s0, s8, 6
	s_mul_i32 s1, s9, s2
	s_mul_hi_u32 s9, s1, s0
	s_mul_i32 s8, s1, s0
	v_lshlrev_b32_e32 v0, 10, v0
	s_lshl_b64 s[8:9], s[8:9], 1
	v_and_b32_e32 v0, 0x1800, v0
	v_lshlrev_b32_e32 v2, 5, v42
	v_and_b32_e32 v1, 16, v1
	s_waitcnt lgkmcnt(0)
	s_add_u32 s1, s4, s8
	v_or3_b32 v2, v0, v2, v1
	s_addc_u32 s4, s5, s9
	s_lshl_b32 s2, s28, 6
	s_lshl_b64 s[2:3], s[2:3], 1
	ds_read_b128 v[4:7], v2
	s_add_u32 s2, s1, s2
	s_addc_u32 s3, s4, s3
	v_add_u32_e32 v3, s48, v42
	v_lshl_add_u64 v[0:1], s[2:3], 0, v[26:27]
	v_mad_u64_u32 v[8:9], s[2:3], v3, s0, 0
	v_lshl_add_u64 v[8:9], v[8:9], 1, v[0:1]
	s_waitcnt lgkmcnt(0)
	global_store_dwordx4 v[8:9], v[4:7], off
	s_and_b64 exec, exec, s[6:7]
	s_cbranch_execz .LBB1192_18
; %bb.17:
	ds_read_b128 v[2:5], v2 offset:128
	v_add3_u32 v6, s48, v42, 4
	v_mad_u64_u32 v[6:7], s[0:1], v6, s0, 0
	v_lshl_add_u64 v[0:1], v[6:7], 1, v[0:1]
	s_waitcnt lgkmcnt(0)
	global_store_dwordx4 v[0:1], v[2:5], off
.LBB1192_18:
	s_endpgm
	.section	.rodata,"a",@progbits
	.p2align	6, 0x0
	.amdhsa_kernel _Z39paged_attention_ll4mi_QKV_mfma16_kernelI14__hip_bfloat16hLN4vllm18Fp8KVCacheDataTypeE1EhLi32ELi64ELi256ELb0ELi5EEvPKT_PKT0_S8_ifPKiSA_SA_iPKfiiiPfSD_PS3_PT2_iSC_SC_
		.amdhsa_group_segment_fixed_size 8192
		.amdhsa_private_segment_fixed_size 0
		.amdhsa_kernarg_size 400
		.amdhsa_user_sgpr_count 2
		.amdhsa_user_sgpr_dispatch_ptr 0
		.amdhsa_user_sgpr_queue_ptr 0
		.amdhsa_user_sgpr_kernarg_segment_ptr 1
		.amdhsa_user_sgpr_dispatch_id 0
		.amdhsa_user_sgpr_kernarg_preload_length 0
		.amdhsa_user_sgpr_kernarg_preload_offset 0
		.amdhsa_user_sgpr_private_segment_size 0
		.amdhsa_uses_dynamic_stack 0
		.amdhsa_enable_private_segment 0
		.amdhsa_system_sgpr_workgroup_id_x 1
		.amdhsa_system_sgpr_workgroup_id_y 1
		.amdhsa_system_sgpr_workgroup_id_z 1
		.amdhsa_system_sgpr_workgroup_info 0
		.amdhsa_system_vgpr_workitem_id 0
		.amdhsa_next_free_vgpr 54
		.amdhsa_next_free_sgpr 50
		.amdhsa_accum_offset 56
		.amdhsa_reserve_vcc 1
		.amdhsa_float_round_mode_32 0
		.amdhsa_float_round_mode_16_64 0
		.amdhsa_float_denorm_mode_32 3
		.amdhsa_float_denorm_mode_16_64 3
		.amdhsa_dx10_clamp 1
		.amdhsa_ieee_mode 1
		.amdhsa_fp16_overflow 0
		.amdhsa_tg_split 0
		.amdhsa_exception_fp_ieee_invalid_op 0
		.amdhsa_exception_fp_denorm_src 0
		.amdhsa_exception_fp_ieee_div_zero 0
		.amdhsa_exception_fp_ieee_overflow 0
		.amdhsa_exception_fp_ieee_underflow 0
		.amdhsa_exception_fp_ieee_inexact 0
		.amdhsa_exception_int_div_zero 0
	.end_amdhsa_kernel
	.section	.text._Z39paged_attention_ll4mi_QKV_mfma16_kernelI14__hip_bfloat16hLN4vllm18Fp8KVCacheDataTypeE1EhLi32ELi64ELi256ELb0ELi5EEvPKT_PKT0_S8_ifPKiSA_SA_iPKfiiiPfSD_PS3_PT2_iSC_SC_,"axG",@progbits,_Z39paged_attention_ll4mi_QKV_mfma16_kernelI14__hip_bfloat16hLN4vllm18Fp8KVCacheDataTypeE1EhLi32ELi64ELi256ELb0ELi5EEvPKT_PKT0_S8_ifPKiSA_SA_iPKfiiiPfSD_PS3_PT2_iSC_SC_,comdat
.Lfunc_end1192:
	.size	_Z39paged_attention_ll4mi_QKV_mfma16_kernelI14__hip_bfloat16hLN4vllm18Fp8KVCacheDataTypeE1EhLi32ELi64ELi256ELb0ELi5EEvPKT_PKT0_S8_ifPKiSA_SA_iPKfiiiPfSD_PS3_PT2_iSC_SC_, .Lfunc_end1192-_Z39paged_attention_ll4mi_QKV_mfma16_kernelI14__hip_bfloat16hLN4vllm18Fp8KVCacheDataTypeE1EhLi32ELi64ELi256ELb0ELi5EEvPKT_PKT0_S8_ifPKiSA_SA_iPKfiiiPfSD_PS3_PT2_iSC_SC_
                                        ; -- End function
	.section	.AMDGPU.csdata,"",@progbits
; Kernel info:
; codeLenInByte = 4928
; NumSgprs: 56
; NumVgprs: 54
; NumAgprs: 0
; TotalNumVgprs: 54
; ScratchSize: 0
; MemoryBound: 0
; FloatMode: 240
; IeeeMode: 1
; LDSByteSize: 8192 bytes/workgroup (compile time only)
; SGPRBlocks: 6
; VGPRBlocks: 6
; NumSGPRsForWavesPerEU: 56
; NumVGPRsForWavesPerEU: 54
; AccumOffset: 56
; Occupancy: 8
; WaveLimiterHint : 1
; COMPUTE_PGM_RSRC2:SCRATCH_EN: 0
; COMPUTE_PGM_RSRC2:USER_SGPR: 2
; COMPUTE_PGM_RSRC2:TRAP_HANDLER: 0
; COMPUTE_PGM_RSRC2:TGID_X_EN: 1
; COMPUTE_PGM_RSRC2:TGID_Y_EN: 1
; COMPUTE_PGM_RSRC2:TGID_Z_EN: 1
; COMPUTE_PGM_RSRC2:TIDIG_COMP_CNT: 0
; COMPUTE_PGM_RSRC3_GFX90A:ACCUM_OFFSET: 13
; COMPUTE_PGM_RSRC3_GFX90A:TG_SPLIT: 0
	.section	.text._Z39paged_attention_ll4mi_QKV_mfma16_kernelI14__hip_bfloat16hLN4vllm18Fp8KVCacheDataTypeE1EhLi32ELi64ELi256ELb0ELi6EEvPKT_PKT0_S8_ifPKiSA_SA_iPKfiiiPfSD_PS3_PT2_iSC_SC_,"axG",@progbits,_Z39paged_attention_ll4mi_QKV_mfma16_kernelI14__hip_bfloat16hLN4vllm18Fp8KVCacheDataTypeE1EhLi32ELi64ELi256ELb0ELi6EEvPKT_PKT0_S8_ifPKiSA_SA_iPKfiiiPfSD_PS3_PT2_iSC_SC_,comdat
	.protected	_Z39paged_attention_ll4mi_QKV_mfma16_kernelI14__hip_bfloat16hLN4vllm18Fp8KVCacheDataTypeE1EhLi32ELi64ELi256ELb0ELi6EEvPKT_PKT0_S8_ifPKiSA_SA_iPKfiiiPfSD_PS3_PT2_iSC_SC_ ; -- Begin function _Z39paged_attention_ll4mi_QKV_mfma16_kernelI14__hip_bfloat16hLN4vllm18Fp8KVCacheDataTypeE1EhLi32ELi64ELi256ELb0ELi6EEvPKT_PKT0_S8_ifPKiSA_SA_iPKfiiiPfSD_PS3_PT2_iSC_SC_
	.globl	_Z39paged_attention_ll4mi_QKV_mfma16_kernelI14__hip_bfloat16hLN4vllm18Fp8KVCacheDataTypeE1EhLi32ELi64ELi256ELb0ELi6EEvPKT_PKT0_S8_ifPKiSA_SA_iPKfiiiPfSD_PS3_PT2_iSC_SC_
	.p2align	8
	.type	_Z39paged_attention_ll4mi_QKV_mfma16_kernelI14__hip_bfloat16hLN4vllm18Fp8KVCacheDataTypeE1EhLi32ELi64ELi256ELb0ELi6EEvPKT_PKT0_S8_ifPKiSA_SA_iPKfiiiPfSD_PS3_PT2_iSC_SC_,@function
_Z39paged_attention_ll4mi_QKV_mfma16_kernelI14__hip_bfloat16hLN4vllm18Fp8KVCacheDataTypeE1EhLi32ELi64ELi256ELb0ELi6EEvPKT_PKT0_S8_ifPKiSA_SA_iPKfiiiPfSD_PS3_PT2_iSC_SC_: ; @_Z39paged_attention_ll4mi_QKV_mfma16_kernelI14__hip_bfloat16hLN4vllm18Fp8KVCacheDataTypeE1EhLi32ELi64ELi256ELb0ELi6EEvPKT_PKT0_S8_ifPKiSA_SA_iPKfiiiPfSD_PS3_PT2_iSC_SC_
; %bb.0:
	s_load_dwordx2 s[12:13], s[0:1], 0x30
	s_mov_b32 s28, s3
	s_mov_b64 s[6:7], 0
	s_waitcnt lgkmcnt(0)
	s_cmp_lg_u64 s[12:13], 0
	s_cselect_b64 s[14:15], -1, 0
	s_and_b64 vcc, exec, s[14:15]
	s_cbranch_vccz .LBB1193_7
; %bb.1:
	s_add_i32 s8, s2, 1
	s_mov_b32 s9, 0
	s_lshl_b64 s[10:11], s[8:9], 2
	s_add_u32 s10, s12, s10
	s_mov_b32 s3, s9
	s_addc_u32 s11, s13, s11
	s_lshl_b64 s[8:9], s[2:3], 2
	s_add_u32 s8, s12, s8
	s_addc_u32 s9, s13, s9
	s_load_dword s5, s[10:11], 0x0
	s_load_dword s16, s[8:9], 0x0
	s_waitcnt lgkmcnt(0)
	s_sub_i32 s5, s5, s16
	s_cmp_eq_u32 s5, 1
	s_cselect_b64 s[8:9], -1, 0
	s_andn2_b64 vcc, exec, s[6:7]
	s_cbranch_vccnz .LBB1193_3
.LBB1193_2:
	s_mov_b32 s3, 0
	s_mov_b64 s[8:9], -1
.LBB1193_3:
	s_andn2_b64 vcc, exec, s[8:9]
	s_cbranch_vccnz .LBB1193_18
; %bb.4:
	s_load_dwordx2 s[6:7], s[0:1], 0x28
	s_lshl_b64 s[16:17], s[2:3], 2
	s_waitcnt lgkmcnt(0)
	s_add_u32 s6, s6, s16
	s_addc_u32 s7, s7, s17
	s_load_dword s33, s[6:7], 0x0
	s_lshl_b32 s5, s28, 8
	s_waitcnt lgkmcnt(0)
	s_cmp_ge_i32 s5, s33
	s_cbranch_scc1 .LBB1193_18
; %bb.5:
	s_add_i32 s9, s33, 31
	s_load_dwordx2 s[6:7], s[0:1], 0x20
	s_load_dword s8, s[0:1], 0x38
	s_ashr_i32 s10, s9, 31
	v_and_b32_e32 v1, 0xcf, v0
	s_lshr_b32 s10, s10, 27
	v_add_u32_e32 v1, s5, v1
	s_add_i32 s9, s9, s10
	v_ashrrev_i32_e32 v2, 31, v1
	s_ashr_i32 s18, s9, 5
	v_lshrrev_b32_e32 v10, 27, v2
	s_add_i32 s18, s18, -1
	v_add_u32_e32 v2, v1, v10
	v_or_b32_e32 v4, 16, v1
	s_waitcnt lgkmcnt(0)
	s_mul_i32 s8, s2, s8
	s_mov_b32 s9, 0
	v_ashrrev_i32_e32 v2, 5, v2
	v_mov_b32_e32 v11, s18
	v_cmp_gt_i32_e32 vcc, s33, v1
	v_add_u32_e32 v5, v4, v10
	s_lshl_b64 s[8:9], s[8:9], 2
	v_cndmask_b32_e32 v2, v11, v2, vcc
	v_ashrrev_i32_e32 v5, 5, v5
	v_cmp_gt_i32_e32 vcc, s33, v4
	s_add_u32 s6, s6, s8
	s_addc_u32 s7, s7, s9
	v_cndmask_b32_e32 v4, v11, v5, vcc
	v_ashrrev_i32_e32 v5, 31, v4
	v_lshl_add_u64 v[6:7], v[4:5], 2, s[6:7]
	v_or_b32_e32 v4, 32, v1
	v_add_u32_e32 v5, v4, v10
	v_ashrrev_i32_e32 v5, 5, v5
	v_cmp_gt_i32_e32 vcc, s33, v4
	v_or_b32_e32 v1, 48, v1
	v_ashrrev_i32_e32 v3, 31, v2
	v_cndmask_b32_e32 v4, v11, v5, vcc
	v_ashrrev_i32_e32 v5, 31, v4
	v_lshl_add_u64 v[8:9], v[4:5], 2, s[6:7]
	v_add_u32_e32 v4, v1, v10
	v_ashrrev_i32_e32 v4, 5, v4
	v_cmp_gt_i32_e32 vcc, s33, v1
	v_lshl_add_u64 v[2:3], v[2:3], 2, s[6:7]
	s_load_dwordx4 s[8:11], s[0:1], 0x8
	v_cndmask_b32_e32 v4, v11, v4, vcc
	v_ashrrev_i32_e32 v5, 31, v4
	v_lshl_add_u64 v[14:15], v[4:5], 2, s[6:7]
	global_load_dword v4, v[2:3], off
	global_load_dword v12, v[6:7], off
	;; [unrolled: 1-line block ×4, first 2 shown]
	s_andn2_b64 vcc, exec, s[14:15]
	s_cbranch_vccnz .LBB1193_8
; %bb.6:
	s_add_u32 s12, s12, s16
	s_addc_u32 s13, s13, s17
	s_load_dword s14, s[12:13], 0x0
	s_branch .LBB1193_9
.LBB1193_7:
	s_mov_b64 s[8:9], 0
	s_branch .LBB1193_2
.LBB1193_8:
	s_mov_b32 s14, s2
.LBB1193_9:
	s_load_dwordx4 s[44:47], s[0:1], 0x48
	v_lshrrev_b32_e32 v29, 6, v0
	v_bfe_u32 v42, v0, 4, 2
	v_lshl_or_b32 v2, v29, 2, v42
	v_and_b32_e32 v28, 15, v0
	v_lshlrev_b32_e32 v1, 3, v28
	v_cmp_gt_u32_e32 vcc, 6, v2
	v_cmp_gt_u32_e64 s[30:31], 8, v28
	v_and_b32_e32 v43, 63, v0
	s_mul_i32 s48, s4, 6
	s_and_b64 s[16:17], s[30:31], vcc
	v_lshlrev_b32_e32 v26, 1, v1
	v_lshlrev_b32_e32 v1, 4, v0
	s_and_saveexec_b64 s[12:13], s[16:17]
	s_cbranch_execz .LBB1193_11
; %bb.10:
	s_load_dwordx2 s[16:17], s[0:1], 0x0
	s_waitcnt lgkmcnt(0)
	s_ashr_i32 s15, s44, 31
	s_mul_hi_u32 s19, s14, s44
	s_mul_i32 s15, s14, s15
	s_add_i32 s15, s19, s15
	s_mul_i32 s14, s14, s44
	s_lshl_b64 s[14:15], s[14:15], 1
	s_add_u32 s14, s16, s14
	v_add_lshl_u32 v6, v2, s48, 6
	s_addc_u32 s15, s17, s15
	v_ashrrev_i32_e32 v7, 31, v6
	v_lshl_add_u64 v[6:7], v[6:7], 1, s[14:15]
	v_mov_b32_e32 v27, 0
	v_lshl_add_u64 v[6:7], v[6:7], 0, v[26:27]
	global_load_dwordx4 v[6:9], v[6:7], off
	v_lshlrev_b32_e32 v5, 8, v28
	v_lshlrev_b32_e32 v2, 5, v2
	v_and_b32_e32 v3, 16, v1
	v_and_b32_e32 v5, 0xe00, v5
	v_or3_b32 v2, v5, v2, v3
	s_waitcnt vmcnt(0)
	ds_write_b128 v2, v[6:9]
.LBB1193_11:
	s_or_b64 exec, exec, s[12:13]
	s_waitcnt lgkmcnt(0)
	s_mul_i32 s4, s4, s46
	s_add_u32 s8, s8, s4
	s_addc_u32 s9, s9, 0
	v_mov_b32_e32 v31, 0
	v_mov_b64_e32 v[2:3], s[8:9]
	v_and_b32_e32 v14, 48, v0
	s_waitcnt vmcnt(3)
	v_mad_i64_i32 v[6:7], s[8:9], v4, s45, v[2:3]
	v_lshlrev_b32_e32 v4, 4, v28
	v_mov_b32_e32 v5, v31
	v_lshlrev_b32_e32 v30, 5, v14
	v_lshl_add_u64 v[6:7], v[6:7], 0, v[4:5]
	v_lshl_add_u64 v[6:7], v[6:7], 0, v[30:31]
	s_load_dword s29, s[0:1], 0x98
	s_load_dwordx4 s[40:43], s[0:1], 0x80
	s_waitcnt lgkmcnt(0)
	s_barrier
	global_load_dwordx4 v[6:9], v[6:7], off
	s_waitcnt vmcnt(3)
	v_mad_i64_i32 v[12:13], s[8:9], v12, s45, v[2:3]
	s_ashr_i32 s8, s5, 31
	v_or_b32_e32 v20, s5, v14
	s_lshr_b32 s12, s8, 27
	v_add_u32_e32 v14, s12, v20
	v_ashrrev_i32_e32 v14, 5, v14
	v_mov_b32_e32 v33, s18
	v_cmp_gt_i32_e32 vcc, s33, v20
	v_or_b32_e32 v18, 0x100, v4
	v_mov_b32_e32 v19, v31
	v_cndmask_b32_e32 v14, v33, v14, vcc
	v_ashrrev_i32_e32 v15, 31, v14
	v_lshl_add_u64 v[12:13], v[12:13], 0, v[18:19]
	v_lshl_add_u64 v[14:15], v[14:15], 2, s[6:7]
	v_lshl_add_u64 v[12:13], v[12:13], 0, v[30:31]
	global_load_dword v52, v[14:15], off
	v_mov_b32_e32 v21, 5
	global_load_dwordx4 v[14:17], v[12:13], off
	v_mul_lo_u16_e32 v12, 43, v28
	v_mov_b32_e32 v13, 6
	v_mul_lo_u16_sdwa v12, v12, v13 dst_sel:DWORD dst_unused:UNUSED_PAD src0_sel:BYTE_1 src1_sel:DWORD
	v_sub_u16_e32 v12, v28, v12
	v_or_b32_e32 v32, 64, v20
	v_or_b32_e32 v34, 0x80, v20
	;; [unrolled: 1-line block ×3, first 2 shown]
	v_lshlrev_b32_sdwa v20, v21, v12 dst_sel:DWORD dst_unused:UNUSED_PAD src0_sel:DWORD src1_sel:BYTE_0
	s_waitcnt vmcnt(4)
	v_mad_i64_i32 v[12:13], s[8:9], v11, s45, v[2:3]
	v_lshl_add_u64 v[4:5], v[12:13], 0, v[4:5]
	v_lshl_add_u64 v[4:5], v[4:5], 0, v[30:31]
	global_load_dwordx4 v[22:25], v[4:5], off
	v_lshl_add_u32 v4, v42, 9, v20
	s_waitcnt vmcnt(4)
	v_mad_i64_i32 v[20:21], s[8:9], v10, s45, v[2:3]
	v_add_u32_e32 v36, s12, v32
	v_add_u32_e32 v37, s12, v34
	v_lshl_add_u64 v[18:19], v[20:21], 0, v[18:19]
	v_ashrrev_i32_e32 v20, 5, v36
	v_cmp_gt_i32_e32 vcc, s33, v32
	v_ashrrev_i32_e32 v21, 5, v37
	v_lshl_add_u64 v[18:19], v[18:19], 0, v[30:31]
	v_cndmask_b32_e32 v32, v33, v20, vcc
	v_cmp_gt_i32_e32 vcc, s33, v34
	ds_read_b128 v[10:13], v4
	ds_read_b128 v[2:5], v4 offset:16
	v_cndmask_b32_e32 v34, v33, v21, vcc
	global_load_dwordx4 v[18:21], v[18:19], off
	v_add_u32_e32 v38, s12, v35
	s_add_u32 s8, s10, s4
	v_ashrrev_i32_e32 v36, 5, v38
	v_cmp_gt_i32_e32 vcc, s33, v35
	v_lshlrev_b32_e32 v27, 5, v28
	s_addc_u32 s9, s11, 0
	v_cndmask_b32_e32 v36, v33, v36, vcc
	v_and_b32_e32 v30, 16, v0
	v_ashrrev_i32_e32 v37, 31, v36
	v_lshl_add_u64 v[38:39], s[8:9], 0, v[30:31]
	v_lshl_or_b32 v30, v29, 9, v27
	v_lshl_add_u64 v[40:41], v[36:37], 2, s[6:7]
	v_lshl_add_u64 v[30:31], v[38:39], 0, v[30:31]
	s_mov_b32 s44, 0x7060302
	v_ashrrev_i32_e32 v33, 31, v32
	v_ashrrev_i32_e32 v35, 31, v34
	v_lshl_add_u64 v[32:33], v[32:33], 2, s[6:7]
	v_lshl_add_u64 v[34:35], v[34:35], 2, s[6:7]
	s_load_dword s13, s[0:1], 0x1c
	s_mov_b32 s46, 0xff7fffff
	s_waitcnt vmcnt(4)
	v_cvt_pk_f32_fp8_e32 v[36:37], v6
	v_cvt_pk_f32_fp8_sdwa v[38:39], v6 src0_sel:WORD_1
	v_cvt_pk_f32_fp8_e32 v[44:45], v7
	v_cvt_pk_f32_fp8_sdwa v[6:7], v7 src0_sel:WORD_1
	v_perm_b32 v36, v37, v36, s44
	v_perm_b32 v37, v39, v38, s44
	v_cvt_pk_f32_fp8_e32 v[46:47], v8
	v_cvt_pk_f32_fp8_sdwa v[48:49], v8 src0_sel:WORD_1
	v_perm_b32 v50, v45, v44, s44
	v_perm_b32 v51, v7, v6, s44
	s_waitcnt lgkmcnt(0)
	v_mfma_f32_16x16x16_bf16 v[36:39], v[36:37], v[10:11], 0
	global_load_dword v44, v[32:33], off
	s_nop 0
	global_load_dword v34, v[34:35], off
	s_nop 0
	global_load_dword v35, v[40:41], off
	v_perm_b32 v32, v47, v46, s44
	v_perm_b32 v33, v49, v48, s44
	v_cvt_pk_f32_fp8_e32 v[40:41], v9
	v_cvt_pk_f32_fp8_sdwa v[8:9], v9 src0_sel:WORD_1
	v_mfma_f32_16x16x16_bf16 v[36:39], v[50:51], v[12:13], v[36:39]
	s_waitcnt vmcnt(6)
	v_mad_i64_i32 v[6:7], s[6:7], v52, s45, v[30:31]
	v_perm_b32 v40, v41, v40, s44
	v_perm_b32 v41, v9, v8, s44
	v_mfma_f32_16x16x16_bf16 v[36:39], v[32:33], v[2:3], v[36:39]
	s_waitcnt vmcnt(5)
	v_cvt_pk_f32_fp8_e32 v[8:9], v14
	v_cvt_pk_f32_fp8_sdwa v[32:33], v14 src0_sel:WORD_1
	v_cvt_pk_f32_fp8_sdwa v[50:51], v16 src0_sel:WORD_1
	v_mfma_f32_16x16x16_bf16 v[36:39], v[40:41], v[4:5], v[36:39]
	v_cvt_pk_f32_fp8_e32 v[40:41], v15
	v_perm_b32 v8, v9, v8, s44
	v_perm_b32 v9, v33, v32, s44
	v_cvt_pk_f32_fp8_sdwa v[14:15], v15 src0_sel:WORD_1
	v_perm_b32 v32, v41, v40, s44
	v_cvt_pk_f32_fp8_e32 v[40:41], v16
	v_mfma_f32_16x16x16_bf16 v[46:49], v[8:9], v[10:11], 0
	v_perm_b32 v33, v15, v14, s44
	v_perm_b32 v8, v41, v40, s44
	;; [unrolled: 1-line block ×3, first 2 shown]
	v_cvt_pk_f32_fp8_e32 v[40:41], v17
	v_cvt_pk_f32_fp8_sdwa v[50:51], v17 src0_sel:WORD_1
	v_mfma_f32_16x16x16_bf16 v[14:17], v[32:33], v[12:13], v[46:49]
	s_waitcnt vmcnt(4)
	v_cvt_pk_f32_fp8_sdwa v[52:53], v24 src0_sel:WORD_1
	v_perm_b32 v32, v41, v40, s44
	v_perm_b32 v33, v51, v50, s44
	v_mfma_f32_16x16x16_bf16 v[14:17], v[8:9], v[2:3], v[14:17]
	v_cvt_pk_f32_fp8_e32 v[8:9], v22
	v_cvt_pk_f32_fp8_sdwa v[40:41], v22 src0_sel:WORD_1
	s_load_dword s4, s[40:41], 0x0
	v_mfma_f32_16x16x16_bf16 v[14:17], v[32:33], v[4:5], v[14:17]
	v_cvt_pk_f32_fp8_e32 v[32:33], v23
	v_perm_b32 v8, v9, v8, s44
	v_perm_b32 v9, v41, v40, s44
	v_cvt_pk_f32_fp8_sdwa v[22:23], v23 src0_sel:WORD_1
	v_perm_b32 v32, v33, v32, s44
	v_cvt_pk_f32_fp8_e32 v[40:41], v24
	v_mfma_f32_16x16x16_bf16 v[46:49], v[8:9], v[10:11], 0
	v_perm_b32 v33, v23, v22, s44
	v_perm_b32 v8, v41, v40, s44
	;; [unrolled: 1-line block ×3, first 2 shown]
	v_cvt_pk_f32_fp8_e32 v[40:41], v25
	v_cvt_pk_f32_fp8_sdwa v[24:25], v25 src0_sel:WORD_1
	v_mfma_f32_16x16x16_bf16 v[46:49], v[32:33], v[12:13], v[46:49]
	v_mov_b32_e32 v45, s13
	s_waitcnt lgkmcnt(0)
	v_mul_f32_e32 v50, s4, v45
	v_perm_b32 v32, v41, v40, s44
	v_perm_b32 v33, v25, v24, s44
	v_pk_mul_f32 v[22:23], v[50:51], v[38:39] op_sel_hi:[0,1]
	v_mfma_f32_16x16x16_bf16 v[38:41], v[8:9], v[2:3], v[46:49]
	v_pk_mul_f32 v[8:9], v[50:51], v[36:37] op_sel_hi:[0,1]
	s_waitcnt vmcnt(3)
	v_cvt_pk_f32_fp8_e32 v[24:25], v18
	v_cvt_pk_f32_fp8_sdwa v[36:37], v18 src0_sel:WORD_1
	v_mfma_f32_16x16x16_bf16 v[46:49], v[32:33], v[4:5], v[38:41]
	v_cvt_pk_f32_fp8_e32 v[32:33], v19
	v_perm_b32 v24, v25, v24, s44
	v_perm_b32 v25, v37, v36, s44
	v_cvt_pk_f32_fp8_sdwa v[18:19], v19 src0_sel:WORD_1
	v_perm_b32 v32, v33, v32, s44
	v_cvt_pk_f32_fp8_e32 v[40:41], v20
	v_cvt_pk_f32_fp8_sdwa v[52:53], v20 src0_sel:WORD_1
	v_perm_b32 v33, v19, v18, s44
	v_mfma_f32_16x16x16_bf16 v[36:39], v[24:25], v[10:11], 0
	v_perm_b32 v18, v41, v40, s44
	v_perm_b32 v19, v53, v52, s44
	v_cvt_pk_f32_fp8_e32 v[24:25], v21
	v_cvt_pk_f32_fp8_sdwa v[20:21], v21 src0_sel:WORD_1
	v_mfma_f32_16x16x16_bf16 v[10:13], v[32:33], v[12:13], v[36:39]
	v_pk_mul_f32 v[40:41], v[50:51], v[14:15] op_sel_hi:[0,1]
	v_pk_mul_f32 v[32:33], v[50:51], v[48:49] op_sel_hi:[0,1]
	s_nop 0
	v_pk_mul_f32 v[36:37], v[50:51], v[16:17] op_sel_hi:[0,1]
	v_perm_b32 v16, v25, v24, s44
	v_perm_b32 v17, v21, v20, s44
	v_mfma_f32_16x16x16_bf16 v[10:13], v[18:19], v[2:3], v[10:13]
	v_pk_mul_f32 v[38:39], v[50:51], v[46:47] op_sel_hi:[0,1]
	v_mfma_f32_16x16x16_bf16 v[2:5], v[16:17], v[4:5], v[10:13]
	s_nop 6
	v_pk_mul_f32 v[24:25], v[50:51], v[2:3] op_sel_hi:[0,1]
	v_and_b32_e32 v2, 0xc0, v0
	v_add_u32_e32 v2, s5, v2
	v_lshl_or_b32 v2, v42, 2, v2
	v_pk_mul_f32 v[18:19], v[50:51], v[4:5] op_sel_hi:[0,1]
	v_or_b32_e32 v5, 1, v2
	v_mov_b32_e32 v3, 0xff7fffff
	v_cmp_gt_i32_e64 s[4:5], s33, v2
	v_cmp_gt_i32_e64 s[34:35], s33, v5
	v_or_b32_e32 v10, 3, v2
	v_cndmask_b32_e64 v4, v3, v8, s[4:5]
	v_cndmask_b32_e64 v5, v3, v9, s[34:35]
	v_max3_f32 v4, v4, s46, v5
	v_or_b32_e32 v5, 2, v2
	v_cmp_gt_i32_e64 s[36:37], s33, v5
	v_cmp_gt_i32_e64 s[38:39], s33, v10
	s_nop 0
	v_cndmask_b32_e64 v5, v3, v22, s[36:37]
	v_cndmask_b32_e64 v10, v3, v23, s[38:39]
	v_max3_f32 v4, v4, v5, v10
	v_or_b32_e32 v5, 16, v2
	v_or_b32_e32 v10, 17, v2
	v_cmp_gt_i32_e64 s[24:25], s33, v5
	v_cmp_gt_i32_e64 s[26:27], s33, v10
	s_nop 0
	v_cndmask_b32_e64 v5, v3, v40, s[24:25]
	v_cndmask_b32_e64 v10, v3, v41, s[26:27]
	v_max3_f32 v4, v4, v5, v10
	v_or_b32_e32 v5, 18, v2
	;; [unrolled: 8-line block ×6, first 2 shown]
	v_or_b32_e32 v2, 51, v2
	v_cmp_gt_i32_e32 vcc, s33, v5
	v_cmp_gt_i32_e64 s[6:7], s33, v2
	s_nop 0
	v_cndmask_b32_e32 v5, v3, v18, vcc
	v_cndmask_b32_e64 v2, v3, v19, s[6:7]
	v_max3_f32 v4, v4, v5, v2
	v_mbcnt_lo_u32_b32 v2, -1, 0
	v_mbcnt_hi_u32_b32 v5, -1, v2
	v_and_b32_e32 v2, 64, v5
	v_add_u32_e32 v20, 64, v2
	v_xor_b32_e32 v2, 32, v5
	v_cmp_lt_i32_e64 s[40:41], v2, v20
	s_nop 1
	v_cndmask_b32_e64 v2, v5, v2, s[40:41]
	v_lshlrev_b32_e32 v45, 2, v2
	ds_bpermute_b32 v21, v45, v4
	s_waitcnt vmcnt(2)
	v_mad_i64_i32 v[2:3], s[40:41], v44, s45, v[30:31]
	global_load_dwordx4 v[14:17], v[6:7], off
	global_load_dwordx4 v[10:13], v[2:3], off
	v_xor_b32_e32 v3, 16, v5
	v_cmp_lt_i32_e64 s[40:41], v3, v20
	s_waitcnt lgkmcnt(0)
	v_max_f32_e32 v2, v21, v21
	v_max_f32_e32 v2, v4, v2
	v_cndmask_b32_e64 v3, v5, v3, s[40:41]
	v_lshlrev_b32_e32 v46, 2, v3
	ds_bpermute_b32 v3, v46, v2
	s_waitcnt vmcnt(3)
	v_mad_i64_i32 v[20:21], s[40:41], v34, s45, v[30:31]
	s_waitcnt vmcnt(2)
	v_mad_i64_i32 v[30:31], s[40:41], v35, s45, v[30:31]
	s_waitcnt lgkmcnt(0)
	v_max_f32_e32 v3, v3, v3
	v_max_f32_e32 v44, v2, v3
	v_sub_f32_e32 v2, v8, v44
	v_mul_f32_e32 v2, 0x3fb8aa3b, v2
	v_exp_f32_e32 v34, v2
	v_sub_f32_e32 v2, v9, v44
	v_mul_f32_e32 v2, 0x3fb8aa3b, v2
	v_exp_f32_e32 v35, v2
	global_load_dwordx4 v[6:9], v[20:21], off
	global_load_dwordx4 v[2:5], v[30:31], off
	v_sub_f32_e32 v22, v22, v44
	v_mul_f32_e32 v22, 0x3fb8aa3b, v22
	v_sub_f32_e32 v23, v23, v44
	v_exp_f32_e32 v22, v22
	v_mul_f32_e32 v23, 0x3fb8aa3b, v23
	v_exp_f32_e32 v23, v23
	v_cndmask_b32_e64 v20, 0, v34, s[4:5]
	v_add_f32_e32 v30, 0, v20
	v_cndmask_b32_e64 v21, 0, v35, s[34:35]
	v_add_f32_e32 v30, v30, v21
	;; [unrolled: 2-line block ×3, first 2 shown]
	v_cndmask_b32_e64 v35, 0, v23, s[38:39]
	v_sub_f32_e32 v23, v40, v44
	v_sub_f32_e32 v30, v41, v44
	v_mul_f32_e32 v23, 0x3fb8aa3b, v23
	v_mul_f32_e32 v30, 0x3fb8aa3b, v30
	v_exp_f32_e32 v23, v23
	v_exp_f32_e32 v30, v30
	v_add_f32_e32 v31, v22, v35
	v_sub_f32_e32 v32, v32, v44
	v_cndmask_b32_e64 v22, 0, v23, s[24:25]
	v_cndmask_b32_e64 v23, 0, v30, s[26:27]
	v_sub_f32_e32 v30, v36, v44
	v_mul_f32_e32 v30, 0x3fb8aa3b, v30
	v_exp_f32_e32 v30, v30
	v_sub_f32_e32 v36, v37, v44
	v_add_f32_e32 v31, v31, v22
	v_mul_f32_e32 v36, 0x3fb8aa3b, v36
	v_exp_f32_e32 v37, v36
	v_add_f32_e32 v31, v31, v23
	v_cndmask_b32_e64 v36, 0, v30, s[20:21]
	v_add_f32_e32 v30, v31, v36
	v_sub_f32_e32 v31, v38, v44
	v_mul_f32_e32 v31, 0x3fb8aa3b, v31
	v_sub_f32_e32 v38, v39, v44
	v_exp_f32_e32 v31, v31
	v_mul_f32_e32 v38, 0x3fb8aa3b, v38
	v_exp_f32_e32 v38, v38
	v_mul_f32_e32 v32, 0x3fb8aa3b, v32
	v_sub_f32_e32 v33, v33, v44
	v_exp_f32_e32 v32, v32
	v_mul_f32_e32 v33, 0x3fb8aa3b, v33
	v_sub_f32_e32 v24, v24, v44
	v_cndmask_b32_e64 v37, 0, v37, s[22:23]
	v_exp_f32_e32 v33, v33
	v_mul_f32_e32 v24, 0x3fb8aa3b, v24
	v_sub_f32_e32 v25, v25, v44
	v_add_f32_e32 v39, v30, v37
	v_cndmask_b32_e64 v30, 0, v31, s[16:17]
	v_exp_f32_e32 v24, v24
	v_mul_f32_e32 v25, 0x3fb8aa3b, v25
	v_sub_f32_e32 v18, v18, v44
	v_add_f32_e32 v39, v39, v30
	v_cndmask_b32_e64 v31, 0, v38, s[18:19]
	v_exp_f32_e32 v25, v25
	v_mul_f32_e32 v18, 0x3fb8aa3b, v18
	v_sub_f32_e32 v19, v19, v44
	v_add_f32_e32 v38, v39, v31
	v_cndmask_b32_e64 v32, 0, v32, s[12:13]
	v_exp_f32_e32 v18, v18
	v_mul_f32_e32 v19, 0x3fb8aa3b, v19
	v_add_f32_e32 v38, v38, v32
	v_cndmask_b32_e64 v33, 0, v33, s[14:15]
	v_exp_f32_e32 v19, v19
	v_add_f32_e32 v38, v38, v33
	v_cndmask_b32_e64 v24, 0, v24, s[8:9]
	v_add_f32_e32 v38, v38, v24
	v_cndmask_b32_e64 v25, 0, v25, s[10:11]
	v_add_f32_e32 v38, v38, v25
	v_cndmask_b32_e32 v18, 0, v18, vcc
	v_add_f32_e32 v38, v38, v18
	v_cndmask_b32_e64 v19, 0, v19, s[6:7]
	v_add_f32_e32 v38, v38, v19
	ds_bpermute_b32 v39, v45, v38
	v_cmp_gt_u32_e32 vcc, 16, v43
	s_waitcnt lgkmcnt(0)
	s_barrier
	v_add_f32_e32 v38, v38, v39
	ds_bpermute_b32 v40, v46, v38
	v_lshlrev_b32_e32 v39, 2, v28
	s_and_saveexec_b64 s[4:5], vcc
	s_cbranch_execz .LBB1193_13
; %bb.12:
	s_waitcnt lgkmcnt(0)
	v_add_f32_e32 v38, v38, v40
	v_lshl_or_b32 v40, v29, 6, v39
	ds_write2st64_b32 v40, v44, v38 offset1:1
.LBB1193_13:
	s_or_b64 exec, exec, s[4:5]
	s_load_dword s6, s[0:1], 0x94
	s_waitcnt lgkmcnt(0)
	s_barrier
	ds_read2_b32 v[40:41], v39 offset1:16
	ds_read2_b32 v[44:45], v39 offset0:32 offset1:48
	ds_read2_b32 v[46:47], v39 offset0:64 offset1:80
	s_movk_i32 s8, 0x7fff
	s_mul_i32 s7, s29, 6
	s_waitcnt lgkmcnt(2)
	v_max3_f32 v38, v40, s46, v41
	s_waitcnt lgkmcnt(1)
	v_max3_f32 v38, v38, v44, v45
	v_sub_f32_e32 v40, v40, v38
	v_mul_f32_e32 v40, 0x3fb8aa3b, v40
	v_exp_f32_e32 v43, v40
	v_sub_f32_e32 v40, v41, v38
	v_mul_f32_e32 v40, 0x3fb8aa3b, v40
	v_exp_f32_e32 v48, v40
	;; [unrolled: 3-line block ×3, first 2 shown]
	ds_read2_b32 v[40:41], v39 offset0:96 offset1:112
	v_sub_f32_e32 v39, v45, v38
	v_mul_f32_e32 v39, 0x3fb8aa3b, v39
	v_exp_f32_e32 v45, v39
	s_waitcnt lgkmcnt(1)
	v_fma_f32 v39, v43, v46, 0
	v_fmac_f32_e32 v39, v48, v47
	s_waitcnt lgkmcnt(0)
	v_fmac_f32_e32 v39, v44, v40
	v_fmac_f32_e32 v39, v45, v41
	v_add_f32_e32 v40, 0x358637bd, v39
	v_div_scale_f32 v41, s[4:5], v40, v40, 1.0
	v_rcp_f32_e32 v46, v41
	s_barrier
	v_fma_f32 v47, -v41, v46, 1.0
	v_fmac_f32_e32 v46, v47, v46
	v_div_scale_f32 v47, vcc, 1.0, v40, 1.0
	v_mul_f32_e32 v49, v47, v46
	v_fma_f32 v50, -v41, v49, v47
	v_fmac_f32_e32 v49, v50, v46
	v_fma_f32 v41, -v41, v49, v47
	v_div_fmas_f32 v41, v41, v46, v49
	v_cmp_eq_u32_e32 vcc, 1, v29
	v_div_fixup_f32 v40, v41, v40, 1.0
	s_nop 0
	v_cndmask_b32_e32 v41, v43, v48, vcc
	v_cmp_eq_u32_e32 vcc, 2, v29
	s_nop 1
	v_cndmask_b32_e32 v41, v41, v44, vcc
	v_cmp_eq_u32_e32 vcc, 3, v29
	s_nop 1
	v_cndmask_b32_e32 v41, v41, v45, vcc
	v_mul_f32_e32 v40, v41, v40
	v_pk_mul_f32 v[20:21], v[40:41], v[20:21] op_sel_hi:[0,1]
	v_pk_mul_f32 v[34:35], v[40:41], v[34:35] op_sel_hi:[0,1]
	v_bfe_u32 v41, v21, 16, 1
	v_bfe_u32 v43, v20, 16, 1
	v_add3_u32 v20, v20, v43, s8
	v_add3_u32 v21, v21, v41, s8
	v_perm_b32 v44, v21, v20, s44
	v_bfe_u32 v20, v35, 16, 1
	v_bfe_u32 v21, v34, 16, 1
	v_add3_u32 v21, v34, v21, s8
	v_add3_u32 v20, v35, v20, s8
	v_perm_b32 v45, v20, v21, s44
	v_lshlrev_b32_e32 v20, 3, v42
	v_lshlrev_b32_e32 v21, 11, v29
	v_pk_mul_f32 v[22:23], v[40:41], v[22:23] op_sel_hi:[0,1]
	v_or3_b32 v20, v21, v27, v20
	v_bfe_u32 v21, v23, 16, 1
	v_bfe_u32 v29, v22, 16, 1
	v_pk_mul_f32 v[34:35], v[40:41], v[36:37] op_sel_hi:[0,1]
	v_add3_u32 v22, v22, v29, s8
	v_add3_u32 v21, v23, v21, s8
	v_perm_b32 v22, v21, v22, s44
	v_bfe_u32 v21, v35, 16, 1
	v_bfe_u32 v23, v34, 16, 1
	v_add3_u32 v23, v34, v23, s8
	v_add3_u32 v21, v35, v21, s8
	v_pk_mul_f32 v[30:31], v[40:41], v[30:31] op_sel_hi:[0,1]
	v_perm_b32 v23, v21, v23, s44
	v_bfe_u32 v21, v31, 16, 1
	v_bfe_u32 v29, v30, 16, 1
	ds_write2st64_b64 v20, v[44:45], v[22:23] offset1:1
	v_pk_mul_f32 v[22:23], v[40:41], v[32:33] op_sel_hi:[0,1]
	v_add3_u32 v29, v30, v29, s8
	v_add3_u32 v21, v31, v21, s8
	v_perm_b32 v30, v21, v29, s44
	v_bfe_u32 v21, v23, 16, 1
	v_bfe_u32 v29, v22, 16, 1
	v_add3_u32 v22, v22, v29, s8
	v_add3_u32 v21, v23, v21, s8
	v_perm_b32 v31, v21, v22, s44
	v_pk_mul_f32 v[22:23], v[40:41], v[24:25] op_sel_hi:[0,1]
	v_bfe_u32 v21, v23, 16, 1
	v_bfe_u32 v24, v22, 16, 1
	v_pk_mul_f32 v[18:19], v[40:41], v[18:19] op_sel_hi:[0,1]
	v_add3_u32 v22, v22, v24, s8
	v_add3_u32 v21, v23, v21, s8
	v_perm_b32 v22, v21, v22, s44
	v_bfe_u32 v21, v19, 16, 1
	v_bfe_u32 v23, v18, 16, 1
	v_add3_u32 v18, v18, v23, s8
	v_add3_u32 v19, v19, v21, s8
	v_perm_b32 v23, v19, v18, s44
	v_cmp_gt_u32_e32 vcc, 6, v0
	ds_write2st64_b64 v20, v[30:31], v[22:23] offset0:2 offset1:3
	s_and_saveexec_b64 s[4:5], vcc
	s_cbranch_execz .LBB1193_15
; %bb.14:
	s_mov_b32 s49, 0
	v_mov_b32_e32 v29, 0
	v_lshl_add_u64 v[18:19], s[48:49], 0, v[28:29]
	v_mov_b32_e32 v21, s7
	v_mad_u64_u32 v[18:19], s[10:11], s2, v21, v[18:19]
	s_mul_i32 s3, s3, s7
	v_mov_b32_e32 v28, s28
	s_load_dwordx4 s[12:15], s[0:1], 0x58
	v_add_u32_e32 v21, s3, v19
	v_mad_u64_u32 v[18:19], s[10:11], v18, s6, v[28:29]
	v_mov_b32_e32 v22, v19
	v_mad_u64_u32 v[22:23], s[10:11], v21, s6, v[22:23]
	v_mov_b32_e32 v19, v22
	v_lshlrev_b64 v[18:19], 2, v[18:19]
	s_waitcnt lgkmcnt(0)
	v_lshl_add_u64 v[22:23], s[14:15], 0, v[18:19]
	v_lshl_add_u64 v[18:19], s[12:13], 0, v[18:19]
	global_store_dword v[22:23], v38, off
	global_store_dword v[18:19], v39, off
.LBB1193_15:
	s_or_b64 exec, exec, s[4:5]
	s_waitcnt vmcnt(3)
	v_cvt_pk_f32_fp8_e32 v[18:19], v14
	v_cvt_pk_f32_fp8_sdwa v[22:23], v14 src0_sel:WORD_1
	s_mov_b32 s4, 0x7060302
	v_lshl_or_b32 v14, v42, 9, v27
	s_waitcnt lgkmcnt(0)
	s_barrier
	v_perm_b32 v18, v19, v18, s4
	v_perm_b32 v19, v23, v22, s4
	v_cvt_pk_f32_fp8_e32 v[28:29], v15
	ds_read_b128 v[22:25], v14
	v_cvt_pk_f32_fp8_sdwa v[36:37], v15 src0_sel:WORD_1
	s_load_dword s10, s[42:43], 0x0
	v_perm_b32 v38, v29, v28, s4
	ds_read_b128 v[28:31], v14 offset:16
	v_perm_b32 v39, v37, v36, s4
	s_waitcnt lgkmcnt(0)
	v_mfma_f32_16x16x16_bf16 v[32:35], v[18:19], v[22:23], 0
	v_cvt_pk_f32_fp8_e32 v[18:19], v16
	v_cvt_pk_f32_fp8_sdwa v[36:37], v16 src0_sel:WORD_1
	v_cmp_gt_u32_e32 vcc, 64, v0
	v_mfma_f32_16x16x16_bf16 v[22:25], v[38:39], v[24:25], v[32:35]
	v_perm_b32 v18, v19, v18, s4
	v_perm_b32 v19, v37, v36, s4
	s_waitcnt vmcnt(2)
	v_cvt_pk_f32_fp8_sdwa v[36:37], v10 src0_sel:WORD_1
	v_cvt_pk_f32_fp8_e32 v[32:33], v17
	v_cvt_pk_f32_fp8_sdwa v[16:17], v17 src0_sel:WORD_1
	v_cvt_pk_f32_fp8_e32 v[34:35], v10
	s_mov_b32 s3, 0
	v_perm_b32 v32, v33, v32, s4
	v_perm_b32 v33, v17, v16, s4
	v_mfma_f32_16x16x16_bf16 v[16:19], v[18:19], v[28:29], v[22:25]
	v_perm_b32 v34, v35, v34, s4
	v_perm_b32 v35, v37, v36, s4
	v_cvt_pk_f32_fp8_e32 v[28:29], v11
	ds_read_b128 v[22:25], v14 offset:2048
	v_cvt_pk_f32_fp8_sdwa v[10:11], v11 src0_sel:WORD_1
	v_mfma_f32_16x16x16_bf16 v[16:19], v[32:33], v[30:31], v[16:19]
	v_perm_b32 v32, v29, v28, s4
	ds_read_b128 v[28:31], v14 offset:2064
	v_perm_b32 v33, v11, v10, s4
	s_waitcnt lgkmcnt(1)
	v_mfma_f32_16x16x16_bf16 v[16:19], v[34:35], v[22:23], v[16:19]
	v_cvt_pk_f32_fp8_e32 v[10:11], v12
	v_cvt_pk_f32_fp8_sdwa v[22:23], v12 src0_sel:WORD_1
	v_mov_b32_e32 v27, 0
	v_mfma_f32_16x16x16_bf16 v[16:19], v[32:33], v[24:25], v[16:19]
	v_cvt_pk_f32_fp8_e32 v[24:25], v13
	v_perm_b32 v10, v11, v10, s4
	v_perm_b32 v11, v23, v22, s4
	v_cvt_pk_f32_fp8_sdwa v[12:13], v13 src0_sel:WORD_1
	v_perm_b32 v22, v25, v24, s4
	s_waitcnt vmcnt(1)
	v_cvt_pk_f32_fp8_e32 v[24:25], v6
	v_cvt_pk_f32_fp8_sdwa v[32:33], v6 src0_sel:WORD_1
	v_perm_b32 v23, v13, v12, s4
	s_waitcnt lgkmcnt(0)
	v_mfma_f32_16x16x16_bf16 v[10:13], v[10:11], v[28:29], v[16:19]
	v_perm_b32 v28, v25, v24, s4
	v_perm_b32 v29, v33, v32, s4
	v_cvt_pk_f32_fp8_e32 v[24:25], v7
	ds_read_b128 v[16:19], v14 offset:4096
	v_cvt_pk_f32_fp8_sdwa v[6:7], v7 src0_sel:WORD_1
	v_mfma_f32_16x16x16_bf16 v[10:13], v[22:23], v[30:31], v[10:13]
	v_perm_b32 v30, v25, v24, s4
	ds_read_b128 v[22:25], v14 offset:4112
	v_perm_b32 v31, v7, v6, s4
	s_waitcnt lgkmcnt(1)
	v_mfma_f32_16x16x16_bf16 v[10:13], v[28:29], v[16:17], v[10:13]
	v_cvt_pk_f32_fp8_e32 v[6:7], v8
	v_cvt_pk_f32_fp8_sdwa v[16:17], v8 src0_sel:WORD_1
	s_waitcnt vmcnt(0)
	v_cvt_pk_f32_fp8_sdwa v[28:29], v2 src0_sel:WORD_1
	v_mfma_f32_16x16x16_bf16 v[10:13], v[30:31], v[18:19], v[10:13]
	v_cvt_pk_f32_fp8_e32 v[18:19], v9
	v_perm_b32 v6, v7, v6, s4
	v_perm_b32 v7, v17, v16, s4
	v_cvt_pk_f32_fp8_sdwa v[8:9], v9 src0_sel:WORD_1
	v_perm_b32 v16, v19, v18, s4
	v_cvt_pk_f32_fp8_e32 v[18:19], v2
	v_perm_b32 v17, v9, v8, s4
	s_waitcnt lgkmcnt(0)
	v_mfma_f32_16x16x16_bf16 v[6:9], v[6:7], v[22:23], v[10:13]
	v_perm_b32 v18, v19, v18, s4
	v_perm_b32 v19, v29, v28, s4
	v_cvt_pk_f32_fp8_e32 v[22:23], v3
	ds_read_b128 v[10:13], v14 offset:6144
	v_cvt_pk_f32_fp8_sdwa v[2:3], v3 src0_sel:WORD_1
	v_mfma_f32_16x16x16_bf16 v[6:9], v[16:17], v[24:25], v[6:9]
	v_perm_b32 v22, v23, v22, s4
	ds_read_b128 v[14:17], v14 offset:6160
	v_perm_b32 v23, v3, v2, s4
	s_waitcnt lgkmcnt(1)
	v_mfma_f32_16x16x16_bf16 v[6:9], v[18:19], v[10:11], v[6:9]
	v_cvt_pk_f32_fp8_e32 v[2:3], v4
	v_cvt_pk_f32_fp8_sdwa v[10:11], v4 src0_sel:WORD_1
	s_waitcnt lgkmcnt(0)
	v_mfma_f32_16x16x16_bf16 v[6:9], v[22:23], v[12:13], v[6:9]
	v_perm_b32 v2, v3, v2, s4
	v_perm_b32 v3, v11, v10, s4
	v_cvt_pk_f32_fp8_e32 v[10:11], v5
	v_cvt_pk_f32_fp8_sdwa v[4:5], v5 src0_sel:WORD_1
	s_barrier
	v_perm_b32 v10, v11, v10, s4
	v_perm_b32 v11, v5, v4, s4
	v_mfma_f32_16x16x16_bf16 v[2:5], v[2:3], v[14:15], v[6:9]
	s_nop 0
	v_mfma_f32_16x16x16_bf16 v[2:5], v[10:11], v[16:17], v[2:5]
	s_nop 6
	v_pk_mul_f32 v[2:3], v[2:3], s[10:11] op_sel_hi:[1,0]
	v_pk_mul_f32 v[4:5], v[4:5], s[10:11] op_sel_hi:[1,0]
	v_bfe_u32 v6, v3, 16, 1
	v_bfe_u32 v7, v2, 16, 1
	v_add3_u32 v2, v2, v7, s8
	v_add3_u32 v3, v3, v6, s8
	v_perm_b32 v2, v3, v2, s4
	v_bfe_u32 v3, v5, 16, 1
	v_bfe_u32 v6, v4, 16, 1
	v_add3_u32 v4, v4, v6, s8
	v_add3_u32 v3, v5, v3, s8
	v_perm_b32 v3, v3, v4, s4
	s_and_b64 s[4:5], vcc, s[30:31]
	ds_write_b64 v20, v[2:3]
	s_waitcnt lgkmcnt(0)
	s_barrier
	s_and_saveexec_b64 s[8:9], s[4:5]
	s_cbranch_execz .LBB1193_18
; %bb.16:
	s_load_dwordx2 s[4:5], s[0:1], 0x68
	s_lshl_b32 s0, s6, 6
	s_mul_i32 s1, s7, s2
	s_mul_hi_u32 s7, s1, s0
	s_mul_i32 s6, s1, s0
	v_lshlrev_b32_e32 v0, 10, v0
	s_lshl_b64 s[6:7], s[6:7], 1
	v_and_b32_e32 v0, 0x1800, v0
	v_lshlrev_b32_e32 v3, 5, v42
	v_and_b32_e32 v1, 16, v1
	s_waitcnt lgkmcnt(0)
	s_add_u32 s1, s4, s6
	v_or3_b32 v3, v0, v3, v1
	s_addc_u32 s4, s5, s7
	s_lshl_b32 s2, s28, 6
	s_lshl_b64 s[2:3], s[2:3], 1
	ds_read_b128 v[4:7], v3
	s_add_u32 s2, s1, s2
	s_addc_u32 s3, s4, s3
	v_add_u32_e32 v8, s48, v42
	v_or_b32_e32 v2, 4, v42
	v_lshl_add_u64 v[0:1], s[2:3], 0, v[26:27]
	v_mad_u64_u32 v[8:9], s[2:3], v8, s0, 0
	v_lshl_add_u64 v[8:9], v[8:9], 1, v[0:1]
	v_cmp_gt_u32_e32 vcc, 6, v2
	s_waitcnt lgkmcnt(0)
	global_store_dwordx4 v[8:9], v[4:7], off
	s_and_b64 exec, exec, vcc
	s_cbranch_execz .LBB1193_18
; %bb.17:
	ds_read_b128 v[4:7], v3 offset:128
	v_add_u32_e32 v2, s48, v2
	v_mad_u64_u32 v[2:3], s[0:1], v2, s0, 0
	v_lshl_add_u64 v[0:1], v[2:3], 1, v[0:1]
	s_waitcnt lgkmcnt(0)
	global_store_dwordx4 v[0:1], v[4:7], off
.LBB1193_18:
	s_endpgm
	.section	.rodata,"a",@progbits
	.p2align	6, 0x0
	.amdhsa_kernel _Z39paged_attention_ll4mi_QKV_mfma16_kernelI14__hip_bfloat16hLN4vllm18Fp8KVCacheDataTypeE1EhLi32ELi64ELi256ELb0ELi6EEvPKT_PKT0_S8_ifPKiSA_SA_iPKfiiiPfSD_PS3_PT2_iSC_SC_
		.amdhsa_group_segment_fixed_size 8192
		.amdhsa_private_segment_fixed_size 0
		.amdhsa_kernarg_size 400
		.amdhsa_user_sgpr_count 2
		.amdhsa_user_sgpr_dispatch_ptr 0
		.amdhsa_user_sgpr_queue_ptr 0
		.amdhsa_user_sgpr_kernarg_segment_ptr 1
		.amdhsa_user_sgpr_dispatch_id 0
		.amdhsa_user_sgpr_kernarg_preload_length 0
		.amdhsa_user_sgpr_kernarg_preload_offset 0
		.amdhsa_user_sgpr_private_segment_size 0
		.amdhsa_uses_dynamic_stack 0
		.amdhsa_enable_private_segment 0
		.amdhsa_system_sgpr_workgroup_id_x 1
		.amdhsa_system_sgpr_workgroup_id_y 1
		.amdhsa_system_sgpr_workgroup_id_z 1
		.amdhsa_system_sgpr_workgroup_info 0
		.amdhsa_system_vgpr_workitem_id 0
		.amdhsa_next_free_vgpr 54
		.amdhsa_next_free_sgpr 50
		.amdhsa_accum_offset 56
		.amdhsa_reserve_vcc 1
		.amdhsa_float_round_mode_32 0
		.amdhsa_float_round_mode_16_64 0
		.amdhsa_float_denorm_mode_32 3
		.amdhsa_float_denorm_mode_16_64 3
		.amdhsa_dx10_clamp 1
		.amdhsa_ieee_mode 1
		.amdhsa_fp16_overflow 0
		.amdhsa_tg_split 0
		.amdhsa_exception_fp_ieee_invalid_op 0
		.amdhsa_exception_fp_denorm_src 0
		.amdhsa_exception_fp_ieee_div_zero 0
		.amdhsa_exception_fp_ieee_overflow 0
		.amdhsa_exception_fp_ieee_underflow 0
		.amdhsa_exception_fp_ieee_inexact 0
		.amdhsa_exception_int_div_zero 0
	.end_amdhsa_kernel
	.section	.text._Z39paged_attention_ll4mi_QKV_mfma16_kernelI14__hip_bfloat16hLN4vllm18Fp8KVCacheDataTypeE1EhLi32ELi64ELi256ELb0ELi6EEvPKT_PKT0_S8_ifPKiSA_SA_iPKfiiiPfSD_PS3_PT2_iSC_SC_,"axG",@progbits,_Z39paged_attention_ll4mi_QKV_mfma16_kernelI14__hip_bfloat16hLN4vllm18Fp8KVCacheDataTypeE1EhLi32ELi64ELi256ELb0ELi6EEvPKT_PKT0_S8_ifPKiSA_SA_iPKfiiiPfSD_PS3_PT2_iSC_SC_,comdat
.Lfunc_end1193:
	.size	_Z39paged_attention_ll4mi_QKV_mfma16_kernelI14__hip_bfloat16hLN4vllm18Fp8KVCacheDataTypeE1EhLi32ELi64ELi256ELb0ELi6EEvPKT_PKT0_S8_ifPKiSA_SA_iPKfiiiPfSD_PS3_PT2_iSC_SC_, .Lfunc_end1193-_Z39paged_attention_ll4mi_QKV_mfma16_kernelI14__hip_bfloat16hLN4vllm18Fp8KVCacheDataTypeE1EhLi32ELi64ELi256ELb0ELi6EEvPKT_PKT0_S8_ifPKiSA_SA_iPKfiiiPfSD_PS3_PT2_iSC_SC_
                                        ; -- End function
	.section	.AMDGPU.csdata,"",@progbits
; Kernel info:
; codeLenInByte = 4928
; NumSgprs: 56
; NumVgprs: 54
; NumAgprs: 0
; TotalNumVgprs: 54
; ScratchSize: 0
; MemoryBound: 0
; FloatMode: 240
; IeeeMode: 1
; LDSByteSize: 8192 bytes/workgroup (compile time only)
; SGPRBlocks: 6
; VGPRBlocks: 6
; NumSGPRsForWavesPerEU: 56
; NumVGPRsForWavesPerEU: 54
; AccumOffset: 56
; Occupancy: 8
; WaveLimiterHint : 1
; COMPUTE_PGM_RSRC2:SCRATCH_EN: 0
; COMPUTE_PGM_RSRC2:USER_SGPR: 2
; COMPUTE_PGM_RSRC2:TRAP_HANDLER: 0
; COMPUTE_PGM_RSRC2:TGID_X_EN: 1
; COMPUTE_PGM_RSRC2:TGID_Y_EN: 1
; COMPUTE_PGM_RSRC2:TGID_Z_EN: 1
; COMPUTE_PGM_RSRC2:TIDIG_COMP_CNT: 0
; COMPUTE_PGM_RSRC3_GFX90A:ACCUM_OFFSET: 13
; COMPUTE_PGM_RSRC3_GFX90A:TG_SPLIT: 0
	.section	.text._Z39paged_attention_ll4mi_QKV_mfma16_kernelI14__hip_bfloat16hLN4vllm18Fp8KVCacheDataTypeE1EhLi32ELi64ELi256ELb0ELi7EEvPKT_PKT0_S8_ifPKiSA_SA_iPKfiiiPfSD_PS3_PT2_iSC_SC_,"axG",@progbits,_Z39paged_attention_ll4mi_QKV_mfma16_kernelI14__hip_bfloat16hLN4vllm18Fp8KVCacheDataTypeE1EhLi32ELi64ELi256ELb0ELi7EEvPKT_PKT0_S8_ifPKiSA_SA_iPKfiiiPfSD_PS3_PT2_iSC_SC_,comdat
	.protected	_Z39paged_attention_ll4mi_QKV_mfma16_kernelI14__hip_bfloat16hLN4vllm18Fp8KVCacheDataTypeE1EhLi32ELi64ELi256ELb0ELi7EEvPKT_PKT0_S8_ifPKiSA_SA_iPKfiiiPfSD_PS3_PT2_iSC_SC_ ; -- Begin function _Z39paged_attention_ll4mi_QKV_mfma16_kernelI14__hip_bfloat16hLN4vllm18Fp8KVCacheDataTypeE1EhLi32ELi64ELi256ELb0ELi7EEvPKT_PKT0_S8_ifPKiSA_SA_iPKfiiiPfSD_PS3_PT2_iSC_SC_
	.globl	_Z39paged_attention_ll4mi_QKV_mfma16_kernelI14__hip_bfloat16hLN4vllm18Fp8KVCacheDataTypeE1EhLi32ELi64ELi256ELb0ELi7EEvPKT_PKT0_S8_ifPKiSA_SA_iPKfiiiPfSD_PS3_PT2_iSC_SC_
	.p2align	8
	.type	_Z39paged_attention_ll4mi_QKV_mfma16_kernelI14__hip_bfloat16hLN4vllm18Fp8KVCacheDataTypeE1EhLi32ELi64ELi256ELb0ELi7EEvPKT_PKT0_S8_ifPKiSA_SA_iPKfiiiPfSD_PS3_PT2_iSC_SC_,@function
_Z39paged_attention_ll4mi_QKV_mfma16_kernelI14__hip_bfloat16hLN4vllm18Fp8KVCacheDataTypeE1EhLi32ELi64ELi256ELb0ELi7EEvPKT_PKT0_S8_ifPKiSA_SA_iPKfiiiPfSD_PS3_PT2_iSC_SC_: ; @_Z39paged_attention_ll4mi_QKV_mfma16_kernelI14__hip_bfloat16hLN4vllm18Fp8KVCacheDataTypeE1EhLi32ELi64ELi256ELb0ELi7EEvPKT_PKT0_S8_ifPKiSA_SA_iPKfiiiPfSD_PS3_PT2_iSC_SC_
; %bb.0:
	s_load_dwordx2 s[12:13], s[0:1], 0x30
	s_mov_b32 s28, s3
	s_mov_b64 s[6:7], 0
	s_waitcnt lgkmcnt(0)
	s_cmp_lg_u64 s[12:13], 0
	s_cselect_b64 s[14:15], -1, 0
	s_and_b64 vcc, exec, s[14:15]
	s_cbranch_vccz .LBB1194_7
; %bb.1:
	s_add_i32 s8, s2, 1
	s_mov_b32 s9, 0
	s_lshl_b64 s[10:11], s[8:9], 2
	s_add_u32 s10, s12, s10
	s_mov_b32 s3, s9
	s_addc_u32 s11, s13, s11
	s_lshl_b64 s[8:9], s[2:3], 2
	s_add_u32 s8, s12, s8
	s_addc_u32 s9, s13, s9
	s_load_dword s5, s[10:11], 0x0
	s_load_dword s16, s[8:9], 0x0
	s_waitcnt lgkmcnt(0)
	s_sub_i32 s5, s5, s16
	s_cmp_eq_u32 s5, 1
	s_cselect_b64 s[8:9], -1, 0
	s_andn2_b64 vcc, exec, s[6:7]
	s_cbranch_vccnz .LBB1194_3
.LBB1194_2:
	s_mov_b32 s3, 0
	s_mov_b64 s[8:9], -1
.LBB1194_3:
	s_andn2_b64 vcc, exec, s[8:9]
	s_cbranch_vccnz .LBB1194_18
; %bb.4:
	s_load_dwordx2 s[6:7], s[0:1], 0x28
	s_lshl_b64 s[16:17], s[2:3], 2
	s_waitcnt lgkmcnt(0)
	s_add_u32 s6, s6, s16
	s_addc_u32 s7, s7, s17
	s_load_dword s33, s[6:7], 0x0
	s_lshl_b32 s5, s28, 8
	s_waitcnt lgkmcnt(0)
	s_cmp_ge_i32 s5, s33
	s_cbranch_scc1 .LBB1194_18
; %bb.5:
	s_add_i32 s9, s33, 31
	s_load_dwordx2 s[6:7], s[0:1], 0x20
	s_load_dword s8, s[0:1], 0x38
	s_ashr_i32 s10, s9, 31
	v_and_b32_e32 v1, 0xcf, v0
	s_lshr_b32 s10, s10, 27
	v_add_u32_e32 v1, s5, v1
	s_add_i32 s9, s9, s10
	v_ashrrev_i32_e32 v2, 31, v1
	s_ashr_i32 s18, s9, 5
	v_lshrrev_b32_e32 v10, 27, v2
	s_add_i32 s18, s18, -1
	v_add_u32_e32 v2, v1, v10
	v_or_b32_e32 v4, 16, v1
	s_waitcnt lgkmcnt(0)
	s_mul_i32 s8, s2, s8
	s_mov_b32 s9, 0
	v_ashrrev_i32_e32 v2, 5, v2
	v_mov_b32_e32 v11, s18
	v_cmp_gt_i32_e32 vcc, s33, v1
	v_add_u32_e32 v5, v4, v10
	s_lshl_b64 s[8:9], s[8:9], 2
	v_cndmask_b32_e32 v2, v11, v2, vcc
	v_ashrrev_i32_e32 v5, 5, v5
	v_cmp_gt_i32_e32 vcc, s33, v4
	s_add_u32 s6, s6, s8
	s_addc_u32 s7, s7, s9
	v_cndmask_b32_e32 v4, v11, v5, vcc
	v_ashrrev_i32_e32 v5, 31, v4
	v_lshl_add_u64 v[6:7], v[4:5], 2, s[6:7]
	v_or_b32_e32 v4, 32, v1
	v_add_u32_e32 v5, v4, v10
	v_ashrrev_i32_e32 v5, 5, v5
	v_cmp_gt_i32_e32 vcc, s33, v4
	v_or_b32_e32 v1, 48, v1
	v_ashrrev_i32_e32 v3, 31, v2
	v_cndmask_b32_e32 v4, v11, v5, vcc
	v_ashrrev_i32_e32 v5, 31, v4
	v_lshl_add_u64 v[8:9], v[4:5], 2, s[6:7]
	v_add_u32_e32 v4, v1, v10
	v_ashrrev_i32_e32 v4, 5, v4
	v_cmp_gt_i32_e32 vcc, s33, v1
	v_lshl_add_u64 v[2:3], v[2:3], 2, s[6:7]
	s_load_dwordx4 s[8:11], s[0:1], 0x8
	v_cndmask_b32_e32 v4, v11, v4, vcc
	v_ashrrev_i32_e32 v5, 31, v4
	v_lshl_add_u64 v[14:15], v[4:5], 2, s[6:7]
	global_load_dword v4, v[2:3], off
	global_load_dword v12, v[6:7], off
	global_load_dword v11, v[8:9], off
	global_load_dword v10, v[14:15], off
	s_andn2_b64 vcc, exec, s[14:15]
	s_cbranch_vccnz .LBB1194_8
; %bb.6:
	s_add_u32 s12, s12, s16
	s_addc_u32 s13, s13, s17
	s_load_dword s14, s[12:13], 0x0
	s_branch .LBB1194_9
.LBB1194_7:
	s_mov_b64 s[8:9], 0
	s_branch .LBB1194_2
.LBB1194_8:
	s_mov_b32 s14, s2
.LBB1194_9:
	s_load_dwordx4 s[44:47], s[0:1], 0x48
	v_lshrrev_b32_e32 v29, 6, v0
	v_bfe_u32 v42, v0, 4, 2
	v_lshl_or_b32 v2, v29, 2, v42
	v_and_b32_e32 v28, 15, v0
	v_lshlrev_b32_e32 v1, 3, v28
	v_cmp_gt_u32_e32 vcc, 7, v2
	v_cmp_gt_u32_e64 s[30:31], 8, v28
	v_and_b32_e32 v43, 63, v0
	s_mul_i32 s48, s4, 7
	s_and_b64 s[16:17], s[30:31], vcc
	v_lshlrev_b32_e32 v26, 1, v1
	v_lshlrev_b32_e32 v1, 4, v0
	s_and_saveexec_b64 s[12:13], s[16:17]
	s_cbranch_execz .LBB1194_11
; %bb.10:
	s_load_dwordx2 s[16:17], s[0:1], 0x0
	s_waitcnt lgkmcnt(0)
	s_ashr_i32 s15, s44, 31
	s_mul_hi_u32 s19, s14, s44
	s_mul_i32 s15, s14, s15
	s_add_i32 s15, s19, s15
	s_mul_i32 s14, s14, s44
	s_lshl_b64 s[14:15], s[14:15], 1
	s_add_u32 s14, s16, s14
	v_add_lshl_u32 v6, v2, s48, 6
	s_addc_u32 s15, s17, s15
	v_ashrrev_i32_e32 v7, 31, v6
	v_lshl_add_u64 v[6:7], v[6:7], 1, s[14:15]
	v_mov_b32_e32 v27, 0
	v_lshl_add_u64 v[6:7], v[6:7], 0, v[26:27]
	global_load_dwordx4 v[6:9], v[6:7], off
	v_lshlrev_b32_e32 v5, 8, v28
	v_lshlrev_b32_e32 v2, 5, v2
	v_and_b32_e32 v3, 16, v1
	v_and_b32_e32 v5, 0xe00, v5
	v_or3_b32 v2, v5, v2, v3
	s_waitcnt vmcnt(0)
	ds_write_b128 v2, v[6:9]
.LBB1194_11:
	s_or_b64 exec, exec, s[12:13]
	s_waitcnt lgkmcnt(0)
	s_mul_i32 s4, s4, s46
	s_add_u32 s8, s8, s4
	s_addc_u32 s9, s9, 0
	v_mov_b32_e32 v31, 0
	v_mov_b64_e32 v[2:3], s[8:9]
	v_and_b32_e32 v14, 48, v0
	s_waitcnt vmcnt(3)
	v_mad_i64_i32 v[6:7], s[8:9], v4, s45, v[2:3]
	v_lshlrev_b32_e32 v4, 4, v28
	v_mov_b32_e32 v5, v31
	v_lshlrev_b32_e32 v30, 5, v14
	v_lshl_add_u64 v[6:7], v[6:7], 0, v[4:5]
	v_lshl_add_u64 v[6:7], v[6:7], 0, v[30:31]
	s_load_dword s29, s[0:1], 0x98
	s_load_dwordx4 s[40:43], s[0:1], 0x80
	s_waitcnt lgkmcnt(0)
	s_barrier
	global_load_dwordx4 v[6:9], v[6:7], off
	s_waitcnt vmcnt(3)
	v_mad_i64_i32 v[12:13], s[8:9], v12, s45, v[2:3]
	s_ashr_i32 s8, s5, 31
	v_or_b32_e32 v20, s5, v14
	s_lshr_b32 s12, s8, 27
	v_add_u32_e32 v14, s12, v20
	v_ashrrev_i32_e32 v14, 5, v14
	v_mov_b32_e32 v33, s18
	v_cmp_gt_i32_e32 vcc, s33, v20
	v_or_b32_e32 v18, 0x100, v4
	v_mov_b32_e32 v19, v31
	v_cndmask_b32_e32 v14, v33, v14, vcc
	v_ashrrev_i32_e32 v15, 31, v14
	v_lshl_add_u64 v[12:13], v[12:13], 0, v[18:19]
	v_lshl_add_u64 v[14:15], v[14:15], 2, s[6:7]
	;; [unrolled: 1-line block ×3, first 2 shown]
	global_load_dword v52, v[14:15], off
	v_mov_b32_e32 v21, 5
	global_load_dwordx4 v[14:17], v[12:13], off
	v_mul_lo_u16_e32 v12, 37, v28
	v_mov_b32_e32 v13, 7
	v_mul_lo_u16_sdwa v12, v12, v13 dst_sel:DWORD dst_unused:UNUSED_PAD src0_sel:BYTE_1 src1_sel:DWORD
	v_sub_u16_e32 v12, v28, v12
	v_or_b32_e32 v32, 64, v20
	v_or_b32_e32 v34, 0x80, v20
	;; [unrolled: 1-line block ×3, first 2 shown]
	v_lshlrev_b32_sdwa v20, v21, v12 dst_sel:DWORD dst_unused:UNUSED_PAD src0_sel:DWORD src1_sel:BYTE_0
	s_waitcnt vmcnt(4)
	v_mad_i64_i32 v[12:13], s[8:9], v11, s45, v[2:3]
	v_lshl_add_u64 v[4:5], v[12:13], 0, v[4:5]
	v_lshl_add_u64 v[4:5], v[4:5], 0, v[30:31]
	global_load_dwordx4 v[22:25], v[4:5], off
	v_lshl_add_u32 v4, v42, 9, v20
	s_waitcnt vmcnt(4)
	v_mad_i64_i32 v[20:21], s[8:9], v10, s45, v[2:3]
	v_add_u32_e32 v36, s12, v32
	v_add_u32_e32 v37, s12, v34
	v_lshl_add_u64 v[18:19], v[20:21], 0, v[18:19]
	v_ashrrev_i32_e32 v20, 5, v36
	v_cmp_gt_i32_e32 vcc, s33, v32
	v_ashrrev_i32_e32 v21, 5, v37
	v_lshl_add_u64 v[18:19], v[18:19], 0, v[30:31]
	v_cndmask_b32_e32 v32, v33, v20, vcc
	v_cmp_gt_i32_e32 vcc, s33, v34
	ds_read_b128 v[10:13], v4
	ds_read_b128 v[2:5], v4 offset:16
	v_cndmask_b32_e32 v34, v33, v21, vcc
	global_load_dwordx4 v[18:21], v[18:19], off
	v_add_u32_e32 v38, s12, v35
	s_add_u32 s8, s10, s4
	v_ashrrev_i32_e32 v36, 5, v38
	v_cmp_gt_i32_e32 vcc, s33, v35
	v_lshlrev_b32_e32 v27, 5, v28
	s_addc_u32 s9, s11, 0
	v_cndmask_b32_e32 v36, v33, v36, vcc
	v_and_b32_e32 v30, 16, v0
	v_ashrrev_i32_e32 v37, 31, v36
	v_lshl_add_u64 v[38:39], s[8:9], 0, v[30:31]
	v_lshl_or_b32 v30, v29, 9, v27
	v_lshl_add_u64 v[40:41], v[36:37], 2, s[6:7]
	v_lshl_add_u64 v[30:31], v[38:39], 0, v[30:31]
	s_mov_b32 s44, 0x7060302
	v_ashrrev_i32_e32 v33, 31, v32
	v_ashrrev_i32_e32 v35, 31, v34
	v_lshl_add_u64 v[32:33], v[32:33], 2, s[6:7]
	v_lshl_add_u64 v[34:35], v[34:35], 2, s[6:7]
	s_load_dword s13, s[0:1], 0x1c
	s_mov_b32 s46, 0xff7fffff
	s_waitcnt vmcnt(4)
	v_cvt_pk_f32_fp8_e32 v[36:37], v6
	v_cvt_pk_f32_fp8_sdwa v[38:39], v6 src0_sel:WORD_1
	v_cvt_pk_f32_fp8_e32 v[44:45], v7
	v_cvt_pk_f32_fp8_sdwa v[6:7], v7 src0_sel:WORD_1
	v_perm_b32 v36, v37, v36, s44
	v_perm_b32 v37, v39, v38, s44
	v_cvt_pk_f32_fp8_e32 v[46:47], v8
	v_cvt_pk_f32_fp8_sdwa v[48:49], v8 src0_sel:WORD_1
	v_perm_b32 v50, v45, v44, s44
	v_perm_b32 v51, v7, v6, s44
	s_waitcnt lgkmcnt(0)
	v_mfma_f32_16x16x16_bf16 v[36:39], v[36:37], v[10:11], 0
	global_load_dword v44, v[32:33], off
	s_nop 0
	global_load_dword v34, v[34:35], off
	s_nop 0
	global_load_dword v35, v[40:41], off
	v_perm_b32 v32, v47, v46, s44
	v_perm_b32 v33, v49, v48, s44
	v_cvt_pk_f32_fp8_e32 v[40:41], v9
	v_cvt_pk_f32_fp8_sdwa v[8:9], v9 src0_sel:WORD_1
	v_mfma_f32_16x16x16_bf16 v[36:39], v[50:51], v[12:13], v[36:39]
	s_waitcnt vmcnt(6)
	v_mad_i64_i32 v[6:7], s[6:7], v52, s45, v[30:31]
	v_perm_b32 v40, v41, v40, s44
	v_perm_b32 v41, v9, v8, s44
	v_mfma_f32_16x16x16_bf16 v[36:39], v[32:33], v[2:3], v[36:39]
	s_waitcnt vmcnt(5)
	v_cvt_pk_f32_fp8_e32 v[8:9], v14
	v_cvt_pk_f32_fp8_sdwa v[32:33], v14 src0_sel:WORD_1
	v_cvt_pk_f32_fp8_sdwa v[50:51], v16 src0_sel:WORD_1
	v_mfma_f32_16x16x16_bf16 v[36:39], v[40:41], v[4:5], v[36:39]
	v_cvt_pk_f32_fp8_e32 v[40:41], v15
	v_perm_b32 v8, v9, v8, s44
	v_perm_b32 v9, v33, v32, s44
	v_cvt_pk_f32_fp8_sdwa v[14:15], v15 src0_sel:WORD_1
	v_perm_b32 v32, v41, v40, s44
	v_cvt_pk_f32_fp8_e32 v[40:41], v16
	v_mfma_f32_16x16x16_bf16 v[46:49], v[8:9], v[10:11], 0
	v_perm_b32 v33, v15, v14, s44
	v_perm_b32 v8, v41, v40, s44
	;; [unrolled: 1-line block ×3, first 2 shown]
	v_cvt_pk_f32_fp8_e32 v[40:41], v17
	v_cvt_pk_f32_fp8_sdwa v[50:51], v17 src0_sel:WORD_1
	v_mfma_f32_16x16x16_bf16 v[14:17], v[32:33], v[12:13], v[46:49]
	s_waitcnt vmcnt(4)
	v_cvt_pk_f32_fp8_sdwa v[52:53], v24 src0_sel:WORD_1
	v_perm_b32 v32, v41, v40, s44
	v_perm_b32 v33, v51, v50, s44
	v_mfma_f32_16x16x16_bf16 v[14:17], v[8:9], v[2:3], v[14:17]
	v_cvt_pk_f32_fp8_e32 v[8:9], v22
	v_cvt_pk_f32_fp8_sdwa v[40:41], v22 src0_sel:WORD_1
	s_load_dword s4, s[40:41], 0x0
	v_mfma_f32_16x16x16_bf16 v[14:17], v[32:33], v[4:5], v[14:17]
	v_cvt_pk_f32_fp8_e32 v[32:33], v23
	v_perm_b32 v8, v9, v8, s44
	v_perm_b32 v9, v41, v40, s44
	v_cvt_pk_f32_fp8_sdwa v[22:23], v23 src0_sel:WORD_1
	v_perm_b32 v32, v33, v32, s44
	v_cvt_pk_f32_fp8_e32 v[40:41], v24
	v_mfma_f32_16x16x16_bf16 v[46:49], v[8:9], v[10:11], 0
	v_perm_b32 v33, v23, v22, s44
	v_perm_b32 v8, v41, v40, s44
	;; [unrolled: 1-line block ×3, first 2 shown]
	v_cvt_pk_f32_fp8_e32 v[40:41], v25
	v_cvt_pk_f32_fp8_sdwa v[24:25], v25 src0_sel:WORD_1
	v_mfma_f32_16x16x16_bf16 v[46:49], v[32:33], v[12:13], v[46:49]
	v_mov_b32_e32 v45, s13
	s_waitcnt lgkmcnt(0)
	v_mul_f32_e32 v50, s4, v45
	v_perm_b32 v32, v41, v40, s44
	v_perm_b32 v33, v25, v24, s44
	v_pk_mul_f32 v[22:23], v[50:51], v[38:39] op_sel_hi:[0,1]
	v_mfma_f32_16x16x16_bf16 v[38:41], v[8:9], v[2:3], v[46:49]
	v_pk_mul_f32 v[8:9], v[50:51], v[36:37] op_sel_hi:[0,1]
	s_waitcnt vmcnt(3)
	v_cvt_pk_f32_fp8_e32 v[24:25], v18
	v_cvt_pk_f32_fp8_sdwa v[36:37], v18 src0_sel:WORD_1
	v_mfma_f32_16x16x16_bf16 v[46:49], v[32:33], v[4:5], v[38:41]
	v_cvt_pk_f32_fp8_e32 v[32:33], v19
	v_perm_b32 v24, v25, v24, s44
	v_perm_b32 v25, v37, v36, s44
	v_cvt_pk_f32_fp8_sdwa v[18:19], v19 src0_sel:WORD_1
	v_perm_b32 v32, v33, v32, s44
	v_cvt_pk_f32_fp8_e32 v[40:41], v20
	v_cvt_pk_f32_fp8_sdwa v[52:53], v20 src0_sel:WORD_1
	v_perm_b32 v33, v19, v18, s44
	v_mfma_f32_16x16x16_bf16 v[36:39], v[24:25], v[10:11], 0
	v_perm_b32 v18, v41, v40, s44
	v_perm_b32 v19, v53, v52, s44
	v_cvt_pk_f32_fp8_e32 v[24:25], v21
	v_cvt_pk_f32_fp8_sdwa v[20:21], v21 src0_sel:WORD_1
	v_mfma_f32_16x16x16_bf16 v[10:13], v[32:33], v[12:13], v[36:39]
	v_pk_mul_f32 v[40:41], v[50:51], v[14:15] op_sel_hi:[0,1]
	v_pk_mul_f32 v[32:33], v[50:51], v[48:49] op_sel_hi:[0,1]
	s_nop 0
	v_pk_mul_f32 v[36:37], v[50:51], v[16:17] op_sel_hi:[0,1]
	v_perm_b32 v16, v25, v24, s44
	v_perm_b32 v17, v21, v20, s44
	v_mfma_f32_16x16x16_bf16 v[10:13], v[18:19], v[2:3], v[10:13]
	v_pk_mul_f32 v[38:39], v[50:51], v[46:47] op_sel_hi:[0,1]
	v_mfma_f32_16x16x16_bf16 v[2:5], v[16:17], v[4:5], v[10:13]
	s_nop 6
	v_pk_mul_f32 v[24:25], v[50:51], v[2:3] op_sel_hi:[0,1]
	v_and_b32_e32 v2, 0xc0, v0
	v_add_u32_e32 v2, s5, v2
	v_lshl_or_b32 v2, v42, 2, v2
	v_pk_mul_f32 v[18:19], v[50:51], v[4:5] op_sel_hi:[0,1]
	v_or_b32_e32 v5, 1, v2
	v_mov_b32_e32 v3, 0xff7fffff
	v_cmp_gt_i32_e64 s[4:5], s33, v2
	v_cmp_gt_i32_e64 s[34:35], s33, v5
	v_or_b32_e32 v10, 3, v2
	v_cndmask_b32_e64 v4, v3, v8, s[4:5]
	v_cndmask_b32_e64 v5, v3, v9, s[34:35]
	v_max3_f32 v4, v4, s46, v5
	v_or_b32_e32 v5, 2, v2
	v_cmp_gt_i32_e64 s[36:37], s33, v5
	v_cmp_gt_i32_e64 s[38:39], s33, v10
	s_nop 0
	v_cndmask_b32_e64 v5, v3, v22, s[36:37]
	v_cndmask_b32_e64 v10, v3, v23, s[38:39]
	v_max3_f32 v4, v4, v5, v10
	v_or_b32_e32 v5, 16, v2
	v_or_b32_e32 v10, 17, v2
	v_cmp_gt_i32_e64 s[24:25], s33, v5
	v_cmp_gt_i32_e64 s[26:27], s33, v10
	s_nop 0
	v_cndmask_b32_e64 v5, v3, v40, s[24:25]
	v_cndmask_b32_e64 v10, v3, v41, s[26:27]
	v_max3_f32 v4, v4, v5, v10
	v_or_b32_e32 v5, 18, v2
	;; [unrolled: 8-line block ×6, first 2 shown]
	v_or_b32_e32 v2, 51, v2
	v_cmp_gt_i32_e32 vcc, s33, v5
	v_cmp_gt_i32_e64 s[6:7], s33, v2
	s_nop 0
	v_cndmask_b32_e32 v5, v3, v18, vcc
	v_cndmask_b32_e64 v2, v3, v19, s[6:7]
	v_max3_f32 v4, v4, v5, v2
	v_mbcnt_lo_u32_b32 v2, -1, 0
	v_mbcnt_hi_u32_b32 v5, -1, v2
	v_and_b32_e32 v2, 64, v5
	v_add_u32_e32 v20, 64, v2
	v_xor_b32_e32 v2, 32, v5
	v_cmp_lt_i32_e64 s[40:41], v2, v20
	s_nop 1
	v_cndmask_b32_e64 v2, v5, v2, s[40:41]
	v_lshlrev_b32_e32 v45, 2, v2
	ds_bpermute_b32 v21, v45, v4
	s_waitcnt vmcnt(2)
	v_mad_i64_i32 v[2:3], s[40:41], v44, s45, v[30:31]
	global_load_dwordx4 v[14:17], v[6:7], off
	global_load_dwordx4 v[10:13], v[2:3], off
	v_xor_b32_e32 v3, 16, v5
	v_cmp_lt_i32_e64 s[40:41], v3, v20
	s_waitcnt lgkmcnt(0)
	v_max_f32_e32 v2, v21, v21
	v_max_f32_e32 v2, v4, v2
	v_cndmask_b32_e64 v3, v5, v3, s[40:41]
	v_lshlrev_b32_e32 v46, 2, v3
	ds_bpermute_b32 v3, v46, v2
	s_waitcnt vmcnt(3)
	v_mad_i64_i32 v[20:21], s[40:41], v34, s45, v[30:31]
	s_waitcnt vmcnt(2)
	v_mad_i64_i32 v[30:31], s[40:41], v35, s45, v[30:31]
	s_waitcnt lgkmcnt(0)
	v_max_f32_e32 v3, v3, v3
	v_max_f32_e32 v44, v2, v3
	v_sub_f32_e32 v2, v8, v44
	v_mul_f32_e32 v2, 0x3fb8aa3b, v2
	v_exp_f32_e32 v34, v2
	v_sub_f32_e32 v2, v9, v44
	v_mul_f32_e32 v2, 0x3fb8aa3b, v2
	v_exp_f32_e32 v35, v2
	global_load_dwordx4 v[6:9], v[20:21], off
	global_load_dwordx4 v[2:5], v[30:31], off
	v_sub_f32_e32 v22, v22, v44
	v_mul_f32_e32 v22, 0x3fb8aa3b, v22
	v_sub_f32_e32 v23, v23, v44
	v_exp_f32_e32 v22, v22
	v_mul_f32_e32 v23, 0x3fb8aa3b, v23
	v_exp_f32_e32 v23, v23
	v_cndmask_b32_e64 v20, 0, v34, s[4:5]
	v_add_f32_e32 v30, 0, v20
	v_cndmask_b32_e64 v21, 0, v35, s[34:35]
	v_add_f32_e32 v30, v30, v21
	;; [unrolled: 2-line block ×3, first 2 shown]
	v_cndmask_b32_e64 v35, 0, v23, s[38:39]
	v_sub_f32_e32 v23, v40, v44
	v_sub_f32_e32 v30, v41, v44
	v_mul_f32_e32 v23, 0x3fb8aa3b, v23
	v_mul_f32_e32 v30, 0x3fb8aa3b, v30
	v_exp_f32_e32 v23, v23
	v_exp_f32_e32 v30, v30
	v_add_f32_e32 v31, v22, v35
	v_sub_f32_e32 v32, v32, v44
	v_cndmask_b32_e64 v22, 0, v23, s[24:25]
	v_cndmask_b32_e64 v23, 0, v30, s[26:27]
	v_sub_f32_e32 v30, v36, v44
	v_mul_f32_e32 v30, 0x3fb8aa3b, v30
	v_exp_f32_e32 v30, v30
	v_sub_f32_e32 v36, v37, v44
	v_add_f32_e32 v31, v31, v22
	v_mul_f32_e32 v36, 0x3fb8aa3b, v36
	v_exp_f32_e32 v37, v36
	v_add_f32_e32 v31, v31, v23
	v_cndmask_b32_e64 v36, 0, v30, s[20:21]
	v_add_f32_e32 v30, v31, v36
	v_sub_f32_e32 v31, v38, v44
	v_mul_f32_e32 v31, 0x3fb8aa3b, v31
	v_sub_f32_e32 v38, v39, v44
	v_exp_f32_e32 v31, v31
	v_mul_f32_e32 v38, 0x3fb8aa3b, v38
	v_exp_f32_e32 v38, v38
	v_mul_f32_e32 v32, 0x3fb8aa3b, v32
	v_sub_f32_e32 v33, v33, v44
	v_exp_f32_e32 v32, v32
	v_mul_f32_e32 v33, 0x3fb8aa3b, v33
	v_sub_f32_e32 v24, v24, v44
	v_cndmask_b32_e64 v37, 0, v37, s[22:23]
	v_exp_f32_e32 v33, v33
	v_mul_f32_e32 v24, 0x3fb8aa3b, v24
	v_sub_f32_e32 v25, v25, v44
	v_add_f32_e32 v39, v30, v37
	v_cndmask_b32_e64 v30, 0, v31, s[16:17]
	v_exp_f32_e32 v24, v24
	v_mul_f32_e32 v25, 0x3fb8aa3b, v25
	v_sub_f32_e32 v18, v18, v44
	v_add_f32_e32 v39, v39, v30
	;; [unrolled: 5-line block ×3, first 2 shown]
	v_cndmask_b32_e64 v32, 0, v32, s[12:13]
	v_exp_f32_e32 v18, v18
	v_mul_f32_e32 v19, 0x3fb8aa3b, v19
	v_add_f32_e32 v38, v38, v32
	v_cndmask_b32_e64 v33, 0, v33, s[14:15]
	v_exp_f32_e32 v19, v19
	v_add_f32_e32 v38, v38, v33
	v_cndmask_b32_e64 v24, 0, v24, s[8:9]
	v_add_f32_e32 v38, v38, v24
	v_cndmask_b32_e64 v25, 0, v25, s[10:11]
	v_add_f32_e32 v38, v38, v25
	v_cndmask_b32_e32 v18, 0, v18, vcc
	v_add_f32_e32 v38, v38, v18
	v_cndmask_b32_e64 v19, 0, v19, s[6:7]
	v_add_f32_e32 v38, v38, v19
	ds_bpermute_b32 v39, v45, v38
	v_cmp_gt_u32_e32 vcc, 16, v43
	s_waitcnt lgkmcnt(0)
	s_barrier
	v_add_f32_e32 v38, v38, v39
	ds_bpermute_b32 v40, v46, v38
	v_lshlrev_b32_e32 v39, 2, v28
	s_and_saveexec_b64 s[4:5], vcc
	s_cbranch_execz .LBB1194_13
; %bb.12:
	s_waitcnt lgkmcnt(0)
	v_add_f32_e32 v38, v38, v40
	v_lshl_or_b32 v40, v29, 6, v39
	ds_write2st64_b32 v40, v44, v38 offset1:1
.LBB1194_13:
	s_or_b64 exec, exec, s[4:5]
	s_load_dword s6, s[0:1], 0x94
	s_waitcnt lgkmcnt(0)
	s_barrier
	ds_read2_b32 v[40:41], v39 offset1:16
	ds_read2_b32 v[44:45], v39 offset0:32 offset1:48
	ds_read2_b32 v[46:47], v39 offset0:64 offset1:80
	s_movk_i32 s8, 0x7fff
	s_mul_i32 s7, s29, 7
	s_waitcnt lgkmcnt(2)
	v_max3_f32 v38, v40, s46, v41
	s_waitcnt lgkmcnt(1)
	v_max3_f32 v38, v38, v44, v45
	v_sub_f32_e32 v40, v40, v38
	v_mul_f32_e32 v40, 0x3fb8aa3b, v40
	v_exp_f32_e32 v43, v40
	v_sub_f32_e32 v40, v41, v38
	v_mul_f32_e32 v40, 0x3fb8aa3b, v40
	v_exp_f32_e32 v48, v40
	;; [unrolled: 3-line block ×3, first 2 shown]
	ds_read2_b32 v[40:41], v39 offset0:96 offset1:112
	v_sub_f32_e32 v39, v45, v38
	v_mul_f32_e32 v39, 0x3fb8aa3b, v39
	v_exp_f32_e32 v45, v39
	s_waitcnt lgkmcnt(1)
	v_fma_f32 v39, v43, v46, 0
	v_fmac_f32_e32 v39, v48, v47
	s_waitcnt lgkmcnt(0)
	v_fmac_f32_e32 v39, v44, v40
	v_fmac_f32_e32 v39, v45, v41
	v_add_f32_e32 v40, 0x358637bd, v39
	v_div_scale_f32 v41, s[4:5], v40, v40, 1.0
	v_rcp_f32_e32 v46, v41
	s_barrier
	v_fma_f32 v47, -v41, v46, 1.0
	v_fmac_f32_e32 v46, v47, v46
	v_div_scale_f32 v47, vcc, 1.0, v40, 1.0
	v_mul_f32_e32 v49, v47, v46
	v_fma_f32 v50, -v41, v49, v47
	v_fmac_f32_e32 v49, v50, v46
	v_fma_f32 v41, -v41, v49, v47
	v_div_fmas_f32 v41, v41, v46, v49
	v_cmp_eq_u32_e32 vcc, 1, v29
	v_div_fixup_f32 v40, v41, v40, 1.0
	s_nop 0
	v_cndmask_b32_e32 v41, v43, v48, vcc
	v_cmp_eq_u32_e32 vcc, 2, v29
	s_nop 1
	v_cndmask_b32_e32 v41, v41, v44, vcc
	v_cmp_eq_u32_e32 vcc, 3, v29
	s_nop 1
	v_cndmask_b32_e32 v41, v41, v45, vcc
	v_mul_f32_e32 v40, v41, v40
	v_pk_mul_f32 v[20:21], v[40:41], v[20:21] op_sel_hi:[0,1]
	v_pk_mul_f32 v[34:35], v[40:41], v[34:35] op_sel_hi:[0,1]
	v_bfe_u32 v41, v21, 16, 1
	v_bfe_u32 v43, v20, 16, 1
	v_add3_u32 v20, v20, v43, s8
	v_add3_u32 v21, v21, v41, s8
	v_perm_b32 v44, v21, v20, s44
	v_bfe_u32 v20, v35, 16, 1
	v_bfe_u32 v21, v34, 16, 1
	v_add3_u32 v21, v34, v21, s8
	v_add3_u32 v20, v35, v20, s8
	v_perm_b32 v45, v20, v21, s44
	v_lshlrev_b32_e32 v20, 3, v42
	v_lshlrev_b32_e32 v21, 11, v29
	v_pk_mul_f32 v[22:23], v[40:41], v[22:23] op_sel_hi:[0,1]
	v_or3_b32 v20, v21, v27, v20
	v_bfe_u32 v21, v23, 16, 1
	v_bfe_u32 v29, v22, 16, 1
	v_pk_mul_f32 v[34:35], v[40:41], v[36:37] op_sel_hi:[0,1]
	v_add3_u32 v22, v22, v29, s8
	v_add3_u32 v21, v23, v21, s8
	v_perm_b32 v22, v21, v22, s44
	v_bfe_u32 v21, v35, 16, 1
	v_bfe_u32 v23, v34, 16, 1
	v_add3_u32 v23, v34, v23, s8
	v_add3_u32 v21, v35, v21, s8
	v_pk_mul_f32 v[30:31], v[40:41], v[30:31] op_sel_hi:[0,1]
	v_perm_b32 v23, v21, v23, s44
	v_bfe_u32 v21, v31, 16, 1
	v_bfe_u32 v29, v30, 16, 1
	ds_write2st64_b64 v20, v[44:45], v[22:23] offset1:1
	v_pk_mul_f32 v[22:23], v[40:41], v[32:33] op_sel_hi:[0,1]
	v_add3_u32 v29, v30, v29, s8
	v_add3_u32 v21, v31, v21, s8
	v_perm_b32 v30, v21, v29, s44
	v_bfe_u32 v21, v23, 16, 1
	v_bfe_u32 v29, v22, 16, 1
	v_add3_u32 v22, v22, v29, s8
	v_add3_u32 v21, v23, v21, s8
	v_perm_b32 v31, v21, v22, s44
	v_pk_mul_f32 v[22:23], v[40:41], v[24:25] op_sel_hi:[0,1]
	v_bfe_u32 v21, v23, 16, 1
	v_bfe_u32 v24, v22, 16, 1
	v_pk_mul_f32 v[18:19], v[40:41], v[18:19] op_sel_hi:[0,1]
	v_add3_u32 v22, v22, v24, s8
	v_add3_u32 v21, v23, v21, s8
	v_perm_b32 v22, v21, v22, s44
	v_bfe_u32 v21, v19, 16, 1
	v_bfe_u32 v23, v18, 16, 1
	v_add3_u32 v18, v18, v23, s8
	v_add3_u32 v19, v19, v21, s8
	v_perm_b32 v23, v19, v18, s44
	v_cmp_gt_u32_e32 vcc, 7, v0
	ds_write2st64_b64 v20, v[30:31], v[22:23] offset0:2 offset1:3
	s_and_saveexec_b64 s[4:5], vcc
	s_cbranch_execz .LBB1194_15
; %bb.14:
	s_mov_b32 s49, 0
	v_mov_b32_e32 v29, 0
	v_lshl_add_u64 v[18:19], s[48:49], 0, v[28:29]
	v_mov_b32_e32 v21, s7
	v_mad_u64_u32 v[18:19], s[10:11], s2, v21, v[18:19]
	s_mul_i32 s3, s3, s7
	v_mov_b32_e32 v28, s28
	s_load_dwordx4 s[12:15], s[0:1], 0x58
	v_add_u32_e32 v21, s3, v19
	v_mad_u64_u32 v[18:19], s[10:11], v18, s6, v[28:29]
	v_mov_b32_e32 v22, v19
	v_mad_u64_u32 v[22:23], s[10:11], v21, s6, v[22:23]
	v_mov_b32_e32 v19, v22
	v_lshlrev_b64 v[18:19], 2, v[18:19]
	s_waitcnt lgkmcnt(0)
	v_lshl_add_u64 v[22:23], s[14:15], 0, v[18:19]
	v_lshl_add_u64 v[18:19], s[12:13], 0, v[18:19]
	global_store_dword v[22:23], v38, off
	global_store_dword v[18:19], v39, off
.LBB1194_15:
	s_or_b64 exec, exec, s[4:5]
	s_waitcnt vmcnt(3)
	v_cvt_pk_f32_fp8_e32 v[18:19], v14
	v_cvt_pk_f32_fp8_sdwa v[22:23], v14 src0_sel:WORD_1
	s_mov_b32 s4, 0x7060302
	v_lshl_or_b32 v14, v42, 9, v27
	s_waitcnt lgkmcnt(0)
	s_barrier
	v_perm_b32 v18, v19, v18, s4
	v_perm_b32 v19, v23, v22, s4
	v_cvt_pk_f32_fp8_e32 v[28:29], v15
	ds_read_b128 v[22:25], v14
	v_cvt_pk_f32_fp8_sdwa v[36:37], v15 src0_sel:WORD_1
	s_load_dword s10, s[42:43], 0x0
	v_perm_b32 v38, v29, v28, s4
	ds_read_b128 v[28:31], v14 offset:16
	v_perm_b32 v39, v37, v36, s4
	s_waitcnt lgkmcnt(0)
	v_mfma_f32_16x16x16_bf16 v[32:35], v[18:19], v[22:23], 0
	v_cvt_pk_f32_fp8_e32 v[18:19], v16
	v_cvt_pk_f32_fp8_sdwa v[36:37], v16 src0_sel:WORD_1
	v_cmp_gt_u32_e32 vcc, 64, v0
	v_mfma_f32_16x16x16_bf16 v[22:25], v[38:39], v[24:25], v[32:35]
	v_perm_b32 v18, v19, v18, s4
	v_perm_b32 v19, v37, v36, s4
	s_waitcnt vmcnt(2)
	v_cvt_pk_f32_fp8_sdwa v[36:37], v10 src0_sel:WORD_1
	v_cvt_pk_f32_fp8_e32 v[32:33], v17
	v_cvt_pk_f32_fp8_sdwa v[16:17], v17 src0_sel:WORD_1
	v_cvt_pk_f32_fp8_e32 v[34:35], v10
	s_mov_b32 s3, 0
	v_perm_b32 v32, v33, v32, s4
	v_perm_b32 v33, v17, v16, s4
	v_mfma_f32_16x16x16_bf16 v[16:19], v[18:19], v[28:29], v[22:25]
	v_perm_b32 v34, v35, v34, s4
	v_perm_b32 v35, v37, v36, s4
	v_cvt_pk_f32_fp8_e32 v[28:29], v11
	ds_read_b128 v[22:25], v14 offset:2048
	v_cvt_pk_f32_fp8_sdwa v[10:11], v11 src0_sel:WORD_1
	v_mfma_f32_16x16x16_bf16 v[16:19], v[32:33], v[30:31], v[16:19]
	v_perm_b32 v32, v29, v28, s4
	ds_read_b128 v[28:31], v14 offset:2064
	v_perm_b32 v33, v11, v10, s4
	s_waitcnt lgkmcnt(1)
	v_mfma_f32_16x16x16_bf16 v[16:19], v[34:35], v[22:23], v[16:19]
	v_cvt_pk_f32_fp8_e32 v[10:11], v12
	v_cvt_pk_f32_fp8_sdwa v[22:23], v12 src0_sel:WORD_1
	v_mov_b32_e32 v27, 0
	v_mfma_f32_16x16x16_bf16 v[16:19], v[32:33], v[24:25], v[16:19]
	v_cvt_pk_f32_fp8_e32 v[24:25], v13
	v_perm_b32 v10, v11, v10, s4
	v_perm_b32 v11, v23, v22, s4
	v_cvt_pk_f32_fp8_sdwa v[12:13], v13 src0_sel:WORD_1
	v_perm_b32 v22, v25, v24, s4
	s_waitcnt vmcnt(1)
	v_cvt_pk_f32_fp8_e32 v[24:25], v6
	v_cvt_pk_f32_fp8_sdwa v[32:33], v6 src0_sel:WORD_1
	v_perm_b32 v23, v13, v12, s4
	s_waitcnt lgkmcnt(0)
	v_mfma_f32_16x16x16_bf16 v[10:13], v[10:11], v[28:29], v[16:19]
	v_perm_b32 v28, v25, v24, s4
	v_perm_b32 v29, v33, v32, s4
	v_cvt_pk_f32_fp8_e32 v[24:25], v7
	ds_read_b128 v[16:19], v14 offset:4096
	v_cvt_pk_f32_fp8_sdwa v[6:7], v7 src0_sel:WORD_1
	v_mfma_f32_16x16x16_bf16 v[10:13], v[22:23], v[30:31], v[10:13]
	v_perm_b32 v30, v25, v24, s4
	ds_read_b128 v[22:25], v14 offset:4112
	v_perm_b32 v31, v7, v6, s4
	s_waitcnt lgkmcnt(1)
	v_mfma_f32_16x16x16_bf16 v[10:13], v[28:29], v[16:17], v[10:13]
	v_cvt_pk_f32_fp8_e32 v[6:7], v8
	v_cvt_pk_f32_fp8_sdwa v[16:17], v8 src0_sel:WORD_1
	s_waitcnt vmcnt(0)
	v_cvt_pk_f32_fp8_sdwa v[28:29], v2 src0_sel:WORD_1
	v_mfma_f32_16x16x16_bf16 v[10:13], v[30:31], v[18:19], v[10:13]
	v_cvt_pk_f32_fp8_e32 v[18:19], v9
	v_perm_b32 v6, v7, v6, s4
	v_perm_b32 v7, v17, v16, s4
	v_cvt_pk_f32_fp8_sdwa v[8:9], v9 src0_sel:WORD_1
	v_perm_b32 v16, v19, v18, s4
	v_cvt_pk_f32_fp8_e32 v[18:19], v2
	v_perm_b32 v17, v9, v8, s4
	s_waitcnt lgkmcnt(0)
	v_mfma_f32_16x16x16_bf16 v[6:9], v[6:7], v[22:23], v[10:13]
	v_perm_b32 v18, v19, v18, s4
	v_perm_b32 v19, v29, v28, s4
	v_cvt_pk_f32_fp8_e32 v[22:23], v3
	ds_read_b128 v[10:13], v14 offset:6144
	v_cvt_pk_f32_fp8_sdwa v[2:3], v3 src0_sel:WORD_1
	v_mfma_f32_16x16x16_bf16 v[6:9], v[16:17], v[24:25], v[6:9]
	v_perm_b32 v22, v23, v22, s4
	ds_read_b128 v[14:17], v14 offset:6160
	v_perm_b32 v23, v3, v2, s4
	s_waitcnt lgkmcnt(1)
	v_mfma_f32_16x16x16_bf16 v[6:9], v[18:19], v[10:11], v[6:9]
	v_cvt_pk_f32_fp8_e32 v[2:3], v4
	v_cvt_pk_f32_fp8_sdwa v[10:11], v4 src0_sel:WORD_1
	s_waitcnt lgkmcnt(0)
	v_mfma_f32_16x16x16_bf16 v[6:9], v[22:23], v[12:13], v[6:9]
	v_perm_b32 v2, v3, v2, s4
	v_perm_b32 v3, v11, v10, s4
	v_cvt_pk_f32_fp8_e32 v[10:11], v5
	v_cvt_pk_f32_fp8_sdwa v[4:5], v5 src0_sel:WORD_1
	s_barrier
	v_perm_b32 v10, v11, v10, s4
	v_perm_b32 v11, v5, v4, s4
	v_mfma_f32_16x16x16_bf16 v[2:5], v[2:3], v[14:15], v[6:9]
	s_nop 0
	v_mfma_f32_16x16x16_bf16 v[2:5], v[10:11], v[16:17], v[2:5]
	s_nop 6
	v_pk_mul_f32 v[2:3], v[2:3], s[10:11] op_sel_hi:[1,0]
	v_pk_mul_f32 v[4:5], v[4:5], s[10:11] op_sel_hi:[1,0]
	v_bfe_u32 v6, v3, 16, 1
	v_bfe_u32 v7, v2, 16, 1
	v_add3_u32 v2, v2, v7, s8
	v_add3_u32 v3, v3, v6, s8
	v_perm_b32 v2, v3, v2, s4
	v_bfe_u32 v3, v5, 16, 1
	v_bfe_u32 v6, v4, 16, 1
	v_add3_u32 v4, v4, v6, s8
	v_add3_u32 v3, v5, v3, s8
	v_perm_b32 v3, v3, v4, s4
	s_and_b64 s[4:5], vcc, s[30:31]
	ds_write_b64 v20, v[2:3]
	s_waitcnt lgkmcnt(0)
	s_barrier
	s_and_saveexec_b64 s[8:9], s[4:5]
	s_cbranch_execz .LBB1194_18
; %bb.16:
	s_load_dwordx2 s[4:5], s[0:1], 0x68
	s_lshl_b32 s0, s6, 6
	s_mul_i32 s1, s7, s2
	s_mul_hi_u32 s7, s1, s0
	s_mul_i32 s6, s1, s0
	v_lshlrev_b32_e32 v0, 10, v0
	s_lshl_b64 s[6:7], s[6:7], 1
	v_and_b32_e32 v0, 0x1800, v0
	v_lshlrev_b32_e32 v2, 5, v42
	v_and_b32_e32 v1, 16, v1
	s_waitcnt lgkmcnt(0)
	s_add_u32 s1, s4, s6
	v_or3_b32 v2, v0, v2, v1
	s_addc_u32 s4, s5, s7
	s_lshl_b32 s2, s28, 6
	s_lshl_b64 s[2:3], s[2:3], 1
	ds_read_b128 v[4:7], v2
	s_add_u32 s2, s1, s2
	s_addc_u32 s3, s4, s3
	v_add_u32_e32 v3, s48, v42
	v_lshl_add_u64 v[0:1], s[2:3], 0, v[26:27]
	v_mad_u64_u32 v[8:9], s[2:3], v3, s0, 0
	v_lshl_add_u64 v[8:9], v[8:9], 1, v[0:1]
	v_cmp_ne_u32_e32 vcc, 3, v42
	s_waitcnt lgkmcnt(0)
	global_store_dwordx4 v[8:9], v[4:7], off
	s_and_b64 exec, exec, vcc
	s_cbranch_execz .LBB1194_18
; %bb.17:
	ds_read_b128 v[2:5], v2 offset:128
	v_add3_u32 v6, s48, v42, 4
	v_mad_u64_u32 v[6:7], s[0:1], v6, s0, 0
	v_lshl_add_u64 v[0:1], v[6:7], 1, v[0:1]
	s_waitcnt lgkmcnt(0)
	global_store_dwordx4 v[0:1], v[2:5], off
.LBB1194_18:
	s_endpgm
	.section	.rodata,"a",@progbits
	.p2align	6, 0x0
	.amdhsa_kernel _Z39paged_attention_ll4mi_QKV_mfma16_kernelI14__hip_bfloat16hLN4vllm18Fp8KVCacheDataTypeE1EhLi32ELi64ELi256ELb0ELi7EEvPKT_PKT0_S8_ifPKiSA_SA_iPKfiiiPfSD_PS3_PT2_iSC_SC_
		.amdhsa_group_segment_fixed_size 8192
		.amdhsa_private_segment_fixed_size 0
		.amdhsa_kernarg_size 400
		.amdhsa_user_sgpr_count 2
		.amdhsa_user_sgpr_dispatch_ptr 0
		.amdhsa_user_sgpr_queue_ptr 0
		.amdhsa_user_sgpr_kernarg_segment_ptr 1
		.amdhsa_user_sgpr_dispatch_id 0
		.amdhsa_user_sgpr_kernarg_preload_length 0
		.amdhsa_user_sgpr_kernarg_preload_offset 0
		.amdhsa_user_sgpr_private_segment_size 0
		.amdhsa_uses_dynamic_stack 0
		.amdhsa_enable_private_segment 0
		.amdhsa_system_sgpr_workgroup_id_x 1
		.amdhsa_system_sgpr_workgroup_id_y 1
		.amdhsa_system_sgpr_workgroup_id_z 1
		.amdhsa_system_sgpr_workgroup_info 0
		.amdhsa_system_vgpr_workitem_id 0
		.amdhsa_next_free_vgpr 54
		.amdhsa_next_free_sgpr 50
		.amdhsa_accum_offset 56
		.amdhsa_reserve_vcc 1
		.amdhsa_float_round_mode_32 0
		.amdhsa_float_round_mode_16_64 0
		.amdhsa_float_denorm_mode_32 3
		.amdhsa_float_denorm_mode_16_64 3
		.amdhsa_dx10_clamp 1
		.amdhsa_ieee_mode 1
		.amdhsa_fp16_overflow 0
		.amdhsa_tg_split 0
		.amdhsa_exception_fp_ieee_invalid_op 0
		.amdhsa_exception_fp_denorm_src 0
		.amdhsa_exception_fp_ieee_div_zero 0
		.amdhsa_exception_fp_ieee_overflow 0
		.amdhsa_exception_fp_ieee_underflow 0
		.amdhsa_exception_fp_ieee_inexact 0
		.amdhsa_exception_int_div_zero 0
	.end_amdhsa_kernel
	.section	.text._Z39paged_attention_ll4mi_QKV_mfma16_kernelI14__hip_bfloat16hLN4vllm18Fp8KVCacheDataTypeE1EhLi32ELi64ELi256ELb0ELi7EEvPKT_PKT0_S8_ifPKiSA_SA_iPKfiiiPfSD_PS3_PT2_iSC_SC_,"axG",@progbits,_Z39paged_attention_ll4mi_QKV_mfma16_kernelI14__hip_bfloat16hLN4vllm18Fp8KVCacheDataTypeE1EhLi32ELi64ELi256ELb0ELi7EEvPKT_PKT0_S8_ifPKiSA_SA_iPKfiiiPfSD_PS3_PT2_iSC_SC_,comdat
.Lfunc_end1194:
	.size	_Z39paged_attention_ll4mi_QKV_mfma16_kernelI14__hip_bfloat16hLN4vllm18Fp8KVCacheDataTypeE1EhLi32ELi64ELi256ELb0ELi7EEvPKT_PKT0_S8_ifPKiSA_SA_iPKfiiiPfSD_PS3_PT2_iSC_SC_, .Lfunc_end1194-_Z39paged_attention_ll4mi_QKV_mfma16_kernelI14__hip_bfloat16hLN4vllm18Fp8KVCacheDataTypeE1EhLi32ELi64ELi256ELb0ELi7EEvPKT_PKT0_S8_ifPKiSA_SA_iPKfiiiPfSD_PS3_PT2_iSC_SC_
                                        ; -- End function
	.section	.AMDGPU.csdata,"",@progbits
; Kernel info:
; codeLenInByte = 4928
; NumSgprs: 56
; NumVgprs: 54
; NumAgprs: 0
; TotalNumVgprs: 54
; ScratchSize: 0
; MemoryBound: 0
; FloatMode: 240
; IeeeMode: 1
; LDSByteSize: 8192 bytes/workgroup (compile time only)
; SGPRBlocks: 6
; VGPRBlocks: 6
; NumSGPRsForWavesPerEU: 56
; NumVGPRsForWavesPerEU: 54
; AccumOffset: 56
; Occupancy: 8
; WaveLimiterHint : 1
; COMPUTE_PGM_RSRC2:SCRATCH_EN: 0
; COMPUTE_PGM_RSRC2:USER_SGPR: 2
; COMPUTE_PGM_RSRC2:TRAP_HANDLER: 0
; COMPUTE_PGM_RSRC2:TGID_X_EN: 1
; COMPUTE_PGM_RSRC2:TGID_Y_EN: 1
; COMPUTE_PGM_RSRC2:TGID_Z_EN: 1
; COMPUTE_PGM_RSRC2:TIDIG_COMP_CNT: 0
; COMPUTE_PGM_RSRC3_GFX90A:ACCUM_OFFSET: 13
; COMPUTE_PGM_RSRC3_GFX90A:TG_SPLIT: 0
	.section	.text._Z39paged_attention_ll4mi_QKV_mfma16_kernelI14__hip_bfloat16hLN4vllm18Fp8KVCacheDataTypeE1EhLi32ELi64ELi256ELb0ELi8EEvPKT_PKT0_S8_ifPKiSA_SA_iPKfiiiPfSD_PS3_PT2_iSC_SC_,"axG",@progbits,_Z39paged_attention_ll4mi_QKV_mfma16_kernelI14__hip_bfloat16hLN4vllm18Fp8KVCacheDataTypeE1EhLi32ELi64ELi256ELb0ELi8EEvPKT_PKT0_S8_ifPKiSA_SA_iPKfiiiPfSD_PS3_PT2_iSC_SC_,comdat
	.protected	_Z39paged_attention_ll4mi_QKV_mfma16_kernelI14__hip_bfloat16hLN4vllm18Fp8KVCacheDataTypeE1EhLi32ELi64ELi256ELb0ELi8EEvPKT_PKT0_S8_ifPKiSA_SA_iPKfiiiPfSD_PS3_PT2_iSC_SC_ ; -- Begin function _Z39paged_attention_ll4mi_QKV_mfma16_kernelI14__hip_bfloat16hLN4vllm18Fp8KVCacheDataTypeE1EhLi32ELi64ELi256ELb0ELi8EEvPKT_PKT0_S8_ifPKiSA_SA_iPKfiiiPfSD_PS3_PT2_iSC_SC_
	.globl	_Z39paged_attention_ll4mi_QKV_mfma16_kernelI14__hip_bfloat16hLN4vllm18Fp8KVCacheDataTypeE1EhLi32ELi64ELi256ELb0ELi8EEvPKT_PKT0_S8_ifPKiSA_SA_iPKfiiiPfSD_PS3_PT2_iSC_SC_
	.p2align	8
	.type	_Z39paged_attention_ll4mi_QKV_mfma16_kernelI14__hip_bfloat16hLN4vllm18Fp8KVCacheDataTypeE1EhLi32ELi64ELi256ELb0ELi8EEvPKT_PKT0_S8_ifPKiSA_SA_iPKfiiiPfSD_PS3_PT2_iSC_SC_,@function
_Z39paged_attention_ll4mi_QKV_mfma16_kernelI14__hip_bfloat16hLN4vllm18Fp8KVCacheDataTypeE1EhLi32ELi64ELi256ELb0ELi8EEvPKT_PKT0_S8_ifPKiSA_SA_iPKfiiiPfSD_PS3_PT2_iSC_SC_: ; @_Z39paged_attention_ll4mi_QKV_mfma16_kernelI14__hip_bfloat16hLN4vllm18Fp8KVCacheDataTypeE1EhLi32ELi64ELi256ELb0ELi8EEvPKT_PKT0_S8_ifPKiSA_SA_iPKfiiiPfSD_PS3_PT2_iSC_SC_
; %bb.0:
	s_load_dwordx2 s[12:13], s[0:1], 0x30
	s_mov_b32 s28, s3
	s_mov_b64 s[6:7], 0
	s_waitcnt lgkmcnt(0)
	s_cmp_lg_u64 s[12:13], 0
	s_cselect_b64 s[14:15], -1, 0
	s_and_b64 vcc, exec, s[14:15]
	s_cbranch_vccz .LBB1195_7
; %bb.1:
	s_add_i32 s8, s2, 1
	s_mov_b32 s9, 0
	s_lshl_b64 s[10:11], s[8:9], 2
	s_add_u32 s10, s12, s10
	s_mov_b32 s3, s9
	s_addc_u32 s11, s13, s11
	s_lshl_b64 s[8:9], s[2:3], 2
	s_add_u32 s8, s12, s8
	s_addc_u32 s9, s13, s9
	s_load_dword s5, s[10:11], 0x0
	s_load_dword s16, s[8:9], 0x0
	s_waitcnt lgkmcnt(0)
	s_sub_i32 s5, s5, s16
	s_cmp_eq_u32 s5, 1
	s_cselect_b64 s[8:9], -1, 0
	s_andn2_b64 vcc, exec, s[6:7]
	s_cbranch_vccnz .LBB1195_3
.LBB1195_2:
	s_mov_b32 s3, 0
	s_mov_b64 s[8:9], -1
.LBB1195_3:
	s_andn2_b64 vcc, exec, s[8:9]
	s_cbranch_vccnz .LBB1195_17
; %bb.4:
	s_load_dwordx2 s[6:7], s[0:1], 0x28
	s_lshl_b64 s[16:17], s[2:3], 2
	s_waitcnt lgkmcnt(0)
	s_add_u32 s6, s6, s16
	s_addc_u32 s7, s7, s17
	s_load_dword s48, s[6:7], 0x0
	s_lshl_b32 s5, s28, 8
	s_waitcnt lgkmcnt(0)
	s_cmp_ge_i32 s5, s48
	s_cbranch_scc1 .LBB1195_17
; %bb.5:
	s_load_dwordx2 s[6:7], s[0:1], 0x20
	s_load_dword s8, s[0:1], 0x38
	s_add_i32 s9, s48, 31
	s_ashr_i32 s10, s9, 31
	v_and_b32_e32 v1, 0xcf, v0
	s_lshr_b32 s10, s10, 27
	v_add_u32_e32 v1, s5, v1
	s_add_i32 s9, s9, s10
	v_ashrrev_i32_e32 v2, 31, v1
	s_ashr_i32 s18, s9, 5
	v_lshrrev_b32_e32 v4, 27, v2
	s_add_i32 s18, s18, -1
	s_waitcnt lgkmcnt(0)
	s_mul_i32 s8, s2, s8
	s_mov_b32 s9, 0
	v_add_u32_e32 v2, v1, v4
	s_lshl_b64 s[8:9], s[8:9], 2
	v_ashrrev_i32_e32 v2, 5, v2
	v_mov_b32_e32 v5, s18
	v_cmp_gt_i32_e32 vcc, s48, v1
	s_add_u32 s6, s6, s8
	s_addc_u32 s7, s7, s9
	v_cndmask_b32_e32 v2, v5, v2, vcc
	v_ashrrev_i32_e32 v3, 31, v2
	v_lshl_add_u64 v[6:7], v[2:3], 2, s[6:7]
	v_or_b32_e32 v2, 16, v1
	v_add_u32_e32 v3, v2, v4
	v_ashrrev_i32_e32 v3, 5, v3
	v_cmp_gt_i32_e32 vcc, s48, v2
	s_load_dwordx4 s[8:11], s[0:1], 0x8
	s_nop 0
	v_cndmask_b32_e32 v2, v5, v3, vcc
	v_ashrrev_i32_e32 v3, 31, v2
	v_lshl_add_u64 v[8:9], v[2:3], 2, s[6:7]
	v_or_b32_e32 v2, 32, v1
	v_add_u32_e32 v3, v2, v4
	v_ashrrev_i32_e32 v3, 5, v3
	v_cmp_gt_i32_e32 vcc, s48, v2
	v_or_b32_e32 v1, 48, v1
	s_nop 0
	v_cndmask_b32_e32 v2, v5, v3, vcc
	v_ashrrev_i32_e32 v3, 31, v2
	v_lshl_add_u64 v[10:11], v[2:3], 2, s[6:7]
	v_add_u32_e32 v2, v1, v4
	v_ashrrev_i32_e32 v2, 5, v2
	v_cmp_gt_i32_e32 vcc, s48, v1
	s_nop 1
	v_cndmask_b32_e32 v2, v5, v2, vcc
	v_ashrrev_i32_e32 v3, 31, v2
	v_lshl_add_u64 v[12:13], v[2:3], 2, s[6:7]
	global_load_dword v2, v[6:7], off
	global_load_dword v5, v[8:9], off
	;; [unrolled: 1-line block ×4, first 2 shown]
	s_andn2_b64 vcc, exec, s[14:15]
	s_cbranch_vccnz .LBB1195_8
; %bb.6:
	s_add_u32 s12, s12, s16
	s_addc_u32 s13, s13, s17
	s_load_dword s14, s[12:13], 0x0
	s_branch .LBB1195_9
.LBB1195_7:
	s_mov_b64 s[8:9], 0
	s_branch .LBB1195_2
.LBB1195_8:
	s_mov_b32 s14, s2
.LBB1195_9:
	s_load_dwordx4 s[44:47], s[0:1], 0x48
	v_and_b32_e32 v43, 15, v0
	s_movk_i32 s12, 0x80
	v_lshlrev_b32_e32 v3, 3, v43
	v_cmp_gt_u32_e32 vcc, s12, v0
	v_cmp_gt_u32_e64 s[30:31], 8, v43
	v_lshrrev_b32_e32 v41, 6, v0
	v_and_b32_e32 v42, 63, v0
	v_bfe_u32 v1, v0, 4, 2
	s_lshl_b32 s29, s4, 3
	s_and_b64 s[16:17], vcc, s[30:31]
	v_lshlrev_b32_e32 v26, 1, v3
	v_lshlrev_b32_e32 v40, 4, v0
	s_and_saveexec_b64 s[12:13], s[16:17]
	s_cbranch_execz .LBB1195_11
; %bb.10:
	s_load_dwordx2 s[16:17], s[0:1], 0x0
	s_waitcnt lgkmcnt(0)
	s_ashr_i32 s15, s44, 31
	s_mul_hi_u32 s19, s14, s44
	s_mul_i32 s15, s14, s15
	s_add_i32 s15, s19, s15
	s_mul_i32 s14, s14, s44
	v_lshl_or_b32 v3, v41, 2, v1
	s_lshl_b64 s[14:15], s[14:15], 1
	s_add_u32 s14, s16, s14
	v_add_lshl_u32 v6, v3, s29, 6
	s_addc_u32 s15, s17, s15
	v_ashrrev_i32_e32 v7, 31, v6
	v_lshl_add_u64 v[6:7], v[6:7], 1, s[14:15]
	v_mov_b32_e32 v27, 0
	v_lshl_add_u64 v[6:7], v[6:7], 0, v[26:27]
	global_load_dwordx4 v[6:9], v[6:7], off
	v_lshlrev_b32_e32 v11, 8, v43
	v_lshlrev_b32_e32 v3, 5, v3
	v_and_b32_e32 v10, 16, v40
	v_and_b32_e32 v11, 0xe00, v11
	v_or3_b32 v3, v11, v3, v10
	s_waitcnt vmcnt(0)
	ds_write_b128 v3, v[6:9]
.LBB1195_11:
	s_or_b64 exec, exec, s[12:13]
	s_waitcnt lgkmcnt(0)
	s_mul_i32 s4, s4, s46
	s_add_u32 s8, s8, s4
	s_addc_u32 s9, s9, 0
	v_mov_b32_e32 v29, 0
	v_mov_b64_e32 v[18:19], s[8:9]
	v_and_b32_e32 v8, 48, v0
	s_waitcnt vmcnt(3)
	v_mad_i64_i32 v[6:7], s[8:9], v2, s45, v[18:19]
	v_lshlrev_b32_e32 v2, 4, v43
	v_mov_b32_e32 v3, v29
	v_lshlrev_b32_e32 v28, 5, v8
	v_lshl_add_u64 v[6:7], v[6:7], 0, v[2:3]
	v_lshl_add_u64 v[6:7], v[6:7], 0, v[28:29]
	s_load_dword s33, s[0:1], 0x98
	s_load_dwordx4 s[40:43], s[0:1], 0x80
	s_waitcnt lgkmcnt(0)
	s_barrier
	global_load_dwordx4 v[10:13], v[6:7], off
	s_waitcnt vmcnt(3)
	v_mad_i64_i32 v[6:7], s[8:9], v5, s45, v[18:19]
	v_or_b32_e32 v30, 0x100, v2
	v_mov_b32_e32 v31, v29
	v_lshl_add_u64 v[6:7], v[6:7], 0, v[30:31]
	v_lshl_add_u64 v[6:7], v[6:7], 0, v[28:29]
	global_load_dwordx4 v[14:17], v[6:7], off
	s_ashr_i32 s8, s5, 31
	v_or_b32_e32 v21, s5, v8
	s_lshr_b32 s12, s8, 27
	v_add_u32_e32 v5, s12, v21
	v_ashrrev_i32_e32 v5, 5, v5
	v_mov_b32_e32 v33, s18
	v_cmp_gt_i32_e32 vcc, s48, v21
	v_or_b32_e32 v34, 64, v21
	v_or_b32_e32 v35, 0x80, v21
	v_cndmask_b32_e32 v8, v33, v5, vcc
	v_and_b32_e32 v5, 7, v0
	v_lshlrev_b32_e32 v5, 5, v5
	v_lshl_or_b32 v32, v1, 9, v5
	s_waitcnt vmcnt(3)
	v_mad_i64_i32 v[4:5], s[8:9], v4, s45, v[18:19]
	v_lshl_add_u64 v[2:3], v[4:5], 0, v[2:3]
	v_lshl_add_u64 v[2:3], v[2:3], 0, v[28:29]
	global_load_dwordx4 v[22:25], v[2:3], off
	v_ashrrev_i32_e32 v9, 31, v8
	v_lshl_add_u64 v[8:9], v[8:9], 2, s[6:7]
	s_waitcnt vmcnt(3)
	v_mad_i64_i32 v[18:19], s[8:9], v20, s45, v[18:19]
	v_add_u32_e32 v20, s12, v34
	global_load_dword v47, v[8:9], off
	ds_read_b128 v[6:9], v32
	ds_read_b128 v[2:5], v32 offset:16
	v_add_u32_e32 v32, s12, v35
	v_lshl_add_u64 v[18:19], v[18:19], 0, v[30:31]
	v_ashrrev_i32_e32 v20, 5, v20
	v_cmp_gt_i32_e32 vcc, s48, v34
	v_or_b32_e32 v21, 0xc0, v21
	v_ashrrev_i32_e32 v31, 5, v32
	v_lshl_add_u64 v[18:19], v[18:19], 0, v[28:29]
	v_cndmask_b32_e32 v30, v33, v20, vcc
	v_cmp_gt_i32_e32 vcc, s48, v35
	v_add_u32_e32 v36, s12, v21
	v_ashrrev_i32_e32 v36, 5, v36
	v_cndmask_b32_e32 v32, v33, v31, vcc
	v_cmp_gt_i32_e32 vcc, s48, v21
	global_load_dwordx4 v[18:21], v[18:19], off
	v_ashrrev_i32_e32 v31, 31, v30
	v_cndmask_b32_e32 v34, v33, v36, vcc
	v_ashrrev_i32_e32 v33, 31, v32
	v_ashrrev_i32_e32 v35, 31, v34
	v_lshl_add_u64 v[30:31], v[30:31], 2, s[6:7]
	v_lshl_add_u64 v[32:33], v[32:33], 2, s[6:7]
	;; [unrolled: 1-line block ×3, first 2 shown]
	global_load_dword v46, v[30:31], off
	global_load_dword v44, v[32:33], off
	global_load_dword v45, v[34:35], off
	s_mov_b32 s44, 0x7060302
	s_add_u32 s8, s10, s4
	v_lshlrev_b32_e32 v27, 5, v43
	s_addc_u32 s9, s11, 0
	v_and_b32_e32 v28, 16, v0
	v_lshl_add_u64 v[36:37], s[8:9], 0, v[28:29]
	v_lshl_or_b32 v28, v41, 9, v27
	v_lshl_add_u64 v[28:29], v[36:37], 0, v[28:29]
	s_load_dword s13, s[0:1], 0x1c
	s_load_dword s4, s[40:41], 0x0
	s_mov_b32 s46, 0xff7fffff
	s_waitcnt vmcnt(7)
	v_cvt_pk_f32_fp8_e32 v[30:31], v10
	v_cvt_pk_f32_fp8_sdwa v[32:33], v10 src0_sel:WORD_1
	v_cvt_pk_f32_fp8_e32 v[34:35], v11
	v_cvt_pk_f32_fp8_sdwa v[10:11], v11 src0_sel:WORD_1
	v_perm_b32 v30, v31, v30, s44
	v_perm_b32 v31, v33, v32, s44
	v_cvt_pk_f32_fp8_e32 v[36:37], v12
	v_cvt_pk_f32_fp8_sdwa v[38:39], v12 src0_sel:WORD_1
	v_perm_b32 v34, v35, v34, s44
	v_perm_b32 v35, v11, v10, s44
	s_waitcnt lgkmcnt(0)
	v_mfma_f32_16x16x16_bf16 v[30:33], v[30:31], v[6:7], 0
	v_cvt_pk_f32_fp8_e32 v[48:49], v13
	v_cvt_pk_f32_fp8_sdwa v[12:13], v13 src0_sel:WORD_1
	v_perm_b32 v36, v37, v36, s44
	v_perm_b32 v37, v39, v38, s44
	v_mfma_f32_16x16x16_bf16 v[30:33], v[34:35], v[8:9], v[30:33]
	v_perm_b32 v34, v49, v48, s44
	v_perm_b32 v35, v13, v12, s44
	s_waitcnt vmcnt(6)
	v_cvt_pk_f32_fp8_e32 v[12:13], v14
	v_mfma_f32_16x16x16_bf16 v[30:33], v[36:37], v[2:3], v[30:33]
	v_cvt_pk_f32_fp8_sdwa v[36:37], v14 src0_sel:WORD_1
	v_cvt_pk_f32_fp8_sdwa v[38:39], v16 src0_sel:WORD_1
	v_perm_b32 v12, v13, v12, s44
	v_mfma_f32_16x16x16_bf16 v[30:33], v[34:35], v[4:5], v[30:33]
	v_cvt_pk_f32_fp8_e32 v[34:35], v15
	v_perm_b32 v13, v37, v36, s44
	v_cvt_pk_f32_fp8_sdwa v[14:15], v15 src0_sel:WORD_1
	v_cvt_pk_f32_fp8_e32 v[36:37], v16
	v_perm_b32 v34, v35, v34, s44
	s_waitcnt vmcnt(5)
	v_cvt_pk_f32_fp8_e32 v[48:49], v24
	v_perm_b32 v35, v15, v14, s44
	v_mfma_f32_16x16x16_bf16 v[12:15], v[12:13], v[6:7], 0
	v_perm_b32 v36, v37, v36, s44
	v_perm_b32 v37, v39, v38, s44
	v_cvt_pk_f32_fp8_e32 v[38:39], v17
	v_cvt_pk_f32_fp8_sdwa v[16:17], v17 src0_sel:WORD_1
	v_mfma_f32_16x16x16_bf16 v[12:15], v[34:35], v[8:9], v[12:15]
	v_cvt_pk_f32_fp8_sdwa v[50:51], v24 src0_sel:WORD_1
	v_perm_b32 v34, v39, v38, s44
	v_perm_b32 v35, v17, v16, s44
	v_mfma_f32_16x16x16_bf16 v[12:15], v[36:37], v[2:3], v[12:15]
	v_cvt_pk_f32_fp8_e32 v[16:17], v22
	v_cvt_pk_f32_fp8_sdwa v[36:37], v22 src0_sel:WORD_1
	s_waitcnt vmcnt(4)
	v_mad_i64_i32 v[10:11], s[6:7], v47, s45, v[28:29]
	v_mfma_f32_16x16x16_bf16 v[12:15], v[34:35], v[4:5], v[12:15]
	v_cvt_pk_f32_fp8_e32 v[34:35], v23
	v_perm_b32 v16, v17, v16, s44
	v_perm_b32 v17, v37, v36, s44
	v_cvt_pk_f32_fp8_sdwa v[22:23], v23 src0_sel:WORD_1
	v_perm_b32 v38, v35, v34, s44
	v_mfma_f32_16x16x16_bf16 v[34:37], v[16:17], v[6:7], 0
	v_perm_b32 v39, v23, v22, s44
	v_perm_b32 v16, v49, v48, s44
	;; [unrolled: 1-line block ×3, first 2 shown]
	v_cvt_pk_f32_fp8_e32 v[48:49], v25
	v_cvt_pk_f32_fp8_sdwa v[24:25], v25 src0_sel:WORD_1
	v_mfma_f32_16x16x16_bf16 v[34:37], v[38:39], v[8:9], v[34:37]
	v_mov_b32_e32 v47, s13
	v_mul_f32_e32 v52, s4, v47
	v_perm_b32 v39, v25, v24, s44
	v_mfma_f32_16x16x16_bf16 v[34:37], v[16:17], v[2:3], v[34:37]
	s_waitcnt vmcnt(3)
	v_cvt_pk_f32_fp8_e32 v[16:17], v18
	v_cvt_pk_f32_fp8_sdwa v[24:25], v18 src0_sel:WORD_1
	v_perm_b32 v38, v49, v48, s44
	v_pk_mul_f32 v[22:23], v[52:53], v[32:33] op_sel_hi:[0,1]
	v_pk_mul_f32 v[32:33], v[52:53], v[30:31] op_sel_hi:[0,1]
	v_cvt_pk_f32_fp8_e32 v[30:31], v19
	v_perm_b32 v16, v17, v16, s44
	v_perm_b32 v17, v25, v24, s44
	v_cvt_pk_f32_fp8_sdwa v[18:19], v19 src0_sel:WORD_1
	v_mfma_f32_16x16x16_bf16 v[48:51], v[38:39], v[4:5], v[34:37]
	v_perm_b32 v24, v31, v30, s44
	v_cvt_pk_f32_fp8_e32 v[30:31], v20
	v_perm_b32 v25, v19, v18, s44
	v_cvt_pk_f32_fp8_sdwa v[34:35], v20 src0_sel:WORD_1
	v_mfma_f32_16x16x16_bf16 v[16:19], v[16:17], v[6:7], 0
	v_perm_b32 v30, v31, v30, s44
	v_cvt_pk_f32_fp8_e32 v[36:37], v21
	v_perm_b32 v31, v35, v34, s44
	v_cvt_pk_f32_fp8_sdwa v[20:21], v21 src0_sel:WORD_1
	v_mfma_f32_16x16x16_bf16 v[6:9], v[24:25], v[8:9], v[16:19]
	v_pk_mul_f32 v[34:35], v[52:53], v[14:15] op_sel_hi:[0,1]
	v_perm_b32 v14, v37, v36, s44
	v_perm_b32 v15, v21, v20, s44
	v_mfma_f32_16x16x16_bf16 v[6:9], v[30:31], v[2:3], v[6:9]
	v_pk_mul_f32 v[38:39], v[52:53], v[12:13] op_sel_hi:[0,1]
	v_pk_mul_f32 v[36:37], v[52:53], v[48:49] op_sel_hi:[0,1]
	;; [unrolled: 1-line block ×3, first 2 shown]
	v_mfma_f32_16x16x16_bf16 v[2:5], v[14:15], v[4:5], v[6:9]
	s_nop 6
	v_pk_mul_f32 v[24:25], v[52:53], v[2:3] op_sel_hi:[0,1]
	v_and_b32_e32 v2, 0xc0, v0
	v_add_u32_e32 v2, s5, v2
	v_lshl_or_b32 v2, v1, 2, v2
	v_pk_mul_f32 v[18:19], v[52:53], v[4:5] op_sel_hi:[0,1]
	v_or_b32_e32 v5, 1, v2
	v_mov_b32_e32 v3, 0xff7fffff
	v_cmp_gt_i32_e64 s[4:5], s48, v2
	v_cmp_gt_i32_e64 s[34:35], s48, v5
	v_or_b32_e32 v6, 3, v2
	v_cndmask_b32_e64 v4, v3, v32, s[4:5]
	v_cndmask_b32_e64 v5, v3, v33, s[34:35]
	v_max3_f32 v4, v4, s46, v5
	v_or_b32_e32 v5, 2, v2
	v_cmp_gt_i32_e64 s[36:37], s48, v5
	v_cmp_gt_i32_e64 s[38:39], s48, v6
	s_nop 0
	v_cndmask_b32_e64 v5, v3, v22, s[36:37]
	v_cndmask_b32_e64 v6, v3, v23, s[38:39]
	v_max3_f32 v4, v4, v5, v6
	v_or_b32_e32 v5, 16, v2
	v_or_b32_e32 v6, 17, v2
	v_cmp_gt_i32_e64 s[24:25], s48, v5
	v_cmp_gt_i32_e64 s[26:27], s48, v6
	s_nop 0
	v_cndmask_b32_e64 v5, v3, v38, s[24:25]
	v_cndmask_b32_e64 v6, v3, v39, s[26:27]
	v_max3_f32 v4, v4, v5, v6
	v_or_b32_e32 v5, 18, v2
	;; [unrolled: 8-line block ×6, first 2 shown]
	v_or_b32_e32 v2, 51, v2
	v_cmp_gt_i32_e32 vcc, s48, v5
	v_cmp_gt_i32_e64 s[6:7], s48, v2
	s_nop 0
	v_cndmask_b32_e32 v5, v3, v18, vcc
	v_cndmask_b32_e64 v2, v3, v19, s[6:7]
	v_max3_f32 v4, v4, v5, v2
	v_mbcnt_lo_u32_b32 v2, -1, 0
	v_mbcnt_hi_u32_b32 v5, -1, v2
	v_and_b32_e32 v2, 64, v5
	v_add_u32_e32 v6, 64, v2
	v_xor_b32_e32 v2, 32, v5
	v_cmp_lt_i32_e64 s[40:41], v2, v6
	s_nop 1
	v_cndmask_b32_e64 v2, v5, v2, s[40:41]
	v_lshlrev_b32_e32 v47, 2, v2
	ds_bpermute_b32 v7, v47, v4
	s_waitcnt vmcnt(2)
	v_mad_i64_i32 v[2:3], s[40:41], v46, s45, v[28:29]
	global_load_dwordx4 v[14:17], v[10:11], off
	s_nop 0
	global_load_dwordx4 v[10:13], v[2:3], off
	v_xor_b32_e32 v3, 16, v5
	v_cmp_lt_i32_e64 s[40:41], v3, v6
	s_waitcnt lgkmcnt(0)
	v_max_f32_e32 v2, v7, v7
	v_max_f32_e32 v2, v4, v2
	v_cndmask_b32_e64 v3, v5, v3, s[40:41]
	v_lshlrev_b32_e32 v46, 2, v3
	ds_bpermute_b32 v3, v46, v2
	s_waitcnt vmcnt(3)
	v_mad_i64_i32 v[20:21], s[40:41], v44, s45, v[28:29]
	s_waitcnt vmcnt(2)
	v_mad_i64_i32 v[28:29], s[40:41], v45, s45, v[28:29]
	s_waitcnt lgkmcnt(0)
	v_max_f32_e32 v3, v3, v3
	v_max_f32_e32 v44, v2, v3
	v_sub_f32_e32 v2, v32, v44
	v_mul_f32_e32 v2, 0x3fb8aa3b, v2
	v_exp_f32_e32 v32, v2
	v_sub_f32_e32 v2, v33, v44
	v_mul_f32_e32 v2, 0x3fb8aa3b, v2
	v_exp_f32_e32 v33, v2
	global_load_dwordx4 v[6:9], v[20:21], off
	global_load_dwordx4 v[2:5], v[28:29], off
	v_sub_f32_e32 v22, v22, v44
	v_mul_f32_e32 v22, 0x3fb8aa3b, v22
	v_sub_f32_e32 v23, v23, v44
	v_exp_f32_e32 v22, v22
	v_mul_f32_e32 v23, 0x3fb8aa3b, v23
	v_exp_f32_e32 v23, v23
	v_cndmask_b32_e64 v20, 0, v32, s[4:5]
	v_add_f32_e32 v28, 0, v20
	v_cndmask_b32_e64 v21, 0, v33, s[34:35]
	v_add_f32_e32 v28, v28, v21
	;; [unrolled: 2-line block ×3, first 2 shown]
	v_cndmask_b32_e64 v33, 0, v23, s[38:39]
	v_sub_f32_e32 v23, v38, v44
	v_sub_f32_e32 v28, v39, v44
	v_mul_f32_e32 v23, 0x3fb8aa3b, v23
	v_mul_f32_e32 v28, 0x3fb8aa3b, v28
	v_exp_f32_e32 v23, v23
	v_exp_f32_e32 v28, v28
	v_add_f32_e32 v29, v22, v33
	v_sub_f32_e32 v30, v30, v44
	v_cndmask_b32_e64 v22, 0, v23, s[24:25]
	v_cndmask_b32_e64 v23, 0, v28, s[26:27]
	v_sub_f32_e32 v28, v34, v44
	v_mul_f32_e32 v28, 0x3fb8aa3b, v28
	v_exp_f32_e32 v28, v28
	v_sub_f32_e32 v34, v35, v44
	v_add_f32_e32 v29, v29, v22
	v_mul_f32_e32 v34, 0x3fb8aa3b, v34
	v_exp_f32_e32 v35, v34
	v_add_f32_e32 v29, v29, v23
	v_cndmask_b32_e64 v34, 0, v28, s[20:21]
	v_add_f32_e32 v28, v29, v34
	v_sub_f32_e32 v29, v36, v44
	v_mul_f32_e32 v29, 0x3fb8aa3b, v29
	v_sub_f32_e32 v36, v37, v44
	v_exp_f32_e32 v29, v29
	v_mul_f32_e32 v36, 0x3fb8aa3b, v36
	v_exp_f32_e32 v36, v36
	v_mul_f32_e32 v30, 0x3fb8aa3b, v30
	v_sub_f32_e32 v31, v31, v44
	v_exp_f32_e32 v30, v30
	v_mul_f32_e32 v31, 0x3fb8aa3b, v31
	v_sub_f32_e32 v24, v24, v44
	v_cndmask_b32_e64 v35, 0, v35, s[22:23]
	v_exp_f32_e32 v31, v31
	v_mul_f32_e32 v24, 0x3fb8aa3b, v24
	v_sub_f32_e32 v25, v25, v44
	v_add_f32_e32 v37, v28, v35
	v_cndmask_b32_e64 v28, 0, v29, s[16:17]
	v_exp_f32_e32 v24, v24
	v_mul_f32_e32 v25, 0x3fb8aa3b, v25
	v_sub_f32_e32 v18, v18, v44
	v_add_f32_e32 v37, v37, v28
	;; [unrolled: 5-line block ×3, first 2 shown]
	v_cndmask_b32_e64 v30, 0, v30, s[12:13]
	v_exp_f32_e32 v18, v18
	v_mul_f32_e32 v19, 0x3fb8aa3b, v19
	v_add_f32_e32 v36, v36, v30
	v_cndmask_b32_e64 v31, 0, v31, s[14:15]
	v_exp_f32_e32 v19, v19
	v_add_f32_e32 v36, v36, v31
	v_cndmask_b32_e64 v24, 0, v24, s[8:9]
	v_add_f32_e32 v36, v36, v24
	v_cndmask_b32_e64 v25, 0, v25, s[10:11]
	v_add_f32_e32 v36, v36, v25
	v_cndmask_b32_e32 v18, 0, v18, vcc
	v_add_f32_e32 v36, v36, v18
	v_cndmask_b32_e64 v19, 0, v19, s[6:7]
	v_add_f32_e32 v36, v36, v19
	ds_bpermute_b32 v37, v47, v36
	v_cmp_gt_u32_e32 vcc, 16, v42
	s_waitcnt lgkmcnt(0)
	s_barrier
	v_add_f32_e32 v36, v36, v37
	ds_bpermute_b32 v38, v46, v36
	v_lshlrev_b32_e32 v37, 2, v43
	s_and_saveexec_b64 s[4:5], vcc
	s_cbranch_execz .LBB1195_13
; %bb.12:
	s_waitcnt lgkmcnt(0)
	v_add_f32_e32 v36, v36, v38
	v_lshl_or_b32 v38, v41, 6, v37
	ds_write2st64_b32 v38, v44, v36 offset1:1
.LBB1195_13:
	s_or_b64 exec, exec, s[4:5]
	s_load_dword s6, s[0:1], 0x94
	s_waitcnt lgkmcnt(0)
	s_barrier
	ds_read2_b32 v[38:39], v37 offset1:16
	ds_read2_b32 v[42:43], v37 offset0:32 offset1:48
	ds_read2_b32 v[44:45], v37 offset0:64 offset1:80
	s_movk_i32 s8, 0x7fff
	s_lshl_b32 s7, s33, 3
	s_waitcnt lgkmcnt(2)
	v_max3_f32 v36, v38, s46, v39
	s_waitcnt lgkmcnt(1)
	v_max3_f32 v36, v36, v42, v43
	v_sub_f32_e32 v38, v38, v36
	v_mul_f32_e32 v38, 0x3fb8aa3b, v38
	v_exp_f32_e32 v46, v38
	v_sub_f32_e32 v38, v39, v36
	v_mul_f32_e32 v38, 0x3fb8aa3b, v38
	v_exp_f32_e32 v47, v38
	;; [unrolled: 3-line block ×3, first 2 shown]
	ds_read2_b32 v[38:39], v37 offset0:96 offset1:112
	v_sub_f32_e32 v37, v43, v36
	v_mul_f32_e32 v37, 0x3fb8aa3b, v37
	v_exp_f32_e32 v43, v37
	s_waitcnt lgkmcnt(1)
	v_fma_f32 v37, v46, v44, 0
	v_fmac_f32_e32 v37, v47, v45
	s_waitcnt lgkmcnt(0)
	v_fmac_f32_e32 v37, v42, v38
	v_fmac_f32_e32 v37, v43, v39
	v_add_f32_e32 v38, 0x358637bd, v37
	v_div_scale_f32 v39, s[4:5], v38, v38, 1.0
	v_rcp_f32_e32 v44, v39
	s_barrier
	v_fma_f32 v45, -v39, v44, 1.0
	v_fmac_f32_e32 v44, v45, v44
	v_div_scale_f32 v45, vcc, 1.0, v38, 1.0
	v_mul_f32_e32 v48, v45, v44
	v_fma_f32 v49, -v39, v48, v45
	v_fmac_f32_e32 v48, v49, v44
	v_fma_f32 v39, -v39, v48, v45
	v_div_fmas_f32 v39, v39, v44, v48
	v_cmp_eq_u32_e32 vcc, 1, v41
	v_div_fixup_f32 v38, v39, v38, 1.0
	s_nop 0
	v_cndmask_b32_e32 v39, v46, v47, vcc
	v_cmp_eq_u32_e32 vcc, 2, v41
	s_nop 1
	v_cndmask_b32_e32 v39, v39, v42, vcc
	v_cmp_eq_u32_e32 vcc, 3, v41
	s_nop 1
	v_cndmask_b32_e32 v39, v39, v43, vcc
	v_mul_f32_e32 v38, v39, v38
	v_pk_mul_f32 v[20:21], v[38:39], v[20:21] op_sel_hi:[0,1]
	v_pk_mul_f32 v[32:33], v[38:39], v[32:33] op_sel_hi:[0,1]
	v_bfe_u32 v39, v21, 16, 1
	v_bfe_u32 v42, v20, 16, 1
	v_add3_u32 v20, v20, v42, s8
	v_add3_u32 v21, v21, v39, s8
	v_perm_b32 v42, v21, v20, s44
	v_bfe_u32 v20, v33, 16, 1
	v_bfe_u32 v21, v32, 16, 1
	v_add3_u32 v21, v32, v21, s8
	v_add3_u32 v20, v33, v20, s8
	v_perm_b32 v43, v20, v21, s44
	v_lshlrev_b32_e32 v20, 3, v1
	v_lshlrev_b32_e32 v21, 11, v41
	v_pk_mul_f32 v[22:23], v[38:39], v[22:23] op_sel_hi:[0,1]
	v_or3_b32 v20, v21, v27, v20
	v_pk_mul_f32 v[32:33], v[38:39], v[34:35] op_sel_hi:[0,1]
	v_bfe_u32 v21, v23, 16, 1
	v_bfe_u32 v34, v22, 16, 1
	v_add3_u32 v22, v22, v34, s8
	v_add3_u32 v21, v23, v21, s8
	v_perm_b32 v22, v21, v22, s44
	v_bfe_u32 v21, v33, 16, 1
	v_bfe_u32 v23, v32, 16, 1
	v_add3_u32 v23, v32, v23, s8
	v_add3_u32 v21, v33, v21, s8
	v_perm_b32 v23, v21, v23, s44
	v_pk_mul_f32 v[28:29], v[38:39], v[28:29] op_sel_hi:[0,1]
	ds_write2st64_b64 v20, v[42:43], v[22:23] offset1:1
	v_pk_mul_f32 v[22:23], v[38:39], v[30:31] op_sel_hi:[0,1]
	v_bfe_u32 v21, v29, 16, 1
	v_bfe_u32 v30, v28, 16, 1
	v_add3_u32 v28, v28, v30, s8
	v_add3_u32 v21, v29, v21, s8
	v_perm_b32 v28, v21, v28, s44
	v_bfe_u32 v21, v23, 16, 1
	v_bfe_u32 v29, v22, 16, 1
	v_add3_u32 v22, v22, v29, s8
	v_add3_u32 v21, v23, v21, s8
	v_perm_b32 v29, v21, v22, s44
	v_pk_mul_f32 v[22:23], v[38:39], v[24:25] op_sel_hi:[0,1]
	v_bfe_u32 v21, v23, 16, 1
	v_bfe_u32 v24, v22, 16, 1
	v_pk_mul_f32 v[18:19], v[38:39], v[18:19] op_sel_hi:[0,1]
	v_add3_u32 v22, v22, v24, s8
	v_add3_u32 v21, v23, v21, s8
	v_perm_b32 v22, v21, v22, s44
	v_bfe_u32 v21, v19, 16, 1
	v_bfe_u32 v23, v18, 16, 1
	v_add3_u32 v18, v18, v23, s8
	v_add3_u32 v19, v19, v21, s8
	v_perm_b32 v23, v19, v18, s44
	v_cmp_gt_u32_e32 vcc, 8, v0
	ds_write2st64_b64 v20, v[28:29], v[22:23] offset0:2 offset1:3
	s_and_saveexec_b64 s[4:5], vcc
	s_cbranch_execz .LBB1195_15
; %bb.14:
	v_or_b32_e32 v18, s29, v0
	v_mov_b32_e32 v19, 0
	v_mov_b32_e32 v21, s7
	v_mad_u64_u32 v[22:23], s[10:11], s2, v21, v[18:19]
	v_mov_b32_e32 v18, s28
	s_load_dwordx4 s[12:15], s[0:1], 0x58
	s_mul_i32 s3, s3, s7
	v_mad_u64_u32 v[18:19], s[10:11], v22, s6, v[18:19]
	v_add_u32_e32 v21, s3, v23
	v_mov_b32_e32 v22, v19
	v_mad_u64_u32 v[22:23], s[10:11], v21, s6, v[22:23]
	v_mov_b32_e32 v19, v22
	v_lshlrev_b64 v[18:19], 2, v[18:19]
	s_waitcnt lgkmcnt(0)
	v_lshl_add_u64 v[22:23], s[14:15], 0, v[18:19]
	v_lshl_add_u64 v[18:19], s[12:13], 0, v[18:19]
	global_store_dword v[22:23], v36, off
	global_store_dword v[18:19], v37, off
.LBB1195_15:
	s_or_b64 exec, exec, s[4:5]
	s_waitcnt vmcnt(3)
	v_cvt_pk_f32_fp8_e32 v[18:19], v14
	v_cvt_pk_f32_fp8_sdwa v[22:23], v14 src0_sel:WORD_1
	s_mov_b32 s4, 0x7060302
	v_lshl_or_b32 v14, v1, 9, v27
	s_waitcnt lgkmcnt(0)
	s_barrier
	v_perm_b32 v18, v19, v18, s4
	v_perm_b32 v19, v23, v22, s4
	v_cvt_pk_f32_fp8_e32 v[28:29], v15
	ds_read_b128 v[22:25], v14
	v_cvt_pk_f32_fp8_sdwa v[36:37], v15 src0_sel:WORD_1
	s_load_dword s10, s[42:43], 0x0
	v_perm_b32 v38, v29, v28, s4
	ds_read_b128 v[28:31], v14 offset:16
	v_perm_b32 v39, v37, v36, s4
	s_waitcnt lgkmcnt(0)
	v_mfma_f32_16x16x16_bf16 v[32:35], v[18:19], v[22:23], 0
	v_cvt_pk_f32_fp8_e32 v[18:19], v16
	v_cvt_pk_f32_fp8_sdwa v[36:37], v16 src0_sel:WORD_1
	v_cmp_gt_u32_e32 vcc, 64, v0
	v_mfma_f32_16x16x16_bf16 v[22:25], v[38:39], v[24:25], v[32:35]
	v_perm_b32 v18, v19, v18, s4
	v_perm_b32 v19, v37, v36, s4
	s_waitcnt vmcnt(2)
	v_cvt_pk_f32_fp8_sdwa v[36:37], v10 src0_sel:WORD_1
	v_cvt_pk_f32_fp8_e32 v[32:33], v17
	v_cvt_pk_f32_fp8_sdwa v[16:17], v17 src0_sel:WORD_1
	v_cvt_pk_f32_fp8_e32 v[34:35], v10
	s_mov_b32 s3, 0
	v_perm_b32 v32, v33, v32, s4
	v_perm_b32 v33, v17, v16, s4
	v_mfma_f32_16x16x16_bf16 v[16:19], v[18:19], v[28:29], v[22:25]
	v_perm_b32 v34, v35, v34, s4
	v_perm_b32 v35, v37, v36, s4
	v_cvt_pk_f32_fp8_e32 v[28:29], v11
	ds_read_b128 v[22:25], v14 offset:2048
	v_cvt_pk_f32_fp8_sdwa v[10:11], v11 src0_sel:WORD_1
	v_mfma_f32_16x16x16_bf16 v[16:19], v[32:33], v[30:31], v[16:19]
	v_perm_b32 v32, v29, v28, s4
	ds_read_b128 v[28:31], v14 offset:2064
	v_perm_b32 v33, v11, v10, s4
	s_waitcnt lgkmcnt(1)
	v_mfma_f32_16x16x16_bf16 v[16:19], v[34:35], v[22:23], v[16:19]
	v_cvt_pk_f32_fp8_e32 v[10:11], v12
	v_cvt_pk_f32_fp8_sdwa v[22:23], v12 src0_sel:WORD_1
	v_mov_b32_e32 v27, 0
	v_mfma_f32_16x16x16_bf16 v[16:19], v[32:33], v[24:25], v[16:19]
	v_cvt_pk_f32_fp8_e32 v[24:25], v13
	v_perm_b32 v10, v11, v10, s4
	v_perm_b32 v11, v23, v22, s4
	v_cvt_pk_f32_fp8_sdwa v[12:13], v13 src0_sel:WORD_1
	v_perm_b32 v22, v25, v24, s4
	s_waitcnt vmcnt(1)
	v_cvt_pk_f32_fp8_e32 v[24:25], v6
	v_cvt_pk_f32_fp8_sdwa v[32:33], v6 src0_sel:WORD_1
	v_perm_b32 v23, v13, v12, s4
	s_waitcnt lgkmcnt(0)
	v_mfma_f32_16x16x16_bf16 v[10:13], v[10:11], v[28:29], v[16:19]
	v_perm_b32 v28, v25, v24, s4
	v_perm_b32 v29, v33, v32, s4
	v_cvt_pk_f32_fp8_e32 v[24:25], v7
	ds_read_b128 v[16:19], v14 offset:4096
	v_cvt_pk_f32_fp8_sdwa v[6:7], v7 src0_sel:WORD_1
	v_mfma_f32_16x16x16_bf16 v[10:13], v[22:23], v[30:31], v[10:13]
	v_perm_b32 v30, v25, v24, s4
	ds_read_b128 v[22:25], v14 offset:4112
	v_perm_b32 v31, v7, v6, s4
	s_waitcnt lgkmcnt(1)
	v_mfma_f32_16x16x16_bf16 v[10:13], v[28:29], v[16:17], v[10:13]
	v_cvt_pk_f32_fp8_e32 v[6:7], v8
	v_cvt_pk_f32_fp8_sdwa v[16:17], v8 src0_sel:WORD_1
	s_waitcnt vmcnt(0)
	v_cvt_pk_f32_fp8_sdwa v[28:29], v2 src0_sel:WORD_1
	v_mfma_f32_16x16x16_bf16 v[10:13], v[30:31], v[18:19], v[10:13]
	v_cvt_pk_f32_fp8_e32 v[18:19], v9
	v_perm_b32 v6, v7, v6, s4
	v_perm_b32 v7, v17, v16, s4
	v_cvt_pk_f32_fp8_sdwa v[8:9], v9 src0_sel:WORD_1
	v_perm_b32 v16, v19, v18, s4
	v_cvt_pk_f32_fp8_e32 v[18:19], v2
	v_perm_b32 v17, v9, v8, s4
	s_waitcnt lgkmcnt(0)
	v_mfma_f32_16x16x16_bf16 v[6:9], v[6:7], v[22:23], v[10:13]
	v_perm_b32 v18, v19, v18, s4
	v_perm_b32 v19, v29, v28, s4
	v_cvt_pk_f32_fp8_e32 v[22:23], v3
	ds_read_b128 v[10:13], v14 offset:6144
	v_cvt_pk_f32_fp8_sdwa v[2:3], v3 src0_sel:WORD_1
	v_mfma_f32_16x16x16_bf16 v[6:9], v[16:17], v[24:25], v[6:9]
	v_perm_b32 v22, v23, v22, s4
	ds_read_b128 v[14:17], v14 offset:6160
	v_perm_b32 v23, v3, v2, s4
	s_waitcnt lgkmcnt(1)
	v_mfma_f32_16x16x16_bf16 v[6:9], v[18:19], v[10:11], v[6:9]
	v_cvt_pk_f32_fp8_e32 v[2:3], v4
	v_cvt_pk_f32_fp8_sdwa v[10:11], v4 src0_sel:WORD_1
	s_waitcnt lgkmcnt(0)
	v_mfma_f32_16x16x16_bf16 v[6:9], v[22:23], v[12:13], v[6:9]
	v_perm_b32 v2, v3, v2, s4
	v_perm_b32 v3, v11, v10, s4
	v_cvt_pk_f32_fp8_e32 v[10:11], v5
	v_cvt_pk_f32_fp8_sdwa v[4:5], v5 src0_sel:WORD_1
	s_barrier
	v_perm_b32 v10, v11, v10, s4
	v_perm_b32 v11, v5, v4, s4
	v_mfma_f32_16x16x16_bf16 v[2:5], v[2:3], v[14:15], v[6:9]
	s_nop 0
	v_mfma_f32_16x16x16_bf16 v[2:5], v[10:11], v[16:17], v[2:5]
	s_nop 6
	v_pk_mul_f32 v[2:3], v[2:3], s[10:11] op_sel_hi:[1,0]
	v_pk_mul_f32 v[4:5], v[4:5], s[10:11] op_sel_hi:[1,0]
	v_bfe_u32 v6, v3, 16, 1
	v_bfe_u32 v7, v2, 16, 1
	v_add3_u32 v2, v2, v7, s8
	v_add3_u32 v3, v3, v6, s8
	v_perm_b32 v2, v3, v2, s4
	v_bfe_u32 v3, v5, 16, 1
	v_bfe_u32 v6, v4, 16, 1
	v_add3_u32 v4, v4, v6, s8
	v_add3_u32 v3, v5, v3, s8
	v_perm_b32 v3, v3, v4, s4
	s_and_b64 s[4:5], vcc, s[30:31]
	ds_write_b64 v20, v[2:3]
	s_waitcnt lgkmcnt(0)
	s_barrier
	s_and_saveexec_b64 s[8:9], s[4:5]
	s_cbranch_execz .LBB1195_17
; %bb.16:
	s_load_dwordx2 s[0:1], s[0:1], 0x68
	s_lshl_b32 s6, s6, 6
	s_mul_i32 s2, s7, s2
	s_mul_hi_u32 s5, s2, s6
	s_mul_i32 s4, s2, s6
	s_lshl_b64 s[4:5], s[4:5], 1
	v_lshlrev_b32_e32 v0, 10, v0
	s_waitcnt lgkmcnt(0)
	s_add_u32 s4, s0, s4
	v_and_b32_e32 v0, 0x1800, v0
	v_lshlrev_b32_e32 v2, 5, v1
	v_and_b32_e32 v3, 16, v40
	s_addc_u32 s5, s1, s5
	s_lshl_b32 s2, s28, 6
	v_or3_b32 v0, v0, v2, v3
	s_lshl_b64 s[0:1], s[2:3], 1
	ds_read_b128 v[2:5], v0
	ds_read_b128 v[6:9], v0 offset:128
	s_add_u32 s0, s4, s0
	s_addc_u32 s1, s5, s1
	v_or_b32_e32 v12, s29, v1
	v_lshl_add_u64 v[10:11], s[0:1], 0, v[26:27]
	v_mad_u64_u32 v[0:1], s[0:1], v12, s6, 0
	v_lshl_add_u64 v[0:1], v[0:1], 1, v[10:11]
	s_waitcnt lgkmcnt(1)
	global_store_dwordx4 v[0:1], v[2:5], off
	v_or_b32_e32 v0, 4, v12
	v_mad_u64_u32 v[0:1], s[0:1], v0, s6, 0
	v_lshl_add_u64 v[0:1], v[0:1], 1, v[10:11]
	s_waitcnt lgkmcnt(0)
	global_store_dwordx4 v[0:1], v[6:9], off
.LBB1195_17:
	s_endpgm
	.section	.rodata,"a",@progbits
	.p2align	6, 0x0
	.amdhsa_kernel _Z39paged_attention_ll4mi_QKV_mfma16_kernelI14__hip_bfloat16hLN4vllm18Fp8KVCacheDataTypeE1EhLi32ELi64ELi256ELb0ELi8EEvPKT_PKT0_S8_ifPKiSA_SA_iPKfiiiPfSD_PS3_PT2_iSC_SC_
		.amdhsa_group_segment_fixed_size 8192
		.amdhsa_private_segment_fixed_size 0
		.amdhsa_kernarg_size 400
		.amdhsa_user_sgpr_count 2
		.amdhsa_user_sgpr_dispatch_ptr 0
		.amdhsa_user_sgpr_queue_ptr 0
		.amdhsa_user_sgpr_kernarg_segment_ptr 1
		.amdhsa_user_sgpr_dispatch_id 0
		.amdhsa_user_sgpr_kernarg_preload_length 0
		.amdhsa_user_sgpr_kernarg_preload_offset 0
		.amdhsa_user_sgpr_private_segment_size 0
		.amdhsa_uses_dynamic_stack 0
		.amdhsa_enable_private_segment 0
		.amdhsa_system_sgpr_workgroup_id_x 1
		.amdhsa_system_sgpr_workgroup_id_y 1
		.amdhsa_system_sgpr_workgroup_id_z 1
		.amdhsa_system_sgpr_workgroup_info 0
		.amdhsa_system_vgpr_workitem_id 0
		.amdhsa_next_free_vgpr 54
		.amdhsa_next_free_sgpr 49
		.amdhsa_accum_offset 56
		.amdhsa_reserve_vcc 1
		.amdhsa_float_round_mode_32 0
		.amdhsa_float_round_mode_16_64 0
		.amdhsa_float_denorm_mode_32 3
		.amdhsa_float_denorm_mode_16_64 3
		.amdhsa_dx10_clamp 1
		.amdhsa_ieee_mode 1
		.amdhsa_fp16_overflow 0
		.amdhsa_tg_split 0
		.amdhsa_exception_fp_ieee_invalid_op 0
		.amdhsa_exception_fp_denorm_src 0
		.amdhsa_exception_fp_ieee_div_zero 0
		.amdhsa_exception_fp_ieee_overflow 0
		.amdhsa_exception_fp_ieee_underflow 0
		.amdhsa_exception_fp_ieee_inexact 0
		.amdhsa_exception_int_div_zero 0
	.end_amdhsa_kernel
	.section	.text._Z39paged_attention_ll4mi_QKV_mfma16_kernelI14__hip_bfloat16hLN4vllm18Fp8KVCacheDataTypeE1EhLi32ELi64ELi256ELb0ELi8EEvPKT_PKT0_S8_ifPKiSA_SA_iPKfiiiPfSD_PS3_PT2_iSC_SC_,"axG",@progbits,_Z39paged_attention_ll4mi_QKV_mfma16_kernelI14__hip_bfloat16hLN4vllm18Fp8KVCacheDataTypeE1EhLi32ELi64ELi256ELb0ELi8EEvPKT_PKT0_S8_ifPKiSA_SA_iPKfiiiPfSD_PS3_PT2_iSC_SC_,comdat
.Lfunc_end1195:
	.size	_Z39paged_attention_ll4mi_QKV_mfma16_kernelI14__hip_bfloat16hLN4vllm18Fp8KVCacheDataTypeE1EhLi32ELi64ELi256ELb0ELi8EEvPKT_PKT0_S8_ifPKiSA_SA_iPKfiiiPfSD_PS3_PT2_iSC_SC_, .Lfunc_end1195-_Z39paged_attention_ll4mi_QKV_mfma16_kernelI14__hip_bfloat16hLN4vllm18Fp8KVCacheDataTypeE1EhLi32ELi64ELi256ELb0ELi8EEvPKT_PKT0_S8_ifPKiSA_SA_iPKfiiiPfSD_PS3_PT2_iSC_SC_
                                        ; -- End function
	.section	.AMDGPU.csdata,"",@progbits
; Kernel info:
; codeLenInByte = 4884
; NumSgprs: 55
; NumVgprs: 54
; NumAgprs: 0
; TotalNumVgprs: 54
; ScratchSize: 0
; MemoryBound: 0
; FloatMode: 240
; IeeeMode: 1
; LDSByteSize: 8192 bytes/workgroup (compile time only)
; SGPRBlocks: 6
; VGPRBlocks: 6
; NumSGPRsForWavesPerEU: 55
; NumVGPRsForWavesPerEU: 54
; AccumOffset: 56
; Occupancy: 8
; WaveLimiterHint : 1
; COMPUTE_PGM_RSRC2:SCRATCH_EN: 0
; COMPUTE_PGM_RSRC2:USER_SGPR: 2
; COMPUTE_PGM_RSRC2:TRAP_HANDLER: 0
; COMPUTE_PGM_RSRC2:TGID_X_EN: 1
; COMPUTE_PGM_RSRC2:TGID_Y_EN: 1
; COMPUTE_PGM_RSRC2:TGID_Z_EN: 1
; COMPUTE_PGM_RSRC2:TIDIG_COMP_CNT: 0
; COMPUTE_PGM_RSRC3_GFX90A:ACCUM_OFFSET: 13
; COMPUTE_PGM_RSRC3_GFX90A:TG_SPLIT: 0
	.section	.text._Z39paged_attention_ll4mi_QKV_mfma16_kernelI14__hip_bfloat16hLN4vllm18Fp8KVCacheDataTypeE1EhLi32ELi64ELi256ELb0ELi9EEvPKT_PKT0_S8_ifPKiSA_SA_iPKfiiiPfSD_PS3_PT2_iSC_SC_,"axG",@progbits,_Z39paged_attention_ll4mi_QKV_mfma16_kernelI14__hip_bfloat16hLN4vllm18Fp8KVCacheDataTypeE1EhLi32ELi64ELi256ELb0ELi9EEvPKT_PKT0_S8_ifPKiSA_SA_iPKfiiiPfSD_PS3_PT2_iSC_SC_,comdat
	.protected	_Z39paged_attention_ll4mi_QKV_mfma16_kernelI14__hip_bfloat16hLN4vllm18Fp8KVCacheDataTypeE1EhLi32ELi64ELi256ELb0ELi9EEvPKT_PKT0_S8_ifPKiSA_SA_iPKfiiiPfSD_PS3_PT2_iSC_SC_ ; -- Begin function _Z39paged_attention_ll4mi_QKV_mfma16_kernelI14__hip_bfloat16hLN4vllm18Fp8KVCacheDataTypeE1EhLi32ELi64ELi256ELb0ELi9EEvPKT_PKT0_S8_ifPKiSA_SA_iPKfiiiPfSD_PS3_PT2_iSC_SC_
	.globl	_Z39paged_attention_ll4mi_QKV_mfma16_kernelI14__hip_bfloat16hLN4vllm18Fp8KVCacheDataTypeE1EhLi32ELi64ELi256ELb0ELi9EEvPKT_PKT0_S8_ifPKiSA_SA_iPKfiiiPfSD_PS3_PT2_iSC_SC_
	.p2align	8
	.type	_Z39paged_attention_ll4mi_QKV_mfma16_kernelI14__hip_bfloat16hLN4vllm18Fp8KVCacheDataTypeE1EhLi32ELi64ELi256ELb0ELi9EEvPKT_PKT0_S8_ifPKiSA_SA_iPKfiiiPfSD_PS3_PT2_iSC_SC_,@function
_Z39paged_attention_ll4mi_QKV_mfma16_kernelI14__hip_bfloat16hLN4vllm18Fp8KVCacheDataTypeE1EhLi32ELi64ELi256ELb0ELi9EEvPKT_PKT0_S8_ifPKiSA_SA_iPKfiiiPfSD_PS3_PT2_iSC_SC_: ; @_Z39paged_attention_ll4mi_QKV_mfma16_kernelI14__hip_bfloat16hLN4vllm18Fp8KVCacheDataTypeE1EhLi32ELi64ELi256ELb0ELi9EEvPKT_PKT0_S8_ifPKiSA_SA_iPKfiiiPfSD_PS3_PT2_iSC_SC_
; %bb.0:
	s_load_dwordx2 s[12:13], s[0:1], 0x30
	s_mov_b32 s28, s3
	s_mov_b64 s[6:7], 0
	s_waitcnt lgkmcnt(0)
	s_cmp_lg_u64 s[12:13], 0
	s_cselect_b64 s[14:15], -1, 0
	s_and_b64 vcc, exec, s[14:15]
	s_cbranch_vccz .LBB1196_7
; %bb.1:
	s_add_i32 s8, s2, 1
	s_mov_b32 s9, 0
	s_lshl_b64 s[10:11], s[8:9], 2
	s_add_u32 s10, s12, s10
	s_mov_b32 s3, s9
	s_addc_u32 s11, s13, s11
	s_lshl_b64 s[8:9], s[2:3], 2
	s_add_u32 s8, s12, s8
	s_addc_u32 s9, s13, s9
	s_load_dword s5, s[10:11], 0x0
	s_load_dword s16, s[8:9], 0x0
	s_waitcnt lgkmcnt(0)
	s_sub_i32 s5, s5, s16
	s_cmp_eq_u32 s5, 1
	s_cselect_b64 s[8:9], -1, 0
	s_andn2_b64 vcc, exec, s[6:7]
	s_cbranch_vccnz .LBB1196_3
.LBB1196_2:
	s_mov_b32 s3, 0
	s_mov_b64 s[8:9], -1
.LBB1196_3:
	s_andn2_b64 vcc, exec, s[8:9]
	s_cbranch_vccnz .LBB1196_18
; %bb.4:
	s_load_dwordx2 s[6:7], s[0:1], 0x28
	s_lshl_b64 s[16:17], s[2:3], 2
	s_waitcnt lgkmcnt(0)
	s_add_u32 s6, s6, s16
	s_addc_u32 s7, s7, s17
	s_load_dword s33, s[6:7], 0x0
	s_lshl_b32 s5, s28, 8
	s_waitcnt lgkmcnt(0)
	s_cmp_ge_i32 s5, s33
	s_cbranch_scc1 .LBB1196_18
; %bb.5:
	s_load_dwordx2 s[6:7], s[0:1], 0x20
	s_load_dword s8, s[0:1], 0x38
	s_add_i32 s9, s33, 31
	s_ashr_i32 s10, s9, 31
	v_and_b32_e32 v1, 0xcf, v0
	s_lshr_b32 s10, s10, 27
	v_add_u32_e32 v1, s5, v1
	s_add_i32 s9, s9, s10
	v_ashrrev_i32_e32 v2, 31, v1
	s_ashr_i32 s18, s9, 5
	v_lshrrev_b32_e32 v4, 27, v2
	s_add_i32 s18, s18, -1
	s_waitcnt lgkmcnt(0)
	s_mul_i32 s8, s2, s8
	s_mov_b32 s9, 0
	v_add_u32_e32 v2, v1, v4
	s_lshl_b64 s[8:9], s[8:9], 2
	v_ashrrev_i32_e32 v2, 5, v2
	v_mov_b32_e32 v5, s18
	v_cmp_gt_i32_e32 vcc, s33, v1
	s_add_u32 s6, s6, s8
	s_addc_u32 s7, s7, s9
	v_cndmask_b32_e32 v2, v5, v2, vcc
	v_ashrrev_i32_e32 v3, 31, v2
	v_lshl_add_u64 v[6:7], v[2:3], 2, s[6:7]
	v_or_b32_e32 v2, 16, v1
	v_add_u32_e32 v3, v2, v4
	v_ashrrev_i32_e32 v3, 5, v3
	v_cmp_gt_i32_e32 vcc, s33, v2
	s_load_dwordx4 s[8:11], s[0:1], 0x8
	s_nop 0
	v_cndmask_b32_e32 v2, v5, v3, vcc
	v_ashrrev_i32_e32 v3, 31, v2
	v_lshl_add_u64 v[8:9], v[2:3], 2, s[6:7]
	v_or_b32_e32 v2, 32, v1
	v_add_u32_e32 v3, v2, v4
	v_ashrrev_i32_e32 v3, 5, v3
	v_cmp_gt_i32_e32 vcc, s33, v2
	v_or_b32_e32 v1, 48, v1
	s_nop 0
	v_cndmask_b32_e32 v2, v5, v3, vcc
	v_ashrrev_i32_e32 v3, 31, v2
	v_lshl_add_u64 v[10:11], v[2:3], 2, s[6:7]
	v_add_u32_e32 v2, v1, v4
	v_ashrrev_i32_e32 v2, 5, v2
	v_cmp_gt_i32_e32 vcc, s33, v1
	s_nop 1
	v_cndmask_b32_e32 v2, v5, v2, vcc
	v_ashrrev_i32_e32 v3, 31, v2
	v_lshl_add_u64 v[12:13], v[2:3], 2, s[6:7]
	global_load_dword v2, v[6:7], off
	global_load_dword v5, v[8:9], off
	;; [unrolled: 1-line block ×4, first 2 shown]
	s_andn2_b64 vcc, exec, s[14:15]
	s_cbranch_vccnz .LBB1196_8
; %bb.6:
	s_add_u32 s12, s12, s16
	s_addc_u32 s13, s13, s17
	s_load_dword s14, s[12:13], 0x0
	s_branch .LBB1196_9
.LBB1196_7:
	s_mov_b64 s[8:9], 0
	s_branch .LBB1196_2
.LBB1196_8:
	s_mov_b32 s14, s2
.LBB1196_9:
	s_load_dwordx4 s[44:47], s[0:1], 0x48
	v_lshrrev_b32_e32 v29, 6, v0
	v_bfe_u32 v42, v0, 4, 2
	v_lshl_or_b32 v3, v29, 2, v42
	v_and_b32_e32 v28, 15, v0
	v_lshlrev_b32_e32 v1, 3, v28
	v_cmp_gt_u32_e32 vcc, 9, v3
	v_cmp_gt_u32_e64 s[30:31], 8, v28
	v_and_b32_e32 v43, 63, v0
	s_mul_i32 s48, s4, 9
	s_and_b64 s[16:17], s[30:31], vcc
	v_lshlrev_b32_e32 v26, 1, v1
	v_lshlrev_b32_e32 v1, 4, v0
	s_and_saveexec_b64 s[12:13], s[16:17]
	s_cbranch_execz .LBB1196_11
; %bb.10:
	s_load_dwordx2 s[16:17], s[0:1], 0x0
	s_waitcnt lgkmcnt(0)
	s_ashr_i32 s15, s44, 31
	s_mul_hi_u32 s19, s14, s44
	s_mul_i32 s15, s14, s15
	s_add_i32 s15, s19, s15
	s_mul_i32 s14, s14, s44
	s_lshl_b64 s[14:15], s[14:15], 1
	s_add_u32 s14, s16, s14
	v_add_lshl_u32 v6, v3, s48, 6
	s_addc_u32 s15, s17, s15
	v_ashrrev_i32_e32 v7, 31, v6
	v_lshl_add_u64 v[6:7], v[6:7], 1, s[14:15]
	v_mov_b32_e32 v27, 0
	v_lshl_add_u64 v[6:7], v[6:7], 0, v[26:27]
	global_load_dwordx4 v[6:9], v[6:7], off
	v_lshlrev_b32_e32 v11, 8, v28
	v_lshlrev_b32_e32 v3, 5, v3
	v_and_b32_e32 v10, 16, v1
	v_and_b32_e32 v11, 0xe00, v11
	v_or3_b32 v3, v11, v3, v10
	s_waitcnt vmcnt(0)
	ds_write_b128 v3, v[6:9]
.LBB1196_11:
	s_or_b64 exec, exec, s[12:13]
	s_waitcnt lgkmcnt(0)
	s_mul_i32 s4, s4, s46
	s_add_u32 s8, s8, s4
	s_addc_u32 s9, s9, 0
	v_mov_b32_e32 v31, 0
	v_mov_b64_e32 v[18:19], s[8:9]
	v_and_b32_e32 v8, 48, v0
	s_waitcnt vmcnt(3)
	v_mad_i64_i32 v[6:7], s[8:9], v2, s45, v[18:19]
	v_lshlrev_b32_e32 v2, 4, v28
	v_mov_b32_e32 v3, v31
	v_lshlrev_b32_e32 v30, 5, v8
	v_lshl_add_u64 v[6:7], v[6:7], 0, v[2:3]
	v_lshl_add_u64 v[6:7], v[6:7], 0, v[30:31]
	s_load_dword s29, s[0:1], 0x98
	s_load_dwordx4 s[40:43], s[0:1], 0x80
	s_waitcnt lgkmcnt(0)
	s_barrier
	global_load_dwordx4 v[10:13], v[6:7], off
	s_waitcnt vmcnt(3)
	v_mad_i64_i32 v[6:7], s[8:9], v5, s45, v[18:19]
	v_or_b32_e32 v32, 0x100, v2
	v_mov_b32_e32 v33, v31
	v_lshl_add_u64 v[6:7], v[6:7], 0, v[32:33]
	v_lshl_add_u64 v[6:7], v[6:7], 0, v[30:31]
	global_load_dwordx4 v[14:17], v[6:7], off
	s_ashr_i32 s8, s5, 31
	v_or_b32_e32 v5, s5, v8
	s_lshr_b32 s12, s8, 27
	v_add_u32_e32 v8, s12, v5
	v_ashrrev_i32_e32 v8, 5, v8
	v_mov_b32_e32 v21, s18
	v_cmp_gt_i32_e32 vcc, s33, v5
	v_or_b32_e32 v34, 64, v5
	v_or_b32_e32 v35, 0x80, v5
	v_cndmask_b32_e32 v8, v21, v8, vcc
	v_ashrrev_i32_e32 v9, 31, v8
	v_lshl_add_u64 v[8:9], v[8:9], 2, s[6:7]
	global_load_dword v50, v[8:9], off
	v_or_b32_e32 v36, 0xc0, v5
	s_waitcnt vmcnt(4)
	v_mad_i64_i32 v[4:5], s[8:9], v4, s45, v[18:19]
	v_lshl_add_u64 v[2:3], v[4:5], 0, v[2:3]
	v_lshl_add_u64 v[2:3], v[2:3], 0, v[30:31]
	global_load_dwordx4 v[22:25], v[2:3], off
	v_add_u32_e32 v6, -9, v28
	v_cmp_gt_u32_e32 vcc, 9, v28
	s_waitcnt vmcnt(4)
	v_mad_i64_i32 v[18:19], s[8:9], v20, s45, v[18:19]
	v_add_u32_e32 v20, s12, v34
	v_cndmask_b32_e32 v6, v6, v28, vcc
	v_add_u32_e32 v37, s12, v35
	v_ashrrev_i32_e32 v20, 5, v20
	v_cmp_gt_i32_e32 vcc, s33, v34
	v_lshlrev_b32_e32 v6, 5, v6
	v_add_u32_e32 v38, s12, v36
	v_lshl_add_u64 v[18:19], v[18:19], 0, v[32:33]
	v_ashrrev_i32_e32 v33, 5, v37
	v_cndmask_b32_e32 v32, v21, v20, vcc
	v_cmp_gt_i32_e32 vcc, s33, v35
	v_lshl_add_u32 v2, v42, 9, v6
	v_ashrrev_i32_e32 v37, 5, v38
	v_lshl_add_u64 v[18:19], v[18:19], 0, v[30:31]
	v_cndmask_b32_e32 v34, v21, v33, vcc
	v_cmp_gt_i32_e32 vcc, s33, v36
	ds_read_b128 v[6:9], v2
	ds_read_b128 v[2:5], v2 offset:16
	v_cndmask_b32_e32 v36, v21, v37, vcc
	global_load_dwordx4 v[18:21], v[18:19], off
	v_ashrrev_i32_e32 v33, 31, v32
	v_ashrrev_i32_e32 v35, 31, v34
	v_lshl_add_u64 v[40:41], v[32:33], 2, s[6:7]
	v_lshl_add_u64 v[44:45], v[34:35], 2, s[6:7]
	s_add_u32 s8, s10, s4
	v_lshlrev_b32_e32 v27, 5, v28
	s_addc_u32 s9, s11, 0
	v_and_b32_e32 v30, 16, v0
	s_mov_b32 s44, 0x7060302
	v_lshl_add_u64 v[38:39], s[8:9], 0, v[30:31]
	v_lshl_or_b32 v30, v29, 9, v27
	v_lshl_add_u64 v[30:31], v[38:39], 0, v[30:31]
	v_ashrrev_i32_e32 v37, 31, v36
	v_lshl_add_u64 v[36:37], v[36:37], 2, s[6:7]
	s_load_dword s13, s[0:1], 0x1c
	s_mov_b32 s46, 0xff7fffff
	s_waitcnt vmcnt(4)
	v_cvt_pk_f32_fp8_e32 v[32:33], v10
	v_cvt_pk_f32_fp8_sdwa v[34:35], v10 src0_sel:WORD_1
	v_cvt_pk_f32_fp8_e32 v[38:39], v11
	v_cvt_pk_f32_fp8_sdwa v[10:11], v11 src0_sel:WORD_1
	v_perm_b32 v32, v33, v32, s44
	v_perm_b32 v33, v35, v34, s44
	;; [unrolled: 1-line block ×4, first 2 shown]
	v_cvt_pk_f32_fp8_e32 v[46:47], v12
	v_cvt_pk_f32_fp8_sdwa v[48:49], v12 src0_sel:WORD_1
	s_waitcnt lgkmcnt(0)
	v_mfma_f32_16x16x16_bf16 v[32:35], v[32:33], v[6:7], 0
	global_load_dword v12, v[40:41], off
	s_nop 0
	global_load_dword v44, v[44:45], off
	s_nop 0
	global_load_dword v45, v[36:37], off
	v_perm_b32 v36, v47, v46, s44
	v_perm_b32 v37, v49, v48, s44
	v_mfma_f32_16x16x16_bf16 v[32:35], v[38:39], v[8:9], v[32:35]
	v_cvt_pk_f32_fp8_e32 v[38:39], v13
	v_cvt_pk_f32_fp8_sdwa v[40:41], v13 src0_sel:WORD_1
	s_waitcnt vmcnt(6)
	v_cvt_pk_f32_fp8_e32 v[46:47], v16
	v_mfma_f32_16x16x16_bf16 v[32:35], v[36:37], v[2:3], v[32:35]
	v_perm_b32 v38, v39, v38, s44
	v_perm_b32 v39, v41, v40, s44
	v_cvt_pk_f32_fp8_e32 v[36:37], v14
	v_cvt_pk_f32_fp8_sdwa v[40:41], v14 src0_sel:WORD_1
	v_mfma_f32_16x16x16_bf16 v[32:35], v[38:39], v[4:5], v[32:35]
	v_cvt_pk_f32_fp8_e32 v[38:39], v15
	v_perm_b32 v36, v37, v36, s44
	v_perm_b32 v37, v41, v40, s44
	v_cvt_pk_f32_fp8_sdwa v[14:15], v15 src0_sel:WORD_1
	v_perm_b32 v40, v39, v38, s44
	v_cvt_pk_f32_fp8_sdwa v[48:49], v16 src0_sel:WORD_1
	v_mfma_f32_16x16x16_bf16 v[36:39], v[36:37], v[6:7], 0
	v_perm_b32 v41, v15, v14, s44
	s_waitcnt vmcnt(5)
	v_mad_i64_i32 v[10:11], s[6:7], v50, s45, v[30:31]
	v_perm_b32 v46, v47, v46, s44
	v_perm_b32 v47, v49, v48, s44
	v_cvt_pk_f32_fp8_e32 v[48:49], v17
	v_cvt_pk_f32_fp8_sdwa v[50:51], v17 src0_sel:WORD_1
	v_mfma_f32_16x16x16_bf16 v[14:17], v[40:41], v[8:9], v[36:39]
	s_waitcnt vmcnt(4)
	v_cvt_pk_f32_fp8_sdwa v[40:41], v22 src0_sel:WORD_1
	s_load_dword s4, s[40:41], 0x0
	v_mov_b32_e32 v13, s13
	v_perm_b32 v36, v49, v48, s44
	v_perm_b32 v37, v51, v50, s44
	v_mfma_f32_16x16x16_bf16 v[14:17], v[46:47], v[2:3], v[14:17]
	v_cvt_pk_f32_fp8_e32 v[38:39], v22
	v_cvt_pk_f32_fp8_e32 v[46:47], v24
	v_cvt_pk_f32_fp8_sdwa v[48:49], v24 src0_sel:WORD_1
	v_mfma_f32_16x16x16_bf16 v[14:17], v[36:37], v[4:5], v[14:17]
	v_cvt_pk_f32_fp8_e32 v[36:37], v23
	v_perm_b32 v38, v39, v38, s44
	v_perm_b32 v39, v41, v40, s44
	v_cvt_pk_f32_fp8_sdwa v[22:23], v23 src0_sel:WORD_1
	v_perm_b32 v40, v37, v36, s44
	v_mfma_f32_16x16x16_bf16 v[36:39], v[38:39], v[6:7], 0
	v_perm_b32 v41, v23, v22, s44
	v_perm_b32 v46, v47, v46, s44
	;; [unrolled: 1-line block ×3, first 2 shown]
	v_cvt_pk_f32_fp8_e32 v[48:49], v25
	v_cvt_pk_f32_fp8_sdwa v[24:25], v25 src0_sel:WORD_1
	v_mfma_f32_16x16x16_bf16 v[36:39], v[40:41], v[8:9], v[36:39]
	s_waitcnt lgkmcnt(0)
	v_mul_f32_e32 v50, s4, v13
	v_perm_b32 v40, v49, v48, s44
	v_perm_b32 v41, v25, v24, s44
	v_pk_mul_f32 v[22:23], v[50:51], v[34:35] op_sel_hi:[0,1]
	v_mfma_f32_16x16x16_bf16 v[36:39], v[46:47], v[2:3], v[36:39]
	v_pk_mul_f32 v[34:35], v[50:51], v[32:33] op_sel_hi:[0,1]
	s_waitcnt vmcnt(3)
	v_cvt_pk_f32_fp8_e32 v[24:25], v18
	v_cvt_pk_f32_fp8_sdwa v[32:33], v18 src0_sel:WORD_1
	v_mfma_f32_16x16x16_bf16 v[46:49], v[40:41], v[4:5], v[36:39]
	v_cvt_pk_f32_fp8_e32 v[40:41], v20
	v_perm_b32 v24, v25, v24, s44
	v_perm_b32 v25, v33, v32, s44
	v_cvt_pk_f32_fp8_e32 v[36:37], v19
	v_cvt_pk_f32_fp8_sdwa v[18:19], v19 src0_sel:WORD_1
	v_cvt_pk_f32_fp8_sdwa v[52:53], v20 src0_sel:WORD_1
	v_perm_b32 v32, v37, v36, s44
	v_perm_b32 v33, v19, v18, s44
	v_mfma_f32_16x16x16_bf16 v[36:39], v[24:25], v[6:7], 0
	v_perm_b32 v18, v41, v40, s44
	v_perm_b32 v19, v53, v52, s44
	v_cvt_pk_f32_fp8_e32 v[24:25], v21
	v_cvt_pk_f32_fp8_sdwa v[20:21], v21 src0_sel:WORD_1
	v_mfma_f32_16x16x16_bf16 v[6:9], v[32:33], v[8:9], v[36:39]
	v_pk_mul_f32 v[40:41], v[50:51], v[14:15] op_sel_hi:[0,1]
	v_pk_mul_f32 v[32:33], v[50:51], v[48:49] op_sel_hi:[0,1]
	s_nop 0
	v_pk_mul_f32 v[36:37], v[50:51], v[16:17] op_sel_hi:[0,1]
	v_perm_b32 v16, v25, v24, s44
	v_perm_b32 v17, v21, v20, s44
	v_mfma_f32_16x16x16_bf16 v[6:9], v[18:19], v[2:3], v[6:9]
	v_pk_mul_f32 v[38:39], v[50:51], v[46:47] op_sel_hi:[0,1]
	v_mfma_f32_16x16x16_bf16 v[2:5], v[16:17], v[4:5], v[6:9]
	s_nop 6
	v_pk_mul_f32 v[24:25], v[50:51], v[2:3] op_sel_hi:[0,1]
	v_and_b32_e32 v2, 0xc0, v0
	v_add_u32_e32 v2, s5, v2
	v_lshl_or_b32 v2, v42, 2, v2
	v_pk_mul_f32 v[18:19], v[50:51], v[4:5] op_sel_hi:[0,1]
	v_or_b32_e32 v5, 1, v2
	v_mov_b32_e32 v3, 0xff7fffff
	v_cmp_gt_i32_e64 s[4:5], s33, v2
	v_cmp_gt_i32_e64 s[34:35], s33, v5
	v_or_b32_e32 v6, 3, v2
	v_cndmask_b32_e64 v4, v3, v34, s[4:5]
	v_cndmask_b32_e64 v5, v3, v35, s[34:35]
	v_max3_f32 v4, v4, s46, v5
	v_or_b32_e32 v5, 2, v2
	v_cmp_gt_i32_e64 s[36:37], s33, v5
	v_cmp_gt_i32_e64 s[38:39], s33, v6
	s_nop 0
	v_cndmask_b32_e64 v5, v3, v22, s[36:37]
	v_cndmask_b32_e64 v6, v3, v23, s[38:39]
	v_max3_f32 v4, v4, v5, v6
	v_or_b32_e32 v5, 16, v2
	v_or_b32_e32 v6, 17, v2
	v_cmp_gt_i32_e64 s[24:25], s33, v5
	v_cmp_gt_i32_e64 s[26:27], s33, v6
	s_nop 0
	v_cndmask_b32_e64 v5, v3, v40, s[24:25]
	v_cndmask_b32_e64 v6, v3, v41, s[26:27]
	v_max3_f32 v4, v4, v5, v6
	v_or_b32_e32 v5, 18, v2
	;; [unrolled: 8-line block ×6, first 2 shown]
	v_or_b32_e32 v2, 51, v2
	v_cmp_gt_i32_e32 vcc, s33, v5
	v_cmp_gt_i32_e64 s[6:7], s33, v2
	s_nop 0
	v_cndmask_b32_e32 v5, v3, v18, vcc
	v_cndmask_b32_e64 v2, v3, v19, s[6:7]
	v_max3_f32 v4, v4, v5, v2
	v_mbcnt_lo_u32_b32 v2, -1, 0
	v_mbcnt_hi_u32_b32 v5, -1, v2
	v_and_b32_e32 v2, 64, v5
	v_add_u32_e32 v6, 64, v2
	v_xor_b32_e32 v2, 32, v5
	v_cmp_lt_i32_e64 s[40:41], v2, v6
	s_nop 1
	v_cndmask_b32_e64 v2, v5, v2, s[40:41]
	v_lshlrev_b32_e32 v46, 2, v2
	ds_bpermute_b32 v7, v46, v4
	s_waitcnt vmcnt(2)
	v_mad_i64_i32 v[2:3], s[40:41], v12, s45, v[30:31]
	global_load_dwordx4 v[14:17], v[10:11], off
	s_nop 0
	global_load_dwordx4 v[10:13], v[2:3], off
	v_xor_b32_e32 v3, 16, v5
	v_cmp_lt_i32_e64 s[40:41], v3, v6
	s_waitcnt lgkmcnt(0)
	v_max_f32_e32 v2, v7, v7
	v_max_f32_e32 v2, v4, v2
	v_cndmask_b32_e64 v3, v5, v3, s[40:41]
	v_lshlrev_b32_e32 v47, 2, v3
	ds_bpermute_b32 v3, v47, v2
	s_waitcnt vmcnt(3)
	v_mad_i64_i32 v[20:21], s[40:41], v44, s45, v[30:31]
	s_waitcnt vmcnt(2)
	v_mad_i64_i32 v[30:31], s[40:41], v45, s45, v[30:31]
	s_waitcnt lgkmcnt(0)
	v_max_f32_e32 v3, v3, v3
	v_max_f32_e32 v44, v2, v3
	v_sub_f32_e32 v2, v34, v44
	v_mul_f32_e32 v2, 0x3fb8aa3b, v2
	v_exp_f32_e32 v34, v2
	v_sub_f32_e32 v2, v35, v44
	v_mul_f32_e32 v2, 0x3fb8aa3b, v2
	v_exp_f32_e32 v35, v2
	global_load_dwordx4 v[6:9], v[20:21], off
	global_load_dwordx4 v[2:5], v[30:31], off
	v_sub_f32_e32 v22, v22, v44
	v_mul_f32_e32 v22, 0x3fb8aa3b, v22
	v_sub_f32_e32 v23, v23, v44
	v_exp_f32_e32 v22, v22
	v_mul_f32_e32 v23, 0x3fb8aa3b, v23
	v_exp_f32_e32 v23, v23
	v_cndmask_b32_e64 v20, 0, v34, s[4:5]
	v_add_f32_e32 v30, 0, v20
	v_cndmask_b32_e64 v21, 0, v35, s[34:35]
	v_add_f32_e32 v30, v30, v21
	v_cndmask_b32_e64 v34, 0, v22, s[36:37]
	v_add_f32_e32 v22, v30, v34
	v_cndmask_b32_e64 v35, 0, v23, s[38:39]
	v_sub_f32_e32 v23, v40, v44
	v_sub_f32_e32 v30, v41, v44
	v_mul_f32_e32 v23, 0x3fb8aa3b, v23
	v_mul_f32_e32 v30, 0x3fb8aa3b, v30
	v_exp_f32_e32 v23, v23
	v_exp_f32_e32 v30, v30
	v_add_f32_e32 v31, v22, v35
	v_sub_f32_e32 v32, v32, v44
	v_cndmask_b32_e64 v22, 0, v23, s[24:25]
	v_cndmask_b32_e64 v23, 0, v30, s[26:27]
	v_sub_f32_e32 v30, v36, v44
	v_mul_f32_e32 v30, 0x3fb8aa3b, v30
	v_exp_f32_e32 v30, v30
	v_sub_f32_e32 v36, v37, v44
	v_add_f32_e32 v31, v31, v22
	v_mul_f32_e32 v36, 0x3fb8aa3b, v36
	v_exp_f32_e32 v37, v36
	v_add_f32_e32 v31, v31, v23
	v_cndmask_b32_e64 v36, 0, v30, s[20:21]
	v_add_f32_e32 v30, v31, v36
	v_sub_f32_e32 v31, v38, v44
	v_mul_f32_e32 v31, 0x3fb8aa3b, v31
	v_sub_f32_e32 v38, v39, v44
	v_exp_f32_e32 v31, v31
	v_mul_f32_e32 v38, 0x3fb8aa3b, v38
	v_exp_f32_e32 v38, v38
	v_mul_f32_e32 v32, 0x3fb8aa3b, v32
	v_sub_f32_e32 v33, v33, v44
	v_exp_f32_e32 v32, v32
	v_mul_f32_e32 v33, 0x3fb8aa3b, v33
	v_sub_f32_e32 v24, v24, v44
	v_cndmask_b32_e64 v37, 0, v37, s[22:23]
	v_exp_f32_e32 v33, v33
	v_mul_f32_e32 v24, 0x3fb8aa3b, v24
	v_sub_f32_e32 v25, v25, v44
	v_add_f32_e32 v39, v30, v37
	v_cndmask_b32_e64 v30, 0, v31, s[16:17]
	v_exp_f32_e32 v24, v24
	v_mul_f32_e32 v25, 0x3fb8aa3b, v25
	v_sub_f32_e32 v18, v18, v44
	v_add_f32_e32 v39, v39, v30
	;; [unrolled: 5-line block ×3, first 2 shown]
	v_cndmask_b32_e64 v32, 0, v32, s[12:13]
	v_exp_f32_e32 v18, v18
	v_mul_f32_e32 v19, 0x3fb8aa3b, v19
	v_add_f32_e32 v38, v38, v32
	v_cndmask_b32_e64 v33, 0, v33, s[14:15]
	v_exp_f32_e32 v19, v19
	v_add_f32_e32 v38, v38, v33
	v_cndmask_b32_e64 v24, 0, v24, s[8:9]
	v_add_f32_e32 v38, v38, v24
	v_cndmask_b32_e64 v25, 0, v25, s[10:11]
	v_add_f32_e32 v38, v38, v25
	v_cndmask_b32_e32 v18, 0, v18, vcc
	v_add_f32_e32 v38, v38, v18
	v_cndmask_b32_e64 v19, 0, v19, s[6:7]
	v_add_f32_e32 v38, v38, v19
	ds_bpermute_b32 v39, v46, v38
	v_cmp_gt_u32_e64 s[6:7], 16, v43
	s_waitcnt lgkmcnt(0)
	s_barrier
	v_add_f32_e32 v38, v38, v39
	ds_bpermute_b32 v40, v47, v38
	v_lshlrev_b32_e32 v39, 2, v28
	s_and_saveexec_b64 s[4:5], s[6:7]
	s_cbranch_execz .LBB1196_13
; %bb.12:
	s_waitcnt lgkmcnt(0)
	v_add_f32_e32 v38, v38, v40
	v_lshl_or_b32 v40, v29, 6, v39
	ds_write2st64_b32 v40, v44, v38 offset1:1
.LBB1196_13:
	s_or_b64 exec, exec, s[4:5]
	s_load_dword s8, s[0:1], 0x94
	s_waitcnt lgkmcnt(0)
	s_barrier
	ds_read2_b32 v[40:41], v39 offset1:16
	ds_read2_b32 v[44:45], v39 offset0:32 offset1:48
	ds_read2_b32 v[46:47], v39 offset0:64 offset1:80
	s_movk_i32 s10, 0x7fff
	s_mul_i32 s9, s29, 9
	s_waitcnt lgkmcnt(2)
	v_max3_f32 v38, v40, s46, v41
	s_waitcnt lgkmcnt(1)
	v_max3_f32 v38, v38, v44, v45
	v_sub_f32_e32 v40, v40, v38
	v_mul_f32_e32 v40, 0x3fb8aa3b, v40
	v_exp_f32_e32 v43, v40
	v_sub_f32_e32 v40, v41, v38
	v_mul_f32_e32 v40, 0x3fb8aa3b, v40
	v_exp_f32_e32 v48, v40
	;; [unrolled: 3-line block ×3, first 2 shown]
	ds_read2_b32 v[40:41], v39 offset0:96 offset1:112
	v_sub_f32_e32 v39, v45, v38
	v_mul_f32_e32 v39, 0x3fb8aa3b, v39
	v_exp_f32_e32 v45, v39
	s_waitcnt lgkmcnt(1)
	v_fma_f32 v39, v43, v46, 0
	v_fmac_f32_e32 v39, v48, v47
	s_waitcnt lgkmcnt(0)
	v_fmac_f32_e32 v39, v44, v40
	v_fmac_f32_e32 v39, v45, v41
	v_add_f32_e32 v40, 0x358637bd, v39
	v_div_scale_f32 v41, s[4:5], v40, v40, 1.0
	v_rcp_f32_e32 v46, v41
	s_barrier
	v_fma_f32 v47, -v41, v46, 1.0
	v_fmac_f32_e32 v46, v47, v46
	v_div_scale_f32 v47, vcc, 1.0, v40, 1.0
	v_mul_f32_e32 v49, v47, v46
	v_fma_f32 v50, -v41, v49, v47
	v_fmac_f32_e32 v49, v50, v46
	v_fma_f32 v41, -v41, v49, v47
	v_div_fmas_f32 v41, v41, v46, v49
	v_cmp_eq_u32_e32 vcc, 1, v29
	v_div_fixup_f32 v40, v41, v40, 1.0
	s_nop 0
	v_cndmask_b32_e32 v41, v43, v48, vcc
	v_cmp_eq_u32_e32 vcc, 2, v29
	s_nop 1
	v_cndmask_b32_e32 v41, v41, v44, vcc
	v_cmp_eq_u32_e32 vcc, 3, v29
	s_nop 1
	v_cndmask_b32_e32 v41, v41, v45, vcc
	v_mul_f32_e32 v40, v41, v40
	v_pk_mul_f32 v[20:21], v[40:41], v[20:21] op_sel_hi:[0,1]
	v_pk_mul_f32 v[34:35], v[40:41], v[34:35] op_sel_hi:[0,1]
	v_bfe_u32 v41, v21, 16, 1
	v_bfe_u32 v43, v20, 16, 1
	v_add3_u32 v20, v20, v43, s10
	v_add3_u32 v21, v21, v41, s10
	v_perm_b32 v44, v21, v20, s44
	v_bfe_u32 v20, v35, 16, 1
	v_bfe_u32 v21, v34, 16, 1
	v_add3_u32 v21, v34, v21, s10
	v_add3_u32 v20, v35, v20, s10
	v_perm_b32 v45, v20, v21, s44
	v_lshlrev_b32_e32 v20, 3, v42
	v_lshlrev_b32_e32 v21, 11, v29
	v_pk_mul_f32 v[22:23], v[40:41], v[22:23] op_sel_hi:[0,1]
	v_or3_b32 v20, v21, v27, v20
	v_bfe_u32 v21, v23, 16, 1
	v_bfe_u32 v29, v22, 16, 1
	v_pk_mul_f32 v[34:35], v[40:41], v[36:37] op_sel_hi:[0,1]
	v_add3_u32 v22, v22, v29, s10
	v_add3_u32 v21, v23, v21, s10
	v_perm_b32 v22, v21, v22, s44
	v_bfe_u32 v21, v35, 16, 1
	v_bfe_u32 v23, v34, 16, 1
	v_add3_u32 v23, v34, v23, s10
	v_add3_u32 v21, v35, v21, s10
	v_pk_mul_f32 v[30:31], v[40:41], v[30:31] op_sel_hi:[0,1]
	v_perm_b32 v23, v21, v23, s44
	v_bfe_u32 v21, v31, 16, 1
	v_bfe_u32 v29, v30, 16, 1
	ds_write2st64_b64 v20, v[44:45], v[22:23] offset1:1
	v_pk_mul_f32 v[22:23], v[40:41], v[32:33] op_sel_hi:[0,1]
	v_add3_u32 v29, v30, v29, s10
	v_add3_u32 v21, v31, v21, s10
	v_perm_b32 v30, v21, v29, s44
	v_bfe_u32 v21, v23, 16, 1
	v_bfe_u32 v29, v22, 16, 1
	v_add3_u32 v22, v22, v29, s10
	v_add3_u32 v21, v23, v21, s10
	v_perm_b32 v31, v21, v22, s44
	v_pk_mul_f32 v[22:23], v[40:41], v[24:25] op_sel_hi:[0,1]
	v_bfe_u32 v21, v23, 16, 1
	v_bfe_u32 v24, v22, 16, 1
	v_pk_mul_f32 v[18:19], v[40:41], v[18:19] op_sel_hi:[0,1]
	v_add3_u32 v22, v22, v24, s10
	v_add3_u32 v21, v23, v21, s10
	v_perm_b32 v22, v21, v22, s44
	v_bfe_u32 v21, v19, 16, 1
	v_bfe_u32 v23, v18, 16, 1
	v_add3_u32 v18, v18, v23, s10
	v_add3_u32 v19, v19, v21, s10
	v_perm_b32 v23, v19, v18, s44
	v_cmp_gt_u32_e32 vcc, 9, v0
	ds_write2st64_b64 v20, v[30:31], v[22:23] offset0:2 offset1:3
	s_and_saveexec_b64 s[4:5], vcc
	s_cbranch_execz .LBB1196_15
; %bb.14:
	s_mov_b32 s49, 0
	v_mov_b32_e32 v29, 0
	v_lshl_add_u64 v[18:19], s[48:49], 0, v[28:29]
	v_mov_b32_e32 v21, s9
	v_mad_u64_u32 v[18:19], s[16:17], s2, v21, v[18:19]
	s_mul_i32 s3, s3, s9
	v_mov_b32_e32 v28, s28
	s_load_dwordx4 s[12:15], s[0:1], 0x58
	v_add_u32_e32 v21, s3, v19
	v_mad_u64_u32 v[18:19], s[16:17], v18, s8, v[28:29]
	v_mov_b32_e32 v22, v19
	v_mad_u64_u32 v[22:23], s[16:17], v21, s8, v[22:23]
	v_mov_b32_e32 v19, v22
	v_lshlrev_b64 v[18:19], 2, v[18:19]
	s_waitcnt lgkmcnt(0)
	v_lshl_add_u64 v[22:23], s[14:15], 0, v[18:19]
	v_lshl_add_u64 v[18:19], s[12:13], 0, v[18:19]
	global_store_dword v[22:23], v38, off
	global_store_dword v[18:19], v39, off
.LBB1196_15:
	s_or_b64 exec, exec, s[4:5]
	s_waitcnt vmcnt(3)
	v_cvt_pk_f32_fp8_e32 v[18:19], v14
	v_cvt_pk_f32_fp8_sdwa v[22:23], v14 src0_sel:WORD_1
	s_mov_b32 s4, 0x7060302
	v_lshl_or_b32 v14, v42, 9, v27
	s_waitcnt lgkmcnt(0)
	s_barrier
	v_perm_b32 v18, v19, v18, s4
	v_perm_b32 v19, v23, v22, s4
	v_cvt_pk_f32_fp8_e32 v[28:29], v15
	ds_read_b128 v[22:25], v14
	v_cvt_pk_f32_fp8_sdwa v[36:37], v15 src0_sel:WORD_1
	s_load_dword s12, s[42:43], 0x0
	v_perm_b32 v38, v29, v28, s4
	ds_read_b128 v[28:31], v14 offset:16
	v_perm_b32 v39, v37, v36, s4
	s_waitcnt lgkmcnt(0)
	v_mfma_f32_16x16x16_bf16 v[32:35], v[18:19], v[22:23], 0
	v_cvt_pk_f32_fp8_e32 v[18:19], v16
	v_cvt_pk_f32_fp8_sdwa v[36:37], v16 src0_sel:WORD_1
	v_cmp_gt_u32_e32 vcc, 64, v0
	v_mfma_f32_16x16x16_bf16 v[22:25], v[38:39], v[24:25], v[32:35]
	v_perm_b32 v18, v19, v18, s4
	v_perm_b32 v19, v37, v36, s4
	s_waitcnt vmcnt(2)
	v_cvt_pk_f32_fp8_sdwa v[36:37], v10 src0_sel:WORD_1
	v_cvt_pk_f32_fp8_e32 v[32:33], v17
	v_cvt_pk_f32_fp8_sdwa v[16:17], v17 src0_sel:WORD_1
	v_cvt_pk_f32_fp8_e32 v[34:35], v10
	s_mov_b32 s3, 0
	v_perm_b32 v32, v33, v32, s4
	v_perm_b32 v33, v17, v16, s4
	v_mfma_f32_16x16x16_bf16 v[16:19], v[18:19], v[28:29], v[22:25]
	v_perm_b32 v34, v35, v34, s4
	v_perm_b32 v35, v37, v36, s4
	v_cvt_pk_f32_fp8_e32 v[28:29], v11
	ds_read_b128 v[22:25], v14 offset:2048
	v_cvt_pk_f32_fp8_sdwa v[10:11], v11 src0_sel:WORD_1
	v_mfma_f32_16x16x16_bf16 v[16:19], v[32:33], v[30:31], v[16:19]
	v_perm_b32 v32, v29, v28, s4
	ds_read_b128 v[28:31], v14 offset:2064
	v_perm_b32 v33, v11, v10, s4
	s_waitcnt lgkmcnt(1)
	v_mfma_f32_16x16x16_bf16 v[16:19], v[34:35], v[22:23], v[16:19]
	v_cvt_pk_f32_fp8_e32 v[10:11], v12
	v_cvt_pk_f32_fp8_sdwa v[22:23], v12 src0_sel:WORD_1
	v_mov_b32_e32 v27, 0
	v_mfma_f32_16x16x16_bf16 v[16:19], v[32:33], v[24:25], v[16:19]
	v_cvt_pk_f32_fp8_e32 v[24:25], v13
	v_perm_b32 v10, v11, v10, s4
	v_perm_b32 v11, v23, v22, s4
	v_cvt_pk_f32_fp8_sdwa v[12:13], v13 src0_sel:WORD_1
	v_perm_b32 v22, v25, v24, s4
	s_waitcnt vmcnt(1)
	v_cvt_pk_f32_fp8_e32 v[24:25], v6
	v_cvt_pk_f32_fp8_sdwa v[32:33], v6 src0_sel:WORD_1
	v_perm_b32 v23, v13, v12, s4
	s_waitcnt lgkmcnt(0)
	v_mfma_f32_16x16x16_bf16 v[10:13], v[10:11], v[28:29], v[16:19]
	v_perm_b32 v28, v25, v24, s4
	v_perm_b32 v29, v33, v32, s4
	v_cvt_pk_f32_fp8_e32 v[24:25], v7
	ds_read_b128 v[16:19], v14 offset:4096
	v_cvt_pk_f32_fp8_sdwa v[6:7], v7 src0_sel:WORD_1
	v_mfma_f32_16x16x16_bf16 v[10:13], v[22:23], v[30:31], v[10:13]
	v_perm_b32 v30, v25, v24, s4
	ds_read_b128 v[22:25], v14 offset:4112
	v_perm_b32 v31, v7, v6, s4
	s_waitcnt lgkmcnt(1)
	v_mfma_f32_16x16x16_bf16 v[10:13], v[28:29], v[16:17], v[10:13]
	v_cvt_pk_f32_fp8_e32 v[6:7], v8
	v_cvt_pk_f32_fp8_sdwa v[16:17], v8 src0_sel:WORD_1
	s_waitcnt vmcnt(0)
	v_cvt_pk_f32_fp8_sdwa v[28:29], v2 src0_sel:WORD_1
	v_mfma_f32_16x16x16_bf16 v[10:13], v[30:31], v[18:19], v[10:13]
	v_cvt_pk_f32_fp8_e32 v[18:19], v9
	v_perm_b32 v6, v7, v6, s4
	v_perm_b32 v7, v17, v16, s4
	v_cvt_pk_f32_fp8_sdwa v[8:9], v9 src0_sel:WORD_1
	v_perm_b32 v16, v19, v18, s4
	v_cvt_pk_f32_fp8_e32 v[18:19], v2
	v_perm_b32 v17, v9, v8, s4
	s_waitcnt lgkmcnt(0)
	v_mfma_f32_16x16x16_bf16 v[6:9], v[6:7], v[22:23], v[10:13]
	v_perm_b32 v18, v19, v18, s4
	v_perm_b32 v19, v29, v28, s4
	v_cvt_pk_f32_fp8_e32 v[22:23], v3
	ds_read_b128 v[10:13], v14 offset:6144
	v_cvt_pk_f32_fp8_sdwa v[2:3], v3 src0_sel:WORD_1
	v_mfma_f32_16x16x16_bf16 v[6:9], v[16:17], v[24:25], v[6:9]
	v_perm_b32 v22, v23, v22, s4
	ds_read_b128 v[14:17], v14 offset:6160
	v_perm_b32 v23, v3, v2, s4
	s_waitcnt lgkmcnt(1)
	v_mfma_f32_16x16x16_bf16 v[6:9], v[18:19], v[10:11], v[6:9]
	v_cvt_pk_f32_fp8_e32 v[2:3], v4
	v_cvt_pk_f32_fp8_sdwa v[10:11], v4 src0_sel:WORD_1
	s_waitcnt lgkmcnt(0)
	v_mfma_f32_16x16x16_bf16 v[6:9], v[22:23], v[12:13], v[6:9]
	v_perm_b32 v2, v3, v2, s4
	v_perm_b32 v3, v11, v10, s4
	v_cvt_pk_f32_fp8_e32 v[10:11], v5
	v_cvt_pk_f32_fp8_sdwa v[4:5], v5 src0_sel:WORD_1
	s_barrier
	v_perm_b32 v10, v11, v10, s4
	v_perm_b32 v11, v5, v4, s4
	v_mfma_f32_16x16x16_bf16 v[2:5], v[2:3], v[14:15], v[6:9]
	s_nop 0
	v_mfma_f32_16x16x16_bf16 v[2:5], v[10:11], v[16:17], v[2:5]
	s_nop 6
	v_pk_mul_f32 v[2:3], v[2:3], s[12:13] op_sel_hi:[1,0]
	v_pk_mul_f32 v[4:5], v[4:5], s[12:13] op_sel_hi:[1,0]
	v_bfe_u32 v6, v3, 16, 1
	v_bfe_u32 v7, v2, 16, 1
	v_add3_u32 v2, v2, v7, s10
	v_add3_u32 v3, v3, v6, s10
	v_perm_b32 v2, v3, v2, s4
	v_bfe_u32 v3, v5, 16, 1
	v_bfe_u32 v6, v4, 16, 1
	v_add3_u32 v4, v4, v6, s10
	v_add3_u32 v3, v5, v3, s10
	v_perm_b32 v3, v3, v4, s4
	s_and_b64 s[4:5], vcc, s[30:31]
	ds_write_b64 v20, v[2:3]
	s_waitcnt lgkmcnt(0)
	s_barrier
	s_and_saveexec_b64 s[10:11], s[4:5]
	s_cbranch_execz .LBB1196_18
; %bb.16:
	s_load_dwordx2 s[4:5], s[0:1], 0x68
	s_lshl_b32 s0, s8, 6
	s_mul_i32 s1, s9, s2
	s_mul_hi_u32 s9, s1, s0
	s_mul_i32 s8, s1, s0
	v_lshlrev_b32_e32 v0, 10, v0
	s_lshl_b64 s[8:9], s[8:9], 1
	v_and_b32_e32 v0, 0x1800, v0
	v_lshlrev_b32_e32 v2, 5, v42
	v_and_b32_e32 v1, 16, v1
	s_waitcnt lgkmcnt(0)
	s_add_u32 s1, s4, s8
	v_or3_b32 v2, v0, v2, v1
	s_addc_u32 s4, s5, s9
	s_lshl_b32 s2, s28, 6
	s_lshl_b64 s[2:3], s[2:3], 1
	ds_read_b128 v[4:7], v2 offset:128
	ds_read_b128 v[8:11], v2
	s_add_u32 s2, s1, s2
	s_addc_u32 s3, s4, s3
	v_add_u32_e32 v3, s48, v42
	v_lshl_add_u64 v[0:1], s[2:3], 0, v[26:27]
	v_mad_u64_u32 v[12:13], s[2:3], v3, s0, 0
	v_lshl_add_u64 v[12:13], v[12:13], 1, v[0:1]
	v_add_u32_e32 v3, 4, v3
	s_waitcnt lgkmcnt(0)
	global_store_dwordx4 v[12:13], v[8:11], off
	s_nop 1
	v_mad_u64_u32 v[8:9], s[2:3], v3, s0, 0
	v_lshl_add_u64 v[8:9], v[8:9], 1, v[0:1]
	global_store_dwordx4 v[8:9], v[4:7], off
	s_and_b64 exec, exec, s[6:7]
	s_cbranch_execz .LBB1196_18
; %bb.17:
	ds_read_b128 v[2:5], v2 offset:256
	v_add3_u32 v6, s48, v42, 8
	v_mad_u64_u32 v[6:7], s[0:1], v6, s0, 0
	v_lshl_add_u64 v[0:1], v[6:7], 1, v[0:1]
	s_waitcnt lgkmcnt(0)
	global_store_dwordx4 v[0:1], v[2:5], off
.LBB1196_18:
	s_endpgm
	.section	.rodata,"a",@progbits
	.p2align	6, 0x0
	.amdhsa_kernel _Z39paged_attention_ll4mi_QKV_mfma16_kernelI14__hip_bfloat16hLN4vllm18Fp8KVCacheDataTypeE1EhLi32ELi64ELi256ELb0ELi9EEvPKT_PKT0_S8_ifPKiSA_SA_iPKfiiiPfSD_PS3_PT2_iSC_SC_
		.amdhsa_group_segment_fixed_size 8192
		.amdhsa_private_segment_fixed_size 0
		.amdhsa_kernarg_size 400
		.amdhsa_user_sgpr_count 2
		.amdhsa_user_sgpr_dispatch_ptr 0
		.amdhsa_user_sgpr_queue_ptr 0
		.amdhsa_user_sgpr_kernarg_segment_ptr 1
		.amdhsa_user_sgpr_dispatch_id 0
		.amdhsa_user_sgpr_kernarg_preload_length 0
		.amdhsa_user_sgpr_kernarg_preload_offset 0
		.amdhsa_user_sgpr_private_segment_size 0
		.amdhsa_uses_dynamic_stack 0
		.amdhsa_enable_private_segment 0
		.amdhsa_system_sgpr_workgroup_id_x 1
		.amdhsa_system_sgpr_workgroup_id_y 1
		.amdhsa_system_sgpr_workgroup_id_z 1
		.amdhsa_system_sgpr_workgroup_info 0
		.amdhsa_system_vgpr_workitem_id 0
		.amdhsa_next_free_vgpr 54
		.amdhsa_next_free_sgpr 50
		.amdhsa_accum_offset 56
		.amdhsa_reserve_vcc 1
		.amdhsa_float_round_mode_32 0
		.amdhsa_float_round_mode_16_64 0
		.amdhsa_float_denorm_mode_32 3
		.amdhsa_float_denorm_mode_16_64 3
		.amdhsa_dx10_clamp 1
		.amdhsa_ieee_mode 1
		.amdhsa_fp16_overflow 0
		.amdhsa_tg_split 0
		.amdhsa_exception_fp_ieee_invalid_op 0
		.amdhsa_exception_fp_denorm_src 0
		.amdhsa_exception_fp_ieee_div_zero 0
		.amdhsa_exception_fp_ieee_overflow 0
		.amdhsa_exception_fp_ieee_underflow 0
		.amdhsa_exception_fp_ieee_inexact 0
		.amdhsa_exception_int_div_zero 0
	.end_amdhsa_kernel
	.section	.text._Z39paged_attention_ll4mi_QKV_mfma16_kernelI14__hip_bfloat16hLN4vllm18Fp8KVCacheDataTypeE1EhLi32ELi64ELi256ELb0ELi9EEvPKT_PKT0_S8_ifPKiSA_SA_iPKfiiiPfSD_PS3_PT2_iSC_SC_,"axG",@progbits,_Z39paged_attention_ll4mi_QKV_mfma16_kernelI14__hip_bfloat16hLN4vllm18Fp8KVCacheDataTypeE1EhLi32ELi64ELi256ELb0ELi9EEvPKT_PKT0_S8_ifPKiSA_SA_iPKfiiiPfSD_PS3_PT2_iSC_SC_,comdat
.Lfunc_end1196:
	.size	_Z39paged_attention_ll4mi_QKV_mfma16_kernelI14__hip_bfloat16hLN4vllm18Fp8KVCacheDataTypeE1EhLi32ELi64ELi256ELb0ELi9EEvPKT_PKT0_S8_ifPKiSA_SA_iPKfiiiPfSD_PS3_PT2_iSC_SC_, .Lfunc_end1196-_Z39paged_attention_ll4mi_QKV_mfma16_kernelI14__hip_bfloat16hLN4vllm18Fp8KVCacheDataTypeE1EhLi32ELi64ELi256ELb0ELi9EEvPKT_PKT0_S8_ifPKiSA_SA_iPKfiiiPfSD_PS3_PT2_iSC_SC_
                                        ; -- End function
	.section	.AMDGPU.csdata,"",@progbits
; Kernel info:
; codeLenInByte = 4968
; NumSgprs: 56
; NumVgprs: 54
; NumAgprs: 0
; TotalNumVgprs: 54
; ScratchSize: 0
; MemoryBound: 0
; FloatMode: 240
; IeeeMode: 1
; LDSByteSize: 8192 bytes/workgroup (compile time only)
; SGPRBlocks: 6
; VGPRBlocks: 6
; NumSGPRsForWavesPerEU: 56
; NumVGPRsForWavesPerEU: 54
; AccumOffset: 56
; Occupancy: 8
; WaveLimiterHint : 1
; COMPUTE_PGM_RSRC2:SCRATCH_EN: 0
; COMPUTE_PGM_RSRC2:USER_SGPR: 2
; COMPUTE_PGM_RSRC2:TRAP_HANDLER: 0
; COMPUTE_PGM_RSRC2:TGID_X_EN: 1
; COMPUTE_PGM_RSRC2:TGID_Y_EN: 1
; COMPUTE_PGM_RSRC2:TGID_Z_EN: 1
; COMPUTE_PGM_RSRC2:TIDIG_COMP_CNT: 0
; COMPUTE_PGM_RSRC3_GFX90A:ACCUM_OFFSET: 13
; COMPUTE_PGM_RSRC3_GFX90A:TG_SPLIT: 0
	.section	.text._Z39paged_attention_ll4mi_QKV_mfma16_kernelI14__hip_bfloat16hLN4vllm18Fp8KVCacheDataTypeE1EhLi32ELi64ELi256ELb0ELi10EEvPKT_PKT0_S8_ifPKiSA_SA_iPKfiiiPfSD_PS3_PT2_iSC_SC_,"axG",@progbits,_Z39paged_attention_ll4mi_QKV_mfma16_kernelI14__hip_bfloat16hLN4vllm18Fp8KVCacheDataTypeE1EhLi32ELi64ELi256ELb0ELi10EEvPKT_PKT0_S8_ifPKiSA_SA_iPKfiiiPfSD_PS3_PT2_iSC_SC_,comdat
	.protected	_Z39paged_attention_ll4mi_QKV_mfma16_kernelI14__hip_bfloat16hLN4vllm18Fp8KVCacheDataTypeE1EhLi32ELi64ELi256ELb0ELi10EEvPKT_PKT0_S8_ifPKiSA_SA_iPKfiiiPfSD_PS3_PT2_iSC_SC_ ; -- Begin function _Z39paged_attention_ll4mi_QKV_mfma16_kernelI14__hip_bfloat16hLN4vllm18Fp8KVCacheDataTypeE1EhLi32ELi64ELi256ELb0ELi10EEvPKT_PKT0_S8_ifPKiSA_SA_iPKfiiiPfSD_PS3_PT2_iSC_SC_
	.globl	_Z39paged_attention_ll4mi_QKV_mfma16_kernelI14__hip_bfloat16hLN4vllm18Fp8KVCacheDataTypeE1EhLi32ELi64ELi256ELb0ELi10EEvPKT_PKT0_S8_ifPKiSA_SA_iPKfiiiPfSD_PS3_PT2_iSC_SC_
	.p2align	8
	.type	_Z39paged_attention_ll4mi_QKV_mfma16_kernelI14__hip_bfloat16hLN4vllm18Fp8KVCacheDataTypeE1EhLi32ELi64ELi256ELb0ELi10EEvPKT_PKT0_S8_ifPKiSA_SA_iPKfiiiPfSD_PS3_PT2_iSC_SC_,@function
_Z39paged_attention_ll4mi_QKV_mfma16_kernelI14__hip_bfloat16hLN4vllm18Fp8KVCacheDataTypeE1EhLi32ELi64ELi256ELb0ELi10EEvPKT_PKT0_S8_ifPKiSA_SA_iPKfiiiPfSD_PS3_PT2_iSC_SC_: ; @_Z39paged_attention_ll4mi_QKV_mfma16_kernelI14__hip_bfloat16hLN4vllm18Fp8KVCacheDataTypeE1EhLi32ELi64ELi256ELb0ELi10EEvPKT_PKT0_S8_ifPKiSA_SA_iPKfiiiPfSD_PS3_PT2_iSC_SC_
; %bb.0:
	s_load_dwordx2 s[12:13], s[0:1], 0x30
	s_mov_b32 s28, s3
	s_mov_b64 s[6:7], 0
	s_waitcnt lgkmcnt(0)
	s_cmp_lg_u64 s[12:13], 0
	s_cselect_b64 s[14:15], -1, 0
	s_and_b64 vcc, exec, s[14:15]
	s_cbranch_vccz .LBB1197_7
; %bb.1:
	s_add_i32 s8, s2, 1
	s_mov_b32 s9, 0
	s_lshl_b64 s[10:11], s[8:9], 2
	s_add_u32 s10, s12, s10
	s_mov_b32 s3, s9
	s_addc_u32 s11, s13, s11
	s_lshl_b64 s[8:9], s[2:3], 2
	s_add_u32 s8, s12, s8
	s_addc_u32 s9, s13, s9
	s_load_dword s5, s[10:11], 0x0
	s_load_dword s16, s[8:9], 0x0
	s_waitcnt lgkmcnt(0)
	s_sub_i32 s5, s5, s16
	s_cmp_eq_u32 s5, 1
	s_cselect_b64 s[8:9], -1, 0
	s_andn2_b64 vcc, exec, s[6:7]
	s_cbranch_vccnz .LBB1197_3
.LBB1197_2:
	s_mov_b32 s3, 0
	s_mov_b64 s[8:9], -1
.LBB1197_3:
	s_andn2_b64 vcc, exec, s[8:9]
	s_cbranch_vccnz .LBB1197_18
; %bb.4:
	s_load_dwordx2 s[6:7], s[0:1], 0x28
	s_lshl_b64 s[16:17], s[2:3], 2
	s_waitcnt lgkmcnt(0)
	s_add_u32 s6, s6, s16
	s_addc_u32 s7, s7, s17
	s_load_dword s33, s[6:7], 0x0
	s_lshl_b32 s5, s28, 8
	s_waitcnt lgkmcnt(0)
	s_cmp_ge_i32 s5, s33
	s_cbranch_scc1 .LBB1197_18
; %bb.5:
	s_load_dwordx2 s[6:7], s[0:1], 0x20
	s_load_dword s8, s[0:1], 0x38
	s_add_i32 s9, s33, 31
	s_ashr_i32 s10, s9, 31
	v_and_b32_e32 v1, 0xcf, v0
	s_lshr_b32 s10, s10, 27
	v_add_u32_e32 v1, s5, v1
	s_add_i32 s9, s9, s10
	v_ashrrev_i32_e32 v2, 31, v1
	s_ashr_i32 s18, s9, 5
	v_lshrrev_b32_e32 v4, 27, v2
	s_add_i32 s18, s18, -1
	s_waitcnt lgkmcnt(0)
	s_mul_i32 s8, s2, s8
	s_mov_b32 s9, 0
	v_add_u32_e32 v2, v1, v4
	s_lshl_b64 s[8:9], s[8:9], 2
	v_ashrrev_i32_e32 v2, 5, v2
	v_mov_b32_e32 v5, s18
	v_cmp_gt_i32_e32 vcc, s33, v1
	s_add_u32 s6, s6, s8
	s_addc_u32 s7, s7, s9
	v_cndmask_b32_e32 v2, v5, v2, vcc
	v_ashrrev_i32_e32 v3, 31, v2
	v_lshl_add_u64 v[6:7], v[2:3], 2, s[6:7]
	v_or_b32_e32 v2, 16, v1
	v_add_u32_e32 v3, v2, v4
	v_ashrrev_i32_e32 v3, 5, v3
	v_cmp_gt_i32_e32 vcc, s33, v2
	s_load_dwordx4 s[8:11], s[0:1], 0x8
	s_nop 0
	v_cndmask_b32_e32 v2, v5, v3, vcc
	v_ashrrev_i32_e32 v3, 31, v2
	v_lshl_add_u64 v[8:9], v[2:3], 2, s[6:7]
	v_or_b32_e32 v2, 32, v1
	v_add_u32_e32 v3, v2, v4
	v_ashrrev_i32_e32 v3, 5, v3
	v_cmp_gt_i32_e32 vcc, s33, v2
	v_or_b32_e32 v1, 48, v1
	s_nop 0
	v_cndmask_b32_e32 v2, v5, v3, vcc
	v_ashrrev_i32_e32 v3, 31, v2
	v_lshl_add_u64 v[10:11], v[2:3], 2, s[6:7]
	v_add_u32_e32 v2, v1, v4
	v_ashrrev_i32_e32 v2, 5, v2
	v_cmp_gt_i32_e32 vcc, s33, v1
	s_nop 1
	v_cndmask_b32_e32 v2, v5, v2, vcc
	v_ashrrev_i32_e32 v3, 31, v2
	v_lshl_add_u64 v[12:13], v[2:3], 2, s[6:7]
	global_load_dword v2, v[6:7], off
	global_load_dword v5, v[8:9], off
	;; [unrolled: 1-line block ×4, first 2 shown]
	s_andn2_b64 vcc, exec, s[14:15]
	s_cbranch_vccnz .LBB1197_8
; %bb.6:
	s_add_u32 s12, s12, s16
	s_addc_u32 s13, s13, s17
	s_load_dword s14, s[12:13], 0x0
	s_branch .LBB1197_9
.LBB1197_7:
	s_mov_b64 s[8:9], 0
	s_branch .LBB1197_2
.LBB1197_8:
	s_mov_b32 s14, s2
.LBB1197_9:
	s_load_dwordx4 s[44:47], s[0:1], 0x48
	v_lshrrev_b32_e32 v29, 6, v0
	v_bfe_u32 v42, v0, 4, 2
	v_lshl_or_b32 v3, v29, 2, v42
	v_and_b32_e32 v28, 15, v0
	v_lshlrev_b32_e32 v1, 3, v28
	v_cmp_gt_u32_e32 vcc, 10, v3
	v_cmp_gt_u32_e64 s[30:31], 8, v28
	v_and_b32_e32 v43, 63, v0
	s_mul_i32 s48, s4, 10
	s_and_b64 s[16:17], s[30:31], vcc
	v_lshlrev_b32_e32 v26, 1, v1
	v_lshlrev_b32_e32 v1, 4, v0
	s_and_saveexec_b64 s[12:13], s[16:17]
	s_cbranch_execz .LBB1197_11
; %bb.10:
	s_load_dwordx2 s[16:17], s[0:1], 0x0
	s_waitcnt lgkmcnt(0)
	s_ashr_i32 s15, s44, 31
	s_mul_hi_u32 s19, s14, s44
	s_mul_i32 s15, s14, s15
	s_add_i32 s15, s19, s15
	s_mul_i32 s14, s14, s44
	s_lshl_b64 s[14:15], s[14:15], 1
	s_add_u32 s14, s16, s14
	v_add_lshl_u32 v6, v3, s48, 6
	s_addc_u32 s15, s17, s15
	v_ashrrev_i32_e32 v7, 31, v6
	v_lshl_add_u64 v[6:7], v[6:7], 1, s[14:15]
	v_mov_b32_e32 v27, 0
	v_lshl_add_u64 v[6:7], v[6:7], 0, v[26:27]
	global_load_dwordx4 v[6:9], v[6:7], off
	v_lshlrev_b32_e32 v11, 8, v28
	v_lshlrev_b32_e32 v3, 5, v3
	v_and_b32_e32 v10, 16, v1
	v_and_b32_e32 v11, 0xe00, v11
	v_or3_b32 v3, v11, v3, v10
	s_waitcnt vmcnt(0)
	ds_write_b128 v3, v[6:9]
.LBB1197_11:
	s_or_b64 exec, exec, s[12:13]
	s_waitcnt lgkmcnt(0)
	s_mul_i32 s4, s4, s46
	s_add_u32 s8, s8, s4
	s_addc_u32 s9, s9, 0
	v_mov_b32_e32 v31, 0
	v_mov_b64_e32 v[18:19], s[8:9]
	v_and_b32_e32 v8, 48, v0
	s_waitcnt vmcnt(3)
	v_mad_i64_i32 v[6:7], s[8:9], v2, s45, v[18:19]
	v_lshlrev_b32_e32 v2, 4, v28
	v_mov_b32_e32 v3, v31
	v_lshlrev_b32_e32 v30, 5, v8
	v_lshl_add_u64 v[6:7], v[6:7], 0, v[2:3]
	v_lshl_add_u64 v[6:7], v[6:7], 0, v[30:31]
	s_load_dword s29, s[0:1], 0x98
	s_load_dwordx4 s[40:43], s[0:1], 0x80
	s_waitcnt lgkmcnt(0)
	s_barrier
	global_load_dwordx4 v[10:13], v[6:7], off
	s_waitcnt vmcnt(3)
	v_mad_i64_i32 v[6:7], s[8:9], v5, s45, v[18:19]
	v_or_b32_e32 v32, 0x100, v2
	v_mov_b32_e32 v33, v31
	v_lshl_add_u64 v[6:7], v[6:7], 0, v[32:33]
	v_lshl_add_u64 v[6:7], v[6:7], 0, v[30:31]
	global_load_dwordx4 v[14:17], v[6:7], off
	s_ashr_i32 s8, s5, 31
	v_or_b32_e32 v5, s5, v8
	s_lshr_b32 s12, s8, 27
	v_add_u32_e32 v8, s12, v5
	v_ashrrev_i32_e32 v8, 5, v8
	v_mov_b32_e32 v21, s18
	v_cmp_gt_i32_e32 vcc, s33, v5
	v_or_b32_e32 v34, 64, v5
	v_or_b32_e32 v35, 0x80, v5
	v_cndmask_b32_e32 v8, v21, v8, vcc
	v_ashrrev_i32_e32 v9, 31, v8
	v_lshl_add_u64 v[8:9], v[8:9], 2, s[6:7]
	global_load_dword v50, v[8:9], off
	v_or_b32_e32 v36, 0xc0, v5
	s_waitcnt vmcnt(4)
	v_mad_i64_i32 v[4:5], s[8:9], v4, s45, v[18:19]
	v_lshl_add_u64 v[2:3], v[4:5], 0, v[2:3]
	v_lshl_add_u64 v[2:3], v[2:3], 0, v[30:31]
	global_load_dwordx4 v[22:25], v[2:3], off
	v_add_u32_e32 v6, -10, v28
	v_cmp_gt_u32_e32 vcc, 10, v28
	s_waitcnt vmcnt(4)
	v_mad_i64_i32 v[18:19], s[8:9], v20, s45, v[18:19]
	v_add_u32_e32 v20, s12, v34
	v_cndmask_b32_e32 v6, v6, v28, vcc
	v_add_u32_e32 v37, s12, v35
	v_ashrrev_i32_e32 v20, 5, v20
	v_cmp_gt_i32_e32 vcc, s33, v34
	v_lshlrev_b32_e32 v6, 5, v6
	v_add_u32_e32 v38, s12, v36
	v_lshl_add_u64 v[18:19], v[18:19], 0, v[32:33]
	v_ashrrev_i32_e32 v33, 5, v37
	v_cndmask_b32_e32 v32, v21, v20, vcc
	v_cmp_gt_i32_e32 vcc, s33, v35
	v_lshl_add_u32 v2, v42, 9, v6
	v_ashrrev_i32_e32 v37, 5, v38
	v_lshl_add_u64 v[18:19], v[18:19], 0, v[30:31]
	v_cndmask_b32_e32 v34, v21, v33, vcc
	v_cmp_gt_i32_e32 vcc, s33, v36
	ds_read_b128 v[6:9], v2
	ds_read_b128 v[2:5], v2 offset:16
	v_cndmask_b32_e32 v36, v21, v37, vcc
	global_load_dwordx4 v[18:21], v[18:19], off
	v_ashrrev_i32_e32 v33, 31, v32
	v_ashrrev_i32_e32 v35, 31, v34
	v_lshl_add_u64 v[40:41], v[32:33], 2, s[6:7]
	v_lshl_add_u64 v[44:45], v[34:35], 2, s[6:7]
	s_add_u32 s8, s10, s4
	v_lshlrev_b32_e32 v27, 5, v28
	s_addc_u32 s9, s11, 0
	v_and_b32_e32 v30, 16, v0
	s_mov_b32 s44, 0x7060302
	v_lshl_add_u64 v[38:39], s[8:9], 0, v[30:31]
	v_lshl_or_b32 v30, v29, 9, v27
	v_lshl_add_u64 v[30:31], v[38:39], 0, v[30:31]
	v_ashrrev_i32_e32 v37, 31, v36
	v_lshl_add_u64 v[36:37], v[36:37], 2, s[6:7]
	s_load_dword s13, s[0:1], 0x1c
	s_mov_b32 s46, 0xff7fffff
	s_waitcnt vmcnt(4)
	v_cvt_pk_f32_fp8_e32 v[32:33], v10
	v_cvt_pk_f32_fp8_sdwa v[34:35], v10 src0_sel:WORD_1
	v_cvt_pk_f32_fp8_e32 v[38:39], v11
	v_cvt_pk_f32_fp8_sdwa v[10:11], v11 src0_sel:WORD_1
	v_perm_b32 v32, v33, v32, s44
	v_perm_b32 v33, v35, v34, s44
	;; [unrolled: 1-line block ×4, first 2 shown]
	v_cvt_pk_f32_fp8_e32 v[46:47], v12
	v_cvt_pk_f32_fp8_sdwa v[48:49], v12 src0_sel:WORD_1
	s_waitcnt lgkmcnt(0)
	v_mfma_f32_16x16x16_bf16 v[32:35], v[32:33], v[6:7], 0
	global_load_dword v12, v[40:41], off
	s_nop 0
	global_load_dword v44, v[44:45], off
	s_nop 0
	global_load_dword v45, v[36:37], off
	v_perm_b32 v36, v47, v46, s44
	v_perm_b32 v37, v49, v48, s44
	v_mfma_f32_16x16x16_bf16 v[32:35], v[38:39], v[8:9], v[32:35]
	v_cvt_pk_f32_fp8_e32 v[38:39], v13
	v_cvt_pk_f32_fp8_sdwa v[40:41], v13 src0_sel:WORD_1
	s_waitcnt vmcnt(6)
	v_cvt_pk_f32_fp8_e32 v[46:47], v16
	v_mfma_f32_16x16x16_bf16 v[32:35], v[36:37], v[2:3], v[32:35]
	v_perm_b32 v38, v39, v38, s44
	v_perm_b32 v39, v41, v40, s44
	v_cvt_pk_f32_fp8_e32 v[36:37], v14
	v_cvt_pk_f32_fp8_sdwa v[40:41], v14 src0_sel:WORD_1
	v_mfma_f32_16x16x16_bf16 v[32:35], v[38:39], v[4:5], v[32:35]
	v_cvt_pk_f32_fp8_e32 v[38:39], v15
	v_perm_b32 v36, v37, v36, s44
	v_perm_b32 v37, v41, v40, s44
	v_cvt_pk_f32_fp8_sdwa v[14:15], v15 src0_sel:WORD_1
	v_perm_b32 v40, v39, v38, s44
	v_cvt_pk_f32_fp8_sdwa v[48:49], v16 src0_sel:WORD_1
	v_mfma_f32_16x16x16_bf16 v[36:39], v[36:37], v[6:7], 0
	v_perm_b32 v41, v15, v14, s44
	s_waitcnt vmcnt(5)
	v_mad_i64_i32 v[10:11], s[6:7], v50, s45, v[30:31]
	v_perm_b32 v46, v47, v46, s44
	v_perm_b32 v47, v49, v48, s44
	v_cvt_pk_f32_fp8_e32 v[48:49], v17
	v_cvt_pk_f32_fp8_sdwa v[50:51], v17 src0_sel:WORD_1
	v_mfma_f32_16x16x16_bf16 v[14:17], v[40:41], v[8:9], v[36:39]
	s_waitcnt vmcnt(4)
	v_cvt_pk_f32_fp8_sdwa v[40:41], v22 src0_sel:WORD_1
	s_load_dword s4, s[40:41], 0x0
	v_mov_b32_e32 v13, s13
	v_perm_b32 v36, v49, v48, s44
	v_perm_b32 v37, v51, v50, s44
	v_mfma_f32_16x16x16_bf16 v[14:17], v[46:47], v[2:3], v[14:17]
	v_cvt_pk_f32_fp8_e32 v[38:39], v22
	v_cvt_pk_f32_fp8_e32 v[46:47], v24
	v_cvt_pk_f32_fp8_sdwa v[48:49], v24 src0_sel:WORD_1
	v_mfma_f32_16x16x16_bf16 v[14:17], v[36:37], v[4:5], v[14:17]
	v_cvt_pk_f32_fp8_e32 v[36:37], v23
	v_perm_b32 v38, v39, v38, s44
	v_perm_b32 v39, v41, v40, s44
	v_cvt_pk_f32_fp8_sdwa v[22:23], v23 src0_sel:WORD_1
	v_perm_b32 v40, v37, v36, s44
	v_mfma_f32_16x16x16_bf16 v[36:39], v[38:39], v[6:7], 0
	v_perm_b32 v41, v23, v22, s44
	v_perm_b32 v46, v47, v46, s44
	;; [unrolled: 1-line block ×3, first 2 shown]
	v_cvt_pk_f32_fp8_e32 v[48:49], v25
	v_cvt_pk_f32_fp8_sdwa v[24:25], v25 src0_sel:WORD_1
	v_mfma_f32_16x16x16_bf16 v[36:39], v[40:41], v[8:9], v[36:39]
	s_waitcnt lgkmcnt(0)
	v_mul_f32_e32 v50, s4, v13
	v_perm_b32 v40, v49, v48, s44
	v_perm_b32 v41, v25, v24, s44
	v_pk_mul_f32 v[22:23], v[50:51], v[34:35] op_sel_hi:[0,1]
	v_mfma_f32_16x16x16_bf16 v[36:39], v[46:47], v[2:3], v[36:39]
	v_pk_mul_f32 v[34:35], v[50:51], v[32:33] op_sel_hi:[0,1]
	s_waitcnt vmcnt(3)
	v_cvt_pk_f32_fp8_e32 v[24:25], v18
	v_cvt_pk_f32_fp8_sdwa v[32:33], v18 src0_sel:WORD_1
	v_mfma_f32_16x16x16_bf16 v[46:49], v[40:41], v[4:5], v[36:39]
	v_cvt_pk_f32_fp8_e32 v[40:41], v20
	v_perm_b32 v24, v25, v24, s44
	v_perm_b32 v25, v33, v32, s44
	v_cvt_pk_f32_fp8_e32 v[36:37], v19
	v_cvt_pk_f32_fp8_sdwa v[18:19], v19 src0_sel:WORD_1
	v_cvt_pk_f32_fp8_sdwa v[52:53], v20 src0_sel:WORD_1
	v_perm_b32 v32, v37, v36, s44
	v_perm_b32 v33, v19, v18, s44
	v_mfma_f32_16x16x16_bf16 v[36:39], v[24:25], v[6:7], 0
	v_perm_b32 v18, v41, v40, s44
	v_perm_b32 v19, v53, v52, s44
	v_cvt_pk_f32_fp8_e32 v[24:25], v21
	v_cvt_pk_f32_fp8_sdwa v[20:21], v21 src0_sel:WORD_1
	v_mfma_f32_16x16x16_bf16 v[6:9], v[32:33], v[8:9], v[36:39]
	v_pk_mul_f32 v[40:41], v[50:51], v[14:15] op_sel_hi:[0,1]
	v_pk_mul_f32 v[32:33], v[50:51], v[48:49] op_sel_hi:[0,1]
	s_nop 0
	v_pk_mul_f32 v[36:37], v[50:51], v[16:17] op_sel_hi:[0,1]
	v_perm_b32 v16, v25, v24, s44
	v_perm_b32 v17, v21, v20, s44
	v_mfma_f32_16x16x16_bf16 v[6:9], v[18:19], v[2:3], v[6:9]
	v_pk_mul_f32 v[38:39], v[50:51], v[46:47] op_sel_hi:[0,1]
	v_mfma_f32_16x16x16_bf16 v[2:5], v[16:17], v[4:5], v[6:9]
	s_nop 6
	v_pk_mul_f32 v[24:25], v[50:51], v[2:3] op_sel_hi:[0,1]
	v_and_b32_e32 v2, 0xc0, v0
	v_add_u32_e32 v2, s5, v2
	v_lshl_or_b32 v2, v42, 2, v2
	v_pk_mul_f32 v[18:19], v[50:51], v[4:5] op_sel_hi:[0,1]
	v_or_b32_e32 v5, 1, v2
	v_mov_b32_e32 v3, 0xff7fffff
	v_cmp_gt_i32_e64 s[4:5], s33, v2
	v_cmp_gt_i32_e64 s[34:35], s33, v5
	v_or_b32_e32 v6, 3, v2
	v_cndmask_b32_e64 v4, v3, v34, s[4:5]
	v_cndmask_b32_e64 v5, v3, v35, s[34:35]
	v_max3_f32 v4, v4, s46, v5
	v_or_b32_e32 v5, 2, v2
	v_cmp_gt_i32_e64 s[36:37], s33, v5
	v_cmp_gt_i32_e64 s[38:39], s33, v6
	s_nop 0
	v_cndmask_b32_e64 v5, v3, v22, s[36:37]
	v_cndmask_b32_e64 v6, v3, v23, s[38:39]
	v_max3_f32 v4, v4, v5, v6
	v_or_b32_e32 v5, 16, v2
	v_or_b32_e32 v6, 17, v2
	v_cmp_gt_i32_e64 s[24:25], s33, v5
	v_cmp_gt_i32_e64 s[26:27], s33, v6
	s_nop 0
	v_cndmask_b32_e64 v5, v3, v40, s[24:25]
	v_cndmask_b32_e64 v6, v3, v41, s[26:27]
	v_max3_f32 v4, v4, v5, v6
	v_or_b32_e32 v5, 18, v2
	;; [unrolled: 8-line block ×6, first 2 shown]
	v_or_b32_e32 v2, 51, v2
	v_cmp_gt_i32_e32 vcc, s33, v5
	v_cmp_gt_i32_e64 s[6:7], s33, v2
	s_nop 0
	v_cndmask_b32_e32 v5, v3, v18, vcc
	v_cndmask_b32_e64 v2, v3, v19, s[6:7]
	v_max3_f32 v4, v4, v5, v2
	v_mbcnt_lo_u32_b32 v2, -1, 0
	v_mbcnt_hi_u32_b32 v5, -1, v2
	v_and_b32_e32 v2, 64, v5
	v_add_u32_e32 v6, 64, v2
	v_xor_b32_e32 v2, 32, v5
	v_cmp_lt_i32_e64 s[40:41], v2, v6
	s_nop 1
	v_cndmask_b32_e64 v2, v5, v2, s[40:41]
	v_lshlrev_b32_e32 v46, 2, v2
	ds_bpermute_b32 v7, v46, v4
	s_waitcnt vmcnt(2)
	v_mad_i64_i32 v[2:3], s[40:41], v12, s45, v[30:31]
	global_load_dwordx4 v[14:17], v[10:11], off
	s_nop 0
	global_load_dwordx4 v[10:13], v[2:3], off
	v_xor_b32_e32 v3, 16, v5
	v_cmp_lt_i32_e64 s[40:41], v3, v6
	s_waitcnt lgkmcnt(0)
	v_max_f32_e32 v2, v7, v7
	v_max_f32_e32 v2, v4, v2
	v_cndmask_b32_e64 v3, v5, v3, s[40:41]
	v_lshlrev_b32_e32 v47, 2, v3
	ds_bpermute_b32 v3, v47, v2
	s_waitcnt vmcnt(3)
	v_mad_i64_i32 v[20:21], s[40:41], v44, s45, v[30:31]
	s_waitcnt vmcnt(2)
	v_mad_i64_i32 v[30:31], s[40:41], v45, s45, v[30:31]
	s_waitcnt lgkmcnt(0)
	v_max_f32_e32 v3, v3, v3
	v_max_f32_e32 v44, v2, v3
	v_sub_f32_e32 v2, v34, v44
	v_mul_f32_e32 v2, 0x3fb8aa3b, v2
	v_exp_f32_e32 v34, v2
	v_sub_f32_e32 v2, v35, v44
	v_mul_f32_e32 v2, 0x3fb8aa3b, v2
	v_exp_f32_e32 v35, v2
	global_load_dwordx4 v[6:9], v[20:21], off
	global_load_dwordx4 v[2:5], v[30:31], off
	v_sub_f32_e32 v22, v22, v44
	v_mul_f32_e32 v22, 0x3fb8aa3b, v22
	v_sub_f32_e32 v23, v23, v44
	v_exp_f32_e32 v22, v22
	v_mul_f32_e32 v23, 0x3fb8aa3b, v23
	v_exp_f32_e32 v23, v23
	v_cndmask_b32_e64 v20, 0, v34, s[4:5]
	v_add_f32_e32 v30, 0, v20
	v_cndmask_b32_e64 v21, 0, v35, s[34:35]
	v_add_f32_e32 v30, v30, v21
	;; [unrolled: 2-line block ×3, first 2 shown]
	v_cndmask_b32_e64 v35, 0, v23, s[38:39]
	v_sub_f32_e32 v23, v40, v44
	v_sub_f32_e32 v30, v41, v44
	v_mul_f32_e32 v23, 0x3fb8aa3b, v23
	v_mul_f32_e32 v30, 0x3fb8aa3b, v30
	v_exp_f32_e32 v23, v23
	v_exp_f32_e32 v30, v30
	v_add_f32_e32 v31, v22, v35
	v_sub_f32_e32 v32, v32, v44
	v_cndmask_b32_e64 v22, 0, v23, s[24:25]
	v_cndmask_b32_e64 v23, 0, v30, s[26:27]
	v_sub_f32_e32 v30, v36, v44
	v_mul_f32_e32 v30, 0x3fb8aa3b, v30
	v_exp_f32_e32 v30, v30
	v_sub_f32_e32 v36, v37, v44
	v_add_f32_e32 v31, v31, v22
	v_mul_f32_e32 v36, 0x3fb8aa3b, v36
	v_exp_f32_e32 v37, v36
	v_add_f32_e32 v31, v31, v23
	v_cndmask_b32_e64 v36, 0, v30, s[20:21]
	v_add_f32_e32 v30, v31, v36
	v_sub_f32_e32 v31, v38, v44
	v_mul_f32_e32 v31, 0x3fb8aa3b, v31
	v_sub_f32_e32 v38, v39, v44
	v_exp_f32_e32 v31, v31
	v_mul_f32_e32 v38, 0x3fb8aa3b, v38
	v_exp_f32_e32 v38, v38
	v_mul_f32_e32 v32, 0x3fb8aa3b, v32
	v_sub_f32_e32 v33, v33, v44
	v_exp_f32_e32 v32, v32
	v_mul_f32_e32 v33, 0x3fb8aa3b, v33
	v_sub_f32_e32 v24, v24, v44
	v_cndmask_b32_e64 v37, 0, v37, s[22:23]
	v_exp_f32_e32 v33, v33
	v_mul_f32_e32 v24, 0x3fb8aa3b, v24
	v_sub_f32_e32 v25, v25, v44
	v_add_f32_e32 v39, v30, v37
	v_cndmask_b32_e64 v30, 0, v31, s[16:17]
	v_exp_f32_e32 v24, v24
	v_mul_f32_e32 v25, 0x3fb8aa3b, v25
	v_sub_f32_e32 v18, v18, v44
	v_add_f32_e32 v39, v39, v30
	;; [unrolled: 5-line block ×3, first 2 shown]
	v_cndmask_b32_e64 v32, 0, v32, s[12:13]
	v_exp_f32_e32 v18, v18
	v_mul_f32_e32 v19, 0x3fb8aa3b, v19
	v_add_f32_e32 v38, v38, v32
	v_cndmask_b32_e64 v33, 0, v33, s[14:15]
	v_exp_f32_e32 v19, v19
	v_add_f32_e32 v38, v38, v33
	v_cndmask_b32_e64 v24, 0, v24, s[8:9]
	v_add_f32_e32 v38, v38, v24
	v_cndmask_b32_e64 v25, 0, v25, s[10:11]
	v_add_f32_e32 v38, v38, v25
	v_cndmask_b32_e32 v18, 0, v18, vcc
	v_add_f32_e32 v38, v38, v18
	v_cndmask_b32_e64 v19, 0, v19, s[6:7]
	v_add_f32_e32 v38, v38, v19
	ds_bpermute_b32 v39, v46, v38
	v_cmp_gt_u32_e32 vcc, 16, v43
	s_waitcnt lgkmcnt(0)
	s_barrier
	v_add_f32_e32 v38, v38, v39
	ds_bpermute_b32 v40, v47, v38
	v_lshlrev_b32_e32 v39, 2, v28
	s_and_saveexec_b64 s[4:5], vcc
	s_cbranch_execz .LBB1197_13
; %bb.12:
	s_waitcnt lgkmcnt(0)
	v_add_f32_e32 v38, v38, v40
	v_lshl_or_b32 v40, v29, 6, v39
	ds_write2st64_b32 v40, v44, v38 offset1:1
.LBB1197_13:
	s_or_b64 exec, exec, s[4:5]
	s_load_dword s6, s[0:1], 0x94
	s_waitcnt lgkmcnt(0)
	s_barrier
	ds_read2_b32 v[40:41], v39 offset1:16
	ds_read2_b32 v[44:45], v39 offset0:32 offset1:48
	ds_read2_b32 v[46:47], v39 offset0:64 offset1:80
	s_movk_i32 s8, 0x7fff
	s_mul_i32 s7, s29, 10
	s_waitcnt lgkmcnt(2)
	v_max3_f32 v38, v40, s46, v41
	s_waitcnt lgkmcnt(1)
	v_max3_f32 v38, v38, v44, v45
	v_sub_f32_e32 v40, v40, v38
	v_mul_f32_e32 v40, 0x3fb8aa3b, v40
	v_exp_f32_e32 v43, v40
	v_sub_f32_e32 v40, v41, v38
	v_mul_f32_e32 v40, 0x3fb8aa3b, v40
	v_exp_f32_e32 v48, v40
	;; [unrolled: 3-line block ×3, first 2 shown]
	ds_read2_b32 v[40:41], v39 offset0:96 offset1:112
	v_sub_f32_e32 v39, v45, v38
	v_mul_f32_e32 v39, 0x3fb8aa3b, v39
	v_exp_f32_e32 v45, v39
	s_waitcnt lgkmcnt(1)
	v_fma_f32 v39, v43, v46, 0
	v_fmac_f32_e32 v39, v48, v47
	s_waitcnt lgkmcnt(0)
	v_fmac_f32_e32 v39, v44, v40
	v_fmac_f32_e32 v39, v45, v41
	v_add_f32_e32 v40, 0x358637bd, v39
	v_div_scale_f32 v41, s[4:5], v40, v40, 1.0
	v_rcp_f32_e32 v46, v41
	s_barrier
	v_fma_f32 v47, -v41, v46, 1.0
	v_fmac_f32_e32 v46, v47, v46
	v_div_scale_f32 v47, vcc, 1.0, v40, 1.0
	v_mul_f32_e32 v49, v47, v46
	v_fma_f32 v50, -v41, v49, v47
	v_fmac_f32_e32 v49, v50, v46
	v_fma_f32 v41, -v41, v49, v47
	v_div_fmas_f32 v41, v41, v46, v49
	v_cmp_eq_u32_e32 vcc, 1, v29
	v_div_fixup_f32 v40, v41, v40, 1.0
	s_nop 0
	v_cndmask_b32_e32 v41, v43, v48, vcc
	v_cmp_eq_u32_e32 vcc, 2, v29
	s_nop 1
	v_cndmask_b32_e32 v41, v41, v44, vcc
	v_cmp_eq_u32_e32 vcc, 3, v29
	s_nop 1
	v_cndmask_b32_e32 v41, v41, v45, vcc
	v_mul_f32_e32 v40, v41, v40
	v_pk_mul_f32 v[20:21], v[40:41], v[20:21] op_sel_hi:[0,1]
	v_pk_mul_f32 v[34:35], v[40:41], v[34:35] op_sel_hi:[0,1]
	v_bfe_u32 v41, v21, 16, 1
	v_bfe_u32 v43, v20, 16, 1
	v_add3_u32 v20, v20, v43, s8
	v_add3_u32 v21, v21, v41, s8
	v_perm_b32 v44, v21, v20, s44
	v_bfe_u32 v20, v35, 16, 1
	v_bfe_u32 v21, v34, 16, 1
	v_add3_u32 v21, v34, v21, s8
	v_add3_u32 v20, v35, v20, s8
	v_perm_b32 v45, v20, v21, s44
	v_lshlrev_b32_e32 v20, 3, v42
	v_lshlrev_b32_e32 v21, 11, v29
	v_pk_mul_f32 v[22:23], v[40:41], v[22:23] op_sel_hi:[0,1]
	v_or3_b32 v20, v21, v27, v20
	v_bfe_u32 v21, v23, 16, 1
	v_bfe_u32 v29, v22, 16, 1
	v_pk_mul_f32 v[34:35], v[40:41], v[36:37] op_sel_hi:[0,1]
	v_add3_u32 v22, v22, v29, s8
	v_add3_u32 v21, v23, v21, s8
	v_perm_b32 v22, v21, v22, s44
	v_bfe_u32 v21, v35, 16, 1
	v_bfe_u32 v23, v34, 16, 1
	v_add3_u32 v23, v34, v23, s8
	v_add3_u32 v21, v35, v21, s8
	v_pk_mul_f32 v[30:31], v[40:41], v[30:31] op_sel_hi:[0,1]
	v_perm_b32 v23, v21, v23, s44
	v_bfe_u32 v21, v31, 16, 1
	v_bfe_u32 v29, v30, 16, 1
	ds_write2st64_b64 v20, v[44:45], v[22:23] offset1:1
	v_pk_mul_f32 v[22:23], v[40:41], v[32:33] op_sel_hi:[0,1]
	v_add3_u32 v29, v30, v29, s8
	v_add3_u32 v21, v31, v21, s8
	v_perm_b32 v30, v21, v29, s44
	v_bfe_u32 v21, v23, 16, 1
	v_bfe_u32 v29, v22, 16, 1
	v_add3_u32 v22, v22, v29, s8
	v_add3_u32 v21, v23, v21, s8
	v_perm_b32 v31, v21, v22, s44
	v_pk_mul_f32 v[22:23], v[40:41], v[24:25] op_sel_hi:[0,1]
	v_bfe_u32 v21, v23, 16, 1
	v_bfe_u32 v24, v22, 16, 1
	v_pk_mul_f32 v[18:19], v[40:41], v[18:19] op_sel_hi:[0,1]
	v_add3_u32 v22, v22, v24, s8
	v_add3_u32 v21, v23, v21, s8
	v_perm_b32 v22, v21, v22, s44
	v_bfe_u32 v21, v19, 16, 1
	v_bfe_u32 v23, v18, 16, 1
	v_add3_u32 v18, v18, v23, s8
	v_add3_u32 v19, v19, v21, s8
	v_perm_b32 v23, v19, v18, s44
	v_cmp_gt_u32_e32 vcc, 10, v0
	ds_write2st64_b64 v20, v[30:31], v[22:23] offset0:2 offset1:3
	s_and_saveexec_b64 s[4:5], vcc
	s_cbranch_execz .LBB1197_15
; %bb.14:
	s_mov_b32 s49, 0
	v_mov_b32_e32 v29, 0
	v_lshl_add_u64 v[18:19], s[48:49], 0, v[28:29]
	v_mov_b32_e32 v21, s7
	v_mad_u64_u32 v[18:19], s[10:11], s2, v21, v[18:19]
	s_mul_i32 s3, s3, s7
	v_mov_b32_e32 v28, s28
	s_load_dwordx4 s[12:15], s[0:1], 0x58
	v_add_u32_e32 v21, s3, v19
	v_mad_u64_u32 v[18:19], s[10:11], v18, s6, v[28:29]
	v_mov_b32_e32 v22, v19
	v_mad_u64_u32 v[22:23], s[10:11], v21, s6, v[22:23]
	v_mov_b32_e32 v19, v22
	v_lshlrev_b64 v[18:19], 2, v[18:19]
	s_waitcnt lgkmcnt(0)
	v_lshl_add_u64 v[22:23], s[14:15], 0, v[18:19]
	v_lshl_add_u64 v[18:19], s[12:13], 0, v[18:19]
	global_store_dword v[22:23], v38, off
	global_store_dword v[18:19], v39, off
.LBB1197_15:
	s_or_b64 exec, exec, s[4:5]
	s_waitcnt vmcnt(3)
	v_cvt_pk_f32_fp8_e32 v[18:19], v14
	v_cvt_pk_f32_fp8_sdwa v[22:23], v14 src0_sel:WORD_1
	s_mov_b32 s4, 0x7060302
	v_lshl_or_b32 v14, v42, 9, v27
	s_waitcnt lgkmcnt(0)
	s_barrier
	v_perm_b32 v18, v19, v18, s4
	v_perm_b32 v19, v23, v22, s4
	v_cvt_pk_f32_fp8_e32 v[28:29], v15
	ds_read_b128 v[22:25], v14
	v_cvt_pk_f32_fp8_sdwa v[36:37], v15 src0_sel:WORD_1
	s_load_dword s10, s[42:43], 0x0
	v_perm_b32 v38, v29, v28, s4
	ds_read_b128 v[28:31], v14 offset:16
	v_perm_b32 v39, v37, v36, s4
	s_waitcnt lgkmcnt(0)
	v_mfma_f32_16x16x16_bf16 v[32:35], v[18:19], v[22:23], 0
	v_cvt_pk_f32_fp8_e32 v[18:19], v16
	v_cvt_pk_f32_fp8_sdwa v[36:37], v16 src0_sel:WORD_1
	v_cmp_gt_u32_e32 vcc, 64, v0
	v_mfma_f32_16x16x16_bf16 v[22:25], v[38:39], v[24:25], v[32:35]
	v_perm_b32 v18, v19, v18, s4
	v_perm_b32 v19, v37, v36, s4
	s_waitcnt vmcnt(2)
	v_cvt_pk_f32_fp8_sdwa v[36:37], v10 src0_sel:WORD_1
	v_cvt_pk_f32_fp8_e32 v[32:33], v17
	v_cvt_pk_f32_fp8_sdwa v[16:17], v17 src0_sel:WORD_1
	v_cvt_pk_f32_fp8_e32 v[34:35], v10
	s_mov_b32 s3, 0
	v_perm_b32 v32, v33, v32, s4
	v_perm_b32 v33, v17, v16, s4
	v_mfma_f32_16x16x16_bf16 v[16:19], v[18:19], v[28:29], v[22:25]
	v_perm_b32 v34, v35, v34, s4
	v_perm_b32 v35, v37, v36, s4
	v_cvt_pk_f32_fp8_e32 v[28:29], v11
	ds_read_b128 v[22:25], v14 offset:2048
	v_cvt_pk_f32_fp8_sdwa v[10:11], v11 src0_sel:WORD_1
	v_mfma_f32_16x16x16_bf16 v[16:19], v[32:33], v[30:31], v[16:19]
	v_perm_b32 v32, v29, v28, s4
	ds_read_b128 v[28:31], v14 offset:2064
	v_perm_b32 v33, v11, v10, s4
	s_waitcnt lgkmcnt(1)
	v_mfma_f32_16x16x16_bf16 v[16:19], v[34:35], v[22:23], v[16:19]
	v_cvt_pk_f32_fp8_e32 v[10:11], v12
	v_cvt_pk_f32_fp8_sdwa v[22:23], v12 src0_sel:WORD_1
	v_mov_b32_e32 v27, 0
	v_mfma_f32_16x16x16_bf16 v[16:19], v[32:33], v[24:25], v[16:19]
	v_cvt_pk_f32_fp8_e32 v[24:25], v13
	v_perm_b32 v10, v11, v10, s4
	v_perm_b32 v11, v23, v22, s4
	v_cvt_pk_f32_fp8_sdwa v[12:13], v13 src0_sel:WORD_1
	v_perm_b32 v22, v25, v24, s4
	s_waitcnt vmcnt(1)
	v_cvt_pk_f32_fp8_e32 v[24:25], v6
	v_cvt_pk_f32_fp8_sdwa v[32:33], v6 src0_sel:WORD_1
	v_perm_b32 v23, v13, v12, s4
	s_waitcnt lgkmcnt(0)
	v_mfma_f32_16x16x16_bf16 v[10:13], v[10:11], v[28:29], v[16:19]
	v_perm_b32 v28, v25, v24, s4
	v_perm_b32 v29, v33, v32, s4
	v_cvt_pk_f32_fp8_e32 v[24:25], v7
	ds_read_b128 v[16:19], v14 offset:4096
	v_cvt_pk_f32_fp8_sdwa v[6:7], v7 src0_sel:WORD_1
	v_mfma_f32_16x16x16_bf16 v[10:13], v[22:23], v[30:31], v[10:13]
	v_perm_b32 v30, v25, v24, s4
	ds_read_b128 v[22:25], v14 offset:4112
	v_perm_b32 v31, v7, v6, s4
	s_waitcnt lgkmcnt(1)
	v_mfma_f32_16x16x16_bf16 v[10:13], v[28:29], v[16:17], v[10:13]
	v_cvt_pk_f32_fp8_e32 v[6:7], v8
	v_cvt_pk_f32_fp8_sdwa v[16:17], v8 src0_sel:WORD_1
	s_waitcnt vmcnt(0)
	v_cvt_pk_f32_fp8_sdwa v[28:29], v2 src0_sel:WORD_1
	v_mfma_f32_16x16x16_bf16 v[10:13], v[30:31], v[18:19], v[10:13]
	v_cvt_pk_f32_fp8_e32 v[18:19], v9
	v_perm_b32 v6, v7, v6, s4
	v_perm_b32 v7, v17, v16, s4
	v_cvt_pk_f32_fp8_sdwa v[8:9], v9 src0_sel:WORD_1
	v_perm_b32 v16, v19, v18, s4
	v_cvt_pk_f32_fp8_e32 v[18:19], v2
	v_perm_b32 v17, v9, v8, s4
	s_waitcnt lgkmcnt(0)
	v_mfma_f32_16x16x16_bf16 v[6:9], v[6:7], v[22:23], v[10:13]
	v_perm_b32 v18, v19, v18, s4
	v_perm_b32 v19, v29, v28, s4
	v_cvt_pk_f32_fp8_e32 v[22:23], v3
	ds_read_b128 v[10:13], v14 offset:6144
	v_cvt_pk_f32_fp8_sdwa v[2:3], v3 src0_sel:WORD_1
	v_mfma_f32_16x16x16_bf16 v[6:9], v[16:17], v[24:25], v[6:9]
	v_perm_b32 v22, v23, v22, s4
	ds_read_b128 v[14:17], v14 offset:6160
	v_perm_b32 v23, v3, v2, s4
	s_waitcnt lgkmcnt(1)
	v_mfma_f32_16x16x16_bf16 v[6:9], v[18:19], v[10:11], v[6:9]
	v_cvt_pk_f32_fp8_e32 v[2:3], v4
	v_cvt_pk_f32_fp8_sdwa v[10:11], v4 src0_sel:WORD_1
	s_waitcnt lgkmcnt(0)
	v_mfma_f32_16x16x16_bf16 v[6:9], v[22:23], v[12:13], v[6:9]
	v_perm_b32 v2, v3, v2, s4
	v_perm_b32 v3, v11, v10, s4
	v_cvt_pk_f32_fp8_e32 v[10:11], v5
	v_cvt_pk_f32_fp8_sdwa v[4:5], v5 src0_sel:WORD_1
	s_barrier
	v_perm_b32 v10, v11, v10, s4
	v_perm_b32 v11, v5, v4, s4
	v_mfma_f32_16x16x16_bf16 v[2:5], v[2:3], v[14:15], v[6:9]
	s_nop 0
	v_mfma_f32_16x16x16_bf16 v[2:5], v[10:11], v[16:17], v[2:5]
	s_nop 6
	v_pk_mul_f32 v[2:3], v[2:3], s[10:11] op_sel_hi:[1,0]
	v_pk_mul_f32 v[4:5], v[4:5], s[10:11] op_sel_hi:[1,0]
	v_bfe_u32 v6, v3, 16, 1
	v_bfe_u32 v7, v2, 16, 1
	v_add3_u32 v2, v2, v7, s8
	v_add3_u32 v3, v3, v6, s8
	v_perm_b32 v2, v3, v2, s4
	v_bfe_u32 v3, v5, 16, 1
	v_bfe_u32 v6, v4, 16, 1
	v_add3_u32 v4, v4, v6, s8
	v_add3_u32 v3, v5, v3, s8
	v_perm_b32 v3, v3, v4, s4
	s_and_b64 s[4:5], vcc, s[30:31]
	ds_write_b64 v20, v[2:3]
	s_waitcnt lgkmcnt(0)
	s_barrier
	s_and_saveexec_b64 s[8:9], s[4:5]
	s_cbranch_execz .LBB1197_18
; %bb.16:
	s_load_dwordx2 s[4:5], s[0:1], 0x68
	s_lshl_b32 s0, s6, 6
	s_mul_i32 s1, s7, s2
	s_mul_hi_u32 s7, s1, s0
	s_mul_i32 s6, s1, s0
	v_lshlrev_b32_e32 v0, 10, v0
	s_lshl_b64 s[6:7], s[6:7], 1
	v_and_b32_e32 v0, 0x1800, v0
	v_lshlrev_b32_e32 v2, 5, v42
	v_and_b32_e32 v1, 16, v1
	s_waitcnt lgkmcnt(0)
	s_add_u32 s1, s4, s6
	v_or3_b32 v2, v0, v2, v1
	s_addc_u32 s4, s5, s7
	s_lshl_b32 s2, s28, 6
	s_lshl_b64 s[2:3], s[2:3], 1
	ds_read_b128 v[4:7], v2 offset:128
	ds_read_b128 v[8:11], v2
	s_add_u32 s2, s1, s2
	s_addc_u32 s3, s4, s3
	v_add_u32_e32 v14, s48, v42
	v_lshl_add_u64 v[0:1], s[2:3], 0, v[26:27]
	v_mad_u64_u32 v[12:13], s[2:3], v14, s0, 0
	v_lshl_add_u64 v[12:13], v[12:13], 1, v[0:1]
	s_waitcnt lgkmcnt(0)
	global_store_dwordx4 v[12:13], v[8:11], off
	v_or_b32_e32 v3, 8, v42
	v_cmp_gt_u32_e32 vcc, 10, v3
	v_add_u32_e32 v8, 4, v14
	v_mad_u64_u32 v[8:9], s[2:3], v8, s0, 0
	v_lshl_add_u64 v[8:9], v[8:9], 1, v[0:1]
	global_store_dwordx4 v[8:9], v[4:7], off
	s_and_b64 exec, exec, vcc
	s_cbranch_execz .LBB1197_18
; %bb.17:
	ds_read_b128 v[4:7], v2 offset:256
	v_add_u32_e32 v2, s48, v3
	v_mad_u64_u32 v[2:3], s[0:1], v2, s0, 0
	v_lshl_add_u64 v[0:1], v[2:3], 1, v[0:1]
	s_waitcnt lgkmcnt(0)
	global_store_dwordx4 v[0:1], v[4:7], off
.LBB1197_18:
	s_endpgm
	.section	.rodata,"a",@progbits
	.p2align	6, 0x0
	.amdhsa_kernel _Z39paged_attention_ll4mi_QKV_mfma16_kernelI14__hip_bfloat16hLN4vllm18Fp8KVCacheDataTypeE1EhLi32ELi64ELi256ELb0ELi10EEvPKT_PKT0_S8_ifPKiSA_SA_iPKfiiiPfSD_PS3_PT2_iSC_SC_
		.amdhsa_group_segment_fixed_size 8192
		.amdhsa_private_segment_fixed_size 0
		.amdhsa_kernarg_size 400
		.amdhsa_user_sgpr_count 2
		.amdhsa_user_sgpr_dispatch_ptr 0
		.amdhsa_user_sgpr_queue_ptr 0
		.amdhsa_user_sgpr_kernarg_segment_ptr 1
		.amdhsa_user_sgpr_dispatch_id 0
		.amdhsa_user_sgpr_kernarg_preload_length 0
		.amdhsa_user_sgpr_kernarg_preload_offset 0
		.amdhsa_user_sgpr_private_segment_size 0
		.amdhsa_uses_dynamic_stack 0
		.amdhsa_enable_private_segment 0
		.amdhsa_system_sgpr_workgroup_id_x 1
		.amdhsa_system_sgpr_workgroup_id_y 1
		.amdhsa_system_sgpr_workgroup_id_z 1
		.amdhsa_system_sgpr_workgroup_info 0
		.amdhsa_system_vgpr_workitem_id 0
		.amdhsa_next_free_vgpr 54
		.amdhsa_next_free_sgpr 50
		.amdhsa_accum_offset 56
		.amdhsa_reserve_vcc 1
		.amdhsa_float_round_mode_32 0
		.amdhsa_float_round_mode_16_64 0
		.amdhsa_float_denorm_mode_32 3
		.amdhsa_float_denorm_mode_16_64 3
		.amdhsa_dx10_clamp 1
		.amdhsa_ieee_mode 1
		.amdhsa_fp16_overflow 0
		.amdhsa_tg_split 0
		.amdhsa_exception_fp_ieee_invalid_op 0
		.amdhsa_exception_fp_denorm_src 0
		.amdhsa_exception_fp_ieee_div_zero 0
		.amdhsa_exception_fp_ieee_overflow 0
		.amdhsa_exception_fp_ieee_underflow 0
		.amdhsa_exception_fp_ieee_inexact 0
		.amdhsa_exception_int_div_zero 0
	.end_amdhsa_kernel
	.section	.text._Z39paged_attention_ll4mi_QKV_mfma16_kernelI14__hip_bfloat16hLN4vllm18Fp8KVCacheDataTypeE1EhLi32ELi64ELi256ELb0ELi10EEvPKT_PKT0_S8_ifPKiSA_SA_iPKfiiiPfSD_PS3_PT2_iSC_SC_,"axG",@progbits,_Z39paged_attention_ll4mi_QKV_mfma16_kernelI14__hip_bfloat16hLN4vllm18Fp8KVCacheDataTypeE1EhLi32ELi64ELi256ELb0ELi10EEvPKT_PKT0_S8_ifPKiSA_SA_iPKfiiiPfSD_PS3_PT2_iSC_SC_,comdat
.Lfunc_end1197:
	.size	_Z39paged_attention_ll4mi_QKV_mfma16_kernelI14__hip_bfloat16hLN4vllm18Fp8KVCacheDataTypeE1EhLi32ELi64ELi256ELb0ELi10EEvPKT_PKT0_S8_ifPKiSA_SA_iPKfiiiPfSD_PS3_PT2_iSC_SC_, .Lfunc_end1197-_Z39paged_attention_ll4mi_QKV_mfma16_kernelI14__hip_bfloat16hLN4vllm18Fp8KVCacheDataTypeE1EhLi32ELi64ELi256ELb0ELi10EEvPKT_PKT0_S8_ifPKiSA_SA_iPKfiiiPfSD_PS3_PT2_iSC_SC_
                                        ; -- End function
	.section	.AMDGPU.csdata,"",@progbits
; Kernel info:
; codeLenInByte = 4964
; NumSgprs: 56
; NumVgprs: 54
; NumAgprs: 0
; TotalNumVgprs: 54
; ScratchSize: 0
; MemoryBound: 0
; FloatMode: 240
; IeeeMode: 1
; LDSByteSize: 8192 bytes/workgroup (compile time only)
; SGPRBlocks: 6
; VGPRBlocks: 6
; NumSGPRsForWavesPerEU: 56
; NumVGPRsForWavesPerEU: 54
; AccumOffset: 56
; Occupancy: 8
; WaveLimiterHint : 1
; COMPUTE_PGM_RSRC2:SCRATCH_EN: 0
; COMPUTE_PGM_RSRC2:USER_SGPR: 2
; COMPUTE_PGM_RSRC2:TRAP_HANDLER: 0
; COMPUTE_PGM_RSRC2:TGID_X_EN: 1
; COMPUTE_PGM_RSRC2:TGID_Y_EN: 1
; COMPUTE_PGM_RSRC2:TGID_Z_EN: 1
; COMPUTE_PGM_RSRC2:TIDIG_COMP_CNT: 0
; COMPUTE_PGM_RSRC3_GFX90A:ACCUM_OFFSET: 13
; COMPUTE_PGM_RSRC3_GFX90A:TG_SPLIT: 0
	.section	.text._Z39paged_attention_ll4mi_QKV_mfma16_kernelI14__hip_bfloat16hLN4vllm18Fp8KVCacheDataTypeE1EhLi32ELi64ELi256ELb0ELi11EEvPKT_PKT0_S8_ifPKiSA_SA_iPKfiiiPfSD_PS3_PT2_iSC_SC_,"axG",@progbits,_Z39paged_attention_ll4mi_QKV_mfma16_kernelI14__hip_bfloat16hLN4vllm18Fp8KVCacheDataTypeE1EhLi32ELi64ELi256ELb0ELi11EEvPKT_PKT0_S8_ifPKiSA_SA_iPKfiiiPfSD_PS3_PT2_iSC_SC_,comdat
	.protected	_Z39paged_attention_ll4mi_QKV_mfma16_kernelI14__hip_bfloat16hLN4vllm18Fp8KVCacheDataTypeE1EhLi32ELi64ELi256ELb0ELi11EEvPKT_PKT0_S8_ifPKiSA_SA_iPKfiiiPfSD_PS3_PT2_iSC_SC_ ; -- Begin function _Z39paged_attention_ll4mi_QKV_mfma16_kernelI14__hip_bfloat16hLN4vllm18Fp8KVCacheDataTypeE1EhLi32ELi64ELi256ELb0ELi11EEvPKT_PKT0_S8_ifPKiSA_SA_iPKfiiiPfSD_PS3_PT2_iSC_SC_
	.globl	_Z39paged_attention_ll4mi_QKV_mfma16_kernelI14__hip_bfloat16hLN4vllm18Fp8KVCacheDataTypeE1EhLi32ELi64ELi256ELb0ELi11EEvPKT_PKT0_S8_ifPKiSA_SA_iPKfiiiPfSD_PS3_PT2_iSC_SC_
	.p2align	8
	.type	_Z39paged_attention_ll4mi_QKV_mfma16_kernelI14__hip_bfloat16hLN4vllm18Fp8KVCacheDataTypeE1EhLi32ELi64ELi256ELb0ELi11EEvPKT_PKT0_S8_ifPKiSA_SA_iPKfiiiPfSD_PS3_PT2_iSC_SC_,@function
_Z39paged_attention_ll4mi_QKV_mfma16_kernelI14__hip_bfloat16hLN4vllm18Fp8KVCacheDataTypeE1EhLi32ELi64ELi256ELb0ELi11EEvPKT_PKT0_S8_ifPKiSA_SA_iPKfiiiPfSD_PS3_PT2_iSC_SC_: ; @_Z39paged_attention_ll4mi_QKV_mfma16_kernelI14__hip_bfloat16hLN4vllm18Fp8KVCacheDataTypeE1EhLi32ELi64ELi256ELb0ELi11EEvPKT_PKT0_S8_ifPKiSA_SA_iPKfiiiPfSD_PS3_PT2_iSC_SC_
; %bb.0:
	s_load_dwordx2 s[12:13], s[0:1], 0x30
	s_mov_b32 s28, s3
	s_mov_b64 s[6:7], 0
	s_waitcnt lgkmcnt(0)
	s_cmp_lg_u64 s[12:13], 0
	s_cselect_b64 s[14:15], -1, 0
	s_and_b64 vcc, exec, s[14:15]
	s_cbranch_vccz .LBB1198_7
; %bb.1:
	s_add_i32 s8, s2, 1
	s_mov_b32 s9, 0
	s_lshl_b64 s[10:11], s[8:9], 2
	s_add_u32 s10, s12, s10
	s_mov_b32 s3, s9
	s_addc_u32 s11, s13, s11
	s_lshl_b64 s[8:9], s[2:3], 2
	s_add_u32 s8, s12, s8
	s_addc_u32 s9, s13, s9
	s_load_dword s5, s[10:11], 0x0
	s_load_dword s16, s[8:9], 0x0
	s_waitcnt lgkmcnt(0)
	s_sub_i32 s5, s5, s16
	s_cmp_eq_u32 s5, 1
	s_cselect_b64 s[8:9], -1, 0
	s_andn2_b64 vcc, exec, s[6:7]
	s_cbranch_vccnz .LBB1198_3
.LBB1198_2:
	s_mov_b32 s3, 0
	s_mov_b64 s[8:9], -1
.LBB1198_3:
	s_andn2_b64 vcc, exec, s[8:9]
	s_cbranch_vccnz .LBB1198_18
; %bb.4:
	s_load_dwordx2 s[6:7], s[0:1], 0x28
	s_lshl_b64 s[16:17], s[2:3], 2
	s_waitcnt lgkmcnt(0)
	s_add_u32 s6, s6, s16
	s_addc_u32 s7, s7, s17
	s_load_dword s33, s[6:7], 0x0
	s_lshl_b32 s5, s28, 8
	s_waitcnt lgkmcnt(0)
	s_cmp_ge_i32 s5, s33
	s_cbranch_scc1 .LBB1198_18
; %bb.5:
	s_load_dwordx2 s[6:7], s[0:1], 0x20
	s_load_dword s8, s[0:1], 0x38
	s_add_i32 s9, s33, 31
	s_ashr_i32 s10, s9, 31
	v_and_b32_e32 v1, 0xcf, v0
	s_lshr_b32 s10, s10, 27
	v_add_u32_e32 v1, s5, v1
	s_add_i32 s9, s9, s10
	v_ashrrev_i32_e32 v2, 31, v1
	s_ashr_i32 s18, s9, 5
	v_lshrrev_b32_e32 v4, 27, v2
	s_add_i32 s18, s18, -1
	s_waitcnt lgkmcnt(0)
	s_mul_i32 s8, s2, s8
	s_mov_b32 s9, 0
	v_add_u32_e32 v2, v1, v4
	s_lshl_b64 s[8:9], s[8:9], 2
	v_ashrrev_i32_e32 v2, 5, v2
	v_mov_b32_e32 v5, s18
	v_cmp_gt_i32_e32 vcc, s33, v1
	s_add_u32 s6, s6, s8
	s_addc_u32 s7, s7, s9
	v_cndmask_b32_e32 v2, v5, v2, vcc
	v_ashrrev_i32_e32 v3, 31, v2
	v_lshl_add_u64 v[6:7], v[2:3], 2, s[6:7]
	v_or_b32_e32 v2, 16, v1
	v_add_u32_e32 v3, v2, v4
	v_ashrrev_i32_e32 v3, 5, v3
	v_cmp_gt_i32_e32 vcc, s33, v2
	s_load_dwordx4 s[8:11], s[0:1], 0x8
	s_nop 0
	v_cndmask_b32_e32 v2, v5, v3, vcc
	v_ashrrev_i32_e32 v3, 31, v2
	v_lshl_add_u64 v[8:9], v[2:3], 2, s[6:7]
	v_or_b32_e32 v2, 32, v1
	v_add_u32_e32 v3, v2, v4
	v_ashrrev_i32_e32 v3, 5, v3
	v_cmp_gt_i32_e32 vcc, s33, v2
	v_or_b32_e32 v1, 48, v1
	s_nop 0
	v_cndmask_b32_e32 v2, v5, v3, vcc
	v_ashrrev_i32_e32 v3, 31, v2
	v_lshl_add_u64 v[10:11], v[2:3], 2, s[6:7]
	v_add_u32_e32 v2, v1, v4
	v_ashrrev_i32_e32 v2, 5, v2
	v_cmp_gt_i32_e32 vcc, s33, v1
	s_nop 1
	v_cndmask_b32_e32 v2, v5, v2, vcc
	v_ashrrev_i32_e32 v3, 31, v2
	v_lshl_add_u64 v[12:13], v[2:3], 2, s[6:7]
	global_load_dword v2, v[6:7], off
	global_load_dword v5, v[8:9], off
	;; [unrolled: 1-line block ×4, first 2 shown]
	s_andn2_b64 vcc, exec, s[14:15]
	s_cbranch_vccnz .LBB1198_8
; %bb.6:
	s_add_u32 s12, s12, s16
	s_addc_u32 s13, s13, s17
	s_load_dword s14, s[12:13], 0x0
	s_branch .LBB1198_9
.LBB1198_7:
	s_mov_b64 s[8:9], 0
	s_branch .LBB1198_2
.LBB1198_8:
	s_mov_b32 s14, s2
.LBB1198_9:
	s_load_dwordx4 s[44:47], s[0:1], 0x48
	v_lshrrev_b32_e32 v29, 6, v0
	v_bfe_u32 v42, v0, 4, 2
	v_lshl_or_b32 v3, v29, 2, v42
	v_and_b32_e32 v28, 15, v0
	v_lshlrev_b32_e32 v1, 3, v28
	v_cmp_gt_u32_e32 vcc, 11, v3
	v_cmp_gt_u32_e64 s[30:31], 8, v28
	v_and_b32_e32 v43, 63, v0
	s_mul_i32 s48, s4, 11
	s_and_b64 s[16:17], s[30:31], vcc
	v_lshlrev_b32_e32 v26, 1, v1
	v_lshlrev_b32_e32 v1, 4, v0
	s_and_saveexec_b64 s[12:13], s[16:17]
	s_cbranch_execz .LBB1198_11
; %bb.10:
	s_load_dwordx2 s[16:17], s[0:1], 0x0
	s_waitcnt lgkmcnt(0)
	s_ashr_i32 s15, s44, 31
	s_mul_hi_u32 s19, s14, s44
	s_mul_i32 s15, s14, s15
	s_add_i32 s15, s19, s15
	s_mul_i32 s14, s14, s44
	s_lshl_b64 s[14:15], s[14:15], 1
	s_add_u32 s14, s16, s14
	v_add_lshl_u32 v6, v3, s48, 6
	s_addc_u32 s15, s17, s15
	v_ashrrev_i32_e32 v7, 31, v6
	v_lshl_add_u64 v[6:7], v[6:7], 1, s[14:15]
	v_mov_b32_e32 v27, 0
	v_lshl_add_u64 v[6:7], v[6:7], 0, v[26:27]
	global_load_dwordx4 v[6:9], v[6:7], off
	v_lshlrev_b32_e32 v11, 8, v28
	v_lshlrev_b32_e32 v3, 5, v3
	v_and_b32_e32 v10, 16, v1
	v_and_b32_e32 v11, 0xe00, v11
	v_or3_b32 v3, v11, v3, v10
	s_waitcnt vmcnt(0)
	ds_write_b128 v3, v[6:9]
.LBB1198_11:
	s_or_b64 exec, exec, s[12:13]
	s_waitcnt lgkmcnt(0)
	s_mul_i32 s4, s4, s46
	s_add_u32 s8, s8, s4
	s_addc_u32 s9, s9, 0
	v_mov_b32_e32 v31, 0
	v_mov_b64_e32 v[18:19], s[8:9]
	v_and_b32_e32 v8, 48, v0
	s_waitcnt vmcnt(3)
	v_mad_i64_i32 v[6:7], s[8:9], v2, s45, v[18:19]
	v_lshlrev_b32_e32 v2, 4, v28
	v_mov_b32_e32 v3, v31
	v_lshlrev_b32_e32 v30, 5, v8
	v_lshl_add_u64 v[6:7], v[6:7], 0, v[2:3]
	v_lshl_add_u64 v[6:7], v[6:7], 0, v[30:31]
	s_load_dword s29, s[0:1], 0x98
	s_load_dwordx4 s[40:43], s[0:1], 0x80
	s_waitcnt lgkmcnt(0)
	s_barrier
	global_load_dwordx4 v[10:13], v[6:7], off
	s_waitcnt vmcnt(3)
	v_mad_i64_i32 v[6:7], s[8:9], v5, s45, v[18:19]
	v_or_b32_e32 v32, 0x100, v2
	v_mov_b32_e32 v33, v31
	v_lshl_add_u64 v[6:7], v[6:7], 0, v[32:33]
	v_lshl_add_u64 v[6:7], v[6:7], 0, v[30:31]
	global_load_dwordx4 v[14:17], v[6:7], off
	s_ashr_i32 s8, s5, 31
	v_or_b32_e32 v5, s5, v8
	s_lshr_b32 s12, s8, 27
	v_add_u32_e32 v8, s12, v5
	v_ashrrev_i32_e32 v8, 5, v8
	v_mov_b32_e32 v21, s18
	v_cmp_gt_i32_e32 vcc, s33, v5
	v_or_b32_e32 v34, 64, v5
	v_or_b32_e32 v35, 0x80, v5
	v_cndmask_b32_e32 v8, v21, v8, vcc
	v_ashrrev_i32_e32 v9, 31, v8
	v_lshl_add_u64 v[8:9], v[8:9], 2, s[6:7]
	global_load_dword v50, v[8:9], off
	v_or_b32_e32 v36, 0xc0, v5
	s_waitcnt vmcnt(4)
	v_mad_i64_i32 v[4:5], s[8:9], v4, s45, v[18:19]
	v_lshl_add_u64 v[2:3], v[4:5], 0, v[2:3]
	v_lshl_add_u64 v[2:3], v[2:3], 0, v[30:31]
	global_load_dwordx4 v[22:25], v[2:3], off
	v_add_u32_e32 v6, -11, v28
	v_cmp_gt_u32_e32 vcc, 11, v28
	s_waitcnt vmcnt(4)
	v_mad_i64_i32 v[18:19], s[8:9], v20, s45, v[18:19]
	v_add_u32_e32 v20, s12, v34
	v_cndmask_b32_e32 v6, v6, v28, vcc
	v_add_u32_e32 v37, s12, v35
	v_ashrrev_i32_e32 v20, 5, v20
	v_cmp_gt_i32_e32 vcc, s33, v34
	v_lshlrev_b32_e32 v6, 5, v6
	v_add_u32_e32 v38, s12, v36
	v_lshl_add_u64 v[18:19], v[18:19], 0, v[32:33]
	v_ashrrev_i32_e32 v33, 5, v37
	v_cndmask_b32_e32 v32, v21, v20, vcc
	v_cmp_gt_i32_e32 vcc, s33, v35
	v_lshl_add_u32 v2, v42, 9, v6
	v_ashrrev_i32_e32 v37, 5, v38
	v_lshl_add_u64 v[18:19], v[18:19], 0, v[30:31]
	v_cndmask_b32_e32 v34, v21, v33, vcc
	v_cmp_gt_i32_e32 vcc, s33, v36
	ds_read_b128 v[6:9], v2
	ds_read_b128 v[2:5], v2 offset:16
	v_cndmask_b32_e32 v36, v21, v37, vcc
	global_load_dwordx4 v[18:21], v[18:19], off
	v_ashrrev_i32_e32 v33, 31, v32
	v_ashrrev_i32_e32 v35, 31, v34
	v_lshl_add_u64 v[40:41], v[32:33], 2, s[6:7]
	v_lshl_add_u64 v[44:45], v[34:35], 2, s[6:7]
	s_add_u32 s8, s10, s4
	v_lshlrev_b32_e32 v27, 5, v28
	s_addc_u32 s9, s11, 0
	v_and_b32_e32 v30, 16, v0
	s_mov_b32 s44, 0x7060302
	v_lshl_add_u64 v[38:39], s[8:9], 0, v[30:31]
	v_lshl_or_b32 v30, v29, 9, v27
	v_lshl_add_u64 v[30:31], v[38:39], 0, v[30:31]
	v_ashrrev_i32_e32 v37, 31, v36
	v_lshl_add_u64 v[36:37], v[36:37], 2, s[6:7]
	s_load_dword s13, s[0:1], 0x1c
	s_mov_b32 s46, 0xff7fffff
	s_waitcnt vmcnt(4)
	v_cvt_pk_f32_fp8_e32 v[32:33], v10
	v_cvt_pk_f32_fp8_sdwa v[34:35], v10 src0_sel:WORD_1
	v_cvt_pk_f32_fp8_e32 v[38:39], v11
	v_cvt_pk_f32_fp8_sdwa v[10:11], v11 src0_sel:WORD_1
	v_perm_b32 v32, v33, v32, s44
	v_perm_b32 v33, v35, v34, s44
	;; [unrolled: 1-line block ×4, first 2 shown]
	v_cvt_pk_f32_fp8_e32 v[46:47], v12
	v_cvt_pk_f32_fp8_sdwa v[48:49], v12 src0_sel:WORD_1
	s_waitcnt lgkmcnt(0)
	v_mfma_f32_16x16x16_bf16 v[32:35], v[32:33], v[6:7], 0
	global_load_dword v12, v[40:41], off
	s_nop 0
	global_load_dword v44, v[44:45], off
	s_nop 0
	global_load_dword v45, v[36:37], off
	v_perm_b32 v36, v47, v46, s44
	v_perm_b32 v37, v49, v48, s44
	v_mfma_f32_16x16x16_bf16 v[32:35], v[38:39], v[8:9], v[32:35]
	v_cvt_pk_f32_fp8_e32 v[38:39], v13
	v_cvt_pk_f32_fp8_sdwa v[40:41], v13 src0_sel:WORD_1
	s_waitcnt vmcnt(6)
	v_cvt_pk_f32_fp8_e32 v[46:47], v16
	v_mfma_f32_16x16x16_bf16 v[32:35], v[36:37], v[2:3], v[32:35]
	v_perm_b32 v38, v39, v38, s44
	v_perm_b32 v39, v41, v40, s44
	v_cvt_pk_f32_fp8_e32 v[36:37], v14
	v_cvt_pk_f32_fp8_sdwa v[40:41], v14 src0_sel:WORD_1
	v_mfma_f32_16x16x16_bf16 v[32:35], v[38:39], v[4:5], v[32:35]
	v_cvt_pk_f32_fp8_e32 v[38:39], v15
	v_perm_b32 v36, v37, v36, s44
	v_perm_b32 v37, v41, v40, s44
	v_cvt_pk_f32_fp8_sdwa v[14:15], v15 src0_sel:WORD_1
	v_perm_b32 v40, v39, v38, s44
	v_cvt_pk_f32_fp8_sdwa v[48:49], v16 src0_sel:WORD_1
	v_mfma_f32_16x16x16_bf16 v[36:39], v[36:37], v[6:7], 0
	v_perm_b32 v41, v15, v14, s44
	s_waitcnt vmcnt(5)
	v_mad_i64_i32 v[10:11], s[6:7], v50, s45, v[30:31]
	v_perm_b32 v46, v47, v46, s44
	v_perm_b32 v47, v49, v48, s44
	v_cvt_pk_f32_fp8_e32 v[48:49], v17
	v_cvt_pk_f32_fp8_sdwa v[50:51], v17 src0_sel:WORD_1
	v_mfma_f32_16x16x16_bf16 v[14:17], v[40:41], v[8:9], v[36:39]
	s_waitcnt vmcnt(4)
	v_cvt_pk_f32_fp8_sdwa v[40:41], v22 src0_sel:WORD_1
	s_load_dword s4, s[40:41], 0x0
	v_mov_b32_e32 v13, s13
	v_perm_b32 v36, v49, v48, s44
	v_perm_b32 v37, v51, v50, s44
	v_mfma_f32_16x16x16_bf16 v[14:17], v[46:47], v[2:3], v[14:17]
	v_cvt_pk_f32_fp8_e32 v[38:39], v22
	v_cvt_pk_f32_fp8_e32 v[46:47], v24
	v_cvt_pk_f32_fp8_sdwa v[48:49], v24 src0_sel:WORD_1
	v_mfma_f32_16x16x16_bf16 v[14:17], v[36:37], v[4:5], v[14:17]
	v_cvt_pk_f32_fp8_e32 v[36:37], v23
	v_perm_b32 v38, v39, v38, s44
	v_perm_b32 v39, v41, v40, s44
	v_cvt_pk_f32_fp8_sdwa v[22:23], v23 src0_sel:WORD_1
	v_perm_b32 v40, v37, v36, s44
	v_mfma_f32_16x16x16_bf16 v[36:39], v[38:39], v[6:7], 0
	v_perm_b32 v41, v23, v22, s44
	v_perm_b32 v46, v47, v46, s44
	;; [unrolled: 1-line block ×3, first 2 shown]
	v_cvt_pk_f32_fp8_e32 v[48:49], v25
	v_cvt_pk_f32_fp8_sdwa v[24:25], v25 src0_sel:WORD_1
	v_mfma_f32_16x16x16_bf16 v[36:39], v[40:41], v[8:9], v[36:39]
	s_waitcnt lgkmcnt(0)
	v_mul_f32_e32 v50, s4, v13
	v_perm_b32 v40, v49, v48, s44
	v_perm_b32 v41, v25, v24, s44
	v_pk_mul_f32 v[22:23], v[50:51], v[34:35] op_sel_hi:[0,1]
	v_mfma_f32_16x16x16_bf16 v[36:39], v[46:47], v[2:3], v[36:39]
	v_pk_mul_f32 v[34:35], v[50:51], v[32:33] op_sel_hi:[0,1]
	s_waitcnt vmcnt(3)
	v_cvt_pk_f32_fp8_e32 v[24:25], v18
	v_cvt_pk_f32_fp8_sdwa v[32:33], v18 src0_sel:WORD_1
	v_mfma_f32_16x16x16_bf16 v[46:49], v[40:41], v[4:5], v[36:39]
	v_cvt_pk_f32_fp8_e32 v[40:41], v20
	v_perm_b32 v24, v25, v24, s44
	v_perm_b32 v25, v33, v32, s44
	v_cvt_pk_f32_fp8_e32 v[36:37], v19
	v_cvt_pk_f32_fp8_sdwa v[18:19], v19 src0_sel:WORD_1
	v_cvt_pk_f32_fp8_sdwa v[52:53], v20 src0_sel:WORD_1
	v_perm_b32 v32, v37, v36, s44
	v_perm_b32 v33, v19, v18, s44
	v_mfma_f32_16x16x16_bf16 v[36:39], v[24:25], v[6:7], 0
	v_perm_b32 v18, v41, v40, s44
	v_perm_b32 v19, v53, v52, s44
	v_cvt_pk_f32_fp8_e32 v[24:25], v21
	v_cvt_pk_f32_fp8_sdwa v[20:21], v21 src0_sel:WORD_1
	v_mfma_f32_16x16x16_bf16 v[6:9], v[32:33], v[8:9], v[36:39]
	v_pk_mul_f32 v[40:41], v[50:51], v[14:15] op_sel_hi:[0,1]
	v_pk_mul_f32 v[32:33], v[50:51], v[48:49] op_sel_hi:[0,1]
	s_nop 0
	v_pk_mul_f32 v[36:37], v[50:51], v[16:17] op_sel_hi:[0,1]
	v_perm_b32 v16, v25, v24, s44
	v_perm_b32 v17, v21, v20, s44
	v_mfma_f32_16x16x16_bf16 v[6:9], v[18:19], v[2:3], v[6:9]
	v_pk_mul_f32 v[38:39], v[50:51], v[46:47] op_sel_hi:[0,1]
	v_mfma_f32_16x16x16_bf16 v[2:5], v[16:17], v[4:5], v[6:9]
	s_nop 6
	v_pk_mul_f32 v[24:25], v[50:51], v[2:3] op_sel_hi:[0,1]
	v_and_b32_e32 v2, 0xc0, v0
	v_add_u32_e32 v2, s5, v2
	v_lshl_or_b32 v2, v42, 2, v2
	v_pk_mul_f32 v[18:19], v[50:51], v[4:5] op_sel_hi:[0,1]
	v_or_b32_e32 v5, 1, v2
	v_mov_b32_e32 v3, 0xff7fffff
	v_cmp_gt_i32_e64 s[4:5], s33, v2
	v_cmp_gt_i32_e64 s[34:35], s33, v5
	v_or_b32_e32 v6, 3, v2
	v_cndmask_b32_e64 v4, v3, v34, s[4:5]
	v_cndmask_b32_e64 v5, v3, v35, s[34:35]
	v_max3_f32 v4, v4, s46, v5
	v_or_b32_e32 v5, 2, v2
	v_cmp_gt_i32_e64 s[36:37], s33, v5
	v_cmp_gt_i32_e64 s[38:39], s33, v6
	s_nop 0
	v_cndmask_b32_e64 v5, v3, v22, s[36:37]
	v_cndmask_b32_e64 v6, v3, v23, s[38:39]
	v_max3_f32 v4, v4, v5, v6
	v_or_b32_e32 v5, 16, v2
	v_or_b32_e32 v6, 17, v2
	v_cmp_gt_i32_e64 s[24:25], s33, v5
	v_cmp_gt_i32_e64 s[26:27], s33, v6
	s_nop 0
	v_cndmask_b32_e64 v5, v3, v40, s[24:25]
	v_cndmask_b32_e64 v6, v3, v41, s[26:27]
	v_max3_f32 v4, v4, v5, v6
	v_or_b32_e32 v5, 18, v2
	v_or_b32_e32 v6, 19, v2
	v_cmp_gt_i32_e64 s[20:21], s33, v5
	v_cmp_gt_i32_e64 s[22:23], s33, v6
	s_nop 0
	v_cndmask_b32_e64 v5, v3, v36, s[20:21]
	v_cndmask_b32_e64 v6, v3, v37, s[22:23]
	v_max3_f32 v4, v4, v5, v6
	v_or_b32_e32 v5, 32, v2
	v_or_b32_e32 v6, 33, v2
	v_cmp_gt_i32_e64 s[16:17], s33, v5
	v_cmp_gt_i32_e64 s[18:19], s33, v6
	s_nop 0
	v_cndmask_b32_e64 v5, v3, v38, s[16:17]
	v_cndmask_b32_e64 v6, v3, v39, s[18:19]
	v_max3_f32 v4, v4, v5, v6
	v_or_b32_e32 v5, 34, v2
	v_or_b32_e32 v6, 35, v2
	v_cmp_gt_i32_e64 s[12:13], s33, v5
	v_cmp_gt_i32_e64 s[14:15], s33, v6
	s_nop 0
	v_cndmask_b32_e64 v5, v3, v32, s[12:13]
	v_cndmask_b32_e64 v6, v3, v33, s[14:15]
	v_max3_f32 v4, v4, v5, v6
	v_or_b32_e32 v5, 48, v2
	v_or_b32_e32 v6, 49, v2
	v_cmp_gt_i32_e64 s[8:9], s33, v5
	v_cmp_gt_i32_e64 s[10:11], s33, v6
	s_nop 0
	v_cndmask_b32_e64 v5, v3, v24, s[8:9]
	v_cndmask_b32_e64 v6, v3, v25, s[10:11]
	v_max3_f32 v4, v4, v5, v6
	v_or_b32_e32 v5, 50, v2
	v_or_b32_e32 v2, 51, v2
	v_cmp_gt_i32_e32 vcc, s33, v5
	v_cmp_gt_i32_e64 s[6:7], s33, v2
	s_nop 0
	v_cndmask_b32_e32 v5, v3, v18, vcc
	v_cndmask_b32_e64 v2, v3, v19, s[6:7]
	v_max3_f32 v4, v4, v5, v2
	v_mbcnt_lo_u32_b32 v2, -1, 0
	v_mbcnt_hi_u32_b32 v5, -1, v2
	v_and_b32_e32 v2, 64, v5
	v_add_u32_e32 v6, 64, v2
	v_xor_b32_e32 v2, 32, v5
	v_cmp_lt_i32_e64 s[40:41], v2, v6
	s_nop 1
	v_cndmask_b32_e64 v2, v5, v2, s[40:41]
	v_lshlrev_b32_e32 v46, 2, v2
	ds_bpermute_b32 v7, v46, v4
	s_waitcnt vmcnt(2)
	v_mad_i64_i32 v[2:3], s[40:41], v12, s45, v[30:31]
	global_load_dwordx4 v[14:17], v[10:11], off
	s_nop 0
	global_load_dwordx4 v[10:13], v[2:3], off
	v_xor_b32_e32 v3, 16, v5
	v_cmp_lt_i32_e64 s[40:41], v3, v6
	s_waitcnt lgkmcnt(0)
	v_max_f32_e32 v2, v7, v7
	v_max_f32_e32 v2, v4, v2
	v_cndmask_b32_e64 v3, v5, v3, s[40:41]
	v_lshlrev_b32_e32 v47, 2, v3
	ds_bpermute_b32 v3, v47, v2
	s_waitcnt vmcnt(3)
	v_mad_i64_i32 v[20:21], s[40:41], v44, s45, v[30:31]
	s_waitcnt vmcnt(2)
	v_mad_i64_i32 v[30:31], s[40:41], v45, s45, v[30:31]
	s_waitcnt lgkmcnt(0)
	v_max_f32_e32 v3, v3, v3
	v_max_f32_e32 v44, v2, v3
	v_sub_f32_e32 v2, v34, v44
	v_mul_f32_e32 v2, 0x3fb8aa3b, v2
	v_exp_f32_e32 v34, v2
	v_sub_f32_e32 v2, v35, v44
	v_mul_f32_e32 v2, 0x3fb8aa3b, v2
	v_exp_f32_e32 v35, v2
	global_load_dwordx4 v[6:9], v[20:21], off
	global_load_dwordx4 v[2:5], v[30:31], off
	v_sub_f32_e32 v22, v22, v44
	v_mul_f32_e32 v22, 0x3fb8aa3b, v22
	v_sub_f32_e32 v23, v23, v44
	v_exp_f32_e32 v22, v22
	v_mul_f32_e32 v23, 0x3fb8aa3b, v23
	v_exp_f32_e32 v23, v23
	v_cndmask_b32_e64 v20, 0, v34, s[4:5]
	v_add_f32_e32 v30, 0, v20
	v_cndmask_b32_e64 v21, 0, v35, s[34:35]
	v_add_f32_e32 v30, v30, v21
	;; [unrolled: 2-line block ×3, first 2 shown]
	v_cndmask_b32_e64 v35, 0, v23, s[38:39]
	v_sub_f32_e32 v23, v40, v44
	v_sub_f32_e32 v30, v41, v44
	v_mul_f32_e32 v23, 0x3fb8aa3b, v23
	v_mul_f32_e32 v30, 0x3fb8aa3b, v30
	v_exp_f32_e32 v23, v23
	v_exp_f32_e32 v30, v30
	v_add_f32_e32 v31, v22, v35
	v_sub_f32_e32 v32, v32, v44
	v_cndmask_b32_e64 v22, 0, v23, s[24:25]
	v_cndmask_b32_e64 v23, 0, v30, s[26:27]
	v_sub_f32_e32 v30, v36, v44
	v_mul_f32_e32 v30, 0x3fb8aa3b, v30
	v_exp_f32_e32 v30, v30
	v_sub_f32_e32 v36, v37, v44
	v_add_f32_e32 v31, v31, v22
	v_mul_f32_e32 v36, 0x3fb8aa3b, v36
	v_exp_f32_e32 v37, v36
	v_add_f32_e32 v31, v31, v23
	v_cndmask_b32_e64 v36, 0, v30, s[20:21]
	v_add_f32_e32 v30, v31, v36
	v_sub_f32_e32 v31, v38, v44
	v_mul_f32_e32 v31, 0x3fb8aa3b, v31
	v_sub_f32_e32 v38, v39, v44
	v_exp_f32_e32 v31, v31
	v_mul_f32_e32 v38, 0x3fb8aa3b, v38
	v_exp_f32_e32 v38, v38
	v_mul_f32_e32 v32, 0x3fb8aa3b, v32
	v_sub_f32_e32 v33, v33, v44
	v_exp_f32_e32 v32, v32
	v_mul_f32_e32 v33, 0x3fb8aa3b, v33
	v_sub_f32_e32 v24, v24, v44
	v_cndmask_b32_e64 v37, 0, v37, s[22:23]
	v_exp_f32_e32 v33, v33
	v_mul_f32_e32 v24, 0x3fb8aa3b, v24
	v_sub_f32_e32 v25, v25, v44
	v_add_f32_e32 v39, v30, v37
	v_cndmask_b32_e64 v30, 0, v31, s[16:17]
	v_exp_f32_e32 v24, v24
	v_mul_f32_e32 v25, 0x3fb8aa3b, v25
	v_sub_f32_e32 v18, v18, v44
	v_add_f32_e32 v39, v39, v30
	;; [unrolled: 5-line block ×3, first 2 shown]
	v_cndmask_b32_e64 v32, 0, v32, s[12:13]
	v_exp_f32_e32 v18, v18
	v_mul_f32_e32 v19, 0x3fb8aa3b, v19
	v_add_f32_e32 v38, v38, v32
	v_cndmask_b32_e64 v33, 0, v33, s[14:15]
	v_exp_f32_e32 v19, v19
	v_add_f32_e32 v38, v38, v33
	v_cndmask_b32_e64 v24, 0, v24, s[8:9]
	v_add_f32_e32 v38, v38, v24
	v_cndmask_b32_e64 v25, 0, v25, s[10:11]
	v_add_f32_e32 v38, v38, v25
	v_cndmask_b32_e32 v18, 0, v18, vcc
	v_add_f32_e32 v38, v38, v18
	v_cndmask_b32_e64 v19, 0, v19, s[6:7]
	v_add_f32_e32 v38, v38, v19
	ds_bpermute_b32 v39, v46, v38
	v_cmp_gt_u32_e32 vcc, 16, v43
	s_waitcnt lgkmcnt(0)
	s_barrier
	v_add_f32_e32 v38, v38, v39
	ds_bpermute_b32 v40, v47, v38
	v_lshlrev_b32_e32 v39, 2, v28
	s_and_saveexec_b64 s[4:5], vcc
	s_cbranch_execz .LBB1198_13
; %bb.12:
	s_waitcnt lgkmcnt(0)
	v_add_f32_e32 v38, v38, v40
	v_lshl_or_b32 v40, v29, 6, v39
	ds_write2st64_b32 v40, v44, v38 offset1:1
.LBB1198_13:
	s_or_b64 exec, exec, s[4:5]
	s_load_dword s6, s[0:1], 0x94
	s_waitcnt lgkmcnt(0)
	s_barrier
	ds_read2_b32 v[40:41], v39 offset1:16
	ds_read2_b32 v[44:45], v39 offset0:32 offset1:48
	ds_read2_b32 v[46:47], v39 offset0:64 offset1:80
	s_movk_i32 s8, 0x7fff
	s_mul_i32 s7, s29, 11
	s_waitcnt lgkmcnt(2)
	v_max3_f32 v38, v40, s46, v41
	s_waitcnt lgkmcnt(1)
	v_max3_f32 v38, v38, v44, v45
	v_sub_f32_e32 v40, v40, v38
	v_mul_f32_e32 v40, 0x3fb8aa3b, v40
	v_exp_f32_e32 v43, v40
	v_sub_f32_e32 v40, v41, v38
	v_mul_f32_e32 v40, 0x3fb8aa3b, v40
	v_exp_f32_e32 v48, v40
	;; [unrolled: 3-line block ×3, first 2 shown]
	ds_read2_b32 v[40:41], v39 offset0:96 offset1:112
	v_sub_f32_e32 v39, v45, v38
	v_mul_f32_e32 v39, 0x3fb8aa3b, v39
	v_exp_f32_e32 v45, v39
	s_waitcnt lgkmcnt(1)
	v_fma_f32 v39, v43, v46, 0
	v_fmac_f32_e32 v39, v48, v47
	s_waitcnt lgkmcnt(0)
	v_fmac_f32_e32 v39, v44, v40
	v_fmac_f32_e32 v39, v45, v41
	v_add_f32_e32 v40, 0x358637bd, v39
	v_div_scale_f32 v41, s[4:5], v40, v40, 1.0
	v_rcp_f32_e32 v46, v41
	s_barrier
	v_fma_f32 v47, -v41, v46, 1.0
	v_fmac_f32_e32 v46, v47, v46
	v_div_scale_f32 v47, vcc, 1.0, v40, 1.0
	v_mul_f32_e32 v49, v47, v46
	v_fma_f32 v50, -v41, v49, v47
	v_fmac_f32_e32 v49, v50, v46
	v_fma_f32 v41, -v41, v49, v47
	v_div_fmas_f32 v41, v41, v46, v49
	v_cmp_eq_u32_e32 vcc, 1, v29
	v_div_fixup_f32 v40, v41, v40, 1.0
	s_nop 0
	v_cndmask_b32_e32 v41, v43, v48, vcc
	v_cmp_eq_u32_e32 vcc, 2, v29
	s_nop 1
	v_cndmask_b32_e32 v41, v41, v44, vcc
	v_cmp_eq_u32_e32 vcc, 3, v29
	s_nop 1
	v_cndmask_b32_e32 v41, v41, v45, vcc
	v_mul_f32_e32 v40, v41, v40
	v_pk_mul_f32 v[20:21], v[40:41], v[20:21] op_sel_hi:[0,1]
	v_pk_mul_f32 v[34:35], v[40:41], v[34:35] op_sel_hi:[0,1]
	v_bfe_u32 v41, v21, 16, 1
	v_bfe_u32 v43, v20, 16, 1
	v_add3_u32 v20, v20, v43, s8
	v_add3_u32 v21, v21, v41, s8
	v_perm_b32 v44, v21, v20, s44
	v_bfe_u32 v20, v35, 16, 1
	v_bfe_u32 v21, v34, 16, 1
	v_add3_u32 v21, v34, v21, s8
	v_add3_u32 v20, v35, v20, s8
	v_perm_b32 v45, v20, v21, s44
	v_lshlrev_b32_e32 v20, 3, v42
	v_lshlrev_b32_e32 v21, 11, v29
	v_pk_mul_f32 v[22:23], v[40:41], v[22:23] op_sel_hi:[0,1]
	v_or3_b32 v20, v21, v27, v20
	v_bfe_u32 v21, v23, 16, 1
	v_bfe_u32 v29, v22, 16, 1
	v_pk_mul_f32 v[34:35], v[40:41], v[36:37] op_sel_hi:[0,1]
	v_add3_u32 v22, v22, v29, s8
	v_add3_u32 v21, v23, v21, s8
	v_perm_b32 v22, v21, v22, s44
	v_bfe_u32 v21, v35, 16, 1
	v_bfe_u32 v23, v34, 16, 1
	v_add3_u32 v23, v34, v23, s8
	v_add3_u32 v21, v35, v21, s8
	v_pk_mul_f32 v[30:31], v[40:41], v[30:31] op_sel_hi:[0,1]
	v_perm_b32 v23, v21, v23, s44
	v_bfe_u32 v21, v31, 16, 1
	v_bfe_u32 v29, v30, 16, 1
	ds_write2st64_b64 v20, v[44:45], v[22:23] offset1:1
	v_pk_mul_f32 v[22:23], v[40:41], v[32:33] op_sel_hi:[0,1]
	v_add3_u32 v29, v30, v29, s8
	v_add3_u32 v21, v31, v21, s8
	v_perm_b32 v30, v21, v29, s44
	v_bfe_u32 v21, v23, 16, 1
	v_bfe_u32 v29, v22, 16, 1
	v_add3_u32 v22, v22, v29, s8
	v_add3_u32 v21, v23, v21, s8
	v_perm_b32 v31, v21, v22, s44
	v_pk_mul_f32 v[22:23], v[40:41], v[24:25] op_sel_hi:[0,1]
	v_bfe_u32 v21, v23, 16, 1
	v_bfe_u32 v24, v22, 16, 1
	v_pk_mul_f32 v[18:19], v[40:41], v[18:19] op_sel_hi:[0,1]
	v_add3_u32 v22, v22, v24, s8
	v_add3_u32 v21, v23, v21, s8
	v_perm_b32 v22, v21, v22, s44
	v_bfe_u32 v21, v19, 16, 1
	v_bfe_u32 v23, v18, 16, 1
	v_add3_u32 v18, v18, v23, s8
	v_add3_u32 v19, v19, v21, s8
	v_perm_b32 v23, v19, v18, s44
	v_cmp_gt_u32_e32 vcc, 11, v0
	ds_write2st64_b64 v20, v[30:31], v[22:23] offset0:2 offset1:3
	s_and_saveexec_b64 s[4:5], vcc
	s_cbranch_execz .LBB1198_15
; %bb.14:
	s_mov_b32 s49, 0
	v_mov_b32_e32 v29, 0
	v_lshl_add_u64 v[18:19], s[48:49], 0, v[28:29]
	v_mov_b32_e32 v21, s7
	v_mad_u64_u32 v[18:19], s[10:11], s2, v21, v[18:19]
	s_mul_i32 s3, s3, s7
	v_mov_b32_e32 v28, s28
	s_load_dwordx4 s[12:15], s[0:1], 0x58
	v_add_u32_e32 v21, s3, v19
	v_mad_u64_u32 v[18:19], s[10:11], v18, s6, v[28:29]
	v_mov_b32_e32 v22, v19
	v_mad_u64_u32 v[22:23], s[10:11], v21, s6, v[22:23]
	v_mov_b32_e32 v19, v22
	v_lshlrev_b64 v[18:19], 2, v[18:19]
	s_waitcnt lgkmcnt(0)
	v_lshl_add_u64 v[22:23], s[14:15], 0, v[18:19]
	v_lshl_add_u64 v[18:19], s[12:13], 0, v[18:19]
	global_store_dword v[22:23], v38, off
	global_store_dword v[18:19], v39, off
.LBB1198_15:
	s_or_b64 exec, exec, s[4:5]
	s_waitcnt vmcnt(3)
	v_cvt_pk_f32_fp8_e32 v[18:19], v14
	v_cvt_pk_f32_fp8_sdwa v[22:23], v14 src0_sel:WORD_1
	s_mov_b32 s4, 0x7060302
	v_lshl_or_b32 v14, v42, 9, v27
	s_waitcnt lgkmcnt(0)
	s_barrier
	v_perm_b32 v18, v19, v18, s4
	v_perm_b32 v19, v23, v22, s4
	v_cvt_pk_f32_fp8_e32 v[28:29], v15
	ds_read_b128 v[22:25], v14
	v_cvt_pk_f32_fp8_sdwa v[36:37], v15 src0_sel:WORD_1
	s_load_dword s10, s[42:43], 0x0
	v_perm_b32 v38, v29, v28, s4
	ds_read_b128 v[28:31], v14 offset:16
	v_perm_b32 v39, v37, v36, s4
	s_waitcnt lgkmcnt(0)
	v_mfma_f32_16x16x16_bf16 v[32:35], v[18:19], v[22:23], 0
	v_cvt_pk_f32_fp8_e32 v[18:19], v16
	v_cvt_pk_f32_fp8_sdwa v[36:37], v16 src0_sel:WORD_1
	v_cmp_gt_u32_e32 vcc, 64, v0
	v_mfma_f32_16x16x16_bf16 v[22:25], v[38:39], v[24:25], v[32:35]
	v_perm_b32 v18, v19, v18, s4
	v_perm_b32 v19, v37, v36, s4
	s_waitcnt vmcnt(2)
	v_cvt_pk_f32_fp8_sdwa v[36:37], v10 src0_sel:WORD_1
	v_cvt_pk_f32_fp8_e32 v[32:33], v17
	v_cvt_pk_f32_fp8_sdwa v[16:17], v17 src0_sel:WORD_1
	v_cvt_pk_f32_fp8_e32 v[34:35], v10
	s_mov_b32 s3, 0
	v_perm_b32 v32, v33, v32, s4
	v_perm_b32 v33, v17, v16, s4
	v_mfma_f32_16x16x16_bf16 v[16:19], v[18:19], v[28:29], v[22:25]
	v_perm_b32 v34, v35, v34, s4
	v_perm_b32 v35, v37, v36, s4
	v_cvt_pk_f32_fp8_e32 v[28:29], v11
	ds_read_b128 v[22:25], v14 offset:2048
	v_cvt_pk_f32_fp8_sdwa v[10:11], v11 src0_sel:WORD_1
	v_mfma_f32_16x16x16_bf16 v[16:19], v[32:33], v[30:31], v[16:19]
	v_perm_b32 v32, v29, v28, s4
	ds_read_b128 v[28:31], v14 offset:2064
	v_perm_b32 v33, v11, v10, s4
	s_waitcnt lgkmcnt(1)
	v_mfma_f32_16x16x16_bf16 v[16:19], v[34:35], v[22:23], v[16:19]
	v_cvt_pk_f32_fp8_e32 v[10:11], v12
	v_cvt_pk_f32_fp8_sdwa v[22:23], v12 src0_sel:WORD_1
	v_mov_b32_e32 v27, 0
	v_mfma_f32_16x16x16_bf16 v[16:19], v[32:33], v[24:25], v[16:19]
	v_cvt_pk_f32_fp8_e32 v[24:25], v13
	v_perm_b32 v10, v11, v10, s4
	v_perm_b32 v11, v23, v22, s4
	v_cvt_pk_f32_fp8_sdwa v[12:13], v13 src0_sel:WORD_1
	v_perm_b32 v22, v25, v24, s4
	s_waitcnt vmcnt(1)
	v_cvt_pk_f32_fp8_e32 v[24:25], v6
	v_cvt_pk_f32_fp8_sdwa v[32:33], v6 src0_sel:WORD_1
	v_perm_b32 v23, v13, v12, s4
	s_waitcnt lgkmcnt(0)
	v_mfma_f32_16x16x16_bf16 v[10:13], v[10:11], v[28:29], v[16:19]
	v_perm_b32 v28, v25, v24, s4
	v_perm_b32 v29, v33, v32, s4
	v_cvt_pk_f32_fp8_e32 v[24:25], v7
	ds_read_b128 v[16:19], v14 offset:4096
	v_cvt_pk_f32_fp8_sdwa v[6:7], v7 src0_sel:WORD_1
	v_mfma_f32_16x16x16_bf16 v[10:13], v[22:23], v[30:31], v[10:13]
	v_perm_b32 v30, v25, v24, s4
	ds_read_b128 v[22:25], v14 offset:4112
	v_perm_b32 v31, v7, v6, s4
	s_waitcnt lgkmcnt(1)
	v_mfma_f32_16x16x16_bf16 v[10:13], v[28:29], v[16:17], v[10:13]
	v_cvt_pk_f32_fp8_e32 v[6:7], v8
	v_cvt_pk_f32_fp8_sdwa v[16:17], v8 src0_sel:WORD_1
	s_waitcnt vmcnt(0)
	v_cvt_pk_f32_fp8_sdwa v[28:29], v2 src0_sel:WORD_1
	v_mfma_f32_16x16x16_bf16 v[10:13], v[30:31], v[18:19], v[10:13]
	v_cvt_pk_f32_fp8_e32 v[18:19], v9
	v_perm_b32 v6, v7, v6, s4
	v_perm_b32 v7, v17, v16, s4
	v_cvt_pk_f32_fp8_sdwa v[8:9], v9 src0_sel:WORD_1
	v_perm_b32 v16, v19, v18, s4
	v_cvt_pk_f32_fp8_e32 v[18:19], v2
	v_perm_b32 v17, v9, v8, s4
	s_waitcnt lgkmcnt(0)
	v_mfma_f32_16x16x16_bf16 v[6:9], v[6:7], v[22:23], v[10:13]
	v_perm_b32 v18, v19, v18, s4
	v_perm_b32 v19, v29, v28, s4
	v_cvt_pk_f32_fp8_e32 v[22:23], v3
	ds_read_b128 v[10:13], v14 offset:6144
	v_cvt_pk_f32_fp8_sdwa v[2:3], v3 src0_sel:WORD_1
	v_mfma_f32_16x16x16_bf16 v[6:9], v[16:17], v[24:25], v[6:9]
	v_perm_b32 v22, v23, v22, s4
	ds_read_b128 v[14:17], v14 offset:6160
	v_perm_b32 v23, v3, v2, s4
	s_waitcnt lgkmcnt(1)
	v_mfma_f32_16x16x16_bf16 v[6:9], v[18:19], v[10:11], v[6:9]
	v_cvt_pk_f32_fp8_e32 v[2:3], v4
	v_cvt_pk_f32_fp8_sdwa v[10:11], v4 src0_sel:WORD_1
	s_waitcnt lgkmcnt(0)
	v_mfma_f32_16x16x16_bf16 v[6:9], v[22:23], v[12:13], v[6:9]
	v_perm_b32 v2, v3, v2, s4
	v_perm_b32 v3, v11, v10, s4
	v_cvt_pk_f32_fp8_e32 v[10:11], v5
	v_cvt_pk_f32_fp8_sdwa v[4:5], v5 src0_sel:WORD_1
	s_barrier
	v_perm_b32 v10, v11, v10, s4
	v_perm_b32 v11, v5, v4, s4
	v_mfma_f32_16x16x16_bf16 v[2:5], v[2:3], v[14:15], v[6:9]
	s_nop 0
	v_mfma_f32_16x16x16_bf16 v[2:5], v[10:11], v[16:17], v[2:5]
	s_nop 6
	v_pk_mul_f32 v[2:3], v[2:3], s[10:11] op_sel_hi:[1,0]
	v_pk_mul_f32 v[4:5], v[4:5], s[10:11] op_sel_hi:[1,0]
	v_bfe_u32 v6, v3, 16, 1
	v_bfe_u32 v7, v2, 16, 1
	v_add3_u32 v2, v2, v7, s8
	v_add3_u32 v3, v3, v6, s8
	v_perm_b32 v2, v3, v2, s4
	v_bfe_u32 v3, v5, 16, 1
	v_bfe_u32 v6, v4, 16, 1
	v_add3_u32 v4, v4, v6, s8
	v_add3_u32 v3, v5, v3, s8
	v_perm_b32 v3, v3, v4, s4
	s_and_b64 s[4:5], vcc, s[30:31]
	ds_write_b64 v20, v[2:3]
	s_waitcnt lgkmcnt(0)
	s_barrier
	s_and_saveexec_b64 s[8:9], s[4:5]
	s_cbranch_execz .LBB1198_18
; %bb.16:
	s_load_dwordx2 s[4:5], s[0:1], 0x68
	s_lshl_b32 s0, s6, 6
	s_mul_i32 s1, s7, s2
	s_mul_hi_u32 s7, s1, s0
	s_mul_i32 s6, s1, s0
	v_lshlrev_b32_e32 v0, 10, v0
	s_lshl_b64 s[6:7], s[6:7], 1
	v_and_b32_e32 v0, 0x1800, v0
	v_lshlrev_b32_e32 v2, 5, v42
	v_and_b32_e32 v1, 16, v1
	s_waitcnt lgkmcnt(0)
	s_add_u32 s1, s4, s6
	v_or3_b32 v2, v0, v2, v1
	s_addc_u32 s4, s5, s7
	s_lshl_b32 s2, s28, 6
	s_lshl_b64 s[2:3], s[2:3], 1
	ds_read_b128 v[4:7], v2 offset:128
	ds_read_b128 v[8:11], v2
	s_add_u32 s2, s1, s2
	s_addc_u32 s3, s4, s3
	v_add_u32_e32 v3, s48, v42
	v_lshl_add_u64 v[0:1], s[2:3], 0, v[26:27]
	v_mad_u64_u32 v[12:13], s[2:3], v3, s0, 0
	v_lshl_add_u64 v[12:13], v[12:13], 1, v[0:1]
	v_add_u32_e32 v3, 4, v3
	s_waitcnt lgkmcnt(0)
	global_store_dwordx4 v[12:13], v[8:11], off
	v_cmp_ne_u32_e32 vcc, 3, v42
	s_nop 0
	v_mad_u64_u32 v[8:9], s[2:3], v3, s0, 0
	v_lshl_add_u64 v[8:9], v[8:9], 1, v[0:1]
	global_store_dwordx4 v[8:9], v[4:7], off
	s_and_b64 exec, exec, vcc
	s_cbranch_execz .LBB1198_18
; %bb.17:
	ds_read_b128 v[2:5], v2 offset:256
	v_add3_u32 v6, s48, v42, 8
	v_mad_u64_u32 v[6:7], s[0:1], v6, s0, 0
	v_lshl_add_u64 v[0:1], v[6:7], 1, v[0:1]
	s_waitcnt lgkmcnt(0)
	global_store_dwordx4 v[0:1], v[2:5], off
.LBB1198_18:
	s_endpgm
	.section	.rodata,"a",@progbits
	.p2align	6, 0x0
	.amdhsa_kernel _Z39paged_attention_ll4mi_QKV_mfma16_kernelI14__hip_bfloat16hLN4vllm18Fp8KVCacheDataTypeE1EhLi32ELi64ELi256ELb0ELi11EEvPKT_PKT0_S8_ifPKiSA_SA_iPKfiiiPfSD_PS3_PT2_iSC_SC_
		.amdhsa_group_segment_fixed_size 8192
		.amdhsa_private_segment_fixed_size 0
		.amdhsa_kernarg_size 400
		.amdhsa_user_sgpr_count 2
		.amdhsa_user_sgpr_dispatch_ptr 0
		.amdhsa_user_sgpr_queue_ptr 0
		.amdhsa_user_sgpr_kernarg_segment_ptr 1
		.amdhsa_user_sgpr_dispatch_id 0
		.amdhsa_user_sgpr_kernarg_preload_length 0
		.amdhsa_user_sgpr_kernarg_preload_offset 0
		.amdhsa_user_sgpr_private_segment_size 0
		.amdhsa_uses_dynamic_stack 0
		.amdhsa_enable_private_segment 0
		.amdhsa_system_sgpr_workgroup_id_x 1
		.amdhsa_system_sgpr_workgroup_id_y 1
		.amdhsa_system_sgpr_workgroup_id_z 1
		.amdhsa_system_sgpr_workgroup_info 0
		.amdhsa_system_vgpr_workitem_id 0
		.amdhsa_next_free_vgpr 54
		.amdhsa_next_free_sgpr 50
		.amdhsa_accum_offset 56
		.amdhsa_reserve_vcc 1
		.amdhsa_float_round_mode_32 0
		.amdhsa_float_round_mode_16_64 0
		.amdhsa_float_denorm_mode_32 3
		.amdhsa_float_denorm_mode_16_64 3
		.amdhsa_dx10_clamp 1
		.amdhsa_ieee_mode 1
		.amdhsa_fp16_overflow 0
		.amdhsa_tg_split 0
		.amdhsa_exception_fp_ieee_invalid_op 0
		.amdhsa_exception_fp_denorm_src 0
		.amdhsa_exception_fp_ieee_div_zero 0
		.amdhsa_exception_fp_ieee_overflow 0
		.amdhsa_exception_fp_ieee_underflow 0
		.amdhsa_exception_fp_ieee_inexact 0
		.amdhsa_exception_int_div_zero 0
	.end_amdhsa_kernel
	.section	.text._Z39paged_attention_ll4mi_QKV_mfma16_kernelI14__hip_bfloat16hLN4vllm18Fp8KVCacheDataTypeE1EhLi32ELi64ELi256ELb0ELi11EEvPKT_PKT0_S8_ifPKiSA_SA_iPKfiiiPfSD_PS3_PT2_iSC_SC_,"axG",@progbits,_Z39paged_attention_ll4mi_QKV_mfma16_kernelI14__hip_bfloat16hLN4vllm18Fp8KVCacheDataTypeE1EhLi32ELi64ELi256ELb0ELi11EEvPKT_PKT0_S8_ifPKiSA_SA_iPKfiiiPfSD_PS3_PT2_iSC_SC_,comdat
.Lfunc_end1198:
	.size	_Z39paged_attention_ll4mi_QKV_mfma16_kernelI14__hip_bfloat16hLN4vllm18Fp8KVCacheDataTypeE1EhLi32ELi64ELi256ELb0ELi11EEvPKT_PKT0_S8_ifPKiSA_SA_iPKfiiiPfSD_PS3_PT2_iSC_SC_, .Lfunc_end1198-_Z39paged_attention_ll4mi_QKV_mfma16_kernelI14__hip_bfloat16hLN4vllm18Fp8KVCacheDataTypeE1EhLi32ELi64ELi256ELb0ELi11EEvPKT_PKT0_S8_ifPKiSA_SA_iPKfiiiPfSD_PS3_PT2_iSC_SC_
                                        ; -- End function
	.section	.AMDGPU.csdata,"",@progbits
; Kernel info:
; codeLenInByte = 4968
; NumSgprs: 56
; NumVgprs: 54
; NumAgprs: 0
; TotalNumVgprs: 54
; ScratchSize: 0
; MemoryBound: 0
; FloatMode: 240
; IeeeMode: 1
; LDSByteSize: 8192 bytes/workgroup (compile time only)
; SGPRBlocks: 6
; VGPRBlocks: 6
; NumSGPRsForWavesPerEU: 56
; NumVGPRsForWavesPerEU: 54
; AccumOffset: 56
; Occupancy: 8
; WaveLimiterHint : 1
; COMPUTE_PGM_RSRC2:SCRATCH_EN: 0
; COMPUTE_PGM_RSRC2:USER_SGPR: 2
; COMPUTE_PGM_RSRC2:TRAP_HANDLER: 0
; COMPUTE_PGM_RSRC2:TGID_X_EN: 1
; COMPUTE_PGM_RSRC2:TGID_Y_EN: 1
; COMPUTE_PGM_RSRC2:TGID_Z_EN: 1
; COMPUTE_PGM_RSRC2:TIDIG_COMP_CNT: 0
; COMPUTE_PGM_RSRC3_GFX90A:ACCUM_OFFSET: 13
; COMPUTE_PGM_RSRC3_GFX90A:TG_SPLIT: 0
	.section	.text._Z39paged_attention_ll4mi_QKV_mfma16_kernelI14__hip_bfloat16hLN4vllm18Fp8KVCacheDataTypeE1EhLi32ELi64ELi256ELb0ELi12EEvPKT_PKT0_S8_ifPKiSA_SA_iPKfiiiPfSD_PS3_PT2_iSC_SC_,"axG",@progbits,_Z39paged_attention_ll4mi_QKV_mfma16_kernelI14__hip_bfloat16hLN4vllm18Fp8KVCacheDataTypeE1EhLi32ELi64ELi256ELb0ELi12EEvPKT_PKT0_S8_ifPKiSA_SA_iPKfiiiPfSD_PS3_PT2_iSC_SC_,comdat
	.protected	_Z39paged_attention_ll4mi_QKV_mfma16_kernelI14__hip_bfloat16hLN4vllm18Fp8KVCacheDataTypeE1EhLi32ELi64ELi256ELb0ELi12EEvPKT_PKT0_S8_ifPKiSA_SA_iPKfiiiPfSD_PS3_PT2_iSC_SC_ ; -- Begin function _Z39paged_attention_ll4mi_QKV_mfma16_kernelI14__hip_bfloat16hLN4vllm18Fp8KVCacheDataTypeE1EhLi32ELi64ELi256ELb0ELi12EEvPKT_PKT0_S8_ifPKiSA_SA_iPKfiiiPfSD_PS3_PT2_iSC_SC_
	.globl	_Z39paged_attention_ll4mi_QKV_mfma16_kernelI14__hip_bfloat16hLN4vllm18Fp8KVCacheDataTypeE1EhLi32ELi64ELi256ELb0ELi12EEvPKT_PKT0_S8_ifPKiSA_SA_iPKfiiiPfSD_PS3_PT2_iSC_SC_
	.p2align	8
	.type	_Z39paged_attention_ll4mi_QKV_mfma16_kernelI14__hip_bfloat16hLN4vllm18Fp8KVCacheDataTypeE1EhLi32ELi64ELi256ELb0ELi12EEvPKT_PKT0_S8_ifPKiSA_SA_iPKfiiiPfSD_PS3_PT2_iSC_SC_,@function
_Z39paged_attention_ll4mi_QKV_mfma16_kernelI14__hip_bfloat16hLN4vllm18Fp8KVCacheDataTypeE1EhLi32ELi64ELi256ELb0ELi12EEvPKT_PKT0_S8_ifPKiSA_SA_iPKfiiiPfSD_PS3_PT2_iSC_SC_: ; @_Z39paged_attention_ll4mi_QKV_mfma16_kernelI14__hip_bfloat16hLN4vllm18Fp8KVCacheDataTypeE1EhLi32ELi64ELi256ELb0ELi12EEvPKT_PKT0_S8_ifPKiSA_SA_iPKfiiiPfSD_PS3_PT2_iSC_SC_
; %bb.0:
	s_load_dwordx2 s[12:13], s[0:1], 0x30
	s_mov_b32 s28, s3
	s_mov_b64 s[6:7], 0
	s_waitcnt lgkmcnt(0)
	s_cmp_lg_u64 s[12:13], 0
	s_cselect_b64 s[14:15], -1, 0
	s_and_b64 vcc, exec, s[14:15]
	s_cbranch_vccz .LBB1199_7
; %bb.1:
	s_add_i32 s8, s2, 1
	s_mov_b32 s9, 0
	s_lshl_b64 s[10:11], s[8:9], 2
	s_add_u32 s10, s12, s10
	s_mov_b32 s3, s9
	s_addc_u32 s11, s13, s11
	s_lshl_b64 s[8:9], s[2:3], 2
	s_add_u32 s8, s12, s8
	s_addc_u32 s9, s13, s9
	s_load_dword s5, s[10:11], 0x0
	s_load_dword s16, s[8:9], 0x0
	s_waitcnt lgkmcnt(0)
	s_sub_i32 s5, s5, s16
	s_cmp_eq_u32 s5, 1
	s_cselect_b64 s[8:9], -1, 0
	s_andn2_b64 vcc, exec, s[6:7]
	s_cbranch_vccnz .LBB1199_3
.LBB1199_2:
	s_mov_b32 s3, 0
	s_mov_b64 s[8:9], -1
.LBB1199_3:
	s_andn2_b64 vcc, exec, s[8:9]
	s_cbranch_vccnz .LBB1199_17
; %bb.4:
	s_load_dwordx2 s[6:7], s[0:1], 0x28
	s_lshl_b64 s[16:17], s[2:3], 2
	s_waitcnt lgkmcnt(0)
	s_add_u32 s6, s6, s16
	s_addc_u32 s7, s7, s17
	s_load_dword s33, s[6:7], 0x0
	s_lshl_b32 s5, s28, 8
	s_waitcnt lgkmcnt(0)
	s_cmp_ge_i32 s5, s33
	s_cbranch_scc1 .LBB1199_17
; %bb.5:
	s_load_dwordx2 s[6:7], s[0:1], 0x20
	s_load_dword s8, s[0:1], 0x38
	s_add_i32 s9, s33, 31
	s_ashr_i32 s10, s9, 31
	v_and_b32_e32 v1, 0xcf, v0
	s_lshr_b32 s10, s10, 27
	v_add_u32_e32 v1, s5, v1
	s_add_i32 s9, s9, s10
	v_ashrrev_i32_e32 v2, 31, v1
	s_ashr_i32 s18, s9, 5
	v_lshrrev_b32_e32 v4, 27, v2
	s_add_i32 s18, s18, -1
	s_waitcnt lgkmcnt(0)
	s_mul_i32 s8, s2, s8
	s_mov_b32 s9, 0
	v_add_u32_e32 v2, v1, v4
	s_lshl_b64 s[8:9], s[8:9], 2
	v_ashrrev_i32_e32 v2, 5, v2
	v_mov_b32_e32 v5, s18
	v_cmp_gt_i32_e32 vcc, s33, v1
	s_add_u32 s6, s6, s8
	s_addc_u32 s7, s7, s9
	v_cndmask_b32_e32 v2, v5, v2, vcc
	v_ashrrev_i32_e32 v3, 31, v2
	v_lshl_add_u64 v[6:7], v[2:3], 2, s[6:7]
	v_or_b32_e32 v2, 16, v1
	v_add_u32_e32 v3, v2, v4
	v_ashrrev_i32_e32 v3, 5, v3
	v_cmp_gt_i32_e32 vcc, s33, v2
	s_load_dwordx4 s[8:11], s[0:1], 0x8
	s_nop 0
	v_cndmask_b32_e32 v2, v5, v3, vcc
	v_ashrrev_i32_e32 v3, 31, v2
	v_lshl_add_u64 v[8:9], v[2:3], 2, s[6:7]
	v_or_b32_e32 v2, 32, v1
	v_add_u32_e32 v3, v2, v4
	v_ashrrev_i32_e32 v3, 5, v3
	v_cmp_gt_i32_e32 vcc, s33, v2
	v_or_b32_e32 v1, 48, v1
	s_nop 0
	v_cndmask_b32_e32 v2, v5, v3, vcc
	v_ashrrev_i32_e32 v3, 31, v2
	v_lshl_add_u64 v[10:11], v[2:3], 2, s[6:7]
	v_add_u32_e32 v2, v1, v4
	v_ashrrev_i32_e32 v2, 5, v2
	v_cmp_gt_i32_e32 vcc, s33, v1
	s_nop 1
	v_cndmask_b32_e32 v2, v5, v2, vcc
	v_ashrrev_i32_e32 v3, 31, v2
	v_lshl_add_u64 v[12:13], v[2:3], 2, s[6:7]
	global_load_dword v2, v[6:7], off
	global_load_dword v5, v[8:9], off
	;; [unrolled: 1-line block ×4, first 2 shown]
	s_andn2_b64 vcc, exec, s[14:15]
	s_cbranch_vccnz .LBB1199_8
; %bb.6:
	s_add_u32 s12, s12, s16
	s_addc_u32 s13, s13, s17
	s_load_dword s14, s[12:13], 0x0
	s_branch .LBB1199_9
.LBB1199_7:
	s_mov_b64 s[8:9], 0
	s_branch .LBB1199_2
.LBB1199_8:
	s_mov_b32 s14, s2
.LBB1199_9:
	s_load_dwordx4 s[44:47], s[0:1], 0x48
	v_and_b32_e32 v28, 15, v0
	s_movk_i32 s12, 0xc0
	v_lshlrev_b32_e32 v3, 3, v28
	v_cmp_gt_u32_e32 vcc, s12, v0
	v_cmp_gt_u32_e64 s[30:31], 8, v28
	v_lshrrev_b32_e32 v29, 6, v0
	v_and_b32_e32 v43, 63, v0
	v_bfe_u32 v1, v0, 4, 2
	s_mul_i32 s48, s4, 12
	s_and_b64 s[16:17], vcc, s[30:31]
	v_lshlrev_b32_e32 v26, 1, v3
	v_lshlrev_b32_e32 v42, 4, v0
	s_and_saveexec_b64 s[12:13], s[16:17]
	s_cbranch_execz .LBB1199_11
; %bb.10:
	s_load_dwordx2 s[16:17], s[0:1], 0x0
	s_waitcnt lgkmcnt(0)
	s_ashr_i32 s15, s44, 31
	s_mul_hi_u32 s19, s14, s44
	s_mul_i32 s15, s14, s15
	s_add_i32 s15, s19, s15
	s_mul_i32 s14, s14, s44
	v_lshl_or_b32 v3, v29, 2, v1
	s_lshl_b64 s[14:15], s[14:15], 1
	s_add_u32 s14, s16, s14
	v_add_lshl_u32 v6, v3, s48, 6
	s_addc_u32 s15, s17, s15
	v_ashrrev_i32_e32 v7, 31, v6
	v_lshl_add_u64 v[6:7], v[6:7], 1, s[14:15]
	v_mov_b32_e32 v27, 0
	v_lshl_add_u64 v[6:7], v[6:7], 0, v[26:27]
	global_load_dwordx4 v[6:9], v[6:7], off
	v_lshlrev_b32_e32 v11, 8, v28
	v_lshlrev_b32_e32 v3, 5, v3
	v_and_b32_e32 v10, 16, v42
	v_and_b32_e32 v11, 0xe00, v11
	v_or3_b32 v3, v11, v3, v10
	s_waitcnt vmcnt(0)
	ds_write_b128 v3, v[6:9]
.LBB1199_11:
	s_or_b64 exec, exec, s[12:13]
	s_waitcnt lgkmcnt(0)
	s_mul_i32 s4, s4, s46
	s_add_u32 s8, s8, s4
	s_addc_u32 s9, s9, 0
	v_mov_b32_e32 v31, 0
	v_mov_b64_e32 v[18:19], s[8:9]
	v_and_b32_e32 v8, 48, v0
	s_waitcnt vmcnt(3)
	v_mad_i64_i32 v[6:7], s[8:9], v2, s45, v[18:19]
	v_lshlrev_b32_e32 v2, 4, v28
	v_mov_b32_e32 v3, v31
	v_lshlrev_b32_e32 v30, 5, v8
	v_lshl_add_u64 v[6:7], v[6:7], 0, v[2:3]
	v_lshl_add_u64 v[6:7], v[6:7], 0, v[30:31]
	s_load_dword s29, s[0:1], 0x98
	s_load_dwordx4 s[40:43], s[0:1], 0x80
	s_waitcnt lgkmcnt(0)
	s_barrier
	global_load_dwordx4 v[10:13], v[6:7], off
	s_waitcnt vmcnt(3)
	v_mad_i64_i32 v[6:7], s[8:9], v5, s45, v[18:19]
	v_or_b32_e32 v32, 0x100, v2
	v_mov_b32_e32 v33, v31
	v_lshl_add_u64 v[6:7], v[6:7], 0, v[32:33]
	v_lshl_add_u64 v[6:7], v[6:7], 0, v[30:31]
	global_load_dwordx4 v[14:17], v[6:7], off
	s_ashr_i32 s8, s5, 31
	v_or_b32_e32 v5, s5, v8
	s_lshr_b32 s12, s8, 27
	v_add_u32_e32 v8, s12, v5
	v_ashrrev_i32_e32 v8, 5, v8
	v_mov_b32_e32 v21, s18
	v_cmp_gt_i32_e32 vcc, s33, v5
	v_or_b32_e32 v34, 64, v5
	v_or_b32_e32 v35, 0x80, v5
	v_cndmask_b32_e32 v8, v21, v8, vcc
	v_ashrrev_i32_e32 v9, 31, v8
	v_lshl_add_u64 v[8:9], v[8:9], 2, s[6:7]
	global_load_dword v50, v[8:9], off
	v_or_b32_e32 v36, 0xc0, v5
	s_waitcnt vmcnt(4)
	v_mad_i64_i32 v[4:5], s[8:9], v4, s45, v[18:19]
	v_lshl_add_u64 v[2:3], v[4:5], 0, v[2:3]
	v_lshl_add_u64 v[2:3], v[2:3], 0, v[30:31]
	global_load_dwordx4 v[22:25], v[2:3], off
	v_add_u32_e32 v6, -12, v28
	v_cmp_gt_u32_e32 vcc, 12, v28
	s_waitcnt vmcnt(4)
	v_mad_i64_i32 v[18:19], s[8:9], v20, s45, v[18:19]
	v_add_u32_e32 v20, s12, v34
	v_cndmask_b32_e32 v6, v6, v28, vcc
	v_add_u32_e32 v37, s12, v35
	v_ashrrev_i32_e32 v20, 5, v20
	v_cmp_gt_i32_e32 vcc, s33, v34
	v_lshlrev_b32_e32 v6, 5, v6
	v_add_u32_e32 v38, s12, v36
	v_lshl_add_u64 v[18:19], v[18:19], 0, v[32:33]
	v_ashrrev_i32_e32 v33, 5, v37
	v_cndmask_b32_e32 v32, v21, v20, vcc
	v_cmp_gt_i32_e32 vcc, s33, v35
	v_lshl_add_u32 v2, v1, 9, v6
	v_ashrrev_i32_e32 v37, 5, v38
	v_lshl_add_u64 v[18:19], v[18:19], 0, v[30:31]
	v_cndmask_b32_e32 v34, v21, v33, vcc
	v_cmp_gt_i32_e32 vcc, s33, v36
	ds_read_b128 v[6:9], v2
	ds_read_b128 v[2:5], v2 offset:16
	v_cndmask_b32_e32 v36, v21, v37, vcc
	global_load_dwordx4 v[18:21], v[18:19], off
	v_ashrrev_i32_e32 v33, 31, v32
	v_ashrrev_i32_e32 v35, 31, v34
	v_lshl_add_u64 v[40:41], v[32:33], 2, s[6:7]
	v_lshl_add_u64 v[44:45], v[34:35], 2, s[6:7]
	s_add_u32 s8, s10, s4
	v_lshlrev_b32_e32 v27, 5, v28
	s_addc_u32 s9, s11, 0
	v_and_b32_e32 v30, 16, v0
	s_mov_b32 s44, 0x7060302
	v_lshl_add_u64 v[38:39], s[8:9], 0, v[30:31]
	v_lshl_or_b32 v30, v29, 9, v27
	v_lshl_add_u64 v[30:31], v[38:39], 0, v[30:31]
	v_ashrrev_i32_e32 v37, 31, v36
	v_lshl_add_u64 v[36:37], v[36:37], 2, s[6:7]
	s_load_dword s13, s[0:1], 0x1c
	s_mov_b32 s46, 0xff7fffff
	s_waitcnt vmcnt(4)
	v_cvt_pk_f32_fp8_e32 v[32:33], v10
	v_cvt_pk_f32_fp8_sdwa v[34:35], v10 src0_sel:WORD_1
	v_cvt_pk_f32_fp8_e32 v[38:39], v11
	v_cvt_pk_f32_fp8_sdwa v[10:11], v11 src0_sel:WORD_1
	v_perm_b32 v32, v33, v32, s44
	v_perm_b32 v33, v35, v34, s44
	;; [unrolled: 1-line block ×4, first 2 shown]
	v_cvt_pk_f32_fp8_e32 v[46:47], v12
	v_cvt_pk_f32_fp8_sdwa v[48:49], v12 src0_sel:WORD_1
	s_waitcnt lgkmcnt(0)
	v_mfma_f32_16x16x16_bf16 v[32:35], v[32:33], v[6:7], 0
	global_load_dword v12, v[40:41], off
	s_nop 0
	global_load_dword v44, v[44:45], off
	s_nop 0
	global_load_dword v45, v[36:37], off
	v_perm_b32 v36, v47, v46, s44
	v_perm_b32 v37, v49, v48, s44
	v_mfma_f32_16x16x16_bf16 v[32:35], v[38:39], v[8:9], v[32:35]
	v_cvt_pk_f32_fp8_e32 v[38:39], v13
	v_cvt_pk_f32_fp8_sdwa v[40:41], v13 src0_sel:WORD_1
	s_waitcnt vmcnt(6)
	v_cvt_pk_f32_fp8_e32 v[46:47], v16
	v_mfma_f32_16x16x16_bf16 v[32:35], v[36:37], v[2:3], v[32:35]
	v_perm_b32 v38, v39, v38, s44
	v_perm_b32 v39, v41, v40, s44
	v_cvt_pk_f32_fp8_e32 v[36:37], v14
	v_cvt_pk_f32_fp8_sdwa v[40:41], v14 src0_sel:WORD_1
	v_mfma_f32_16x16x16_bf16 v[32:35], v[38:39], v[4:5], v[32:35]
	v_cvt_pk_f32_fp8_e32 v[38:39], v15
	v_perm_b32 v36, v37, v36, s44
	v_perm_b32 v37, v41, v40, s44
	v_cvt_pk_f32_fp8_sdwa v[14:15], v15 src0_sel:WORD_1
	v_perm_b32 v40, v39, v38, s44
	v_cvt_pk_f32_fp8_sdwa v[48:49], v16 src0_sel:WORD_1
	v_mfma_f32_16x16x16_bf16 v[36:39], v[36:37], v[6:7], 0
	v_perm_b32 v41, v15, v14, s44
	s_waitcnt vmcnt(5)
	v_mad_i64_i32 v[10:11], s[6:7], v50, s45, v[30:31]
	v_perm_b32 v46, v47, v46, s44
	v_perm_b32 v47, v49, v48, s44
	v_cvt_pk_f32_fp8_e32 v[48:49], v17
	v_cvt_pk_f32_fp8_sdwa v[50:51], v17 src0_sel:WORD_1
	v_mfma_f32_16x16x16_bf16 v[14:17], v[40:41], v[8:9], v[36:39]
	s_waitcnt vmcnt(4)
	v_cvt_pk_f32_fp8_sdwa v[40:41], v22 src0_sel:WORD_1
	s_load_dword s4, s[40:41], 0x0
	v_mov_b32_e32 v13, s13
	v_perm_b32 v36, v49, v48, s44
	v_perm_b32 v37, v51, v50, s44
	v_mfma_f32_16x16x16_bf16 v[14:17], v[46:47], v[2:3], v[14:17]
	v_cvt_pk_f32_fp8_e32 v[38:39], v22
	v_cvt_pk_f32_fp8_e32 v[46:47], v24
	v_cvt_pk_f32_fp8_sdwa v[48:49], v24 src0_sel:WORD_1
	v_mfma_f32_16x16x16_bf16 v[14:17], v[36:37], v[4:5], v[14:17]
	v_cvt_pk_f32_fp8_e32 v[36:37], v23
	v_perm_b32 v38, v39, v38, s44
	v_perm_b32 v39, v41, v40, s44
	v_cvt_pk_f32_fp8_sdwa v[22:23], v23 src0_sel:WORD_1
	v_perm_b32 v40, v37, v36, s44
	v_mfma_f32_16x16x16_bf16 v[36:39], v[38:39], v[6:7], 0
	v_perm_b32 v41, v23, v22, s44
	v_perm_b32 v46, v47, v46, s44
	;; [unrolled: 1-line block ×3, first 2 shown]
	v_cvt_pk_f32_fp8_e32 v[48:49], v25
	v_cvt_pk_f32_fp8_sdwa v[24:25], v25 src0_sel:WORD_1
	v_mfma_f32_16x16x16_bf16 v[36:39], v[40:41], v[8:9], v[36:39]
	s_waitcnt lgkmcnt(0)
	v_mul_f32_e32 v50, s4, v13
	v_perm_b32 v40, v49, v48, s44
	v_perm_b32 v41, v25, v24, s44
	v_pk_mul_f32 v[22:23], v[50:51], v[34:35] op_sel_hi:[0,1]
	v_mfma_f32_16x16x16_bf16 v[36:39], v[46:47], v[2:3], v[36:39]
	v_pk_mul_f32 v[34:35], v[50:51], v[32:33] op_sel_hi:[0,1]
	s_waitcnt vmcnt(3)
	v_cvt_pk_f32_fp8_e32 v[24:25], v18
	v_cvt_pk_f32_fp8_sdwa v[32:33], v18 src0_sel:WORD_1
	v_mfma_f32_16x16x16_bf16 v[46:49], v[40:41], v[4:5], v[36:39]
	v_cvt_pk_f32_fp8_e32 v[40:41], v20
	v_perm_b32 v24, v25, v24, s44
	v_perm_b32 v25, v33, v32, s44
	v_cvt_pk_f32_fp8_e32 v[36:37], v19
	v_cvt_pk_f32_fp8_sdwa v[18:19], v19 src0_sel:WORD_1
	v_cvt_pk_f32_fp8_sdwa v[52:53], v20 src0_sel:WORD_1
	v_perm_b32 v32, v37, v36, s44
	v_perm_b32 v33, v19, v18, s44
	v_mfma_f32_16x16x16_bf16 v[36:39], v[24:25], v[6:7], 0
	v_perm_b32 v18, v41, v40, s44
	v_perm_b32 v19, v53, v52, s44
	v_cvt_pk_f32_fp8_e32 v[24:25], v21
	v_cvt_pk_f32_fp8_sdwa v[20:21], v21 src0_sel:WORD_1
	v_mfma_f32_16x16x16_bf16 v[6:9], v[32:33], v[8:9], v[36:39]
	v_pk_mul_f32 v[40:41], v[50:51], v[14:15] op_sel_hi:[0,1]
	v_pk_mul_f32 v[32:33], v[50:51], v[48:49] op_sel_hi:[0,1]
	s_nop 0
	v_pk_mul_f32 v[36:37], v[50:51], v[16:17] op_sel_hi:[0,1]
	v_perm_b32 v16, v25, v24, s44
	v_perm_b32 v17, v21, v20, s44
	v_mfma_f32_16x16x16_bf16 v[6:9], v[18:19], v[2:3], v[6:9]
	v_pk_mul_f32 v[38:39], v[50:51], v[46:47] op_sel_hi:[0,1]
	v_mfma_f32_16x16x16_bf16 v[2:5], v[16:17], v[4:5], v[6:9]
	s_nop 6
	v_pk_mul_f32 v[24:25], v[50:51], v[2:3] op_sel_hi:[0,1]
	v_and_b32_e32 v2, 0xc0, v0
	v_add_u32_e32 v2, s5, v2
	v_lshl_or_b32 v2, v1, 2, v2
	v_pk_mul_f32 v[18:19], v[50:51], v[4:5] op_sel_hi:[0,1]
	v_or_b32_e32 v5, 1, v2
	v_mov_b32_e32 v3, 0xff7fffff
	v_cmp_gt_i32_e64 s[4:5], s33, v2
	v_cmp_gt_i32_e64 s[34:35], s33, v5
	v_or_b32_e32 v6, 3, v2
	v_cndmask_b32_e64 v4, v3, v34, s[4:5]
	v_cndmask_b32_e64 v5, v3, v35, s[34:35]
	v_max3_f32 v4, v4, s46, v5
	v_or_b32_e32 v5, 2, v2
	v_cmp_gt_i32_e64 s[36:37], s33, v5
	v_cmp_gt_i32_e64 s[38:39], s33, v6
	s_nop 0
	v_cndmask_b32_e64 v5, v3, v22, s[36:37]
	v_cndmask_b32_e64 v6, v3, v23, s[38:39]
	v_max3_f32 v4, v4, v5, v6
	v_or_b32_e32 v5, 16, v2
	v_or_b32_e32 v6, 17, v2
	v_cmp_gt_i32_e64 s[24:25], s33, v5
	v_cmp_gt_i32_e64 s[26:27], s33, v6
	s_nop 0
	v_cndmask_b32_e64 v5, v3, v40, s[24:25]
	v_cndmask_b32_e64 v6, v3, v41, s[26:27]
	v_max3_f32 v4, v4, v5, v6
	v_or_b32_e32 v5, 18, v2
	;; [unrolled: 8-line block ×6, first 2 shown]
	v_or_b32_e32 v2, 51, v2
	v_cmp_gt_i32_e32 vcc, s33, v5
	v_cmp_gt_i32_e64 s[6:7], s33, v2
	s_nop 0
	v_cndmask_b32_e32 v5, v3, v18, vcc
	v_cndmask_b32_e64 v2, v3, v19, s[6:7]
	v_max3_f32 v4, v4, v5, v2
	v_mbcnt_lo_u32_b32 v2, -1, 0
	v_mbcnt_hi_u32_b32 v5, -1, v2
	v_and_b32_e32 v2, 64, v5
	v_add_u32_e32 v6, 64, v2
	v_xor_b32_e32 v2, 32, v5
	v_cmp_lt_i32_e64 s[40:41], v2, v6
	s_nop 1
	v_cndmask_b32_e64 v2, v5, v2, s[40:41]
	v_lshlrev_b32_e32 v46, 2, v2
	ds_bpermute_b32 v7, v46, v4
	s_waitcnt vmcnt(2)
	v_mad_i64_i32 v[2:3], s[40:41], v12, s45, v[30:31]
	global_load_dwordx4 v[14:17], v[10:11], off
	s_nop 0
	global_load_dwordx4 v[10:13], v[2:3], off
	v_xor_b32_e32 v3, 16, v5
	v_cmp_lt_i32_e64 s[40:41], v3, v6
	s_waitcnt lgkmcnt(0)
	v_max_f32_e32 v2, v7, v7
	v_max_f32_e32 v2, v4, v2
	v_cndmask_b32_e64 v3, v5, v3, s[40:41]
	v_lshlrev_b32_e32 v47, 2, v3
	ds_bpermute_b32 v3, v47, v2
	s_waitcnt vmcnt(3)
	v_mad_i64_i32 v[20:21], s[40:41], v44, s45, v[30:31]
	s_waitcnt vmcnt(2)
	v_mad_i64_i32 v[30:31], s[40:41], v45, s45, v[30:31]
	s_waitcnt lgkmcnt(0)
	v_max_f32_e32 v3, v3, v3
	v_max_f32_e32 v44, v2, v3
	v_sub_f32_e32 v2, v34, v44
	v_mul_f32_e32 v2, 0x3fb8aa3b, v2
	v_exp_f32_e32 v34, v2
	v_sub_f32_e32 v2, v35, v44
	v_mul_f32_e32 v2, 0x3fb8aa3b, v2
	v_exp_f32_e32 v35, v2
	global_load_dwordx4 v[6:9], v[20:21], off
	global_load_dwordx4 v[2:5], v[30:31], off
	v_sub_f32_e32 v22, v22, v44
	v_mul_f32_e32 v22, 0x3fb8aa3b, v22
	v_sub_f32_e32 v23, v23, v44
	v_exp_f32_e32 v22, v22
	v_mul_f32_e32 v23, 0x3fb8aa3b, v23
	v_exp_f32_e32 v23, v23
	v_cndmask_b32_e64 v20, 0, v34, s[4:5]
	v_add_f32_e32 v30, 0, v20
	v_cndmask_b32_e64 v21, 0, v35, s[34:35]
	v_add_f32_e32 v30, v30, v21
	;; [unrolled: 2-line block ×3, first 2 shown]
	v_cndmask_b32_e64 v35, 0, v23, s[38:39]
	v_sub_f32_e32 v23, v40, v44
	v_sub_f32_e32 v30, v41, v44
	v_mul_f32_e32 v23, 0x3fb8aa3b, v23
	v_mul_f32_e32 v30, 0x3fb8aa3b, v30
	v_exp_f32_e32 v23, v23
	v_exp_f32_e32 v30, v30
	v_add_f32_e32 v31, v22, v35
	v_sub_f32_e32 v32, v32, v44
	v_cndmask_b32_e64 v22, 0, v23, s[24:25]
	v_cndmask_b32_e64 v23, 0, v30, s[26:27]
	v_sub_f32_e32 v30, v36, v44
	v_mul_f32_e32 v30, 0x3fb8aa3b, v30
	v_exp_f32_e32 v30, v30
	v_sub_f32_e32 v36, v37, v44
	v_add_f32_e32 v31, v31, v22
	v_mul_f32_e32 v36, 0x3fb8aa3b, v36
	v_exp_f32_e32 v37, v36
	v_add_f32_e32 v31, v31, v23
	v_cndmask_b32_e64 v36, 0, v30, s[20:21]
	v_add_f32_e32 v30, v31, v36
	v_sub_f32_e32 v31, v38, v44
	v_mul_f32_e32 v31, 0x3fb8aa3b, v31
	v_sub_f32_e32 v38, v39, v44
	v_exp_f32_e32 v31, v31
	v_mul_f32_e32 v38, 0x3fb8aa3b, v38
	v_exp_f32_e32 v38, v38
	v_mul_f32_e32 v32, 0x3fb8aa3b, v32
	v_sub_f32_e32 v33, v33, v44
	v_exp_f32_e32 v32, v32
	v_mul_f32_e32 v33, 0x3fb8aa3b, v33
	v_sub_f32_e32 v24, v24, v44
	v_cndmask_b32_e64 v37, 0, v37, s[22:23]
	v_exp_f32_e32 v33, v33
	v_mul_f32_e32 v24, 0x3fb8aa3b, v24
	v_sub_f32_e32 v25, v25, v44
	v_add_f32_e32 v39, v30, v37
	v_cndmask_b32_e64 v30, 0, v31, s[16:17]
	v_exp_f32_e32 v24, v24
	v_mul_f32_e32 v25, 0x3fb8aa3b, v25
	v_sub_f32_e32 v18, v18, v44
	v_add_f32_e32 v39, v39, v30
	;; [unrolled: 5-line block ×3, first 2 shown]
	v_cndmask_b32_e64 v32, 0, v32, s[12:13]
	v_exp_f32_e32 v18, v18
	v_mul_f32_e32 v19, 0x3fb8aa3b, v19
	v_add_f32_e32 v38, v38, v32
	v_cndmask_b32_e64 v33, 0, v33, s[14:15]
	v_exp_f32_e32 v19, v19
	v_add_f32_e32 v38, v38, v33
	v_cndmask_b32_e64 v24, 0, v24, s[8:9]
	v_add_f32_e32 v38, v38, v24
	v_cndmask_b32_e64 v25, 0, v25, s[10:11]
	v_add_f32_e32 v38, v38, v25
	v_cndmask_b32_e32 v18, 0, v18, vcc
	v_add_f32_e32 v38, v38, v18
	v_cndmask_b32_e64 v19, 0, v19, s[6:7]
	v_add_f32_e32 v38, v38, v19
	ds_bpermute_b32 v39, v46, v38
	v_cmp_gt_u32_e32 vcc, 16, v43
	s_waitcnt lgkmcnt(0)
	s_barrier
	v_add_f32_e32 v38, v38, v39
	ds_bpermute_b32 v40, v47, v38
	v_lshlrev_b32_e32 v39, 2, v28
	s_and_saveexec_b64 s[4:5], vcc
	s_cbranch_execz .LBB1199_13
; %bb.12:
	s_waitcnt lgkmcnt(0)
	v_add_f32_e32 v38, v38, v40
	v_lshl_or_b32 v40, v29, 6, v39
	ds_write2st64_b32 v40, v44, v38 offset1:1
.LBB1199_13:
	s_or_b64 exec, exec, s[4:5]
	s_load_dword s6, s[0:1], 0x94
	s_waitcnt lgkmcnt(0)
	s_barrier
	ds_read2_b32 v[40:41], v39 offset1:16
	ds_read2_b32 v[44:45], v39 offset0:32 offset1:48
	ds_read2_b32 v[46:47], v39 offset0:64 offset1:80
	s_movk_i32 s8, 0x7fff
	s_mul_i32 s7, s29, 12
	s_waitcnt lgkmcnt(2)
	v_max3_f32 v38, v40, s46, v41
	s_waitcnt lgkmcnt(1)
	v_max3_f32 v38, v38, v44, v45
	v_sub_f32_e32 v40, v40, v38
	v_mul_f32_e32 v40, 0x3fb8aa3b, v40
	v_exp_f32_e32 v43, v40
	v_sub_f32_e32 v40, v41, v38
	v_mul_f32_e32 v40, 0x3fb8aa3b, v40
	v_exp_f32_e32 v48, v40
	;; [unrolled: 3-line block ×3, first 2 shown]
	ds_read2_b32 v[40:41], v39 offset0:96 offset1:112
	v_sub_f32_e32 v39, v45, v38
	v_mul_f32_e32 v39, 0x3fb8aa3b, v39
	v_exp_f32_e32 v45, v39
	s_waitcnt lgkmcnt(1)
	v_fma_f32 v39, v43, v46, 0
	v_fmac_f32_e32 v39, v48, v47
	s_waitcnt lgkmcnt(0)
	v_fmac_f32_e32 v39, v44, v40
	v_fmac_f32_e32 v39, v45, v41
	v_add_f32_e32 v40, 0x358637bd, v39
	v_div_scale_f32 v41, s[4:5], v40, v40, 1.0
	v_rcp_f32_e32 v46, v41
	s_barrier
	v_fma_f32 v47, -v41, v46, 1.0
	v_fmac_f32_e32 v46, v47, v46
	v_div_scale_f32 v47, vcc, 1.0, v40, 1.0
	v_mul_f32_e32 v49, v47, v46
	v_fma_f32 v50, -v41, v49, v47
	v_fmac_f32_e32 v49, v50, v46
	v_fma_f32 v41, -v41, v49, v47
	v_div_fmas_f32 v41, v41, v46, v49
	v_cmp_eq_u32_e32 vcc, 1, v29
	v_div_fixup_f32 v40, v41, v40, 1.0
	s_nop 0
	v_cndmask_b32_e32 v41, v43, v48, vcc
	v_cmp_eq_u32_e32 vcc, 2, v29
	s_nop 1
	v_cndmask_b32_e32 v41, v41, v44, vcc
	v_cmp_eq_u32_e32 vcc, 3, v29
	s_nop 1
	v_cndmask_b32_e32 v41, v41, v45, vcc
	v_mul_f32_e32 v40, v41, v40
	v_pk_mul_f32 v[20:21], v[40:41], v[20:21] op_sel_hi:[0,1]
	v_pk_mul_f32 v[34:35], v[40:41], v[34:35] op_sel_hi:[0,1]
	v_bfe_u32 v41, v21, 16, 1
	v_bfe_u32 v43, v20, 16, 1
	v_add3_u32 v20, v20, v43, s8
	v_add3_u32 v21, v21, v41, s8
	v_perm_b32 v44, v21, v20, s44
	v_bfe_u32 v20, v35, 16, 1
	v_bfe_u32 v21, v34, 16, 1
	v_add3_u32 v21, v34, v21, s8
	v_add3_u32 v20, v35, v20, s8
	v_perm_b32 v45, v20, v21, s44
	v_lshlrev_b32_e32 v20, 3, v1
	v_lshlrev_b32_e32 v21, 11, v29
	v_pk_mul_f32 v[22:23], v[40:41], v[22:23] op_sel_hi:[0,1]
	v_or3_b32 v20, v21, v27, v20
	v_bfe_u32 v21, v23, 16, 1
	v_bfe_u32 v29, v22, 16, 1
	v_pk_mul_f32 v[34:35], v[40:41], v[36:37] op_sel_hi:[0,1]
	v_add3_u32 v22, v22, v29, s8
	v_add3_u32 v21, v23, v21, s8
	v_perm_b32 v22, v21, v22, s44
	v_bfe_u32 v21, v35, 16, 1
	v_bfe_u32 v23, v34, 16, 1
	v_add3_u32 v23, v34, v23, s8
	v_add3_u32 v21, v35, v21, s8
	v_pk_mul_f32 v[30:31], v[40:41], v[30:31] op_sel_hi:[0,1]
	v_perm_b32 v23, v21, v23, s44
	v_bfe_u32 v21, v31, 16, 1
	v_bfe_u32 v29, v30, 16, 1
	ds_write2st64_b64 v20, v[44:45], v[22:23] offset1:1
	v_pk_mul_f32 v[22:23], v[40:41], v[32:33] op_sel_hi:[0,1]
	v_add3_u32 v29, v30, v29, s8
	v_add3_u32 v21, v31, v21, s8
	v_perm_b32 v30, v21, v29, s44
	v_bfe_u32 v21, v23, 16, 1
	v_bfe_u32 v29, v22, 16, 1
	v_add3_u32 v22, v22, v29, s8
	v_add3_u32 v21, v23, v21, s8
	v_perm_b32 v31, v21, v22, s44
	v_pk_mul_f32 v[22:23], v[40:41], v[24:25] op_sel_hi:[0,1]
	v_bfe_u32 v21, v23, 16, 1
	v_bfe_u32 v24, v22, 16, 1
	v_pk_mul_f32 v[18:19], v[40:41], v[18:19] op_sel_hi:[0,1]
	v_add3_u32 v22, v22, v24, s8
	v_add3_u32 v21, v23, v21, s8
	v_perm_b32 v22, v21, v22, s44
	v_bfe_u32 v21, v19, 16, 1
	v_bfe_u32 v23, v18, 16, 1
	v_add3_u32 v18, v18, v23, s8
	v_add3_u32 v19, v19, v21, s8
	v_perm_b32 v23, v19, v18, s44
	v_cmp_gt_u32_e32 vcc, 12, v0
	ds_write2st64_b64 v20, v[30:31], v[22:23] offset0:2 offset1:3
	s_and_saveexec_b64 s[4:5], vcc
	s_cbranch_execz .LBB1199_15
; %bb.14:
	s_mov_b32 s49, 0
	v_mov_b32_e32 v29, 0
	v_lshl_add_u64 v[18:19], s[48:49], 0, v[28:29]
	v_mov_b32_e32 v21, s7
	v_mad_u64_u32 v[18:19], s[10:11], s2, v21, v[18:19]
	s_mul_i32 s3, s3, s7
	v_mov_b32_e32 v28, s28
	s_load_dwordx4 s[12:15], s[0:1], 0x58
	v_add_u32_e32 v21, s3, v19
	v_mad_u64_u32 v[18:19], s[10:11], v18, s6, v[28:29]
	v_mov_b32_e32 v22, v19
	v_mad_u64_u32 v[22:23], s[10:11], v21, s6, v[22:23]
	v_mov_b32_e32 v19, v22
	v_lshlrev_b64 v[18:19], 2, v[18:19]
	s_waitcnt lgkmcnt(0)
	v_lshl_add_u64 v[22:23], s[14:15], 0, v[18:19]
	v_lshl_add_u64 v[18:19], s[12:13], 0, v[18:19]
	global_store_dword v[22:23], v38, off
	global_store_dword v[18:19], v39, off
.LBB1199_15:
	s_or_b64 exec, exec, s[4:5]
	s_waitcnt vmcnt(3)
	v_cvt_pk_f32_fp8_e32 v[18:19], v14
	v_cvt_pk_f32_fp8_sdwa v[22:23], v14 src0_sel:WORD_1
	s_mov_b32 s4, 0x7060302
	v_lshl_or_b32 v14, v1, 9, v27
	s_waitcnt lgkmcnt(0)
	s_barrier
	v_perm_b32 v18, v19, v18, s4
	v_perm_b32 v19, v23, v22, s4
	v_cvt_pk_f32_fp8_e32 v[28:29], v15
	ds_read_b128 v[22:25], v14
	v_cvt_pk_f32_fp8_sdwa v[36:37], v15 src0_sel:WORD_1
	s_load_dword s10, s[42:43], 0x0
	v_perm_b32 v38, v29, v28, s4
	ds_read_b128 v[28:31], v14 offset:16
	v_perm_b32 v39, v37, v36, s4
	s_waitcnt lgkmcnt(0)
	v_mfma_f32_16x16x16_bf16 v[32:35], v[18:19], v[22:23], 0
	v_cvt_pk_f32_fp8_e32 v[18:19], v16
	v_cvt_pk_f32_fp8_sdwa v[36:37], v16 src0_sel:WORD_1
	v_cmp_gt_u32_e32 vcc, 64, v0
	v_mfma_f32_16x16x16_bf16 v[22:25], v[38:39], v[24:25], v[32:35]
	v_perm_b32 v18, v19, v18, s4
	v_perm_b32 v19, v37, v36, s4
	s_waitcnt vmcnt(2)
	v_cvt_pk_f32_fp8_sdwa v[36:37], v10 src0_sel:WORD_1
	v_cvt_pk_f32_fp8_e32 v[32:33], v17
	v_cvt_pk_f32_fp8_sdwa v[16:17], v17 src0_sel:WORD_1
	v_cvt_pk_f32_fp8_e32 v[34:35], v10
	s_mov_b32 s3, 0
	v_perm_b32 v32, v33, v32, s4
	v_perm_b32 v33, v17, v16, s4
	v_mfma_f32_16x16x16_bf16 v[16:19], v[18:19], v[28:29], v[22:25]
	v_perm_b32 v34, v35, v34, s4
	v_perm_b32 v35, v37, v36, s4
	v_cvt_pk_f32_fp8_e32 v[28:29], v11
	ds_read_b128 v[22:25], v14 offset:2048
	v_cvt_pk_f32_fp8_sdwa v[10:11], v11 src0_sel:WORD_1
	v_mfma_f32_16x16x16_bf16 v[16:19], v[32:33], v[30:31], v[16:19]
	v_perm_b32 v32, v29, v28, s4
	ds_read_b128 v[28:31], v14 offset:2064
	v_perm_b32 v33, v11, v10, s4
	s_waitcnt lgkmcnt(1)
	v_mfma_f32_16x16x16_bf16 v[16:19], v[34:35], v[22:23], v[16:19]
	v_cvt_pk_f32_fp8_e32 v[10:11], v12
	v_cvt_pk_f32_fp8_sdwa v[22:23], v12 src0_sel:WORD_1
	v_mov_b32_e32 v27, 0
	v_mfma_f32_16x16x16_bf16 v[16:19], v[32:33], v[24:25], v[16:19]
	v_cvt_pk_f32_fp8_e32 v[24:25], v13
	v_perm_b32 v10, v11, v10, s4
	v_perm_b32 v11, v23, v22, s4
	v_cvt_pk_f32_fp8_sdwa v[12:13], v13 src0_sel:WORD_1
	v_perm_b32 v22, v25, v24, s4
	s_waitcnt vmcnt(1)
	v_cvt_pk_f32_fp8_e32 v[24:25], v6
	v_cvt_pk_f32_fp8_sdwa v[32:33], v6 src0_sel:WORD_1
	v_perm_b32 v23, v13, v12, s4
	s_waitcnt lgkmcnt(0)
	v_mfma_f32_16x16x16_bf16 v[10:13], v[10:11], v[28:29], v[16:19]
	v_perm_b32 v28, v25, v24, s4
	v_perm_b32 v29, v33, v32, s4
	v_cvt_pk_f32_fp8_e32 v[24:25], v7
	ds_read_b128 v[16:19], v14 offset:4096
	v_cvt_pk_f32_fp8_sdwa v[6:7], v7 src0_sel:WORD_1
	v_mfma_f32_16x16x16_bf16 v[10:13], v[22:23], v[30:31], v[10:13]
	v_perm_b32 v30, v25, v24, s4
	ds_read_b128 v[22:25], v14 offset:4112
	v_perm_b32 v31, v7, v6, s4
	s_waitcnt lgkmcnt(1)
	v_mfma_f32_16x16x16_bf16 v[10:13], v[28:29], v[16:17], v[10:13]
	v_cvt_pk_f32_fp8_e32 v[6:7], v8
	v_cvt_pk_f32_fp8_sdwa v[16:17], v8 src0_sel:WORD_1
	s_waitcnt vmcnt(0)
	v_cvt_pk_f32_fp8_sdwa v[28:29], v2 src0_sel:WORD_1
	v_mfma_f32_16x16x16_bf16 v[10:13], v[30:31], v[18:19], v[10:13]
	v_cvt_pk_f32_fp8_e32 v[18:19], v9
	v_perm_b32 v6, v7, v6, s4
	v_perm_b32 v7, v17, v16, s4
	v_cvt_pk_f32_fp8_sdwa v[8:9], v9 src0_sel:WORD_1
	v_perm_b32 v16, v19, v18, s4
	v_cvt_pk_f32_fp8_e32 v[18:19], v2
	v_perm_b32 v17, v9, v8, s4
	s_waitcnt lgkmcnt(0)
	v_mfma_f32_16x16x16_bf16 v[6:9], v[6:7], v[22:23], v[10:13]
	v_perm_b32 v18, v19, v18, s4
	v_perm_b32 v19, v29, v28, s4
	v_cvt_pk_f32_fp8_e32 v[22:23], v3
	ds_read_b128 v[10:13], v14 offset:6144
	v_cvt_pk_f32_fp8_sdwa v[2:3], v3 src0_sel:WORD_1
	v_mfma_f32_16x16x16_bf16 v[6:9], v[16:17], v[24:25], v[6:9]
	v_perm_b32 v22, v23, v22, s4
	ds_read_b128 v[14:17], v14 offset:6160
	v_perm_b32 v23, v3, v2, s4
	s_waitcnt lgkmcnt(1)
	v_mfma_f32_16x16x16_bf16 v[6:9], v[18:19], v[10:11], v[6:9]
	v_cvt_pk_f32_fp8_e32 v[2:3], v4
	v_cvt_pk_f32_fp8_sdwa v[10:11], v4 src0_sel:WORD_1
	s_waitcnt lgkmcnt(0)
	v_mfma_f32_16x16x16_bf16 v[6:9], v[22:23], v[12:13], v[6:9]
	v_perm_b32 v2, v3, v2, s4
	v_perm_b32 v3, v11, v10, s4
	v_cvt_pk_f32_fp8_e32 v[10:11], v5
	v_cvt_pk_f32_fp8_sdwa v[4:5], v5 src0_sel:WORD_1
	s_barrier
	v_perm_b32 v10, v11, v10, s4
	v_perm_b32 v11, v5, v4, s4
	v_mfma_f32_16x16x16_bf16 v[2:5], v[2:3], v[14:15], v[6:9]
	s_nop 0
	v_mfma_f32_16x16x16_bf16 v[2:5], v[10:11], v[16:17], v[2:5]
	s_nop 6
	v_pk_mul_f32 v[2:3], v[2:3], s[10:11] op_sel_hi:[1,0]
	v_pk_mul_f32 v[4:5], v[4:5], s[10:11] op_sel_hi:[1,0]
	v_bfe_u32 v6, v3, 16, 1
	v_bfe_u32 v7, v2, 16, 1
	v_add3_u32 v2, v2, v7, s8
	v_add3_u32 v3, v3, v6, s8
	v_perm_b32 v2, v3, v2, s4
	v_bfe_u32 v3, v5, 16, 1
	v_bfe_u32 v6, v4, 16, 1
	v_add3_u32 v4, v4, v6, s8
	v_add3_u32 v3, v5, v3, s8
	v_perm_b32 v3, v3, v4, s4
	s_and_b64 s[4:5], vcc, s[30:31]
	ds_write_b64 v20, v[2:3]
	s_waitcnt lgkmcnt(0)
	s_barrier
	s_and_saveexec_b64 s[8:9], s[4:5]
	s_cbranch_execz .LBB1199_17
; %bb.16:
	s_load_dwordx2 s[0:1], s[0:1], 0x68
	s_lshl_b32 s6, s6, 6
	s_mul_i32 s2, s7, s2
	s_mul_hi_u32 s5, s2, s6
	s_mul_i32 s4, s2, s6
	s_lshl_b64 s[4:5], s[4:5], 1
	s_waitcnt lgkmcnt(0)
	s_add_u32 s4, s0, s4
	v_lshlrev_b32_e32 v0, 10, v0
	s_addc_u32 s5, s1, s5
	s_lshl_b32 s2, s28, 6
	v_and_b32_e32 v0, 0x1800, v0
	v_lshlrev_b32_e32 v2, 5, v1
	v_and_b32_e32 v3, 16, v42
	s_lshl_b64 s[0:1], s[2:3], 1
	v_or3_b32 v0, v0, v2, v3
	s_add_u32 s0, s4, s0
	ds_read_b128 v[2:5], v0
	ds_read_b128 v[6:9], v0 offset:128
	ds_read_b128 v[10:13], v0 offset:256
	s_addc_u32 s1, s5, s1
	v_or_b32_e32 v16, s48, v1
	v_lshl_add_u64 v[0:1], s[0:1], 0, v[26:27]
	v_mad_u64_u32 v[14:15], s[0:1], v16, s6, 0
	v_lshl_add_u64 v[14:15], v[14:15], 1, v[0:1]
	s_waitcnt lgkmcnt(2)
	global_store_dwordx4 v[14:15], v[2:5], off
	s_nop 1
	v_add_u32_e32 v2, 4, v16
	v_mad_u64_u32 v[2:3], s[0:1], v2, s6, 0
	v_lshl_add_u64 v[2:3], v[2:3], 1, v[0:1]
	s_waitcnt lgkmcnt(1)
	global_store_dwordx4 v[2:3], v[6:9], off
	v_add_u32_e32 v2, 8, v16
	v_mad_u64_u32 v[2:3], s[0:1], v2, s6, 0
	v_lshl_add_u64 v[0:1], v[2:3], 1, v[0:1]
	s_waitcnt lgkmcnt(0)
	global_store_dwordx4 v[0:1], v[10:13], off
.LBB1199_17:
	s_endpgm
	.section	.rodata,"a",@progbits
	.p2align	6, 0x0
	.amdhsa_kernel _Z39paged_attention_ll4mi_QKV_mfma16_kernelI14__hip_bfloat16hLN4vllm18Fp8KVCacheDataTypeE1EhLi32ELi64ELi256ELb0ELi12EEvPKT_PKT0_S8_ifPKiSA_SA_iPKfiiiPfSD_PS3_PT2_iSC_SC_
		.amdhsa_group_segment_fixed_size 8192
		.amdhsa_private_segment_fixed_size 0
		.amdhsa_kernarg_size 400
		.amdhsa_user_sgpr_count 2
		.amdhsa_user_sgpr_dispatch_ptr 0
		.amdhsa_user_sgpr_queue_ptr 0
		.amdhsa_user_sgpr_kernarg_segment_ptr 1
		.amdhsa_user_sgpr_dispatch_id 0
		.amdhsa_user_sgpr_kernarg_preload_length 0
		.amdhsa_user_sgpr_kernarg_preload_offset 0
		.amdhsa_user_sgpr_private_segment_size 0
		.amdhsa_uses_dynamic_stack 0
		.amdhsa_enable_private_segment 0
		.amdhsa_system_sgpr_workgroup_id_x 1
		.amdhsa_system_sgpr_workgroup_id_y 1
		.amdhsa_system_sgpr_workgroup_id_z 1
		.amdhsa_system_sgpr_workgroup_info 0
		.amdhsa_system_vgpr_workitem_id 0
		.amdhsa_next_free_vgpr 54
		.amdhsa_next_free_sgpr 50
		.amdhsa_accum_offset 56
		.amdhsa_reserve_vcc 1
		.amdhsa_float_round_mode_32 0
		.amdhsa_float_round_mode_16_64 0
		.amdhsa_float_denorm_mode_32 3
		.amdhsa_float_denorm_mode_16_64 3
		.amdhsa_dx10_clamp 1
		.amdhsa_ieee_mode 1
		.amdhsa_fp16_overflow 0
		.amdhsa_tg_split 0
		.amdhsa_exception_fp_ieee_invalid_op 0
		.amdhsa_exception_fp_denorm_src 0
		.amdhsa_exception_fp_ieee_div_zero 0
		.amdhsa_exception_fp_ieee_overflow 0
		.amdhsa_exception_fp_ieee_underflow 0
		.amdhsa_exception_fp_ieee_inexact 0
		.amdhsa_exception_int_div_zero 0
	.end_amdhsa_kernel
	.section	.text._Z39paged_attention_ll4mi_QKV_mfma16_kernelI14__hip_bfloat16hLN4vllm18Fp8KVCacheDataTypeE1EhLi32ELi64ELi256ELb0ELi12EEvPKT_PKT0_S8_ifPKiSA_SA_iPKfiiiPfSD_PS3_PT2_iSC_SC_,"axG",@progbits,_Z39paged_attention_ll4mi_QKV_mfma16_kernelI14__hip_bfloat16hLN4vllm18Fp8KVCacheDataTypeE1EhLi32ELi64ELi256ELb0ELi12EEvPKT_PKT0_S8_ifPKiSA_SA_iPKfiiiPfSD_PS3_PT2_iSC_SC_,comdat
.Lfunc_end1199:
	.size	_Z39paged_attention_ll4mi_QKV_mfma16_kernelI14__hip_bfloat16hLN4vllm18Fp8KVCacheDataTypeE1EhLi32ELi64ELi256ELb0ELi12EEvPKT_PKT0_S8_ifPKiSA_SA_iPKfiiiPfSD_PS3_PT2_iSC_SC_, .Lfunc_end1199-_Z39paged_attention_ll4mi_QKV_mfma16_kernelI14__hip_bfloat16hLN4vllm18Fp8KVCacheDataTypeE1EhLi32ELi64ELi256ELb0ELi12EEvPKT_PKT0_S8_ifPKiSA_SA_iPKfiiiPfSD_PS3_PT2_iSC_SC_
                                        ; -- End function
	.section	.AMDGPU.csdata,"",@progbits
; Kernel info:
; codeLenInByte = 4960
; NumSgprs: 56
; NumVgprs: 54
; NumAgprs: 0
; TotalNumVgprs: 54
; ScratchSize: 0
; MemoryBound: 0
; FloatMode: 240
; IeeeMode: 1
; LDSByteSize: 8192 bytes/workgroup (compile time only)
; SGPRBlocks: 6
; VGPRBlocks: 6
; NumSGPRsForWavesPerEU: 56
; NumVGPRsForWavesPerEU: 54
; AccumOffset: 56
; Occupancy: 8
; WaveLimiterHint : 1
; COMPUTE_PGM_RSRC2:SCRATCH_EN: 0
; COMPUTE_PGM_RSRC2:USER_SGPR: 2
; COMPUTE_PGM_RSRC2:TRAP_HANDLER: 0
; COMPUTE_PGM_RSRC2:TGID_X_EN: 1
; COMPUTE_PGM_RSRC2:TGID_Y_EN: 1
; COMPUTE_PGM_RSRC2:TGID_Z_EN: 1
; COMPUTE_PGM_RSRC2:TIDIG_COMP_CNT: 0
; COMPUTE_PGM_RSRC3_GFX90A:ACCUM_OFFSET: 13
; COMPUTE_PGM_RSRC3_GFX90A:TG_SPLIT: 0
	.section	.text._Z39paged_attention_ll4mi_QKV_mfma16_kernelI14__hip_bfloat16hLN4vllm18Fp8KVCacheDataTypeE1EhLi32ELi64ELi256ELb0ELi13EEvPKT_PKT0_S8_ifPKiSA_SA_iPKfiiiPfSD_PS3_PT2_iSC_SC_,"axG",@progbits,_Z39paged_attention_ll4mi_QKV_mfma16_kernelI14__hip_bfloat16hLN4vllm18Fp8KVCacheDataTypeE1EhLi32ELi64ELi256ELb0ELi13EEvPKT_PKT0_S8_ifPKiSA_SA_iPKfiiiPfSD_PS3_PT2_iSC_SC_,comdat
	.protected	_Z39paged_attention_ll4mi_QKV_mfma16_kernelI14__hip_bfloat16hLN4vllm18Fp8KVCacheDataTypeE1EhLi32ELi64ELi256ELb0ELi13EEvPKT_PKT0_S8_ifPKiSA_SA_iPKfiiiPfSD_PS3_PT2_iSC_SC_ ; -- Begin function _Z39paged_attention_ll4mi_QKV_mfma16_kernelI14__hip_bfloat16hLN4vllm18Fp8KVCacheDataTypeE1EhLi32ELi64ELi256ELb0ELi13EEvPKT_PKT0_S8_ifPKiSA_SA_iPKfiiiPfSD_PS3_PT2_iSC_SC_
	.globl	_Z39paged_attention_ll4mi_QKV_mfma16_kernelI14__hip_bfloat16hLN4vllm18Fp8KVCacheDataTypeE1EhLi32ELi64ELi256ELb0ELi13EEvPKT_PKT0_S8_ifPKiSA_SA_iPKfiiiPfSD_PS3_PT2_iSC_SC_
	.p2align	8
	.type	_Z39paged_attention_ll4mi_QKV_mfma16_kernelI14__hip_bfloat16hLN4vllm18Fp8KVCacheDataTypeE1EhLi32ELi64ELi256ELb0ELi13EEvPKT_PKT0_S8_ifPKiSA_SA_iPKfiiiPfSD_PS3_PT2_iSC_SC_,@function
_Z39paged_attention_ll4mi_QKV_mfma16_kernelI14__hip_bfloat16hLN4vllm18Fp8KVCacheDataTypeE1EhLi32ELi64ELi256ELb0ELi13EEvPKT_PKT0_S8_ifPKiSA_SA_iPKfiiiPfSD_PS3_PT2_iSC_SC_: ; @_Z39paged_attention_ll4mi_QKV_mfma16_kernelI14__hip_bfloat16hLN4vllm18Fp8KVCacheDataTypeE1EhLi32ELi64ELi256ELb0ELi13EEvPKT_PKT0_S8_ifPKiSA_SA_iPKfiiiPfSD_PS3_PT2_iSC_SC_
; %bb.0:
	s_load_dwordx2 s[12:13], s[0:1], 0x30
	s_mov_b32 s28, s3
	s_mov_b64 s[6:7], 0
	s_waitcnt lgkmcnt(0)
	s_cmp_lg_u64 s[12:13], 0
	s_cselect_b64 s[14:15], -1, 0
	s_and_b64 vcc, exec, s[14:15]
	s_cbranch_vccz .LBB1200_7
; %bb.1:
	s_add_i32 s8, s2, 1
	s_mov_b32 s9, 0
	s_lshl_b64 s[10:11], s[8:9], 2
	s_add_u32 s10, s12, s10
	s_mov_b32 s3, s9
	s_addc_u32 s11, s13, s11
	s_lshl_b64 s[8:9], s[2:3], 2
	s_add_u32 s8, s12, s8
	s_addc_u32 s9, s13, s9
	s_load_dword s5, s[10:11], 0x0
	s_load_dword s16, s[8:9], 0x0
	s_waitcnt lgkmcnt(0)
	s_sub_i32 s5, s5, s16
	s_cmp_eq_u32 s5, 1
	s_cselect_b64 s[8:9], -1, 0
	s_andn2_b64 vcc, exec, s[6:7]
	s_cbranch_vccnz .LBB1200_3
.LBB1200_2:
	s_mov_b32 s3, 0
	s_mov_b64 s[8:9], -1
.LBB1200_3:
	s_andn2_b64 vcc, exec, s[8:9]
	s_cbranch_vccnz .LBB1200_18
; %bb.4:
	s_load_dwordx2 s[6:7], s[0:1], 0x28
	s_lshl_b64 s[16:17], s[2:3], 2
	s_waitcnt lgkmcnt(0)
	s_add_u32 s6, s6, s16
	s_addc_u32 s7, s7, s17
	s_load_dword s33, s[6:7], 0x0
	s_lshl_b32 s5, s28, 8
	s_waitcnt lgkmcnt(0)
	s_cmp_ge_i32 s5, s33
	s_cbranch_scc1 .LBB1200_18
; %bb.5:
	s_load_dwordx2 s[6:7], s[0:1], 0x20
	s_load_dword s8, s[0:1], 0x38
	s_add_i32 s9, s33, 31
	s_ashr_i32 s10, s9, 31
	v_and_b32_e32 v1, 0xcf, v0
	s_lshr_b32 s10, s10, 27
	v_add_u32_e32 v1, s5, v1
	s_add_i32 s9, s9, s10
	v_ashrrev_i32_e32 v2, 31, v1
	s_ashr_i32 s18, s9, 5
	v_lshrrev_b32_e32 v4, 27, v2
	s_add_i32 s18, s18, -1
	s_waitcnt lgkmcnt(0)
	s_mul_i32 s8, s2, s8
	s_mov_b32 s9, 0
	v_add_u32_e32 v2, v1, v4
	s_lshl_b64 s[8:9], s[8:9], 2
	v_ashrrev_i32_e32 v2, 5, v2
	v_mov_b32_e32 v5, s18
	v_cmp_gt_i32_e32 vcc, s33, v1
	s_add_u32 s6, s6, s8
	s_addc_u32 s7, s7, s9
	v_cndmask_b32_e32 v2, v5, v2, vcc
	v_ashrrev_i32_e32 v3, 31, v2
	v_lshl_add_u64 v[6:7], v[2:3], 2, s[6:7]
	v_or_b32_e32 v2, 16, v1
	v_add_u32_e32 v3, v2, v4
	v_ashrrev_i32_e32 v3, 5, v3
	v_cmp_gt_i32_e32 vcc, s33, v2
	s_load_dwordx4 s[8:11], s[0:1], 0x8
	s_nop 0
	v_cndmask_b32_e32 v2, v5, v3, vcc
	v_ashrrev_i32_e32 v3, 31, v2
	v_lshl_add_u64 v[8:9], v[2:3], 2, s[6:7]
	v_or_b32_e32 v2, 32, v1
	v_add_u32_e32 v3, v2, v4
	v_ashrrev_i32_e32 v3, 5, v3
	v_cmp_gt_i32_e32 vcc, s33, v2
	v_or_b32_e32 v1, 48, v1
	s_nop 0
	v_cndmask_b32_e32 v2, v5, v3, vcc
	v_ashrrev_i32_e32 v3, 31, v2
	v_lshl_add_u64 v[10:11], v[2:3], 2, s[6:7]
	v_add_u32_e32 v2, v1, v4
	v_ashrrev_i32_e32 v2, 5, v2
	v_cmp_gt_i32_e32 vcc, s33, v1
	s_nop 1
	v_cndmask_b32_e32 v2, v5, v2, vcc
	v_ashrrev_i32_e32 v3, 31, v2
	v_lshl_add_u64 v[12:13], v[2:3], 2, s[6:7]
	global_load_dword v2, v[6:7], off
	global_load_dword v5, v[8:9], off
	global_load_dword v4, v[10:11], off
	global_load_dword v20, v[12:13], off
	s_andn2_b64 vcc, exec, s[14:15]
	s_cbranch_vccnz .LBB1200_8
; %bb.6:
	s_add_u32 s12, s12, s16
	s_addc_u32 s13, s13, s17
	s_load_dword s14, s[12:13], 0x0
	s_branch .LBB1200_9
.LBB1200_7:
	s_mov_b64 s[8:9], 0
	s_branch .LBB1200_2
.LBB1200_8:
	s_mov_b32 s14, s2
.LBB1200_9:
	s_load_dwordx4 s[44:47], s[0:1], 0x48
	v_lshrrev_b32_e32 v29, 6, v0
	v_bfe_u32 v42, v0, 4, 2
	v_lshl_or_b32 v3, v29, 2, v42
	v_and_b32_e32 v28, 15, v0
	v_lshlrev_b32_e32 v1, 3, v28
	v_cmp_gt_u32_e32 vcc, 13, v3
	v_cmp_gt_u32_e64 s[30:31], 8, v28
	v_and_b32_e32 v43, 63, v0
	s_mul_i32 s48, s4, 13
	s_and_b64 s[16:17], s[30:31], vcc
	v_lshlrev_b32_e32 v26, 1, v1
	v_lshlrev_b32_e32 v1, 4, v0
	s_and_saveexec_b64 s[12:13], s[16:17]
	s_cbranch_execz .LBB1200_11
; %bb.10:
	s_load_dwordx2 s[16:17], s[0:1], 0x0
	s_waitcnt lgkmcnt(0)
	s_ashr_i32 s15, s44, 31
	s_mul_hi_u32 s19, s14, s44
	s_mul_i32 s15, s14, s15
	s_add_i32 s15, s19, s15
	s_mul_i32 s14, s14, s44
	s_lshl_b64 s[14:15], s[14:15], 1
	s_add_u32 s14, s16, s14
	v_add_lshl_u32 v6, v3, s48, 6
	s_addc_u32 s15, s17, s15
	v_ashrrev_i32_e32 v7, 31, v6
	v_lshl_add_u64 v[6:7], v[6:7], 1, s[14:15]
	v_mov_b32_e32 v27, 0
	v_lshl_add_u64 v[6:7], v[6:7], 0, v[26:27]
	global_load_dwordx4 v[6:9], v[6:7], off
	v_lshlrev_b32_e32 v11, 8, v28
	v_lshlrev_b32_e32 v3, 5, v3
	v_and_b32_e32 v10, 16, v1
	v_and_b32_e32 v11, 0xe00, v11
	v_or3_b32 v3, v11, v3, v10
	s_waitcnt vmcnt(0)
	ds_write_b128 v3, v[6:9]
.LBB1200_11:
	s_or_b64 exec, exec, s[12:13]
	s_waitcnt lgkmcnt(0)
	s_mul_i32 s4, s4, s46
	s_add_u32 s8, s8, s4
	s_addc_u32 s9, s9, 0
	v_mov_b32_e32 v31, 0
	v_mov_b64_e32 v[18:19], s[8:9]
	v_and_b32_e32 v8, 48, v0
	s_waitcnt vmcnt(3)
	v_mad_i64_i32 v[6:7], s[8:9], v2, s45, v[18:19]
	v_lshlrev_b32_e32 v2, 4, v28
	v_mov_b32_e32 v3, v31
	v_lshlrev_b32_e32 v30, 5, v8
	v_lshl_add_u64 v[6:7], v[6:7], 0, v[2:3]
	v_lshl_add_u64 v[6:7], v[6:7], 0, v[30:31]
	s_load_dword s29, s[0:1], 0x98
	s_load_dwordx4 s[40:43], s[0:1], 0x80
	s_waitcnt lgkmcnt(0)
	s_barrier
	global_load_dwordx4 v[10:13], v[6:7], off
	s_waitcnt vmcnt(3)
	v_mad_i64_i32 v[6:7], s[8:9], v5, s45, v[18:19]
	v_or_b32_e32 v32, 0x100, v2
	v_mov_b32_e32 v33, v31
	v_lshl_add_u64 v[6:7], v[6:7], 0, v[32:33]
	v_lshl_add_u64 v[6:7], v[6:7], 0, v[30:31]
	global_load_dwordx4 v[14:17], v[6:7], off
	s_ashr_i32 s8, s5, 31
	v_or_b32_e32 v5, s5, v8
	s_lshr_b32 s12, s8, 27
	v_add_u32_e32 v8, s12, v5
	v_ashrrev_i32_e32 v8, 5, v8
	v_mov_b32_e32 v21, s18
	v_cmp_gt_i32_e32 vcc, s33, v5
	v_or_b32_e32 v34, 64, v5
	v_or_b32_e32 v35, 0x80, v5
	v_cndmask_b32_e32 v8, v21, v8, vcc
	v_ashrrev_i32_e32 v9, 31, v8
	v_lshl_add_u64 v[8:9], v[8:9], 2, s[6:7]
	global_load_dword v50, v[8:9], off
	v_or_b32_e32 v36, 0xc0, v5
	s_waitcnt vmcnt(4)
	v_mad_i64_i32 v[4:5], s[8:9], v4, s45, v[18:19]
	v_lshl_add_u64 v[2:3], v[4:5], 0, v[2:3]
	v_lshl_add_u64 v[2:3], v[2:3], 0, v[30:31]
	global_load_dwordx4 v[22:25], v[2:3], off
	v_add_u32_e32 v6, -13, v28
	v_cmp_gt_u32_e32 vcc, 13, v28
	s_waitcnt vmcnt(4)
	v_mad_i64_i32 v[18:19], s[8:9], v20, s45, v[18:19]
	v_add_u32_e32 v20, s12, v34
	v_cndmask_b32_e32 v6, v6, v28, vcc
	v_add_u32_e32 v37, s12, v35
	v_ashrrev_i32_e32 v20, 5, v20
	v_cmp_gt_i32_e32 vcc, s33, v34
	v_lshlrev_b32_e32 v6, 5, v6
	v_add_u32_e32 v38, s12, v36
	v_lshl_add_u64 v[18:19], v[18:19], 0, v[32:33]
	v_ashrrev_i32_e32 v33, 5, v37
	v_cndmask_b32_e32 v32, v21, v20, vcc
	v_cmp_gt_i32_e32 vcc, s33, v35
	v_lshl_add_u32 v2, v42, 9, v6
	v_ashrrev_i32_e32 v37, 5, v38
	v_lshl_add_u64 v[18:19], v[18:19], 0, v[30:31]
	v_cndmask_b32_e32 v34, v21, v33, vcc
	v_cmp_gt_i32_e32 vcc, s33, v36
	ds_read_b128 v[6:9], v2
	ds_read_b128 v[2:5], v2 offset:16
	v_cndmask_b32_e32 v36, v21, v37, vcc
	global_load_dwordx4 v[18:21], v[18:19], off
	v_ashrrev_i32_e32 v33, 31, v32
	v_ashrrev_i32_e32 v35, 31, v34
	v_lshl_add_u64 v[40:41], v[32:33], 2, s[6:7]
	v_lshl_add_u64 v[44:45], v[34:35], 2, s[6:7]
	s_add_u32 s8, s10, s4
	v_lshlrev_b32_e32 v27, 5, v28
	s_addc_u32 s9, s11, 0
	v_and_b32_e32 v30, 16, v0
	s_mov_b32 s44, 0x7060302
	v_lshl_add_u64 v[38:39], s[8:9], 0, v[30:31]
	v_lshl_or_b32 v30, v29, 9, v27
	v_lshl_add_u64 v[30:31], v[38:39], 0, v[30:31]
	v_ashrrev_i32_e32 v37, 31, v36
	v_lshl_add_u64 v[36:37], v[36:37], 2, s[6:7]
	s_load_dword s13, s[0:1], 0x1c
	s_mov_b32 s46, 0xff7fffff
	s_waitcnt vmcnt(4)
	v_cvt_pk_f32_fp8_e32 v[32:33], v10
	v_cvt_pk_f32_fp8_sdwa v[34:35], v10 src0_sel:WORD_1
	v_cvt_pk_f32_fp8_e32 v[38:39], v11
	v_cvt_pk_f32_fp8_sdwa v[10:11], v11 src0_sel:WORD_1
	v_perm_b32 v32, v33, v32, s44
	v_perm_b32 v33, v35, v34, s44
	v_perm_b32 v38, v39, v38, s44
	v_perm_b32 v39, v11, v10, s44
	v_cvt_pk_f32_fp8_e32 v[46:47], v12
	v_cvt_pk_f32_fp8_sdwa v[48:49], v12 src0_sel:WORD_1
	s_waitcnt lgkmcnt(0)
	v_mfma_f32_16x16x16_bf16 v[32:35], v[32:33], v[6:7], 0
	global_load_dword v12, v[40:41], off
	s_nop 0
	global_load_dword v44, v[44:45], off
	s_nop 0
	global_load_dword v45, v[36:37], off
	v_perm_b32 v36, v47, v46, s44
	v_perm_b32 v37, v49, v48, s44
	v_mfma_f32_16x16x16_bf16 v[32:35], v[38:39], v[8:9], v[32:35]
	v_cvt_pk_f32_fp8_e32 v[38:39], v13
	v_cvt_pk_f32_fp8_sdwa v[40:41], v13 src0_sel:WORD_1
	s_waitcnt vmcnt(6)
	v_cvt_pk_f32_fp8_e32 v[46:47], v16
	v_mfma_f32_16x16x16_bf16 v[32:35], v[36:37], v[2:3], v[32:35]
	v_perm_b32 v38, v39, v38, s44
	v_perm_b32 v39, v41, v40, s44
	v_cvt_pk_f32_fp8_e32 v[36:37], v14
	v_cvt_pk_f32_fp8_sdwa v[40:41], v14 src0_sel:WORD_1
	v_mfma_f32_16x16x16_bf16 v[32:35], v[38:39], v[4:5], v[32:35]
	v_cvt_pk_f32_fp8_e32 v[38:39], v15
	v_perm_b32 v36, v37, v36, s44
	v_perm_b32 v37, v41, v40, s44
	v_cvt_pk_f32_fp8_sdwa v[14:15], v15 src0_sel:WORD_1
	v_perm_b32 v40, v39, v38, s44
	v_cvt_pk_f32_fp8_sdwa v[48:49], v16 src0_sel:WORD_1
	v_mfma_f32_16x16x16_bf16 v[36:39], v[36:37], v[6:7], 0
	v_perm_b32 v41, v15, v14, s44
	s_waitcnt vmcnt(5)
	v_mad_i64_i32 v[10:11], s[6:7], v50, s45, v[30:31]
	v_perm_b32 v46, v47, v46, s44
	v_perm_b32 v47, v49, v48, s44
	v_cvt_pk_f32_fp8_e32 v[48:49], v17
	v_cvt_pk_f32_fp8_sdwa v[50:51], v17 src0_sel:WORD_1
	v_mfma_f32_16x16x16_bf16 v[14:17], v[40:41], v[8:9], v[36:39]
	s_waitcnt vmcnt(4)
	v_cvt_pk_f32_fp8_sdwa v[40:41], v22 src0_sel:WORD_1
	s_load_dword s4, s[40:41], 0x0
	v_mov_b32_e32 v13, s13
	v_perm_b32 v36, v49, v48, s44
	v_perm_b32 v37, v51, v50, s44
	v_mfma_f32_16x16x16_bf16 v[14:17], v[46:47], v[2:3], v[14:17]
	v_cvt_pk_f32_fp8_e32 v[38:39], v22
	v_cvt_pk_f32_fp8_e32 v[46:47], v24
	v_cvt_pk_f32_fp8_sdwa v[48:49], v24 src0_sel:WORD_1
	v_mfma_f32_16x16x16_bf16 v[14:17], v[36:37], v[4:5], v[14:17]
	v_cvt_pk_f32_fp8_e32 v[36:37], v23
	v_perm_b32 v38, v39, v38, s44
	v_perm_b32 v39, v41, v40, s44
	v_cvt_pk_f32_fp8_sdwa v[22:23], v23 src0_sel:WORD_1
	v_perm_b32 v40, v37, v36, s44
	v_mfma_f32_16x16x16_bf16 v[36:39], v[38:39], v[6:7], 0
	v_perm_b32 v41, v23, v22, s44
	v_perm_b32 v46, v47, v46, s44
	v_perm_b32 v47, v49, v48, s44
	v_cvt_pk_f32_fp8_e32 v[48:49], v25
	v_cvt_pk_f32_fp8_sdwa v[24:25], v25 src0_sel:WORD_1
	v_mfma_f32_16x16x16_bf16 v[36:39], v[40:41], v[8:9], v[36:39]
	s_waitcnt lgkmcnt(0)
	v_mul_f32_e32 v50, s4, v13
	v_perm_b32 v40, v49, v48, s44
	v_perm_b32 v41, v25, v24, s44
	v_pk_mul_f32 v[22:23], v[50:51], v[34:35] op_sel_hi:[0,1]
	v_mfma_f32_16x16x16_bf16 v[36:39], v[46:47], v[2:3], v[36:39]
	v_pk_mul_f32 v[34:35], v[50:51], v[32:33] op_sel_hi:[0,1]
	s_waitcnt vmcnt(3)
	v_cvt_pk_f32_fp8_e32 v[24:25], v18
	v_cvt_pk_f32_fp8_sdwa v[32:33], v18 src0_sel:WORD_1
	v_mfma_f32_16x16x16_bf16 v[46:49], v[40:41], v[4:5], v[36:39]
	v_cvt_pk_f32_fp8_e32 v[40:41], v20
	v_perm_b32 v24, v25, v24, s44
	v_perm_b32 v25, v33, v32, s44
	v_cvt_pk_f32_fp8_e32 v[36:37], v19
	v_cvt_pk_f32_fp8_sdwa v[18:19], v19 src0_sel:WORD_1
	v_cvt_pk_f32_fp8_sdwa v[52:53], v20 src0_sel:WORD_1
	v_perm_b32 v32, v37, v36, s44
	v_perm_b32 v33, v19, v18, s44
	v_mfma_f32_16x16x16_bf16 v[36:39], v[24:25], v[6:7], 0
	v_perm_b32 v18, v41, v40, s44
	v_perm_b32 v19, v53, v52, s44
	v_cvt_pk_f32_fp8_e32 v[24:25], v21
	v_cvt_pk_f32_fp8_sdwa v[20:21], v21 src0_sel:WORD_1
	v_mfma_f32_16x16x16_bf16 v[6:9], v[32:33], v[8:9], v[36:39]
	v_pk_mul_f32 v[40:41], v[50:51], v[14:15] op_sel_hi:[0,1]
	v_pk_mul_f32 v[32:33], v[50:51], v[48:49] op_sel_hi:[0,1]
	s_nop 0
	v_pk_mul_f32 v[36:37], v[50:51], v[16:17] op_sel_hi:[0,1]
	v_perm_b32 v16, v25, v24, s44
	v_perm_b32 v17, v21, v20, s44
	v_mfma_f32_16x16x16_bf16 v[6:9], v[18:19], v[2:3], v[6:9]
	v_pk_mul_f32 v[38:39], v[50:51], v[46:47] op_sel_hi:[0,1]
	v_mfma_f32_16x16x16_bf16 v[2:5], v[16:17], v[4:5], v[6:9]
	s_nop 6
	v_pk_mul_f32 v[24:25], v[50:51], v[2:3] op_sel_hi:[0,1]
	v_and_b32_e32 v2, 0xc0, v0
	v_add_u32_e32 v2, s5, v2
	v_lshl_or_b32 v2, v42, 2, v2
	v_pk_mul_f32 v[18:19], v[50:51], v[4:5] op_sel_hi:[0,1]
	v_or_b32_e32 v5, 1, v2
	v_mov_b32_e32 v3, 0xff7fffff
	v_cmp_gt_i32_e64 s[4:5], s33, v2
	v_cmp_gt_i32_e64 s[34:35], s33, v5
	v_or_b32_e32 v6, 3, v2
	v_cndmask_b32_e64 v4, v3, v34, s[4:5]
	v_cndmask_b32_e64 v5, v3, v35, s[34:35]
	v_max3_f32 v4, v4, s46, v5
	v_or_b32_e32 v5, 2, v2
	v_cmp_gt_i32_e64 s[36:37], s33, v5
	v_cmp_gt_i32_e64 s[38:39], s33, v6
	s_nop 0
	v_cndmask_b32_e64 v5, v3, v22, s[36:37]
	v_cndmask_b32_e64 v6, v3, v23, s[38:39]
	v_max3_f32 v4, v4, v5, v6
	v_or_b32_e32 v5, 16, v2
	v_or_b32_e32 v6, 17, v2
	v_cmp_gt_i32_e64 s[24:25], s33, v5
	v_cmp_gt_i32_e64 s[26:27], s33, v6
	s_nop 0
	v_cndmask_b32_e64 v5, v3, v40, s[24:25]
	v_cndmask_b32_e64 v6, v3, v41, s[26:27]
	v_max3_f32 v4, v4, v5, v6
	v_or_b32_e32 v5, 18, v2
	;; [unrolled: 8-line block ×6, first 2 shown]
	v_or_b32_e32 v2, 51, v2
	v_cmp_gt_i32_e32 vcc, s33, v5
	v_cmp_gt_i32_e64 s[6:7], s33, v2
	s_nop 0
	v_cndmask_b32_e32 v5, v3, v18, vcc
	v_cndmask_b32_e64 v2, v3, v19, s[6:7]
	v_max3_f32 v4, v4, v5, v2
	v_mbcnt_lo_u32_b32 v2, -1, 0
	v_mbcnt_hi_u32_b32 v5, -1, v2
	v_and_b32_e32 v2, 64, v5
	v_add_u32_e32 v6, 64, v2
	v_xor_b32_e32 v2, 32, v5
	v_cmp_lt_i32_e64 s[40:41], v2, v6
	s_nop 1
	v_cndmask_b32_e64 v2, v5, v2, s[40:41]
	v_lshlrev_b32_e32 v46, 2, v2
	ds_bpermute_b32 v7, v46, v4
	s_waitcnt vmcnt(2)
	v_mad_i64_i32 v[2:3], s[40:41], v12, s45, v[30:31]
	global_load_dwordx4 v[14:17], v[10:11], off
	s_nop 0
	global_load_dwordx4 v[10:13], v[2:3], off
	v_xor_b32_e32 v3, 16, v5
	v_cmp_lt_i32_e64 s[40:41], v3, v6
	s_waitcnt lgkmcnt(0)
	v_max_f32_e32 v2, v7, v7
	v_max_f32_e32 v2, v4, v2
	v_cndmask_b32_e64 v3, v5, v3, s[40:41]
	v_lshlrev_b32_e32 v47, 2, v3
	ds_bpermute_b32 v3, v47, v2
	s_waitcnt vmcnt(3)
	v_mad_i64_i32 v[20:21], s[40:41], v44, s45, v[30:31]
	s_waitcnt vmcnt(2)
	v_mad_i64_i32 v[30:31], s[40:41], v45, s45, v[30:31]
	s_waitcnt lgkmcnt(0)
	v_max_f32_e32 v3, v3, v3
	v_max_f32_e32 v44, v2, v3
	v_sub_f32_e32 v2, v34, v44
	v_mul_f32_e32 v2, 0x3fb8aa3b, v2
	v_exp_f32_e32 v34, v2
	v_sub_f32_e32 v2, v35, v44
	v_mul_f32_e32 v2, 0x3fb8aa3b, v2
	v_exp_f32_e32 v35, v2
	global_load_dwordx4 v[6:9], v[20:21], off
	global_load_dwordx4 v[2:5], v[30:31], off
	v_sub_f32_e32 v22, v22, v44
	v_mul_f32_e32 v22, 0x3fb8aa3b, v22
	v_sub_f32_e32 v23, v23, v44
	v_exp_f32_e32 v22, v22
	v_mul_f32_e32 v23, 0x3fb8aa3b, v23
	v_exp_f32_e32 v23, v23
	v_cndmask_b32_e64 v20, 0, v34, s[4:5]
	v_add_f32_e32 v30, 0, v20
	v_cndmask_b32_e64 v21, 0, v35, s[34:35]
	v_add_f32_e32 v30, v30, v21
	v_cndmask_b32_e64 v34, 0, v22, s[36:37]
	v_add_f32_e32 v22, v30, v34
	v_cndmask_b32_e64 v35, 0, v23, s[38:39]
	v_sub_f32_e32 v23, v40, v44
	v_sub_f32_e32 v30, v41, v44
	v_mul_f32_e32 v23, 0x3fb8aa3b, v23
	v_mul_f32_e32 v30, 0x3fb8aa3b, v30
	v_exp_f32_e32 v23, v23
	v_exp_f32_e32 v30, v30
	v_add_f32_e32 v31, v22, v35
	v_sub_f32_e32 v32, v32, v44
	v_cndmask_b32_e64 v22, 0, v23, s[24:25]
	v_cndmask_b32_e64 v23, 0, v30, s[26:27]
	v_sub_f32_e32 v30, v36, v44
	v_mul_f32_e32 v30, 0x3fb8aa3b, v30
	v_exp_f32_e32 v30, v30
	v_sub_f32_e32 v36, v37, v44
	v_add_f32_e32 v31, v31, v22
	v_mul_f32_e32 v36, 0x3fb8aa3b, v36
	v_exp_f32_e32 v37, v36
	v_add_f32_e32 v31, v31, v23
	v_cndmask_b32_e64 v36, 0, v30, s[20:21]
	v_add_f32_e32 v30, v31, v36
	v_sub_f32_e32 v31, v38, v44
	v_mul_f32_e32 v31, 0x3fb8aa3b, v31
	v_sub_f32_e32 v38, v39, v44
	v_exp_f32_e32 v31, v31
	v_mul_f32_e32 v38, 0x3fb8aa3b, v38
	v_exp_f32_e32 v38, v38
	v_mul_f32_e32 v32, 0x3fb8aa3b, v32
	v_sub_f32_e32 v33, v33, v44
	v_exp_f32_e32 v32, v32
	v_mul_f32_e32 v33, 0x3fb8aa3b, v33
	v_sub_f32_e32 v24, v24, v44
	v_cndmask_b32_e64 v37, 0, v37, s[22:23]
	v_exp_f32_e32 v33, v33
	v_mul_f32_e32 v24, 0x3fb8aa3b, v24
	v_sub_f32_e32 v25, v25, v44
	v_add_f32_e32 v39, v30, v37
	v_cndmask_b32_e64 v30, 0, v31, s[16:17]
	v_exp_f32_e32 v24, v24
	v_mul_f32_e32 v25, 0x3fb8aa3b, v25
	v_sub_f32_e32 v18, v18, v44
	v_add_f32_e32 v39, v39, v30
	;; [unrolled: 5-line block ×3, first 2 shown]
	v_cndmask_b32_e64 v32, 0, v32, s[12:13]
	v_exp_f32_e32 v18, v18
	v_mul_f32_e32 v19, 0x3fb8aa3b, v19
	v_add_f32_e32 v38, v38, v32
	v_cndmask_b32_e64 v33, 0, v33, s[14:15]
	v_exp_f32_e32 v19, v19
	v_add_f32_e32 v38, v38, v33
	v_cndmask_b32_e64 v24, 0, v24, s[8:9]
	v_add_f32_e32 v38, v38, v24
	v_cndmask_b32_e64 v25, 0, v25, s[10:11]
	v_add_f32_e32 v38, v38, v25
	v_cndmask_b32_e32 v18, 0, v18, vcc
	v_add_f32_e32 v38, v38, v18
	v_cndmask_b32_e64 v19, 0, v19, s[6:7]
	v_add_f32_e32 v38, v38, v19
	ds_bpermute_b32 v39, v46, v38
	v_cmp_gt_u32_e64 s[6:7], 16, v43
	s_waitcnt lgkmcnt(0)
	s_barrier
	v_add_f32_e32 v38, v38, v39
	ds_bpermute_b32 v40, v47, v38
	v_lshlrev_b32_e32 v39, 2, v28
	s_and_saveexec_b64 s[4:5], s[6:7]
	s_cbranch_execz .LBB1200_13
; %bb.12:
	s_waitcnt lgkmcnt(0)
	v_add_f32_e32 v38, v38, v40
	v_lshl_or_b32 v40, v29, 6, v39
	ds_write2st64_b32 v40, v44, v38 offset1:1
.LBB1200_13:
	s_or_b64 exec, exec, s[4:5]
	s_load_dword s8, s[0:1], 0x94
	s_waitcnt lgkmcnt(0)
	s_barrier
	ds_read2_b32 v[40:41], v39 offset1:16
	ds_read2_b32 v[44:45], v39 offset0:32 offset1:48
	ds_read2_b32 v[46:47], v39 offset0:64 offset1:80
	s_movk_i32 s10, 0x7fff
	s_mul_i32 s9, s29, 13
	s_waitcnt lgkmcnt(2)
	v_max3_f32 v38, v40, s46, v41
	s_waitcnt lgkmcnt(1)
	v_max3_f32 v38, v38, v44, v45
	v_sub_f32_e32 v40, v40, v38
	v_mul_f32_e32 v40, 0x3fb8aa3b, v40
	v_exp_f32_e32 v43, v40
	v_sub_f32_e32 v40, v41, v38
	v_mul_f32_e32 v40, 0x3fb8aa3b, v40
	v_exp_f32_e32 v48, v40
	;; [unrolled: 3-line block ×3, first 2 shown]
	ds_read2_b32 v[40:41], v39 offset0:96 offset1:112
	v_sub_f32_e32 v39, v45, v38
	v_mul_f32_e32 v39, 0x3fb8aa3b, v39
	v_exp_f32_e32 v45, v39
	s_waitcnt lgkmcnt(1)
	v_fma_f32 v39, v43, v46, 0
	v_fmac_f32_e32 v39, v48, v47
	s_waitcnt lgkmcnt(0)
	v_fmac_f32_e32 v39, v44, v40
	v_fmac_f32_e32 v39, v45, v41
	v_add_f32_e32 v40, 0x358637bd, v39
	v_div_scale_f32 v41, s[4:5], v40, v40, 1.0
	v_rcp_f32_e32 v46, v41
	s_barrier
	v_fma_f32 v47, -v41, v46, 1.0
	v_fmac_f32_e32 v46, v47, v46
	v_div_scale_f32 v47, vcc, 1.0, v40, 1.0
	v_mul_f32_e32 v49, v47, v46
	v_fma_f32 v50, -v41, v49, v47
	v_fmac_f32_e32 v49, v50, v46
	v_fma_f32 v41, -v41, v49, v47
	v_div_fmas_f32 v41, v41, v46, v49
	v_cmp_eq_u32_e32 vcc, 1, v29
	v_div_fixup_f32 v40, v41, v40, 1.0
	s_nop 0
	v_cndmask_b32_e32 v41, v43, v48, vcc
	v_cmp_eq_u32_e32 vcc, 2, v29
	s_nop 1
	v_cndmask_b32_e32 v41, v41, v44, vcc
	v_cmp_eq_u32_e32 vcc, 3, v29
	s_nop 1
	v_cndmask_b32_e32 v41, v41, v45, vcc
	v_mul_f32_e32 v40, v41, v40
	v_pk_mul_f32 v[20:21], v[40:41], v[20:21] op_sel_hi:[0,1]
	v_pk_mul_f32 v[34:35], v[40:41], v[34:35] op_sel_hi:[0,1]
	v_bfe_u32 v41, v21, 16, 1
	v_bfe_u32 v43, v20, 16, 1
	v_add3_u32 v20, v20, v43, s10
	v_add3_u32 v21, v21, v41, s10
	v_perm_b32 v44, v21, v20, s44
	v_bfe_u32 v20, v35, 16, 1
	v_bfe_u32 v21, v34, 16, 1
	v_add3_u32 v21, v34, v21, s10
	v_add3_u32 v20, v35, v20, s10
	v_perm_b32 v45, v20, v21, s44
	v_lshlrev_b32_e32 v20, 3, v42
	v_lshlrev_b32_e32 v21, 11, v29
	v_pk_mul_f32 v[22:23], v[40:41], v[22:23] op_sel_hi:[0,1]
	v_or3_b32 v20, v21, v27, v20
	v_bfe_u32 v21, v23, 16, 1
	v_bfe_u32 v29, v22, 16, 1
	v_pk_mul_f32 v[34:35], v[40:41], v[36:37] op_sel_hi:[0,1]
	v_add3_u32 v22, v22, v29, s10
	v_add3_u32 v21, v23, v21, s10
	v_perm_b32 v22, v21, v22, s44
	v_bfe_u32 v21, v35, 16, 1
	v_bfe_u32 v23, v34, 16, 1
	v_add3_u32 v23, v34, v23, s10
	v_add3_u32 v21, v35, v21, s10
	v_pk_mul_f32 v[30:31], v[40:41], v[30:31] op_sel_hi:[0,1]
	v_perm_b32 v23, v21, v23, s44
	v_bfe_u32 v21, v31, 16, 1
	v_bfe_u32 v29, v30, 16, 1
	ds_write2st64_b64 v20, v[44:45], v[22:23] offset1:1
	v_pk_mul_f32 v[22:23], v[40:41], v[32:33] op_sel_hi:[0,1]
	v_add3_u32 v29, v30, v29, s10
	v_add3_u32 v21, v31, v21, s10
	v_perm_b32 v30, v21, v29, s44
	v_bfe_u32 v21, v23, 16, 1
	v_bfe_u32 v29, v22, 16, 1
	v_add3_u32 v22, v22, v29, s10
	v_add3_u32 v21, v23, v21, s10
	v_perm_b32 v31, v21, v22, s44
	v_pk_mul_f32 v[22:23], v[40:41], v[24:25] op_sel_hi:[0,1]
	v_bfe_u32 v21, v23, 16, 1
	v_bfe_u32 v24, v22, 16, 1
	v_pk_mul_f32 v[18:19], v[40:41], v[18:19] op_sel_hi:[0,1]
	v_add3_u32 v22, v22, v24, s10
	v_add3_u32 v21, v23, v21, s10
	v_perm_b32 v22, v21, v22, s44
	v_bfe_u32 v21, v19, 16, 1
	v_bfe_u32 v23, v18, 16, 1
	v_add3_u32 v18, v18, v23, s10
	v_add3_u32 v19, v19, v21, s10
	v_perm_b32 v23, v19, v18, s44
	v_cmp_gt_u32_e32 vcc, 13, v0
	ds_write2st64_b64 v20, v[30:31], v[22:23] offset0:2 offset1:3
	s_and_saveexec_b64 s[4:5], vcc
	s_cbranch_execz .LBB1200_15
; %bb.14:
	s_mov_b32 s49, 0
	v_mov_b32_e32 v29, 0
	v_lshl_add_u64 v[18:19], s[48:49], 0, v[28:29]
	v_mov_b32_e32 v21, s9
	v_mad_u64_u32 v[18:19], s[16:17], s2, v21, v[18:19]
	s_mul_i32 s3, s3, s9
	v_mov_b32_e32 v28, s28
	s_load_dwordx4 s[12:15], s[0:1], 0x58
	v_add_u32_e32 v21, s3, v19
	v_mad_u64_u32 v[18:19], s[16:17], v18, s8, v[28:29]
	v_mov_b32_e32 v22, v19
	v_mad_u64_u32 v[22:23], s[16:17], v21, s8, v[22:23]
	v_mov_b32_e32 v19, v22
	v_lshlrev_b64 v[18:19], 2, v[18:19]
	s_waitcnt lgkmcnt(0)
	v_lshl_add_u64 v[22:23], s[14:15], 0, v[18:19]
	v_lshl_add_u64 v[18:19], s[12:13], 0, v[18:19]
	global_store_dword v[22:23], v38, off
	global_store_dword v[18:19], v39, off
.LBB1200_15:
	s_or_b64 exec, exec, s[4:5]
	s_waitcnt vmcnt(3)
	v_cvt_pk_f32_fp8_e32 v[18:19], v14
	v_cvt_pk_f32_fp8_sdwa v[22:23], v14 src0_sel:WORD_1
	s_mov_b32 s4, 0x7060302
	v_lshl_or_b32 v14, v42, 9, v27
	s_waitcnt lgkmcnt(0)
	s_barrier
	v_perm_b32 v18, v19, v18, s4
	v_perm_b32 v19, v23, v22, s4
	v_cvt_pk_f32_fp8_e32 v[28:29], v15
	ds_read_b128 v[22:25], v14
	v_cvt_pk_f32_fp8_sdwa v[36:37], v15 src0_sel:WORD_1
	s_load_dword s12, s[42:43], 0x0
	v_perm_b32 v38, v29, v28, s4
	ds_read_b128 v[28:31], v14 offset:16
	v_perm_b32 v39, v37, v36, s4
	s_waitcnt lgkmcnt(0)
	v_mfma_f32_16x16x16_bf16 v[32:35], v[18:19], v[22:23], 0
	v_cvt_pk_f32_fp8_e32 v[18:19], v16
	v_cvt_pk_f32_fp8_sdwa v[36:37], v16 src0_sel:WORD_1
	v_cmp_gt_u32_e32 vcc, 64, v0
	v_mfma_f32_16x16x16_bf16 v[22:25], v[38:39], v[24:25], v[32:35]
	v_perm_b32 v18, v19, v18, s4
	v_perm_b32 v19, v37, v36, s4
	s_waitcnt vmcnt(2)
	v_cvt_pk_f32_fp8_sdwa v[36:37], v10 src0_sel:WORD_1
	v_cvt_pk_f32_fp8_e32 v[32:33], v17
	v_cvt_pk_f32_fp8_sdwa v[16:17], v17 src0_sel:WORD_1
	v_cvt_pk_f32_fp8_e32 v[34:35], v10
	s_mov_b32 s3, 0
	v_perm_b32 v32, v33, v32, s4
	v_perm_b32 v33, v17, v16, s4
	v_mfma_f32_16x16x16_bf16 v[16:19], v[18:19], v[28:29], v[22:25]
	v_perm_b32 v34, v35, v34, s4
	v_perm_b32 v35, v37, v36, s4
	v_cvt_pk_f32_fp8_e32 v[28:29], v11
	ds_read_b128 v[22:25], v14 offset:2048
	v_cvt_pk_f32_fp8_sdwa v[10:11], v11 src0_sel:WORD_1
	v_mfma_f32_16x16x16_bf16 v[16:19], v[32:33], v[30:31], v[16:19]
	v_perm_b32 v32, v29, v28, s4
	ds_read_b128 v[28:31], v14 offset:2064
	v_perm_b32 v33, v11, v10, s4
	s_waitcnt lgkmcnt(1)
	v_mfma_f32_16x16x16_bf16 v[16:19], v[34:35], v[22:23], v[16:19]
	v_cvt_pk_f32_fp8_e32 v[10:11], v12
	v_cvt_pk_f32_fp8_sdwa v[22:23], v12 src0_sel:WORD_1
	v_mov_b32_e32 v27, 0
	v_mfma_f32_16x16x16_bf16 v[16:19], v[32:33], v[24:25], v[16:19]
	v_cvt_pk_f32_fp8_e32 v[24:25], v13
	v_perm_b32 v10, v11, v10, s4
	v_perm_b32 v11, v23, v22, s4
	v_cvt_pk_f32_fp8_sdwa v[12:13], v13 src0_sel:WORD_1
	v_perm_b32 v22, v25, v24, s4
	s_waitcnt vmcnt(1)
	v_cvt_pk_f32_fp8_e32 v[24:25], v6
	v_cvt_pk_f32_fp8_sdwa v[32:33], v6 src0_sel:WORD_1
	v_perm_b32 v23, v13, v12, s4
	s_waitcnt lgkmcnt(0)
	v_mfma_f32_16x16x16_bf16 v[10:13], v[10:11], v[28:29], v[16:19]
	v_perm_b32 v28, v25, v24, s4
	v_perm_b32 v29, v33, v32, s4
	v_cvt_pk_f32_fp8_e32 v[24:25], v7
	ds_read_b128 v[16:19], v14 offset:4096
	v_cvt_pk_f32_fp8_sdwa v[6:7], v7 src0_sel:WORD_1
	v_mfma_f32_16x16x16_bf16 v[10:13], v[22:23], v[30:31], v[10:13]
	v_perm_b32 v30, v25, v24, s4
	ds_read_b128 v[22:25], v14 offset:4112
	v_perm_b32 v31, v7, v6, s4
	s_waitcnt lgkmcnt(1)
	v_mfma_f32_16x16x16_bf16 v[10:13], v[28:29], v[16:17], v[10:13]
	v_cvt_pk_f32_fp8_e32 v[6:7], v8
	v_cvt_pk_f32_fp8_sdwa v[16:17], v8 src0_sel:WORD_1
	s_waitcnt vmcnt(0)
	v_cvt_pk_f32_fp8_sdwa v[28:29], v2 src0_sel:WORD_1
	v_mfma_f32_16x16x16_bf16 v[10:13], v[30:31], v[18:19], v[10:13]
	v_cvt_pk_f32_fp8_e32 v[18:19], v9
	v_perm_b32 v6, v7, v6, s4
	v_perm_b32 v7, v17, v16, s4
	v_cvt_pk_f32_fp8_sdwa v[8:9], v9 src0_sel:WORD_1
	v_perm_b32 v16, v19, v18, s4
	v_cvt_pk_f32_fp8_e32 v[18:19], v2
	v_perm_b32 v17, v9, v8, s4
	s_waitcnt lgkmcnt(0)
	v_mfma_f32_16x16x16_bf16 v[6:9], v[6:7], v[22:23], v[10:13]
	v_perm_b32 v18, v19, v18, s4
	v_perm_b32 v19, v29, v28, s4
	v_cvt_pk_f32_fp8_e32 v[22:23], v3
	ds_read_b128 v[10:13], v14 offset:6144
	v_cvt_pk_f32_fp8_sdwa v[2:3], v3 src0_sel:WORD_1
	v_mfma_f32_16x16x16_bf16 v[6:9], v[16:17], v[24:25], v[6:9]
	v_perm_b32 v22, v23, v22, s4
	ds_read_b128 v[14:17], v14 offset:6160
	v_perm_b32 v23, v3, v2, s4
	s_waitcnt lgkmcnt(1)
	v_mfma_f32_16x16x16_bf16 v[6:9], v[18:19], v[10:11], v[6:9]
	v_cvt_pk_f32_fp8_e32 v[2:3], v4
	v_cvt_pk_f32_fp8_sdwa v[10:11], v4 src0_sel:WORD_1
	s_waitcnt lgkmcnt(0)
	v_mfma_f32_16x16x16_bf16 v[6:9], v[22:23], v[12:13], v[6:9]
	v_perm_b32 v2, v3, v2, s4
	v_perm_b32 v3, v11, v10, s4
	v_cvt_pk_f32_fp8_e32 v[10:11], v5
	v_cvt_pk_f32_fp8_sdwa v[4:5], v5 src0_sel:WORD_1
	s_barrier
	v_perm_b32 v10, v11, v10, s4
	v_perm_b32 v11, v5, v4, s4
	v_mfma_f32_16x16x16_bf16 v[2:5], v[2:3], v[14:15], v[6:9]
	s_nop 0
	v_mfma_f32_16x16x16_bf16 v[2:5], v[10:11], v[16:17], v[2:5]
	s_nop 6
	v_pk_mul_f32 v[2:3], v[2:3], s[12:13] op_sel_hi:[1,0]
	v_pk_mul_f32 v[4:5], v[4:5], s[12:13] op_sel_hi:[1,0]
	v_bfe_u32 v6, v3, 16, 1
	v_bfe_u32 v7, v2, 16, 1
	v_add3_u32 v2, v2, v7, s10
	v_add3_u32 v3, v3, v6, s10
	v_perm_b32 v2, v3, v2, s4
	v_bfe_u32 v3, v5, 16, 1
	v_bfe_u32 v6, v4, 16, 1
	v_add3_u32 v4, v4, v6, s10
	v_add3_u32 v3, v5, v3, s10
	v_perm_b32 v3, v3, v4, s4
	s_and_b64 s[4:5], vcc, s[30:31]
	ds_write_b64 v20, v[2:3]
	s_waitcnt lgkmcnt(0)
	s_barrier
	s_and_saveexec_b64 s[10:11], s[4:5]
	s_cbranch_execz .LBB1200_18
; %bb.16:
	s_load_dwordx2 s[4:5], s[0:1], 0x68
	s_lshl_b32 s0, s8, 6
	s_mul_i32 s1, s9, s2
	s_mul_hi_u32 s9, s1, s0
	s_mul_i32 s8, s1, s0
	v_lshlrev_b32_e32 v0, 10, v0
	s_lshl_b64 s[8:9], s[8:9], 1
	v_and_b32_e32 v0, 0x1800, v0
	v_lshlrev_b32_e32 v2, 5, v42
	v_and_b32_e32 v1, 16, v1
	s_waitcnt lgkmcnt(0)
	s_add_u32 s1, s4, s8
	v_or3_b32 v2, v0, v2, v1
	s_addc_u32 s4, s5, s9
	s_lshl_b32 s2, s28, 6
	ds_read_b128 v[4:7], v2 offset:256
	s_lshl_b64 s[2:3], s[2:3], 1
	ds_read_b128 v[8:11], v2 offset:128
	ds_read_b128 v[12:15], v2
	s_add_u32 s2, s1, s2
	s_addc_u32 s3, s4, s3
	v_add_u32_e32 v3, s48, v42
	v_lshl_add_u64 v[0:1], s[2:3], 0, v[26:27]
	v_mad_u64_u32 v[16:17], s[2:3], v3, s0, 0
	v_lshl_add_u64 v[16:17], v[16:17], 1, v[0:1]
	s_waitcnt lgkmcnt(0)
	global_store_dwordx4 v[16:17], v[12:15], off
	s_nop 1
	v_add_u32_e32 v12, 4, v3
	v_mad_u64_u32 v[12:13], s[2:3], v12, s0, 0
	v_lshl_add_u64 v[12:13], v[12:13], 1, v[0:1]
	v_add_u32_e32 v3, 8, v3
	global_store_dwordx4 v[12:13], v[8:11], off
	s_nop 1
	v_mad_u64_u32 v[8:9], s[2:3], v3, s0, 0
	v_lshl_add_u64 v[8:9], v[8:9], 1, v[0:1]
	global_store_dwordx4 v[8:9], v[4:7], off
	s_and_b64 exec, exec, s[6:7]
	s_cbranch_execz .LBB1200_18
; %bb.17:
	ds_read_b128 v[2:5], v2 offset:384
	v_add3_u32 v6, s48, v42, 12
	v_mad_u64_u32 v[6:7], s[0:1], v6, s0, 0
	v_lshl_add_u64 v[0:1], v[6:7], 1, v[0:1]
	s_waitcnt lgkmcnt(0)
	global_store_dwordx4 v[0:1], v[2:5], off
.LBB1200_18:
	s_endpgm
	.section	.rodata,"a",@progbits
	.p2align	6, 0x0
	.amdhsa_kernel _Z39paged_attention_ll4mi_QKV_mfma16_kernelI14__hip_bfloat16hLN4vllm18Fp8KVCacheDataTypeE1EhLi32ELi64ELi256ELb0ELi13EEvPKT_PKT0_S8_ifPKiSA_SA_iPKfiiiPfSD_PS3_PT2_iSC_SC_
		.amdhsa_group_segment_fixed_size 8192
		.amdhsa_private_segment_fixed_size 0
		.amdhsa_kernarg_size 400
		.amdhsa_user_sgpr_count 2
		.amdhsa_user_sgpr_dispatch_ptr 0
		.amdhsa_user_sgpr_queue_ptr 0
		.amdhsa_user_sgpr_kernarg_segment_ptr 1
		.amdhsa_user_sgpr_dispatch_id 0
		.amdhsa_user_sgpr_kernarg_preload_length 0
		.amdhsa_user_sgpr_kernarg_preload_offset 0
		.amdhsa_user_sgpr_private_segment_size 0
		.amdhsa_uses_dynamic_stack 0
		.amdhsa_enable_private_segment 0
		.amdhsa_system_sgpr_workgroup_id_x 1
		.amdhsa_system_sgpr_workgroup_id_y 1
		.amdhsa_system_sgpr_workgroup_id_z 1
		.amdhsa_system_sgpr_workgroup_info 0
		.amdhsa_system_vgpr_workitem_id 0
		.amdhsa_next_free_vgpr 54
		.amdhsa_next_free_sgpr 50
		.amdhsa_accum_offset 56
		.amdhsa_reserve_vcc 1
		.amdhsa_float_round_mode_32 0
		.amdhsa_float_round_mode_16_64 0
		.amdhsa_float_denorm_mode_32 3
		.amdhsa_float_denorm_mode_16_64 3
		.amdhsa_dx10_clamp 1
		.amdhsa_ieee_mode 1
		.amdhsa_fp16_overflow 0
		.amdhsa_tg_split 0
		.amdhsa_exception_fp_ieee_invalid_op 0
		.amdhsa_exception_fp_denorm_src 0
		.amdhsa_exception_fp_ieee_div_zero 0
		.amdhsa_exception_fp_ieee_overflow 0
		.amdhsa_exception_fp_ieee_underflow 0
		.amdhsa_exception_fp_ieee_inexact 0
		.amdhsa_exception_int_div_zero 0
	.end_amdhsa_kernel
	.section	.text._Z39paged_attention_ll4mi_QKV_mfma16_kernelI14__hip_bfloat16hLN4vllm18Fp8KVCacheDataTypeE1EhLi32ELi64ELi256ELb0ELi13EEvPKT_PKT0_S8_ifPKiSA_SA_iPKfiiiPfSD_PS3_PT2_iSC_SC_,"axG",@progbits,_Z39paged_attention_ll4mi_QKV_mfma16_kernelI14__hip_bfloat16hLN4vllm18Fp8KVCacheDataTypeE1EhLi32ELi64ELi256ELb0ELi13EEvPKT_PKT0_S8_ifPKiSA_SA_iPKfiiiPfSD_PS3_PT2_iSC_SC_,comdat
.Lfunc_end1200:
	.size	_Z39paged_attention_ll4mi_QKV_mfma16_kernelI14__hip_bfloat16hLN4vllm18Fp8KVCacheDataTypeE1EhLi32ELi64ELi256ELb0ELi13EEvPKT_PKT0_S8_ifPKiSA_SA_iPKfiiiPfSD_PS3_PT2_iSC_SC_, .Lfunc_end1200-_Z39paged_attention_ll4mi_QKV_mfma16_kernelI14__hip_bfloat16hLN4vllm18Fp8KVCacheDataTypeE1EhLi32ELi64ELi256ELb0ELi13EEvPKT_PKT0_S8_ifPKiSA_SA_iPKfiiiPfSD_PS3_PT2_iSC_SC_
                                        ; -- End function
	.section	.AMDGPU.csdata,"",@progbits
; Kernel info:
; codeLenInByte = 5008
; NumSgprs: 56
; NumVgprs: 54
; NumAgprs: 0
; TotalNumVgprs: 54
; ScratchSize: 0
; MemoryBound: 0
; FloatMode: 240
; IeeeMode: 1
; LDSByteSize: 8192 bytes/workgroup (compile time only)
; SGPRBlocks: 6
; VGPRBlocks: 6
; NumSGPRsForWavesPerEU: 56
; NumVGPRsForWavesPerEU: 54
; AccumOffset: 56
; Occupancy: 8
; WaveLimiterHint : 1
; COMPUTE_PGM_RSRC2:SCRATCH_EN: 0
; COMPUTE_PGM_RSRC2:USER_SGPR: 2
; COMPUTE_PGM_RSRC2:TRAP_HANDLER: 0
; COMPUTE_PGM_RSRC2:TGID_X_EN: 1
; COMPUTE_PGM_RSRC2:TGID_Y_EN: 1
; COMPUTE_PGM_RSRC2:TGID_Z_EN: 1
; COMPUTE_PGM_RSRC2:TIDIG_COMP_CNT: 0
; COMPUTE_PGM_RSRC3_GFX90A:ACCUM_OFFSET: 13
; COMPUTE_PGM_RSRC3_GFX90A:TG_SPLIT: 0
	.section	.text._Z39paged_attention_ll4mi_QKV_mfma16_kernelI14__hip_bfloat16hLN4vllm18Fp8KVCacheDataTypeE1EhLi32ELi64ELi256ELb0ELi14EEvPKT_PKT0_S8_ifPKiSA_SA_iPKfiiiPfSD_PS3_PT2_iSC_SC_,"axG",@progbits,_Z39paged_attention_ll4mi_QKV_mfma16_kernelI14__hip_bfloat16hLN4vllm18Fp8KVCacheDataTypeE1EhLi32ELi64ELi256ELb0ELi14EEvPKT_PKT0_S8_ifPKiSA_SA_iPKfiiiPfSD_PS3_PT2_iSC_SC_,comdat
	.protected	_Z39paged_attention_ll4mi_QKV_mfma16_kernelI14__hip_bfloat16hLN4vllm18Fp8KVCacheDataTypeE1EhLi32ELi64ELi256ELb0ELi14EEvPKT_PKT0_S8_ifPKiSA_SA_iPKfiiiPfSD_PS3_PT2_iSC_SC_ ; -- Begin function _Z39paged_attention_ll4mi_QKV_mfma16_kernelI14__hip_bfloat16hLN4vllm18Fp8KVCacheDataTypeE1EhLi32ELi64ELi256ELb0ELi14EEvPKT_PKT0_S8_ifPKiSA_SA_iPKfiiiPfSD_PS3_PT2_iSC_SC_
	.globl	_Z39paged_attention_ll4mi_QKV_mfma16_kernelI14__hip_bfloat16hLN4vllm18Fp8KVCacheDataTypeE1EhLi32ELi64ELi256ELb0ELi14EEvPKT_PKT0_S8_ifPKiSA_SA_iPKfiiiPfSD_PS3_PT2_iSC_SC_
	.p2align	8
	.type	_Z39paged_attention_ll4mi_QKV_mfma16_kernelI14__hip_bfloat16hLN4vllm18Fp8KVCacheDataTypeE1EhLi32ELi64ELi256ELb0ELi14EEvPKT_PKT0_S8_ifPKiSA_SA_iPKfiiiPfSD_PS3_PT2_iSC_SC_,@function
_Z39paged_attention_ll4mi_QKV_mfma16_kernelI14__hip_bfloat16hLN4vllm18Fp8KVCacheDataTypeE1EhLi32ELi64ELi256ELb0ELi14EEvPKT_PKT0_S8_ifPKiSA_SA_iPKfiiiPfSD_PS3_PT2_iSC_SC_: ; @_Z39paged_attention_ll4mi_QKV_mfma16_kernelI14__hip_bfloat16hLN4vllm18Fp8KVCacheDataTypeE1EhLi32ELi64ELi256ELb0ELi14EEvPKT_PKT0_S8_ifPKiSA_SA_iPKfiiiPfSD_PS3_PT2_iSC_SC_
; %bb.0:
	s_load_dwordx2 s[12:13], s[0:1], 0x30
	s_mov_b32 s28, s3
	s_mov_b64 s[6:7], 0
	s_waitcnt lgkmcnt(0)
	s_cmp_lg_u64 s[12:13], 0
	s_cselect_b64 s[14:15], -1, 0
	s_and_b64 vcc, exec, s[14:15]
	s_cbranch_vccz .LBB1201_7
; %bb.1:
	s_add_i32 s8, s2, 1
	s_mov_b32 s9, 0
	s_lshl_b64 s[10:11], s[8:9], 2
	s_add_u32 s10, s12, s10
	s_mov_b32 s3, s9
	s_addc_u32 s11, s13, s11
	s_lshl_b64 s[8:9], s[2:3], 2
	s_add_u32 s8, s12, s8
	s_addc_u32 s9, s13, s9
	s_load_dword s5, s[10:11], 0x0
	s_load_dword s16, s[8:9], 0x0
	s_waitcnt lgkmcnt(0)
	s_sub_i32 s5, s5, s16
	s_cmp_eq_u32 s5, 1
	s_cselect_b64 s[8:9], -1, 0
	s_andn2_b64 vcc, exec, s[6:7]
	s_cbranch_vccnz .LBB1201_3
.LBB1201_2:
	s_mov_b32 s3, 0
	s_mov_b64 s[8:9], -1
.LBB1201_3:
	s_andn2_b64 vcc, exec, s[8:9]
	s_cbranch_vccnz .LBB1201_18
; %bb.4:
	s_load_dwordx2 s[6:7], s[0:1], 0x28
	s_lshl_b64 s[16:17], s[2:3], 2
	s_waitcnt lgkmcnt(0)
	s_add_u32 s6, s6, s16
	s_addc_u32 s7, s7, s17
	s_load_dword s33, s[6:7], 0x0
	s_lshl_b32 s5, s28, 8
	s_waitcnt lgkmcnt(0)
	s_cmp_ge_i32 s5, s33
	s_cbranch_scc1 .LBB1201_18
; %bb.5:
	s_load_dwordx2 s[6:7], s[0:1], 0x20
	s_load_dword s8, s[0:1], 0x38
	s_add_i32 s9, s33, 31
	s_ashr_i32 s10, s9, 31
	v_and_b32_e32 v1, 0xcf, v0
	s_lshr_b32 s10, s10, 27
	v_add_u32_e32 v1, s5, v1
	s_add_i32 s9, s9, s10
	v_ashrrev_i32_e32 v2, 31, v1
	s_ashr_i32 s18, s9, 5
	v_lshrrev_b32_e32 v4, 27, v2
	s_add_i32 s18, s18, -1
	s_waitcnt lgkmcnt(0)
	s_mul_i32 s8, s2, s8
	s_mov_b32 s9, 0
	v_add_u32_e32 v2, v1, v4
	s_lshl_b64 s[8:9], s[8:9], 2
	v_ashrrev_i32_e32 v2, 5, v2
	v_mov_b32_e32 v5, s18
	v_cmp_gt_i32_e32 vcc, s33, v1
	s_add_u32 s6, s6, s8
	s_addc_u32 s7, s7, s9
	v_cndmask_b32_e32 v2, v5, v2, vcc
	v_ashrrev_i32_e32 v3, 31, v2
	v_lshl_add_u64 v[6:7], v[2:3], 2, s[6:7]
	v_or_b32_e32 v2, 16, v1
	v_add_u32_e32 v3, v2, v4
	v_ashrrev_i32_e32 v3, 5, v3
	v_cmp_gt_i32_e32 vcc, s33, v2
	s_load_dwordx4 s[8:11], s[0:1], 0x8
	s_nop 0
	v_cndmask_b32_e32 v2, v5, v3, vcc
	v_ashrrev_i32_e32 v3, 31, v2
	v_lshl_add_u64 v[8:9], v[2:3], 2, s[6:7]
	v_or_b32_e32 v2, 32, v1
	v_add_u32_e32 v3, v2, v4
	v_ashrrev_i32_e32 v3, 5, v3
	v_cmp_gt_i32_e32 vcc, s33, v2
	v_or_b32_e32 v1, 48, v1
	s_nop 0
	v_cndmask_b32_e32 v2, v5, v3, vcc
	v_ashrrev_i32_e32 v3, 31, v2
	v_lshl_add_u64 v[10:11], v[2:3], 2, s[6:7]
	v_add_u32_e32 v2, v1, v4
	v_ashrrev_i32_e32 v2, 5, v2
	v_cmp_gt_i32_e32 vcc, s33, v1
	s_nop 1
	v_cndmask_b32_e32 v2, v5, v2, vcc
	v_ashrrev_i32_e32 v3, 31, v2
	v_lshl_add_u64 v[12:13], v[2:3], 2, s[6:7]
	global_load_dword v2, v[6:7], off
	global_load_dword v5, v[8:9], off
	global_load_dword v4, v[10:11], off
	global_load_dword v20, v[12:13], off
	s_andn2_b64 vcc, exec, s[14:15]
	s_cbranch_vccnz .LBB1201_8
; %bb.6:
	s_add_u32 s12, s12, s16
	s_addc_u32 s13, s13, s17
	s_load_dword s14, s[12:13], 0x0
	s_branch .LBB1201_9
.LBB1201_7:
	s_mov_b64 s[8:9], 0
	s_branch .LBB1201_2
.LBB1201_8:
	s_mov_b32 s14, s2
.LBB1201_9:
	s_load_dwordx4 s[44:47], s[0:1], 0x48
	v_lshrrev_b32_e32 v29, 6, v0
	v_bfe_u32 v42, v0, 4, 2
	v_lshl_or_b32 v3, v29, 2, v42
	v_and_b32_e32 v28, 15, v0
	v_lshlrev_b32_e32 v1, 3, v28
	v_cmp_gt_u32_e32 vcc, 14, v3
	v_cmp_gt_u32_e64 s[30:31], 8, v28
	v_and_b32_e32 v43, 63, v0
	s_mul_i32 s48, s4, 14
	s_and_b64 s[16:17], s[30:31], vcc
	v_lshlrev_b32_e32 v26, 1, v1
	v_lshlrev_b32_e32 v1, 4, v0
	s_and_saveexec_b64 s[12:13], s[16:17]
	s_cbranch_execz .LBB1201_11
; %bb.10:
	s_load_dwordx2 s[16:17], s[0:1], 0x0
	s_waitcnt lgkmcnt(0)
	s_ashr_i32 s15, s44, 31
	s_mul_hi_u32 s19, s14, s44
	s_mul_i32 s15, s14, s15
	s_add_i32 s15, s19, s15
	s_mul_i32 s14, s14, s44
	s_lshl_b64 s[14:15], s[14:15], 1
	s_add_u32 s14, s16, s14
	v_add_lshl_u32 v6, v3, s48, 6
	s_addc_u32 s15, s17, s15
	v_ashrrev_i32_e32 v7, 31, v6
	v_lshl_add_u64 v[6:7], v[6:7], 1, s[14:15]
	v_mov_b32_e32 v27, 0
	v_lshl_add_u64 v[6:7], v[6:7], 0, v[26:27]
	global_load_dwordx4 v[6:9], v[6:7], off
	v_lshlrev_b32_e32 v11, 8, v28
	v_lshlrev_b32_e32 v3, 5, v3
	v_and_b32_e32 v10, 16, v1
	v_and_b32_e32 v11, 0xe00, v11
	v_or3_b32 v3, v11, v3, v10
	s_waitcnt vmcnt(0)
	ds_write_b128 v3, v[6:9]
.LBB1201_11:
	s_or_b64 exec, exec, s[12:13]
	s_waitcnt lgkmcnt(0)
	s_mul_i32 s4, s4, s46
	s_add_u32 s8, s8, s4
	s_addc_u32 s9, s9, 0
	v_mov_b32_e32 v31, 0
	v_mov_b64_e32 v[18:19], s[8:9]
	v_and_b32_e32 v8, 48, v0
	s_waitcnt vmcnt(3)
	v_mad_i64_i32 v[6:7], s[8:9], v2, s45, v[18:19]
	v_lshlrev_b32_e32 v2, 4, v28
	v_mov_b32_e32 v3, v31
	v_lshlrev_b32_e32 v30, 5, v8
	v_lshl_add_u64 v[6:7], v[6:7], 0, v[2:3]
	v_lshl_add_u64 v[6:7], v[6:7], 0, v[30:31]
	s_load_dword s29, s[0:1], 0x98
	s_load_dwordx4 s[40:43], s[0:1], 0x80
	s_waitcnt lgkmcnt(0)
	s_barrier
	global_load_dwordx4 v[10:13], v[6:7], off
	s_waitcnt vmcnt(3)
	v_mad_i64_i32 v[6:7], s[8:9], v5, s45, v[18:19]
	v_or_b32_e32 v32, 0x100, v2
	v_mov_b32_e32 v33, v31
	v_lshl_add_u64 v[6:7], v[6:7], 0, v[32:33]
	v_lshl_add_u64 v[6:7], v[6:7], 0, v[30:31]
	global_load_dwordx4 v[14:17], v[6:7], off
	s_ashr_i32 s8, s5, 31
	v_or_b32_e32 v5, s5, v8
	s_lshr_b32 s12, s8, 27
	v_add_u32_e32 v8, s12, v5
	v_ashrrev_i32_e32 v8, 5, v8
	v_mov_b32_e32 v21, s18
	v_cmp_gt_i32_e32 vcc, s33, v5
	v_or_b32_e32 v34, 64, v5
	v_or_b32_e32 v35, 0x80, v5
	v_cndmask_b32_e32 v8, v21, v8, vcc
	v_ashrrev_i32_e32 v9, 31, v8
	v_lshl_add_u64 v[8:9], v[8:9], 2, s[6:7]
	global_load_dword v50, v[8:9], off
	v_or_b32_e32 v36, 0xc0, v5
	s_waitcnt vmcnt(4)
	v_mad_i64_i32 v[4:5], s[8:9], v4, s45, v[18:19]
	v_lshl_add_u64 v[2:3], v[4:5], 0, v[2:3]
	v_lshl_add_u64 v[2:3], v[2:3], 0, v[30:31]
	global_load_dwordx4 v[22:25], v[2:3], off
	v_add_u32_e32 v6, -14, v28
	v_cmp_gt_u32_e32 vcc, 14, v28
	s_waitcnt vmcnt(4)
	v_mad_i64_i32 v[18:19], s[8:9], v20, s45, v[18:19]
	v_add_u32_e32 v20, s12, v34
	v_cndmask_b32_e32 v6, v6, v28, vcc
	v_add_u32_e32 v37, s12, v35
	v_ashrrev_i32_e32 v20, 5, v20
	v_cmp_gt_i32_e32 vcc, s33, v34
	v_lshlrev_b32_e32 v6, 5, v6
	v_add_u32_e32 v38, s12, v36
	v_lshl_add_u64 v[18:19], v[18:19], 0, v[32:33]
	v_ashrrev_i32_e32 v33, 5, v37
	v_cndmask_b32_e32 v32, v21, v20, vcc
	v_cmp_gt_i32_e32 vcc, s33, v35
	v_lshl_add_u32 v2, v42, 9, v6
	v_ashrrev_i32_e32 v37, 5, v38
	v_lshl_add_u64 v[18:19], v[18:19], 0, v[30:31]
	v_cndmask_b32_e32 v34, v21, v33, vcc
	v_cmp_gt_i32_e32 vcc, s33, v36
	ds_read_b128 v[6:9], v2
	ds_read_b128 v[2:5], v2 offset:16
	v_cndmask_b32_e32 v36, v21, v37, vcc
	global_load_dwordx4 v[18:21], v[18:19], off
	v_ashrrev_i32_e32 v33, 31, v32
	v_ashrrev_i32_e32 v35, 31, v34
	v_lshl_add_u64 v[40:41], v[32:33], 2, s[6:7]
	v_lshl_add_u64 v[44:45], v[34:35], 2, s[6:7]
	s_add_u32 s8, s10, s4
	v_lshlrev_b32_e32 v27, 5, v28
	s_addc_u32 s9, s11, 0
	v_and_b32_e32 v30, 16, v0
	s_mov_b32 s44, 0x7060302
	v_lshl_add_u64 v[38:39], s[8:9], 0, v[30:31]
	v_lshl_or_b32 v30, v29, 9, v27
	v_lshl_add_u64 v[30:31], v[38:39], 0, v[30:31]
	v_ashrrev_i32_e32 v37, 31, v36
	v_lshl_add_u64 v[36:37], v[36:37], 2, s[6:7]
	s_load_dword s13, s[0:1], 0x1c
	s_mov_b32 s46, 0xff7fffff
	s_waitcnt vmcnt(4)
	v_cvt_pk_f32_fp8_e32 v[32:33], v10
	v_cvt_pk_f32_fp8_sdwa v[34:35], v10 src0_sel:WORD_1
	v_cvt_pk_f32_fp8_e32 v[38:39], v11
	v_cvt_pk_f32_fp8_sdwa v[10:11], v11 src0_sel:WORD_1
	v_perm_b32 v32, v33, v32, s44
	v_perm_b32 v33, v35, v34, s44
	;; [unrolled: 1-line block ×4, first 2 shown]
	v_cvt_pk_f32_fp8_e32 v[46:47], v12
	v_cvt_pk_f32_fp8_sdwa v[48:49], v12 src0_sel:WORD_1
	s_waitcnt lgkmcnt(0)
	v_mfma_f32_16x16x16_bf16 v[32:35], v[32:33], v[6:7], 0
	global_load_dword v12, v[40:41], off
	s_nop 0
	global_load_dword v44, v[44:45], off
	s_nop 0
	global_load_dword v45, v[36:37], off
	v_perm_b32 v36, v47, v46, s44
	v_perm_b32 v37, v49, v48, s44
	v_mfma_f32_16x16x16_bf16 v[32:35], v[38:39], v[8:9], v[32:35]
	v_cvt_pk_f32_fp8_e32 v[38:39], v13
	v_cvt_pk_f32_fp8_sdwa v[40:41], v13 src0_sel:WORD_1
	s_waitcnt vmcnt(6)
	v_cvt_pk_f32_fp8_e32 v[46:47], v16
	v_mfma_f32_16x16x16_bf16 v[32:35], v[36:37], v[2:3], v[32:35]
	v_perm_b32 v38, v39, v38, s44
	v_perm_b32 v39, v41, v40, s44
	v_cvt_pk_f32_fp8_e32 v[36:37], v14
	v_cvt_pk_f32_fp8_sdwa v[40:41], v14 src0_sel:WORD_1
	v_mfma_f32_16x16x16_bf16 v[32:35], v[38:39], v[4:5], v[32:35]
	v_cvt_pk_f32_fp8_e32 v[38:39], v15
	v_perm_b32 v36, v37, v36, s44
	v_perm_b32 v37, v41, v40, s44
	v_cvt_pk_f32_fp8_sdwa v[14:15], v15 src0_sel:WORD_1
	v_perm_b32 v40, v39, v38, s44
	v_cvt_pk_f32_fp8_sdwa v[48:49], v16 src0_sel:WORD_1
	v_mfma_f32_16x16x16_bf16 v[36:39], v[36:37], v[6:7], 0
	v_perm_b32 v41, v15, v14, s44
	s_waitcnt vmcnt(5)
	v_mad_i64_i32 v[10:11], s[6:7], v50, s45, v[30:31]
	v_perm_b32 v46, v47, v46, s44
	v_perm_b32 v47, v49, v48, s44
	v_cvt_pk_f32_fp8_e32 v[48:49], v17
	v_cvt_pk_f32_fp8_sdwa v[50:51], v17 src0_sel:WORD_1
	v_mfma_f32_16x16x16_bf16 v[14:17], v[40:41], v[8:9], v[36:39]
	s_waitcnt vmcnt(4)
	v_cvt_pk_f32_fp8_sdwa v[40:41], v22 src0_sel:WORD_1
	s_load_dword s4, s[40:41], 0x0
	v_mov_b32_e32 v13, s13
	v_perm_b32 v36, v49, v48, s44
	v_perm_b32 v37, v51, v50, s44
	v_mfma_f32_16x16x16_bf16 v[14:17], v[46:47], v[2:3], v[14:17]
	v_cvt_pk_f32_fp8_e32 v[38:39], v22
	v_cvt_pk_f32_fp8_e32 v[46:47], v24
	v_cvt_pk_f32_fp8_sdwa v[48:49], v24 src0_sel:WORD_1
	v_mfma_f32_16x16x16_bf16 v[14:17], v[36:37], v[4:5], v[14:17]
	v_cvt_pk_f32_fp8_e32 v[36:37], v23
	v_perm_b32 v38, v39, v38, s44
	v_perm_b32 v39, v41, v40, s44
	v_cvt_pk_f32_fp8_sdwa v[22:23], v23 src0_sel:WORD_1
	v_perm_b32 v40, v37, v36, s44
	v_mfma_f32_16x16x16_bf16 v[36:39], v[38:39], v[6:7], 0
	v_perm_b32 v41, v23, v22, s44
	v_perm_b32 v46, v47, v46, s44
	;; [unrolled: 1-line block ×3, first 2 shown]
	v_cvt_pk_f32_fp8_e32 v[48:49], v25
	v_cvt_pk_f32_fp8_sdwa v[24:25], v25 src0_sel:WORD_1
	v_mfma_f32_16x16x16_bf16 v[36:39], v[40:41], v[8:9], v[36:39]
	s_waitcnt lgkmcnt(0)
	v_mul_f32_e32 v50, s4, v13
	v_perm_b32 v40, v49, v48, s44
	v_perm_b32 v41, v25, v24, s44
	v_pk_mul_f32 v[22:23], v[50:51], v[34:35] op_sel_hi:[0,1]
	v_mfma_f32_16x16x16_bf16 v[36:39], v[46:47], v[2:3], v[36:39]
	v_pk_mul_f32 v[34:35], v[50:51], v[32:33] op_sel_hi:[0,1]
	s_waitcnt vmcnt(3)
	v_cvt_pk_f32_fp8_e32 v[24:25], v18
	v_cvt_pk_f32_fp8_sdwa v[32:33], v18 src0_sel:WORD_1
	v_mfma_f32_16x16x16_bf16 v[46:49], v[40:41], v[4:5], v[36:39]
	v_cvt_pk_f32_fp8_e32 v[40:41], v20
	v_perm_b32 v24, v25, v24, s44
	v_perm_b32 v25, v33, v32, s44
	v_cvt_pk_f32_fp8_e32 v[36:37], v19
	v_cvt_pk_f32_fp8_sdwa v[18:19], v19 src0_sel:WORD_1
	v_cvt_pk_f32_fp8_sdwa v[52:53], v20 src0_sel:WORD_1
	v_perm_b32 v32, v37, v36, s44
	v_perm_b32 v33, v19, v18, s44
	v_mfma_f32_16x16x16_bf16 v[36:39], v[24:25], v[6:7], 0
	v_perm_b32 v18, v41, v40, s44
	v_perm_b32 v19, v53, v52, s44
	v_cvt_pk_f32_fp8_e32 v[24:25], v21
	v_cvt_pk_f32_fp8_sdwa v[20:21], v21 src0_sel:WORD_1
	v_mfma_f32_16x16x16_bf16 v[6:9], v[32:33], v[8:9], v[36:39]
	v_pk_mul_f32 v[40:41], v[50:51], v[14:15] op_sel_hi:[0,1]
	v_pk_mul_f32 v[32:33], v[50:51], v[48:49] op_sel_hi:[0,1]
	s_nop 0
	v_pk_mul_f32 v[36:37], v[50:51], v[16:17] op_sel_hi:[0,1]
	v_perm_b32 v16, v25, v24, s44
	v_perm_b32 v17, v21, v20, s44
	v_mfma_f32_16x16x16_bf16 v[6:9], v[18:19], v[2:3], v[6:9]
	v_pk_mul_f32 v[38:39], v[50:51], v[46:47] op_sel_hi:[0,1]
	v_mfma_f32_16x16x16_bf16 v[2:5], v[16:17], v[4:5], v[6:9]
	s_nop 6
	v_pk_mul_f32 v[24:25], v[50:51], v[2:3] op_sel_hi:[0,1]
	v_and_b32_e32 v2, 0xc0, v0
	v_add_u32_e32 v2, s5, v2
	v_lshl_or_b32 v2, v42, 2, v2
	v_pk_mul_f32 v[18:19], v[50:51], v[4:5] op_sel_hi:[0,1]
	v_or_b32_e32 v5, 1, v2
	v_mov_b32_e32 v3, 0xff7fffff
	v_cmp_gt_i32_e64 s[4:5], s33, v2
	v_cmp_gt_i32_e64 s[34:35], s33, v5
	v_or_b32_e32 v6, 3, v2
	v_cndmask_b32_e64 v4, v3, v34, s[4:5]
	v_cndmask_b32_e64 v5, v3, v35, s[34:35]
	v_max3_f32 v4, v4, s46, v5
	v_or_b32_e32 v5, 2, v2
	v_cmp_gt_i32_e64 s[36:37], s33, v5
	v_cmp_gt_i32_e64 s[38:39], s33, v6
	s_nop 0
	v_cndmask_b32_e64 v5, v3, v22, s[36:37]
	v_cndmask_b32_e64 v6, v3, v23, s[38:39]
	v_max3_f32 v4, v4, v5, v6
	v_or_b32_e32 v5, 16, v2
	v_or_b32_e32 v6, 17, v2
	v_cmp_gt_i32_e64 s[24:25], s33, v5
	v_cmp_gt_i32_e64 s[26:27], s33, v6
	s_nop 0
	v_cndmask_b32_e64 v5, v3, v40, s[24:25]
	v_cndmask_b32_e64 v6, v3, v41, s[26:27]
	v_max3_f32 v4, v4, v5, v6
	v_or_b32_e32 v5, 18, v2
	v_or_b32_e32 v6, 19, v2
	v_cmp_gt_i32_e64 s[20:21], s33, v5
	v_cmp_gt_i32_e64 s[22:23], s33, v6
	s_nop 0
	v_cndmask_b32_e64 v5, v3, v36, s[20:21]
	v_cndmask_b32_e64 v6, v3, v37, s[22:23]
	v_max3_f32 v4, v4, v5, v6
	v_or_b32_e32 v5, 32, v2
	v_or_b32_e32 v6, 33, v2
	v_cmp_gt_i32_e64 s[16:17], s33, v5
	v_cmp_gt_i32_e64 s[18:19], s33, v6
	s_nop 0
	v_cndmask_b32_e64 v5, v3, v38, s[16:17]
	v_cndmask_b32_e64 v6, v3, v39, s[18:19]
	v_max3_f32 v4, v4, v5, v6
	v_or_b32_e32 v5, 34, v2
	v_or_b32_e32 v6, 35, v2
	v_cmp_gt_i32_e64 s[12:13], s33, v5
	v_cmp_gt_i32_e64 s[14:15], s33, v6
	s_nop 0
	v_cndmask_b32_e64 v5, v3, v32, s[12:13]
	v_cndmask_b32_e64 v6, v3, v33, s[14:15]
	v_max3_f32 v4, v4, v5, v6
	v_or_b32_e32 v5, 48, v2
	v_or_b32_e32 v6, 49, v2
	v_cmp_gt_i32_e64 s[8:9], s33, v5
	v_cmp_gt_i32_e64 s[10:11], s33, v6
	s_nop 0
	v_cndmask_b32_e64 v5, v3, v24, s[8:9]
	v_cndmask_b32_e64 v6, v3, v25, s[10:11]
	v_max3_f32 v4, v4, v5, v6
	v_or_b32_e32 v5, 50, v2
	v_or_b32_e32 v2, 51, v2
	v_cmp_gt_i32_e32 vcc, s33, v5
	v_cmp_gt_i32_e64 s[6:7], s33, v2
	s_nop 0
	v_cndmask_b32_e32 v5, v3, v18, vcc
	v_cndmask_b32_e64 v2, v3, v19, s[6:7]
	v_max3_f32 v4, v4, v5, v2
	v_mbcnt_lo_u32_b32 v2, -1, 0
	v_mbcnt_hi_u32_b32 v5, -1, v2
	v_and_b32_e32 v2, 64, v5
	v_add_u32_e32 v6, 64, v2
	v_xor_b32_e32 v2, 32, v5
	v_cmp_lt_i32_e64 s[40:41], v2, v6
	s_nop 1
	v_cndmask_b32_e64 v2, v5, v2, s[40:41]
	v_lshlrev_b32_e32 v46, 2, v2
	ds_bpermute_b32 v7, v46, v4
	s_waitcnt vmcnt(2)
	v_mad_i64_i32 v[2:3], s[40:41], v12, s45, v[30:31]
	global_load_dwordx4 v[14:17], v[10:11], off
	s_nop 0
	global_load_dwordx4 v[10:13], v[2:3], off
	v_xor_b32_e32 v3, 16, v5
	v_cmp_lt_i32_e64 s[40:41], v3, v6
	s_waitcnt lgkmcnt(0)
	v_max_f32_e32 v2, v7, v7
	v_max_f32_e32 v2, v4, v2
	v_cndmask_b32_e64 v3, v5, v3, s[40:41]
	v_lshlrev_b32_e32 v47, 2, v3
	ds_bpermute_b32 v3, v47, v2
	s_waitcnt vmcnt(3)
	v_mad_i64_i32 v[20:21], s[40:41], v44, s45, v[30:31]
	s_waitcnt vmcnt(2)
	v_mad_i64_i32 v[30:31], s[40:41], v45, s45, v[30:31]
	s_waitcnt lgkmcnt(0)
	v_max_f32_e32 v3, v3, v3
	v_max_f32_e32 v44, v2, v3
	v_sub_f32_e32 v2, v34, v44
	v_mul_f32_e32 v2, 0x3fb8aa3b, v2
	v_exp_f32_e32 v34, v2
	v_sub_f32_e32 v2, v35, v44
	v_mul_f32_e32 v2, 0x3fb8aa3b, v2
	v_exp_f32_e32 v35, v2
	global_load_dwordx4 v[6:9], v[20:21], off
	global_load_dwordx4 v[2:5], v[30:31], off
	v_sub_f32_e32 v22, v22, v44
	v_mul_f32_e32 v22, 0x3fb8aa3b, v22
	v_sub_f32_e32 v23, v23, v44
	v_exp_f32_e32 v22, v22
	v_mul_f32_e32 v23, 0x3fb8aa3b, v23
	v_exp_f32_e32 v23, v23
	v_cndmask_b32_e64 v20, 0, v34, s[4:5]
	v_add_f32_e32 v30, 0, v20
	v_cndmask_b32_e64 v21, 0, v35, s[34:35]
	v_add_f32_e32 v30, v30, v21
	v_cndmask_b32_e64 v34, 0, v22, s[36:37]
	v_add_f32_e32 v22, v30, v34
	v_cndmask_b32_e64 v35, 0, v23, s[38:39]
	v_sub_f32_e32 v23, v40, v44
	v_sub_f32_e32 v30, v41, v44
	v_mul_f32_e32 v23, 0x3fb8aa3b, v23
	v_mul_f32_e32 v30, 0x3fb8aa3b, v30
	v_exp_f32_e32 v23, v23
	v_exp_f32_e32 v30, v30
	v_add_f32_e32 v31, v22, v35
	v_sub_f32_e32 v32, v32, v44
	v_cndmask_b32_e64 v22, 0, v23, s[24:25]
	v_cndmask_b32_e64 v23, 0, v30, s[26:27]
	v_sub_f32_e32 v30, v36, v44
	v_mul_f32_e32 v30, 0x3fb8aa3b, v30
	v_exp_f32_e32 v30, v30
	v_sub_f32_e32 v36, v37, v44
	v_add_f32_e32 v31, v31, v22
	v_mul_f32_e32 v36, 0x3fb8aa3b, v36
	v_exp_f32_e32 v37, v36
	v_add_f32_e32 v31, v31, v23
	v_cndmask_b32_e64 v36, 0, v30, s[20:21]
	v_add_f32_e32 v30, v31, v36
	v_sub_f32_e32 v31, v38, v44
	v_mul_f32_e32 v31, 0x3fb8aa3b, v31
	v_sub_f32_e32 v38, v39, v44
	v_exp_f32_e32 v31, v31
	v_mul_f32_e32 v38, 0x3fb8aa3b, v38
	v_exp_f32_e32 v38, v38
	v_mul_f32_e32 v32, 0x3fb8aa3b, v32
	v_sub_f32_e32 v33, v33, v44
	v_exp_f32_e32 v32, v32
	v_mul_f32_e32 v33, 0x3fb8aa3b, v33
	v_sub_f32_e32 v24, v24, v44
	v_cndmask_b32_e64 v37, 0, v37, s[22:23]
	v_exp_f32_e32 v33, v33
	v_mul_f32_e32 v24, 0x3fb8aa3b, v24
	v_sub_f32_e32 v25, v25, v44
	v_add_f32_e32 v39, v30, v37
	v_cndmask_b32_e64 v30, 0, v31, s[16:17]
	v_exp_f32_e32 v24, v24
	v_mul_f32_e32 v25, 0x3fb8aa3b, v25
	v_sub_f32_e32 v18, v18, v44
	v_add_f32_e32 v39, v39, v30
	;; [unrolled: 5-line block ×3, first 2 shown]
	v_cndmask_b32_e64 v32, 0, v32, s[12:13]
	v_exp_f32_e32 v18, v18
	v_mul_f32_e32 v19, 0x3fb8aa3b, v19
	v_add_f32_e32 v38, v38, v32
	v_cndmask_b32_e64 v33, 0, v33, s[14:15]
	v_exp_f32_e32 v19, v19
	v_add_f32_e32 v38, v38, v33
	v_cndmask_b32_e64 v24, 0, v24, s[8:9]
	v_add_f32_e32 v38, v38, v24
	v_cndmask_b32_e64 v25, 0, v25, s[10:11]
	v_add_f32_e32 v38, v38, v25
	v_cndmask_b32_e32 v18, 0, v18, vcc
	v_add_f32_e32 v38, v38, v18
	v_cndmask_b32_e64 v19, 0, v19, s[6:7]
	v_add_f32_e32 v38, v38, v19
	ds_bpermute_b32 v39, v46, v38
	v_cmp_gt_u32_e32 vcc, 16, v43
	s_waitcnt lgkmcnt(0)
	s_barrier
	v_add_f32_e32 v38, v38, v39
	ds_bpermute_b32 v40, v47, v38
	v_lshlrev_b32_e32 v39, 2, v28
	s_and_saveexec_b64 s[4:5], vcc
	s_cbranch_execz .LBB1201_13
; %bb.12:
	s_waitcnt lgkmcnt(0)
	v_add_f32_e32 v38, v38, v40
	v_lshl_or_b32 v40, v29, 6, v39
	ds_write2st64_b32 v40, v44, v38 offset1:1
.LBB1201_13:
	s_or_b64 exec, exec, s[4:5]
	s_load_dword s6, s[0:1], 0x94
	s_waitcnt lgkmcnt(0)
	s_barrier
	ds_read2_b32 v[40:41], v39 offset1:16
	ds_read2_b32 v[44:45], v39 offset0:32 offset1:48
	ds_read2_b32 v[46:47], v39 offset0:64 offset1:80
	s_movk_i32 s8, 0x7fff
	s_mul_i32 s7, s29, 14
	s_waitcnt lgkmcnt(2)
	v_max3_f32 v38, v40, s46, v41
	s_waitcnt lgkmcnt(1)
	v_max3_f32 v38, v38, v44, v45
	v_sub_f32_e32 v40, v40, v38
	v_mul_f32_e32 v40, 0x3fb8aa3b, v40
	v_exp_f32_e32 v43, v40
	v_sub_f32_e32 v40, v41, v38
	v_mul_f32_e32 v40, 0x3fb8aa3b, v40
	v_exp_f32_e32 v48, v40
	;; [unrolled: 3-line block ×3, first 2 shown]
	ds_read2_b32 v[40:41], v39 offset0:96 offset1:112
	v_sub_f32_e32 v39, v45, v38
	v_mul_f32_e32 v39, 0x3fb8aa3b, v39
	v_exp_f32_e32 v45, v39
	s_waitcnt lgkmcnt(1)
	v_fma_f32 v39, v43, v46, 0
	v_fmac_f32_e32 v39, v48, v47
	s_waitcnt lgkmcnt(0)
	v_fmac_f32_e32 v39, v44, v40
	v_fmac_f32_e32 v39, v45, v41
	v_add_f32_e32 v40, 0x358637bd, v39
	v_div_scale_f32 v41, s[4:5], v40, v40, 1.0
	v_rcp_f32_e32 v46, v41
	s_barrier
	v_fma_f32 v47, -v41, v46, 1.0
	v_fmac_f32_e32 v46, v47, v46
	v_div_scale_f32 v47, vcc, 1.0, v40, 1.0
	v_mul_f32_e32 v49, v47, v46
	v_fma_f32 v50, -v41, v49, v47
	v_fmac_f32_e32 v49, v50, v46
	v_fma_f32 v41, -v41, v49, v47
	v_div_fmas_f32 v41, v41, v46, v49
	v_cmp_eq_u32_e32 vcc, 1, v29
	v_div_fixup_f32 v40, v41, v40, 1.0
	s_nop 0
	v_cndmask_b32_e32 v41, v43, v48, vcc
	v_cmp_eq_u32_e32 vcc, 2, v29
	s_nop 1
	v_cndmask_b32_e32 v41, v41, v44, vcc
	v_cmp_eq_u32_e32 vcc, 3, v29
	s_nop 1
	v_cndmask_b32_e32 v41, v41, v45, vcc
	v_mul_f32_e32 v40, v41, v40
	v_pk_mul_f32 v[20:21], v[40:41], v[20:21] op_sel_hi:[0,1]
	v_pk_mul_f32 v[34:35], v[40:41], v[34:35] op_sel_hi:[0,1]
	v_bfe_u32 v41, v21, 16, 1
	v_bfe_u32 v43, v20, 16, 1
	v_add3_u32 v20, v20, v43, s8
	v_add3_u32 v21, v21, v41, s8
	v_perm_b32 v44, v21, v20, s44
	v_bfe_u32 v20, v35, 16, 1
	v_bfe_u32 v21, v34, 16, 1
	v_add3_u32 v21, v34, v21, s8
	v_add3_u32 v20, v35, v20, s8
	v_perm_b32 v45, v20, v21, s44
	v_lshlrev_b32_e32 v20, 3, v42
	v_lshlrev_b32_e32 v21, 11, v29
	v_pk_mul_f32 v[22:23], v[40:41], v[22:23] op_sel_hi:[0,1]
	v_or3_b32 v20, v21, v27, v20
	v_bfe_u32 v21, v23, 16, 1
	v_bfe_u32 v29, v22, 16, 1
	v_pk_mul_f32 v[34:35], v[40:41], v[36:37] op_sel_hi:[0,1]
	v_add3_u32 v22, v22, v29, s8
	v_add3_u32 v21, v23, v21, s8
	v_perm_b32 v22, v21, v22, s44
	v_bfe_u32 v21, v35, 16, 1
	v_bfe_u32 v23, v34, 16, 1
	v_add3_u32 v23, v34, v23, s8
	v_add3_u32 v21, v35, v21, s8
	v_pk_mul_f32 v[30:31], v[40:41], v[30:31] op_sel_hi:[0,1]
	v_perm_b32 v23, v21, v23, s44
	v_bfe_u32 v21, v31, 16, 1
	v_bfe_u32 v29, v30, 16, 1
	ds_write2st64_b64 v20, v[44:45], v[22:23] offset1:1
	v_pk_mul_f32 v[22:23], v[40:41], v[32:33] op_sel_hi:[0,1]
	v_add3_u32 v29, v30, v29, s8
	v_add3_u32 v21, v31, v21, s8
	v_perm_b32 v30, v21, v29, s44
	v_bfe_u32 v21, v23, 16, 1
	v_bfe_u32 v29, v22, 16, 1
	v_add3_u32 v22, v22, v29, s8
	v_add3_u32 v21, v23, v21, s8
	v_perm_b32 v31, v21, v22, s44
	v_pk_mul_f32 v[22:23], v[40:41], v[24:25] op_sel_hi:[0,1]
	v_bfe_u32 v21, v23, 16, 1
	v_bfe_u32 v24, v22, 16, 1
	v_pk_mul_f32 v[18:19], v[40:41], v[18:19] op_sel_hi:[0,1]
	v_add3_u32 v22, v22, v24, s8
	v_add3_u32 v21, v23, v21, s8
	v_perm_b32 v22, v21, v22, s44
	v_bfe_u32 v21, v19, 16, 1
	v_bfe_u32 v23, v18, 16, 1
	v_add3_u32 v18, v18, v23, s8
	v_add3_u32 v19, v19, v21, s8
	v_perm_b32 v23, v19, v18, s44
	v_cmp_gt_u32_e32 vcc, 14, v0
	ds_write2st64_b64 v20, v[30:31], v[22:23] offset0:2 offset1:3
	s_and_saveexec_b64 s[4:5], vcc
	s_cbranch_execz .LBB1201_15
; %bb.14:
	s_mov_b32 s49, 0
	v_mov_b32_e32 v29, 0
	v_lshl_add_u64 v[18:19], s[48:49], 0, v[28:29]
	v_mov_b32_e32 v21, s7
	v_mad_u64_u32 v[18:19], s[10:11], s2, v21, v[18:19]
	s_mul_i32 s3, s3, s7
	v_mov_b32_e32 v28, s28
	s_load_dwordx4 s[12:15], s[0:1], 0x58
	v_add_u32_e32 v21, s3, v19
	v_mad_u64_u32 v[18:19], s[10:11], v18, s6, v[28:29]
	v_mov_b32_e32 v22, v19
	v_mad_u64_u32 v[22:23], s[10:11], v21, s6, v[22:23]
	v_mov_b32_e32 v19, v22
	v_lshlrev_b64 v[18:19], 2, v[18:19]
	s_waitcnt lgkmcnt(0)
	v_lshl_add_u64 v[22:23], s[14:15], 0, v[18:19]
	v_lshl_add_u64 v[18:19], s[12:13], 0, v[18:19]
	global_store_dword v[22:23], v38, off
	global_store_dword v[18:19], v39, off
.LBB1201_15:
	s_or_b64 exec, exec, s[4:5]
	s_waitcnt vmcnt(3)
	v_cvt_pk_f32_fp8_e32 v[18:19], v14
	v_cvt_pk_f32_fp8_sdwa v[22:23], v14 src0_sel:WORD_1
	s_mov_b32 s4, 0x7060302
	v_lshl_or_b32 v14, v42, 9, v27
	s_waitcnt lgkmcnt(0)
	s_barrier
	v_perm_b32 v18, v19, v18, s4
	v_perm_b32 v19, v23, v22, s4
	v_cvt_pk_f32_fp8_e32 v[28:29], v15
	ds_read_b128 v[22:25], v14
	v_cvt_pk_f32_fp8_sdwa v[36:37], v15 src0_sel:WORD_1
	s_load_dword s10, s[42:43], 0x0
	v_perm_b32 v38, v29, v28, s4
	ds_read_b128 v[28:31], v14 offset:16
	v_perm_b32 v39, v37, v36, s4
	s_waitcnt lgkmcnt(0)
	v_mfma_f32_16x16x16_bf16 v[32:35], v[18:19], v[22:23], 0
	v_cvt_pk_f32_fp8_e32 v[18:19], v16
	v_cvt_pk_f32_fp8_sdwa v[36:37], v16 src0_sel:WORD_1
	v_cmp_gt_u32_e32 vcc, 64, v0
	v_mfma_f32_16x16x16_bf16 v[22:25], v[38:39], v[24:25], v[32:35]
	v_perm_b32 v18, v19, v18, s4
	v_perm_b32 v19, v37, v36, s4
	s_waitcnt vmcnt(2)
	v_cvt_pk_f32_fp8_sdwa v[36:37], v10 src0_sel:WORD_1
	v_cvt_pk_f32_fp8_e32 v[32:33], v17
	v_cvt_pk_f32_fp8_sdwa v[16:17], v17 src0_sel:WORD_1
	v_cvt_pk_f32_fp8_e32 v[34:35], v10
	s_mov_b32 s3, 0
	v_perm_b32 v32, v33, v32, s4
	v_perm_b32 v33, v17, v16, s4
	v_mfma_f32_16x16x16_bf16 v[16:19], v[18:19], v[28:29], v[22:25]
	v_perm_b32 v34, v35, v34, s4
	v_perm_b32 v35, v37, v36, s4
	v_cvt_pk_f32_fp8_e32 v[28:29], v11
	ds_read_b128 v[22:25], v14 offset:2048
	v_cvt_pk_f32_fp8_sdwa v[10:11], v11 src0_sel:WORD_1
	v_mfma_f32_16x16x16_bf16 v[16:19], v[32:33], v[30:31], v[16:19]
	v_perm_b32 v32, v29, v28, s4
	ds_read_b128 v[28:31], v14 offset:2064
	v_perm_b32 v33, v11, v10, s4
	s_waitcnt lgkmcnt(1)
	v_mfma_f32_16x16x16_bf16 v[16:19], v[34:35], v[22:23], v[16:19]
	v_cvt_pk_f32_fp8_e32 v[10:11], v12
	v_cvt_pk_f32_fp8_sdwa v[22:23], v12 src0_sel:WORD_1
	v_mov_b32_e32 v27, 0
	v_mfma_f32_16x16x16_bf16 v[16:19], v[32:33], v[24:25], v[16:19]
	v_cvt_pk_f32_fp8_e32 v[24:25], v13
	v_perm_b32 v10, v11, v10, s4
	v_perm_b32 v11, v23, v22, s4
	v_cvt_pk_f32_fp8_sdwa v[12:13], v13 src0_sel:WORD_1
	v_perm_b32 v22, v25, v24, s4
	s_waitcnt vmcnt(1)
	v_cvt_pk_f32_fp8_e32 v[24:25], v6
	v_cvt_pk_f32_fp8_sdwa v[32:33], v6 src0_sel:WORD_1
	v_perm_b32 v23, v13, v12, s4
	s_waitcnt lgkmcnt(0)
	v_mfma_f32_16x16x16_bf16 v[10:13], v[10:11], v[28:29], v[16:19]
	v_perm_b32 v28, v25, v24, s4
	v_perm_b32 v29, v33, v32, s4
	v_cvt_pk_f32_fp8_e32 v[24:25], v7
	ds_read_b128 v[16:19], v14 offset:4096
	v_cvt_pk_f32_fp8_sdwa v[6:7], v7 src0_sel:WORD_1
	v_mfma_f32_16x16x16_bf16 v[10:13], v[22:23], v[30:31], v[10:13]
	v_perm_b32 v30, v25, v24, s4
	ds_read_b128 v[22:25], v14 offset:4112
	v_perm_b32 v31, v7, v6, s4
	s_waitcnt lgkmcnt(1)
	v_mfma_f32_16x16x16_bf16 v[10:13], v[28:29], v[16:17], v[10:13]
	v_cvt_pk_f32_fp8_e32 v[6:7], v8
	v_cvt_pk_f32_fp8_sdwa v[16:17], v8 src0_sel:WORD_1
	s_waitcnt vmcnt(0)
	v_cvt_pk_f32_fp8_sdwa v[28:29], v2 src0_sel:WORD_1
	v_mfma_f32_16x16x16_bf16 v[10:13], v[30:31], v[18:19], v[10:13]
	v_cvt_pk_f32_fp8_e32 v[18:19], v9
	v_perm_b32 v6, v7, v6, s4
	v_perm_b32 v7, v17, v16, s4
	v_cvt_pk_f32_fp8_sdwa v[8:9], v9 src0_sel:WORD_1
	v_perm_b32 v16, v19, v18, s4
	v_cvt_pk_f32_fp8_e32 v[18:19], v2
	v_perm_b32 v17, v9, v8, s4
	s_waitcnt lgkmcnt(0)
	v_mfma_f32_16x16x16_bf16 v[6:9], v[6:7], v[22:23], v[10:13]
	v_perm_b32 v18, v19, v18, s4
	v_perm_b32 v19, v29, v28, s4
	v_cvt_pk_f32_fp8_e32 v[22:23], v3
	ds_read_b128 v[10:13], v14 offset:6144
	v_cvt_pk_f32_fp8_sdwa v[2:3], v3 src0_sel:WORD_1
	v_mfma_f32_16x16x16_bf16 v[6:9], v[16:17], v[24:25], v[6:9]
	v_perm_b32 v22, v23, v22, s4
	ds_read_b128 v[14:17], v14 offset:6160
	v_perm_b32 v23, v3, v2, s4
	s_waitcnt lgkmcnt(1)
	v_mfma_f32_16x16x16_bf16 v[6:9], v[18:19], v[10:11], v[6:9]
	v_cvt_pk_f32_fp8_e32 v[2:3], v4
	v_cvt_pk_f32_fp8_sdwa v[10:11], v4 src0_sel:WORD_1
	s_waitcnt lgkmcnt(0)
	v_mfma_f32_16x16x16_bf16 v[6:9], v[22:23], v[12:13], v[6:9]
	v_perm_b32 v2, v3, v2, s4
	v_perm_b32 v3, v11, v10, s4
	v_cvt_pk_f32_fp8_e32 v[10:11], v5
	v_cvt_pk_f32_fp8_sdwa v[4:5], v5 src0_sel:WORD_1
	s_barrier
	v_perm_b32 v10, v11, v10, s4
	v_perm_b32 v11, v5, v4, s4
	v_mfma_f32_16x16x16_bf16 v[2:5], v[2:3], v[14:15], v[6:9]
	s_nop 0
	v_mfma_f32_16x16x16_bf16 v[2:5], v[10:11], v[16:17], v[2:5]
	s_nop 6
	v_pk_mul_f32 v[2:3], v[2:3], s[10:11] op_sel_hi:[1,0]
	v_pk_mul_f32 v[4:5], v[4:5], s[10:11] op_sel_hi:[1,0]
	v_bfe_u32 v6, v3, 16, 1
	v_bfe_u32 v7, v2, 16, 1
	v_add3_u32 v2, v2, v7, s8
	v_add3_u32 v3, v3, v6, s8
	v_perm_b32 v2, v3, v2, s4
	v_bfe_u32 v3, v5, 16, 1
	v_bfe_u32 v6, v4, 16, 1
	v_add3_u32 v4, v4, v6, s8
	v_add3_u32 v3, v5, v3, s8
	v_perm_b32 v3, v3, v4, s4
	s_and_b64 s[4:5], vcc, s[30:31]
	ds_write_b64 v20, v[2:3]
	s_waitcnt lgkmcnt(0)
	s_barrier
	s_and_saveexec_b64 s[8:9], s[4:5]
	s_cbranch_execz .LBB1201_18
; %bb.16:
	s_load_dwordx2 s[4:5], s[0:1], 0x68
	s_lshl_b32 s0, s6, 6
	s_mul_i32 s1, s7, s2
	s_mul_hi_u32 s7, s1, s0
	s_mul_i32 s6, s1, s0
	v_lshlrev_b32_e32 v0, 10, v0
	s_lshl_b64 s[6:7], s[6:7], 1
	v_and_b32_e32 v0, 0x1800, v0
	v_lshlrev_b32_e32 v2, 5, v42
	v_and_b32_e32 v1, 16, v1
	s_waitcnt lgkmcnt(0)
	s_add_u32 s1, s4, s6
	v_or3_b32 v2, v0, v2, v1
	s_addc_u32 s4, s5, s7
	s_lshl_b32 s2, s28, 6
	ds_read_b128 v[4:7], v2 offset:256
	s_lshl_b64 s[2:3], s[2:3], 1
	ds_read_b128 v[8:11], v2 offset:128
	ds_read_b128 v[12:15], v2
	s_add_u32 s2, s1, s2
	s_addc_u32 s3, s4, s3
	v_add_u32_e32 v18, s48, v42
	v_lshl_add_u64 v[0:1], s[2:3], 0, v[26:27]
	v_mad_u64_u32 v[16:17], s[2:3], v18, s0, 0
	v_lshl_add_u64 v[16:17], v[16:17], 1, v[0:1]
	s_waitcnt lgkmcnt(0)
	global_store_dwordx4 v[16:17], v[12:15], off
	v_or_b32_e32 v3, 12, v42
	v_cmp_gt_u32_e32 vcc, 14, v3
	v_add_u32_e32 v12, 4, v18
	v_mad_u64_u32 v[12:13], s[2:3], v12, s0, 0
	v_lshl_add_u64 v[12:13], v[12:13], 1, v[0:1]
	global_store_dwordx4 v[12:13], v[8:11], off
	s_nop 1
	v_add_u32_e32 v8, 8, v18
	v_mad_u64_u32 v[8:9], s[2:3], v8, s0, 0
	v_lshl_add_u64 v[8:9], v[8:9], 1, v[0:1]
	global_store_dwordx4 v[8:9], v[4:7], off
	s_and_b64 exec, exec, vcc
	s_cbranch_execz .LBB1201_18
; %bb.17:
	ds_read_b128 v[4:7], v2 offset:384
	v_add_u32_e32 v2, s48, v3
	v_mad_u64_u32 v[2:3], s[0:1], v2, s0, 0
	v_lshl_add_u64 v[0:1], v[2:3], 1, v[0:1]
	s_waitcnt lgkmcnt(0)
	global_store_dwordx4 v[0:1], v[4:7], off
.LBB1201_18:
	s_endpgm
	.section	.rodata,"a",@progbits
	.p2align	6, 0x0
	.amdhsa_kernel _Z39paged_attention_ll4mi_QKV_mfma16_kernelI14__hip_bfloat16hLN4vllm18Fp8KVCacheDataTypeE1EhLi32ELi64ELi256ELb0ELi14EEvPKT_PKT0_S8_ifPKiSA_SA_iPKfiiiPfSD_PS3_PT2_iSC_SC_
		.amdhsa_group_segment_fixed_size 8192
		.amdhsa_private_segment_fixed_size 0
		.amdhsa_kernarg_size 400
		.amdhsa_user_sgpr_count 2
		.amdhsa_user_sgpr_dispatch_ptr 0
		.amdhsa_user_sgpr_queue_ptr 0
		.amdhsa_user_sgpr_kernarg_segment_ptr 1
		.amdhsa_user_sgpr_dispatch_id 0
		.amdhsa_user_sgpr_kernarg_preload_length 0
		.amdhsa_user_sgpr_kernarg_preload_offset 0
		.amdhsa_user_sgpr_private_segment_size 0
		.amdhsa_uses_dynamic_stack 0
		.amdhsa_enable_private_segment 0
		.amdhsa_system_sgpr_workgroup_id_x 1
		.amdhsa_system_sgpr_workgroup_id_y 1
		.amdhsa_system_sgpr_workgroup_id_z 1
		.amdhsa_system_sgpr_workgroup_info 0
		.amdhsa_system_vgpr_workitem_id 0
		.amdhsa_next_free_vgpr 54
		.amdhsa_next_free_sgpr 50
		.amdhsa_accum_offset 56
		.amdhsa_reserve_vcc 1
		.amdhsa_float_round_mode_32 0
		.amdhsa_float_round_mode_16_64 0
		.amdhsa_float_denorm_mode_32 3
		.amdhsa_float_denorm_mode_16_64 3
		.amdhsa_dx10_clamp 1
		.amdhsa_ieee_mode 1
		.amdhsa_fp16_overflow 0
		.amdhsa_tg_split 0
		.amdhsa_exception_fp_ieee_invalid_op 0
		.amdhsa_exception_fp_denorm_src 0
		.amdhsa_exception_fp_ieee_div_zero 0
		.amdhsa_exception_fp_ieee_overflow 0
		.amdhsa_exception_fp_ieee_underflow 0
		.amdhsa_exception_fp_ieee_inexact 0
		.amdhsa_exception_int_div_zero 0
	.end_amdhsa_kernel
	.section	.text._Z39paged_attention_ll4mi_QKV_mfma16_kernelI14__hip_bfloat16hLN4vllm18Fp8KVCacheDataTypeE1EhLi32ELi64ELi256ELb0ELi14EEvPKT_PKT0_S8_ifPKiSA_SA_iPKfiiiPfSD_PS3_PT2_iSC_SC_,"axG",@progbits,_Z39paged_attention_ll4mi_QKV_mfma16_kernelI14__hip_bfloat16hLN4vllm18Fp8KVCacheDataTypeE1EhLi32ELi64ELi256ELb0ELi14EEvPKT_PKT0_S8_ifPKiSA_SA_iPKfiiiPfSD_PS3_PT2_iSC_SC_,comdat
.Lfunc_end1201:
	.size	_Z39paged_attention_ll4mi_QKV_mfma16_kernelI14__hip_bfloat16hLN4vllm18Fp8KVCacheDataTypeE1EhLi32ELi64ELi256ELb0ELi14EEvPKT_PKT0_S8_ifPKiSA_SA_iPKfiiiPfSD_PS3_PT2_iSC_SC_, .Lfunc_end1201-_Z39paged_attention_ll4mi_QKV_mfma16_kernelI14__hip_bfloat16hLN4vllm18Fp8KVCacheDataTypeE1EhLi32ELi64ELi256ELb0ELi14EEvPKT_PKT0_S8_ifPKiSA_SA_iPKfiiiPfSD_PS3_PT2_iSC_SC_
                                        ; -- End function
	.section	.AMDGPU.csdata,"",@progbits
; Kernel info:
; codeLenInByte = 5004
; NumSgprs: 56
; NumVgprs: 54
; NumAgprs: 0
; TotalNumVgprs: 54
; ScratchSize: 0
; MemoryBound: 0
; FloatMode: 240
; IeeeMode: 1
; LDSByteSize: 8192 bytes/workgroup (compile time only)
; SGPRBlocks: 6
; VGPRBlocks: 6
; NumSGPRsForWavesPerEU: 56
; NumVGPRsForWavesPerEU: 54
; AccumOffset: 56
; Occupancy: 8
; WaveLimiterHint : 1
; COMPUTE_PGM_RSRC2:SCRATCH_EN: 0
; COMPUTE_PGM_RSRC2:USER_SGPR: 2
; COMPUTE_PGM_RSRC2:TRAP_HANDLER: 0
; COMPUTE_PGM_RSRC2:TGID_X_EN: 1
; COMPUTE_PGM_RSRC2:TGID_Y_EN: 1
; COMPUTE_PGM_RSRC2:TGID_Z_EN: 1
; COMPUTE_PGM_RSRC2:TIDIG_COMP_CNT: 0
; COMPUTE_PGM_RSRC3_GFX90A:ACCUM_OFFSET: 13
; COMPUTE_PGM_RSRC3_GFX90A:TG_SPLIT: 0
	.section	.text._Z39paged_attention_ll4mi_QKV_mfma16_kernelI14__hip_bfloat16hLN4vllm18Fp8KVCacheDataTypeE1EhLi32ELi64ELi256ELb0ELi15EEvPKT_PKT0_S8_ifPKiSA_SA_iPKfiiiPfSD_PS3_PT2_iSC_SC_,"axG",@progbits,_Z39paged_attention_ll4mi_QKV_mfma16_kernelI14__hip_bfloat16hLN4vllm18Fp8KVCacheDataTypeE1EhLi32ELi64ELi256ELb0ELi15EEvPKT_PKT0_S8_ifPKiSA_SA_iPKfiiiPfSD_PS3_PT2_iSC_SC_,comdat
	.protected	_Z39paged_attention_ll4mi_QKV_mfma16_kernelI14__hip_bfloat16hLN4vllm18Fp8KVCacheDataTypeE1EhLi32ELi64ELi256ELb0ELi15EEvPKT_PKT0_S8_ifPKiSA_SA_iPKfiiiPfSD_PS3_PT2_iSC_SC_ ; -- Begin function _Z39paged_attention_ll4mi_QKV_mfma16_kernelI14__hip_bfloat16hLN4vllm18Fp8KVCacheDataTypeE1EhLi32ELi64ELi256ELb0ELi15EEvPKT_PKT0_S8_ifPKiSA_SA_iPKfiiiPfSD_PS3_PT2_iSC_SC_
	.globl	_Z39paged_attention_ll4mi_QKV_mfma16_kernelI14__hip_bfloat16hLN4vllm18Fp8KVCacheDataTypeE1EhLi32ELi64ELi256ELb0ELi15EEvPKT_PKT0_S8_ifPKiSA_SA_iPKfiiiPfSD_PS3_PT2_iSC_SC_
	.p2align	8
	.type	_Z39paged_attention_ll4mi_QKV_mfma16_kernelI14__hip_bfloat16hLN4vllm18Fp8KVCacheDataTypeE1EhLi32ELi64ELi256ELb0ELi15EEvPKT_PKT0_S8_ifPKiSA_SA_iPKfiiiPfSD_PS3_PT2_iSC_SC_,@function
_Z39paged_attention_ll4mi_QKV_mfma16_kernelI14__hip_bfloat16hLN4vllm18Fp8KVCacheDataTypeE1EhLi32ELi64ELi256ELb0ELi15EEvPKT_PKT0_S8_ifPKiSA_SA_iPKfiiiPfSD_PS3_PT2_iSC_SC_: ; @_Z39paged_attention_ll4mi_QKV_mfma16_kernelI14__hip_bfloat16hLN4vllm18Fp8KVCacheDataTypeE1EhLi32ELi64ELi256ELb0ELi15EEvPKT_PKT0_S8_ifPKiSA_SA_iPKfiiiPfSD_PS3_PT2_iSC_SC_
; %bb.0:
	s_load_dwordx2 s[12:13], s[0:1], 0x30
	s_mov_b32 s28, s3
	s_mov_b64 s[6:7], 0
	s_waitcnt lgkmcnt(0)
	s_cmp_lg_u64 s[12:13], 0
	s_cselect_b64 s[14:15], -1, 0
	s_and_b64 vcc, exec, s[14:15]
	s_cbranch_vccz .LBB1202_7
; %bb.1:
	s_add_i32 s8, s2, 1
	s_mov_b32 s9, 0
	s_lshl_b64 s[10:11], s[8:9], 2
	s_add_u32 s10, s12, s10
	s_mov_b32 s3, s9
	s_addc_u32 s11, s13, s11
	s_lshl_b64 s[8:9], s[2:3], 2
	s_add_u32 s8, s12, s8
	s_addc_u32 s9, s13, s9
	s_load_dword s5, s[10:11], 0x0
	s_load_dword s16, s[8:9], 0x0
	s_waitcnt lgkmcnt(0)
	s_sub_i32 s5, s5, s16
	s_cmp_eq_u32 s5, 1
	s_cselect_b64 s[8:9], -1, 0
	s_andn2_b64 vcc, exec, s[6:7]
	s_cbranch_vccnz .LBB1202_3
.LBB1202_2:
	s_mov_b32 s3, 0
	s_mov_b64 s[8:9], -1
.LBB1202_3:
	s_andn2_b64 vcc, exec, s[8:9]
	s_cbranch_vccnz .LBB1202_18
; %bb.4:
	s_load_dwordx2 s[6:7], s[0:1], 0x28
	s_lshl_b64 s[16:17], s[2:3], 2
	s_waitcnt lgkmcnt(0)
	s_add_u32 s6, s6, s16
	s_addc_u32 s7, s7, s17
	s_load_dword s33, s[6:7], 0x0
	s_lshl_b32 s5, s28, 8
	s_waitcnt lgkmcnt(0)
	s_cmp_ge_i32 s5, s33
	s_cbranch_scc1 .LBB1202_18
; %bb.5:
	s_load_dwordx2 s[6:7], s[0:1], 0x20
	s_load_dword s8, s[0:1], 0x38
	s_add_i32 s9, s33, 31
	s_ashr_i32 s10, s9, 31
	v_and_b32_e32 v1, 0xcf, v0
	s_lshr_b32 s10, s10, 27
	v_add_u32_e32 v1, s5, v1
	s_add_i32 s9, s9, s10
	v_ashrrev_i32_e32 v2, 31, v1
	s_ashr_i32 s18, s9, 5
	v_lshrrev_b32_e32 v4, 27, v2
	s_add_i32 s18, s18, -1
	s_waitcnt lgkmcnt(0)
	s_mul_i32 s8, s2, s8
	s_mov_b32 s9, 0
	v_add_u32_e32 v2, v1, v4
	s_lshl_b64 s[8:9], s[8:9], 2
	v_ashrrev_i32_e32 v2, 5, v2
	v_mov_b32_e32 v5, s18
	v_cmp_gt_i32_e32 vcc, s33, v1
	s_add_u32 s6, s6, s8
	s_addc_u32 s7, s7, s9
	v_cndmask_b32_e32 v2, v5, v2, vcc
	v_ashrrev_i32_e32 v3, 31, v2
	v_lshl_add_u64 v[6:7], v[2:3], 2, s[6:7]
	v_or_b32_e32 v2, 16, v1
	v_add_u32_e32 v3, v2, v4
	v_ashrrev_i32_e32 v3, 5, v3
	v_cmp_gt_i32_e32 vcc, s33, v2
	s_load_dwordx4 s[8:11], s[0:1], 0x8
	s_nop 0
	v_cndmask_b32_e32 v2, v5, v3, vcc
	v_ashrrev_i32_e32 v3, 31, v2
	v_lshl_add_u64 v[8:9], v[2:3], 2, s[6:7]
	v_or_b32_e32 v2, 32, v1
	v_add_u32_e32 v3, v2, v4
	v_ashrrev_i32_e32 v3, 5, v3
	v_cmp_gt_i32_e32 vcc, s33, v2
	v_or_b32_e32 v1, 48, v1
	s_nop 0
	v_cndmask_b32_e32 v2, v5, v3, vcc
	v_ashrrev_i32_e32 v3, 31, v2
	v_lshl_add_u64 v[10:11], v[2:3], 2, s[6:7]
	v_add_u32_e32 v2, v1, v4
	v_ashrrev_i32_e32 v2, 5, v2
	v_cmp_gt_i32_e32 vcc, s33, v1
	s_nop 1
	v_cndmask_b32_e32 v2, v5, v2, vcc
	v_ashrrev_i32_e32 v3, 31, v2
	v_lshl_add_u64 v[12:13], v[2:3], 2, s[6:7]
	global_load_dword v2, v[6:7], off
	global_load_dword v5, v[8:9], off
	;; [unrolled: 1-line block ×4, first 2 shown]
	s_andn2_b64 vcc, exec, s[14:15]
	s_cbranch_vccnz .LBB1202_8
; %bb.6:
	s_add_u32 s12, s12, s16
	s_addc_u32 s13, s13, s17
	s_load_dword s14, s[12:13], 0x0
	s_branch .LBB1202_9
.LBB1202_7:
	s_mov_b64 s[8:9], 0
	s_branch .LBB1202_2
.LBB1202_8:
	s_mov_b32 s14, s2
.LBB1202_9:
	s_load_dwordx4 s[44:47], s[0:1], 0x48
	v_lshrrev_b32_e32 v29, 6, v0
	v_bfe_u32 v42, v0, 4, 2
	v_lshl_or_b32 v3, v29, 2, v42
	v_and_b32_e32 v28, 15, v0
	v_lshlrev_b32_e32 v1, 3, v28
	v_cmp_gt_u32_e32 vcc, 15, v3
	v_cmp_gt_u32_e64 s[30:31], 8, v28
	v_and_b32_e32 v43, 63, v0
	s_mul_i32 s48, s4, 15
	s_and_b64 s[16:17], s[30:31], vcc
	v_lshlrev_b32_e32 v26, 1, v1
	v_lshlrev_b32_e32 v1, 4, v0
	s_and_saveexec_b64 s[12:13], s[16:17]
	s_cbranch_execz .LBB1202_11
; %bb.10:
	s_load_dwordx2 s[16:17], s[0:1], 0x0
	s_waitcnt lgkmcnt(0)
	s_ashr_i32 s15, s44, 31
	s_mul_hi_u32 s19, s14, s44
	s_mul_i32 s15, s14, s15
	s_add_i32 s15, s19, s15
	s_mul_i32 s14, s14, s44
	s_lshl_b64 s[14:15], s[14:15], 1
	s_add_u32 s14, s16, s14
	v_add_lshl_u32 v6, v3, s48, 6
	s_addc_u32 s15, s17, s15
	v_ashrrev_i32_e32 v7, 31, v6
	v_lshl_add_u64 v[6:7], v[6:7], 1, s[14:15]
	v_mov_b32_e32 v27, 0
	v_lshl_add_u64 v[6:7], v[6:7], 0, v[26:27]
	global_load_dwordx4 v[6:9], v[6:7], off
	v_lshlrev_b32_e32 v11, 8, v28
	v_lshlrev_b32_e32 v3, 5, v3
	v_and_b32_e32 v10, 16, v1
	v_and_b32_e32 v11, 0xe00, v11
	v_or3_b32 v3, v11, v3, v10
	s_waitcnt vmcnt(0)
	ds_write_b128 v3, v[6:9]
.LBB1202_11:
	s_or_b64 exec, exec, s[12:13]
	s_waitcnt lgkmcnt(0)
	s_mul_i32 s4, s4, s46
	s_add_u32 s8, s8, s4
	s_addc_u32 s9, s9, 0
	v_mov_b32_e32 v31, 0
	v_mov_b64_e32 v[18:19], s[8:9]
	v_and_b32_e32 v8, 48, v0
	s_waitcnt vmcnt(3)
	v_mad_i64_i32 v[6:7], s[8:9], v2, s45, v[18:19]
	v_lshlrev_b32_e32 v2, 4, v28
	v_mov_b32_e32 v3, v31
	v_lshlrev_b32_e32 v30, 5, v8
	v_lshl_add_u64 v[6:7], v[6:7], 0, v[2:3]
	v_lshl_add_u64 v[6:7], v[6:7], 0, v[30:31]
	s_load_dword s29, s[0:1], 0x98
	s_load_dwordx4 s[40:43], s[0:1], 0x80
	s_waitcnt lgkmcnt(0)
	s_barrier
	global_load_dwordx4 v[10:13], v[6:7], off
	s_waitcnt vmcnt(3)
	v_mad_i64_i32 v[6:7], s[8:9], v5, s45, v[18:19]
	v_or_b32_e32 v32, 0x100, v2
	v_mov_b32_e32 v33, v31
	v_lshl_add_u64 v[6:7], v[6:7], 0, v[32:33]
	v_lshl_add_u64 v[6:7], v[6:7], 0, v[30:31]
	global_load_dwordx4 v[14:17], v[6:7], off
	s_ashr_i32 s8, s5, 31
	v_or_b32_e32 v21, s5, v8
	s_lshr_b32 s12, s8, 27
	v_add_u32_e32 v5, s12, v21
	v_ashrrev_i32_e32 v5, 5, v5
	v_mov_b32_e32 v35, s18
	v_cmp_gt_i32_e32 vcc, s33, v21
	v_or_b32_e32 v36, 64, v21
	v_or_b32_e32 v37, 0x80, v21
	v_cndmask_b32_e32 v8, v35, v5, vcc
	v_cmp_ne_u32_e32 vcc, 15, v28
	v_ashrrev_i32_e32 v9, 31, v8
	v_lshl_add_u64 v[8:9], v[8:9], 2, s[6:7]
	v_cndmask_b32_e32 v5, 0, v28, vcc
	v_lshlrev_b32_e32 v5, 5, v5
	v_lshl_or_b32 v34, v42, 9, v5
	s_waitcnt vmcnt(3)
	v_mad_i64_i32 v[4:5], s[8:9], v4, s45, v[18:19]
	v_lshl_add_u64 v[2:3], v[4:5], 0, v[2:3]
	v_lshl_add_u64 v[2:3], v[2:3], 0, v[30:31]
	global_load_dwordx4 v[22:25], v[2:3], off
	s_waitcnt vmcnt(3)
	v_mad_i64_i32 v[18:19], s[8:9], v20, s45, v[18:19]
	v_add_u32_e32 v20, s12, v36
	global_load_dword v47, v[8:9], off
	ds_read_b128 v[6:9], v34
	ds_read_b128 v[2:5], v34 offset:16
	v_add_u32_e32 v34, s12, v37
	v_lshl_add_u64 v[18:19], v[18:19], 0, v[32:33]
	v_ashrrev_i32_e32 v20, 5, v20
	v_cmp_gt_i32_e32 vcc, s33, v36
	v_or_b32_e32 v21, 0xc0, v21
	v_ashrrev_i32_e32 v33, 5, v34
	v_lshl_add_u64 v[18:19], v[18:19], 0, v[30:31]
	v_cndmask_b32_e32 v32, v35, v20, vcc
	v_cmp_gt_i32_e32 vcc, s33, v37
	v_add_u32_e32 v38, s12, v21
	v_ashrrev_i32_e32 v38, 5, v38
	v_cndmask_b32_e32 v34, v35, v33, vcc
	v_cmp_gt_i32_e32 vcc, s33, v21
	global_load_dwordx4 v[18:21], v[18:19], off
	v_ashrrev_i32_e32 v33, 31, v32
	v_cndmask_b32_e32 v36, v35, v38, vcc
	v_ashrrev_i32_e32 v35, 31, v34
	v_ashrrev_i32_e32 v37, 31, v36
	v_lshl_add_u64 v[32:33], v[32:33], 2, s[6:7]
	v_lshl_add_u64 v[34:35], v[34:35], 2, s[6:7]
	;; [unrolled: 1-line block ×3, first 2 shown]
	global_load_dword v46, v[32:33], off
	global_load_dword v44, v[34:35], off
	;; [unrolled: 1-line block ×3, first 2 shown]
	s_mov_b32 s44, 0x7060302
	s_add_u32 s8, s10, s4
	v_lshlrev_b32_e32 v27, 5, v28
	s_addc_u32 s9, s11, 0
	v_and_b32_e32 v30, 16, v0
	v_lshl_add_u64 v[38:39], s[8:9], 0, v[30:31]
	v_lshl_or_b32 v30, v29, 9, v27
	v_lshl_add_u64 v[30:31], v[38:39], 0, v[30:31]
	s_load_dword s13, s[0:1], 0x1c
	s_load_dword s4, s[40:41], 0x0
	s_mov_b32 s46, 0xff7fffff
	s_waitcnt vmcnt(7)
	v_cvt_pk_f32_fp8_e32 v[32:33], v10
	v_cvt_pk_f32_fp8_sdwa v[34:35], v10 src0_sel:WORD_1
	v_cvt_pk_f32_fp8_e32 v[36:37], v11
	v_cvt_pk_f32_fp8_sdwa v[10:11], v11 src0_sel:WORD_1
	v_perm_b32 v32, v33, v32, s44
	v_perm_b32 v33, v35, v34, s44
	v_cvt_pk_f32_fp8_e32 v[38:39], v12
	v_cvt_pk_f32_fp8_sdwa v[40:41], v12 src0_sel:WORD_1
	v_perm_b32 v36, v37, v36, s44
	v_perm_b32 v37, v11, v10, s44
	s_waitcnt lgkmcnt(0)
	v_mfma_f32_16x16x16_bf16 v[32:35], v[32:33], v[6:7], 0
	v_cvt_pk_f32_fp8_e32 v[48:49], v13
	v_perm_b32 v38, v39, v38, s44
	v_perm_b32 v39, v41, v40, s44
	v_cvt_pk_f32_fp8_sdwa v[12:13], v13 src0_sel:WORD_1
	v_mfma_f32_16x16x16_bf16 v[32:35], v[36:37], v[8:9], v[32:35]
	v_perm_b32 v36, v49, v48, s44
	s_waitcnt vmcnt(6)
	v_cvt_pk_f32_fp8_sdwa v[40:41], v16 src0_sel:WORD_1
	v_perm_b32 v37, v13, v12, s44
	v_mfma_f32_16x16x16_bf16 v[32:35], v[38:39], v[2:3], v[32:35]
	v_cvt_pk_f32_fp8_e32 v[12:13], v14
	v_cvt_pk_f32_fp8_sdwa v[38:39], v14 src0_sel:WORD_1
	v_perm_b32 v12, v13, v12, s44
	v_mfma_f32_16x16x16_bf16 v[32:35], v[36:37], v[4:5], v[32:35]
	v_cvt_pk_f32_fp8_e32 v[36:37], v15
	v_perm_b32 v13, v39, v38, s44
	v_cvt_pk_f32_fp8_sdwa v[14:15], v15 src0_sel:WORD_1
	v_cvt_pk_f32_fp8_e32 v[38:39], v16
	v_perm_b32 v36, v37, v36, s44
	s_waitcnt vmcnt(5)
	v_cvt_pk_f32_fp8_e32 v[48:49], v24
	v_perm_b32 v37, v15, v14, s44
	v_mfma_f32_16x16x16_bf16 v[12:15], v[12:13], v[6:7], 0
	v_perm_b32 v38, v39, v38, s44
	v_perm_b32 v39, v41, v40, s44
	v_cvt_pk_f32_fp8_e32 v[40:41], v17
	v_cvt_pk_f32_fp8_sdwa v[16:17], v17 src0_sel:WORD_1
	v_mfma_f32_16x16x16_bf16 v[12:15], v[36:37], v[8:9], v[12:15]
	v_cvt_pk_f32_fp8_sdwa v[50:51], v24 src0_sel:WORD_1
	v_perm_b32 v36, v41, v40, s44
	v_perm_b32 v37, v17, v16, s44
	v_mfma_f32_16x16x16_bf16 v[12:15], v[38:39], v[2:3], v[12:15]
	v_cvt_pk_f32_fp8_e32 v[16:17], v22
	v_cvt_pk_f32_fp8_sdwa v[38:39], v22 src0_sel:WORD_1
	s_waitcnt vmcnt(4)
	v_mad_i64_i32 v[10:11], s[6:7], v47, s45, v[30:31]
	v_mfma_f32_16x16x16_bf16 v[12:15], v[36:37], v[4:5], v[12:15]
	v_cvt_pk_f32_fp8_e32 v[36:37], v23
	v_perm_b32 v16, v17, v16, s44
	v_perm_b32 v17, v39, v38, s44
	v_cvt_pk_f32_fp8_sdwa v[22:23], v23 src0_sel:WORD_1
	v_perm_b32 v40, v37, v36, s44
	v_mfma_f32_16x16x16_bf16 v[36:39], v[16:17], v[6:7], 0
	v_perm_b32 v41, v23, v22, s44
	v_perm_b32 v16, v49, v48, s44
	;; [unrolled: 1-line block ×3, first 2 shown]
	v_cvt_pk_f32_fp8_e32 v[48:49], v25
	v_cvt_pk_f32_fp8_sdwa v[24:25], v25 src0_sel:WORD_1
	v_mfma_f32_16x16x16_bf16 v[36:39], v[40:41], v[8:9], v[36:39]
	v_mov_b32_e32 v47, s13
	v_mul_f32_e32 v52, s4, v47
	v_perm_b32 v41, v25, v24, s44
	v_mfma_f32_16x16x16_bf16 v[36:39], v[16:17], v[2:3], v[36:39]
	s_waitcnt vmcnt(3)
	v_cvt_pk_f32_fp8_e32 v[16:17], v18
	v_cvt_pk_f32_fp8_sdwa v[24:25], v18 src0_sel:WORD_1
	v_perm_b32 v40, v49, v48, s44
	v_pk_mul_f32 v[22:23], v[52:53], v[34:35] op_sel_hi:[0,1]
	v_pk_mul_f32 v[34:35], v[52:53], v[32:33] op_sel_hi:[0,1]
	v_cvt_pk_f32_fp8_e32 v[32:33], v19
	v_perm_b32 v16, v17, v16, s44
	v_perm_b32 v17, v25, v24, s44
	v_cvt_pk_f32_fp8_sdwa v[18:19], v19 src0_sel:WORD_1
	v_mfma_f32_16x16x16_bf16 v[48:51], v[40:41], v[4:5], v[36:39]
	v_perm_b32 v24, v33, v32, s44
	v_cvt_pk_f32_fp8_e32 v[32:33], v20
	v_perm_b32 v25, v19, v18, s44
	v_cvt_pk_f32_fp8_sdwa v[36:37], v20 src0_sel:WORD_1
	v_mfma_f32_16x16x16_bf16 v[16:19], v[16:17], v[6:7], 0
	v_perm_b32 v32, v33, v32, s44
	v_cvt_pk_f32_fp8_e32 v[38:39], v21
	v_perm_b32 v33, v37, v36, s44
	v_cvt_pk_f32_fp8_sdwa v[20:21], v21 src0_sel:WORD_1
	v_mfma_f32_16x16x16_bf16 v[6:9], v[24:25], v[8:9], v[16:19]
	v_pk_mul_f32 v[36:37], v[52:53], v[14:15] op_sel_hi:[0,1]
	v_perm_b32 v14, v39, v38, s44
	v_perm_b32 v15, v21, v20, s44
	v_mfma_f32_16x16x16_bf16 v[6:9], v[32:33], v[2:3], v[6:9]
	v_pk_mul_f32 v[40:41], v[52:53], v[12:13] op_sel_hi:[0,1]
	v_pk_mul_f32 v[38:39], v[52:53], v[48:49] op_sel_hi:[0,1]
	;; [unrolled: 1-line block ×3, first 2 shown]
	v_mfma_f32_16x16x16_bf16 v[2:5], v[14:15], v[4:5], v[6:9]
	s_nop 6
	v_pk_mul_f32 v[24:25], v[52:53], v[2:3] op_sel_hi:[0,1]
	v_and_b32_e32 v2, 0xc0, v0
	v_add_u32_e32 v2, s5, v2
	v_lshl_or_b32 v2, v42, 2, v2
	v_pk_mul_f32 v[18:19], v[52:53], v[4:5] op_sel_hi:[0,1]
	v_or_b32_e32 v5, 1, v2
	v_mov_b32_e32 v3, 0xff7fffff
	v_cmp_gt_i32_e64 s[4:5], s33, v2
	v_cmp_gt_i32_e64 s[34:35], s33, v5
	v_or_b32_e32 v6, 3, v2
	v_cndmask_b32_e64 v4, v3, v34, s[4:5]
	v_cndmask_b32_e64 v5, v3, v35, s[34:35]
	v_max3_f32 v4, v4, s46, v5
	v_or_b32_e32 v5, 2, v2
	v_cmp_gt_i32_e64 s[36:37], s33, v5
	v_cmp_gt_i32_e64 s[38:39], s33, v6
	s_nop 0
	v_cndmask_b32_e64 v5, v3, v22, s[36:37]
	v_cndmask_b32_e64 v6, v3, v23, s[38:39]
	v_max3_f32 v4, v4, v5, v6
	v_or_b32_e32 v5, 16, v2
	v_or_b32_e32 v6, 17, v2
	v_cmp_gt_i32_e64 s[24:25], s33, v5
	v_cmp_gt_i32_e64 s[26:27], s33, v6
	s_nop 0
	v_cndmask_b32_e64 v5, v3, v40, s[24:25]
	v_cndmask_b32_e64 v6, v3, v41, s[26:27]
	v_max3_f32 v4, v4, v5, v6
	v_or_b32_e32 v5, 18, v2
	;; [unrolled: 8-line block ×6, first 2 shown]
	v_or_b32_e32 v2, 51, v2
	v_cmp_gt_i32_e32 vcc, s33, v5
	v_cmp_gt_i32_e64 s[6:7], s33, v2
	s_nop 0
	v_cndmask_b32_e32 v5, v3, v18, vcc
	v_cndmask_b32_e64 v2, v3, v19, s[6:7]
	v_max3_f32 v4, v4, v5, v2
	v_mbcnt_lo_u32_b32 v2, -1, 0
	v_mbcnt_hi_u32_b32 v5, -1, v2
	v_and_b32_e32 v2, 64, v5
	v_add_u32_e32 v6, 64, v2
	v_xor_b32_e32 v2, 32, v5
	v_cmp_lt_i32_e64 s[40:41], v2, v6
	s_nop 1
	v_cndmask_b32_e64 v2, v5, v2, s[40:41]
	v_lshlrev_b32_e32 v47, 2, v2
	ds_bpermute_b32 v7, v47, v4
	s_waitcnt vmcnt(2)
	v_mad_i64_i32 v[2:3], s[40:41], v46, s45, v[30:31]
	global_load_dwordx4 v[14:17], v[10:11], off
	s_nop 0
	global_load_dwordx4 v[10:13], v[2:3], off
	v_xor_b32_e32 v3, 16, v5
	v_cmp_lt_i32_e64 s[40:41], v3, v6
	s_waitcnt lgkmcnt(0)
	v_max_f32_e32 v2, v7, v7
	v_max_f32_e32 v2, v4, v2
	v_cndmask_b32_e64 v3, v5, v3, s[40:41]
	v_lshlrev_b32_e32 v46, 2, v3
	ds_bpermute_b32 v3, v46, v2
	s_waitcnt vmcnt(3)
	v_mad_i64_i32 v[20:21], s[40:41], v44, s45, v[30:31]
	s_waitcnt vmcnt(2)
	v_mad_i64_i32 v[30:31], s[40:41], v45, s45, v[30:31]
	s_waitcnt lgkmcnt(0)
	v_max_f32_e32 v3, v3, v3
	v_max_f32_e32 v44, v2, v3
	v_sub_f32_e32 v2, v34, v44
	v_mul_f32_e32 v2, 0x3fb8aa3b, v2
	v_exp_f32_e32 v34, v2
	v_sub_f32_e32 v2, v35, v44
	v_mul_f32_e32 v2, 0x3fb8aa3b, v2
	v_exp_f32_e32 v35, v2
	global_load_dwordx4 v[6:9], v[20:21], off
	global_load_dwordx4 v[2:5], v[30:31], off
	v_sub_f32_e32 v22, v22, v44
	v_mul_f32_e32 v22, 0x3fb8aa3b, v22
	v_sub_f32_e32 v23, v23, v44
	v_exp_f32_e32 v22, v22
	v_mul_f32_e32 v23, 0x3fb8aa3b, v23
	v_exp_f32_e32 v23, v23
	v_cndmask_b32_e64 v20, 0, v34, s[4:5]
	v_add_f32_e32 v30, 0, v20
	v_cndmask_b32_e64 v21, 0, v35, s[34:35]
	v_add_f32_e32 v30, v30, v21
	;; [unrolled: 2-line block ×3, first 2 shown]
	v_cndmask_b32_e64 v35, 0, v23, s[38:39]
	v_sub_f32_e32 v23, v40, v44
	v_sub_f32_e32 v30, v41, v44
	v_mul_f32_e32 v23, 0x3fb8aa3b, v23
	v_mul_f32_e32 v30, 0x3fb8aa3b, v30
	v_exp_f32_e32 v23, v23
	v_exp_f32_e32 v30, v30
	v_add_f32_e32 v31, v22, v35
	v_sub_f32_e32 v32, v32, v44
	v_cndmask_b32_e64 v22, 0, v23, s[24:25]
	v_cndmask_b32_e64 v23, 0, v30, s[26:27]
	v_sub_f32_e32 v30, v36, v44
	v_mul_f32_e32 v30, 0x3fb8aa3b, v30
	v_exp_f32_e32 v30, v30
	v_sub_f32_e32 v36, v37, v44
	v_add_f32_e32 v31, v31, v22
	v_mul_f32_e32 v36, 0x3fb8aa3b, v36
	v_exp_f32_e32 v37, v36
	v_add_f32_e32 v31, v31, v23
	v_cndmask_b32_e64 v36, 0, v30, s[20:21]
	v_add_f32_e32 v30, v31, v36
	v_sub_f32_e32 v31, v38, v44
	v_mul_f32_e32 v31, 0x3fb8aa3b, v31
	v_sub_f32_e32 v38, v39, v44
	v_exp_f32_e32 v31, v31
	v_mul_f32_e32 v38, 0x3fb8aa3b, v38
	v_exp_f32_e32 v38, v38
	v_mul_f32_e32 v32, 0x3fb8aa3b, v32
	v_sub_f32_e32 v33, v33, v44
	v_exp_f32_e32 v32, v32
	v_mul_f32_e32 v33, 0x3fb8aa3b, v33
	v_sub_f32_e32 v24, v24, v44
	v_cndmask_b32_e64 v37, 0, v37, s[22:23]
	v_exp_f32_e32 v33, v33
	v_mul_f32_e32 v24, 0x3fb8aa3b, v24
	v_sub_f32_e32 v25, v25, v44
	v_add_f32_e32 v39, v30, v37
	v_cndmask_b32_e64 v30, 0, v31, s[16:17]
	v_exp_f32_e32 v24, v24
	v_mul_f32_e32 v25, 0x3fb8aa3b, v25
	v_sub_f32_e32 v18, v18, v44
	v_add_f32_e32 v39, v39, v30
	;; [unrolled: 5-line block ×3, first 2 shown]
	v_cndmask_b32_e64 v32, 0, v32, s[12:13]
	v_exp_f32_e32 v18, v18
	v_mul_f32_e32 v19, 0x3fb8aa3b, v19
	v_add_f32_e32 v38, v38, v32
	v_cndmask_b32_e64 v33, 0, v33, s[14:15]
	v_exp_f32_e32 v19, v19
	v_add_f32_e32 v38, v38, v33
	v_cndmask_b32_e64 v24, 0, v24, s[8:9]
	v_add_f32_e32 v38, v38, v24
	v_cndmask_b32_e64 v25, 0, v25, s[10:11]
	v_add_f32_e32 v38, v38, v25
	v_cndmask_b32_e32 v18, 0, v18, vcc
	v_add_f32_e32 v38, v38, v18
	v_cndmask_b32_e64 v19, 0, v19, s[6:7]
	v_add_f32_e32 v38, v38, v19
	ds_bpermute_b32 v39, v47, v38
	v_cmp_gt_u32_e32 vcc, 16, v43
	s_waitcnt lgkmcnt(0)
	s_barrier
	v_add_f32_e32 v38, v38, v39
	ds_bpermute_b32 v40, v46, v38
	v_lshlrev_b32_e32 v39, 2, v28
	s_and_saveexec_b64 s[4:5], vcc
	s_cbranch_execz .LBB1202_13
; %bb.12:
	s_waitcnt lgkmcnt(0)
	v_add_f32_e32 v38, v38, v40
	v_lshl_or_b32 v40, v29, 6, v39
	ds_write2st64_b32 v40, v44, v38 offset1:1
.LBB1202_13:
	s_or_b64 exec, exec, s[4:5]
	s_load_dword s6, s[0:1], 0x94
	s_waitcnt lgkmcnt(0)
	s_barrier
	ds_read2_b32 v[40:41], v39 offset1:16
	ds_read2_b32 v[44:45], v39 offset0:32 offset1:48
	ds_read2_b32 v[46:47], v39 offset0:64 offset1:80
	s_movk_i32 s8, 0x7fff
	s_mul_i32 s7, s29, 15
	s_waitcnt lgkmcnt(2)
	v_max3_f32 v38, v40, s46, v41
	s_waitcnt lgkmcnt(1)
	v_max3_f32 v38, v38, v44, v45
	v_sub_f32_e32 v40, v40, v38
	v_mul_f32_e32 v40, 0x3fb8aa3b, v40
	v_exp_f32_e32 v43, v40
	v_sub_f32_e32 v40, v41, v38
	v_mul_f32_e32 v40, 0x3fb8aa3b, v40
	v_exp_f32_e32 v48, v40
	;; [unrolled: 3-line block ×3, first 2 shown]
	ds_read2_b32 v[40:41], v39 offset0:96 offset1:112
	v_sub_f32_e32 v39, v45, v38
	v_mul_f32_e32 v39, 0x3fb8aa3b, v39
	v_exp_f32_e32 v45, v39
	s_waitcnt lgkmcnt(1)
	v_fma_f32 v39, v43, v46, 0
	v_fmac_f32_e32 v39, v48, v47
	s_waitcnt lgkmcnt(0)
	v_fmac_f32_e32 v39, v44, v40
	v_fmac_f32_e32 v39, v45, v41
	v_add_f32_e32 v40, 0x358637bd, v39
	v_div_scale_f32 v41, s[4:5], v40, v40, 1.0
	v_rcp_f32_e32 v46, v41
	s_barrier
	v_fma_f32 v47, -v41, v46, 1.0
	v_fmac_f32_e32 v46, v47, v46
	v_div_scale_f32 v47, vcc, 1.0, v40, 1.0
	v_mul_f32_e32 v49, v47, v46
	v_fma_f32 v50, -v41, v49, v47
	v_fmac_f32_e32 v49, v50, v46
	v_fma_f32 v41, -v41, v49, v47
	v_div_fmas_f32 v41, v41, v46, v49
	v_cmp_eq_u32_e32 vcc, 1, v29
	v_div_fixup_f32 v40, v41, v40, 1.0
	s_nop 0
	v_cndmask_b32_e32 v41, v43, v48, vcc
	v_cmp_eq_u32_e32 vcc, 2, v29
	s_nop 1
	v_cndmask_b32_e32 v41, v41, v44, vcc
	v_cmp_eq_u32_e32 vcc, 3, v29
	s_nop 1
	v_cndmask_b32_e32 v41, v41, v45, vcc
	v_mul_f32_e32 v40, v41, v40
	v_pk_mul_f32 v[20:21], v[40:41], v[20:21] op_sel_hi:[0,1]
	v_pk_mul_f32 v[34:35], v[40:41], v[34:35] op_sel_hi:[0,1]
	v_bfe_u32 v41, v21, 16, 1
	v_bfe_u32 v43, v20, 16, 1
	v_add3_u32 v20, v20, v43, s8
	v_add3_u32 v21, v21, v41, s8
	v_perm_b32 v44, v21, v20, s44
	v_bfe_u32 v20, v35, 16, 1
	v_bfe_u32 v21, v34, 16, 1
	v_add3_u32 v21, v34, v21, s8
	v_add3_u32 v20, v35, v20, s8
	v_perm_b32 v45, v20, v21, s44
	v_lshlrev_b32_e32 v20, 3, v42
	v_lshlrev_b32_e32 v21, 11, v29
	v_pk_mul_f32 v[22:23], v[40:41], v[22:23] op_sel_hi:[0,1]
	v_or3_b32 v20, v21, v27, v20
	v_bfe_u32 v21, v23, 16, 1
	v_bfe_u32 v29, v22, 16, 1
	v_pk_mul_f32 v[34:35], v[40:41], v[36:37] op_sel_hi:[0,1]
	v_add3_u32 v22, v22, v29, s8
	v_add3_u32 v21, v23, v21, s8
	v_perm_b32 v22, v21, v22, s44
	v_bfe_u32 v21, v35, 16, 1
	v_bfe_u32 v23, v34, 16, 1
	v_add3_u32 v23, v34, v23, s8
	v_add3_u32 v21, v35, v21, s8
	v_pk_mul_f32 v[30:31], v[40:41], v[30:31] op_sel_hi:[0,1]
	v_perm_b32 v23, v21, v23, s44
	v_bfe_u32 v21, v31, 16, 1
	v_bfe_u32 v29, v30, 16, 1
	ds_write2st64_b64 v20, v[44:45], v[22:23] offset1:1
	v_pk_mul_f32 v[22:23], v[40:41], v[32:33] op_sel_hi:[0,1]
	v_add3_u32 v29, v30, v29, s8
	v_add3_u32 v21, v31, v21, s8
	v_perm_b32 v30, v21, v29, s44
	v_bfe_u32 v21, v23, 16, 1
	v_bfe_u32 v29, v22, 16, 1
	v_add3_u32 v22, v22, v29, s8
	v_add3_u32 v21, v23, v21, s8
	v_perm_b32 v31, v21, v22, s44
	v_pk_mul_f32 v[22:23], v[40:41], v[24:25] op_sel_hi:[0,1]
	v_bfe_u32 v21, v23, 16, 1
	v_bfe_u32 v24, v22, 16, 1
	v_pk_mul_f32 v[18:19], v[40:41], v[18:19] op_sel_hi:[0,1]
	v_add3_u32 v22, v22, v24, s8
	v_add3_u32 v21, v23, v21, s8
	v_perm_b32 v22, v21, v22, s44
	v_bfe_u32 v21, v19, 16, 1
	v_bfe_u32 v23, v18, 16, 1
	v_add3_u32 v18, v18, v23, s8
	v_add3_u32 v19, v19, v21, s8
	v_perm_b32 v23, v19, v18, s44
	v_cmp_gt_u32_e32 vcc, 15, v0
	ds_write2st64_b64 v20, v[30:31], v[22:23] offset0:2 offset1:3
	s_and_saveexec_b64 s[4:5], vcc
	s_cbranch_execz .LBB1202_15
; %bb.14:
	s_mov_b32 s49, 0
	v_mov_b32_e32 v29, 0
	v_lshl_add_u64 v[18:19], s[48:49], 0, v[28:29]
	v_mov_b32_e32 v21, s7
	v_mad_u64_u32 v[18:19], s[10:11], s2, v21, v[18:19]
	s_mul_i32 s3, s3, s7
	v_mov_b32_e32 v28, s28
	s_load_dwordx4 s[12:15], s[0:1], 0x58
	v_add_u32_e32 v21, s3, v19
	v_mad_u64_u32 v[18:19], s[10:11], v18, s6, v[28:29]
	v_mov_b32_e32 v22, v19
	v_mad_u64_u32 v[22:23], s[10:11], v21, s6, v[22:23]
	v_mov_b32_e32 v19, v22
	v_lshlrev_b64 v[18:19], 2, v[18:19]
	s_waitcnt lgkmcnt(0)
	v_lshl_add_u64 v[22:23], s[14:15], 0, v[18:19]
	v_lshl_add_u64 v[18:19], s[12:13], 0, v[18:19]
	global_store_dword v[22:23], v38, off
	global_store_dword v[18:19], v39, off
.LBB1202_15:
	s_or_b64 exec, exec, s[4:5]
	s_waitcnt vmcnt(3)
	v_cvt_pk_f32_fp8_e32 v[18:19], v14
	v_cvt_pk_f32_fp8_sdwa v[22:23], v14 src0_sel:WORD_1
	s_mov_b32 s4, 0x7060302
	v_lshl_or_b32 v14, v42, 9, v27
	s_waitcnt lgkmcnt(0)
	s_barrier
	v_perm_b32 v18, v19, v18, s4
	v_perm_b32 v19, v23, v22, s4
	v_cvt_pk_f32_fp8_e32 v[28:29], v15
	ds_read_b128 v[22:25], v14
	v_cvt_pk_f32_fp8_sdwa v[36:37], v15 src0_sel:WORD_1
	s_load_dword s10, s[42:43], 0x0
	v_perm_b32 v38, v29, v28, s4
	ds_read_b128 v[28:31], v14 offset:16
	v_perm_b32 v39, v37, v36, s4
	s_waitcnt lgkmcnt(0)
	v_mfma_f32_16x16x16_bf16 v[32:35], v[18:19], v[22:23], 0
	v_cvt_pk_f32_fp8_e32 v[18:19], v16
	v_cvt_pk_f32_fp8_sdwa v[36:37], v16 src0_sel:WORD_1
	v_cmp_gt_u32_e32 vcc, 64, v0
	v_mfma_f32_16x16x16_bf16 v[22:25], v[38:39], v[24:25], v[32:35]
	v_perm_b32 v18, v19, v18, s4
	v_perm_b32 v19, v37, v36, s4
	s_waitcnt vmcnt(2)
	v_cvt_pk_f32_fp8_sdwa v[36:37], v10 src0_sel:WORD_1
	v_cvt_pk_f32_fp8_e32 v[32:33], v17
	v_cvt_pk_f32_fp8_sdwa v[16:17], v17 src0_sel:WORD_1
	v_cvt_pk_f32_fp8_e32 v[34:35], v10
	s_mov_b32 s3, 0
	v_perm_b32 v32, v33, v32, s4
	v_perm_b32 v33, v17, v16, s4
	v_mfma_f32_16x16x16_bf16 v[16:19], v[18:19], v[28:29], v[22:25]
	v_perm_b32 v34, v35, v34, s4
	v_perm_b32 v35, v37, v36, s4
	v_cvt_pk_f32_fp8_e32 v[28:29], v11
	ds_read_b128 v[22:25], v14 offset:2048
	v_cvt_pk_f32_fp8_sdwa v[10:11], v11 src0_sel:WORD_1
	v_mfma_f32_16x16x16_bf16 v[16:19], v[32:33], v[30:31], v[16:19]
	v_perm_b32 v32, v29, v28, s4
	ds_read_b128 v[28:31], v14 offset:2064
	v_perm_b32 v33, v11, v10, s4
	s_waitcnt lgkmcnt(1)
	v_mfma_f32_16x16x16_bf16 v[16:19], v[34:35], v[22:23], v[16:19]
	v_cvt_pk_f32_fp8_e32 v[10:11], v12
	v_cvt_pk_f32_fp8_sdwa v[22:23], v12 src0_sel:WORD_1
	v_mov_b32_e32 v27, 0
	v_mfma_f32_16x16x16_bf16 v[16:19], v[32:33], v[24:25], v[16:19]
	v_cvt_pk_f32_fp8_e32 v[24:25], v13
	v_perm_b32 v10, v11, v10, s4
	v_perm_b32 v11, v23, v22, s4
	v_cvt_pk_f32_fp8_sdwa v[12:13], v13 src0_sel:WORD_1
	v_perm_b32 v22, v25, v24, s4
	s_waitcnt vmcnt(1)
	v_cvt_pk_f32_fp8_e32 v[24:25], v6
	v_cvt_pk_f32_fp8_sdwa v[32:33], v6 src0_sel:WORD_1
	v_perm_b32 v23, v13, v12, s4
	s_waitcnt lgkmcnt(0)
	v_mfma_f32_16x16x16_bf16 v[10:13], v[10:11], v[28:29], v[16:19]
	v_perm_b32 v28, v25, v24, s4
	v_perm_b32 v29, v33, v32, s4
	v_cvt_pk_f32_fp8_e32 v[24:25], v7
	ds_read_b128 v[16:19], v14 offset:4096
	v_cvt_pk_f32_fp8_sdwa v[6:7], v7 src0_sel:WORD_1
	v_mfma_f32_16x16x16_bf16 v[10:13], v[22:23], v[30:31], v[10:13]
	v_perm_b32 v30, v25, v24, s4
	ds_read_b128 v[22:25], v14 offset:4112
	v_perm_b32 v31, v7, v6, s4
	s_waitcnt lgkmcnt(1)
	v_mfma_f32_16x16x16_bf16 v[10:13], v[28:29], v[16:17], v[10:13]
	v_cvt_pk_f32_fp8_e32 v[6:7], v8
	v_cvt_pk_f32_fp8_sdwa v[16:17], v8 src0_sel:WORD_1
	s_waitcnt vmcnt(0)
	v_cvt_pk_f32_fp8_sdwa v[28:29], v2 src0_sel:WORD_1
	v_mfma_f32_16x16x16_bf16 v[10:13], v[30:31], v[18:19], v[10:13]
	v_cvt_pk_f32_fp8_e32 v[18:19], v9
	v_perm_b32 v6, v7, v6, s4
	v_perm_b32 v7, v17, v16, s4
	v_cvt_pk_f32_fp8_sdwa v[8:9], v9 src0_sel:WORD_1
	v_perm_b32 v16, v19, v18, s4
	v_cvt_pk_f32_fp8_e32 v[18:19], v2
	v_perm_b32 v17, v9, v8, s4
	s_waitcnt lgkmcnt(0)
	v_mfma_f32_16x16x16_bf16 v[6:9], v[6:7], v[22:23], v[10:13]
	v_perm_b32 v18, v19, v18, s4
	v_perm_b32 v19, v29, v28, s4
	v_cvt_pk_f32_fp8_e32 v[22:23], v3
	ds_read_b128 v[10:13], v14 offset:6144
	v_cvt_pk_f32_fp8_sdwa v[2:3], v3 src0_sel:WORD_1
	v_mfma_f32_16x16x16_bf16 v[6:9], v[16:17], v[24:25], v[6:9]
	v_perm_b32 v22, v23, v22, s4
	ds_read_b128 v[14:17], v14 offset:6160
	v_perm_b32 v23, v3, v2, s4
	s_waitcnt lgkmcnt(1)
	v_mfma_f32_16x16x16_bf16 v[6:9], v[18:19], v[10:11], v[6:9]
	v_cvt_pk_f32_fp8_e32 v[2:3], v4
	v_cvt_pk_f32_fp8_sdwa v[10:11], v4 src0_sel:WORD_1
	s_waitcnt lgkmcnt(0)
	v_mfma_f32_16x16x16_bf16 v[6:9], v[22:23], v[12:13], v[6:9]
	v_perm_b32 v2, v3, v2, s4
	v_perm_b32 v3, v11, v10, s4
	v_cvt_pk_f32_fp8_e32 v[10:11], v5
	v_cvt_pk_f32_fp8_sdwa v[4:5], v5 src0_sel:WORD_1
	s_barrier
	v_perm_b32 v10, v11, v10, s4
	v_perm_b32 v11, v5, v4, s4
	v_mfma_f32_16x16x16_bf16 v[2:5], v[2:3], v[14:15], v[6:9]
	s_nop 0
	v_mfma_f32_16x16x16_bf16 v[2:5], v[10:11], v[16:17], v[2:5]
	s_nop 6
	v_pk_mul_f32 v[2:3], v[2:3], s[10:11] op_sel_hi:[1,0]
	v_pk_mul_f32 v[4:5], v[4:5], s[10:11] op_sel_hi:[1,0]
	v_bfe_u32 v6, v3, 16, 1
	v_bfe_u32 v7, v2, 16, 1
	v_add3_u32 v2, v2, v7, s8
	v_add3_u32 v3, v3, v6, s8
	v_perm_b32 v2, v3, v2, s4
	v_bfe_u32 v3, v5, 16, 1
	v_bfe_u32 v6, v4, 16, 1
	v_add3_u32 v4, v4, v6, s8
	v_add3_u32 v3, v5, v3, s8
	v_perm_b32 v3, v3, v4, s4
	s_and_b64 s[4:5], vcc, s[30:31]
	ds_write_b64 v20, v[2:3]
	s_waitcnt lgkmcnt(0)
	s_barrier
	s_and_saveexec_b64 s[8:9], s[4:5]
	s_cbranch_execz .LBB1202_18
; %bb.16:
	s_load_dwordx2 s[4:5], s[0:1], 0x68
	s_lshl_b32 s0, s6, 6
	s_mul_i32 s1, s7, s2
	s_mul_hi_u32 s7, s1, s0
	s_mul_i32 s6, s1, s0
	v_lshlrev_b32_e32 v0, 10, v0
	s_lshl_b64 s[6:7], s[6:7], 1
	v_and_b32_e32 v0, 0x1800, v0
	v_lshlrev_b32_e32 v2, 5, v42
	v_and_b32_e32 v1, 16, v1
	s_waitcnt lgkmcnt(0)
	s_add_u32 s1, s4, s6
	v_or3_b32 v2, v0, v2, v1
	s_addc_u32 s4, s5, s7
	s_lshl_b32 s2, s28, 6
	ds_read_b128 v[4:7], v2 offset:256
	s_lshl_b64 s[2:3], s[2:3], 1
	ds_read_b128 v[8:11], v2 offset:128
	ds_read_b128 v[12:15], v2
	s_add_u32 s2, s1, s2
	s_addc_u32 s3, s4, s3
	v_add_u32_e32 v3, s48, v42
	v_lshl_add_u64 v[0:1], s[2:3], 0, v[26:27]
	v_mad_u64_u32 v[16:17], s[2:3], v3, s0, 0
	v_lshl_add_u64 v[16:17], v[16:17], 1, v[0:1]
	s_waitcnt lgkmcnt(0)
	global_store_dwordx4 v[16:17], v[12:15], off
	v_cmp_ne_u32_e32 vcc, 3, v42
	s_nop 0
	v_add_u32_e32 v12, 4, v3
	v_mad_u64_u32 v[12:13], s[2:3], v12, s0, 0
	v_lshl_add_u64 v[12:13], v[12:13], 1, v[0:1]
	v_add_u32_e32 v3, 8, v3
	global_store_dwordx4 v[12:13], v[8:11], off
	s_nop 1
	v_mad_u64_u32 v[8:9], s[2:3], v3, s0, 0
	v_lshl_add_u64 v[8:9], v[8:9], 1, v[0:1]
	global_store_dwordx4 v[8:9], v[4:7], off
	s_and_b64 exec, exec, vcc
	s_cbranch_execz .LBB1202_18
; %bb.17:
	ds_read_b128 v[2:5], v2 offset:384
	v_add3_u32 v6, s48, v42, 12
	v_mad_u64_u32 v[6:7], s[0:1], v6, s0, 0
	v_lshl_add_u64 v[0:1], v[6:7], 1, v[0:1]
	s_waitcnt lgkmcnt(0)
	global_store_dwordx4 v[0:1], v[2:5], off
.LBB1202_18:
	s_endpgm
	.section	.rodata,"a",@progbits
	.p2align	6, 0x0
	.amdhsa_kernel _Z39paged_attention_ll4mi_QKV_mfma16_kernelI14__hip_bfloat16hLN4vllm18Fp8KVCacheDataTypeE1EhLi32ELi64ELi256ELb0ELi15EEvPKT_PKT0_S8_ifPKiSA_SA_iPKfiiiPfSD_PS3_PT2_iSC_SC_
		.amdhsa_group_segment_fixed_size 8192
		.amdhsa_private_segment_fixed_size 0
		.amdhsa_kernarg_size 400
		.amdhsa_user_sgpr_count 2
		.amdhsa_user_sgpr_dispatch_ptr 0
		.amdhsa_user_sgpr_queue_ptr 0
		.amdhsa_user_sgpr_kernarg_segment_ptr 1
		.amdhsa_user_sgpr_dispatch_id 0
		.amdhsa_user_sgpr_kernarg_preload_length 0
		.amdhsa_user_sgpr_kernarg_preload_offset 0
		.amdhsa_user_sgpr_private_segment_size 0
		.amdhsa_uses_dynamic_stack 0
		.amdhsa_enable_private_segment 0
		.amdhsa_system_sgpr_workgroup_id_x 1
		.amdhsa_system_sgpr_workgroup_id_y 1
		.amdhsa_system_sgpr_workgroup_id_z 1
		.amdhsa_system_sgpr_workgroup_info 0
		.amdhsa_system_vgpr_workitem_id 0
		.amdhsa_next_free_vgpr 54
		.amdhsa_next_free_sgpr 50
		.amdhsa_accum_offset 56
		.amdhsa_reserve_vcc 1
		.amdhsa_float_round_mode_32 0
		.amdhsa_float_round_mode_16_64 0
		.amdhsa_float_denorm_mode_32 3
		.amdhsa_float_denorm_mode_16_64 3
		.amdhsa_dx10_clamp 1
		.amdhsa_ieee_mode 1
		.amdhsa_fp16_overflow 0
		.amdhsa_tg_split 0
		.amdhsa_exception_fp_ieee_invalid_op 0
		.amdhsa_exception_fp_denorm_src 0
		.amdhsa_exception_fp_ieee_div_zero 0
		.amdhsa_exception_fp_ieee_overflow 0
		.amdhsa_exception_fp_ieee_underflow 0
		.amdhsa_exception_fp_ieee_inexact 0
		.amdhsa_exception_int_div_zero 0
	.end_amdhsa_kernel
	.section	.text._Z39paged_attention_ll4mi_QKV_mfma16_kernelI14__hip_bfloat16hLN4vllm18Fp8KVCacheDataTypeE1EhLi32ELi64ELi256ELb0ELi15EEvPKT_PKT0_S8_ifPKiSA_SA_iPKfiiiPfSD_PS3_PT2_iSC_SC_,"axG",@progbits,_Z39paged_attention_ll4mi_QKV_mfma16_kernelI14__hip_bfloat16hLN4vllm18Fp8KVCacheDataTypeE1EhLi32ELi64ELi256ELb0ELi15EEvPKT_PKT0_S8_ifPKiSA_SA_iPKfiiiPfSD_PS3_PT2_iSC_SC_,comdat
.Lfunc_end1202:
	.size	_Z39paged_attention_ll4mi_QKV_mfma16_kernelI14__hip_bfloat16hLN4vllm18Fp8KVCacheDataTypeE1EhLi32ELi64ELi256ELb0ELi15EEvPKT_PKT0_S8_ifPKiSA_SA_iPKfiiiPfSD_PS3_PT2_iSC_SC_, .Lfunc_end1202-_Z39paged_attention_ll4mi_QKV_mfma16_kernelI14__hip_bfloat16hLN4vllm18Fp8KVCacheDataTypeE1EhLi32ELi64ELi256ELb0ELi15EEvPKT_PKT0_S8_ifPKiSA_SA_iPKfiiiPfSD_PS3_PT2_iSC_SC_
                                        ; -- End function
	.section	.AMDGPU.csdata,"",@progbits
; Kernel info:
; codeLenInByte = 4988
; NumSgprs: 56
; NumVgprs: 54
; NumAgprs: 0
; TotalNumVgprs: 54
; ScratchSize: 0
; MemoryBound: 0
; FloatMode: 240
; IeeeMode: 1
; LDSByteSize: 8192 bytes/workgroup (compile time only)
; SGPRBlocks: 6
; VGPRBlocks: 6
; NumSGPRsForWavesPerEU: 56
; NumVGPRsForWavesPerEU: 54
; AccumOffset: 56
; Occupancy: 8
; WaveLimiterHint : 1
; COMPUTE_PGM_RSRC2:SCRATCH_EN: 0
; COMPUTE_PGM_RSRC2:USER_SGPR: 2
; COMPUTE_PGM_RSRC2:TRAP_HANDLER: 0
; COMPUTE_PGM_RSRC2:TGID_X_EN: 1
; COMPUTE_PGM_RSRC2:TGID_Y_EN: 1
; COMPUTE_PGM_RSRC2:TGID_Z_EN: 1
; COMPUTE_PGM_RSRC2:TIDIG_COMP_CNT: 0
; COMPUTE_PGM_RSRC3_GFX90A:ACCUM_OFFSET: 13
; COMPUTE_PGM_RSRC3_GFX90A:TG_SPLIT: 0
	.section	.text._Z39paged_attention_ll4mi_QKV_mfma16_kernelI14__hip_bfloat16hLN4vllm18Fp8KVCacheDataTypeE1EhLi32ELi64ELi256ELb0ELi16EEvPKT_PKT0_S8_ifPKiSA_SA_iPKfiiiPfSD_PS3_PT2_iSC_SC_,"axG",@progbits,_Z39paged_attention_ll4mi_QKV_mfma16_kernelI14__hip_bfloat16hLN4vllm18Fp8KVCacheDataTypeE1EhLi32ELi64ELi256ELb0ELi16EEvPKT_PKT0_S8_ifPKiSA_SA_iPKfiiiPfSD_PS3_PT2_iSC_SC_,comdat
	.protected	_Z39paged_attention_ll4mi_QKV_mfma16_kernelI14__hip_bfloat16hLN4vllm18Fp8KVCacheDataTypeE1EhLi32ELi64ELi256ELb0ELi16EEvPKT_PKT0_S8_ifPKiSA_SA_iPKfiiiPfSD_PS3_PT2_iSC_SC_ ; -- Begin function _Z39paged_attention_ll4mi_QKV_mfma16_kernelI14__hip_bfloat16hLN4vllm18Fp8KVCacheDataTypeE1EhLi32ELi64ELi256ELb0ELi16EEvPKT_PKT0_S8_ifPKiSA_SA_iPKfiiiPfSD_PS3_PT2_iSC_SC_
	.globl	_Z39paged_attention_ll4mi_QKV_mfma16_kernelI14__hip_bfloat16hLN4vllm18Fp8KVCacheDataTypeE1EhLi32ELi64ELi256ELb0ELi16EEvPKT_PKT0_S8_ifPKiSA_SA_iPKfiiiPfSD_PS3_PT2_iSC_SC_
	.p2align	8
	.type	_Z39paged_attention_ll4mi_QKV_mfma16_kernelI14__hip_bfloat16hLN4vllm18Fp8KVCacheDataTypeE1EhLi32ELi64ELi256ELb0ELi16EEvPKT_PKT0_S8_ifPKiSA_SA_iPKfiiiPfSD_PS3_PT2_iSC_SC_,@function
_Z39paged_attention_ll4mi_QKV_mfma16_kernelI14__hip_bfloat16hLN4vllm18Fp8KVCacheDataTypeE1EhLi32ELi64ELi256ELb0ELi16EEvPKT_PKT0_S8_ifPKiSA_SA_iPKfiiiPfSD_PS3_PT2_iSC_SC_: ; @_Z39paged_attention_ll4mi_QKV_mfma16_kernelI14__hip_bfloat16hLN4vllm18Fp8KVCacheDataTypeE1EhLi32ELi64ELi256ELb0ELi16EEvPKT_PKT0_S8_ifPKiSA_SA_iPKfiiiPfSD_PS3_PT2_iSC_SC_
; %bb.0:
	s_load_dwordx2 s[12:13], s[0:1], 0x30
	s_mov_b32 s28, s3
	s_mov_b64 s[6:7], 0
	s_waitcnt lgkmcnt(0)
	s_cmp_lg_u64 s[12:13], 0
	s_cselect_b64 s[14:15], -1, 0
	s_and_b64 vcc, exec, s[14:15]
	s_cbranch_vccz .LBB1203_7
; %bb.1:
	s_add_i32 s8, s2, 1
	s_mov_b32 s9, 0
	s_lshl_b64 s[10:11], s[8:9], 2
	s_add_u32 s10, s12, s10
	s_mov_b32 s3, s9
	s_addc_u32 s11, s13, s11
	s_lshl_b64 s[8:9], s[2:3], 2
	s_add_u32 s8, s12, s8
	s_addc_u32 s9, s13, s9
	s_load_dword s5, s[10:11], 0x0
	s_load_dword s16, s[8:9], 0x0
	s_waitcnt lgkmcnt(0)
	s_sub_i32 s5, s5, s16
	s_cmp_eq_u32 s5, 1
	s_cselect_b64 s[8:9], -1, 0
	s_andn2_b64 vcc, exec, s[6:7]
	s_cbranch_vccnz .LBB1203_3
.LBB1203_2:
	s_mov_b32 s3, 0
	s_mov_b64 s[8:9], -1
.LBB1203_3:
	s_andn2_b64 vcc, exec, s[8:9]
	s_cbranch_vccnz .LBB1203_17
; %bb.4:
	s_load_dwordx2 s[6:7], s[0:1], 0x28
	s_lshl_b64 s[16:17], s[2:3], 2
	s_waitcnt lgkmcnt(0)
	s_add_u32 s6, s6, s16
	s_addc_u32 s7, s7, s17
	s_load_dword s48, s[6:7], 0x0
	s_lshl_b32 s5, s28, 8
	s_waitcnt lgkmcnt(0)
	s_cmp_ge_i32 s5, s48
	s_cbranch_scc1 .LBB1203_17
; %bb.5:
	s_load_dwordx2 s[6:7], s[0:1], 0x20
	s_load_dword s8, s[0:1], 0x38
	s_add_i32 s9, s48, 31
	s_ashr_i32 s10, s9, 31
	v_and_b32_e32 v1, 0xcf, v0
	s_lshr_b32 s10, s10, 27
	v_add_u32_e32 v1, s5, v1
	s_add_i32 s9, s9, s10
	v_ashrrev_i32_e32 v2, 31, v1
	s_ashr_i32 s18, s9, 5
	v_lshrrev_b32_e32 v10, 27, v2
	s_add_i32 s18, s18, -1
	s_waitcnt lgkmcnt(0)
	s_mul_i32 s8, s2, s8
	s_mov_b32 s9, 0
	v_add_u32_e32 v2, v1, v10
	s_lshl_b64 s[8:9], s[8:9], 2
	v_ashrrev_i32_e32 v2, 5, v2
	v_mov_b32_e32 v11, s18
	v_cmp_gt_i32_e32 vcc, s48, v1
	s_add_u32 s6, s6, s8
	s_addc_u32 s7, s7, s9
	v_cndmask_b32_e32 v2, v11, v2, vcc
	v_ashrrev_i32_e32 v3, 31, v2
	v_lshl_add_u64 v[4:5], v[2:3], 2, s[6:7]
	v_or_b32_e32 v2, 16, v1
	v_add_u32_e32 v3, v2, v10
	v_ashrrev_i32_e32 v3, 5, v3
	v_cmp_gt_i32_e32 vcc, s48, v2
	s_load_dwordx4 s[8:11], s[0:1], 0x8
	s_nop 0
	v_cndmask_b32_e32 v2, v11, v3, vcc
	v_ashrrev_i32_e32 v3, 31, v2
	v_lshl_add_u64 v[6:7], v[2:3], 2, s[6:7]
	v_or_b32_e32 v2, 32, v1
	v_add_u32_e32 v3, v2, v10
	v_ashrrev_i32_e32 v3, 5, v3
	v_cmp_gt_i32_e32 vcc, s48, v2
	v_or_b32_e32 v1, 48, v1
	s_nop 0
	v_cndmask_b32_e32 v2, v11, v3, vcc
	v_ashrrev_i32_e32 v3, 31, v2
	v_lshl_add_u64 v[8:9], v[2:3], 2, s[6:7]
	v_add_u32_e32 v2, v1, v10
	v_ashrrev_i32_e32 v2, 5, v2
	v_cmp_gt_i32_e32 vcc, s48, v1
	s_nop 1
	v_cndmask_b32_e32 v2, v11, v2, vcc
	v_ashrrev_i32_e32 v3, 31, v2
	v_lshl_add_u64 v[10:11], v[2:3], 2, s[6:7]
	global_load_dword v3, v[4:5], off
	global_load_dword v2, v[6:7], off
	;; [unrolled: 1-line block ×4, first 2 shown]
	s_andn2_b64 vcc, exec, s[14:15]
	s_cbranch_vccnz .LBB1203_8
; %bb.6:
	s_add_u32 s12, s12, s16
	s_addc_u32 s13, s13, s17
	s_load_dword s14, s[12:13], 0x0
	s_branch .LBB1203_9
.LBB1203_7:
	s_mov_b64 s[8:9], 0
	s_branch .LBB1203_2
.LBB1203_8:
	s_mov_b32 s14, s2
.LBB1203_9:
	s_load_dwordx4 s[44:47], s[0:1], 0x48
	v_and_b32_e32 v43, 15, v0
	s_movk_i32 s12, 0x100
	v_lshlrev_b32_e32 v4, 3, v43
	v_cmp_gt_u32_e32 vcc, s12, v0
	v_cmp_gt_u32_e64 s[30:31], 8, v43
	v_lshrrev_b32_e32 v41, 6, v0
	v_and_b32_e32 v42, 63, v0
	v_bfe_u32 v1, v0, 4, 2
	s_lshl_b32 s29, s4, 4
	s_and_b64 s[16:17], vcc, s[30:31]
	v_lshlrev_b32_e32 v26, 1, v4
	v_lshlrev_b32_e32 v40, 4, v0
	s_and_saveexec_b64 s[12:13], s[16:17]
	s_cbranch_execz .LBB1203_11
; %bb.10:
	s_load_dwordx2 s[16:17], s[0:1], 0x0
	s_waitcnt lgkmcnt(0)
	s_ashr_i32 s15, s44, 31
	s_mul_hi_u32 s19, s14, s44
	s_mul_i32 s15, s14, s15
	s_add_i32 s15, s19, s15
	s_mul_i32 s14, s14, s44
	v_lshl_or_b32 v8, v41, 2, v1
	s_lshl_b64 s[14:15], s[14:15], 1
	s_add_u32 s14, s16, s14
	v_add_lshl_u32 v4, v8, s29, 6
	s_addc_u32 s15, s17, s15
	v_ashrrev_i32_e32 v5, 31, v4
	v_lshl_add_u64 v[4:5], v[4:5], 1, s[14:15]
	v_mov_b32_e32 v27, 0
	v_lshl_add_u64 v[4:5], v[4:5], 0, v[26:27]
	global_load_dwordx4 v[4:7], v[4:5], off
	v_lshlrev_b32_e32 v10, 8, v43
	v_lshlrev_b32_e32 v8, 5, v8
	v_and_b32_e32 v9, 16, v40
	v_and_b32_e32 v10, 0xe00, v10
	v_or3_b32 v8, v10, v8, v9
	s_waitcnt vmcnt(0)
	ds_write_b128 v8, v[4:7]
.LBB1203_11:
	s_or_b64 exec, exec, s[12:13]
	s_waitcnt lgkmcnt(0)
	s_mul_i32 s4, s4, s46
	s_add_u32 s8, s8, s4
	s_addc_u32 s9, s9, 0
	v_mov_b32_e32 v29, 0
	v_mov_b64_e32 v[14:15], s[8:9]
	v_and_b32_e32 v10, 48, v0
	s_waitcnt vmcnt(3)
	v_mad_i64_i32 v[4:5], s[8:9], v3, s45, v[14:15]
	v_lshlrev_b32_e32 v22, 4, v43
	v_mov_b32_e32 v23, v29
	v_lshlrev_b32_e32 v28, 5, v10
	v_lshl_add_u64 v[4:5], v[4:5], 0, v[22:23]
	v_lshl_add_u64 v[4:5], v[4:5], 0, v[28:29]
	s_load_dword s33, s[0:1], 0x98
	s_load_dwordx4 s[40:43], s[0:1], 0x80
	s_waitcnt lgkmcnt(0)
	s_barrier
	global_load_dwordx4 v[18:21], v[4:5], off
	s_waitcnt vmcnt(3)
	v_mad_i64_i32 v[2:3], s[8:9], v2, s45, v[14:15]
	v_or_b32_e32 v16, 0x100, v22
	v_mov_b32_e32 v17, v29
	v_lshl_add_u64 v[2:3], v[2:3], 0, v[16:17]
	v_lshl_add_u64 v[2:3], v[2:3], 0, v[28:29]
	global_load_dwordx4 v[6:9], v[2:3], off
	s_ashr_i32 s8, s5, 31
	v_or_b32_e32 v31, s5, v10
	s_lshr_b32 s12, s8, 27
	v_add_u32_e32 v2, s12, v31
	v_ashrrev_i32_e32 v2, 5, v2
	v_mov_b32_e32 v33, s18
	v_cmp_gt_i32_e32 vcc, s48, v31
	s_waitcnt vmcnt(3)
	v_mad_i64_i32 v[24:25], s[8:9], v24, s45, v[14:15]
	v_cndmask_b32_e32 v2, v33, v2, vcc
	v_ashrrev_i32_e32 v3, 31, v2
	v_lshlrev_b32_e32 v44, 5, v43
	v_lshl_add_u64 v[22:23], v[24:25], 0, v[22:23]
	v_lshl_add_u64 v[2:3], v[2:3], 2, s[6:7]
	v_lshl_or_b32 v27, v1, 9, v44
	v_lshl_add_u64 v[22:23], v[22:23], 0, v[28:29]
	global_load_dword v52, v[2:3], off
	ds_read_b128 v[10:13], v27
	ds_read_b128 v[2:5], v27 offset:16
	global_load_dwordx4 v[22:25], v[22:23], off
	v_or_b32_e32 v32, 64, v31
	v_or_b32_e32 v34, 0x80, v31
	s_waitcnt vmcnt(4)
	v_mad_i64_i32 v[14:15], s[8:9], v30, s45, v[14:15]
	v_add_u32_e32 v30, s12, v32
	v_add_u32_e32 v35, s12, v34
	v_lshl_add_u64 v[14:15], v[14:15], 0, v[16:17]
	v_ashrrev_i32_e32 v16, 5, v30
	v_cmp_gt_i32_e32 vcc, s48, v32
	v_ashrrev_i32_e32 v17, 5, v35
	v_lshl_add_u64 v[14:15], v[14:15], 0, v[28:29]
	v_cndmask_b32_e32 v30, v33, v16, vcc
	v_cmp_gt_i32_e32 vcc, s48, v34
	v_or_b32_e32 v31, 0xc0, v31
	v_add_u32_e32 v36, s12, v31
	v_cndmask_b32_e32 v32, v33, v17, vcc
	global_load_dwordx4 v[14:17], v[14:15], off
	v_ashrrev_i32_e32 v35, 5, v36
	v_cmp_gt_i32_e32 vcc, s48, v31
	v_ashrrev_i32_e32 v31, 31, v30
	v_lshl_add_u64 v[30:31], v[30:31], 2, s[6:7]
	v_cndmask_b32_e32 v34, v33, v35, vcc
	v_ashrrev_i32_e32 v35, 31, v34
	v_ashrrev_i32_e32 v33, 31, v32
	v_lshl_add_u64 v[34:35], v[34:35], 2, s[6:7]
	s_add_u32 s8, s10, s4
	s_load_dword s4, s[40:41], 0x0
	v_lshl_add_u64 v[38:39], v[32:33], 2, s[6:7]
	global_load_dword v45, v[30:31], off
	global_load_dword v32, v[38:39], off
	global_load_dword v33, v[34:35], off
	s_addc_u32 s9, s11, 0
	v_and_b32_e32 v28, 16, v0
	s_mov_b32 s44, 0x7060302
	v_lshl_add_u64 v[36:37], s[8:9], 0, v[28:29]
	v_lshl_or_b32 v28, v41, 9, v44
	v_lshl_add_u64 v[28:29], v[36:37], 0, v[28:29]
	s_load_dword s13, s[0:1], 0x1c
	s_mov_b32 s46, 0xff7fffff
	s_waitcnt vmcnt(7)
	v_cvt_pk_f32_fp8_e32 v[30:31], v18
	v_cvt_pk_f32_fp8_sdwa v[34:35], v18 src0_sel:WORD_1
	v_cvt_pk_f32_fp8_e32 v[36:37], v19
	v_cvt_pk_f32_fp8_sdwa v[18:19], v19 src0_sel:WORD_1
	v_perm_b32 v30, v31, v30, s44
	v_perm_b32 v31, v35, v34, s44
	v_cvt_pk_f32_fp8_e32 v[38:39], v20
	v_cvt_pk_f32_fp8_sdwa v[46:47], v20 src0_sel:WORD_1
	v_perm_b32 v36, v37, v36, s44
	v_perm_b32 v37, v19, v18, s44
	v_cvt_pk_f32_fp8_e32 v[34:35], v21
	v_cvt_pk_f32_fp8_sdwa v[48:49], v21 src0_sel:WORD_1
	s_waitcnt lgkmcnt(0)
	v_mfma_f32_16x16x16_bf16 v[18:21], v[30:31], v[10:11], 0
	v_perm_b32 v38, v39, v38, s44
	v_perm_b32 v39, v47, v46, s44
	s_waitcnt vmcnt(6)
	v_cvt_pk_f32_fp8_e32 v[30:31], v6
	v_mfma_f32_16x16x16_bf16 v[18:21], v[36:37], v[12:13], v[18:21]
	v_cvt_pk_f32_fp8_sdwa v[46:47], v6 src0_sel:WORD_1
	v_perm_b32 v50, v35, v34, s44
	v_perm_b32 v51, v49, v48, s44
	v_mfma_f32_16x16x16_bf16 v[34:37], v[38:39], v[2:3], v[18:21]
	v_perm_b32 v30, v31, v30, s44
	v_perm_b32 v31, v47, v46, s44
	v_cvt_pk_f32_fp8_e32 v[38:39], v8
	v_cvt_pk_f32_fp8_e32 v[20:21], v7
	v_cvt_pk_f32_fp8_sdwa v[6:7], v7 src0_sel:WORD_1
	v_mfma_f32_16x16x16_bf16 v[34:37], v[50:51], v[4:5], v[34:37]
	v_cvt_pk_f32_fp8_sdwa v[50:51], v8 src0_sel:WORD_1
	v_perm_b32 v20, v21, v20, s44
	v_perm_b32 v21, v7, v6, s44
	v_mfma_f32_16x16x16_bf16 v[46:49], v[30:31], v[10:11], 0
	v_perm_b32 v30, v39, v38, s44
	v_perm_b32 v31, v51, v50, s44
	v_cvt_pk_f32_fp8_e32 v[38:39], v9
	v_cvt_pk_f32_fp8_sdwa v[50:51], v9 src0_sel:WORD_1
	v_mfma_f32_16x16x16_bf16 v[6:9], v[20:21], v[12:13], v[46:49]
	s_waitcnt vmcnt(5)
	v_mad_i64_i32 v[18:19], s[6:7], v52, s45, v[28:29]
	v_perm_b32 v20, v39, v38, s44
	v_perm_b32 v21, v51, v50, s44
	v_mfma_f32_16x16x16_bf16 v[6:9], v[30:31], v[2:3], v[6:9]
	s_waitcnt vmcnt(4)
	v_cvt_pk_f32_fp8_e32 v[30:31], v22
	v_cvt_pk_f32_fp8_sdwa v[38:39], v22 src0_sel:WORD_1
	v_mov_b32_e32 v46, s13
	v_mul_f32_e32 v54, s4, v46
	v_mfma_f32_16x16x16_bf16 v[46:49], v[20:21], v[4:5], v[6:9]
	v_cvt_pk_f32_fp8_sdwa v[20:21], v23 src0_sel:WORD_1
	s_nop 1
	v_cvt_pk_f32_fp8_e32 v[6:7], v23
	v_perm_b32 v8, v31, v30, s44
	v_perm_b32 v9, v39, v38, s44
	v_cvt_pk_f32_fp8_e32 v[30:31], v24
	v_perm_b32 v22, v7, v6, s44
	v_cvt_pk_f32_fp8_sdwa v[38:39], v24 src0_sel:WORD_1
	v_perm_b32 v23, v21, v20, s44
	v_mfma_f32_16x16x16_bf16 v[6:9], v[8:9], v[10:11], 0
	v_perm_b32 v20, v31, v30, s44
	v_perm_b32 v21, v39, v38, s44
	v_cvt_pk_f32_fp8_e32 v[30:31], v25
	v_mfma_f32_16x16x16_bf16 v[6:9], v[22:23], v[12:13], v[6:9]
	v_cvt_pk_f32_fp8_sdwa v[24:25], v25 src0_sel:WORD_1
	v_pk_mul_f32 v[22:23], v[54:55], v[36:37] op_sel_hi:[0,1]
	v_perm_b32 v30, v31, v30, s44
	v_mfma_f32_16x16x16_bf16 v[36:39], v[20:21], v[2:3], v[6:9]
	s_waitcnt vmcnt(3)
	v_cvt_pk_f32_fp8_sdwa v[20:21], v14 src0_sel:WORD_1
	v_perm_b32 v31, v25, v24, s44
	v_cvt_pk_f32_fp8_e32 v[24:25], v15
	v_cvt_pk_f32_fp8_e32 v[8:9], v14
	v_cvt_pk_f32_fp8_sdwa v[14:15], v15 src0_sel:WORD_1
	v_mfma_f32_16x16x16_bf16 v[50:53], v[30:31], v[4:5], v[36:39]
	v_perm_b32 v8, v9, v8, s44
	v_perm_b32 v9, v21, v20, s44
	;; [unrolled: 1-line block ×3, first 2 shown]
	v_cvt_pk_f32_fp8_e32 v[24:25], v16
	v_cvt_pk_f32_fp8_sdwa v[30:31], v16 src0_sel:WORD_1
	v_perm_b32 v21, v15, v14, s44
	v_mfma_f32_16x16x16_bf16 v[8:11], v[8:9], v[10:11], 0
	v_perm_b32 v14, v25, v24, s44
	v_perm_b32 v15, v31, v30, s44
	v_cvt_pk_f32_fp8_e32 v[24:25], v17
	v_cvt_pk_f32_fp8_sdwa v[16:17], v17 src0_sel:WORD_1
	v_mfma_f32_16x16x16_bf16 v[8:11], v[20:21], v[12:13], v[8:11]
	v_pk_mul_f32 v[6:7], v[54:55], v[34:35] op_sel_hi:[0,1]
	v_perm_b32 v12, v25, v24, s44
	v_perm_b32 v13, v17, v16, s44
	v_mfma_f32_16x16x16_bf16 v[8:11], v[14:15], v[2:3], v[8:11]
	v_pk_mul_f32 v[38:39], v[54:55], v[46:47] op_sel_hi:[0,1]
	v_pk_mul_f32 v[34:35], v[54:55], v[48:49] op_sel_hi:[0,1]
	v_pk_mul_f32 v[36:37], v[54:55], v[50:51] op_sel_hi:[0,1]
	v_mfma_f32_16x16x16_bf16 v[2:5], v[12:13], v[4:5], v[8:11]
	v_pk_mul_f32 v[30:31], v[54:55], v[52:53] op_sel_hi:[0,1]
	s_nop 5
	v_pk_mul_f32 v[24:25], v[54:55], v[2:3] op_sel_hi:[0,1]
	v_and_b32_e32 v2, 0xc0, v0
	v_add_u32_e32 v2, s5, v2
	v_lshl_or_b32 v2, v1, 2, v2
	v_pk_mul_f32 v[20:21], v[54:55], v[4:5] op_sel_hi:[0,1]
	v_or_b32_e32 v5, 1, v2
	v_mov_b32_e32 v3, 0xff7fffff
	v_cmp_gt_i32_e64 s[4:5], s48, v2
	v_cmp_gt_i32_e64 s[34:35], s48, v5
	v_or_b32_e32 v8, 3, v2
	v_cndmask_b32_e64 v4, v3, v6, s[4:5]
	v_cndmask_b32_e64 v5, v3, v7, s[34:35]
	v_max3_f32 v4, v4, s46, v5
	v_or_b32_e32 v5, 2, v2
	v_cmp_gt_i32_e64 s[36:37], s48, v5
	v_cmp_gt_i32_e64 s[38:39], s48, v8
	s_nop 0
	v_cndmask_b32_e64 v5, v3, v22, s[36:37]
	v_cndmask_b32_e64 v8, v3, v23, s[38:39]
	v_max3_f32 v4, v4, v5, v8
	v_or_b32_e32 v5, 16, v2
	v_or_b32_e32 v8, 17, v2
	v_cmp_gt_i32_e64 s[24:25], s48, v5
	v_cmp_gt_i32_e64 s[26:27], s48, v8
	s_nop 0
	v_cndmask_b32_e64 v5, v3, v38, s[24:25]
	v_cndmask_b32_e64 v8, v3, v39, s[26:27]
	v_max3_f32 v4, v4, v5, v8
	v_or_b32_e32 v5, 18, v2
	;; [unrolled: 8-line block ×6, first 2 shown]
	v_or_b32_e32 v2, 51, v2
	v_cmp_gt_i32_e32 vcc, s48, v5
	v_cmp_gt_i32_e64 s[6:7], s48, v2
	s_nop 0
	v_cndmask_b32_e32 v5, v3, v20, vcc
	v_cndmask_b32_e64 v2, v3, v21, s[6:7]
	v_max3_f32 v4, v4, v5, v2
	v_mbcnt_lo_u32_b32 v2, -1, 0
	v_mbcnt_hi_u32_b32 v5, -1, v2
	v_and_b32_e32 v2, 64, v5
	v_add_u32_e32 v8, 64, v2
	v_xor_b32_e32 v2, 32, v5
	v_cmp_lt_i32_e64 s[40:41], v2, v8
	s_nop 1
	v_cndmask_b32_e64 v2, v5, v2, s[40:41]
	v_lshlrev_b32_e32 v46, 2, v2
	ds_bpermute_b32 v9, v46, v4
	s_waitcnt vmcnt(2)
	v_mad_i64_i32 v[2:3], s[40:41], v45, s45, v[28:29]
	global_load_dwordx4 v[14:17], v[18:19], off
	global_load_dwordx4 v[10:13], v[2:3], off
	v_xor_b32_e32 v3, 16, v5
	v_cmp_lt_i32_e64 s[40:41], v3, v8
	s_waitcnt lgkmcnt(0)
	v_max_f32_e32 v2, v9, v9
	v_max_f32_e32 v2, v4, v2
	v_cndmask_b32_e64 v3, v5, v3, s[40:41]
	v_lshlrev_b32_e32 v47, 2, v3
	ds_bpermute_b32 v3, v47, v2
	s_waitcnt vmcnt(3)
	v_mad_i64_i32 v[18:19], s[40:41], v32, s45, v[28:29]
	s_waitcnt vmcnt(2)
	v_mad_i64_i32 v[28:29], s[40:41], v33, s45, v[28:29]
	s_waitcnt lgkmcnt(0)
	v_max_f32_e32 v3, v3, v3
	v_max_f32_e32 v45, v2, v3
	v_sub_f32_e32 v2, v6, v45
	v_mul_f32_e32 v2, 0x3fb8aa3b, v2
	v_exp_f32_e32 v32, v2
	v_sub_f32_e32 v2, v7, v45
	v_mul_f32_e32 v2, 0x3fb8aa3b, v2
	v_exp_f32_e32 v33, v2
	global_load_dwordx4 v[6:9], v[18:19], off
	global_load_dwordx4 v[2:5], v[28:29], off
	v_sub_f32_e32 v22, v22, v45
	v_mul_f32_e32 v22, 0x3fb8aa3b, v22
	v_sub_f32_e32 v23, v23, v45
	v_exp_f32_e32 v22, v22
	v_mul_f32_e32 v23, 0x3fb8aa3b, v23
	v_exp_f32_e32 v23, v23
	v_cndmask_b32_e64 v18, 0, v32, s[4:5]
	v_add_f32_e32 v28, 0, v18
	v_cndmask_b32_e64 v19, 0, v33, s[34:35]
	v_add_f32_e32 v28, v28, v19
	v_cndmask_b32_e64 v32, 0, v22, s[36:37]
	v_add_f32_e32 v22, v28, v32
	v_cndmask_b32_e64 v33, 0, v23, s[38:39]
	v_sub_f32_e32 v23, v38, v45
	v_sub_f32_e32 v28, v39, v45
	v_mul_f32_e32 v23, 0x3fb8aa3b, v23
	v_mul_f32_e32 v28, 0x3fb8aa3b, v28
	v_exp_f32_e32 v23, v23
	v_exp_f32_e32 v28, v28
	v_add_f32_e32 v29, v22, v33
	v_sub_f32_e32 v30, v30, v45
	v_cndmask_b32_e64 v22, 0, v23, s[24:25]
	v_cndmask_b32_e64 v23, 0, v28, s[26:27]
	v_sub_f32_e32 v28, v34, v45
	v_mul_f32_e32 v28, 0x3fb8aa3b, v28
	v_exp_f32_e32 v28, v28
	v_sub_f32_e32 v34, v35, v45
	v_add_f32_e32 v29, v29, v22
	v_mul_f32_e32 v34, 0x3fb8aa3b, v34
	v_exp_f32_e32 v35, v34
	v_add_f32_e32 v29, v29, v23
	v_cndmask_b32_e64 v34, 0, v28, s[20:21]
	v_add_f32_e32 v28, v29, v34
	v_sub_f32_e32 v29, v36, v45
	v_mul_f32_e32 v29, 0x3fb8aa3b, v29
	v_sub_f32_e32 v36, v37, v45
	v_exp_f32_e32 v29, v29
	v_mul_f32_e32 v36, 0x3fb8aa3b, v36
	v_exp_f32_e32 v36, v36
	v_mul_f32_e32 v30, 0x3fb8aa3b, v30
	v_sub_f32_e32 v31, v31, v45
	v_exp_f32_e32 v30, v30
	v_mul_f32_e32 v31, 0x3fb8aa3b, v31
	v_sub_f32_e32 v24, v24, v45
	v_cndmask_b32_e64 v35, 0, v35, s[22:23]
	v_exp_f32_e32 v31, v31
	v_mul_f32_e32 v24, 0x3fb8aa3b, v24
	v_sub_f32_e32 v25, v25, v45
	v_add_f32_e32 v37, v28, v35
	v_cndmask_b32_e64 v28, 0, v29, s[16:17]
	v_exp_f32_e32 v24, v24
	v_mul_f32_e32 v25, 0x3fb8aa3b, v25
	v_sub_f32_e32 v20, v20, v45
	v_add_f32_e32 v37, v37, v28
	;; [unrolled: 5-line block ×3, first 2 shown]
	v_cndmask_b32_e64 v30, 0, v30, s[12:13]
	v_exp_f32_e32 v20, v20
	v_mul_f32_e32 v21, 0x3fb8aa3b, v21
	v_add_f32_e32 v36, v36, v30
	v_cndmask_b32_e64 v31, 0, v31, s[14:15]
	v_exp_f32_e32 v21, v21
	v_add_f32_e32 v36, v36, v31
	v_cndmask_b32_e64 v24, 0, v24, s[8:9]
	v_add_f32_e32 v36, v36, v24
	v_cndmask_b32_e64 v25, 0, v25, s[10:11]
	v_add_f32_e32 v36, v36, v25
	v_cndmask_b32_e32 v20, 0, v20, vcc
	v_add_f32_e32 v36, v36, v20
	v_cndmask_b32_e64 v21, 0, v21, s[6:7]
	v_add_f32_e32 v36, v36, v21
	ds_bpermute_b32 v37, v46, v36
	v_cmp_gt_u32_e32 vcc, 16, v42
	s_waitcnt lgkmcnt(0)
	s_barrier
	v_add_f32_e32 v36, v36, v37
	ds_bpermute_b32 v38, v47, v36
	v_lshlrev_b32_e32 v37, 2, v43
	s_and_saveexec_b64 s[4:5], vcc
	s_cbranch_execz .LBB1203_13
; %bb.12:
	s_waitcnt lgkmcnt(0)
	v_add_f32_e32 v36, v36, v38
	v_lshl_or_b32 v38, v41, 6, v37
	ds_write2st64_b32 v38, v45, v36 offset1:1
.LBB1203_13:
	s_or_b64 exec, exec, s[4:5]
	s_load_dword s6, s[0:1], 0x94
	s_waitcnt lgkmcnt(0)
	s_barrier
	ds_read2_b32 v[38:39], v37 offset1:16
	ds_read2_b32 v[42:43], v37 offset0:32 offset1:48
	ds_read2_b32 v[46:47], v37 offset0:64 offset1:80
	s_movk_i32 s8, 0x7fff
	s_lshl_b32 s7, s33, 4
	s_waitcnt lgkmcnt(2)
	v_max3_f32 v36, v38, s46, v39
	s_waitcnt lgkmcnt(1)
	v_max3_f32 v36, v36, v42, v43
	v_sub_f32_e32 v38, v38, v36
	v_mul_f32_e32 v38, 0x3fb8aa3b, v38
	v_exp_f32_e32 v45, v38
	v_sub_f32_e32 v38, v39, v36
	v_mul_f32_e32 v38, 0x3fb8aa3b, v38
	v_exp_f32_e32 v48, v38
	;; [unrolled: 3-line block ×3, first 2 shown]
	ds_read2_b32 v[38:39], v37 offset0:96 offset1:112
	v_sub_f32_e32 v37, v43, v36
	v_mul_f32_e32 v37, 0x3fb8aa3b, v37
	v_exp_f32_e32 v43, v37
	s_waitcnt lgkmcnt(1)
	v_fma_f32 v37, v45, v46, 0
	v_fmac_f32_e32 v37, v48, v47
	s_waitcnt lgkmcnt(0)
	v_fmac_f32_e32 v37, v42, v38
	v_fmac_f32_e32 v37, v43, v39
	v_add_f32_e32 v38, 0x358637bd, v37
	v_div_scale_f32 v39, s[4:5], v38, v38, 1.0
	v_rcp_f32_e32 v46, v39
	s_barrier
	v_fma_f32 v47, -v39, v46, 1.0
	v_fmac_f32_e32 v46, v47, v46
	v_div_scale_f32 v47, vcc, 1.0, v38, 1.0
	v_mul_f32_e32 v49, v47, v46
	v_fma_f32 v50, -v39, v49, v47
	v_fmac_f32_e32 v49, v50, v46
	v_fma_f32 v39, -v39, v49, v47
	v_div_fmas_f32 v39, v39, v46, v49
	v_cmp_eq_u32_e32 vcc, 1, v41
	v_div_fixup_f32 v38, v39, v38, 1.0
	s_nop 0
	v_cndmask_b32_e32 v39, v45, v48, vcc
	v_cmp_eq_u32_e32 vcc, 2, v41
	s_nop 1
	v_cndmask_b32_e32 v39, v39, v42, vcc
	v_cmp_eq_u32_e32 vcc, 3, v41
	s_nop 1
	v_cndmask_b32_e32 v39, v39, v43, vcc
	v_mul_f32_e32 v38, v39, v38
	v_pk_mul_f32 v[18:19], v[38:39], v[18:19] op_sel_hi:[0,1]
	v_pk_mul_f32 v[32:33], v[38:39], v[32:33] op_sel_hi:[0,1]
	v_bfe_u32 v39, v19, 16, 1
	v_bfe_u32 v42, v18, 16, 1
	v_add3_u32 v18, v18, v42, s8
	v_add3_u32 v19, v19, v39, s8
	v_perm_b32 v42, v19, v18, s44
	v_bfe_u32 v18, v33, 16, 1
	v_bfe_u32 v19, v32, 16, 1
	v_add3_u32 v19, v32, v19, s8
	v_add3_u32 v18, v33, v18, s8
	v_perm_b32 v43, v18, v19, s44
	v_lshlrev_b32_e32 v18, 3, v1
	v_lshlrev_b32_e32 v19, 11, v41
	v_pk_mul_f32 v[22:23], v[38:39], v[22:23] op_sel_hi:[0,1]
	v_or3_b32 v18, v19, v44, v18
	v_pk_mul_f32 v[32:33], v[38:39], v[34:35] op_sel_hi:[0,1]
	v_bfe_u32 v19, v23, 16, 1
	v_bfe_u32 v34, v22, 16, 1
	v_add3_u32 v22, v22, v34, s8
	v_add3_u32 v19, v23, v19, s8
	v_perm_b32 v22, v19, v22, s44
	v_bfe_u32 v19, v33, 16, 1
	v_bfe_u32 v23, v32, 16, 1
	v_add3_u32 v23, v32, v23, s8
	v_add3_u32 v19, v33, v19, s8
	v_perm_b32 v23, v19, v23, s44
	v_pk_mul_f32 v[28:29], v[38:39], v[28:29] op_sel_hi:[0,1]
	ds_write2st64_b64 v18, v[42:43], v[22:23] offset1:1
	v_pk_mul_f32 v[22:23], v[38:39], v[30:31] op_sel_hi:[0,1]
	v_bfe_u32 v19, v29, 16, 1
	v_bfe_u32 v30, v28, 16, 1
	v_add3_u32 v28, v28, v30, s8
	v_add3_u32 v19, v29, v19, s8
	v_perm_b32 v28, v19, v28, s44
	v_bfe_u32 v19, v23, 16, 1
	v_bfe_u32 v29, v22, 16, 1
	v_add3_u32 v22, v22, v29, s8
	v_add3_u32 v19, v23, v19, s8
	v_perm_b32 v29, v19, v22, s44
	v_pk_mul_f32 v[22:23], v[38:39], v[24:25] op_sel_hi:[0,1]
	v_bfe_u32 v19, v23, 16, 1
	v_bfe_u32 v24, v22, 16, 1
	v_pk_mul_f32 v[20:21], v[38:39], v[20:21] op_sel_hi:[0,1]
	v_add3_u32 v22, v22, v24, s8
	v_add3_u32 v19, v23, v19, s8
	v_perm_b32 v22, v19, v22, s44
	v_bfe_u32 v19, v21, 16, 1
	v_bfe_u32 v23, v20, 16, 1
	v_add3_u32 v20, v20, v23, s8
	v_add3_u32 v19, v21, v19, s8
	v_perm_b32 v23, v19, v20, s44
	v_cmp_gt_u32_e32 vcc, 16, v0
	ds_write2st64_b64 v18, v[28:29], v[22:23] offset0:2 offset1:3
	s_and_saveexec_b64 s[4:5], vcc
	s_cbranch_execz .LBB1203_15
; %bb.14:
	v_or_b32_e32 v20, s29, v0
	v_mov_b32_e32 v21, 0
	v_mov_b32_e32 v19, s7
	v_mad_u64_u32 v[22:23], s[10:11], s2, v19, v[20:21]
	v_mov_b32_e32 v20, s28
	s_load_dwordx4 s[12:15], s[0:1], 0x58
	s_mul_i32 s3, s3, s7
	v_mad_u64_u32 v[20:21], s[10:11], v22, s6, v[20:21]
	v_add_u32_e32 v19, s3, v23
	v_mov_b32_e32 v22, v21
	v_mad_u64_u32 v[22:23], s[10:11], v19, s6, v[22:23]
	v_mov_b32_e32 v21, v22
	v_lshlrev_b64 v[20:21], 2, v[20:21]
	s_waitcnt lgkmcnt(0)
	v_lshl_add_u64 v[22:23], s[14:15], 0, v[20:21]
	v_lshl_add_u64 v[20:21], s[12:13], 0, v[20:21]
	global_store_dword v[22:23], v36, off
	global_store_dword v[20:21], v37, off
.LBB1203_15:
	s_or_b64 exec, exec, s[4:5]
	s_waitcnt vmcnt(3)
	v_cvt_pk_f32_fp8_e32 v[20:21], v14
	v_cvt_pk_f32_fp8_sdwa v[22:23], v14 src0_sel:WORD_1
	s_mov_b32 s4, 0x7060302
	s_waitcnt lgkmcnt(0)
	s_barrier
	v_perm_b32 v24, v21, v20, s4
	v_perm_b32 v25, v23, v22, s4
	v_cvt_pk_f32_fp8_e32 v[28:29], v15
	ds_read_b128 v[20:23], v27
	v_cvt_pk_f32_fp8_sdwa v[14:15], v15 src0_sel:WORD_1
	s_load_dword s10, s[42:43], 0x0
	v_perm_b32 v36, v29, v28, s4
	ds_read_b128 v[28:31], v27 offset:16
	v_perm_b32 v37, v15, v14, s4
	s_waitcnt lgkmcnt(0)
	v_mfma_f32_16x16x16_bf16 v[32:35], v[24:25], v[20:21], 0
	v_cvt_pk_f32_fp8_e32 v[14:15], v16
	v_cvt_pk_f32_fp8_sdwa v[24:25], v16 src0_sel:WORD_1
	v_cmp_gt_u32_e32 vcc, 64, v0
	v_mfma_f32_16x16x16_bf16 v[20:23], v[36:37], v[22:23], v[32:35]
	v_perm_b32 v14, v15, v14, s4
	v_perm_b32 v15, v25, v24, s4
	s_mov_b32 s3, 0
	v_cvt_pk_f32_fp8_e32 v[32:33], v17
	v_cvt_pk_f32_fp8_sdwa v[16:17], v17 src0_sel:WORD_1
	s_waitcnt vmcnt(2)
	v_cvt_pk_f32_fp8_sdwa v[34:35], v10 src0_sel:WORD_1
	v_perm_b32 v24, v33, v32, s4
	v_cvt_pk_f32_fp8_e32 v[32:33], v10
	v_perm_b32 v25, v17, v16, s4
	v_mfma_f32_16x16x16_bf16 v[14:17], v[14:15], v[28:29], v[20:23]
	v_cvt_pk_f32_fp8_e32 v[28:29], v11
	v_perm_b32 v32, v33, v32, s4
	v_perm_b32 v33, v35, v34, s4
	ds_read_b128 v[20:23], v27 offset:2048
	v_cvt_pk_f32_fp8_sdwa v[10:11], v11 src0_sel:WORD_1
	v_mfma_f32_16x16x16_bf16 v[14:17], v[24:25], v[30:31], v[14:17]
	v_perm_b32 v24, v29, v28, s4
	ds_read_b128 v[28:31], v27 offset:2064
	v_perm_b32 v25, v11, v10, s4
	s_waitcnt lgkmcnt(1)
	v_mfma_f32_16x16x16_bf16 v[14:17], v[32:33], v[20:21], v[14:17]
	v_cvt_pk_f32_fp8_e32 v[10:11], v12
	v_cvt_pk_f32_fp8_sdwa v[20:21], v12 src0_sel:WORD_1
	v_perm_b32 v10, v11, v10, s4
	v_mfma_f32_16x16x16_bf16 v[14:17], v[24:25], v[22:23], v[14:17]
	v_cvt_pk_f32_fp8_e32 v[22:23], v13
	v_perm_b32 v11, v21, v20, s4
	v_cvt_pk_f32_fp8_sdwa v[12:13], v13 src0_sel:WORD_1
	s_waitcnt vmcnt(1)
	v_cvt_pk_f32_fp8_sdwa v[24:25], v6 src0_sel:WORD_1
	v_perm_b32 v20, v23, v22, s4
	v_cvt_pk_f32_fp8_e32 v[22:23], v6
	v_perm_b32 v21, v13, v12, s4
	s_waitcnt lgkmcnt(0)
	v_mfma_f32_16x16x16_bf16 v[10:13], v[10:11], v[28:29], v[14:17]
	v_perm_b32 v29, v25, v24, s4
	v_perm_b32 v28, v23, v22, s4
	v_cvt_pk_f32_fp8_e32 v[22:23], v7
	ds_read_b128 v[14:17], v27 offset:4096
	v_cvt_pk_f32_fp8_sdwa v[6:7], v7 src0_sel:WORD_1
	v_mfma_f32_16x16x16_bf16 v[10:13], v[20:21], v[30:31], v[10:13]
	v_perm_b32 v24, v23, v22, s4
	ds_read_b128 v[20:23], v27 offset:4112
	v_perm_b32 v25, v7, v6, s4
	s_waitcnt lgkmcnt(1)
	v_mfma_f32_16x16x16_bf16 v[10:13], v[28:29], v[14:15], v[10:13]
	v_cvt_pk_f32_fp8_e32 v[6:7], v8
	v_cvt_pk_f32_fp8_sdwa v[14:15], v8 src0_sel:WORD_1
	v_perm_b32 v6, v7, v6, s4
	v_mfma_f32_16x16x16_bf16 v[10:13], v[24:25], v[16:17], v[10:13]
	v_cvt_pk_f32_fp8_e32 v[16:17], v9
	v_perm_b32 v7, v15, v14, s4
	v_cvt_pk_f32_fp8_sdwa v[8:9], v9 src0_sel:WORD_1
	s_waitcnt vmcnt(0)
	v_cvt_pk_f32_fp8_sdwa v[24:25], v2 src0_sel:WORD_1
	v_perm_b32 v14, v17, v16, s4
	v_cvt_pk_f32_fp8_e32 v[16:17], v2
	v_perm_b32 v15, v9, v8, s4
	s_waitcnt lgkmcnt(0)
	v_mfma_f32_16x16x16_bf16 v[6:9], v[6:7], v[20:21], v[10:13]
	v_perm_b32 v21, v25, v24, s4
	v_perm_b32 v20, v17, v16, s4
	v_cvt_pk_f32_fp8_e32 v[16:17], v3
	ds_read_b128 v[10:13], v27 offset:6144
	v_cvt_pk_f32_fp8_sdwa v[2:3], v3 src0_sel:WORD_1
	v_mfma_f32_16x16x16_bf16 v[6:9], v[14:15], v[22:23], v[6:9]
	v_perm_b32 v22, v17, v16, s4
	ds_read_b128 v[14:17], v27 offset:6160
	v_perm_b32 v23, v3, v2, s4
	s_waitcnt lgkmcnt(1)
	v_mfma_f32_16x16x16_bf16 v[6:9], v[20:21], v[10:11], v[6:9]
	v_cvt_pk_f32_fp8_e32 v[2:3], v4
	v_cvt_pk_f32_fp8_sdwa v[10:11], v4 src0_sel:WORD_1
	v_mov_b32_e32 v27, 0
	v_mfma_f32_16x16x16_bf16 v[6:9], v[22:23], v[12:13], v[6:9]
	v_perm_b32 v2, v3, v2, s4
	v_perm_b32 v3, v11, v10, s4
	v_cvt_pk_f32_fp8_e32 v[10:11], v5
	v_cvt_pk_f32_fp8_sdwa v[4:5], v5 src0_sel:WORD_1
	s_waitcnt lgkmcnt(0)
	s_barrier
	v_perm_b32 v10, v11, v10, s4
	v_perm_b32 v11, v5, v4, s4
	v_mfma_f32_16x16x16_bf16 v[2:5], v[2:3], v[14:15], v[6:9]
	s_nop 0
	v_mfma_f32_16x16x16_bf16 v[2:5], v[10:11], v[16:17], v[2:5]
	s_nop 6
	v_pk_mul_f32 v[2:3], v[2:3], s[10:11] op_sel_hi:[1,0]
	v_pk_mul_f32 v[4:5], v[4:5], s[10:11] op_sel_hi:[1,0]
	v_bfe_u32 v6, v3, 16, 1
	v_bfe_u32 v7, v2, 16, 1
	v_add3_u32 v2, v2, v7, s8
	v_add3_u32 v3, v3, v6, s8
	v_perm_b32 v2, v3, v2, s4
	v_bfe_u32 v3, v5, 16, 1
	v_bfe_u32 v6, v4, 16, 1
	v_add3_u32 v4, v4, v6, s8
	v_add3_u32 v3, v5, v3, s8
	v_perm_b32 v3, v3, v4, s4
	s_and_b64 s[4:5], vcc, s[30:31]
	ds_write_b64 v18, v[2:3]
	s_waitcnt lgkmcnt(0)
	s_barrier
	s_and_saveexec_b64 s[8:9], s[4:5]
	s_cbranch_execz .LBB1203_17
; %bb.16:
	s_load_dwordx2 s[0:1], s[0:1], 0x68
	s_lshl_b32 s6, s6, 6
	s_mul_i32 s2, s7, s2
	s_mul_hi_u32 s5, s2, s6
	s_mul_i32 s4, s2, s6
	s_lshl_b64 s[4:5], s[4:5], 1
	s_waitcnt lgkmcnt(0)
	s_add_u32 s4, s0, s4
	s_addc_u32 s5, s1, s5
	s_lshl_b32 s2, s28, 6
	v_lshlrev_b32_e32 v0, 10, v0
	s_lshl_b64 s[0:1], s[2:3], 1
	v_and_b32_e32 v0, 0x1800, v0
	v_lshlrev_b32_e32 v2, 5, v1
	v_and_b32_e32 v3, 16, v40
	s_add_u32 s0, s4, s0
	v_or3_b32 v0, v0, v2, v3
	s_addc_u32 s1, s5, s1
	v_or_b32_e32 v20, s29, v1
	ds_read_b128 v[2:5], v0
	ds_read_b128 v[6:9], v0 offset:128
	ds_read_b128 v[10:13], v0 offset:256
	;; [unrolled: 1-line block ×3, first 2 shown]
	v_lshl_add_u64 v[18:19], s[0:1], 0, v[26:27]
	v_mad_u64_u32 v[0:1], s[0:1], v20, s6, 0
	v_lshl_add_u64 v[0:1], v[0:1], 1, v[18:19]
	s_waitcnt lgkmcnt(3)
	global_store_dwordx4 v[0:1], v[2:5], off
	v_or_b32_e32 v0, 4, v20
	v_mad_u64_u32 v[0:1], s[0:1], v0, s6, 0
	v_lshl_add_u64 v[0:1], v[0:1], 1, v[18:19]
	s_waitcnt lgkmcnt(2)
	global_store_dwordx4 v[0:1], v[6:9], off
	v_or_b32_e32 v0, 8, v20
	;; [unrolled: 5-line block ×3, first 2 shown]
	v_mad_u64_u32 v[0:1], s[0:1], v0, s6, 0
	v_lshl_add_u64 v[0:1], v[0:1], 1, v[18:19]
	s_waitcnt lgkmcnt(0)
	global_store_dwordx4 v[0:1], v[14:17], off
.LBB1203_17:
	s_endpgm
	.section	.rodata,"a",@progbits
	.p2align	6, 0x0
	.amdhsa_kernel _Z39paged_attention_ll4mi_QKV_mfma16_kernelI14__hip_bfloat16hLN4vllm18Fp8KVCacheDataTypeE1EhLi32ELi64ELi256ELb0ELi16EEvPKT_PKT0_S8_ifPKiSA_SA_iPKfiiiPfSD_PS3_PT2_iSC_SC_
		.amdhsa_group_segment_fixed_size 8192
		.amdhsa_private_segment_fixed_size 0
		.amdhsa_kernarg_size 400
		.amdhsa_user_sgpr_count 2
		.amdhsa_user_sgpr_dispatch_ptr 0
		.amdhsa_user_sgpr_queue_ptr 0
		.amdhsa_user_sgpr_kernarg_segment_ptr 1
		.amdhsa_user_sgpr_dispatch_id 0
		.amdhsa_user_sgpr_kernarg_preload_length 0
		.amdhsa_user_sgpr_kernarg_preload_offset 0
		.amdhsa_user_sgpr_private_segment_size 0
		.amdhsa_uses_dynamic_stack 0
		.amdhsa_enable_private_segment 0
		.amdhsa_system_sgpr_workgroup_id_x 1
		.amdhsa_system_sgpr_workgroup_id_y 1
		.amdhsa_system_sgpr_workgroup_id_z 1
		.amdhsa_system_sgpr_workgroup_info 0
		.amdhsa_system_vgpr_workitem_id 0
		.amdhsa_next_free_vgpr 56
		.amdhsa_next_free_sgpr 49
		.amdhsa_accum_offset 56
		.amdhsa_reserve_vcc 1
		.amdhsa_float_round_mode_32 0
		.amdhsa_float_round_mode_16_64 0
		.amdhsa_float_denorm_mode_32 3
		.amdhsa_float_denorm_mode_16_64 3
		.amdhsa_dx10_clamp 1
		.amdhsa_ieee_mode 1
		.amdhsa_fp16_overflow 0
		.amdhsa_tg_split 0
		.amdhsa_exception_fp_ieee_invalid_op 0
		.amdhsa_exception_fp_denorm_src 0
		.amdhsa_exception_fp_ieee_div_zero 0
		.amdhsa_exception_fp_ieee_overflow 0
		.amdhsa_exception_fp_ieee_underflow 0
		.amdhsa_exception_fp_ieee_inexact 0
		.amdhsa_exception_int_div_zero 0
	.end_amdhsa_kernel
	.section	.text._Z39paged_attention_ll4mi_QKV_mfma16_kernelI14__hip_bfloat16hLN4vllm18Fp8KVCacheDataTypeE1EhLi32ELi64ELi256ELb0ELi16EEvPKT_PKT0_S8_ifPKiSA_SA_iPKfiiiPfSD_PS3_PT2_iSC_SC_,"axG",@progbits,_Z39paged_attention_ll4mi_QKV_mfma16_kernelI14__hip_bfloat16hLN4vllm18Fp8KVCacheDataTypeE1EhLi32ELi64ELi256ELb0ELi16EEvPKT_PKT0_S8_ifPKiSA_SA_iPKfiiiPfSD_PS3_PT2_iSC_SC_,comdat
.Lfunc_end1203:
	.size	_Z39paged_attention_ll4mi_QKV_mfma16_kernelI14__hip_bfloat16hLN4vllm18Fp8KVCacheDataTypeE1EhLi32ELi64ELi256ELb0ELi16EEvPKT_PKT0_S8_ifPKiSA_SA_iPKfiiiPfSD_PS3_PT2_iSC_SC_, .Lfunc_end1203-_Z39paged_attention_ll4mi_QKV_mfma16_kernelI14__hip_bfloat16hLN4vllm18Fp8KVCacheDataTypeE1EhLi32ELi64ELi256ELb0ELi16EEvPKT_PKT0_S8_ifPKiSA_SA_iPKfiiiPfSD_PS3_PT2_iSC_SC_
                                        ; -- End function
	.section	.AMDGPU.csdata,"",@progbits
; Kernel info:
; codeLenInByte = 4948
; NumSgprs: 55
; NumVgprs: 56
; NumAgprs: 0
; TotalNumVgprs: 56
; ScratchSize: 0
; MemoryBound: 0
; FloatMode: 240
; IeeeMode: 1
; LDSByteSize: 8192 bytes/workgroup (compile time only)
; SGPRBlocks: 6
; VGPRBlocks: 6
; NumSGPRsForWavesPerEU: 55
; NumVGPRsForWavesPerEU: 56
; AccumOffset: 56
; Occupancy: 8
; WaveLimiterHint : 1
; COMPUTE_PGM_RSRC2:SCRATCH_EN: 0
; COMPUTE_PGM_RSRC2:USER_SGPR: 2
; COMPUTE_PGM_RSRC2:TRAP_HANDLER: 0
; COMPUTE_PGM_RSRC2:TGID_X_EN: 1
; COMPUTE_PGM_RSRC2:TGID_Y_EN: 1
; COMPUTE_PGM_RSRC2:TGID_Z_EN: 1
; COMPUTE_PGM_RSRC2:TIDIG_COMP_CNT: 0
; COMPUTE_PGM_RSRC3_GFX90A:ACCUM_OFFSET: 13
; COMPUTE_PGM_RSRC3_GFX90A:TG_SPLIT: 0
	.section	.text._Z39paged_attention_ll4mi_QKV_mfma16_kernelI14__hip_bfloat16hLN4vllm18Fp8KVCacheDataTypeE1EhLi32ELi64ELi256ELb0ELi1EEvPKT_PKT0_S8_ifPKiSA_SA_iPKfiiiPfSD_PS3_PT2_iSC_SC_,"axG",@progbits,_Z39paged_attention_ll4mi_QKV_mfma16_kernelI14__hip_bfloat16hLN4vllm18Fp8KVCacheDataTypeE1EhLi32ELi64ELi256ELb0ELi1EEvPKT_PKT0_S8_ifPKiSA_SA_iPKfiiiPfSD_PS3_PT2_iSC_SC_,comdat
	.protected	_Z39paged_attention_ll4mi_QKV_mfma16_kernelI14__hip_bfloat16hLN4vllm18Fp8KVCacheDataTypeE1EhLi32ELi64ELi256ELb0ELi1EEvPKT_PKT0_S8_ifPKiSA_SA_iPKfiiiPfSD_PS3_PT2_iSC_SC_ ; -- Begin function _Z39paged_attention_ll4mi_QKV_mfma16_kernelI14__hip_bfloat16hLN4vllm18Fp8KVCacheDataTypeE1EhLi32ELi64ELi256ELb0ELi1EEvPKT_PKT0_S8_ifPKiSA_SA_iPKfiiiPfSD_PS3_PT2_iSC_SC_
	.globl	_Z39paged_attention_ll4mi_QKV_mfma16_kernelI14__hip_bfloat16hLN4vllm18Fp8KVCacheDataTypeE1EhLi32ELi64ELi256ELb0ELi1EEvPKT_PKT0_S8_ifPKiSA_SA_iPKfiiiPfSD_PS3_PT2_iSC_SC_
	.p2align	8
	.type	_Z39paged_attention_ll4mi_QKV_mfma16_kernelI14__hip_bfloat16hLN4vllm18Fp8KVCacheDataTypeE1EhLi32ELi64ELi256ELb0ELi1EEvPKT_PKT0_S8_ifPKiSA_SA_iPKfiiiPfSD_PS3_PT2_iSC_SC_,@function
_Z39paged_attention_ll4mi_QKV_mfma16_kernelI14__hip_bfloat16hLN4vllm18Fp8KVCacheDataTypeE1EhLi32ELi64ELi256ELb0ELi1EEvPKT_PKT0_S8_ifPKiSA_SA_iPKfiiiPfSD_PS3_PT2_iSC_SC_: ; @_Z39paged_attention_ll4mi_QKV_mfma16_kernelI14__hip_bfloat16hLN4vllm18Fp8KVCacheDataTypeE1EhLi32ELi64ELi256ELb0ELi1EEvPKT_PKT0_S8_ifPKiSA_SA_iPKfiiiPfSD_PS3_PT2_iSC_SC_
; %bb.0:
	s_load_dwordx2 s[12:13], s[0:1], 0x30
	s_mov_b32 s5, s3
	s_mov_b64 s[6:7], 0
	s_waitcnt lgkmcnt(0)
	s_cmp_lg_u64 s[12:13], 0
	s_cselect_b64 s[14:15], -1, 0
	s_and_b64 vcc, exec, s[14:15]
	s_cbranch_vccz .LBB1204_7
; %bb.1:
	s_add_i32 s8, s2, 1
	s_mov_b32 s9, 0
	s_lshl_b64 s[10:11], s[8:9], 2
	s_add_u32 s10, s12, s10
	s_mov_b32 s3, s9
	s_addc_u32 s11, s13, s11
	s_lshl_b64 s[8:9], s[2:3], 2
	s_add_u32 s8, s12, s8
	s_addc_u32 s9, s13, s9
	s_load_dword s16, s[10:11], 0x0
	s_load_dword s17, s[8:9], 0x0
	s_waitcnt lgkmcnt(0)
	s_sub_i32 s8, s16, s17
	s_cmp_eq_u32 s8, 1
	s_cselect_b64 s[8:9], -1, 0
	s_andn2_b64 vcc, exec, s[6:7]
	s_cbranch_vccnz .LBB1204_3
.LBB1204_2:
	s_mov_b32 s3, 0
	s_mov_b64 s[8:9], -1
.LBB1204_3:
	s_andn2_b64 vcc, exec, s[8:9]
	s_cbranch_vccnz .LBB1204_17
; %bb.4:
	s_load_dwordx2 s[6:7], s[0:1], 0x28
	s_lshl_b64 s[16:17], s[2:3], 2
	s_waitcnt lgkmcnt(0)
	s_add_u32 s6, s6, s16
	s_addc_u32 s7, s7, s17
	s_load_dword s33, s[6:7], 0x0
	s_lshl_b32 s18, s5, 8
	s_waitcnt lgkmcnt(0)
	s_cmp_ge_i32 s18, s33
	s_cbranch_scc1 .LBB1204_17
; %bb.5:
	s_load_dwordx2 s[6:7], s[0:1], 0x20
	s_load_dword s8, s[0:1], 0x38
	s_add_i32 s9, s33, 31
	s_ashr_i32 s10, s9, 31
	v_and_b32_e32 v1, 0xcf, v0
	s_lshr_b32 s10, s10, 27
	v_add_u32_e32 v1, s18, v1
	s_add_i32 s9, s9, s10
	v_ashrrev_i32_e32 v2, 31, v1
	s_ashr_i32 s19, s9, 5
	v_lshrrev_b32_e32 v10, 27, v2
	s_add_i32 s19, s19, -1
	s_waitcnt lgkmcnt(0)
	s_mul_i32 s8, s2, s8
	s_mov_b32 s9, 0
	v_add_u32_e32 v2, v1, v10
	s_lshl_b64 s[8:9], s[8:9], 2
	v_ashrrev_i32_e32 v2, 5, v2
	v_mov_b32_e32 v11, s19
	v_cmp_gt_i32_e32 vcc, s33, v1
	s_add_u32 s6, s6, s8
	s_addc_u32 s7, s7, s9
	v_cndmask_b32_e32 v2, v11, v2, vcc
	v_ashrrev_i32_e32 v3, 31, v2
	v_lshl_add_u64 v[4:5], v[2:3], 2, s[6:7]
	v_or_b32_e32 v2, 16, v1
	v_add_u32_e32 v3, v2, v10
	v_ashrrev_i32_e32 v3, 5, v3
	v_cmp_gt_i32_e32 vcc, s33, v2
	s_load_dwordx4 s[8:11], s[0:1], 0x8
	s_nop 0
	v_cndmask_b32_e32 v2, v11, v3, vcc
	v_ashrrev_i32_e32 v3, 31, v2
	v_lshl_add_u64 v[6:7], v[2:3], 2, s[6:7]
	v_or_b32_e32 v2, 32, v1
	v_add_u32_e32 v3, v2, v10
	v_ashrrev_i32_e32 v3, 5, v3
	v_cmp_gt_i32_e32 vcc, s33, v2
	v_or_b32_e32 v1, 48, v1
	s_nop 0
	v_cndmask_b32_e32 v2, v11, v3, vcc
	v_ashrrev_i32_e32 v3, 31, v2
	v_lshl_add_u64 v[8:9], v[2:3], 2, s[6:7]
	v_add_u32_e32 v2, v1, v10
	v_ashrrev_i32_e32 v2, 5, v2
	v_cmp_gt_i32_e32 vcc, s33, v1
	s_nop 1
	v_cndmask_b32_e32 v2, v11, v2, vcc
	v_ashrrev_i32_e32 v3, 31, v2
	v_lshl_add_u64 v[10:11], v[2:3], 2, s[6:7]
	global_load_dword v3, v[4:5], off
	global_load_dword v2, v[6:7], off
	;; [unrolled: 1-line block ×4, first 2 shown]
	s_andn2_b64 vcc, exec, s[14:15]
	s_cbranch_vccnz .LBB1204_8
; %bb.6:
	s_add_u32 s12, s12, s16
	s_addc_u32 s13, s13, s17
	s_load_dword s14, s[12:13], 0x0
	s_branch .LBB1204_9
.LBB1204_7:
	s_mov_b64 s[8:9], 0
	s_branch .LBB1204_2
.LBB1204_8:
	s_mov_b32 s14, s2
.LBB1204_9:
	s_load_dwordx4 s[44:47], s[0:1], 0x48
	v_lshrrev_b32_e32 v42, 6, v0
	v_bfe_u32 v40, v0, 4, 2
	v_lshl_or_b32 v1, v42, 2, v40
	v_and_b32_e32 v45, 15, v0
	v_lshlrev_b32_e32 v4, 3, v45
	v_cmp_eq_u32_e32 vcc, 0, v1
	v_cmp_gt_u32_e64 s[28:29], 8, v45
	v_and_b32_e32 v44, 63, v0
	s_and_b64 s[16:17], s[28:29], vcc
	v_lshlrev_b32_e32 v1, 1, v4
	v_lshlrev_b32_e32 v41, 4, v0
	s_and_saveexec_b64 s[12:13], s[16:17]
	s_cbranch_execz .LBB1204_11
; %bb.10:
	s_load_dwordx2 s[16:17], s[0:1], 0x0
	s_waitcnt lgkmcnt(0)
	s_ashr_i32 s15, s44, 31
	s_mul_hi_u32 s20, s14, s44
	s_mul_i32 s15, s14, s15
	s_add_i32 s15, s20, s15
	s_mul_i32 s14, s14, s44
	s_lshl_b64 s[14:15], s[14:15], 1
	s_add_u32 s16, s16, s14
	s_addc_u32 s17, s17, s15
	s_lshl_b32 s14, s4, 6
	s_ashr_i32 s15, s14, 31
	s_lshl_b64 s[14:15], s[14:15], 1
	s_add_u32 s14, s16, s14
	s_addc_u32 s15, s17, s15
	global_load_dwordx4 v[4:7], v1, s[14:15]
	v_lshlrev_b32_e32 v8, 8, v45
	v_and_b32_e32 v9, 16, v41
	s_movk_i32 s14, 0xe00
	v_and_or_b32 v8, v8, s14, v9
	s_waitcnt vmcnt(0)
	ds_write_b128 v8, v[4:7]
.LBB1204_11:
	s_or_b64 exec, exec, s[12:13]
	s_waitcnt lgkmcnt(0)
	s_mul_i32 s12, s4, s46
	s_add_u32 s8, s8, s12
	s_addc_u32 s9, s9, 0
	v_mov_b32_e32 v27, 0
	v_mov_b64_e32 v[14:15], s[8:9]
	v_and_b32_e32 v6, 48, v0
	s_waitcnt vmcnt(3)
	v_mad_i64_i32 v[4:5], s[8:9], v3, s45, v[14:15]
	v_lshlrev_b32_e32 v22, 4, v45
	v_mov_b32_e32 v23, v27
	v_lshlrev_b32_e32 v26, 5, v6
	v_lshl_add_u64 v[4:5], v[4:5], 0, v[22:23]
	v_lshl_add_u64 v[4:5], v[4:5], 0, v[26:27]
	s_barrier
	global_load_dwordx4 v[18:21], v[4:5], off
	s_waitcnt vmcnt(3)
	v_mad_i64_i32 v[2:3], s[8:9], v2, s45, v[14:15]
	v_or_b32_e32 v16, 0x100, v22
	v_mov_b32_e32 v17, v27
	v_lshl_add_u64 v[2:3], v[2:3], 0, v[16:17]
	v_lshl_add_u64 v[2:3], v[2:3], 0, v[26:27]
	global_load_dwordx4 v[2:5], v[2:3], off
	s_ashr_i32 s8, s18, 31
	v_or_b32_e32 v29, s18, v6
	s_lshr_b32 s13, s8, 27
	v_add_u32_e32 v6, s13, v29
	v_ashrrev_i32_e32 v6, 5, v6
	v_mov_b32_e32 v31, s19
	v_cmp_gt_i32_e32 vcc, s33, v29
	s_waitcnt vmcnt(3)
	v_mad_i64_i32 v[24:25], s[8:9], v24, s45, v[14:15]
	v_cndmask_b32_e32 v6, v31, v6, vcc
	v_ashrrev_i32_e32 v7, 31, v6
	v_lshl_add_u64 v[6:7], v[6:7], 2, s[6:7]
	v_lshl_add_u64 v[22:23], v[24:25], 0, v[22:23]
	global_load_dword v52, v[6:7], off
	v_lshlrev_b32_e32 v6, 9, v40
	v_lshl_add_u64 v[22:23], v[22:23], 0, v[26:27]
	s_load_dword s14, s[0:1], 0x1c
	s_load_dwordx4 s[40:43], s[0:1], 0x80
	ds_read_b128 v[10:13], v6
	ds_read_b128 v[6:9], v6 offset:16
	global_load_dwordx4 v[22:25], v[22:23], off
	v_or_b32_e32 v30, 64, v29
	v_or_b32_e32 v32, 0x80, v29
	s_waitcnt vmcnt(4)
	v_mad_i64_i32 v[14:15], s[8:9], v28, s45, v[14:15]
	v_add_u32_e32 v28, s13, v30
	v_add_u32_e32 v33, s13, v32
	v_lshl_add_u64 v[14:15], v[14:15], 0, v[16:17]
	v_ashrrev_i32_e32 v16, 5, v28
	v_cmp_gt_i32_e32 vcc, s33, v30
	v_ashrrev_i32_e32 v17, 5, v33
	v_lshl_add_u64 v[14:15], v[14:15], 0, v[26:27]
	v_cndmask_b32_e32 v28, v31, v16, vcc
	v_cmp_gt_i32_e32 vcc, s33, v32
	v_or_b32_e32 v29, 0xc0, v29
	v_add_u32_e32 v34, s13, v29
	v_cndmask_b32_e32 v30, v31, v17, vcc
	global_load_dwordx4 v[14:17], v[14:15], off
	s_add_u32 s8, s10, s12
	v_ashrrev_i32_e32 v33, 5, v34
	v_cmp_gt_i32_e32 vcc, s33, v29
	v_lshlrev_b32_e32 v43, 5, v45
	s_addc_u32 s9, s11, 0
	v_cndmask_b32_e32 v32, v31, v33, vcc
	v_and_b32_e32 v26, 16, v0
	v_ashrrev_i32_e32 v29, 31, v28
	v_ashrrev_i32_e32 v31, 31, v30
	;; [unrolled: 1-line block ×3, first 2 shown]
	v_lshl_add_u64 v[34:35], s[8:9], 0, v[26:27]
	v_lshl_or_b32 v26, v42, 9, v43
	v_lshl_add_u64 v[36:37], v[28:29], 2, s[6:7]
	v_lshl_add_u64 v[30:31], v[30:31], 2, s[6:7]
	s_waitcnt lgkmcnt(0)
	s_load_dword s10, s[40:41], 0x0
	v_lshl_add_u64 v[38:39], v[32:33], 2, s[6:7]
	v_lshl_add_u64 v[28:29], v[34:35], 0, v[26:27]
	global_load_dword v33, v[36:37], off
	global_load_dword v26, v[30:31], off
	;; [unrolled: 1-line block ×3, first 2 shown]
	s_mov_b32 s44, 0x7060302
	s_mov_b32 s46, 0xff7fffff
	s_waitcnt vmcnt(7)
	v_cvt_pk_f32_fp8_e32 v[30:31], v18
	v_cvt_pk_f32_fp8_sdwa v[34:35], v18 src0_sel:WORD_1
	v_cvt_pk_f32_fp8_e32 v[36:37], v19
	v_cvt_pk_f32_fp8_sdwa v[18:19], v19 src0_sel:WORD_1
	v_perm_b32 v30, v31, v30, s44
	v_perm_b32 v31, v35, v34, s44
	v_cvt_pk_f32_fp8_e32 v[38:39], v20
	v_cvt_pk_f32_fp8_sdwa v[46:47], v20 src0_sel:WORD_1
	v_perm_b32 v36, v37, v36, s44
	v_perm_b32 v37, v19, v18, s44
	v_cvt_pk_f32_fp8_e32 v[48:49], v21
	v_cvt_pk_f32_fp8_sdwa v[34:35], v21 src0_sel:WORD_1
	v_mfma_f32_16x16x16_bf16 v[18:21], v[30:31], v[10:11], 0
	v_perm_b32 v38, v39, v38, s44
	v_perm_b32 v39, v47, v46, s44
	s_waitcnt vmcnt(6)
	v_cvt_pk_f32_fp8_e32 v[50:51], v2
	v_cvt_pk_f32_fp8_sdwa v[30:31], v2 src0_sel:WORD_1
	v_mfma_f32_16x16x16_bf16 v[18:21], v[36:37], v[12:13], v[18:21]
	v_cvt_pk_f32_fp8_e32 v[46:47], v3
	v_perm_b32 v48, v49, v48, s44
	v_perm_b32 v49, v35, v34, s44
	v_mfma_f32_16x16x16_bf16 v[34:37], v[38:39], v[6:7], v[18:21]
	v_cvt_pk_f32_fp8_sdwa v[2:3], v3 src0_sel:WORD_1
	v_cvt_pk_f32_fp8_e32 v[38:39], v4
	s_nop 0
	v_perm_b32 v20, v51, v50, s44
	v_perm_b32 v21, v31, v30, s44
	;; [unrolled: 1-line block ×3, first 2 shown]
	v_cvt_pk_f32_fp8_sdwa v[50:51], v4 src0_sel:WORD_1
	v_perm_b32 v31, v3, v2, s44
	v_mfma_f32_16x16x16_bf16 v[34:37], v[48:49], v[8:9], v[34:37]
	s_waitcnt vmcnt(5)
	v_mad_i64_i32 v[18:19], s[6:7], v52, s45, v[28:29]
	v_mfma_f32_16x16x16_bf16 v[46:49], v[20:21], v[10:11], 0
	v_perm_b32 v20, v39, v38, s44
	v_perm_b32 v21, v51, v50, s44
	v_cvt_pk_f32_fp8_e32 v[38:39], v5
	v_cvt_pk_f32_fp8_sdwa v[50:51], v5 src0_sel:WORD_1
	v_mfma_f32_16x16x16_bf16 v[2:5], v[30:31], v[12:13], v[46:49]
	v_perm_b32 v30, v39, v38, s44
	v_perm_b32 v31, v51, v50, s44
	v_mfma_f32_16x16x16_bf16 v[2:5], v[20:21], v[6:7], v[2:5]
	s_waitcnt vmcnt(4)
	v_cvt_pk_f32_fp8_e32 v[20:21], v22
	v_cvt_pk_f32_fp8_sdwa v[38:39], v22 src0_sel:WORD_1
	v_mov_b32_e32 v46, s14
	s_waitcnt lgkmcnt(0)
	v_mul_f32_e32 v54, s10, v46
	v_mfma_f32_16x16x16_bf16 v[46:49], v[30:31], v[8:9], v[2:5]
	v_cvt_pk_f32_fp8_e32 v[30:31], v24
	s_nop 1
	v_cvt_pk_f32_fp8_e32 v[2:3], v23
	v_perm_b32 v4, v21, v20, s44
	v_perm_b32 v5, v39, v38, s44
	v_cvt_pk_f32_fp8_sdwa v[20:21], v23 src0_sel:WORD_1
	v_perm_b32 v22, v3, v2, s44
	v_cvt_pk_f32_fp8_sdwa v[38:39], v24 src0_sel:WORD_1
	v_mfma_f32_16x16x16_bf16 v[2:5], v[4:5], v[10:11], 0
	v_perm_b32 v23, v21, v20, s44
	v_perm_b32 v20, v31, v30, s44
	;; [unrolled: 1-line block ×3, first 2 shown]
	v_mfma_f32_16x16x16_bf16 v[2:5], v[22:23], v[12:13], v[2:5]
	v_cvt_pk_f32_fp8_e32 v[30:31], v25
	v_cvt_pk_f32_fp8_sdwa v[24:25], v25 src0_sel:WORD_1
	v_pk_mul_f32 v[22:23], v[54:55], v[36:37] op_sel_hi:[0,1]
	v_mfma_f32_16x16x16_bf16 v[36:39], v[20:21], v[6:7], v[2:5]
	s_waitcnt vmcnt(3)
	v_cvt_pk_f32_fp8_sdwa v[20:21], v14 src0_sel:WORD_1
	v_perm_b32 v30, v31, v30, s44
	v_perm_b32 v31, v25, v24, s44
	v_cvt_pk_f32_fp8_e32 v[4:5], v14
	v_cvt_pk_f32_fp8_e32 v[24:25], v15
	v_cvt_pk_f32_fp8_sdwa v[14:15], v15 src0_sel:WORD_1
	v_mfma_f32_16x16x16_bf16 v[50:53], v[30:31], v[8:9], v[36:39]
	v_perm_b32 v4, v5, v4, s44
	v_perm_b32 v5, v21, v20, s44
	v_perm_b32 v20, v25, v24, s44
	v_cvt_pk_f32_fp8_e32 v[24:25], v16
	v_cvt_pk_f32_fp8_sdwa v[30:31], v16 src0_sel:WORD_1
	v_perm_b32 v21, v15, v14, s44
	v_pk_mul_f32 v[2:3], v[54:55], v[34:35] op_sel_hi:[0,1]
	v_mfma_f32_16x16x16_bf16 v[34:37], v[4:5], v[10:11], 0
	v_perm_b32 v4, v25, v24, s44
	v_perm_b32 v5, v31, v30, s44
	v_cvt_pk_f32_fp8_e32 v[14:15], v17
	v_cvt_pk_f32_fp8_sdwa v[16:17], v17 src0_sel:WORD_1
	v_mfma_f32_16x16x16_bf16 v[10:13], v[20:21], v[12:13], v[34:37]
	v_pk_mul_f32 v[38:39], v[54:55], v[46:47] op_sel_hi:[0,1]
	v_perm_b32 v14, v15, v14, s44
	v_perm_b32 v15, v17, v16, s44
	v_mfma_f32_16x16x16_bf16 v[4:7], v[4:5], v[6:7], v[10:13]
	v_pk_mul_f32 v[34:35], v[54:55], v[48:49] op_sel_hi:[0,1]
	v_pk_mul_f32 v[36:37], v[54:55], v[50:51] op_sel_hi:[0,1]
	;; [unrolled: 1-line block ×3, first 2 shown]
	v_mfma_f32_16x16x16_bf16 v[4:7], v[14:15], v[8:9], v[4:7]
	s_nop 6
	v_pk_mul_f32 v[24:25], v[54:55], v[4:5] op_sel_hi:[0,1]
	v_and_b32_e32 v4, 0xc0, v0
	v_add_u32_e32 v4, s18, v4
	v_lshl_or_b32 v4, v40, 2, v4
	v_pk_mul_f32 v[20:21], v[54:55], v[6:7] op_sel_hi:[0,1]
	v_or_b32_e32 v7, 1, v4
	v_mov_b32_e32 v5, 0xff7fffff
	v_cmp_gt_i32_e64 s[30:31], s33, v4
	v_cmp_gt_i32_e64 s[34:35], s33, v7
	v_or_b32_e32 v8, 3, v4
	v_cndmask_b32_e64 v6, v5, v2, s[30:31]
	v_cndmask_b32_e64 v7, v5, v3, s[34:35]
	v_max3_f32 v6, v6, s46, v7
	v_or_b32_e32 v7, 2, v4
	v_cmp_gt_i32_e64 s[36:37], s33, v7
	v_cmp_gt_i32_e64 s[38:39], s33, v8
	s_nop 0
	v_cndmask_b32_e64 v7, v5, v22, s[36:37]
	v_cndmask_b32_e64 v8, v5, v23, s[38:39]
	v_max3_f32 v6, v6, v7, v8
	v_or_b32_e32 v7, 16, v4
	v_or_b32_e32 v8, 17, v4
	v_cmp_gt_i32_e64 s[24:25], s33, v7
	v_cmp_gt_i32_e64 s[26:27], s33, v8
	s_nop 0
	v_cndmask_b32_e64 v7, v5, v38, s[24:25]
	v_cndmask_b32_e64 v8, v5, v39, s[26:27]
	v_max3_f32 v6, v6, v7, v8
	v_or_b32_e32 v7, 18, v4
	;; [unrolled: 8-line block ×6, first 2 shown]
	v_or_b32_e32 v4, 51, v4
	v_cmp_gt_i32_e32 vcc, s33, v7
	v_cmp_gt_i32_e64 s[6:7], s33, v4
	s_nop 0
	v_cndmask_b32_e32 v7, v5, v20, vcc
	v_cndmask_b32_e64 v4, v5, v21, s[6:7]
	v_max3_f32 v6, v6, v7, v4
	v_mbcnt_lo_u32_b32 v4, -1, 0
	v_mbcnt_hi_u32_b32 v7, -1, v4
	v_and_b32_e32 v4, 64, v7
	v_add_u32_e32 v8, 64, v4
	v_xor_b32_e32 v4, 32, v7
	v_cmp_lt_i32_e64 s[40:41], v4, v8
	s_nop 1
	v_cndmask_b32_e64 v4, v7, v4, s[40:41]
	v_lshlrev_b32_e32 v46, 2, v4
	ds_bpermute_b32 v9, v46, v6
	s_waitcnt vmcnt(2)
	v_mad_i64_i32 v[4:5], s[40:41], v33, s45, v[28:29]
	global_load_dwordx4 v[14:17], v[18:19], off
	global_load_dwordx4 v[10:13], v[4:5], off
	v_xor_b32_e32 v5, 16, v7
	v_cmp_lt_i32_e64 s[40:41], v5, v8
	s_waitcnt lgkmcnt(0)
	v_max_f32_e32 v4, v9, v9
	v_max_f32_e32 v4, v6, v4
	v_cndmask_b32_e64 v5, v7, v5, s[40:41]
	v_lshlrev_b32_e32 v47, 2, v5
	ds_bpermute_b32 v5, v47, v4
	s_waitcnt vmcnt(3)
	v_mad_i64_i32 v[18:19], s[40:41], v26, s45, v[28:29]
	s_waitcnt vmcnt(2)
	v_mad_i64_i32 v[28:29], s[40:41], v32, s45, v[28:29]
	s_waitcnt lgkmcnt(0)
	v_max_f32_e32 v5, v5, v5
	v_max_f32_e32 v26, v4, v5
	v_sub_f32_e32 v2, v2, v26
	v_mul_f32_e32 v2, 0x3fb8aa3b, v2
	v_exp_f32_e32 v32, v2
	v_sub_f32_e32 v2, v3, v26
	v_mul_f32_e32 v2, 0x3fb8aa3b, v2
	v_exp_f32_e32 v33, v2
	global_load_dwordx4 v[6:9], v[18:19], off
	global_load_dwordx4 v[2:5], v[28:29], off
	v_sub_f32_e32 v22, v22, v26
	v_mul_f32_e32 v22, 0x3fb8aa3b, v22
	v_sub_f32_e32 v23, v23, v26
	v_exp_f32_e32 v22, v22
	v_mul_f32_e32 v23, 0x3fb8aa3b, v23
	v_exp_f32_e32 v23, v23
	v_cndmask_b32_e64 v18, 0, v32, s[30:31]
	v_add_f32_e32 v28, 0, v18
	v_cndmask_b32_e64 v19, 0, v33, s[34:35]
	v_add_f32_e32 v28, v28, v19
	;; [unrolled: 2-line block ×3, first 2 shown]
	v_cndmask_b32_e64 v33, 0, v23, s[38:39]
	v_sub_f32_e32 v23, v38, v26
	v_sub_f32_e32 v28, v39, v26
	v_mul_f32_e32 v23, 0x3fb8aa3b, v23
	v_mul_f32_e32 v28, 0x3fb8aa3b, v28
	v_exp_f32_e32 v23, v23
	v_exp_f32_e32 v28, v28
	v_add_f32_e32 v29, v22, v33
	v_sub_f32_e32 v30, v30, v26
	v_cndmask_b32_e64 v22, 0, v23, s[24:25]
	v_cndmask_b32_e64 v23, 0, v28, s[26:27]
	v_sub_f32_e32 v28, v34, v26
	v_mul_f32_e32 v28, 0x3fb8aa3b, v28
	v_exp_f32_e32 v28, v28
	v_sub_f32_e32 v34, v35, v26
	v_add_f32_e32 v29, v29, v22
	v_mul_f32_e32 v34, 0x3fb8aa3b, v34
	v_exp_f32_e32 v35, v34
	v_add_f32_e32 v29, v29, v23
	v_cndmask_b32_e64 v34, 0, v28, s[20:21]
	v_add_f32_e32 v28, v29, v34
	v_sub_f32_e32 v29, v36, v26
	v_mul_f32_e32 v29, 0x3fb8aa3b, v29
	v_sub_f32_e32 v36, v37, v26
	v_exp_f32_e32 v29, v29
	v_mul_f32_e32 v36, 0x3fb8aa3b, v36
	v_exp_f32_e32 v36, v36
	v_mul_f32_e32 v30, 0x3fb8aa3b, v30
	v_sub_f32_e32 v31, v31, v26
	v_exp_f32_e32 v30, v30
	v_mul_f32_e32 v31, 0x3fb8aa3b, v31
	v_sub_f32_e32 v24, v24, v26
	v_cndmask_b32_e64 v35, 0, v35, s[22:23]
	v_exp_f32_e32 v31, v31
	v_mul_f32_e32 v24, 0x3fb8aa3b, v24
	v_sub_f32_e32 v25, v25, v26
	v_add_f32_e32 v37, v28, v35
	v_cndmask_b32_e64 v28, 0, v29, s[16:17]
	v_exp_f32_e32 v24, v24
	v_mul_f32_e32 v25, 0x3fb8aa3b, v25
	v_sub_f32_e32 v20, v20, v26
	v_add_f32_e32 v37, v37, v28
	;; [unrolled: 5-line block ×3, first 2 shown]
	v_cndmask_b32_e64 v30, 0, v30, s[12:13]
	v_exp_f32_e32 v20, v20
	v_mul_f32_e32 v21, 0x3fb8aa3b, v21
	v_add_f32_e32 v36, v36, v30
	v_cndmask_b32_e64 v31, 0, v31, s[14:15]
	v_exp_f32_e32 v21, v21
	v_add_f32_e32 v36, v36, v31
	v_cndmask_b32_e64 v24, 0, v24, s[8:9]
	v_add_f32_e32 v36, v36, v24
	v_cndmask_b32_e64 v25, 0, v25, s[10:11]
	v_add_f32_e32 v36, v36, v25
	v_cndmask_b32_e32 v20, 0, v20, vcc
	v_add_f32_e32 v36, v36, v20
	v_cndmask_b32_e64 v21, 0, v21, s[6:7]
	v_add_f32_e32 v36, v36, v21
	ds_bpermute_b32 v37, v46, v36
	v_cmp_gt_u32_e64 s[6:7], 16, v44
	s_waitcnt lgkmcnt(0)
	s_barrier
	v_add_f32_e32 v37, v36, v37
	ds_bpermute_b32 v38, v47, v37
	v_lshlrev_b32_e32 v36, 2, v45
	s_and_saveexec_b64 s[8:9], s[6:7]
	s_cbranch_execz .LBB1204_13
; %bb.12:
	s_waitcnt lgkmcnt(0)
	v_add_f32_e32 v37, v37, v38
	v_lshl_or_b32 v38, v42, 6, v36
	ds_write2st64_b32 v38, v26, v37 offset1:1
.LBB1204_13:
	s_or_b64 exec, exec, s[8:9]
	s_load_dwordx2 s[8:9], s[0:1], 0x94
	s_waitcnt lgkmcnt(0)
	s_barrier
	ds_read2_b32 v[38:39], v36 offset1:16
	ds_read2_b32 v[44:45], v36 offset0:32 offset1:48
	ds_read2_b32 v[46:47], v36 offset0:64 offset1:80
	s_movk_i32 s12, 0x7fff
	s_waitcnt lgkmcnt(2)
	v_max3_f32 v26, v38, s46, v39
	s_waitcnt lgkmcnt(1)
	v_max3_f32 v26, v26, v44, v45
	v_sub_f32_e32 v37, v38, v26
	v_sub_f32_e32 v38, v39, v26
	v_mul_f32_e32 v38, 0x3fb8aa3b, v38
	v_mul_f32_e32 v37, 0x3fb8aa3b, v37
	v_exp_f32_e32 v48, v38
	v_sub_f32_e32 v38, v44, v26
	v_exp_f32_e32 v37, v37
	v_mul_f32_e32 v38, 0x3fb8aa3b, v38
	v_exp_f32_e32 v44, v38
	ds_read2_b32 v[38:39], v36 offset0:96 offset1:112
	v_sub_f32_e32 v36, v45, v26
	v_mul_f32_e32 v36, 0x3fb8aa3b, v36
	v_exp_f32_e32 v45, v36
	s_waitcnt lgkmcnt(1)
	v_fma_f32 v36, v37, v46, 0
	v_fmac_f32_e32 v36, v48, v47
	s_waitcnt lgkmcnt(0)
	v_fmac_f32_e32 v36, v44, v38
	v_fmac_f32_e32 v36, v45, v39
	v_add_f32_e32 v38, 0x358637bd, v36
	v_div_scale_f32 v39, s[10:11], v38, v38, 1.0
	v_rcp_f32_e32 v46, v39
	s_barrier
	v_fma_f32 v47, -v39, v46, 1.0
	v_fmac_f32_e32 v46, v47, v46
	v_div_scale_f32 v47, vcc, 1.0, v38, 1.0
	v_mul_f32_e32 v49, v47, v46
	v_fma_f32 v50, -v39, v49, v47
	v_fmac_f32_e32 v49, v50, v46
	v_fma_f32 v39, -v39, v49, v47
	v_div_fmas_f32 v39, v39, v46, v49
	v_cmp_eq_u32_e32 vcc, 1, v42
	v_div_fixup_f32 v38, v39, v38, 1.0
	s_nop 0
	v_cndmask_b32_e32 v37, v37, v48, vcc
	v_cmp_eq_u32_e32 vcc, 2, v42
	s_nop 1
	v_cndmask_b32_e32 v37, v37, v44, vcc
	v_cmp_eq_u32_e32 vcc, 3, v42
	s_nop 1
	v_cndmask_b32_e32 v37, v37, v45, vcc
	v_mul_f32_e32 v38, v37, v38
	v_pk_mul_f32 v[18:19], v[38:39], v[18:19] op_sel_hi:[0,1]
	v_pk_mul_f32 v[32:33], v[38:39], v[32:33] op_sel_hi:[0,1]
	v_bfe_u32 v37, v19, 16, 1
	v_bfe_u32 v39, v18, 16, 1
	v_add3_u32 v18, v18, v39, s12
	v_add3_u32 v19, v19, v37, s12
	v_perm_b32 v44, v19, v18, s44
	v_bfe_u32 v18, v33, 16, 1
	v_bfe_u32 v19, v32, 16, 1
	v_add3_u32 v19, v32, v19, s12
	v_add3_u32 v18, v33, v18, s12
	v_perm_b32 v45, v18, v19, s44
	v_lshlrev_b32_e32 v18, 3, v40
	v_lshlrev_b32_e32 v19, 11, v42
	v_pk_mul_f32 v[22:23], v[38:39], v[22:23] op_sel_hi:[0,1]
	v_or3_b32 v18, v19, v43, v18
	v_pk_mul_f32 v[32:33], v[38:39], v[34:35] op_sel_hi:[0,1]
	v_bfe_u32 v19, v23, 16, 1
	v_bfe_u32 v34, v22, 16, 1
	v_add3_u32 v22, v22, v34, s12
	v_add3_u32 v19, v23, v19, s12
	v_perm_b32 v22, v19, v22, s44
	v_bfe_u32 v19, v33, 16, 1
	v_bfe_u32 v23, v32, 16, 1
	v_add3_u32 v23, v32, v23, s12
	v_add3_u32 v19, v33, v19, s12
	v_perm_b32 v23, v19, v23, s44
	v_pk_mul_f32 v[28:29], v[38:39], v[28:29] op_sel_hi:[0,1]
	ds_write2st64_b64 v18, v[44:45], v[22:23] offset1:1
	v_pk_mul_f32 v[22:23], v[38:39], v[30:31] op_sel_hi:[0,1]
	v_bfe_u32 v19, v29, 16, 1
	v_bfe_u32 v30, v28, 16, 1
	v_add3_u32 v28, v28, v30, s12
	v_add3_u32 v19, v29, v19, s12
	v_perm_b32 v28, v19, v28, s44
	v_bfe_u32 v19, v23, 16, 1
	v_bfe_u32 v29, v22, 16, 1
	v_add3_u32 v22, v22, v29, s12
	v_add3_u32 v19, v23, v19, s12
	v_perm_b32 v29, v19, v22, s44
	v_pk_mul_f32 v[22:23], v[38:39], v[24:25] op_sel_hi:[0,1]
	v_bfe_u32 v19, v23, 16, 1
	v_bfe_u32 v24, v22, 16, 1
	v_pk_mul_f32 v[20:21], v[38:39], v[20:21] op_sel_hi:[0,1]
	v_add3_u32 v22, v22, v24, s12
	v_add3_u32 v19, v23, v19, s12
	v_perm_b32 v22, v19, v22, s44
	v_bfe_u32 v19, v21, 16, 1
	v_bfe_u32 v23, v20, 16, 1
	v_add3_u32 v20, v20, v23, s12
	v_add3_u32 v19, v21, v19, s12
	v_perm_b32 v23, v19, v20, s44
	v_cmp_eq_u32_e32 vcc, 0, v0
	ds_write2st64_b64 v18, v[28:29], v[22:23] offset0:2 offset1:3
	s_and_saveexec_b64 s[10:11], vcc
	s_cbranch_execz .LBB1204_15
; %bb.14:
	s_mul_i32 s3, s3, s9
	s_mul_hi_u32 s13, s2, s9
	s_add_i32 s13, s13, s3
	s_mul_i32 s3, s2, s9
	s_add_u32 s3, s3, s4
	s_addc_u32 s13, s13, 0
	s_load_dwordx4 s[16:19], s[0:1], 0x58
	s_mul_i32 s13, s13, s8
	s_mul_hi_u32 s14, s3, s8
	s_add_i32 s13, s14, s13
	s_mul_i32 s3, s3, s8
	s_add_u32 s14, s3, s5
	s_addc_u32 s15, s13, 0
	s_lshl_b64 s[14:15], s[14:15], 2
	s_waitcnt lgkmcnt(0)
	s_add_u32 s18, s18, s14
	s_addc_u32 s19, s19, s15
	s_add_u32 s14, s16, s14
	s_addc_u32 s15, s17, s15
	global_store_dword v27, v26, s[18:19]
	global_store_dword v27, v36, s[14:15]
.LBB1204_15:
	s_or_b64 exec, exec, s[10:11]
	s_waitcnt vmcnt(3)
	v_cvt_pk_f32_fp8_e32 v[20:21], v14
	v_cvt_pk_f32_fp8_sdwa v[22:23], v14 src0_sel:WORD_1
	s_mov_b32 s10, 0x7060302
	v_lshl_or_b32 v14, v40, 9, v43
	s_waitcnt lgkmcnt(0)
	s_barrier
	v_cvt_pk_f32_fp8_e32 v[24:25], v15
	v_perm_b32 v28, v21, v20, s10
	v_perm_b32 v29, v23, v22, s10
	v_cvt_pk_f32_fp8_sdwa v[26:27], v15 src0_sel:WORD_1
	ds_read_b128 v[20:23], v14
	v_perm_b32 v32, v25, v24, s10
	v_cvt_pk_f32_fp8_e32 v[34:35], v16
	v_perm_b32 v33, v27, v26, s10
	ds_read_b128 v[24:27], v14 offset:16
	v_cvt_pk_f32_fp8_sdwa v[36:37], v16 src0_sel:WORD_1
	s_waitcnt lgkmcnt(1)
	v_mfma_f32_16x16x16_bf16 v[28:31], v[28:29], v[20:21], 0
	v_perm_b32 v34, v35, v34, s10
	s_load_dword s14, s[42:43], 0x0
	v_perm_b32 v35, v37, v36, s10
	v_cvt_pk_f32_fp8_e32 v[36:37], v17
	v_cvt_pk_f32_fp8_sdwa v[16:17], v17 src0_sel:WORD_1
	v_mfma_f32_16x16x16_bf16 v[20:23], v[32:33], v[22:23], v[28:31]
	v_cmp_gt_u32_e32 vcc, 64, v0
	s_mov_b32 s3, 0
	s_nop 0
	v_perm_b32 v28, v37, v36, s10
	v_perm_b32 v29, v17, v16, s10
	s_waitcnt lgkmcnt(0)
	v_mfma_f32_16x16x16_bf16 v[20:23], v[34:35], v[24:25], v[20:23]
	s_waitcnt vmcnt(2)
	v_cvt_pk_f32_fp8_e32 v[16:17], v10
	v_cvt_pk_f32_fp8_sdwa v[24:25], v10 src0_sel:WORD_1
	v_cvt_pk_f32_fp8_sdwa v[34:35], v12 src0_sel:WORD_1
	v_mfma_f32_16x16x16_bf16 v[20:23], v[28:29], v[26:27], v[20:23]
	v_cvt_pk_f32_fp8_e32 v[26:27], v11
	v_perm_b32 v10, v17, v16, s10
	v_cvt_pk_f32_fp8_sdwa v[16:17], v11 src0_sel:WORD_1
	v_perm_b32 v11, v25, v24, s10
	v_perm_b32 v32, v27, v26, s10
	ds_read_b128 v[24:27], v14 offset:2048
	ds_read_b128 v[28:31], v14 offset:2064
	v_perm_b32 v33, v17, v16, s10
	v_cvt_pk_f32_fp8_e32 v[16:17], v12
	s_waitcnt lgkmcnt(1)
	v_mfma_f32_16x16x16_bf16 v[20:23], v[10:11], v[24:25], v[20:23]
	v_perm_b32 v11, v35, v34, s10
	v_perm_b32 v10, v17, v16, s10
	v_cvt_pk_f32_fp8_e32 v[16:17], v13
	v_cvt_pk_f32_fp8_sdwa v[24:25], v13 src0_sel:WORD_1
	v_mfma_f32_16x16x16_bf16 v[20:23], v[32:33], v[26:27], v[20:23]
	v_perm_b32 v16, v17, v16, s10
	v_perm_b32 v17, v25, v24, s10
	s_waitcnt lgkmcnt(0)
	v_mfma_f32_16x16x16_bf16 v[10:13], v[10:11], v[28:29], v[20:23]
	s_waitcnt vmcnt(1)
	v_cvt_pk_f32_fp8_sdwa v[24:25], v7 src0_sel:WORD_1
	v_cvt_pk_f32_fp8_e32 v[28:29], v8
	v_cvt_pk_f32_fp8_e32 v[20:21], v6
	v_mfma_f32_16x16x16_bf16 v[10:13], v[16:17], v[30:31], v[10:13]
	v_cvt_pk_f32_fp8_sdwa v[16:17], v6 src0_sel:WORD_1
	v_cvt_pk_f32_fp8_e32 v[22:23], v7
	v_perm_b32 v6, v21, v20, s10
	v_cvt_pk_f32_fp8_sdwa v[30:31], v8 src0_sel:WORD_1
	v_perm_b32 v7, v17, v16, s10
	v_perm_b32 v16, v23, v22, s10
	ds_read_b128 v[20:23], v14 offset:4096
	v_perm_b32 v17, v25, v24, s10
	ds_read_b128 v[24:27], v14 offset:4112
	s_waitcnt lgkmcnt(1)
	v_mfma_f32_16x16x16_bf16 v[10:13], v[6:7], v[20:21], v[10:13]
	v_perm_b32 v6, v29, v28, s10
	v_perm_b32 v7, v31, v30, s10
	v_cvt_pk_f32_fp8_e32 v[20:21], v9
	v_mfma_f32_16x16x16_bf16 v[10:13], v[16:17], v[22:23], v[10:13]
	v_cvt_pk_f32_fp8_sdwa v[16:17], v9 src0_sel:WORD_1
	v_perm_b32 v20, v21, v20, s10
	s_waitcnt lgkmcnt(0)
	v_mfma_f32_16x16x16_bf16 v[6:9], v[6:7], v[24:25], v[10:13]
	v_perm_b32 v21, v17, v16, s10
	s_waitcnt vmcnt(0)
	v_cvt_pk_f32_fp8_e32 v[16:17], v3
	v_cvt_pk_f32_fp8_sdwa v[24:25], v4 src0_sel:WORD_1
	v_cvt_pk_f32_fp8_e32 v[10:11], v2
	v_cvt_pk_f32_fp8_sdwa v[12:13], v2 src0_sel:WORD_1
	v_mfma_f32_16x16x16_bf16 v[6:9], v[20:21], v[26:27], v[6:9]
	v_cvt_pk_f32_fp8_sdwa v[20:21], v3 src0_sel:WORD_1
	v_perm_b32 v2, v11, v10, s10
	v_perm_b32 v3, v13, v12, s10
	ds_read_b128 v[10:13], v14 offset:6144
	v_perm_b32 v22, v17, v16, s10
	v_perm_b32 v23, v21, v20, s10
	v_cvt_pk_f32_fp8_e32 v[20:21], v4
	s_waitcnt lgkmcnt(0)
	v_mfma_f32_16x16x16_bf16 v[6:9], v[2:3], v[10:11], v[6:9]
	ds_read_b128 v[14:17], v14 offset:6160
	v_perm_b32 v2, v21, v20, s10
	v_perm_b32 v3, v25, v24, s10
	v_cvt_pk_f32_fp8_e32 v[10:11], v5
	v_mfma_f32_16x16x16_bf16 v[6:9], v[22:23], v[12:13], v[6:9]
	v_cvt_pk_f32_fp8_sdwa v[12:13], v5 src0_sel:WORD_1
	s_waitcnt lgkmcnt(0)
	v_perm_b32 v10, v11, v10, s10
	v_mfma_f32_16x16x16_bf16 v[2:5], v[2:3], v[14:15], v[6:9]
	v_perm_b32 v11, v13, v12, s10
	s_barrier
	s_nop 0
	v_mfma_f32_16x16x16_bf16 v[2:5], v[10:11], v[16:17], v[2:5]
	s_nop 6
	v_pk_mul_f32 v[2:3], v[2:3], s[14:15] op_sel_hi:[1,0]
	v_pk_mul_f32 v[4:5], v[4:5], s[14:15] op_sel_hi:[1,0]
	v_bfe_u32 v6, v3, 16, 1
	v_bfe_u32 v7, v2, 16, 1
	v_add3_u32 v2, v2, v7, s12
	v_add3_u32 v3, v3, v6, s12
	v_perm_b32 v2, v3, v2, s10
	v_bfe_u32 v3, v5, 16, 1
	v_bfe_u32 v6, v4, 16, 1
	v_add3_u32 v4, v4, v6, s12
	v_add3_u32 v3, v5, v3, s12
	v_perm_b32 v3, v3, v4, s10
	s_and_b64 s[10:11], s[28:29], vcc
	s_and_b64 s[6:7], s[10:11], s[6:7]
	ds_write_b64 v18, v[2:3]
	s_waitcnt lgkmcnt(0)
	s_barrier
	s_and_saveexec_b64 s[10:11], s[6:7]
	s_cbranch_execz .LBB1204_17
; %bb.16:
	s_load_dwordx2 s[0:1], s[0:1], 0x68
	s_mul_i32 s2, s9, s2
	s_lshl_b32 s8, s8, 6
	s_mul_hi_u32 s7, s2, s8
	s_mul_i32 s6, s2, s8
	s_lshl_b64 s[6:7], s[6:7], 1
	v_lshlrev_b32_e32 v0, 10, v0
	s_waitcnt lgkmcnt(0)
	s_add_u32 s6, s0, s6
	v_and_b32_e32 v0, 0x1800, v0
	v_lshlrev_b32_e32 v2, 5, v40
	v_and_b32_e32 v3, 16, v41
	s_addc_u32 s7, s1, s7
	s_lshl_b32 s2, s5, 6
	v_or3_b32 v0, v0, v2, v3
	s_lshl_b64 s[0:1], s[2:3], 1
	ds_read_b128 v[2:5], v0
	s_add_u32 s2, s6, s0
	s_addc_u32 s3, s7, s1
	s_mul_hi_u32 s1, s8, s4
	s_mul_i32 s0, s8, s4
	s_lshl_b64 s[0:1], s[0:1], 1
	s_add_u32 s0, s2, s0
	s_addc_u32 s1, s3, s1
	s_waitcnt lgkmcnt(0)
	global_store_dwordx4 v1, v[2:5], s[0:1]
.LBB1204_17:
	s_endpgm
	.section	.rodata,"a",@progbits
	.p2align	6, 0x0
	.amdhsa_kernel _Z39paged_attention_ll4mi_QKV_mfma16_kernelI14__hip_bfloat16hLN4vllm18Fp8KVCacheDataTypeE1EhLi32ELi64ELi256ELb0ELi1EEvPKT_PKT0_S8_ifPKiSA_SA_iPKfiiiPfSD_PS3_PT2_iSC_SC_
		.amdhsa_group_segment_fixed_size 8192
		.amdhsa_private_segment_fixed_size 0
		.amdhsa_kernarg_size 400
		.amdhsa_user_sgpr_count 2
		.amdhsa_user_sgpr_dispatch_ptr 0
		.amdhsa_user_sgpr_queue_ptr 0
		.amdhsa_user_sgpr_kernarg_segment_ptr 1
		.amdhsa_user_sgpr_dispatch_id 0
		.amdhsa_user_sgpr_kernarg_preload_length 0
		.amdhsa_user_sgpr_kernarg_preload_offset 0
		.amdhsa_user_sgpr_private_segment_size 0
		.amdhsa_uses_dynamic_stack 0
		.amdhsa_enable_private_segment 0
		.amdhsa_system_sgpr_workgroup_id_x 1
		.amdhsa_system_sgpr_workgroup_id_y 1
		.amdhsa_system_sgpr_workgroup_id_z 1
		.amdhsa_system_sgpr_workgroup_info 0
		.amdhsa_system_vgpr_workitem_id 0
		.amdhsa_next_free_vgpr 56
		.amdhsa_next_free_sgpr 48
		.amdhsa_accum_offset 56
		.amdhsa_reserve_vcc 1
		.amdhsa_float_round_mode_32 0
		.amdhsa_float_round_mode_16_64 0
		.amdhsa_float_denorm_mode_32 3
		.amdhsa_float_denorm_mode_16_64 3
		.amdhsa_dx10_clamp 1
		.amdhsa_ieee_mode 1
		.amdhsa_fp16_overflow 0
		.amdhsa_tg_split 0
		.amdhsa_exception_fp_ieee_invalid_op 0
		.amdhsa_exception_fp_denorm_src 0
		.amdhsa_exception_fp_ieee_div_zero 0
		.amdhsa_exception_fp_ieee_overflow 0
		.amdhsa_exception_fp_ieee_underflow 0
		.amdhsa_exception_fp_ieee_inexact 0
		.amdhsa_exception_int_div_zero 0
	.end_amdhsa_kernel
	.section	.text._Z39paged_attention_ll4mi_QKV_mfma16_kernelI14__hip_bfloat16hLN4vllm18Fp8KVCacheDataTypeE1EhLi32ELi64ELi256ELb0ELi1EEvPKT_PKT0_S8_ifPKiSA_SA_iPKfiiiPfSD_PS3_PT2_iSC_SC_,"axG",@progbits,_Z39paged_attention_ll4mi_QKV_mfma16_kernelI14__hip_bfloat16hLN4vllm18Fp8KVCacheDataTypeE1EhLi32ELi64ELi256ELb0ELi1EEvPKT_PKT0_S8_ifPKiSA_SA_iPKfiiiPfSD_PS3_PT2_iSC_SC_,comdat
.Lfunc_end1204:
	.size	_Z39paged_attention_ll4mi_QKV_mfma16_kernelI14__hip_bfloat16hLN4vllm18Fp8KVCacheDataTypeE1EhLi32ELi64ELi256ELb0ELi1EEvPKT_PKT0_S8_ifPKiSA_SA_iPKfiiiPfSD_PS3_PT2_iSC_SC_, .Lfunc_end1204-_Z39paged_attention_ll4mi_QKV_mfma16_kernelI14__hip_bfloat16hLN4vllm18Fp8KVCacheDataTypeE1EhLi32ELi64ELi256ELb0ELi1EEvPKT_PKT0_S8_ifPKiSA_SA_iPKfiiiPfSD_PS3_PT2_iSC_SC_
                                        ; -- End function
	.section	.AMDGPU.csdata,"",@progbits
; Kernel info:
; codeLenInByte = 4788
; NumSgprs: 54
; NumVgprs: 56
; NumAgprs: 0
; TotalNumVgprs: 56
; ScratchSize: 0
; MemoryBound: 0
; FloatMode: 240
; IeeeMode: 1
; LDSByteSize: 8192 bytes/workgroup (compile time only)
; SGPRBlocks: 6
; VGPRBlocks: 6
; NumSGPRsForWavesPerEU: 54
; NumVGPRsForWavesPerEU: 56
; AccumOffset: 56
; Occupancy: 8
; WaveLimiterHint : 1
; COMPUTE_PGM_RSRC2:SCRATCH_EN: 0
; COMPUTE_PGM_RSRC2:USER_SGPR: 2
; COMPUTE_PGM_RSRC2:TRAP_HANDLER: 0
; COMPUTE_PGM_RSRC2:TGID_X_EN: 1
; COMPUTE_PGM_RSRC2:TGID_Y_EN: 1
; COMPUTE_PGM_RSRC2:TGID_Z_EN: 1
; COMPUTE_PGM_RSRC2:TIDIG_COMP_CNT: 0
; COMPUTE_PGM_RSRC3_GFX90A:ACCUM_OFFSET: 13
; COMPUTE_PGM_RSRC3_GFX90A:TG_SPLIT: 0
	.section	.text._Z39paged_attention_ll4mi_QKV_mfma16_kernelI14__hip_bfloat16hLN4vllm18Fp8KVCacheDataTypeE1EhLi32ELi64ELi256ELb0ELi2EEvPKT_PKT0_S8_ifPKiSA_SA_iPKfiiiPfSD_PS3_PT2_iSC_SC_,"axG",@progbits,_Z39paged_attention_ll4mi_QKV_mfma16_kernelI14__hip_bfloat16hLN4vllm18Fp8KVCacheDataTypeE1EhLi32ELi64ELi256ELb0ELi2EEvPKT_PKT0_S8_ifPKiSA_SA_iPKfiiiPfSD_PS3_PT2_iSC_SC_,comdat
	.protected	_Z39paged_attention_ll4mi_QKV_mfma16_kernelI14__hip_bfloat16hLN4vllm18Fp8KVCacheDataTypeE1EhLi32ELi64ELi256ELb0ELi2EEvPKT_PKT0_S8_ifPKiSA_SA_iPKfiiiPfSD_PS3_PT2_iSC_SC_ ; -- Begin function _Z39paged_attention_ll4mi_QKV_mfma16_kernelI14__hip_bfloat16hLN4vllm18Fp8KVCacheDataTypeE1EhLi32ELi64ELi256ELb0ELi2EEvPKT_PKT0_S8_ifPKiSA_SA_iPKfiiiPfSD_PS3_PT2_iSC_SC_
	.globl	_Z39paged_attention_ll4mi_QKV_mfma16_kernelI14__hip_bfloat16hLN4vllm18Fp8KVCacheDataTypeE1EhLi32ELi64ELi256ELb0ELi2EEvPKT_PKT0_S8_ifPKiSA_SA_iPKfiiiPfSD_PS3_PT2_iSC_SC_
	.p2align	8
	.type	_Z39paged_attention_ll4mi_QKV_mfma16_kernelI14__hip_bfloat16hLN4vllm18Fp8KVCacheDataTypeE1EhLi32ELi64ELi256ELb0ELi2EEvPKT_PKT0_S8_ifPKiSA_SA_iPKfiiiPfSD_PS3_PT2_iSC_SC_,@function
_Z39paged_attention_ll4mi_QKV_mfma16_kernelI14__hip_bfloat16hLN4vllm18Fp8KVCacheDataTypeE1EhLi32ELi64ELi256ELb0ELi2EEvPKT_PKT0_S8_ifPKiSA_SA_iPKfiiiPfSD_PS3_PT2_iSC_SC_: ; @_Z39paged_attention_ll4mi_QKV_mfma16_kernelI14__hip_bfloat16hLN4vllm18Fp8KVCacheDataTypeE1EhLi32ELi64ELi256ELb0ELi2EEvPKT_PKT0_S8_ifPKiSA_SA_iPKfiiiPfSD_PS3_PT2_iSC_SC_
; %bb.0:
	s_load_dwordx2 s[12:13], s[0:1], 0x30
	s_mov_b32 s28, s3
	s_mov_b64 s[6:7], 0
	s_waitcnt lgkmcnt(0)
	s_cmp_lg_u64 s[12:13], 0
	s_cselect_b64 s[14:15], -1, 0
	s_and_b64 vcc, exec, s[14:15]
	s_cbranch_vccz .LBB1205_7
; %bb.1:
	s_add_i32 s8, s2, 1
	s_mov_b32 s9, 0
	s_lshl_b64 s[10:11], s[8:9], 2
	s_add_u32 s10, s12, s10
	s_mov_b32 s3, s9
	s_addc_u32 s11, s13, s11
	s_lshl_b64 s[8:9], s[2:3], 2
	s_add_u32 s8, s12, s8
	s_addc_u32 s9, s13, s9
	s_load_dword s5, s[10:11], 0x0
	s_load_dword s16, s[8:9], 0x0
	s_waitcnt lgkmcnt(0)
	s_sub_i32 s5, s5, s16
	s_cmp_eq_u32 s5, 1
	s_cselect_b64 s[8:9], -1, 0
	s_andn2_b64 vcc, exec, s[6:7]
	s_cbranch_vccnz .LBB1205_3
.LBB1205_2:
	s_mov_b32 s3, 0
	s_mov_b64 s[8:9], -1
.LBB1205_3:
	s_andn2_b64 vcc, exec, s[8:9]
	s_cbranch_vccnz .LBB1205_17
; %bb.4:
	s_load_dwordx2 s[6:7], s[0:1], 0x28
	s_lshl_b64 s[16:17], s[2:3], 2
	s_waitcnt lgkmcnt(0)
	s_add_u32 s6, s6, s16
	s_addc_u32 s7, s7, s17
	s_load_dword s48, s[6:7], 0x0
	s_lshl_b32 s5, s28, 8
	s_waitcnt lgkmcnt(0)
	s_cmp_ge_i32 s5, s48
	s_cbranch_scc1 .LBB1205_17
; %bb.5:
	s_load_dwordx2 s[6:7], s[0:1], 0x20
	s_load_dword s8, s[0:1], 0x38
	s_add_i32 s9, s48, 31
	s_ashr_i32 s10, s9, 31
	v_and_b32_e32 v1, 0xcf, v0
	s_lshr_b32 s10, s10, 27
	v_add_u32_e32 v1, s5, v1
	s_add_i32 s9, s9, s10
	v_ashrrev_i32_e32 v2, 31, v1
	s_ashr_i32 s18, s9, 5
	v_lshrrev_b32_e32 v4, 27, v2
	s_add_i32 s18, s18, -1
	s_waitcnt lgkmcnt(0)
	s_mul_i32 s8, s2, s8
	s_mov_b32 s9, 0
	v_add_u32_e32 v2, v1, v4
	s_lshl_b64 s[8:9], s[8:9], 2
	v_ashrrev_i32_e32 v2, 5, v2
	v_mov_b32_e32 v5, s18
	v_cmp_gt_i32_e32 vcc, s48, v1
	s_add_u32 s6, s6, s8
	s_addc_u32 s7, s7, s9
	v_cndmask_b32_e32 v2, v5, v2, vcc
	v_ashrrev_i32_e32 v3, 31, v2
	v_lshl_add_u64 v[6:7], v[2:3], 2, s[6:7]
	v_or_b32_e32 v2, 16, v1
	v_add_u32_e32 v3, v2, v4
	v_ashrrev_i32_e32 v3, 5, v3
	v_cmp_gt_i32_e32 vcc, s48, v2
	s_load_dwordx4 s[8:11], s[0:1], 0x8
	s_nop 0
	v_cndmask_b32_e32 v2, v5, v3, vcc
	v_ashrrev_i32_e32 v3, 31, v2
	v_lshl_add_u64 v[8:9], v[2:3], 2, s[6:7]
	v_or_b32_e32 v2, 32, v1
	v_add_u32_e32 v3, v2, v4
	v_ashrrev_i32_e32 v3, 5, v3
	v_cmp_gt_i32_e32 vcc, s48, v2
	v_or_b32_e32 v1, 48, v1
	s_nop 0
	v_cndmask_b32_e32 v2, v5, v3, vcc
	v_ashrrev_i32_e32 v3, 31, v2
	v_lshl_add_u64 v[10:11], v[2:3], 2, s[6:7]
	v_add_u32_e32 v2, v1, v4
	v_ashrrev_i32_e32 v2, 5, v2
	v_cmp_gt_i32_e32 vcc, s48, v1
	s_nop 1
	v_cndmask_b32_e32 v2, v5, v2, vcc
	v_ashrrev_i32_e32 v3, 31, v2
	v_lshl_add_u64 v[12:13], v[2:3], 2, s[6:7]
	global_load_dword v2, v[6:7], off
	global_load_dword v5, v[8:9], off
	;; [unrolled: 1-line block ×4, first 2 shown]
	s_andn2_b64 vcc, exec, s[14:15]
	s_cbranch_vccnz .LBB1205_8
; %bb.6:
	s_add_u32 s12, s12, s16
	s_addc_u32 s13, s13, s17
	s_load_dword s14, s[12:13], 0x0
	s_branch .LBB1205_9
.LBB1205_7:
	s_mov_b64 s[8:9], 0
	s_branch .LBB1205_2
.LBB1205_8:
	s_mov_b32 s14, s2
.LBB1205_9:
	s_load_dwordx4 s[44:47], s[0:1], 0x48
	v_lshrrev_b32_e32 v42, 6, v0
	v_bfe_u32 v1, v0, 4, 2
	v_lshl_or_b32 v3, v42, 2, v1
	v_and_b32_e32 v43, 15, v0
	v_lshlrev_b32_e32 v6, 3, v43
	v_cmp_gt_u32_e32 vcc, 2, v3
	v_cmp_gt_u32_e64 s[30:31], 8, v43
	v_and_b32_e32 v41, 63, v0
	s_lshl_b32 s29, s4, 1
	s_and_b64 s[16:17], s[30:31], vcc
	v_lshlrev_b32_e32 v26, 1, v6
	v_lshlrev_b32_e32 v40, 4, v0
	s_and_saveexec_b64 s[12:13], s[16:17]
	s_cbranch_execz .LBB1205_11
; %bb.10:
	s_load_dwordx2 s[16:17], s[0:1], 0x0
	s_waitcnt lgkmcnt(0)
	s_ashr_i32 s15, s44, 31
	s_mul_hi_u32 s19, s14, s44
	s_mul_i32 s15, s14, s15
	s_add_i32 s15, s19, s15
	s_mul_i32 s14, s14, s44
	s_lshl_b64 s[14:15], s[14:15], 1
	s_add_u32 s14, s16, s14
	v_add_lshl_u32 v6, v1, s29, 6
	s_addc_u32 s15, s17, s15
	v_ashrrev_i32_e32 v7, 31, v6
	v_lshl_add_u64 v[6:7], v[6:7], 1, s[14:15]
	v_mov_b32_e32 v27, 0
	v_lshl_add_u64 v[6:7], v[6:7], 0, v[26:27]
	global_load_dwordx4 v[6:9], v[6:7], off
	v_lshlrev_b32_e32 v11, 8, v43
	v_lshlrev_b32_e32 v3, 5, v3
	v_and_b32_e32 v10, 16, v40
	v_and_b32_e32 v11, 0xe00, v11
	v_or3_b32 v3, v11, v3, v10
	s_waitcnt vmcnt(0)
	ds_write_b128 v3, v[6:9]
.LBB1205_11:
	s_or_b64 exec, exec, s[12:13]
	s_waitcnt lgkmcnt(0)
	s_mul_i32 s4, s4, s46
	s_add_u32 s8, s8, s4
	s_addc_u32 s9, s9, 0
	v_mov_b32_e32 v29, 0
	v_mov_b64_e32 v[18:19], s[8:9]
	v_and_b32_e32 v8, 48, v0
	s_waitcnt vmcnt(3)
	v_mad_i64_i32 v[6:7], s[8:9], v2, s45, v[18:19]
	v_lshlrev_b32_e32 v2, 4, v43
	v_mov_b32_e32 v3, v29
	v_lshlrev_b32_e32 v28, 5, v8
	v_lshl_add_u64 v[6:7], v[6:7], 0, v[2:3]
	v_lshl_add_u64 v[6:7], v[6:7], 0, v[28:29]
	s_load_dword s33, s[0:1], 0x98
	s_load_dwordx4 s[40:43], s[0:1], 0x80
	s_waitcnt lgkmcnt(0)
	s_barrier
	global_load_dwordx4 v[10:13], v[6:7], off
	s_waitcnt vmcnt(3)
	v_mad_i64_i32 v[6:7], s[8:9], v5, s45, v[18:19]
	v_or_b32_e32 v30, 0x100, v2
	v_mov_b32_e32 v31, v29
	v_lshl_add_u64 v[6:7], v[6:7], 0, v[30:31]
	v_lshl_add_u64 v[6:7], v[6:7], 0, v[28:29]
	global_load_dwordx4 v[14:17], v[6:7], off
	s_ashr_i32 s8, s5, 31
	v_or_b32_e32 v21, s5, v8
	s_lshr_b32 s12, s8, 27
	v_add_u32_e32 v5, s12, v21
	v_ashrrev_i32_e32 v5, 5, v5
	v_mov_b32_e32 v33, s18
	v_cmp_gt_i32_e32 vcc, s48, v21
	v_or_b32_e32 v34, 64, v21
	v_or_b32_e32 v35, 0x80, v21
	v_cndmask_b32_e32 v8, v33, v5, vcc
	v_and_b32_e32 v5, 1, v0
	v_lshlrev_b32_e32 v5, 5, v5
	v_lshl_or_b32 v32, v1, 9, v5
	s_waitcnt vmcnt(3)
	v_mad_i64_i32 v[4:5], s[8:9], v4, s45, v[18:19]
	v_lshl_add_u64 v[2:3], v[4:5], 0, v[2:3]
	v_lshl_add_u64 v[2:3], v[2:3], 0, v[28:29]
	global_load_dwordx4 v[22:25], v[2:3], off
	v_ashrrev_i32_e32 v9, 31, v8
	v_lshl_add_u64 v[8:9], v[8:9], 2, s[6:7]
	s_waitcnt vmcnt(3)
	v_mad_i64_i32 v[18:19], s[8:9], v20, s45, v[18:19]
	v_add_u32_e32 v20, s12, v34
	global_load_dword v47, v[8:9], off
	ds_read_b128 v[6:9], v32
	ds_read_b128 v[2:5], v32 offset:16
	v_add_u32_e32 v32, s12, v35
	v_lshl_add_u64 v[18:19], v[18:19], 0, v[30:31]
	v_ashrrev_i32_e32 v20, 5, v20
	v_cmp_gt_i32_e32 vcc, s48, v34
	v_or_b32_e32 v21, 0xc0, v21
	v_ashrrev_i32_e32 v31, 5, v32
	v_lshl_add_u64 v[18:19], v[18:19], 0, v[28:29]
	v_cndmask_b32_e32 v30, v33, v20, vcc
	v_cmp_gt_i32_e32 vcc, s48, v35
	v_add_u32_e32 v36, s12, v21
	v_ashrrev_i32_e32 v36, 5, v36
	v_cndmask_b32_e32 v32, v33, v31, vcc
	v_cmp_gt_i32_e32 vcc, s48, v21
	global_load_dwordx4 v[18:21], v[18:19], off
	v_ashrrev_i32_e32 v31, 31, v30
	v_cndmask_b32_e32 v34, v33, v36, vcc
	v_ashrrev_i32_e32 v33, 31, v32
	v_ashrrev_i32_e32 v35, 31, v34
	v_lshl_add_u64 v[30:31], v[30:31], 2, s[6:7]
	v_lshl_add_u64 v[32:33], v[32:33], 2, s[6:7]
	;; [unrolled: 1-line block ×3, first 2 shown]
	global_load_dword v46, v[30:31], off
	global_load_dword v44, v[32:33], off
	;; [unrolled: 1-line block ×3, first 2 shown]
	s_mov_b32 s44, 0x7060302
	s_add_u32 s8, s10, s4
	v_lshlrev_b32_e32 v27, 5, v43
	s_addc_u32 s9, s11, 0
	v_and_b32_e32 v28, 16, v0
	v_lshl_add_u64 v[36:37], s[8:9], 0, v[28:29]
	v_lshl_or_b32 v28, v42, 9, v27
	v_lshl_add_u64 v[28:29], v[36:37], 0, v[28:29]
	s_load_dword s13, s[0:1], 0x1c
	s_load_dword s4, s[40:41], 0x0
	s_mov_b32 s46, 0xff7fffff
	s_waitcnt vmcnt(7)
	v_cvt_pk_f32_fp8_e32 v[30:31], v10
	v_cvt_pk_f32_fp8_sdwa v[32:33], v10 src0_sel:WORD_1
	v_cvt_pk_f32_fp8_e32 v[34:35], v11
	v_cvt_pk_f32_fp8_sdwa v[10:11], v11 src0_sel:WORD_1
	v_perm_b32 v30, v31, v30, s44
	v_perm_b32 v31, v33, v32, s44
	v_cvt_pk_f32_fp8_e32 v[36:37], v12
	v_cvt_pk_f32_fp8_sdwa v[38:39], v12 src0_sel:WORD_1
	v_perm_b32 v34, v35, v34, s44
	v_perm_b32 v35, v11, v10, s44
	s_waitcnt lgkmcnt(0)
	v_mfma_f32_16x16x16_bf16 v[30:33], v[30:31], v[6:7], 0
	v_cvt_pk_f32_fp8_e32 v[48:49], v13
	v_cvt_pk_f32_fp8_sdwa v[12:13], v13 src0_sel:WORD_1
	v_perm_b32 v36, v37, v36, s44
	v_perm_b32 v37, v39, v38, s44
	v_mfma_f32_16x16x16_bf16 v[30:33], v[34:35], v[8:9], v[30:33]
	v_perm_b32 v34, v49, v48, s44
	v_perm_b32 v35, v13, v12, s44
	s_waitcnt vmcnt(6)
	v_cvt_pk_f32_fp8_e32 v[12:13], v14
	v_mfma_f32_16x16x16_bf16 v[30:33], v[36:37], v[2:3], v[30:33]
	v_cvt_pk_f32_fp8_sdwa v[36:37], v14 src0_sel:WORD_1
	v_cvt_pk_f32_fp8_sdwa v[38:39], v16 src0_sel:WORD_1
	v_perm_b32 v12, v13, v12, s44
	v_mfma_f32_16x16x16_bf16 v[30:33], v[34:35], v[4:5], v[30:33]
	v_cvt_pk_f32_fp8_e32 v[34:35], v15
	v_perm_b32 v13, v37, v36, s44
	v_cvt_pk_f32_fp8_sdwa v[14:15], v15 src0_sel:WORD_1
	v_cvt_pk_f32_fp8_e32 v[36:37], v16
	v_perm_b32 v34, v35, v34, s44
	s_waitcnt vmcnt(5)
	v_cvt_pk_f32_fp8_e32 v[48:49], v24
	v_perm_b32 v35, v15, v14, s44
	v_mfma_f32_16x16x16_bf16 v[12:15], v[12:13], v[6:7], 0
	v_perm_b32 v36, v37, v36, s44
	v_perm_b32 v37, v39, v38, s44
	v_cvt_pk_f32_fp8_e32 v[38:39], v17
	v_cvt_pk_f32_fp8_sdwa v[16:17], v17 src0_sel:WORD_1
	v_mfma_f32_16x16x16_bf16 v[12:15], v[34:35], v[8:9], v[12:15]
	v_cvt_pk_f32_fp8_sdwa v[50:51], v24 src0_sel:WORD_1
	v_perm_b32 v34, v39, v38, s44
	v_perm_b32 v35, v17, v16, s44
	v_mfma_f32_16x16x16_bf16 v[12:15], v[36:37], v[2:3], v[12:15]
	v_cvt_pk_f32_fp8_e32 v[16:17], v22
	v_cvt_pk_f32_fp8_sdwa v[36:37], v22 src0_sel:WORD_1
	s_waitcnt vmcnt(4)
	v_mad_i64_i32 v[10:11], s[6:7], v47, s45, v[28:29]
	v_mfma_f32_16x16x16_bf16 v[12:15], v[34:35], v[4:5], v[12:15]
	v_cvt_pk_f32_fp8_e32 v[34:35], v23
	v_perm_b32 v16, v17, v16, s44
	v_perm_b32 v17, v37, v36, s44
	v_cvt_pk_f32_fp8_sdwa v[22:23], v23 src0_sel:WORD_1
	v_perm_b32 v38, v35, v34, s44
	v_mfma_f32_16x16x16_bf16 v[34:37], v[16:17], v[6:7], 0
	v_perm_b32 v39, v23, v22, s44
	v_perm_b32 v16, v49, v48, s44
	;; [unrolled: 1-line block ×3, first 2 shown]
	v_cvt_pk_f32_fp8_e32 v[48:49], v25
	v_cvt_pk_f32_fp8_sdwa v[24:25], v25 src0_sel:WORD_1
	v_mfma_f32_16x16x16_bf16 v[34:37], v[38:39], v[8:9], v[34:37]
	v_mov_b32_e32 v47, s13
	v_mul_f32_e32 v52, s4, v47
	v_perm_b32 v39, v25, v24, s44
	v_mfma_f32_16x16x16_bf16 v[34:37], v[16:17], v[2:3], v[34:37]
	s_waitcnt vmcnt(3)
	v_cvt_pk_f32_fp8_e32 v[16:17], v18
	v_cvt_pk_f32_fp8_sdwa v[24:25], v18 src0_sel:WORD_1
	v_perm_b32 v38, v49, v48, s44
	v_pk_mul_f32 v[22:23], v[52:53], v[32:33] op_sel_hi:[0,1]
	v_pk_mul_f32 v[32:33], v[52:53], v[30:31] op_sel_hi:[0,1]
	v_cvt_pk_f32_fp8_e32 v[30:31], v19
	v_perm_b32 v16, v17, v16, s44
	v_perm_b32 v17, v25, v24, s44
	v_cvt_pk_f32_fp8_sdwa v[18:19], v19 src0_sel:WORD_1
	v_mfma_f32_16x16x16_bf16 v[48:51], v[38:39], v[4:5], v[34:37]
	v_perm_b32 v24, v31, v30, s44
	v_cvt_pk_f32_fp8_e32 v[30:31], v20
	v_perm_b32 v25, v19, v18, s44
	v_cvt_pk_f32_fp8_sdwa v[34:35], v20 src0_sel:WORD_1
	v_mfma_f32_16x16x16_bf16 v[16:19], v[16:17], v[6:7], 0
	v_perm_b32 v30, v31, v30, s44
	v_cvt_pk_f32_fp8_e32 v[36:37], v21
	v_perm_b32 v31, v35, v34, s44
	v_cvt_pk_f32_fp8_sdwa v[20:21], v21 src0_sel:WORD_1
	v_mfma_f32_16x16x16_bf16 v[6:9], v[24:25], v[8:9], v[16:19]
	v_pk_mul_f32 v[34:35], v[52:53], v[14:15] op_sel_hi:[0,1]
	v_perm_b32 v14, v37, v36, s44
	v_perm_b32 v15, v21, v20, s44
	v_mfma_f32_16x16x16_bf16 v[6:9], v[30:31], v[2:3], v[6:9]
	v_pk_mul_f32 v[38:39], v[52:53], v[12:13] op_sel_hi:[0,1]
	v_pk_mul_f32 v[36:37], v[52:53], v[48:49] op_sel_hi:[0,1]
	;; [unrolled: 1-line block ×3, first 2 shown]
	v_mfma_f32_16x16x16_bf16 v[2:5], v[14:15], v[4:5], v[6:9]
	s_nop 6
	v_pk_mul_f32 v[24:25], v[52:53], v[2:3] op_sel_hi:[0,1]
	v_and_b32_e32 v2, 0xc0, v0
	v_add_u32_e32 v2, s5, v2
	v_lshl_or_b32 v2, v1, 2, v2
	v_pk_mul_f32 v[18:19], v[52:53], v[4:5] op_sel_hi:[0,1]
	v_or_b32_e32 v5, 1, v2
	v_mov_b32_e32 v3, 0xff7fffff
	v_cmp_gt_i32_e64 s[4:5], s48, v2
	v_cmp_gt_i32_e64 s[34:35], s48, v5
	v_or_b32_e32 v6, 3, v2
	v_cndmask_b32_e64 v4, v3, v32, s[4:5]
	v_cndmask_b32_e64 v5, v3, v33, s[34:35]
	v_max3_f32 v4, v4, s46, v5
	v_or_b32_e32 v5, 2, v2
	v_cmp_gt_i32_e64 s[36:37], s48, v5
	v_cmp_gt_i32_e64 s[38:39], s48, v6
	s_nop 0
	v_cndmask_b32_e64 v5, v3, v22, s[36:37]
	v_cndmask_b32_e64 v6, v3, v23, s[38:39]
	v_max3_f32 v4, v4, v5, v6
	v_or_b32_e32 v5, 16, v2
	v_or_b32_e32 v6, 17, v2
	v_cmp_gt_i32_e64 s[24:25], s48, v5
	v_cmp_gt_i32_e64 s[26:27], s48, v6
	s_nop 0
	v_cndmask_b32_e64 v5, v3, v38, s[24:25]
	v_cndmask_b32_e64 v6, v3, v39, s[26:27]
	v_max3_f32 v4, v4, v5, v6
	v_or_b32_e32 v5, 18, v2
	;; [unrolled: 8-line block ×6, first 2 shown]
	v_or_b32_e32 v2, 51, v2
	v_cmp_gt_i32_e32 vcc, s48, v5
	v_cmp_gt_i32_e64 s[6:7], s48, v2
	s_nop 0
	v_cndmask_b32_e32 v5, v3, v18, vcc
	v_cndmask_b32_e64 v2, v3, v19, s[6:7]
	v_max3_f32 v4, v4, v5, v2
	v_mbcnt_lo_u32_b32 v2, -1, 0
	v_mbcnt_hi_u32_b32 v5, -1, v2
	v_and_b32_e32 v2, 64, v5
	v_add_u32_e32 v6, 64, v2
	v_xor_b32_e32 v2, 32, v5
	v_cmp_lt_i32_e64 s[40:41], v2, v6
	s_nop 1
	v_cndmask_b32_e64 v2, v5, v2, s[40:41]
	v_lshlrev_b32_e32 v47, 2, v2
	ds_bpermute_b32 v7, v47, v4
	s_waitcnt vmcnt(2)
	v_mad_i64_i32 v[2:3], s[40:41], v46, s45, v[28:29]
	global_load_dwordx4 v[14:17], v[10:11], off
	s_nop 0
	global_load_dwordx4 v[10:13], v[2:3], off
	v_xor_b32_e32 v3, 16, v5
	v_cmp_lt_i32_e64 s[40:41], v3, v6
	s_waitcnt lgkmcnt(0)
	v_max_f32_e32 v2, v7, v7
	v_max_f32_e32 v2, v4, v2
	v_cndmask_b32_e64 v3, v5, v3, s[40:41]
	v_lshlrev_b32_e32 v46, 2, v3
	ds_bpermute_b32 v3, v46, v2
	s_waitcnt vmcnt(3)
	v_mad_i64_i32 v[20:21], s[40:41], v44, s45, v[28:29]
	s_waitcnt vmcnt(2)
	v_mad_i64_i32 v[28:29], s[40:41], v45, s45, v[28:29]
	s_waitcnt lgkmcnt(0)
	v_max_f32_e32 v3, v3, v3
	v_max_f32_e32 v44, v2, v3
	v_sub_f32_e32 v2, v32, v44
	v_mul_f32_e32 v2, 0x3fb8aa3b, v2
	v_exp_f32_e32 v32, v2
	v_sub_f32_e32 v2, v33, v44
	v_mul_f32_e32 v2, 0x3fb8aa3b, v2
	v_exp_f32_e32 v33, v2
	global_load_dwordx4 v[6:9], v[20:21], off
	global_load_dwordx4 v[2:5], v[28:29], off
	v_sub_f32_e32 v22, v22, v44
	v_mul_f32_e32 v22, 0x3fb8aa3b, v22
	v_sub_f32_e32 v23, v23, v44
	v_exp_f32_e32 v22, v22
	v_mul_f32_e32 v23, 0x3fb8aa3b, v23
	v_exp_f32_e32 v23, v23
	v_cndmask_b32_e64 v20, 0, v32, s[4:5]
	v_add_f32_e32 v28, 0, v20
	v_cndmask_b32_e64 v21, 0, v33, s[34:35]
	v_add_f32_e32 v28, v28, v21
	;; [unrolled: 2-line block ×3, first 2 shown]
	v_cndmask_b32_e64 v33, 0, v23, s[38:39]
	v_sub_f32_e32 v23, v38, v44
	v_sub_f32_e32 v28, v39, v44
	v_mul_f32_e32 v23, 0x3fb8aa3b, v23
	v_mul_f32_e32 v28, 0x3fb8aa3b, v28
	v_exp_f32_e32 v23, v23
	v_exp_f32_e32 v28, v28
	v_add_f32_e32 v29, v22, v33
	v_sub_f32_e32 v30, v30, v44
	v_cndmask_b32_e64 v22, 0, v23, s[24:25]
	v_cndmask_b32_e64 v23, 0, v28, s[26:27]
	v_sub_f32_e32 v28, v34, v44
	v_mul_f32_e32 v28, 0x3fb8aa3b, v28
	v_exp_f32_e32 v28, v28
	v_sub_f32_e32 v34, v35, v44
	v_add_f32_e32 v29, v29, v22
	v_mul_f32_e32 v34, 0x3fb8aa3b, v34
	v_exp_f32_e32 v35, v34
	v_add_f32_e32 v29, v29, v23
	v_cndmask_b32_e64 v34, 0, v28, s[20:21]
	v_add_f32_e32 v28, v29, v34
	v_sub_f32_e32 v29, v36, v44
	v_mul_f32_e32 v29, 0x3fb8aa3b, v29
	v_sub_f32_e32 v36, v37, v44
	v_exp_f32_e32 v29, v29
	v_mul_f32_e32 v36, 0x3fb8aa3b, v36
	v_exp_f32_e32 v36, v36
	v_mul_f32_e32 v30, 0x3fb8aa3b, v30
	v_sub_f32_e32 v31, v31, v44
	v_exp_f32_e32 v30, v30
	v_mul_f32_e32 v31, 0x3fb8aa3b, v31
	v_sub_f32_e32 v24, v24, v44
	v_cndmask_b32_e64 v35, 0, v35, s[22:23]
	v_exp_f32_e32 v31, v31
	v_mul_f32_e32 v24, 0x3fb8aa3b, v24
	v_sub_f32_e32 v25, v25, v44
	v_add_f32_e32 v37, v28, v35
	v_cndmask_b32_e64 v28, 0, v29, s[16:17]
	v_exp_f32_e32 v24, v24
	v_mul_f32_e32 v25, 0x3fb8aa3b, v25
	v_sub_f32_e32 v18, v18, v44
	v_add_f32_e32 v37, v37, v28
	;; [unrolled: 5-line block ×3, first 2 shown]
	v_cndmask_b32_e64 v30, 0, v30, s[12:13]
	v_exp_f32_e32 v18, v18
	v_mul_f32_e32 v19, 0x3fb8aa3b, v19
	v_add_f32_e32 v36, v36, v30
	v_cndmask_b32_e64 v31, 0, v31, s[14:15]
	v_exp_f32_e32 v19, v19
	v_add_f32_e32 v36, v36, v31
	v_cndmask_b32_e64 v24, 0, v24, s[8:9]
	v_add_f32_e32 v36, v36, v24
	v_cndmask_b32_e64 v25, 0, v25, s[10:11]
	v_add_f32_e32 v36, v36, v25
	v_cndmask_b32_e32 v18, 0, v18, vcc
	v_add_f32_e32 v36, v36, v18
	v_cndmask_b32_e64 v19, 0, v19, s[6:7]
	v_add_f32_e32 v36, v36, v19
	ds_bpermute_b32 v37, v47, v36
	v_cmp_gt_u32_e32 vcc, 16, v41
	s_waitcnt lgkmcnt(0)
	s_barrier
	v_add_f32_e32 v36, v36, v37
	ds_bpermute_b32 v38, v46, v36
	v_lshlrev_b32_e32 v37, 2, v43
	s_and_saveexec_b64 s[4:5], vcc
	s_cbranch_execz .LBB1205_13
; %bb.12:
	s_waitcnt lgkmcnt(0)
	v_add_f32_e32 v36, v36, v38
	v_lshl_or_b32 v38, v42, 6, v37
	ds_write2st64_b32 v38, v44, v36 offset1:1
.LBB1205_13:
	s_or_b64 exec, exec, s[4:5]
	s_load_dword s6, s[0:1], 0x94
	s_waitcnt lgkmcnt(0)
	s_barrier
	ds_read2_b32 v[38:39], v37 offset1:16
	ds_read2_b32 v[44:45], v37 offset0:32 offset1:48
	ds_read2_b32 v[46:47], v37 offset0:64 offset1:80
	s_movk_i32 s8, 0x7fff
	s_lshl_b32 s7, s33, 1
	s_waitcnt lgkmcnt(2)
	v_max3_f32 v36, v38, s46, v39
	s_waitcnt lgkmcnt(1)
	v_max3_f32 v36, v36, v44, v45
	v_sub_f32_e32 v38, v38, v36
	v_mul_f32_e32 v38, 0x3fb8aa3b, v38
	v_exp_f32_e32 v43, v38
	v_sub_f32_e32 v38, v39, v36
	v_mul_f32_e32 v38, 0x3fb8aa3b, v38
	v_exp_f32_e32 v48, v38
	;; [unrolled: 3-line block ×3, first 2 shown]
	ds_read2_b32 v[38:39], v37 offset0:96 offset1:112
	v_sub_f32_e32 v37, v45, v36
	v_mul_f32_e32 v37, 0x3fb8aa3b, v37
	v_exp_f32_e32 v45, v37
	s_waitcnt lgkmcnt(1)
	v_fma_f32 v37, v43, v46, 0
	v_fmac_f32_e32 v37, v48, v47
	s_waitcnt lgkmcnt(0)
	v_fmac_f32_e32 v37, v44, v38
	v_fmac_f32_e32 v37, v45, v39
	v_add_f32_e32 v38, 0x358637bd, v37
	v_div_scale_f32 v39, s[4:5], v38, v38, 1.0
	v_rcp_f32_e32 v46, v39
	s_barrier
	v_fma_f32 v47, -v39, v46, 1.0
	v_fmac_f32_e32 v46, v47, v46
	v_div_scale_f32 v47, vcc, 1.0, v38, 1.0
	v_mul_f32_e32 v49, v47, v46
	v_fma_f32 v50, -v39, v49, v47
	v_fmac_f32_e32 v49, v50, v46
	v_fma_f32 v39, -v39, v49, v47
	v_div_fmas_f32 v39, v39, v46, v49
	v_cmp_eq_u32_e32 vcc, 1, v42
	v_div_fixup_f32 v38, v39, v38, 1.0
	s_nop 0
	v_cndmask_b32_e32 v39, v43, v48, vcc
	v_cmp_eq_u32_e32 vcc, 2, v42
	s_nop 1
	v_cndmask_b32_e32 v39, v39, v44, vcc
	v_cmp_eq_u32_e32 vcc, 3, v42
	s_nop 1
	v_cndmask_b32_e32 v39, v39, v45, vcc
	v_mul_f32_e32 v38, v39, v38
	v_pk_mul_f32 v[20:21], v[38:39], v[20:21] op_sel_hi:[0,1]
	v_pk_mul_f32 v[32:33], v[38:39], v[32:33] op_sel_hi:[0,1]
	v_bfe_u32 v39, v21, 16, 1
	v_bfe_u32 v43, v20, 16, 1
	v_add3_u32 v20, v20, v43, s8
	v_add3_u32 v21, v21, v39, s8
	v_perm_b32 v44, v21, v20, s44
	v_bfe_u32 v20, v33, 16, 1
	v_bfe_u32 v21, v32, 16, 1
	v_add3_u32 v21, v32, v21, s8
	v_add3_u32 v20, v33, v20, s8
	v_perm_b32 v45, v20, v21, s44
	v_lshlrev_b32_e32 v20, 3, v1
	v_lshlrev_b32_e32 v21, 11, v42
	v_pk_mul_f32 v[22:23], v[38:39], v[22:23] op_sel_hi:[0,1]
	v_or3_b32 v20, v21, v27, v20
	v_pk_mul_f32 v[32:33], v[38:39], v[34:35] op_sel_hi:[0,1]
	v_bfe_u32 v21, v23, 16, 1
	v_bfe_u32 v34, v22, 16, 1
	v_add3_u32 v22, v22, v34, s8
	v_add3_u32 v21, v23, v21, s8
	v_perm_b32 v22, v21, v22, s44
	v_bfe_u32 v21, v33, 16, 1
	v_bfe_u32 v23, v32, 16, 1
	v_add3_u32 v23, v32, v23, s8
	v_add3_u32 v21, v33, v21, s8
	v_perm_b32 v23, v21, v23, s44
	v_pk_mul_f32 v[28:29], v[38:39], v[28:29] op_sel_hi:[0,1]
	ds_write2st64_b64 v20, v[44:45], v[22:23] offset1:1
	v_pk_mul_f32 v[22:23], v[38:39], v[30:31] op_sel_hi:[0,1]
	v_bfe_u32 v21, v29, 16, 1
	v_bfe_u32 v30, v28, 16, 1
	v_add3_u32 v28, v28, v30, s8
	v_add3_u32 v21, v29, v21, s8
	v_perm_b32 v28, v21, v28, s44
	v_bfe_u32 v21, v23, 16, 1
	v_bfe_u32 v29, v22, 16, 1
	v_add3_u32 v22, v22, v29, s8
	v_add3_u32 v21, v23, v21, s8
	v_perm_b32 v29, v21, v22, s44
	v_pk_mul_f32 v[22:23], v[38:39], v[24:25] op_sel_hi:[0,1]
	v_bfe_u32 v21, v23, 16, 1
	v_bfe_u32 v24, v22, 16, 1
	v_pk_mul_f32 v[18:19], v[38:39], v[18:19] op_sel_hi:[0,1]
	v_add3_u32 v22, v22, v24, s8
	v_add3_u32 v21, v23, v21, s8
	v_perm_b32 v22, v21, v22, s44
	v_bfe_u32 v21, v19, 16, 1
	v_bfe_u32 v23, v18, 16, 1
	v_add3_u32 v18, v18, v23, s8
	v_add3_u32 v19, v19, v21, s8
	v_perm_b32 v23, v19, v18, s44
	v_cmp_gt_u32_e32 vcc, 2, v0
	ds_write2st64_b64 v20, v[28:29], v[22:23] offset0:2 offset1:3
	s_and_saveexec_b64 s[4:5], vcc
	s_cbranch_execz .LBB1205_15
; %bb.14:
	v_or_b32_e32 v18, s29, v0
	v_mov_b32_e32 v19, 0
	v_mov_b32_e32 v21, s7
	v_mad_u64_u32 v[22:23], s[10:11], s2, v21, v[18:19]
	v_mov_b32_e32 v18, s28
	s_load_dwordx4 s[12:15], s[0:1], 0x58
	s_mul_i32 s3, s3, s7
	v_mad_u64_u32 v[18:19], s[10:11], v22, s6, v[18:19]
	v_add_u32_e32 v21, s3, v23
	v_mov_b32_e32 v22, v19
	v_mad_u64_u32 v[22:23], s[10:11], v21, s6, v[22:23]
	v_mov_b32_e32 v19, v22
	v_lshlrev_b64 v[18:19], 2, v[18:19]
	s_waitcnt lgkmcnt(0)
	v_lshl_add_u64 v[22:23], s[14:15], 0, v[18:19]
	v_lshl_add_u64 v[18:19], s[12:13], 0, v[18:19]
	global_store_dword v[22:23], v36, off
	global_store_dword v[18:19], v37, off
.LBB1205_15:
	s_or_b64 exec, exec, s[4:5]
	s_waitcnt vmcnt(3)
	v_cvt_pk_f32_fp8_e32 v[18:19], v14
	v_cvt_pk_f32_fp8_sdwa v[22:23], v14 src0_sel:WORD_1
	s_mov_b32 s4, 0x7060302
	v_lshl_or_b32 v14, v1, 9, v27
	s_waitcnt lgkmcnt(0)
	s_barrier
	v_perm_b32 v18, v19, v18, s4
	v_perm_b32 v19, v23, v22, s4
	v_cvt_pk_f32_fp8_e32 v[28:29], v15
	ds_read_b128 v[22:25], v14
	v_cvt_pk_f32_fp8_sdwa v[36:37], v15 src0_sel:WORD_1
	s_load_dword s10, s[42:43], 0x0
	v_perm_b32 v38, v29, v28, s4
	ds_read_b128 v[28:31], v14 offset:16
	v_perm_b32 v39, v37, v36, s4
	s_waitcnt lgkmcnt(0)
	v_mfma_f32_16x16x16_bf16 v[32:35], v[18:19], v[22:23], 0
	v_cvt_pk_f32_fp8_e32 v[18:19], v16
	v_cvt_pk_f32_fp8_sdwa v[36:37], v16 src0_sel:WORD_1
	v_cmp_gt_u32_e32 vcc, 64, v0
	v_mfma_f32_16x16x16_bf16 v[22:25], v[38:39], v[24:25], v[32:35]
	v_perm_b32 v18, v19, v18, s4
	v_perm_b32 v19, v37, v36, s4
	s_waitcnt vmcnt(2)
	v_cvt_pk_f32_fp8_sdwa v[36:37], v10 src0_sel:WORD_1
	v_cvt_pk_f32_fp8_e32 v[32:33], v17
	v_cvt_pk_f32_fp8_sdwa v[16:17], v17 src0_sel:WORD_1
	v_cvt_pk_f32_fp8_e32 v[34:35], v10
	s_mov_b32 s3, 0
	v_perm_b32 v32, v33, v32, s4
	v_perm_b32 v33, v17, v16, s4
	v_mfma_f32_16x16x16_bf16 v[16:19], v[18:19], v[28:29], v[22:25]
	v_perm_b32 v34, v35, v34, s4
	v_perm_b32 v35, v37, v36, s4
	v_cvt_pk_f32_fp8_e32 v[28:29], v11
	ds_read_b128 v[22:25], v14 offset:2048
	v_cvt_pk_f32_fp8_sdwa v[10:11], v11 src0_sel:WORD_1
	v_mfma_f32_16x16x16_bf16 v[16:19], v[32:33], v[30:31], v[16:19]
	v_perm_b32 v32, v29, v28, s4
	ds_read_b128 v[28:31], v14 offset:2064
	v_perm_b32 v33, v11, v10, s4
	s_waitcnt lgkmcnt(1)
	v_mfma_f32_16x16x16_bf16 v[16:19], v[34:35], v[22:23], v[16:19]
	v_cvt_pk_f32_fp8_e32 v[10:11], v12
	v_cvt_pk_f32_fp8_sdwa v[22:23], v12 src0_sel:WORD_1
	v_mov_b32_e32 v27, 0
	v_mfma_f32_16x16x16_bf16 v[16:19], v[32:33], v[24:25], v[16:19]
	v_cvt_pk_f32_fp8_e32 v[24:25], v13
	v_perm_b32 v10, v11, v10, s4
	v_perm_b32 v11, v23, v22, s4
	v_cvt_pk_f32_fp8_sdwa v[12:13], v13 src0_sel:WORD_1
	v_perm_b32 v22, v25, v24, s4
	s_waitcnt vmcnt(1)
	v_cvt_pk_f32_fp8_e32 v[24:25], v6
	v_cvt_pk_f32_fp8_sdwa v[32:33], v6 src0_sel:WORD_1
	v_perm_b32 v23, v13, v12, s4
	s_waitcnt lgkmcnt(0)
	v_mfma_f32_16x16x16_bf16 v[10:13], v[10:11], v[28:29], v[16:19]
	v_perm_b32 v28, v25, v24, s4
	v_perm_b32 v29, v33, v32, s4
	v_cvt_pk_f32_fp8_e32 v[24:25], v7
	ds_read_b128 v[16:19], v14 offset:4096
	v_cvt_pk_f32_fp8_sdwa v[6:7], v7 src0_sel:WORD_1
	v_mfma_f32_16x16x16_bf16 v[10:13], v[22:23], v[30:31], v[10:13]
	v_perm_b32 v30, v25, v24, s4
	ds_read_b128 v[22:25], v14 offset:4112
	v_perm_b32 v31, v7, v6, s4
	s_waitcnt lgkmcnt(1)
	v_mfma_f32_16x16x16_bf16 v[10:13], v[28:29], v[16:17], v[10:13]
	v_cvt_pk_f32_fp8_e32 v[6:7], v8
	v_cvt_pk_f32_fp8_sdwa v[16:17], v8 src0_sel:WORD_1
	s_waitcnt vmcnt(0)
	v_cvt_pk_f32_fp8_sdwa v[28:29], v2 src0_sel:WORD_1
	v_mfma_f32_16x16x16_bf16 v[10:13], v[30:31], v[18:19], v[10:13]
	v_cvt_pk_f32_fp8_e32 v[18:19], v9
	v_perm_b32 v6, v7, v6, s4
	v_perm_b32 v7, v17, v16, s4
	v_cvt_pk_f32_fp8_sdwa v[8:9], v9 src0_sel:WORD_1
	v_perm_b32 v16, v19, v18, s4
	v_cvt_pk_f32_fp8_e32 v[18:19], v2
	v_perm_b32 v17, v9, v8, s4
	s_waitcnt lgkmcnt(0)
	v_mfma_f32_16x16x16_bf16 v[6:9], v[6:7], v[22:23], v[10:13]
	v_perm_b32 v18, v19, v18, s4
	v_perm_b32 v19, v29, v28, s4
	v_cvt_pk_f32_fp8_e32 v[22:23], v3
	ds_read_b128 v[10:13], v14 offset:6144
	v_cvt_pk_f32_fp8_sdwa v[2:3], v3 src0_sel:WORD_1
	v_mfma_f32_16x16x16_bf16 v[6:9], v[16:17], v[24:25], v[6:9]
	v_perm_b32 v22, v23, v22, s4
	ds_read_b128 v[14:17], v14 offset:6160
	v_perm_b32 v23, v3, v2, s4
	s_waitcnt lgkmcnt(1)
	v_mfma_f32_16x16x16_bf16 v[6:9], v[18:19], v[10:11], v[6:9]
	v_cvt_pk_f32_fp8_e32 v[2:3], v4
	v_cvt_pk_f32_fp8_sdwa v[10:11], v4 src0_sel:WORD_1
	s_waitcnt lgkmcnt(0)
	v_mfma_f32_16x16x16_bf16 v[6:9], v[22:23], v[12:13], v[6:9]
	v_perm_b32 v2, v3, v2, s4
	v_perm_b32 v3, v11, v10, s4
	v_cvt_pk_f32_fp8_e32 v[10:11], v5
	v_cvt_pk_f32_fp8_sdwa v[4:5], v5 src0_sel:WORD_1
	s_barrier
	v_perm_b32 v10, v11, v10, s4
	v_perm_b32 v11, v5, v4, s4
	v_mfma_f32_16x16x16_bf16 v[2:5], v[2:3], v[14:15], v[6:9]
	s_nop 0
	v_mfma_f32_16x16x16_bf16 v[2:5], v[10:11], v[16:17], v[2:5]
	s_nop 6
	v_pk_mul_f32 v[2:3], v[2:3], s[10:11] op_sel_hi:[1,0]
	v_pk_mul_f32 v[4:5], v[4:5], s[10:11] op_sel_hi:[1,0]
	v_bfe_u32 v6, v3, 16, 1
	v_bfe_u32 v7, v2, 16, 1
	v_add3_u32 v2, v2, v7, s8
	v_add3_u32 v3, v3, v6, s8
	v_perm_b32 v2, v3, v2, s4
	v_bfe_u32 v3, v5, 16, 1
	v_bfe_u32 v6, v4, 16, 1
	v_add3_u32 v4, v4, v6, s8
	v_add3_u32 v3, v5, v3, s8
	v_perm_b32 v3, v3, v4, s4
	v_cmp_gt_u32_e64 s[4:5], 32, v41
	s_and_b64 s[4:5], s[4:5], vcc
	s_and_b64 s[4:5], s[4:5], s[30:31]
	ds_write_b64 v20, v[2:3]
	s_waitcnt lgkmcnt(0)
	s_barrier
	s_and_saveexec_b64 s[8:9], s[4:5]
	s_cbranch_execz .LBB1205_17
; %bb.16:
	s_load_dwordx2 s[0:1], s[0:1], 0x68
	s_mul_i32 s2, s7, s2
	s_lshl_b32 s6, s6, 6
	s_mul_hi_u32 s5, s2, s6
	s_mul_i32 s4, s2, s6
	v_lshlrev_b32_e32 v0, 10, v0
	s_lshl_b64 s[4:5], s[4:5], 1
	v_and_b32_e32 v0, 0x1800, v0
	v_lshlrev_b32_e32 v2, 5, v1
	v_and_b32_e32 v3, 16, v40
	s_waitcnt lgkmcnt(0)
	s_add_u32 s4, s0, s4
	v_or3_b32 v0, v0, v2, v3
	s_addc_u32 s5, s1, s5
	s_lshl_b32 s2, s28, 6
	ds_read_b128 v[2:5], v0
	s_lshl_b64 s[0:1], s[2:3], 1
	s_add_u32 s0, s4, s0
	v_or_b32_e32 v0, s29, v1
	s_addc_u32 s1, s5, s1
	v_mad_u64_u32 v[0:1], s[2:3], s6, v0, 0
	v_lshl_add_u64 v[0:1], v[0:1], 1, s[0:1]
	v_lshl_add_u64 v[0:1], v[0:1], 0, v[26:27]
	s_waitcnt lgkmcnt(0)
	global_store_dwordx4 v[0:1], v[2:5], off
.LBB1205_17:
	s_endpgm
	.section	.rodata,"a",@progbits
	.p2align	6, 0x0
	.amdhsa_kernel _Z39paged_attention_ll4mi_QKV_mfma16_kernelI14__hip_bfloat16hLN4vllm18Fp8KVCacheDataTypeE1EhLi32ELi64ELi256ELb0ELi2EEvPKT_PKT0_S8_ifPKiSA_SA_iPKfiiiPfSD_PS3_PT2_iSC_SC_
		.amdhsa_group_segment_fixed_size 8192
		.amdhsa_private_segment_fixed_size 0
		.amdhsa_kernarg_size 400
		.amdhsa_user_sgpr_count 2
		.amdhsa_user_sgpr_dispatch_ptr 0
		.amdhsa_user_sgpr_queue_ptr 0
		.amdhsa_user_sgpr_kernarg_segment_ptr 1
		.amdhsa_user_sgpr_dispatch_id 0
		.amdhsa_user_sgpr_kernarg_preload_length 0
		.amdhsa_user_sgpr_kernarg_preload_offset 0
		.amdhsa_user_sgpr_private_segment_size 0
		.amdhsa_uses_dynamic_stack 0
		.amdhsa_enable_private_segment 0
		.amdhsa_system_sgpr_workgroup_id_x 1
		.amdhsa_system_sgpr_workgroup_id_y 1
		.amdhsa_system_sgpr_workgroup_id_z 1
		.amdhsa_system_sgpr_workgroup_info 0
		.amdhsa_system_vgpr_workitem_id 0
		.amdhsa_next_free_vgpr 54
		.amdhsa_next_free_sgpr 49
		.amdhsa_accum_offset 56
		.amdhsa_reserve_vcc 1
		.amdhsa_float_round_mode_32 0
		.amdhsa_float_round_mode_16_64 0
		.amdhsa_float_denorm_mode_32 3
		.amdhsa_float_denorm_mode_16_64 3
		.amdhsa_dx10_clamp 1
		.amdhsa_ieee_mode 1
		.amdhsa_fp16_overflow 0
		.amdhsa_tg_split 0
		.amdhsa_exception_fp_ieee_invalid_op 0
		.amdhsa_exception_fp_denorm_src 0
		.amdhsa_exception_fp_ieee_div_zero 0
		.amdhsa_exception_fp_ieee_overflow 0
		.amdhsa_exception_fp_ieee_underflow 0
		.amdhsa_exception_fp_ieee_inexact 0
		.amdhsa_exception_int_div_zero 0
	.end_amdhsa_kernel
	.section	.text._Z39paged_attention_ll4mi_QKV_mfma16_kernelI14__hip_bfloat16hLN4vllm18Fp8KVCacheDataTypeE1EhLi32ELi64ELi256ELb0ELi2EEvPKT_PKT0_S8_ifPKiSA_SA_iPKfiiiPfSD_PS3_PT2_iSC_SC_,"axG",@progbits,_Z39paged_attention_ll4mi_QKV_mfma16_kernelI14__hip_bfloat16hLN4vllm18Fp8KVCacheDataTypeE1EhLi32ELi64ELi256ELb0ELi2EEvPKT_PKT0_S8_ifPKiSA_SA_iPKfiiiPfSD_PS3_PT2_iSC_SC_,comdat
.Lfunc_end1205:
	.size	_Z39paged_attention_ll4mi_QKV_mfma16_kernelI14__hip_bfloat16hLN4vllm18Fp8KVCacheDataTypeE1EhLi32ELi64ELi256ELb0ELi2EEvPKT_PKT0_S8_ifPKiSA_SA_iPKfiiiPfSD_PS3_PT2_iSC_SC_, .Lfunc_end1205-_Z39paged_attention_ll4mi_QKV_mfma16_kernelI14__hip_bfloat16hLN4vllm18Fp8KVCacheDataTypeE1EhLi32ELi64ELi256ELb0ELi2EEvPKT_PKT0_S8_ifPKiSA_SA_iPKfiiiPfSD_PS3_PT2_iSC_SC_
                                        ; -- End function
	.section	.AMDGPU.csdata,"",@progbits
; Kernel info:
; codeLenInByte = 4852
; NumSgprs: 55
; NumVgprs: 54
; NumAgprs: 0
; TotalNumVgprs: 54
; ScratchSize: 0
; MemoryBound: 0
; FloatMode: 240
; IeeeMode: 1
; LDSByteSize: 8192 bytes/workgroup (compile time only)
; SGPRBlocks: 6
; VGPRBlocks: 6
; NumSGPRsForWavesPerEU: 55
; NumVGPRsForWavesPerEU: 54
; AccumOffset: 56
; Occupancy: 8
; WaveLimiterHint : 1
; COMPUTE_PGM_RSRC2:SCRATCH_EN: 0
; COMPUTE_PGM_RSRC2:USER_SGPR: 2
; COMPUTE_PGM_RSRC2:TRAP_HANDLER: 0
; COMPUTE_PGM_RSRC2:TGID_X_EN: 1
; COMPUTE_PGM_RSRC2:TGID_Y_EN: 1
; COMPUTE_PGM_RSRC2:TGID_Z_EN: 1
; COMPUTE_PGM_RSRC2:TIDIG_COMP_CNT: 0
; COMPUTE_PGM_RSRC3_GFX90A:ACCUM_OFFSET: 13
; COMPUTE_PGM_RSRC3_GFX90A:TG_SPLIT: 0
	.section	.text._Z39paged_attention_ll4mi_QKV_mfma16_kernelI14__hip_bfloat16hLN4vllm18Fp8KVCacheDataTypeE1EhLi32ELi64ELi256ELb0ELi3EEvPKT_PKT0_S8_ifPKiSA_SA_iPKfiiiPfSD_PS3_PT2_iSC_SC_,"axG",@progbits,_Z39paged_attention_ll4mi_QKV_mfma16_kernelI14__hip_bfloat16hLN4vllm18Fp8KVCacheDataTypeE1EhLi32ELi64ELi256ELb0ELi3EEvPKT_PKT0_S8_ifPKiSA_SA_iPKfiiiPfSD_PS3_PT2_iSC_SC_,comdat
	.protected	_Z39paged_attention_ll4mi_QKV_mfma16_kernelI14__hip_bfloat16hLN4vllm18Fp8KVCacheDataTypeE1EhLi32ELi64ELi256ELb0ELi3EEvPKT_PKT0_S8_ifPKiSA_SA_iPKfiiiPfSD_PS3_PT2_iSC_SC_ ; -- Begin function _Z39paged_attention_ll4mi_QKV_mfma16_kernelI14__hip_bfloat16hLN4vllm18Fp8KVCacheDataTypeE1EhLi32ELi64ELi256ELb0ELi3EEvPKT_PKT0_S8_ifPKiSA_SA_iPKfiiiPfSD_PS3_PT2_iSC_SC_
	.globl	_Z39paged_attention_ll4mi_QKV_mfma16_kernelI14__hip_bfloat16hLN4vllm18Fp8KVCacheDataTypeE1EhLi32ELi64ELi256ELb0ELi3EEvPKT_PKT0_S8_ifPKiSA_SA_iPKfiiiPfSD_PS3_PT2_iSC_SC_
	.p2align	8
	.type	_Z39paged_attention_ll4mi_QKV_mfma16_kernelI14__hip_bfloat16hLN4vllm18Fp8KVCacheDataTypeE1EhLi32ELi64ELi256ELb0ELi3EEvPKT_PKT0_S8_ifPKiSA_SA_iPKfiiiPfSD_PS3_PT2_iSC_SC_,@function
_Z39paged_attention_ll4mi_QKV_mfma16_kernelI14__hip_bfloat16hLN4vllm18Fp8KVCacheDataTypeE1EhLi32ELi64ELi256ELb0ELi3EEvPKT_PKT0_S8_ifPKiSA_SA_iPKfiiiPfSD_PS3_PT2_iSC_SC_: ; @_Z39paged_attention_ll4mi_QKV_mfma16_kernelI14__hip_bfloat16hLN4vllm18Fp8KVCacheDataTypeE1EhLi32ELi64ELi256ELb0ELi3EEvPKT_PKT0_S8_ifPKiSA_SA_iPKfiiiPfSD_PS3_PT2_iSC_SC_
; %bb.0:
	s_load_dwordx2 s[12:13], s[0:1], 0x30
	s_mov_b32 s28, s3
	s_mov_b64 s[6:7], 0
	s_waitcnt lgkmcnt(0)
	s_cmp_lg_u64 s[12:13], 0
	s_cselect_b64 s[14:15], -1, 0
	s_and_b64 vcc, exec, s[14:15]
	s_cbranch_vccz .LBB1206_7
; %bb.1:
	s_add_i32 s8, s2, 1
	s_mov_b32 s9, 0
	s_lshl_b64 s[10:11], s[8:9], 2
	s_add_u32 s10, s12, s10
	s_mov_b32 s3, s9
	s_addc_u32 s11, s13, s11
	s_lshl_b64 s[8:9], s[2:3], 2
	s_add_u32 s8, s12, s8
	s_addc_u32 s9, s13, s9
	s_load_dword s5, s[10:11], 0x0
	s_load_dword s16, s[8:9], 0x0
	s_waitcnt lgkmcnt(0)
	s_sub_i32 s5, s5, s16
	s_cmp_eq_u32 s5, 1
	s_cselect_b64 s[8:9], -1, 0
	s_andn2_b64 vcc, exec, s[6:7]
	s_cbranch_vccnz .LBB1206_3
.LBB1206_2:
	s_mov_b32 s3, 0
	s_mov_b64 s[8:9], -1
.LBB1206_3:
	s_andn2_b64 vcc, exec, s[8:9]
	s_cbranch_vccnz .LBB1206_17
; %bb.4:
	s_load_dwordx2 s[6:7], s[0:1], 0x28
	s_lshl_b64 s[16:17], s[2:3], 2
	s_waitcnt lgkmcnt(0)
	s_add_u32 s6, s6, s16
	s_addc_u32 s7, s7, s17
	s_load_dword s33, s[6:7], 0x0
	s_lshl_b32 s5, s28, 8
	s_waitcnt lgkmcnt(0)
	s_cmp_ge_i32 s5, s33
	s_cbranch_scc1 .LBB1206_17
; %bb.5:
	s_add_i32 s9, s33, 31
	s_load_dwordx2 s[6:7], s[0:1], 0x20
	s_load_dword s8, s[0:1], 0x38
	s_ashr_i32 s10, s9, 31
	v_and_b32_e32 v1, 0xcf, v0
	s_lshr_b32 s10, s10, 27
	v_add_u32_e32 v1, s5, v1
	s_add_i32 s9, s9, s10
	v_ashrrev_i32_e32 v2, 31, v1
	s_ashr_i32 s18, s9, 5
	v_lshrrev_b32_e32 v10, 27, v2
	s_add_i32 s18, s18, -1
	v_add_u32_e32 v2, v1, v10
	v_or_b32_e32 v4, 16, v1
	s_waitcnt lgkmcnt(0)
	s_mul_i32 s8, s2, s8
	s_mov_b32 s9, 0
	v_ashrrev_i32_e32 v2, 5, v2
	v_mov_b32_e32 v11, s18
	v_cmp_gt_i32_e32 vcc, s33, v1
	v_add_u32_e32 v5, v4, v10
	s_lshl_b64 s[8:9], s[8:9], 2
	v_cndmask_b32_e32 v2, v11, v2, vcc
	v_ashrrev_i32_e32 v5, 5, v5
	v_cmp_gt_i32_e32 vcc, s33, v4
	s_add_u32 s6, s6, s8
	s_addc_u32 s7, s7, s9
	v_cndmask_b32_e32 v4, v11, v5, vcc
	v_ashrrev_i32_e32 v5, 31, v4
	v_lshl_add_u64 v[6:7], v[4:5], 2, s[6:7]
	v_or_b32_e32 v4, 32, v1
	v_add_u32_e32 v5, v4, v10
	v_ashrrev_i32_e32 v5, 5, v5
	v_cmp_gt_i32_e32 vcc, s33, v4
	v_or_b32_e32 v1, 48, v1
	v_ashrrev_i32_e32 v3, 31, v2
	v_cndmask_b32_e32 v4, v11, v5, vcc
	v_ashrrev_i32_e32 v5, 31, v4
	v_lshl_add_u64 v[8:9], v[4:5], 2, s[6:7]
	v_add_u32_e32 v4, v1, v10
	v_ashrrev_i32_e32 v4, 5, v4
	v_cmp_gt_i32_e32 vcc, s33, v1
	v_lshl_add_u64 v[2:3], v[2:3], 2, s[6:7]
	s_load_dwordx4 s[8:11], s[0:1], 0x8
	v_cndmask_b32_e32 v4, v11, v4, vcc
	v_ashrrev_i32_e32 v5, 31, v4
	v_lshl_add_u64 v[14:15], v[4:5], 2, s[6:7]
	global_load_dword v4, v[2:3], off
	global_load_dword v12, v[6:7], off
	;; [unrolled: 1-line block ×4, first 2 shown]
	s_andn2_b64 vcc, exec, s[14:15]
	s_cbranch_vccnz .LBB1206_8
; %bb.6:
	s_add_u32 s12, s12, s16
	s_addc_u32 s13, s13, s17
	s_load_dword s14, s[12:13], 0x0
	s_branch .LBB1206_9
.LBB1206_7:
	s_mov_b64 s[8:9], 0
	s_branch .LBB1206_2
.LBB1206_8:
	s_mov_b32 s14, s2
.LBB1206_9:
	s_load_dwordx4 s[44:47], s[0:1], 0x48
	v_lshrrev_b32_e32 v29, 6, v0
	v_bfe_u32 v42, v0, 4, 2
	v_lshl_or_b32 v2, v29, 2, v42
	v_and_b32_e32 v28, 15, v0
	s_mul_i32 s48, s4, 3
	v_lshlrev_b32_e32 v3, 3, v28
	v_cmp_gt_u32_e32 vcc, 3, v2
	v_cmp_gt_u32_e64 s[30:31], 8, v28
	v_and_b32_e32 v44, 63, v0
	v_add_u32_e32 v1, s48, v42
	s_and_b64 s[16:17], s[30:31], vcc
	v_lshlrev_b32_e32 v26, 1, v3
	v_lshlrev_b32_e32 v43, 4, v0
	s_and_saveexec_b64 s[12:13], s[16:17]
	s_cbranch_execz .LBB1206_11
; %bb.10:
	s_load_dwordx2 s[16:17], s[0:1], 0x0
	s_waitcnt lgkmcnt(0)
	s_ashr_i32 s15, s44, 31
	s_mul_hi_u32 s19, s14, s44
	s_mul_i32 s15, s14, s15
	s_add_i32 s15, s19, s15
	s_mul_i32 s14, s14, s44
	s_lshl_b64 s[14:15], s[14:15], 1
	s_add_u32 s14, s16, s14
	v_lshlrev_b32_e32 v6, 6, v1
	s_addc_u32 s15, s17, s15
	v_ashrrev_i32_e32 v7, 31, v6
	v_lshl_add_u64 v[6:7], v[6:7], 1, s[14:15]
	v_mov_b32_e32 v27, 0
	v_lshl_add_u64 v[6:7], v[6:7], 0, v[26:27]
	global_load_dwordx4 v[6:9], v[6:7], off
	v_lshlrev_b32_e32 v5, 8, v28
	v_lshlrev_b32_e32 v2, 5, v2
	v_and_b32_e32 v3, 16, v43
	v_and_b32_e32 v5, 0xe00, v5
	v_or3_b32 v2, v5, v2, v3
	s_waitcnt vmcnt(0)
	ds_write_b128 v2, v[6:9]
.LBB1206_11:
	s_or_b64 exec, exec, s[12:13]
	s_waitcnt lgkmcnt(0)
	s_mul_i32 s4, s4, s46
	s_add_u32 s8, s8, s4
	s_addc_u32 s9, s9, 0
	v_mov_b32_e32 v31, 0
	v_mov_b64_e32 v[2:3], s[8:9]
	v_and_b32_e32 v14, 48, v0
	s_waitcnt vmcnt(3)
	v_mad_i64_i32 v[6:7], s[8:9], v4, s45, v[2:3]
	v_lshlrev_b32_e32 v4, 4, v28
	v_mov_b32_e32 v5, v31
	v_lshlrev_b32_e32 v30, 5, v14
	v_lshl_add_u64 v[6:7], v[6:7], 0, v[4:5]
	v_lshl_add_u64 v[6:7], v[6:7], 0, v[30:31]
	s_load_dword s29, s[0:1], 0x98
	s_load_dwordx4 s[40:43], s[0:1], 0x80
	s_waitcnt lgkmcnt(0)
	s_barrier
	global_load_dwordx4 v[6:9], v[6:7], off
	s_waitcnt vmcnt(3)
	v_mad_i64_i32 v[12:13], s[8:9], v12, s45, v[2:3]
	s_ashr_i32 s8, s5, 31
	v_or_b32_e32 v20, s5, v14
	s_lshr_b32 s12, s8, 27
	v_add_u32_e32 v14, s12, v20
	v_ashrrev_i32_e32 v14, 5, v14
	v_mov_b32_e32 v33, s18
	v_cmp_gt_i32_e32 vcc, s33, v20
	v_or_b32_e32 v18, 0x100, v4
	v_mov_b32_e32 v19, v31
	v_cndmask_b32_e32 v14, v33, v14, vcc
	v_ashrrev_i32_e32 v15, 31, v14
	v_lshl_add_u64 v[12:13], v[12:13], 0, v[18:19]
	v_lshl_add_u64 v[14:15], v[14:15], 2, s[6:7]
	v_lshl_add_u64 v[12:13], v[12:13], 0, v[30:31]
	global_load_dword v52, v[14:15], off
	v_mov_b32_e32 v21, 5
	global_load_dwordx4 v[14:17], v[12:13], off
	v_mul_lo_u16_e32 v12, 0x56, v28
	v_mov_b32_e32 v13, 3
	v_mul_lo_u16_sdwa v12, v12, v13 dst_sel:DWORD dst_unused:UNUSED_PAD src0_sel:BYTE_1 src1_sel:DWORD
	v_sub_u16_e32 v12, v28, v12
	v_or_b32_e32 v32, 64, v20
	v_or_b32_e32 v34, 0x80, v20
	;; [unrolled: 1-line block ×3, first 2 shown]
	v_lshlrev_b32_sdwa v20, v21, v12 dst_sel:DWORD dst_unused:UNUSED_PAD src0_sel:DWORD src1_sel:BYTE_0
	s_waitcnt vmcnt(4)
	v_mad_i64_i32 v[12:13], s[8:9], v11, s45, v[2:3]
	v_lshl_add_u64 v[4:5], v[12:13], 0, v[4:5]
	v_lshl_add_u64 v[4:5], v[4:5], 0, v[30:31]
	global_load_dwordx4 v[22:25], v[4:5], off
	v_lshl_add_u32 v4, v42, 9, v20
	s_waitcnt vmcnt(4)
	v_mad_i64_i32 v[20:21], s[8:9], v10, s45, v[2:3]
	v_add_u32_e32 v36, s12, v32
	v_add_u32_e32 v37, s12, v34
	v_lshl_add_u64 v[18:19], v[20:21], 0, v[18:19]
	v_ashrrev_i32_e32 v20, 5, v36
	v_cmp_gt_i32_e32 vcc, s33, v32
	v_ashrrev_i32_e32 v21, 5, v37
	v_lshl_add_u64 v[18:19], v[18:19], 0, v[30:31]
	v_cndmask_b32_e32 v32, v33, v20, vcc
	v_cmp_gt_i32_e32 vcc, s33, v34
	ds_read_b128 v[10:13], v4
	ds_read_b128 v[2:5], v4 offset:16
	v_cndmask_b32_e32 v34, v33, v21, vcc
	global_load_dwordx4 v[18:21], v[18:19], off
	v_add_u32_e32 v38, s12, v35
	s_add_u32 s8, s10, s4
	v_ashrrev_i32_e32 v36, 5, v38
	v_cmp_gt_i32_e32 vcc, s33, v35
	v_lshlrev_b32_e32 v27, 5, v28
	s_addc_u32 s9, s11, 0
	v_cndmask_b32_e32 v36, v33, v36, vcc
	v_and_b32_e32 v30, 16, v0
	v_ashrrev_i32_e32 v37, 31, v36
	v_lshl_add_u64 v[38:39], s[8:9], 0, v[30:31]
	v_lshl_or_b32 v30, v29, 9, v27
	v_lshl_add_u64 v[40:41], v[36:37], 2, s[6:7]
	v_lshl_add_u64 v[30:31], v[38:39], 0, v[30:31]
	s_mov_b32 s44, 0x7060302
	v_ashrrev_i32_e32 v33, 31, v32
	v_ashrrev_i32_e32 v35, 31, v34
	v_lshl_add_u64 v[32:33], v[32:33], 2, s[6:7]
	v_lshl_add_u64 v[34:35], v[34:35], 2, s[6:7]
	global_load_dword v45, v[32:33], off
	s_nop 0
	global_load_dword v34, v[34:35], off
	s_nop 0
	global_load_dword v35, v[40:41], off
	s_load_dword s13, s[0:1], 0x1c
	s_load_dword s4, s[40:41], 0x0
	s_mov_b32 s46, 0xff7fffff
	s_waitcnt vmcnt(7)
	v_cvt_pk_f32_fp8_e32 v[36:37], v6
	v_cvt_pk_f32_fp8_sdwa v[38:39], v6 src0_sel:WORD_1
	v_cvt_pk_f32_fp8_e32 v[46:47], v7
	v_cvt_pk_f32_fp8_sdwa v[6:7], v7 src0_sel:WORD_1
	v_perm_b32 v36, v37, v36, s44
	v_perm_b32 v37, v39, v38, s44
	v_cvt_pk_f32_fp8_e32 v[48:49], v8
	v_cvt_pk_f32_fp8_sdwa v[50:51], v8 src0_sel:WORD_1
	v_perm_b32 v46, v47, v46, s44
	v_perm_b32 v47, v7, v6, s44
	s_waitcnt lgkmcnt(0)
	v_mfma_f32_16x16x16_bf16 v[36:39], v[36:37], v[10:11], 0
	v_perm_b32 v32, v49, v48, s44
	v_perm_b32 v33, v51, v50, s44
	v_cvt_pk_f32_fp8_e32 v[40:41], v9
	v_cvt_pk_f32_fp8_sdwa v[8:9], v9 src0_sel:WORD_1
	v_mfma_f32_16x16x16_bf16 v[36:39], v[46:47], v[12:13], v[36:39]
	v_perm_b32 v40, v41, v40, s44
	v_perm_b32 v41, v9, v8, s44
	v_mfma_f32_16x16x16_bf16 v[36:39], v[32:33], v[2:3], v[36:39]
	s_waitcnt vmcnt(5)
	v_cvt_pk_f32_fp8_e32 v[8:9], v14
	v_cvt_pk_f32_fp8_sdwa v[32:33], v14 src0_sel:WORD_1
	v_cvt_pk_f32_fp8_sdwa v[50:51], v16 src0_sel:WORD_1
	v_mfma_f32_16x16x16_bf16 v[36:39], v[40:41], v[4:5], v[36:39]
	v_cvt_pk_f32_fp8_e32 v[40:41], v15
	v_perm_b32 v8, v9, v8, s44
	v_perm_b32 v9, v33, v32, s44
	v_cvt_pk_f32_fp8_sdwa v[14:15], v15 src0_sel:WORD_1
	v_perm_b32 v32, v41, v40, s44
	v_cvt_pk_f32_fp8_e32 v[40:41], v16
	v_mfma_f32_16x16x16_bf16 v[46:49], v[8:9], v[10:11], 0
	v_perm_b32 v33, v15, v14, s44
	v_perm_b32 v8, v41, v40, s44
	;; [unrolled: 1-line block ×3, first 2 shown]
	v_cvt_pk_f32_fp8_e32 v[40:41], v17
	v_cvt_pk_f32_fp8_sdwa v[50:51], v17 src0_sel:WORD_1
	v_mfma_f32_16x16x16_bf16 v[14:17], v[32:33], v[12:13], v[46:49]
	v_mad_i64_i32 v[6:7], s[6:7], v52, s45, v[30:31]
	v_perm_b32 v32, v41, v40, s44
	v_perm_b32 v33, v51, v50, s44
	v_mfma_f32_16x16x16_bf16 v[14:17], v[8:9], v[2:3], v[14:17]
	s_waitcnt vmcnt(4)
	v_cvt_pk_f32_fp8_e32 v[8:9], v22
	v_cvt_pk_f32_fp8_sdwa v[40:41], v22 src0_sel:WORD_1
	v_mov_b32_e32 v46, s13
	v_mfma_f32_16x16x16_bf16 v[14:17], v[32:33], v[4:5], v[14:17]
	v_cvt_pk_f32_fp8_e32 v[32:33], v23
	v_perm_b32 v8, v9, v8, s44
	v_perm_b32 v9, v41, v40, s44
	v_cvt_pk_f32_fp8_sdwa v[22:23], v23 src0_sel:WORD_1
	v_perm_b32 v32, v33, v32, s44
	v_cvt_pk_f32_fp8_e32 v[40:41], v24
	v_cvt_pk_f32_fp8_sdwa v[52:53], v24 src0_sel:WORD_1
	v_perm_b32 v33, v23, v22, s44
	v_mul_f32_e32 v50, s4, v46
	v_mfma_f32_16x16x16_bf16 v[46:49], v[8:9], v[10:11], 0
	v_perm_b32 v8, v41, v40, s44
	v_perm_b32 v9, v53, v52, s44
	v_cvt_pk_f32_fp8_e32 v[40:41], v25
	v_cvt_pk_f32_fp8_sdwa v[24:25], v25 src0_sel:WORD_1
	v_mfma_f32_16x16x16_bf16 v[46:49], v[32:33], v[12:13], v[46:49]
	v_pk_mul_f32 v[22:23], v[50:51], v[38:39] op_sel_hi:[0,1]
	v_perm_b32 v32, v41, v40, s44
	v_perm_b32 v33, v25, v24, s44
	v_mfma_f32_16x16x16_bf16 v[38:41], v[8:9], v[2:3], v[46:49]
	v_pk_mul_f32 v[8:9], v[50:51], v[36:37] op_sel_hi:[0,1]
	s_waitcnt vmcnt(3)
	v_cvt_pk_f32_fp8_e32 v[24:25], v18
	v_cvt_pk_f32_fp8_sdwa v[36:37], v18 src0_sel:WORD_1
	v_mfma_f32_16x16x16_bf16 v[46:49], v[32:33], v[4:5], v[38:41]
	v_cvt_pk_f32_fp8_e32 v[32:33], v19
	v_perm_b32 v24, v25, v24, s44
	v_perm_b32 v25, v37, v36, s44
	v_cvt_pk_f32_fp8_sdwa v[18:19], v19 src0_sel:WORD_1
	v_perm_b32 v32, v33, v32, s44
	v_cvt_pk_f32_fp8_e32 v[40:41], v20
	v_cvt_pk_f32_fp8_sdwa v[52:53], v20 src0_sel:WORD_1
	v_perm_b32 v33, v19, v18, s44
	v_mfma_f32_16x16x16_bf16 v[36:39], v[24:25], v[10:11], 0
	v_perm_b32 v18, v41, v40, s44
	v_perm_b32 v19, v53, v52, s44
	v_cvt_pk_f32_fp8_e32 v[24:25], v21
	v_cvt_pk_f32_fp8_sdwa v[20:21], v21 src0_sel:WORD_1
	v_mfma_f32_16x16x16_bf16 v[10:13], v[32:33], v[12:13], v[36:39]
	v_pk_mul_f32 v[40:41], v[50:51], v[14:15] op_sel_hi:[0,1]
	v_pk_mul_f32 v[32:33], v[50:51], v[48:49] op_sel_hi:[0,1]
	s_nop 0
	v_pk_mul_f32 v[36:37], v[50:51], v[16:17] op_sel_hi:[0,1]
	v_perm_b32 v16, v25, v24, s44
	v_perm_b32 v17, v21, v20, s44
	v_mfma_f32_16x16x16_bf16 v[10:13], v[18:19], v[2:3], v[10:13]
	v_pk_mul_f32 v[38:39], v[50:51], v[46:47] op_sel_hi:[0,1]
	v_mfma_f32_16x16x16_bf16 v[2:5], v[16:17], v[4:5], v[10:13]
	s_nop 6
	v_pk_mul_f32 v[24:25], v[50:51], v[2:3] op_sel_hi:[0,1]
	v_and_b32_e32 v2, 0xc0, v0
	v_add_u32_e32 v2, s5, v2
	v_lshl_or_b32 v2, v42, 2, v2
	v_pk_mul_f32 v[18:19], v[50:51], v[4:5] op_sel_hi:[0,1]
	v_or_b32_e32 v5, 1, v2
	v_mov_b32_e32 v3, 0xff7fffff
	v_cmp_gt_i32_e64 s[4:5], s33, v2
	v_cmp_gt_i32_e64 s[34:35], s33, v5
	v_or_b32_e32 v10, 3, v2
	v_cndmask_b32_e64 v4, v3, v8, s[4:5]
	v_cndmask_b32_e64 v5, v3, v9, s[34:35]
	v_max3_f32 v4, v4, s46, v5
	v_or_b32_e32 v5, 2, v2
	v_cmp_gt_i32_e64 s[36:37], s33, v5
	v_cmp_gt_i32_e64 s[38:39], s33, v10
	s_nop 0
	v_cndmask_b32_e64 v5, v3, v22, s[36:37]
	v_cndmask_b32_e64 v10, v3, v23, s[38:39]
	v_max3_f32 v4, v4, v5, v10
	v_or_b32_e32 v5, 16, v2
	v_or_b32_e32 v10, 17, v2
	v_cmp_gt_i32_e64 s[24:25], s33, v5
	v_cmp_gt_i32_e64 s[26:27], s33, v10
	s_nop 0
	v_cndmask_b32_e64 v5, v3, v40, s[24:25]
	v_cndmask_b32_e64 v10, v3, v41, s[26:27]
	v_max3_f32 v4, v4, v5, v10
	v_or_b32_e32 v5, 18, v2
	;; [unrolled: 8-line block ×6, first 2 shown]
	v_or_b32_e32 v2, 51, v2
	v_cmp_gt_i32_e32 vcc, s33, v5
	v_cmp_gt_i32_e64 s[6:7], s33, v2
	s_nop 0
	v_cndmask_b32_e32 v5, v3, v18, vcc
	v_cndmask_b32_e64 v2, v3, v19, s[6:7]
	v_max3_f32 v4, v4, v5, v2
	v_mbcnt_lo_u32_b32 v2, -1, 0
	v_mbcnt_hi_u32_b32 v5, -1, v2
	v_and_b32_e32 v2, 64, v5
	v_add_u32_e32 v20, 64, v2
	v_xor_b32_e32 v2, 32, v5
	v_cmp_lt_i32_e64 s[40:41], v2, v20
	s_nop 1
	v_cndmask_b32_e64 v2, v5, v2, s[40:41]
	v_lshlrev_b32_e32 v46, 2, v2
	ds_bpermute_b32 v21, v46, v4
	s_waitcnt vmcnt(2)
	v_mad_i64_i32 v[2:3], s[40:41], v45, s45, v[30:31]
	global_load_dwordx4 v[14:17], v[6:7], off
	global_load_dwordx4 v[10:13], v[2:3], off
	v_xor_b32_e32 v3, 16, v5
	v_cmp_lt_i32_e64 s[40:41], v3, v20
	s_waitcnt lgkmcnt(0)
	v_max_f32_e32 v2, v21, v21
	v_max_f32_e32 v2, v4, v2
	v_cndmask_b32_e64 v3, v5, v3, s[40:41]
	v_lshlrev_b32_e32 v47, 2, v3
	ds_bpermute_b32 v3, v47, v2
	s_waitcnt vmcnt(3)
	v_mad_i64_i32 v[20:21], s[40:41], v34, s45, v[30:31]
	s_waitcnt vmcnt(2)
	v_mad_i64_i32 v[30:31], s[40:41], v35, s45, v[30:31]
	s_waitcnt lgkmcnt(0)
	v_max_f32_e32 v3, v3, v3
	v_max_f32_e32 v45, v2, v3
	v_sub_f32_e32 v2, v8, v45
	v_mul_f32_e32 v2, 0x3fb8aa3b, v2
	v_exp_f32_e32 v34, v2
	v_sub_f32_e32 v2, v9, v45
	v_mul_f32_e32 v2, 0x3fb8aa3b, v2
	v_exp_f32_e32 v35, v2
	global_load_dwordx4 v[6:9], v[20:21], off
	global_load_dwordx4 v[2:5], v[30:31], off
	v_sub_f32_e32 v22, v22, v45
	v_mul_f32_e32 v22, 0x3fb8aa3b, v22
	v_sub_f32_e32 v23, v23, v45
	v_exp_f32_e32 v22, v22
	v_mul_f32_e32 v23, 0x3fb8aa3b, v23
	v_exp_f32_e32 v23, v23
	v_cndmask_b32_e64 v20, 0, v34, s[4:5]
	v_add_f32_e32 v30, 0, v20
	v_cndmask_b32_e64 v21, 0, v35, s[34:35]
	v_add_f32_e32 v30, v30, v21
	;; [unrolled: 2-line block ×3, first 2 shown]
	v_cndmask_b32_e64 v35, 0, v23, s[38:39]
	v_sub_f32_e32 v23, v40, v45
	v_sub_f32_e32 v30, v41, v45
	v_mul_f32_e32 v23, 0x3fb8aa3b, v23
	v_mul_f32_e32 v30, 0x3fb8aa3b, v30
	v_exp_f32_e32 v23, v23
	v_exp_f32_e32 v30, v30
	v_add_f32_e32 v31, v22, v35
	v_sub_f32_e32 v32, v32, v45
	v_cndmask_b32_e64 v22, 0, v23, s[24:25]
	v_cndmask_b32_e64 v23, 0, v30, s[26:27]
	v_sub_f32_e32 v30, v36, v45
	v_mul_f32_e32 v30, 0x3fb8aa3b, v30
	v_exp_f32_e32 v30, v30
	v_sub_f32_e32 v36, v37, v45
	v_add_f32_e32 v31, v31, v22
	v_mul_f32_e32 v36, 0x3fb8aa3b, v36
	v_exp_f32_e32 v37, v36
	v_add_f32_e32 v31, v31, v23
	v_cndmask_b32_e64 v36, 0, v30, s[20:21]
	v_add_f32_e32 v30, v31, v36
	v_sub_f32_e32 v31, v38, v45
	v_mul_f32_e32 v31, 0x3fb8aa3b, v31
	v_sub_f32_e32 v38, v39, v45
	v_exp_f32_e32 v31, v31
	v_mul_f32_e32 v38, 0x3fb8aa3b, v38
	v_exp_f32_e32 v38, v38
	v_mul_f32_e32 v32, 0x3fb8aa3b, v32
	v_sub_f32_e32 v33, v33, v45
	v_exp_f32_e32 v32, v32
	v_mul_f32_e32 v33, 0x3fb8aa3b, v33
	v_sub_f32_e32 v24, v24, v45
	v_cndmask_b32_e64 v37, 0, v37, s[22:23]
	v_exp_f32_e32 v33, v33
	v_mul_f32_e32 v24, 0x3fb8aa3b, v24
	v_sub_f32_e32 v25, v25, v45
	v_add_f32_e32 v39, v30, v37
	v_cndmask_b32_e64 v30, 0, v31, s[16:17]
	v_exp_f32_e32 v24, v24
	v_mul_f32_e32 v25, 0x3fb8aa3b, v25
	v_sub_f32_e32 v18, v18, v45
	v_add_f32_e32 v39, v39, v30
	v_cndmask_b32_e64 v31, 0, v38, s[18:19]
	v_exp_f32_e32 v25, v25
	v_mul_f32_e32 v18, 0x3fb8aa3b, v18
	v_sub_f32_e32 v19, v19, v45
	v_add_f32_e32 v38, v39, v31
	v_cndmask_b32_e64 v32, 0, v32, s[12:13]
	v_exp_f32_e32 v18, v18
	v_mul_f32_e32 v19, 0x3fb8aa3b, v19
	v_add_f32_e32 v38, v38, v32
	v_cndmask_b32_e64 v33, 0, v33, s[14:15]
	v_exp_f32_e32 v19, v19
	v_add_f32_e32 v38, v38, v33
	v_cndmask_b32_e64 v24, 0, v24, s[8:9]
	v_add_f32_e32 v38, v38, v24
	v_cndmask_b32_e64 v25, 0, v25, s[10:11]
	v_add_f32_e32 v38, v38, v25
	v_cndmask_b32_e32 v18, 0, v18, vcc
	v_add_f32_e32 v38, v38, v18
	v_cndmask_b32_e64 v19, 0, v19, s[6:7]
	v_add_f32_e32 v38, v38, v19
	ds_bpermute_b32 v39, v46, v38
	v_cmp_gt_u32_e32 vcc, 16, v44
	s_waitcnt lgkmcnt(0)
	s_barrier
	v_add_f32_e32 v38, v38, v39
	ds_bpermute_b32 v40, v47, v38
	v_lshlrev_b32_e32 v39, 2, v28
	s_and_saveexec_b64 s[4:5], vcc
	s_cbranch_execz .LBB1206_13
; %bb.12:
	s_waitcnt lgkmcnt(0)
	v_add_f32_e32 v38, v38, v40
	v_lshl_or_b32 v40, v29, 6, v39
	ds_write2st64_b32 v40, v45, v38 offset1:1
.LBB1206_13:
	s_or_b64 exec, exec, s[4:5]
	s_load_dword s6, s[0:1], 0x94
	s_waitcnt lgkmcnt(0)
	s_barrier
	ds_read2_b32 v[40:41], v39 offset1:16
	ds_read2_b32 v[44:45], v39 offset0:32 offset1:48
	ds_read2_b32 v[46:47], v39 offset0:64 offset1:80
	s_movk_i32 s8, 0x7fff
	s_mul_i32 s7, s29, 3
	s_waitcnt lgkmcnt(2)
	v_max3_f32 v38, v40, s46, v41
	s_waitcnt lgkmcnt(1)
	v_max3_f32 v38, v38, v44, v45
	v_sub_f32_e32 v40, v40, v38
	v_mul_f32_e32 v40, 0x3fb8aa3b, v40
	v_exp_f32_e32 v48, v40
	v_sub_f32_e32 v40, v41, v38
	v_mul_f32_e32 v40, 0x3fb8aa3b, v40
	v_exp_f32_e32 v49, v40
	;; [unrolled: 3-line block ×3, first 2 shown]
	ds_read2_b32 v[40:41], v39 offset0:96 offset1:112
	v_sub_f32_e32 v39, v45, v38
	v_mul_f32_e32 v39, 0x3fb8aa3b, v39
	v_exp_f32_e32 v45, v39
	s_waitcnt lgkmcnt(1)
	v_fma_f32 v39, v48, v46, 0
	v_fmac_f32_e32 v39, v49, v47
	s_waitcnt lgkmcnt(0)
	v_fmac_f32_e32 v39, v44, v40
	v_fmac_f32_e32 v39, v45, v41
	v_add_f32_e32 v40, 0x358637bd, v39
	v_div_scale_f32 v41, s[4:5], v40, v40, 1.0
	v_rcp_f32_e32 v46, v41
	s_barrier
	v_fma_f32 v47, -v41, v46, 1.0
	v_fmac_f32_e32 v46, v47, v46
	v_div_scale_f32 v47, vcc, 1.0, v40, 1.0
	v_mul_f32_e32 v50, v47, v46
	v_fma_f32 v51, -v41, v50, v47
	v_fmac_f32_e32 v50, v51, v46
	v_fma_f32 v41, -v41, v50, v47
	v_div_fmas_f32 v41, v41, v46, v50
	v_cmp_eq_u32_e32 vcc, 1, v29
	v_div_fixup_f32 v40, v41, v40, 1.0
	s_nop 0
	v_cndmask_b32_e32 v41, v48, v49, vcc
	v_cmp_eq_u32_e32 vcc, 2, v29
	s_nop 1
	v_cndmask_b32_e32 v41, v41, v44, vcc
	v_cmp_eq_u32_e32 vcc, 3, v29
	s_nop 1
	v_cndmask_b32_e32 v41, v41, v45, vcc
	v_mul_f32_e32 v40, v41, v40
	v_pk_mul_f32 v[20:21], v[40:41], v[20:21] op_sel_hi:[0,1]
	v_pk_mul_f32 v[34:35], v[40:41], v[34:35] op_sel_hi:[0,1]
	v_bfe_u32 v41, v21, 16, 1
	v_bfe_u32 v44, v20, 16, 1
	v_add3_u32 v20, v20, v44, s8
	v_add3_u32 v21, v21, v41, s8
	v_perm_b32 v44, v21, v20, s44
	v_bfe_u32 v20, v35, 16, 1
	v_bfe_u32 v21, v34, 16, 1
	v_add3_u32 v21, v34, v21, s8
	v_add3_u32 v20, v35, v20, s8
	v_perm_b32 v45, v20, v21, s44
	v_lshlrev_b32_e32 v20, 3, v42
	v_lshlrev_b32_e32 v21, 11, v29
	v_pk_mul_f32 v[22:23], v[40:41], v[22:23] op_sel_hi:[0,1]
	v_or3_b32 v20, v21, v27, v20
	v_bfe_u32 v21, v23, 16, 1
	v_bfe_u32 v29, v22, 16, 1
	v_pk_mul_f32 v[34:35], v[40:41], v[36:37] op_sel_hi:[0,1]
	v_add3_u32 v22, v22, v29, s8
	v_add3_u32 v21, v23, v21, s8
	v_perm_b32 v22, v21, v22, s44
	v_bfe_u32 v21, v35, 16, 1
	v_bfe_u32 v23, v34, 16, 1
	v_add3_u32 v23, v34, v23, s8
	v_add3_u32 v21, v35, v21, s8
	v_pk_mul_f32 v[30:31], v[40:41], v[30:31] op_sel_hi:[0,1]
	v_perm_b32 v23, v21, v23, s44
	v_bfe_u32 v21, v31, 16, 1
	v_bfe_u32 v29, v30, 16, 1
	ds_write2st64_b64 v20, v[44:45], v[22:23] offset1:1
	v_pk_mul_f32 v[22:23], v[40:41], v[32:33] op_sel_hi:[0,1]
	v_add3_u32 v29, v30, v29, s8
	v_add3_u32 v21, v31, v21, s8
	v_perm_b32 v30, v21, v29, s44
	v_bfe_u32 v21, v23, 16, 1
	v_bfe_u32 v29, v22, 16, 1
	v_add3_u32 v22, v22, v29, s8
	v_add3_u32 v21, v23, v21, s8
	v_perm_b32 v31, v21, v22, s44
	v_pk_mul_f32 v[22:23], v[40:41], v[24:25] op_sel_hi:[0,1]
	v_bfe_u32 v21, v23, 16, 1
	v_bfe_u32 v24, v22, 16, 1
	v_pk_mul_f32 v[18:19], v[40:41], v[18:19] op_sel_hi:[0,1]
	v_add3_u32 v22, v22, v24, s8
	v_add3_u32 v21, v23, v21, s8
	v_perm_b32 v22, v21, v22, s44
	v_bfe_u32 v21, v19, 16, 1
	v_bfe_u32 v23, v18, 16, 1
	v_add3_u32 v18, v18, v23, s8
	v_add3_u32 v19, v19, v21, s8
	v_perm_b32 v23, v19, v18, s44
	v_cmp_gt_u32_e32 vcc, 3, v0
	ds_write2st64_b64 v20, v[30:31], v[22:23] offset0:2 offset1:3
	s_and_saveexec_b64 s[4:5], vcc
	s_cbranch_execz .LBB1206_15
; %bb.14:
	s_mov_b32 s49, 0
	v_mov_b32_e32 v29, 0
	v_lshl_add_u64 v[18:19], s[48:49], 0, v[28:29]
	v_mov_b32_e32 v21, s7
	v_mad_u64_u32 v[18:19], s[10:11], s2, v21, v[18:19]
	s_mul_i32 s3, s3, s7
	v_mov_b32_e32 v28, s28
	s_load_dwordx4 s[12:15], s[0:1], 0x58
	v_add_u32_e32 v21, s3, v19
	v_mad_u64_u32 v[18:19], s[10:11], v18, s6, v[28:29]
	v_mov_b32_e32 v22, v19
	v_mad_u64_u32 v[22:23], s[10:11], v21, s6, v[22:23]
	v_mov_b32_e32 v19, v22
	v_lshlrev_b64 v[18:19], 2, v[18:19]
	s_waitcnt lgkmcnt(0)
	v_lshl_add_u64 v[22:23], s[14:15], 0, v[18:19]
	v_lshl_add_u64 v[18:19], s[12:13], 0, v[18:19]
	global_store_dword v[22:23], v38, off
	global_store_dword v[18:19], v39, off
.LBB1206_15:
	s_or_b64 exec, exec, s[4:5]
	s_waitcnt vmcnt(3)
	v_cvt_pk_f32_fp8_e32 v[18:19], v14
	v_cvt_pk_f32_fp8_sdwa v[22:23], v14 src0_sel:WORD_1
	s_mov_b32 s4, 0x7060302
	v_lshl_or_b32 v14, v42, 9, v27
	s_waitcnt lgkmcnt(0)
	s_barrier
	v_perm_b32 v18, v19, v18, s4
	v_perm_b32 v19, v23, v22, s4
	v_cvt_pk_f32_fp8_e32 v[28:29], v15
	ds_read_b128 v[22:25], v14
	v_cvt_pk_f32_fp8_sdwa v[36:37], v15 src0_sel:WORD_1
	s_load_dword s10, s[42:43], 0x0
	v_perm_b32 v38, v29, v28, s4
	ds_read_b128 v[28:31], v14 offset:16
	v_perm_b32 v39, v37, v36, s4
	s_waitcnt lgkmcnt(0)
	v_mfma_f32_16x16x16_bf16 v[32:35], v[18:19], v[22:23], 0
	v_cvt_pk_f32_fp8_e32 v[18:19], v16
	v_cvt_pk_f32_fp8_sdwa v[36:37], v16 src0_sel:WORD_1
	v_cmp_gt_u32_e32 vcc, 64, v0
	v_mfma_f32_16x16x16_bf16 v[22:25], v[38:39], v[24:25], v[32:35]
	v_perm_b32 v18, v19, v18, s4
	v_perm_b32 v19, v37, v36, s4
	s_waitcnt vmcnt(2)
	v_cvt_pk_f32_fp8_sdwa v[36:37], v10 src0_sel:WORD_1
	v_cvt_pk_f32_fp8_e32 v[32:33], v17
	v_cvt_pk_f32_fp8_sdwa v[16:17], v17 src0_sel:WORD_1
	v_cvt_pk_f32_fp8_e32 v[34:35], v10
	s_mov_b32 s3, 0
	v_perm_b32 v32, v33, v32, s4
	v_perm_b32 v33, v17, v16, s4
	v_mfma_f32_16x16x16_bf16 v[16:19], v[18:19], v[28:29], v[22:25]
	v_perm_b32 v34, v35, v34, s4
	v_perm_b32 v35, v37, v36, s4
	v_cvt_pk_f32_fp8_e32 v[28:29], v11
	ds_read_b128 v[22:25], v14 offset:2048
	v_cvt_pk_f32_fp8_sdwa v[10:11], v11 src0_sel:WORD_1
	v_mfma_f32_16x16x16_bf16 v[16:19], v[32:33], v[30:31], v[16:19]
	v_perm_b32 v32, v29, v28, s4
	ds_read_b128 v[28:31], v14 offset:2064
	v_perm_b32 v33, v11, v10, s4
	s_waitcnt lgkmcnt(1)
	v_mfma_f32_16x16x16_bf16 v[16:19], v[34:35], v[22:23], v[16:19]
	v_cvt_pk_f32_fp8_e32 v[10:11], v12
	v_cvt_pk_f32_fp8_sdwa v[22:23], v12 src0_sel:WORD_1
	v_mov_b32_e32 v27, 0
	v_mfma_f32_16x16x16_bf16 v[16:19], v[32:33], v[24:25], v[16:19]
	v_cvt_pk_f32_fp8_e32 v[24:25], v13
	v_perm_b32 v10, v11, v10, s4
	v_perm_b32 v11, v23, v22, s4
	v_cvt_pk_f32_fp8_sdwa v[12:13], v13 src0_sel:WORD_1
	v_perm_b32 v22, v25, v24, s4
	s_waitcnt vmcnt(1)
	v_cvt_pk_f32_fp8_e32 v[24:25], v6
	v_cvt_pk_f32_fp8_sdwa v[32:33], v6 src0_sel:WORD_1
	v_perm_b32 v23, v13, v12, s4
	s_waitcnt lgkmcnt(0)
	v_mfma_f32_16x16x16_bf16 v[10:13], v[10:11], v[28:29], v[16:19]
	v_perm_b32 v28, v25, v24, s4
	v_perm_b32 v29, v33, v32, s4
	v_cvt_pk_f32_fp8_e32 v[24:25], v7
	ds_read_b128 v[16:19], v14 offset:4096
	v_cvt_pk_f32_fp8_sdwa v[6:7], v7 src0_sel:WORD_1
	v_mfma_f32_16x16x16_bf16 v[10:13], v[22:23], v[30:31], v[10:13]
	v_perm_b32 v30, v25, v24, s4
	ds_read_b128 v[22:25], v14 offset:4112
	v_perm_b32 v31, v7, v6, s4
	s_waitcnt lgkmcnt(1)
	v_mfma_f32_16x16x16_bf16 v[10:13], v[28:29], v[16:17], v[10:13]
	v_cvt_pk_f32_fp8_e32 v[6:7], v8
	v_cvt_pk_f32_fp8_sdwa v[16:17], v8 src0_sel:WORD_1
	s_waitcnt vmcnt(0)
	v_cvt_pk_f32_fp8_sdwa v[28:29], v2 src0_sel:WORD_1
	v_mfma_f32_16x16x16_bf16 v[10:13], v[30:31], v[18:19], v[10:13]
	v_cvt_pk_f32_fp8_e32 v[18:19], v9
	v_perm_b32 v6, v7, v6, s4
	v_perm_b32 v7, v17, v16, s4
	v_cvt_pk_f32_fp8_sdwa v[8:9], v9 src0_sel:WORD_1
	v_perm_b32 v16, v19, v18, s4
	v_cvt_pk_f32_fp8_e32 v[18:19], v2
	v_perm_b32 v17, v9, v8, s4
	s_waitcnt lgkmcnt(0)
	v_mfma_f32_16x16x16_bf16 v[6:9], v[6:7], v[22:23], v[10:13]
	v_perm_b32 v18, v19, v18, s4
	v_perm_b32 v19, v29, v28, s4
	v_cvt_pk_f32_fp8_e32 v[22:23], v3
	ds_read_b128 v[10:13], v14 offset:6144
	v_cvt_pk_f32_fp8_sdwa v[2:3], v3 src0_sel:WORD_1
	v_mfma_f32_16x16x16_bf16 v[6:9], v[16:17], v[24:25], v[6:9]
	v_perm_b32 v22, v23, v22, s4
	ds_read_b128 v[14:17], v14 offset:6160
	v_perm_b32 v23, v3, v2, s4
	s_waitcnt lgkmcnt(1)
	v_mfma_f32_16x16x16_bf16 v[6:9], v[18:19], v[10:11], v[6:9]
	v_cvt_pk_f32_fp8_e32 v[2:3], v4
	v_cvt_pk_f32_fp8_sdwa v[10:11], v4 src0_sel:WORD_1
	s_waitcnt lgkmcnt(0)
	v_mfma_f32_16x16x16_bf16 v[6:9], v[22:23], v[12:13], v[6:9]
	v_perm_b32 v2, v3, v2, s4
	v_perm_b32 v3, v11, v10, s4
	v_cvt_pk_f32_fp8_e32 v[10:11], v5
	v_cvt_pk_f32_fp8_sdwa v[4:5], v5 src0_sel:WORD_1
	s_barrier
	v_perm_b32 v10, v11, v10, s4
	v_perm_b32 v11, v5, v4, s4
	v_mfma_f32_16x16x16_bf16 v[2:5], v[2:3], v[14:15], v[6:9]
	s_nop 0
	v_mfma_f32_16x16x16_bf16 v[2:5], v[10:11], v[16:17], v[2:5]
	s_nop 6
	v_pk_mul_f32 v[2:3], v[2:3], s[10:11] op_sel_hi:[1,0]
	v_pk_mul_f32 v[4:5], v[4:5], s[10:11] op_sel_hi:[1,0]
	v_bfe_u32 v6, v3, 16, 1
	v_bfe_u32 v7, v2, 16, 1
	v_add3_u32 v2, v2, v7, s8
	v_add3_u32 v3, v3, v6, s8
	v_perm_b32 v2, v3, v2, s4
	v_bfe_u32 v3, v5, 16, 1
	v_bfe_u32 v6, v4, 16, 1
	v_add3_u32 v4, v4, v6, s8
	v_add3_u32 v3, v5, v3, s8
	v_perm_b32 v3, v3, v4, s4
	v_cmp_ne_u32_e64 s[4:5], 3, v42
	s_and_b64 s[4:5], s[4:5], vcc
	s_and_b64 s[4:5], s[4:5], s[30:31]
	ds_write_b64 v20, v[2:3]
	s_waitcnt lgkmcnt(0)
	s_barrier
	s_and_saveexec_b64 s[8:9], s[4:5]
	s_cbranch_execz .LBB1206_17
; %bb.16:
	s_load_dwordx2 s[0:1], s[0:1], 0x68
	s_mul_i32 s2, s7, s2
	s_lshl_b32 s6, s6, 6
	s_mul_hi_u32 s5, s2, s6
	s_mul_i32 s4, s2, s6
	v_lshlrev_b32_e32 v0, 10, v0
	s_lshl_b64 s[4:5], s[4:5], 1
	v_and_b32_e32 v0, 0x1800, v0
	v_lshlrev_b32_e32 v2, 5, v42
	v_and_b32_e32 v3, 16, v43
	s_waitcnt lgkmcnt(0)
	s_add_u32 s4, s0, s4
	v_or3_b32 v0, v0, v2, v3
	s_addc_u32 s5, s1, s5
	s_lshl_b32 s2, s28, 6
	ds_read_b128 v[2:5], v0
	s_lshl_b64 s[0:1], s[2:3], 1
	s_add_u32 s0, s4, s0
	s_addc_u32 s1, s5, s1
	v_mad_u64_u32 v[0:1], s[2:3], s6, v1, 0
	v_lshl_add_u64 v[0:1], v[0:1], 1, s[0:1]
	v_lshl_add_u64 v[0:1], v[0:1], 0, v[26:27]
	s_waitcnt lgkmcnt(0)
	global_store_dwordx4 v[0:1], v[2:5], off
.LBB1206_17:
	s_endpgm
	.section	.rodata,"a",@progbits
	.p2align	6, 0x0
	.amdhsa_kernel _Z39paged_attention_ll4mi_QKV_mfma16_kernelI14__hip_bfloat16hLN4vllm18Fp8KVCacheDataTypeE1EhLi32ELi64ELi256ELb0ELi3EEvPKT_PKT0_S8_ifPKiSA_SA_iPKfiiiPfSD_PS3_PT2_iSC_SC_
		.amdhsa_group_segment_fixed_size 8192
		.amdhsa_private_segment_fixed_size 0
		.amdhsa_kernarg_size 400
		.amdhsa_user_sgpr_count 2
		.amdhsa_user_sgpr_dispatch_ptr 0
		.amdhsa_user_sgpr_queue_ptr 0
		.amdhsa_user_sgpr_kernarg_segment_ptr 1
		.amdhsa_user_sgpr_dispatch_id 0
		.amdhsa_user_sgpr_kernarg_preload_length 0
		.amdhsa_user_sgpr_kernarg_preload_offset 0
		.amdhsa_user_sgpr_private_segment_size 0
		.amdhsa_uses_dynamic_stack 0
		.amdhsa_enable_private_segment 0
		.amdhsa_system_sgpr_workgroup_id_x 1
		.amdhsa_system_sgpr_workgroup_id_y 1
		.amdhsa_system_sgpr_workgroup_id_z 1
		.amdhsa_system_sgpr_workgroup_info 0
		.amdhsa_system_vgpr_workitem_id 0
		.amdhsa_next_free_vgpr 54
		.amdhsa_next_free_sgpr 50
		.amdhsa_accum_offset 56
		.amdhsa_reserve_vcc 1
		.amdhsa_float_round_mode_32 0
		.amdhsa_float_round_mode_16_64 0
		.amdhsa_float_denorm_mode_32 3
		.amdhsa_float_denorm_mode_16_64 3
		.amdhsa_dx10_clamp 1
		.amdhsa_ieee_mode 1
		.amdhsa_fp16_overflow 0
		.amdhsa_tg_split 0
		.amdhsa_exception_fp_ieee_invalid_op 0
		.amdhsa_exception_fp_denorm_src 0
		.amdhsa_exception_fp_ieee_div_zero 0
		.amdhsa_exception_fp_ieee_overflow 0
		.amdhsa_exception_fp_ieee_underflow 0
		.amdhsa_exception_fp_ieee_inexact 0
		.amdhsa_exception_int_div_zero 0
	.end_amdhsa_kernel
	.section	.text._Z39paged_attention_ll4mi_QKV_mfma16_kernelI14__hip_bfloat16hLN4vllm18Fp8KVCacheDataTypeE1EhLi32ELi64ELi256ELb0ELi3EEvPKT_PKT0_S8_ifPKiSA_SA_iPKfiiiPfSD_PS3_PT2_iSC_SC_,"axG",@progbits,_Z39paged_attention_ll4mi_QKV_mfma16_kernelI14__hip_bfloat16hLN4vllm18Fp8KVCacheDataTypeE1EhLi32ELi64ELi256ELb0ELi3EEvPKT_PKT0_S8_ifPKiSA_SA_iPKfiiiPfSD_PS3_PT2_iSC_SC_,comdat
.Lfunc_end1206:
	.size	_Z39paged_attention_ll4mi_QKV_mfma16_kernelI14__hip_bfloat16hLN4vllm18Fp8KVCacheDataTypeE1EhLi32ELi64ELi256ELb0ELi3EEvPKT_PKT0_S8_ifPKiSA_SA_iPKfiiiPfSD_PS3_PT2_iSC_SC_, .Lfunc_end1206-_Z39paged_attention_ll4mi_QKV_mfma16_kernelI14__hip_bfloat16hLN4vllm18Fp8KVCacheDataTypeE1EhLi32ELi64ELi256ELb0ELi3EEvPKT_PKT0_S8_ifPKiSA_SA_iPKfiiiPfSD_PS3_PT2_iSC_SC_
                                        ; -- End function
	.section	.AMDGPU.csdata,"",@progbits
; Kernel info:
; codeLenInByte = 4876
; NumSgprs: 56
; NumVgprs: 54
; NumAgprs: 0
; TotalNumVgprs: 54
; ScratchSize: 0
; MemoryBound: 0
; FloatMode: 240
; IeeeMode: 1
; LDSByteSize: 8192 bytes/workgroup (compile time only)
; SGPRBlocks: 6
; VGPRBlocks: 6
; NumSGPRsForWavesPerEU: 56
; NumVGPRsForWavesPerEU: 54
; AccumOffset: 56
; Occupancy: 8
; WaveLimiterHint : 1
; COMPUTE_PGM_RSRC2:SCRATCH_EN: 0
; COMPUTE_PGM_RSRC2:USER_SGPR: 2
; COMPUTE_PGM_RSRC2:TRAP_HANDLER: 0
; COMPUTE_PGM_RSRC2:TGID_X_EN: 1
; COMPUTE_PGM_RSRC2:TGID_Y_EN: 1
; COMPUTE_PGM_RSRC2:TGID_Z_EN: 1
; COMPUTE_PGM_RSRC2:TIDIG_COMP_CNT: 0
; COMPUTE_PGM_RSRC3_GFX90A:ACCUM_OFFSET: 13
; COMPUTE_PGM_RSRC3_GFX90A:TG_SPLIT: 0
	.section	.text._Z39paged_attention_ll4mi_QKV_mfma16_kernelI14__hip_bfloat16hLN4vllm18Fp8KVCacheDataTypeE1EhLi32ELi64ELi256ELb0ELi4EEvPKT_PKT0_S8_ifPKiSA_SA_iPKfiiiPfSD_PS3_PT2_iSC_SC_,"axG",@progbits,_Z39paged_attention_ll4mi_QKV_mfma16_kernelI14__hip_bfloat16hLN4vllm18Fp8KVCacheDataTypeE1EhLi32ELi64ELi256ELb0ELi4EEvPKT_PKT0_S8_ifPKiSA_SA_iPKfiiiPfSD_PS3_PT2_iSC_SC_,comdat
	.protected	_Z39paged_attention_ll4mi_QKV_mfma16_kernelI14__hip_bfloat16hLN4vllm18Fp8KVCacheDataTypeE1EhLi32ELi64ELi256ELb0ELi4EEvPKT_PKT0_S8_ifPKiSA_SA_iPKfiiiPfSD_PS3_PT2_iSC_SC_ ; -- Begin function _Z39paged_attention_ll4mi_QKV_mfma16_kernelI14__hip_bfloat16hLN4vllm18Fp8KVCacheDataTypeE1EhLi32ELi64ELi256ELb0ELi4EEvPKT_PKT0_S8_ifPKiSA_SA_iPKfiiiPfSD_PS3_PT2_iSC_SC_
	.globl	_Z39paged_attention_ll4mi_QKV_mfma16_kernelI14__hip_bfloat16hLN4vllm18Fp8KVCacheDataTypeE1EhLi32ELi64ELi256ELb0ELi4EEvPKT_PKT0_S8_ifPKiSA_SA_iPKfiiiPfSD_PS3_PT2_iSC_SC_
	.p2align	8
	.type	_Z39paged_attention_ll4mi_QKV_mfma16_kernelI14__hip_bfloat16hLN4vllm18Fp8KVCacheDataTypeE1EhLi32ELi64ELi256ELb0ELi4EEvPKT_PKT0_S8_ifPKiSA_SA_iPKfiiiPfSD_PS3_PT2_iSC_SC_,@function
_Z39paged_attention_ll4mi_QKV_mfma16_kernelI14__hip_bfloat16hLN4vllm18Fp8KVCacheDataTypeE1EhLi32ELi64ELi256ELb0ELi4EEvPKT_PKT0_S8_ifPKiSA_SA_iPKfiiiPfSD_PS3_PT2_iSC_SC_: ; @_Z39paged_attention_ll4mi_QKV_mfma16_kernelI14__hip_bfloat16hLN4vllm18Fp8KVCacheDataTypeE1EhLi32ELi64ELi256ELb0ELi4EEvPKT_PKT0_S8_ifPKiSA_SA_iPKfiiiPfSD_PS3_PT2_iSC_SC_
; %bb.0:
	s_load_dwordx2 s[6:7], s[0:1], 0x30
	s_mov_b32 s22, s3
	s_mov_b64 s[8:9], 0
	s_waitcnt lgkmcnt(0)
	s_cmp_lg_u64 s[6:7], 0
	s_cselect_b64 s[14:15], -1, 0
	s_and_b64 vcc, exec, s[14:15]
	s_cbranch_vccz .LBB1207_7
; %bb.1:
	s_add_i32 s10, s2, 1
	s_mov_b32 s11, 0
	s_lshl_b64 s[12:13], s[10:11], 2
	s_add_u32 s12, s6, s12
	s_mov_b32 s3, s11
	s_addc_u32 s13, s7, s13
	s_lshl_b64 s[10:11], s[2:3], 2
	s_add_u32 s10, s6, s10
	s_addc_u32 s11, s7, s11
	s_load_dword s5, s[12:13], 0x0
	s_load_dword s16, s[10:11], 0x0
	s_waitcnt lgkmcnt(0)
	s_sub_i32 s5, s5, s16
	s_cmp_eq_u32 s5, 1
	s_cselect_b64 s[10:11], -1, 0
	s_andn2_b64 vcc, exec, s[8:9]
	s_cbranch_vccnz .LBB1207_3
.LBB1207_2:
	s_mov_b32 s3, 0
	s_mov_b64 s[10:11], -1
.LBB1207_3:
	s_andn2_b64 vcc, exec, s[10:11]
	s_cbranch_vccnz .LBB1207_17
; %bb.4:
	s_load_dwordx2 s[8:9], s[0:1], 0x28
	s_lshl_b64 s[16:17], s[2:3], 2
	s_waitcnt lgkmcnt(0)
	s_add_u32 s8, s8, s16
	s_addc_u32 s9, s9, s17
	s_load_dword s5, s[8:9], 0x0
	s_lshl_b32 s18, s22, 8
	s_waitcnt lgkmcnt(0)
	s_cmp_ge_i32 s18, s5
	s_cbranch_scc1 .LBB1207_17
; %bb.5:
	s_load_dwordx2 s[8:9], s[0:1], 0x20
	s_load_dword s10, s[0:1], 0x38
	s_add_i32 s11, s5, 31
	s_ashr_i32 s12, s11, 31
	v_and_b32_e32 v1, 0xcf, v0
	s_lshr_b32 s12, s12, 27
	v_add_u32_e32 v1, s18, v1
	s_add_i32 s11, s11, s12
	v_ashrrev_i32_e32 v2, 31, v1
	s_ashr_i32 s19, s11, 5
	v_lshrrev_b32_e32 v4, 27, v2
	s_add_i32 s19, s19, -1
	s_waitcnt lgkmcnt(0)
	s_mul_i32 s10, s2, s10
	s_mov_b32 s11, 0
	v_add_u32_e32 v2, v1, v4
	s_lshl_b64 s[10:11], s[10:11], 2
	v_ashrrev_i32_e32 v2, 5, v2
	v_mov_b32_e32 v5, s19
	v_cmp_gt_i32_e32 vcc, s5, v1
	s_add_u32 s12, s8, s10
	s_addc_u32 s13, s9, s11
	v_cndmask_b32_e32 v2, v5, v2, vcc
	v_ashrrev_i32_e32 v3, 31, v2
	v_lshl_add_u64 v[6:7], v[2:3], 2, s[12:13]
	v_or_b32_e32 v2, 16, v1
	v_add_u32_e32 v3, v2, v4
	v_ashrrev_i32_e32 v3, 5, v3
	v_cmp_gt_i32_e32 vcc, s5, v2
	s_load_dwordx4 s[8:11], s[0:1], 0x8
	s_nop 0
	v_cndmask_b32_e32 v2, v5, v3, vcc
	v_ashrrev_i32_e32 v3, 31, v2
	v_lshl_add_u64 v[8:9], v[2:3], 2, s[12:13]
	v_or_b32_e32 v2, 32, v1
	v_add_u32_e32 v3, v2, v4
	v_ashrrev_i32_e32 v3, 5, v3
	v_cmp_gt_i32_e32 vcc, s5, v2
	v_or_b32_e32 v1, 48, v1
	s_nop 0
	v_cndmask_b32_e32 v2, v5, v3, vcc
	v_ashrrev_i32_e32 v3, 31, v2
	v_lshl_add_u64 v[10:11], v[2:3], 2, s[12:13]
	v_add_u32_e32 v2, v1, v4
	v_ashrrev_i32_e32 v2, 5, v2
	v_cmp_gt_i32_e32 vcc, s5, v1
	s_nop 1
	v_cndmask_b32_e32 v2, v5, v2, vcc
	v_ashrrev_i32_e32 v3, 31, v2
	v_lshl_add_u64 v[12:13], v[2:3], 2, s[12:13]
	global_load_dword v2, v[6:7], off
	global_load_dword v5, v[8:9], off
	;; [unrolled: 1-line block ×4, first 2 shown]
	s_andn2_b64 vcc, exec, s[14:15]
	s_cbranch_vccnz .LBB1207_8
; %bb.6:
	s_add_u32 s6, s6, s16
	s_addc_u32 s7, s7, s17
	s_load_dword s14, s[6:7], 0x0
	s_branch .LBB1207_9
.LBB1207_7:
	s_mov_b64 s[10:11], 0
	s_branch .LBB1207_2
.LBB1207_8:
	s_mov_b32 s14, s2
.LBB1207_9:
	s_load_dwordx4 s[44:47], s[0:1], 0x48
	v_and_b32_e32 v45, 15, v0
	v_bfe_u32 v42, v0, 4, 2
	s_lshl_b32 s23, s4, 2
	v_lshlrev_b32_e32 v3, 3, v45
	v_cmp_gt_u32_e32 vcc, 64, v0
	v_cmp_gt_u32_e64 s[6:7], 8, v45
	v_lshrrev_b32_e32 v43, 6, v0
	v_and_b32_e32 v44, 63, v0
	v_or_b32_e32 v1, s23, v42
	s_and_b64 s[48:49], vcc, s[6:7]
	v_lshlrev_b32_e32 v26, 1, v3
	v_lshlrev_b32_e32 v40, 5, v42
	v_lshlrev_b32_e32 v41, 4, v0
	s_and_saveexec_b64 s[6:7], s[48:49]
	s_cbranch_execz .LBB1207_11
; %bb.10:
	s_load_dwordx2 s[16:17], s[0:1], 0x0
	s_waitcnt lgkmcnt(0)
	s_ashr_i32 s15, s44, 31
	s_mul_hi_u32 s20, s14, s44
	s_mul_i32 s15, s14, s15
	s_add_i32 s15, s20, s15
	s_mul_i32 s14, s14, s44
	s_lshl_b64 s[14:15], s[14:15], 1
	s_add_u32 s14, s16, s14
	v_lshlrev_b32_e32 v6, 6, v1
	s_addc_u32 s15, s17, s15
	v_ashrrev_i32_e32 v7, 31, v6
	v_lshl_add_u64 v[6:7], v[6:7], 1, s[14:15]
	v_mov_b32_e32 v27, 0
	v_lshl_add_u64 v[6:7], v[6:7], 0, v[26:27]
	global_load_dwordx4 v[6:9], v[6:7], off
	v_lshlrev_b32_e32 v11, 8, v45
	v_lshl_or_b32 v3, v43, 7, v40
	v_and_b32_e32 v10, 16, v41
	v_and_b32_e32 v11, 0xe00, v11
	v_or3_b32 v3, v11, v3, v10
	s_waitcnt vmcnt(0)
	ds_write_b128 v3, v[6:9]
.LBB1207_11:
	s_or_b64 exec, exec, s[6:7]
	s_waitcnt lgkmcnt(0)
	s_mul_i32 s4, s4, s46
	s_add_u32 s6, s8, s4
	s_addc_u32 s7, s9, 0
	v_mov_b32_e32 v29, 0
	v_mov_b64_e32 v[18:19], s[6:7]
	v_and_b32_e32 v8, 48, v0
	s_waitcnt vmcnt(3)
	v_mad_i64_i32 v[6:7], s[6:7], v2, s45, v[18:19]
	v_lshlrev_b32_e32 v2, 4, v45
	v_mov_b32_e32 v3, v29
	v_lshlrev_b32_e32 v28, 5, v8
	v_lshl_add_u64 v[6:7], v[6:7], 0, v[2:3]
	v_lshl_add_u64 v[6:7], v[6:7], 0, v[28:29]
	s_load_dword s33, s[0:1], 0x98
	s_load_dwordx4 s[40:43], s[0:1], 0x80
	s_waitcnt lgkmcnt(0)
	s_barrier
	global_load_dwordx4 v[10:13], v[6:7], off
	s_waitcnt vmcnt(3)
	v_mad_i64_i32 v[6:7], s[6:7], v5, s45, v[18:19]
	v_or_b32_e32 v30, 0x100, v2
	v_mov_b32_e32 v31, v29
	v_lshl_add_u64 v[6:7], v[6:7], 0, v[30:31]
	v_lshl_add_u64 v[6:7], v[6:7], 0, v[28:29]
	global_load_dwordx4 v[14:17], v[6:7], off
	s_ashr_i32 s6, s18, 31
	v_or_b32_e32 v21, s18, v8
	s_lshr_b32 s8, s6, 27
	v_add_u32_e32 v5, s8, v21
	v_ashrrev_i32_e32 v5, 5, v5
	v_mov_b32_e32 v33, s19
	v_cmp_gt_i32_e32 vcc, s5, v21
	v_or_b32_e32 v34, 64, v21
	v_or_b32_e32 v35, 0x80, v21
	v_cndmask_b32_e32 v8, v33, v5, vcc
	v_and_b32_e32 v5, 3, v0
	v_lshlrev_b32_e32 v5, 5, v5
	v_lshl_or_b32 v32, v42, 9, v5
	s_waitcnt vmcnt(3)
	v_mad_i64_i32 v[4:5], s[6:7], v4, s45, v[18:19]
	v_lshl_add_u64 v[2:3], v[4:5], 0, v[2:3]
	v_lshl_add_u64 v[2:3], v[2:3], 0, v[28:29]
	global_load_dwordx4 v[22:25], v[2:3], off
	v_ashrrev_i32_e32 v9, 31, v8
	v_lshl_add_u64 v[8:9], v[8:9], 2, s[12:13]
	s_waitcnt vmcnt(3)
	v_mad_i64_i32 v[18:19], s[6:7], v20, s45, v[18:19]
	v_add_u32_e32 v20, s8, v34
	global_load_dword v49, v[8:9], off
	ds_read_b128 v[6:9], v32
	ds_read_b128 v[2:5], v32 offset:16
	v_add_u32_e32 v32, s8, v35
	v_lshl_add_u64 v[18:19], v[18:19], 0, v[30:31]
	v_ashrrev_i32_e32 v20, 5, v20
	v_cmp_gt_i32_e32 vcc, s5, v34
	v_or_b32_e32 v21, 0xc0, v21
	v_ashrrev_i32_e32 v31, 5, v32
	v_lshl_add_u64 v[18:19], v[18:19], 0, v[28:29]
	v_cndmask_b32_e32 v30, v33, v20, vcc
	v_cmp_gt_i32_e32 vcc, s5, v35
	v_add_u32_e32 v36, s8, v21
	v_ashrrev_i32_e32 v36, 5, v36
	v_cndmask_b32_e32 v32, v33, v31, vcc
	v_cmp_gt_i32_e32 vcc, s5, v21
	global_load_dwordx4 v[18:21], v[18:19], off
	v_ashrrev_i32_e32 v31, 31, v30
	v_cndmask_b32_e32 v34, v33, v36, vcc
	v_ashrrev_i32_e32 v33, 31, v32
	v_ashrrev_i32_e32 v35, 31, v34
	v_lshl_add_u64 v[30:31], v[30:31], 2, s[12:13]
	v_lshl_add_u64 v[32:33], v[32:33], 2, s[12:13]
	;; [unrolled: 1-line block ×3, first 2 shown]
	global_load_dword v48, v[30:31], off
	global_load_dword v46, v[32:33], off
	;; [unrolled: 1-line block ×3, first 2 shown]
	s_mov_b32 s44, 0x7060302
	s_add_u32 s6, s10, s4
	v_lshlrev_b32_e32 v27, 5, v45
	s_addc_u32 s7, s11, 0
	v_and_b32_e32 v28, 16, v0
	v_lshl_add_u64 v[36:37], s[6:7], 0, v[28:29]
	v_lshl_or_b32 v28, v43, 9, v27
	v_lshl_add_u64 v[28:29], v[36:37], 0, v[28:29]
	s_load_dword s9, s[0:1], 0x1c
	s_load_dword s4, s[40:41], 0x0
	s_mov_b32 s40, 0xff7fffff
	s_waitcnt vmcnt(7)
	v_cvt_pk_f32_fp8_e32 v[30:31], v10
	v_cvt_pk_f32_fp8_sdwa v[32:33], v10 src0_sel:WORD_1
	v_cvt_pk_f32_fp8_e32 v[34:35], v11
	v_cvt_pk_f32_fp8_sdwa v[10:11], v11 src0_sel:WORD_1
	v_perm_b32 v30, v31, v30, s44
	v_perm_b32 v31, v33, v32, s44
	v_cvt_pk_f32_fp8_e32 v[36:37], v12
	v_cvt_pk_f32_fp8_sdwa v[38:39], v12 src0_sel:WORD_1
	v_perm_b32 v34, v35, v34, s44
	v_perm_b32 v35, v11, v10, s44
	s_waitcnt lgkmcnt(0)
	v_mfma_f32_16x16x16_bf16 v[30:33], v[30:31], v[6:7], 0
	v_cvt_pk_f32_fp8_e32 v[50:51], v13
	v_cvt_pk_f32_fp8_sdwa v[12:13], v13 src0_sel:WORD_1
	v_perm_b32 v36, v37, v36, s44
	v_perm_b32 v37, v39, v38, s44
	v_mfma_f32_16x16x16_bf16 v[30:33], v[34:35], v[8:9], v[30:33]
	v_perm_b32 v34, v51, v50, s44
	v_perm_b32 v35, v13, v12, s44
	s_waitcnt vmcnt(6)
	v_cvt_pk_f32_fp8_e32 v[12:13], v14
	v_mfma_f32_16x16x16_bf16 v[30:33], v[36:37], v[2:3], v[30:33]
	v_cvt_pk_f32_fp8_sdwa v[36:37], v14 src0_sel:WORD_1
	v_cvt_pk_f32_fp8_sdwa v[38:39], v16 src0_sel:WORD_1
	v_perm_b32 v12, v13, v12, s44
	v_mfma_f32_16x16x16_bf16 v[30:33], v[34:35], v[4:5], v[30:33]
	v_cvt_pk_f32_fp8_e32 v[34:35], v15
	v_perm_b32 v13, v37, v36, s44
	v_cvt_pk_f32_fp8_sdwa v[14:15], v15 src0_sel:WORD_1
	v_cvt_pk_f32_fp8_e32 v[36:37], v16
	v_perm_b32 v34, v35, v34, s44
	s_waitcnt vmcnt(5)
	v_cvt_pk_f32_fp8_e32 v[50:51], v24
	v_perm_b32 v35, v15, v14, s44
	v_mfma_f32_16x16x16_bf16 v[12:15], v[12:13], v[6:7], 0
	v_perm_b32 v36, v37, v36, s44
	v_perm_b32 v37, v39, v38, s44
	v_cvt_pk_f32_fp8_e32 v[38:39], v17
	v_cvt_pk_f32_fp8_sdwa v[16:17], v17 src0_sel:WORD_1
	v_mfma_f32_16x16x16_bf16 v[12:15], v[34:35], v[8:9], v[12:15]
	v_cvt_pk_f32_fp8_sdwa v[52:53], v24 src0_sel:WORD_1
	v_perm_b32 v34, v39, v38, s44
	v_perm_b32 v35, v17, v16, s44
	v_mfma_f32_16x16x16_bf16 v[12:15], v[36:37], v[2:3], v[12:15]
	v_cvt_pk_f32_fp8_e32 v[16:17], v22
	v_cvt_pk_f32_fp8_sdwa v[36:37], v22 src0_sel:WORD_1
	s_waitcnt vmcnt(4)
	v_mad_i64_i32 v[10:11], s[6:7], v49, s45, v[28:29]
	v_mfma_f32_16x16x16_bf16 v[12:15], v[34:35], v[4:5], v[12:15]
	v_cvt_pk_f32_fp8_e32 v[34:35], v23
	v_perm_b32 v16, v17, v16, s44
	v_perm_b32 v17, v37, v36, s44
	v_cvt_pk_f32_fp8_sdwa v[22:23], v23 src0_sel:WORD_1
	v_perm_b32 v38, v35, v34, s44
	v_mfma_f32_16x16x16_bf16 v[34:37], v[16:17], v[6:7], 0
	v_perm_b32 v39, v23, v22, s44
	v_perm_b32 v16, v51, v50, s44
	;; [unrolled: 1-line block ×3, first 2 shown]
	v_cvt_pk_f32_fp8_e32 v[50:51], v25
	v_cvt_pk_f32_fp8_sdwa v[24:25], v25 src0_sel:WORD_1
	v_mfma_f32_16x16x16_bf16 v[34:37], v[38:39], v[8:9], v[34:37]
	v_mov_b32_e32 v49, s9
	v_mul_f32_e32 v54, s4, v49
	v_perm_b32 v39, v25, v24, s44
	v_mfma_f32_16x16x16_bf16 v[34:37], v[16:17], v[2:3], v[34:37]
	s_waitcnt vmcnt(3)
	v_cvt_pk_f32_fp8_e32 v[16:17], v18
	v_cvt_pk_f32_fp8_sdwa v[24:25], v18 src0_sel:WORD_1
	v_perm_b32 v38, v51, v50, s44
	v_pk_mul_f32 v[22:23], v[54:55], v[32:33] op_sel_hi:[0,1]
	v_pk_mul_f32 v[32:33], v[54:55], v[30:31] op_sel_hi:[0,1]
	v_cvt_pk_f32_fp8_e32 v[30:31], v19
	v_perm_b32 v16, v17, v16, s44
	v_perm_b32 v17, v25, v24, s44
	v_cvt_pk_f32_fp8_sdwa v[18:19], v19 src0_sel:WORD_1
	v_mfma_f32_16x16x16_bf16 v[50:53], v[38:39], v[4:5], v[34:37]
	v_perm_b32 v24, v31, v30, s44
	v_cvt_pk_f32_fp8_e32 v[30:31], v20
	v_perm_b32 v25, v19, v18, s44
	v_cvt_pk_f32_fp8_sdwa v[34:35], v20 src0_sel:WORD_1
	v_mfma_f32_16x16x16_bf16 v[16:19], v[16:17], v[6:7], 0
	v_perm_b32 v30, v31, v30, s44
	v_cvt_pk_f32_fp8_e32 v[36:37], v21
	v_perm_b32 v31, v35, v34, s44
	v_cvt_pk_f32_fp8_sdwa v[20:21], v21 src0_sel:WORD_1
	v_mfma_f32_16x16x16_bf16 v[6:9], v[24:25], v[8:9], v[16:19]
	v_pk_mul_f32 v[34:35], v[54:55], v[14:15] op_sel_hi:[0,1]
	v_perm_b32 v14, v37, v36, s44
	v_perm_b32 v15, v21, v20, s44
	v_mfma_f32_16x16x16_bf16 v[6:9], v[30:31], v[2:3], v[6:9]
	v_pk_mul_f32 v[38:39], v[54:55], v[12:13] op_sel_hi:[0,1]
	v_pk_mul_f32 v[36:37], v[54:55], v[50:51] op_sel_hi:[0,1]
	;; [unrolled: 1-line block ×3, first 2 shown]
	v_mfma_f32_16x16x16_bf16 v[2:5], v[14:15], v[4:5], v[6:9]
	s_nop 6
	v_pk_mul_f32 v[24:25], v[54:55], v[2:3] op_sel_hi:[0,1]
	v_and_b32_e32 v2, 0xc0, v0
	v_add_u32_e32 v2, s18, v2
	v_lshl_or_b32 v2, v42, 2, v2
	v_pk_mul_f32 v[18:19], v[54:55], v[4:5] op_sel_hi:[0,1]
	v_or_b32_e32 v5, 1, v2
	v_mov_b32_e32 v3, 0xff7fffff
	v_cmp_gt_i32_e64 s[24:25], s5, v2
	v_cmp_gt_i32_e64 s[26:27], s5, v5
	v_or_b32_e32 v6, 3, v2
	v_cndmask_b32_e64 v4, v3, v32, s[24:25]
	v_cndmask_b32_e64 v5, v3, v33, s[26:27]
	v_max3_f32 v4, v4, s40, v5
	v_or_b32_e32 v5, 2, v2
	v_cmp_gt_i32_e64 s[28:29], s5, v5
	v_cmp_gt_i32_e64 s[30:31], s5, v6
	s_nop 0
	v_cndmask_b32_e64 v5, v3, v22, s[28:29]
	v_cndmask_b32_e64 v6, v3, v23, s[30:31]
	v_max3_f32 v4, v4, v5, v6
	v_or_b32_e32 v5, 16, v2
	v_or_b32_e32 v6, 17, v2
	v_cmp_gt_i32_e64 s[34:35], s5, v5
	v_cmp_gt_i32_e64 s[36:37], s5, v6
	s_nop 0
	v_cndmask_b32_e64 v5, v3, v38, s[34:35]
	v_cndmask_b32_e64 v6, v3, v39, s[36:37]
	v_max3_f32 v4, v4, v5, v6
	v_or_b32_e32 v5, 18, v2
	;; [unrolled: 8-line block ×6, first 2 shown]
	v_or_b32_e32 v2, 51, v2
	v_cmp_gt_i32_e32 vcc, s5, v5
	v_cmp_gt_i32_e64 s[4:5], s5, v2
	s_nop 0
	v_cndmask_b32_e32 v5, v3, v18, vcc
	v_cndmask_b32_e64 v2, v3, v19, s[4:5]
	v_max3_f32 v4, v4, v5, v2
	v_mbcnt_lo_u32_b32 v2, -1, 0
	v_mbcnt_hi_u32_b32 v5, -1, v2
	v_and_b32_e32 v2, 64, v5
	v_add_u32_e32 v6, 64, v2
	v_xor_b32_e32 v2, 32, v5
	v_cmp_lt_i32_e64 s[38:39], v2, v6
	s_nop 1
	v_cndmask_b32_e64 v2, v5, v2, s[38:39]
	v_lshlrev_b32_e32 v49, 2, v2
	ds_bpermute_b32 v7, v49, v4
	s_waitcnt vmcnt(2)
	v_mad_i64_i32 v[2:3], s[38:39], v48, s45, v[28:29]
	global_load_dwordx4 v[14:17], v[10:11], off
	s_nop 0
	global_load_dwordx4 v[10:13], v[2:3], off
	s_waitcnt lgkmcnt(0)
	v_max_f32_e32 v2, v7, v7
	v_max_f32_e32 v7, v4, v2
	v_xor_b32_e32 v2, 16, v5
	v_cmp_lt_i32_e64 s[38:39], v2, v6
	s_nop 1
	v_cndmask_b32_e64 v2, v5, v2, s[38:39]
	v_lshlrev_b32_e32 v48, 2, v2
	ds_bpermute_b32 v6, v48, v7
	s_waitcnt vmcnt(3)
	v_mad_i64_i32 v[2:3], s[38:39], v46, s45, v[28:29]
	s_waitcnt vmcnt(2)
	v_mad_i64_i32 v[4:5], s[38:39], v47, s45, v[28:29]
	s_waitcnt lgkmcnt(0)
	v_max_f32_e32 v6, v6, v6
	v_max_f32_e32 v46, v7, v6
	v_sub_f32_e32 v6, v32, v46
	v_mul_f32_e32 v6, 0x3fb8aa3b, v6
	v_exp_f32_e32 v20, v6
	v_sub_f32_e32 v6, v33, v46
	v_mul_f32_e32 v6, 0x3fb8aa3b, v6
	v_exp_f32_e32 v21, v6
	global_load_dwordx4 v[6:9], v[2:3], off
	s_nop 0
	global_load_dwordx4 v[2:5], v[4:5], off
	v_sub_f32_e32 v22, v22, v46
	v_mul_f32_e32 v22, 0x3fb8aa3b, v22
	v_sub_f32_e32 v23, v23, v46
	v_exp_f32_e32 v22, v22
	v_mul_f32_e32 v23, 0x3fb8aa3b, v23
	v_exp_f32_e32 v23, v23
	v_cndmask_b32_e64 v20, 0, v20, s[24:25]
	v_add_f32_e32 v28, 0, v20
	v_cndmask_b32_e64 v21, 0, v21, s[26:27]
	v_add_f32_e32 v28, v28, v21
	;; [unrolled: 2-line block ×3, first 2 shown]
	v_cndmask_b32_e64 v33, 0, v23, s[30:31]
	v_sub_f32_e32 v23, v38, v46
	v_sub_f32_e32 v28, v39, v46
	v_mul_f32_e32 v23, 0x3fb8aa3b, v23
	v_mul_f32_e32 v28, 0x3fb8aa3b, v28
	v_exp_f32_e32 v23, v23
	v_exp_f32_e32 v28, v28
	v_add_f32_e32 v29, v22, v33
	v_sub_f32_e32 v30, v30, v46
	v_cndmask_b32_e64 v22, 0, v23, s[34:35]
	v_cndmask_b32_e64 v23, 0, v28, s[36:37]
	v_sub_f32_e32 v28, v34, v46
	v_mul_f32_e32 v28, 0x3fb8aa3b, v28
	v_exp_f32_e32 v28, v28
	v_sub_f32_e32 v34, v35, v46
	v_add_f32_e32 v29, v29, v22
	v_mul_f32_e32 v34, 0x3fb8aa3b, v34
	v_exp_f32_e32 v35, v34
	v_add_f32_e32 v29, v29, v23
	v_cndmask_b32_e64 v34, 0, v28, s[18:19]
	v_add_f32_e32 v28, v29, v34
	v_sub_f32_e32 v29, v36, v46
	v_mul_f32_e32 v29, 0x3fb8aa3b, v29
	v_sub_f32_e32 v36, v37, v46
	v_exp_f32_e32 v29, v29
	v_mul_f32_e32 v36, 0x3fb8aa3b, v36
	v_exp_f32_e32 v36, v36
	v_mul_f32_e32 v30, 0x3fb8aa3b, v30
	v_sub_f32_e32 v31, v31, v46
	v_exp_f32_e32 v30, v30
	v_mul_f32_e32 v31, 0x3fb8aa3b, v31
	v_sub_f32_e32 v24, v24, v46
	v_cndmask_b32_e64 v35, 0, v35, s[20:21]
	v_exp_f32_e32 v31, v31
	v_mul_f32_e32 v24, 0x3fb8aa3b, v24
	v_sub_f32_e32 v25, v25, v46
	v_add_f32_e32 v37, v28, v35
	v_cndmask_b32_e64 v28, 0, v29, s[14:15]
	v_exp_f32_e32 v24, v24
	v_mul_f32_e32 v25, 0x3fb8aa3b, v25
	v_sub_f32_e32 v18, v18, v46
	v_add_f32_e32 v37, v37, v28
	;; [unrolled: 5-line block ×3, first 2 shown]
	v_cndmask_b32_e64 v30, 0, v30, s[10:11]
	v_exp_f32_e32 v18, v18
	v_mul_f32_e32 v19, 0x3fb8aa3b, v19
	v_add_f32_e32 v36, v36, v30
	v_cndmask_b32_e64 v31, 0, v31, s[12:13]
	v_exp_f32_e32 v19, v19
	v_add_f32_e32 v36, v36, v31
	v_cndmask_b32_e64 v24, 0, v24, s[6:7]
	v_add_f32_e32 v36, v36, v24
	v_cndmask_b32_e64 v25, 0, v25, s[8:9]
	v_add_f32_e32 v36, v36, v25
	v_cndmask_b32_e32 v18, 0, v18, vcc
	v_add_f32_e32 v36, v36, v18
	v_cndmask_b32_e64 v19, 0, v19, s[4:5]
	v_add_f32_e32 v36, v36, v19
	ds_bpermute_b32 v37, v49, v36
	v_cmp_gt_u32_e32 vcc, 16, v44
	s_waitcnt lgkmcnt(0)
	s_barrier
	v_add_f32_e32 v36, v36, v37
	ds_bpermute_b32 v38, v48, v36
	v_lshlrev_b32_e32 v37, 2, v45
	s_and_saveexec_b64 s[4:5], vcc
	s_cbranch_execz .LBB1207_13
; %bb.12:
	s_waitcnt lgkmcnt(0)
	v_add_f32_e32 v36, v36, v38
	v_lshl_or_b32 v38, v43, 6, v37
	ds_write2st64_b32 v38, v46, v36 offset1:1
.LBB1207_13:
	s_or_b64 exec, exec, s[4:5]
	s_load_dword s6, s[0:1], 0x94
	s_waitcnt lgkmcnt(0)
	s_barrier
	ds_read2_b32 v[38:39], v37 offset1:16
	ds_read2_b32 v[44:45], v37 offset0:32 offset1:48
	ds_read2_b32 v[46:47], v37 offset0:64 offset1:80
	s_movk_i32 s8, 0x7fff
	s_lshl_b32 s7, s33, 2
	s_waitcnt lgkmcnt(2)
	v_max3_f32 v36, v38, s40, v39
	s_waitcnt lgkmcnt(1)
	v_max3_f32 v36, v36, v44, v45
	v_sub_f32_e32 v38, v38, v36
	v_mul_f32_e32 v38, 0x3fb8aa3b, v38
	v_exp_f32_e32 v48, v38
	v_sub_f32_e32 v38, v39, v36
	v_mul_f32_e32 v38, 0x3fb8aa3b, v38
	v_exp_f32_e32 v49, v38
	;; [unrolled: 3-line block ×3, first 2 shown]
	ds_read2_b32 v[38:39], v37 offset0:96 offset1:112
	v_sub_f32_e32 v37, v45, v36
	v_mul_f32_e32 v37, 0x3fb8aa3b, v37
	v_exp_f32_e32 v45, v37
	s_waitcnt lgkmcnt(1)
	v_fma_f32 v37, v48, v46, 0
	v_fmac_f32_e32 v37, v49, v47
	s_waitcnt lgkmcnt(0)
	v_fmac_f32_e32 v37, v44, v38
	v_fmac_f32_e32 v37, v45, v39
	v_add_f32_e32 v38, 0x358637bd, v37
	v_div_scale_f32 v39, s[4:5], v38, v38, 1.0
	v_rcp_f32_e32 v46, v39
	s_barrier
	v_fma_f32 v47, -v39, v46, 1.0
	v_fmac_f32_e32 v46, v47, v46
	v_div_scale_f32 v47, vcc, 1.0, v38, 1.0
	v_mul_f32_e32 v50, v47, v46
	v_fma_f32 v51, -v39, v50, v47
	v_fmac_f32_e32 v50, v51, v46
	v_fma_f32 v39, -v39, v50, v47
	v_div_fmas_f32 v39, v39, v46, v50
	v_cmp_eq_u32_e32 vcc, 1, v43
	v_div_fixup_f32 v38, v39, v38, 1.0
	s_nop 0
	v_cndmask_b32_e32 v39, v48, v49, vcc
	v_cmp_eq_u32_e32 vcc, 2, v43
	s_nop 1
	v_cndmask_b32_e32 v39, v39, v44, vcc
	v_cmp_eq_u32_e32 vcc, 3, v43
	s_nop 1
	v_cndmask_b32_e32 v39, v39, v45, vcc
	v_mul_f32_e32 v38, v39, v38
	v_pk_mul_f32 v[20:21], v[38:39], v[20:21] op_sel_hi:[0,1]
	v_pk_mul_f32 v[32:33], v[38:39], v[32:33] op_sel_hi:[0,1]
	v_bfe_u32 v39, v21, 16, 1
	v_bfe_u32 v44, v20, 16, 1
	v_add3_u32 v20, v20, v44, s8
	v_add3_u32 v21, v21, v39, s8
	v_perm_b32 v44, v21, v20, s44
	v_bfe_u32 v20, v33, 16, 1
	v_bfe_u32 v21, v32, 16, 1
	v_add3_u32 v21, v32, v21, s8
	v_add3_u32 v20, v33, v20, s8
	v_perm_b32 v45, v20, v21, s44
	v_lshlrev_b32_e32 v20, 3, v42
	v_lshlrev_b32_e32 v21, 11, v43
	v_pk_mul_f32 v[22:23], v[38:39], v[22:23] op_sel_hi:[0,1]
	v_or3_b32 v20, v21, v27, v20
	v_pk_mul_f32 v[32:33], v[38:39], v[34:35] op_sel_hi:[0,1]
	v_bfe_u32 v21, v23, 16, 1
	v_bfe_u32 v34, v22, 16, 1
	v_add3_u32 v22, v22, v34, s8
	v_add3_u32 v21, v23, v21, s8
	v_perm_b32 v22, v21, v22, s44
	v_bfe_u32 v21, v33, 16, 1
	v_bfe_u32 v23, v32, 16, 1
	v_add3_u32 v23, v32, v23, s8
	v_add3_u32 v21, v33, v21, s8
	v_perm_b32 v23, v21, v23, s44
	v_pk_mul_f32 v[28:29], v[38:39], v[28:29] op_sel_hi:[0,1]
	ds_write2st64_b64 v20, v[44:45], v[22:23] offset1:1
	v_pk_mul_f32 v[22:23], v[38:39], v[30:31] op_sel_hi:[0,1]
	v_bfe_u32 v21, v29, 16, 1
	v_bfe_u32 v30, v28, 16, 1
	v_add3_u32 v28, v28, v30, s8
	v_add3_u32 v21, v29, v21, s8
	v_perm_b32 v28, v21, v28, s44
	v_bfe_u32 v21, v23, 16, 1
	v_bfe_u32 v29, v22, 16, 1
	v_add3_u32 v22, v22, v29, s8
	v_add3_u32 v21, v23, v21, s8
	v_perm_b32 v29, v21, v22, s44
	v_pk_mul_f32 v[22:23], v[38:39], v[24:25] op_sel_hi:[0,1]
	v_bfe_u32 v21, v23, 16, 1
	v_bfe_u32 v24, v22, 16, 1
	v_pk_mul_f32 v[18:19], v[38:39], v[18:19] op_sel_hi:[0,1]
	v_add3_u32 v22, v22, v24, s8
	v_add3_u32 v21, v23, v21, s8
	v_perm_b32 v22, v21, v22, s44
	v_bfe_u32 v21, v19, 16, 1
	v_bfe_u32 v23, v18, 16, 1
	v_add3_u32 v18, v18, v23, s8
	v_add3_u32 v19, v19, v21, s8
	v_perm_b32 v23, v19, v18, s44
	v_cmp_gt_u32_e32 vcc, 4, v0
	ds_write2st64_b64 v20, v[28:29], v[22:23] offset0:2 offset1:3
	s_and_saveexec_b64 s[4:5], vcc
	s_cbranch_execz .LBB1207_15
; %bb.14:
	v_or_b32_e32 v18, s23, v0
	v_mov_b32_e32 v19, 0
	v_mov_b32_e32 v21, s7
	v_mad_u64_u32 v[22:23], s[10:11], s2, v21, v[18:19]
	v_mov_b32_e32 v18, s22
	s_load_dwordx4 s[12:15], s[0:1], 0x58
	s_mul_i32 s3, s3, s7
	v_mad_u64_u32 v[18:19], s[10:11], v22, s6, v[18:19]
	v_add_u32_e32 v21, s3, v23
	v_mov_b32_e32 v22, v19
	v_mad_u64_u32 v[22:23], s[10:11], v21, s6, v[22:23]
	v_mov_b32_e32 v19, v22
	v_lshlrev_b64 v[18:19], 2, v[18:19]
	s_waitcnt lgkmcnt(0)
	v_lshl_add_u64 v[22:23], s[14:15], 0, v[18:19]
	v_lshl_add_u64 v[18:19], s[12:13], 0, v[18:19]
	global_store_dword v[22:23], v36, off
	global_store_dword v[18:19], v37, off
.LBB1207_15:
	s_or_b64 exec, exec, s[4:5]
	s_waitcnt vmcnt(3)
	v_cvt_pk_f32_fp8_e32 v[18:19], v14
	v_cvt_pk_f32_fp8_sdwa v[22:23], v14 src0_sel:WORD_1
	s_mov_b32 s4, 0x7060302
	v_lshl_or_b32 v14, v42, 9, v27
	s_waitcnt lgkmcnt(0)
	s_barrier
	v_perm_b32 v18, v19, v18, s4
	v_perm_b32 v19, v23, v22, s4
	v_cvt_pk_f32_fp8_e32 v[28:29], v15
	ds_read_b128 v[22:25], v14
	v_cvt_pk_f32_fp8_sdwa v[36:37], v15 src0_sel:WORD_1
	s_load_dword s10, s[42:43], 0x0
	v_perm_b32 v38, v29, v28, s4
	ds_read_b128 v[28:31], v14 offset:16
	v_perm_b32 v39, v37, v36, s4
	s_waitcnt lgkmcnt(0)
	v_mfma_f32_16x16x16_bf16 v[32:35], v[18:19], v[22:23], 0
	v_cvt_pk_f32_fp8_e32 v[18:19], v16
	v_cvt_pk_f32_fp8_sdwa v[36:37], v16 src0_sel:WORD_1
	s_mov_b32 s3, 0
	v_mfma_f32_16x16x16_bf16 v[22:25], v[38:39], v[24:25], v[32:35]
	v_perm_b32 v18, v19, v18, s4
	v_perm_b32 v19, v37, v36, s4
	s_waitcnt vmcnt(2)
	v_cvt_pk_f32_fp8_sdwa v[36:37], v10 src0_sel:WORD_1
	v_cvt_pk_f32_fp8_e32 v[32:33], v17
	v_cvt_pk_f32_fp8_sdwa v[16:17], v17 src0_sel:WORD_1
	v_cvt_pk_f32_fp8_e32 v[34:35], v10
	v_mov_b32_e32 v27, 0
	v_perm_b32 v32, v33, v32, s4
	v_perm_b32 v33, v17, v16, s4
	v_mfma_f32_16x16x16_bf16 v[16:19], v[18:19], v[28:29], v[22:25]
	v_perm_b32 v34, v35, v34, s4
	v_perm_b32 v35, v37, v36, s4
	v_cvt_pk_f32_fp8_e32 v[28:29], v11
	ds_read_b128 v[22:25], v14 offset:2048
	v_cvt_pk_f32_fp8_sdwa v[10:11], v11 src0_sel:WORD_1
	v_mfma_f32_16x16x16_bf16 v[16:19], v[32:33], v[30:31], v[16:19]
	v_perm_b32 v32, v29, v28, s4
	ds_read_b128 v[28:31], v14 offset:2064
	v_perm_b32 v33, v11, v10, s4
	s_waitcnt lgkmcnt(1)
	v_mfma_f32_16x16x16_bf16 v[16:19], v[34:35], v[22:23], v[16:19]
	v_cvt_pk_f32_fp8_e32 v[10:11], v12
	v_cvt_pk_f32_fp8_sdwa v[22:23], v12 src0_sel:WORD_1
	v_perm_b32 v10, v11, v10, s4
	v_mfma_f32_16x16x16_bf16 v[16:19], v[32:33], v[24:25], v[16:19]
	v_cvt_pk_f32_fp8_e32 v[24:25], v13
	v_perm_b32 v11, v23, v22, s4
	v_cvt_pk_f32_fp8_sdwa v[12:13], v13 src0_sel:WORD_1
	s_waitcnt vmcnt(1)
	v_cvt_pk_f32_fp8_sdwa v[32:33], v6 src0_sel:WORD_1
	v_perm_b32 v22, v25, v24, s4
	v_cvt_pk_f32_fp8_e32 v[24:25], v6
	v_perm_b32 v23, v13, v12, s4
	s_waitcnt lgkmcnt(0)
	v_mfma_f32_16x16x16_bf16 v[10:13], v[10:11], v[28:29], v[16:19]
	v_perm_b32 v29, v33, v32, s4
	v_perm_b32 v28, v25, v24, s4
	v_cvt_pk_f32_fp8_e32 v[24:25], v7
	ds_read_b128 v[16:19], v14 offset:4096
	v_cvt_pk_f32_fp8_sdwa v[6:7], v7 src0_sel:WORD_1
	v_mfma_f32_16x16x16_bf16 v[10:13], v[22:23], v[30:31], v[10:13]
	v_perm_b32 v30, v25, v24, s4
	ds_read_b128 v[22:25], v14 offset:4112
	v_perm_b32 v31, v7, v6, s4
	s_waitcnt lgkmcnt(1)
	v_mfma_f32_16x16x16_bf16 v[10:13], v[28:29], v[16:17], v[10:13]
	v_cvt_pk_f32_fp8_e32 v[6:7], v8
	v_cvt_pk_f32_fp8_sdwa v[16:17], v8 src0_sel:WORD_1
	s_waitcnt vmcnt(0)
	v_cvt_pk_f32_fp8_sdwa v[28:29], v2 src0_sel:WORD_1
	v_mfma_f32_16x16x16_bf16 v[10:13], v[30:31], v[18:19], v[10:13]
	v_cvt_pk_f32_fp8_e32 v[18:19], v9
	v_perm_b32 v6, v7, v6, s4
	v_perm_b32 v7, v17, v16, s4
	v_cvt_pk_f32_fp8_sdwa v[8:9], v9 src0_sel:WORD_1
	v_perm_b32 v16, v19, v18, s4
	v_cvt_pk_f32_fp8_e32 v[18:19], v2
	v_perm_b32 v17, v9, v8, s4
	s_waitcnt lgkmcnt(0)
	v_mfma_f32_16x16x16_bf16 v[6:9], v[6:7], v[22:23], v[10:13]
	v_perm_b32 v18, v19, v18, s4
	v_perm_b32 v19, v29, v28, s4
	v_cvt_pk_f32_fp8_e32 v[22:23], v3
	ds_read_b128 v[10:13], v14 offset:6144
	v_cvt_pk_f32_fp8_sdwa v[2:3], v3 src0_sel:WORD_1
	v_mfma_f32_16x16x16_bf16 v[6:9], v[16:17], v[24:25], v[6:9]
	v_perm_b32 v22, v23, v22, s4
	ds_read_b128 v[14:17], v14 offset:6160
	v_perm_b32 v23, v3, v2, s4
	s_waitcnt lgkmcnt(1)
	v_mfma_f32_16x16x16_bf16 v[6:9], v[18:19], v[10:11], v[6:9]
	v_cvt_pk_f32_fp8_e32 v[2:3], v4
	v_cvt_pk_f32_fp8_sdwa v[10:11], v4 src0_sel:WORD_1
	s_waitcnt lgkmcnt(0)
	v_mfma_f32_16x16x16_bf16 v[6:9], v[22:23], v[12:13], v[6:9]
	v_perm_b32 v2, v3, v2, s4
	v_perm_b32 v3, v11, v10, s4
	v_cvt_pk_f32_fp8_e32 v[10:11], v5
	v_cvt_pk_f32_fp8_sdwa v[4:5], v5 src0_sel:WORD_1
	s_barrier
	v_perm_b32 v10, v11, v10, s4
	v_perm_b32 v11, v5, v4, s4
	v_mfma_f32_16x16x16_bf16 v[2:5], v[2:3], v[14:15], v[6:9]
	s_nop 0
	v_mfma_f32_16x16x16_bf16 v[2:5], v[10:11], v[16:17], v[2:5]
	s_nop 6
	v_pk_mul_f32 v[2:3], v[2:3], s[10:11] op_sel_hi:[1,0]
	v_pk_mul_f32 v[4:5], v[4:5], s[10:11] op_sel_hi:[1,0]
	v_bfe_u32 v6, v3, 16, 1
	v_bfe_u32 v7, v2, 16, 1
	v_add3_u32 v2, v2, v7, s8
	v_add3_u32 v3, v3, v6, s8
	v_perm_b32 v2, v3, v2, s4
	v_bfe_u32 v3, v5, 16, 1
	v_bfe_u32 v6, v4, 16, 1
	v_add3_u32 v4, v4, v6, s8
	v_add3_u32 v3, v5, v3, s8
	v_perm_b32 v3, v3, v4, s4
	ds_write_b64 v20, v[2:3]
	s_waitcnt lgkmcnt(0)
	s_barrier
	s_and_saveexec_b64 s[4:5], s[48:49]
	s_cbranch_execz .LBB1207_17
; %bb.16:
	s_load_dwordx2 s[0:1], s[0:1], 0x68
	s_lshl_b32 s6, s6, 6
	s_mul_i32 s2, s7, s2
	s_mul_hi_u32 s5, s2, s6
	s_mul_i32 s4, s2, s6
	v_lshlrev_b32_e32 v0, 10, v0
	s_lshl_b64 s[4:5], s[4:5], 1
	v_and_b32_e32 v0, 0x1800, v0
	v_and_b32_e32 v2, 16, v41
	s_waitcnt lgkmcnt(0)
	s_add_u32 s4, s0, s4
	v_or3_b32 v0, v0, v40, v2
	s_addc_u32 s5, s1, s5
	s_lshl_b32 s2, s22, 6
	ds_read_b128 v[2:5], v0
	s_lshl_b64 s[0:1], s[2:3], 1
	s_add_u32 s0, s4, s0
	s_addc_u32 s1, s5, s1
	v_mad_u64_u32 v[0:1], s[2:3], s6, v1, 0
	v_lshl_add_u64 v[0:1], v[0:1], 1, s[0:1]
	v_lshl_add_u64 v[0:1], v[0:1], 0, v[26:27]
	s_waitcnt lgkmcnt(0)
	global_store_dwordx4 v[0:1], v[2:5], off
.LBB1207_17:
	s_endpgm
	.section	.rodata,"a",@progbits
	.p2align	6, 0x0
	.amdhsa_kernel _Z39paged_attention_ll4mi_QKV_mfma16_kernelI14__hip_bfloat16hLN4vllm18Fp8KVCacheDataTypeE1EhLi32ELi64ELi256ELb0ELi4EEvPKT_PKT0_S8_ifPKiSA_SA_iPKfiiiPfSD_PS3_PT2_iSC_SC_
		.amdhsa_group_segment_fixed_size 8192
		.amdhsa_private_segment_fixed_size 0
		.amdhsa_kernarg_size 400
		.amdhsa_user_sgpr_count 2
		.amdhsa_user_sgpr_dispatch_ptr 0
		.amdhsa_user_sgpr_queue_ptr 0
		.amdhsa_user_sgpr_kernarg_segment_ptr 1
		.amdhsa_user_sgpr_dispatch_id 0
		.amdhsa_user_sgpr_kernarg_preload_length 0
		.amdhsa_user_sgpr_kernarg_preload_offset 0
		.amdhsa_user_sgpr_private_segment_size 0
		.amdhsa_uses_dynamic_stack 0
		.amdhsa_enable_private_segment 0
		.amdhsa_system_sgpr_workgroup_id_x 1
		.amdhsa_system_sgpr_workgroup_id_y 1
		.amdhsa_system_sgpr_workgroup_id_z 1
		.amdhsa_system_sgpr_workgroup_info 0
		.amdhsa_system_vgpr_workitem_id 0
		.amdhsa_next_free_vgpr 56
		.amdhsa_next_free_sgpr 50
		.amdhsa_accum_offset 56
		.amdhsa_reserve_vcc 1
		.amdhsa_float_round_mode_32 0
		.amdhsa_float_round_mode_16_64 0
		.amdhsa_float_denorm_mode_32 3
		.amdhsa_float_denorm_mode_16_64 3
		.amdhsa_dx10_clamp 1
		.amdhsa_ieee_mode 1
		.amdhsa_fp16_overflow 0
		.amdhsa_tg_split 0
		.amdhsa_exception_fp_ieee_invalid_op 0
		.amdhsa_exception_fp_denorm_src 0
		.amdhsa_exception_fp_ieee_div_zero 0
		.amdhsa_exception_fp_ieee_overflow 0
		.amdhsa_exception_fp_ieee_underflow 0
		.amdhsa_exception_fp_ieee_inexact 0
		.amdhsa_exception_int_div_zero 0
	.end_amdhsa_kernel
	.section	.text._Z39paged_attention_ll4mi_QKV_mfma16_kernelI14__hip_bfloat16hLN4vllm18Fp8KVCacheDataTypeE1EhLi32ELi64ELi256ELb0ELi4EEvPKT_PKT0_S8_ifPKiSA_SA_iPKfiiiPfSD_PS3_PT2_iSC_SC_,"axG",@progbits,_Z39paged_attention_ll4mi_QKV_mfma16_kernelI14__hip_bfloat16hLN4vllm18Fp8KVCacheDataTypeE1EhLi32ELi64ELi256ELb0ELi4EEvPKT_PKT0_S8_ifPKiSA_SA_iPKfiiiPfSD_PS3_PT2_iSC_SC_,comdat
.Lfunc_end1207:
	.size	_Z39paged_attention_ll4mi_QKV_mfma16_kernelI14__hip_bfloat16hLN4vllm18Fp8KVCacheDataTypeE1EhLi32ELi64ELi256ELb0ELi4EEvPKT_PKT0_S8_ifPKiSA_SA_iPKfiiiPfSD_PS3_PT2_iSC_SC_, .Lfunc_end1207-_Z39paged_attention_ll4mi_QKV_mfma16_kernelI14__hip_bfloat16hLN4vllm18Fp8KVCacheDataTypeE1EhLi32ELi64ELi256ELb0ELi4EEvPKT_PKT0_S8_ifPKiSA_SA_iPKfiiiPfSD_PS3_PT2_iSC_SC_
                                        ; -- End function
	.section	.AMDGPU.csdata,"",@progbits
; Kernel info:
; codeLenInByte = 4832
; NumSgprs: 56
; NumVgprs: 56
; NumAgprs: 0
; TotalNumVgprs: 56
; ScratchSize: 0
; MemoryBound: 0
; FloatMode: 240
; IeeeMode: 1
; LDSByteSize: 8192 bytes/workgroup (compile time only)
; SGPRBlocks: 6
; VGPRBlocks: 6
; NumSGPRsForWavesPerEU: 56
; NumVGPRsForWavesPerEU: 56
; AccumOffset: 56
; Occupancy: 8
; WaveLimiterHint : 1
; COMPUTE_PGM_RSRC2:SCRATCH_EN: 0
; COMPUTE_PGM_RSRC2:USER_SGPR: 2
; COMPUTE_PGM_RSRC2:TRAP_HANDLER: 0
; COMPUTE_PGM_RSRC2:TGID_X_EN: 1
; COMPUTE_PGM_RSRC2:TGID_Y_EN: 1
; COMPUTE_PGM_RSRC2:TGID_Z_EN: 1
; COMPUTE_PGM_RSRC2:TIDIG_COMP_CNT: 0
; COMPUTE_PGM_RSRC3_GFX90A:ACCUM_OFFSET: 13
; COMPUTE_PGM_RSRC3_GFX90A:TG_SPLIT: 0
	.section	.text._Z38paged_attention_ll4mi_QKV_mfma4_kernelI14__hip_bfloat16hLN4vllm18Fp8KVCacheDataTypeE1ES0_Li32ELi64ELi256ELb1ELi1EEvPKT_PKT0_S8_ifPKiSA_SA_iPKfiiiPfSD_PS3_PT2_iSC_SC_,"axG",@progbits,_Z38paged_attention_ll4mi_QKV_mfma4_kernelI14__hip_bfloat16hLN4vllm18Fp8KVCacheDataTypeE1ES0_Li32ELi64ELi256ELb1ELi1EEvPKT_PKT0_S8_ifPKiSA_SA_iPKfiiiPfSD_PS3_PT2_iSC_SC_,comdat
	.protected	_Z38paged_attention_ll4mi_QKV_mfma4_kernelI14__hip_bfloat16hLN4vllm18Fp8KVCacheDataTypeE1ES0_Li32ELi64ELi256ELb1ELi1EEvPKT_PKT0_S8_ifPKiSA_SA_iPKfiiiPfSD_PS3_PT2_iSC_SC_ ; -- Begin function _Z38paged_attention_ll4mi_QKV_mfma4_kernelI14__hip_bfloat16hLN4vllm18Fp8KVCacheDataTypeE1ES0_Li32ELi64ELi256ELb1ELi1EEvPKT_PKT0_S8_ifPKiSA_SA_iPKfiiiPfSD_PS3_PT2_iSC_SC_
	.globl	_Z38paged_attention_ll4mi_QKV_mfma4_kernelI14__hip_bfloat16hLN4vllm18Fp8KVCacheDataTypeE1ES0_Li32ELi64ELi256ELb1ELi1EEvPKT_PKT0_S8_ifPKiSA_SA_iPKfiiiPfSD_PS3_PT2_iSC_SC_
	.p2align	8
	.type	_Z38paged_attention_ll4mi_QKV_mfma4_kernelI14__hip_bfloat16hLN4vllm18Fp8KVCacheDataTypeE1ES0_Li32ELi64ELi256ELb1ELi1EEvPKT_PKT0_S8_ifPKiSA_SA_iPKfiiiPfSD_PS3_PT2_iSC_SC_,@function
_Z38paged_attention_ll4mi_QKV_mfma4_kernelI14__hip_bfloat16hLN4vllm18Fp8KVCacheDataTypeE1ES0_Li32ELi64ELi256ELb1ELi1EEvPKT_PKT0_S8_ifPKiSA_SA_iPKfiiiPfSD_PS3_PT2_iSC_SC_: ; @_Z38paged_attention_ll4mi_QKV_mfma4_kernelI14__hip_bfloat16hLN4vllm18Fp8KVCacheDataTypeE1ES0_Li32ELi64ELi256ELb1ELi1EEvPKT_PKT0_S8_ifPKiSA_SA_iPKfiiiPfSD_PS3_PT2_iSC_SC_
; %bb.0:
	s_load_dwordx2 s[8:9], s[0:1], 0x30
	s_mov_b32 s20, s3
	s_mov_b64 s[6:7], 0
	s_waitcnt lgkmcnt(0)
	s_cmp_lg_u64 s[8:9], 0
	s_cselect_b64 s[10:11], -1, 0
	s_and_b64 vcc, exec, s[10:11]
	s_cbranch_vccz .LBB1208_10
; %bb.1:
	s_add_i32 s12, s2, 1
	s_mov_b32 s13, 0
	s_lshl_b64 s[14:15], s[12:13], 2
	s_add_u32 s14, s8, s14
	s_mov_b32 s3, s13
	s_addc_u32 s15, s9, s15
	s_lshl_b64 s[12:13], s[2:3], 2
	s_add_u32 s12, s8, s12
	s_addc_u32 s13, s9, s13
	s_load_dword s5, s[14:15], 0x0
	s_load_dword s16, s[12:13], 0x0
	s_waitcnt lgkmcnt(0)
	s_sub_i32 s5, s5, s16
	s_cmp_eq_u32 s5, 1
	s_cselect_b64 s[12:13], -1, 0
	s_andn2_b64 vcc, exec, s[6:7]
	s_cbranch_vccnz .LBB1208_3
.LBB1208_2:
	s_mov_b32 s3, 0
	s_mov_b64 s[12:13], -1
.LBB1208_3:
	s_andn2_b64 vcc, exec, s[12:13]
	s_cbranch_vccnz .LBB1208_25
; %bb.4:
	s_load_dword s5, s[0:1], 0x9c
	s_load_dwordx2 s[6:7], s[0:1], 0x28
	s_add_u32 s24, s0, 0x90
	s_addc_u32 s25, s1, 0
	s_lshl_b64 s[28:29], s[2:3], 2
	s_waitcnt lgkmcnt(0)
	s_and_b32 s5, s5, 0xffff
	s_add_u32 s6, s6, s28
	s_addc_u32 s7, s7, s29
	s_load_dword s3, s[6:7], 0x0
	s_mul_i32 s5, s20, s5
	s_waitcnt lgkmcnt(0)
	s_cmp_ge_i32 s5, s3
	s_cbranch_scc1 .LBB1208_25
; %bb.5:
	v_and_b32_e32 v2, 0xc0, v0
	v_add_u32_e32 v4, s5, v2
	v_lshrrev_b32_e32 v1, 6, v0
	v_cmp_gt_i32_e64 s[6:7], s3, v4
	v_cmp_le_i32_e32 vcc, s3, v4
                                        ; implicit-def: $sgpr30
                                        ; implicit-def: $sgpr21
	s_and_saveexec_b64 s[12:13], vcc
	s_xor_b64 s[12:13], exec, s[12:13]
	s_cbranch_execz .LBB1208_7
; %bb.6:
	v_mul_u32_u24_e32 v2, 20, v1
	v_or_b32_e32 v2, 0xa00, v2
	v_mov_b32_e32 v3, 0xa50
	v_mov_b32_e32 v4, 0xff7fffff
	v_mad_u32_u24 v3, v1, 20, v3
	ds_write2_b32 v2, v4, v4 offset1:1
	v_mov_b32_e32 v2, 0
	ds_write2_b32 v3, v2, v2 offset1:1
	v_mov_b32_e32 v3, 0xa08
	s_mov_b32 s21, 0xff7fffff
	s_mov_b32 s30, 0
	v_mad_u32_u24 v3, v1, 20, v3
	v_mov_b32_e32 v5, 0xa58
	v_mad_u32_u24 v5, v1, 20, v5
	ds_write2_b32 v3, v4, v4 offset1:1
	ds_write2_b32 v5, v2, v2 offset1:1
                                        ; implicit-def: $vgpr4
.LBB1208_7:
	s_or_saveexec_b64 s[26:27], s[12:13]
	s_load_dwordx2 s[22:23], s[0:1], 0x68
	s_load_dwordx4 s[16:19], s[0:1], 0x58
	s_load_dword s33, s[24:25], 0x4
	s_load_dwordx4 s[12:15], s[0:1], 0x80
	v_and_b32_e32 v32, 63, v0
	v_and_b32_e32 v33, 3, v0
	v_mov_b32_e32 v21, s30
	v_mov_b32_e32 v24, s21
	;; [unrolled: 1-line block ×5, first 2 shown]
                                        ; implicit-def: $vgpr6_vgpr7
                                        ; implicit-def: $vgpr2_vgpr3
                                        ; implicit-def: $vgpr14_vgpr15
                                        ; implicit-def: $vgpr10_vgpr11
	s_xor_b64 exec, exec, s[26:27]
	s_cbranch_execz .LBB1208_19
; %bb.8:
	s_load_dwordx2 s[30:31], s[0:1], 0x20
	s_load_dword s21, s[0:1], 0x38
	s_add_i32 s34, s3, 31
	s_ashr_i32 s35, s34, 31
	s_lshr_b32 s35, s35, 27
	v_add_u32_e32 v34, s5, v0
	s_add_i32 s34, s34, s35
	v_ashrrev_i32_e32 v2, 31, v34
	s_ashr_i32 s34, s34, 5
	v_lshrrev_b32_e32 v2, 27, v2
	s_add_i32 s36, s34, -1
	s_waitcnt lgkmcnt(0)
	s_mul_i32 s34, s2, s21
	s_mov_b32 s35, 0
	v_add_u32_e32 v2, v34, v2
	s_lshl_b64 s[34:35], s[34:35], 2
	v_ashrrev_i32_e32 v2, 5, v2
	v_mov_b32_e32 v3, s36
	v_cmp_gt_i32_e32 vcc, s3, v34
	s_add_u32 s30, s30, s34
	s_addc_u32 s31, s31, s35
	v_cndmask_b32_e32 v2, v3, v2, vcc
	v_ashrrev_i32_e32 v3, 31, v2
	v_lshl_add_u64 v[6:7], v[2:3], 2, s[30:31]
	v_ashrrev_i32_e32 v2, 31, v4
	v_lshrrev_b32_e32 v2, 27, v2
	v_add_u32_e32 v2, v4, v2
	v_ashrrev_i32_e32 v8, 5, v2
	v_min_i32_e32 v2, s36, v8
	v_ashrrev_i32_e32 v3, 31, v2
	v_lshl_add_u64 v[4:5], v[2:3], 2, s[30:31]
	v_add_u32_e32 v2, 1, v8
	v_min_i32_e32 v2, s36, v2
	v_ashrrev_i32_e32 v3, 31, v2
	v_lshl_add_u64 v[8:9], v[2:3], 2, s[30:31]
	global_load_dword v3, v[6:7], off
	global_load_dword v2, v[4:5], off
	;; [unrolled: 1-line block ×3, first 2 shown]
	s_load_dwordx2 s[34:35], s[0:1], 0x8
	s_andn2_b64 vcc, exec, s[10:11]
	s_cbranch_vccnz .LBB1208_11
; %bb.9:
	s_add_u32 s8, s8, s28
	s_addc_u32 s9, s9, s29
	s_load_dword s5, s[8:9], 0x0
	s_branch .LBB1208_12
.LBB1208_10:
	s_mov_b64 s[12:13], 0
	s_branch .LBB1208_2
.LBB1208_11:
	s_mov_b32 s5, s2
.LBB1208_12:
	s_load_dwordx2 s[28:29], s[0:1], 0x10
	s_load_dwordx4 s[8:11], s[0:1], 0x48
	v_cmp_eq_u32_e32 vcc, 0, v33
	s_mov_b32 s31, 0
	v_mov_b32_e32 v31, 0
	v_mov_b32_e32 v10, 0
	;; [unrolled: 1-line block ×5, first 2 shown]
	s_and_saveexec_b64 s[36:37], vcc
	s_cbranch_execz .LBB1208_14
; %bb.13:
	s_load_dwordx2 s[38:39], s[0:1], 0x0
	s_waitcnt lgkmcnt(0)
	s_ashr_i32 s11, s8, 31
	s_mul_hi_u32 s21, s5, s8
	s_mul_i32 s11, s5, s11
	s_add_i32 s41, s21, s11
	s_mul_i32 s40, s5, s8
	s_lshl_b64 s[40:41], s[40:41], 1
	s_add_u32 s5, s38, s40
	s_addc_u32 s8, s39, s41
	s_lshl_b32 s30, s4, 6
	s_lshl_b64 s[38:39], s[30:31], 1
	s_add_u32 s38, s5, s38
	s_addc_u32 s39, s8, s39
	v_lshlrev_b32_e32 v4, 2, v32
	global_load_dwordx4 v[10:13], v4, s[38:39]
.LBB1208_14:
	s_or_b64 exec, exec, s[36:37]
	s_waitcnt lgkmcnt(0)
	s_mul_i32 s8, s4, s10
	s_add_u32 s10, s8, s34
	s_addc_u32 s11, 0, s35
	v_mov_b64_e32 v[4:5], s[10:11]
	s_waitcnt vmcnt(2)
	v_mad_i64_i32 v[4:5], s[10:11], v3, s9, v[4:5]
	v_lshlrev_b32_e32 v3, 4, v0
	v_and_b32_e32 v30, 0x1f0, v3
	v_lshl_add_u64 v[4:5], v[4:5], 0, v[30:31]
	global_load_dwordx4 v[26:29], v[4:5], off
	global_load_dwordx4 v[22:25], v[4:5], off offset:512
	global_load_dwordx4 v[18:21], v[4:5], off offset:1024
	;; [unrolled: 1-line block ×3, first 2 shown]
	v_mov_b32_e32 v30, 0
	s_and_saveexec_b64 s[10:11], vcc
	s_cbranch_execz .LBB1208_16
; %bb.15:
	s_load_dwordx2 s[34:35], s[0:1], 0x40
	s_mov_b32 s5, s31
	s_lshl_b64 s[30:31], s[4:5], 2
	v_mov_b32_e32 v31, 1.0
	s_waitcnt lgkmcnt(0)
	s_add_u32 s30, s34, s30
	s_addc_u32 s31, s35, s31
	s_load_dword s5, s[30:31], 0x0
	s_waitcnt lgkmcnt(0)
	v_mov_b32_e32 v30, s5
.LBB1208_16:
	s_or_b64 exec, exec, s[10:11]
	s_load_dword s5, s[0:1], 0x1c
	s_add_u32 s0, s28, s8
	s_waitcnt vmcnt(5)
	v_mul_hi_i32 v3, v2, s9
	s_addc_u32 s1, s29, 0
	v_lshlrev_b32_e32 v36, 5, v32
	v_mov_b32_e32 v37, 0
	v_ashrrev_i32_e32 v3, 31, v3
	v_lshl_add_u64 v[38:39], s[0:1], 0, v[36:37]
	v_lshrrev_b32_e32 v36, 29, v3
	v_mad_i64_i32 v[2:3], s[0:1], v2, s9, v[36:37]
	s_waitcnt vmcnt(4)
	v_mul_hi_i32 v36, v35, s9
	v_ashrrev_i32_e32 v36, 31, v36
	v_lshrrev_b32_e32 v36, 29, v36
	v_and_b32_e32 v2, -8, v2
	v_mad_i64_i32 v[36:37], s[0:1], v35, s9, v[36:37]
	v_lshl_add_u64 v[40:41], v[38:39], 0, v[2:3]
	v_and_b32_e32 v36, -8, v36
	global_load_dwordx4 v[2:5], v[40:41], off offset:16
	global_load_dwordx4 v[6:9], v[40:41], off
	v_lshl_add_u64 v[36:37], v[38:39], 0, v[36:37]
	s_waitcnt vmcnt(5)
	v_cvt_pk_f32_fp8_e32 v[38:39], v26
	v_cvt_pk_f32_fp8_sdwa v[40:41], v26 src0_sel:WORD_1
	v_cvt_pk_f32_fp8_e32 v[42:43], v27
	v_cvt_pk_f32_fp8_sdwa v[26:27], v27 src0_sel:WORD_1
	s_mov_b32 s0, 0x7060302
	v_perm_b32 v38, v39, v38, s0
	v_perm_b32 v39, v41, v40, s0
	;; [unrolled: 1-line block ×3, first 2 shown]
	v_cvt_pk_f32_fp8_e32 v[26:27], v28
	v_mfma_f32_4x4x4_16b_bf16 a[0:3], v[10:11], v[38:39], 0 cbsz:4
	v_cvt_pk_f32_fp8_sdwa v[38:39], v28 src0_sel:WORD_1
	v_perm_b32 v40, v43, v42, s0
	v_perm_b32 v26, v27, v26, s0
	s_load_dword s1, s[12:13], 0x0
	v_mfma_f32_4x4x4_16b_bf16 a[0:3], v[12:13], v[40:41], a[0:3] cbsz:4
	v_cvt_pk_f32_fp8_e32 v[40:41], v29
	v_cvt_pk_f32_fp8_sdwa v[28:29], v29 src0_sel:WORD_1
	v_perm_b32 v27, v39, v38, s0
	v_cmp_eq_u32_e32 vcc, 1, v33
	v_perm_b32 v38, v41, v40, s0
	v_mfma_f32_4x4x4_16b_bf16 a[0:3], v[10:11], v[26:27], a[0:3] cbsz:4 abid:1
	v_perm_b32 v39, v29, v28, s0
	s_waitcnt vmcnt(4)
	v_cvt_pk_f32_fp8_e32 v[26:27], v22
	v_cvt_pk_f32_fp8_sdwa v[28:29], v22 src0_sel:WORD_1
	v_mfma_f32_4x4x4_16b_bf16 a[0:3], v[12:13], v[38:39], a[0:3] cbsz:4 abid:1
	v_cvt_pk_f32_fp8_e32 v[38:39], v23
	v_cvt_pk_f32_fp8_sdwa v[22:23], v23 src0_sel:WORD_1
	v_perm_b32 v26, v27, v26, s0
	v_perm_b32 v27, v29, v28, s0
	v_perm_b32 v28, v39, v38, s0
	v_perm_b32 v29, v23, v22, s0
	v_mfma_f32_4x4x4_16b_bf16 a[0:3], v[10:11], v[26:27], a[0:3] cbsz:4 abid:2
	v_cvt_pk_f32_fp8_e32 v[22:23], v24
	v_cvt_pk_f32_fp8_sdwa v[26:27], v24 src0_sel:WORD_1
	v_mfma_f32_4x4x4_16b_bf16 a[0:3], v[12:13], v[28:29], a[0:3] cbsz:4 abid:2
	v_cvt_pk_f32_fp8_e32 v[28:29], v25
	v_cvt_pk_f32_fp8_sdwa v[24:25], v25 src0_sel:WORD_1
	v_perm_b32 v22, v23, v22, s0
	v_perm_b32 v23, v27, v26, s0
	v_perm_b32 v26, v29, v28, s0
	v_perm_b32 v27, v25, v24, s0
	v_mfma_f32_4x4x4_16b_bf16 a[0:3], v[10:11], v[22:23], a[0:3] cbsz:4 abid:3
	s_waitcnt vmcnt(3)
	v_cvt_pk_f32_fp8_e32 v[22:23], v18
	v_cvt_pk_f32_fp8_sdwa v[24:25], v18 src0_sel:WORD_1
	v_mfma_f32_4x4x4_16b_bf16 a[0:3], v[12:13], v[26:27], a[0:3] cbsz:4 abid:3
	v_cvt_pk_f32_fp8_e32 v[26:27], v19
	v_cvt_pk_f32_fp8_sdwa v[18:19], v19 src0_sel:WORD_1
	v_perm_b32 v22, v23, v22, s0
	v_perm_b32 v23, v25, v24, s0
	v_perm_b32 v24, v27, v26, s0
	v_perm_b32 v25, v19, v18, s0
	v_mfma_f32_4x4x4_16b_bf16 a[0:3], v[10:11], v[22:23], a[0:3] cbsz:4 abid:4
	v_cvt_pk_f32_fp8_e32 v[18:19], v20
	v_cvt_pk_f32_fp8_sdwa v[22:23], v20 src0_sel:WORD_1
	v_mfma_f32_4x4x4_16b_bf16 a[0:3], v[12:13], v[24:25], a[0:3] cbsz:4 abid:4
	v_cvt_pk_f32_fp8_e32 v[24:25], v21
	v_cvt_pk_f32_fp8_sdwa v[20:21], v21 src0_sel:WORD_1
	v_perm_b32 v18, v19, v18, s0
	v_perm_b32 v19, v23, v22, s0
	v_perm_b32 v22, v25, v24, s0
	v_perm_b32 v23, v21, v20, s0
	v_mfma_f32_4x4x4_16b_bf16 a[0:3], v[10:11], v[18:19], a[0:3] cbsz:4 abid:5
	;; [unrolled: 21-line block ×3, first 2 shown]
	s_waitcnt lgkmcnt(0)
	v_mov_b32_e32 v10, s5
	v_mov_b32_e32 v25, 0xff7fffff
	v_mfma_f32_4x4x4_16b_bf16 a[0:3], v[12:13], v[18:19], a[0:3] cbsz:4 abid:7
	v_mul_f32_e32 v18, s1, v10
	s_nop 3
	v_accvgpr_read_b32 v11, a1
	v_accvgpr_read_b32 v10, a0
	v_pk_mul_f32 v[20:21], v[10:11], v[18:19] op_sel_hi:[1,0]
	global_load_dwordx4 v[10:13], v[36:37], off offset:16
	global_load_dwordx4 v[14:17], v[36:37], off
	v_accvgpr_read_b32 v23, a3
	v_accvgpr_read_b32 v22, a2
	v_pk_mul_f32 v[18:19], v[22:23], v[18:19] op_sel_hi:[1,0]
	v_mfma_f32_4x4x1_16b_f32 a[0:3], v20, v31, 0
	v_cndmask_b32_e64 v20, 0, 1.0, vcc
	v_cmp_eq_u32_e32 vcc, 2, v33
	s_nop 0
	v_mfma_f32_4x4x1_16b_f32 a[0:3], v21, v20, a[0:3]
	v_cndmask_b32_e64 v20, 0, 1.0, vcc
	v_cmp_eq_u32_e32 vcc, 3, v33
	s_nop 0
	v_mfma_f32_4x4x1_16b_f32 a[0:3], v18, v20, a[0:3]
	v_cndmask_b32_e64 v18, 0, 1.0, vcc
	s_nop 1
	v_mfma_f32_4x4x1_16b_f32 a[0:3], v19, v18, a[0:3]
	v_and_b32_e32 v18, -4, v34
	v_subrev_u32_e32 v19, s3, v18
	v_add_u32_e32 v20, 1, v19
	v_cvt_f32_i32_e32 v20, v20
	v_add_u32_e32 v21, 2, v19
	v_cvt_f32_i32_e32 v21, v21
	v_accvgpr_read_b32 v22, a0
	v_fma_f32 v20, v30, v20, v22
	v_accvgpr_read_b32 v22, a1
	v_fma_f32 v21, v30, v21, v22
	v_add_u32_e32 v22, 3, v19
	v_cvt_f32_i32_e32 v22, v22
	v_add_u32_e32 v19, 4, v19
	v_max_f32_e32 v24, 0xff7fffff, v20
	v_cmp_gt_i32_e32 vcc, s3, v18
	v_cvt_f32_i32_e32 v19, v19
	v_accvgpr_read_b32 v23, a2
	v_cndmask_b32_e32 v24, v25, v24, vcc
	v_or_b32_e32 v25, 1, v18
	v_max_f32_e32 v26, v24, v21
	v_cmp_gt_i32_e64 s[0:1], s3, v25
	v_fma_f32 v22, v30, v22, v23
	v_or_b32_e32 v18, 2, v18
	v_cndmask_b32_e64 v24, v24, v26, s[0:1]
	v_accvgpr_read_b32 v23, a3
	v_max_f32_e32 v25, v24, v22
	v_cmp_gt_i32_e64 s[8:9], s3, v18
	v_fmac_f32_e32 v23, v30, v19
	v_lshlrev_b32_e32 v19, 2, v0
	v_cndmask_b32_e64 v18, v24, v25, s[8:9]
	v_or_b32_e32 v24, 3, v34
	v_max_f32_e32 v25, v18, v23
	v_cmp_gt_i32_e64 s[10:11], s3, v24
	v_and_or_b32 v19, v19, 48, v33
	s_nop 0
	v_cndmask_b32_e64 v18, v18, v25, s[10:11]
	;;#ASMSTART
	v_nop
 v_nop
 v_max_f32_dpp v18, v18, v18 row_ror:4
	;;#ASMEND
	v_lshlrev_b32_e32 v25, 2, v19
	;;#ASMSTART
	v_nop
 v_nop
 v_max_f32_dpp v18, v18, v18 row_ror:8
	;;#ASMEND
	ds_bpermute_b32 v18, v25, v18
	s_waitcnt lgkmcnt(0)
	;;#ASMSTART
	v_nop
 v_nop
 v_max_f32_dpp v18, v18, v18 row_ror:4
	;;#ASMEND
	s_nop 0
	;;#ASMSTART
	v_nop
 v_nop
 v_max_f32_dpp v24, v18, v18 row_ror:8
	;;#ASMEND
	s_nop 0
	v_sub_f32_e32 v18, v20, v24
	v_mul_f32_e32 v18, 0x3fb8aa3b, v18
	v_sub_f32_e32 v19, v21, v24
	v_exp_f32_e32 v18, v18
	v_mul_f32_e32 v19, 0x3fb8aa3b, v19
	v_sub_f32_e32 v21, v22, v24
	v_exp_f32_e32 v19, v19
	;; [unrolled: 3-line block ×3, first 2 shown]
	v_mul_f32_e32 v22, 0x3fb8aa3b, v22
	v_exp_f32_e32 v22, v22
	v_cndmask_b32_e32 v18, 0, v18, vcc
	v_add_f32_e32 v20, 0, v18
	v_cndmask_b32_e64 v19, 0, v19, s[0:1]
	v_add_f32_e32 v23, v20, v19
	v_cndmask_b32_e64 v20, 0, v21, s[8:9]
	v_add_f32_e32 v23, v23, v20
	v_cndmask_b32_e64 v21, 0, v22, s[10:11]
	v_add_f32_e32 v22, v23, v21
	;;#ASMSTART
	v_nop
 v_nop
 v_add_f32_dpp v22, v22, v22 row_ror:4
	;;#ASMEND
	v_cmp_gt_u32_e32 vcc, 4, v32
	;;#ASMSTART
	v_nop
 v_nop
 v_add_f32_dpp v22, v22, v22 row_ror:8
	;;#ASMEND
	ds_bpermute_b32 v22, v25, v22
	s_waitcnt lgkmcnt(0)
	;;#ASMSTART
	v_nop
 v_nop
 v_add_f32_dpp v22, v22, v22 row_ror:4
	;;#ASMEND
	s_nop 0
	;;#ASMSTART
	v_nop
 v_nop
 v_add_f32_dpp v22, v22, v22 row_ror:8
	;;#ASMEND
	s_and_saveexec_b64 s[0:1], vcc
	s_cbranch_execz .LBB1208_18
; %bb.17:
	v_mul_u32_u24_e32 v23, 20, v1
	v_lshl_add_u32 v23, v33, 2, v23
	v_add_u32_e32 v23, 0x800, v23
	ds_write2_b32 v23, v24, v22 offset0:128 offset1:148
.LBB1208_18:
	s_or_b64 exec, exec, s[0:1]
.LBB1208_19:
	s_or_b64 exec, exec, s[26:27]
	s_waitcnt lgkmcnt(0)
	s_barrier
	s_load_dword s0, s[24:25], 0x8
	v_lshlrev_b32_e32 v22, 2, v33
	v_add_u32_e32 v30, 0x800, v22
	ds_read2_b32 v[22:23], v30 offset0:128 offset1:133
	ds_read2_b32 v[26:27], v30 offset0:138 offset1:143
	s_mul_i32 s1, s33, s2
	s_waitcnt lgkmcnt(0)
	s_mul_i32 s0, s1, s0
	s_mov_b32 s1, 0xff7fffff
	v_max3_f32 v25, v22, s1, v23
	v_max3_f32 v25, v25, v26, v27
	v_sub_f32_e32 v22, v22, v25
	ds_read2_b32 v[28:29], v30 offset0:148 offset1:153
	v_mul_f32_e32 v22, 0x3fb8aa3b, v22
	v_sub_f32_e32 v23, v23, v25
	v_sub_f32_e32 v26, v26, v25
	v_exp_f32_e32 v34, v22
	v_mul_f32_e32 v23, 0x3fb8aa3b, v23
	v_mul_f32_e32 v26, 0x3fb8aa3b, v26
	v_exp_f32_e32 v23, v23
	ds_read2_b32 v[30:31], v30 offset0:158 offset1:163
	v_exp_f32_e32 v35, v26
	v_sub_f32_e32 v26, v27, v25
	v_mul_f32_e32 v26, 0x3fb8aa3b, v26
	v_exp_f32_e32 v27, v26
	s_waitcnt lgkmcnt(1)
	v_fma_f32 v26, v34, v28, 0
	v_fmac_f32_e32 v26, v23, v29
	s_waitcnt lgkmcnt(0)
	v_fmac_f32_e32 v26, v35, v30
	v_mov_b32_e32 v22, 0
	v_fmac_f32_e32 v26, v27, v31
	s_mov_b32 s1, 0
	v_cmp_eq_u32_e32 vcc, 0, v33
	s_and_saveexec_b64 s[2:3], vcc
	s_cbranch_execz .LBB1208_21
; %bb.20:
	s_lshl_b64 s[8:9], s[0:1], 2
	s_add_u32 s5, s16, s8
	s_mov_b32 s21, s1
	s_addc_u32 s12, s17, s9
	s_lshl_b64 s[10:11], s[20:21], 2
	s_add_u32 s5, s5, s10
	s_addc_u32 s12, s12, s11
	s_add_u32 s8, s18, s8
	s_addc_u32 s9, s19, s9
	;; [unrolled: 2-line block ×3, first 2 shown]
	s_mul_i32 s8, s33, s4
	s_mov_b32 s9, s1
	s_lshl_b64 s[8:9], s[8:9], 2
	s_add_u32 s10, s5, s8
	s_addc_u32 s11, s12, s9
	s_add_u32 s8, s13, s8
	s_addc_u32 s9, s16, s9
	global_store_dword v22, v25, s[8:9]
	global_store_dword v22, v26, s[10:11]
.LBB1208_21:
	s_or_b64 exec, exec, s[2:3]
	v_mov_b32_e32 v23, 0
	s_and_saveexec_b64 s[2:3], s[6:7]
	s_cbranch_execz .LBB1208_23
; %bb.22:
	v_add_f32_e32 v22, 0x358637bd, v26
	v_div_scale_f32 v23, s[6:7], v22, v22, 1.0
	v_rcp_f32_e32 v26, v23
	v_div_scale_f32 v27, vcc, 1.0, v22, 1.0
	v_sub_f32_e32 v24, v24, v25
	v_fma_f32 v28, -v23, v26, 1.0
	v_fmac_f32_e32 v26, v28, v26
	v_mul_f32_e32 v28, v27, v26
	v_fma_f32 v29, -v23, v28, v27
	v_mul_f32_e32 v24, 0x3fb8aa3b, v24
	v_fmac_f32_e32 v28, v29, v26
	v_exp_f32_e32 v24, v24
	v_fma_f32 v23, -v23, v28, v27
	v_div_fmas_f32 v23, v23, v26, v28
	v_div_fixup_f32 v22, v23, v22, 1.0
	v_mul_f32_e32 v22, v24, v22
	v_pk_mul_f32 v[18:19], v[18:19], v[22:23] op_sel_hi:[1,0]
	v_pk_mul_f32 v[20:21], v[20:21], v[22:23] op_sel_hi:[1,0]
	v_bfe_u32 v22, v19, 16, 1
	v_bfe_u32 v23, v18, 16, 1
	s_movk_i32 s1, 0x7fff
	v_add3_u32 v18, v18, v23, s1
	v_add3_u32 v19, v19, v22, s1
	s_mov_b32 s5, 0x7060302
	v_perm_b32 v18, v19, v18, s5
	v_bfe_u32 v19, v21, 16, 1
	v_bfe_u32 v22, v20, 16, 1
	v_add3_u32 v22, v20, v22, s1
	v_add3_u32 v19, v21, v19, s1
	s_waitcnt vmcnt(2)
	v_cvt_pk_f32_fp8_e32 v[20:21], v6
	v_perm_b32 v19, v19, v22, s5
	v_cvt_pk_f32_fp8_sdwa v[22:23], v6 src0_sel:WORD_1
	v_cvt_pk_f32_fp8_e32 v[24:25], v7
	v_perm_b32 v6, v21, v20, s5
	v_cvt_pk_f32_fp8_sdwa v[20:21], v7 src0_sel:WORD_1
	v_perm_b32 v7, v23, v22, s5
	v_perm_b32 v22, v25, v24, s5
	s_load_dword s6, s[14:15], 0x0
	v_mfma_f32_4x4x4_16b_bf16 a[0:3], v[18:19], v[6:7], 0 cbsz:4
	v_perm_b32 v23, v21, v20, s5
	v_cvt_pk_f32_fp8_e32 v[6:7], v8
	v_cvt_pk_f32_fp8_sdwa v[20:21], v8 src0_sel:WORD_1
	v_mfma_f32_4x4x4_16b_bf16 a[0:3], v[18:19], v[22:23], a[0:3] cbsz:4 abid:1
	v_cvt_pk_f32_fp8_e32 v[22:23], v9
	v_cvt_pk_f32_fp8_sdwa v[8:9], v9 src0_sel:WORD_1
	v_perm_b32 v6, v7, v6, s5
	v_perm_b32 v7, v21, v20, s5
	;; [unrolled: 1-line block ×4, first 2 shown]
	v_mfma_f32_4x4x4_16b_bf16 a[0:3], v[18:19], v[6:7], a[0:3] cbsz:4 abid:2
	v_cvt_pk_f32_fp8_e32 v[6:7], v2
	v_cvt_pk_f32_fp8_sdwa v[8:9], v2 src0_sel:WORD_1
	v_mfma_f32_4x4x4_16b_bf16 a[0:3], v[18:19], v[20:21], a[0:3] cbsz:4 abid:3
	v_cvt_pk_f32_fp8_e32 v[20:21], v3
	v_perm_b32 v2, v7, v6, s5
	v_cvt_pk_f32_fp8_sdwa v[6:7], v3 src0_sel:WORD_1
	v_perm_b32 v3, v9, v8, s5
	v_perm_b32 v8, v21, v20, s5
	;; [unrolled: 1-line block ×3, first 2 shown]
	v_mfma_f32_4x4x4_16b_bf16 a[0:3], v[18:19], v[2:3], a[0:3] cbsz:4 abid:4
	v_cvt_pk_f32_fp8_e32 v[2:3], v4
	v_cvt_pk_f32_fp8_sdwa v[6:7], v4 src0_sel:WORD_1
	v_mfma_f32_4x4x4_16b_bf16 a[0:3], v[18:19], v[8:9], a[0:3] cbsz:4 abid:5
	v_cvt_pk_f32_fp8_e32 v[8:9], v5
	v_cvt_pk_f32_fp8_sdwa v[4:5], v5 src0_sel:WORD_1
	v_perm_b32 v2, v3, v2, s5
	v_perm_b32 v3, v7, v6, s5
	v_perm_b32 v6, v9, v8, s5
	v_perm_b32 v7, v5, v4, s5
	v_mfma_f32_4x4x4_16b_bf16 a[0:3], v[18:19], v[2:3], a[0:3] cbsz:4 abid:6
	s_waitcnt vmcnt(0)
	v_cvt_pk_f32_fp8_e32 v[2:3], v14
	v_cvt_pk_f32_fp8_sdwa v[4:5], v14 src0_sel:WORD_1
	v_mfma_f32_4x4x4_16b_bf16 a[0:3], v[18:19], v[6:7], a[0:3] cbsz:4 abid:7
	v_cvt_pk_f32_fp8_e32 v[6:7], v15
	v_cvt_pk_f32_fp8_sdwa v[8:9], v15 src0_sel:WORD_1
	v_perm_b32 v2, v3, v2, s5
	v_perm_b32 v3, v5, v4, s5
	;; [unrolled: 1-line block ×4, first 2 shown]
	v_mfma_f32_4x4x4_16b_bf16 a[0:3], v[18:19], v[2:3], a[0:3] cbsz:4 abid:8
	v_cvt_pk_f32_fp8_e32 v[2:3], v16
	v_cvt_pk_f32_fp8_e32 v[6:7], v17
	v_mfma_f32_4x4x4_16b_bf16 a[0:3], v[18:19], v[4:5], a[0:3] cbsz:4 abid:9
	v_cvt_pk_f32_fp8_sdwa v[4:5], v16 src0_sel:WORD_1
	v_cvt_pk_f32_fp8_sdwa v[8:9], v17 src0_sel:WORD_1
	v_perm_b32 v2, v3, v2, s5
	v_perm_b32 v3, v5, v4, s5
	v_perm_b32 v4, v7, v6, s5
	s_nop 0
	v_mfma_f32_4x4x4_16b_bf16 a[0:3], v[18:19], v[2:3], a[0:3] cbsz:4 abid:10
	v_perm_b32 v5, v9, v8, s5
	v_cvt_pk_f32_fp8_e32 v[2:3], v10
	v_cvt_pk_f32_fp8_e32 v[6:7], v11
	v_mfma_f32_4x4x4_16b_bf16 a[0:3], v[18:19], v[4:5], a[0:3] cbsz:4 abid:11
	v_cvt_pk_f32_fp8_sdwa v[4:5], v10 src0_sel:WORD_1
	v_cvt_pk_f32_fp8_sdwa v[8:9], v11 src0_sel:WORD_1
	v_perm_b32 v2, v3, v2, s5
	v_perm_b32 v3, v5, v4, s5
	v_perm_b32 v4, v7, v6, s5
	s_nop 0
	v_mfma_f32_4x4x4_16b_bf16 a[0:3], v[18:19], v[2:3], a[0:3] cbsz:4 abid:12
	v_perm_b32 v5, v9, v8, s5
	;; [unrolled: 11-line block ×3, first 2 shown]
	s_nop 1
	v_mfma_f32_4x4x4_16b_bf16 a[0:3], v[18:19], v[4:5], a[0:3] cbsz:4 abid:15
	s_nop 4
	v_accvgpr_read_b32 v5, a1
	v_accvgpr_read_b32 v4, a0
	;; [unrolled: 1-line block ×4, first 2 shown]
	s_waitcnt lgkmcnt(0)
	v_pk_mul_f32 v[4:5], v[4:5], s[6:7] op_sel_hi:[1,0]
	v_pk_mul_f32 v[2:3], v[2:3], s[6:7] op_sel_hi:[1,0]
	v_bfe_u32 v6, v5, 16, 1
	v_bfe_u32 v7, v4, 16, 1
	v_add3_u32 v4, v4, v7, s1
	v_add3_u32 v5, v5, v6, s1
	v_bfe_u32 v6, v3, 16, 1
	v_bfe_u32 v7, v2, 16, 1
	v_add3_u32 v2, v2, v7, s1
	v_add3_u32 v3, v3, v6, s1
	v_perm_b32 v23, v3, v2, s5
	v_perm_b32 v22, v5, v4, s5
.LBB1208_23:
	s_or_b64 exec, exec, s[2:3]
	v_lshlrev_b32_e32 v1, 3, v1
	v_mad_u32_u24 v1, v32, 40, v1
	v_cmp_gt_u32_e32 vcc, 64, v0
	ds_write_b64 v1, v[22:23]
	s_waitcnt lgkmcnt(0)
	s_barrier
	s_and_saveexec_b64 s[2:3], vcc
	s_cbranch_execz .LBB1208_25
; %bb.24:
	s_waitcnt vmcnt(2)
	v_mul_u32_u24_e32 v6, 40, v32
	ds_read2_b64 v[2:5], v6 offset1:1
	ds_read2_b64 v[6:9], v6 offset0:2 offset1:3
	s_lshl_b32 s0, s0, 6
	s_mov_b32 s1, 0
	s_lshl_b64 s[2:3], s[0:1], 1
	s_waitcnt lgkmcnt(1)
	v_lshlrev_b32_e32 v2, 16, v2
	v_add_f32_e32 v2, 0, v2
	s_add_u32 s2, s22, s2
	v_and_b32_e32 v2, 0xffff0000, v2
	v_lshlrev_b32_e32 v3, 16, v4
	s_addc_u32 s3, s23, s3
	s_lshl_b32 s0, s20, 6
	v_add_f32_e32 v2, v2, v3
	s_lshl_b64 s[0:1], s[0:1], 1
	v_and_b32_e32 v2, 0xffff0000, v2
	s_waitcnt lgkmcnt(0)
	v_lshlrev_b32_e32 v3, 16, v6
	s_add_u32 s0, s2, s0
	s_mul_i32 s2, s4, s33
	v_add_f32_e32 v2, v2, v3
	s_addc_u32 s1, s3, s1
	v_lshl_or_b32 v0, s2, 6, v0
	v_mov_b32_e32 v1, 0
	v_and_b32_e32 v2, 0xffff0000, v2
	v_lshlrev_b32_e32 v3, 16, v8
	v_lshl_add_u64 v[0:1], v[0:1], 1, s[0:1]
	v_add_f32_e32 v2, v2, v3
	global_store_short_d16_hi v[0:1], v2, off
.LBB1208_25:
	s_endpgm
	.section	.rodata,"a",@progbits
	.p2align	6, 0x0
	.amdhsa_kernel _Z38paged_attention_ll4mi_QKV_mfma4_kernelI14__hip_bfloat16hLN4vllm18Fp8KVCacheDataTypeE1ES0_Li32ELi64ELi256ELb1ELi1EEvPKT_PKT0_S8_ifPKiSA_SA_iPKfiiiPfSD_PS3_PT2_iSC_SC_
		.amdhsa_group_segment_fixed_size 2720
		.amdhsa_private_segment_fixed_size 0
		.amdhsa_kernarg_size 400
		.amdhsa_user_sgpr_count 2
		.amdhsa_user_sgpr_dispatch_ptr 0
		.amdhsa_user_sgpr_queue_ptr 0
		.amdhsa_user_sgpr_kernarg_segment_ptr 1
		.amdhsa_user_sgpr_dispatch_id 0
		.amdhsa_user_sgpr_kernarg_preload_length 0
		.amdhsa_user_sgpr_kernarg_preload_offset 0
		.amdhsa_user_sgpr_private_segment_size 0
		.amdhsa_uses_dynamic_stack 0
		.amdhsa_enable_private_segment 0
		.amdhsa_system_sgpr_workgroup_id_x 1
		.amdhsa_system_sgpr_workgroup_id_y 1
		.amdhsa_system_sgpr_workgroup_id_z 1
		.amdhsa_system_sgpr_workgroup_info 0
		.amdhsa_system_vgpr_workitem_id 0
		.amdhsa_next_free_vgpr 48
		.amdhsa_next_free_sgpr 42
		.amdhsa_accum_offset 44
		.amdhsa_reserve_vcc 1
		.amdhsa_float_round_mode_32 0
		.amdhsa_float_round_mode_16_64 0
		.amdhsa_float_denorm_mode_32 3
		.amdhsa_float_denorm_mode_16_64 3
		.amdhsa_dx10_clamp 1
		.amdhsa_ieee_mode 1
		.amdhsa_fp16_overflow 0
		.amdhsa_tg_split 0
		.amdhsa_exception_fp_ieee_invalid_op 0
		.amdhsa_exception_fp_denorm_src 0
		.amdhsa_exception_fp_ieee_div_zero 0
		.amdhsa_exception_fp_ieee_overflow 0
		.amdhsa_exception_fp_ieee_underflow 0
		.amdhsa_exception_fp_ieee_inexact 0
		.amdhsa_exception_int_div_zero 0
	.end_amdhsa_kernel
	.section	.text._Z38paged_attention_ll4mi_QKV_mfma4_kernelI14__hip_bfloat16hLN4vllm18Fp8KVCacheDataTypeE1ES0_Li32ELi64ELi256ELb1ELi1EEvPKT_PKT0_S8_ifPKiSA_SA_iPKfiiiPfSD_PS3_PT2_iSC_SC_,"axG",@progbits,_Z38paged_attention_ll4mi_QKV_mfma4_kernelI14__hip_bfloat16hLN4vllm18Fp8KVCacheDataTypeE1ES0_Li32ELi64ELi256ELb1ELi1EEvPKT_PKT0_S8_ifPKiSA_SA_iPKfiiiPfSD_PS3_PT2_iSC_SC_,comdat
.Lfunc_end1208:
	.size	_Z38paged_attention_ll4mi_QKV_mfma4_kernelI14__hip_bfloat16hLN4vllm18Fp8KVCacheDataTypeE1ES0_Li32ELi64ELi256ELb1ELi1EEvPKT_PKT0_S8_ifPKiSA_SA_iPKfiiiPfSD_PS3_PT2_iSC_SC_, .Lfunc_end1208-_Z38paged_attention_ll4mi_QKV_mfma4_kernelI14__hip_bfloat16hLN4vllm18Fp8KVCacheDataTypeE1ES0_Li32ELi64ELi256ELb1ELi1EEvPKT_PKT0_S8_ifPKiSA_SA_iPKfiiiPfSD_PS3_PT2_iSC_SC_
                                        ; -- End function
	.section	.AMDGPU.csdata,"",@progbits
; Kernel info:
; codeLenInByte = 3904
; NumSgprs: 48
; NumVgprs: 44
; NumAgprs: 4
; TotalNumVgprs: 48
; ScratchSize: 0
; MemoryBound: 0
; FloatMode: 240
; IeeeMode: 1
; LDSByteSize: 2720 bytes/workgroup (compile time only)
; SGPRBlocks: 5
; VGPRBlocks: 5
; NumSGPRsForWavesPerEU: 48
; NumVGPRsForWavesPerEU: 48
; AccumOffset: 44
; Occupancy: 8
; WaveLimiterHint : 1
; COMPUTE_PGM_RSRC2:SCRATCH_EN: 0
; COMPUTE_PGM_RSRC2:USER_SGPR: 2
; COMPUTE_PGM_RSRC2:TRAP_HANDLER: 0
; COMPUTE_PGM_RSRC2:TGID_X_EN: 1
; COMPUTE_PGM_RSRC2:TGID_Y_EN: 1
; COMPUTE_PGM_RSRC2:TGID_Z_EN: 1
; COMPUTE_PGM_RSRC2:TIDIG_COMP_CNT: 0
; COMPUTE_PGM_RSRC3_GFX90A:ACCUM_OFFSET: 10
; COMPUTE_PGM_RSRC3_GFX90A:TG_SPLIT: 0
	.section	.text._Z38paged_attention_ll4mi_QKV_mfma4_kernelI14__hip_bfloat16hLN4vllm18Fp8KVCacheDataTypeE1ES0_Li32ELi64ELi256ELb1ELi2EEvPKT_PKT0_S8_ifPKiSA_SA_iPKfiiiPfSD_PS3_PT2_iSC_SC_,"axG",@progbits,_Z38paged_attention_ll4mi_QKV_mfma4_kernelI14__hip_bfloat16hLN4vllm18Fp8KVCacheDataTypeE1ES0_Li32ELi64ELi256ELb1ELi2EEvPKT_PKT0_S8_ifPKiSA_SA_iPKfiiiPfSD_PS3_PT2_iSC_SC_,comdat
	.protected	_Z38paged_attention_ll4mi_QKV_mfma4_kernelI14__hip_bfloat16hLN4vllm18Fp8KVCacheDataTypeE1ES0_Li32ELi64ELi256ELb1ELi2EEvPKT_PKT0_S8_ifPKiSA_SA_iPKfiiiPfSD_PS3_PT2_iSC_SC_ ; -- Begin function _Z38paged_attention_ll4mi_QKV_mfma4_kernelI14__hip_bfloat16hLN4vllm18Fp8KVCacheDataTypeE1ES0_Li32ELi64ELi256ELb1ELi2EEvPKT_PKT0_S8_ifPKiSA_SA_iPKfiiiPfSD_PS3_PT2_iSC_SC_
	.globl	_Z38paged_attention_ll4mi_QKV_mfma4_kernelI14__hip_bfloat16hLN4vllm18Fp8KVCacheDataTypeE1ES0_Li32ELi64ELi256ELb1ELi2EEvPKT_PKT0_S8_ifPKiSA_SA_iPKfiiiPfSD_PS3_PT2_iSC_SC_
	.p2align	8
	.type	_Z38paged_attention_ll4mi_QKV_mfma4_kernelI14__hip_bfloat16hLN4vllm18Fp8KVCacheDataTypeE1ES0_Li32ELi64ELi256ELb1ELi2EEvPKT_PKT0_S8_ifPKiSA_SA_iPKfiiiPfSD_PS3_PT2_iSC_SC_,@function
_Z38paged_attention_ll4mi_QKV_mfma4_kernelI14__hip_bfloat16hLN4vllm18Fp8KVCacheDataTypeE1ES0_Li32ELi64ELi256ELb1ELi2EEvPKT_PKT0_S8_ifPKiSA_SA_iPKfiiiPfSD_PS3_PT2_iSC_SC_: ; @_Z38paged_attention_ll4mi_QKV_mfma4_kernelI14__hip_bfloat16hLN4vllm18Fp8KVCacheDataTypeE1ES0_Li32ELi64ELi256ELb1ELi2EEvPKT_PKT0_S8_ifPKiSA_SA_iPKfiiiPfSD_PS3_PT2_iSC_SC_
; %bb.0:
	s_load_dwordx2 s[16:17], s[0:1], 0x30
	s_mov_b32 s20, s3
	s_mov_b64 s[6:7], 0
	s_waitcnt lgkmcnt(0)
	s_cmp_lg_u64 s[16:17], 0
	s_cselect_b64 s[18:19], -1, 0
	s_and_b64 vcc, exec, s[18:19]
	s_cbranch_vccz .LBB1209_10
; %bb.1:
	s_add_i32 s8, s2, 1
	s_mov_b32 s9, 0
	s_lshl_b64 s[10:11], s[8:9], 2
	s_add_u32 s10, s16, s10
	s_mov_b32 s3, s9
	s_addc_u32 s11, s17, s11
	s_lshl_b64 s[8:9], s[2:3], 2
	s_add_u32 s8, s16, s8
	s_addc_u32 s9, s17, s9
	s_load_dword s5, s[10:11], 0x0
	s_load_dword s12, s[8:9], 0x0
	s_waitcnt lgkmcnt(0)
	s_sub_i32 s5, s5, s12
	s_cmp_eq_u32 s5, 1
	s_cselect_b64 s[8:9], -1, 0
	s_andn2_b64 vcc, exec, s[6:7]
	s_cbranch_vccnz .LBB1209_3
.LBB1209_2:
	s_mov_b32 s3, 0
	s_mov_b64 s[8:9], -1
.LBB1209_3:
	s_andn2_b64 vcc, exec, s[8:9]
	s_cbranch_vccnz .LBB1209_25
; %bb.4:
	s_load_dword s5, s[0:1], 0x9c
	s_load_dwordx2 s[6:7], s[0:1], 0x28
	s_add_u32 s24, s0, 0x90
	s_addc_u32 s25, s1, 0
	s_lshl_b64 s[28:29], s[2:3], 2
	s_waitcnt lgkmcnt(0)
	s_and_b32 s5, s5, 0xffff
	s_add_u32 s6, s6, s28
	s_addc_u32 s7, s7, s29
	s_load_dword s3, s[6:7], 0x0
	s_mul_i32 s5, s20, s5
	s_waitcnt lgkmcnt(0)
	s_cmp_ge_i32 s5, s3
	s_cbranch_scc1 .LBB1209_25
; %bb.5:
	v_and_b32_e32 v2, 0xc0, v0
	v_add_u32_e32 v4, s5, v2
	v_lshrrev_b32_e32 v1, 6, v0
	v_cmp_gt_i32_e64 s[6:7], s3, v4
	v_cmp_le_i32_e32 vcc, s3, v4
                                        ; implicit-def: $sgpr30
                                        ; implicit-def: $sgpr21
	s_and_saveexec_b64 s[8:9], vcc
	s_xor_b64 s[8:9], exec, s[8:9]
	s_cbranch_execz .LBB1209_7
; %bb.6:
	v_mul_u32_u24_e32 v2, 20, v1
	v_or_b32_e32 v2, 0xa00, v2
	v_mov_b32_e32 v3, 0xa50
	v_mov_b32_e32 v4, 0xff7fffff
	v_mad_u32_u24 v3, v1, 20, v3
	ds_write2_b32 v2, v4, v4 offset1:1
	v_mov_b32_e32 v2, 0
	ds_write2_b32 v3, v2, v2 offset1:1
	v_mov_b32_e32 v3, 0xa08
	s_mov_b32 s21, 0xff7fffff
	s_mov_b32 s30, 0
	v_mad_u32_u24 v3, v1, 20, v3
	v_mov_b32_e32 v5, 0xa58
	v_mad_u32_u24 v5, v1, 20, v5
	ds_write2_b32 v3, v4, v4 offset1:1
	ds_write2_b32 v5, v2, v2 offset1:1
                                        ; implicit-def: $vgpr4
.LBB1209_7:
	s_or_saveexec_b64 s[26:27], s[8:9]
	s_load_dwordx2 s[22:23], s[0:1], 0x68
	s_load_dwordx4 s[12:15], s[0:1], 0x58
	s_load_dword s38, s[24:25], 0x4
	s_load_dwordx4 s[8:11], s[0:1], 0x80
	v_and_b32_e32 v38, 63, v0
	v_and_b32_e32 v39, 3, v0
	s_lshl_b32 s33, s4, 1
	v_mov_b32_e32 v21, s30
	v_mov_b32_e32 v24, s21
	;; [unrolled: 1-line block ×5, first 2 shown]
                                        ; implicit-def: $vgpr14_vgpr15
                                        ; implicit-def: $vgpr10_vgpr11
                                        ; implicit-def: $vgpr6_vgpr7
                                        ; implicit-def: $vgpr2_vgpr3
	s_xor_b64 exec, exec, s[26:27]
	s_cbranch_execz .LBB1209_19
; %bb.8:
	s_load_dwordx2 s[30:31], s[0:1], 0x20
	s_load_dword s21, s[0:1], 0x38
	s_add_i32 s34, s3, 31
	s_ashr_i32 s35, s34, 31
	s_lshr_b32 s35, s35, 27
	v_add_u32_e32 v40, s5, v0
	s_add_i32 s34, s34, s35
	v_ashrrev_i32_e32 v2, 31, v40
	s_ashr_i32 s34, s34, 5
	v_lshrrev_b32_e32 v2, 27, v2
	s_add_i32 s36, s34, -1
	s_waitcnt lgkmcnt(0)
	s_mul_i32 s34, s2, s21
	s_mov_b32 s35, 0
	v_add_u32_e32 v2, v40, v2
	s_lshl_b64 s[34:35], s[34:35], 2
	v_ashrrev_i32_e32 v2, 5, v2
	v_mov_b32_e32 v3, s36
	v_cmp_gt_i32_e32 vcc, s3, v40
	s_add_u32 s30, s30, s34
	s_addc_u32 s31, s31, s35
	v_cndmask_b32_e32 v2, v3, v2, vcc
	v_ashrrev_i32_e32 v3, 31, v2
	v_lshl_add_u64 v[6:7], v[2:3], 2, s[30:31]
	v_ashrrev_i32_e32 v2, 31, v4
	v_lshrrev_b32_e32 v2, 27, v2
	v_add_u32_e32 v2, v4, v2
	v_ashrrev_i32_e32 v4, 5, v2
	v_min_i32_e32 v2, s36, v4
	v_ashrrev_i32_e32 v3, 31, v2
	v_lshl_add_u64 v[8:9], v[2:3], 2, s[30:31]
	v_add_u32_e32 v2, 1, v4
	v_min_i32_e32 v2, s36, v2
	v_ashrrev_i32_e32 v3, 31, v2
	v_lshl_add_u64 v[10:11], v[2:3], 2, s[30:31]
	global_load_dword v2, v[6:7], off
	global_load_dword v5, v[8:9], off
	;; [unrolled: 1-line block ×3, first 2 shown]
	s_load_dwordx2 s[30:31], s[0:1], 0x8
	s_andn2_b64 vcc, exec, s[18:19]
	s_cbranch_vccnz .LBB1209_11
; %bb.9:
	s_add_u32 s16, s16, s28
	s_addc_u32 s17, s17, s29
	s_load_dword s5, s[16:17], 0x0
	s_branch .LBB1209_12
.LBB1209_10:
	s_mov_b64 s[8:9], 0
	s_branch .LBB1209_2
.LBB1209_11:
	s_mov_b32 s5, s2
.LBB1209_12:
	s_load_dwordx2 s[28:29], s[0:1], 0x10
	s_load_dwordx4 s[16:19], s[0:1], 0x48
	v_cmp_gt_u32_e32 vcc, 2, v39
	s_mov_b32 s37, 0
	v_mov_b32_e32 v3, 0
	v_mov_b32_e32 v18, 0
	;; [unrolled: 1-line block ×5, first 2 shown]
	s_and_saveexec_b64 s[34:35], vcc
	s_cbranch_execz .LBB1209_14
; %bb.13:
	s_load_dwordx2 s[40:41], s[0:1], 0x0
	s_waitcnt lgkmcnt(0)
	s_ashr_i32 s19, s16, 31
	s_mul_hi_u32 s21, s5, s16
	s_mul_i32 s19, s5, s19
	s_add_i32 s43, s21, s19
	s_mul_i32 s42, s5, s16
	s_lshl_b64 s[42:43], s[42:43], 1
	s_add_u32 s5, s40, s42
	s_addc_u32 s16, s41, s43
	s_lshl_b32 s36, s4, 7
	s_lshl_b64 s[36:37], s[36:37], 1
	s_add_u32 s36, s5, s36
	v_lshlrev_b32_e32 v6, 3, v39
	v_lshrrev_b32_e32 v7, 2, v38
	s_addc_u32 s37, s16, s37
	v_add_lshl_u32 v6, v6, v7, 4
	global_load_dwordx4 v[18:21], v6, s[36:37]
.LBB1209_14:
	s_or_b64 exec, exec, s[34:35]
	s_waitcnt lgkmcnt(0)
	s_mul_i32 s16, s4, s18
	s_add_u32 s4, s16, s30
	s_addc_u32 s5, 0, s31
	v_mov_b64_e32 v[6:7], s[4:5]
	s_waitcnt vmcnt(2)
	v_mad_i64_i32 v[6:7], s[4:5], v2, s17, v[6:7]
	v_lshlrev_b32_e32 v2, 4, v0
	v_and_b32_e32 v2, 0x1f0, v2
	v_lshl_add_u64 v[6:7], v[6:7], 0, v[2:3]
	global_load_dwordx4 v[34:37], v[6:7], off
	global_load_dwordx4 v[30:33], v[6:7], off offset:512
	global_load_dwordx4 v[26:29], v[6:7], off offset:1024
	global_load_dwordx4 v[22:25], v[6:7], off offset:1536
	v_mov_b32_e32 v41, 0
	s_and_saveexec_b64 s[4:5], vcc
	s_cbranch_execz .LBB1209_16
; %bb.15:
	s_load_dwordx2 s[18:19], s[0:1], 0x40
	v_or_b32_e32 v6, s33, v39
	v_mov_b32_e32 v7, 0
	s_waitcnt lgkmcnt(0)
	v_lshl_add_u64 v[6:7], v[6:7], 2, s[18:19]
	global_load_dword v41, v[6:7], off
.LBB1209_16:
	s_or_b64 exec, exec, s[4:5]
	s_waitcnt vmcnt(5)
	v_mul_hi_i32 v6, v5, s17
	s_load_dword s4, s[0:1], 0x1c
	s_add_u32 s0, s28, s16
	v_ashrrev_i32_e32 v6, 31, v6
	s_addc_u32 s1, s29, 0
	v_lshlrev_b32_e32 v2, 5, v38
	v_lshrrev_b32_e32 v6, 29, v6
	v_mov_b32_e32 v7, 0
	v_lshl_add_u64 v[2:3], s[0:1], 0, v[2:3]
	v_mad_i64_i32 v[8:9], s[0:1], v5, s17, v[6:7]
	s_waitcnt vmcnt(4)
	v_mul_hi_i32 v5, v4, s17
	v_ashrrev_i32_e32 v5, 31, v5
	v_lshrrev_b32_e32 v6, 29, v5
	v_mad_i64_i32 v[4:5], s[0:1], v4, s17, v[6:7]
	v_and_b32_e32 v8, -8, v8
	v_and_b32_e32 v4, -8, v4
	v_lshl_add_u64 v[8:9], v[2:3], 0, v[8:9]
	v_lshl_add_u64 v[42:43], v[2:3], 0, v[4:5]
	global_load_dwordx4 v[10:13], v[8:9], off offset:16
	global_load_dwordx4 v[14:17], v[8:9], off
	global_load_dwordx4 v[2:5], v[42:43], off offset:16
	s_nop 0
	global_load_dwordx4 v[6:9], v[42:43], off
	s_waitcnt vmcnt(7)
	v_cvt_pk_f32_fp8_e32 v[42:43], v34
	v_cvt_pk_f32_fp8_sdwa v[44:45], v34 src0_sel:WORD_1
	s_mov_b32 s0, 0x7060302
	v_cvt_pk_f32_fp8_e32 v[46:47], v35
	v_perm_b32 v34, v43, v42, s0
	v_cvt_pk_f32_fp8_sdwa v[42:43], v35 src0_sel:WORD_1
	v_perm_b32 v35, v45, v44, s0
	v_perm_b32 v44, v47, v46, s0
	v_cmp_eq_u32_e32 vcc, 0, v39
	v_mfma_f32_4x4x4_16b_bf16 a[0:3], v[18:19], v[34:35], 0 cbsz:4
	v_perm_b32 v45, v43, v42, s0
	v_cvt_pk_f32_fp8_e32 v[34:35], v36
	v_cvt_pk_f32_fp8_sdwa v[42:43], v36 src0_sel:WORD_1
	v_mfma_f32_4x4x4_16b_bf16 a[0:3], v[20:21], v[44:45], a[0:3] cbsz:4
	v_cvt_pk_f32_fp8_e32 v[44:45], v37
	v_cvt_pk_f32_fp8_sdwa v[36:37], v37 src0_sel:WORD_1
	v_perm_b32 v34, v35, v34, s0
	v_perm_b32 v35, v43, v42, s0
	v_perm_b32 v42, v45, v44, s0
	v_perm_b32 v43, v37, v36, s0
	v_mfma_f32_4x4x4_16b_bf16 a[0:3], v[18:19], v[34:35], a[0:3] cbsz:4 abid:1
	s_waitcnt vmcnt(6)
	v_cvt_pk_f32_fp8_e32 v[34:35], v30
	v_cvt_pk_f32_fp8_sdwa v[36:37], v30 src0_sel:WORD_1
	v_mfma_f32_4x4x4_16b_bf16 a[0:3], v[20:21], v[42:43], a[0:3] cbsz:4 abid:1
	v_cvt_pk_f32_fp8_e32 v[42:43], v31
	v_perm_b32 v30, v35, v34, s0
	v_cvt_pk_f32_fp8_sdwa v[34:35], v31 src0_sel:WORD_1
	v_perm_b32 v31, v37, v36, s0
	v_perm_b32 v36, v43, v42, s0
	v_perm_b32 v37, v35, v34, s0
	v_mfma_f32_4x4x4_16b_bf16 a[0:3], v[18:19], v[30:31], a[0:3] cbsz:4 abid:2
	v_cvt_pk_f32_fp8_e32 v[30:31], v32
	v_cvt_pk_f32_fp8_sdwa v[34:35], v32 src0_sel:WORD_1
	v_mfma_f32_4x4x4_16b_bf16 a[0:3], v[20:21], v[36:37], a[0:3] cbsz:4 abid:2
	v_cvt_pk_f32_fp8_e32 v[36:37], v33
	v_cvt_pk_f32_fp8_sdwa v[32:33], v33 src0_sel:WORD_1
	v_perm_b32 v30, v31, v30, s0
	v_perm_b32 v31, v35, v34, s0
	v_perm_b32 v34, v37, v36, s0
	v_perm_b32 v35, v33, v32, s0
	v_mfma_f32_4x4x4_16b_bf16 a[0:3], v[18:19], v[30:31], a[0:3] cbsz:4 abid:3
	s_waitcnt vmcnt(5)
	v_cvt_pk_f32_fp8_e32 v[30:31], v26
	v_cvt_pk_f32_fp8_sdwa v[32:33], v26 src0_sel:WORD_1
	v_mfma_f32_4x4x4_16b_bf16 a[0:3], v[20:21], v[34:35], a[0:3] cbsz:4 abid:3
	v_cvt_pk_f32_fp8_e32 v[34:35], v27
	v_perm_b32 v26, v31, v30, s0
	v_cvt_pk_f32_fp8_sdwa v[30:31], v27 src0_sel:WORD_1
	v_perm_b32 v27, v33, v32, s0
	v_perm_b32 v32, v35, v34, s0
	v_perm_b32 v33, v31, v30, s0
	v_mfma_f32_4x4x4_16b_bf16 a[0:3], v[18:19], v[26:27], a[0:3] cbsz:4 abid:4
	v_cvt_pk_f32_fp8_e32 v[26:27], v28
	v_cvt_pk_f32_fp8_sdwa v[30:31], v28 src0_sel:WORD_1
	v_mfma_f32_4x4x4_16b_bf16 a[0:3], v[20:21], v[32:33], a[0:3] cbsz:4 abid:4
	;; [unrolled: 21-line block ×3, first 2 shown]
	v_cvt_pk_f32_fp8_e32 v[28:29], v25
	v_cvt_pk_f32_fp8_sdwa v[24:25], v25 src0_sel:WORD_1
	v_perm_b32 v22, v23, v22, s0
	v_perm_b32 v23, v27, v26, s0
	;; [unrolled: 1-line block ×4, first 2 shown]
	v_mfma_f32_4x4x4_16b_bf16 a[0:3], v[18:19], v[22:23], a[0:3] cbsz:4 abid:7
	s_load_dword s0, s[8:9], 0x0
	s_waitcnt lgkmcnt(0)
	v_mov_b32_e32 v18, s4
	v_mfma_f32_4x4x4_16b_bf16 a[0:3], v[20:21], v[26:27], a[0:3] cbsz:4 abid:7
	v_mov_b32_e32 v25, 0xff7fffff
	v_mul_f32_e32 v20, s0, v18
	s_nop 2
	v_accvgpr_read_b32 v23, a1
	v_accvgpr_read_b32 v22, a0
	v_pk_mul_f32 v[22:23], v[22:23], v[20:21] op_sel_hi:[1,0]
	v_accvgpr_read_b32 v19, a3
	v_accvgpr_read_b32 v18, a2
	v_pk_mul_f32 v[18:19], v[18:19], v[20:21] op_sel_hi:[1,0]
	v_cndmask_b32_e64 v20, 0, 1.0, vcc
	v_cmp_eq_u32_e32 vcc, 1, v39
	s_nop 0
	v_mfma_f32_4x4x1_16b_f32 a[0:3], v22, v20, 0
	v_cndmask_b32_e64 v20, 0, 1.0, vcc
	v_cmp_eq_u32_e32 vcc, 2, v39
	s_nop 0
	v_mfma_f32_4x4x1_16b_f32 a[0:3], v23, v20, a[0:3]
	;; [unrolled: 4-line block ×3, first 2 shown]
	v_cndmask_b32_e64 v18, 0, 1.0, vcc
	s_nop 1
	v_mfma_f32_4x4x1_16b_f32 a[0:3], v19, v18, a[0:3]
	v_and_b32_e32 v18, -4, v40
	v_subrev_u32_e32 v19, s3, v18
	v_add_u32_e32 v20, 1, v19
	v_cvt_f32_i32_e32 v20, v20
	v_add_u32_e32 v21, 2, v19
	v_cvt_f32_i32_e32 v21, v21
	v_accvgpr_read_b32 v22, a0
	v_fma_f32 v20, v41, v20, v22
	v_accvgpr_read_b32 v22, a1
	v_fma_f32 v21, v41, v21, v22
	v_add_u32_e32 v22, 3, v19
	v_cvt_f32_i32_e32 v22, v22
	v_add_u32_e32 v19, 4, v19
	v_max_f32_e32 v24, 0xff7fffff, v20
	v_cmp_gt_i32_e32 vcc, s3, v18
	v_cvt_f32_i32_e32 v19, v19
	v_accvgpr_read_b32 v23, a2
	v_cndmask_b32_e32 v24, v25, v24, vcc
	v_or_b32_e32 v25, 1, v18
	v_max_f32_e32 v26, v24, v21
	v_cmp_gt_i32_e64 s[0:1], s3, v25
	v_fma_f32 v22, v41, v22, v23
	v_or_b32_e32 v18, 2, v18
	v_cndmask_b32_e64 v24, v24, v26, s[0:1]
	v_accvgpr_read_b32 v23, a3
	v_max_f32_e32 v25, v24, v22
	v_cmp_gt_i32_e64 s[4:5], s3, v18
	v_fmac_f32_e32 v23, v41, v19
	v_lshlrev_b32_e32 v19, 2, v0
	v_cndmask_b32_e64 v18, v24, v25, s[4:5]
	v_or_b32_e32 v24, 3, v40
	v_max_f32_e32 v25, v18, v23
	v_cmp_gt_i32_e64 s[8:9], s3, v24
	v_and_or_b32 v19, v19, 48, v39
	s_nop 0
	v_cndmask_b32_e64 v18, v18, v25, s[8:9]
	;;#ASMSTART
	v_nop
 v_nop
 v_max_f32_dpp v18, v18, v18 row_ror:4
	;;#ASMEND
	v_lshlrev_b32_e32 v25, 2, v19
	;;#ASMSTART
	v_nop
 v_nop
 v_max_f32_dpp v18, v18, v18 row_ror:8
	;;#ASMEND
	ds_bpermute_b32 v18, v25, v18
	s_waitcnt lgkmcnt(0)
	;;#ASMSTART
	v_nop
 v_nop
 v_max_f32_dpp v18, v18, v18 row_ror:4
	;;#ASMEND
	s_nop 0
	;;#ASMSTART
	v_nop
 v_nop
 v_max_f32_dpp v24, v18, v18 row_ror:8
	;;#ASMEND
	s_nop 0
	v_sub_f32_e32 v18, v20, v24
	v_mul_f32_e32 v18, 0x3fb8aa3b, v18
	v_sub_f32_e32 v19, v21, v24
	v_exp_f32_e32 v18, v18
	v_mul_f32_e32 v19, 0x3fb8aa3b, v19
	v_sub_f32_e32 v21, v22, v24
	v_exp_f32_e32 v19, v19
	;; [unrolled: 3-line block ×3, first 2 shown]
	v_mul_f32_e32 v22, 0x3fb8aa3b, v22
	v_exp_f32_e32 v22, v22
	v_cndmask_b32_e32 v18, 0, v18, vcc
	v_add_f32_e32 v20, 0, v18
	v_cndmask_b32_e64 v19, 0, v19, s[0:1]
	v_add_f32_e32 v23, v20, v19
	v_cndmask_b32_e64 v20, 0, v21, s[4:5]
	;; [unrolled: 2-line block ×3, first 2 shown]
	v_add_f32_e32 v22, v23, v21
	;;#ASMSTART
	v_nop
 v_nop
 v_add_f32_dpp v22, v22, v22 row_ror:4
	;;#ASMEND
	v_cmp_gt_u32_e32 vcc, 4, v38
	;;#ASMSTART
	v_nop
 v_nop
 v_add_f32_dpp v22, v22, v22 row_ror:8
	;;#ASMEND
	ds_bpermute_b32 v22, v25, v22
	s_waitcnt lgkmcnt(0)
	;;#ASMSTART
	v_nop
 v_nop
 v_add_f32_dpp v22, v22, v22 row_ror:4
	;;#ASMEND
	s_nop 0
	;;#ASMSTART
	v_nop
 v_nop
 v_add_f32_dpp v22, v22, v22 row_ror:8
	;;#ASMEND
	s_and_saveexec_b64 s[0:1], vcc
	s_cbranch_execz .LBB1209_18
; %bb.17:
	v_mul_u32_u24_e32 v23, 20, v1
	v_lshl_add_u32 v23, v39, 2, v23
	v_add_u32_e32 v23, 0x800, v23
	ds_write2_b32 v23, v24, v22 offset0:128 offset1:148
.LBB1209_18:
	s_or_b64 exec, exec, s[0:1]
.LBB1209_19:
	s_or_b64 exec, exec, s[26:27]
	s_waitcnt lgkmcnt(0)
	s_barrier
	s_load_dword s0, s[24:25], 0x8
	v_lshlrev_b32_e32 v22, 2, v39
	v_add_u32_e32 v30, 0x800, v22
	ds_read2_b32 v[22:23], v30 offset0:128 offset1:133
	ds_read2_b32 v[26:27], v30 offset0:138 offset1:143
	s_mul_i32 s1, s2, s38
	s_waitcnt lgkmcnt(0)
	s_mul_i32 s1, s1, s0
	s_lshl_b32 s0, s1, 1
	s_mov_b32 s1, 0xff7fffff
	v_max3_f32 v25, v22, s1, v23
	v_max3_f32 v25, v25, v26, v27
	v_sub_f32_e32 v22, v22, v25
	v_mul_f32_e32 v22, 0x3fb8aa3b, v22
	ds_read2_b32 v[28:29], v30 offset0:148 offset1:153
	v_exp_f32_e32 v31, v22
	v_sub_f32_e32 v22, v23, v25
	v_sub_f32_e32 v26, v26, v25
	v_mul_f32_e32 v22, 0x3fb8aa3b, v22
	v_mul_f32_e32 v26, 0x3fb8aa3b, v26
	v_exp_f32_e32 v32, v22
	ds_read2_b32 v[22:23], v30 offset0:158 offset1:163
	v_exp_f32_e32 v30, v26
	v_sub_f32_e32 v26, v27, v25
	v_mul_f32_e32 v26, 0x3fb8aa3b, v26
	v_exp_f32_e32 v27, v26
	s_waitcnt lgkmcnt(1)
	v_fma_f32 v26, v31, v28, 0
	v_fmac_f32_e32 v26, v32, v29
	s_waitcnt lgkmcnt(0)
	v_fmac_f32_e32 v26, v30, v22
	v_fmac_f32_e32 v26, v27, v23
	v_cmp_gt_u32_e32 vcc, 2, v39
	s_and_saveexec_b64 s[2:3], vcc
	s_cbranch_execz .LBB1209_21
; %bb.20:
	s_mov_b32 s1, 0
	s_lshl_b64 s[4:5], s[0:1], 2
	s_add_u32 s12, s12, s4
	s_mov_b32 s21, s1
	s_addc_u32 s13, s13, s5
	s_lshl_b64 s[8:9], s[20:21], 2
	s_add_u32 s12, s12, s8
	s_addc_u32 s13, s13, s9
	s_add_u32 s1, s14, s4
	s_addc_u32 s5, s15, s5
	v_or_b32_e32 v22, s33, v39
	s_add_u32 s4, s1, s8
	v_mul_lo_u32 v22, s38, v22
	v_mov_b32_e32 v23, 0
	s_addc_u32 s5, s5, s9
	v_lshlrev_b64 v[22:23], 2, v[22:23]
	v_lshl_add_u64 v[28:29], s[12:13], 0, v[22:23]
	v_lshl_add_u64 v[22:23], s[4:5], 0, v[22:23]
	global_store_dword v[22:23], v25, off
	global_store_dword v[28:29], v26, off
.LBB1209_21:
	s_or_b64 exec, exec, s[2:3]
	v_mov_b32_e32 v22, 0
	v_mov_b32_e32 v23, 0
	s_and_saveexec_b64 s[2:3], s[6:7]
	s_cbranch_execz .LBB1209_23
; %bb.22:
	v_add_f32_e32 v22, 0x358637bd, v26
	v_div_scale_f32 v23, s[4:5], v22, v22, 1.0
	v_rcp_f32_e32 v26, v23
	v_div_scale_f32 v27, vcc, 1.0, v22, 1.0
	v_sub_f32_e32 v24, v24, v25
	v_fma_f32 v28, -v23, v26, 1.0
	v_fmac_f32_e32 v26, v28, v26
	v_mul_f32_e32 v28, v27, v26
	v_fma_f32 v29, -v23, v28, v27
	v_mul_f32_e32 v24, 0x3fb8aa3b, v24
	v_fmac_f32_e32 v28, v29, v26
	v_exp_f32_e32 v24, v24
	v_fma_f32 v23, -v23, v28, v27
	v_div_fmas_f32 v23, v23, v26, v28
	v_div_fixup_f32 v22, v23, v22, 1.0
	v_mul_f32_e32 v22, v24, v22
	v_pk_mul_f32 v[18:19], v[18:19], v[22:23] op_sel_hi:[1,0]
	v_pk_mul_f32 v[20:21], v[20:21], v[22:23] op_sel_hi:[1,0]
	v_bfe_u32 v22, v19, 16, 1
	v_bfe_u32 v23, v18, 16, 1
	s_movk_i32 s1, 0x7fff
	v_add3_u32 v18, v18, v23, s1
	v_add3_u32 v19, v19, v22, s1
	s_mov_b32 s5, 0x7060302
	v_perm_b32 v18, v19, v18, s5
	v_bfe_u32 v19, v21, 16, 1
	v_bfe_u32 v22, v20, 16, 1
	v_add3_u32 v22, v20, v22, s1
	v_add3_u32 v19, v21, v19, s1
	s_waitcnt vmcnt(2)
	v_cvt_pk_f32_fp8_e32 v[20:21], v14
	v_perm_b32 v19, v19, v22, s5
	v_cvt_pk_f32_fp8_sdwa v[22:23], v14 src0_sel:WORD_1
	v_cvt_pk_f32_fp8_e32 v[24:25], v15
	v_perm_b32 v14, v21, v20, s5
	v_cvt_pk_f32_fp8_sdwa v[20:21], v15 src0_sel:WORD_1
	v_perm_b32 v15, v23, v22, s5
	v_perm_b32 v22, v25, v24, s5
	s_load_dword s4, s[10:11], 0x0
	v_mfma_f32_4x4x4_16b_bf16 a[0:3], v[18:19], v[14:15], 0 cbsz:4
	v_perm_b32 v23, v21, v20, s5
	v_cvt_pk_f32_fp8_e32 v[14:15], v16
	v_cvt_pk_f32_fp8_sdwa v[20:21], v16 src0_sel:WORD_1
	v_mfma_f32_4x4x4_16b_bf16 a[0:3], v[18:19], v[22:23], a[0:3] cbsz:4 abid:1
	v_cvt_pk_f32_fp8_e32 v[22:23], v17
	v_cvt_pk_f32_fp8_sdwa v[16:17], v17 src0_sel:WORD_1
	v_perm_b32 v14, v15, v14, s5
	v_perm_b32 v15, v21, v20, s5
	;; [unrolled: 1-line block ×4, first 2 shown]
	v_mfma_f32_4x4x4_16b_bf16 a[0:3], v[18:19], v[14:15], a[0:3] cbsz:4 abid:2
	v_cvt_pk_f32_fp8_e32 v[14:15], v10
	v_cvt_pk_f32_fp8_sdwa v[16:17], v10 src0_sel:WORD_1
	v_mfma_f32_4x4x4_16b_bf16 a[0:3], v[18:19], v[20:21], a[0:3] cbsz:4 abid:3
	v_cvt_pk_f32_fp8_e32 v[20:21], v11
	v_perm_b32 v10, v15, v14, s5
	v_cvt_pk_f32_fp8_sdwa v[14:15], v11 src0_sel:WORD_1
	v_perm_b32 v11, v17, v16, s5
	v_perm_b32 v16, v21, v20, s5
	;; [unrolled: 1-line block ×3, first 2 shown]
	v_mfma_f32_4x4x4_16b_bf16 a[0:3], v[18:19], v[10:11], a[0:3] cbsz:4 abid:4
	v_cvt_pk_f32_fp8_e32 v[10:11], v12
	v_cvt_pk_f32_fp8_sdwa v[14:15], v12 src0_sel:WORD_1
	v_mfma_f32_4x4x4_16b_bf16 a[0:3], v[18:19], v[16:17], a[0:3] cbsz:4 abid:5
	v_cvt_pk_f32_fp8_e32 v[16:17], v13
	v_cvt_pk_f32_fp8_sdwa v[12:13], v13 src0_sel:WORD_1
	v_perm_b32 v10, v11, v10, s5
	v_perm_b32 v11, v15, v14, s5
	v_perm_b32 v14, v17, v16, s5
	v_perm_b32 v15, v13, v12, s5
	v_mfma_f32_4x4x4_16b_bf16 a[0:3], v[18:19], v[10:11], a[0:3] cbsz:4 abid:6
	s_waitcnt vmcnt(0)
	v_cvt_pk_f32_fp8_e32 v[10:11], v6
	v_cvt_pk_f32_fp8_sdwa v[12:13], v6 src0_sel:WORD_1
	v_mfma_f32_4x4x4_16b_bf16 a[0:3], v[18:19], v[14:15], a[0:3] cbsz:4 abid:7
	v_cvt_pk_f32_fp8_e32 v[14:15], v7
	v_perm_b32 v6, v11, v10, s5
	v_cvt_pk_f32_fp8_sdwa v[10:11], v7 src0_sel:WORD_1
	v_perm_b32 v7, v13, v12, s5
	v_perm_b32 v12, v15, v14, s5
	;; [unrolled: 1-line block ×3, first 2 shown]
	v_mfma_f32_4x4x4_16b_bf16 a[0:3], v[18:19], v[6:7], a[0:3] cbsz:4 abid:8
	v_cvt_pk_f32_fp8_e32 v[6:7], v8
	v_cvt_pk_f32_fp8_sdwa v[10:11], v8 src0_sel:WORD_1
	v_mfma_f32_4x4x4_16b_bf16 a[0:3], v[18:19], v[12:13], a[0:3] cbsz:4 abid:9
	v_cvt_pk_f32_fp8_e32 v[12:13], v9
	v_cvt_pk_f32_fp8_sdwa v[8:9], v9 src0_sel:WORD_1
	v_perm_b32 v6, v7, v6, s5
	v_perm_b32 v7, v11, v10, s5
	;; [unrolled: 1-line block ×4, first 2 shown]
	v_mfma_f32_4x4x4_16b_bf16 a[0:3], v[18:19], v[6:7], a[0:3] cbsz:4 abid:10
	v_cvt_pk_f32_fp8_e32 v[6:7], v2
	v_cvt_pk_f32_fp8_sdwa v[8:9], v2 src0_sel:WORD_1
	v_mfma_f32_4x4x4_16b_bf16 a[0:3], v[18:19], v[10:11], a[0:3] cbsz:4 abid:11
	v_cvt_pk_f32_fp8_e32 v[10:11], v3
	v_perm_b32 v2, v7, v6, s5
	v_cvt_pk_f32_fp8_sdwa v[6:7], v3 src0_sel:WORD_1
	v_perm_b32 v3, v9, v8, s5
	v_perm_b32 v8, v11, v10, s5
	v_perm_b32 v9, v7, v6, s5
	v_mfma_f32_4x4x4_16b_bf16 a[0:3], v[18:19], v[2:3], a[0:3] cbsz:4 abid:12
	v_cvt_pk_f32_fp8_e32 v[2:3], v4
	v_cvt_pk_f32_fp8_sdwa v[6:7], v4 src0_sel:WORD_1
	v_mfma_f32_4x4x4_16b_bf16 a[0:3], v[18:19], v[8:9], a[0:3] cbsz:4 abid:13
	v_cvt_pk_f32_fp8_e32 v[8:9], v5
	v_cvt_pk_f32_fp8_sdwa v[4:5], v5 src0_sel:WORD_1
	v_perm_b32 v2, v3, v2, s5
	v_perm_b32 v3, v7, v6, s5
	;; [unrolled: 1-line block ×4, first 2 shown]
	v_mfma_f32_4x4x4_16b_bf16 a[0:3], v[18:19], v[2:3], a[0:3] cbsz:4 abid:14
	s_nop 1
	v_mfma_f32_4x4x4_16b_bf16 a[0:3], v[18:19], v[6:7], a[0:3] cbsz:4 abid:15
	s_nop 4
	v_accvgpr_read_b32 v5, a1
	v_accvgpr_read_b32 v4, a0
	;; [unrolled: 1-line block ×4, first 2 shown]
	s_waitcnt lgkmcnt(0)
	v_pk_mul_f32 v[4:5], v[4:5], s[4:5] op_sel_hi:[1,0]
	v_pk_mul_f32 v[2:3], v[2:3], s[4:5] op_sel_hi:[1,0]
	v_bfe_u32 v6, v5, 16, 1
	v_bfe_u32 v7, v4, 16, 1
	v_add3_u32 v4, v4, v7, s1
	v_add3_u32 v5, v5, v6, s1
	v_bfe_u32 v6, v3, 16, 1
	v_bfe_u32 v7, v2, 16, 1
	v_add3_u32 v2, v2, v7, s1
	v_add3_u32 v3, v3, v6, s1
	v_perm_b32 v23, v3, v2, s5
	v_perm_b32 v22, v5, v4, s5
.LBB1209_23:
	s_or_b64 exec, exec, s[2:3]
	v_lshlrev_b32_e32 v1, 3, v1
	v_mad_u32_u24 v1, v38, 40, v1
	v_cmp_gt_u32_e32 vcc, 64, v0
	ds_write_b64 v1, v[22:23]
	s_waitcnt lgkmcnt(0)
	s_barrier
	s_and_saveexec_b64 s[2:3], vcc
	s_cbranch_execz .LBB1209_25
; %bb.24:
	v_mul_u32_u24_e32 v1, 40, v38
	s_waitcnt vmcnt(1)
	ds_read2_b64 v[2:5], v1 offset1:1
	s_waitcnt vmcnt(0)
	ds_read2_b64 v[6:9], v1 offset0:2 offset1:3
	s_mov_b32 s1, 0
	s_lshl_b32 s0, s0, 6
	s_lshl_b64 s[2:3], s[0:1], 1
	s_waitcnt lgkmcnt(1)
	v_and_b32_e32 v1, 0xffff0000, v2
	v_add_f32_e32 v1, 0, v1
	v_and_b32_e32 v3, 0xffff0000, v4
	v_and_b32_e32 v1, 0xffff0000, v1
	v_add_f32_e32 v1, v1, v3
	s_waitcnt lgkmcnt(0)
	v_and_b32_e32 v5, 0xffff0000, v6
	v_and_b32_e32 v1, 0xffff0000, v1
	v_add_f32_e32 v1, v1, v5
	v_and_b32_e32 v1, 0xffff0000, v1
	v_and_b32_e32 v3, 0xffff0000, v8
	v_add_f32_e32 v7, v1, v3
	v_lshlrev_b32_e32 v1, 16, v2
	s_add_u32 s2, s22, s2
	v_add_f32_e32 v1, 0, v1
	s_addc_u32 s3, s23, s3
	s_lshl_b32 s0, s20, 6
	v_and_b32_e32 v1, 0xffff0000, v1
	v_lshlrev_b32_e32 v2, 16, v4
	s_lshl_b64 s[0:1], s[0:1], 1
	v_add_f32_e32 v1, v1, v2
	s_add_u32 s0, s2, s0
	v_and_b32_e32 v1, 0xffff0000, v1
	v_lshlrev_b32_e32 v2, 16, v6
	s_addc_u32 s1, s3, s1
	s_lshl_b32 s2, s38, 6
	v_add_f32_e32 v1, v1, v2
	v_and_b32_e32 v1, 0xffff0000, v1
	v_lshlrev_b32_e32 v2, 16, v8
	s_mul_i32 s3, s2, s33
	v_add_f32_e32 v1, v1, v2
	v_or_b32_e32 v2, s3, v0
	v_mov_b32_e32 v3, 0
	s_add_i32 s3, s3, s2
	v_lshl_add_u64 v[4:5], v[2:3], 1, s[0:1]
	v_or_b32_e32 v2, s3, v0
	global_store_short_d16_hi v[4:5], v1, off
	v_lshl_add_u64 v[0:1], v[2:3], 1, s[0:1]
	global_store_short_d16_hi v[0:1], v7, off
.LBB1209_25:
	s_endpgm
	.section	.rodata,"a",@progbits
	.p2align	6, 0x0
	.amdhsa_kernel _Z38paged_attention_ll4mi_QKV_mfma4_kernelI14__hip_bfloat16hLN4vllm18Fp8KVCacheDataTypeE1ES0_Li32ELi64ELi256ELb1ELi2EEvPKT_PKT0_S8_ifPKiSA_SA_iPKfiiiPfSD_PS3_PT2_iSC_SC_
		.amdhsa_group_segment_fixed_size 2720
		.amdhsa_private_segment_fixed_size 0
		.amdhsa_kernarg_size 400
		.amdhsa_user_sgpr_count 2
		.amdhsa_user_sgpr_dispatch_ptr 0
		.amdhsa_user_sgpr_queue_ptr 0
		.amdhsa_user_sgpr_kernarg_segment_ptr 1
		.amdhsa_user_sgpr_dispatch_id 0
		.amdhsa_user_sgpr_kernarg_preload_length 0
		.amdhsa_user_sgpr_kernarg_preload_offset 0
		.amdhsa_user_sgpr_private_segment_size 0
		.amdhsa_uses_dynamic_stack 0
		.amdhsa_enable_private_segment 0
		.amdhsa_system_sgpr_workgroup_id_x 1
		.amdhsa_system_sgpr_workgroup_id_y 1
		.amdhsa_system_sgpr_workgroup_id_z 1
		.amdhsa_system_sgpr_workgroup_info 0
		.amdhsa_system_vgpr_workitem_id 0
		.amdhsa_next_free_vgpr 52
		.amdhsa_next_free_sgpr 44
		.amdhsa_accum_offset 48
		.amdhsa_reserve_vcc 1
		.amdhsa_float_round_mode_32 0
		.amdhsa_float_round_mode_16_64 0
		.amdhsa_float_denorm_mode_32 3
		.amdhsa_float_denorm_mode_16_64 3
		.amdhsa_dx10_clamp 1
		.amdhsa_ieee_mode 1
		.amdhsa_fp16_overflow 0
		.amdhsa_tg_split 0
		.amdhsa_exception_fp_ieee_invalid_op 0
		.amdhsa_exception_fp_denorm_src 0
		.amdhsa_exception_fp_ieee_div_zero 0
		.amdhsa_exception_fp_ieee_overflow 0
		.amdhsa_exception_fp_ieee_underflow 0
		.amdhsa_exception_fp_ieee_inexact 0
		.amdhsa_exception_int_div_zero 0
	.end_amdhsa_kernel
	.section	.text._Z38paged_attention_ll4mi_QKV_mfma4_kernelI14__hip_bfloat16hLN4vllm18Fp8KVCacheDataTypeE1ES0_Li32ELi64ELi256ELb1ELi2EEvPKT_PKT0_S8_ifPKiSA_SA_iPKfiiiPfSD_PS3_PT2_iSC_SC_,"axG",@progbits,_Z38paged_attention_ll4mi_QKV_mfma4_kernelI14__hip_bfloat16hLN4vllm18Fp8KVCacheDataTypeE1ES0_Li32ELi64ELi256ELb1ELi2EEvPKT_PKT0_S8_ifPKiSA_SA_iPKfiiiPfSD_PS3_PT2_iSC_SC_,comdat
.Lfunc_end1209:
	.size	_Z38paged_attention_ll4mi_QKV_mfma4_kernelI14__hip_bfloat16hLN4vllm18Fp8KVCacheDataTypeE1ES0_Li32ELi64ELi256ELb1ELi2EEvPKT_PKT0_S8_ifPKiSA_SA_iPKfiiiPfSD_PS3_PT2_iSC_SC_, .Lfunc_end1209-_Z38paged_attention_ll4mi_QKV_mfma4_kernelI14__hip_bfloat16hLN4vllm18Fp8KVCacheDataTypeE1ES0_Li32ELi64ELi256ELb1ELi2EEvPKT_PKT0_S8_ifPKiSA_SA_iPKfiiiPfSD_PS3_PT2_iSC_SC_
                                        ; -- End function
	.section	.AMDGPU.csdata,"",@progbits
; Kernel info:
; codeLenInByte = 4032
; NumSgprs: 50
; NumVgprs: 48
; NumAgprs: 4
; TotalNumVgprs: 52
; ScratchSize: 0
; MemoryBound: 0
; FloatMode: 240
; IeeeMode: 1
; LDSByteSize: 2720 bytes/workgroup (compile time only)
; SGPRBlocks: 6
; VGPRBlocks: 6
; NumSGPRsForWavesPerEU: 50
; NumVGPRsForWavesPerEU: 52
; AccumOffset: 48
; Occupancy: 8
; WaveLimiterHint : 1
; COMPUTE_PGM_RSRC2:SCRATCH_EN: 0
; COMPUTE_PGM_RSRC2:USER_SGPR: 2
; COMPUTE_PGM_RSRC2:TRAP_HANDLER: 0
; COMPUTE_PGM_RSRC2:TGID_X_EN: 1
; COMPUTE_PGM_RSRC2:TGID_Y_EN: 1
; COMPUTE_PGM_RSRC2:TGID_Z_EN: 1
; COMPUTE_PGM_RSRC2:TIDIG_COMP_CNT: 0
; COMPUTE_PGM_RSRC3_GFX90A:ACCUM_OFFSET: 11
; COMPUTE_PGM_RSRC3_GFX90A:TG_SPLIT: 0
	.section	.text._Z38paged_attention_ll4mi_QKV_mfma4_kernelI14__hip_bfloat16hLN4vllm18Fp8KVCacheDataTypeE1ES0_Li32ELi64ELi256ELb1ELi3EEvPKT_PKT0_S8_ifPKiSA_SA_iPKfiiiPfSD_PS3_PT2_iSC_SC_,"axG",@progbits,_Z38paged_attention_ll4mi_QKV_mfma4_kernelI14__hip_bfloat16hLN4vllm18Fp8KVCacheDataTypeE1ES0_Li32ELi64ELi256ELb1ELi3EEvPKT_PKT0_S8_ifPKiSA_SA_iPKfiiiPfSD_PS3_PT2_iSC_SC_,comdat
	.protected	_Z38paged_attention_ll4mi_QKV_mfma4_kernelI14__hip_bfloat16hLN4vllm18Fp8KVCacheDataTypeE1ES0_Li32ELi64ELi256ELb1ELi3EEvPKT_PKT0_S8_ifPKiSA_SA_iPKfiiiPfSD_PS3_PT2_iSC_SC_ ; -- Begin function _Z38paged_attention_ll4mi_QKV_mfma4_kernelI14__hip_bfloat16hLN4vllm18Fp8KVCacheDataTypeE1ES0_Li32ELi64ELi256ELb1ELi3EEvPKT_PKT0_S8_ifPKiSA_SA_iPKfiiiPfSD_PS3_PT2_iSC_SC_
	.globl	_Z38paged_attention_ll4mi_QKV_mfma4_kernelI14__hip_bfloat16hLN4vllm18Fp8KVCacheDataTypeE1ES0_Li32ELi64ELi256ELb1ELi3EEvPKT_PKT0_S8_ifPKiSA_SA_iPKfiiiPfSD_PS3_PT2_iSC_SC_
	.p2align	8
	.type	_Z38paged_attention_ll4mi_QKV_mfma4_kernelI14__hip_bfloat16hLN4vllm18Fp8KVCacheDataTypeE1ES0_Li32ELi64ELi256ELb1ELi3EEvPKT_PKT0_S8_ifPKiSA_SA_iPKfiiiPfSD_PS3_PT2_iSC_SC_,@function
_Z38paged_attention_ll4mi_QKV_mfma4_kernelI14__hip_bfloat16hLN4vllm18Fp8KVCacheDataTypeE1ES0_Li32ELi64ELi256ELb1ELi3EEvPKT_PKT0_S8_ifPKiSA_SA_iPKfiiiPfSD_PS3_PT2_iSC_SC_: ; @_Z38paged_attention_ll4mi_QKV_mfma4_kernelI14__hip_bfloat16hLN4vllm18Fp8KVCacheDataTypeE1ES0_Li32ELi64ELi256ELb1ELi3EEvPKT_PKT0_S8_ifPKiSA_SA_iPKfiiiPfSD_PS3_PT2_iSC_SC_
; %bb.0:
	s_load_dwordx2 s[16:17], s[0:1], 0x30
	s_mov_b32 s20, s3
	s_mov_b64 s[6:7], 0
	s_waitcnt lgkmcnt(0)
	s_cmp_lg_u64 s[16:17], 0
	s_cselect_b64 s[18:19], -1, 0
	s_and_b64 vcc, exec, s[18:19]
	s_cbranch_vccz .LBB1210_10
; %bb.1:
	s_add_i32 s8, s2, 1
	s_mov_b32 s9, 0
	s_lshl_b64 s[10:11], s[8:9], 2
	s_add_u32 s10, s16, s10
	s_mov_b32 s3, s9
	s_addc_u32 s11, s17, s11
	s_lshl_b64 s[8:9], s[2:3], 2
	s_add_u32 s8, s16, s8
	s_addc_u32 s9, s17, s9
	s_load_dword s5, s[10:11], 0x0
	s_load_dword s12, s[8:9], 0x0
	s_waitcnt lgkmcnt(0)
	s_sub_i32 s5, s5, s12
	s_cmp_eq_u32 s5, 1
	s_cselect_b64 s[8:9], -1, 0
	s_andn2_b64 vcc, exec, s[6:7]
	s_cbranch_vccnz .LBB1210_3
.LBB1210_2:
	s_mov_b32 s3, 0
	s_mov_b64 s[8:9], -1
.LBB1210_3:
	s_andn2_b64 vcc, exec, s[8:9]
	s_cbranch_vccnz .LBB1210_25
; %bb.4:
	s_load_dword s5, s[0:1], 0x9c
	s_load_dwordx2 s[6:7], s[0:1], 0x28
	s_add_u32 s24, s0, 0x90
	s_addc_u32 s25, s1, 0
	s_lshl_b64 s[28:29], s[2:3], 2
	s_waitcnt lgkmcnt(0)
	s_and_b32 s5, s5, 0xffff
	s_add_u32 s6, s6, s28
	s_addc_u32 s7, s7, s29
	s_load_dword s3, s[6:7], 0x0
	s_mul_i32 s5, s20, s5
	s_waitcnt lgkmcnt(0)
	s_cmp_ge_i32 s5, s3
	s_cbranch_scc1 .LBB1210_25
; %bb.5:
	v_and_b32_e32 v2, 0xc0, v0
	v_add_u32_e32 v4, s5, v2
	v_lshrrev_b32_e32 v1, 6, v0
	v_cmp_gt_i32_e64 s[6:7], s3, v4
	v_cmp_le_i32_e32 vcc, s3, v4
                                        ; implicit-def: $sgpr30
                                        ; implicit-def: $sgpr21
	s_and_saveexec_b64 s[8:9], vcc
	s_xor_b64 s[8:9], exec, s[8:9]
	s_cbranch_execz .LBB1210_7
; %bb.6:
	v_mul_u32_u24_e32 v2, 20, v1
	v_or_b32_e32 v2, 0xa00, v2
	v_mov_b32_e32 v3, 0xa50
	v_mov_b32_e32 v4, 0xff7fffff
	v_mad_u32_u24 v3, v1, 20, v3
	ds_write2_b32 v2, v4, v4 offset1:1
	v_mov_b32_e32 v2, 0
	ds_write2_b32 v3, v2, v2 offset1:1
	v_mov_b32_e32 v3, 0xa08
	s_mov_b32 s21, 0xff7fffff
	s_mov_b32 s30, 0
	v_mad_u32_u24 v3, v1, 20, v3
	v_mov_b32_e32 v5, 0xa58
	v_mad_u32_u24 v5, v1, 20, v5
	ds_write2_b32 v3, v4, v4 offset1:1
	ds_write2_b32 v5, v2, v2 offset1:1
                                        ; implicit-def: $vgpr4
.LBB1210_7:
	s_or_saveexec_b64 s[26:27], s[8:9]
	s_load_dwordx2 s[22:23], s[0:1], 0x68
	s_load_dwordx4 s[12:15], s[0:1], 0x58
	s_load_dword s38, s[24:25], 0x4
	s_load_dwordx4 s[8:11], s[0:1], 0x80
	v_and_b32_e32 v32, 63, v0
	v_and_b32_e32 v33, 3, v0
	s_mul_i32 s33, s4, 3
	v_mov_b32_e32 v21, s30
	v_mov_b32_e32 v24, s21
	;; [unrolled: 1-line block ×5, first 2 shown]
                                        ; implicit-def: $vgpr6_vgpr7
                                        ; implicit-def: $vgpr2_vgpr3
                                        ; implicit-def: $vgpr14_vgpr15
                                        ; implicit-def: $vgpr10_vgpr11
	s_xor_b64 exec, exec, s[26:27]
	s_cbranch_execz .LBB1210_19
; %bb.8:
	s_load_dwordx2 s[30:31], s[0:1], 0x20
	s_load_dword s21, s[0:1], 0x38
	s_add_i32 s34, s3, 31
	s_ashr_i32 s35, s34, 31
	s_lshr_b32 s35, s35, 27
	v_add_u32_e32 v34, s5, v0
	s_add_i32 s34, s34, s35
	v_ashrrev_i32_e32 v2, 31, v34
	s_ashr_i32 s34, s34, 5
	v_lshrrev_b32_e32 v2, 27, v2
	s_add_i32 s36, s34, -1
	s_waitcnt lgkmcnt(0)
	s_mul_i32 s34, s2, s21
	s_mov_b32 s35, 0
	v_add_u32_e32 v2, v34, v2
	s_lshl_b64 s[34:35], s[34:35], 2
	v_ashrrev_i32_e32 v2, 5, v2
	v_mov_b32_e32 v3, s36
	v_cmp_gt_i32_e32 vcc, s3, v34
	s_add_u32 s30, s30, s34
	s_addc_u32 s31, s31, s35
	v_cndmask_b32_e32 v2, v3, v2, vcc
	v_ashrrev_i32_e32 v3, 31, v2
	v_lshl_add_u64 v[6:7], v[2:3], 2, s[30:31]
	v_ashrrev_i32_e32 v2, 31, v4
	v_lshrrev_b32_e32 v2, 27, v2
	v_add_u32_e32 v2, v4, v2
	v_ashrrev_i32_e32 v4, 5, v2
	v_min_i32_e32 v2, s36, v4
	v_ashrrev_i32_e32 v3, 31, v2
	v_lshl_add_u64 v[8:9], v[2:3], 2, s[30:31]
	v_add_u32_e32 v2, 1, v4
	v_min_i32_e32 v2, s36, v2
	v_ashrrev_i32_e32 v3, 31, v2
	v_lshl_add_u64 v[10:11], v[2:3], 2, s[30:31]
	global_load_dword v2, v[6:7], off
	global_load_dword v4, v[8:9], off
	;; [unrolled: 1-line block ×3, first 2 shown]
	s_load_dwordx2 s[30:31], s[0:1], 0x8
	s_andn2_b64 vcc, exec, s[18:19]
	s_cbranch_vccnz .LBB1210_11
; %bb.9:
	s_add_u32 s16, s16, s28
	s_addc_u32 s17, s17, s29
	s_load_dword s5, s[16:17], 0x0
	s_branch .LBB1210_12
.LBB1210_10:
	s_mov_b64 s[8:9], 0
	s_branch .LBB1210_2
.LBB1210_11:
	s_mov_b32 s5, s2
.LBB1210_12:
	s_load_dwordx2 s[28:29], s[0:1], 0x10
	s_load_dwordx4 s[16:19], s[0:1], 0x48
	v_cmp_ne_u32_e32 vcc, 3, v33
	s_mov_b32 s37, 0
	v_mov_b32_e32 v3, 0
	v_mov_b32_e32 v10, 0
	;; [unrolled: 1-line block ×5, first 2 shown]
	s_and_saveexec_b64 s[34:35], vcc
	s_cbranch_execz .LBB1210_14
; %bb.13:
	s_load_dwordx2 s[40:41], s[0:1], 0x0
	s_waitcnt lgkmcnt(0)
	s_ashr_i32 s19, s16, 31
	s_mul_hi_u32 s21, s5, s16
	s_mul_i32 s19, s5, s19
	s_add_i32 s43, s21, s19
	s_mul_i32 s42, s5, s16
	s_lshl_b64 s[42:43], s[42:43], 1
	s_add_u32 s5, s40, s42
	s_mul_i32 s36, s4, 0xc0
	s_addc_u32 s16, s41, s43
	s_lshl_b64 s[36:37], s[36:37], 1
	s_add_u32 s36, s5, s36
	v_lshlrev_b32_e32 v5, 3, v33
	v_lshrrev_b32_e32 v6, 2, v32
	s_addc_u32 s37, s16, s37
	v_add_lshl_u32 v5, v5, v6, 4
	global_load_dwordx4 v[10:13], v5, s[36:37]
.LBB1210_14:
	s_or_b64 exec, exec, s[34:35]
	s_waitcnt lgkmcnt(0)
	s_mul_i32 s16, s4, s18
	s_add_u32 s4, s16, s30
	s_addc_u32 s5, 0, s31
	v_mov_b64_e32 v[6:7], s[4:5]
	s_waitcnt vmcnt(2)
	v_mad_i64_i32 v[6:7], s[4:5], v2, s17, v[6:7]
	v_lshlrev_b32_e32 v2, 4, v0
	v_and_b32_e32 v2, 0x1f0, v2
	v_lshl_add_u64 v[6:7], v[6:7], 0, v[2:3]
	global_load_dwordx4 v[26:29], v[6:7], off
	global_load_dwordx4 v[22:25], v[6:7], off offset:512
	global_load_dwordx4 v[18:21], v[6:7], off offset:1024
	;; [unrolled: 1-line block ×3, first 2 shown]
	v_mov_b32_e32 v31, 1.0
	v_mov_b32_e32 v30, 0
	s_and_saveexec_b64 s[4:5], vcc
	s_cbranch_execz .LBB1210_16
; %bb.15:
	s_load_dwordx2 s[18:19], s[0:1], 0x40
	v_add_u32_e32 v30, s33, v33
	v_mov_b32_e32 v31, 0
	s_waitcnt lgkmcnt(0)
	v_lshl_add_u64 v[6:7], v[30:31], 2, s[18:19]
	global_load_dword v30, v[6:7], off
.LBB1210_16:
	s_or_b64 exec, exec, s[4:5]
	s_load_dword s4, s[0:1], 0x1c
	s_add_u32 s0, s28, s16
	s_addc_u32 s1, s29, 0
	v_lshlrev_b32_e32 v2, 5, v32
	v_lshl_add_u64 v[36:37], s[0:1], 0, v[2:3]
	s_waitcnt vmcnt(5)
	v_mul_hi_i32 v2, v4, s17
	v_ashrrev_i32_e32 v2, 31, v2
	v_lshrrev_b32_e32 v38, 29, v2
	v_mov_b32_e32 v39, 0
	v_mad_i64_i32 v[2:3], s[0:1], v4, s17, v[38:39]
	s_waitcnt vmcnt(4)
	v_mul_hi_i32 v38, v35, s17
	v_ashrrev_i32_e32 v38, 31, v38
	v_lshrrev_b32_e32 v38, 29, v38
	v_mad_i64_i32 v[38:39], s[0:1], v35, s17, v[38:39]
	v_and_b32_e32 v2, -8, v2
	v_and_b32_e32 v38, -8, v38
	v_lshl_add_u64 v[40:41], v[36:37], 0, v[2:3]
	v_lshl_add_u64 v[36:37], v[36:37], 0, v[38:39]
	s_waitcnt vmcnt(3)
	v_cvt_pk_f32_fp8_e32 v[38:39], v26
	global_load_dwordx4 v[2:5], v[40:41], off offset:16
	global_load_dwordx4 v[6:9], v[40:41], off
	v_cvt_pk_f32_fp8_sdwa v[40:41], v26 src0_sel:WORD_1
	s_mov_b32 s0, 0x7060302
	v_perm_b32 v26, v39, v38, s0
	v_cvt_pk_f32_fp8_sdwa v[38:39], v27 src0_sel:WORD_1
	v_cvt_pk_f32_fp8_e32 v[42:43], v27
	v_perm_b32 v27, v41, v40, s0
	v_cmp_eq_u32_e32 vcc, 0, v33
	v_perm_b32 v41, v39, v38, s0
	v_mfma_f32_4x4x4_16b_bf16 a[0:3], v[10:11], v[26:27], 0 cbsz:4
	v_cvt_pk_f32_fp8_e32 v[26:27], v28
	v_cvt_pk_f32_fp8_sdwa v[38:39], v28 src0_sel:WORD_1
	v_perm_b32 v40, v43, v42, s0
	v_perm_b32 v26, v27, v26, s0
	s_nop 0
	v_mfma_f32_4x4x4_16b_bf16 a[0:3], v[12:13], v[40:41], a[0:3] cbsz:4
	v_cvt_pk_f32_fp8_e32 v[40:41], v29
	v_cvt_pk_f32_fp8_sdwa v[28:29], v29 src0_sel:WORD_1
	v_perm_b32 v27, v39, v38, s0
	v_perm_b32 v38, v41, v40, s0
	s_nop 0
	v_mfma_f32_4x4x4_16b_bf16 a[0:3], v[10:11], v[26:27], a[0:3] cbsz:4 abid:1
	s_waitcnt vmcnt(4)
	v_cvt_pk_f32_fp8_e32 v[26:27], v22
	v_perm_b32 v39, v29, v28, s0
	v_cvt_pk_f32_fp8_sdwa v[28:29], v22 src0_sel:WORD_1
	v_perm_b32 v22, v27, v26, s0
	v_cvt_pk_f32_fp8_sdwa v[26:27], v23 src0_sel:WORD_1
	v_mfma_f32_4x4x4_16b_bf16 a[0:3], v[12:13], v[38:39], a[0:3] cbsz:4 abid:1
	v_cvt_pk_f32_fp8_e32 v[38:39], v23
	v_perm_b32 v23, v29, v28, s0
	v_perm_b32 v29, v27, v26, s0
	v_cvt_pk_f32_fp8_sdwa v[26:27], v24 src0_sel:WORD_1
	v_mfma_f32_4x4x4_16b_bf16 a[0:3], v[10:11], v[22:23], a[0:3] cbsz:4 abid:2
	v_cvt_pk_f32_fp8_e32 v[22:23], v24
	v_perm_b32 v28, v39, v38, s0
	v_perm_b32 v22, v23, v22, s0
	s_nop 0
	v_mfma_f32_4x4x4_16b_bf16 a[0:3], v[12:13], v[28:29], a[0:3] cbsz:4 abid:2
	v_cvt_pk_f32_fp8_e32 v[28:29], v25
	v_cvt_pk_f32_fp8_sdwa v[24:25], v25 src0_sel:WORD_1
	v_perm_b32 v23, v27, v26, s0
	v_perm_b32 v26, v29, v28, s0
	s_nop 0
	v_mfma_f32_4x4x4_16b_bf16 a[0:3], v[10:11], v[22:23], a[0:3] cbsz:4 abid:3
	s_waitcnt vmcnt(3)
	v_cvt_pk_f32_fp8_e32 v[22:23], v18
	v_perm_b32 v27, v25, v24, s0
	v_cvt_pk_f32_fp8_sdwa v[24:25], v18 src0_sel:WORD_1
	v_perm_b32 v18, v23, v22, s0
	v_cvt_pk_f32_fp8_sdwa v[22:23], v19 src0_sel:WORD_1
	v_mfma_f32_4x4x4_16b_bf16 a[0:3], v[12:13], v[26:27], a[0:3] cbsz:4 abid:3
	v_cvt_pk_f32_fp8_e32 v[26:27], v19
	v_perm_b32 v19, v25, v24, s0
	v_perm_b32 v25, v23, v22, s0
	v_cvt_pk_f32_fp8_sdwa v[22:23], v20 src0_sel:WORD_1
	v_mfma_f32_4x4x4_16b_bf16 a[0:3], v[10:11], v[18:19], a[0:3] cbsz:4 abid:4
	v_cvt_pk_f32_fp8_e32 v[18:19], v20
	v_perm_b32 v24, v27, v26, s0
	v_perm_b32 v18, v19, v18, s0
	s_nop 0
	v_mfma_f32_4x4x4_16b_bf16 a[0:3], v[12:13], v[24:25], a[0:3] cbsz:4 abid:4
	v_cvt_pk_f32_fp8_e32 v[24:25], v21
	v_cvt_pk_f32_fp8_sdwa v[20:21], v21 src0_sel:WORD_1
	v_perm_b32 v19, v23, v22, s0
	v_perm_b32 v22, v25, v24, s0
	s_nop 0
	v_mfma_f32_4x4x4_16b_bf16 a[0:3], v[10:11], v[18:19], a[0:3] cbsz:4 abid:5
	s_waitcnt vmcnt(2)
	v_cvt_pk_f32_fp8_e32 v[18:19], v14
	v_perm_b32 v23, v21, v20, s0
	v_cvt_pk_f32_fp8_sdwa v[20:21], v14 src0_sel:WORD_1
	v_mov_b32_e32 v25, 0xff7fffff
	v_mfma_f32_4x4x4_16b_bf16 a[0:3], v[12:13], v[22:23], a[0:3] cbsz:4 abid:5
	v_cvt_pk_f32_fp8_e32 v[22:23], v15
	v_perm_b32 v14, v19, v18, s0
	v_cvt_pk_f32_fp8_sdwa v[18:19], v15 src0_sel:WORD_1
	v_perm_b32 v15, v21, v20, s0
	v_perm_b32 v20, v23, v22, s0
	;; [unrolled: 1-line block ×3, first 2 shown]
	v_mfma_f32_4x4x4_16b_bf16 a[0:3], v[10:11], v[14:15], a[0:3] cbsz:4 abid:6
	v_cvt_pk_f32_fp8_e32 v[14:15], v16
	v_cvt_pk_f32_fp8_sdwa v[18:19], v16 src0_sel:WORD_1
	v_mfma_f32_4x4x4_16b_bf16 a[0:3], v[12:13], v[20:21], a[0:3] cbsz:4 abid:6
	v_cvt_pk_f32_fp8_e32 v[20:21], v17
	v_cvt_pk_f32_fp8_sdwa v[16:17], v17 src0_sel:WORD_1
	v_perm_b32 v14, v15, v14, s0
	v_perm_b32 v15, v19, v18, s0
	;; [unrolled: 1-line block ×4, first 2 shown]
	v_mfma_f32_4x4x4_16b_bf16 a[0:3], v[10:11], v[14:15], a[0:3] cbsz:4 abid:7
	s_load_dword s0, s[8:9], 0x0
	s_waitcnt lgkmcnt(0)
	v_mov_b32_e32 v10, s4
	v_mfma_f32_4x4x4_16b_bf16 a[0:3], v[12:13], v[18:19], a[0:3] cbsz:4 abid:7
	v_mul_f32_e32 v12, s0, v10
	s_nop 3
	v_accvgpr_read_b32 v15, a1
	v_accvgpr_read_b32 v14, a0
	v_pk_mul_f32 v[14:15], v[14:15], v[12:13] op_sel_hi:[1,0]
	v_accvgpr_read_b32 v11, a3
	v_accvgpr_read_b32 v10, a2
	v_pk_mul_f32 v[18:19], v[10:11], v[12:13] op_sel_hi:[1,0]
	v_cndmask_b32_e64 v10, 0, 1.0, vcc
	v_cmp_eq_u32_e32 vcc, 1, v33
	s_nop 0
	v_mfma_f32_4x4x1_16b_f32 a[0:3], v14, v10, 0
	v_cndmask_b32_e64 v10, 0, 1.0, vcc
	v_cmp_eq_u32_e32 vcc, 2, v33
	s_nop 0
	v_mfma_f32_4x4x1_16b_f32 a[0:3], v15, v10, a[0:3]
	v_cndmask_b32_e64 v10, 0, 1.0, vcc
	s_nop 1
	v_mfma_f32_4x4x1_16b_f32 a[0:3], v18, v10, a[0:3]
	global_load_dwordx4 v[10:13], v[36:37], off offset:16
	global_load_dwordx4 v[14:17], v[36:37], off
	v_and_b32_e32 v18, -4, v34
	v_mfma_f32_4x4x1_16b_f32 a[0:3], v19, v31, a[0:3]
	v_subrev_u32_e32 v19, s3, v18
	v_add_u32_e32 v20, 1, v19
	v_cvt_f32_i32_e32 v20, v20
	v_add_u32_e32 v21, 2, v19
	v_cvt_f32_i32_e32 v21, v21
	v_accvgpr_read_b32 v22, a0
	v_fma_f32 v20, v30, v20, v22
	v_accvgpr_read_b32 v22, a1
	v_fma_f32 v21, v30, v21, v22
	v_add_u32_e32 v22, 3, v19
	v_cvt_f32_i32_e32 v22, v22
	v_add_u32_e32 v19, 4, v19
	v_max_f32_e32 v24, 0xff7fffff, v20
	v_cmp_gt_i32_e32 vcc, s3, v18
	v_cvt_f32_i32_e32 v19, v19
	v_accvgpr_read_b32 v23, a2
	v_cndmask_b32_e32 v24, v25, v24, vcc
	v_or_b32_e32 v25, 1, v18
	v_max_f32_e32 v26, v24, v21
	v_cmp_gt_i32_e64 s[0:1], s3, v25
	v_fma_f32 v22, v30, v22, v23
	v_or_b32_e32 v18, 2, v18
	v_cndmask_b32_e64 v24, v24, v26, s[0:1]
	v_accvgpr_read_b32 v23, a3
	v_max_f32_e32 v25, v24, v22
	v_cmp_gt_i32_e64 s[4:5], s3, v18
	v_fmac_f32_e32 v23, v30, v19
	v_lshlrev_b32_e32 v19, 2, v0
	v_cndmask_b32_e64 v18, v24, v25, s[4:5]
	v_or_b32_e32 v24, 3, v34
	v_max_f32_e32 v25, v18, v23
	v_cmp_gt_i32_e64 s[8:9], s3, v24
	v_and_or_b32 v19, v19, 48, v33
	s_nop 0
	v_cndmask_b32_e64 v18, v18, v25, s[8:9]
	;;#ASMSTART
	v_nop
 v_nop
 v_max_f32_dpp v18, v18, v18 row_ror:4
	;;#ASMEND
	v_lshlrev_b32_e32 v25, 2, v19
	;;#ASMSTART
	v_nop
 v_nop
 v_max_f32_dpp v18, v18, v18 row_ror:8
	;;#ASMEND
	ds_bpermute_b32 v18, v25, v18
	s_waitcnt lgkmcnt(0)
	;;#ASMSTART
	v_nop
 v_nop
 v_max_f32_dpp v18, v18, v18 row_ror:4
	;;#ASMEND
	s_nop 0
	;;#ASMSTART
	v_nop
 v_nop
 v_max_f32_dpp v24, v18, v18 row_ror:8
	;;#ASMEND
	s_nop 0
	v_sub_f32_e32 v18, v20, v24
	v_mul_f32_e32 v18, 0x3fb8aa3b, v18
	v_sub_f32_e32 v19, v21, v24
	v_exp_f32_e32 v18, v18
	v_mul_f32_e32 v19, 0x3fb8aa3b, v19
	v_sub_f32_e32 v21, v22, v24
	v_exp_f32_e32 v19, v19
	;; [unrolled: 3-line block ×3, first 2 shown]
	v_mul_f32_e32 v22, 0x3fb8aa3b, v22
	v_exp_f32_e32 v22, v22
	v_cndmask_b32_e32 v18, 0, v18, vcc
	v_add_f32_e32 v20, 0, v18
	v_cndmask_b32_e64 v19, 0, v19, s[0:1]
	v_add_f32_e32 v23, v20, v19
	v_cndmask_b32_e64 v20, 0, v21, s[4:5]
	;; [unrolled: 2-line block ×3, first 2 shown]
	v_add_f32_e32 v22, v23, v21
	;;#ASMSTART
	v_nop
 v_nop
 v_add_f32_dpp v22, v22, v22 row_ror:4
	;;#ASMEND
	v_cmp_gt_u32_e32 vcc, 4, v32
	;;#ASMSTART
	v_nop
 v_nop
 v_add_f32_dpp v22, v22, v22 row_ror:8
	;;#ASMEND
	ds_bpermute_b32 v22, v25, v22
	s_waitcnt lgkmcnt(0)
	;;#ASMSTART
	v_nop
 v_nop
 v_add_f32_dpp v22, v22, v22 row_ror:4
	;;#ASMEND
	s_nop 0
	;;#ASMSTART
	v_nop
 v_nop
 v_add_f32_dpp v22, v22, v22 row_ror:8
	;;#ASMEND
	s_and_saveexec_b64 s[0:1], vcc
	s_cbranch_execz .LBB1210_18
; %bb.17:
	v_mul_u32_u24_e32 v23, 20, v1
	v_lshl_add_u32 v23, v33, 2, v23
	v_add_u32_e32 v23, 0x800, v23
	ds_write2_b32 v23, v24, v22 offset0:128 offset1:148
.LBB1210_18:
	s_or_b64 exec, exec, s[0:1]
.LBB1210_19:
	s_or_b64 exec, exec, s[26:27]
	s_waitcnt lgkmcnt(0)
	s_barrier
	s_load_dword s0, s[24:25], 0x8
	v_lshlrev_b32_e32 v22, 2, v33
	v_add_u32_e32 v30, 0x800, v22
	ds_read2_b32 v[22:23], v30 offset0:128 offset1:133
	ds_read2_b32 v[26:27], v30 offset0:138 offset1:143
	s_mul_i32 s1, s2, s38
	s_waitcnt lgkmcnt(0)
	s_mul_i32 s0, s1, s0
	s_mov_b32 s1, 0xff7fffff
	v_max3_f32 v25, v22, s1, v23
	v_max3_f32 v25, v25, v26, v27
	v_sub_f32_e32 v22, v22, v25
	v_mul_f32_e32 v22, 0x3fb8aa3b, v22
	ds_read2_b32 v[28:29], v30 offset0:148 offset1:153
	v_exp_f32_e32 v31, v22
	v_sub_f32_e32 v22, v23, v25
	v_sub_f32_e32 v26, v26, v25
	v_mul_f32_e32 v22, 0x3fb8aa3b, v22
	v_mul_f32_e32 v26, 0x3fb8aa3b, v26
	v_exp_f32_e32 v34, v22
	ds_read2_b32 v[22:23], v30 offset0:158 offset1:163
	v_exp_f32_e32 v30, v26
	v_sub_f32_e32 v26, v27, v25
	v_mul_f32_e32 v26, 0x3fb8aa3b, v26
	v_exp_f32_e32 v27, v26
	s_waitcnt lgkmcnt(1)
	v_fma_f32 v26, v31, v28, 0
	v_fmac_f32_e32 v26, v34, v29
	s_waitcnt lgkmcnt(0)
	v_fmac_f32_e32 v26, v30, v22
	s_mul_i32 s0, s0, 3
	v_fmac_f32_e32 v26, v27, v23
	v_cmp_ne_u32_e32 vcc, 3, v33
	s_and_saveexec_b64 s[2:3], vcc
	s_cbranch_execz .LBB1210_21
; %bb.20:
	s_mov_b32 s1, 0
	s_lshl_b64 s[4:5], s[0:1], 2
	s_add_u32 s12, s12, s4
	s_mov_b32 s21, s1
	s_addc_u32 s13, s13, s5
	s_lshl_b64 s[8:9], s[20:21], 2
	s_add_u32 s12, s12, s8
	s_addc_u32 s13, s13, s9
	s_add_u32 s1, s14, s4
	s_addc_u32 s5, s15, s5
	v_add_u32_e32 v22, s33, v33
	s_add_u32 s4, s1, s8
	v_mul_lo_u32 v22, s38, v22
	v_mov_b32_e32 v23, 0
	s_addc_u32 s5, s5, s9
	v_lshlrev_b64 v[22:23], 2, v[22:23]
	v_lshl_add_u64 v[28:29], s[12:13], 0, v[22:23]
	v_lshl_add_u64 v[22:23], s[4:5], 0, v[22:23]
	global_store_dword v[22:23], v25, off
	global_store_dword v[28:29], v26, off
.LBB1210_21:
	s_or_b64 exec, exec, s[2:3]
	v_mov_b32_e32 v22, 0
	v_mov_b32_e32 v23, 0
	s_and_saveexec_b64 s[2:3], s[6:7]
	s_cbranch_execz .LBB1210_23
; %bb.22:
	v_add_f32_e32 v22, 0x358637bd, v26
	v_div_scale_f32 v23, s[4:5], v22, v22, 1.0
	v_rcp_f32_e32 v26, v23
	v_div_scale_f32 v27, vcc, 1.0, v22, 1.0
	v_sub_f32_e32 v24, v24, v25
	v_fma_f32 v28, -v23, v26, 1.0
	v_fmac_f32_e32 v26, v28, v26
	v_mul_f32_e32 v28, v27, v26
	v_fma_f32 v29, -v23, v28, v27
	v_mul_f32_e32 v24, 0x3fb8aa3b, v24
	v_fmac_f32_e32 v28, v29, v26
	v_exp_f32_e32 v24, v24
	v_fma_f32 v23, -v23, v28, v27
	v_div_fmas_f32 v23, v23, v26, v28
	v_div_fixup_f32 v22, v23, v22, 1.0
	v_mul_f32_e32 v22, v24, v22
	v_pk_mul_f32 v[18:19], v[18:19], v[22:23] op_sel_hi:[1,0]
	v_pk_mul_f32 v[20:21], v[20:21], v[22:23] op_sel_hi:[1,0]
	v_bfe_u32 v22, v19, 16, 1
	v_bfe_u32 v23, v18, 16, 1
	s_movk_i32 s1, 0x7fff
	v_add3_u32 v18, v18, v23, s1
	v_add3_u32 v19, v19, v22, s1
	s_mov_b32 s5, 0x7060302
	v_perm_b32 v18, v19, v18, s5
	v_bfe_u32 v19, v21, 16, 1
	v_bfe_u32 v22, v20, 16, 1
	v_add3_u32 v22, v20, v22, s1
	v_add3_u32 v19, v21, v19, s1
	s_waitcnt vmcnt(2)
	v_cvt_pk_f32_fp8_e32 v[20:21], v6
	v_perm_b32 v19, v19, v22, s5
	v_cvt_pk_f32_fp8_sdwa v[22:23], v6 src0_sel:WORD_1
	v_cvt_pk_f32_fp8_e32 v[24:25], v7
	v_perm_b32 v6, v21, v20, s5
	v_cvt_pk_f32_fp8_sdwa v[20:21], v7 src0_sel:WORD_1
	v_perm_b32 v7, v23, v22, s5
	v_perm_b32 v22, v25, v24, s5
	s_load_dword s4, s[10:11], 0x0
	v_mfma_f32_4x4x4_16b_bf16 a[0:3], v[18:19], v[6:7], 0 cbsz:4
	v_perm_b32 v23, v21, v20, s5
	v_cvt_pk_f32_fp8_e32 v[6:7], v8
	v_cvt_pk_f32_fp8_sdwa v[20:21], v8 src0_sel:WORD_1
	v_mfma_f32_4x4x4_16b_bf16 a[0:3], v[18:19], v[22:23], a[0:3] cbsz:4 abid:1
	v_cvt_pk_f32_fp8_e32 v[22:23], v9
	v_cvt_pk_f32_fp8_sdwa v[8:9], v9 src0_sel:WORD_1
	v_perm_b32 v6, v7, v6, s5
	v_perm_b32 v7, v21, v20, s5
	;; [unrolled: 1-line block ×4, first 2 shown]
	v_mfma_f32_4x4x4_16b_bf16 a[0:3], v[18:19], v[6:7], a[0:3] cbsz:4 abid:2
	v_cvt_pk_f32_fp8_e32 v[6:7], v2
	v_cvt_pk_f32_fp8_sdwa v[8:9], v2 src0_sel:WORD_1
	v_mfma_f32_4x4x4_16b_bf16 a[0:3], v[18:19], v[20:21], a[0:3] cbsz:4 abid:3
	v_cvt_pk_f32_fp8_e32 v[20:21], v3
	v_perm_b32 v2, v7, v6, s5
	v_cvt_pk_f32_fp8_sdwa v[6:7], v3 src0_sel:WORD_1
	v_perm_b32 v3, v9, v8, s5
	v_perm_b32 v8, v21, v20, s5
	;; [unrolled: 1-line block ×3, first 2 shown]
	v_mfma_f32_4x4x4_16b_bf16 a[0:3], v[18:19], v[2:3], a[0:3] cbsz:4 abid:4
	v_cvt_pk_f32_fp8_e32 v[2:3], v4
	v_cvt_pk_f32_fp8_sdwa v[6:7], v4 src0_sel:WORD_1
	v_mfma_f32_4x4x4_16b_bf16 a[0:3], v[18:19], v[8:9], a[0:3] cbsz:4 abid:5
	v_cvt_pk_f32_fp8_e32 v[8:9], v5
	v_cvt_pk_f32_fp8_sdwa v[4:5], v5 src0_sel:WORD_1
	v_perm_b32 v2, v3, v2, s5
	v_perm_b32 v3, v7, v6, s5
	;; [unrolled: 1-line block ×4, first 2 shown]
	v_mfma_f32_4x4x4_16b_bf16 a[0:3], v[18:19], v[2:3], a[0:3] cbsz:4 abid:6
	s_waitcnt vmcnt(0)
	v_cvt_pk_f32_fp8_e32 v[2:3], v14
	v_cvt_pk_f32_fp8_sdwa v[4:5], v14 src0_sel:WORD_1
	v_mfma_f32_4x4x4_16b_bf16 a[0:3], v[18:19], v[6:7], a[0:3] cbsz:4 abid:7
	v_cvt_pk_f32_fp8_e32 v[6:7], v15
	v_cvt_pk_f32_fp8_sdwa v[8:9], v15 src0_sel:WORD_1
	v_perm_b32 v2, v3, v2, s5
	v_perm_b32 v3, v5, v4, s5
	;; [unrolled: 1-line block ×4, first 2 shown]
	v_mfma_f32_4x4x4_16b_bf16 a[0:3], v[18:19], v[2:3], a[0:3] cbsz:4 abid:8
	v_cvt_pk_f32_fp8_e32 v[2:3], v16
	v_cvt_pk_f32_fp8_e32 v[6:7], v17
	v_mfma_f32_4x4x4_16b_bf16 a[0:3], v[18:19], v[4:5], a[0:3] cbsz:4 abid:9
	v_cvt_pk_f32_fp8_sdwa v[4:5], v16 src0_sel:WORD_1
	v_cvt_pk_f32_fp8_sdwa v[8:9], v17 src0_sel:WORD_1
	v_perm_b32 v2, v3, v2, s5
	v_perm_b32 v3, v5, v4, s5
	v_perm_b32 v4, v7, v6, s5
	s_nop 0
	v_mfma_f32_4x4x4_16b_bf16 a[0:3], v[18:19], v[2:3], a[0:3] cbsz:4 abid:10
	v_perm_b32 v5, v9, v8, s5
	v_cvt_pk_f32_fp8_e32 v[2:3], v10
	v_cvt_pk_f32_fp8_e32 v[6:7], v11
	v_mfma_f32_4x4x4_16b_bf16 a[0:3], v[18:19], v[4:5], a[0:3] cbsz:4 abid:11
	v_cvt_pk_f32_fp8_sdwa v[4:5], v10 src0_sel:WORD_1
	v_cvt_pk_f32_fp8_sdwa v[8:9], v11 src0_sel:WORD_1
	v_perm_b32 v2, v3, v2, s5
	v_perm_b32 v3, v5, v4, s5
	v_perm_b32 v4, v7, v6, s5
	s_nop 0
	v_mfma_f32_4x4x4_16b_bf16 a[0:3], v[18:19], v[2:3], a[0:3] cbsz:4 abid:12
	v_perm_b32 v5, v9, v8, s5
	;; [unrolled: 11-line block ×3, first 2 shown]
	s_nop 1
	v_mfma_f32_4x4x4_16b_bf16 a[0:3], v[18:19], v[4:5], a[0:3] cbsz:4 abid:15
	s_nop 4
	v_accvgpr_read_b32 v5, a1
	v_accvgpr_read_b32 v4, a0
	v_accvgpr_read_b32 v3, a3
	v_accvgpr_read_b32 v2, a2
	s_waitcnt lgkmcnt(0)
	v_pk_mul_f32 v[4:5], v[4:5], s[4:5] op_sel_hi:[1,0]
	v_pk_mul_f32 v[2:3], v[2:3], s[4:5] op_sel_hi:[1,0]
	v_bfe_u32 v6, v5, 16, 1
	v_bfe_u32 v7, v4, 16, 1
	v_add3_u32 v4, v4, v7, s1
	v_add3_u32 v5, v5, v6, s1
	v_bfe_u32 v6, v3, 16, 1
	v_bfe_u32 v7, v2, 16, 1
	v_add3_u32 v2, v2, v7, s1
	v_add3_u32 v3, v3, v6, s1
	v_perm_b32 v23, v3, v2, s5
	v_perm_b32 v22, v5, v4, s5
.LBB1210_23:
	s_or_b64 exec, exec, s[2:3]
	v_lshlrev_b32_e32 v1, 3, v1
	v_mad_u32_u24 v1, v32, 40, v1
	v_cmp_gt_u32_e32 vcc, 64, v0
	ds_write_b64 v1, v[22:23]
	s_waitcnt lgkmcnt(0)
	s_barrier
	s_and_saveexec_b64 s[2:3], vcc
	s_cbranch_execz .LBB1210_25
; %bb.24:
	v_mul_u32_u24_e32 v1, 40, v32
	s_waitcnt vmcnt(3)
	ds_read2_b64 v[2:5], v1 offset1:1
	s_waitcnt vmcnt(2)
	ds_read2_b64 v[6:9], v1 offset0:2 offset1:3
	s_mov_b32 s1, 0
	s_lshl_b32 s0, s0, 6
	s_lshl_b64 s[2:3], s[0:1], 1
	s_waitcnt lgkmcnt(1)
	v_and_b32_e32 v1, 0xffff0000, v2
	v_lshlrev_b32_e32 v3, 16, v3
	v_add_f32_e32 v1, 0, v1
	v_add_f32_e32 v3, 0, v3
	v_and_b32_e32 v1, 0xffff0000, v1
	s_waitcnt vmcnt(1)
	v_and_b32_e32 v10, 0xffff0000, v4
	v_and_b32_e32 v3, 0xffff0000, v3
	v_add_f32_e32 v1, v1, v10
	v_lshlrev_b32_e32 v5, 16, v5
	v_and_b32_e32 v1, 0xffff0000, v1
	v_add_f32_e32 v3, v3, v5
	s_waitcnt lgkmcnt(0)
	v_and_b32_e32 v5, 0xffff0000, v6
	v_and_b32_e32 v3, 0xffff0000, v3
	v_add_f32_e32 v1, v1, v5
	v_lshlrev_b32_e32 v5, 16, v7
	v_and_b32_e32 v1, 0xffff0000, v1
	v_add_f32_e32 v3, v3, v5
	v_and_b32_e32 v5, 0xffff0000, v8
	v_lshlrev_b32_e32 v2, 16, v2
	v_and_b32_e32 v3, 0xffff0000, v3
	v_add_f32_e32 v1, v1, v5
	v_lshlrev_b32_e32 v5, 16, v9
	s_add_u32 s2, s22, s2
	v_add_f32_e32 v2, 0, v2
	v_add_f32_e32 v7, v3, v5
	s_addc_u32 s3, s23, s3
	s_lshl_b32 s0, s20, 6
	v_and_b32_e32 v2, 0xffff0000, v2
	v_lshlrev_b32_e32 v3, 16, v4
	s_lshl_b64 s[0:1], s[0:1], 1
	v_add_f32_e32 v2, v2, v3
	s_add_u32 s0, s2, s0
	v_and_b32_e32 v2, 0xffff0000, v2
	v_lshlrev_b32_e32 v3, 16, v6
	s_addc_u32 s1, s3, s1
	s_lshl_b32 s2, s38, 6
	v_add_f32_e32 v2, v2, v3
	v_and_b32_e32 v2, 0xffff0000, v2
	v_lshlrev_b32_e32 v3, 16, v8
	s_mul_i32 s3, s2, s33
	v_add_f32_e32 v6, v2, v3
	v_or_b32_e32 v2, s3, v0
	v_mov_b32_e32 v3, 0
	s_add_i32 s3, s3, s2
	v_lshl_add_u64 v[4:5], v[2:3], 1, s[0:1]
	v_or_b32_e32 v2, s3, v0
	s_add_i32 s3, s3, s2
	global_store_short_d16_hi v[4:5], v6, off
	v_lshl_add_u64 v[4:5], v[2:3], 1, s[0:1]
	v_or_b32_e32 v2, s3, v0
	global_store_short_d16_hi v[4:5], v1, off
	v_lshl_add_u64 v[0:1], v[2:3], 1, s[0:1]
	global_store_short_d16_hi v[0:1], v7, off
.LBB1210_25:
	s_endpgm
	.section	.rodata,"a",@progbits
	.p2align	6, 0x0
	.amdhsa_kernel _Z38paged_attention_ll4mi_QKV_mfma4_kernelI14__hip_bfloat16hLN4vllm18Fp8KVCacheDataTypeE1ES0_Li32ELi64ELi256ELb1ELi3EEvPKT_PKT0_S8_ifPKiSA_SA_iPKfiiiPfSD_PS3_PT2_iSC_SC_
		.amdhsa_group_segment_fixed_size 2720
		.amdhsa_private_segment_fixed_size 0
		.amdhsa_kernarg_size 400
		.amdhsa_user_sgpr_count 2
		.amdhsa_user_sgpr_dispatch_ptr 0
		.amdhsa_user_sgpr_queue_ptr 0
		.amdhsa_user_sgpr_kernarg_segment_ptr 1
		.amdhsa_user_sgpr_dispatch_id 0
		.amdhsa_user_sgpr_kernarg_preload_length 0
		.amdhsa_user_sgpr_kernarg_preload_offset 0
		.amdhsa_user_sgpr_private_segment_size 0
		.amdhsa_uses_dynamic_stack 0
		.amdhsa_enable_private_segment 0
		.amdhsa_system_sgpr_workgroup_id_x 1
		.amdhsa_system_sgpr_workgroup_id_y 1
		.amdhsa_system_sgpr_workgroup_id_z 1
		.amdhsa_system_sgpr_workgroup_info 0
		.amdhsa_system_vgpr_workitem_id 0
		.amdhsa_next_free_vgpr 48
		.amdhsa_next_free_sgpr 44
		.amdhsa_accum_offset 44
		.amdhsa_reserve_vcc 1
		.amdhsa_float_round_mode_32 0
		.amdhsa_float_round_mode_16_64 0
		.amdhsa_float_denorm_mode_32 3
		.amdhsa_float_denorm_mode_16_64 3
		.amdhsa_dx10_clamp 1
		.amdhsa_ieee_mode 1
		.amdhsa_fp16_overflow 0
		.amdhsa_tg_split 0
		.amdhsa_exception_fp_ieee_invalid_op 0
		.amdhsa_exception_fp_denorm_src 0
		.amdhsa_exception_fp_ieee_div_zero 0
		.amdhsa_exception_fp_ieee_overflow 0
		.amdhsa_exception_fp_ieee_underflow 0
		.amdhsa_exception_fp_ieee_inexact 0
		.amdhsa_exception_int_div_zero 0
	.end_amdhsa_kernel
	.section	.text._Z38paged_attention_ll4mi_QKV_mfma4_kernelI14__hip_bfloat16hLN4vllm18Fp8KVCacheDataTypeE1ES0_Li32ELi64ELi256ELb1ELi3EEvPKT_PKT0_S8_ifPKiSA_SA_iPKfiiiPfSD_PS3_PT2_iSC_SC_,"axG",@progbits,_Z38paged_attention_ll4mi_QKV_mfma4_kernelI14__hip_bfloat16hLN4vllm18Fp8KVCacheDataTypeE1ES0_Li32ELi64ELi256ELb1ELi3EEvPKT_PKT0_S8_ifPKiSA_SA_iPKfiiiPfSD_PS3_PT2_iSC_SC_,comdat
.Lfunc_end1210:
	.size	_Z38paged_attention_ll4mi_QKV_mfma4_kernelI14__hip_bfloat16hLN4vllm18Fp8KVCacheDataTypeE1ES0_Li32ELi64ELi256ELb1ELi3EEvPKT_PKT0_S8_ifPKiSA_SA_iPKfiiiPfSD_PS3_PT2_iSC_SC_, .Lfunc_end1210-_Z38paged_attention_ll4mi_QKV_mfma4_kernelI14__hip_bfloat16hLN4vllm18Fp8KVCacheDataTypeE1ES0_Li32ELi64ELi256ELb1ELi3EEvPKT_PKT0_S8_ifPKiSA_SA_iPKfiiiPfSD_PS3_PT2_iSC_SC_
                                        ; -- End function
	.section	.AMDGPU.csdata,"",@progbits
; Kernel info:
; codeLenInByte = 4140
; NumSgprs: 50
; NumVgprs: 44
; NumAgprs: 4
; TotalNumVgprs: 48
; ScratchSize: 0
; MemoryBound: 0
; FloatMode: 240
; IeeeMode: 1
; LDSByteSize: 2720 bytes/workgroup (compile time only)
; SGPRBlocks: 6
; VGPRBlocks: 5
; NumSGPRsForWavesPerEU: 50
; NumVGPRsForWavesPerEU: 48
; AccumOffset: 44
; Occupancy: 8
; WaveLimiterHint : 1
; COMPUTE_PGM_RSRC2:SCRATCH_EN: 0
; COMPUTE_PGM_RSRC2:USER_SGPR: 2
; COMPUTE_PGM_RSRC2:TRAP_HANDLER: 0
; COMPUTE_PGM_RSRC2:TGID_X_EN: 1
; COMPUTE_PGM_RSRC2:TGID_Y_EN: 1
; COMPUTE_PGM_RSRC2:TGID_Z_EN: 1
; COMPUTE_PGM_RSRC2:TIDIG_COMP_CNT: 0
; COMPUTE_PGM_RSRC3_GFX90A:ACCUM_OFFSET: 10
; COMPUTE_PGM_RSRC3_GFX90A:TG_SPLIT: 0
	.section	.text._Z38paged_attention_ll4mi_QKV_mfma4_kernelI14__hip_bfloat16hLN4vllm18Fp8KVCacheDataTypeE1ES0_Li32ELi64ELi256ELb1ELi4EEvPKT_PKT0_S8_ifPKiSA_SA_iPKfiiiPfSD_PS3_PT2_iSC_SC_,"axG",@progbits,_Z38paged_attention_ll4mi_QKV_mfma4_kernelI14__hip_bfloat16hLN4vllm18Fp8KVCacheDataTypeE1ES0_Li32ELi64ELi256ELb1ELi4EEvPKT_PKT0_S8_ifPKiSA_SA_iPKfiiiPfSD_PS3_PT2_iSC_SC_,comdat
	.protected	_Z38paged_attention_ll4mi_QKV_mfma4_kernelI14__hip_bfloat16hLN4vllm18Fp8KVCacheDataTypeE1ES0_Li32ELi64ELi256ELb1ELi4EEvPKT_PKT0_S8_ifPKiSA_SA_iPKfiiiPfSD_PS3_PT2_iSC_SC_ ; -- Begin function _Z38paged_attention_ll4mi_QKV_mfma4_kernelI14__hip_bfloat16hLN4vllm18Fp8KVCacheDataTypeE1ES0_Li32ELi64ELi256ELb1ELi4EEvPKT_PKT0_S8_ifPKiSA_SA_iPKfiiiPfSD_PS3_PT2_iSC_SC_
	.globl	_Z38paged_attention_ll4mi_QKV_mfma4_kernelI14__hip_bfloat16hLN4vllm18Fp8KVCacheDataTypeE1ES0_Li32ELi64ELi256ELb1ELi4EEvPKT_PKT0_S8_ifPKiSA_SA_iPKfiiiPfSD_PS3_PT2_iSC_SC_
	.p2align	8
	.type	_Z38paged_attention_ll4mi_QKV_mfma4_kernelI14__hip_bfloat16hLN4vllm18Fp8KVCacheDataTypeE1ES0_Li32ELi64ELi256ELb1ELi4EEvPKT_PKT0_S8_ifPKiSA_SA_iPKfiiiPfSD_PS3_PT2_iSC_SC_,@function
_Z38paged_attention_ll4mi_QKV_mfma4_kernelI14__hip_bfloat16hLN4vllm18Fp8KVCacheDataTypeE1ES0_Li32ELi64ELi256ELb1ELi4EEvPKT_PKT0_S8_ifPKiSA_SA_iPKfiiiPfSD_PS3_PT2_iSC_SC_: ; @_Z38paged_attention_ll4mi_QKV_mfma4_kernelI14__hip_bfloat16hLN4vllm18Fp8KVCacheDataTypeE1ES0_Li32ELi64ELi256ELb1ELi4EEvPKT_PKT0_S8_ifPKiSA_SA_iPKfiiiPfSD_PS3_PT2_iSC_SC_
; %bb.0:
	s_load_dwordx2 s[16:17], s[0:1], 0x30
	s_mov_b32 s24, s3
	s_mov_b64 s[6:7], 0
	s_waitcnt lgkmcnt(0)
	s_cmp_lg_u64 s[16:17], 0
	s_cselect_b64 s[18:19], -1, 0
	s_and_b64 vcc, exec, s[18:19]
	s_cbranch_vccz .LBB1211_18
; %bb.1:
	s_add_i32 s8, s2, 1
	s_mov_b32 s9, 0
	s_lshl_b64 s[10:11], s[8:9], 2
	s_add_u32 s10, s16, s10
	s_mov_b32 s3, s9
	s_addc_u32 s11, s17, s11
	s_lshl_b64 s[8:9], s[2:3], 2
	s_add_u32 s8, s16, s8
	s_addc_u32 s9, s17, s9
	s_load_dword s5, s[10:11], 0x0
	s_load_dword s12, s[8:9], 0x0
	s_mov_b64 s[34:35], s[2:3]
	s_waitcnt lgkmcnt(0)
	s_sub_i32 s5, s5, s12
	s_cmp_eq_u32 s5, 1
	s_cselect_b64 s[8:9], -1, 0
	s_andn2_b64 vcc, exec, s[6:7]
	s_cbranch_vccnz .LBB1211_3
.LBB1211_2:
	s_mov_b32 s3, 0
	s_mov_b64 s[8:9], -1
	s_mov_b64 s[34:35], s[2:3]
.LBB1211_3:
	s_andn2_b64 vcc, exec, s[8:9]
	s_cbranch_vccnz .LBB1211_17
; %bb.4:
	s_load_dword s3, s[0:1], 0x9c
	s_load_dwordx2 s[6:7], s[0:1], 0x28
	s_add_u32 s28, s0, 0x90
	s_addc_u32 s29, s1, 0
	s_lshl_b64 s[42:43], s[34:35], 2
	s_waitcnt lgkmcnt(0)
	s_and_b32 s5, s3, 0xffff
	s_add_u32 s6, s6, s42
	s_addc_u32 s7, s7, s43
	s_load_dword s3, s[6:7], 0x0
	s_mul_i32 s5, s24, s5
	s_waitcnt lgkmcnt(0)
	s_cmp_ge_i32 s5, s3
	s_cbranch_scc1 .LBB1211_17
; %bb.5:
	v_and_b32_e32 v2, 0xc0, v0
	v_and_b32_e32 v25, 3, v0
	s_lshl_b32 s33, s4, 2
	v_add_u32_e32 v4, s5, v2
	v_lshrrev_b32_e32 v1, 6, v0
	v_cmp_gt_i32_e64 s[6:7], s3, v4
	v_cmp_le_i32_e32 vcc, s3, v4
	v_or_b32_e32 v18, s33, v25
                                        ; implicit-def: $sgpr21
                                        ; implicit-def: $sgpr20
	s_and_saveexec_b64 s[8:9], vcc
	s_xor_b64 s[8:9], exec, s[8:9]
	s_cbranch_execz .LBB1211_7
; %bb.6:
	v_mul_u32_u24_e32 v2, 20, v1
	v_or_b32_e32 v2, 0xa00, v2
	v_mov_b32_e32 v3, 0xa50
	v_mov_b32_e32 v4, 0xff7fffff
	v_mad_u32_u24 v3, v1, 20, v3
	ds_write2_b32 v2, v4, v4 offset1:1
	v_mov_b32_e32 v2, 0
	ds_write2_b32 v3, v2, v2 offset1:1
	v_mov_b32_e32 v3, 0xa08
	s_mov_b32 s20, 0xff7fffff
	s_mov_b32 s21, 0
	v_mad_u32_u24 v3, v1, 20, v3
	v_mov_b32_e32 v5, 0xa58
	v_or_b32_e32 v18, s33, v25
	v_mad_u32_u24 v5, v1, 20, v5
	ds_write2_b32 v3, v4, v4 offset1:1
	ds_write2_b32 v5, v2, v2 offset1:1
                                        ; implicit-def: $vgpr4
.LBB1211_7:
	s_or_saveexec_b64 s[30:31], s[8:9]
	s_load_dwordx2 s[26:27], s[0:1], 0x68
	s_load_dwordx4 s[12:15], s[0:1], 0x58
	s_load_dword s44, s[28:29], 0x4
	s_load_dwordx4 s[8:11], s[0:1], 0x80
	v_and_b32_e32 v24, 63, v0
	v_mov_b32_e32 v23, s21
	v_mov_b32_e32 v26, s20
	;; [unrolled: 1-line block ×5, first 2 shown]
                                        ; implicit-def: $vgpr14_vgpr15
                                        ; implicit-def: $vgpr6_vgpr7
                                        ; implicit-def: $vgpr10_vgpr11
                                        ; implicit-def: $vgpr2_vgpr3
	s_xor_b64 exec, exec, s[30:31]
	s_cbranch_execz .LBB1211_13
; %bb.8:
	s_load_dwordx2 s[20:21], s[0:1], 0x20
	s_load_dword s22, s[0:1], 0x38
	s_add_i32 s23, s3, 31
	s_ashr_i32 s25, s23, 31
	s_lshr_b32 s25, s25, 27
	v_add_u32_e32 v20, s5, v0
	s_add_i32 s23, s23, s25
	v_ashrrev_i32_e32 v2, 31, v20
	s_ashr_i32 s23, s23, 5
	v_lshrrev_b32_e32 v2, 27, v2
	s_add_i32 s25, s23, -1
	s_waitcnt lgkmcnt(0)
	s_mul_i32 s36, s2, s22
	s_mov_b32 s37, 0
	v_add_u32_e32 v2, v20, v2
	s_lshl_b64 s[22:23], s[36:37], 2
	v_ashrrev_i32_e32 v2, 5, v2
	v_mov_b32_e32 v3, s25
	v_cmp_gt_i32_e32 vcc, s3, v20
	s_add_u32 s20, s20, s22
	s_addc_u32 s21, s21, s23
	v_cndmask_b32_e32 v2, v3, v2, vcc
	v_ashrrev_i32_e32 v3, 31, v2
	v_lshl_add_u64 v[6:7], v[2:3], 2, s[20:21]
	v_ashrrev_i32_e32 v2, 31, v4
	v_lshrrev_b32_e32 v2, 27, v2
	v_add_u32_e32 v2, v4, v2
	v_ashrrev_i32_e32 v4, 5, v2
	v_min_i32_e32 v2, s25, v4
	v_ashrrev_i32_e32 v3, 31, v2
	v_lshl_add_u64 v[8:9], v[2:3], 2, s[20:21]
	v_add_u32_e32 v2, 1, v4
	v_min_i32_e32 v2, s25, v2
	v_ashrrev_i32_e32 v3, 31, v2
	v_lshl_add_u64 v[10:11], v[2:3], 2, s[20:21]
	global_load_dword v4, v[6:7], off
	global_load_dword v3, v[8:9], off
	;; [unrolled: 1-line block ×3, first 2 shown]
	s_load_dwordx2 s[40:41], s[0:1], 0x40
	s_load_dwordx4 s[20:23], s[0:1], 0x0
	s_load_dwordx2 s[38:39], s[0:1], 0x10
	s_andn2_b64 vcc, exec, s[18:19]
	s_cbranch_vccnz .LBB1211_10
; %bb.9:
	s_add_u32 s16, s16, s42
	s_addc_u32 s17, s17, s43
	s_load_dword s36, s[16:17], 0x0
	s_waitcnt lgkmcnt(0)
	s_mov_b64 s[34:35], s[36:37]
.LBB1211_10:
	s_load_dwordx4 s[16:19], s[0:1], 0x48
	s_waitcnt lgkmcnt(0)
	s_load_dword s19, s[0:1], 0x1c
                                        ; kill: killed $sgpr0 killed $sgpr1
	v_cmp_eq_u32_e32 vcc, 0, v25
	s_ashr_i32 s1, s16, 31
	s_mul_hi_u32 s5, s34, s16
	s_mul_i32 s1, s34, s1
	s_mul_i32 s25, s35, s16
	s_add_i32 s1, s5, s1
	s_mul_i32 s0, s34, s16
	s_add_i32 s1, s1, s25
	s_lshl_b64 s[0:1], s[0:1], 1
	s_add_u32 s5, s20, s0
	s_addc_u32 s16, s21, s1
	s_lshl_b32 s36, s4, 8
	s_lshl_b64 s[0:1], s[36:37], 1
	s_add_u32 s0, s5, s0
	s_addc_u32 s1, s16, s1
	s_mul_i32 s16, s4, s18
	s_add_u32 s4, s16, s22
	s_addc_u32 s5, 0, s23
	v_mov_b64_e32 v[6:7], s[4:5]
	s_waitcnt vmcnt(2)
	v_mad_i64_i32 v[4:5], s[4:5], v4, s17, v[6:7]
	v_lshlrev_b32_e32 v6, 4, v0
	v_and_b32_e32 v6, 0x1f0, v6
	v_mov_b32_e32 v7, 0
	v_lshl_add_u64 v[4:5], v[4:5], 0, v[6:7]
	global_load_dwordx4 v[10:13], v[4:5], off
	global_load_dwordx4 v[26:29], v[4:5], off offset:512
	global_load_dwordx4 v[30:33], v[4:5], off offset:1024
	;; [unrolled: 1-line block ×3, first 2 shown]
	v_lshrrev_b32_e32 v4, 2, v24
	v_lshlrev_b32_e32 v5, 3, v25
	v_add_lshl_u32 v4, v5, v4, 4
	global_load_dwordx4 v[38:41], v4, s[0:1]
	v_mov_b32_e32 v19, v7
	v_lshl_add_u64 v[4:5], v[18:19], 2, s[40:41]
	global_load_dword v19, v[4:5], off
	s_waitcnt vmcnt(7)
	v_mul_hi_i32 v4, v3, s17
	s_add_u32 s0, s38, s16
	s_waitcnt vmcnt(6)
	v_mul_hi_i32 v5, v2, s17
	v_ashrrev_i32_e32 v8, 31, v4
	s_addc_u32 s1, s39, 0
	v_lshlrev_b32_e32 v6, 5, v24
	v_ashrrev_i32_e32 v14, 31, v5
	v_lshl_add_u64 v[4:5], s[0:1], 0, v[6:7]
	v_lshrrev_b32_e32 v6, 29, v8
	v_mad_i64_i32 v[8:9], s[0:1], v3, s17, v[6:7]
	v_and_b32_e32 v8, -8, v8
	v_lshrrev_b32_e32 v6, 29, v14
	v_lshl_add_u64 v[22:23], v[4:5], 0, v[8:9]
	v_mad_i64_i32 v[2:3], s[0:1], v2, s17, v[6:7]
	global_load_dwordx4 v[6:9], v[22:23], off offset:16
	global_load_dwordx4 v[14:17], v[22:23], off
	s_mov_b32 s4, 0x7060302
	v_and_b32_e32 v2, -8, v2
	v_lshl_add_u64 v[42:43], v[4:5], 0, v[2:3]
	s_waitcnt lgkmcnt(0)
	v_mov_b32_e32 v21, s19
	s_waitcnt vmcnt(7)
	v_cvt_pk_f32_fp8_e32 v[22:23], v10
	v_cvt_pk_f32_fp8_sdwa v[44:45], v10 src0_sel:WORD_1
	v_cvt_pk_f32_fp8_e32 v[46:47], v11
	v_cvt_pk_f32_fp8_sdwa v[48:49], v11 src0_sel:WORD_1
	;; [unrolled: 2-line block ×3, first 2 shown]
	v_perm_b32 v22, v23, v22, s4
	v_perm_b32 v23, v45, v44, s4
	v_cvt_pk_f32_fp8_e32 v[54:55], v13
	v_cvt_pk_f32_fp8_sdwa v[56:57], v13 src0_sel:WORD_1
	s_waitcnt vmcnt(3)
	v_mfma_f32_4x4x4_16b_bf16 a[0:3], v[38:39], v[22:23], 0 cbsz:4
	v_perm_b32 v44, v47, v46, s4
	v_perm_b32 v45, v49, v48, s4
	v_cvt_pk_f32_fp8_e32 v[58:59], v26
	v_cvt_pk_f32_fp8_sdwa v[60:61], v26 src0_sel:WORD_1
	v_mfma_f32_4x4x4_16b_bf16 a[0:3], v[40:41], v[44:45], a[0:3] cbsz:4
	v_perm_b32 v48, v51, v50, s4
	v_perm_b32 v49, v53, v52, s4
	v_cvt_pk_f32_fp8_e32 v[62:63], v27
	v_cvt_pk_f32_fp8_sdwa v[26:27], v27 src0_sel:WORD_1
	v_mfma_f32_4x4x4_16b_bf16 a[0:3], v[38:39], v[48:49], a[0:3] cbsz:4 abid:1
	global_load_dwordx4 v[2:5], v[42:43], off offset:16
	global_load_dwordx4 v[10:13], v[42:43], off
	v_perm_b32 v52, v55, v54, s4
	v_perm_b32 v53, v57, v56, s4
	v_cvt_pk_f32_fp8_e32 v[64:65], v28
	v_cvt_pk_f32_fp8_sdwa v[66:67], v28 src0_sel:WORD_1
	v_mfma_f32_4x4x4_16b_bf16 a[0:3], v[40:41], v[52:53], a[0:3] cbsz:4 abid:1
	v_perm_b32 v54, v59, v58, s4
	v_perm_b32 v55, v61, v60, s4
	v_cvt_pk_f32_fp8_e32 v[68:69], v29
	v_cvt_pk_f32_fp8_sdwa v[28:29], v29 src0_sel:WORD_1
	v_mfma_f32_4x4x4_16b_bf16 a[0:3], v[38:39], v[54:55], a[0:3] cbsz:4 abid:2
	v_perm_b32 v58, v63, v62, s4
	v_perm_b32 v59, v27, v26, s4
	v_cvt_pk_f32_fp8_e32 v[70:71], v30
	v_cvt_pk_f32_fp8_sdwa v[72:73], v30 src0_sel:WORD_1
	v_mfma_f32_4x4x4_16b_bf16 a[0:3], v[40:41], v[58:59], a[0:3] cbsz:4 abid:2
	v_perm_b32 v60, v65, v64, s4
	v_perm_b32 v61, v67, v66, s4
	v_cvt_pk_f32_fp8_e32 v[74:75], v31
	v_cvt_pk_f32_fp8_sdwa v[30:31], v31 src0_sel:WORD_1
	v_mfma_f32_4x4x4_16b_bf16 a[0:3], v[38:39], v[60:61], a[0:3] cbsz:4 abid:3
	v_perm_b32 v62, v69, v68, s4
	v_perm_b32 v63, v29, v28, s4
	v_cvt_pk_f32_fp8_e32 v[76:77], v32
	v_cvt_pk_f32_fp8_sdwa v[78:79], v32 src0_sel:WORD_1
	v_mfma_f32_4x4x4_16b_bf16 a[0:3], v[40:41], v[62:63], a[0:3] cbsz:4 abid:3
	v_perm_b32 v22, v71, v70, s4
	v_perm_b32 v23, v73, v72, s4
	v_cvt_pk_f32_fp8_e32 v[80:81], v33
	v_cvt_pk_f32_fp8_sdwa v[32:33], v33 src0_sel:WORD_1
	v_mfma_f32_4x4x4_16b_bf16 a[0:3], v[38:39], v[22:23], a[0:3] cbsz:4 abid:4
	v_perm_b32 v28, v75, v74, s4
	v_perm_b32 v29, v31, v30, s4
	v_cvt_pk_f32_fp8_e32 v[42:43], v34
	v_cvt_pk_f32_fp8_sdwa v[46:47], v34 src0_sel:WORD_1
	v_mfma_f32_4x4x4_16b_bf16 a[0:3], v[40:41], v[28:29], a[0:3] cbsz:4 abid:4
	v_perm_b32 v30, v77, v76, s4
	v_perm_b32 v31, v79, v78, s4
	v_cvt_pk_f32_fp8_e32 v[50:51], v35
	v_cvt_pk_f32_fp8_sdwa v[34:35], v35 src0_sel:WORD_1
	v_mfma_f32_4x4x4_16b_bf16 a[0:3], v[38:39], v[30:31], a[0:3] cbsz:4 abid:5
	v_perm_b32 v44, v81, v80, s4
	v_perm_b32 v45, v33, v32, s4
	;; [unrolled: 1-line block ×4, first 2 shown]
	v_mfma_f32_4x4x4_16b_bf16 a[0:3], v[40:41], v[44:45], a[0:3] cbsz:4 abid:5
	v_cvt_pk_f32_fp8_e32 v[56:57], v36
	v_cvt_pk_f32_fp8_sdwa v[26:27], v36 src0_sel:WORD_1
	v_mfma_f32_4x4x4_16b_bf16 a[0:3], v[38:39], v[22:23], a[0:3] cbsz:4 abid:6
	v_perm_b32 v28, v51, v50, s4
	v_perm_b32 v29, v35, v34, s4
	v_cvt_pk_f32_fp8_e32 v[22:23], v37
	v_perm_b32 v30, v57, v56, s4
	v_mfma_f32_4x4x4_16b_bf16 a[0:3], v[40:41], v[28:29], a[0:3] cbsz:4 abid:6
	v_cvt_pk_f32_fp8_sdwa v[28:29], v37 src0_sel:WORD_1
	v_perm_b32 v31, v27, v26, s4
	s_load_dword s0, s[8:9], 0x0
	v_perm_b32 v22, v23, v22, s4
	v_mfma_f32_4x4x4_16b_bf16 a[0:3], v[38:39], v[30:31], a[0:3] cbsz:4 abid:7
	v_perm_b32 v23, v29, v28, s4
	s_waitcnt lgkmcnt(0)
	v_mul_f32_e32 v26, s0, v21
	v_mfma_f32_4x4x4_16b_bf16 a[0:3], v[40:41], v[22:23], a[0:3] cbsz:4 abid:7
	v_cndmask_b32_e64 v21, 0, 1.0, vcc
	v_cmp_eq_u32_e32 vcc, 1, v25
	s_nop 2
	v_accvgpr_read_b32 v29, a1
	v_accvgpr_read_b32 v28, a0
	v_pk_mul_f32 v[28:29], v[28:29], v[26:27] op_sel_hi:[1,0]
	v_accvgpr_read_b32 v23, a3
	v_accvgpr_read_b32 v22, a2
	v_pk_mul_f32 v[22:23], v[22:23], v[26:27] op_sel_hi:[1,0]
	v_mfma_f32_4x4x1_16b_f32 a[0:3], v28, v21, 0
	v_cndmask_b32_e64 v21, 0, 1.0, vcc
	v_cmp_eq_u32_e32 vcc, 2, v25
	s_nop 0
	v_mfma_f32_4x4x1_16b_f32 a[0:3], v29, v21, a[0:3]
	v_cndmask_b32_e64 v21, 0, 1.0, vcc
	v_cmp_eq_u32_e32 vcc, 3, v25
	s_nop 0
	v_mfma_f32_4x4x1_16b_f32 a[0:3], v22, v21, a[0:3]
	v_cndmask_b32_e64 v21, 0, 1.0, vcc
	s_nop 1
	v_mfma_f32_4x4x1_16b_f32 a[0:3], v23, v21, a[0:3]
	v_and_b32_e32 v21, -4, v20
	v_subrev_u32_e32 v22, s3, v21
	v_add_u32_e32 v23, 1, v22
	v_cvt_f32_i32_e32 v23, v23
	v_add_u32_e32 v26, 2, v22
	v_cvt_f32_i32_e32 v26, v26
	v_accvgpr_read_b32 v27, a0
	s_waitcnt vmcnt(4)
	v_fma_f32 v23, v19, v23, v27
	v_accvgpr_read_b32 v27, a1
	v_fma_f32 v27, v19, v26, v27
	v_add_u32_e32 v26, 3, v22
	v_add_u32_e32 v22, 4, v22
	v_cvt_f32_i32_e32 v26, v26
	v_cvt_f32_i32_e32 v22, v22
	v_accvgpr_read_b32 v28, a2
	v_accvgpr_read_b32 v29, a3
	v_fma_f32 v28, v19, v26, v28
	v_fmac_f32_e32 v29, v19, v22
	v_max_f32_e32 v22, 0xff7fffff, v23
	v_mov_b32_e32 v26, 0xff7fffff
	v_cmp_gt_i32_e32 vcc, s3, v21
	v_or_b32_e32 v20, 3, v20
	v_cmp_gt_i32_e64 s[8:9], s3, v20
	v_cndmask_b32_e32 v22, v26, v22, vcc
	v_or_b32_e32 v26, 1, v21
	v_max_f32_e32 v30, v22, v27
	v_cmp_gt_i32_e64 s[0:1], s3, v26
	v_or_b32_e32 v21, 2, v21
	v_cmp_gt_i32_e64 s[4:5], s3, v21
	v_cndmask_b32_e64 v22, v22, v30, s[0:1]
	v_max_f32_e32 v26, v22, v28
	v_cndmask_b32_e64 v21, v22, v26, s[4:5]
	v_max_f32_e32 v22, v21, v29
	v_lshlrev_b32_e32 v19, 2, v0
	v_cndmask_b32_e64 v20, v21, v22, s[8:9]
	v_and_or_b32 v19, v19, 48, v25
	;;#ASMSTART
	v_nop
 v_nop
 v_max_f32_dpp v20, v20, v20 row_ror:4
	;;#ASMEND
	v_lshlrev_b32_e32 v19, 2, v19
	;;#ASMSTART
	v_nop
 v_nop
 v_max_f32_dpp v20, v20, v20 row_ror:8
	;;#ASMEND
	ds_bpermute_b32 v20, v19, v20
	s_waitcnt lgkmcnt(0)
	;;#ASMSTART
	v_nop
 v_nop
 v_max_f32_dpp v20, v20, v20 row_ror:4
	;;#ASMEND
	s_nop 0
	;;#ASMSTART
	v_nop
 v_nop
 v_max_f32_dpp v26, v20, v20 row_ror:8
	;;#ASMEND
	s_nop 0
	v_sub_f32_e32 v20, v23, v26
	v_mul_f32_e32 v20, 0x3fb8aa3b, v20
	v_sub_f32_e32 v21, v27, v26
	v_exp_f32_e32 v20, v20
	v_mul_f32_e32 v21, 0x3fb8aa3b, v21
	v_sub_f32_e32 v23, v28, v26
	v_exp_f32_e32 v21, v21
	;; [unrolled: 3-line block ×3, first 2 shown]
	v_mul_f32_e32 v27, 0x3fb8aa3b, v27
	v_exp_f32_e32 v27, v27
	v_cndmask_b32_e32 v20, 0, v20, vcc
	v_add_f32_e32 v22, 0, v20
	v_cndmask_b32_e64 v21, 0, v21, s[0:1]
	v_add_f32_e32 v28, v22, v21
	v_cndmask_b32_e64 v22, 0, v23, s[4:5]
	v_add_f32_e32 v28, v28, v22
	v_cndmask_b32_e64 v23, 0, v27, s[8:9]
	v_add_f32_e32 v27, v28, v23
	;;#ASMSTART
	v_nop
 v_nop
 v_add_f32_dpp v27, v27, v27 row_ror:4
	;;#ASMEND
	v_cmp_gt_u32_e32 vcc, 4, v24
	;;#ASMSTART
	v_nop
 v_nop
 v_add_f32_dpp v27, v27, v27 row_ror:8
	;;#ASMEND
	ds_bpermute_b32 v19, v19, v27
	s_waitcnt lgkmcnt(0)
	;;#ASMSTART
	v_nop
 v_nop
 v_add_f32_dpp v19, v19, v19 row_ror:4
	;;#ASMEND
	s_nop 0
	;;#ASMSTART
	v_nop
 v_nop
 v_add_f32_dpp v19, v19, v19 row_ror:8
	;;#ASMEND
	s_and_saveexec_b64 s[0:1], vcc
	s_cbranch_execz .LBB1211_12
; %bb.11:
	v_mul_u32_u24_e32 v27, 20, v1
	v_lshl_add_u32 v27, v25, 2, v27
	v_add_u32_e32 v27, 0x800, v27
	ds_write2_b32 v27, v26, v19 offset0:128 offset1:148
.LBB1211_12:
	s_or_b64 exec, exec, s[0:1]
.LBB1211_13:
	s_or_b64 exec, exec, s[30:31]
	v_lshlrev_b32_e32 v19, 2, v25
	v_add_u32_e32 v19, 0x800, v19
	s_waitcnt lgkmcnt(0)
	s_barrier
	s_load_dword s0, s[28:29], 0x8
	ds_read2_b32 v[28:29], v19 offset0:128 offset1:133
	ds_read2_b32 v[30:31], v19 offset0:138 offset1:143
	s_mov_b32 s4, 0xff7fffff
	s_mul_i32 s1, s2, s44
	ds_read2_b32 v[32:33], v19 offset0:148 offset1:153
	s_waitcnt lgkmcnt(0)
	v_max3_f32 v25, v28, s4, v29
	s_mul_i32 s1, s1, s0
	v_max3_f32 v25, v25, v30, v31
	s_lshl_b32 s0, s1, 2
	s_mov_b32 s1, 0
	v_sub_f32_e32 v27, v28, v25
	v_sub_f32_e32 v28, v29, v25
	s_lshl_b64 s[2:3], s[0:1], 2
	v_mul_f32_e32 v27, 0x3fb8aa3b, v27
	v_mul_f32_e32 v28, 0x3fb8aa3b, v28
	s_mov_b32 s25, s1
	s_add_u32 s1, s12, s2
	v_exp_f32_e32 v27, v27
	v_exp_f32_e32 v34, v28
	ds_read2_b32 v[28:29], v19 offset0:158 offset1:163
	v_sub_f32_e32 v19, v30, v25
	s_addc_u32 s8, s13, s3
	v_mul_f32_e32 v19, 0x3fb8aa3b, v19
	v_sub_f32_e32 v30, v31, v25
	s_add_u32 s4, s14, s2
	v_exp_f32_e32 v19, v19
	v_mul_f32_e32 v30, 0x3fb8aa3b, v30
	s_addc_u32 s5, s15, s3
	s_lshl_b64 s[2:3], s[24:25], 2
	v_exp_f32_e32 v30, v30
	s_add_u32 s4, s4, s2
	v_fma_f32 v27, v27, v32, 0
	s_addc_u32 s5, s5, s3
	v_fmac_f32_e32 v27, v34, v33
	s_waitcnt lgkmcnt(0)
	v_fmac_f32_e32 v27, v19, v28
	s_add_u32 s2, s1, s2
	v_mul_lo_u32 v18, s44, v18
	v_mov_b32_e32 v19, 0
	v_fmac_f32_e32 v27, v30, v29
	s_addc_u32 s3, s8, s3
	v_lshlrev_b64 v[28:29], 2, v[18:19]
	v_lshl_add_u64 v[30:31], s[4:5], 0, v[28:29]
	v_lshl_add_u64 v[28:29], s[2:3], 0, v[28:29]
	v_mov_b32_e32 v18, v19
	global_store_dword v[30:31], v25, off
	global_store_dword v[28:29], v27, off
	s_and_saveexec_b64 s[2:3], s[6:7]
	s_cbranch_execz .LBB1211_15
; %bb.14:
	v_add_f32_e32 v18, 0x358637bd, v27
	v_div_scale_f32 v19, s[4:5], v18, v18, 1.0
	v_rcp_f32_e32 v27, v19
	v_div_scale_f32 v28, vcc, 1.0, v18, 1.0
	v_sub_f32_e32 v25, v26, v25
	v_fma_f32 v29, -v19, v27, 1.0
	v_fmac_f32_e32 v27, v29, v27
	v_mul_f32_e32 v29, v28, v27
	v_fma_f32 v30, -v19, v29, v28
	v_mul_f32_e32 v25, 0x3fb8aa3b, v25
	v_fmac_f32_e32 v29, v30, v27
	v_exp_f32_e32 v25, v25
	v_fma_f32 v19, -v19, v29, v28
	v_div_fmas_f32 v19, v19, v27, v29
	v_div_fixup_f32 v18, v19, v18, 1.0
	v_mul_f32_e32 v18, v25, v18
	v_pk_mul_f32 v[22:23], v[22:23], v[18:19] op_sel_hi:[1,0]
	v_pk_mul_f32 v[18:19], v[20:21], v[18:19] op_sel_hi:[1,0]
	s_movk_i32 s1, 0x7fff
	v_bfe_u32 v20, v19, 16, 1
	v_bfe_u32 v21, v18, 16, 1
	v_add3_u32 v19, v19, v20, s1
	v_bfe_u32 v20, v22, 16, 1
	v_add3_u32 v18, v18, v21, s1
	s_mov_b32 s5, 0x7060302
	v_add3_u32 v22, v22, v20, s1
	s_waitcnt vmcnt(4)
	v_cvt_pk_f32_fp8_e32 v[20:21], v14
	v_perm_b32 v18, v19, v18, s5
	v_bfe_u32 v19, v23, 16, 1
	v_add3_u32 v19, v23, v19, s1
	v_perm_b32 v19, v19, v22, s5
	v_cvt_pk_f32_fp8_sdwa v[22:23], v14 src0_sel:WORD_1
	v_perm_b32 v14, v21, v20, s5
	v_cvt_pk_f32_fp8_sdwa v[20:21], v15 src0_sel:WORD_1
	v_cvt_pk_f32_fp8_e32 v[26:27], v15
	v_perm_b32 v15, v23, v22, s5
	s_load_dword s4, s[10:11], 0x0
	v_perm_b32 v23, v21, v20, s5
	v_mfma_f32_4x4x4_16b_bf16 a[0:3], v[18:19], v[14:15], 0 cbsz:4
	v_cvt_pk_f32_fp8_e32 v[14:15], v16
	v_cvt_pk_f32_fp8_sdwa v[20:21], v16 src0_sel:WORD_1
	v_perm_b32 v22, v27, v26, s5
	v_perm_b32 v14, v15, v14, s5
	s_nop 0
	v_mfma_f32_4x4x4_16b_bf16 a[0:3], v[18:19], v[22:23], a[0:3] cbsz:4 abid:1
	v_cvt_pk_f32_fp8_e32 v[22:23], v17
	v_cvt_pk_f32_fp8_sdwa v[16:17], v17 src0_sel:WORD_1
	v_perm_b32 v15, v21, v20, s5
	v_perm_b32 v20, v23, v22, s5
	s_nop 0
	v_mfma_f32_4x4x4_16b_bf16 a[0:3], v[18:19], v[14:15], a[0:3] cbsz:4 abid:2
	v_cvt_pk_f32_fp8_e32 v[14:15], v6
	v_perm_b32 v21, v17, v16, s5
	v_cvt_pk_f32_fp8_sdwa v[16:17], v6 src0_sel:WORD_1
	v_perm_b32 v6, v15, v14, s5
	v_mfma_f32_4x4x4_16b_bf16 a[0:3], v[18:19], v[20:21], a[0:3] cbsz:4 abid:3
	v_cvt_pk_f32_fp8_e32 v[20:21], v7
	v_cvt_pk_f32_fp8_sdwa v[14:15], v7 src0_sel:WORD_1
	v_perm_b32 v7, v17, v16, s5
	v_perm_b32 v16, v21, v20, s5
	s_nop 0
	v_mfma_f32_4x4x4_16b_bf16 a[0:3], v[18:19], v[6:7], a[0:3] cbsz:4 abid:4
	v_perm_b32 v17, v15, v14, s5
	v_cvt_pk_f32_fp8_e32 v[6:7], v8
	v_cvt_pk_f32_fp8_sdwa v[14:15], v8 src0_sel:WORD_1
	v_mfma_f32_4x4x4_16b_bf16 a[0:3], v[18:19], v[16:17], a[0:3] cbsz:4 abid:5
	v_cvt_pk_f32_fp8_e32 v[16:17], v9
	v_cvt_pk_f32_fp8_sdwa v[8:9], v9 src0_sel:WORD_1
	v_perm_b32 v6, v7, v6, s5
	v_perm_b32 v7, v15, v14, s5
	;; [unrolled: 1-line block ×4, first 2 shown]
	v_mfma_f32_4x4x4_16b_bf16 a[0:3], v[18:19], v[6:7], a[0:3] cbsz:4 abid:6
	s_waitcnt vmcnt(2)
	v_cvt_pk_f32_fp8_e32 v[6:7], v10
	v_cvt_pk_f32_fp8_sdwa v[8:9], v10 src0_sel:WORD_1
	v_mfma_f32_4x4x4_16b_bf16 a[0:3], v[18:19], v[14:15], a[0:3] cbsz:4 abid:7
	v_cvt_pk_f32_fp8_e32 v[14:15], v11
	v_cvt_pk_f32_fp8_sdwa v[10:11], v11 src0_sel:WORD_1
	v_perm_b32 v6, v7, v6, s5
	v_perm_b32 v7, v9, v8, s5
	;; [unrolled: 1-line block ×4, first 2 shown]
	v_mfma_f32_4x4x4_16b_bf16 a[0:3], v[18:19], v[6:7], a[0:3] cbsz:4 abid:8
	v_cvt_pk_f32_fp8_e32 v[6:7], v12
	v_cvt_pk_f32_fp8_e32 v[10:11], v13
	v_mfma_f32_4x4x4_16b_bf16 a[0:3], v[18:19], v[8:9], a[0:3] cbsz:4 abid:9
	v_cvt_pk_f32_fp8_sdwa v[8:9], v12 src0_sel:WORD_1
	v_cvt_pk_f32_fp8_sdwa v[12:13], v13 src0_sel:WORD_1
	v_perm_b32 v6, v7, v6, s5
	v_perm_b32 v7, v9, v8, s5
	;; [unrolled: 1-line block ×3, first 2 shown]
	s_nop 0
	v_mfma_f32_4x4x4_16b_bf16 a[0:3], v[18:19], v[6:7], a[0:3] cbsz:4 abid:10
	v_cvt_pk_f32_fp8_e32 v[6:7], v2
	v_perm_b32 v9, v13, v12, s5
	v_cvt_pk_f32_fp8_e32 v[10:11], v3
	s_nop 0
	v_mfma_f32_4x4x4_16b_bf16 a[0:3], v[18:19], v[8:9], a[0:3] cbsz:4 abid:11
	v_cvt_pk_f32_fp8_sdwa v[8:9], v2 src0_sel:WORD_1
	v_perm_b32 v2, v7, v6, s5
	v_cvt_pk_f32_fp8_sdwa v[6:7], v3 src0_sel:WORD_1
	v_perm_b32 v3, v9, v8, s5
	v_perm_b32 v8, v11, v10, s5
	s_nop 0
	v_mfma_f32_4x4x4_16b_bf16 a[0:3], v[18:19], v[2:3], a[0:3] cbsz:4 abid:12
	v_perm_b32 v9, v7, v6, s5
	v_cvt_pk_f32_fp8_e32 v[2:3], v4
	v_cvt_pk_f32_fp8_sdwa v[6:7], v4 src0_sel:WORD_1
	v_mfma_f32_4x4x4_16b_bf16 a[0:3], v[18:19], v[8:9], a[0:3] cbsz:4 abid:13
	v_cvt_pk_f32_fp8_e32 v[8:9], v5
	v_cvt_pk_f32_fp8_sdwa v[4:5], v5 src0_sel:WORD_1
	v_perm_b32 v2, v3, v2, s5
	v_perm_b32 v3, v7, v6, s5
	;; [unrolled: 1-line block ×4, first 2 shown]
	v_mfma_f32_4x4x4_16b_bf16 a[0:3], v[18:19], v[2:3], a[0:3] cbsz:4 abid:14
	s_nop 1
	v_mfma_f32_4x4x4_16b_bf16 a[0:3], v[18:19], v[6:7], a[0:3] cbsz:4 abid:15
	s_nop 4
	v_accvgpr_read_b32 v5, a1
	v_accvgpr_read_b32 v4, a0
	;; [unrolled: 1-line block ×4, first 2 shown]
	s_waitcnt lgkmcnt(0)
	v_pk_mul_f32 v[4:5], v[4:5], s[4:5] op_sel_hi:[1,0]
	v_pk_mul_f32 v[2:3], v[2:3], s[4:5] op_sel_hi:[1,0]
	v_bfe_u32 v6, v5, 16, 1
	v_bfe_u32 v7, v4, 16, 1
	v_add3_u32 v4, v4, v7, s1
	v_add3_u32 v5, v5, v6, s1
	v_bfe_u32 v6, v3, 16, 1
	v_bfe_u32 v7, v2, 16, 1
	v_add3_u32 v2, v2, v7, s1
	v_add3_u32 v3, v3, v6, s1
	v_perm_b32 v19, v3, v2, s5
	v_perm_b32 v18, v5, v4, s5
.LBB1211_15:
	s_or_b64 exec, exec, s[2:3]
	v_lshlrev_b32_e32 v1, 3, v1
	v_mad_u32_u24 v1, v24, 40, v1
	v_cmp_gt_u32_e32 vcc, 64, v0
	ds_write_b64 v1, v[18:19]
	s_waitcnt lgkmcnt(0)
	s_barrier
	s_and_saveexec_b64 s[2:3], vcc
	s_cbranch_execz .LBB1211_17
; %bb.16:
	v_mul_u32_u24_e32 v1, 40, v24
	s_waitcnt vmcnt(3)
	ds_read2_b64 v[2:5], v1 offset1:1
	ds_read2_b64 v[6:9], v1 offset0:2 offset1:3
	s_mov_b32 s1, 0
	s_lshl_b32 s0, s0, 6
	s_lshl_b64 s[2:3], s[0:1], 1
	s_waitcnt lgkmcnt(1)
	v_lshlrev_b32_e32 v1, 16, v2
	v_and_b32_e32 v2, 0xffff0000, v2
	v_add_f32_e32 v1, 0, v1
	v_add_f32_e32 v2, 0, v2
	s_waitcnt vmcnt(2)
	v_lshlrev_b32_e32 v10, 16, v3
	v_and_b32_e32 v3, 0xffff0000, v3
	v_and_b32_e32 v1, 0xffff0000, v1
	v_and_b32_e32 v2, 0xffff0000, v2
	v_add_f32_e32 v3, 0, v3
	v_lshlrev_b32_e32 v11, 16, v4
	v_and_b32_e32 v4, 0xffff0000, v4
	v_add_f32_e32 v10, 0, v10
	v_and_b32_e32 v3, 0xffff0000, v3
	v_add_f32_e32 v1, v1, v11
	v_add_f32_e32 v2, v2, v4
	v_lshlrev_b32_e32 v4, 16, v5
	v_and_b32_e32 v5, 0xffff0000, v5
	v_and_b32_e32 v10, 0xffff0000, v10
	v_and_b32_e32 v1, 0xffff0000, v1
	v_add_f32_e32 v3, v3, v5
	s_waitcnt lgkmcnt(0)
	v_lshlrev_b32_e32 v5, 16, v6
	v_and_b32_e32 v2, 0xffff0000, v2
	v_add_f32_e32 v4, v10, v4
	v_add_f32_e32 v1, v1, v5
	v_and_b32_e32 v5, 0xffff0000, v6
	v_and_b32_e32 v4, 0xffff0000, v4
	v_add_f32_e32 v2, v2, v5
	v_lshlrev_b32_e32 v5, 16, v7
	s_add_u32 s2, s26, s2
	v_and_b32_e32 v3, 0xffff0000, v3
	v_add_f32_e32 v4, v4, v5
	v_and_b32_e32 v5, 0xffff0000, v7
	s_addc_u32 s3, s27, s3
	s_lshl_b32 s0, s24, 6
	v_and_b32_e32 v1, 0xffff0000, v1
	v_add_f32_e32 v3, v3, v5
	v_lshlrev_b32_e32 v5, 16, v8
	s_lshl_b64 s[0:1], s[0:1], 1
	v_and_b32_e32 v2, 0xffff0000, v2
	v_add_f32_e32 v1, v1, v5
	v_and_b32_e32 v5, 0xffff0000, v8
	s_add_u32 s0, s2, s0
	v_and_b32_e32 v4, 0xffff0000, v4
	v_add_f32_e32 v6, v2, v5
	v_lshlrev_b32_e32 v2, 16, v9
	s_addc_u32 s1, s3, s1
	s_lshl_b32 s2, s44, 6
	v_and_b32_e32 v3, 0xffff0000, v3
	v_add_f32_e32 v7, v4, v2
	v_and_b32_e32 v2, 0xffff0000, v9
	s_mul_i32 s3, s2, s33
	v_add_f32_e32 v8, v3, v2
	v_or_b32_e32 v2, s3, v0
	v_mov_b32_e32 v3, 0
	s_add_i32 s3, s3, s2
	v_lshl_add_u64 v[4:5], v[2:3], 1, s[0:1]
	v_or_b32_e32 v2, s3, v0
	s_add_i32 s3, s3, s2
	global_store_short_d16_hi v[4:5], v1, off
	v_lshl_add_u64 v[4:5], v[2:3], 1, s[0:1]
	v_or_b32_e32 v2, s3, v0
	s_add_i32 s3, s3, s2
	global_store_short_d16_hi v[4:5], v6, off
	v_lshl_add_u64 v[4:5], v[2:3], 1, s[0:1]
	v_or_b32_e32 v2, s3, v0
	v_lshl_add_u64 v[0:1], v[2:3], 1, s[0:1]
	global_store_short_d16_hi v[4:5], v7, off
	global_store_short_d16_hi v[0:1], v8, off
.LBB1211_17:
	s_endpgm
.LBB1211_18:
	s_mov_b64 s[8:9], 0
                                        ; implicit-def: $sgpr34_sgpr35
	s_branch .LBB1211_2
	.section	.rodata,"a",@progbits
	.p2align	6, 0x0
	.amdhsa_kernel _Z38paged_attention_ll4mi_QKV_mfma4_kernelI14__hip_bfloat16hLN4vllm18Fp8KVCacheDataTypeE1ES0_Li32ELi64ELi256ELb1ELi4EEvPKT_PKT0_S8_ifPKiSA_SA_iPKfiiiPfSD_PS3_PT2_iSC_SC_
		.amdhsa_group_segment_fixed_size 2720
		.amdhsa_private_segment_fixed_size 0
		.amdhsa_kernarg_size 400
		.amdhsa_user_sgpr_count 2
		.amdhsa_user_sgpr_dispatch_ptr 0
		.amdhsa_user_sgpr_queue_ptr 0
		.amdhsa_user_sgpr_kernarg_segment_ptr 1
		.amdhsa_user_sgpr_dispatch_id 0
		.amdhsa_user_sgpr_kernarg_preload_length 0
		.amdhsa_user_sgpr_kernarg_preload_offset 0
		.amdhsa_user_sgpr_private_segment_size 0
		.amdhsa_uses_dynamic_stack 0
		.amdhsa_enable_private_segment 0
		.amdhsa_system_sgpr_workgroup_id_x 1
		.amdhsa_system_sgpr_workgroup_id_y 1
		.amdhsa_system_sgpr_workgroup_id_z 1
		.amdhsa_system_sgpr_workgroup_info 0
		.amdhsa_system_vgpr_workitem_id 0
		.amdhsa_next_free_vgpr 88
		.amdhsa_next_free_sgpr 45
		.amdhsa_accum_offset 84
		.amdhsa_reserve_vcc 1
		.amdhsa_float_round_mode_32 0
		.amdhsa_float_round_mode_16_64 0
		.amdhsa_float_denorm_mode_32 3
		.amdhsa_float_denorm_mode_16_64 3
		.amdhsa_dx10_clamp 1
		.amdhsa_ieee_mode 1
		.amdhsa_fp16_overflow 0
		.amdhsa_tg_split 0
		.amdhsa_exception_fp_ieee_invalid_op 0
		.amdhsa_exception_fp_denorm_src 0
		.amdhsa_exception_fp_ieee_div_zero 0
		.amdhsa_exception_fp_ieee_overflow 0
		.amdhsa_exception_fp_ieee_underflow 0
		.amdhsa_exception_fp_ieee_inexact 0
		.amdhsa_exception_int_div_zero 0
	.end_amdhsa_kernel
	.section	.text._Z38paged_attention_ll4mi_QKV_mfma4_kernelI14__hip_bfloat16hLN4vllm18Fp8KVCacheDataTypeE1ES0_Li32ELi64ELi256ELb1ELi4EEvPKT_PKT0_S8_ifPKiSA_SA_iPKfiiiPfSD_PS3_PT2_iSC_SC_,"axG",@progbits,_Z38paged_attention_ll4mi_QKV_mfma4_kernelI14__hip_bfloat16hLN4vllm18Fp8KVCacheDataTypeE1ES0_Li32ELi64ELi256ELb1ELi4EEvPKT_PKT0_S8_ifPKiSA_SA_iPKfiiiPfSD_PS3_PT2_iSC_SC_,comdat
.Lfunc_end1211:
	.size	_Z38paged_attention_ll4mi_QKV_mfma4_kernelI14__hip_bfloat16hLN4vllm18Fp8KVCacheDataTypeE1ES0_Li32ELi64ELi256ELb1ELi4EEvPKT_PKT0_S8_ifPKiSA_SA_iPKfiiiPfSD_PS3_PT2_iSC_SC_, .Lfunc_end1211-_Z38paged_attention_ll4mi_QKV_mfma4_kernelI14__hip_bfloat16hLN4vllm18Fp8KVCacheDataTypeE1ES0_Li32ELi64ELi256ELb1ELi4EEvPKT_PKT0_S8_ifPKiSA_SA_iPKfiiiPfSD_PS3_PT2_iSC_SC_
                                        ; -- End function
	.section	.AMDGPU.csdata,"",@progbits
; Kernel info:
; codeLenInByte = 4140
; NumSgprs: 51
; NumVgprs: 82
; NumAgprs: 4
; TotalNumVgprs: 88
; ScratchSize: 0
; MemoryBound: 0
; FloatMode: 240
; IeeeMode: 1
; LDSByteSize: 2720 bytes/workgroup (compile time only)
; SGPRBlocks: 6
; VGPRBlocks: 10
; NumSGPRsForWavesPerEU: 51
; NumVGPRsForWavesPerEU: 88
; AccumOffset: 84
; Occupancy: 5
; WaveLimiterHint : 1
; COMPUTE_PGM_RSRC2:SCRATCH_EN: 0
; COMPUTE_PGM_RSRC2:USER_SGPR: 2
; COMPUTE_PGM_RSRC2:TRAP_HANDLER: 0
; COMPUTE_PGM_RSRC2:TGID_X_EN: 1
; COMPUTE_PGM_RSRC2:TGID_Y_EN: 1
; COMPUTE_PGM_RSRC2:TGID_Z_EN: 1
; COMPUTE_PGM_RSRC2:TIDIG_COMP_CNT: 0
; COMPUTE_PGM_RSRC3_GFX90A:ACCUM_OFFSET: 20
; COMPUTE_PGM_RSRC3_GFX90A:TG_SPLIT: 0
	.section	.text._Z39paged_attention_ll4mi_QKV_mfma16_kernelI14__hip_bfloat16hLN4vllm18Fp8KVCacheDataTypeE1ES0_Li32ELi64ELi256ELb1ELi5EEvPKT_PKT0_S8_ifPKiSA_SA_iPKfiiiPfSD_PS3_PT2_iSC_SC_,"axG",@progbits,_Z39paged_attention_ll4mi_QKV_mfma16_kernelI14__hip_bfloat16hLN4vllm18Fp8KVCacheDataTypeE1ES0_Li32ELi64ELi256ELb1ELi5EEvPKT_PKT0_S8_ifPKiSA_SA_iPKfiiiPfSD_PS3_PT2_iSC_SC_,comdat
	.protected	_Z39paged_attention_ll4mi_QKV_mfma16_kernelI14__hip_bfloat16hLN4vllm18Fp8KVCacheDataTypeE1ES0_Li32ELi64ELi256ELb1ELi5EEvPKT_PKT0_S8_ifPKiSA_SA_iPKfiiiPfSD_PS3_PT2_iSC_SC_ ; -- Begin function _Z39paged_attention_ll4mi_QKV_mfma16_kernelI14__hip_bfloat16hLN4vllm18Fp8KVCacheDataTypeE1ES0_Li32ELi64ELi256ELb1ELi5EEvPKT_PKT0_S8_ifPKiSA_SA_iPKfiiiPfSD_PS3_PT2_iSC_SC_
	.globl	_Z39paged_attention_ll4mi_QKV_mfma16_kernelI14__hip_bfloat16hLN4vllm18Fp8KVCacheDataTypeE1ES0_Li32ELi64ELi256ELb1ELi5EEvPKT_PKT0_S8_ifPKiSA_SA_iPKfiiiPfSD_PS3_PT2_iSC_SC_
	.p2align	8
	.type	_Z39paged_attention_ll4mi_QKV_mfma16_kernelI14__hip_bfloat16hLN4vllm18Fp8KVCacheDataTypeE1ES0_Li32ELi64ELi256ELb1ELi5EEvPKT_PKT0_S8_ifPKiSA_SA_iPKfiiiPfSD_PS3_PT2_iSC_SC_,@function
_Z39paged_attention_ll4mi_QKV_mfma16_kernelI14__hip_bfloat16hLN4vllm18Fp8KVCacheDataTypeE1ES0_Li32ELi64ELi256ELb1ELi5EEvPKT_PKT0_S8_ifPKiSA_SA_iPKfiiiPfSD_PS3_PT2_iSC_SC_: ; @_Z39paged_attention_ll4mi_QKV_mfma16_kernelI14__hip_bfloat16hLN4vllm18Fp8KVCacheDataTypeE1ES0_Li32ELi64ELi256ELb1ELi5EEvPKT_PKT0_S8_ifPKiSA_SA_iPKfiiiPfSD_PS3_PT2_iSC_SC_
; %bb.0:
	s_load_dwordx2 s[6:7], s[0:1], 0x30
	s_mov_b32 s28, s3
	s_mov_b64 s[8:9], 0
	s_waitcnt lgkmcnt(0)
	s_cmp_lg_u64 s[6:7], 0
	s_cselect_b64 s[10:11], -1, 0
	s_and_b64 vcc, exec, s[10:11]
	s_cbranch_vccz .LBB1212_7
; %bb.1:
	s_add_i32 s12, s2, 1
	s_mov_b32 s13, 0
	s_lshl_b64 s[14:15], s[12:13], 2
	s_add_u32 s14, s6, s14
	s_mov_b32 s3, s13
	s_addc_u32 s15, s7, s15
	s_lshl_b64 s[12:13], s[2:3], 2
	s_add_u32 s12, s6, s12
	s_addc_u32 s13, s7, s13
	s_load_dword s5, s[14:15], 0x0
	s_load_dword s16, s[12:13], 0x0
	s_waitcnt lgkmcnt(0)
	s_sub_i32 s5, s5, s16
	s_cmp_eq_u32 s5, 1
	s_cselect_b64 s[12:13], -1, 0
	s_andn2_b64 vcc, exec, s[8:9]
	s_cbranch_vccnz .LBB1212_3
.LBB1212_2:
	s_mov_b32 s3, 0
	s_mov_b64 s[12:13], -1
.LBB1212_3:
	s_andn2_b64 vcc, exec, s[12:13]
	s_cbranch_vccnz .LBB1212_20
; %bb.4:
	s_load_dwordx2 s[8:9], s[0:1], 0x28
	s_lshl_b64 s[12:13], s[2:3], 2
	s_waitcnt lgkmcnt(0)
	s_add_u32 s8, s8, s12
	s_addc_u32 s9, s9, s13
	s_load_dword s29, s[8:9], 0x0
	s_lshl_b32 s16, s28, 8
	s_waitcnt lgkmcnt(0)
	s_cmp_ge_i32 s16, s29
	s_cbranch_scc1 .LBB1212_20
; %bb.5:
	s_load_dwordx2 s[8:9], s[0:1], 0x20
	s_load_dword s5, s[0:1], 0x38
	s_add_i32 s14, s29, 31
	s_ashr_i32 s15, s14, 31
	v_and_b32_e32 v1, 0xcf, v0
	s_lshr_b32 s15, s15, 27
	v_add_u32_e32 v1, s16, v1
	s_add_i32 s14, s14, s15
	v_ashrrev_i32_e32 v2, 31, v1
	s_ashr_i32 s17, s14, 5
	v_lshrrev_b32_e32 v4, 27, v2
	s_add_i32 s17, s17, -1
	s_waitcnt lgkmcnt(0)
	s_mul_i32 s14, s2, s5
	s_mov_b32 s15, 0
	v_add_u32_e32 v2, v1, v4
	s_lshl_b64 s[14:15], s[14:15], 2
	v_ashrrev_i32_e32 v2, 5, v2
	v_mov_b32_e32 v5, s17
	v_cmp_gt_i32_e32 vcc, s29, v1
	s_add_u32 s8, s8, s14
	s_addc_u32 s9, s9, s15
	v_cndmask_b32_e32 v2, v5, v2, vcc
	v_ashrrev_i32_e32 v3, 31, v2
	v_lshl_add_u64 v[6:7], v[2:3], 2, s[8:9]
	v_or_b32_e32 v2, 16, v1
	v_add_u32_e32 v3, v2, v4
	v_ashrrev_i32_e32 v3, 5, v3
	v_cmp_gt_i32_e32 vcc, s29, v2
	s_load_dwordx2 s[14:15], s[0:1], 0x8
	s_nop 0
	v_cndmask_b32_e32 v2, v5, v3, vcc
	v_ashrrev_i32_e32 v3, 31, v2
	v_lshl_add_u64 v[8:9], v[2:3], 2, s[8:9]
	v_or_b32_e32 v2, 32, v1
	v_add_u32_e32 v3, v2, v4
	v_ashrrev_i32_e32 v3, 5, v3
	v_cmp_gt_i32_e32 vcc, s29, v2
	v_or_b32_e32 v1, 48, v1
	s_nop 0
	v_cndmask_b32_e32 v2, v5, v3, vcc
	v_ashrrev_i32_e32 v3, 31, v2
	v_lshl_add_u64 v[10:11], v[2:3], 2, s[8:9]
	v_add_u32_e32 v2, v1, v4
	v_ashrrev_i32_e32 v2, 5, v2
	v_cmp_gt_i32_e32 vcc, s29, v1
	s_nop 1
	v_cndmask_b32_e32 v2, v5, v2, vcc
	v_ashrrev_i32_e32 v3, 31, v2
	v_lshl_add_u64 v[12:13], v[2:3], 2, s[8:9]
	global_load_dword v5, v[6:7], off
	global_load_dword v4, v[8:9], off
	;; [unrolled: 1-line block ×4, first 2 shown]
	s_andn2_b64 vcc, exec, s[10:11]
	s_cbranch_vccnz .LBB1212_8
; %bb.6:
	s_add_u32 s6, s6, s12
	s_addc_u32 s7, s7, s13
	s_load_dword s5, s[6:7], 0x0
	s_branch .LBB1212_9
.LBB1212_7:
	s_mov_b64 s[12:13], 0
	s_branch .LBB1212_2
.LBB1212_8:
	s_mov_b32 s5, s2
.LBB1212_9:
	s_load_dwordx2 s[10:11], s[0:1], 0x10
	s_load_dwordx4 s[44:47], s[0:1], 0x48
	v_lshrrev_b32_e32 v29, 6, v0
	v_bfe_u32 v42, v0, 4, 2
	v_lshl_or_b32 v6, v29, 2, v42
	v_and_b32_e32 v28, 15, v0
	v_lshlrev_b32_e32 v1, 3, v28
	v_cmp_gt_u32_e32 vcc, 5, v6
	v_cmp_gt_u32_e64 s[30:31], 8, v28
	s_mul_i32 s48, s4, 5
	s_and_b64 s[12:13], s[30:31], vcc
	v_lshlrev_b32_e32 v26, 1, v1
	v_lshlrev_b32_e32 v1, 4, v0
	s_and_saveexec_b64 s[6:7], s[12:13]
	s_cbranch_execz .LBB1212_11
; %bb.10:
	s_load_dwordx2 s[12:13], s[0:1], 0x0
	s_waitcnt lgkmcnt(0)
	s_ashr_i32 s18, s44, 31
	s_mul_hi_u32 s19, s5, s44
	s_mul_i32 s18, s5, s18
	s_add_i32 s19, s19, s18
	s_mul_i32 s18, s5, s44
	s_lshl_b64 s[18:19], s[18:19], 1
	s_add_u32 s12, s12, s18
	v_add_lshl_u32 v8, v6, s48, 6
	s_addc_u32 s13, s13, s19
	v_ashrrev_i32_e32 v9, 31, v8
	v_lshl_add_u64 v[8:9], v[8:9], 1, s[12:13]
	v_mov_b32_e32 v27, 0
	v_lshl_add_u64 v[8:9], v[8:9], 0, v[26:27]
	global_load_dwordx4 v[8:11], v[8:9], off
	v_lshlrev_b32_e32 v12, 8, v28
	v_lshlrev_b32_e32 v6, 5, v6
	v_and_b32_e32 v7, 16, v1
	v_and_b32_e32 v12, 0xe00, v12
	v_or3_b32 v6, v12, v6, v7
	s_waitcnt vmcnt(0)
	ds_write_b128 v6, v[8:11]
.LBB1212_11:
	s_or_b64 exec, exec, s[6:7]
	s_waitcnt lgkmcnt(0)
	s_mul_i32 s12, s4, s46
	s_add_u32 s4, s14, s12
	s_addc_u32 s5, s15, 0
	v_mov_b32_e32 v31, 0
	v_mov_b64_e32 v[6:7], s[4:5]
	v_lshlrev_b32_e32 v10, 4, v28
	v_and_b32_e32 v27, 48, v0
	s_waitcnt vmcnt(3)
	v_mad_i64_i32 v[8:9], s[4:5], v5, s45, v[6:7]
	v_mov_b32_e32 v11, v31
	s_waitcnt vmcnt(2)
	v_mad_i64_i32 v[4:5], s[4:5], v4, s45, v[6:7]
	v_or_b32_e32 v12, 0x100, v10
	v_mov_b32_e32 v13, v31
	v_lshlrev_b32_e32 v30, 5, v27
	v_lshl_add_u64 v[8:9], v[8:9], 0, v[10:11]
	v_lshl_add_u64 v[4:5], v[4:5], 0, v[12:13]
	;; [unrolled: 1-line block ×4, first 2 shown]
	s_barrier
	global_load_dwordx4 v[22:25], v[8:9], off
	global_load_dwordx4 v[18:21], v[4:5], off
	s_waitcnt vmcnt(3)
	v_mad_i64_i32 v[4:5], s[4:5], v3, s45, v[6:7]
	v_lshl_add_u64 v[4:5], v[4:5], 0, v[10:11]
	s_waitcnt vmcnt(2)
	v_mad_i64_i32 v[2:3], s[4:5], v2, s45, v[6:7]
	v_lshl_add_u64 v[4:5], v[4:5], 0, v[30:31]
	v_lshl_add_u64 v[2:3], v[2:3], 0, v[12:13]
	;; [unrolled: 1-line block ×3, first 2 shown]
	global_load_dwordx4 v[14:17], v[4:5], off
	global_load_dwordx4 v[6:9], v[2:3], off
	v_mul_lo_u16_e32 v2, 52, v28
	v_mov_b32_e32 v3, 5
	v_mul_lo_u16_sdwa v2, v2, v3 dst_sel:DWORD dst_unused:UNUSED_PAD src0_sel:BYTE_1 src1_sel:DWORD
	v_sub_u16_e32 v2, v28, v2
	v_lshlrev_b32_sdwa v2, v3, v2 dst_sel:DWORD dst_unused:UNUSED_PAD src0_sel:DWORD src1_sel:BYTE_0
	v_lshl_add_u32 v2, v42, 9, v2
	ds_read_b128 v[10:13], v2
	ds_read_b128 v[2:5], v2 offset:16
	v_and_b32_e32 v43, 63, v0
	v_cmp_gt_u32_e32 vcc, 5, v28
	v_mov_b32_e32 v44, 0
	s_and_saveexec_b64 s[4:5], vcc
	s_cbranch_execz .LBB1212_13
; %bb.12:
	s_load_dwordx2 s[6:7], s[0:1], 0x40
	v_add_u32_e32 v32, s48, v28
	v_ashrrev_i32_e32 v33, 31, v32
	s_waitcnt lgkmcnt(0)
	v_lshl_add_u64 v[32:33], v[32:33], 2, s[6:7]
	global_load_dword v44, v[32:33], off
.LBB1212_13:
	s_or_b64 exec, exec, s[4:5]
	s_ashr_i32 s4, s16, 31
	v_or_b32_e32 v45, s16, v27
	s_lshr_b32 s13, s4, 27
	v_add_u32_e32 v27, s13, v45
	v_ashrrev_i32_e32 v27, 5, v27
	s_waitcnt vmcnt(3)
	v_cvt_pk_f32_fp8_e32 v[34:35], v22
	v_cvt_pk_f32_fp8_sdwa v[36:37], v22 src0_sel:WORD_1
	s_waitcnt vmcnt(2)
	v_cvt_pk_f32_fp8_e32 v[56:57], v20
	v_cvt_pk_f32_fp8_sdwa v[58:59], v20 src0_sel:WORD_1
	v_mov_b32_e32 v20, s17
	v_cmp_gt_i32_e32 vcc, s29, v45
	v_cvt_pk_f32_fp8_e32 v[48:49], v18
	v_cvt_pk_f32_fp8_sdwa v[50:51], v18 src0_sel:WORD_1
	v_cndmask_b32_e32 v18, v20, v27, vcc
	v_cvt_pk_f32_fp8_e32 v[52:53], v19
	v_cvt_pk_f32_fp8_sdwa v[54:55], v19 src0_sel:WORD_1
	v_ashrrev_i32_e32 v19, 31, v18
	v_lshl_add_u64 v[18:19], v[18:19], 2, s[8:9]
	s_mov_b32 s33, 0x7060302
	v_cvt_pk_f32_fp8_e32 v[32:33], v23
	v_cvt_pk_f32_fp8_sdwa v[22:23], v23 src0_sel:WORD_1
	global_load_dword v70, v[18:19], off
	v_perm_b32 v18, v35, v34, s33
	v_perm_b32 v19, v37, v36, s33
	v_cvt_pk_f32_fp8_e32 v[60:61], v21
	v_cvt_pk_f32_fp8_sdwa v[62:63], v21 src0_sel:WORD_1
	v_or_b32_e32 v21, 64, v45
	v_or_b32_e32 v34, 0x80, v45
	v_or_b32_e32 v35, 0xc0, v45
	v_cmp_gt_i32_e32 vcc, s29, v21
	v_add_u32_e32 v21, s13, v21
	v_cmp_gt_i32_e64 s[4:5], s29, v34
	v_add_u32_e32 v34, s13, v34
	v_cmp_gt_i32_e64 s[6:7], s29, v35
	v_add_u32_e32 v35, s13, v35
	v_cvt_pk_f32_fp8_e32 v[38:39], v24
	v_cvt_pk_f32_fp8_sdwa v[40:41], v24 src0_sel:WORD_1
	v_cvt_pk_f32_fp8_e32 v[46:47], v25
	v_ashrrev_i32_e32 v21, 5, v21
	v_ashrrev_i32_e32 v34, 5, v34
	;; [unrolled: 1-line block ×3, first 2 shown]
	v_perm_b32 v32, v33, v32, s33
	v_perm_b32 v33, v23, v22, s33
	;; [unrolled: 1-line block ×4, first 2 shown]
	v_cvt_pk_f32_fp8_sdwa v[24:25], v25 src0_sel:WORD_1
	v_cndmask_b32_e32 v36, v20, v21, vcc
	v_cndmask_b32_e64 v64, v20, v34, s[4:5]
	v_cndmask_b32_e64 v66, v20, v35, s[6:7]
	s_waitcnt lgkmcnt(1)
	v_mfma_f32_16x16x16_bf16 v[18:21], v[18:19], v[10:11], 0
	v_perm_b32 v38, v39, v38, s33
	v_perm_b32 v39, v41, v40, s33
	;; [unrolled: 1-line block ×5, first 2 shown]
	s_load_dword s14, s[0:1], 0x1c
	s_load_dwordx4 s[40:43], s[0:1], 0x80
	v_perm_b32 v69, v25, v24, s33
	v_mfma_f32_16x16x16_bf16 v[22:25], v[22:23], v[10:11], 0
	s_add_u32 s10, s10, s12
	v_and_b32_e32 v30, 16, v0
	v_lshlrev_b32_e32 v27, 5, v28
	v_mfma_f32_16x16x16_bf16 v[32:35], v[32:33], v[12:13], v[18:21]
	s_addc_u32 s11, s11, 0
	v_lshl_add_u64 v[40:41], s[10:11], 0, v[30:31]
	v_lshl_or_b32 v30, v29, 9, v27
	v_ashrrev_i32_e32 v37, 31, v36
	v_ashrrev_i32_e32 v65, 31, v64
	;; [unrolled: 1-line block ×3, first 2 shown]
	v_perm_b32 v48, v57, v56, s33
	v_perm_b32 v49, v59, v58, s33
	v_mfma_f32_16x16x16_bf16 v[20:23], v[46:47], v[12:13], v[22:25]
	v_lshl_add_u64 v[18:19], v[40:41], 0, v[30:31]
	s_waitcnt lgkmcnt(0)
	s_load_dword s6, s[40:41], 0x0
	v_perm_b32 v50, v61, v60, s33
	v_mfma_f32_16x16x16_bf16 v[30:33], v[38:39], v[2:3], v[32:35]
	v_lshl_add_u64 v[24:25], v[36:37], 2, s[8:9]
	v_lshl_add_u64 v[36:37], v[66:67], 2, s[8:9]
	v_perm_b32 v51, v63, v62, s33
	v_lshl_add_u64 v[34:35], v[64:65], 2, s[8:9]
	global_load_dword v47, v[24:25], off
	global_load_dword v45, v[34:35], off
	;; [unrolled: 1-line block ×3, first 2 shown]
	s_waitcnt vmcnt(5)
	v_cvt_pk_f32_fp8_e32 v[34:35], v14
	v_cvt_pk_f32_fp8_sdwa v[36:37], v14 src0_sel:WORD_1
	v_mfma_f32_16x16x16_bf16 v[20:23], v[48:49], v[2:3], v[20:23]
	v_cvt_pk_f32_fp8_e32 v[38:39], v15
	v_perm_b32 v34, v35, v34, s33
	v_perm_b32 v35, v37, v36, s33
	v_cvt_pk_f32_fp8_sdwa v[14:15], v15 src0_sel:WORD_1
	v_mov_b32_e32 v40, s14
	s_waitcnt lgkmcnt(0)
	v_mul_f32_e32 v48, s6, v40
	v_mfma_f32_16x16x16_bf16 v[20:23], v[50:51], v[4:5], v[20:23]
	v_perm_b32 v38, v39, v38, s33
	v_cvt_pk_f32_fp8_e32 v[40:41], v16
	v_cvt_pk_f32_fp8_sdwa v[50:51], v16 src0_sel:WORD_1
	v_perm_b32 v39, v15, v14, s33
	v_mfma_f32_16x16x16_bf16 v[34:37], v[34:35], v[10:11], 0
	v_perm_b32 v40, v41, v40, s33
	v_perm_b32 v41, v51, v50, s33
	v_cvt_pk_f32_fp8_e32 v[50:51], v17
	v_cvt_pk_f32_fp8_sdwa v[52:53], v17 src0_sel:WORD_1
	v_mfma_f32_16x16x16_bf16 v[30:33], v[68:69], v[4:5], v[30:33]
	s_mov_b32 s44, 0xff7fffff
	s_waitcnt vmcnt(3)
	v_mad_i64_i32 v[24:25], s[4:5], v70, s45, v[18:19]
	v_mfma_f32_16x16x16_bf16 v[14:17], v[38:39], v[12:13], v[34:37]
	s_nop 2
	v_perm_b32 v34, v51, v50, s33
	v_perm_b32 v35, v53, v52, s33
	v_mfma_f32_16x16x16_bf16 v[14:17], v[40:41], v[2:3], v[14:17]
	v_pk_mul_f32 v[38:39], v[48:49], v[30:31] op_sel_hi:[0,1]
	v_cvt_pk_f32_fp8_e32 v[30:31], v6
	v_cvt_pk_f32_fp8_sdwa v[36:37], v6 src0_sel:WORD_1
	v_mfma_f32_16x16x16_bf16 v[14:17], v[34:35], v[4:5], v[14:17]
	v_cvt_pk_f32_fp8_e32 v[34:35], v7
	v_perm_b32 v30, v31, v30, s33
	v_perm_b32 v31, v37, v36, s33
	v_cvt_pk_f32_fp8_sdwa v[6:7], v7 src0_sel:WORD_1
	v_perm_b32 v40, v35, v34, s33
	v_cvt_pk_f32_fp8_e32 v[50:51], v8
	v_cvt_pk_f32_fp8_sdwa v[52:53], v8 src0_sel:WORD_1
	v_perm_b32 v41, v7, v6, s33
	v_mfma_f32_16x16x16_bf16 v[34:37], v[30:31], v[10:11], 0
	v_perm_b32 v10, v51, v50, s33
	v_perm_b32 v11, v53, v52, s33
	v_cvt_pk_f32_fp8_e32 v[30:31], v9
	v_cvt_pk_f32_fp8_sdwa v[50:51], v9 src0_sel:WORD_1
	v_mfma_f32_16x16x16_bf16 v[6:9], v[40:41], v[12:13], v[34:37]
	v_pk_mul_f32 v[40:41], v[48:49], v[20:21] op_sel_hi:[0,1]
	v_perm_b32 v12, v31, v30, s33
	v_perm_b32 v13, v51, v50, s33
	v_mfma_f32_16x16x16_bf16 v[6:9], v[10:11], v[2:3], v[6:9]
	v_pk_mul_f32 v[36:37], v[48:49], v[22:23] op_sel_hi:[0,1]
	v_pk_mul_f32 v[32:33], v[48:49], v[32:33] op_sel_hi:[0,1]
	;; [unrolled: 1-line block ×3, first 2 shown]
	v_mfma_f32_16x16x16_bf16 v[2:5], v[12:13], v[4:5], v[6:9]
	v_pk_mul_f32 v[34:35], v[48:49], v[14:15] op_sel_hi:[0,1]
	s_nop 5
	v_pk_mul_f32 v[22:23], v[48:49], v[2:3] op_sel_hi:[0,1]
	v_and_b32_e32 v2, 0xc0, v0
	v_add_u32_e32 v2, s16, v2
	v_lshl_or_b32 v2, v42, 2, v2
	v_or_b32_e32 v3, 1, v2
	v_pk_mul_f32 v[20:21], v[48:49], v[4:5] op_sel_hi:[0,1]
	v_subrev_u32_e32 v4, s29, v3
	v_add_u32_e32 v6, 1, v4
	v_add_u32_e32 v7, 2, v4
	;; [unrolled: 1-line block ×3, first 2 shown]
	v_cvt_f32_i32_e32 v6, v6
	v_cvt_f32_i32_e32 v7, v7
	;; [unrolled: 1-line block ×3, first 2 shown]
	v_add_u32_e32 v9, 19, v4
	v_fmac_f32_e32 v39, v44, v6
	v_fma_f32 v32, v44, v7, v32
	v_fmac_f32_e32 v33, v44, v8
	v_add_u32_e32 v6, 16, v4
	v_add_u32_e32 v7, 17, v4
	;; [unrolled: 1-line block ×3, first 2 shown]
	v_cvt_f32_i32_e32 v6, v6
	v_cvt_f32_i32_e32 v7, v7
	;; [unrolled: 1-line block ×4, first 2 shown]
	v_fma_f32 v40, v44, v6, v40
	v_fmac_f32_e32 v41, v44, v7
	v_fma_f32 v36, v44, v8, v36
	v_add_u32_e32 v6, 32, v4
	v_add_u32_e32 v7, 33, v4
	;; [unrolled: 1-line block ×3, first 2 shown]
	v_cvt_f32_i32_e32 v6, v6
	v_cvt_f32_i32_e32 v7, v7
	;; [unrolled: 1-line block ×4, first 2 shown]
	v_fmac_f32_e32 v37, v44, v9
	v_add_u32_e32 v9, 35, v4
	v_fma_f32 v48, v44, v6, v34
	v_fmac_f32_e32 v35, v44, v7
	v_fma_f32 v30, v44, v8, v30
	v_add_u32_e32 v6, 48, v4
	v_add_u32_e32 v7, 49, v4
	;; [unrolled: 1-line block ×4, first 2 shown]
	v_cvt_f32_i32_e32 v4, v4
	v_cvt_f32_i32_e32 v6, v6
	;; [unrolled: 1-line block ×3, first 2 shown]
	v_fma_f32 v5, v44, v5, v38
	v_fmac_f32_e32 v21, v44, v4
	v_mov_b32_e32 v4, 0xff7fffff
	v_cmp_gt_i32_e64 s[4:5], s29, v2
	v_cmp_gt_i32_e64 s[34:35], s29, v3
	v_fma_f32 v22, v44, v6, v22
	v_cndmask_b32_e64 v6, v4, v5, s[4:5]
	v_cndmask_b32_e64 v3, v4, v39, s[34:35]
	v_fmac_f32_e32 v23, v44, v7
	v_max3_f32 v3, v6, s44, v3
	v_or_b32_e32 v6, 2, v2
	v_or_b32_e32 v7, 3, v2
	v_cmp_gt_i32_e64 s[36:37], s29, v6
	v_cmp_gt_i32_e64 s[38:39], s29, v7
	v_cvt_f32_i32_e32 v9, v9
	v_cndmask_b32_e64 v6, v4, v32, s[36:37]
	v_cndmask_b32_e64 v7, v4, v33, s[38:39]
	v_max3_f32 v3, v3, v6, v7
	v_or_b32_e32 v6, 16, v2
	v_or_b32_e32 v7, 17, v2
	v_cmp_gt_i32_e64 s[24:25], s29, v6
	v_cmp_gt_i32_e64 s[26:27], s29, v7
	v_fmac_f32_e32 v31, v44, v9
	v_cndmask_b32_e64 v6, v4, v40, s[24:25]
	v_cndmask_b32_e64 v7, v4, v41, s[26:27]
	v_max3_f32 v3, v3, v6, v7
	v_or_b32_e32 v6, 18, v2
	v_or_b32_e32 v7, 19, v2
	v_cmp_gt_i32_e64 s[20:21], s29, v6
	v_cmp_gt_i32_e64 s[22:23], s29, v7
	v_cvt_f32_i32_e32 v8, v8
	v_cndmask_b32_e64 v6, v4, v36, s[20:21]
	v_cndmask_b32_e64 v7, v4, v37, s[22:23]
	v_max3_f32 v3, v3, v6, v7
	v_or_b32_e32 v6, 32, v2
	v_or_b32_e32 v7, 33, v2
	v_cmp_gt_i32_e64 s[16:17], s29, v6
	v_cmp_gt_i32_e64 s[18:19], s29, v7
	v_fma_f32 v20, v44, v8, v20
	v_cndmask_b32_e64 v6, v4, v48, s[16:17]
	v_cndmask_b32_e64 v7, v4, v35, s[18:19]
	v_max3_f32 v3, v3, v6, v7
	v_or_b32_e32 v6, 34, v2
	v_or_b32_e32 v7, 35, v2
	v_cmp_gt_i32_e64 s[12:13], s29, v6
	v_cmp_gt_i32_e64 s[14:15], s29, v7
	s_nop 0
	v_cndmask_b32_e64 v6, v4, v30, s[12:13]
	v_cndmask_b32_e64 v7, v4, v31, s[14:15]
	v_max3_f32 v3, v3, v6, v7
	v_or_b32_e32 v6, 48, v2
	v_or_b32_e32 v7, 49, v2
	v_cmp_gt_i32_e64 s[8:9], s29, v6
	v_cmp_gt_i32_e64 s[10:11], s29, v7
	s_nop 0
	v_cndmask_b32_e64 v6, v4, v22, s[8:9]
	v_cndmask_b32_e64 v7, v4, v23, s[10:11]
	v_max3_f32 v3, v3, v6, v7
	v_or_b32_e32 v6, 50, v2
	v_or_b32_e32 v2, 51, v2
	v_cmp_gt_i32_e32 vcc, s29, v6
	v_cmp_gt_i32_e64 s[6:7], s29, v2
	s_nop 0
	v_cndmask_b32_e32 v6, v4, v20, vcc
	v_cndmask_b32_e64 v2, v4, v21, s[6:7]
	v_max3_f32 v4, v3, v6, v2
	v_mbcnt_lo_u32_b32 v2, -1, 0
	v_mbcnt_hi_u32_b32 v6, -1, v2
	v_and_b32_e32 v2, 64, v6
	v_add_u32_e32 v7, 64, v2
	v_xor_b32_e32 v2, 32, v6
	v_cmp_lt_i32_e64 s[40:41], v2, v7
	s_nop 1
	v_cndmask_b32_e64 v2, v6, v2, s[40:41]
	v_lshlrev_b32_e32 v44, 2, v2
	ds_bpermute_b32 v8, v44, v4
	s_waitcnt vmcnt(2)
	v_mad_i64_i32 v[2:3], s[40:41], v47, s45, v[18:19]
	global_load_dwordx4 v[14:17], v[24:25], off
	global_load_dwordx4 v[10:13], v[2:3], off
	v_xor_b32_e32 v3, 16, v6
	v_cmp_lt_i32_e64 s[40:41], v3, v7
	s_waitcnt lgkmcnt(0)
	v_max_f32_e32 v2, v8, v8
	v_max_f32_e32 v2, v4, v2
	v_cndmask_b32_e64 v3, v6, v3, s[40:41]
	v_lshlrev_b32_e32 v47, 2, v3
	ds_bpermute_b32 v3, v47, v2
	s_waitcnt vmcnt(3)
	v_mad_i64_i32 v[24:25], s[40:41], v45, s45, v[18:19]
	s_waitcnt vmcnt(2)
	v_mad_i64_i32 v[18:19], s[40:41], v46, s45, v[18:19]
	s_waitcnt lgkmcnt(0)
	v_max_f32_e32 v3, v3, v3
	v_max_f32_e32 v34, v2, v3
	v_sub_f32_e32 v2, v5, v34
	v_mul_f32_e32 v2, 0x3fb8aa3b, v2
	v_exp_f32_e32 v38, v2
	v_sub_f32_e32 v2, v39, v34
	v_mul_f32_e32 v2, 0x3fb8aa3b, v2
	v_exp_f32_e32 v39, v2
	global_load_dwordx4 v[6:9], v[24:25], off
	global_load_dwordx4 v[2:5], v[18:19], off
	v_sub_f32_e32 v25, v32, v34
	v_sub_f32_e32 v32, v33, v34
	v_mul_f32_e32 v25, 0x3fb8aa3b, v25
	v_mul_f32_e32 v32, 0x3fb8aa3b, v32
	v_exp_f32_e32 v25, v25
	v_exp_f32_e32 v32, v32
	v_cndmask_b32_e64 v18, 0, v38, s[4:5]
	v_cndmask_b32_e64 v19, 0, v39, s[34:35]
	v_cndmask_b32_e64 v38, 0, v25, s[36:37]
	v_cndmask_b32_e64 v39, 0, v32, s[38:39]
	v_sub_f32_e32 v25, v40, v34
	v_sub_f32_e32 v32, v41, v34
	v_mul_f32_e32 v25, 0x3fb8aa3b, v25
	v_mul_f32_e32 v32, 0x3fb8aa3b, v32
	v_exp_f32_e32 v25, v25
	v_exp_f32_e32 v32, v32
	v_add_f32_e32 v24, 0, v18
	v_add_f32_e32 v24, v24, v19
	;; [unrolled: 1-line block ×4, first 2 shown]
	v_cndmask_b32_e64 v24, 0, v25, s[24:25]
	v_cndmask_b32_e64 v25, 0, v32, s[26:27]
	v_sub_f32_e32 v32, v36, v34
	v_mul_f32_e32 v32, 0x3fb8aa3b, v32
	v_exp_f32_e32 v32, v32
	v_sub_f32_e32 v36, v37, v34
	v_add_f32_e32 v33, v33, v24
	v_mul_f32_e32 v36, 0x3fb8aa3b, v36
	v_exp_f32_e32 v37, v36
	v_add_f32_e32 v33, v33, v25
	v_cndmask_b32_e64 v36, 0, v32, s[20:21]
	v_add_f32_e32 v32, v33, v36
	v_sub_f32_e32 v33, v48, v34
	v_mul_f32_e32 v33, 0x3fb8aa3b, v33
	v_sub_f32_e32 v35, v35, v34
	v_exp_f32_e32 v33, v33
	v_mul_f32_e32 v35, 0x3fb8aa3b, v35
	v_sub_f32_e32 v30, v30, v34
	v_exp_f32_e32 v35, v35
	;; [unrolled: 3-line block ×3, first 2 shown]
	v_mul_f32_e32 v31, 0x3fb8aa3b, v31
	v_sub_f32_e32 v22, v22, v34
	v_cndmask_b32_e64 v37, 0, v37, s[22:23]
	v_exp_f32_e32 v31, v31
	v_mul_f32_e32 v22, 0x3fb8aa3b, v22
	v_sub_f32_e32 v23, v23, v34
	v_add_f32_e32 v40, v32, v37
	v_cndmask_b32_e64 v32, 0, v33, s[16:17]
	v_exp_f32_e32 v22, v22
	v_mul_f32_e32 v23, 0x3fb8aa3b, v23
	v_sub_f32_e32 v20, v20, v34
	v_add_f32_e32 v40, v40, v32
	;; [unrolled: 5-line block ×3, first 2 shown]
	v_cndmask_b32_e64 v30, 0, v30, s[12:13]
	v_exp_f32_e32 v20, v20
	v_mul_f32_e32 v21, 0x3fb8aa3b, v21
	v_add_f32_e32 v35, v35, v30
	v_cndmask_b32_e64 v31, 0, v31, s[14:15]
	v_exp_f32_e32 v21, v21
	v_add_f32_e32 v35, v35, v31
	v_cndmask_b32_e64 v22, 0, v22, s[8:9]
	v_add_f32_e32 v35, v35, v22
	v_cndmask_b32_e64 v23, 0, v23, s[10:11]
	v_add_f32_e32 v35, v35, v23
	v_cndmask_b32_e32 v20, 0, v20, vcc
	v_add_f32_e32 v35, v35, v20
	v_cndmask_b32_e64 v21, 0, v21, s[6:7]
	v_add_f32_e32 v35, v35, v21
	ds_bpermute_b32 v40, v44, v35
	s_load_dword s9, s[0:1], 0x98
	v_cmp_gt_u32_e64 s[6:7], 16, v43
	s_waitcnt lgkmcnt(0)
	s_barrier
	v_add_f32_e32 v40, v35, v40
	ds_bpermute_b32 v41, v47, v40
	v_lshlrev_b32_e32 v35, 2, v28
	s_waitcnt lgkmcnt(0)
	s_and_saveexec_b64 s[4:5], s[6:7]
	s_cbranch_execz .LBB1212_15
; %bb.14:
	v_add_f32_e32 v40, v40, v41
	v_lshl_or_b32 v41, v29, 6, v35
	ds_write2st64_b32 v41, v34, v40 offset1:1
.LBB1212_15:
	s_or_b64 exec, exec, s[4:5]
	s_load_dword s8, s[0:1], 0x94
	s_waitcnt lgkmcnt(0)
	s_barrier
	ds_read2_b32 v[40:41], v35 offset1:16
	ds_read2_b32 v[44:45], v35 offset0:32 offset1:48
	ds_read2_b32 v[46:47], v35 offset0:64 offset1:80
	s_movk_i32 s10, 0x7fff
	s_mul_i32 s9, s9, 5
	s_waitcnt lgkmcnt(2)
	v_max3_f32 v34, v40, s44, v41
	s_waitcnt lgkmcnt(1)
	v_max3_f32 v34, v34, v44, v45
	v_sub_f32_e32 v40, v40, v34
	v_mul_f32_e32 v40, 0x3fb8aa3b, v40
	v_exp_f32_e32 v43, v40
	v_sub_f32_e32 v40, v41, v34
	v_mul_f32_e32 v40, 0x3fb8aa3b, v40
	v_exp_f32_e32 v48, v40
	;; [unrolled: 3-line block ×3, first 2 shown]
	ds_read2_b32 v[40:41], v35 offset0:96 offset1:112
	v_sub_f32_e32 v35, v45, v34
	v_mul_f32_e32 v35, 0x3fb8aa3b, v35
	v_exp_f32_e32 v45, v35
	s_waitcnt lgkmcnt(1)
	v_fma_f32 v35, v43, v46, 0
	v_fmac_f32_e32 v35, v48, v47
	s_waitcnt lgkmcnt(0)
	v_fmac_f32_e32 v35, v44, v40
	v_fmac_f32_e32 v35, v45, v41
	v_add_f32_e32 v40, 0x358637bd, v35
	v_div_scale_f32 v41, s[4:5], v40, v40, 1.0
	v_rcp_f32_e32 v46, v41
	s_barrier
	v_fma_f32 v47, -v41, v46, 1.0
	v_fmac_f32_e32 v46, v47, v46
	v_div_scale_f32 v47, vcc, 1.0, v40, 1.0
	v_mul_f32_e32 v49, v47, v46
	v_fma_f32 v50, -v41, v49, v47
	v_fmac_f32_e32 v49, v50, v46
	v_fma_f32 v41, -v41, v49, v47
	v_div_fmas_f32 v41, v41, v46, v49
	v_cmp_eq_u32_e32 vcc, 1, v29
	v_div_fixup_f32 v40, v41, v40, 1.0
	s_nop 0
	v_cndmask_b32_e32 v41, v43, v48, vcc
	v_cmp_eq_u32_e32 vcc, 2, v29
	s_nop 1
	v_cndmask_b32_e32 v41, v41, v44, vcc
	v_cmp_eq_u32_e32 vcc, 3, v29
	s_nop 1
	v_cndmask_b32_e32 v41, v41, v45, vcc
	v_mul_f32_e32 v40, v41, v40
	v_pk_mul_f32 v[18:19], v[40:41], v[18:19] op_sel_hi:[0,1]
	v_pk_mul_f32 v[38:39], v[40:41], v[38:39] op_sel_hi:[0,1]
	v_bfe_u32 v41, v19, 16, 1
	v_bfe_u32 v43, v18, 16, 1
	v_add3_u32 v18, v18, v43, s10
	v_add3_u32 v19, v19, v41, s10
	v_perm_b32 v44, v19, v18, s33
	v_bfe_u32 v18, v39, 16, 1
	v_bfe_u32 v19, v38, 16, 1
	v_add3_u32 v19, v38, v19, s10
	v_add3_u32 v18, v39, v18, s10
	v_perm_b32 v45, v18, v19, s33
	v_lshlrev_b32_e32 v18, 3, v42
	v_lshlrev_b32_e32 v19, 11, v29
	v_pk_mul_f32 v[24:25], v[40:41], v[24:25] op_sel_hi:[0,1]
	v_or3_b32 v18, v19, v27, v18
	v_bfe_u32 v19, v25, 16, 1
	v_bfe_u32 v29, v24, 16, 1
	v_pk_mul_f32 v[36:37], v[40:41], v[36:37] op_sel_hi:[0,1]
	v_add3_u32 v24, v24, v29, s10
	v_add3_u32 v19, v25, v19, s10
	v_perm_b32 v24, v19, v24, s33
	v_bfe_u32 v19, v37, 16, 1
	v_bfe_u32 v25, v36, 16, 1
	v_add3_u32 v25, v36, v25, s10
	v_add3_u32 v19, v37, v19, s10
	v_perm_b32 v25, v19, v25, s33
	ds_write2st64_b64 v18, v[44:45], v[24:25] offset1:1
	v_pk_mul_f32 v[24:25], v[40:41], v[30:31] op_sel_hi:[0,1]
	v_pk_mul_f32 v[30:31], v[40:41], v[32:33] op_sel_hi:[0,1]
	v_bfe_u32 v19, v31, 16, 1
	v_bfe_u32 v29, v30, 16, 1
	v_add3_u32 v29, v30, v29, s10
	v_add3_u32 v19, v31, v19, s10
	v_perm_b32 v30, v19, v29, s33
	v_bfe_u32 v19, v25, 16, 1
	v_bfe_u32 v29, v24, 16, 1
	v_add3_u32 v24, v24, v29, s10
	v_add3_u32 v19, v25, v19, s10
	v_pk_mul_f32 v[22:23], v[40:41], v[22:23] op_sel_hi:[0,1]
	v_perm_b32 v31, v19, v24, s33
	v_bfe_u32 v19, v23, 16, 1
	v_bfe_u32 v24, v22, 16, 1
	v_pk_mul_f32 v[20:21], v[40:41], v[20:21] op_sel_hi:[0,1]
	v_add3_u32 v22, v22, v24, s10
	v_add3_u32 v19, v23, v19, s10
	v_perm_b32 v22, v19, v22, s33
	v_bfe_u32 v19, v21, 16, 1
	v_bfe_u32 v23, v20, 16, 1
	v_add3_u32 v20, v20, v23, s10
	v_add3_u32 v19, v21, v19, s10
	v_perm_b32 v23, v19, v20, s33
	v_cmp_gt_u32_e32 vcc, 5, v0
	ds_write2st64_b64 v18, v[30:31], v[22:23] offset0:2 offset1:3
	s_and_saveexec_b64 s[4:5], vcc
	s_cbranch_execz .LBB1212_17
; %bb.16:
	s_mov_b32 s49, 0
	v_mov_b32_e32 v29, 0
	v_lshl_add_u64 v[20:21], s[48:49], 0, v[28:29]
	v_mov_b32_e32 v19, s9
	v_mad_u64_u32 v[20:21], s[16:17], s2, v19, v[20:21]
	s_mul_i32 s3, s3, s9
	v_mov_b32_e32 v28, s28
	s_load_dwordx4 s[12:15], s[0:1], 0x58
	v_add_u32_e32 v19, s3, v21
	v_mad_u64_u32 v[20:21], s[16:17], v20, s8, v[28:29]
	v_mov_b32_e32 v22, v21
	v_mad_u64_u32 v[22:23], s[16:17], v19, s8, v[22:23]
	v_mov_b32_e32 v21, v22
	v_lshlrev_b64 v[20:21], 2, v[20:21]
	s_waitcnt lgkmcnt(0)
	v_lshl_add_u64 v[22:23], s[14:15], 0, v[20:21]
	v_lshl_add_u64 v[20:21], s[12:13], 0, v[20:21]
	global_store_dword v[22:23], v34, off
	global_store_dword v[20:21], v35, off
.LBB1212_17:
	s_or_b64 exec, exec, s[4:5]
	s_waitcnt vmcnt(3)
	v_cvt_pk_f32_fp8_e32 v[20:21], v14
	v_cvt_pk_f32_fp8_sdwa v[22:23], v14 src0_sel:WORD_1
	s_mov_b32 s4, 0x7060302
	v_lshl_or_b32 v14, v42, 9, v27
	s_waitcnt lgkmcnt(0)
	s_barrier
	v_perm_b32 v24, v21, v20, s4
	v_perm_b32 v25, v23, v22, s4
	v_cvt_pk_f32_fp8_e32 v[28:29], v15
	ds_read_b128 v[20:23], v14
	v_cvt_pk_f32_fp8_sdwa v[36:37], v15 src0_sel:WORD_1
	s_load_dword s12, s[42:43], 0x0
	v_perm_b32 v38, v29, v28, s4
	ds_read_b128 v[28:31], v14 offset:16
	v_perm_b32 v39, v37, v36, s4
	s_waitcnt lgkmcnt(0)
	v_mfma_f32_16x16x16_bf16 v[32:35], v[24:25], v[20:21], 0
	v_cvt_pk_f32_fp8_e32 v[24:25], v16
	v_cvt_pk_f32_fp8_sdwa v[36:37], v16 src0_sel:WORD_1
	v_cmp_gt_u32_e32 vcc, 64, v0
	v_mfma_f32_16x16x16_bf16 v[20:23], v[38:39], v[22:23], v[32:35]
	v_perm_b32 v24, v25, v24, s4
	v_perm_b32 v25, v37, v36, s4
	s_mov_b32 s3, 0
	v_cvt_pk_f32_fp8_e32 v[32:33], v17
	v_cvt_pk_f32_fp8_sdwa v[16:17], v17 src0_sel:WORD_1
	s_waitcnt vmcnt(2)
	v_cvt_pk_f32_fp8_sdwa v[34:35], v10 src0_sel:WORD_1
	v_mfma_f32_16x16x16_bf16 v[20:23], v[24:25], v[28:29], v[20:23]
	v_perm_b32 v36, v33, v32, s4
	v_cvt_pk_f32_fp8_e32 v[32:33], v10
	v_perm_b32 v37, v17, v16, s4
	v_perm_b32 v17, v35, v34, s4
	v_cvt_pk_f32_fp8_e32 v[24:25], v11
	v_perm_b32 v16, v33, v32, s4
	ds_read_b128 v[32:35], v14 offset:2048
	v_cvt_pk_f32_fp8_sdwa v[10:11], v11 src0_sel:WORD_1
	v_mfma_f32_16x16x16_bf16 v[20:23], v[36:37], v[30:31], v[20:23]
	ds_read_b128 v[28:31], v14 offset:2064
	v_perm_b32 v24, v25, v24, s4
	v_perm_b32 v25, v11, v10, s4
	s_waitcnt lgkmcnt(1)
	v_mfma_f32_16x16x16_bf16 v[20:23], v[16:17], v[32:33], v[20:23]
	v_cvt_pk_f32_fp8_e32 v[10:11], v12
	v_cvt_pk_f32_fp8_sdwa v[16:17], v12 src0_sel:WORD_1
	s_waitcnt vmcnt(1)
	v_cvt_pk_f32_fp8_sdwa v[32:33], v6 src0_sel:WORD_1
	v_mfma_f32_16x16x16_bf16 v[20:23], v[24:25], v[34:35], v[20:23]
	v_cvt_pk_f32_fp8_e32 v[24:25], v13
	v_perm_b32 v10, v11, v10, s4
	v_perm_b32 v11, v17, v16, s4
	v_cvt_pk_f32_fp8_sdwa v[12:13], v13 src0_sel:WORD_1
	v_perm_b32 v16, v25, v24, s4
	v_cvt_pk_f32_fp8_e32 v[24:25], v6
	v_mov_b32_e32 v27, 0
	v_perm_b32 v17, v13, v12, s4
	s_waitcnt lgkmcnt(0)
	v_mfma_f32_16x16x16_bf16 v[10:13], v[10:11], v[28:29], v[20:23]
	v_perm_b32 v24, v25, v24, s4
	v_perm_b32 v25, v33, v32, s4
	v_cvt_pk_f32_fp8_e32 v[28:29], v7
	ds_read_b128 v[20:23], v14 offset:4096
	v_cvt_pk_f32_fp8_sdwa v[6:7], v7 src0_sel:WORD_1
	v_mfma_f32_16x16x16_bf16 v[10:13], v[16:17], v[30:31], v[10:13]
	v_perm_b32 v16, v29, v28, s4
	ds_read_b128 v[28:31], v14 offset:4112
	v_perm_b32 v17, v7, v6, s4
	s_waitcnt lgkmcnt(1)
	v_mfma_f32_16x16x16_bf16 v[10:13], v[24:25], v[20:21], v[10:13]
	v_cvt_pk_f32_fp8_e32 v[6:7], v8
	v_cvt_pk_f32_fp8_sdwa v[20:21], v8 src0_sel:WORD_1
	v_perm_b32 v6, v7, v6, s4
	v_mfma_f32_16x16x16_bf16 v[10:13], v[16:17], v[22:23], v[10:13]
	v_cvt_pk_f32_fp8_e32 v[16:17], v9
	v_perm_b32 v7, v21, v20, s4
	v_cvt_pk_f32_fp8_sdwa v[8:9], v9 src0_sel:WORD_1
	s_waitcnt vmcnt(0)
	v_cvt_pk_f32_fp8_e32 v[20:21], v2
	v_perm_b32 v16, v17, v16, s4
	v_cvt_pk_f32_fp8_sdwa v[22:23], v2 src0_sel:WORD_1
	v_perm_b32 v17, v9, v8, s4
	s_waitcnt lgkmcnt(0)
	v_mfma_f32_16x16x16_bf16 v[6:9], v[6:7], v[28:29], v[10:13]
	v_perm_b32 v20, v21, v20, s4
	v_perm_b32 v21, v23, v22, s4
	v_cvt_pk_f32_fp8_e32 v[22:23], v3
	ds_read_b128 v[10:13], v14 offset:6144
	v_cvt_pk_f32_fp8_sdwa v[2:3], v3 src0_sel:WORD_1
	v_mfma_f32_16x16x16_bf16 v[6:9], v[16:17], v[30:31], v[6:9]
	v_perm_b32 v22, v23, v22, s4
	ds_read_b128 v[14:17], v14 offset:6160
	v_perm_b32 v23, v3, v2, s4
	s_waitcnt lgkmcnt(1)
	v_mfma_f32_16x16x16_bf16 v[6:9], v[20:21], v[10:11], v[6:9]
	v_cvt_pk_f32_fp8_e32 v[2:3], v4
	v_cvt_pk_f32_fp8_sdwa v[10:11], v4 src0_sel:WORD_1
	s_waitcnt lgkmcnt(0)
	v_mfma_f32_16x16x16_bf16 v[6:9], v[22:23], v[12:13], v[6:9]
	v_perm_b32 v2, v3, v2, s4
	v_perm_b32 v3, v11, v10, s4
	v_cvt_pk_f32_fp8_e32 v[10:11], v5
	v_cvt_pk_f32_fp8_sdwa v[4:5], v5 src0_sel:WORD_1
	s_barrier
	v_perm_b32 v10, v11, v10, s4
	v_perm_b32 v11, v5, v4, s4
	v_mfma_f32_16x16x16_bf16 v[2:5], v[2:3], v[14:15], v[6:9]
	s_nop 0
	v_mfma_f32_16x16x16_bf16 v[2:5], v[10:11], v[16:17], v[2:5]
	s_nop 6
	v_pk_mul_f32 v[2:3], v[2:3], s[12:13] op_sel_hi:[1,0]
	v_pk_mul_f32 v[4:5], v[4:5], s[12:13] op_sel_hi:[1,0]
	v_bfe_u32 v6, v3, 16, 1
	v_bfe_u32 v7, v2, 16, 1
	v_add3_u32 v2, v2, v7, s10
	v_add3_u32 v3, v3, v6, s10
	v_perm_b32 v2, v3, v2, s4
	v_bfe_u32 v3, v5, 16, 1
	v_bfe_u32 v6, v4, 16, 1
	v_add3_u32 v4, v4, v6, s10
	v_add3_u32 v3, v5, v3, s10
	v_perm_b32 v3, v3, v4, s4
	s_and_b64 s[4:5], vcc, s[30:31]
	ds_write_b64 v18, v[2:3]
	s_waitcnt lgkmcnt(0)
	s_barrier
	s_and_saveexec_b64 s[10:11], s[4:5]
	s_cbranch_execz .LBB1212_20
; %bb.18:
	s_load_dwordx2 s[4:5], s[0:1], 0x68
	s_lshl_b32 s0, s8, 6
	s_mul_i32 s1, s9, s2
	s_mul_hi_u32 s9, s1, s0
	s_mul_i32 s8, s1, s0
	v_lshlrev_b32_e32 v0, 10, v0
	s_lshl_b64 s[8:9], s[8:9], 1
	v_and_b32_e32 v0, 0x1800, v0
	v_lshlrev_b32_e32 v2, 5, v42
	v_and_b32_e32 v1, 16, v1
	s_waitcnt lgkmcnt(0)
	s_add_u32 s1, s4, s8
	v_or3_b32 v2, v0, v2, v1
	s_addc_u32 s4, s5, s9
	s_lshl_b32 s2, s28, 6
	s_lshl_b64 s[2:3], s[2:3], 1
	ds_read_b128 v[4:7], v2
	s_add_u32 s2, s1, s2
	s_addc_u32 s3, s4, s3
	v_add_u32_e32 v3, s48, v42
	v_lshl_add_u64 v[0:1], s[2:3], 0, v[26:27]
	v_mad_u64_u32 v[8:9], s[2:3], v3, s0, 0
	v_lshl_add_u64 v[8:9], v[8:9], 1, v[0:1]
	s_waitcnt lgkmcnt(0)
	global_store_dwordx4 v[8:9], v[4:7], off
	s_and_b64 exec, exec, s[6:7]
	s_cbranch_execz .LBB1212_20
; %bb.19:
	ds_read_b128 v[2:5], v2 offset:128
	v_add3_u32 v6, s48, v42, 4
	v_mad_u64_u32 v[6:7], s[0:1], v6, s0, 0
	v_lshl_add_u64 v[0:1], v[6:7], 1, v[0:1]
	s_waitcnt lgkmcnt(0)
	global_store_dwordx4 v[0:1], v[2:5], off
.LBB1212_20:
	s_endpgm
	.section	.rodata,"a",@progbits
	.p2align	6, 0x0
	.amdhsa_kernel _Z39paged_attention_ll4mi_QKV_mfma16_kernelI14__hip_bfloat16hLN4vllm18Fp8KVCacheDataTypeE1ES0_Li32ELi64ELi256ELb1ELi5EEvPKT_PKT0_S8_ifPKiSA_SA_iPKfiiiPfSD_PS3_PT2_iSC_SC_
		.amdhsa_group_segment_fixed_size 8192
		.amdhsa_private_segment_fixed_size 0
		.amdhsa_kernarg_size 400
		.amdhsa_user_sgpr_count 2
		.amdhsa_user_sgpr_dispatch_ptr 0
		.amdhsa_user_sgpr_queue_ptr 0
		.amdhsa_user_sgpr_kernarg_segment_ptr 1
		.amdhsa_user_sgpr_dispatch_id 0
		.amdhsa_user_sgpr_kernarg_preload_length 0
		.amdhsa_user_sgpr_kernarg_preload_offset 0
		.amdhsa_user_sgpr_private_segment_size 0
		.amdhsa_uses_dynamic_stack 0
		.amdhsa_enable_private_segment 0
		.amdhsa_system_sgpr_workgroup_id_x 1
		.amdhsa_system_sgpr_workgroup_id_y 1
		.amdhsa_system_sgpr_workgroup_id_z 1
		.amdhsa_system_sgpr_workgroup_info 0
		.amdhsa_system_vgpr_workitem_id 0
		.amdhsa_next_free_vgpr 71
		.amdhsa_next_free_sgpr 50
		.amdhsa_accum_offset 72
		.amdhsa_reserve_vcc 1
		.amdhsa_float_round_mode_32 0
		.amdhsa_float_round_mode_16_64 0
		.amdhsa_float_denorm_mode_32 3
		.amdhsa_float_denorm_mode_16_64 3
		.amdhsa_dx10_clamp 1
		.amdhsa_ieee_mode 1
		.amdhsa_fp16_overflow 0
		.amdhsa_tg_split 0
		.amdhsa_exception_fp_ieee_invalid_op 0
		.amdhsa_exception_fp_denorm_src 0
		.amdhsa_exception_fp_ieee_div_zero 0
		.amdhsa_exception_fp_ieee_overflow 0
		.amdhsa_exception_fp_ieee_underflow 0
		.amdhsa_exception_fp_ieee_inexact 0
		.amdhsa_exception_int_div_zero 0
	.end_amdhsa_kernel
	.section	.text._Z39paged_attention_ll4mi_QKV_mfma16_kernelI14__hip_bfloat16hLN4vllm18Fp8KVCacheDataTypeE1ES0_Li32ELi64ELi256ELb1ELi5EEvPKT_PKT0_S8_ifPKiSA_SA_iPKfiiiPfSD_PS3_PT2_iSC_SC_,"axG",@progbits,_Z39paged_attention_ll4mi_QKV_mfma16_kernelI14__hip_bfloat16hLN4vllm18Fp8KVCacheDataTypeE1ES0_Li32ELi64ELi256ELb1ELi5EEvPKT_PKT0_S8_ifPKiSA_SA_iPKfiiiPfSD_PS3_PT2_iSC_SC_,comdat
.Lfunc_end1212:
	.size	_Z39paged_attention_ll4mi_QKV_mfma16_kernelI14__hip_bfloat16hLN4vllm18Fp8KVCacheDataTypeE1ES0_Li32ELi64ELi256ELb1ELi5EEvPKT_PKT0_S8_ifPKiSA_SA_iPKfiiiPfSD_PS3_PT2_iSC_SC_, .Lfunc_end1212-_Z39paged_attention_ll4mi_QKV_mfma16_kernelI14__hip_bfloat16hLN4vllm18Fp8KVCacheDataTypeE1ES0_Li32ELi64ELi256ELb1ELi5EEvPKT_PKT0_S8_ifPKiSA_SA_iPKfiiiPfSD_PS3_PT2_iSC_SC_
                                        ; -- End function
	.section	.AMDGPU.csdata,"",@progbits
; Kernel info:
; codeLenInByte = 5212
; NumSgprs: 56
; NumVgprs: 71
; NumAgprs: 0
; TotalNumVgprs: 71
; ScratchSize: 0
; MemoryBound: 0
; FloatMode: 240
; IeeeMode: 1
; LDSByteSize: 8192 bytes/workgroup (compile time only)
; SGPRBlocks: 6
; VGPRBlocks: 8
; NumSGPRsForWavesPerEU: 56
; NumVGPRsForWavesPerEU: 71
; AccumOffset: 72
; Occupancy: 7
; WaveLimiterHint : 1
; COMPUTE_PGM_RSRC2:SCRATCH_EN: 0
; COMPUTE_PGM_RSRC2:USER_SGPR: 2
; COMPUTE_PGM_RSRC2:TRAP_HANDLER: 0
; COMPUTE_PGM_RSRC2:TGID_X_EN: 1
; COMPUTE_PGM_RSRC2:TGID_Y_EN: 1
; COMPUTE_PGM_RSRC2:TGID_Z_EN: 1
; COMPUTE_PGM_RSRC2:TIDIG_COMP_CNT: 0
; COMPUTE_PGM_RSRC3_GFX90A:ACCUM_OFFSET: 17
; COMPUTE_PGM_RSRC3_GFX90A:TG_SPLIT: 0
	.section	.text._Z39paged_attention_ll4mi_QKV_mfma16_kernelI14__hip_bfloat16hLN4vllm18Fp8KVCacheDataTypeE1ES0_Li32ELi64ELi256ELb1ELi6EEvPKT_PKT0_S8_ifPKiSA_SA_iPKfiiiPfSD_PS3_PT2_iSC_SC_,"axG",@progbits,_Z39paged_attention_ll4mi_QKV_mfma16_kernelI14__hip_bfloat16hLN4vllm18Fp8KVCacheDataTypeE1ES0_Li32ELi64ELi256ELb1ELi6EEvPKT_PKT0_S8_ifPKiSA_SA_iPKfiiiPfSD_PS3_PT2_iSC_SC_,comdat
	.protected	_Z39paged_attention_ll4mi_QKV_mfma16_kernelI14__hip_bfloat16hLN4vllm18Fp8KVCacheDataTypeE1ES0_Li32ELi64ELi256ELb1ELi6EEvPKT_PKT0_S8_ifPKiSA_SA_iPKfiiiPfSD_PS3_PT2_iSC_SC_ ; -- Begin function _Z39paged_attention_ll4mi_QKV_mfma16_kernelI14__hip_bfloat16hLN4vllm18Fp8KVCacheDataTypeE1ES0_Li32ELi64ELi256ELb1ELi6EEvPKT_PKT0_S8_ifPKiSA_SA_iPKfiiiPfSD_PS3_PT2_iSC_SC_
	.globl	_Z39paged_attention_ll4mi_QKV_mfma16_kernelI14__hip_bfloat16hLN4vllm18Fp8KVCacheDataTypeE1ES0_Li32ELi64ELi256ELb1ELi6EEvPKT_PKT0_S8_ifPKiSA_SA_iPKfiiiPfSD_PS3_PT2_iSC_SC_
	.p2align	8
	.type	_Z39paged_attention_ll4mi_QKV_mfma16_kernelI14__hip_bfloat16hLN4vllm18Fp8KVCacheDataTypeE1ES0_Li32ELi64ELi256ELb1ELi6EEvPKT_PKT0_S8_ifPKiSA_SA_iPKfiiiPfSD_PS3_PT2_iSC_SC_,@function
_Z39paged_attention_ll4mi_QKV_mfma16_kernelI14__hip_bfloat16hLN4vllm18Fp8KVCacheDataTypeE1ES0_Li32ELi64ELi256ELb1ELi6EEvPKT_PKT0_S8_ifPKiSA_SA_iPKfiiiPfSD_PS3_PT2_iSC_SC_: ; @_Z39paged_attention_ll4mi_QKV_mfma16_kernelI14__hip_bfloat16hLN4vllm18Fp8KVCacheDataTypeE1ES0_Li32ELi64ELi256ELb1ELi6EEvPKT_PKT0_S8_ifPKiSA_SA_iPKfiiiPfSD_PS3_PT2_iSC_SC_
; %bb.0:
	s_load_dwordx2 s[6:7], s[0:1], 0x30
	s_mov_b32 s28, s3
	s_mov_b64 s[8:9], 0
	s_waitcnt lgkmcnt(0)
	s_cmp_lg_u64 s[6:7], 0
	s_cselect_b64 s[10:11], -1, 0
	s_and_b64 vcc, exec, s[10:11]
	s_cbranch_vccz .LBB1213_7
; %bb.1:
	s_add_i32 s12, s2, 1
	s_mov_b32 s13, 0
	s_lshl_b64 s[14:15], s[12:13], 2
	s_add_u32 s14, s6, s14
	s_mov_b32 s3, s13
	s_addc_u32 s15, s7, s15
	s_lshl_b64 s[12:13], s[2:3], 2
	s_add_u32 s12, s6, s12
	s_addc_u32 s13, s7, s13
	s_load_dword s5, s[14:15], 0x0
	s_load_dword s16, s[12:13], 0x0
	s_waitcnt lgkmcnt(0)
	s_sub_i32 s5, s5, s16
	s_cmp_eq_u32 s5, 1
	s_cselect_b64 s[12:13], -1, 0
	s_andn2_b64 vcc, exec, s[8:9]
	s_cbranch_vccnz .LBB1213_3
.LBB1213_2:
	s_mov_b32 s3, 0
	s_mov_b64 s[12:13], -1
.LBB1213_3:
	s_andn2_b64 vcc, exec, s[12:13]
	s_cbranch_vccnz .LBB1213_20
; %bb.4:
	s_load_dwordx2 s[8:9], s[0:1], 0x28
	s_lshl_b64 s[12:13], s[2:3], 2
	s_waitcnt lgkmcnt(0)
	s_add_u32 s8, s8, s12
	s_addc_u32 s9, s9, s13
	s_load_dword s29, s[8:9], 0x0
	s_lshl_b32 s16, s28, 8
	s_waitcnt lgkmcnt(0)
	s_cmp_ge_i32 s16, s29
	s_cbranch_scc1 .LBB1213_20
; %bb.5:
	s_load_dwordx2 s[8:9], s[0:1], 0x20
	s_load_dword s5, s[0:1], 0x38
	s_add_i32 s14, s29, 31
	s_ashr_i32 s15, s14, 31
	v_and_b32_e32 v1, 0xcf, v0
	s_lshr_b32 s15, s15, 27
	v_add_u32_e32 v1, s16, v1
	s_add_i32 s14, s14, s15
	v_ashrrev_i32_e32 v2, 31, v1
	s_ashr_i32 s17, s14, 5
	v_lshrrev_b32_e32 v4, 27, v2
	s_add_i32 s17, s17, -1
	s_waitcnt lgkmcnt(0)
	s_mul_i32 s14, s2, s5
	s_mov_b32 s15, 0
	v_add_u32_e32 v2, v1, v4
	s_lshl_b64 s[14:15], s[14:15], 2
	v_ashrrev_i32_e32 v2, 5, v2
	v_mov_b32_e32 v5, s17
	v_cmp_gt_i32_e32 vcc, s29, v1
	s_add_u32 s8, s8, s14
	s_addc_u32 s9, s9, s15
	v_cndmask_b32_e32 v2, v5, v2, vcc
	v_ashrrev_i32_e32 v3, 31, v2
	v_lshl_add_u64 v[6:7], v[2:3], 2, s[8:9]
	v_or_b32_e32 v2, 16, v1
	v_add_u32_e32 v3, v2, v4
	v_ashrrev_i32_e32 v3, 5, v3
	v_cmp_gt_i32_e32 vcc, s29, v2
	s_load_dwordx2 s[14:15], s[0:1], 0x8
	s_nop 0
	v_cndmask_b32_e32 v2, v5, v3, vcc
	v_ashrrev_i32_e32 v3, 31, v2
	v_lshl_add_u64 v[8:9], v[2:3], 2, s[8:9]
	v_or_b32_e32 v2, 32, v1
	v_add_u32_e32 v3, v2, v4
	v_ashrrev_i32_e32 v3, 5, v3
	v_cmp_gt_i32_e32 vcc, s29, v2
	v_or_b32_e32 v1, 48, v1
	s_nop 0
	v_cndmask_b32_e32 v2, v5, v3, vcc
	v_ashrrev_i32_e32 v3, 31, v2
	v_lshl_add_u64 v[10:11], v[2:3], 2, s[8:9]
	v_add_u32_e32 v2, v1, v4
	v_ashrrev_i32_e32 v2, 5, v2
	v_cmp_gt_i32_e32 vcc, s29, v1
	s_nop 1
	v_cndmask_b32_e32 v2, v5, v2, vcc
	v_ashrrev_i32_e32 v3, 31, v2
	v_lshl_add_u64 v[12:13], v[2:3], 2, s[8:9]
	global_load_dword v5, v[6:7], off
	global_load_dword v4, v[8:9], off
	;; [unrolled: 1-line block ×4, first 2 shown]
	s_andn2_b64 vcc, exec, s[10:11]
	s_cbranch_vccnz .LBB1213_8
; %bb.6:
	s_add_u32 s6, s6, s12
	s_addc_u32 s7, s7, s13
	s_load_dword s5, s[6:7], 0x0
	s_branch .LBB1213_9
.LBB1213_7:
	s_mov_b64 s[12:13], 0
	s_branch .LBB1213_2
.LBB1213_8:
	s_mov_b32 s5, s2
.LBB1213_9:
	s_load_dwordx2 s[10:11], s[0:1], 0x10
	s_load_dwordx4 s[44:47], s[0:1], 0x48
	v_lshrrev_b32_e32 v29, 6, v0
	v_bfe_u32 v42, v0, 4, 2
	v_lshl_or_b32 v6, v29, 2, v42
	v_and_b32_e32 v28, 15, v0
	v_lshlrev_b32_e32 v1, 3, v28
	v_cmp_gt_u32_e32 vcc, 6, v6
	v_cmp_gt_u32_e64 s[30:31], 8, v28
	s_mul_i32 s48, s4, 6
	s_and_b64 s[12:13], s[30:31], vcc
	v_lshlrev_b32_e32 v26, 1, v1
	v_lshlrev_b32_e32 v1, 4, v0
	s_and_saveexec_b64 s[6:7], s[12:13]
	s_cbranch_execz .LBB1213_11
; %bb.10:
	s_load_dwordx2 s[12:13], s[0:1], 0x0
	s_waitcnt lgkmcnt(0)
	s_ashr_i32 s18, s44, 31
	s_mul_hi_u32 s19, s5, s44
	s_mul_i32 s18, s5, s18
	s_add_i32 s19, s19, s18
	s_mul_i32 s18, s5, s44
	s_lshl_b64 s[18:19], s[18:19], 1
	s_add_u32 s12, s12, s18
	v_add_lshl_u32 v8, v6, s48, 6
	s_addc_u32 s13, s13, s19
	v_ashrrev_i32_e32 v9, 31, v8
	v_lshl_add_u64 v[8:9], v[8:9], 1, s[12:13]
	v_mov_b32_e32 v27, 0
	v_lshl_add_u64 v[8:9], v[8:9], 0, v[26:27]
	global_load_dwordx4 v[8:11], v[8:9], off
	v_lshlrev_b32_e32 v12, 8, v28
	v_lshlrev_b32_e32 v6, 5, v6
	v_and_b32_e32 v7, 16, v1
	v_and_b32_e32 v12, 0xe00, v12
	v_or3_b32 v6, v12, v6, v7
	s_waitcnt vmcnt(0)
	ds_write_b128 v6, v[8:11]
.LBB1213_11:
	s_or_b64 exec, exec, s[6:7]
	s_waitcnt lgkmcnt(0)
	s_mul_i32 s12, s4, s46
	s_add_u32 s4, s14, s12
	s_addc_u32 s5, s15, 0
	v_mov_b32_e32 v31, 0
	v_mov_b64_e32 v[6:7], s[4:5]
	v_lshlrev_b32_e32 v10, 4, v28
	v_and_b32_e32 v27, 48, v0
	s_waitcnt vmcnt(3)
	v_mad_i64_i32 v[8:9], s[4:5], v5, s45, v[6:7]
	v_mov_b32_e32 v11, v31
	s_waitcnt vmcnt(2)
	v_mad_i64_i32 v[4:5], s[4:5], v4, s45, v[6:7]
	v_or_b32_e32 v12, 0x100, v10
	v_mov_b32_e32 v13, v31
	v_lshlrev_b32_e32 v30, 5, v27
	v_lshl_add_u64 v[8:9], v[8:9], 0, v[10:11]
	v_lshl_add_u64 v[4:5], v[4:5], 0, v[12:13]
	;; [unrolled: 1-line block ×4, first 2 shown]
	s_barrier
	global_load_dwordx4 v[22:25], v[8:9], off
	global_load_dwordx4 v[18:21], v[4:5], off
	s_waitcnt vmcnt(3)
	v_mad_i64_i32 v[4:5], s[4:5], v3, s45, v[6:7]
	v_lshl_add_u64 v[4:5], v[4:5], 0, v[10:11]
	s_waitcnt vmcnt(2)
	v_mad_i64_i32 v[2:3], s[4:5], v2, s45, v[6:7]
	v_lshl_add_u64 v[4:5], v[4:5], 0, v[30:31]
	v_lshl_add_u64 v[2:3], v[2:3], 0, v[12:13]
	;; [unrolled: 1-line block ×3, first 2 shown]
	global_load_dwordx4 v[14:17], v[4:5], off
	global_load_dwordx4 v[6:9], v[2:3], off
	v_mul_lo_u16_e32 v2, 43, v28
	v_mov_b32_e32 v3, 6
	v_mul_lo_u16_sdwa v2, v2, v3 dst_sel:DWORD dst_unused:UNUSED_PAD src0_sel:BYTE_1 src1_sel:DWORD
	v_sub_u16_e32 v2, v28, v2
	v_mov_b32_e32 v3, 5
	v_lshlrev_b32_sdwa v2, v3, v2 dst_sel:DWORD dst_unused:UNUSED_PAD src0_sel:DWORD src1_sel:BYTE_0
	v_lshl_add_u32 v2, v42, 9, v2
	ds_read_b128 v[10:13], v2
	ds_read_b128 v[2:5], v2 offset:16
	v_and_b32_e32 v43, 63, v0
	v_cmp_gt_u32_e32 vcc, 6, v28
	v_mov_b32_e32 v44, 0
	s_and_saveexec_b64 s[4:5], vcc
	s_cbranch_execz .LBB1213_13
; %bb.12:
	s_load_dwordx2 s[6:7], s[0:1], 0x40
	v_add_u32_e32 v32, s48, v28
	v_ashrrev_i32_e32 v33, 31, v32
	s_waitcnt lgkmcnt(0)
	v_lshl_add_u64 v[32:33], v[32:33], 2, s[6:7]
	global_load_dword v44, v[32:33], off
.LBB1213_13:
	s_or_b64 exec, exec, s[4:5]
	s_ashr_i32 s4, s16, 31
	v_or_b32_e32 v45, s16, v27
	s_lshr_b32 s13, s4, 27
	v_add_u32_e32 v27, s13, v45
	v_ashrrev_i32_e32 v27, 5, v27
	s_waitcnt vmcnt(3)
	v_cvt_pk_f32_fp8_e32 v[34:35], v22
	v_cvt_pk_f32_fp8_sdwa v[36:37], v22 src0_sel:WORD_1
	s_waitcnt vmcnt(2)
	v_cvt_pk_f32_fp8_e32 v[56:57], v20
	v_cvt_pk_f32_fp8_sdwa v[58:59], v20 src0_sel:WORD_1
	v_mov_b32_e32 v20, s17
	v_cmp_gt_i32_e32 vcc, s29, v45
	v_cvt_pk_f32_fp8_e32 v[48:49], v18
	v_cvt_pk_f32_fp8_sdwa v[50:51], v18 src0_sel:WORD_1
	v_cndmask_b32_e32 v18, v20, v27, vcc
	v_cvt_pk_f32_fp8_e32 v[52:53], v19
	v_cvt_pk_f32_fp8_sdwa v[54:55], v19 src0_sel:WORD_1
	v_ashrrev_i32_e32 v19, 31, v18
	v_lshl_add_u64 v[18:19], v[18:19], 2, s[8:9]
	s_mov_b32 s33, 0x7060302
	v_cvt_pk_f32_fp8_e32 v[32:33], v23
	v_cvt_pk_f32_fp8_sdwa v[22:23], v23 src0_sel:WORD_1
	global_load_dword v70, v[18:19], off
	v_perm_b32 v18, v35, v34, s33
	v_perm_b32 v19, v37, v36, s33
	v_cvt_pk_f32_fp8_e32 v[60:61], v21
	v_cvt_pk_f32_fp8_sdwa v[62:63], v21 src0_sel:WORD_1
	v_or_b32_e32 v21, 64, v45
	v_or_b32_e32 v34, 0x80, v45
	;; [unrolled: 1-line block ×3, first 2 shown]
	v_cmp_gt_i32_e32 vcc, s29, v21
	v_add_u32_e32 v21, s13, v21
	v_cmp_gt_i32_e64 s[4:5], s29, v34
	v_add_u32_e32 v34, s13, v34
	v_cmp_gt_i32_e64 s[6:7], s29, v35
	v_add_u32_e32 v35, s13, v35
	v_cvt_pk_f32_fp8_e32 v[38:39], v24
	v_cvt_pk_f32_fp8_sdwa v[40:41], v24 src0_sel:WORD_1
	v_cvt_pk_f32_fp8_e32 v[46:47], v25
	v_ashrrev_i32_e32 v21, 5, v21
	v_ashrrev_i32_e32 v34, 5, v34
	;; [unrolled: 1-line block ×3, first 2 shown]
	v_perm_b32 v32, v33, v32, s33
	v_perm_b32 v33, v23, v22, s33
	v_perm_b32 v22, v49, v48, s33
	v_perm_b32 v23, v51, v50, s33
	v_cvt_pk_f32_fp8_sdwa v[24:25], v25 src0_sel:WORD_1
	v_cndmask_b32_e32 v36, v20, v21, vcc
	v_cndmask_b32_e64 v64, v20, v34, s[4:5]
	v_cndmask_b32_e64 v66, v20, v35, s[6:7]
	s_waitcnt lgkmcnt(1)
	v_mfma_f32_16x16x16_bf16 v[18:21], v[18:19], v[10:11], 0
	v_perm_b32 v38, v39, v38, s33
	v_perm_b32 v39, v41, v40, s33
	;; [unrolled: 1-line block ×5, first 2 shown]
	s_load_dword s14, s[0:1], 0x1c
	s_load_dwordx4 s[40:43], s[0:1], 0x80
	v_perm_b32 v69, v25, v24, s33
	v_mfma_f32_16x16x16_bf16 v[22:25], v[22:23], v[10:11], 0
	s_add_u32 s10, s10, s12
	v_and_b32_e32 v30, 16, v0
	v_lshlrev_b32_e32 v27, 5, v28
	v_mfma_f32_16x16x16_bf16 v[32:35], v[32:33], v[12:13], v[18:21]
	s_addc_u32 s11, s11, 0
	v_lshl_add_u64 v[40:41], s[10:11], 0, v[30:31]
	v_lshl_or_b32 v30, v29, 9, v27
	v_ashrrev_i32_e32 v37, 31, v36
	v_ashrrev_i32_e32 v65, 31, v64
	v_ashrrev_i32_e32 v67, 31, v66
	v_perm_b32 v48, v57, v56, s33
	v_perm_b32 v49, v59, v58, s33
	v_mfma_f32_16x16x16_bf16 v[20:23], v[46:47], v[12:13], v[22:25]
	v_lshl_add_u64 v[18:19], v[40:41], 0, v[30:31]
	s_waitcnt lgkmcnt(0)
	s_load_dword s6, s[40:41], 0x0
	v_perm_b32 v50, v61, v60, s33
	v_mfma_f32_16x16x16_bf16 v[30:33], v[38:39], v[2:3], v[32:35]
	v_lshl_add_u64 v[24:25], v[36:37], 2, s[8:9]
	v_lshl_add_u64 v[36:37], v[66:67], 2, s[8:9]
	v_perm_b32 v51, v63, v62, s33
	v_lshl_add_u64 v[34:35], v[64:65], 2, s[8:9]
	global_load_dword v47, v[24:25], off
	global_load_dword v45, v[34:35], off
	;; [unrolled: 1-line block ×3, first 2 shown]
	s_waitcnt vmcnt(5)
	v_cvt_pk_f32_fp8_e32 v[34:35], v14
	v_cvt_pk_f32_fp8_sdwa v[36:37], v14 src0_sel:WORD_1
	v_mfma_f32_16x16x16_bf16 v[20:23], v[48:49], v[2:3], v[20:23]
	v_cvt_pk_f32_fp8_e32 v[38:39], v15
	v_perm_b32 v34, v35, v34, s33
	v_perm_b32 v35, v37, v36, s33
	v_cvt_pk_f32_fp8_sdwa v[14:15], v15 src0_sel:WORD_1
	v_mov_b32_e32 v40, s14
	s_waitcnt lgkmcnt(0)
	v_mul_f32_e32 v48, s6, v40
	v_mfma_f32_16x16x16_bf16 v[20:23], v[50:51], v[4:5], v[20:23]
	v_perm_b32 v38, v39, v38, s33
	v_cvt_pk_f32_fp8_e32 v[40:41], v16
	v_cvt_pk_f32_fp8_sdwa v[50:51], v16 src0_sel:WORD_1
	v_perm_b32 v39, v15, v14, s33
	v_mfma_f32_16x16x16_bf16 v[34:37], v[34:35], v[10:11], 0
	v_perm_b32 v40, v41, v40, s33
	v_perm_b32 v41, v51, v50, s33
	v_cvt_pk_f32_fp8_e32 v[50:51], v17
	v_cvt_pk_f32_fp8_sdwa v[52:53], v17 src0_sel:WORD_1
	v_mfma_f32_16x16x16_bf16 v[30:33], v[68:69], v[4:5], v[30:33]
	s_mov_b32 s44, 0xff7fffff
	s_waitcnt vmcnt(3)
	v_mad_i64_i32 v[24:25], s[4:5], v70, s45, v[18:19]
	v_mfma_f32_16x16x16_bf16 v[14:17], v[38:39], v[12:13], v[34:37]
	s_nop 2
	v_perm_b32 v34, v51, v50, s33
	v_perm_b32 v35, v53, v52, s33
	v_mfma_f32_16x16x16_bf16 v[14:17], v[40:41], v[2:3], v[14:17]
	v_pk_mul_f32 v[38:39], v[48:49], v[30:31] op_sel_hi:[0,1]
	v_cvt_pk_f32_fp8_e32 v[30:31], v6
	v_cvt_pk_f32_fp8_sdwa v[36:37], v6 src0_sel:WORD_1
	v_mfma_f32_16x16x16_bf16 v[14:17], v[34:35], v[4:5], v[14:17]
	v_cvt_pk_f32_fp8_e32 v[34:35], v7
	v_perm_b32 v30, v31, v30, s33
	v_perm_b32 v31, v37, v36, s33
	v_cvt_pk_f32_fp8_sdwa v[6:7], v7 src0_sel:WORD_1
	v_perm_b32 v40, v35, v34, s33
	v_cvt_pk_f32_fp8_e32 v[50:51], v8
	v_cvt_pk_f32_fp8_sdwa v[52:53], v8 src0_sel:WORD_1
	v_perm_b32 v41, v7, v6, s33
	v_mfma_f32_16x16x16_bf16 v[34:37], v[30:31], v[10:11], 0
	v_perm_b32 v10, v51, v50, s33
	v_perm_b32 v11, v53, v52, s33
	v_cvt_pk_f32_fp8_e32 v[30:31], v9
	v_cvt_pk_f32_fp8_sdwa v[50:51], v9 src0_sel:WORD_1
	v_mfma_f32_16x16x16_bf16 v[6:9], v[40:41], v[12:13], v[34:37]
	v_pk_mul_f32 v[40:41], v[48:49], v[20:21] op_sel_hi:[0,1]
	v_perm_b32 v12, v31, v30, s33
	v_perm_b32 v13, v51, v50, s33
	v_mfma_f32_16x16x16_bf16 v[6:9], v[10:11], v[2:3], v[6:9]
	v_pk_mul_f32 v[36:37], v[48:49], v[22:23] op_sel_hi:[0,1]
	v_pk_mul_f32 v[32:33], v[48:49], v[32:33] op_sel_hi:[0,1]
	;; [unrolled: 1-line block ×3, first 2 shown]
	v_mfma_f32_16x16x16_bf16 v[2:5], v[12:13], v[4:5], v[6:9]
	v_pk_mul_f32 v[34:35], v[48:49], v[14:15] op_sel_hi:[0,1]
	s_nop 5
	v_pk_mul_f32 v[22:23], v[48:49], v[2:3] op_sel_hi:[0,1]
	v_and_b32_e32 v2, 0xc0, v0
	v_add_u32_e32 v2, s16, v2
	v_lshl_or_b32 v2, v42, 2, v2
	v_or_b32_e32 v3, 1, v2
	v_pk_mul_f32 v[20:21], v[48:49], v[4:5] op_sel_hi:[0,1]
	v_subrev_u32_e32 v4, s29, v3
	v_add_u32_e32 v6, 1, v4
	v_add_u32_e32 v7, 2, v4
	;; [unrolled: 1-line block ×3, first 2 shown]
	v_cvt_f32_i32_e32 v6, v6
	v_cvt_f32_i32_e32 v7, v7
	;; [unrolled: 1-line block ×3, first 2 shown]
	v_add_u32_e32 v9, 19, v4
	v_fmac_f32_e32 v39, v44, v6
	v_fma_f32 v32, v44, v7, v32
	v_fmac_f32_e32 v33, v44, v8
	v_add_u32_e32 v6, 16, v4
	v_add_u32_e32 v7, 17, v4
	;; [unrolled: 1-line block ×3, first 2 shown]
	v_cvt_f32_i32_e32 v6, v6
	v_cvt_f32_i32_e32 v7, v7
	;; [unrolled: 1-line block ×4, first 2 shown]
	v_fma_f32 v40, v44, v6, v40
	v_fmac_f32_e32 v41, v44, v7
	v_fma_f32 v36, v44, v8, v36
	v_add_u32_e32 v6, 32, v4
	v_add_u32_e32 v7, 33, v4
	;; [unrolled: 1-line block ×3, first 2 shown]
	v_cvt_f32_i32_e32 v6, v6
	v_cvt_f32_i32_e32 v7, v7
	;; [unrolled: 1-line block ×4, first 2 shown]
	v_fmac_f32_e32 v37, v44, v9
	v_add_u32_e32 v9, 35, v4
	v_fma_f32 v48, v44, v6, v34
	v_fmac_f32_e32 v35, v44, v7
	v_fma_f32 v30, v44, v8, v30
	v_add_u32_e32 v6, 48, v4
	v_add_u32_e32 v7, 49, v4
	;; [unrolled: 1-line block ×4, first 2 shown]
	v_cvt_f32_i32_e32 v4, v4
	v_cvt_f32_i32_e32 v6, v6
	;; [unrolled: 1-line block ×3, first 2 shown]
	v_fma_f32 v5, v44, v5, v38
	v_fmac_f32_e32 v21, v44, v4
	v_mov_b32_e32 v4, 0xff7fffff
	v_cmp_gt_i32_e64 s[4:5], s29, v2
	v_cmp_gt_i32_e64 s[34:35], s29, v3
	v_fma_f32 v22, v44, v6, v22
	v_cndmask_b32_e64 v6, v4, v5, s[4:5]
	v_cndmask_b32_e64 v3, v4, v39, s[34:35]
	v_fmac_f32_e32 v23, v44, v7
	v_max3_f32 v3, v6, s44, v3
	v_or_b32_e32 v6, 2, v2
	v_or_b32_e32 v7, 3, v2
	v_cmp_gt_i32_e64 s[36:37], s29, v6
	v_cmp_gt_i32_e64 s[38:39], s29, v7
	v_cvt_f32_i32_e32 v9, v9
	v_cndmask_b32_e64 v6, v4, v32, s[36:37]
	v_cndmask_b32_e64 v7, v4, v33, s[38:39]
	v_max3_f32 v3, v3, v6, v7
	v_or_b32_e32 v6, 16, v2
	v_or_b32_e32 v7, 17, v2
	v_cmp_gt_i32_e64 s[24:25], s29, v6
	v_cmp_gt_i32_e64 s[26:27], s29, v7
	v_fmac_f32_e32 v31, v44, v9
	v_cndmask_b32_e64 v6, v4, v40, s[24:25]
	v_cndmask_b32_e64 v7, v4, v41, s[26:27]
	v_max3_f32 v3, v3, v6, v7
	v_or_b32_e32 v6, 18, v2
	v_or_b32_e32 v7, 19, v2
	v_cmp_gt_i32_e64 s[20:21], s29, v6
	v_cmp_gt_i32_e64 s[22:23], s29, v7
	v_cvt_f32_i32_e32 v8, v8
	v_cndmask_b32_e64 v6, v4, v36, s[20:21]
	v_cndmask_b32_e64 v7, v4, v37, s[22:23]
	v_max3_f32 v3, v3, v6, v7
	v_or_b32_e32 v6, 32, v2
	v_or_b32_e32 v7, 33, v2
	v_cmp_gt_i32_e64 s[16:17], s29, v6
	v_cmp_gt_i32_e64 s[18:19], s29, v7
	v_fma_f32 v20, v44, v8, v20
	v_cndmask_b32_e64 v6, v4, v48, s[16:17]
	v_cndmask_b32_e64 v7, v4, v35, s[18:19]
	v_max3_f32 v3, v3, v6, v7
	v_or_b32_e32 v6, 34, v2
	v_or_b32_e32 v7, 35, v2
	v_cmp_gt_i32_e64 s[12:13], s29, v6
	v_cmp_gt_i32_e64 s[14:15], s29, v7
	s_nop 0
	v_cndmask_b32_e64 v6, v4, v30, s[12:13]
	v_cndmask_b32_e64 v7, v4, v31, s[14:15]
	v_max3_f32 v3, v3, v6, v7
	v_or_b32_e32 v6, 48, v2
	v_or_b32_e32 v7, 49, v2
	v_cmp_gt_i32_e64 s[8:9], s29, v6
	v_cmp_gt_i32_e64 s[10:11], s29, v7
	s_nop 0
	v_cndmask_b32_e64 v6, v4, v22, s[8:9]
	v_cndmask_b32_e64 v7, v4, v23, s[10:11]
	v_max3_f32 v3, v3, v6, v7
	v_or_b32_e32 v6, 50, v2
	v_or_b32_e32 v2, 51, v2
	v_cmp_gt_i32_e32 vcc, s29, v6
	v_cmp_gt_i32_e64 s[6:7], s29, v2
	s_nop 0
	v_cndmask_b32_e32 v6, v4, v20, vcc
	v_cndmask_b32_e64 v2, v4, v21, s[6:7]
	v_max3_f32 v4, v3, v6, v2
	v_mbcnt_lo_u32_b32 v2, -1, 0
	v_mbcnt_hi_u32_b32 v6, -1, v2
	v_and_b32_e32 v2, 64, v6
	v_add_u32_e32 v7, 64, v2
	v_xor_b32_e32 v2, 32, v6
	v_cmp_lt_i32_e64 s[40:41], v2, v7
	s_nop 1
	v_cndmask_b32_e64 v2, v6, v2, s[40:41]
	v_lshlrev_b32_e32 v44, 2, v2
	ds_bpermute_b32 v8, v44, v4
	s_waitcnt vmcnt(2)
	v_mad_i64_i32 v[2:3], s[40:41], v47, s45, v[18:19]
	global_load_dwordx4 v[14:17], v[24:25], off
	global_load_dwordx4 v[10:13], v[2:3], off
	v_xor_b32_e32 v3, 16, v6
	v_cmp_lt_i32_e64 s[40:41], v3, v7
	s_waitcnt lgkmcnt(0)
	v_max_f32_e32 v2, v8, v8
	v_max_f32_e32 v2, v4, v2
	v_cndmask_b32_e64 v3, v6, v3, s[40:41]
	v_lshlrev_b32_e32 v47, 2, v3
	ds_bpermute_b32 v3, v47, v2
	s_waitcnt vmcnt(3)
	v_mad_i64_i32 v[24:25], s[40:41], v45, s45, v[18:19]
	s_waitcnt vmcnt(2)
	v_mad_i64_i32 v[18:19], s[40:41], v46, s45, v[18:19]
	s_waitcnt lgkmcnt(0)
	v_max_f32_e32 v3, v3, v3
	v_max_f32_e32 v34, v2, v3
	v_sub_f32_e32 v2, v5, v34
	v_mul_f32_e32 v2, 0x3fb8aa3b, v2
	v_exp_f32_e32 v38, v2
	v_sub_f32_e32 v2, v39, v34
	v_mul_f32_e32 v2, 0x3fb8aa3b, v2
	v_exp_f32_e32 v39, v2
	global_load_dwordx4 v[6:9], v[24:25], off
	global_load_dwordx4 v[2:5], v[18:19], off
	v_sub_f32_e32 v25, v32, v34
	v_sub_f32_e32 v32, v33, v34
	v_mul_f32_e32 v25, 0x3fb8aa3b, v25
	v_mul_f32_e32 v32, 0x3fb8aa3b, v32
	v_exp_f32_e32 v25, v25
	v_exp_f32_e32 v32, v32
	v_cndmask_b32_e64 v18, 0, v38, s[4:5]
	v_cndmask_b32_e64 v19, 0, v39, s[34:35]
	;; [unrolled: 1-line block ×4, first 2 shown]
	v_sub_f32_e32 v25, v40, v34
	v_sub_f32_e32 v32, v41, v34
	v_mul_f32_e32 v25, 0x3fb8aa3b, v25
	v_mul_f32_e32 v32, 0x3fb8aa3b, v32
	v_exp_f32_e32 v25, v25
	v_exp_f32_e32 v32, v32
	v_add_f32_e32 v24, 0, v18
	v_add_f32_e32 v24, v24, v19
	;; [unrolled: 1-line block ×4, first 2 shown]
	v_cndmask_b32_e64 v24, 0, v25, s[24:25]
	v_cndmask_b32_e64 v25, 0, v32, s[26:27]
	v_sub_f32_e32 v32, v36, v34
	v_mul_f32_e32 v32, 0x3fb8aa3b, v32
	v_exp_f32_e32 v32, v32
	v_sub_f32_e32 v36, v37, v34
	v_add_f32_e32 v33, v33, v24
	v_mul_f32_e32 v36, 0x3fb8aa3b, v36
	v_exp_f32_e32 v37, v36
	v_add_f32_e32 v33, v33, v25
	v_cndmask_b32_e64 v36, 0, v32, s[20:21]
	v_add_f32_e32 v32, v33, v36
	v_sub_f32_e32 v33, v48, v34
	v_mul_f32_e32 v33, 0x3fb8aa3b, v33
	v_sub_f32_e32 v35, v35, v34
	v_exp_f32_e32 v33, v33
	v_mul_f32_e32 v35, 0x3fb8aa3b, v35
	v_sub_f32_e32 v30, v30, v34
	v_exp_f32_e32 v35, v35
	;; [unrolled: 3-line block ×3, first 2 shown]
	v_mul_f32_e32 v31, 0x3fb8aa3b, v31
	v_sub_f32_e32 v22, v22, v34
	v_cndmask_b32_e64 v37, 0, v37, s[22:23]
	v_exp_f32_e32 v31, v31
	v_mul_f32_e32 v22, 0x3fb8aa3b, v22
	v_sub_f32_e32 v23, v23, v34
	v_add_f32_e32 v40, v32, v37
	v_cndmask_b32_e64 v32, 0, v33, s[16:17]
	v_exp_f32_e32 v22, v22
	v_mul_f32_e32 v23, 0x3fb8aa3b, v23
	v_sub_f32_e32 v20, v20, v34
	v_add_f32_e32 v40, v40, v32
	;; [unrolled: 5-line block ×3, first 2 shown]
	v_cndmask_b32_e64 v30, 0, v30, s[12:13]
	v_exp_f32_e32 v20, v20
	v_mul_f32_e32 v21, 0x3fb8aa3b, v21
	v_add_f32_e32 v35, v35, v30
	v_cndmask_b32_e64 v31, 0, v31, s[14:15]
	v_exp_f32_e32 v21, v21
	v_add_f32_e32 v35, v35, v31
	v_cndmask_b32_e64 v22, 0, v22, s[8:9]
	v_add_f32_e32 v35, v35, v22
	v_cndmask_b32_e64 v23, 0, v23, s[10:11]
	v_add_f32_e32 v35, v35, v23
	v_cndmask_b32_e32 v20, 0, v20, vcc
	v_add_f32_e32 v35, v35, v20
	v_cndmask_b32_e64 v21, 0, v21, s[6:7]
	v_add_f32_e32 v35, v35, v21
	ds_bpermute_b32 v40, v44, v35
	s_load_dword s7, s[0:1], 0x98
	v_cmp_gt_u32_e32 vcc, 16, v43
	s_waitcnt lgkmcnt(0)
	s_barrier
	v_add_f32_e32 v40, v35, v40
	ds_bpermute_b32 v41, v47, v40
	v_lshlrev_b32_e32 v35, 2, v28
	s_waitcnt lgkmcnt(0)
	s_and_saveexec_b64 s[4:5], vcc
	s_cbranch_execz .LBB1213_15
; %bb.14:
	v_add_f32_e32 v40, v40, v41
	v_lshl_or_b32 v41, v29, 6, v35
	ds_write2st64_b32 v41, v34, v40 offset1:1
.LBB1213_15:
	s_or_b64 exec, exec, s[4:5]
	s_load_dword s6, s[0:1], 0x94
	s_waitcnt lgkmcnt(0)
	s_barrier
	ds_read2_b32 v[40:41], v35 offset1:16
	ds_read2_b32 v[44:45], v35 offset0:32 offset1:48
	ds_read2_b32 v[46:47], v35 offset0:64 offset1:80
	s_movk_i32 s8, 0x7fff
	s_mul_i32 s7, s7, 6
	s_waitcnt lgkmcnt(2)
	v_max3_f32 v34, v40, s44, v41
	s_waitcnt lgkmcnt(1)
	v_max3_f32 v34, v34, v44, v45
	v_sub_f32_e32 v40, v40, v34
	v_mul_f32_e32 v40, 0x3fb8aa3b, v40
	v_exp_f32_e32 v43, v40
	v_sub_f32_e32 v40, v41, v34
	v_mul_f32_e32 v40, 0x3fb8aa3b, v40
	v_exp_f32_e32 v48, v40
	;; [unrolled: 3-line block ×3, first 2 shown]
	ds_read2_b32 v[40:41], v35 offset0:96 offset1:112
	v_sub_f32_e32 v35, v45, v34
	v_mul_f32_e32 v35, 0x3fb8aa3b, v35
	v_exp_f32_e32 v45, v35
	s_waitcnt lgkmcnt(1)
	v_fma_f32 v35, v43, v46, 0
	v_fmac_f32_e32 v35, v48, v47
	s_waitcnt lgkmcnt(0)
	v_fmac_f32_e32 v35, v44, v40
	v_fmac_f32_e32 v35, v45, v41
	v_add_f32_e32 v40, 0x358637bd, v35
	v_div_scale_f32 v41, s[4:5], v40, v40, 1.0
	v_rcp_f32_e32 v46, v41
	s_barrier
	v_fma_f32 v47, -v41, v46, 1.0
	v_fmac_f32_e32 v46, v47, v46
	v_div_scale_f32 v47, vcc, 1.0, v40, 1.0
	v_mul_f32_e32 v49, v47, v46
	v_fma_f32 v50, -v41, v49, v47
	v_fmac_f32_e32 v49, v50, v46
	v_fma_f32 v41, -v41, v49, v47
	v_div_fmas_f32 v41, v41, v46, v49
	v_cmp_eq_u32_e32 vcc, 1, v29
	v_div_fixup_f32 v40, v41, v40, 1.0
	s_nop 0
	v_cndmask_b32_e32 v41, v43, v48, vcc
	v_cmp_eq_u32_e32 vcc, 2, v29
	s_nop 1
	v_cndmask_b32_e32 v41, v41, v44, vcc
	v_cmp_eq_u32_e32 vcc, 3, v29
	s_nop 1
	v_cndmask_b32_e32 v41, v41, v45, vcc
	v_mul_f32_e32 v40, v41, v40
	v_pk_mul_f32 v[18:19], v[40:41], v[18:19] op_sel_hi:[0,1]
	v_pk_mul_f32 v[38:39], v[40:41], v[38:39] op_sel_hi:[0,1]
	v_bfe_u32 v41, v19, 16, 1
	v_bfe_u32 v43, v18, 16, 1
	v_add3_u32 v18, v18, v43, s8
	v_add3_u32 v19, v19, v41, s8
	v_perm_b32 v44, v19, v18, s33
	v_bfe_u32 v18, v39, 16, 1
	v_bfe_u32 v19, v38, 16, 1
	v_add3_u32 v19, v38, v19, s8
	v_add3_u32 v18, v39, v18, s8
	v_perm_b32 v45, v18, v19, s33
	v_lshlrev_b32_e32 v18, 3, v42
	v_lshlrev_b32_e32 v19, 11, v29
	v_pk_mul_f32 v[24:25], v[40:41], v[24:25] op_sel_hi:[0,1]
	v_or3_b32 v18, v19, v27, v18
	v_bfe_u32 v19, v25, 16, 1
	v_bfe_u32 v29, v24, 16, 1
	v_pk_mul_f32 v[36:37], v[40:41], v[36:37] op_sel_hi:[0,1]
	v_add3_u32 v24, v24, v29, s8
	v_add3_u32 v19, v25, v19, s8
	v_perm_b32 v24, v19, v24, s33
	v_bfe_u32 v19, v37, 16, 1
	v_bfe_u32 v25, v36, 16, 1
	v_add3_u32 v25, v36, v25, s8
	v_add3_u32 v19, v37, v19, s8
	v_perm_b32 v25, v19, v25, s33
	ds_write2st64_b64 v18, v[44:45], v[24:25] offset1:1
	v_pk_mul_f32 v[24:25], v[40:41], v[30:31] op_sel_hi:[0,1]
	v_pk_mul_f32 v[30:31], v[40:41], v[32:33] op_sel_hi:[0,1]
	v_bfe_u32 v19, v31, 16, 1
	v_bfe_u32 v29, v30, 16, 1
	v_add3_u32 v29, v30, v29, s8
	v_add3_u32 v19, v31, v19, s8
	v_perm_b32 v30, v19, v29, s33
	v_bfe_u32 v19, v25, 16, 1
	v_bfe_u32 v29, v24, 16, 1
	v_add3_u32 v24, v24, v29, s8
	v_add3_u32 v19, v25, v19, s8
	v_pk_mul_f32 v[22:23], v[40:41], v[22:23] op_sel_hi:[0,1]
	v_perm_b32 v31, v19, v24, s33
	v_bfe_u32 v19, v23, 16, 1
	v_bfe_u32 v24, v22, 16, 1
	v_pk_mul_f32 v[20:21], v[40:41], v[20:21] op_sel_hi:[0,1]
	v_add3_u32 v22, v22, v24, s8
	v_add3_u32 v19, v23, v19, s8
	v_perm_b32 v22, v19, v22, s33
	v_bfe_u32 v19, v21, 16, 1
	v_bfe_u32 v23, v20, 16, 1
	v_add3_u32 v20, v20, v23, s8
	v_add3_u32 v19, v21, v19, s8
	v_perm_b32 v23, v19, v20, s33
	v_cmp_gt_u32_e32 vcc, 6, v0
	ds_write2st64_b64 v18, v[30:31], v[22:23] offset0:2 offset1:3
	s_and_saveexec_b64 s[4:5], vcc
	s_cbranch_execz .LBB1213_17
; %bb.16:
	s_mov_b32 s49, 0
	v_mov_b32_e32 v29, 0
	v_lshl_add_u64 v[20:21], s[48:49], 0, v[28:29]
	v_mov_b32_e32 v19, s7
	v_mad_u64_u32 v[20:21], s[10:11], s2, v19, v[20:21]
	s_mul_i32 s3, s3, s7
	v_mov_b32_e32 v28, s28
	s_load_dwordx4 s[12:15], s[0:1], 0x58
	v_add_u32_e32 v19, s3, v21
	v_mad_u64_u32 v[20:21], s[10:11], v20, s6, v[28:29]
	v_mov_b32_e32 v22, v21
	v_mad_u64_u32 v[22:23], s[10:11], v19, s6, v[22:23]
	v_mov_b32_e32 v21, v22
	v_lshlrev_b64 v[20:21], 2, v[20:21]
	s_waitcnt lgkmcnt(0)
	v_lshl_add_u64 v[22:23], s[14:15], 0, v[20:21]
	v_lshl_add_u64 v[20:21], s[12:13], 0, v[20:21]
	global_store_dword v[22:23], v34, off
	global_store_dword v[20:21], v35, off
.LBB1213_17:
	s_or_b64 exec, exec, s[4:5]
	s_waitcnt vmcnt(3)
	v_cvt_pk_f32_fp8_e32 v[20:21], v14
	v_cvt_pk_f32_fp8_sdwa v[22:23], v14 src0_sel:WORD_1
	s_mov_b32 s4, 0x7060302
	v_lshl_or_b32 v14, v42, 9, v27
	s_waitcnt lgkmcnt(0)
	s_barrier
	v_perm_b32 v24, v21, v20, s4
	v_perm_b32 v25, v23, v22, s4
	v_cvt_pk_f32_fp8_e32 v[28:29], v15
	ds_read_b128 v[20:23], v14
	v_cvt_pk_f32_fp8_sdwa v[36:37], v15 src0_sel:WORD_1
	s_load_dword s10, s[42:43], 0x0
	v_perm_b32 v38, v29, v28, s4
	ds_read_b128 v[28:31], v14 offset:16
	v_perm_b32 v39, v37, v36, s4
	s_waitcnt lgkmcnt(0)
	v_mfma_f32_16x16x16_bf16 v[32:35], v[24:25], v[20:21], 0
	v_cvt_pk_f32_fp8_e32 v[24:25], v16
	v_cvt_pk_f32_fp8_sdwa v[36:37], v16 src0_sel:WORD_1
	v_cmp_gt_u32_e32 vcc, 64, v0
	v_mfma_f32_16x16x16_bf16 v[20:23], v[38:39], v[22:23], v[32:35]
	v_perm_b32 v24, v25, v24, s4
	v_perm_b32 v25, v37, v36, s4
	s_mov_b32 s3, 0
	v_cvt_pk_f32_fp8_e32 v[32:33], v17
	v_cvt_pk_f32_fp8_sdwa v[16:17], v17 src0_sel:WORD_1
	s_waitcnt vmcnt(2)
	v_cvt_pk_f32_fp8_sdwa v[34:35], v10 src0_sel:WORD_1
	v_mfma_f32_16x16x16_bf16 v[20:23], v[24:25], v[28:29], v[20:23]
	v_perm_b32 v36, v33, v32, s4
	v_cvt_pk_f32_fp8_e32 v[32:33], v10
	v_perm_b32 v37, v17, v16, s4
	v_perm_b32 v17, v35, v34, s4
	v_cvt_pk_f32_fp8_e32 v[24:25], v11
	v_perm_b32 v16, v33, v32, s4
	ds_read_b128 v[32:35], v14 offset:2048
	v_cvt_pk_f32_fp8_sdwa v[10:11], v11 src0_sel:WORD_1
	v_mfma_f32_16x16x16_bf16 v[20:23], v[36:37], v[30:31], v[20:23]
	ds_read_b128 v[28:31], v14 offset:2064
	v_perm_b32 v24, v25, v24, s4
	v_perm_b32 v25, v11, v10, s4
	s_waitcnt lgkmcnt(1)
	v_mfma_f32_16x16x16_bf16 v[20:23], v[16:17], v[32:33], v[20:23]
	v_cvt_pk_f32_fp8_e32 v[10:11], v12
	v_cvt_pk_f32_fp8_sdwa v[16:17], v12 src0_sel:WORD_1
	s_waitcnt vmcnt(1)
	v_cvt_pk_f32_fp8_sdwa v[32:33], v6 src0_sel:WORD_1
	v_mfma_f32_16x16x16_bf16 v[20:23], v[24:25], v[34:35], v[20:23]
	v_cvt_pk_f32_fp8_e32 v[24:25], v13
	v_perm_b32 v10, v11, v10, s4
	v_perm_b32 v11, v17, v16, s4
	v_cvt_pk_f32_fp8_sdwa v[12:13], v13 src0_sel:WORD_1
	v_perm_b32 v16, v25, v24, s4
	v_cvt_pk_f32_fp8_e32 v[24:25], v6
	v_mov_b32_e32 v27, 0
	v_perm_b32 v17, v13, v12, s4
	s_waitcnt lgkmcnt(0)
	v_mfma_f32_16x16x16_bf16 v[10:13], v[10:11], v[28:29], v[20:23]
	v_perm_b32 v24, v25, v24, s4
	v_perm_b32 v25, v33, v32, s4
	v_cvt_pk_f32_fp8_e32 v[28:29], v7
	ds_read_b128 v[20:23], v14 offset:4096
	v_cvt_pk_f32_fp8_sdwa v[6:7], v7 src0_sel:WORD_1
	v_mfma_f32_16x16x16_bf16 v[10:13], v[16:17], v[30:31], v[10:13]
	v_perm_b32 v16, v29, v28, s4
	ds_read_b128 v[28:31], v14 offset:4112
	v_perm_b32 v17, v7, v6, s4
	s_waitcnt lgkmcnt(1)
	v_mfma_f32_16x16x16_bf16 v[10:13], v[24:25], v[20:21], v[10:13]
	v_cvt_pk_f32_fp8_e32 v[6:7], v8
	v_cvt_pk_f32_fp8_sdwa v[20:21], v8 src0_sel:WORD_1
	v_perm_b32 v6, v7, v6, s4
	v_mfma_f32_16x16x16_bf16 v[10:13], v[16:17], v[22:23], v[10:13]
	v_cvt_pk_f32_fp8_e32 v[16:17], v9
	v_perm_b32 v7, v21, v20, s4
	v_cvt_pk_f32_fp8_sdwa v[8:9], v9 src0_sel:WORD_1
	s_waitcnt vmcnt(0)
	v_cvt_pk_f32_fp8_e32 v[20:21], v2
	v_perm_b32 v16, v17, v16, s4
	v_cvt_pk_f32_fp8_sdwa v[22:23], v2 src0_sel:WORD_1
	v_perm_b32 v17, v9, v8, s4
	s_waitcnt lgkmcnt(0)
	v_mfma_f32_16x16x16_bf16 v[6:9], v[6:7], v[28:29], v[10:13]
	v_perm_b32 v20, v21, v20, s4
	v_perm_b32 v21, v23, v22, s4
	v_cvt_pk_f32_fp8_e32 v[22:23], v3
	ds_read_b128 v[10:13], v14 offset:6144
	v_cvt_pk_f32_fp8_sdwa v[2:3], v3 src0_sel:WORD_1
	v_mfma_f32_16x16x16_bf16 v[6:9], v[16:17], v[30:31], v[6:9]
	v_perm_b32 v22, v23, v22, s4
	ds_read_b128 v[14:17], v14 offset:6160
	v_perm_b32 v23, v3, v2, s4
	s_waitcnt lgkmcnt(1)
	v_mfma_f32_16x16x16_bf16 v[6:9], v[20:21], v[10:11], v[6:9]
	v_cvt_pk_f32_fp8_e32 v[2:3], v4
	v_cvt_pk_f32_fp8_sdwa v[10:11], v4 src0_sel:WORD_1
	s_waitcnt lgkmcnt(0)
	v_mfma_f32_16x16x16_bf16 v[6:9], v[22:23], v[12:13], v[6:9]
	v_perm_b32 v2, v3, v2, s4
	v_perm_b32 v3, v11, v10, s4
	v_cvt_pk_f32_fp8_e32 v[10:11], v5
	v_cvt_pk_f32_fp8_sdwa v[4:5], v5 src0_sel:WORD_1
	s_barrier
	v_perm_b32 v10, v11, v10, s4
	v_perm_b32 v11, v5, v4, s4
	v_mfma_f32_16x16x16_bf16 v[2:5], v[2:3], v[14:15], v[6:9]
	s_nop 0
	v_mfma_f32_16x16x16_bf16 v[2:5], v[10:11], v[16:17], v[2:5]
	s_nop 6
	v_pk_mul_f32 v[2:3], v[2:3], s[10:11] op_sel_hi:[1,0]
	v_pk_mul_f32 v[4:5], v[4:5], s[10:11] op_sel_hi:[1,0]
	v_bfe_u32 v6, v3, 16, 1
	v_bfe_u32 v7, v2, 16, 1
	v_add3_u32 v2, v2, v7, s8
	v_add3_u32 v3, v3, v6, s8
	v_perm_b32 v2, v3, v2, s4
	v_bfe_u32 v3, v5, 16, 1
	v_bfe_u32 v6, v4, 16, 1
	v_add3_u32 v4, v4, v6, s8
	v_add3_u32 v3, v5, v3, s8
	v_perm_b32 v3, v3, v4, s4
	s_and_b64 s[4:5], vcc, s[30:31]
	ds_write_b64 v18, v[2:3]
	s_waitcnt lgkmcnt(0)
	s_barrier
	s_and_saveexec_b64 s[8:9], s[4:5]
	s_cbranch_execz .LBB1213_20
; %bb.18:
	s_load_dwordx2 s[4:5], s[0:1], 0x68
	s_lshl_b32 s0, s6, 6
	s_mul_i32 s1, s7, s2
	s_mul_hi_u32 s7, s1, s0
	s_mul_i32 s6, s1, s0
	v_lshlrev_b32_e32 v0, 10, v0
	s_lshl_b64 s[6:7], s[6:7], 1
	v_and_b32_e32 v0, 0x1800, v0
	v_lshlrev_b32_e32 v3, 5, v42
	v_and_b32_e32 v1, 16, v1
	s_waitcnt lgkmcnt(0)
	s_add_u32 s1, s4, s6
	v_or3_b32 v3, v0, v3, v1
	s_addc_u32 s4, s5, s7
	s_lshl_b32 s2, s28, 6
	s_lshl_b64 s[2:3], s[2:3], 1
	ds_read_b128 v[4:7], v3
	s_add_u32 s2, s1, s2
	s_addc_u32 s3, s4, s3
	v_add_u32_e32 v8, s48, v42
	v_or_b32_e32 v2, 4, v42
	v_lshl_add_u64 v[0:1], s[2:3], 0, v[26:27]
	v_mad_u64_u32 v[8:9], s[2:3], v8, s0, 0
	v_lshl_add_u64 v[8:9], v[8:9], 1, v[0:1]
	v_cmp_gt_u32_e32 vcc, 6, v2
	s_waitcnt lgkmcnt(0)
	global_store_dwordx4 v[8:9], v[4:7], off
	s_and_b64 exec, exec, vcc
	s_cbranch_execz .LBB1213_20
; %bb.19:
	ds_read_b128 v[4:7], v3 offset:128
	v_add_u32_e32 v2, s48, v2
	v_mad_u64_u32 v[2:3], s[0:1], v2, s0, 0
	v_lshl_add_u64 v[0:1], v[2:3], 1, v[0:1]
	s_waitcnt lgkmcnt(0)
	global_store_dwordx4 v[0:1], v[4:7], off
.LBB1213_20:
	s_endpgm
	.section	.rodata,"a",@progbits
	.p2align	6, 0x0
	.amdhsa_kernel _Z39paged_attention_ll4mi_QKV_mfma16_kernelI14__hip_bfloat16hLN4vllm18Fp8KVCacheDataTypeE1ES0_Li32ELi64ELi256ELb1ELi6EEvPKT_PKT0_S8_ifPKiSA_SA_iPKfiiiPfSD_PS3_PT2_iSC_SC_
		.amdhsa_group_segment_fixed_size 8192
		.amdhsa_private_segment_fixed_size 0
		.amdhsa_kernarg_size 400
		.amdhsa_user_sgpr_count 2
		.amdhsa_user_sgpr_dispatch_ptr 0
		.amdhsa_user_sgpr_queue_ptr 0
		.amdhsa_user_sgpr_kernarg_segment_ptr 1
		.amdhsa_user_sgpr_dispatch_id 0
		.amdhsa_user_sgpr_kernarg_preload_length 0
		.amdhsa_user_sgpr_kernarg_preload_offset 0
		.amdhsa_user_sgpr_private_segment_size 0
		.amdhsa_uses_dynamic_stack 0
		.amdhsa_enable_private_segment 0
		.amdhsa_system_sgpr_workgroup_id_x 1
		.amdhsa_system_sgpr_workgroup_id_y 1
		.amdhsa_system_sgpr_workgroup_id_z 1
		.amdhsa_system_sgpr_workgroup_info 0
		.amdhsa_system_vgpr_workitem_id 0
		.amdhsa_next_free_vgpr 71
		.amdhsa_next_free_sgpr 50
		.amdhsa_accum_offset 72
		.amdhsa_reserve_vcc 1
		.amdhsa_float_round_mode_32 0
		.amdhsa_float_round_mode_16_64 0
		.amdhsa_float_denorm_mode_32 3
		.amdhsa_float_denorm_mode_16_64 3
		.amdhsa_dx10_clamp 1
		.amdhsa_ieee_mode 1
		.amdhsa_fp16_overflow 0
		.amdhsa_tg_split 0
		.amdhsa_exception_fp_ieee_invalid_op 0
		.amdhsa_exception_fp_denorm_src 0
		.amdhsa_exception_fp_ieee_div_zero 0
		.amdhsa_exception_fp_ieee_overflow 0
		.amdhsa_exception_fp_ieee_underflow 0
		.amdhsa_exception_fp_ieee_inexact 0
		.amdhsa_exception_int_div_zero 0
	.end_amdhsa_kernel
	.section	.text._Z39paged_attention_ll4mi_QKV_mfma16_kernelI14__hip_bfloat16hLN4vllm18Fp8KVCacheDataTypeE1ES0_Li32ELi64ELi256ELb1ELi6EEvPKT_PKT0_S8_ifPKiSA_SA_iPKfiiiPfSD_PS3_PT2_iSC_SC_,"axG",@progbits,_Z39paged_attention_ll4mi_QKV_mfma16_kernelI14__hip_bfloat16hLN4vllm18Fp8KVCacheDataTypeE1ES0_Li32ELi64ELi256ELb1ELi6EEvPKT_PKT0_S8_ifPKiSA_SA_iPKfiiiPfSD_PS3_PT2_iSC_SC_,comdat
.Lfunc_end1213:
	.size	_Z39paged_attention_ll4mi_QKV_mfma16_kernelI14__hip_bfloat16hLN4vllm18Fp8KVCacheDataTypeE1ES0_Li32ELi64ELi256ELb1ELi6EEvPKT_PKT0_S8_ifPKiSA_SA_iPKfiiiPfSD_PS3_PT2_iSC_SC_, .Lfunc_end1213-_Z39paged_attention_ll4mi_QKV_mfma16_kernelI14__hip_bfloat16hLN4vllm18Fp8KVCacheDataTypeE1ES0_Li32ELi64ELi256ELb1ELi6EEvPKT_PKT0_S8_ifPKiSA_SA_iPKfiiiPfSD_PS3_PT2_iSC_SC_
                                        ; -- End function
	.section	.AMDGPU.csdata,"",@progbits
; Kernel info:
; codeLenInByte = 5216
; NumSgprs: 56
; NumVgprs: 71
; NumAgprs: 0
; TotalNumVgprs: 71
; ScratchSize: 0
; MemoryBound: 0
; FloatMode: 240
; IeeeMode: 1
; LDSByteSize: 8192 bytes/workgroup (compile time only)
; SGPRBlocks: 6
; VGPRBlocks: 8
; NumSGPRsForWavesPerEU: 56
; NumVGPRsForWavesPerEU: 71
; AccumOffset: 72
; Occupancy: 7
; WaveLimiterHint : 1
; COMPUTE_PGM_RSRC2:SCRATCH_EN: 0
; COMPUTE_PGM_RSRC2:USER_SGPR: 2
; COMPUTE_PGM_RSRC2:TRAP_HANDLER: 0
; COMPUTE_PGM_RSRC2:TGID_X_EN: 1
; COMPUTE_PGM_RSRC2:TGID_Y_EN: 1
; COMPUTE_PGM_RSRC2:TGID_Z_EN: 1
; COMPUTE_PGM_RSRC2:TIDIG_COMP_CNT: 0
; COMPUTE_PGM_RSRC3_GFX90A:ACCUM_OFFSET: 17
; COMPUTE_PGM_RSRC3_GFX90A:TG_SPLIT: 0
	.section	.text._Z39paged_attention_ll4mi_QKV_mfma16_kernelI14__hip_bfloat16hLN4vllm18Fp8KVCacheDataTypeE1ES0_Li32ELi64ELi256ELb1ELi7EEvPKT_PKT0_S8_ifPKiSA_SA_iPKfiiiPfSD_PS3_PT2_iSC_SC_,"axG",@progbits,_Z39paged_attention_ll4mi_QKV_mfma16_kernelI14__hip_bfloat16hLN4vllm18Fp8KVCacheDataTypeE1ES0_Li32ELi64ELi256ELb1ELi7EEvPKT_PKT0_S8_ifPKiSA_SA_iPKfiiiPfSD_PS3_PT2_iSC_SC_,comdat
	.protected	_Z39paged_attention_ll4mi_QKV_mfma16_kernelI14__hip_bfloat16hLN4vllm18Fp8KVCacheDataTypeE1ES0_Li32ELi64ELi256ELb1ELi7EEvPKT_PKT0_S8_ifPKiSA_SA_iPKfiiiPfSD_PS3_PT2_iSC_SC_ ; -- Begin function _Z39paged_attention_ll4mi_QKV_mfma16_kernelI14__hip_bfloat16hLN4vllm18Fp8KVCacheDataTypeE1ES0_Li32ELi64ELi256ELb1ELi7EEvPKT_PKT0_S8_ifPKiSA_SA_iPKfiiiPfSD_PS3_PT2_iSC_SC_
	.globl	_Z39paged_attention_ll4mi_QKV_mfma16_kernelI14__hip_bfloat16hLN4vllm18Fp8KVCacheDataTypeE1ES0_Li32ELi64ELi256ELb1ELi7EEvPKT_PKT0_S8_ifPKiSA_SA_iPKfiiiPfSD_PS3_PT2_iSC_SC_
	.p2align	8
	.type	_Z39paged_attention_ll4mi_QKV_mfma16_kernelI14__hip_bfloat16hLN4vllm18Fp8KVCacheDataTypeE1ES0_Li32ELi64ELi256ELb1ELi7EEvPKT_PKT0_S8_ifPKiSA_SA_iPKfiiiPfSD_PS3_PT2_iSC_SC_,@function
_Z39paged_attention_ll4mi_QKV_mfma16_kernelI14__hip_bfloat16hLN4vllm18Fp8KVCacheDataTypeE1ES0_Li32ELi64ELi256ELb1ELi7EEvPKT_PKT0_S8_ifPKiSA_SA_iPKfiiiPfSD_PS3_PT2_iSC_SC_: ; @_Z39paged_attention_ll4mi_QKV_mfma16_kernelI14__hip_bfloat16hLN4vllm18Fp8KVCacheDataTypeE1ES0_Li32ELi64ELi256ELb1ELi7EEvPKT_PKT0_S8_ifPKiSA_SA_iPKfiiiPfSD_PS3_PT2_iSC_SC_
; %bb.0:
	s_load_dwordx2 s[6:7], s[0:1], 0x30
	s_mov_b32 s28, s3
	s_mov_b64 s[8:9], 0
	s_waitcnt lgkmcnt(0)
	s_cmp_lg_u64 s[6:7], 0
	s_cselect_b64 s[10:11], -1, 0
	s_and_b64 vcc, exec, s[10:11]
	s_cbranch_vccz .LBB1214_7
; %bb.1:
	s_add_i32 s12, s2, 1
	s_mov_b32 s13, 0
	s_lshl_b64 s[14:15], s[12:13], 2
	s_add_u32 s14, s6, s14
	s_mov_b32 s3, s13
	s_addc_u32 s15, s7, s15
	s_lshl_b64 s[12:13], s[2:3], 2
	s_add_u32 s12, s6, s12
	s_addc_u32 s13, s7, s13
	s_load_dword s5, s[14:15], 0x0
	s_load_dword s16, s[12:13], 0x0
	s_waitcnt lgkmcnt(0)
	s_sub_i32 s5, s5, s16
	s_cmp_eq_u32 s5, 1
	s_cselect_b64 s[12:13], -1, 0
	s_andn2_b64 vcc, exec, s[8:9]
	s_cbranch_vccnz .LBB1214_3
.LBB1214_2:
	s_mov_b32 s3, 0
	s_mov_b64 s[12:13], -1
.LBB1214_3:
	s_andn2_b64 vcc, exec, s[12:13]
	s_cbranch_vccnz .LBB1214_20
; %bb.4:
	s_load_dwordx2 s[8:9], s[0:1], 0x28
	s_lshl_b64 s[12:13], s[2:3], 2
	s_waitcnt lgkmcnt(0)
	s_add_u32 s8, s8, s12
	s_addc_u32 s9, s9, s13
	s_load_dword s29, s[8:9], 0x0
	s_lshl_b32 s16, s28, 8
	s_waitcnt lgkmcnt(0)
	s_cmp_ge_i32 s16, s29
	s_cbranch_scc1 .LBB1214_20
; %bb.5:
	s_load_dwordx2 s[8:9], s[0:1], 0x20
	s_load_dword s5, s[0:1], 0x38
	s_add_i32 s14, s29, 31
	s_ashr_i32 s15, s14, 31
	v_and_b32_e32 v1, 0xcf, v0
	s_lshr_b32 s15, s15, 27
	v_add_u32_e32 v1, s16, v1
	s_add_i32 s14, s14, s15
	v_ashrrev_i32_e32 v2, 31, v1
	s_ashr_i32 s17, s14, 5
	v_lshrrev_b32_e32 v4, 27, v2
	s_add_i32 s17, s17, -1
	s_waitcnt lgkmcnt(0)
	s_mul_i32 s14, s2, s5
	s_mov_b32 s15, 0
	v_add_u32_e32 v2, v1, v4
	s_lshl_b64 s[14:15], s[14:15], 2
	v_ashrrev_i32_e32 v2, 5, v2
	v_mov_b32_e32 v5, s17
	v_cmp_gt_i32_e32 vcc, s29, v1
	s_add_u32 s8, s8, s14
	s_addc_u32 s9, s9, s15
	v_cndmask_b32_e32 v2, v5, v2, vcc
	v_ashrrev_i32_e32 v3, 31, v2
	v_lshl_add_u64 v[6:7], v[2:3], 2, s[8:9]
	v_or_b32_e32 v2, 16, v1
	v_add_u32_e32 v3, v2, v4
	v_ashrrev_i32_e32 v3, 5, v3
	v_cmp_gt_i32_e32 vcc, s29, v2
	s_load_dwordx2 s[14:15], s[0:1], 0x8
	s_nop 0
	v_cndmask_b32_e32 v2, v5, v3, vcc
	v_ashrrev_i32_e32 v3, 31, v2
	v_lshl_add_u64 v[8:9], v[2:3], 2, s[8:9]
	v_or_b32_e32 v2, 32, v1
	v_add_u32_e32 v3, v2, v4
	v_ashrrev_i32_e32 v3, 5, v3
	v_cmp_gt_i32_e32 vcc, s29, v2
	v_or_b32_e32 v1, 48, v1
	s_nop 0
	v_cndmask_b32_e32 v2, v5, v3, vcc
	v_ashrrev_i32_e32 v3, 31, v2
	v_lshl_add_u64 v[10:11], v[2:3], 2, s[8:9]
	v_add_u32_e32 v2, v1, v4
	v_ashrrev_i32_e32 v2, 5, v2
	v_cmp_gt_i32_e32 vcc, s29, v1
	s_nop 1
	v_cndmask_b32_e32 v2, v5, v2, vcc
	v_ashrrev_i32_e32 v3, 31, v2
	v_lshl_add_u64 v[12:13], v[2:3], 2, s[8:9]
	global_load_dword v5, v[6:7], off
	global_load_dword v4, v[8:9], off
	;; [unrolled: 1-line block ×4, first 2 shown]
	s_andn2_b64 vcc, exec, s[10:11]
	s_cbranch_vccnz .LBB1214_8
; %bb.6:
	s_add_u32 s6, s6, s12
	s_addc_u32 s7, s7, s13
	s_load_dword s5, s[6:7], 0x0
	s_branch .LBB1214_9
.LBB1214_7:
	s_mov_b64 s[12:13], 0
	s_branch .LBB1214_2
.LBB1214_8:
	s_mov_b32 s5, s2
.LBB1214_9:
	s_load_dwordx2 s[10:11], s[0:1], 0x10
	s_load_dwordx4 s[44:47], s[0:1], 0x48
	v_lshrrev_b32_e32 v29, 6, v0
	v_bfe_u32 v42, v0, 4, 2
	v_lshl_or_b32 v6, v29, 2, v42
	v_and_b32_e32 v28, 15, v0
	v_lshlrev_b32_e32 v1, 3, v28
	v_cmp_gt_u32_e32 vcc, 7, v6
	v_cmp_gt_u32_e64 s[30:31], 8, v28
	s_mul_i32 s48, s4, 7
	s_and_b64 s[12:13], s[30:31], vcc
	v_lshlrev_b32_e32 v26, 1, v1
	v_lshlrev_b32_e32 v1, 4, v0
	s_and_saveexec_b64 s[6:7], s[12:13]
	s_cbranch_execz .LBB1214_11
; %bb.10:
	s_load_dwordx2 s[12:13], s[0:1], 0x0
	s_waitcnt lgkmcnt(0)
	s_ashr_i32 s18, s44, 31
	s_mul_hi_u32 s19, s5, s44
	s_mul_i32 s18, s5, s18
	s_add_i32 s19, s19, s18
	s_mul_i32 s18, s5, s44
	s_lshl_b64 s[18:19], s[18:19], 1
	s_add_u32 s12, s12, s18
	v_add_lshl_u32 v8, v6, s48, 6
	s_addc_u32 s13, s13, s19
	v_ashrrev_i32_e32 v9, 31, v8
	v_lshl_add_u64 v[8:9], v[8:9], 1, s[12:13]
	v_mov_b32_e32 v27, 0
	v_lshl_add_u64 v[8:9], v[8:9], 0, v[26:27]
	global_load_dwordx4 v[8:11], v[8:9], off
	v_lshlrev_b32_e32 v12, 8, v28
	v_lshlrev_b32_e32 v6, 5, v6
	v_and_b32_e32 v7, 16, v1
	v_and_b32_e32 v12, 0xe00, v12
	v_or3_b32 v6, v12, v6, v7
	s_waitcnt vmcnt(0)
	ds_write_b128 v6, v[8:11]
.LBB1214_11:
	s_or_b64 exec, exec, s[6:7]
	s_waitcnt lgkmcnt(0)
	s_mul_i32 s12, s4, s46
	s_add_u32 s4, s14, s12
	s_addc_u32 s5, s15, 0
	v_mov_b32_e32 v31, 0
	v_mov_b64_e32 v[6:7], s[4:5]
	v_lshlrev_b32_e32 v10, 4, v28
	v_and_b32_e32 v27, 48, v0
	s_waitcnt vmcnt(3)
	v_mad_i64_i32 v[8:9], s[4:5], v5, s45, v[6:7]
	v_mov_b32_e32 v11, v31
	s_waitcnt vmcnt(2)
	v_mad_i64_i32 v[4:5], s[4:5], v4, s45, v[6:7]
	v_or_b32_e32 v12, 0x100, v10
	v_mov_b32_e32 v13, v31
	v_lshlrev_b32_e32 v30, 5, v27
	v_lshl_add_u64 v[8:9], v[8:9], 0, v[10:11]
	v_lshl_add_u64 v[4:5], v[4:5], 0, v[12:13]
	;; [unrolled: 1-line block ×4, first 2 shown]
	s_barrier
	global_load_dwordx4 v[22:25], v[8:9], off
	global_load_dwordx4 v[18:21], v[4:5], off
	s_waitcnt vmcnt(3)
	v_mad_i64_i32 v[4:5], s[4:5], v3, s45, v[6:7]
	v_lshl_add_u64 v[4:5], v[4:5], 0, v[10:11]
	s_waitcnt vmcnt(2)
	v_mad_i64_i32 v[2:3], s[4:5], v2, s45, v[6:7]
	v_lshl_add_u64 v[4:5], v[4:5], 0, v[30:31]
	v_lshl_add_u64 v[2:3], v[2:3], 0, v[12:13]
	;; [unrolled: 1-line block ×3, first 2 shown]
	global_load_dwordx4 v[14:17], v[4:5], off
	global_load_dwordx4 v[6:9], v[2:3], off
	v_mul_lo_u16_e32 v2, 37, v28
	v_mov_b32_e32 v3, 7
	v_mul_lo_u16_sdwa v2, v2, v3 dst_sel:DWORD dst_unused:UNUSED_PAD src0_sel:BYTE_1 src1_sel:DWORD
	v_sub_u16_e32 v2, v28, v2
	v_mov_b32_e32 v3, 5
	v_lshlrev_b32_sdwa v2, v3, v2 dst_sel:DWORD dst_unused:UNUSED_PAD src0_sel:DWORD src1_sel:BYTE_0
	v_lshl_add_u32 v2, v42, 9, v2
	ds_read_b128 v[10:13], v2
	ds_read_b128 v[2:5], v2 offset:16
	v_and_b32_e32 v43, 63, v0
	v_cmp_gt_u32_e32 vcc, 7, v28
	v_mov_b32_e32 v44, 0
	s_and_saveexec_b64 s[4:5], vcc
	s_cbranch_execz .LBB1214_13
; %bb.12:
	s_load_dwordx2 s[6:7], s[0:1], 0x40
	v_add_u32_e32 v32, s48, v28
	v_ashrrev_i32_e32 v33, 31, v32
	s_waitcnt lgkmcnt(0)
	v_lshl_add_u64 v[32:33], v[32:33], 2, s[6:7]
	global_load_dword v44, v[32:33], off
.LBB1214_13:
	s_or_b64 exec, exec, s[4:5]
	s_ashr_i32 s4, s16, 31
	v_or_b32_e32 v45, s16, v27
	s_lshr_b32 s13, s4, 27
	v_add_u32_e32 v27, s13, v45
	v_ashrrev_i32_e32 v27, 5, v27
	s_waitcnt vmcnt(3)
	v_cvt_pk_f32_fp8_e32 v[34:35], v22
	v_cvt_pk_f32_fp8_sdwa v[36:37], v22 src0_sel:WORD_1
	s_waitcnt vmcnt(2)
	v_cvt_pk_f32_fp8_e32 v[56:57], v20
	v_cvt_pk_f32_fp8_sdwa v[58:59], v20 src0_sel:WORD_1
	v_mov_b32_e32 v20, s17
	v_cmp_gt_i32_e32 vcc, s29, v45
	v_cvt_pk_f32_fp8_e32 v[48:49], v18
	v_cvt_pk_f32_fp8_sdwa v[50:51], v18 src0_sel:WORD_1
	v_cndmask_b32_e32 v18, v20, v27, vcc
	v_cvt_pk_f32_fp8_e32 v[52:53], v19
	v_cvt_pk_f32_fp8_sdwa v[54:55], v19 src0_sel:WORD_1
	v_ashrrev_i32_e32 v19, 31, v18
	v_lshl_add_u64 v[18:19], v[18:19], 2, s[8:9]
	s_mov_b32 s33, 0x7060302
	v_cvt_pk_f32_fp8_e32 v[32:33], v23
	v_cvt_pk_f32_fp8_sdwa v[22:23], v23 src0_sel:WORD_1
	global_load_dword v70, v[18:19], off
	v_perm_b32 v18, v35, v34, s33
	v_perm_b32 v19, v37, v36, s33
	v_cvt_pk_f32_fp8_e32 v[60:61], v21
	v_cvt_pk_f32_fp8_sdwa v[62:63], v21 src0_sel:WORD_1
	v_or_b32_e32 v21, 64, v45
	v_or_b32_e32 v34, 0x80, v45
	v_or_b32_e32 v35, 0xc0, v45
	v_cmp_gt_i32_e32 vcc, s29, v21
	v_add_u32_e32 v21, s13, v21
	v_cmp_gt_i32_e64 s[4:5], s29, v34
	v_add_u32_e32 v34, s13, v34
	v_cmp_gt_i32_e64 s[6:7], s29, v35
	v_add_u32_e32 v35, s13, v35
	v_cvt_pk_f32_fp8_e32 v[38:39], v24
	v_cvt_pk_f32_fp8_sdwa v[40:41], v24 src0_sel:WORD_1
	v_cvt_pk_f32_fp8_e32 v[46:47], v25
	v_ashrrev_i32_e32 v21, 5, v21
	v_ashrrev_i32_e32 v34, 5, v34
	;; [unrolled: 1-line block ×3, first 2 shown]
	v_perm_b32 v32, v33, v32, s33
	v_perm_b32 v33, v23, v22, s33
	;; [unrolled: 1-line block ×4, first 2 shown]
	v_cvt_pk_f32_fp8_sdwa v[24:25], v25 src0_sel:WORD_1
	v_cndmask_b32_e32 v36, v20, v21, vcc
	v_cndmask_b32_e64 v64, v20, v34, s[4:5]
	v_cndmask_b32_e64 v66, v20, v35, s[6:7]
	s_waitcnt lgkmcnt(1)
	v_mfma_f32_16x16x16_bf16 v[18:21], v[18:19], v[10:11], 0
	v_perm_b32 v38, v39, v38, s33
	v_perm_b32 v39, v41, v40, s33
	;; [unrolled: 1-line block ×5, first 2 shown]
	s_load_dword s14, s[0:1], 0x1c
	s_load_dwordx4 s[40:43], s[0:1], 0x80
	v_perm_b32 v69, v25, v24, s33
	v_mfma_f32_16x16x16_bf16 v[22:25], v[22:23], v[10:11], 0
	s_add_u32 s10, s10, s12
	v_and_b32_e32 v30, 16, v0
	v_lshlrev_b32_e32 v27, 5, v28
	v_mfma_f32_16x16x16_bf16 v[32:35], v[32:33], v[12:13], v[18:21]
	s_addc_u32 s11, s11, 0
	v_lshl_add_u64 v[40:41], s[10:11], 0, v[30:31]
	v_lshl_or_b32 v30, v29, 9, v27
	v_ashrrev_i32_e32 v37, 31, v36
	v_ashrrev_i32_e32 v65, 31, v64
	;; [unrolled: 1-line block ×3, first 2 shown]
	v_perm_b32 v48, v57, v56, s33
	v_perm_b32 v49, v59, v58, s33
	v_mfma_f32_16x16x16_bf16 v[20:23], v[46:47], v[12:13], v[22:25]
	v_lshl_add_u64 v[18:19], v[40:41], 0, v[30:31]
	s_waitcnt lgkmcnt(0)
	s_load_dword s6, s[40:41], 0x0
	v_perm_b32 v50, v61, v60, s33
	v_mfma_f32_16x16x16_bf16 v[30:33], v[38:39], v[2:3], v[32:35]
	v_lshl_add_u64 v[24:25], v[36:37], 2, s[8:9]
	v_lshl_add_u64 v[36:37], v[66:67], 2, s[8:9]
	v_perm_b32 v51, v63, v62, s33
	v_lshl_add_u64 v[34:35], v[64:65], 2, s[8:9]
	global_load_dword v47, v[24:25], off
	global_load_dword v45, v[34:35], off
	;; [unrolled: 1-line block ×3, first 2 shown]
	s_waitcnt vmcnt(5)
	v_cvt_pk_f32_fp8_e32 v[34:35], v14
	v_cvt_pk_f32_fp8_sdwa v[36:37], v14 src0_sel:WORD_1
	v_mfma_f32_16x16x16_bf16 v[20:23], v[48:49], v[2:3], v[20:23]
	v_cvt_pk_f32_fp8_e32 v[38:39], v15
	v_perm_b32 v34, v35, v34, s33
	v_perm_b32 v35, v37, v36, s33
	v_cvt_pk_f32_fp8_sdwa v[14:15], v15 src0_sel:WORD_1
	v_mov_b32_e32 v40, s14
	s_waitcnt lgkmcnt(0)
	v_mul_f32_e32 v48, s6, v40
	v_mfma_f32_16x16x16_bf16 v[20:23], v[50:51], v[4:5], v[20:23]
	v_perm_b32 v38, v39, v38, s33
	v_cvt_pk_f32_fp8_e32 v[40:41], v16
	v_cvt_pk_f32_fp8_sdwa v[50:51], v16 src0_sel:WORD_1
	v_perm_b32 v39, v15, v14, s33
	v_mfma_f32_16x16x16_bf16 v[34:37], v[34:35], v[10:11], 0
	v_perm_b32 v40, v41, v40, s33
	v_perm_b32 v41, v51, v50, s33
	v_cvt_pk_f32_fp8_e32 v[50:51], v17
	v_cvt_pk_f32_fp8_sdwa v[52:53], v17 src0_sel:WORD_1
	v_mfma_f32_16x16x16_bf16 v[30:33], v[68:69], v[4:5], v[30:33]
	s_mov_b32 s44, 0xff7fffff
	s_waitcnt vmcnt(3)
	v_mad_i64_i32 v[24:25], s[4:5], v70, s45, v[18:19]
	v_mfma_f32_16x16x16_bf16 v[14:17], v[38:39], v[12:13], v[34:37]
	s_nop 2
	v_perm_b32 v34, v51, v50, s33
	v_perm_b32 v35, v53, v52, s33
	v_mfma_f32_16x16x16_bf16 v[14:17], v[40:41], v[2:3], v[14:17]
	v_pk_mul_f32 v[38:39], v[48:49], v[30:31] op_sel_hi:[0,1]
	v_cvt_pk_f32_fp8_e32 v[30:31], v6
	v_cvt_pk_f32_fp8_sdwa v[36:37], v6 src0_sel:WORD_1
	v_mfma_f32_16x16x16_bf16 v[14:17], v[34:35], v[4:5], v[14:17]
	v_cvt_pk_f32_fp8_e32 v[34:35], v7
	v_perm_b32 v30, v31, v30, s33
	v_perm_b32 v31, v37, v36, s33
	v_cvt_pk_f32_fp8_sdwa v[6:7], v7 src0_sel:WORD_1
	v_perm_b32 v40, v35, v34, s33
	v_cvt_pk_f32_fp8_e32 v[50:51], v8
	v_cvt_pk_f32_fp8_sdwa v[52:53], v8 src0_sel:WORD_1
	v_perm_b32 v41, v7, v6, s33
	v_mfma_f32_16x16x16_bf16 v[34:37], v[30:31], v[10:11], 0
	v_perm_b32 v10, v51, v50, s33
	v_perm_b32 v11, v53, v52, s33
	v_cvt_pk_f32_fp8_e32 v[30:31], v9
	v_cvt_pk_f32_fp8_sdwa v[50:51], v9 src0_sel:WORD_1
	v_mfma_f32_16x16x16_bf16 v[6:9], v[40:41], v[12:13], v[34:37]
	v_pk_mul_f32 v[40:41], v[48:49], v[20:21] op_sel_hi:[0,1]
	v_perm_b32 v12, v31, v30, s33
	v_perm_b32 v13, v51, v50, s33
	v_mfma_f32_16x16x16_bf16 v[6:9], v[10:11], v[2:3], v[6:9]
	v_pk_mul_f32 v[36:37], v[48:49], v[22:23] op_sel_hi:[0,1]
	v_pk_mul_f32 v[32:33], v[48:49], v[32:33] op_sel_hi:[0,1]
	;; [unrolled: 1-line block ×3, first 2 shown]
	v_mfma_f32_16x16x16_bf16 v[2:5], v[12:13], v[4:5], v[6:9]
	v_pk_mul_f32 v[34:35], v[48:49], v[14:15] op_sel_hi:[0,1]
	s_nop 5
	v_pk_mul_f32 v[22:23], v[48:49], v[2:3] op_sel_hi:[0,1]
	v_and_b32_e32 v2, 0xc0, v0
	v_add_u32_e32 v2, s16, v2
	v_lshl_or_b32 v2, v42, 2, v2
	v_or_b32_e32 v3, 1, v2
	v_pk_mul_f32 v[20:21], v[48:49], v[4:5] op_sel_hi:[0,1]
	v_subrev_u32_e32 v4, s29, v3
	v_add_u32_e32 v6, 1, v4
	v_add_u32_e32 v7, 2, v4
	;; [unrolled: 1-line block ×3, first 2 shown]
	v_cvt_f32_i32_e32 v6, v6
	v_cvt_f32_i32_e32 v7, v7
	;; [unrolled: 1-line block ×3, first 2 shown]
	v_add_u32_e32 v9, 19, v4
	v_fmac_f32_e32 v39, v44, v6
	v_fma_f32 v32, v44, v7, v32
	v_fmac_f32_e32 v33, v44, v8
	v_add_u32_e32 v6, 16, v4
	v_add_u32_e32 v7, 17, v4
	;; [unrolled: 1-line block ×3, first 2 shown]
	v_cvt_f32_i32_e32 v6, v6
	v_cvt_f32_i32_e32 v7, v7
	;; [unrolled: 1-line block ×4, first 2 shown]
	v_fma_f32 v40, v44, v6, v40
	v_fmac_f32_e32 v41, v44, v7
	v_fma_f32 v36, v44, v8, v36
	v_add_u32_e32 v6, 32, v4
	v_add_u32_e32 v7, 33, v4
	;; [unrolled: 1-line block ×3, first 2 shown]
	v_cvt_f32_i32_e32 v6, v6
	v_cvt_f32_i32_e32 v7, v7
	;; [unrolled: 1-line block ×4, first 2 shown]
	v_fmac_f32_e32 v37, v44, v9
	v_add_u32_e32 v9, 35, v4
	v_fma_f32 v48, v44, v6, v34
	v_fmac_f32_e32 v35, v44, v7
	v_fma_f32 v30, v44, v8, v30
	v_add_u32_e32 v6, 48, v4
	v_add_u32_e32 v7, 49, v4
	;; [unrolled: 1-line block ×4, first 2 shown]
	v_cvt_f32_i32_e32 v4, v4
	v_cvt_f32_i32_e32 v6, v6
	;; [unrolled: 1-line block ×3, first 2 shown]
	v_fma_f32 v5, v44, v5, v38
	v_fmac_f32_e32 v21, v44, v4
	v_mov_b32_e32 v4, 0xff7fffff
	v_cmp_gt_i32_e64 s[4:5], s29, v2
	v_cmp_gt_i32_e64 s[34:35], s29, v3
	v_fma_f32 v22, v44, v6, v22
	v_cndmask_b32_e64 v6, v4, v5, s[4:5]
	v_cndmask_b32_e64 v3, v4, v39, s[34:35]
	v_fmac_f32_e32 v23, v44, v7
	v_max3_f32 v3, v6, s44, v3
	v_or_b32_e32 v6, 2, v2
	v_or_b32_e32 v7, 3, v2
	v_cmp_gt_i32_e64 s[36:37], s29, v6
	v_cmp_gt_i32_e64 s[38:39], s29, v7
	v_cvt_f32_i32_e32 v9, v9
	v_cndmask_b32_e64 v6, v4, v32, s[36:37]
	v_cndmask_b32_e64 v7, v4, v33, s[38:39]
	v_max3_f32 v3, v3, v6, v7
	v_or_b32_e32 v6, 16, v2
	v_or_b32_e32 v7, 17, v2
	v_cmp_gt_i32_e64 s[24:25], s29, v6
	v_cmp_gt_i32_e64 s[26:27], s29, v7
	v_fmac_f32_e32 v31, v44, v9
	v_cndmask_b32_e64 v6, v4, v40, s[24:25]
	v_cndmask_b32_e64 v7, v4, v41, s[26:27]
	v_max3_f32 v3, v3, v6, v7
	v_or_b32_e32 v6, 18, v2
	v_or_b32_e32 v7, 19, v2
	v_cmp_gt_i32_e64 s[20:21], s29, v6
	v_cmp_gt_i32_e64 s[22:23], s29, v7
	v_cvt_f32_i32_e32 v8, v8
	v_cndmask_b32_e64 v6, v4, v36, s[20:21]
	v_cndmask_b32_e64 v7, v4, v37, s[22:23]
	v_max3_f32 v3, v3, v6, v7
	v_or_b32_e32 v6, 32, v2
	v_or_b32_e32 v7, 33, v2
	v_cmp_gt_i32_e64 s[16:17], s29, v6
	v_cmp_gt_i32_e64 s[18:19], s29, v7
	v_fma_f32 v20, v44, v8, v20
	v_cndmask_b32_e64 v6, v4, v48, s[16:17]
	v_cndmask_b32_e64 v7, v4, v35, s[18:19]
	v_max3_f32 v3, v3, v6, v7
	v_or_b32_e32 v6, 34, v2
	v_or_b32_e32 v7, 35, v2
	v_cmp_gt_i32_e64 s[12:13], s29, v6
	v_cmp_gt_i32_e64 s[14:15], s29, v7
	s_nop 0
	v_cndmask_b32_e64 v6, v4, v30, s[12:13]
	v_cndmask_b32_e64 v7, v4, v31, s[14:15]
	v_max3_f32 v3, v3, v6, v7
	v_or_b32_e32 v6, 48, v2
	v_or_b32_e32 v7, 49, v2
	v_cmp_gt_i32_e64 s[8:9], s29, v6
	v_cmp_gt_i32_e64 s[10:11], s29, v7
	s_nop 0
	v_cndmask_b32_e64 v6, v4, v22, s[8:9]
	v_cndmask_b32_e64 v7, v4, v23, s[10:11]
	v_max3_f32 v3, v3, v6, v7
	v_or_b32_e32 v6, 50, v2
	v_or_b32_e32 v2, 51, v2
	v_cmp_gt_i32_e32 vcc, s29, v6
	v_cmp_gt_i32_e64 s[6:7], s29, v2
	s_nop 0
	v_cndmask_b32_e32 v6, v4, v20, vcc
	v_cndmask_b32_e64 v2, v4, v21, s[6:7]
	v_max3_f32 v4, v3, v6, v2
	v_mbcnt_lo_u32_b32 v2, -1, 0
	v_mbcnt_hi_u32_b32 v6, -1, v2
	v_and_b32_e32 v2, 64, v6
	v_add_u32_e32 v7, 64, v2
	v_xor_b32_e32 v2, 32, v6
	v_cmp_lt_i32_e64 s[40:41], v2, v7
	s_nop 1
	v_cndmask_b32_e64 v2, v6, v2, s[40:41]
	v_lshlrev_b32_e32 v44, 2, v2
	ds_bpermute_b32 v8, v44, v4
	s_waitcnt vmcnt(2)
	v_mad_i64_i32 v[2:3], s[40:41], v47, s45, v[18:19]
	global_load_dwordx4 v[14:17], v[24:25], off
	global_load_dwordx4 v[10:13], v[2:3], off
	v_xor_b32_e32 v3, 16, v6
	v_cmp_lt_i32_e64 s[40:41], v3, v7
	s_waitcnt lgkmcnt(0)
	v_max_f32_e32 v2, v8, v8
	v_max_f32_e32 v2, v4, v2
	v_cndmask_b32_e64 v3, v6, v3, s[40:41]
	v_lshlrev_b32_e32 v47, 2, v3
	ds_bpermute_b32 v3, v47, v2
	s_waitcnt vmcnt(3)
	v_mad_i64_i32 v[24:25], s[40:41], v45, s45, v[18:19]
	s_waitcnt vmcnt(2)
	v_mad_i64_i32 v[18:19], s[40:41], v46, s45, v[18:19]
	s_waitcnt lgkmcnt(0)
	v_max_f32_e32 v3, v3, v3
	v_max_f32_e32 v34, v2, v3
	v_sub_f32_e32 v2, v5, v34
	v_mul_f32_e32 v2, 0x3fb8aa3b, v2
	v_exp_f32_e32 v38, v2
	v_sub_f32_e32 v2, v39, v34
	v_mul_f32_e32 v2, 0x3fb8aa3b, v2
	v_exp_f32_e32 v39, v2
	global_load_dwordx4 v[6:9], v[24:25], off
	global_load_dwordx4 v[2:5], v[18:19], off
	v_sub_f32_e32 v25, v32, v34
	v_sub_f32_e32 v32, v33, v34
	v_mul_f32_e32 v25, 0x3fb8aa3b, v25
	v_mul_f32_e32 v32, 0x3fb8aa3b, v32
	v_exp_f32_e32 v25, v25
	v_exp_f32_e32 v32, v32
	v_cndmask_b32_e64 v18, 0, v38, s[4:5]
	v_cndmask_b32_e64 v19, 0, v39, s[34:35]
	;; [unrolled: 1-line block ×4, first 2 shown]
	v_sub_f32_e32 v25, v40, v34
	v_sub_f32_e32 v32, v41, v34
	v_mul_f32_e32 v25, 0x3fb8aa3b, v25
	v_mul_f32_e32 v32, 0x3fb8aa3b, v32
	v_exp_f32_e32 v25, v25
	v_exp_f32_e32 v32, v32
	v_add_f32_e32 v24, 0, v18
	v_add_f32_e32 v24, v24, v19
	;; [unrolled: 1-line block ×4, first 2 shown]
	v_cndmask_b32_e64 v24, 0, v25, s[24:25]
	v_cndmask_b32_e64 v25, 0, v32, s[26:27]
	v_sub_f32_e32 v32, v36, v34
	v_mul_f32_e32 v32, 0x3fb8aa3b, v32
	v_exp_f32_e32 v32, v32
	v_sub_f32_e32 v36, v37, v34
	v_add_f32_e32 v33, v33, v24
	v_mul_f32_e32 v36, 0x3fb8aa3b, v36
	v_exp_f32_e32 v37, v36
	v_add_f32_e32 v33, v33, v25
	v_cndmask_b32_e64 v36, 0, v32, s[20:21]
	v_add_f32_e32 v32, v33, v36
	v_sub_f32_e32 v33, v48, v34
	v_mul_f32_e32 v33, 0x3fb8aa3b, v33
	v_sub_f32_e32 v35, v35, v34
	v_exp_f32_e32 v33, v33
	v_mul_f32_e32 v35, 0x3fb8aa3b, v35
	v_sub_f32_e32 v30, v30, v34
	v_exp_f32_e32 v35, v35
	;; [unrolled: 3-line block ×3, first 2 shown]
	v_mul_f32_e32 v31, 0x3fb8aa3b, v31
	v_sub_f32_e32 v22, v22, v34
	v_cndmask_b32_e64 v37, 0, v37, s[22:23]
	v_exp_f32_e32 v31, v31
	v_mul_f32_e32 v22, 0x3fb8aa3b, v22
	v_sub_f32_e32 v23, v23, v34
	v_add_f32_e32 v40, v32, v37
	v_cndmask_b32_e64 v32, 0, v33, s[16:17]
	v_exp_f32_e32 v22, v22
	v_mul_f32_e32 v23, 0x3fb8aa3b, v23
	v_sub_f32_e32 v20, v20, v34
	v_add_f32_e32 v40, v40, v32
	;; [unrolled: 5-line block ×3, first 2 shown]
	v_cndmask_b32_e64 v30, 0, v30, s[12:13]
	v_exp_f32_e32 v20, v20
	v_mul_f32_e32 v21, 0x3fb8aa3b, v21
	v_add_f32_e32 v35, v35, v30
	v_cndmask_b32_e64 v31, 0, v31, s[14:15]
	v_exp_f32_e32 v21, v21
	v_add_f32_e32 v35, v35, v31
	v_cndmask_b32_e64 v22, 0, v22, s[8:9]
	v_add_f32_e32 v35, v35, v22
	v_cndmask_b32_e64 v23, 0, v23, s[10:11]
	v_add_f32_e32 v35, v35, v23
	v_cndmask_b32_e32 v20, 0, v20, vcc
	v_add_f32_e32 v35, v35, v20
	v_cndmask_b32_e64 v21, 0, v21, s[6:7]
	v_add_f32_e32 v35, v35, v21
	ds_bpermute_b32 v40, v44, v35
	s_load_dword s7, s[0:1], 0x98
	v_cmp_gt_u32_e32 vcc, 16, v43
	s_waitcnt lgkmcnt(0)
	s_barrier
	v_add_f32_e32 v40, v35, v40
	ds_bpermute_b32 v41, v47, v40
	v_lshlrev_b32_e32 v35, 2, v28
	s_waitcnt lgkmcnt(0)
	s_and_saveexec_b64 s[4:5], vcc
	s_cbranch_execz .LBB1214_15
; %bb.14:
	v_add_f32_e32 v40, v40, v41
	v_lshl_or_b32 v41, v29, 6, v35
	ds_write2st64_b32 v41, v34, v40 offset1:1
.LBB1214_15:
	s_or_b64 exec, exec, s[4:5]
	s_load_dword s6, s[0:1], 0x94
	s_waitcnt lgkmcnt(0)
	s_barrier
	ds_read2_b32 v[40:41], v35 offset1:16
	ds_read2_b32 v[44:45], v35 offset0:32 offset1:48
	ds_read2_b32 v[46:47], v35 offset0:64 offset1:80
	s_movk_i32 s8, 0x7fff
	s_mul_i32 s7, s7, 7
	s_waitcnt lgkmcnt(2)
	v_max3_f32 v34, v40, s44, v41
	s_waitcnt lgkmcnt(1)
	v_max3_f32 v34, v34, v44, v45
	v_sub_f32_e32 v40, v40, v34
	v_mul_f32_e32 v40, 0x3fb8aa3b, v40
	v_exp_f32_e32 v43, v40
	v_sub_f32_e32 v40, v41, v34
	v_mul_f32_e32 v40, 0x3fb8aa3b, v40
	v_exp_f32_e32 v48, v40
	;; [unrolled: 3-line block ×3, first 2 shown]
	ds_read2_b32 v[40:41], v35 offset0:96 offset1:112
	v_sub_f32_e32 v35, v45, v34
	v_mul_f32_e32 v35, 0x3fb8aa3b, v35
	v_exp_f32_e32 v45, v35
	s_waitcnt lgkmcnt(1)
	v_fma_f32 v35, v43, v46, 0
	v_fmac_f32_e32 v35, v48, v47
	s_waitcnt lgkmcnt(0)
	v_fmac_f32_e32 v35, v44, v40
	v_fmac_f32_e32 v35, v45, v41
	v_add_f32_e32 v40, 0x358637bd, v35
	v_div_scale_f32 v41, s[4:5], v40, v40, 1.0
	v_rcp_f32_e32 v46, v41
	s_barrier
	v_fma_f32 v47, -v41, v46, 1.0
	v_fmac_f32_e32 v46, v47, v46
	v_div_scale_f32 v47, vcc, 1.0, v40, 1.0
	v_mul_f32_e32 v49, v47, v46
	v_fma_f32 v50, -v41, v49, v47
	v_fmac_f32_e32 v49, v50, v46
	v_fma_f32 v41, -v41, v49, v47
	v_div_fmas_f32 v41, v41, v46, v49
	v_cmp_eq_u32_e32 vcc, 1, v29
	v_div_fixup_f32 v40, v41, v40, 1.0
	s_nop 0
	v_cndmask_b32_e32 v41, v43, v48, vcc
	v_cmp_eq_u32_e32 vcc, 2, v29
	s_nop 1
	v_cndmask_b32_e32 v41, v41, v44, vcc
	v_cmp_eq_u32_e32 vcc, 3, v29
	s_nop 1
	v_cndmask_b32_e32 v41, v41, v45, vcc
	v_mul_f32_e32 v40, v41, v40
	v_pk_mul_f32 v[18:19], v[40:41], v[18:19] op_sel_hi:[0,1]
	v_pk_mul_f32 v[38:39], v[40:41], v[38:39] op_sel_hi:[0,1]
	v_bfe_u32 v41, v19, 16, 1
	v_bfe_u32 v43, v18, 16, 1
	v_add3_u32 v18, v18, v43, s8
	v_add3_u32 v19, v19, v41, s8
	v_perm_b32 v44, v19, v18, s33
	v_bfe_u32 v18, v39, 16, 1
	v_bfe_u32 v19, v38, 16, 1
	v_add3_u32 v19, v38, v19, s8
	v_add3_u32 v18, v39, v18, s8
	v_perm_b32 v45, v18, v19, s33
	v_lshlrev_b32_e32 v18, 3, v42
	v_lshlrev_b32_e32 v19, 11, v29
	v_pk_mul_f32 v[24:25], v[40:41], v[24:25] op_sel_hi:[0,1]
	v_or3_b32 v18, v19, v27, v18
	v_bfe_u32 v19, v25, 16, 1
	v_bfe_u32 v29, v24, 16, 1
	v_pk_mul_f32 v[36:37], v[40:41], v[36:37] op_sel_hi:[0,1]
	v_add3_u32 v24, v24, v29, s8
	v_add3_u32 v19, v25, v19, s8
	v_perm_b32 v24, v19, v24, s33
	v_bfe_u32 v19, v37, 16, 1
	v_bfe_u32 v25, v36, 16, 1
	v_add3_u32 v25, v36, v25, s8
	v_add3_u32 v19, v37, v19, s8
	v_perm_b32 v25, v19, v25, s33
	ds_write2st64_b64 v18, v[44:45], v[24:25] offset1:1
	v_pk_mul_f32 v[24:25], v[40:41], v[30:31] op_sel_hi:[0,1]
	v_pk_mul_f32 v[30:31], v[40:41], v[32:33] op_sel_hi:[0,1]
	v_bfe_u32 v19, v31, 16, 1
	v_bfe_u32 v29, v30, 16, 1
	v_add3_u32 v29, v30, v29, s8
	v_add3_u32 v19, v31, v19, s8
	v_perm_b32 v30, v19, v29, s33
	v_bfe_u32 v19, v25, 16, 1
	v_bfe_u32 v29, v24, 16, 1
	v_add3_u32 v24, v24, v29, s8
	v_add3_u32 v19, v25, v19, s8
	v_pk_mul_f32 v[22:23], v[40:41], v[22:23] op_sel_hi:[0,1]
	v_perm_b32 v31, v19, v24, s33
	v_bfe_u32 v19, v23, 16, 1
	v_bfe_u32 v24, v22, 16, 1
	v_pk_mul_f32 v[20:21], v[40:41], v[20:21] op_sel_hi:[0,1]
	v_add3_u32 v22, v22, v24, s8
	v_add3_u32 v19, v23, v19, s8
	v_perm_b32 v22, v19, v22, s33
	v_bfe_u32 v19, v21, 16, 1
	v_bfe_u32 v23, v20, 16, 1
	v_add3_u32 v20, v20, v23, s8
	v_add3_u32 v19, v21, v19, s8
	v_perm_b32 v23, v19, v20, s33
	v_cmp_gt_u32_e32 vcc, 7, v0
	ds_write2st64_b64 v18, v[30:31], v[22:23] offset0:2 offset1:3
	s_and_saveexec_b64 s[4:5], vcc
	s_cbranch_execz .LBB1214_17
; %bb.16:
	s_mov_b32 s49, 0
	v_mov_b32_e32 v29, 0
	v_lshl_add_u64 v[20:21], s[48:49], 0, v[28:29]
	v_mov_b32_e32 v19, s7
	v_mad_u64_u32 v[20:21], s[10:11], s2, v19, v[20:21]
	s_mul_i32 s3, s3, s7
	v_mov_b32_e32 v28, s28
	s_load_dwordx4 s[12:15], s[0:1], 0x58
	v_add_u32_e32 v19, s3, v21
	v_mad_u64_u32 v[20:21], s[10:11], v20, s6, v[28:29]
	v_mov_b32_e32 v22, v21
	v_mad_u64_u32 v[22:23], s[10:11], v19, s6, v[22:23]
	v_mov_b32_e32 v21, v22
	v_lshlrev_b64 v[20:21], 2, v[20:21]
	s_waitcnt lgkmcnt(0)
	v_lshl_add_u64 v[22:23], s[14:15], 0, v[20:21]
	v_lshl_add_u64 v[20:21], s[12:13], 0, v[20:21]
	global_store_dword v[22:23], v34, off
	global_store_dword v[20:21], v35, off
.LBB1214_17:
	s_or_b64 exec, exec, s[4:5]
	s_waitcnt vmcnt(3)
	v_cvt_pk_f32_fp8_e32 v[20:21], v14
	v_cvt_pk_f32_fp8_sdwa v[22:23], v14 src0_sel:WORD_1
	s_mov_b32 s4, 0x7060302
	v_lshl_or_b32 v14, v42, 9, v27
	s_waitcnt lgkmcnt(0)
	s_barrier
	v_perm_b32 v24, v21, v20, s4
	v_perm_b32 v25, v23, v22, s4
	v_cvt_pk_f32_fp8_e32 v[28:29], v15
	ds_read_b128 v[20:23], v14
	v_cvt_pk_f32_fp8_sdwa v[36:37], v15 src0_sel:WORD_1
	s_load_dword s10, s[42:43], 0x0
	v_perm_b32 v38, v29, v28, s4
	ds_read_b128 v[28:31], v14 offset:16
	v_perm_b32 v39, v37, v36, s4
	s_waitcnt lgkmcnt(0)
	v_mfma_f32_16x16x16_bf16 v[32:35], v[24:25], v[20:21], 0
	v_cvt_pk_f32_fp8_e32 v[24:25], v16
	v_cvt_pk_f32_fp8_sdwa v[36:37], v16 src0_sel:WORD_1
	v_cmp_gt_u32_e32 vcc, 64, v0
	v_mfma_f32_16x16x16_bf16 v[20:23], v[38:39], v[22:23], v[32:35]
	v_perm_b32 v24, v25, v24, s4
	v_perm_b32 v25, v37, v36, s4
	s_mov_b32 s3, 0
	v_cvt_pk_f32_fp8_e32 v[32:33], v17
	v_cvt_pk_f32_fp8_sdwa v[16:17], v17 src0_sel:WORD_1
	s_waitcnt vmcnt(2)
	v_cvt_pk_f32_fp8_sdwa v[34:35], v10 src0_sel:WORD_1
	v_mfma_f32_16x16x16_bf16 v[20:23], v[24:25], v[28:29], v[20:23]
	v_perm_b32 v36, v33, v32, s4
	v_cvt_pk_f32_fp8_e32 v[32:33], v10
	v_perm_b32 v37, v17, v16, s4
	v_perm_b32 v17, v35, v34, s4
	v_cvt_pk_f32_fp8_e32 v[24:25], v11
	v_perm_b32 v16, v33, v32, s4
	ds_read_b128 v[32:35], v14 offset:2048
	v_cvt_pk_f32_fp8_sdwa v[10:11], v11 src0_sel:WORD_1
	v_mfma_f32_16x16x16_bf16 v[20:23], v[36:37], v[30:31], v[20:23]
	ds_read_b128 v[28:31], v14 offset:2064
	v_perm_b32 v24, v25, v24, s4
	v_perm_b32 v25, v11, v10, s4
	s_waitcnt lgkmcnt(1)
	v_mfma_f32_16x16x16_bf16 v[20:23], v[16:17], v[32:33], v[20:23]
	v_cvt_pk_f32_fp8_e32 v[10:11], v12
	v_cvt_pk_f32_fp8_sdwa v[16:17], v12 src0_sel:WORD_1
	s_waitcnt vmcnt(1)
	v_cvt_pk_f32_fp8_sdwa v[32:33], v6 src0_sel:WORD_1
	v_mfma_f32_16x16x16_bf16 v[20:23], v[24:25], v[34:35], v[20:23]
	v_cvt_pk_f32_fp8_e32 v[24:25], v13
	v_perm_b32 v10, v11, v10, s4
	v_perm_b32 v11, v17, v16, s4
	v_cvt_pk_f32_fp8_sdwa v[12:13], v13 src0_sel:WORD_1
	v_perm_b32 v16, v25, v24, s4
	v_cvt_pk_f32_fp8_e32 v[24:25], v6
	v_mov_b32_e32 v27, 0
	v_perm_b32 v17, v13, v12, s4
	s_waitcnt lgkmcnt(0)
	v_mfma_f32_16x16x16_bf16 v[10:13], v[10:11], v[28:29], v[20:23]
	v_perm_b32 v24, v25, v24, s4
	v_perm_b32 v25, v33, v32, s4
	v_cvt_pk_f32_fp8_e32 v[28:29], v7
	ds_read_b128 v[20:23], v14 offset:4096
	v_cvt_pk_f32_fp8_sdwa v[6:7], v7 src0_sel:WORD_1
	v_mfma_f32_16x16x16_bf16 v[10:13], v[16:17], v[30:31], v[10:13]
	v_perm_b32 v16, v29, v28, s4
	ds_read_b128 v[28:31], v14 offset:4112
	v_perm_b32 v17, v7, v6, s4
	s_waitcnt lgkmcnt(1)
	v_mfma_f32_16x16x16_bf16 v[10:13], v[24:25], v[20:21], v[10:13]
	v_cvt_pk_f32_fp8_e32 v[6:7], v8
	v_cvt_pk_f32_fp8_sdwa v[20:21], v8 src0_sel:WORD_1
	v_perm_b32 v6, v7, v6, s4
	v_mfma_f32_16x16x16_bf16 v[10:13], v[16:17], v[22:23], v[10:13]
	v_cvt_pk_f32_fp8_e32 v[16:17], v9
	v_perm_b32 v7, v21, v20, s4
	v_cvt_pk_f32_fp8_sdwa v[8:9], v9 src0_sel:WORD_1
	s_waitcnt vmcnt(0)
	v_cvt_pk_f32_fp8_e32 v[20:21], v2
	v_perm_b32 v16, v17, v16, s4
	v_cvt_pk_f32_fp8_sdwa v[22:23], v2 src0_sel:WORD_1
	v_perm_b32 v17, v9, v8, s4
	s_waitcnt lgkmcnt(0)
	v_mfma_f32_16x16x16_bf16 v[6:9], v[6:7], v[28:29], v[10:13]
	v_perm_b32 v20, v21, v20, s4
	v_perm_b32 v21, v23, v22, s4
	v_cvt_pk_f32_fp8_e32 v[22:23], v3
	ds_read_b128 v[10:13], v14 offset:6144
	v_cvt_pk_f32_fp8_sdwa v[2:3], v3 src0_sel:WORD_1
	v_mfma_f32_16x16x16_bf16 v[6:9], v[16:17], v[30:31], v[6:9]
	v_perm_b32 v22, v23, v22, s4
	ds_read_b128 v[14:17], v14 offset:6160
	v_perm_b32 v23, v3, v2, s4
	s_waitcnt lgkmcnt(1)
	v_mfma_f32_16x16x16_bf16 v[6:9], v[20:21], v[10:11], v[6:9]
	v_cvt_pk_f32_fp8_e32 v[2:3], v4
	v_cvt_pk_f32_fp8_sdwa v[10:11], v4 src0_sel:WORD_1
	s_waitcnt lgkmcnt(0)
	v_mfma_f32_16x16x16_bf16 v[6:9], v[22:23], v[12:13], v[6:9]
	v_perm_b32 v2, v3, v2, s4
	v_perm_b32 v3, v11, v10, s4
	v_cvt_pk_f32_fp8_e32 v[10:11], v5
	v_cvt_pk_f32_fp8_sdwa v[4:5], v5 src0_sel:WORD_1
	s_barrier
	v_perm_b32 v10, v11, v10, s4
	v_perm_b32 v11, v5, v4, s4
	v_mfma_f32_16x16x16_bf16 v[2:5], v[2:3], v[14:15], v[6:9]
	s_nop 0
	v_mfma_f32_16x16x16_bf16 v[2:5], v[10:11], v[16:17], v[2:5]
	s_nop 6
	v_pk_mul_f32 v[2:3], v[2:3], s[10:11] op_sel_hi:[1,0]
	v_pk_mul_f32 v[4:5], v[4:5], s[10:11] op_sel_hi:[1,0]
	v_bfe_u32 v6, v3, 16, 1
	v_bfe_u32 v7, v2, 16, 1
	v_add3_u32 v2, v2, v7, s8
	v_add3_u32 v3, v3, v6, s8
	v_perm_b32 v2, v3, v2, s4
	v_bfe_u32 v3, v5, 16, 1
	v_bfe_u32 v6, v4, 16, 1
	v_add3_u32 v4, v4, v6, s8
	v_add3_u32 v3, v5, v3, s8
	v_perm_b32 v3, v3, v4, s4
	s_and_b64 s[4:5], vcc, s[30:31]
	ds_write_b64 v18, v[2:3]
	s_waitcnt lgkmcnt(0)
	s_barrier
	s_and_saveexec_b64 s[8:9], s[4:5]
	s_cbranch_execz .LBB1214_20
; %bb.18:
	s_load_dwordx2 s[4:5], s[0:1], 0x68
	s_lshl_b32 s0, s6, 6
	s_mul_i32 s1, s7, s2
	s_mul_hi_u32 s7, s1, s0
	s_mul_i32 s6, s1, s0
	v_lshlrev_b32_e32 v0, 10, v0
	s_lshl_b64 s[6:7], s[6:7], 1
	v_and_b32_e32 v0, 0x1800, v0
	v_lshlrev_b32_e32 v2, 5, v42
	v_and_b32_e32 v1, 16, v1
	s_waitcnt lgkmcnt(0)
	s_add_u32 s1, s4, s6
	v_or3_b32 v2, v0, v2, v1
	s_addc_u32 s4, s5, s7
	s_lshl_b32 s2, s28, 6
	s_lshl_b64 s[2:3], s[2:3], 1
	ds_read_b128 v[4:7], v2
	s_add_u32 s2, s1, s2
	s_addc_u32 s3, s4, s3
	v_add_u32_e32 v3, s48, v42
	v_lshl_add_u64 v[0:1], s[2:3], 0, v[26:27]
	v_mad_u64_u32 v[8:9], s[2:3], v3, s0, 0
	v_lshl_add_u64 v[8:9], v[8:9], 1, v[0:1]
	v_cmp_ne_u32_e32 vcc, 3, v42
	s_waitcnt lgkmcnt(0)
	global_store_dwordx4 v[8:9], v[4:7], off
	s_and_b64 exec, exec, vcc
	s_cbranch_execz .LBB1214_20
; %bb.19:
	ds_read_b128 v[2:5], v2 offset:128
	v_add3_u32 v6, s48, v42, 4
	v_mad_u64_u32 v[6:7], s[0:1], v6, s0, 0
	v_lshl_add_u64 v[0:1], v[6:7], 1, v[0:1]
	s_waitcnt lgkmcnt(0)
	global_store_dwordx4 v[0:1], v[2:5], off
.LBB1214_20:
	s_endpgm
	.section	.rodata,"a",@progbits
	.p2align	6, 0x0
	.amdhsa_kernel _Z39paged_attention_ll4mi_QKV_mfma16_kernelI14__hip_bfloat16hLN4vllm18Fp8KVCacheDataTypeE1ES0_Li32ELi64ELi256ELb1ELi7EEvPKT_PKT0_S8_ifPKiSA_SA_iPKfiiiPfSD_PS3_PT2_iSC_SC_
		.amdhsa_group_segment_fixed_size 8192
		.amdhsa_private_segment_fixed_size 0
		.amdhsa_kernarg_size 400
		.amdhsa_user_sgpr_count 2
		.amdhsa_user_sgpr_dispatch_ptr 0
		.amdhsa_user_sgpr_queue_ptr 0
		.amdhsa_user_sgpr_kernarg_segment_ptr 1
		.amdhsa_user_sgpr_dispatch_id 0
		.amdhsa_user_sgpr_kernarg_preload_length 0
		.amdhsa_user_sgpr_kernarg_preload_offset 0
		.amdhsa_user_sgpr_private_segment_size 0
		.amdhsa_uses_dynamic_stack 0
		.amdhsa_enable_private_segment 0
		.amdhsa_system_sgpr_workgroup_id_x 1
		.amdhsa_system_sgpr_workgroup_id_y 1
		.amdhsa_system_sgpr_workgroup_id_z 1
		.amdhsa_system_sgpr_workgroup_info 0
		.amdhsa_system_vgpr_workitem_id 0
		.amdhsa_next_free_vgpr 71
		.amdhsa_next_free_sgpr 50
		.amdhsa_accum_offset 72
		.amdhsa_reserve_vcc 1
		.amdhsa_float_round_mode_32 0
		.amdhsa_float_round_mode_16_64 0
		.amdhsa_float_denorm_mode_32 3
		.amdhsa_float_denorm_mode_16_64 3
		.amdhsa_dx10_clamp 1
		.amdhsa_ieee_mode 1
		.amdhsa_fp16_overflow 0
		.amdhsa_tg_split 0
		.amdhsa_exception_fp_ieee_invalid_op 0
		.amdhsa_exception_fp_denorm_src 0
		.amdhsa_exception_fp_ieee_div_zero 0
		.amdhsa_exception_fp_ieee_overflow 0
		.amdhsa_exception_fp_ieee_underflow 0
		.amdhsa_exception_fp_ieee_inexact 0
		.amdhsa_exception_int_div_zero 0
	.end_amdhsa_kernel
	.section	.text._Z39paged_attention_ll4mi_QKV_mfma16_kernelI14__hip_bfloat16hLN4vllm18Fp8KVCacheDataTypeE1ES0_Li32ELi64ELi256ELb1ELi7EEvPKT_PKT0_S8_ifPKiSA_SA_iPKfiiiPfSD_PS3_PT2_iSC_SC_,"axG",@progbits,_Z39paged_attention_ll4mi_QKV_mfma16_kernelI14__hip_bfloat16hLN4vllm18Fp8KVCacheDataTypeE1ES0_Li32ELi64ELi256ELb1ELi7EEvPKT_PKT0_S8_ifPKiSA_SA_iPKfiiiPfSD_PS3_PT2_iSC_SC_,comdat
.Lfunc_end1214:
	.size	_Z39paged_attention_ll4mi_QKV_mfma16_kernelI14__hip_bfloat16hLN4vllm18Fp8KVCacheDataTypeE1ES0_Li32ELi64ELi256ELb1ELi7EEvPKT_PKT0_S8_ifPKiSA_SA_iPKfiiiPfSD_PS3_PT2_iSC_SC_, .Lfunc_end1214-_Z39paged_attention_ll4mi_QKV_mfma16_kernelI14__hip_bfloat16hLN4vllm18Fp8KVCacheDataTypeE1ES0_Li32ELi64ELi256ELb1ELi7EEvPKT_PKT0_S8_ifPKiSA_SA_iPKfiiiPfSD_PS3_PT2_iSC_SC_
                                        ; -- End function
	.section	.AMDGPU.csdata,"",@progbits
; Kernel info:
; codeLenInByte = 5216
; NumSgprs: 56
; NumVgprs: 71
; NumAgprs: 0
; TotalNumVgprs: 71
; ScratchSize: 0
; MemoryBound: 0
; FloatMode: 240
; IeeeMode: 1
; LDSByteSize: 8192 bytes/workgroup (compile time only)
; SGPRBlocks: 6
; VGPRBlocks: 8
; NumSGPRsForWavesPerEU: 56
; NumVGPRsForWavesPerEU: 71
; AccumOffset: 72
; Occupancy: 7
; WaveLimiterHint : 1
; COMPUTE_PGM_RSRC2:SCRATCH_EN: 0
; COMPUTE_PGM_RSRC2:USER_SGPR: 2
; COMPUTE_PGM_RSRC2:TRAP_HANDLER: 0
; COMPUTE_PGM_RSRC2:TGID_X_EN: 1
; COMPUTE_PGM_RSRC2:TGID_Y_EN: 1
; COMPUTE_PGM_RSRC2:TGID_Z_EN: 1
; COMPUTE_PGM_RSRC2:TIDIG_COMP_CNT: 0
; COMPUTE_PGM_RSRC3_GFX90A:ACCUM_OFFSET: 17
; COMPUTE_PGM_RSRC3_GFX90A:TG_SPLIT: 0
	.section	.text._Z39paged_attention_ll4mi_QKV_mfma16_kernelI14__hip_bfloat16hLN4vllm18Fp8KVCacheDataTypeE1ES0_Li32ELi64ELi256ELb1ELi8EEvPKT_PKT0_S8_ifPKiSA_SA_iPKfiiiPfSD_PS3_PT2_iSC_SC_,"axG",@progbits,_Z39paged_attention_ll4mi_QKV_mfma16_kernelI14__hip_bfloat16hLN4vllm18Fp8KVCacheDataTypeE1ES0_Li32ELi64ELi256ELb1ELi8EEvPKT_PKT0_S8_ifPKiSA_SA_iPKfiiiPfSD_PS3_PT2_iSC_SC_,comdat
	.protected	_Z39paged_attention_ll4mi_QKV_mfma16_kernelI14__hip_bfloat16hLN4vllm18Fp8KVCacheDataTypeE1ES0_Li32ELi64ELi256ELb1ELi8EEvPKT_PKT0_S8_ifPKiSA_SA_iPKfiiiPfSD_PS3_PT2_iSC_SC_ ; -- Begin function _Z39paged_attention_ll4mi_QKV_mfma16_kernelI14__hip_bfloat16hLN4vllm18Fp8KVCacheDataTypeE1ES0_Li32ELi64ELi256ELb1ELi8EEvPKT_PKT0_S8_ifPKiSA_SA_iPKfiiiPfSD_PS3_PT2_iSC_SC_
	.globl	_Z39paged_attention_ll4mi_QKV_mfma16_kernelI14__hip_bfloat16hLN4vllm18Fp8KVCacheDataTypeE1ES0_Li32ELi64ELi256ELb1ELi8EEvPKT_PKT0_S8_ifPKiSA_SA_iPKfiiiPfSD_PS3_PT2_iSC_SC_
	.p2align	8
	.type	_Z39paged_attention_ll4mi_QKV_mfma16_kernelI14__hip_bfloat16hLN4vllm18Fp8KVCacheDataTypeE1ES0_Li32ELi64ELi256ELb1ELi8EEvPKT_PKT0_S8_ifPKiSA_SA_iPKfiiiPfSD_PS3_PT2_iSC_SC_,@function
_Z39paged_attention_ll4mi_QKV_mfma16_kernelI14__hip_bfloat16hLN4vllm18Fp8KVCacheDataTypeE1ES0_Li32ELi64ELi256ELb1ELi8EEvPKT_PKT0_S8_ifPKiSA_SA_iPKfiiiPfSD_PS3_PT2_iSC_SC_: ; @_Z39paged_attention_ll4mi_QKV_mfma16_kernelI14__hip_bfloat16hLN4vllm18Fp8KVCacheDataTypeE1ES0_Li32ELi64ELi256ELb1ELi8EEvPKT_PKT0_S8_ifPKiSA_SA_iPKfiiiPfSD_PS3_PT2_iSC_SC_
; %bb.0:
	s_load_dwordx2 s[8:9], s[0:1], 0x30
	s_mov_b32 s28, s3
	s_mov_b64 s[6:7], 0
	s_waitcnt lgkmcnt(0)
	s_cmp_lg_u64 s[8:9], 0
	s_cselect_b64 s[10:11], -1, 0
	s_and_b64 vcc, exec, s[10:11]
	s_cbranch_vccz .LBB1215_7
; %bb.1:
	s_add_i32 s12, s2, 1
	s_mov_b32 s13, 0
	s_lshl_b64 s[14:15], s[12:13], 2
	s_add_u32 s14, s8, s14
	s_mov_b32 s3, s13
	s_addc_u32 s15, s9, s15
	s_lshl_b64 s[12:13], s[2:3], 2
	s_add_u32 s12, s8, s12
	s_addc_u32 s13, s9, s13
	s_load_dword s5, s[14:15], 0x0
	s_load_dword s16, s[12:13], 0x0
	s_waitcnt lgkmcnt(0)
	s_sub_i32 s5, s5, s16
	s_cmp_eq_u32 s5, 1
	s_cselect_b64 s[12:13], -1, 0
	s_andn2_b64 vcc, exec, s[6:7]
	s_cbranch_vccnz .LBB1215_3
.LBB1215_2:
	s_mov_b32 s3, 0
	s_mov_b64 s[12:13], -1
.LBB1215_3:
	s_andn2_b64 vcc, exec, s[12:13]
	s_cbranch_vccnz .LBB1215_19
; %bb.4:
	s_load_dwordx2 s[6:7], s[0:1], 0x28
	s_lshl_b64 s[12:13], s[2:3], 2
	s_waitcnt lgkmcnt(0)
	s_add_u32 s6, s6, s12
	s_addc_u32 s7, s7, s13
	s_load_dword s33, s[6:7], 0x0
	s_lshl_b32 s16, s28, 8
	s_waitcnt lgkmcnt(0)
	s_cmp_ge_i32 s16, s33
	s_cbranch_scc1 .LBB1215_19
; %bb.5:
	s_load_dwordx2 s[6:7], s[0:1], 0x20
	s_load_dword s5, s[0:1], 0x38
	s_add_i32 s14, s33, 31
	s_ashr_i32 s15, s14, 31
	v_and_b32_e32 v1, 0xcf, v0
	s_lshr_b32 s15, s15, 27
	v_add_u32_e32 v1, s16, v1
	s_add_i32 s14, s14, s15
	v_ashrrev_i32_e32 v2, 31, v1
	s_ashr_i32 s17, s14, 5
	v_lshrrev_b32_e32 v4, 27, v2
	s_add_i32 s17, s17, -1
	s_waitcnt lgkmcnt(0)
	s_mul_i32 s14, s2, s5
	s_mov_b32 s15, 0
	v_add_u32_e32 v2, v1, v4
	s_lshl_b64 s[14:15], s[14:15], 2
	v_ashrrev_i32_e32 v2, 5, v2
	v_mov_b32_e32 v5, s17
	v_cmp_gt_i32_e32 vcc, s33, v1
	s_add_u32 s6, s6, s14
	s_addc_u32 s7, s7, s15
	v_cndmask_b32_e32 v2, v5, v2, vcc
	v_ashrrev_i32_e32 v3, 31, v2
	v_lshl_add_u64 v[6:7], v[2:3], 2, s[6:7]
	v_or_b32_e32 v2, 16, v1
	v_add_u32_e32 v3, v2, v4
	v_ashrrev_i32_e32 v3, 5, v3
	v_cmp_gt_i32_e32 vcc, s33, v2
	s_load_dwordx2 s[14:15], s[0:1], 0x8
	s_nop 0
	v_cndmask_b32_e32 v2, v5, v3, vcc
	v_ashrrev_i32_e32 v3, 31, v2
	v_lshl_add_u64 v[8:9], v[2:3], 2, s[6:7]
	v_or_b32_e32 v2, 32, v1
	v_add_u32_e32 v3, v2, v4
	v_ashrrev_i32_e32 v3, 5, v3
	v_cmp_gt_i32_e32 vcc, s33, v2
	v_or_b32_e32 v1, 48, v1
	s_nop 0
	v_cndmask_b32_e32 v2, v5, v3, vcc
	v_ashrrev_i32_e32 v3, 31, v2
	v_lshl_add_u64 v[10:11], v[2:3], 2, s[6:7]
	v_add_u32_e32 v2, v1, v4
	v_ashrrev_i32_e32 v2, 5, v2
	v_cmp_gt_i32_e32 vcc, s33, v1
	s_nop 1
	v_cndmask_b32_e32 v2, v5, v2, vcc
	v_ashrrev_i32_e32 v3, 31, v2
	v_lshl_add_u64 v[12:13], v[2:3], 2, s[6:7]
	global_load_dword v5, v[6:7], off
	global_load_dword v4, v[8:9], off
	;; [unrolled: 1-line block ×4, first 2 shown]
	s_andn2_b64 vcc, exec, s[10:11]
	s_cbranch_vccnz .LBB1215_8
; %bb.6:
	s_add_u32 s8, s8, s12
	s_addc_u32 s9, s9, s13
	s_load_dword s5, s[8:9], 0x0
	s_branch .LBB1215_9
.LBB1215_7:
	s_mov_b64 s[12:13], 0
	s_branch .LBB1215_2
.LBB1215_8:
	s_mov_b32 s5, s2
.LBB1215_9:
	s_load_dwordx2 s[8:9], s[0:1], 0x10
	s_load_dwordx4 s[44:47], s[0:1], 0x48
	v_and_b32_e32 v42, 15, v0
	s_movk_i32 s10, 0x80
	v_lshlrev_b32_e32 v6, 3, v42
	v_cmp_gt_u32_e32 vcc, s10, v0
	v_cmp_gt_u32_e64 s[30:31], 8, v42
	v_lshrrev_b32_e32 v41, 6, v0
	v_bfe_u32 v1, v0, 4, 2
	s_lshl_b32 s29, s4, 3
	s_and_b64 s[12:13], vcc, s[30:31]
	v_lshlrev_b32_e32 v26, 1, v6
	v_lshlrev_b32_e32 v40, 4, v0
	s_and_saveexec_b64 s[10:11], s[12:13]
	s_cbranch_execz .LBB1215_11
; %bb.10:
	s_load_dwordx2 s[12:13], s[0:1], 0x0
	s_waitcnt lgkmcnt(0)
	s_ashr_i32 s18, s44, 31
	s_mul_hi_u32 s19, s5, s44
	s_mul_i32 s18, s5, s18
	s_add_i32 s19, s19, s18
	s_mul_i32 s18, s5, s44
	v_lshl_or_b32 v10, v41, 2, v1
	s_lshl_b64 s[18:19], s[18:19], 1
	s_add_u32 s12, s12, s18
	v_add_lshl_u32 v6, v10, s29, 6
	s_addc_u32 s13, s13, s19
	v_ashrrev_i32_e32 v7, 31, v6
	v_lshl_add_u64 v[6:7], v[6:7], 1, s[12:13]
	v_mov_b32_e32 v27, 0
	v_lshl_add_u64 v[6:7], v[6:7], 0, v[26:27]
	global_load_dwordx4 v[6:9], v[6:7], off
	v_lshlrev_b32_e32 v12, 8, v42
	v_lshlrev_b32_e32 v10, 5, v10
	v_and_b32_e32 v11, 16, v40
	v_and_b32_e32 v12, 0xe00, v12
	v_or3_b32 v10, v12, v10, v11
	s_waitcnt vmcnt(0)
	ds_write_b128 v10, v[6:9]
.LBB1215_11:
	s_or_b64 exec, exec, s[10:11]
	s_waitcnt lgkmcnt(0)
	s_mul_i32 s10, s4, s46
	s_add_u32 s4, s14, s10
	s_addc_u32 s5, s15, 0
	v_mov_b32_e32 v29, 0
	v_mov_b64_e32 v[6:7], s[4:5]
	v_lshlrev_b32_e32 v10, 4, v42
	v_and_b32_e32 v27, 48, v0
	s_waitcnt vmcnt(3)
	v_mad_i64_i32 v[8:9], s[4:5], v5, s45, v[6:7]
	v_mov_b32_e32 v11, v29
	s_waitcnt vmcnt(2)
	v_mad_i64_i32 v[4:5], s[4:5], v4, s45, v[6:7]
	v_or_b32_e32 v12, 0x100, v10
	v_mov_b32_e32 v13, v29
	v_lshlrev_b32_e32 v28, 5, v27
	v_lshl_add_u64 v[8:9], v[8:9], 0, v[10:11]
	v_lshl_add_u64 v[4:5], v[4:5], 0, v[12:13]
	;; [unrolled: 1-line block ×4, first 2 shown]
	s_barrier
	global_load_dwordx4 v[22:25], v[8:9], off
	global_load_dwordx4 v[18:21], v[4:5], off
	s_waitcnt vmcnt(3)
	v_mad_i64_i32 v[4:5], s[4:5], v3, s45, v[6:7]
	v_lshl_add_u64 v[4:5], v[4:5], 0, v[10:11]
	s_waitcnt vmcnt(2)
	v_mad_i64_i32 v[2:3], s[4:5], v2, s45, v[6:7]
	v_lshl_add_u64 v[4:5], v[4:5], 0, v[28:29]
	v_lshl_add_u64 v[2:3], v[2:3], 0, v[12:13]
	;; [unrolled: 1-line block ×3, first 2 shown]
	global_load_dwordx4 v[14:17], v[4:5], off
	global_load_dwordx4 v[6:9], v[2:3], off
	v_and_b32_e32 v2, 7, v0
	v_lshlrev_b32_e32 v2, 5, v2
	v_lshl_or_b32 v2, v1, 9, v2
	ds_read_b128 v[10:13], v2
	ds_read_b128 v[2:5], v2 offset:16
	v_and_b32_e32 v43, 63, v0
	v_mov_b32_e32 v44, 0
	s_and_saveexec_b64 s[4:5], s[30:31]
	s_cbranch_execz .LBB1215_13
; %bb.12:
	s_load_dwordx2 s[12:13], s[0:1], 0x40
	v_or_b32_e32 v30, s29, v42
	v_ashrrev_i32_e32 v31, 31, v30
	s_waitcnt lgkmcnt(0)
	v_lshl_add_u64 v[30:31], v[30:31], 2, s[12:13]
	global_load_dword v44, v[30:31], off
.LBB1215_13:
	s_or_b64 exec, exec, s[4:5]
	s_ashr_i32 s4, s16, 31
	v_or_b32_e32 v45, s16, v27
	s_lshr_b32 s4, s4, 27
	v_add_u32_e32 v27, s4, v45
	v_ashrrev_i32_e32 v27, 5, v27
	v_mov_b32_e32 v65, s17
	v_cmp_gt_i32_e32 vcc, s33, v45
	s_waitcnt vmcnt(3)
	v_cvt_pk_f32_fp8_sdwa v[32:33], v22 src0_sel:WORD_1
	v_cvt_pk_f32_fp8_e32 v[34:35], v23
	v_cndmask_b32_e32 v30, v65, v27, vcc
	v_ashrrev_i32_e32 v31, 31, v30
	v_lshl_add_u64 v[30:31], v[30:31], 2, s[6:7]
	global_load_dword v72, v[30:31], off
	v_cvt_pk_f32_fp8_e32 v[30:31], v22
	v_cvt_pk_f32_fp8_sdwa v[22:23], v23 src0_sel:WORD_1
	s_waitcnt vmcnt(3)
	v_cvt_pk_f32_fp8_e32 v[48:49], v18
	v_cvt_pk_f32_fp8_sdwa v[50:51], v18 src0_sel:WORD_1
	v_or_b32_e32 v18, 64, v45
	v_cvt_pk_f32_fp8_e32 v[56:57], v20
	v_cvt_pk_f32_fp8_sdwa v[58:59], v20 src0_sel:WORD_1
	v_cvt_pk_f32_fp8_e32 v[60:61], v21
	v_cvt_pk_f32_fp8_sdwa v[62:63], v21 src0_sel:WORD_1
	v_or_b32_e32 v20, 0xc0, v45
	v_add_u32_e32 v21, s4, v18
	s_mov_b32 s44, 0x7060302
	v_cvt_pk_f32_fp8_e32 v[52:53], v19
	v_cvt_pk_f32_fp8_sdwa v[54:55], v19 src0_sel:WORD_1
	v_or_b32_e32 v19, 0x80, v45
	v_add_u32_e32 v64, s4, v20
	v_ashrrev_i32_e32 v21, 5, v21
	v_cmp_gt_i32_e32 vcc, s33, v18
	v_add_u32_e32 v45, s4, v19
	v_ashrrev_i32_e32 v67, 5, v64
	v_cndmask_b32_e32 v64, v65, v21, vcc
	v_cmp_gt_i32_e32 vcc, s33, v19
	v_perm_b32 v18, v31, v30, s44
	v_perm_b32 v19, v33, v32, s44
	v_cvt_pk_f32_fp8_sdwa v[38:39], v24 src0_sel:WORD_1
	v_perm_b32 v31, v23, v22, s44
	v_perm_b32 v22, v49, v48, s44
	;; [unrolled: 1-line block ×3, first 2 shown]
	v_cvt_pk_f32_fp8_e32 v[36:37], v24
	v_cvt_pk_f32_fp8_e32 v[46:47], v25
	v_cvt_pk_f32_fp8_sdwa v[24:25], v25 src0_sel:WORD_1
	v_ashrrev_i32_e32 v45, 5, v45
	v_perm_b32 v30, v35, v34, s44
	v_cndmask_b32_e32 v66, v65, v45, vcc
	v_cmp_gt_i32_e32 vcc, s33, v20
	v_perm_b32 v35, v39, v38, s44
	s_waitcnt lgkmcnt(1)
	v_mfma_f32_16x16x16_bf16 v[18:21], v[18:19], v[10:11], 0
	v_perm_b32 v38, v53, v52, s44
	v_perm_b32 v39, v55, v54, s44
	;; [unrolled: 1-line block ×4, first 2 shown]
	v_mfma_f32_16x16x16_bf16 v[22:25], v[22:23], v[10:11], 0
	s_load_dword s11, s[0:1], 0x1c
	s_load_dwordx4 s[40:43], s[0:1], 0x80
	v_perm_b32 v36, v47, v46, s44
	v_perm_b32 v46, v57, v56, s44
	;; [unrolled: 1-line block ×3, first 2 shown]
	v_mfma_f32_16x16x16_bf16 v[30:33], v[30:31], v[12:13], v[18:21]
	s_add_u32 s4, s8, s10
	v_and_b32_e32 v28, 16, v0
	v_lshlrev_b32_e32 v27, 5, v42
	v_mfma_f32_16x16x16_bf16 v[20:23], v[38:39], v[12:13], v[22:25]
	s_addc_u32 s5, s9, 0
	v_cndmask_b32_e32 v68, v65, v67, vcc
	v_lshl_add_u64 v[70:71], s[4:5], 0, v[28:29]
	v_lshl_or_b32 v28, v41, 9, v27
	v_ashrrev_i32_e32 v65, 31, v64
	v_ashrrev_i32_e32 v67, 31, v66
	;; [unrolled: 1-line block ×3, first 2 shown]
	v_lshl_add_u64 v[18:19], v[70:71], 0, v[28:29]
	s_waitcnt lgkmcnt(0)
	v_mfma_f32_16x16x16_bf16 v[28:31], v[34:35], v[2:3], v[30:33]
	v_lshl_add_u64 v[24:25], v[64:65], 2, s[6:7]
	v_lshl_add_u64 v[34:35], v[68:69], 2, s[6:7]
	s_load_dword s8, s[40:41], 0x0
	v_lshl_add_u64 v[32:33], v[66:67], 2, s[6:7]
	v_mfma_f32_16x16x16_bf16 v[20:23], v[46:47], v[2:3], v[20:23]
	global_load_dword v47, v[24:25], off
	global_load_dword v45, v[32:33], off
	;; [unrolled: 1-line block ×3, first 2 shown]
	s_waitcnt vmcnt(5)
	v_cvt_pk_f32_fp8_e32 v[32:33], v14
	v_cvt_pk_f32_fp8_sdwa v[34:35], v14 src0_sel:WORD_1
	v_perm_b32 v48, v61, v60, s44
	v_perm_b32 v49, v63, v62, s44
	v_mfma_f32_16x16x16_bf16 v[28:31], v[36:37], v[4:5], v[28:31]
	v_cvt_pk_f32_fp8_e32 v[36:37], v15
	v_perm_b32 v32, v33, v32, s44
	v_perm_b32 v33, v35, v34, s44
	v_cvt_pk_f32_fp8_sdwa v[14:15], v15 src0_sel:WORD_1
	v_mov_b32_e32 v38, s11
	s_waitcnt lgkmcnt(0)
	v_mul_f32_e32 v50, s8, v38
	v_mfma_f32_16x16x16_bf16 v[20:23], v[48:49], v[4:5], v[20:23]
	v_perm_b32 v36, v37, v36, s44
	v_cvt_pk_f32_fp8_e32 v[38:39], v16
	v_cvt_pk_f32_fp8_sdwa v[48:49], v16 src0_sel:WORD_1
	v_perm_b32 v37, v15, v14, s44
	v_mfma_f32_16x16x16_bf16 v[32:35], v[32:33], v[10:11], 0
	v_perm_b32 v38, v39, v38, s44
	v_perm_b32 v39, v49, v48, s44
	v_cvt_pk_f32_fp8_e32 v[48:49], v17
	v_cvt_pk_f32_fp8_sdwa v[52:53], v17 src0_sel:WORD_1
	v_mfma_f32_16x16x16_bf16 v[14:17], v[36:37], v[12:13], v[32:35]
	v_pk_mul_f32 v[36:37], v[50:51], v[28:29] op_sel_hi:[0,1]
	s_waitcnt vmcnt(4)
	v_cvt_pk_f32_fp8_e32 v[28:29], v6
	v_pk_mul_f32 v[30:31], v[50:51], v[30:31] op_sel_hi:[0,1]
	v_perm_b32 v32, v49, v48, s44
	v_perm_b32 v33, v53, v52, s44
	v_mfma_f32_16x16x16_bf16 v[14:17], v[38:39], v[2:3], v[14:17]
	v_cvt_pk_f32_fp8_sdwa v[34:35], v6 src0_sel:WORD_1
	v_perm_b32 v28, v29, v28, s44
	v_cvt_pk_f32_fp8_e32 v[48:49], v8
	v_mfma_f32_16x16x16_bf16 v[14:17], v[32:33], v[4:5], v[14:17]
	v_cvt_pk_f32_fp8_e32 v[32:33], v7
	v_perm_b32 v29, v35, v34, s44
	v_cvt_pk_f32_fp8_sdwa v[6:7], v7 src0_sel:WORD_1
	v_cvt_pk_f32_fp8_sdwa v[52:53], v8 src0_sel:WORD_1
	v_perm_b32 v38, v33, v32, s44
	v_mfma_f32_16x16x16_bf16 v[32:35], v[28:29], v[10:11], 0
	v_perm_b32 v39, v7, v6, s44
	v_perm_b32 v10, v49, v48, s44
	;; [unrolled: 1-line block ×3, first 2 shown]
	v_cvt_pk_f32_fp8_e32 v[28:29], v9
	v_cvt_pk_f32_fp8_sdwa v[48:49], v9 src0_sel:WORD_1
	v_mfma_f32_16x16x16_bf16 v[6:9], v[38:39], v[12:13], v[32:35]
	v_pk_mul_f32 v[38:39], v[50:51], v[20:21] op_sel_hi:[0,1]
	v_perm_b32 v12, v29, v28, s44
	v_perm_b32 v13, v49, v48, s44
	v_mfma_f32_16x16x16_bf16 v[6:9], v[10:11], v[2:3], v[6:9]
	v_pk_mul_f32 v[34:35], v[50:51], v[22:23] op_sel_hi:[0,1]
	v_pk_mul_f32 v[28:29], v[50:51], v[16:17] op_sel_hi:[0,1]
	v_pk_mul_f32 v[32:33], v[50:51], v[14:15] op_sel_hi:[0,1]
	v_mfma_f32_16x16x16_bf16 v[2:5], v[12:13], v[4:5], v[6:9]
	s_waitcnt vmcnt(3)
	v_mad_i64_i32 v[24:25], s[4:5], v72, s45, v[18:19]
	s_mov_b32 s46, 0xff7fffff
	s_nop 3
	v_pk_mul_f32 v[22:23], v[50:51], v[2:3] op_sel_hi:[0,1]
	v_and_b32_e32 v2, 0xc0, v0
	v_add_u32_e32 v2, s16, v2
	v_lshl_or_b32 v2, v1, 2, v2
	v_or_b32_e32 v3, 1, v2
	v_pk_mul_f32 v[20:21], v[50:51], v[4:5] op_sel_hi:[0,1]
	v_subrev_u32_e32 v4, s33, v3
	v_add_u32_e32 v6, 1, v4
	v_add_u32_e32 v7, 2, v4
	;; [unrolled: 1-line block ×3, first 2 shown]
	v_cvt_f32_i32_e32 v6, v6
	v_cvt_f32_i32_e32 v7, v7
	;; [unrolled: 1-line block ×3, first 2 shown]
	v_add_u32_e32 v9, 19, v4
	v_fmac_f32_e32 v37, v44, v6
	v_fma_f32 v30, v44, v7, v30
	v_fmac_f32_e32 v31, v44, v8
	v_add_u32_e32 v6, 16, v4
	v_add_u32_e32 v7, 17, v4
	;; [unrolled: 1-line block ×3, first 2 shown]
	v_cvt_f32_i32_e32 v6, v6
	v_cvt_f32_i32_e32 v7, v7
	;; [unrolled: 1-line block ×4, first 2 shown]
	v_fma_f32 v38, v44, v6, v38
	v_fmac_f32_e32 v39, v44, v7
	v_fma_f32 v34, v44, v8, v34
	v_add_u32_e32 v6, 32, v4
	v_add_u32_e32 v7, 33, v4
	;; [unrolled: 1-line block ×3, first 2 shown]
	v_cvt_f32_i32_e32 v6, v6
	v_cvt_f32_i32_e32 v7, v7
	;; [unrolled: 1-line block ×4, first 2 shown]
	v_fmac_f32_e32 v35, v44, v9
	v_add_u32_e32 v9, 35, v4
	v_fma_f32 v48, v44, v6, v32
	v_fmac_f32_e32 v33, v44, v7
	v_fma_f32 v28, v44, v8, v28
	v_add_u32_e32 v6, 48, v4
	v_add_u32_e32 v7, 49, v4
	;; [unrolled: 1-line block ×4, first 2 shown]
	v_cvt_f32_i32_e32 v4, v4
	v_cvt_f32_i32_e32 v6, v6
	;; [unrolled: 1-line block ×3, first 2 shown]
	v_fma_f32 v5, v44, v5, v36
	v_fmac_f32_e32 v21, v44, v4
	v_mov_b32_e32 v4, 0xff7fffff
	v_cmp_gt_i32_e64 s[4:5], s33, v2
	v_cmp_gt_i32_e64 s[34:35], s33, v3
	v_fma_f32 v22, v44, v6, v22
	v_cndmask_b32_e64 v6, v4, v5, s[4:5]
	v_cndmask_b32_e64 v3, v4, v37, s[34:35]
	v_fmac_f32_e32 v23, v44, v7
	v_max3_f32 v3, v6, s46, v3
	v_or_b32_e32 v6, 2, v2
	v_or_b32_e32 v7, 3, v2
	v_cmp_gt_i32_e64 s[36:37], s33, v6
	v_cmp_gt_i32_e64 s[38:39], s33, v7
	v_cvt_f32_i32_e32 v9, v9
	v_cndmask_b32_e64 v6, v4, v30, s[36:37]
	v_cndmask_b32_e64 v7, v4, v31, s[38:39]
	v_max3_f32 v3, v3, v6, v7
	v_or_b32_e32 v6, 16, v2
	v_or_b32_e32 v7, 17, v2
	v_cmp_gt_i32_e64 s[24:25], s33, v6
	v_cmp_gt_i32_e64 s[26:27], s33, v7
	v_fmac_f32_e32 v29, v44, v9
	v_cndmask_b32_e64 v6, v4, v38, s[24:25]
	v_cndmask_b32_e64 v7, v4, v39, s[26:27]
	v_max3_f32 v3, v3, v6, v7
	v_or_b32_e32 v6, 18, v2
	v_or_b32_e32 v7, 19, v2
	v_cmp_gt_i32_e64 s[20:21], s33, v6
	v_cmp_gt_i32_e64 s[22:23], s33, v7
	v_cvt_f32_i32_e32 v8, v8
	v_cndmask_b32_e64 v6, v4, v34, s[20:21]
	v_cndmask_b32_e64 v7, v4, v35, s[22:23]
	v_max3_f32 v3, v3, v6, v7
	v_or_b32_e32 v6, 32, v2
	v_or_b32_e32 v7, 33, v2
	v_cmp_gt_i32_e64 s[16:17], s33, v6
	v_cmp_gt_i32_e64 s[18:19], s33, v7
	v_fma_f32 v20, v44, v8, v20
	v_cndmask_b32_e64 v6, v4, v48, s[16:17]
	v_cndmask_b32_e64 v7, v4, v33, s[18:19]
	v_max3_f32 v3, v3, v6, v7
	v_or_b32_e32 v6, 34, v2
	v_or_b32_e32 v7, 35, v2
	v_cmp_gt_i32_e64 s[12:13], s33, v6
	v_cmp_gt_i32_e64 s[14:15], s33, v7
	s_nop 0
	v_cndmask_b32_e64 v6, v4, v28, s[12:13]
	v_cndmask_b32_e64 v7, v4, v29, s[14:15]
	v_max3_f32 v3, v3, v6, v7
	v_or_b32_e32 v6, 48, v2
	v_or_b32_e32 v7, 49, v2
	v_cmp_gt_i32_e64 s[8:9], s33, v6
	v_cmp_gt_i32_e64 s[10:11], s33, v7
	s_nop 0
	v_cndmask_b32_e64 v6, v4, v22, s[8:9]
	v_cndmask_b32_e64 v7, v4, v23, s[10:11]
	v_max3_f32 v3, v3, v6, v7
	v_or_b32_e32 v6, 50, v2
	v_or_b32_e32 v2, 51, v2
	v_cmp_gt_i32_e32 vcc, s33, v6
	v_cmp_gt_i32_e64 s[6:7], s33, v2
	s_nop 0
	v_cndmask_b32_e32 v6, v4, v20, vcc
	v_cndmask_b32_e64 v2, v4, v21, s[6:7]
	v_max3_f32 v4, v3, v6, v2
	v_mbcnt_lo_u32_b32 v2, -1, 0
	v_mbcnt_hi_u32_b32 v6, -1, v2
	v_and_b32_e32 v2, 64, v6
	v_add_u32_e32 v7, 64, v2
	v_xor_b32_e32 v2, 32, v6
	v_cmp_lt_i32_e64 s[40:41], v2, v7
	s_nop 1
	v_cndmask_b32_e64 v2, v6, v2, s[40:41]
	v_lshlrev_b32_e32 v44, 2, v2
	ds_bpermute_b32 v8, v44, v4
	s_waitcnt vmcnt(2)
	v_mad_i64_i32 v[2:3], s[40:41], v47, s45, v[18:19]
	global_load_dwordx4 v[14:17], v[24:25], off
	global_load_dwordx4 v[10:13], v[2:3], off
	v_xor_b32_e32 v3, 16, v6
	v_cmp_lt_i32_e64 s[40:41], v3, v7
	s_waitcnt lgkmcnt(0)
	v_max_f32_e32 v2, v8, v8
	v_max_f32_e32 v2, v4, v2
	v_cndmask_b32_e64 v3, v6, v3, s[40:41]
	v_lshlrev_b32_e32 v47, 2, v3
	ds_bpermute_b32 v3, v47, v2
	s_waitcnt vmcnt(3)
	v_mad_i64_i32 v[24:25], s[40:41], v45, s45, v[18:19]
	s_waitcnt vmcnt(2)
	v_mad_i64_i32 v[18:19], s[40:41], v46, s45, v[18:19]
	s_waitcnt lgkmcnt(0)
	v_max_f32_e32 v3, v3, v3
	v_max_f32_e32 v32, v2, v3
	v_sub_f32_e32 v2, v5, v32
	v_mul_f32_e32 v2, 0x3fb8aa3b, v2
	v_exp_f32_e32 v36, v2
	v_sub_f32_e32 v2, v37, v32
	v_mul_f32_e32 v2, 0x3fb8aa3b, v2
	v_exp_f32_e32 v37, v2
	global_load_dwordx4 v[6:9], v[24:25], off
	global_load_dwordx4 v[2:5], v[18:19], off
	v_sub_f32_e32 v25, v30, v32
	v_sub_f32_e32 v30, v31, v32
	v_mul_f32_e32 v25, 0x3fb8aa3b, v25
	v_mul_f32_e32 v30, 0x3fb8aa3b, v30
	v_exp_f32_e32 v25, v25
	v_exp_f32_e32 v30, v30
	v_cndmask_b32_e64 v18, 0, v36, s[4:5]
	v_cndmask_b32_e64 v19, 0, v37, s[34:35]
	v_cndmask_b32_e64 v36, 0, v25, s[36:37]
	v_cndmask_b32_e64 v37, 0, v30, s[38:39]
	v_sub_f32_e32 v25, v38, v32
	v_sub_f32_e32 v30, v39, v32
	v_mul_f32_e32 v25, 0x3fb8aa3b, v25
	v_mul_f32_e32 v30, 0x3fb8aa3b, v30
	v_exp_f32_e32 v25, v25
	v_exp_f32_e32 v30, v30
	v_add_f32_e32 v24, 0, v18
	v_add_f32_e32 v24, v24, v19
	;; [unrolled: 1-line block ×4, first 2 shown]
	v_cndmask_b32_e64 v24, 0, v25, s[24:25]
	v_cndmask_b32_e64 v25, 0, v30, s[26:27]
	v_sub_f32_e32 v30, v34, v32
	v_mul_f32_e32 v30, 0x3fb8aa3b, v30
	v_exp_f32_e32 v30, v30
	v_sub_f32_e32 v34, v35, v32
	v_add_f32_e32 v31, v31, v24
	v_mul_f32_e32 v34, 0x3fb8aa3b, v34
	v_exp_f32_e32 v35, v34
	v_add_f32_e32 v31, v31, v25
	v_cndmask_b32_e64 v34, 0, v30, s[20:21]
	v_add_f32_e32 v30, v31, v34
	v_sub_f32_e32 v31, v48, v32
	v_mul_f32_e32 v31, 0x3fb8aa3b, v31
	v_sub_f32_e32 v33, v33, v32
	v_exp_f32_e32 v31, v31
	v_mul_f32_e32 v33, 0x3fb8aa3b, v33
	v_sub_f32_e32 v28, v28, v32
	v_exp_f32_e32 v33, v33
	;; [unrolled: 3-line block ×3, first 2 shown]
	v_mul_f32_e32 v29, 0x3fb8aa3b, v29
	v_sub_f32_e32 v22, v22, v32
	v_cndmask_b32_e64 v35, 0, v35, s[22:23]
	v_exp_f32_e32 v29, v29
	v_mul_f32_e32 v22, 0x3fb8aa3b, v22
	v_sub_f32_e32 v23, v23, v32
	v_add_f32_e32 v38, v30, v35
	v_cndmask_b32_e64 v30, 0, v31, s[16:17]
	v_exp_f32_e32 v22, v22
	v_mul_f32_e32 v23, 0x3fb8aa3b, v23
	v_sub_f32_e32 v20, v20, v32
	v_add_f32_e32 v38, v38, v30
	;; [unrolled: 5-line block ×3, first 2 shown]
	v_cndmask_b32_e64 v28, 0, v28, s[12:13]
	v_exp_f32_e32 v20, v20
	v_mul_f32_e32 v21, 0x3fb8aa3b, v21
	v_add_f32_e32 v33, v33, v28
	v_cndmask_b32_e64 v29, 0, v29, s[14:15]
	v_exp_f32_e32 v21, v21
	v_add_f32_e32 v33, v33, v29
	v_cndmask_b32_e64 v22, 0, v22, s[8:9]
	v_add_f32_e32 v33, v33, v22
	v_cndmask_b32_e64 v23, 0, v23, s[10:11]
	v_add_f32_e32 v33, v33, v23
	v_cndmask_b32_e32 v20, 0, v20, vcc
	v_add_f32_e32 v33, v33, v20
	v_cndmask_b32_e64 v21, 0, v21, s[6:7]
	v_add_f32_e32 v33, v33, v21
	ds_bpermute_b32 v38, v44, v33
	s_load_dword s7, s[0:1], 0x98
	v_cmp_gt_u32_e32 vcc, 16, v43
	s_waitcnt lgkmcnt(0)
	s_barrier
	v_add_f32_e32 v38, v33, v38
	ds_bpermute_b32 v39, v47, v38
	v_lshlrev_b32_e32 v33, 2, v42
	s_waitcnt lgkmcnt(0)
	s_and_saveexec_b64 s[4:5], vcc
	s_cbranch_execz .LBB1215_15
; %bb.14:
	v_add_f32_e32 v38, v38, v39
	v_lshl_or_b32 v39, v41, 6, v33
	ds_write2st64_b32 v39, v32, v38 offset1:1
.LBB1215_15:
	s_or_b64 exec, exec, s[4:5]
	s_load_dword s6, s[0:1], 0x94
	s_waitcnt lgkmcnt(0)
	s_barrier
	ds_read2_b32 v[38:39], v33 offset1:16
	ds_read2_b32 v[42:43], v33 offset0:32 offset1:48
	ds_read2_b32 v[44:45], v33 offset0:64 offset1:80
	s_movk_i32 s8, 0x7fff
	s_lshl_b32 s7, s7, 3
	s_waitcnt lgkmcnt(2)
	v_max3_f32 v32, v38, s46, v39
	s_waitcnt lgkmcnt(1)
	v_max3_f32 v32, v32, v42, v43
	v_sub_f32_e32 v38, v38, v32
	v_mul_f32_e32 v38, 0x3fb8aa3b, v38
	v_exp_f32_e32 v46, v38
	v_sub_f32_e32 v38, v39, v32
	v_mul_f32_e32 v38, 0x3fb8aa3b, v38
	v_exp_f32_e32 v47, v38
	;; [unrolled: 3-line block ×3, first 2 shown]
	ds_read2_b32 v[38:39], v33 offset0:96 offset1:112
	v_sub_f32_e32 v33, v43, v32
	v_mul_f32_e32 v33, 0x3fb8aa3b, v33
	v_exp_f32_e32 v43, v33
	s_waitcnt lgkmcnt(1)
	v_fma_f32 v33, v46, v44, 0
	v_fmac_f32_e32 v33, v47, v45
	s_waitcnt lgkmcnt(0)
	v_fmac_f32_e32 v33, v42, v38
	v_fmac_f32_e32 v33, v43, v39
	v_add_f32_e32 v38, 0x358637bd, v33
	v_div_scale_f32 v39, s[4:5], v38, v38, 1.0
	v_rcp_f32_e32 v44, v39
	s_barrier
	v_fma_f32 v45, -v39, v44, 1.0
	v_fmac_f32_e32 v44, v45, v44
	v_div_scale_f32 v45, vcc, 1.0, v38, 1.0
	v_mul_f32_e32 v48, v45, v44
	v_fma_f32 v49, -v39, v48, v45
	v_fmac_f32_e32 v48, v49, v44
	v_fma_f32 v39, -v39, v48, v45
	v_div_fmas_f32 v39, v39, v44, v48
	v_cmp_eq_u32_e32 vcc, 1, v41
	v_div_fixup_f32 v38, v39, v38, 1.0
	s_nop 0
	v_cndmask_b32_e32 v39, v46, v47, vcc
	v_cmp_eq_u32_e32 vcc, 2, v41
	s_nop 1
	v_cndmask_b32_e32 v39, v39, v42, vcc
	v_cmp_eq_u32_e32 vcc, 3, v41
	s_nop 1
	v_cndmask_b32_e32 v39, v39, v43, vcc
	v_mul_f32_e32 v38, v39, v38
	v_pk_mul_f32 v[18:19], v[38:39], v[18:19] op_sel_hi:[0,1]
	v_pk_mul_f32 v[36:37], v[38:39], v[36:37] op_sel_hi:[0,1]
	v_bfe_u32 v39, v19, 16, 1
	v_bfe_u32 v42, v18, 16, 1
	v_add3_u32 v18, v18, v42, s8
	v_add3_u32 v19, v19, v39, s8
	v_perm_b32 v42, v19, v18, s44
	v_bfe_u32 v18, v37, 16, 1
	v_bfe_u32 v19, v36, 16, 1
	v_add3_u32 v19, v36, v19, s8
	v_add3_u32 v18, v37, v18, s8
	v_perm_b32 v43, v18, v19, s44
	v_lshlrev_b32_e32 v18, 3, v1
	v_lshlrev_b32_e32 v19, 11, v41
	v_pk_mul_f32 v[24:25], v[38:39], v[24:25] op_sel_hi:[0,1]
	v_or3_b32 v18, v19, v27, v18
	v_bfe_u32 v19, v25, 16, 1
	v_bfe_u32 v36, v24, 16, 1
	v_pk_mul_f32 v[34:35], v[38:39], v[34:35] op_sel_hi:[0,1]
	v_add3_u32 v24, v24, v36, s8
	v_add3_u32 v19, v25, v19, s8
	v_perm_b32 v24, v19, v24, s44
	v_bfe_u32 v19, v35, 16, 1
	v_bfe_u32 v25, v34, 16, 1
	v_add3_u32 v25, v34, v25, s8
	v_add3_u32 v19, v35, v19, s8
	v_perm_b32 v25, v19, v25, s44
	ds_write2st64_b64 v18, v[42:43], v[24:25] offset1:1
	v_pk_mul_f32 v[24:25], v[38:39], v[28:29] op_sel_hi:[0,1]
	v_pk_mul_f32 v[28:29], v[38:39], v[30:31] op_sel_hi:[0,1]
	v_bfe_u32 v19, v29, 16, 1
	v_bfe_u32 v30, v28, 16, 1
	v_add3_u32 v28, v28, v30, s8
	v_add3_u32 v19, v29, v19, s8
	v_perm_b32 v28, v19, v28, s44
	v_bfe_u32 v19, v25, 16, 1
	v_bfe_u32 v29, v24, 16, 1
	v_add3_u32 v24, v24, v29, s8
	v_add3_u32 v19, v25, v19, s8
	v_pk_mul_f32 v[22:23], v[38:39], v[22:23] op_sel_hi:[0,1]
	v_perm_b32 v29, v19, v24, s44
	v_bfe_u32 v19, v23, 16, 1
	v_bfe_u32 v24, v22, 16, 1
	v_pk_mul_f32 v[20:21], v[38:39], v[20:21] op_sel_hi:[0,1]
	v_add3_u32 v22, v22, v24, s8
	v_add3_u32 v19, v23, v19, s8
	v_perm_b32 v22, v19, v22, s44
	v_bfe_u32 v19, v21, 16, 1
	v_bfe_u32 v23, v20, 16, 1
	v_add3_u32 v20, v20, v23, s8
	v_add3_u32 v19, v21, v19, s8
	v_perm_b32 v23, v19, v20, s44
	v_cmp_gt_u32_e32 vcc, 8, v0
	ds_write2st64_b64 v18, v[28:29], v[22:23] offset0:2 offset1:3
	s_and_saveexec_b64 s[4:5], vcc
	s_cbranch_execz .LBB1215_17
; %bb.16:
	v_or_b32_e32 v20, s29, v0
	v_mov_b32_e32 v21, 0
	v_mov_b32_e32 v19, s7
	v_mad_u64_u32 v[22:23], s[10:11], s2, v19, v[20:21]
	v_mov_b32_e32 v20, s28
	s_load_dwordx4 s[12:15], s[0:1], 0x58
	s_mul_i32 s3, s3, s7
	v_mad_u64_u32 v[20:21], s[10:11], v22, s6, v[20:21]
	v_add_u32_e32 v19, s3, v23
	v_mov_b32_e32 v22, v21
	v_mad_u64_u32 v[22:23], s[10:11], v19, s6, v[22:23]
	v_mov_b32_e32 v21, v22
	v_lshlrev_b64 v[20:21], 2, v[20:21]
	s_waitcnt lgkmcnt(0)
	v_lshl_add_u64 v[22:23], s[14:15], 0, v[20:21]
	v_lshl_add_u64 v[20:21], s[12:13], 0, v[20:21]
	global_store_dword v[22:23], v32, off
	global_store_dword v[20:21], v33, off
.LBB1215_17:
	s_or_b64 exec, exec, s[4:5]
	s_waitcnt vmcnt(3)
	v_cvt_pk_f32_fp8_e32 v[20:21], v14
	v_cvt_pk_f32_fp8_sdwa v[22:23], v14 src0_sel:WORD_1
	s_mov_b32 s4, 0x7060302
	v_lshl_or_b32 v14, v1, 9, v27
	s_waitcnt lgkmcnt(0)
	s_barrier
	v_perm_b32 v24, v21, v20, s4
	v_perm_b32 v25, v23, v22, s4
	v_cvt_pk_f32_fp8_e32 v[28:29], v15
	ds_read_b128 v[20:23], v14
	v_cvt_pk_f32_fp8_sdwa v[36:37], v15 src0_sel:WORD_1
	s_load_dword s10, s[42:43], 0x0
	v_perm_b32 v38, v29, v28, s4
	ds_read_b128 v[28:31], v14 offset:16
	v_perm_b32 v39, v37, v36, s4
	s_waitcnt lgkmcnt(0)
	v_mfma_f32_16x16x16_bf16 v[32:35], v[24:25], v[20:21], 0
	v_cvt_pk_f32_fp8_e32 v[24:25], v16
	v_cvt_pk_f32_fp8_sdwa v[36:37], v16 src0_sel:WORD_1
	v_cmp_gt_u32_e32 vcc, 64, v0
	v_mfma_f32_16x16x16_bf16 v[20:23], v[38:39], v[22:23], v[32:35]
	v_perm_b32 v24, v25, v24, s4
	v_perm_b32 v25, v37, v36, s4
	s_mov_b32 s3, 0
	v_cvt_pk_f32_fp8_e32 v[32:33], v17
	v_cvt_pk_f32_fp8_sdwa v[16:17], v17 src0_sel:WORD_1
	s_waitcnt vmcnt(2)
	v_cvt_pk_f32_fp8_sdwa v[34:35], v10 src0_sel:WORD_1
	v_mfma_f32_16x16x16_bf16 v[20:23], v[24:25], v[28:29], v[20:23]
	v_perm_b32 v36, v33, v32, s4
	v_cvt_pk_f32_fp8_e32 v[32:33], v10
	v_perm_b32 v37, v17, v16, s4
	v_perm_b32 v17, v35, v34, s4
	v_cvt_pk_f32_fp8_e32 v[24:25], v11
	v_perm_b32 v16, v33, v32, s4
	ds_read_b128 v[32:35], v14 offset:2048
	v_cvt_pk_f32_fp8_sdwa v[10:11], v11 src0_sel:WORD_1
	v_mfma_f32_16x16x16_bf16 v[20:23], v[36:37], v[30:31], v[20:23]
	ds_read_b128 v[28:31], v14 offset:2064
	v_perm_b32 v24, v25, v24, s4
	v_perm_b32 v25, v11, v10, s4
	s_waitcnt lgkmcnt(1)
	v_mfma_f32_16x16x16_bf16 v[20:23], v[16:17], v[32:33], v[20:23]
	v_cvt_pk_f32_fp8_e32 v[10:11], v12
	v_cvt_pk_f32_fp8_sdwa v[16:17], v12 src0_sel:WORD_1
	s_waitcnt vmcnt(1)
	v_cvt_pk_f32_fp8_sdwa v[32:33], v6 src0_sel:WORD_1
	v_mfma_f32_16x16x16_bf16 v[20:23], v[24:25], v[34:35], v[20:23]
	v_cvt_pk_f32_fp8_e32 v[24:25], v13
	v_perm_b32 v10, v11, v10, s4
	v_perm_b32 v11, v17, v16, s4
	v_cvt_pk_f32_fp8_sdwa v[12:13], v13 src0_sel:WORD_1
	v_perm_b32 v16, v25, v24, s4
	v_cvt_pk_f32_fp8_e32 v[24:25], v6
	v_mov_b32_e32 v27, 0
	v_perm_b32 v17, v13, v12, s4
	s_waitcnt lgkmcnt(0)
	v_mfma_f32_16x16x16_bf16 v[10:13], v[10:11], v[28:29], v[20:23]
	v_perm_b32 v24, v25, v24, s4
	v_perm_b32 v25, v33, v32, s4
	v_cvt_pk_f32_fp8_e32 v[28:29], v7
	ds_read_b128 v[20:23], v14 offset:4096
	v_cvt_pk_f32_fp8_sdwa v[6:7], v7 src0_sel:WORD_1
	v_mfma_f32_16x16x16_bf16 v[10:13], v[16:17], v[30:31], v[10:13]
	v_perm_b32 v16, v29, v28, s4
	ds_read_b128 v[28:31], v14 offset:4112
	v_perm_b32 v17, v7, v6, s4
	s_waitcnt lgkmcnt(1)
	v_mfma_f32_16x16x16_bf16 v[10:13], v[24:25], v[20:21], v[10:13]
	v_cvt_pk_f32_fp8_e32 v[6:7], v8
	v_cvt_pk_f32_fp8_sdwa v[20:21], v8 src0_sel:WORD_1
	v_perm_b32 v6, v7, v6, s4
	v_mfma_f32_16x16x16_bf16 v[10:13], v[16:17], v[22:23], v[10:13]
	v_cvt_pk_f32_fp8_e32 v[16:17], v9
	v_perm_b32 v7, v21, v20, s4
	v_cvt_pk_f32_fp8_sdwa v[8:9], v9 src0_sel:WORD_1
	s_waitcnt vmcnt(0)
	v_cvt_pk_f32_fp8_e32 v[20:21], v2
	v_perm_b32 v16, v17, v16, s4
	v_cvt_pk_f32_fp8_sdwa v[22:23], v2 src0_sel:WORD_1
	v_perm_b32 v17, v9, v8, s4
	s_waitcnt lgkmcnt(0)
	v_mfma_f32_16x16x16_bf16 v[6:9], v[6:7], v[28:29], v[10:13]
	v_perm_b32 v20, v21, v20, s4
	v_perm_b32 v21, v23, v22, s4
	v_cvt_pk_f32_fp8_e32 v[22:23], v3
	ds_read_b128 v[10:13], v14 offset:6144
	v_cvt_pk_f32_fp8_sdwa v[2:3], v3 src0_sel:WORD_1
	v_mfma_f32_16x16x16_bf16 v[6:9], v[16:17], v[30:31], v[6:9]
	v_perm_b32 v22, v23, v22, s4
	ds_read_b128 v[14:17], v14 offset:6160
	v_perm_b32 v23, v3, v2, s4
	s_waitcnt lgkmcnt(1)
	v_mfma_f32_16x16x16_bf16 v[6:9], v[20:21], v[10:11], v[6:9]
	v_cvt_pk_f32_fp8_e32 v[2:3], v4
	v_cvt_pk_f32_fp8_sdwa v[10:11], v4 src0_sel:WORD_1
	s_waitcnt lgkmcnt(0)
	v_mfma_f32_16x16x16_bf16 v[6:9], v[22:23], v[12:13], v[6:9]
	v_perm_b32 v2, v3, v2, s4
	v_perm_b32 v3, v11, v10, s4
	v_cvt_pk_f32_fp8_e32 v[10:11], v5
	v_cvt_pk_f32_fp8_sdwa v[4:5], v5 src0_sel:WORD_1
	s_barrier
	v_perm_b32 v10, v11, v10, s4
	v_perm_b32 v11, v5, v4, s4
	v_mfma_f32_16x16x16_bf16 v[2:5], v[2:3], v[14:15], v[6:9]
	s_nop 0
	v_mfma_f32_16x16x16_bf16 v[2:5], v[10:11], v[16:17], v[2:5]
	s_nop 6
	v_pk_mul_f32 v[2:3], v[2:3], s[10:11] op_sel_hi:[1,0]
	v_pk_mul_f32 v[4:5], v[4:5], s[10:11] op_sel_hi:[1,0]
	v_bfe_u32 v6, v3, 16, 1
	v_bfe_u32 v7, v2, 16, 1
	v_add3_u32 v2, v2, v7, s8
	v_add3_u32 v3, v3, v6, s8
	v_perm_b32 v2, v3, v2, s4
	v_bfe_u32 v3, v5, 16, 1
	v_bfe_u32 v6, v4, 16, 1
	v_add3_u32 v4, v4, v6, s8
	v_add3_u32 v3, v5, v3, s8
	v_perm_b32 v3, v3, v4, s4
	s_and_b64 s[4:5], vcc, s[30:31]
	ds_write_b64 v18, v[2:3]
	s_waitcnt lgkmcnt(0)
	s_barrier
	s_and_saveexec_b64 s[8:9], s[4:5]
	s_cbranch_execz .LBB1215_19
; %bb.18:
	s_load_dwordx2 s[0:1], s[0:1], 0x68
	s_lshl_b32 s6, s6, 6
	s_mul_i32 s2, s7, s2
	s_mul_hi_u32 s5, s2, s6
	s_mul_i32 s4, s2, s6
	s_lshl_b64 s[4:5], s[4:5], 1
	v_lshlrev_b32_e32 v0, 10, v0
	s_waitcnt lgkmcnt(0)
	s_add_u32 s4, s0, s4
	v_and_b32_e32 v0, 0x1800, v0
	v_lshlrev_b32_e32 v2, 5, v1
	v_and_b32_e32 v3, 16, v40
	s_addc_u32 s5, s1, s5
	s_lshl_b32 s2, s28, 6
	v_or3_b32 v0, v0, v2, v3
	s_lshl_b64 s[0:1], s[2:3], 1
	ds_read_b128 v[2:5], v0
	ds_read_b128 v[6:9], v0 offset:128
	s_add_u32 s0, s4, s0
	s_addc_u32 s1, s5, s1
	v_or_b32_e32 v12, s29, v1
	v_lshl_add_u64 v[10:11], s[0:1], 0, v[26:27]
	v_mad_u64_u32 v[0:1], s[0:1], v12, s6, 0
	v_lshl_add_u64 v[0:1], v[0:1], 1, v[10:11]
	s_waitcnt lgkmcnt(1)
	global_store_dwordx4 v[0:1], v[2:5], off
	v_or_b32_e32 v0, 4, v12
	v_mad_u64_u32 v[0:1], s[0:1], v0, s6, 0
	v_lshl_add_u64 v[0:1], v[0:1], 1, v[10:11]
	s_waitcnt lgkmcnt(0)
	global_store_dwordx4 v[0:1], v[6:9], off
.LBB1215_19:
	s_endpgm
	.section	.rodata,"a",@progbits
	.p2align	6, 0x0
	.amdhsa_kernel _Z39paged_attention_ll4mi_QKV_mfma16_kernelI14__hip_bfloat16hLN4vllm18Fp8KVCacheDataTypeE1ES0_Li32ELi64ELi256ELb1ELi8EEvPKT_PKT0_S8_ifPKiSA_SA_iPKfiiiPfSD_PS3_PT2_iSC_SC_
		.amdhsa_group_segment_fixed_size 8192
		.amdhsa_private_segment_fixed_size 0
		.amdhsa_kernarg_size 400
		.amdhsa_user_sgpr_count 2
		.amdhsa_user_sgpr_dispatch_ptr 0
		.amdhsa_user_sgpr_queue_ptr 0
		.amdhsa_user_sgpr_kernarg_segment_ptr 1
		.amdhsa_user_sgpr_dispatch_id 0
		.amdhsa_user_sgpr_kernarg_preload_length 0
		.amdhsa_user_sgpr_kernarg_preload_offset 0
		.amdhsa_user_sgpr_private_segment_size 0
		.amdhsa_uses_dynamic_stack 0
		.amdhsa_enable_private_segment 0
		.amdhsa_system_sgpr_workgroup_id_x 1
		.amdhsa_system_sgpr_workgroup_id_y 1
		.amdhsa_system_sgpr_workgroup_id_z 1
		.amdhsa_system_sgpr_workgroup_info 0
		.amdhsa_system_vgpr_workitem_id 0
		.amdhsa_next_free_vgpr 73
		.amdhsa_next_free_sgpr 48
		.amdhsa_accum_offset 76
		.amdhsa_reserve_vcc 1
		.amdhsa_float_round_mode_32 0
		.amdhsa_float_round_mode_16_64 0
		.amdhsa_float_denorm_mode_32 3
		.amdhsa_float_denorm_mode_16_64 3
		.amdhsa_dx10_clamp 1
		.amdhsa_ieee_mode 1
		.amdhsa_fp16_overflow 0
		.amdhsa_tg_split 0
		.amdhsa_exception_fp_ieee_invalid_op 0
		.amdhsa_exception_fp_denorm_src 0
		.amdhsa_exception_fp_ieee_div_zero 0
		.amdhsa_exception_fp_ieee_overflow 0
		.amdhsa_exception_fp_ieee_underflow 0
		.amdhsa_exception_fp_ieee_inexact 0
		.amdhsa_exception_int_div_zero 0
	.end_amdhsa_kernel
	.section	.text._Z39paged_attention_ll4mi_QKV_mfma16_kernelI14__hip_bfloat16hLN4vllm18Fp8KVCacheDataTypeE1ES0_Li32ELi64ELi256ELb1ELi8EEvPKT_PKT0_S8_ifPKiSA_SA_iPKfiiiPfSD_PS3_PT2_iSC_SC_,"axG",@progbits,_Z39paged_attention_ll4mi_QKV_mfma16_kernelI14__hip_bfloat16hLN4vllm18Fp8KVCacheDataTypeE1ES0_Li32ELi64ELi256ELb1ELi8EEvPKT_PKT0_S8_ifPKiSA_SA_iPKfiiiPfSD_PS3_PT2_iSC_SC_,comdat
.Lfunc_end1215:
	.size	_Z39paged_attention_ll4mi_QKV_mfma16_kernelI14__hip_bfloat16hLN4vllm18Fp8KVCacheDataTypeE1ES0_Li32ELi64ELi256ELb1ELi8EEvPKT_PKT0_S8_ifPKiSA_SA_iPKfiiiPfSD_PS3_PT2_iSC_SC_, .Lfunc_end1215-_Z39paged_attention_ll4mi_QKV_mfma16_kernelI14__hip_bfloat16hLN4vllm18Fp8KVCacheDataTypeE1ES0_Li32ELi64ELi256ELb1ELi8EEvPKT_PKT0_S8_ifPKiSA_SA_iPKfiiiPfSD_PS3_PT2_iSC_SC_
                                        ; -- End function
	.section	.AMDGPU.csdata,"",@progbits
; Kernel info:
; codeLenInByte = 5152
; NumSgprs: 54
; NumVgprs: 73
; NumAgprs: 0
; TotalNumVgprs: 73
; ScratchSize: 0
; MemoryBound: 0
; FloatMode: 240
; IeeeMode: 1
; LDSByteSize: 8192 bytes/workgroup (compile time only)
; SGPRBlocks: 6
; VGPRBlocks: 9
; NumSGPRsForWavesPerEU: 54
; NumVGPRsForWavesPerEU: 73
; AccumOffset: 76
; Occupancy: 6
; WaveLimiterHint : 1
; COMPUTE_PGM_RSRC2:SCRATCH_EN: 0
; COMPUTE_PGM_RSRC2:USER_SGPR: 2
; COMPUTE_PGM_RSRC2:TRAP_HANDLER: 0
; COMPUTE_PGM_RSRC2:TGID_X_EN: 1
; COMPUTE_PGM_RSRC2:TGID_Y_EN: 1
; COMPUTE_PGM_RSRC2:TGID_Z_EN: 1
; COMPUTE_PGM_RSRC2:TIDIG_COMP_CNT: 0
; COMPUTE_PGM_RSRC3_GFX90A:ACCUM_OFFSET: 18
; COMPUTE_PGM_RSRC3_GFX90A:TG_SPLIT: 0
	.section	.text._Z39paged_attention_ll4mi_QKV_mfma16_kernelI14__hip_bfloat16hLN4vllm18Fp8KVCacheDataTypeE1ES0_Li32ELi64ELi256ELb1ELi9EEvPKT_PKT0_S8_ifPKiSA_SA_iPKfiiiPfSD_PS3_PT2_iSC_SC_,"axG",@progbits,_Z39paged_attention_ll4mi_QKV_mfma16_kernelI14__hip_bfloat16hLN4vllm18Fp8KVCacheDataTypeE1ES0_Li32ELi64ELi256ELb1ELi9EEvPKT_PKT0_S8_ifPKiSA_SA_iPKfiiiPfSD_PS3_PT2_iSC_SC_,comdat
	.protected	_Z39paged_attention_ll4mi_QKV_mfma16_kernelI14__hip_bfloat16hLN4vllm18Fp8KVCacheDataTypeE1ES0_Li32ELi64ELi256ELb1ELi9EEvPKT_PKT0_S8_ifPKiSA_SA_iPKfiiiPfSD_PS3_PT2_iSC_SC_ ; -- Begin function _Z39paged_attention_ll4mi_QKV_mfma16_kernelI14__hip_bfloat16hLN4vllm18Fp8KVCacheDataTypeE1ES0_Li32ELi64ELi256ELb1ELi9EEvPKT_PKT0_S8_ifPKiSA_SA_iPKfiiiPfSD_PS3_PT2_iSC_SC_
	.globl	_Z39paged_attention_ll4mi_QKV_mfma16_kernelI14__hip_bfloat16hLN4vllm18Fp8KVCacheDataTypeE1ES0_Li32ELi64ELi256ELb1ELi9EEvPKT_PKT0_S8_ifPKiSA_SA_iPKfiiiPfSD_PS3_PT2_iSC_SC_
	.p2align	8
	.type	_Z39paged_attention_ll4mi_QKV_mfma16_kernelI14__hip_bfloat16hLN4vllm18Fp8KVCacheDataTypeE1ES0_Li32ELi64ELi256ELb1ELi9EEvPKT_PKT0_S8_ifPKiSA_SA_iPKfiiiPfSD_PS3_PT2_iSC_SC_,@function
_Z39paged_attention_ll4mi_QKV_mfma16_kernelI14__hip_bfloat16hLN4vllm18Fp8KVCacheDataTypeE1ES0_Li32ELi64ELi256ELb1ELi9EEvPKT_PKT0_S8_ifPKiSA_SA_iPKfiiiPfSD_PS3_PT2_iSC_SC_: ; @_Z39paged_attention_ll4mi_QKV_mfma16_kernelI14__hip_bfloat16hLN4vllm18Fp8KVCacheDataTypeE1ES0_Li32ELi64ELi256ELb1ELi9EEvPKT_PKT0_S8_ifPKiSA_SA_iPKfiiiPfSD_PS3_PT2_iSC_SC_
; %bb.0:
	s_load_dwordx2 s[6:7], s[0:1], 0x30
	s_mov_b32 s28, s3
	s_mov_b64 s[8:9], 0
	s_waitcnt lgkmcnt(0)
	s_cmp_lg_u64 s[6:7], 0
	s_cselect_b64 s[10:11], -1, 0
	s_and_b64 vcc, exec, s[10:11]
	s_cbranch_vccz .LBB1216_7
; %bb.1:
	s_add_i32 s12, s2, 1
	s_mov_b32 s13, 0
	s_lshl_b64 s[14:15], s[12:13], 2
	s_add_u32 s14, s6, s14
	s_mov_b32 s3, s13
	s_addc_u32 s15, s7, s15
	s_lshl_b64 s[12:13], s[2:3], 2
	s_add_u32 s12, s6, s12
	s_addc_u32 s13, s7, s13
	s_load_dword s5, s[14:15], 0x0
	s_load_dword s16, s[12:13], 0x0
	s_waitcnt lgkmcnt(0)
	s_sub_i32 s5, s5, s16
	s_cmp_eq_u32 s5, 1
	s_cselect_b64 s[12:13], -1, 0
	s_andn2_b64 vcc, exec, s[8:9]
	s_cbranch_vccnz .LBB1216_3
.LBB1216_2:
	s_mov_b32 s3, 0
	s_mov_b64 s[12:13], -1
.LBB1216_3:
	s_andn2_b64 vcc, exec, s[12:13]
	s_cbranch_vccnz .LBB1216_20
; %bb.4:
	s_load_dwordx2 s[8:9], s[0:1], 0x28
	s_lshl_b64 s[12:13], s[2:3], 2
	s_waitcnt lgkmcnt(0)
	s_add_u32 s8, s8, s12
	s_addc_u32 s9, s9, s13
	s_load_dword s29, s[8:9], 0x0
	s_lshl_b32 s16, s28, 8
	s_waitcnt lgkmcnt(0)
	s_cmp_ge_i32 s16, s29
	s_cbranch_scc1 .LBB1216_20
; %bb.5:
	s_load_dwordx2 s[8:9], s[0:1], 0x20
	s_load_dword s5, s[0:1], 0x38
	s_add_i32 s14, s29, 31
	s_ashr_i32 s15, s14, 31
	v_and_b32_e32 v1, 0xcf, v0
	s_lshr_b32 s15, s15, 27
	v_add_u32_e32 v1, s16, v1
	s_add_i32 s14, s14, s15
	v_ashrrev_i32_e32 v2, 31, v1
	s_ashr_i32 s17, s14, 5
	v_lshrrev_b32_e32 v4, 27, v2
	s_add_i32 s17, s17, -1
	s_waitcnt lgkmcnt(0)
	s_mul_i32 s14, s2, s5
	s_mov_b32 s15, 0
	v_add_u32_e32 v2, v1, v4
	s_lshl_b64 s[14:15], s[14:15], 2
	v_ashrrev_i32_e32 v2, 5, v2
	v_mov_b32_e32 v5, s17
	v_cmp_gt_i32_e32 vcc, s29, v1
	s_add_u32 s8, s8, s14
	s_addc_u32 s9, s9, s15
	v_cndmask_b32_e32 v2, v5, v2, vcc
	v_ashrrev_i32_e32 v3, 31, v2
	v_lshl_add_u64 v[6:7], v[2:3], 2, s[8:9]
	v_or_b32_e32 v2, 16, v1
	v_add_u32_e32 v3, v2, v4
	v_ashrrev_i32_e32 v3, 5, v3
	v_cmp_gt_i32_e32 vcc, s29, v2
	s_load_dwordx2 s[14:15], s[0:1], 0x8
	s_nop 0
	v_cndmask_b32_e32 v2, v5, v3, vcc
	v_ashrrev_i32_e32 v3, 31, v2
	v_lshl_add_u64 v[8:9], v[2:3], 2, s[8:9]
	v_or_b32_e32 v2, 32, v1
	v_add_u32_e32 v3, v2, v4
	v_ashrrev_i32_e32 v3, 5, v3
	v_cmp_gt_i32_e32 vcc, s29, v2
	v_or_b32_e32 v1, 48, v1
	s_nop 0
	v_cndmask_b32_e32 v2, v5, v3, vcc
	v_ashrrev_i32_e32 v3, 31, v2
	v_lshl_add_u64 v[10:11], v[2:3], 2, s[8:9]
	v_add_u32_e32 v2, v1, v4
	v_ashrrev_i32_e32 v2, 5, v2
	v_cmp_gt_i32_e32 vcc, s29, v1
	s_nop 1
	v_cndmask_b32_e32 v2, v5, v2, vcc
	v_ashrrev_i32_e32 v3, 31, v2
	v_lshl_add_u64 v[12:13], v[2:3], 2, s[8:9]
	global_load_dword v5, v[6:7], off
	global_load_dword v4, v[8:9], off
	;; [unrolled: 1-line block ×4, first 2 shown]
	s_andn2_b64 vcc, exec, s[10:11]
	s_cbranch_vccnz .LBB1216_8
; %bb.6:
	s_add_u32 s6, s6, s12
	s_addc_u32 s7, s7, s13
	s_load_dword s5, s[6:7], 0x0
	s_branch .LBB1216_9
.LBB1216_7:
	s_mov_b64 s[12:13], 0
	s_branch .LBB1216_2
.LBB1216_8:
	s_mov_b32 s5, s2
.LBB1216_9:
	s_load_dwordx2 s[10:11], s[0:1], 0x10
	s_load_dwordx4 s[44:47], s[0:1], 0x48
	v_lshrrev_b32_e32 v29, 6, v0
	v_bfe_u32 v42, v0, 4, 2
	v_lshl_or_b32 v6, v29, 2, v42
	v_and_b32_e32 v28, 15, v0
	v_lshlrev_b32_e32 v1, 3, v28
	v_cmp_gt_u32_e32 vcc, 9, v6
	v_cmp_gt_u32_e64 s[30:31], 8, v28
	s_mul_i32 s48, s4, 9
	s_and_b64 s[12:13], s[30:31], vcc
	v_lshlrev_b32_e32 v26, 1, v1
	v_lshlrev_b32_e32 v1, 4, v0
	s_and_saveexec_b64 s[6:7], s[12:13]
	s_cbranch_execz .LBB1216_11
; %bb.10:
	s_load_dwordx2 s[12:13], s[0:1], 0x0
	s_waitcnt lgkmcnt(0)
	s_ashr_i32 s18, s44, 31
	s_mul_hi_u32 s19, s5, s44
	s_mul_i32 s18, s5, s18
	s_add_i32 s19, s19, s18
	s_mul_i32 s18, s5, s44
	s_lshl_b64 s[18:19], s[18:19], 1
	s_add_u32 s12, s12, s18
	v_add_lshl_u32 v8, v6, s48, 6
	s_addc_u32 s13, s13, s19
	v_ashrrev_i32_e32 v9, 31, v8
	v_lshl_add_u64 v[8:9], v[8:9], 1, s[12:13]
	v_mov_b32_e32 v27, 0
	v_lshl_add_u64 v[8:9], v[8:9], 0, v[26:27]
	global_load_dwordx4 v[8:11], v[8:9], off
	v_lshlrev_b32_e32 v12, 8, v28
	v_lshlrev_b32_e32 v6, 5, v6
	v_and_b32_e32 v7, 16, v1
	v_and_b32_e32 v12, 0xe00, v12
	v_or3_b32 v6, v12, v6, v7
	s_waitcnt vmcnt(0)
	ds_write_b128 v6, v[8:11]
.LBB1216_11:
	s_or_b64 exec, exec, s[6:7]
	s_waitcnt lgkmcnt(0)
	s_mul_i32 s12, s4, s46
	s_add_u32 s4, s14, s12
	s_addc_u32 s5, s15, 0
	v_mov_b32_e32 v31, 0
	v_mov_b64_e32 v[6:7], s[4:5]
	v_lshlrev_b32_e32 v10, 4, v28
	v_and_b32_e32 v27, 48, v0
	s_waitcnt vmcnt(3)
	v_mad_i64_i32 v[8:9], s[4:5], v5, s45, v[6:7]
	v_mov_b32_e32 v11, v31
	s_waitcnt vmcnt(2)
	v_mad_i64_i32 v[4:5], s[4:5], v4, s45, v[6:7]
	v_or_b32_e32 v12, 0x100, v10
	v_mov_b32_e32 v13, v31
	v_lshlrev_b32_e32 v30, 5, v27
	v_lshl_add_u64 v[8:9], v[8:9], 0, v[10:11]
	v_lshl_add_u64 v[4:5], v[4:5], 0, v[12:13]
	;; [unrolled: 1-line block ×4, first 2 shown]
	s_barrier
	global_load_dwordx4 v[22:25], v[8:9], off
	global_load_dwordx4 v[18:21], v[4:5], off
	s_waitcnt vmcnt(3)
	v_mad_i64_i32 v[4:5], s[4:5], v3, s45, v[6:7]
	v_lshl_add_u64 v[4:5], v[4:5], 0, v[10:11]
	s_waitcnt vmcnt(2)
	v_mad_i64_i32 v[2:3], s[4:5], v2, s45, v[6:7]
	v_lshl_add_u64 v[4:5], v[4:5], 0, v[30:31]
	v_lshl_add_u64 v[2:3], v[2:3], 0, v[12:13]
	;; [unrolled: 1-line block ×3, first 2 shown]
	global_load_dwordx4 v[14:17], v[4:5], off
	global_load_dwordx4 v[6:9], v[2:3], off
	v_add_u32_e32 v2, -9, v28
	v_cmp_gt_u32_e32 vcc, 9, v28
	v_and_b32_e32 v43, 63, v0
	v_mov_b32_e32 v44, 0
	v_cndmask_b32_e32 v2, v2, v28, vcc
	v_lshlrev_b32_e32 v2, 5, v2
	v_lshl_add_u32 v2, v42, 9, v2
	ds_read_b128 v[10:13], v2
	ds_read_b128 v[2:5], v2 offset:16
	s_and_saveexec_b64 s[4:5], vcc
	s_cbranch_execz .LBB1216_13
; %bb.12:
	s_load_dwordx2 s[6:7], s[0:1], 0x40
	v_add_u32_e32 v32, s48, v28
	v_ashrrev_i32_e32 v33, 31, v32
	s_waitcnt lgkmcnt(0)
	v_lshl_add_u64 v[32:33], v[32:33], 2, s[6:7]
	global_load_dword v44, v[32:33], off
.LBB1216_13:
	s_or_b64 exec, exec, s[4:5]
	s_ashr_i32 s4, s16, 31
	v_or_b32_e32 v45, s16, v27
	s_lshr_b32 s13, s4, 27
	v_add_u32_e32 v27, s13, v45
	v_ashrrev_i32_e32 v27, 5, v27
	s_waitcnt vmcnt(3)
	v_cvt_pk_f32_fp8_e32 v[34:35], v22
	v_cvt_pk_f32_fp8_sdwa v[36:37], v22 src0_sel:WORD_1
	s_waitcnt vmcnt(2)
	v_cvt_pk_f32_fp8_e32 v[56:57], v20
	v_cvt_pk_f32_fp8_sdwa v[58:59], v20 src0_sel:WORD_1
	v_mov_b32_e32 v20, s17
	v_cmp_gt_i32_e32 vcc, s29, v45
	v_cvt_pk_f32_fp8_e32 v[48:49], v18
	v_cvt_pk_f32_fp8_sdwa v[50:51], v18 src0_sel:WORD_1
	v_cndmask_b32_e32 v18, v20, v27, vcc
	v_cvt_pk_f32_fp8_e32 v[52:53], v19
	v_cvt_pk_f32_fp8_sdwa v[54:55], v19 src0_sel:WORD_1
	v_ashrrev_i32_e32 v19, 31, v18
	v_lshl_add_u64 v[18:19], v[18:19], 2, s[8:9]
	s_mov_b32 s33, 0x7060302
	v_cvt_pk_f32_fp8_e32 v[32:33], v23
	v_cvt_pk_f32_fp8_sdwa v[22:23], v23 src0_sel:WORD_1
	global_load_dword v70, v[18:19], off
	v_perm_b32 v18, v35, v34, s33
	v_perm_b32 v19, v37, v36, s33
	v_cvt_pk_f32_fp8_e32 v[60:61], v21
	v_cvt_pk_f32_fp8_sdwa v[62:63], v21 src0_sel:WORD_1
	v_or_b32_e32 v21, 64, v45
	v_or_b32_e32 v34, 0x80, v45
	;; [unrolled: 1-line block ×3, first 2 shown]
	v_cmp_gt_i32_e32 vcc, s29, v21
	v_add_u32_e32 v21, s13, v21
	v_cmp_gt_i32_e64 s[4:5], s29, v34
	v_add_u32_e32 v34, s13, v34
	v_cmp_gt_i32_e64 s[6:7], s29, v35
	v_add_u32_e32 v35, s13, v35
	v_cvt_pk_f32_fp8_e32 v[38:39], v24
	v_cvt_pk_f32_fp8_sdwa v[40:41], v24 src0_sel:WORD_1
	v_cvt_pk_f32_fp8_e32 v[46:47], v25
	v_ashrrev_i32_e32 v21, 5, v21
	v_ashrrev_i32_e32 v34, 5, v34
	;; [unrolled: 1-line block ×3, first 2 shown]
	v_perm_b32 v32, v33, v32, s33
	v_perm_b32 v33, v23, v22, s33
	;; [unrolled: 1-line block ×4, first 2 shown]
	v_cvt_pk_f32_fp8_sdwa v[24:25], v25 src0_sel:WORD_1
	v_cndmask_b32_e32 v36, v20, v21, vcc
	v_cndmask_b32_e64 v64, v20, v34, s[4:5]
	v_cndmask_b32_e64 v66, v20, v35, s[6:7]
	s_waitcnt lgkmcnt(1)
	v_mfma_f32_16x16x16_bf16 v[18:21], v[18:19], v[10:11], 0
	v_perm_b32 v38, v39, v38, s33
	v_perm_b32 v39, v41, v40, s33
	;; [unrolled: 1-line block ×5, first 2 shown]
	s_load_dword s14, s[0:1], 0x1c
	s_load_dwordx4 s[40:43], s[0:1], 0x80
	v_perm_b32 v69, v25, v24, s33
	v_mfma_f32_16x16x16_bf16 v[22:25], v[22:23], v[10:11], 0
	s_add_u32 s10, s10, s12
	v_and_b32_e32 v30, 16, v0
	v_lshlrev_b32_e32 v27, 5, v28
	v_mfma_f32_16x16x16_bf16 v[32:35], v[32:33], v[12:13], v[18:21]
	s_addc_u32 s11, s11, 0
	v_lshl_add_u64 v[40:41], s[10:11], 0, v[30:31]
	v_lshl_or_b32 v30, v29, 9, v27
	v_ashrrev_i32_e32 v37, 31, v36
	v_ashrrev_i32_e32 v65, 31, v64
	;; [unrolled: 1-line block ×3, first 2 shown]
	v_perm_b32 v48, v57, v56, s33
	v_perm_b32 v49, v59, v58, s33
	v_mfma_f32_16x16x16_bf16 v[20:23], v[46:47], v[12:13], v[22:25]
	v_lshl_add_u64 v[18:19], v[40:41], 0, v[30:31]
	s_waitcnt lgkmcnt(0)
	s_load_dword s6, s[40:41], 0x0
	v_perm_b32 v50, v61, v60, s33
	v_mfma_f32_16x16x16_bf16 v[30:33], v[38:39], v[2:3], v[32:35]
	v_lshl_add_u64 v[24:25], v[36:37], 2, s[8:9]
	v_lshl_add_u64 v[36:37], v[66:67], 2, s[8:9]
	v_perm_b32 v51, v63, v62, s33
	v_lshl_add_u64 v[34:35], v[64:65], 2, s[8:9]
	global_load_dword v47, v[24:25], off
	global_load_dword v45, v[34:35], off
	;; [unrolled: 1-line block ×3, first 2 shown]
	s_waitcnt vmcnt(5)
	v_cvt_pk_f32_fp8_e32 v[34:35], v14
	v_cvt_pk_f32_fp8_sdwa v[36:37], v14 src0_sel:WORD_1
	v_mfma_f32_16x16x16_bf16 v[20:23], v[48:49], v[2:3], v[20:23]
	v_cvt_pk_f32_fp8_e32 v[38:39], v15
	v_perm_b32 v34, v35, v34, s33
	v_perm_b32 v35, v37, v36, s33
	v_cvt_pk_f32_fp8_sdwa v[14:15], v15 src0_sel:WORD_1
	v_mov_b32_e32 v40, s14
	s_waitcnt lgkmcnt(0)
	v_mul_f32_e32 v48, s6, v40
	v_mfma_f32_16x16x16_bf16 v[20:23], v[50:51], v[4:5], v[20:23]
	v_perm_b32 v38, v39, v38, s33
	v_cvt_pk_f32_fp8_e32 v[40:41], v16
	v_cvt_pk_f32_fp8_sdwa v[50:51], v16 src0_sel:WORD_1
	v_perm_b32 v39, v15, v14, s33
	v_mfma_f32_16x16x16_bf16 v[34:37], v[34:35], v[10:11], 0
	v_perm_b32 v40, v41, v40, s33
	v_perm_b32 v41, v51, v50, s33
	v_cvt_pk_f32_fp8_e32 v[50:51], v17
	v_cvt_pk_f32_fp8_sdwa v[52:53], v17 src0_sel:WORD_1
	v_mfma_f32_16x16x16_bf16 v[30:33], v[68:69], v[4:5], v[30:33]
	s_mov_b32 s44, 0xff7fffff
	s_waitcnt vmcnt(3)
	v_mad_i64_i32 v[24:25], s[4:5], v70, s45, v[18:19]
	v_mfma_f32_16x16x16_bf16 v[14:17], v[38:39], v[12:13], v[34:37]
	s_nop 2
	v_perm_b32 v34, v51, v50, s33
	v_perm_b32 v35, v53, v52, s33
	v_mfma_f32_16x16x16_bf16 v[14:17], v[40:41], v[2:3], v[14:17]
	v_pk_mul_f32 v[38:39], v[48:49], v[30:31] op_sel_hi:[0,1]
	v_cvt_pk_f32_fp8_e32 v[30:31], v6
	v_cvt_pk_f32_fp8_sdwa v[36:37], v6 src0_sel:WORD_1
	v_mfma_f32_16x16x16_bf16 v[14:17], v[34:35], v[4:5], v[14:17]
	v_cvt_pk_f32_fp8_e32 v[34:35], v7
	v_perm_b32 v30, v31, v30, s33
	v_perm_b32 v31, v37, v36, s33
	v_cvt_pk_f32_fp8_sdwa v[6:7], v7 src0_sel:WORD_1
	v_perm_b32 v40, v35, v34, s33
	v_cvt_pk_f32_fp8_e32 v[50:51], v8
	v_cvt_pk_f32_fp8_sdwa v[52:53], v8 src0_sel:WORD_1
	v_perm_b32 v41, v7, v6, s33
	v_mfma_f32_16x16x16_bf16 v[34:37], v[30:31], v[10:11], 0
	v_perm_b32 v10, v51, v50, s33
	v_perm_b32 v11, v53, v52, s33
	v_cvt_pk_f32_fp8_e32 v[30:31], v9
	v_cvt_pk_f32_fp8_sdwa v[50:51], v9 src0_sel:WORD_1
	v_mfma_f32_16x16x16_bf16 v[6:9], v[40:41], v[12:13], v[34:37]
	v_pk_mul_f32 v[40:41], v[48:49], v[20:21] op_sel_hi:[0,1]
	v_perm_b32 v12, v31, v30, s33
	v_perm_b32 v13, v51, v50, s33
	v_mfma_f32_16x16x16_bf16 v[6:9], v[10:11], v[2:3], v[6:9]
	v_pk_mul_f32 v[36:37], v[48:49], v[22:23] op_sel_hi:[0,1]
	v_pk_mul_f32 v[32:33], v[48:49], v[32:33] op_sel_hi:[0,1]
	;; [unrolled: 1-line block ×3, first 2 shown]
	v_mfma_f32_16x16x16_bf16 v[2:5], v[12:13], v[4:5], v[6:9]
	v_pk_mul_f32 v[34:35], v[48:49], v[14:15] op_sel_hi:[0,1]
	s_nop 5
	v_pk_mul_f32 v[22:23], v[48:49], v[2:3] op_sel_hi:[0,1]
	v_and_b32_e32 v2, 0xc0, v0
	v_add_u32_e32 v2, s16, v2
	v_lshl_or_b32 v2, v42, 2, v2
	v_or_b32_e32 v3, 1, v2
	v_pk_mul_f32 v[20:21], v[48:49], v[4:5] op_sel_hi:[0,1]
	v_subrev_u32_e32 v4, s29, v3
	v_add_u32_e32 v6, 1, v4
	v_add_u32_e32 v7, 2, v4
	;; [unrolled: 1-line block ×3, first 2 shown]
	v_cvt_f32_i32_e32 v6, v6
	v_cvt_f32_i32_e32 v7, v7
	;; [unrolled: 1-line block ×3, first 2 shown]
	v_add_u32_e32 v9, 19, v4
	v_fmac_f32_e32 v39, v44, v6
	v_fma_f32 v32, v44, v7, v32
	v_fmac_f32_e32 v33, v44, v8
	v_add_u32_e32 v6, 16, v4
	v_add_u32_e32 v7, 17, v4
	;; [unrolled: 1-line block ×3, first 2 shown]
	v_cvt_f32_i32_e32 v6, v6
	v_cvt_f32_i32_e32 v7, v7
	;; [unrolled: 1-line block ×4, first 2 shown]
	v_fma_f32 v40, v44, v6, v40
	v_fmac_f32_e32 v41, v44, v7
	v_fma_f32 v36, v44, v8, v36
	v_add_u32_e32 v6, 32, v4
	v_add_u32_e32 v7, 33, v4
	;; [unrolled: 1-line block ×3, first 2 shown]
	v_cvt_f32_i32_e32 v6, v6
	v_cvt_f32_i32_e32 v7, v7
	;; [unrolled: 1-line block ×4, first 2 shown]
	v_fmac_f32_e32 v37, v44, v9
	v_add_u32_e32 v9, 35, v4
	v_fma_f32 v48, v44, v6, v34
	v_fmac_f32_e32 v35, v44, v7
	v_fma_f32 v30, v44, v8, v30
	v_add_u32_e32 v6, 48, v4
	v_add_u32_e32 v7, 49, v4
	;; [unrolled: 1-line block ×4, first 2 shown]
	v_cvt_f32_i32_e32 v4, v4
	v_cvt_f32_i32_e32 v6, v6
	;; [unrolled: 1-line block ×3, first 2 shown]
	v_fma_f32 v5, v44, v5, v38
	v_fmac_f32_e32 v21, v44, v4
	v_mov_b32_e32 v4, 0xff7fffff
	v_cmp_gt_i32_e64 s[4:5], s29, v2
	v_cmp_gt_i32_e64 s[34:35], s29, v3
	v_fma_f32 v22, v44, v6, v22
	v_cndmask_b32_e64 v6, v4, v5, s[4:5]
	v_cndmask_b32_e64 v3, v4, v39, s[34:35]
	v_fmac_f32_e32 v23, v44, v7
	v_max3_f32 v3, v6, s44, v3
	v_or_b32_e32 v6, 2, v2
	v_or_b32_e32 v7, 3, v2
	v_cmp_gt_i32_e64 s[36:37], s29, v6
	v_cmp_gt_i32_e64 s[38:39], s29, v7
	v_cvt_f32_i32_e32 v9, v9
	v_cndmask_b32_e64 v6, v4, v32, s[36:37]
	v_cndmask_b32_e64 v7, v4, v33, s[38:39]
	v_max3_f32 v3, v3, v6, v7
	v_or_b32_e32 v6, 16, v2
	v_or_b32_e32 v7, 17, v2
	v_cmp_gt_i32_e64 s[24:25], s29, v6
	v_cmp_gt_i32_e64 s[26:27], s29, v7
	v_fmac_f32_e32 v31, v44, v9
	v_cndmask_b32_e64 v6, v4, v40, s[24:25]
	v_cndmask_b32_e64 v7, v4, v41, s[26:27]
	v_max3_f32 v3, v3, v6, v7
	v_or_b32_e32 v6, 18, v2
	v_or_b32_e32 v7, 19, v2
	v_cmp_gt_i32_e64 s[20:21], s29, v6
	v_cmp_gt_i32_e64 s[22:23], s29, v7
	v_cvt_f32_i32_e32 v8, v8
	v_cndmask_b32_e64 v6, v4, v36, s[20:21]
	v_cndmask_b32_e64 v7, v4, v37, s[22:23]
	v_max3_f32 v3, v3, v6, v7
	v_or_b32_e32 v6, 32, v2
	v_or_b32_e32 v7, 33, v2
	v_cmp_gt_i32_e64 s[16:17], s29, v6
	v_cmp_gt_i32_e64 s[18:19], s29, v7
	v_fma_f32 v20, v44, v8, v20
	v_cndmask_b32_e64 v6, v4, v48, s[16:17]
	v_cndmask_b32_e64 v7, v4, v35, s[18:19]
	v_max3_f32 v3, v3, v6, v7
	v_or_b32_e32 v6, 34, v2
	v_or_b32_e32 v7, 35, v2
	v_cmp_gt_i32_e64 s[12:13], s29, v6
	v_cmp_gt_i32_e64 s[14:15], s29, v7
	s_nop 0
	v_cndmask_b32_e64 v6, v4, v30, s[12:13]
	v_cndmask_b32_e64 v7, v4, v31, s[14:15]
	v_max3_f32 v3, v3, v6, v7
	v_or_b32_e32 v6, 48, v2
	v_or_b32_e32 v7, 49, v2
	v_cmp_gt_i32_e64 s[8:9], s29, v6
	v_cmp_gt_i32_e64 s[10:11], s29, v7
	s_nop 0
	v_cndmask_b32_e64 v6, v4, v22, s[8:9]
	v_cndmask_b32_e64 v7, v4, v23, s[10:11]
	v_max3_f32 v3, v3, v6, v7
	v_or_b32_e32 v6, 50, v2
	v_or_b32_e32 v2, 51, v2
	v_cmp_gt_i32_e32 vcc, s29, v6
	v_cmp_gt_i32_e64 s[6:7], s29, v2
	s_nop 0
	v_cndmask_b32_e32 v6, v4, v20, vcc
	v_cndmask_b32_e64 v2, v4, v21, s[6:7]
	v_max3_f32 v4, v3, v6, v2
	v_mbcnt_lo_u32_b32 v2, -1, 0
	v_mbcnt_hi_u32_b32 v6, -1, v2
	v_and_b32_e32 v2, 64, v6
	v_add_u32_e32 v7, 64, v2
	v_xor_b32_e32 v2, 32, v6
	v_cmp_lt_i32_e64 s[40:41], v2, v7
	s_nop 1
	v_cndmask_b32_e64 v2, v6, v2, s[40:41]
	v_lshlrev_b32_e32 v44, 2, v2
	ds_bpermute_b32 v8, v44, v4
	s_waitcnt vmcnt(2)
	v_mad_i64_i32 v[2:3], s[40:41], v47, s45, v[18:19]
	global_load_dwordx4 v[14:17], v[24:25], off
	global_load_dwordx4 v[10:13], v[2:3], off
	v_xor_b32_e32 v3, 16, v6
	v_cmp_lt_i32_e64 s[40:41], v3, v7
	s_waitcnt lgkmcnt(0)
	v_max_f32_e32 v2, v8, v8
	v_max_f32_e32 v2, v4, v2
	v_cndmask_b32_e64 v3, v6, v3, s[40:41]
	v_lshlrev_b32_e32 v47, 2, v3
	ds_bpermute_b32 v3, v47, v2
	s_waitcnt vmcnt(3)
	v_mad_i64_i32 v[24:25], s[40:41], v45, s45, v[18:19]
	s_waitcnt vmcnt(2)
	v_mad_i64_i32 v[18:19], s[40:41], v46, s45, v[18:19]
	s_waitcnt lgkmcnt(0)
	v_max_f32_e32 v3, v3, v3
	v_max_f32_e32 v34, v2, v3
	v_sub_f32_e32 v2, v5, v34
	v_mul_f32_e32 v2, 0x3fb8aa3b, v2
	v_exp_f32_e32 v38, v2
	v_sub_f32_e32 v2, v39, v34
	v_mul_f32_e32 v2, 0x3fb8aa3b, v2
	v_exp_f32_e32 v39, v2
	global_load_dwordx4 v[6:9], v[24:25], off
	global_load_dwordx4 v[2:5], v[18:19], off
	v_sub_f32_e32 v25, v32, v34
	v_sub_f32_e32 v32, v33, v34
	v_mul_f32_e32 v25, 0x3fb8aa3b, v25
	v_mul_f32_e32 v32, 0x3fb8aa3b, v32
	v_exp_f32_e32 v25, v25
	v_exp_f32_e32 v32, v32
	v_cndmask_b32_e64 v18, 0, v38, s[4:5]
	v_cndmask_b32_e64 v19, 0, v39, s[34:35]
	;; [unrolled: 1-line block ×4, first 2 shown]
	v_sub_f32_e32 v25, v40, v34
	v_sub_f32_e32 v32, v41, v34
	v_mul_f32_e32 v25, 0x3fb8aa3b, v25
	v_mul_f32_e32 v32, 0x3fb8aa3b, v32
	v_exp_f32_e32 v25, v25
	v_exp_f32_e32 v32, v32
	v_add_f32_e32 v24, 0, v18
	v_add_f32_e32 v24, v24, v19
	;; [unrolled: 1-line block ×4, first 2 shown]
	v_cndmask_b32_e64 v24, 0, v25, s[24:25]
	v_cndmask_b32_e64 v25, 0, v32, s[26:27]
	v_sub_f32_e32 v32, v36, v34
	v_mul_f32_e32 v32, 0x3fb8aa3b, v32
	v_exp_f32_e32 v32, v32
	v_sub_f32_e32 v36, v37, v34
	v_add_f32_e32 v33, v33, v24
	v_mul_f32_e32 v36, 0x3fb8aa3b, v36
	v_exp_f32_e32 v37, v36
	v_add_f32_e32 v33, v33, v25
	v_cndmask_b32_e64 v36, 0, v32, s[20:21]
	v_add_f32_e32 v32, v33, v36
	v_sub_f32_e32 v33, v48, v34
	v_mul_f32_e32 v33, 0x3fb8aa3b, v33
	v_sub_f32_e32 v35, v35, v34
	v_exp_f32_e32 v33, v33
	v_mul_f32_e32 v35, 0x3fb8aa3b, v35
	v_sub_f32_e32 v30, v30, v34
	v_exp_f32_e32 v35, v35
	;; [unrolled: 3-line block ×3, first 2 shown]
	v_mul_f32_e32 v31, 0x3fb8aa3b, v31
	v_sub_f32_e32 v22, v22, v34
	v_cndmask_b32_e64 v37, 0, v37, s[22:23]
	v_exp_f32_e32 v31, v31
	v_mul_f32_e32 v22, 0x3fb8aa3b, v22
	v_sub_f32_e32 v23, v23, v34
	v_add_f32_e32 v40, v32, v37
	v_cndmask_b32_e64 v32, 0, v33, s[16:17]
	v_exp_f32_e32 v22, v22
	v_mul_f32_e32 v23, 0x3fb8aa3b, v23
	v_sub_f32_e32 v20, v20, v34
	v_add_f32_e32 v40, v40, v32
	;; [unrolled: 5-line block ×3, first 2 shown]
	v_cndmask_b32_e64 v30, 0, v30, s[12:13]
	v_exp_f32_e32 v20, v20
	v_mul_f32_e32 v21, 0x3fb8aa3b, v21
	v_add_f32_e32 v35, v35, v30
	v_cndmask_b32_e64 v31, 0, v31, s[14:15]
	v_exp_f32_e32 v21, v21
	v_add_f32_e32 v35, v35, v31
	v_cndmask_b32_e64 v22, 0, v22, s[8:9]
	v_add_f32_e32 v35, v35, v22
	v_cndmask_b32_e64 v23, 0, v23, s[10:11]
	v_add_f32_e32 v35, v35, v23
	v_cndmask_b32_e32 v20, 0, v20, vcc
	v_add_f32_e32 v35, v35, v20
	v_cndmask_b32_e64 v21, 0, v21, s[6:7]
	v_add_f32_e32 v35, v35, v21
	ds_bpermute_b32 v40, v44, v35
	s_load_dword s9, s[0:1], 0x98
	v_cmp_gt_u32_e64 s[6:7], 16, v43
	s_waitcnt lgkmcnt(0)
	s_barrier
	v_add_f32_e32 v40, v35, v40
	ds_bpermute_b32 v41, v47, v40
	v_lshlrev_b32_e32 v35, 2, v28
	s_waitcnt lgkmcnt(0)
	s_and_saveexec_b64 s[4:5], s[6:7]
	s_cbranch_execz .LBB1216_15
; %bb.14:
	v_add_f32_e32 v40, v40, v41
	v_lshl_or_b32 v41, v29, 6, v35
	ds_write2st64_b32 v41, v34, v40 offset1:1
.LBB1216_15:
	s_or_b64 exec, exec, s[4:5]
	s_load_dword s8, s[0:1], 0x94
	s_waitcnt lgkmcnt(0)
	s_barrier
	ds_read2_b32 v[40:41], v35 offset1:16
	ds_read2_b32 v[44:45], v35 offset0:32 offset1:48
	ds_read2_b32 v[46:47], v35 offset0:64 offset1:80
	s_movk_i32 s10, 0x7fff
	s_mul_i32 s9, s9, 9
	s_waitcnt lgkmcnt(2)
	v_max3_f32 v34, v40, s44, v41
	s_waitcnt lgkmcnt(1)
	v_max3_f32 v34, v34, v44, v45
	v_sub_f32_e32 v40, v40, v34
	v_mul_f32_e32 v40, 0x3fb8aa3b, v40
	v_exp_f32_e32 v43, v40
	v_sub_f32_e32 v40, v41, v34
	v_mul_f32_e32 v40, 0x3fb8aa3b, v40
	v_exp_f32_e32 v48, v40
	;; [unrolled: 3-line block ×3, first 2 shown]
	ds_read2_b32 v[40:41], v35 offset0:96 offset1:112
	v_sub_f32_e32 v35, v45, v34
	v_mul_f32_e32 v35, 0x3fb8aa3b, v35
	v_exp_f32_e32 v45, v35
	s_waitcnt lgkmcnt(1)
	v_fma_f32 v35, v43, v46, 0
	v_fmac_f32_e32 v35, v48, v47
	s_waitcnt lgkmcnt(0)
	v_fmac_f32_e32 v35, v44, v40
	v_fmac_f32_e32 v35, v45, v41
	v_add_f32_e32 v40, 0x358637bd, v35
	v_div_scale_f32 v41, s[4:5], v40, v40, 1.0
	v_rcp_f32_e32 v46, v41
	s_barrier
	v_fma_f32 v47, -v41, v46, 1.0
	v_fmac_f32_e32 v46, v47, v46
	v_div_scale_f32 v47, vcc, 1.0, v40, 1.0
	v_mul_f32_e32 v49, v47, v46
	v_fma_f32 v50, -v41, v49, v47
	v_fmac_f32_e32 v49, v50, v46
	v_fma_f32 v41, -v41, v49, v47
	v_div_fmas_f32 v41, v41, v46, v49
	v_cmp_eq_u32_e32 vcc, 1, v29
	v_div_fixup_f32 v40, v41, v40, 1.0
	s_nop 0
	v_cndmask_b32_e32 v41, v43, v48, vcc
	v_cmp_eq_u32_e32 vcc, 2, v29
	s_nop 1
	v_cndmask_b32_e32 v41, v41, v44, vcc
	v_cmp_eq_u32_e32 vcc, 3, v29
	s_nop 1
	v_cndmask_b32_e32 v41, v41, v45, vcc
	v_mul_f32_e32 v40, v41, v40
	v_pk_mul_f32 v[18:19], v[40:41], v[18:19] op_sel_hi:[0,1]
	v_pk_mul_f32 v[38:39], v[40:41], v[38:39] op_sel_hi:[0,1]
	v_bfe_u32 v41, v19, 16, 1
	v_bfe_u32 v43, v18, 16, 1
	v_add3_u32 v18, v18, v43, s10
	v_add3_u32 v19, v19, v41, s10
	v_perm_b32 v44, v19, v18, s33
	v_bfe_u32 v18, v39, 16, 1
	v_bfe_u32 v19, v38, 16, 1
	v_add3_u32 v19, v38, v19, s10
	v_add3_u32 v18, v39, v18, s10
	v_perm_b32 v45, v18, v19, s33
	v_lshlrev_b32_e32 v18, 3, v42
	v_lshlrev_b32_e32 v19, 11, v29
	v_pk_mul_f32 v[24:25], v[40:41], v[24:25] op_sel_hi:[0,1]
	v_or3_b32 v18, v19, v27, v18
	v_bfe_u32 v19, v25, 16, 1
	v_bfe_u32 v29, v24, 16, 1
	v_pk_mul_f32 v[36:37], v[40:41], v[36:37] op_sel_hi:[0,1]
	v_add3_u32 v24, v24, v29, s10
	v_add3_u32 v19, v25, v19, s10
	v_perm_b32 v24, v19, v24, s33
	v_bfe_u32 v19, v37, 16, 1
	v_bfe_u32 v25, v36, 16, 1
	v_add3_u32 v25, v36, v25, s10
	v_add3_u32 v19, v37, v19, s10
	v_perm_b32 v25, v19, v25, s33
	ds_write2st64_b64 v18, v[44:45], v[24:25] offset1:1
	v_pk_mul_f32 v[24:25], v[40:41], v[30:31] op_sel_hi:[0,1]
	v_pk_mul_f32 v[30:31], v[40:41], v[32:33] op_sel_hi:[0,1]
	v_bfe_u32 v19, v31, 16, 1
	v_bfe_u32 v29, v30, 16, 1
	v_add3_u32 v29, v30, v29, s10
	v_add3_u32 v19, v31, v19, s10
	v_perm_b32 v30, v19, v29, s33
	v_bfe_u32 v19, v25, 16, 1
	v_bfe_u32 v29, v24, 16, 1
	v_add3_u32 v24, v24, v29, s10
	v_add3_u32 v19, v25, v19, s10
	v_pk_mul_f32 v[22:23], v[40:41], v[22:23] op_sel_hi:[0,1]
	v_perm_b32 v31, v19, v24, s33
	v_bfe_u32 v19, v23, 16, 1
	v_bfe_u32 v24, v22, 16, 1
	v_pk_mul_f32 v[20:21], v[40:41], v[20:21] op_sel_hi:[0,1]
	v_add3_u32 v22, v22, v24, s10
	v_add3_u32 v19, v23, v19, s10
	v_perm_b32 v22, v19, v22, s33
	v_bfe_u32 v19, v21, 16, 1
	v_bfe_u32 v23, v20, 16, 1
	v_add3_u32 v20, v20, v23, s10
	v_add3_u32 v19, v21, v19, s10
	v_perm_b32 v23, v19, v20, s33
	v_cmp_gt_u32_e32 vcc, 9, v0
	ds_write2st64_b64 v18, v[30:31], v[22:23] offset0:2 offset1:3
	s_and_saveexec_b64 s[4:5], vcc
	s_cbranch_execz .LBB1216_17
; %bb.16:
	s_mov_b32 s49, 0
	v_mov_b32_e32 v29, 0
	v_lshl_add_u64 v[20:21], s[48:49], 0, v[28:29]
	v_mov_b32_e32 v19, s9
	v_mad_u64_u32 v[20:21], s[16:17], s2, v19, v[20:21]
	s_mul_i32 s3, s3, s9
	v_mov_b32_e32 v28, s28
	s_load_dwordx4 s[12:15], s[0:1], 0x58
	v_add_u32_e32 v19, s3, v21
	v_mad_u64_u32 v[20:21], s[16:17], v20, s8, v[28:29]
	v_mov_b32_e32 v22, v21
	v_mad_u64_u32 v[22:23], s[16:17], v19, s8, v[22:23]
	v_mov_b32_e32 v21, v22
	v_lshlrev_b64 v[20:21], 2, v[20:21]
	s_waitcnt lgkmcnt(0)
	v_lshl_add_u64 v[22:23], s[14:15], 0, v[20:21]
	v_lshl_add_u64 v[20:21], s[12:13], 0, v[20:21]
	global_store_dword v[22:23], v34, off
	global_store_dword v[20:21], v35, off
.LBB1216_17:
	s_or_b64 exec, exec, s[4:5]
	s_waitcnt vmcnt(3)
	v_cvt_pk_f32_fp8_e32 v[20:21], v14
	v_cvt_pk_f32_fp8_sdwa v[22:23], v14 src0_sel:WORD_1
	s_mov_b32 s4, 0x7060302
	v_lshl_or_b32 v14, v42, 9, v27
	s_waitcnt lgkmcnt(0)
	s_barrier
	v_perm_b32 v24, v21, v20, s4
	v_perm_b32 v25, v23, v22, s4
	v_cvt_pk_f32_fp8_e32 v[28:29], v15
	ds_read_b128 v[20:23], v14
	v_cvt_pk_f32_fp8_sdwa v[36:37], v15 src0_sel:WORD_1
	s_load_dword s12, s[42:43], 0x0
	v_perm_b32 v38, v29, v28, s4
	ds_read_b128 v[28:31], v14 offset:16
	v_perm_b32 v39, v37, v36, s4
	s_waitcnt lgkmcnt(0)
	v_mfma_f32_16x16x16_bf16 v[32:35], v[24:25], v[20:21], 0
	v_cvt_pk_f32_fp8_e32 v[24:25], v16
	v_cvt_pk_f32_fp8_sdwa v[36:37], v16 src0_sel:WORD_1
	v_cmp_gt_u32_e32 vcc, 64, v0
	v_mfma_f32_16x16x16_bf16 v[20:23], v[38:39], v[22:23], v[32:35]
	v_perm_b32 v24, v25, v24, s4
	v_perm_b32 v25, v37, v36, s4
	s_mov_b32 s3, 0
	v_cvt_pk_f32_fp8_e32 v[32:33], v17
	v_cvt_pk_f32_fp8_sdwa v[16:17], v17 src0_sel:WORD_1
	s_waitcnt vmcnt(2)
	v_cvt_pk_f32_fp8_sdwa v[34:35], v10 src0_sel:WORD_1
	v_mfma_f32_16x16x16_bf16 v[20:23], v[24:25], v[28:29], v[20:23]
	v_perm_b32 v36, v33, v32, s4
	v_cvt_pk_f32_fp8_e32 v[32:33], v10
	v_perm_b32 v37, v17, v16, s4
	v_perm_b32 v17, v35, v34, s4
	v_cvt_pk_f32_fp8_e32 v[24:25], v11
	v_perm_b32 v16, v33, v32, s4
	ds_read_b128 v[32:35], v14 offset:2048
	v_cvt_pk_f32_fp8_sdwa v[10:11], v11 src0_sel:WORD_1
	v_mfma_f32_16x16x16_bf16 v[20:23], v[36:37], v[30:31], v[20:23]
	ds_read_b128 v[28:31], v14 offset:2064
	v_perm_b32 v24, v25, v24, s4
	v_perm_b32 v25, v11, v10, s4
	s_waitcnt lgkmcnt(1)
	v_mfma_f32_16x16x16_bf16 v[20:23], v[16:17], v[32:33], v[20:23]
	v_cvt_pk_f32_fp8_e32 v[10:11], v12
	v_cvt_pk_f32_fp8_sdwa v[16:17], v12 src0_sel:WORD_1
	s_waitcnt vmcnt(1)
	v_cvt_pk_f32_fp8_sdwa v[32:33], v6 src0_sel:WORD_1
	v_mfma_f32_16x16x16_bf16 v[20:23], v[24:25], v[34:35], v[20:23]
	v_cvt_pk_f32_fp8_e32 v[24:25], v13
	v_perm_b32 v10, v11, v10, s4
	v_perm_b32 v11, v17, v16, s4
	v_cvt_pk_f32_fp8_sdwa v[12:13], v13 src0_sel:WORD_1
	v_perm_b32 v16, v25, v24, s4
	v_cvt_pk_f32_fp8_e32 v[24:25], v6
	v_mov_b32_e32 v27, 0
	v_perm_b32 v17, v13, v12, s4
	s_waitcnt lgkmcnt(0)
	v_mfma_f32_16x16x16_bf16 v[10:13], v[10:11], v[28:29], v[20:23]
	v_perm_b32 v24, v25, v24, s4
	v_perm_b32 v25, v33, v32, s4
	v_cvt_pk_f32_fp8_e32 v[28:29], v7
	ds_read_b128 v[20:23], v14 offset:4096
	v_cvt_pk_f32_fp8_sdwa v[6:7], v7 src0_sel:WORD_1
	v_mfma_f32_16x16x16_bf16 v[10:13], v[16:17], v[30:31], v[10:13]
	v_perm_b32 v16, v29, v28, s4
	ds_read_b128 v[28:31], v14 offset:4112
	v_perm_b32 v17, v7, v6, s4
	s_waitcnt lgkmcnt(1)
	v_mfma_f32_16x16x16_bf16 v[10:13], v[24:25], v[20:21], v[10:13]
	v_cvt_pk_f32_fp8_e32 v[6:7], v8
	v_cvt_pk_f32_fp8_sdwa v[20:21], v8 src0_sel:WORD_1
	v_perm_b32 v6, v7, v6, s4
	v_mfma_f32_16x16x16_bf16 v[10:13], v[16:17], v[22:23], v[10:13]
	v_cvt_pk_f32_fp8_e32 v[16:17], v9
	v_perm_b32 v7, v21, v20, s4
	v_cvt_pk_f32_fp8_sdwa v[8:9], v9 src0_sel:WORD_1
	s_waitcnt vmcnt(0)
	v_cvt_pk_f32_fp8_e32 v[20:21], v2
	v_perm_b32 v16, v17, v16, s4
	v_cvt_pk_f32_fp8_sdwa v[22:23], v2 src0_sel:WORD_1
	v_perm_b32 v17, v9, v8, s4
	s_waitcnt lgkmcnt(0)
	v_mfma_f32_16x16x16_bf16 v[6:9], v[6:7], v[28:29], v[10:13]
	v_perm_b32 v20, v21, v20, s4
	v_perm_b32 v21, v23, v22, s4
	v_cvt_pk_f32_fp8_e32 v[22:23], v3
	ds_read_b128 v[10:13], v14 offset:6144
	v_cvt_pk_f32_fp8_sdwa v[2:3], v3 src0_sel:WORD_1
	v_mfma_f32_16x16x16_bf16 v[6:9], v[16:17], v[30:31], v[6:9]
	v_perm_b32 v22, v23, v22, s4
	ds_read_b128 v[14:17], v14 offset:6160
	v_perm_b32 v23, v3, v2, s4
	s_waitcnt lgkmcnt(1)
	v_mfma_f32_16x16x16_bf16 v[6:9], v[20:21], v[10:11], v[6:9]
	v_cvt_pk_f32_fp8_e32 v[2:3], v4
	v_cvt_pk_f32_fp8_sdwa v[10:11], v4 src0_sel:WORD_1
	s_waitcnt lgkmcnt(0)
	v_mfma_f32_16x16x16_bf16 v[6:9], v[22:23], v[12:13], v[6:9]
	v_perm_b32 v2, v3, v2, s4
	v_perm_b32 v3, v11, v10, s4
	v_cvt_pk_f32_fp8_e32 v[10:11], v5
	v_cvt_pk_f32_fp8_sdwa v[4:5], v5 src0_sel:WORD_1
	s_barrier
	v_perm_b32 v10, v11, v10, s4
	v_perm_b32 v11, v5, v4, s4
	v_mfma_f32_16x16x16_bf16 v[2:5], v[2:3], v[14:15], v[6:9]
	s_nop 0
	v_mfma_f32_16x16x16_bf16 v[2:5], v[10:11], v[16:17], v[2:5]
	s_nop 6
	v_pk_mul_f32 v[2:3], v[2:3], s[12:13] op_sel_hi:[1,0]
	v_pk_mul_f32 v[4:5], v[4:5], s[12:13] op_sel_hi:[1,0]
	v_bfe_u32 v6, v3, 16, 1
	v_bfe_u32 v7, v2, 16, 1
	v_add3_u32 v2, v2, v7, s10
	v_add3_u32 v3, v3, v6, s10
	v_perm_b32 v2, v3, v2, s4
	v_bfe_u32 v3, v5, 16, 1
	v_bfe_u32 v6, v4, 16, 1
	v_add3_u32 v4, v4, v6, s10
	v_add3_u32 v3, v5, v3, s10
	v_perm_b32 v3, v3, v4, s4
	s_and_b64 s[4:5], vcc, s[30:31]
	ds_write_b64 v18, v[2:3]
	s_waitcnt lgkmcnt(0)
	s_barrier
	s_and_saveexec_b64 s[10:11], s[4:5]
	s_cbranch_execz .LBB1216_20
; %bb.18:
	s_load_dwordx2 s[4:5], s[0:1], 0x68
	s_lshl_b32 s0, s8, 6
	s_mul_i32 s1, s9, s2
	s_mul_hi_u32 s9, s1, s0
	s_mul_i32 s8, s1, s0
	v_lshlrev_b32_e32 v0, 10, v0
	s_lshl_b64 s[8:9], s[8:9], 1
	v_and_b32_e32 v0, 0x1800, v0
	v_lshlrev_b32_e32 v2, 5, v42
	v_and_b32_e32 v1, 16, v1
	s_waitcnt lgkmcnt(0)
	s_add_u32 s1, s4, s8
	v_or3_b32 v2, v0, v2, v1
	s_addc_u32 s4, s5, s9
	s_lshl_b32 s2, s28, 6
	s_lshl_b64 s[2:3], s[2:3], 1
	ds_read_b128 v[4:7], v2 offset:128
	ds_read_b128 v[8:11], v2
	s_add_u32 s2, s1, s2
	s_addc_u32 s3, s4, s3
	v_add_u32_e32 v3, s48, v42
	v_lshl_add_u64 v[0:1], s[2:3], 0, v[26:27]
	v_mad_u64_u32 v[12:13], s[2:3], v3, s0, 0
	v_lshl_add_u64 v[12:13], v[12:13], 1, v[0:1]
	v_add_u32_e32 v3, 4, v3
	s_waitcnt lgkmcnt(0)
	global_store_dwordx4 v[12:13], v[8:11], off
	s_nop 1
	v_mad_u64_u32 v[8:9], s[2:3], v3, s0, 0
	v_lshl_add_u64 v[8:9], v[8:9], 1, v[0:1]
	global_store_dwordx4 v[8:9], v[4:7], off
	s_and_b64 exec, exec, s[6:7]
	s_cbranch_execz .LBB1216_20
; %bb.19:
	ds_read_b128 v[2:5], v2 offset:256
	v_add3_u32 v6, s48, v42, 8
	v_mad_u64_u32 v[6:7], s[0:1], v6, s0, 0
	v_lshl_add_u64 v[0:1], v[6:7], 1, v[0:1]
	s_waitcnt lgkmcnt(0)
	global_store_dwordx4 v[0:1], v[2:5], off
.LBB1216_20:
	s_endpgm
	.section	.rodata,"a",@progbits
	.p2align	6, 0x0
	.amdhsa_kernel _Z39paged_attention_ll4mi_QKV_mfma16_kernelI14__hip_bfloat16hLN4vllm18Fp8KVCacheDataTypeE1ES0_Li32ELi64ELi256ELb1ELi9EEvPKT_PKT0_S8_ifPKiSA_SA_iPKfiiiPfSD_PS3_PT2_iSC_SC_
		.amdhsa_group_segment_fixed_size 8192
		.amdhsa_private_segment_fixed_size 0
		.amdhsa_kernarg_size 400
		.amdhsa_user_sgpr_count 2
		.amdhsa_user_sgpr_dispatch_ptr 0
		.amdhsa_user_sgpr_queue_ptr 0
		.amdhsa_user_sgpr_kernarg_segment_ptr 1
		.amdhsa_user_sgpr_dispatch_id 0
		.amdhsa_user_sgpr_kernarg_preload_length 0
		.amdhsa_user_sgpr_kernarg_preload_offset 0
		.amdhsa_user_sgpr_private_segment_size 0
		.amdhsa_uses_dynamic_stack 0
		.amdhsa_enable_private_segment 0
		.amdhsa_system_sgpr_workgroup_id_x 1
		.amdhsa_system_sgpr_workgroup_id_y 1
		.amdhsa_system_sgpr_workgroup_id_z 1
		.amdhsa_system_sgpr_workgroup_info 0
		.amdhsa_system_vgpr_workitem_id 0
		.amdhsa_next_free_vgpr 71
		.amdhsa_next_free_sgpr 50
		.amdhsa_accum_offset 72
		.amdhsa_reserve_vcc 1
		.amdhsa_float_round_mode_32 0
		.amdhsa_float_round_mode_16_64 0
		.amdhsa_float_denorm_mode_32 3
		.amdhsa_float_denorm_mode_16_64 3
		.amdhsa_dx10_clamp 1
		.amdhsa_ieee_mode 1
		.amdhsa_fp16_overflow 0
		.amdhsa_tg_split 0
		.amdhsa_exception_fp_ieee_invalid_op 0
		.amdhsa_exception_fp_denorm_src 0
		.amdhsa_exception_fp_ieee_div_zero 0
		.amdhsa_exception_fp_ieee_overflow 0
		.amdhsa_exception_fp_ieee_underflow 0
		.amdhsa_exception_fp_ieee_inexact 0
		.amdhsa_exception_int_div_zero 0
	.end_amdhsa_kernel
	.section	.text._Z39paged_attention_ll4mi_QKV_mfma16_kernelI14__hip_bfloat16hLN4vllm18Fp8KVCacheDataTypeE1ES0_Li32ELi64ELi256ELb1ELi9EEvPKT_PKT0_S8_ifPKiSA_SA_iPKfiiiPfSD_PS3_PT2_iSC_SC_,"axG",@progbits,_Z39paged_attention_ll4mi_QKV_mfma16_kernelI14__hip_bfloat16hLN4vllm18Fp8KVCacheDataTypeE1ES0_Li32ELi64ELi256ELb1ELi9EEvPKT_PKT0_S8_ifPKiSA_SA_iPKfiiiPfSD_PS3_PT2_iSC_SC_,comdat
.Lfunc_end1216:
	.size	_Z39paged_attention_ll4mi_QKV_mfma16_kernelI14__hip_bfloat16hLN4vllm18Fp8KVCacheDataTypeE1ES0_Li32ELi64ELi256ELb1ELi9EEvPKT_PKT0_S8_ifPKiSA_SA_iPKfiiiPfSD_PS3_PT2_iSC_SC_, .Lfunc_end1216-_Z39paged_attention_ll4mi_QKV_mfma16_kernelI14__hip_bfloat16hLN4vllm18Fp8KVCacheDataTypeE1ES0_Li32ELi64ELi256ELb1ELi9EEvPKT_PKT0_S8_ifPKiSA_SA_iPKfiiiPfSD_PS3_PT2_iSC_SC_
                                        ; -- End function
	.section	.AMDGPU.csdata,"",@progbits
; Kernel info:
; codeLenInByte = 5236
; NumSgprs: 56
; NumVgprs: 71
; NumAgprs: 0
; TotalNumVgprs: 71
; ScratchSize: 0
; MemoryBound: 0
; FloatMode: 240
; IeeeMode: 1
; LDSByteSize: 8192 bytes/workgroup (compile time only)
; SGPRBlocks: 6
; VGPRBlocks: 8
; NumSGPRsForWavesPerEU: 56
; NumVGPRsForWavesPerEU: 71
; AccumOffset: 72
; Occupancy: 7
; WaveLimiterHint : 1
; COMPUTE_PGM_RSRC2:SCRATCH_EN: 0
; COMPUTE_PGM_RSRC2:USER_SGPR: 2
; COMPUTE_PGM_RSRC2:TRAP_HANDLER: 0
; COMPUTE_PGM_RSRC2:TGID_X_EN: 1
; COMPUTE_PGM_RSRC2:TGID_Y_EN: 1
; COMPUTE_PGM_RSRC2:TGID_Z_EN: 1
; COMPUTE_PGM_RSRC2:TIDIG_COMP_CNT: 0
; COMPUTE_PGM_RSRC3_GFX90A:ACCUM_OFFSET: 17
; COMPUTE_PGM_RSRC3_GFX90A:TG_SPLIT: 0
	.section	.text._Z39paged_attention_ll4mi_QKV_mfma16_kernelI14__hip_bfloat16hLN4vllm18Fp8KVCacheDataTypeE1ES0_Li32ELi64ELi256ELb1ELi10EEvPKT_PKT0_S8_ifPKiSA_SA_iPKfiiiPfSD_PS3_PT2_iSC_SC_,"axG",@progbits,_Z39paged_attention_ll4mi_QKV_mfma16_kernelI14__hip_bfloat16hLN4vllm18Fp8KVCacheDataTypeE1ES0_Li32ELi64ELi256ELb1ELi10EEvPKT_PKT0_S8_ifPKiSA_SA_iPKfiiiPfSD_PS3_PT2_iSC_SC_,comdat
	.protected	_Z39paged_attention_ll4mi_QKV_mfma16_kernelI14__hip_bfloat16hLN4vllm18Fp8KVCacheDataTypeE1ES0_Li32ELi64ELi256ELb1ELi10EEvPKT_PKT0_S8_ifPKiSA_SA_iPKfiiiPfSD_PS3_PT2_iSC_SC_ ; -- Begin function _Z39paged_attention_ll4mi_QKV_mfma16_kernelI14__hip_bfloat16hLN4vllm18Fp8KVCacheDataTypeE1ES0_Li32ELi64ELi256ELb1ELi10EEvPKT_PKT0_S8_ifPKiSA_SA_iPKfiiiPfSD_PS3_PT2_iSC_SC_
	.globl	_Z39paged_attention_ll4mi_QKV_mfma16_kernelI14__hip_bfloat16hLN4vllm18Fp8KVCacheDataTypeE1ES0_Li32ELi64ELi256ELb1ELi10EEvPKT_PKT0_S8_ifPKiSA_SA_iPKfiiiPfSD_PS3_PT2_iSC_SC_
	.p2align	8
	.type	_Z39paged_attention_ll4mi_QKV_mfma16_kernelI14__hip_bfloat16hLN4vllm18Fp8KVCacheDataTypeE1ES0_Li32ELi64ELi256ELb1ELi10EEvPKT_PKT0_S8_ifPKiSA_SA_iPKfiiiPfSD_PS3_PT2_iSC_SC_,@function
_Z39paged_attention_ll4mi_QKV_mfma16_kernelI14__hip_bfloat16hLN4vllm18Fp8KVCacheDataTypeE1ES0_Li32ELi64ELi256ELb1ELi10EEvPKT_PKT0_S8_ifPKiSA_SA_iPKfiiiPfSD_PS3_PT2_iSC_SC_: ; @_Z39paged_attention_ll4mi_QKV_mfma16_kernelI14__hip_bfloat16hLN4vllm18Fp8KVCacheDataTypeE1ES0_Li32ELi64ELi256ELb1ELi10EEvPKT_PKT0_S8_ifPKiSA_SA_iPKfiiiPfSD_PS3_PT2_iSC_SC_
; %bb.0:
	s_load_dwordx2 s[6:7], s[0:1], 0x30
	s_mov_b32 s28, s3
	s_mov_b64 s[8:9], 0
	s_waitcnt lgkmcnt(0)
	s_cmp_lg_u64 s[6:7], 0
	s_cselect_b64 s[10:11], -1, 0
	s_and_b64 vcc, exec, s[10:11]
	s_cbranch_vccz .LBB1217_7
; %bb.1:
	s_add_i32 s12, s2, 1
	s_mov_b32 s13, 0
	s_lshl_b64 s[14:15], s[12:13], 2
	s_add_u32 s14, s6, s14
	s_mov_b32 s3, s13
	s_addc_u32 s15, s7, s15
	s_lshl_b64 s[12:13], s[2:3], 2
	s_add_u32 s12, s6, s12
	s_addc_u32 s13, s7, s13
	s_load_dword s5, s[14:15], 0x0
	s_load_dword s16, s[12:13], 0x0
	s_waitcnt lgkmcnt(0)
	s_sub_i32 s5, s5, s16
	s_cmp_eq_u32 s5, 1
	s_cselect_b64 s[12:13], -1, 0
	s_andn2_b64 vcc, exec, s[8:9]
	s_cbranch_vccnz .LBB1217_3
.LBB1217_2:
	s_mov_b32 s3, 0
	s_mov_b64 s[12:13], -1
.LBB1217_3:
	s_andn2_b64 vcc, exec, s[12:13]
	s_cbranch_vccnz .LBB1217_20
; %bb.4:
	s_load_dwordx2 s[8:9], s[0:1], 0x28
	s_lshl_b64 s[12:13], s[2:3], 2
	s_waitcnt lgkmcnt(0)
	s_add_u32 s8, s8, s12
	s_addc_u32 s9, s9, s13
	s_load_dword s29, s[8:9], 0x0
	s_lshl_b32 s16, s28, 8
	s_waitcnt lgkmcnt(0)
	s_cmp_ge_i32 s16, s29
	s_cbranch_scc1 .LBB1217_20
; %bb.5:
	s_load_dwordx2 s[8:9], s[0:1], 0x20
	s_load_dword s5, s[0:1], 0x38
	s_add_i32 s14, s29, 31
	s_ashr_i32 s15, s14, 31
	v_and_b32_e32 v1, 0xcf, v0
	s_lshr_b32 s15, s15, 27
	v_add_u32_e32 v1, s16, v1
	s_add_i32 s14, s14, s15
	v_ashrrev_i32_e32 v2, 31, v1
	s_ashr_i32 s17, s14, 5
	v_lshrrev_b32_e32 v4, 27, v2
	s_add_i32 s17, s17, -1
	s_waitcnt lgkmcnt(0)
	s_mul_i32 s14, s2, s5
	s_mov_b32 s15, 0
	v_add_u32_e32 v2, v1, v4
	s_lshl_b64 s[14:15], s[14:15], 2
	v_ashrrev_i32_e32 v2, 5, v2
	v_mov_b32_e32 v5, s17
	v_cmp_gt_i32_e32 vcc, s29, v1
	s_add_u32 s8, s8, s14
	s_addc_u32 s9, s9, s15
	v_cndmask_b32_e32 v2, v5, v2, vcc
	v_ashrrev_i32_e32 v3, 31, v2
	v_lshl_add_u64 v[6:7], v[2:3], 2, s[8:9]
	v_or_b32_e32 v2, 16, v1
	v_add_u32_e32 v3, v2, v4
	v_ashrrev_i32_e32 v3, 5, v3
	v_cmp_gt_i32_e32 vcc, s29, v2
	s_load_dwordx2 s[14:15], s[0:1], 0x8
	s_nop 0
	v_cndmask_b32_e32 v2, v5, v3, vcc
	v_ashrrev_i32_e32 v3, 31, v2
	v_lshl_add_u64 v[8:9], v[2:3], 2, s[8:9]
	v_or_b32_e32 v2, 32, v1
	v_add_u32_e32 v3, v2, v4
	v_ashrrev_i32_e32 v3, 5, v3
	v_cmp_gt_i32_e32 vcc, s29, v2
	v_or_b32_e32 v1, 48, v1
	s_nop 0
	v_cndmask_b32_e32 v2, v5, v3, vcc
	v_ashrrev_i32_e32 v3, 31, v2
	v_lshl_add_u64 v[10:11], v[2:3], 2, s[8:9]
	v_add_u32_e32 v2, v1, v4
	v_ashrrev_i32_e32 v2, 5, v2
	v_cmp_gt_i32_e32 vcc, s29, v1
	s_nop 1
	v_cndmask_b32_e32 v2, v5, v2, vcc
	v_ashrrev_i32_e32 v3, 31, v2
	v_lshl_add_u64 v[12:13], v[2:3], 2, s[8:9]
	global_load_dword v5, v[6:7], off
	global_load_dword v4, v[8:9], off
	;; [unrolled: 1-line block ×4, first 2 shown]
	s_andn2_b64 vcc, exec, s[10:11]
	s_cbranch_vccnz .LBB1217_8
; %bb.6:
	s_add_u32 s6, s6, s12
	s_addc_u32 s7, s7, s13
	s_load_dword s5, s[6:7], 0x0
	s_branch .LBB1217_9
.LBB1217_7:
	s_mov_b64 s[12:13], 0
	s_branch .LBB1217_2
.LBB1217_8:
	s_mov_b32 s5, s2
.LBB1217_9:
	s_load_dwordx2 s[10:11], s[0:1], 0x10
	s_load_dwordx4 s[44:47], s[0:1], 0x48
	v_lshrrev_b32_e32 v29, 6, v0
	v_bfe_u32 v42, v0, 4, 2
	v_lshl_or_b32 v6, v29, 2, v42
	v_and_b32_e32 v28, 15, v0
	v_lshlrev_b32_e32 v1, 3, v28
	v_cmp_gt_u32_e32 vcc, 10, v6
	v_cmp_gt_u32_e64 s[30:31], 8, v28
	s_mul_i32 s48, s4, 10
	s_and_b64 s[12:13], s[30:31], vcc
	v_lshlrev_b32_e32 v26, 1, v1
	v_lshlrev_b32_e32 v1, 4, v0
	s_and_saveexec_b64 s[6:7], s[12:13]
	s_cbranch_execz .LBB1217_11
; %bb.10:
	s_load_dwordx2 s[12:13], s[0:1], 0x0
	s_waitcnt lgkmcnt(0)
	s_ashr_i32 s18, s44, 31
	s_mul_hi_u32 s19, s5, s44
	s_mul_i32 s18, s5, s18
	s_add_i32 s19, s19, s18
	s_mul_i32 s18, s5, s44
	s_lshl_b64 s[18:19], s[18:19], 1
	s_add_u32 s12, s12, s18
	v_add_lshl_u32 v8, v6, s48, 6
	s_addc_u32 s13, s13, s19
	v_ashrrev_i32_e32 v9, 31, v8
	v_lshl_add_u64 v[8:9], v[8:9], 1, s[12:13]
	v_mov_b32_e32 v27, 0
	v_lshl_add_u64 v[8:9], v[8:9], 0, v[26:27]
	global_load_dwordx4 v[8:11], v[8:9], off
	v_lshlrev_b32_e32 v12, 8, v28
	v_lshlrev_b32_e32 v6, 5, v6
	v_and_b32_e32 v7, 16, v1
	v_and_b32_e32 v12, 0xe00, v12
	v_or3_b32 v6, v12, v6, v7
	s_waitcnt vmcnt(0)
	ds_write_b128 v6, v[8:11]
.LBB1217_11:
	s_or_b64 exec, exec, s[6:7]
	s_waitcnt lgkmcnt(0)
	s_mul_i32 s12, s4, s46
	s_add_u32 s4, s14, s12
	s_addc_u32 s5, s15, 0
	v_mov_b32_e32 v31, 0
	v_mov_b64_e32 v[6:7], s[4:5]
	v_lshlrev_b32_e32 v10, 4, v28
	v_and_b32_e32 v27, 48, v0
	s_waitcnt vmcnt(3)
	v_mad_i64_i32 v[8:9], s[4:5], v5, s45, v[6:7]
	v_mov_b32_e32 v11, v31
	s_waitcnt vmcnt(2)
	v_mad_i64_i32 v[4:5], s[4:5], v4, s45, v[6:7]
	v_or_b32_e32 v12, 0x100, v10
	v_mov_b32_e32 v13, v31
	v_lshlrev_b32_e32 v30, 5, v27
	v_lshl_add_u64 v[8:9], v[8:9], 0, v[10:11]
	v_lshl_add_u64 v[4:5], v[4:5], 0, v[12:13]
	;; [unrolled: 1-line block ×4, first 2 shown]
	s_barrier
	global_load_dwordx4 v[22:25], v[8:9], off
	global_load_dwordx4 v[18:21], v[4:5], off
	s_waitcnt vmcnt(3)
	v_mad_i64_i32 v[4:5], s[4:5], v3, s45, v[6:7]
	v_lshl_add_u64 v[4:5], v[4:5], 0, v[10:11]
	s_waitcnt vmcnt(2)
	v_mad_i64_i32 v[2:3], s[4:5], v2, s45, v[6:7]
	v_lshl_add_u64 v[4:5], v[4:5], 0, v[30:31]
	v_lshl_add_u64 v[2:3], v[2:3], 0, v[12:13]
	;; [unrolled: 1-line block ×3, first 2 shown]
	global_load_dwordx4 v[14:17], v[4:5], off
	global_load_dwordx4 v[6:9], v[2:3], off
	v_add_u32_e32 v2, -10, v28
	v_cmp_gt_u32_e32 vcc, 10, v28
	v_and_b32_e32 v43, 63, v0
	v_mov_b32_e32 v44, 0
	v_cndmask_b32_e32 v2, v2, v28, vcc
	v_lshlrev_b32_e32 v2, 5, v2
	v_lshl_add_u32 v2, v42, 9, v2
	ds_read_b128 v[10:13], v2
	ds_read_b128 v[2:5], v2 offset:16
	s_and_saveexec_b64 s[4:5], vcc
	s_cbranch_execz .LBB1217_13
; %bb.12:
	s_load_dwordx2 s[6:7], s[0:1], 0x40
	v_add_u32_e32 v32, s48, v28
	v_ashrrev_i32_e32 v33, 31, v32
	s_waitcnt lgkmcnt(0)
	v_lshl_add_u64 v[32:33], v[32:33], 2, s[6:7]
	global_load_dword v44, v[32:33], off
.LBB1217_13:
	s_or_b64 exec, exec, s[4:5]
	s_ashr_i32 s4, s16, 31
	v_or_b32_e32 v45, s16, v27
	s_lshr_b32 s13, s4, 27
	v_add_u32_e32 v27, s13, v45
	v_ashrrev_i32_e32 v27, 5, v27
	s_waitcnt vmcnt(3)
	v_cvt_pk_f32_fp8_e32 v[34:35], v22
	v_cvt_pk_f32_fp8_sdwa v[36:37], v22 src0_sel:WORD_1
	s_waitcnt vmcnt(2)
	v_cvt_pk_f32_fp8_e32 v[56:57], v20
	v_cvt_pk_f32_fp8_sdwa v[58:59], v20 src0_sel:WORD_1
	v_mov_b32_e32 v20, s17
	v_cmp_gt_i32_e32 vcc, s29, v45
	v_cvt_pk_f32_fp8_e32 v[48:49], v18
	v_cvt_pk_f32_fp8_sdwa v[50:51], v18 src0_sel:WORD_1
	v_cndmask_b32_e32 v18, v20, v27, vcc
	v_cvt_pk_f32_fp8_e32 v[52:53], v19
	v_cvt_pk_f32_fp8_sdwa v[54:55], v19 src0_sel:WORD_1
	v_ashrrev_i32_e32 v19, 31, v18
	v_lshl_add_u64 v[18:19], v[18:19], 2, s[8:9]
	s_mov_b32 s33, 0x7060302
	v_cvt_pk_f32_fp8_e32 v[32:33], v23
	v_cvt_pk_f32_fp8_sdwa v[22:23], v23 src0_sel:WORD_1
	global_load_dword v70, v[18:19], off
	v_perm_b32 v18, v35, v34, s33
	v_perm_b32 v19, v37, v36, s33
	v_cvt_pk_f32_fp8_e32 v[60:61], v21
	v_cvt_pk_f32_fp8_sdwa v[62:63], v21 src0_sel:WORD_1
	v_or_b32_e32 v21, 64, v45
	v_or_b32_e32 v34, 0x80, v45
	;; [unrolled: 1-line block ×3, first 2 shown]
	v_cmp_gt_i32_e32 vcc, s29, v21
	v_add_u32_e32 v21, s13, v21
	v_cmp_gt_i32_e64 s[4:5], s29, v34
	v_add_u32_e32 v34, s13, v34
	v_cmp_gt_i32_e64 s[6:7], s29, v35
	v_add_u32_e32 v35, s13, v35
	v_cvt_pk_f32_fp8_e32 v[38:39], v24
	v_cvt_pk_f32_fp8_sdwa v[40:41], v24 src0_sel:WORD_1
	v_cvt_pk_f32_fp8_e32 v[46:47], v25
	v_ashrrev_i32_e32 v21, 5, v21
	v_ashrrev_i32_e32 v34, 5, v34
	;; [unrolled: 1-line block ×3, first 2 shown]
	v_perm_b32 v32, v33, v32, s33
	v_perm_b32 v33, v23, v22, s33
	;; [unrolled: 1-line block ×4, first 2 shown]
	v_cvt_pk_f32_fp8_sdwa v[24:25], v25 src0_sel:WORD_1
	v_cndmask_b32_e32 v36, v20, v21, vcc
	v_cndmask_b32_e64 v64, v20, v34, s[4:5]
	v_cndmask_b32_e64 v66, v20, v35, s[6:7]
	s_waitcnt lgkmcnt(1)
	v_mfma_f32_16x16x16_bf16 v[18:21], v[18:19], v[10:11], 0
	v_perm_b32 v38, v39, v38, s33
	v_perm_b32 v39, v41, v40, s33
	;; [unrolled: 1-line block ×5, first 2 shown]
	s_load_dword s14, s[0:1], 0x1c
	s_load_dwordx4 s[40:43], s[0:1], 0x80
	v_perm_b32 v69, v25, v24, s33
	v_mfma_f32_16x16x16_bf16 v[22:25], v[22:23], v[10:11], 0
	s_add_u32 s10, s10, s12
	v_and_b32_e32 v30, 16, v0
	v_lshlrev_b32_e32 v27, 5, v28
	v_mfma_f32_16x16x16_bf16 v[32:35], v[32:33], v[12:13], v[18:21]
	s_addc_u32 s11, s11, 0
	v_lshl_add_u64 v[40:41], s[10:11], 0, v[30:31]
	v_lshl_or_b32 v30, v29, 9, v27
	v_ashrrev_i32_e32 v37, 31, v36
	v_ashrrev_i32_e32 v65, 31, v64
	;; [unrolled: 1-line block ×3, first 2 shown]
	v_perm_b32 v48, v57, v56, s33
	v_perm_b32 v49, v59, v58, s33
	v_mfma_f32_16x16x16_bf16 v[20:23], v[46:47], v[12:13], v[22:25]
	v_lshl_add_u64 v[18:19], v[40:41], 0, v[30:31]
	s_waitcnt lgkmcnt(0)
	s_load_dword s6, s[40:41], 0x0
	v_perm_b32 v50, v61, v60, s33
	v_mfma_f32_16x16x16_bf16 v[30:33], v[38:39], v[2:3], v[32:35]
	v_lshl_add_u64 v[24:25], v[36:37], 2, s[8:9]
	v_lshl_add_u64 v[36:37], v[66:67], 2, s[8:9]
	v_perm_b32 v51, v63, v62, s33
	v_lshl_add_u64 v[34:35], v[64:65], 2, s[8:9]
	global_load_dword v47, v[24:25], off
	global_load_dword v45, v[34:35], off
	;; [unrolled: 1-line block ×3, first 2 shown]
	s_waitcnt vmcnt(5)
	v_cvt_pk_f32_fp8_e32 v[34:35], v14
	v_cvt_pk_f32_fp8_sdwa v[36:37], v14 src0_sel:WORD_1
	v_mfma_f32_16x16x16_bf16 v[20:23], v[48:49], v[2:3], v[20:23]
	v_cvt_pk_f32_fp8_e32 v[38:39], v15
	v_perm_b32 v34, v35, v34, s33
	v_perm_b32 v35, v37, v36, s33
	v_cvt_pk_f32_fp8_sdwa v[14:15], v15 src0_sel:WORD_1
	v_mov_b32_e32 v40, s14
	s_waitcnt lgkmcnt(0)
	v_mul_f32_e32 v48, s6, v40
	v_mfma_f32_16x16x16_bf16 v[20:23], v[50:51], v[4:5], v[20:23]
	v_perm_b32 v38, v39, v38, s33
	v_cvt_pk_f32_fp8_e32 v[40:41], v16
	v_cvt_pk_f32_fp8_sdwa v[50:51], v16 src0_sel:WORD_1
	v_perm_b32 v39, v15, v14, s33
	v_mfma_f32_16x16x16_bf16 v[34:37], v[34:35], v[10:11], 0
	v_perm_b32 v40, v41, v40, s33
	v_perm_b32 v41, v51, v50, s33
	v_cvt_pk_f32_fp8_e32 v[50:51], v17
	v_cvt_pk_f32_fp8_sdwa v[52:53], v17 src0_sel:WORD_1
	v_mfma_f32_16x16x16_bf16 v[30:33], v[68:69], v[4:5], v[30:33]
	s_mov_b32 s44, 0xff7fffff
	s_waitcnt vmcnt(3)
	v_mad_i64_i32 v[24:25], s[4:5], v70, s45, v[18:19]
	v_mfma_f32_16x16x16_bf16 v[14:17], v[38:39], v[12:13], v[34:37]
	s_nop 2
	v_perm_b32 v34, v51, v50, s33
	v_perm_b32 v35, v53, v52, s33
	v_mfma_f32_16x16x16_bf16 v[14:17], v[40:41], v[2:3], v[14:17]
	v_pk_mul_f32 v[38:39], v[48:49], v[30:31] op_sel_hi:[0,1]
	v_cvt_pk_f32_fp8_e32 v[30:31], v6
	v_cvt_pk_f32_fp8_sdwa v[36:37], v6 src0_sel:WORD_1
	v_mfma_f32_16x16x16_bf16 v[14:17], v[34:35], v[4:5], v[14:17]
	v_cvt_pk_f32_fp8_e32 v[34:35], v7
	v_perm_b32 v30, v31, v30, s33
	v_perm_b32 v31, v37, v36, s33
	v_cvt_pk_f32_fp8_sdwa v[6:7], v7 src0_sel:WORD_1
	v_perm_b32 v40, v35, v34, s33
	v_cvt_pk_f32_fp8_e32 v[50:51], v8
	v_cvt_pk_f32_fp8_sdwa v[52:53], v8 src0_sel:WORD_1
	v_perm_b32 v41, v7, v6, s33
	v_mfma_f32_16x16x16_bf16 v[34:37], v[30:31], v[10:11], 0
	v_perm_b32 v10, v51, v50, s33
	v_perm_b32 v11, v53, v52, s33
	v_cvt_pk_f32_fp8_e32 v[30:31], v9
	v_cvt_pk_f32_fp8_sdwa v[50:51], v9 src0_sel:WORD_1
	v_mfma_f32_16x16x16_bf16 v[6:9], v[40:41], v[12:13], v[34:37]
	v_pk_mul_f32 v[40:41], v[48:49], v[20:21] op_sel_hi:[0,1]
	v_perm_b32 v12, v31, v30, s33
	v_perm_b32 v13, v51, v50, s33
	v_mfma_f32_16x16x16_bf16 v[6:9], v[10:11], v[2:3], v[6:9]
	v_pk_mul_f32 v[36:37], v[48:49], v[22:23] op_sel_hi:[0,1]
	v_pk_mul_f32 v[32:33], v[48:49], v[32:33] op_sel_hi:[0,1]
	;; [unrolled: 1-line block ×3, first 2 shown]
	v_mfma_f32_16x16x16_bf16 v[2:5], v[12:13], v[4:5], v[6:9]
	v_pk_mul_f32 v[34:35], v[48:49], v[14:15] op_sel_hi:[0,1]
	s_nop 5
	v_pk_mul_f32 v[22:23], v[48:49], v[2:3] op_sel_hi:[0,1]
	v_and_b32_e32 v2, 0xc0, v0
	v_add_u32_e32 v2, s16, v2
	v_lshl_or_b32 v2, v42, 2, v2
	v_or_b32_e32 v3, 1, v2
	v_pk_mul_f32 v[20:21], v[48:49], v[4:5] op_sel_hi:[0,1]
	v_subrev_u32_e32 v4, s29, v3
	v_add_u32_e32 v6, 1, v4
	v_add_u32_e32 v7, 2, v4
	;; [unrolled: 1-line block ×3, first 2 shown]
	v_cvt_f32_i32_e32 v6, v6
	v_cvt_f32_i32_e32 v7, v7
	;; [unrolled: 1-line block ×3, first 2 shown]
	v_add_u32_e32 v9, 19, v4
	v_fmac_f32_e32 v39, v44, v6
	v_fma_f32 v32, v44, v7, v32
	v_fmac_f32_e32 v33, v44, v8
	v_add_u32_e32 v6, 16, v4
	v_add_u32_e32 v7, 17, v4
	;; [unrolled: 1-line block ×3, first 2 shown]
	v_cvt_f32_i32_e32 v6, v6
	v_cvt_f32_i32_e32 v7, v7
	;; [unrolled: 1-line block ×4, first 2 shown]
	v_fma_f32 v40, v44, v6, v40
	v_fmac_f32_e32 v41, v44, v7
	v_fma_f32 v36, v44, v8, v36
	v_add_u32_e32 v6, 32, v4
	v_add_u32_e32 v7, 33, v4
	;; [unrolled: 1-line block ×3, first 2 shown]
	v_cvt_f32_i32_e32 v6, v6
	v_cvt_f32_i32_e32 v7, v7
	;; [unrolled: 1-line block ×4, first 2 shown]
	v_fmac_f32_e32 v37, v44, v9
	v_add_u32_e32 v9, 35, v4
	v_fma_f32 v48, v44, v6, v34
	v_fmac_f32_e32 v35, v44, v7
	v_fma_f32 v30, v44, v8, v30
	v_add_u32_e32 v6, 48, v4
	v_add_u32_e32 v7, 49, v4
	;; [unrolled: 1-line block ×4, first 2 shown]
	v_cvt_f32_i32_e32 v4, v4
	v_cvt_f32_i32_e32 v6, v6
	;; [unrolled: 1-line block ×3, first 2 shown]
	v_fma_f32 v5, v44, v5, v38
	v_fmac_f32_e32 v21, v44, v4
	v_mov_b32_e32 v4, 0xff7fffff
	v_cmp_gt_i32_e64 s[4:5], s29, v2
	v_cmp_gt_i32_e64 s[34:35], s29, v3
	v_fma_f32 v22, v44, v6, v22
	v_cndmask_b32_e64 v6, v4, v5, s[4:5]
	v_cndmask_b32_e64 v3, v4, v39, s[34:35]
	v_fmac_f32_e32 v23, v44, v7
	v_max3_f32 v3, v6, s44, v3
	v_or_b32_e32 v6, 2, v2
	v_or_b32_e32 v7, 3, v2
	v_cmp_gt_i32_e64 s[36:37], s29, v6
	v_cmp_gt_i32_e64 s[38:39], s29, v7
	v_cvt_f32_i32_e32 v9, v9
	v_cndmask_b32_e64 v6, v4, v32, s[36:37]
	v_cndmask_b32_e64 v7, v4, v33, s[38:39]
	v_max3_f32 v3, v3, v6, v7
	v_or_b32_e32 v6, 16, v2
	v_or_b32_e32 v7, 17, v2
	v_cmp_gt_i32_e64 s[24:25], s29, v6
	v_cmp_gt_i32_e64 s[26:27], s29, v7
	v_fmac_f32_e32 v31, v44, v9
	v_cndmask_b32_e64 v6, v4, v40, s[24:25]
	v_cndmask_b32_e64 v7, v4, v41, s[26:27]
	v_max3_f32 v3, v3, v6, v7
	v_or_b32_e32 v6, 18, v2
	v_or_b32_e32 v7, 19, v2
	v_cmp_gt_i32_e64 s[20:21], s29, v6
	v_cmp_gt_i32_e64 s[22:23], s29, v7
	v_cvt_f32_i32_e32 v8, v8
	v_cndmask_b32_e64 v6, v4, v36, s[20:21]
	v_cndmask_b32_e64 v7, v4, v37, s[22:23]
	v_max3_f32 v3, v3, v6, v7
	v_or_b32_e32 v6, 32, v2
	v_or_b32_e32 v7, 33, v2
	v_cmp_gt_i32_e64 s[16:17], s29, v6
	v_cmp_gt_i32_e64 s[18:19], s29, v7
	v_fma_f32 v20, v44, v8, v20
	v_cndmask_b32_e64 v6, v4, v48, s[16:17]
	v_cndmask_b32_e64 v7, v4, v35, s[18:19]
	v_max3_f32 v3, v3, v6, v7
	v_or_b32_e32 v6, 34, v2
	v_or_b32_e32 v7, 35, v2
	v_cmp_gt_i32_e64 s[12:13], s29, v6
	v_cmp_gt_i32_e64 s[14:15], s29, v7
	s_nop 0
	v_cndmask_b32_e64 v6, v4, v30, s[12:13]
	v_cndmask_b32_e64 v7, v4, v31, s[14:15]
	v_max3_f32 v3, v3, v6, v7
	v_or_b32_e32 v6, 48, v2
	v_or_b32_e32 v7, 49, v2
	v_cmp_gt_i32_e64 s[8:9], s29, v6
	v_cmp_gt_i32_e64 s[10:11], s29, v7
	s_nop 0
	v_cndmask_b32_e64 v6, v4, v22, s[8:9]
	v_cndmask_b32_e64 v7, v4, v23, s[10:11]
	v_max3_f32 v3, v3, v6, v7
	v_or_b32_e32 v6, 50, v2
	v_or_b32_e32 v2, 51, v2
	v_cmp_gt_i32_e32 vcc, s29, v6
	v_cmp_gt_i32_e64 s[6:7], s29, v2
	s_nop 0
	v_cndmask_b32_e32 v6, v4, v20, vcc
	v_cndmask_b32_e64 v2, v4, v21, s[6:7]
	v_max3_f32 v4, v3, v6, v2
	v_mbcnt_lo_u32_b32 v2, -1, 0
	v_mbcnt_hi_u32_b32 v6, -1, v2
	v_and_b32_e32 v2, 64, v6
	v_add_u32_e32 v7, 64, v2
	v_xor_b32_e32 v2, 32, v6
	v_cmp_lt_i32_e64 s[40:41], v2, v7
	s_nop 1
	v_cndmask_b32_e64 v2, v6, v2, s[40:41]
	v_lshlrev_b32_e32 v44, 2, v2
	ds_bpermute_b32 v8, v44, v4
	s_waitcnt vmcnt(2)
	v_mad_i64_i32 v[2:3], s[40:41], v47, s45, v[18:19]
	global_load_dwordx4 v[14:17], v[24:25], off
	global_load_dwordx4 v[10:13], v[2:3], off
	v_xor_b32_e32 v3, 16, v6
	v_cmp_lt_i32_e64 s[40:41], v3, v7
	s_waitcnt lgkmcnt(0)
	v_max_f32_e32 v2, v8, v8
	v_max_f32_e32 v2, v4, v2
	v_cndmask_b32_e64 v3, v6, v3, s[40:41]
	v_lshlrev_b32_e32 v47, 2, v3
	ds_bpermute_b32 v3, v47, v2
	s_waitcnt vmcnt(3)
	v_mad_i64_i32 v[24:25], s[40:41], v45, s45, v[18:19]
	s_waitcnt vmcnt(2)
	v_mad_i64_i32 v[18:19], s[40:41], v46, s45, v[18:19]
	s_waitcnt lgkmcnt(0)
	v_max_f32_e32 v3, v3, v3
	v_max_f32_e32 v34, v2, v3
	v_sub_f32_e32 v2, v5, v34
	v_mul_f32_e32 v2, 0x3fb8aa3b, v2
	v_exp_f32_e32 v38, v2
	v_sub_f32_e32 v2, v39, v34
	v_mul_f32_e32 v2, 0x3fb8aa3b, v2
	v_exp_f32_e32 v39, v2
	global_load_dwordx4 v[6:9], v[24:25], off
	global_load_dwordx4 v[2:5], v[18:19], off
	v_sub_f32_e32 v25, v32, v34
	v_sub_f32_e32 v32, v33, v34
	v_mul_f32_e32 v25, 0x3fb8aa3b, v25
	v_mul_f32_e32 v32, 0x3fb8aa3b, v32
	v_exp_f32_e32 v25, v25
	v_exp_f32_e32 v32, v32
	v_cndmask_b32_e64 v18, 0, v38, s[4:5]
	v_cndmask_b32_e64 v19, 0, v39, s[34:35]
	;; [unrolled: 1-line block ×4, first 2 shown]
	v_sub_f32_e32 v25, v40, v34
	v_sub_f32_e32 v32, v41, v34
	v_mul_f32_e32 v25, 0x3fb8aa3b, v25
	v_mul_f32_e32 v32, 0x3fb8aa3b, v32
	v_exp_f32_e32 v25, v25
	v_exp_f32_e32 v32, v32
	v_add_f32_e32 v24, 0, v18
	v_add_f32_e32 v24, v24, v19
	;; [unrolled: 1-line block ×4, first 2 shown]
	v_cndmask_b32_e64 v24, 0, v25, s[24:25]
	v_cndmask_b32_e64 v25, 0, v32, s[26:27]
	v_sub_f32_e32 v32, v36, v34
	v_mul_f32_e32 v32, 0x3fb8aa3b, v32
	v_exp_f32_e32 v32, v32
	v_sub_f32_e32 v36, v37, v34
	v_add_f32_e32 v33, v33, v24
	v_mul_f32_e32 v36, 0x3fb8aa3b, v36
	v_exp_f32_e32 v37, v36
	v_add_f32_e32 v33, v33, v25
	v_cndmask_b32_e64 v36, 0, v32, s[20:21]
	v_add_f32_e32 v32, v33, v36
	v_sub_f32_e32 v33, v48, v34
	v_mul_f32_e32 v33, 0x3fb8aa3b, v33
	v_sub_f32_e32 v35, v35, v34
	v_exp_f32_e32 v33, v33
	v_mul_f32_e32 v35, 0x3fb8aa3b, v35
	v_sub_f32_e32 v30, v30, v34
	v_exp_f32_e32 v35, v35
	;; [unrolled: 3-line block ×3, first 2 shown]
	v_mul_f32_e32 v31, 0x3fb8aa3b, v31
	v_sub_f32_e32 v22, v22, v34
	v_cndmask_b32_e64 v37, 0, v37, s[22:23]
	v_exp_f32_e32 v31, v31
	v_mul_f32_e32 v22, 0x3fb8aa3b, v22
	v_sub_f32_e32 v23, v23, v34
	v_add_f32_e32 v40, v32, v37
	v_cndmask_b32_e64 v32, 0, v33, s[16:17]
	v_exp_f32_e32 v22, v22
	v_mul_f32_e32 v23, 0x3fb8aa3b, v23
	v_sub_f32_e32 v20, v20, v34
	v_add_f32_e32 v40, v40, v32
	;; [unrolled: 5-line block ×3, first 2 shown]
	v_cndmask_b32_e64 v30, 0, v30, s[12:13]
	v_exp_f32_e32 v20, v20
	v_mul_f32_e32 v21, 0x3fb8aa3b, v21
	v_add_f32_e32 v35, v35, v30
	v_cndmask_b32_e64 v31, 0, v31, s[14:15]
	v_exp_f32_e32 v21, v21
	v_add_f32_e32 v35, v35, v31
	v_cndmask_b32_e64 v22, 0, v22, s[8:9]
	v_add_f32_e32 v35, v35, v22
	v_cndmask_b32_e64 v23, 0, v23, s[10:11]
	v_add_f32_e32 v35, v35, v23
	v_cndmask_b32_e32 v20, 0, v20, vcc
	v_add_f32_e32 v35, v35, v20
	v_cndmask_b32_e64 v21, 0, v21, s[6:7]
	v_add_f32_e32 v35, v35, v21
	ds_bpermute_b32 v40, v44, v35
	s_load_dword s7, s[0:1], 0x98
	v_cmp_gt_u32_e32 vcc, 16, v43
	s_waitcnt lgkmcnt(0)
	s_barrier
	v_add_f32_e32 v40, v35, v40
	ds_bpermute_b32 v41, v47, v40
	v_lshlrev_b32_e32 v35, 2, v28
	s_waitcnt lgkmcnt(0)
	s_and_saveexec_b64 s[4:5], vcc
	s_cbranch_execz .LBB1217_15
; %bb.14:
	v_add_f32_e32 v40, v40, v41
	v_lshl_or_b32 v41, v29, 6, v35
	ds_write2st64_b32 v41, v34, v40 offset1:1
.LBB1217_15:
	s_or_b64 exec, exec, s[4:5]
	s_load_dword s6, s[0:1], 0x94
	s_waitcnt lgkmcnt(0)
	s_barrier
	ds_read2_b32 v[40:41], v35 offset1:16
	ds_read2_b32 v[44:45], v35 offset0:32 offset1:48
	ds_read2_b32 v[46:47], v35 offset0:64 offset1:80
	s_movk_i32 s8, 0x7fff
	s_mul_i32 s7, s7, 10
	s_waitcnt lgkmcnt(2)
	v_max3_f32 v34, v40, s44, v41
	s_waitcnt lgkmcnt(1)
	v_max3_f32 v34, v34, v44, v45
	v_sub_f32_e32 v40, v40, v34
	v_mul_f32_e32 v40, 0x3fb8aa3b, v40
	v_exp_f32_e32 v43, v40
	v_sub_f32_e32 v40, v41, v34
	v_mul_f32_e32 v40, 0x3fb8aa3b, v40
	v_exp_f32_e32 v48, v40
	;; [unrolled: 3-line block ×3, first 2 shown]
	ds_read2_b32 v[40:41], v35 offset0:96 offset1:112
	v_sub_f32_e32 v35, v45, v34
	v_mul_f32_e32 v35, 0x3fb8aa3b, v35
	v_exp_f32_e32 v45, v35
	s_waitcnt lgkmcnt(1)
	v_fma_f32 v35, v43, v46, 0
	v_fmac_f32_e32 v35, v48, v47
	s_waitcnt lgkmcnt(0)
	v_fmac_f32_e32 v35, v44, v40
	v_fmac_f32_e32 v35, v45, v41
	v_add_f32_e32 v40, 0x358637bd, v35
	v_div_scale_f32 v41, s[4:5], v40, v40, 1.0
	v_rcp_f32_e32 v46, v41
	s_barrier
	v_fma_f32 v47, -v41, v46, 1.0
	v_fmac_f32_e32 v46, v47, v46
	v_div_scale_f32 v47, vcc, 1.0, v40, 1.0
	v_mul_f32_e32 v49, v47, v46
	v_fma_f32 v50, -v41, v49, v47
	v_fmac_f32_e32 v49, v50, v46
	v_fma_f32 v41, -v41, v49, v47
	v_div_fmas_f32 v41, v41, v46, v49
	v_cmp_eq_u32_e32 vcc, 1, v29
	v_div_fixup_f32 v40, v41, v40, 1.0
	s_nop 0
	v_cndmask_b32_e32 v41, v43, v48, vcc
	v_cmp_eq_u32_e32 vcc, 2, v29
	s_nop 1
	v_cndmask_b32_e32 v41, v41, v44, vcc
	v_cmp_eq_u32_e32 vcc, 3, v29
	s_nop 1
	v_cndmask_b32_e32 v41, v41, v45, vcc
	v_mul_f32_e32 v40, v41, v40
	v_pk_mul_f32 v[18:19], v[40:41], v[18:19] op_sel_hi:[0,1]
	v_pk_mul_f32 v[38:39], v[40:41], v[38:39] op_sel_hi:[0,1]
	v_bfe_u32 v41, v19, 16, 1
	v_bfe_u32 v43, v18, 16, 1
	v_add3_u32 v18, v18, v43, s8
	v_add3_u32 v19, v19, v41, s8
	v_perm_b32 v44, v19, v18, s33
	v_bfe_u32 v18, v39, 16, 1
	v_bfe_u32 v19, v38, 16, 1
	v_add3_u32 v19, v38, v19, s8
	v_add3_u32 v18, v39, v18, s8
	v_perm_b32 v45, v18, v19, s33
	v_lshlrev_b32_e32 v18, 3, v42
	v_lshlrev_b32_e32 v19, 11, v29
	v_pk_mul_f32 v[24:25], v[40:41], v[24:25] op_sel_hi:[0,1]
	v_or3_b32 v18, v19, v27, v18
	v_bfe_u32 v19, v25, 16, 1
	v_bfe_u32 v29, v24, 16, 1
	v_pk_mul_f32 v[36:37], v[40:41], v[36:37] op_sel_hi:[0,1]
	v_add3_u32 v24, v24, v29, s8
	v_add3_u32 v19, v25, v19, s8
	v_perm_b32 v24, v19, v24, s33
	v_bfe_u32 v19, v37, 16, 1
	v_bfe_u32 v25, v36, 16, 1
	v_add3_u32 v25, v36, v25, s8
	v_add3_u32 v19, v37, v19, s8
	v_perm_b32 v25, v19, v25, s33
	ds_write2st64_b64 v18, v[44:45], v[24:25] offset1:1
	v_pk_mul_f32 v[24:25], v[40:41], v[30:31] op_sel_hi:[0,1]
	v_pk_mul_f32 v[30:31], v[40:41], v[32:33] op_sel_hi:[0,1]
	v_bfe_u32 v19, v31, 16, 1
	v_bfe_u32 v29, v30, 16, 1
	v_add3_u32 v29, v30, v29, s8
	v_add3_u32 v19, v31, v19, s8
	v_perm_b32 v30, v19, v29, s33
	v_bfe_u32 v19, v25, 16, 1
	v_bfe_u32 v29, v24, 16, 1
	v_add3_u32 v24, v24, v29, s8
	v_add3_u32 v19, v25, v19, s8
	v_pk_mul_f32 v[22:23], v[40:41], v[22:23] op_sel_hi:[0,1]
	v_perm_b32 v31, v19, v24, s33
	v_bfe_u32 v19, v23, 16, 1
	v_bfe_u32 v24, v22, 16, 1
	v_pk_mul_f32 v[20:21], v[40:41], v[20:21] op_sel_hi:[0,1]
	v_add3_u32 v22, v22, v24, s8
	v_add3_u32 v19, v23, v19, s8
	v_perm_b32 v22, v19, v22, s33
	v_bfe_u32 v19, v21, 16, 1
	v_bfe_u32 v23, v20, 16, 1
	v_add3_u32 v20, v20, v23, s8
	v_add3_u32 v19, v21, v19, s8
	v_perm_b32 v23, v19, v20, s33
	v_cmp_gt_u32_e32 vcc, 10, v0
	ds_write2st64_b64 v18, v[30:31], v[22:23] offset0:2 offset1:3
	s_and_saveexec_b64 s[4:5], vcc
	s_cbranch_execz .LBB1217_17
; %bb.16:
	s_mov_b32 s49, 0
	v_mov_b32_e32 v29, 0
	v_lshl_add_u64 v[20:21], s[48:49], 0, v[28:29]
	v_mov_b32_e32 v19, s7
	v_mad_u64_u32 v[20:21], s[10:11], s2, v19, v[20:21]
	s_mul_i32 s3, s3, s7
	v_mov_b32_e32 v28, s28
	s_load_dwordx4 s[12:15], s[0:1], 0x58
	v_add_u32_e32 v19, s3, v21
	v_mad_u64_u32 v[20:21], s[10:11], v20, s6, v[28:29]
	v_mov_b32_e32 v22, v21
	v_mad_u64_u32 v[22:23], s[10:11], v19, s6, v[22:23]
	v_mov_b32_e32 v21, v22
	v_lshlrev_b64 v[20:21], 2, v[20:21]
	s_waitcnt lgkmcnt(0)
	v_lshl_add_u64 v[22:23], s[14:15], 0, v[20:21]
	v_lshl_add_u64 v[20:21], s[12:13], 0, v[20:21]
	global_store_dword v[22:23], v34, off
	global_store_dword v[20:21], v35, off
.LBB1217_17:
	s_or_b64 exec, exec, s[4:5]
	s_waitcnt vmcnt(3)
	v_cvt_pk_f32_fp8_e32 v[20:21], v14
	v_cvt_pk_f32_fp8_sdwa v[22:23], v14 src0_sel:WORD_1
	s_mov_b32 s4, 0x7060302
	v_lshl_or_b32 v14, v42, 9, v27
	s_waitcnt lgkmcnt(0)
	s_barrier
	v_perm_b32 v24, v21, v20, s4
	v_perm_b32 v25, v23, v22, s4
	v_cvt_pk_f32_fp8_e32 v[28:29], v15
	ds_read_b128 v[20:23], v14
	v_cvt_pk_f32_fp8_sdwa v[36:37], v15 src0_sel:WORD_1
	s_load_dword s10, s[42:43], 0x0
	v_perm_b32 v38, v29, v28, s4
	ds_read_b128 v[28:31], v14 offset:16
	v_perm_b32 v39, v37, v36, s4
	s_waitcnt lgkmcnt(0)
	v_mfma_f32_16x16x16_bf16 v[32:35], v[24:25], v[20:21], 0
	v_cvt_pk_f32_fp8_e32 v[24:25], v16
	v_cvt_pk_f32_fp8_sdwa v[36:37], v16 src0_sel:WORD_1
	v_cmp_gt_u32_e32 vcc, 64, v0
	v_mfma_f32_16x16x16_bf16 v[20:23], v[38:39], v[22:23], v[32:35]
	v_perm_b32 v24, v25, v24, s4
	v_perm_b32 v25, v37, v36, s4
	s_mov_b32 s3, 0
	v_cvt_pk_f32_fp8_e32 v[32:33], v17
	v_cvt_pk_f32_fp8_sdwa v[16:17], v17 src0_sel:WORD_1
	s_waitcnt vmcnt(2)
	v_cvt_pk_f32_fp8_sdwa v[34:35], v10 src0_sel:WORD_1
	v_mfma_f32_16x16x16_bf16 v[20:23], v[24:25], v[28:29], v[20:23]
	v_perm_b32 v36, v33, v32, s4
	v_cvt_pk_f32_fp8_e32 v[32:33], v10
	v_perm_b32 v37, v17, v16, s4
	v_perm_b32 v17, v35, v34, s4
	v_cvt_pk_f32_fp8_e32 v[24:25], v11
	v_perm_b32 v16, v33, v32, s4
	ds_read_b128 v[32:35], v14 offset:2048
	v_cvt_pk_f32_fp8_sdwa v[10:11], v11 src0_sel:WORD_1
	v_mfma_f32_16x16x16_bf16 v[20:23], v[36:37], v[30:31], v[20:23]
	ds_read_b128 v[28:31], v14 offset:2064
	v_perm_b32 v24, v25, v24, s4
	v_perm_b32 v25, v11, v10, s4
	s_waitcnt lgkmcnt(1)
	v_mfma_f32_16x16x16_bf16 v[20:23], v[16:17], v[32:33], v[20:23]
	v_cvt_pk_f32_fp8_e32 v[10:11], v12
	v_cvt_pk_f32_fp8_sdwa v[16:17], v12 src0_sel:WORD_1
	s_waitcnt vmcnt(1)
	v_cvt_pk_f32_fp8_sdwa v[32:33], v6 src0_sel:WORD_1
	v_mfma_f32_16x16x16_bf16 v[20:23], v[24:25], v[34:35], v[20:23]
	v_cvt_pk_f32_fp8_e32 v[24:25], v13
	v_perm_b32 v10, v11, v10, s4
	v_perm_b32 v11, v17, v16, s4
	v_cvt_pk_f32_fp8_sdwa v[12:13], v13 src0_sel:WORD_1
	v_perm_b32 v16, v25, v24, s4
	v_cvt_pk_f32_fp8_e32 v[24:25], v6
	v_mov_b32_e32 v27, 0
	v_perm_b32 v17, v13, v12, s4
	s_waitcnt lgkmcnt(0)
	v_mfma_f32_16x16x16_bf16 v[10:13], v[10:11], v[28:29], v[20:23]
	v_perm_b32 v24, v25, v24, s4
	v_perm_b32 v25, v33, v32, s4
	v_cvt_pk_f32_fp8_e32 v[28:29], v7
	ds_read_b128 v[20:23], v14 offset:4096
	v_cvt_pk_f32_fp8_sdwa v[6:7], v7 src0_sel:WORD_1
	v_mfma_f32_16x16x16_bf16 v[10:13], v[16:17], v[30:31], v[10:13]
	v_perm_b32 v16, v29, v28, s4
	ds_read_b128 v[28:31], v14 offset:4112
	v_perm_b32 v17, v7, v6, s4
	s_waitcnt lgkmcnt(1)
	v_mfma_f32_16x16x16_bf16 v[10:13], v[24:25], v[20:21], v[10:13]
	v_cvt_pk_f32_fp8_e32 v[6:7], v8
	v_cvt_pk_f32_fp8_sdwa v[20:21], v8 src0_sel:WORD_1
	v_perm_b32 v6, v7, v6, s4
	v_mfma_f32_16x16x16_bf16 v[10:13], v[16:17], v[22:23], v[10:13]
	v_cvt_pk_f32_fp8_e32 v[16:17], v9
	v_perm_b32 v7, v21, v20, s4
	v_cvt_pk_f32_fp8_sdwa v[8:9], v9 src0_sel:WORD_1
	s_waitcnt vmcnt(0)
	v_cvt_pk_f32_fp8_e32 v[20:21], v2
	v_perm_b32 v16, v17, v16, s4
	v_cvt_pk_f32_fp8_sdwa v[22:23], v2 src0_sel:WORD_1
	v_perm_b32 v17, v9, v8, s4
	s_waitcnt lgkmcnt(0)
	v_mfma_f32_16x16x16_bf16 v[6:9], v[6:7], v[28:29], v[10:13]
	v_perm_b32 v20, v21, v20, s4
	v_perm_b32 v21, v23, v22, s4
	v_cvt_pk_f32_fp8_e32 v[22:23], v3
	ds_read_b128 v[10:13], v14 offset:6144
	v_cvt_pk_f32_fp8_sdwa v[2:3], v3 src0_sel:WORD_1
	v_mfma_f32_16x16x16_bf16 v[6:9], v[16:17], v[30:31], v[6:9]
	v_perm_b32 v22, v23, v22, s4
	ds_read_b128 v[14:17], v14 offset:6160
	v_perm_b32 v23, v3, v2, s4
	s_waitcnt lgkmcnt(1)
	v_mfma_f32_16x16x16_bf16 v[6:9], v[20:21], v[10:11], v[6:9]
	v_cvt_pk_f32_fp8_e32 v[2:3], v4
	v_cvt_pk_f32_fp8_sdwa v[10:11], v4 src0_sel:WORD_1
	s_waitcnt lgkmcnt(0)
	v_mfma_f32_16x16x16_bf16 v[6:9], v[22:23], v[12:13], v[6:9]
	v_perm_b32 v2, v3, v2, s4
	v_perm_b32 v3, v11, v10, s4
	v_cvt_pk_f32_fp8_e32 v[10:11], v5
	v_cvt_pk_f32_fp8_sdwa v[4:5], v5 src0_sel:WORD_1
	s_barrier
	v_perm_b32 v10, v11, v10, s4
	v_perm_b32 v11, v5, v4, s4
	v_mfma_f32_16x16x16_bf16 v[2:5], v[2:3], v[14:15], v[6:9]
	s_nop 0
	v_mfma_f32_16x16x16_bf16 v[2:5], v[10:11], v[16:17], v[2:5]
	s_nop 6
	v_pk_mul_f32 v[2:3], v[2:3], s[10:11] op_sel_hi:[1,0]
	v_pk_mul_f32 v[4:5], v[4:5], s[10:11] op_sel_hi:[1,0]
	v_bfe_u32 v6, v3, 16, 1
	v_bfe_u32 v7, v2, 16, 1
	v_add3_u32 v2, v2, v7, s8
	v_add3_u32 v3, v3, v6, s8
	v_perm_b32 v2, v3, v2, s4
	v_bfe_u32 v3, v5, 16, 1
	v_bfe_u32 v6, v4, 16, 1
	v_add3_u32 v4, v4, v6, s8
	v_add3_u32 v3, v5, v3, s8
	v_perm_b32 v3, v3, v4, s4
	s_and_b64 s[4:5], vcc, s[30:31]
	ds_write_b64 v18, v[2:3]
	s_waitcnt lgkmcnt(0)
	s_barrier
	s_and_saveexec_b64 s[8:9], s[4:5]
	s_cbranch_execz .LBB1217_20
; %bb.18:
	s_load_dwordx2 s[4:5], s[0:1], 0x68
	s_lshl_b32 s0, s6, 6
	s_mul_i32 s1, s7, s2
	s_mul_hi_u32 s7, s1, s0
	s_mul_i32 s6, s1, s0
	v_lshlrev_b32_e32 v0, 10, v0
	s_lshl_b64 s[6:7], s[6:7], 1
	v_and_b32_e32 v0, 0x1800, v0
	v_lshlrev_b32_e32 v2, 5, v42
	v_and_b32_e32 v1, 16, v1
	s_waitcnt lgkmcnt(0)
	s_add_u32 s1, s4, s6
	v_or3_b32 v2, v0, v2, v1
	s_addc_u32 s4, s5, s7
	s_lshl_b32 s2, s28, 6
	s_lshl_b64 s[2:3], s[2:3], 1
	ds_read_b128 v[4:7], v2 offset:128
	ds_read_b128 v[8:11], v2
	s_add_u32 s2, s1, s2
	s_addc_u32 s3, s4, s3
	v_add_u32_e32 v14, s48, v42
	v_lshl_add_u64 v[0:1], s[2:3], 0, v[26:27]
	v_mad_u64_u32 v[12:13], s[2:3], v14, s0, 0
	v_lshl_add_u64 v[12:13], v[12:13], 1, v[0:1]
	s_waitcnt lgkmcnt(0)
	global_store_dwordx4 v[12:13], v[8:11], off
	v_or_b32_e32 v3, 8, v42
	v_cmp_gt_u32_e32 vcc, 10, v3
	v_add_u32_e32 v8, 4, v14
	v_mad_u64_u32 v[8:9], s[2:3], v8, s0, 0
	v_lshl_add_u64 v[8:9], v[8:9], 1, v[0:1]
	global_store_dwordx4 v[8:9], v[4:7], off
	s_and_b64 exec, exec, vcc
	s_cbranch_execz .LBB1217_20
; %bb.19:
	ds_read_b128 v[4:7], v2 offset:256
	v_add_u32_e32 v2, s48, v3
	v_mad_u64_u32 v[2:3], s[0:1], v2, s0, 0
	v_lshl_add_u64 v[0:1], v[2:3], 1, v[0:1]
	s_waitcnt lgkmcnt(0)
	global_store_dwordx4 v[0:1], v[4:7], off
.LBB1217_20:
	s_endpgm
	.section	.rodata,"a",@progbits
	.p2align	6, 0x0
	.amdhsa_kernel _Z39paged_attention_ll4mi_QKV_mfma16_kernelI14__hip_bfloat16hLN4vllm18Fp8KVCacheDataTypeE1ES0_Li32ELi64ELi256ELb1ELi10EEvPKT_PKT0_S8_ifPKiSA_SA_iPKfiiiPfSD_PS3_PT2_iSC_SC_
		.amdhsa_group_segment_fixed_size 8192
		.amdhsa_private_segment_fixed_size 0
		.amdhsa_kernarg_size 400
		.amdhsa_user_sgpr_count 2
		.amdhsa_user_sgpr_dispatch_ptr 0
		.amdhsa_user_sgpr_queue_ptr 0
		.amdhsa_user_sgpr_kernarg_segment_ptr 1
		.amdhsa_user_sgpr_dispatch_id 0
		.amdhsa_user_sgpr_kernarg_preload_length 0
		.amdhsa_user_sgpr_kernarg_preload_offset 0
		.amdhsa_user_sgpr_private_segment_size 0
		.amdhsa_uses_dynamic_stack 0
		.amdhsa_enable_private_segment 0
		.amdhsa_system_sgpr_workgroup_id_x 1
		.amdhsa_system_sgpr_workgroup_id_y 1
		.amdhsa_system_sgpr_workgroup_id_z 1
		.amdhsa_system_sgpr_workgroup_info 0
		.amdhsa_system_vgpr_workitem_id 0
		.amdhsa_next_free_vgpr 71
		.amdhsa_next_free_sgpr 50
		.amdhsa_accum_offset 72
		.amdhsa_reserve_vcc 1
		.amdhsa_float_round_mode_32 0
		.amdhsa_float_round_mode_16_64 0
		.amdhsa_float_denorm_mode_32 3
		.amdhsa_float_denorm_mode_16_64 3
		.amdhsa_dx10_clamp 1
		.amdhsa_ieee_mode 1
		.amdhsa_fp16_overflow 0
		.amdhsa_tg_split 0
		.amdhsa_exception_fp_ieee_invalid_op 0
		.amdhsa_exception_fp_denorm_src 0
		.amdhsa_exception_fp_ieee_div_zero 0
		.amdhsa_exception_fp_ieee_overflow 0
		.amdhsa_exception_fp_ieee_underflow 0
		.amdhsa_exception_fp_ieee_inexact 0
		.amdhsa_exception_int_div_zero 0
	.end_amdhsa_kernel
	.section	.text._Z39paged_attention_ll4mi_QKV_mfma16_kernelI14__hip_bfloat16hLN4vllm18Fp8KVCacheDataTypeE1ES0_Li32ELi64ELi256ELb1ELi10EEvPKT_PKT0_S8_ifPKiSA_SA_iPKfiiiPfSD_PS3_PT2_iSC_SC_,"axG",@progbits,_Z39paged_attention_ll4mi_QKV_mfma16_kernelI14__hip_bfloat16hLN4vllm18Fp8KVCacheDataTypeE1ES0_Li32ELi64ELi256ELb1ELi10EEvPKT_PKT0_S8_ifPKiSA_SA_iPKfiiiPfSD_PS3_PT2_iSC_SC_,comdat
.Lfunc_end1217:
	.size	_Z39paged_attention_ll4mi_QKV_mfma16_kernelI14__hip_bfloat16hLN4vllm18Fp8KVCacheDataTypeE1ES0_Li32ELi64ELi256ELb1ELi10EEvPKT_PKT0_S8_ifPKiSA_SA_iPKfiiiPfSD_PS3_PT2_iSC_SC_, .Lfunc_end1217-_Z39paged_attention_ll4mi_QKV_mfma16_kernelI14__hip_bfloat16hLN4vllm18Fp8KVCacheDataTypeE1ES0_Li32ELi64ELi256ELb1ELi10EEvPKT_PKT0_S8_ifPKiSA_SA_iPKfiiiPfSD_PS3_PT2_iSC_SC_
                                        ; -- End function
	.section	.AMDGPU.csdata,"",@progbits
; Kernel info:
; codeLenInByte = 5232
; NumSgprs: 56
; NumVgprs: 71
; NumAgprs: 0
; TotalNumVgprs: 71
; ScratchSize: 0
; MemoryBound: 0
; FloatMode: 240
; IeeeMode: 1
; LDSByteSize: 8192 bytes/workgroup (compile time only)
; SGPRBlocks: 6
; VGPRBlocks: 8
; NumSGPRsForWavesPerEU: 56
; NumVGPRsForWavesPerEU: 71
; AccumOffset: 72
; Occupancy: 7
; WaveLimiterHint : 1
; COMPUTE_PGM_RSRC2:SCRATCH_EN: 0
; COMPUTE_PGM_RSRC2:USER_SGPR: 2
; COMPUTE_PGM_RSRC2:TRAP_HANDLER: 0
; COMPUTE_PGM_RSRC2:TGID_X_EN: 1
; COMPUTE_PGM_RSRC2:TGID_Y_EN: 1
; COMPUTE_PGM_RSRC2:TGID_Z_EN: 1
; COMPUTE_PGM_RSRC2:TIDIG_COMP_CNT: 0
; COMPUTE_PGM_RSRC3_GFX90A:ACCUM_OFFSET: 17
; COMPUTE_PGM_RSRC3_GFX90A:TG_SPLIT: 0
	.section	.text._Z39paged_attention_ll4mi_QKV_mfma16_kernelI14__hip_bfloat16hLN4vllm18Fp8KVCacheDataTypeE1ES0_Li32ELi64ELi256ELb1ELi11EEvPKT_PKT0_S8_ifPKiSA_SA_iPKfiiiPfSD_PS3_PT2_iSC_SC_,"axG",@progbits,_Z39paged_attention_ll4mi_QKV_mfma16_kernelI14__hip_bfloat16hLN4vllm18Fp8KVCacheDataTypeE1ES0_Li32ELi64ELi256ELb1ELi11EEvPKT_PKT0_S8_ifPKiSA_SA_iPKfiiiPfSD_PS3_PT2_iSC_SC_,comdat
	.protected	_Z39paged_attention_ll4mi_QKV_mfma16_kernelI14__hip_bfloat16hLN4vllm18Fp8KVCacheDataTypeE1ES0_Li32ELi64ELi256ELb1ELi11EEvPKT_PKT0_S8_ifPKiSA_SA_iPKfiiiPfSD_PS3_PT2_iSC_SC_ ; -- Begin function _Z39paged_attention_ll4mi_QKV_mfma16_kernelI14__hip_bfloat16hLN4vllm18Fp8KVCacheDataTypeE1ES0_Li32ELi64ELi256ELb1ELi11EEvPKT_PKT0_S8_ifPKiSA_SA_iPKfiiiPfSD_PS3_PT2_iSC_SC_
	.globl	_Z39paged_attention_ll4mi_QKV_mfma16_kernelI14__hip_bfloat16hLN4vllm18Fp8KVCacheDataTypeE1ES0_Li32ELi64ELi256ELb1ELi11EEvPKT_PKT0_S8_ifPKiSA_SA_iPKfiiiPfSD_PS3_PT2_iSC_SC_
	.p2align	8
	.type	_Z39paged_attention_ll4mi_QKV_mfma16_kernelI14__hip_bfloat16hLN4vllm18Fp8KVCacheDataTypeE1ES0_Li32ELi64ELi256ELb1ELi11EEvPKT_PKT0_S8_ifPKiSA_SA_iPKfiiiPfSD_PS3_PT2_iSC_SC_,@function
_Z39paged_attention_ll4mi_QKV_mfma16_kernelI14__hip_bfloat16hLN4vllm18Fp8KVCacheDataTypeE1ES0_Li32ELi64ELi256ELb1ELi11EEvPKT_PKT0_S8_ifPKiSA_SA_iPKfiiiPfSD_PS3_PT2_iSC_SC_: ; @_Z39paged_attention_ll4mi_QKV_mfma16_kernelI14__hip_bfloat16hLN4vllm18Fp8KVCacheDataTypeE1ES0_Li32ELi64ELi256ELb1ELi11EEvPKT_PKT0_S8_ifPKiSA_SA_iPKfiiiPfSD_PS3_PT2_iSC_SC_
; %bb.0:
	s_load_dwordx2 s[6:7], s[0:1], 0x30
	s_mov_b32 s28, s3
	s_mov_b64 s[8:9], 0
	s_waitcnt lgkmcnt(0)
	s_cmp_lg_u64 s[6:7], 0
	s_cselect_b64 s[10:11], -1, 0
	s_and_b64 vcc, exec, s[10:11]
	s_cbranch_vccz .LBB1218_7
; %bb.1:
	s_add_i32 s12, s2, 1
	s_mov_b32 s13, 0
	s_lshl_b64 s[14:15], s[12:13], 2
	s_add_u32 s14, s6, s14
	s_mov_b32 s3, s13
	s_addc_u32 s15, s7, s15
	s_lshl_b64 s[12:13], s[2:3], 2
	s_add_u32 s12, s6, s12
	s_addc_u32 s13, s7, s13
	s_load_dword s5, s[14:15], 0x0
	s_load_dword s16, s[12:13], 0x0
	s_waitcnt lgkmcnt(0)
	s_sub_i32 s5, s5, s16
	s_cmp_eq_u32 s5, 1
	s_cselect_b64 s[12:13], -1, 0
	s_andn2_b64 vcc, exec, s[8:9]
	s_cbranch_vccnz .LBB1218_3
.LBB1218_2:
	s_mov_b32 s3, 0
	s_mov_b64 s[12:13], -1
.LBB1218_3:
	s_andn2_b64 vcc, exec, s[12:13]
	s_cbranch_vccnz .LBB1218_20
; %bb.4:
	s_load_dwordx2 s[8:9], s[0:1], 0x28
	s_lshl_b64 s[12:13], s[2:3], 2
	s_waitcnt lgkmcnt(0)
	s_add_u32 s8, s8, s12
	s_addc_u32 s9, s9, s13
	s_load_dword s29, s[8:9], 0x0
	s_lshl_b32 s16, s28, 8
	s_waitcnt lgkmcnt(0)
	s_cmp_ge_i32 s16, s29
	s_cbranch_scc1 .LBB1218_20
; %bb.5:
	s_load_dwordx2 s[8:9], s[0:1], 0x20
	s_load_dword s5, s[0:1], 0x38
	s_add_i32 s14, s29, 31
	s_ashr_i32 s15, s14, 31
	v_and_b32_e32 v1, 0xcf, v0
	s_lshr_b32 s15, s15, 27
	v_add_u32_e32 v1, s16, v1
	s_add_i32 s14, s14, s15
	v_ashrrev_i32_e32 v2, 31, v1
	s_ashr_i32 s17, s14, 5
	v_lshrrev_b32_e32 v4, 27, v2
	s_add_i32 s17, s17, -1
	s_waitcnt lgkmcnt(0)
	s_mul_i32 s14, s2, s5
	s_mov_b32 s15, 0
	v_add_u32_e32 v2, v1, v4
	s_lshl_b64 s[14:15], s[14:15], 2
	v_ashrrev_i32_e32 v2, 5, v2
	v_mov_b32_e32 v5, s17
	v_cmp_gt_i32_e32 vcc, s29, v1
	s_add_u32 s8, s8, s14
	s_addc_u32 s9, s9, s15
	v_cndmask_b32_e32 v2, v5, v2, vcc
	v_ashrrev_i32_e32 v3, 31, v2
	v_lshl_add_u64 v[6:7], v[2:3], 2, s[8:9]
	v_or_b32_e32 v2, 16, v1
	v_add_u32_e32 v3, v2, v4
	v_ashrrev_i32_e32 v3, 5, v3
	v_cmp_gt_i32_e32 vcc, s29, v2
	s_load_dwordx2 s[14:15], s[0:1], 0x8
	s_nop 0
	v_cndmask_b32_e32 v2, v5, v3, vcc
	v_ashrrev_i32_e32 v3, 31, v2
	v_lshl_add_u64 v[8:9], v[2:3], 2, s[8:9]
	v_or_b32_e32 v2, 32, v1
	v_add_u32_e32 v3, v2, v4
	v_ashrrev_i32_e32 v3, 5, v3
	v_cmp_gt_i32_e32 vcc, s29, v2
	v_or_b32_e32 v1, 48, v1
	s_nop 0
	v_cndmask_b32_e32 v2, v5, v3, vcc
	v_ashrrev_i32_e32 v3, 31, v2
	v_lshl_add_u64 v[10:11], v[2:3], 2, s[8:9]
	v_add_u32_e32 v2, v1, v4
	v_ashrrev_i32_e32 v2, 5, v2
	v_cmp_gt_i32_e32 vcc, s29, v1
	s_nop 1
	v_cndmask_b32_e32 v2, v5, v2, vcc
	v_ashrrev_i32_e32 v3, 31, v2
	v_lshl_add_u64 v[12:13], v[2:3], 2, s[8:9]
	global_load_dword v5, v[6:7], off
	global_load_dword v4, v[8:9], off
	;; [unrolled: 1-line block ×4, first 2 shown]
	s_andn2_b64 vcc, exec, s[10:11]
	s_cbranch_vccnz .LBB1218_8
; %bb.6:
	s_add_u32 s6, s6, s12
	s_addc_u32 s7, s7, s13
	s_load_dword s5, s[6:7], 0x0
	s_branch .LBB1218_9
.LBB1218_7:
	s_mov_b64 s[12:13], 0
	s_branch .LBB1218_2
.LBB1218_8:
	s_mov_b32 s5, s2
.LBB1218_9:
	s_load_dwordx2 s[10:11], s[0:1], 0x10
	s_load_dwordx4 s[44:47], s[0:1], 0x48
	v_lshrrev_b32_e32 v29, 6, v0
	v_bfe_u32 v42, v0, 4, 2
	v_lshl_or_b32 v6, v29, 2, v42
	v_and_b32_e32 v28, 15, v0
	v_lshlrev_b32_e32 v1, 3, v28
	v_cmp_gt_u32_e32 vcc, 11, v6
	v_cmp_gt_u32_e64 s[30:31], 8, v28
	s_mul_i32 s48, s4, 11
	s_and_b64 s[12:13], s[30:31], vcc
	v_lshlrev_b32_e32 v26, 1, v1
	v_lshlrev_b32_e32 v1, 4, v0
	s_and_saveexec_b64 s[6:7], s[12:13]
	s_cbranch_execz .LBB1218_11
; %bb.10:
	s_load_dwordx2 s[12:13], s[0:1], 0x0
	s_waitcnt lgkmcnt(0)
	s_ashr_i32 s18, s44, 31
	s_mul_hi_u32 s19, s5, s44
	s_mul_i32 s18, s5, s18
	s_add_i32 s19, s19, s18
	s_mul_i32 s18, s5, s44
	s_lshl_b64 s[18:19], s[18:19], 1
	s_add_u32 s12, s12, s18
	v_add_lshl_u32 v8, v6, s48, 6
	s_addc_u32 s13, s13, s19
	v_ashrrev_i32_e32 v9, 31, v8
	v_lshl_add_u64 v[8:9], v[8:9], 1, s[12:13]
	v_mov_b32_e32 v27, 0
	v_lshl_add_u64 v[8:9], v[8:9], 0, v[26:27]
	global_load_dwordx4 v[8:11], v[8:9], off
	v_lshlrev_b32_e32 v12, 8, v28
	v_lshlrev_b32_e32 v6, 5, v6
	v_and_b32_e32 v7, 16, v1
	v_and_b32_e32 v12, 0xe00, v12
	v_or3_b32 v6, v12, v6, v7
	s_waitcnt vmcnt(0)
	ds_write_b128 v6, v[8:11]
.LBB1218_11:
	s_or_b64 exec, exec, s[6:7]
	s_waitcnt lgkmcnt(0)
	s_mul_i32 s12, s4, s46
	s_add_u32 s4, s14, s12
	s_addc_u32 s5, s15, 0
	v_mov_b32_e32 v31, 0
	v_mov_b64_e32 v[6:7], s[4:5]
	v_lshlrev_b32_e32 v10, 4, v28
	v_and_b32_e32 v27, 48, v0
	s_waitcnt vmcnt(3)
	v_mad_i64_i32 v[8:9], s[4:5], v5, s45, v[6:7]
	v_mov_b32_e32 v11, v31
	s_waitcnt vmcnt(2)
	v_mad_i64_i32 v[4:5], s[4:5], v4, s45, v[6:7]
	v_or_b32_e32 v12, 0x100, v10
	v_mov_b32_e32 v13, v31
	v_lshlrev_b32_e32 v30, 5, v27
	v_lshl_add_u64 v[8:9], v[8:9], 0, v[10:11]
	v_lshl_add_u64 v[4:5], v[4:5], 0, v[12:13]
	;; [unrolled: 1-line block ×4, first 2 shown]
	s_barrier
	global_load_dwordx4 v[22:25], v[8:9], off
	global_load_dwordx4 v[18:21], v[4:5], off
	s_waitcnt vmcnt(3)
	v_mad_i64_i32 v[4:5], s[4:5], v3, s45, v[6:7]
	v_lshl_add_u64 v[4:5], v[4:5], 0, v[10:11]
	s_waitcnt vmcnt(2)
	v_mad_i64_i32 v[2:3], s[4:5], v2, s45, v[6:7]
	v_lshl_add_u64 v[4:5], v[4:5], 0, v[30:31]
	v_lshl_add_u64 v[2:3], v[2:3], 0, v[12:13]
	;; [unrolled: 1-line block ×3, first 2 shown]
	global_load_dwordx4 v[14:17], v[4:5], off
	global_load_dwordx4 v[6:9], v[2:3], off
	v_add_u32_e32 v2, -11, v28
	v_cmp_gt_u32_e32 vcc, 11, v28
	v_and_b32_e32 v43, 63, v0
	v_mov_b32_e32 v44, 0
	v_cndmask_b32_e32 v2, v2, v28, vcc
	v_lshlrev_b32_e32 v2, 5, v2
	v_lshl_add_u32 v2, v42, 9, v2
	ds_read_b128 v[10:13], v2
	ds_read_b128 v[2:5], v2 offset:16
	s_and_saveexec_b64 s[4:5], vcc
	s_cbranch_execz .LBB1218_13
; %bb.12:
	s_load_dwordx2 s[6:7], s[0:1], 0x40
	v_add_u32_e32 v32, s48, v28
	v_ashrrev_i32_e32 v33, 31, v32
	s_waitcnt lgkmcnt(0)
	v_lshl_add_u64 v[32:33], v[32:33], 2, s[6:7]
	global_load_dword v44, v[32:33], off
.LBB1218_13:
	s_or_b64 exec, exec, s[4:5]
	s_ashr_i32 s4, s16, 31
	v_or_b32_e32 v45, s16, v27
	s_lshr_b32 s13, s4, 27
	v_add_u32_e32 v27, s13, v45
	v_ashrrev_i32_e32 v27, 5, v27
	s_waitcnt vmcnt(3)
	v_cvt_pk_f32_fp8_e32 v[34:35], v22
	v_cvt_pk_f32_fp8_sdwa v[36:37], v22 src0_sel:WORD_1
	s_waitcnt vmcnt(2)
	v_cvt_pk_f32_fp8_e32 v[56:57], v20
	v_cvt_pk_f32_fp8_sdwa v[58:59], v20 src0_sel:WORD_1
	v_mov_b32_e32 v20, s17
	v_cmp_gt_i32_e32 vcc, s29, v45
	v_cvt_pk_f32_fp8_e32 v[48:49], v18
	v_cvt_pk_f32_fp8_sdwa v[50:51], v18 src0_sel:WORD_1
	v_cndmask_b32_e32 v18, v20, v27, vcc
	v_cvt_pk_f32_fp8_e32 v[52:53], v19
	v_cvt_pk_f32_fp8_sdwa v[54:55], v19 src0_sel:WORD_1
	v_ashrrev_i32_e32 v19, 31, v18
	v_lshl_add_u64 v[18:19], v[18:19], 2, s[8:9]
	s_mov_b32 s33, 0x7060302
	v_cvt_pk_f32_fp8_e32 v[32:33], v23
	v_cvt_pk_f32_fp8_sdwa v[22:23], v23 src0_sel:WORD_1
	global_load_dword v70, v[18:19], off
	v_perm_b32 v18, v35, v34, s33
	v_perm_b32 v19, v37, v36, s33
	v_cvt_pk_f32_fp8_e32 v[60:61], v21
	v_cvt_pk_f32_fp8_sdwa v[62:63], v21 src0_sel:WORD_1
	v_or_b32_e32 v21, 64, v45
	v_or_b32_e32 v34, 0x80, v45
	;; [unrolled: 1-line block ×3, first 2 shown]
	v_cmp_gt_i32_e32 vcc, s29, v21
	v_add_u32_e32 v21, s13, v21
	v_cmp_gt_i32_e64 s[4:5], s29, v34
	v_add_u32_e32 v34, s13, v34
	v_cmp_gt_i32_e64 s[6:7], s29, v35
	v_add_u32_e32 v35, s13, v35
	v_cvt_pk_f32_fp8_e32 v[38:39], v24
	v_cvt_pk_f32_fp8_sdwa v[40:41], v24 src0_sel:WORD_1
	v_cvt_pk_f32_fp8_e32 v[46:47], v25
	v_ashrrev_i32_e32 v21, 5, v21
	v_ashrrev_i32_e32 v34, 5, v34
	;; [unrolled: 1-line block ×3, first 2 shown]
	v_perm_b32 v32, v33, v32, s33
	v_perm_b32 v33, v23, v22, s33
	v_perm_b32 v22, v49, v48, s33
	v_perm_b32 v23, v51, v50, s33
	v_cvt_pk_f32_fp8_sdwa v[24:25], v25 src0_sel:WORD_1
	v_cndmask_b32_e32 v36, v20, v21, vcc
	v_cndmask_b32_e64 v64, v20, v34, s[4:5]
	v_cndmask_b32_e64 v66, v20, v35, s[6:7]
	s_waitcnt lgkmcnt(1)
	v_mfma_f32_16x16x16_bf16 v[18:21], v[18:19], v[10:11], 0
	v_perm_b32 v38, v39, v38, s33
	v_perm_b32 v39, v41, v40, s33
	;; [unrolled: 1-line block ×5, first 2 shown]
	s_load_dword s14, s[0:1], 0x1c
	s_load_dwordx4 s[40:43], s[0:1], 0x80
	v_perm_b32 v69, v25, v24, s33
	v_mfma_f32_16x16x16_bf16 v[22:25], v[22:23], v[10:11], 0
	s_add_u32 s10, s10, s12
	v_and_b32_e32 v30, 16, v0
	v_lshlrev_b32_e32 v27, 5, v28
	v_mfma_f32_16x16x16_bf16 v[32:35], v[32:33], v[12:13], v[18:21]
	s_addc_u32 s11, s11, 0
	v_lshl_add_u64 v[40:41], s[10:11], 0, v[30:31]
	v_lshl_or_b32 v30, v29, 9, v27
	v_ashrrev_i32_e32 v37, 31, v36
	v_ashrrev_i32_e32 v65, 31, v64
	;; [unrolled: 1-line block ×3, first 2 shown]
	v_perm_b32 v48, v57, v56, s33
	v_perm_b32 v49, v59, v58, s33
	v_mfma_f32_16x16x16_bf16 v[20:23], v[46:47], v[12:13], v[22:25]
	v_lshl_add_u64 v[18:19], v[40:41], 0, v[30:31]
	s_waitcnt lgkmcnt(0)
	s_load_dword s6, s[40:41], 0x0
	v_perm_b32 v50, v61, v60, s33
	v_mfma_f32_16x16x16_bf16 v[30:33], v[38:39], v[2:3], v[32:35]
	v_lshl_add_u64 v[24:25], v[36:37], 2, s[8:9]
	v_lshl_add_u64 v[36:37], v[66:67], 2, s[8:9]
	v_perm_b32 v51, v63, v62, s33
	v_lshl_add_u64 v[34:35], v[64:65], 2, s[8:9]
	global_load_dword v47, v[24:25], off
	global_load_dword v45, v[34:35], off
	global_load_dword v46, v[36:37], off
	s_waitcnt vmcnt(5)
	v_cvt_pk_f32_fp8_e32 v[34:35], v14
	v_cvt_pk_f32_fp8_sdwa v[36:37], v14 src0_sel:WORD_1
	v_mfma_f32_16x16x16_bf16 v[20:23], v[48:49], v[2:3], v[20:23]
	v_cvt_pk_f32_fp8_e32 v[38:39], v15
	v_perm_b32 v34, v35, v34, s33
	v_perm_b32 v35, v37, v36, s33
	v_cvt_pk_f32_fp8_sdwa v[14:15], v15 src0_sel:WORD_1
	v_mov_b32_e32 v40, s14
	s_waitcnt lgkmcnt(0)
	v_mul_f32_e32 v48, s6, v40
	v_mfma_f32_16x16x16_bf16 v[20:23], v[50:51], v[4:5], v[20:23]
	v_perm_b32 v38, v39, v38, s33
	v_cvt_pk_f32_fp8_e32 v[40:41], v16
	v_cvt_pk_f32_fp8_sdwa v[50:51], v16 src0_sel:WORD_1
	v_perm_b32 v39, v15, v14, s33
	v_mfma_f32_16x16x16_bf16 v[34:37], v[34:35], v[10:11], 0
	v_perm_b32 v40, v41, v40, s33
	v_perm_b32 v41, v51, v50, s33
	v_cvt_pk_f32_fp8_e32 v[50:51], v17
	v_cvt_pk_f32_fp8_sdwa v[52:53], v17 src0_sel:WORD_1
	v_mfma_f32_16x16x16_bf16 v[30:33], v[68:69], v[4:5], v[30:33]
	s_mov_b32 s44, 0xff7fffff
	s_waitcnt vmcnt(3)
	v_mad_i64_i32 v[24:25], s[4:5], v70, s45, v[18:19]
	v_mfma_f32_16x16x16_bf16 v[14:17], v[38:39], v[12:13], v[34:37]
	s_nop 2
	v_perm_b32 v34, v51, v50, s33
	v_perm_b32 v35, v53, v52, s33
	v_mfma_f32_16x16x16_bf16 v[14:17], v[40:41], v[2:3], v[14:17]
	v_pk_mul_f32 v[38:39], v[48:49], v[30:31] op_sel_hi:[0,1]
	v_cvt_pk_f32_fp8_e32 v[30:31], v6
	v_cvt_pk_f32_fp8_sdwa v[36:37], v6 src0_sel:WORD_1
	v_mfma_f32_16x16x16_bf16 v[14:17], v[34:35], v[4:5], v[14:17]
	v_cvt_pk_f32_fp8_e32 v[34:35], v7
	v_perm_b32 v30, v31, v30, s33
	v_perm_b32 v31, v37, v36, s33
	v_cvt_pk_f32_fp8_sdwa v[6:7], v7 src0_sel:WORD_1
	v_perm_b32 v40, v35, v34, s33
	v_cvt_pk_f32_fp8_e32 v[50:51], v8
	v_cvt_pk_f32_fp8_sdwa v[52:53], v8 src0_sel:WORD_1
	v_perm_b32 v41, v7, v6, s33
	v_mfma_f32_16x16x16_bf16 v[34:37], v[30:31], v[10:11], 0
	v_perm_b32 v10, v51, v50, s33
	v_perm_b32 v11, v53, v52, s33
	v_cvt_pk_f32_fp8_e32 v[30:31], v9
	v_cvt_pk_f32_fp8_sdwa v[50:51], v9 src0_sel:WORD_1
	v_mfma_f32_16x16x16_bf16 v[6:9], v[40:41], v[12:13], v[34:37]
	v_pk_mul_f32 v[40:41], v[48:49], v[20:21] op_sel_hi:[0,1]
	v_perm_b32 v12, v31, v30, s33
	v_perm_b32 v13, v51, v50, s33
	v_mfma_f32_16x16x16_bf16 v[6:9], v[10:11], v[2:3], v[6:9]
	v_pk_mul_f32 v[36:37], v[48:49], v[22:23] op_sel_hi:[0,1]
	v_pk_mul_f32 v[32:33], v[48:49], v[32:33] op_sel_hi:[0,1]
	;; [unrolled: 1-line block ×3, first 2 shown]
	v_mfma_f32_16x16x16_bf16 v[2:5], v[12:13], v[4:5], v[6:9]
	v_pk_mul_f32 v[34:35], v[48:49], v[14:15] op_sel_hi:[0,1]
	s_nop 5
	v_pk_mul_f32 v[22:23], v[48:49], v[2:3] op_sel_hi:[0,1]
	v_and_b32_e32 v2, 0xc0, v0
	v_add_u32_e32 v2, s16, v2
	v_lshl_or_b32 v2, v42, 2, v2
	v_or_b32_e32 v3, 1, v2
	v_pk_mul_f32 v[20:21], v[48:49], v[4:5] op_sel_hi:[0,1]
	v_subrev_u32_e32 v4, s29, v3
	v_add_u32_e32 v6, 1, v4
	v_add_u32_e32 v7, 2, v4
	;; [unrolled: 1-line block ×3, first 2 shown]
	v_cvt_f32_i32_e32 v6, v6
	v_cvt_f32_i32_e32 v7, v7
	;; [unrolled: 1-line block ×3, first 2 shown]
	v_add_u32_e32 v9, 19, v4
	v_fmac_f32_e32 v39, v44, v6
	v_fma_f32 v32, v44, v7, v32
	v_fmac_f32_e32 v33, v44, v8
	v_add_u32_e32 v6, 16, v4
	v_add_u32_e32 v7, 17, v4
	;; [unrolled: 1-line block ×3, first 2 shown]
	v_cvt_f32_i32_e32 v6, v6
	v_cvt_f32_i32_e32 v7, v7
	;; [unrolled: 1-line block ×4, first 2 shown]
	v_fma_f32 v40, v44, v6, v40
	v_fmac_f32_e32 v41, v44, v7
	v_fma_f32 v36, v44, v8, v36
	v_add_u32_e32 v6, 32, v4
	v_add_u32_e32 v7, 33, v4
	;; [unrolled: 1-line block ×3, first 2 shown]
	v_cvt_f32_i32_e32 v6, v6
	v_cvt_f32_i32_e32 v7, v7
	;; [unrolled: 1-line block ×4, first 2 shown]
	v_fmac_f32_e32 v37, v44, v9
	v_add_u32_e32 v9, 35, v4
	v_fma_f32 v48, v44, v6, v34
	v_fmac_f32_e32 v35, v44, v7
	v_fma_f32 v30, v44, v8, v30
	v_add_u32_e32 v6, 48, v4
	v_add_u32_e32 v7, 49, v4
	;; [unrolled: 1-line block ×4, first 2 shown]
	v_cvt_f32_i32_e32 v4, v4
	v_cvt_f32_i32_e32 v6, v6
	;; [unrolled: 1-line block ×3, first 2 shown]
	v_fma_f32 v5, v44, v5, v38
	v_fmac_f32_e32 v21, v44, v4
	v_mov_b32_e32 v4, 0xff7fffff
	v_cmp_gt_i32_e64 s[4:5], s29, v2
	v_cmp_gt_i32_e64 s[34:35], s29, v3
	v_fma_f32 v22, v44, v6, v22
	v_cndmask_b32_e64 v6, v4, v5, s[4:5]
	v_cndmask_b32_e64 v3, v4, v39, s[34:35]
	v_fmac_f32_e32 v23, v44, v7
	v_max3_f32 v3, v6, s44, v3
	v_or_b32_e32 v6, 2, v2
	v_or_b32_e32 v7, 3, v2
	v_cmp_gt_i32_e64 s[36:37], s29, v6
	v_cmp_gt_i32_e64 s[38:39], s29, v7
	v_cvt_f32_i32_e32 v9, v9
	v_cndmask_b32_e64 v6, v4, v32, s[36:37]
	v_cndmask_b32_e64 v7, v4, v33, s[38:39]
	v_max3_f32 v3, v3, v6, v7
	v_or_b32_e32 v6, 16, v2
	v_or_b32_e32 v7, 17, v2
	v_cmp_gt_i32_e64 s[24:25], s29, v6
	v_cmp_gt_i32_e64 s[26:27], s29, v7
	v_fmac_f32_e32 v31, v44, v9
	v_cndmask_b32_e64 v6, v4, v40, s[24:25]
	v_cndmask_b32_e64 v7, v4, v41, s[26:27]
	v_max3_f32 v3, v3, v6, v7
	v_or_b32_e32 v6, 18, v2
	v_or_b32_e32 v7, 19, v2
	v_cmp_gt_i32_e64 s[20:21], s29, v6
	v_cmp_gt_i32_e64 s[22:23], s29, v7
	v_cvt_f32_i32_e32 v8, v8
	v_cndmask_b32_e64 v6, v4, v36, s[20:21]
	v_cndmask_b32_e64 v7, v4, v37, s[22:23]
	v_max3_f32 v3, v3, v6, v7
	v_or_b32_e32 v6, 32, v2
	v_or_b32_e32 v7, 33, v2
	v_cmp_gt_i32_e64 s[16:17], s29, v6
	v_cmp_gt_i32_e64 s[18:19], s29, v7
	v_fma_f32 v20, v44, v8, v20
	v_cndmask_b32_e64 v6, v4, v48, s[16:17]
	v_cndmask_b32_e64 v7, v4, v35, s[18:19]
	v_max3_f32 v3, v3, v6, v7
	v_or_b32_e32 v6, 34, v2
	v_or_b32_e32 v7, 35, v2
	v_cmp_gt_i32_e64 s[12:13], s29, v6
	v_cmp_gt_i32_e64 s[14:15], s29, v7
	s_nop 0
	v_cndmask_b32_e64 v6, v4, v30, s[12:13]
	v_cndmask_b32_e64 v7, v4, v31, s[14:15]
	v_max3_f32 v3, v3, v6, v7
	v_or_b32_e32 v6, 48, v2
	v_or_b32_e32 v7, 49, v2
	v_cmp_gt_i32_e64 s[8:9], s29, v6
	v_cmp_gt_i32_e64 s[10:11], s29, v7
	s_nop 0
	v_cndmask_b32_e64 v6, v4, v22, s[8:9]
	v_cndmask_b32_e64 v7, v4, v23, s[10:11]
	v_max3_f32 v3, v3, v6, v7
	v_or_b32_e32 v6, 50, v2
	v_or_b32_e32 v2, 51, v2
	v_cmp_gt_i32_e32 vcc, s29, v6
	v_cmp_gt_i32_e64 s[6:7], s29, v2
	s_nop 0
	v_cndmask_b32_e32 v6, v4, v20, vcc
	v_cndmask_b32_e64 v2, v4, v21, s[6:7]
	v_max3_f32 v4, v3, v6, v2
	v_mbcnt_lo_u32_b32 v2, -1, 0
	v_mbcnt_hi_u32_b32 v6, -1, v2
	v_and_b32_e32 v2, 64, v6
	v_add_u32_e32 v7, 64, v2
	v_xor_b32_e32 v2, 32, v6
	v_cmp_lt_i32_e64 s[40:41], v2, v7
	s_nop 1
	v_cndmask_b32_e64 v2, v6, v2, s[40:41]
	v_lshlrev_b32_e32 v44, 2, v2
	ds_bpermute_b32 v8, v44, v4
	s_waitcnt vmcnt(2)
	v_mad_i64_i32 v[2:3], s[40:41], v47, s45, v[18:19]
	global_load_dwordx4 v[14:17], v[24:25], off
	global_load_dwordx4 v[10:13], v[2:3], off
	v_xor_b32_e32 v3, 16, v6
	v_cmp_lt_i32_e64 s[40:41], v3, v7
	s_waitcnt lgkmcnt(0)
	v_max_f32_e32 v2, v8, v8
	v_max_f32_e32 v2, v4, v2
	v_cndmask_b32_e64 v3, v6, v3, s[40:41]
	v_lshlrev_b32_e32 v47, 2, v3
	ds_bpermute_b32 v3, v47, v2
	s_waitcnt vmcnt(3)
	v_mad_i64_i32 v[24:25], s[40:41], v45, s45, v[18:19]
	s_waitcnt vmcnt(2)
	v_mad_i64_i32 v[18:19], s[40:41], v46, s45, v[18:19]
	s_waitcnt lgkmcnt(0)
	v_max_f32_e32 v3, v3, v3
	v_max_f32_e32 v34, v2, v3
	v_sub_f32_e32 v2, v5, v34
	v_mul_f32_e32 v2, 0x3fb8aa3b, v2
	v_exp_f32_e32 v38, v2
	v_sub_f32_e32 v2, v39, v34
	v_mul_f32_e32 v2, 0x3fb8aa3b, v2
	v_exp_f32_e32 v39, v2
	global_load_dwordx4 v[6:9], v[24:25], off
	global_load_dwordx4 v[2:5], v[18:19], off
	v_sub_f32_e32 v25, v32, v34
	v_sub_f32_e32 v32, v33, v34
	v_mul_f32_e32 v25, 0x3fb8aa3b, v25
	v_mul_f32_e32 v32, 0x3fb8aa3b, v32
	v_exp_f32_e32 v25, v25
	v_exp_f32_e32 v32, v32
	v_cndmask_b32_e64 v18, 0, v38, s[4:5]
	v_cndmask_b32_e64 v19, 0, v39, s[34:35]
	;; [unrolled: 1-line block ×4, first 2 shown]
	v_sub_f32_e32 v25, v40, v34
	v_sub_f32_e32 v32, v41, v34
	v_mul_f32_e32 v25, 0x3fb8aa3b, v25
	v_mul_f32_e32 v32, 0x3fb8aa3b, v32
	v_exp_f32_e32 v25, v25
	v_exp_f32_e32 v32, v32
	v_add_f32_e32 v24, 0, v18
	v_add_f32_e32 v24, v24, v19
	;; [unrolled: 1-line block ×4, first 2 shown]
	v_cndmask_b32_e64 v24, 0, v25, s[24:25]
	v_cndmask_b32_e64 v25, 0, v32, s[26:27]
	v_sub_f32_e32 v32, v36, v34
	v_mul_f32_e32 v32, 0x3fb8aa3b, v32
	v_exp_f32_e32 v32, v32
	v_sub_f32_e32 v36, v37, v34
	v_add_f32_e32 v33, v33, v24
	v_mul_f32_e32 v36, 0x3fb8aa3b, v36
	v_exp_f32_e32 v37, v36
	v_add_f32_e32 v33, v33, v25
	v_cndmask_b32_e64 v36, 0, v32, s[20:21]
	v_add_f32_e32 v32, v33, v36
	v_sub_f32_e32 v33, v48, v34
	v_mul_f32_e32 v33, 0x3fb8aa3b, v33
	v_sub_f32_e32 v35, v35, v34
	v_exp_f32_e32 v33, v33
	v_mul_f32_e32 v35, 0x3fb8aa3b, v35
	v_sub_f32_e32 v30, v30, v34
	v_exp_f32_e32 v35, v35
	;; [unrolled: 3-line block ×3, first 2 shown]
	v_mul_f32_e32 v31, 0x3fb8aa3b, v31
	v_sub_f32_e32 v22, v22, v34
	v_cndmask_b32_e64 v37, 0, v37, s[22:23]
	v_exp_f32_e32 v31, v31
	v_mul_f32_e32 v22, 0x3fb8aa3b, v22
	v_sub_f32_e32 v23, v23, v34
	v_add_f32_e32 v40, v32, v37
	v_cndmask_b32_e64 v32, 0, v33, s[16:17]
	v_exp_f32_e32 v22, v22
	v_mul_f32_e32 v23, 0x3fb8aa3b, v23
	v_sub_f32_e32 v20, v20, v34
	v_add_f32_e32 v40, v40, v32
	;; [unrolled: 5-line block ×3, first 2 shown]
	v_cndmask_b32_e64 v30, 0, v30, s[12:13]
	v_exp_f32_e32 v20, v20
	v_mul_f32_e32 v21, 0x3fb8aa3b, v21
	v_add_f32_e32 v35, v35, v30
	v_cndmask_b32_e64 v31, 0, v31, s[14:15]
	v_exp_f32_e32 v21, v21
	v_add_f32_e32 v35, v35, v31
	v_cndmask_b32_e64 v22, 0, v22, s[8:9]
	v_add_f32_e32 v35, v35, v22
	v_cndmask_b32_e64 v23, 0, v23, s[10:11]
	v_add_f32_e32 v35, v35, v23
	v_cndmask_b32_e32 v20, 0, v20, vcc
	v_add_f32_e32 v35, v35, v20
	v_cndmask_b32_e64 v21, 0, v21, s[6:7]
	v_add_f32_e32 v35, v35, v21
	ds_bpermute_b32 v40, v44, v35
	s_load_dword s7, s[0:1], 0x98
	v_cmp_gt_u32_e32 vcc, 16, v43
	s_waitcnt lgkmcnt(0)
	s_barrier
	v_add_f32_e32 v40, v35, v40
	ds_bpermute_b32 v41, v47, v40
	v_lshlrev_b32_e32 v35, 2, v28
	s_waitcnt lgkmcnt(0)
	s_and_saveexec_b64 s[4:5], vcc
	s_cbranch_execz .LBB1218_15
; %bb.14:
	v_add_f32_e32 v40, v40, v41
	v_lshl_or_b32 v41, v29, 6, v35
	ds_write2st64_b32 v41, v34, v40 offset1:1
.LBB1218_15:
	s_or_b64 exec, exec, s[4:5]
	s_load_dword s6, s[0:1], 0x94
	s_waitcnt lgkmcnt(0)
	s_barrier
	ds_read2_b32 v[40:41], v35 offset1:16
	ds_read2_b32 v[44:45], v35 offset0:32 offset1:48
	ds_read2_b32 v[46:47], v35 offset0:64 offset1:80
	s_movk_i32 s8, 0x7fff
	s_mul_i32 s7, s7, 11
	s_waitcnt lgkmcnt(2)
	v_max3_f32 v34, v40, s44, v41
	s_waitcnt lgkmcnt(1)
	v_max3_f32 v34, v34, v44, v45
	v_sub_f32_e32 v40, v40, v34
	v_mul_f32_e32 v40, 0x3fb8aa3b, v40
	v_exp_f32_e32 v43, v40
	v_sub_f32_e32 v40, v41, v34
	v_mul_f32_e32 v40, 0x3fb8aa3b, v40
	v_exp_f32_e32 v48, v40
	;; [unrolled: 3-line block ×3, first 2 shown]
	ds_read2_b32 v[40:41], v35 offset0:96 offset1:112
	v_sub_f32_e32 v35, v45, v34
	v_mul_f32_e32 v35, 0x3fb8aa3b, v35
	v_exp_f32_e32 v45, v35
	s_waitcnt lgkmcnt(1)
	v_fma_f32 v35, v43, v46, 0
	v_fmac_f32_e32 v35, v48, v47
	s_waitcnt lgkmcnt(0)
	v_fmac_f32_e32 v35, v44, v40
	v_fmac_f32_e32 v35, v45, v41
	v_add_f32_e32 v40, 0x358637bd, v35
	v_div_scale_f32 v41, s[4:5], v40, v40, 1.0
	v_rcp_f32_e32 v46, v41
	s_barrier
	v_fma_f32 v47, -v41, v46, 1.0
	v_fmac_f32_e32 v46, v47, v46
	v_div_scale_f32 v47, vcc, 1.0, v40, 1.0
	v_mul_f32_e32 v49, v47, v46
	v_fma_f32 v50, -v41, v49, v47
	v_fmac_f32_e32 v49, v50, v46
	v_fma_f32 v41, -v41, v49, v47
	v_div_fmas_f32 v41, v41, v46, v49
	v_cmp_eq_u32_e32 vcc, 1, v29
	v_div_fixup_f32 v40, v41, v40, 1.0
	s_nop 0
	v_cndmask_b32_e32 v41, v43, v48, vcc
	v_cmp_eq_u32_e32 vcc, 2, v29
	s_nop 1
	v_cndmask_b32_e32 v41, v41, v44, vcc
	v_cmp_eq_u32_e32 vcc, 3, v29
	s_nop 1
	v_cndmask_b32_e32 v41, v41, v45, vcc
	v_mul_f32_e32 v40, v41, v40
	v_pk_mul_f32 v[18:19], v[40:41], v[18:19] op_sel_hi:[0,1]
	v_pk_mul_f32 v[38:39], v[40:41], v[38:39] op_sel_hi:[0,1]
	v_bfe_u32 v41, v19, 16, 1
	v_bfe_u32 v43, v18, 16, 1
	v_add3_u32 v18, v18, v43, s8
	v_add3_u32 v19, v19, v41, s8
	v_perm_b32 v44, v19, v18, s33
	v_bfe_u32 v18, v39, 16, 1
	v_bfe_u32 v19, v38, 16, 1
	v_add3_u32 v19, v38, v19, s8
	v_add3_u32 v18, v39, v18, s8
	v_perm_b32 v45, v18, v19, s33
	v_lshlrev_b32_e32 v18, 3, v42
	v_lshlrev_b32_e32 v19, 11, v29
	v_pk_mul_f32 v[24:25], v[40:41], v[24:25] op_sel_hi:[0,1]
	v_or3_b32 v18, v19, v27, v18
	v_bfe_u32 v19, v25, 16, 1
	v_bfe_u32 v29, v24, 16, 1
	v_pk_mul_f32 v[36:37], v[40:41], v[36:37] op_sel_hi:[0,1]
	v_add3_u32 v24, v24, v29, s8
	v_add3_u32 v19, v25, v19, s8
	v_perm_b32 v24, v19, v24, s33
	v_bfe_u32 v19, v37, 16, 1
	v_bfe_u32 v25, v36, 16, 1
	v_add3_u32 v25, v36, v25, s8
	v_add3_u32 v19, v37, v19, s8
	v_perm_b32 v25, v19, v25, s33
	ds_write2st64_b64 v18, v[44:45], v[24:25] offset1:1
	v_pk_mul_f32 v[24:25], v[40:41], v[30:31] op_sel_hi:[0,1]
	v_pk_mul_f32 v[30:31], v[40:41], v[32:33] op_sel_hi:[0,1]
	v_bfe_u32 v19, v31, 16, 1
	v_bfe_u32 v29, v30, 16, 1
	v_add3_u32 v29, v30, v29, s8
	v_add3_u32 v19, v31, v19, s8
	v_perm_b32 v30, v19, v29, s33
	v_bfe_u32 v19, v25, 16, 1
	v_bfe_u32 v29, v24, 16, 1
	v_add3_u32 v24, v24, v29, s8
	v_add3_u32 v19, v25, v19, s8
	v_pk_mul_f32 v[22:23], v[40:41], v[22:23] op_sel_hi:[0,1]
	v_perm_b32 v31, v19, v24, s33
	v_bfe_u32 v19, v23, 16, 1
	v_bfe_u32 v24, v22, 16, 1
	v_pk_mul_f32 v[20:21], v[40:41], v[20:21] op_sel_hi:[0,1]
	v_add3_u32 v22, v22, v24, s8
	v_add3_u32 v19, v23, v19, s8
	v_perm_b32 v22, v19, v22, s33
	v_bfe_u32 v19, v21, 16, 1
	v_bfe_u32 v23, v20, 16, 1
	v_add3_u32 v20, v20, v23, s8
	v_add3_u32 v19, v21, v19, s8
	v_perm_b32 v23, v19, v20, s33
	v_cmp_gt_u32_e32 vcc, 11, v0
	ds_write2st64_b64 v18, v[30:31], v[22:23] offset0:2 offset1:3
	s_and_saveexec_b64 s[4:5], vcc
	s_cbranch_execz .LBB1218_17
; %bb.16:
	s_mov_b32 s49, 0
	v_mov_b32_e32 v29, 0
	v_lshl_add_u64 v[20:21], s[48:49], 0, v[28:29]
	v_mov_b32_e32 v19, s7
	v_mad_u64_u32 v[20:21], s[10:11], s2, v19, v[20:21]
	s_mul_i32 s3, s3, s7
	v_mov_b32_e32 v28, s28
	s_load_dwordx4 s[12:15], s[0:1], 0x58
	v_add_u32_e32 v19, s3, v21
	v_mad_u64_u32 v[20:21], s[10:11], v20, s6, v[28:29]
	v_mov_b32_e32 v22, v21
	v_mad_u64_u32 v[22:23], s[10:11], v19, s6, v[22:23]
	v_mov_b32_e32 v21, v22
	v_lshlrev_b64 v[20:21], 2, v[20:21]
	s_waitcnt lgkmcnt(0)
	v_lshl_add_u64 v[22:23], s[14:15], 0, v[20:21]
	v_lshl_add_u64 v[20:21], s[12:13], 0, v[20:21]
	global_store_dword v[22:23], v34, off
	global_store_dword v[20:21], v35, off
.LBB1218_17:
	s_or_b64 exec, exec, s[4:5]
	s_waitcnt vmcnt(3)
	v_cvt_pk_f32_fp8_e32 v[20:21], v14
	v_cvt_pk_f32_fp8_sdwa v[22:23], v14 src0_sel:WORD_1
	s_mov_b32 s4, 0x7060302
	v_lshl_or_b32 v14, v42, 9, v27
	s_waitcnt lgkmcnt(0)
	s_barrier
	v_perm_b32 v24, v21, v20, s4
	v_perm_b32 v25, v23, v22, s4
	v_cvt_pk_f32_fp8_e32 v[28:29], v15
	ds_read_b128 v[20:23], v14
	v_cvt_pk_f32_fp8_sdwa v[36:37], v15 src0_sel:WORD_1
	s_load_dword s10, s[42:43], 0x0
	v_perm_b32 v38, v29, v28, s4
	ds_read_b128 v[28:31], v14 offset:16
	v_perm_b32 v39, v37, v36, s4
	s_waitcnt lgkmcnt(0)
	v_mfma_f32_16x16x16_bf16 v[32:35], v[24:25], v[20:21], 0
	v_cvt_pk_f32_fp8_e32 v[24:25], v16
	v_cvt_pk_f32_fp8_sdwa v[36:37], v16 src0_sel:WORD_1
	v_cmp_gt_u32_e32 vcc, 64, v0
	v_mfma_f32_16x16x16_bf16 v[20:23], v[38:39], v[22:23], v[32:35]
	v_perm_b32 v24, v25, v24, s4
	v_perm_b32 v25, v37, v36, s4
	s_mov_b32 s3, 0
	v_cvt_pk_f32_fp8_e32 v[32:33], v17
	v_cvt_pk_f32_fp8_sdwa v[16:17], v17 src0_sel:WORD_1
	s_waitcnt vmcnt(2)
	v_cvt_pk_f32_fp8_sdwa v[34:35], v10 src0_sel:WORD_1
	v_mfma_f32_16x16x16_bf16 v[20:23], v[24:25], v[28:29], v[20:23]
	v_perm_b32 v36, v33, v32, s4
	v_cvt_pk_f32_fp8_e32 v[32:33], v10
	v_perm_b32 v37, v17, v16, s4
	v_perm_b32 v17, v35, v34, s4
	v_cvt_pk_f32_fp8_e32 v[24:25], v11
	v_perm_b32 v16, v33, v32, s4
	ds_read_b128 v[32:35], v14 offset:2048
	v_cvt_pk_f32_fp8_sdwa v[10:11], v11 src0_sel:WORD_1
	v_mfma_f32_16x16x16_bf16 v[20:23], v[36:37], v[30:31], v[20:23]
	ds_read_b128 v[28:31], v14 offset:2064
	v_perm_b32 v24, v25, v24, s4
	v_perm_b32 v25, v11, v10, s4
	s_waitcnt lgkmcnt(1)
	v_mfma_f32_16x16x16_bf16 v[20:23], v[16:17], v[32:33], v[20:23]
	v_cvt_pk_f32_fp8_e32 v[10:11], v12
	v_cvt_pk_f32_fp8_sdwa v[16:17], v12 src0_sel:WORD_1
	s_waitcnt vmcnt(1)
	v_cvt_pk_f32_fp8_sdwa v[32:33], v6 src0_sel:WORD_1
	v_mfma_f32_16x16x16_bf16 v[20:23], v[24:25], v[34:35], v[20:23]
	v_cvt_pk_f32_fp8_e32 v[24:25], v13
	v_perm_b32 v10, v11, v10, s4
	v_perm_b32 v11, v17, v16, s4
	v_cvt_pk_f32_fp8_sdwa v[12:13], v13 src0_sel:WORD_1
	v_perm_b32 v16, v25, v24, s4
	v_cvt_pk_f32_fp8_e32 v[24:25], v6
	v_mov_b32_e32 v27, 0
	v_perm_b32 v17, v13, v12, s4
	s_waitcnt lgkmcnt(0)
	v_mfma_f32_16x16x16_bf16 v[10:13], v[10:11], v[28:29], v[20:23]
	v_perm_b32 v24, v25, v24, s4
	v_perm_b32 v25, v33, v32, s4
	v_cvt_pk_f32_fp8_e32 v[28:29], v7
	ds_read_b128 v[20:23], v14 offset:4096
	v_cvt_pk_f32_fp8_sdwa v[6:7], v7 src0_sel:WORD_1
	v_mfma_f32_16x16x16_bf16 v[10:13], v[16:17], v[30:31], v[10:13]
	v_perm_b32 v16, v29, v28, s4
	ds_read_b128 v[28:31], v14 offset:4112
	v_perm_b32 v17, v7, v6, s4
	s_waitcnt lgkmcnt(1)
	v_mfma_f32_16x16x16_bf16 v[10:13], v[24:25], v[20:21], v[10:13]
	v_cvt_pk_f32_fp8_e32 v[6:7], v8
	v_cvt_pk_f32_fp8_sdwa v[20:21], v8 src0_sel:WORD_1
	v_perm_b32 v6, v7, v6, s4
	v_mfma_f32_16x16x16_bf16 v[10:13], v[16:17], v[22:23], v[10:13]
	v_cvt_pk_f32_fp8_e32 v[16:17], v9
	v_perm_b32 v7, v21, v20, s4
	v_cvt_pk_f32_fp8_sdwa v[8:9], v9 src0_sel:WORD_1
	s_waitcnt vmcnt(0)
	v_cvt_pk_f32_fp8_e32 v[20:21], v2
	v_perm_b32 v16, v17, v16, s4
	v_cvt_pk_f32_fp8_sdwa v[22:23], v2 src0_sel:WORD_1
	v_perm_b32 v17, v9, v8, s4
	s_waitcnt lgkmcnt(0)
	v_mfma_f32_16x16x16_bf16 v[6:9], v[6:7], v[28:29], v[10:13]
	v_perm_b32 v20, v21, v20, s4
	v_perm_b32 v21, v23, v22, s4
	v_cvt_pk_f32_fp8_e32 v[22:23], v3
	ds_read_b128 v[10:13], v14 offset:6144
	v_cvt_pk_f32_fp8_sdwa v[2:3], v3 src0_sel:WORD_1
	v_mfma_f32_16x16x16_bf16 v[6:9], v[16:17], v[30:31], v[6:9]
	v_perm_b32 v22, v23, v22, s4
	ds_read_b128 v[14:17], v14 offset:6160
	v_perm_b32 v23, v3, v2, s4
	s_waitcnt lgkmcnt(1)
	v_mfma_f32_16x16x16_bf16 v[6:9], v[20:21], v[10:11], v[6:9]
	v_cvt_pk_f32_fp8_e32 v[2:3], v4
	v_cvt_pk_f32_fp8_sdwa v[10:11], v4 src0_sel:WORD_1
	s_waitcnt lgkmcnt(0)
	v_mfma_f32_16x16x16_bf16 v[6:9], v[22:23], v[12:13], v[6:9]
	v_perm_b32 v2, v3, v2, s4
	v_perm_b32 v3, v11, v10, s4
	v_cvt_pk_f32_fp8_e32 v[10:11], v5
	v_cvt_pk_f32_fp8_sdwa v[4:5], v5 src0_sel:WORD_1
	s_barrier
	v_perm_b32 v10, v11, v10, s4
	v_perm_b32 v11, v5, v4, s4
	v_mfma_f32_16x16x16_bf16 v[2:5], v[2:3], v[14:15], v[6:9]
	s_nop 0
	v_mfma_f32_16x16x16_bf16 v[2:5], v[10:11], v[16:17], v[2:5]
	s_nop 6
	v_pk_mul_f32 v[2:3], v[2:3], s[10:11] op_sel_hi:[1,0]
	v_pk_mul_f32 v[4:5], v[4:5], s[10:11] op_sel_hi:[1,0]
	v_bfe_u32 v6, v3, 16, 1
	v_bfe_u32 v7, v2, 16, 1
	v_add3_u32 v2, v2, v7, s8
	v_add3_u32 v3, v3, v6, s8
	v_perm_b32 v2, v3, v2, s4
	v_bfe_u32 v3, v5, 16, 1
	v_bfe_u32 v6, v4, 16, 1
	v_add3_u32 v4, v4, v6, s8
	v_add3_u32 v3, v5, v3, s8
	v_perm_b32 v3, v3, v4, s4
	s_and_b64 s[4:5], vcc, s[30:31]
	ds_write_b64 v18, v[2:3]
	s_waitcnt lgkmcnt(0)
	s_barrier
	s_and_saveexec_b64 s[8:9], s[4:5]
	s_cbranch_execz .LBB1218_20
; %bb.18:
	s_load_dwordx2 s[4:5], s[0:1], 0x68
	s_lshl_b32 s0, s6, 6
	s_mul_i32 s1, s7, s2
	s_mul_hi_u32 s7, s1, s0
	s_mul_i32 s6, s1, s0
	v_lshlrev_b32_e32 v0, 10, v0
	s_lshl_b64 s[6:7], s[6:7], 1
	v_and_b32_e32 v0, 0x1800, v0
	v_lshlrev_b32_e32 v2, 5, v42
	v_and_b32_e32 v1, 16, v1
	s_waitcnt lgkmcnt(0)
	s_add_u32 s1, s4, s6
	v_or3_b32 v2, v0, v2, v1
	s_addc_u32 s4, s5, s7
	s_lshl_b32 s2, s28, 6
	s_lshl_b64 s[2:3], s[2:3], 1
	ds_read_b128 v[4:7], v2 offset:128
	ds_read_b128 v[8:11], v2
	s_add_u32 s2, s1, s2
	s_addc_u32 s3, s4, s3
	v_add_u32_e32 v3, s48, v42
	v_lshl_add_u64 v[0:1], s[2:3], 0, v[26:27]
	v_mad_u64_u32 v[12:13], s[2:3], v3, s0, 0
	v_lshl_add_u64 v[12:13], v[12:13], 1, v[0:1]
	v_add_u32_e32 v3, 4, v3
	s_waitcnt lgkmcnt(0)
	global_store_dwordx4 v[12:13], v[8:11], off
	v_cmp_ne_u32_e32 vcc, 3, v42
	s_nop 0
	v_mad_u64_u32 v[8:9], s[2:3], v3, s0, 0
	v_lshl_add_u64 v[8:9], v[8:9], 1, v[0:1]
	global_store_dwordx4 v[8:9], v[4:7], off
	s_and_b64 exec, exec, vcc
	s_cbranch_execz .LBB1218_20
; %bb.19:
	ds_read_b128 v[2:5], v2 offset:256
	v_add3_u32 v6, s48, v42, 8
	v_mad_u64_u32 v[6:7], s[0:1], v6, s0, 0
	v_lshl_add_u64 v[0:1], v[6:7], 1, v[0:1]
	s_waitcnt lgkmcnt(0)
	global_store_dwordx4 v[0:1], v[2:5], off
.LBB1218_20:
	s_endpgm
	.section	.rodata,"a",@progbits
	.p2align	6, 0x0
	.amdhsa_kernel _Z39paged_attention_ll4mi_QKV_mfma16_kernelI14__hip_bfloat16hLN4vllm18Fp8KVCacheDataTypeE1ES0_Li32ELi64ELi256ELb1ELi11EEvPKT_PKT0_S8_ifPKiSA_SA_iPKfiiiPfSD_PS3_PT2_iSC_SC_
		.amdhsa_group_segment_fixed_size 8192
		.amdhsa_private_segment_fixed_size 0
		.amdhsa_kernarg_size 400
		.amdhsa_user_sgpr_count 2
		.amdhsa_user_sgpr_dispatch_ptr 0
		.amdhsa_user_sgpr_queue_ptr 0
		.amdhsa_user_sgpr_kernarg_segment_ptr 1
		.amdhsa_user_sgpr_dispatch_id 0
		.amdhsa_user_sgpr_kernarg_preload_length 0
		.amdhsa_user_sgpr_kernarg_preload_offset 0
		.amdhsa_user_sgpr_private_segment_size 0
		.amdhsa_uses_dynamic_stack 0
		.amdhsa_enable_private_segment 0
		.amdhsa_system_sgpr_workgroup_id_x 1
		.amdhsa_system_sgpr_workgroup_id_y 1
		.amdhsa_system_sgpr_workgroup_id_z 1
		.amdhsa_system_sgpr_workgroup_info 0
		.amdhsa_system_vgpr_workitem_id 0
		.amdhsa_next_free_vgpr 71
		.amdhsa_next_free_sgpr 50
		.amdhsa_accum_offset 72
		.amdhsa_reserve_vcc 1
		.amdhsa_float_round_mode_32 0
		.amdhsa_float_round_mode_16_64 0
		.amdhsa_float_denorm_mode_32 3
		.amdhsa_float_denorm_mode_16_64 3
		.amdhsa_dx10_clamp 1
		.amdhsa_ieee_mode 1
		.amdhsa_fp16_overflow 0
		.amdhsa_tg_split 0
		.amdhsa_exception_fp_ieee_invalid_op 0
		.amdhsa_exception_fp_denorm_src 0
		.amdhsa_exception_fp_ieee_div_zero 0
		.amdhsa_exception_fp_ieee_overflow 0
		.amdhsa_exception_fp_ieee_underflow 0
		.amdhsa_exception_fp_ieee_inexact 0
		.amdhsa_exception_int_div_zero 0
	.end_amdhsa_kernel
	.section	.text._Z39paged_attention_ll4mi_QKV_mfma16_kernelI14__hip_bfloat16hLN4vllm18Fp8KVCacheDataTypeE1ES0_Li32ELi64ELi256ELb1ELi11EEvPKT_PKT0_S8_ifPKiSA_SA_iPKfiiiPfSD_PS3_PT2_iSC_SC_,"axG",@progbits,_Z39paged_attention_ll4mi_QKV_mfma16_kernelI14__hip_bfloat16hLN4vllm18Fp8KVCacheDataTypeE1ES0_Li32ELi64ELi256ELb1ELi11EEvPKT_PKT0_S8_ifPKiSA_SA_iPKfiiiPfSD_PS3_PT2_iSC_SC_,comdat
.Lfunc_end1218:
	.size	_Z39paged_attention_ll4mi_QKV_mfma16_kernelI14__hip_bfloat16hLN4vllm18Fp8KVCacheDataTypeE1ES0_Li32ELi64ELi256ELb1ELi11EEvPKT_PKT0_S8_ifPKiSA_SA_iPKfiiiPfSD_PS3_PT2_iSC_SC_, .Lfunc_end1218-_Z39paged_attention_ll4mi_QKV_mfma16_kernelI14__hip_bfloat16hLN4vllm18Fp8KVCacheDataTypeE1ES0_Li32ELi64ELi256ELb1ELi11EEvPKT_PKT0_S8_ifPKiSA_SA_iPKfiiiPfSD_PS3_PT2_iSC_SC_
                                        ; -- End function
	.section	.AMDGPU.csdata,"",@progbits
; Kernel info:
; codeLenInByte = 5236
; NumSgprs: 56
; NumVgprs: 71
; NumAgprs: 0
; TotalNumVgprs: 71
; ScratchSize: 0
; MemoryBound: 0
; FloatMode: 240
; IeeeMode: 1
; LDSByteSize: 8192 bytes/workgroup (compile time only)
; SGPRBlocks: 6
; VGPRBlocks: 8
; NumSGPRsForWavesPerEU: 56
; NumVGPRsForWavesPerEU: 71
; AccumOffset: 72
; Occupancy: 7
; WaveLimiterHint : 1
; COMPUTE_PGM_RSRC2:SCRATCH_EN: 0
; COMPUTE_PGM_RSRC2:USER_SGPR: 2
; COMPUTE_PGM_RSRC2:TRAP_HANDLER: 0
; COMPUTE_PGM_RSRC2:TGID_X_EN: 1
; COMPUTE_PGM_RSRC2:TGID_Y_EN: 1
; COMPUTE_PGM_RSRC2:TGID_Z_EN: 1
; COMPUTE_PGM_RSRC2:TIDIG_COMP_CNT: 0
; COMPUTE_PGM_RSRC3_GFX90A:ACCUM_OFFSET: 17
; COMPUTE_PGM_RSRC3_GFX90A:TG_SPLIT: 0
	.section	.text._Z39paged_attention_ll4mi_QKV_mfma16_kernelI14__hip_bfloat16hLN4vllm18Fp8KVCacheDataTypeE1ES0_Li32ELi64ELi256ELb1ELi12EEvPKT_PKT0_S8_ifPKiSA_SA_iPKfiiiPfSD_PS3_PT2_iSC_SC_,"axG",@progbits,_Z39paged_attention_ll4mi_QKV_mfma16_kernelI14__hip_bfloat16hLN4vllm18Fp8KVCacheDataTypeE1ES0_Li32ELi64ELi256ELb1ELi12EEvPKT_PKT0_S8_ifPKiSA_SA_iPKfiiiPfSD_PS3_PT2_iSC_SC_,comdat
	.protected	_Z39paged_attention_ll4mi_QKV_mfma16_kernelI14__hip_bfloat16hLN4vllm18Fp8KVCacheDataTypeE1ES0_Li32ELi64ELi256ELb1ELi12EEvPKT_PKT0_S8_ifPKiSA_SA_iPKfiiiPfSD_PS3_PT2_iSC_SC_ ; -- Begin function _Z39paged_attention_ll4mi_QKV_mfma16_kernelI14__hip_bfloat16hLN4vllm18Fp8KVCacheDataTypeE1ES0_Li32ELi64ELi256ELb1ELi12EEvPKT_PKT0_S8_ifPKiSA_SA_iPKfiiiPfSD_PS3_PT2_iSC_SC_
	.globl	_Z39paged_attention_ll4mi_QKV_mfma16_kernelI14__hip_bfloat16hLN4vllm18Fp8KVCacheDataTypeE1ES0_Li32ELi64ELi256ELb1ELi12EEvPKT_PKT0_S8_ifPKiSA_SA_iPKfiiiPfSD_PS3_PT2_iSC_SC_
	.p2align	8
	.type	_Z39paged_attention_ll4mi_QKV_mfma16_kernelI14__hip_bfloat16hLN4vllm18Fp8KVCacheDataTypeE1ES0_Li32ELi64ELi256ELb1ELi12EEvPKT_PKT0_S8_ifPKiSA_SA_iPKfiiiPfSD_PS3_PT2_iSC_SC_,@function
_Z39paged_attention_ll4mi_QKV_mfma16_kernelI14__hip_bfloat16hLN4vllm18Fp8KVCacheDataTypeE1ES0_Li32ELi64ELi256ELb1ELi12EEvPKT_PKT0_S8_ifPKiSA_SA_iPKfiiiPfSD_PS3_PT2_iSC_SC_: ; @_Z39paged_attention_ll4mi_QKV_mfma16_kernelI14__hip_bfloat16hLN4vllm18Fp8KVCacheDataTypeE1ES0_Li32ELi64ELi256ELb1ELi12EEvPKT_PKT0_S8_ifPKiSA_SA_iPKfiiiPfSD_PS3_PT2_iSC_SC_
; %bb.0:
	s_load_dwordx2 s[6:7], s[0:1], 0x30
	s_mov_b32 s28, s3
	s_mov_b64 s[8:9], 0
	s_waitcnt lgkmcnt(0)
	s_cmp_lg_u64 s[6:7], 0
	s_cselect_b64 s[10:11], -1, 0
	s_and_b64 vcc, exec, s[10:11]
	s_cbranch_vccz .LBB1219_7
; %bb.1:
	s_add_i32 s12, s2, 1
	s_mov_b32 s13, 0
	s_lshl_b64 s[14:15], s[12:13], 2
	s_add_u32 s14, s6, s14
	s_mov_b32 s3, s13
	s_addc_u32 s15, s7, s15
	s_lshl_b64 s[12:13], s[2:3], 2
	s_add_u32 s12, s6, s12
	s_addc_u32 s13, s7, s13
	s_load_dword s5, s[14:15], 0x0
	s_load_dword s16, s[12:13], 0x0
	s_waitcnt lgkmcnt(0)
	s_sub_i32 s5, s5, s16
	s_cmp_eq_u32 s5, 1
	s_cselect_b64 s[12:13], -1, 0
	s_andn2_b64 vcc, exec, s[8:9]
	s_cbranch_vccnz .LBB1219_3
.LBB1219_2:
	s_mov_b32 s3, 0
	s_mov_b64 s[12:13], -1
.LBB1219_3:
	s_andn2_b64 vcc, exec, s[12:13]
	s_cbranch_vccnz .LBB1219_19
; %bb.4:
	s_load_dwordx2 s[8:9], s[0:1], 0x28
	s_lshl_b64 s[12:13], s[2:3], 2
	s_waitcnt lgkmcnt(0)
	s_add_u32 s8, s8, s12
	s_addc_u32 s9, s9, s13
	s_load_dword s29, s[8:9], 0x0
	s_lshl_b32 s16, s28, 8
	s_waitcnt lgkmcnt(0)
	s_cmp_ge_i32 s16, s29
	s_cbranch_scc1 .LBB1219_19
; %bb.5:
	s_load_dwordx2 s[8:9], s[0:1], 0x20
	s_load_dword s5, s[0:1], 0x38
	s_add_i32 s14, s29, 31
	s_ashr_i32 s15, s14, 31
	v_and_b32_e32 v1, 0xcf, v0
	s_lshr_b32 s15, s15, 27
	v_add_u32_e32 v1, s16, v1
	s_add_i32 s14, s14, s15
	v_ashrrev_i32_e32 v2, 31, v1
	s_ashr_i32 s17, s14, 5
	v_lshrrev_b32_e32 v4, 27, v2
	s_add_i32 s17, s17, -1
	s_waitcnt lgkmcnt(0)
	s_mul_i32 s14, s2, s5
	s_mov_b32 s15, 0
	v_add_u32_e32 v2, v1, v4
	s_lshl_b64 s[14:15], s[14:15], 2
	v_ashrrev_i32_e32 v2, 5, v2
	v_mov_b32_e32 v5, s17
	v_cmp_gt_i32_e32 vcc, s29, v1
	s_add_u32 s8, s8, s14
	s_addc_u32 s9, s9, s15
	v_cndmask_b32_e32 v2, v5, v2, vcc
	v_ashrrev_i32_e32 v3, 31, v2
	v_lshl_add_u64 v[6:7], v[2:3], 2, s[8:9]
	v_or_b32_e32 v2, 16, v1
	v_add_u32_e32 v3, v2, v4
	v_ashrrev_i32_e32 v3, 5, v3
	v_cmp_gt_i32_e32 vcc, s29, v2
	s_load_dwordx2 s[14:15], s[0:1], 0x8
	s_nop 0
	v_cndmask_b32_e32 v2, v5, v3, vcc
	v_ashrrev_i32_e32 v3, 31, v2
	v_lshl_add_u64 v[8:9], v[2:3], 2, s[8:9]
	v_or_b32_e32 v2, 32, v1
	v_add_u32_e32 v3, v2, v4
	v_ashrrev_i32_e32 v3, 5, v3
	v_cmp_gt_i32_e32 vcc, s29, v2
	v_or_b32_e32 v1, 48, v1
	s_nop 0
	v_cndmask_b32_e32 v2, v5, v3, vcc
	v_ashrrev_i32_e32 v3, 31, v2
	v_lshl_add_u64 v[10:11], v[2:3], 2, s[8:9]
	v_add_u32_e32 v2, v1, v4
	v_ashrrev_i32_e32 v2, 5, v2
	v_cmp_gt_i32_e32 vcc, s29, v1
	s_nop 1
	v_cndmask_b32_e32 v2, v5, v2, vcc
	v_ashrrev_i32_e32 v3, 31, v2
	v_lshl_add_u64 v[12:13], v[2:3], 2, s[8:9]
	global_load_dword v5, v[6:7], off
	global_load_dword v4, v[8:9], off
	;; [unrolled: 1-line block ×4, first 2 shown]
	s_andn2_b64 vcc, exec, s[10:11]
	s_cbranch_vccnz .LBB1219_8
; %bb.6:
	s_add_u32 s6, s6, s12
	s_addc_u32 s7, s7, s13
	s_load_dword s5, s[6:7], 0x0
	s_branch .LBB1219_9
.LBB1219_7:
	s_mov_b64 s[12:13], 0
	s_branch .LBB1219_2
.LBB1219_8:
	s_mov_b32 s5, s2
.LBB1219_9:
	s_load_dwordx2 s[10:11], s[0:1], 0x10
	s_load_dwordx4 s[44:47], s[0:1], 0x48
	v_and_b32_e32 v28, 15, v0
	s_movk_i32 s6, 0xc0
	v_lshlrev_b32_e32 v6, 3, v28
	v_cmp_gt_u32_e32 vcc, s6, v0
	v_cmp_gt_u32_e64 s[30:31], 8, v28
	v_lshrrev_b32_e32 v29, 6, v0
	v_bfe_u32 v1, v0, 4, 2
	s_mul_i32 s48, s4, 12
	s_and_b64 s[12:13], vcc, s[30:31]
	v_lshlrev_b32_e32 v26, 1, v6
	v_lshlrev_b32_e32 v42, 4, v0
	s_and_saveexec_b64 s[6:7], s[12:13]
	s_cbranch_execz .LBB1219_11
; %bb.10:
	s_load_dwordx2 s[12:13], s[0:1], 0x0
	s_waitcnt lgkmcnt(0)
	s_ashr_i32 s18, s44, 31
	s_mul_hi_u32 s19, s5, s44
	s_mul_i32 s18, s5, s18
	s_add_i32 s19, s19, s18
	s_mul_i32 s18, s5, s44
	v_lshl_or_b32 v10, v29, 2, v1
	s_lshl_b64 s[18:19], s[18:19], 1
	s_add_u32 s12, s12, s18
	v_add_lshl_u32 v6, v10, s48, 6
	s_addc_u32 s13, s13, s19
	v_ashrrev_i32_e32 v7, 31, v6
	v_lshl_add_u64 v[6:7], v[6:7], 1, s[12:13]
	v_mov_b32_e32 v27, 0
	v_lshl_add_u64 v[6:7], v[6:7], 0, v[26:27]
	global_load_dwordx4 v[6:9], v[6:7], off
	v_lshlrev_b32_e32 v12, 8, v28
	v_lshlrev_b32_e32 v10, 5, v10
	v_and_b32_e32 v11, 16, v42
	v_and_b32_e32 v12, 0xe00, v12
	v_or3_b32 v10, v12, v10, v11
	s_waitcnt vmcnt(0)
	ds_write_b128 v10, v[6:9]
.LBB1219_11:
	s_or_b64 exec, exec, s[6:7]
	s_waitcnt lgkmcnt(0)
	s_mul_i32 s12, s4, s46
	s_add_u32 s4, s14, s12
	s_addc_u32 s5, s15, 0
	v_mov_b32_e32 v31, 0
	v_mov_b64_e32 v[6:7], s[4:5]
	v_lshlrev_b32_e32 v10, 4, v28
	v_and_b32_e32 v27, 48, v0
	s_waitcnt vmcnt(3)
	v_mad_i64_i32 v[8:9], s[4:5], v5, s45, v[6:7]
	v_mov_b32_e32 v11, v31
	s_waitcnt vmcnt(2)
	v_mad_i64_i32 v[4:5], s[4:5], v4, s45, v[6:7]
	v_or_b32_e32 v12, 0x100, v10
	v_mov_b32_e32 v13, v31
	v_lshlrev_b32_e32 v30, 5, v27
	v_lshl_add_u64 v[8:9], v[8:9], 0, v[10:11]
	v_lshl_add_u64 v[4:5], v[4:5], 0, v[12:13]
	;; [unrolled: 1-line block ×4, first 2 shown]
	s_barrier
	global_load_dwordx4 v[22:25], v[8:9], off
	global_load_dwordx4 v[18:21], v[4:5], off
	s_waitcnt vmcnt(3)
	v_mad_i64_i32 v[4:5], s[4:5], v3, s45, v[6:7]
	v_lshl_add_u64 v[4:5], v[4:5], 0, v[10:11]
	s_waitcnt vmcnt(2)
	v_mad_i64_i32 v[2:3], s[4:5], v2, s45, v[6:7]
	v_lshl_add_u64 v[4:5], v[4:5], 0, v[30:31]
	v_lshl_add_u64 v[2:3], v[2:3], 0, v[12:13]
	;; [unrolled: 1-line block ×3, first 2 shown]
	global_load_dwordx4 v[14:17], v[4:5], off
	global_load_dwordx4 v[6:9], v[2:3], off
	v_add_u32_e32 v2, -12, v28
	v_cmp_gt_u32_e32 vcc, 12, v28
	v_and_b32_e32 v43, 63, v0
	v_mov_b32_e32 v44, 0
	v_cndmask_b32_e32 v2, v2, v28, vcc
	v_lshlrev_b32_e32 v2, 5, v2
	v_lshl_add_u32 v2, v1, 9, v2
	ds_read_b128 v[10:13], v2
	ds_read_b128 v[2:5], v2 offset:16
	s_and_saveexec_b64 s[4:5], vcc
	s_cbranch_execz .LBB1219_13
; %bb.12:
	s_load_dwordx2 s[6:7], s[0:1], 0x40
	v_add_u32_e32 v32, s48, v28
	v_ashrrev_i32_e32 v33, 31, v32
	s_waitcnt lgkmcnt(0)
	v_lshl_add_u64 v[32:33], v[32:33], 2, s[6:7]
	global_load_dword v44, v[32:33], off
.LBB1219_13:
	s_or_b64 exec, exec, s[4:5]
	s_ashr_i32 s4, s16, 31
	v_or_b32_e32 v45, s16, v27
	s_lshr_b32 s13, s4, 27
	v_add_u32_e32 v27, s13, v45
	v_ashrrev_i32_e32 v27, 5, v27
	s_waitcnt vmcnt(3)
	v_cvt_pk_f32_fp8_e32 v[34:35], v22
	v_cvt_pk_f32_fp8_sdwa v[36:37], v22 src0_sel:WORD_1
	s_waitcnt vmcnt(2)
	v_cvt_pk_f32_fp8_e32 v[56:57], v20
	v_cvt_pk_f32_fp8_sdwa v[58:59], v20 src0_sel:WORD_1
	v_mov_b32_e32 v20, s17
	v_cmp_gt_i32_e32 vcc, s29, v45
	v_cvt_pk_f32_fp8_e32 v[48:49], v18
	v_cvt_pk_f32_fp8_sdwa v[50:51], v18 src0_sel:WORD_1
	v_cndmask_b32_e32 v18, v20, v27, vcc
	v_cvt_pk_f32_fp8_e32 v[52:53], v19
	v_cvt_pk_f32_fp8_sdwa v[54:55], v19 src0_sel:WORD_1
	v_ashrrev_i32_e32 v19, 31, v18
	v_lshl_add_u64 v[18:19], v[18:19], 2, s[8:9]
	s_mov_b32 s33, 0x7060302
	v_cvt_pk_f32_fp8_e32 v[32:33], v23
	v_cvt_pk_f32_fp8_sdwa v[22:23], v23 src0_sel:WORD_1
	global_load_dword v70, v[18:19], off
	v_perm_b32 v18, v35, v34, s33
	v_perm_b32 v19, v37, v36, s33
	v_cvt_pk_f32_fp8_e32 v[60:61], v21
	v_cvt_pk_f32_fp8_sdwa v[62:63], v21 src0_sel:WORD_1
	v_or_b32_e32 v21, 64, v45
	v_or_b32_e32 v34, 0x80, v45
	;; [unrolled: 1-line block ×3, first 2 shown]
	v_cmp_gt_i32_e32 vcc, s29, v21
	v_add_u32_e32 v21, s13, v21
	v_cmp_gt_i32_e64 s[4:5], s29, v34
	v_add_u32_e32 v34, s13, v34
	v_cmp_gt_i32_e64 s[6:7], s29, v35
	v_add_u32_e32 v35, s13, v35
	v_cvt_pk_f32_fp8_e32 v[38:39], v24
	v_cvt_pk_f32_fp8_sdwa v[40:41], v24 src0_sel:WORD_1
	v_cvt_pk_f32_fp8_e32 v[46:47], v25
	v_ashrrev_i32_e32 v21, 5, v21
	v_ashrrev_i32_e32 v34, 5, v34
	;; [unrolled: 1-line block ×3, first 2 shown]
	v_perm_b32 v32, v33, v32, s33
	v_perm_b32 v33, v23, v22, s33
	;; [unrolled: 1-line block ×4, first 2 shown]
	v_cvt_pk_f32_fp8_sdwa v[24:25], v25 src0_sel:WORD_1
	v_cndmask_b32_e32 v36, v20, v21, vcc
	v_cndmask_b32_e64 v64, v20, v34, s[4:5]
	v_cndmask_b32_e64 v66, v20, v35, s[6:7]
	s_waitcnt lgkmcnt(1)
	v_mfma_f32_16x16x16_bf16 v[18:21], v[18:19], v[10:11], 0
	v_perm_b32 v38, v39, v38, s33
	v_perm_b32 v39, v41, v40, s33
	v_perm_b32 v68, v47, v46, s33
	v_perm_b32 v46, v53, v52, s33
	v_perm_b32 v47, v55, v54, s33
	s_load_dword s14, s[0:1], 0x1c
	s_load_dwordx4 s[40:43], s[0:1], 0x80
	v_perm_b32 v69, v25, v24, s33
	v_mfma_f32_16x16x16_bf16 v[22:25], v[22:23], v[10:11], 0
	s_add_u32 s10, s10, s12
	v_and_b32_e32 v30, 16, v0
	v_lshlrev_b32_e32 v27, 5, v28
	v_mfma_f32_16x16x16_bf16 v[32:35], v[32:33], v[12:13], v[18:21]
	s_addc_u32 s11, s11, 0
	v_lshl_add_u64 v[40:41], s[10:11], 0, v[30:31]
	v_lshl_or_b32 v30, v29, 9, v27
	v_ashrrev_i32_e32 v37, 31, v36
	v_ashrrev_i32_e32 v65, 31, v64
	;; [unrolled: 1-line block ×3, first 2 shown]
	v_perm_b32 v48, v57, v56, s33
	v_perm_b32 v49, v59, v58, s33
	v_mfma_f32_16x16x16_bf16 v[20:23], v[46:47], v[12:13], v[22:25]
	v_lshl_add_u64 v[18:19], v[40:41], 0, v[30:31]
	s_waitcnt lgkmcnt(0)
	s_load_dword s6, s[40:41], 0x0
	v_perm_b32 v50, v61, v60, s33
	v_mfma_f32_16x16x16_bf16 v[30:33], v[38:39], v[2:3], v[32:35]
	v_lshl_add_u64 v[24:25], v[36:37], 2, s[8:9]
	v_lshl_add_u64 v[36:37], v[66:67], 2, s[8:9]
	v_perm_b32 v51, v63, v62, s33
	v_lshl_add_u64 v[34:35], v[64:65], 2, s[8:9]
	global_load_dword v47, v[24:25], off
	global_load_dword v45, v[34:35], off
	global_load_dword v46, v[36:37], off
	s_waitcnt vmcnt(5)
	v_cvt_pk_f32_fp8_e32 v[34:35], v14
	v_cvt_pk_f32_fp8_sdwa v[36:37], v14 src0_sel:WORD_1
	v_mfma_f32_16x16x16_bf16 v[20:23], v[48:49], v[2:3], v[20:23]
	v_cvt_pk_f32_fp8_e32 v[38:39], v15
	v_perm_b32 v34, v35, v34, s33
	v_perm_b32 v35, v37, v36, s33
	v_cvt_pk_f32_fp8_sdwa v[14:15], v15 src0_sel:WORD_1
	v_mov_b32_e32 v40, s14
	s_waitcnt lgkmcnt(0)
	v_mul_f32_e32 v48, s6, v40
	v_mfma_f32_16x16x16_bf16 v[20:23], v[50:51], v[4:5], v[20:23]
	v_perm_b32 v38, v39, v38, s33
	v_cvt_pk_f32_fp8_e32 v[40:41], v16
	v_cvt_pk_f32_fp8_sdwa v[50:51], v16 src0_sel:WORD_1
	v_perm_b32 v39, v15, v14, s33
	v_mfma_f32_16x16x16_bf16 v[34:37], v[34:35], v[10:11], 0
	v_perm_b32 v40, v41, v40, s33
	v_perm_b32 v41, v51, v50, s33
	v_cvt_pk_f32_fp8_e32 v[50:51], v17
	v_cvt_pk_f32_fp8_sdwa v[52:53], v17 src0_sel:WORD_1
	v_mfma_f32_16x16x16_bf16 v[30:33], v[68:69], v[4:5], v[30:33]
	s_mov_b32 s44, 0xff7fffff
	s_waitcnt vmcnt(3)
	v_mad_i64_i32 v[24:25], s[4:5], v70, s45, v[18:19]
	v_mfma_f32_16x16x16_bf16 v[14:17], v[38:39], v[12:13], v[34:37]
	s_nop 2
	v_perm_b32 v34, v51, v50, s33
	v_perm_b32 v35, v53, v52, s33
	v_mfma_f32_16x16x16_bf16 v[14:17], v[40:41], v[2:3], v[14:17]
	v_pk_mul_f32 v[38:39], v[48:49], v[30:31] op_sel_hi:[0,1]
	v_cvt_pk_f32_fp8_e32 v[30:31], v6
	v_cvt_pk_f32_fp8_sdwa v[36:37], v6 src0_sel:WORD_1
	v_mfma_f32_16x16x16_bf16 v[14:17], v[34:35], v[4:5], v[14:17]
	v_cvt_pk_f32_fp8_e32 v[34:35], v7
	v_perm_b32 v30, v31, v30, s33
	v_perm_b32 v31, v37, v36, s33
	v_cvt_pk_f32_fp8_sdwa v[6:7], v7 src0_sel:WORD_1
	v_perm_b32 v40, v35, v34, s33
	v_cvt_pk_f32_fp8_e32 v[50:51], v8
	v_cvt_pk_f32_fp8_sdwa v[52:53], v8 src0_sel:WORD_1
	v_perm_b32 v41, v7, v6, s33
	v_mfma_f32_16x16x16_bf16 v[34:37], v[30:31], v[10:11], 0
	v_perm_b32 v10, v51, v50, s33
	v_perm_b32 v11, v53, v52, s33
	v_cvt_pk_f32_fp8_e32 v[30:31], v9
	v_cvt_pk_f32_fp8_sdwa v[50:51], v9 src0_sel:WORD_1
	v_mfma_f32_16x16x16_bf16 v[6:9], v[40:41], v[12:13], v[34:37]
	v_pk_mul_f32 v[40:41], v[48:49], v[20:21] op_sel_hi:[0,1]
	v_perm_b32 v12, v31, v30, s33
	v_perm_b32 v13, v51, v50, s33
	v_mfma_f32_16x16x16_bf16 v[6:9], v[10:11], v[2:3], v[6:9]
	v_pk_mul_f32 v[36:37], v[48:49], v[22:23] op_sel_hi:[0,1]
	v_pk_mul_f32 v[32:33], v[48:49], v[32:33] op_sel_hi:[0,1]
	;; [unrolled: 1-line block ×3, first 2 shown]
	v_mfma_f32_16x16x16_bf16 v[2:5], v[12:13], v[4:5], v[6:9]
	v_pk_mul_f32 v[34:35], v[48:49], v[14:15] op_sel_hi:[0,1]
	s_nop 5
	v_pk_mul_f32 v[22:23], v[48:49], v[2:3] op_sel_hi:[0,1]
	v_and_b32_e32 v2, 0xc0, v0
	v_add_u32_e32 v2, s16, v2
	v_lshl_or_b32 v2, v1, 2, v2
	v_or_b32_e32 v3, 1, v2
	v_pk_mul_f32 v[20:21], v[48:49], v[4:5] op_sel_hi:[0,1]
	v_subrev_u32_e32 v4, s29, v3
	v_add_u32_e32 v6, 1, v4
	v_add_u32_e32 v7, 2, v4
	;; [unrolled: 1-line block ×3, first 2 shown]
	v_cvt_f32_i32_e32 v6, v6
	v_cvt_f32_i32_e32 v7, v7
	;; [unrolled: 1-line block ×3, first 2 shown]
	v_add_u32_e32 v9, 19, v4
	v_fmac_f32_e32 v39, v44, v6
	v_fma_f32 v32, v44, v7, v32
	v_fmac_f32_e32 v33, v44, v8
	v_add_u32_e32 v6, 16, v4
	v_add_u32_e32 v7, 17, v4
	;; [unrolled: 1-line block ×3, first 2 shown]
	v_cvt_f32_i32_e32 v6, v6
	v_cvt_f32_i32_e32 v7, v7
	;; [unrolled: 1-line block ×4, first 2 shown]
	v_fma_f32 v40, v44, v6, v40
	v_fmac_f32_e32 v41, v44, v7
	v_fma_f32 v36, v44, v8, v36
	v_add_u32_e32 v6, 32, v4
	v_add_u32_e32 v7, 33, v4
	;; [unrolled: 1-line block ×3, first 2 shown]
	v_cvt_f32_i32_e32 v6, v6
	v_cvt_f32_i32_e32 v7, v7
	;; [unrolled: 1-line block ×4, first 2 shown]
	v_fmac_f32_e32 v37, v44, v9
	v_add_u32_e32 v9, 35, v4
	v_fma_f32 v48, v44, v6, v34
	v_fmac_f32_e32 v35, v44, v7
	v_fma_f32 v30, v44, v8, v30
	v_add_u32_e32 v6, 48, v4
	v_add_u32_e32 v7, 49, v4
	;; [unrolled: 1-line block ×4, first 2 shown]
	v_cvt_f32_i32_e32 v4, v4
	v_cvt_f32_i32_e32 v6, v6
	;; [unrolled: 1-line block ×3, first 2 shown]
	v_fma_f32 v5, v44, v5, v38
	v_fmac_f32_e32 v21, v44, v4
	v_mov_b32_e32 v4, 0xff7fffff
	v_cmp_gt_i32_e64 s[4:5], s29, v2
	v_cmp_gt_i32_e64 s[34:35], s29, v3
	v_fma_f32 v22, v44, v6, v22
	v_cndmask_b32_e64 v6, v4, v5, s[4:5]
	v_cndmask_b32_e64 v3, v4, v39, s[34:35]
	v_fmac_f32_e32 v23, v44, v7
	v_max3_f32 v3, v6, s44, v3
	v_or_b32_e32 v6, 2, v2
	v_or_b32_e32 v7, 3, v2
	v_cmp_gt_i32_e64 s[36:37], s29, v6
	v_cmp_gt_i32_e64 s[38:39], s29, v7
	v_cvt_f32_i32_e32 v9, v9
	v_cndmask_b32_e64 v6, v4, v32, s[36:37]
	v_cndmask_b32_e64 v7, v4, v33, s[38:39]
	v_max3_f32 v3, v3, v6, v7
	v_or_b32_e32 v6, 16, v2
	v_or_b32_e32 v7, 17, v2
	v_cmp_gt_i32_e64 s[24:25], s29, v6
	v_cmp_gt_i32_e64 s[26:27], s29, v7
	v_fmac_f32_e32 v31, v44, v9
	v_cndmask_b32_e64 v6, v4, v40, s[24:25]
	v_cndmask_b32_e64 v7, v4, v41, s[26:27]
	v_max3_f32 v3, v3, v6, v7
	v_or_b32_e32 v6, 18, v2
	v_or_b32_e32 v7, 19, v2
	v_cmp_gt_i32_e64 s[20:21], s29, v6
	v_cmp_gt_i32_e64 s[22:23], s29, v7
	v_cvt_f32_i32_e32 v8, v8
	v_cndmask_b32_e64 v6, v4, v36, s[20:21]
	v_cndmask_b32_e64 v7, v4, v37, s[22:23]
	v_max3_f32 v3, v3, v6, v7
	v_or_b32_e32 v6, 32, v2
	v_or_b32_e32 v7, 33, v2
	v_cmp_gt_i32_e64 s[16:17], s29, v6
	v_cmp_gt_i32_e64 s[18:19], s29, v7
	v_fma_f32 v20, v44, v8, v20
	v_cndmask_b32_e64 v6, v4, v48, s[16:17]
	v_cndmask_b32_e64 v7, v4, v35, s[18:19]
	v_max3_f32 v3, v3, v6, v7
	v_or_b32_e32 v6, 34, v2
	v_or_b32_e32 v7, 35, v2
	v_cmp_gt_i32_e64 s[12:13], s29, v6
	v_cmp_gt_i32_e64 s[14:15], s29, v7
	s_nop 0
	v_cndmask_b32_e64 v6, v4, v30, s[12:13]
	v_cndmask_b32_e64 v7, v4, v31, s[14:15]
	v_max3_f32 v3, v3, v6, v7
	v_or_b32_e32 v6, 48, v2
	v_or_b32_e32 v7, 49, v2
	v_cmp_gt_i32_e64 s[8:9], s29, v6
	v_cmp_gt_i32_e64 s[10:11], s29, v7
	s_nop 0
	v_cndmask_b32_e64 v6, v4, v22, s[8:9]
	v_cndmask_b32_e64 v7, v4, v23, s[10:11]
	v_max3_f32 v3, v3, v6, v7
	v_or_b32_e32 v6, 50, v2
	v_or_b32_e32 v2, 51, v2
	v_cmp_gt_i32_e32 vcc, s29, v6
	v_cmp_gt_i32_e64 s[6:7], s29, v2
	s_nop 0
	v_cndmask_b32_e32 v6, v4, v20, vcc
	v_cndmask_b32_e64 v2, v4, v21, s[6:7]
	v_max3_f32 v4, v3, v6, v2
	v_mbcnt_lo_u32_b32 v2, -1, 0
	v_mbcnt_hi_u32_b32 v6, -1, v2
	v_and_b32_e32 v2, 64, v6
	v_add_u32_e32 v7, 64, v2
	v_xor_b32_e32 v2, 32, v6
	v_cmp_lt_i32_e64 s[40:41], v2, v7
	s_nop 1
	v_cndmask_b32_e64 v2, v6, v2, s[40:41]
	v_lshlrev_b32_e32 v44, 2, v2
	ds_bpermute_b32 v8, v44, v4
	s_waitcnt vmcnt(2)
	v_mad_i64_i32 v[2:3], s[40:41], v47, s45, v[18:19]
	global_load_dwordx4 v[14:17], v[24:25], off
	global_load_dwordx4 v[10:13], v[2:3], off
	v_xor_b32_e32 v3, 16, v6
	v_cmp_lt_i32_e64 s[40:41], v3, v7
	s_waitcnt lgkmcnt(0)
	v_max_f32_e32 v2, v8, v8
	v_max_f32_e32 v2, v4, v2
	v_cndmask_b32_e64 v3, v6, v3, s[40:41]
	v_lshlrev_b32_e32 v47, 2, v3
	ds_bpermute_b32 v3, v47, v2
	s_waitcnt vmcnt(3)
	v_mad_i64_i32 v[24:25], s[40:41], v45, s45, v[18:19]
	s_waitcnt vmcnt(2)
	v_mad_i64_i32 v[18:19], s[40:41], v46, s45, v[18:19]
	s_waitcnt lgkmcnt(0)
	v_max_f32_e32 v3, v3, v3
	v_max_f32_e32 v34, v2, v3
	v_sub_f32_e32 v2, v5, v34
	v_mul_f32_e32 v2, 0x3fb8aa3b, v2
	v_exp_f32_e32 v38, v2
	v_sub_f32_e32 v2, v39, v34
	v_mul_f32_e32 v2, 0x3fb8aa3b, v2
	v_exp_f32_e32 v39, v2
	global_load_dwordx4 v[6:9], v[24:25], off
	global_load_dwordx4 v[2:5], v[18:19], off
	v_sub_f32_e32 v25, v32, v34
	v_sub_f32_e32 v32, v33, v34
	v_mul_f32_e32 v25, 0x3fb8aa3b, v25
	v_mul_f32_e32 v32, 0x3fb8aa3b, v32
	v_exp_f32_e32 v25, v25
	v_exp_f32_e32 v32, v32
	v_cndmask_b32_e64 v18, 0, v38, s[4:5]
	v_cndmask_b32_e64 v19, 0, v39, s[34:35]
	;; [unrolled: 1-line block ×4, first 2 shown]
	v_sub_f32_e32 v25, v40, v34
	v_sub_f32_e32 v32, v41, v34
	v_mul_f32_e32 v25, 0x3fb8aa3b, v25
	v_mul_f32_e32 v32, 0x3fb8aa3b, v32
	v_exp_f32_e32 v25, v25
	v_exp_f32_e32 v32, v32
	v_add_f32_e32 v24, 0, v18
	v_add_f32_e32 v24, v24, v19
	;; [unrolled: 1-line block ×4, first 2 shown]
	v_cndmask_b32_e64 v24, 0, v25, s[24:25]
	v_cndmask_b32_e64 v25, 0, v32, s[26:27]
	v_sub_f32_e32 v32, v36, v34
	v_mul_f32_e32 v32, 0x3fb8aa3b, v32
	v_exp_f32_e32 v32, v32
	v_sub_f32_e32 v36, v37, v34
	v_add_f32_e32 v33, v33, v24
	v_mul_f32_e32 v36, 0x3fb8aa3b, v36
	v_exp_f32_e32 v37, v36
	v_add_f32_e32 v33, v33, v25
	v_cndmask_b32_e64 v36, 0, v32, s[20:21]
	v_add_f32_e32 v32, v33, v36
	v_sub_f32_e32 v33, v48, v34
	v_mul_f32_e32 v33, 0x3fb8aa3b, v33
	v_sub_f32_e32 v35, v35, v34
	v_exp_f32_e32 v33, v33
	v_mul_f32_e32 v35, 0x3fb8aa3b, v35
	v_sub_f32_e32 v30, v30, v34
	v_exp_f32_e32 v35, v35
	;; [unrolled: 3-line block ×3, first 2 shown]
	v_mul_f32_e32 v31, 0x3fb8aa3b, v31
	v_sub_f32_e32 v22, v22, v34
	v_cndmask_b32_e64 v37, 0, v37, s[22:23]
	v_exp_f32_e32 v31, v31
	v_mul_f32_e32 v22, 0x3fb8aa3b, v22
	v_sub_f32_e32 v23, v23, v34
	v_add_f32_e32 v40, v32, v37
	v_cndmask_b32_e64 v32, 0, v33, s[16:17]
	v_exp_f32_e32 v22, v22
	v_mul_f32_e32 v23, 0x3fb8aa3b, v23
	v_sub_f32_e32 v20, v20, v34
	v_add_f32_e32 v40, v40, v32
	;; [unrolled: 5-line block ×3, first 2 shown]
	v_cndmask_b32_e64 v30, 0, v30, s[12:13]
	v_exp_f32_e32 v20, v20
	v_mul_f32_e32 v21, 0x3fb8aa3b, v21
	v_add_f32_e32 v35, v35, v30
	v_cndmask_b32_e64 v31, 0, v31, s[14:15]
	v_exp_f32_e32 v21, v21
	v_add_f32_e32 v35, v35, v31
	v_cndmask_b32_e64 v22, 0, v22, s[8:9]
	v_add_f32_e32 v35, v35, v22
	v_cndmask_b32_e64 v23, 0, v23, s[10:11]
	v_add_f32_e32 v35, v35, v23
	v_cndmask_b32_e32 v20, 0, v20, vcc
	v_add_f32_e32 v35, v35, v20
	v_cndmask_b32_e64 v21, 0, v21, s[6:7]
	v_add_f32_e32 v35, v35, v21
	ds_bpermute_b32 v40, v44, v35
	s_load_dword s7, s[0:1], 0x98
	v_cmp_gt_u32_e32 vcc, 16, v43
	s_waitcnt lgkmcnt(0)
	s_barrier
	v_add_f32_e32 v40, v35, v40
	ds_bpermute_b32 v41, v47, v40
	v_lshlrev_b32_e32 v35, 2, v28
	s_waitcnt lgkmcnt(0)
	s_and_saveexec_b64 s[4:5], vcc
	s_cbranch_execz .LBB1219_15
; %bb.14:
	v_add_f32_e32 v40, v40, v41
	v_lshl_or_b32 v41, v29, 6, v35
	ds_write2st64_b32 v41, v34, v40 offset1:1
.LBB1219_15:
	s_or_b64 exec, exec, s[4:5]
	s_load_dword s6, s[0:1], 0x94
	s_waitcnt lgkmcnt(0)
	s_barrier
	ds_read2_b32 v[40:41], v35 offset1:16
	ds_read2_b32 v[44:45], v35 offset0:32 offset1:48
	ds_read2_b32 v[46:47], v35 offset0:64 offset1:80
	s_movk_i32 s8, 0x7fff
	s_mul_i32 s7, s7, 12
	s_waitcnt lgkmcnt(2)
	v_max3_f32 v34, v40, s44, v41
	s_waitcnt lgkmcnt(1)
	v_max3_f32 v34, v34, v44, v45
	v_sub_f32_e32 v40, v40, v34
	v_mul_f32_e32 v40, 0x3fb8aa3b, v40
	v_exp_f32_e32 v43, v40
	v_sub_f32_e32 v40, v41, v34
	v_mul_f32_e32 v40, 0x3fb8aa3b, v40
	v_exp_f32_e32 v48, v40
	;; [unrolled: 3-line block ×3, first 2 shown]
	ds_read2_b32 v[40:41], v35 offset0:96 offset1:112
	v_sub_f32_e32 v35, v45, v34
	v_mul_f32_e32 v35, 0x3fb8aa3b, v35
	v_exp_f32_e32 v45, v35
	s_waitcnt lgkmcnt(1)
	v_fma_f32 v35, v43, v46, 0
	v_fmac_f32_e32 v35, v48, v47
	s_waitcnt lgkmcnt(0)
	v_fmac_f32_e32 v35, v44, v40
	v_fmac_f32_e32 v35, v45, v41
	v_add_f32_e32 v40, 0x358637bd, v35
	v_div_scale_f32 v41, s[4:5], v40, v40, 1.0
	v_rcp_f32_e32 v46, v41
	s_barrier
	v_fma_f32 v47, -v41, v46, 1.0
	v_fmac_f32_e32 v46, v47, v46
	v_div_scale_f32 v47, vcc, 1.0, v40, 1.0
	v_mul_f32_e32 v49, v47, v46
	v_fma_f32 v50, -v41, v49, v47
	v_fmac_f32_e32 v49, v50, v46
	v_fma_f32 v41, -v41, v49, v47
	v_div_fmas_f32 v41, v41, v46, v49
	v_cmp_eq_u32_e32 vcc, 1, v29
	v_div_fixup_f32 v40, v41, v40, 1.0
	s_nop 0
	v_cndmask_b32_e32 v41, v43, v48, vcc
	v_cmp_eq_u32_e32 vcc, 2, v29
	s_nop 1
	v_cndmask_b32_e32 v41, v41, v44, vcc
	v_cmp_eq_u32_e32 vcc, 3, v29
	s_nop 1
	v_cndmask_b32_e32 v41, v41, v45, vcc
	v_mul_f32_e32 v40, v41, v40
	v_pk_mul_f32 v[18:19], v[40:41], v[18:19] op_sel_hi:[0,1]
	v_pk_mul_f32 v[38:39], v[40:41], v[38:39] op_sel_hi:[0,1]
	v_bfe_u32 v41, v19, 16, 1
	v_bfe_u32 v43, v18, 16, 1
	v_add3_u32 v18, v18, v43, s8
	v_add3_u32 v19, v19, v41, s8
	v_perm_b32 v44, v19, v18, s33
	v_bfe_u32 v18, v39, 16, 1
	v_bfe_u32 v19, v38, 16, 1
	v_add3_u32 v19, v38, v19, s8
	v_add3_u32 v18, v39, v18, s8
	v_perm_b32 v45, v18, v19, s33
	v_lshlrev_b32_e32 v18, 3, v1
	v_lshlrev_b32_e32 v19, 11, v29
	v_pk_mul_f32 v[24:25], v[40:41], v[24:25] op_sel_hi:[0,1]
	v_or3_b32 v18, v19, v27, v18
	v_bfe_u32 v19, v25, 16, 1
	v_bfe_u32 v29, v24, 16, 1
	v_pk_mul_f32 v[36:37], v[40:41], v[36:37] op_sel_hi:[0,1]
	v_add3_u32 v24, v24, v29, s8
	v_add3_u32 v19, v25, v19, s8
	v_perm_b32 v24, v19, v24, s33
	v_bfe_u32 v19, v37, 16, 1
	v_bfe_u32 v25, v36, 16, 1
	v_add3_u32 v25, v36, v25, s8
	v_add3_u32 v19, v37, v19, s8
	v_perm_b32 v25, v19, v25, s33
	ds_write2st64_b64 v18, v[44:45], v[24:25] offset1:1
	v_pk_mul_f32 v[24:25], v[40:41], v[30:31] op_sel_hi:[0,1]
	v_pk_mul_f32 v[30:31], v[40:41], v[32:33] op_sel_hi:[0,1]
	v_bfe_u32 v19, v31, 16, 1
	v_bfe_u32 v29, v30, 16, 1
	v_add3_u32 v29, v30, v29, s8
	v_add3_u32 v19, v31, v19, s8
	v_perm_b32 v30, v19, v29, s33
	v_bfe_u32 v19, v25, 16, 1
	v_bfe_u32 v29, v24, 16, 1
	v_add3_u32 v24, v24, v29, s8
	v_add3_u32 v19, v25, v19, s8
	v_pk_mul_f32 v[22:23], v[40:41], v[22:23] op_sel_hi:[0,1]
	v_perm_b32 v31, v19, v24, s33
	v_bfe_u32 v19, v23, 16, 1
	v_bfe_u32 v24, v22, 16, 1
	v_pk_mul_f32 v[20:21], v[40:41], v[20:21] op_sel_hi:[0,1]
	v_add3_u32 v22, v22, v24, s8
	v_add3_u32 v19, v23, v19, s8
	v_perm_b32 v22, v19, v22, s33
	v_bfe_u32 v19, v21, 16, 1
	v_bfe_u32 v23, v20, 16, 1
	v_add3_u32 v20, v20, v23, s8
	v_add3_u32 v19, v21, v19, s8
	v_perm_b32 v23, v19, v20, s33
	v_cmp_gt_u32_e32 vcc, 12, v0
	ds_write2st64_b64 v18, v[30:31], v[22:23] offset0:2 offset1:3
	s_and_saveexec_b64 s[4:5], vcc
	s_cbranch_execz .LBB1219_17
; %bb.16:
	s_mov_b32 s49, 0
	v_mov_b32_e32 v29, 0
	v_lshl_add_u64 v[20:21], s[48:49], 0, v[28:29]
	v_mov_b32_e32 v19, s7
	v_mad_u64_u32 v[20:21], s[10:11], s2, v19, v[20:21]
	s_mul_i32 s3, s3, s7
	v_mov_b32_e32 v28, s28
	s_load_dwordx4 s[12:15], s[0:1], 0x58
	v_add_u32_e32 v19, s3, v21
	v_mad_u64_u32 v[20:21], s[10:11], v20, s6, v[28:29]
	v_mov_b32_e32 v22, v21
	v_mad_u64_u32 v[22:23], s[10:11], v19, s6, v[22:23]
	v_mov_b32_e32 v21, v22
	v_lshlrev_b64 v[20:21], 2, v[20:21]
	s_waitcnt lgkmcnt(0)
	v_lshl_add_u64 v[22:23], s[14:15], 0, v[20:21]
	v_lshl_add_u64 v[20:21], s[12:13], 0, v[20:21]
	global_store_dword v[22:23], v34, off
	global_store_dword v[20:21], v35, off
.LBB1219_17:
	s_or_b64 exec, exec, s[4:5]
	s_waitcnt vmcnt(3)
	v_cvt_pk_f32_fp8_e32 v[20:21], v14
	v_cvt_pk_f32_fp8_sdwa v[22:23], v14 src0_sel:WORD_1
	s_mov_b32 s4, 0x7060302
	v_lshl_or_b32 v14, v1, 9, v27
	s_waitcnt lgkmcnt(0)
	s_barrier
	v_perm_b32 v24, v21, v20, s4
	v_perm_b32 v25, v23, v22, s4
	v_cvt_pk_f32_fp8_e32 v[28:29], v15
	ds_read_b128 v[20:23], v14
	v_cvt_pk_f32_fp8_sdwa v[36:37], v15 src0_sel:WORD_1
	s_load_dword s10, s[42:43], 0x0
	v_perm_b32 v38, v29, v28, s4
	ds_read_b128 v[28:31], v14 offset:16
	v_perm_b32 v39, v37, v36, s4
	s_waitcnt lgkmcnt(0)
	v_mfma_f32_16x16x16_bf16 v[32:35], v[24:25], v[20:21], 0
	v_cvt_pk_f32_fp8_e32 v[24:25], v16
	v_cvt_pk_f32_fp8_sdwa v[36:37], v16 src0_sel:WORD_1
	v_cmp_gt_u32_e32 vcc, 64, v0
	v_mfma_f32_16x16x16_bf16 v[20:23], v[38:39], v[22:23], v[32:35]
	v_perm_b32 v24, v25, v24, s4
	v_perm_b32 v25, v37, v36, s4
	s_mov_b32 s3, 0
	v_cvt_pk_f32_fp8_e32 v[32:33], v17
	v_cvt_pk_f32_fp8_sdwa v[16:17], v17 src0_sel:WORD_1
	s_waitcnt vmcnt(2)
	v_cvt_pk_f32_fp8_sdwa v[34:35], v10 src0_sel:WORD_1
	v_mfma_f32_16x16x16_bf16 v[20:23], v[24:25], v[28:29], v[20:23]
	v_perm_b32 v36, v33, v32, s4
	v_cvt_pk_f32_fp8_e32 v[32:33], v10
	v_perm_b32 v37, v17, v16, s4
	v_perm_b32 v17, v35, v34, s4
	v_cvt_pk_f32_fp8_e32 v[24:25], v11
	v_perm_b32 v16, v33, v32, s4
	ds_read_b128 v[32:35], v14 offset:2048
	v_cvt_pk_f32_fp8_sdwa v[10:11], v11 src0_sel:WORD_1
	v_mfma_f32_16x16x16_bf16 v[20:23], v[36:37], v[30:31], v[20:23]
	ds_read_b128 v[28:31], v14 offset:2064
	v_perm_b32 v24, v25, v24, s4
	v_perm_b32 v25, v11, v10, s4
	s_waitcnt lgkmcnt(1)
	v_mfma_f32_16x16x16_bf16 v[20:23], v[16:17], v[32:33], v[20:23]
	v_cvt_pk_f32_fp8_e32 v[10:11], v12
	v_cvt_pk_f32_fp8_sdwa v[16:17], v12 src0_sel:WORD_1
	s_waitcnt vmcnt(1)
	v_cvt_pk_f32_fp8_sdwa v[32:33], v6 src0_sel:WORD_1
	v_mfma_f32_16x16x16_bf16 v[20:23], v[24:25], v[34:35], v[20:23]
	v_cvt_pk_f32_fp8_e32 v[24:25], v13
	v_perm_b32 v10, v11, v10, s4
	v_perm_b32 v11, v17, v16, s4
	v_cvt_pk_f32_fp8_sdwa v[12:13], v13 src0_sel:WORD_1
	v_perm_b32 v16, v25, v24, s4
	v_cvt_pk_f32_fp8_e32 v[24:25], v6
	v_mov_b32_e32 v27, 0
	v_perm_b32 v17, v13, v12, s4
	s_waitcnt lgkmcnt(0)
	v_mfma_f32_16x16x16_bf16 v[10:13], v[10:11], v[28:29], v[20:23]
	v_perm_b32 v24, v25, v24, s4
	v_perm_b32 v25, v33, v32, s4
	v_cvt_pk_f32_fp8_e32 v[28:29], v7
	ds_read_b128 v[20:23], v14 offset:4096
	v_cvt_pk_f32_fp8_sdwa v[6:7], v7 src0_sel:WORD_1
	v_mfma_f32_16x16x16_bf16 v[10:13], v[16:17], v[30:31], v[10:13]
	v_perm_b32 v16, v29, v28, s4
	ds_read_b128 v[28:31], v14 offset:4112
	v_perm_b32 v17, v7, v6, s4
	s_waitcnt lgkmcnt(1)
	v_mfma_f32_16x16x16_bf16 v[10:13], v[24:25], v[20:21], v[10:13]
	v_cvt_pk_f32_fp8_e32 v[6:7], v8
	v_cvt_pk_f32_fp8_sdwa v[20:21], v8 src0_sel:WORD_1
	v_perm_b32 v6, v7, v6, s4
	v_mfma_f32_16x16x16_bf16 v[10:13], v[16:17], v[22:23], v[10:13]
	v_cvt_pk_f32_fp8_e32 v[16:17], v9
	v_perm_b32 v7, v21, v20, s4
	v_cvt_pk_f32_fp8_sdwa v[8:9], v9 src0_sel:WORD_1
	s_waitcnt vmcnt(0)
	v_cvt_pk_f32_fp8_e32 v[20:21], v2
	v_perm_b32 v16, v17, v16, s4
	v_cvt_pk_f32_fp8_sdwa v[22:23], v2 src0_sel:WORD_1
	v_perm_b32 v17, v9, v8, s4
	s_waitcnt lgkmcnt(0)
	v_mfma_f32_16x16x16_bf16 v[6:9], v[6:7], v[28:29], v[10:13]
	v_perm_b32 v20, v21, v20, s4
	v_perm_b32 v21, v23, v22, s4
	v_cvt_pk_f32_fp8_e32 v[22:23], v3
	ds_read_b128 v[10:13], v14 offset:6144
	v_cvt_pk_f32_fp8_sdwa v[2:3], v3 src0_sel:WORD_1
	v_mfma_f32_16x16x16_bf16 v[6:9], v[16:17], v[30:31], v[6:9]
	v_perm_b32 v22, v23, v22, s4
	ds_read_b128 v[14:17], v14 offset:6160
	v_perm_b32 v23, v3, v2, s4
	s_waitcnt lgkmcnt(1)
	v_mfma_f32_16x16x16_bf16 v[6:9], v[20:21], v[10:11], v[6:9]
	v_cvt_pk_f32_fp8_e32 v[2:3], v4
	v_cvt_pk_f32_fp8_sdwa v[10:11], v4 src0_sel:WORD_1
	s_waitcnt lgkmcnt(0)
	v_mfma_f32_16x16x16_bf16 v[6:9], v[22:23], v[12:13], v[6:9]
	v_perm_b32 v2, v3, v2, s4
	v_perm_b32 v3, v11, v10, s4
	v_cvt_pk_f32_fp8_e32 v[10:11], v5
	v_cvt_pk_f32_fp8_sdwa v[4:5], v5 src0_sel:WORD_1
	s_barrier
	v_perm_b32 v10, v11, v10, s4
	v_perm_b32 v11, v5, v4, s4
	v_mfma_f32_16x16x16_bf16 v[2:5], v[2:3], v[14:15], v[6:9]
	s_nop 0
	v_mfma_f32_16x16x16_bf16 v[2:5], v[10:11], v[16:17], v[2:5]
	s_nop 6
	v_pk_mul_f32 v[2:3], v[2:3], s[10:11] op_sel_hi:[1,0]
	v_pk_mul_f32 v[4:5], v[4:5], s[10:11] op_sel_hi:[1,0]
	v_bfe_u32 v6, v3, 16, 1
	v_bfe_u32 v7, v2, 16, 1
	v_add3_u32 v2, v2, v7, s8
	v_add3_u32 v3, v3, v6, s8
	v_perm_b32 v2, v3, v2, s4
	v_bfe_u32 v3, v5, 16, 1
	v_bfe_u32 v6, v4, 16, 1
	v_add3_u32 v4, v4, v6, s8
	v_add3_u32 v3, v5, v3, s8
	v_perm_b32 v3, v3, v4, s4
	s_and_b64 s[4:5], vcc, s[30:31]
	ds_write_b64 v18, v[2:3]
	s_waitcnt lgkmcnt(0)
	s_barrier
	s_and_saveexec_b64 s[8:9], s[4:5]
	s_cbranch_execz .LBB1219_19
; %bb.18:
	s_load_dwordx2 s[0:1], s[0:1], 0x68
	s_lshl_b32 s6, s6, 6
	s_mul_i32 s2, s7, s2
	s_mul_hi_u32 s5, s2, s6
	s_mul_i32 s4, s2, s6
	s_lshl_b64 s[4:5], s[4:5], 1
	s_waitcnt lgkmcnt(0)
	s_add_u32 s4, s0, s4
	v_lshlrev_b32_e32 v0, 10, v0
	s_addc_u32 s5, s1, s5
	s_lshl_b32 s2, s28, 6
	v_and_b32_e32 v0, 0x1800, v0
	v_lshlrev_b32_e32 v2, 5, v1
	v_and_b32_e32 v3, 16, v42
	s_lshl_b64 s[0:1], s[2:3], 1
	v_or3_b32 v0, v0, v2, v3
	s_add_u32 s0, s4, s0
	ds_read_b128 v[2:5], v0
	ds_read_b128 v[6:9], v0 offset:128
	ds_read_b128 v[10:13], v0 offset:256
	s_addc_u32 s1, s5, s1
	v_or_b32_e32 v16, s48, v1
	v_lshl_add_u64 v[0:1], s[0:1], 0, v[26:27]
	v_mad_u64_u32 v[14:15], s[0:1], v16, s6, 0
	v_lshl_add_u64 v[14:15], v[14:15], 1, v[0:1]
	s_waitcnt lgkmcnt(2)
	global_store_dwordx4 v[14:15], v[2:5], off
	s_nop 1
	v_add_u32_e32 v2, 4, v16
	v_mad_u64_u32 v[2:3], s[0:1], v2, s6, 0
	v_lshl_add_u64 v[2:3], v[2:3], 1, v[0:1]
	s_waitcnt lgkmcnt(1)
	global_store_dwordx4 v[2:3], v[6:9], off
	v_add_u32_e32 v2, 8, v16
	v_mad_u64_u32 v[2:3], s[0:1], v2, s6, 0
	v_lshl_add_u64 v[0:1], v[2:3], 1, v[0:1]
	s_waitcnt lgkmcnt(0)
	global_store_dwordx4 v[0:1], v[10:13], off
.LBB1219_19:
	s_endpgm
	.section	.rodata,"a",@progbits
	.p2align	6, 0x0
	.amdhsa_kernel _Z39paged_attention_ll4mi_QKV_mfma16_kernelI14__hip_bfloat16hLN4vllm18Fp8KVCacheDataTypeE1ES0_Li32ELi64ELi256ELb1ELi12EEvPKT_PKT0_S8_ifPKiSA_SA_iPKfiiiPfSD_PS3_PT2_iSC_SC_
		.amdhsa_group_segment_fixed_size 8192
		.amdhsa_private_segment_fixed_size 0
		.amdhsa_kernarg_size 400
		.amdhsa_user_sgpr_count 2
		.amdhsa_user_sgpr_dispatch_ptr 0
		.amdhsa_user_sgpr_queue_ptr 0
		.amdhsa_user_sgpr_kernarg_segment_ptr 1
		.amdhsa_user_sgpr_dispatch_id 0
		.amdhsa_user_sgpr_kernarg_preload_length 0
		.amdhsa_user_sgpr_kernarg_preload_offset 0
		.amdhsa_user_sgpr_private_segment_size 0
		.amdhsa_uses_dynamic_stack 0
		.amdhsa_enable_private_segment 0
		.amdhsa_system_sgpr_workgroup_id_x 1
		.amdhsa_system_sgpr_workgroup_id_y 1
		.amdhsa_system_sgpr_workgroup_id_z 1
		.amdhsa_system_sgpr_workgroup_info 0
		.amdhsa_system_vgpr_workitem_id 0
		.amdhsa_next_free_vgpr 71
		.amdhsa_next_free_sgpr 50
		.amdhsa_accum_offset 72
		.amdhsa_reserve_vcc 1
		.amdhsa_float_round_mode_32 0
		.amdhsa_float_round_mode_16_64 0
		.amdhsa_float_denorm_mode_32 3
		.amdhsa_float_denorm_mode_16_64 3
		.amdhsa_dx10_clamp 1
		.amdhsa_ieee_mode 1
		.amdhsa_fp16_overflow 0
		.amdhsa_tg_split 0
		.amdhsa_exception_fp_ieee_invalid_op 0
		.amdhsa_exception_fp_denorm_src 0
		.amdhsa_exception_fp_ieee_div_zero 0
		.amdhsa_exception_fp_ieee_overflow 0
		.amdhsa_exception_fp_ieee_underflow 0
		.amdhsa_exception_fp_ieee_inexact 0
		.amdhsa_exception_int_div_zero 0
	.end_amdhsa_kernel
	.section	.text._Z39paged_attention_ll4mi_QKV_mfma16_kernelI14__hip_bfloat16hLN4vllm18Fp8KVCacheDataTypeE1ES0_Li32ELi64ELi256ELb1ELi12EEvPKT_PKT0_S8_ifPKiSA_SA_iPKfiiiPfSD_PS3_PT2_iSC_SC_,"axG",@progbits,_Z39paged_attention_ll4mi_QKV_mfma16_kernelI14__hip_bfloat16hLN4vllm18Fp8KVCacheDataTypeE1ES0_Li32ELi64ELi256ELb1ELi12EEvPKT_PKT0_S8_ifPKiSA_SA_iPKfiiiPfSD_PS3_PT2_iSC_SC_,comdat
.Lfunc_end1219:
	.size	_Z39paged_attention_ll4mi_QKV_mfma16_kernelI14__hip_bfloat16hLN4vllm18Fp8KVCacheDataTypeE1ES0_Li32ELi64ELi256ELb1ELi12EEvPKT_PKT0_S8_ifPKiSA_SA_iPKfiiiPfSD_PS3_PT2_iSC_SC_, .Lfunc_end1219-_Z39paged_attention_ll4mi_QKV_mfma16_kernelI14__hip_bfloat16hLN4vllm18Fp8KVCacheDataTypeE1ES0_Li32ELi64ELi256ELb1ELi12EEvPKT_PKT0_S8_ifPKiSA_SA_iPKfiiiPfSD_PS3_PT2_iSC_SC_
                                        ; -- End function
	.section	.AMDGPU.csdata,"",@progbits
; Kernel info:
; codeLenInByte = 5228
; NumSgprs: 56
; NumVgprs: 71
; NumAgprs: 0
; TotalNumVgprs: 71
; ScratchSize: 0
; MemoryBound: 0
; FloatMode: 240
; IeeeMode: 1
; LDSByteSize: 8192 bytes/workgroup (compile time only)
; SGPRBlocks: 6
; VGPRBlocks: 8
; NumSGPRsForWavesPerEU: 56
; NumVGPRsForWavesPerEU: 71
; AccumOffset: 72
; Occupancy: 7
; WaveLimiterHint : 1
; COMPUTE_PGM_RSRC2:SCRATCH_EN: 0
; COMPUTE_PGM_RSRC2:USER_SGPR: 2
; COMPUTE_PGM_RSRC2:TRAP_HANDLER: 0
; COMPUTE_PGM_RSRC2:TGID_X_EN: 1
; COMPUTE_PGM_RSRC2:TGID_Y_EN: 1
; COMPUTE_PGM_RSRC2:TGID_Z_EN: 1
; COMPUTE_PGM_RSRC2:TIDIG_COMP_CNT: 0
; COMPUTE_PGM_RSRC3_GFX90A:ACCUM_OFFSET: 17
; COMPUTE_PGM_RSRC3_GFX90A:TG_SPLIT: 0
	.section	.text._Z39paged_attention_ll4mi_QKV_mfma16_kernelI14__hip_bfloat16hLN4vllm18Fp8KVCacheDataTypeE1ES0_Li32ELi64ELi256ELb1ELi13EEvPKT_PKT0_S8_ifPKiSA_SA_iPKfiiiPfSD_PS3_PT2_iSC_SC_,"axG",@progbits,_Z39paged_attention_ll4mi_QKV_mfma16_kernelI14__hip_bfloat16hLN4vllm18Fp8KVCacheDataTypeE1ES0_Li32ELi64ELi256ELb1ELi13EEvPKT_PKT0_S8_ifPKiSA_SA_iPKfiiiPfSD_PS3_PT2_iSC_SC_,comdat
	.protected	_Z39paged_attention_ll4mi_QKV_mfma16_kernelI14__hip_bfloat16hLN4vllm18Fp8KVCacheDataTypeE1ES0_Li32ELi64ELi256ELb1ELi13EEvPKT_PKT0_S8_ifPKiSA_SA_iPKfiiiPfSD_PS3_PT2_iSC_SC_ ; -- Begin function _Z39paged_attention_ll4mi_QKV_mfma16_kernelI14__hip_bfloat16hLN4vllm18Fp8KVCacheDataTypeE1ES0_Li32ELi64ELi256ELb1ELi13EEvPKT_PKT0_S8_ifPKiSA_SA_iPKfiiiPfSD_PS3_PT2_iSC_SC_
	.globl	_Z39paged_attention_ll4mi_QKV_mfma16_kernelI14__hip_bfloat16hLN4vllm18Fp8KVCacheDataTypeE1ES0_Li32ELi64ELi256ELb1ELi13EEvPKT_PKT0_S8_ifPKiSA_SA_iPKfiiiPfSD_PS3_PT2_iSC_SC_
	.p2align	8
	.type	_Z39paged_attention_ll4mi_QKV_mfma16_kernelI14__hip_bfloat16hLN4vllm18Fp8KVCacheDataTypeE1ES0_Li32ELi64ELi256ELb1ELi13EEvPKT_PKT0_S8_ifPKiSA_SA_iPKfiiiPfSD_PS3_PT2_iSC_SC_,@function
_Z39paged_attention_ll4mi_QKV_mfma16_kernelI14__hip_bfloat16hLN4vllm18Fp8KVCacheDataTypeE1ES0_Li32ELi64ELi256ELb1ELi13EEvPKT_PKT0_S8_ifPKiSA_SA_iPKfiiiPfSD_PS3_PT2_iSC_SC_: ; @_Z39paged_attention_ll4mi_QKV_mfma16_kernelI14__hip_bfloat16hLN4vllm18Fp8KVCacheDataTypeE1ES0_Li32ELi64ELi256ELb1ELi13EEvPKT_PKT0_S8_ifPKiSA_SA_iPKfiiiPfSD_PS3_PT2_iSC_SC_
; %bb.0:
	s_load_dwordx2 s[6:7], s[0:1], 0x30
	s_mov_b32 s28, s3
	s_mov_b64 s[8:9], 0
	s_waitcnt lgkmcnt(0)
	s_cmp_lg_u64 s[6:7], 0
	s_cselect_b64 s[10:11], -1, 0
	s_and_b64 vcc, exec, s[10:11]
	s_cbranch_vccz .LBB1220_7
; %bb.1:
	s_add_i32 s12, s2, 1
	s_mov_b32 s13, 0
	s_lshl_b64 s[14:15], s[12:13], 2
	s_add_u32 s14, s6, s14
	s_mov_b32 s3, s13
	s_addc_u32 s15, s7, s15
	s_lshl_b64 s[12:13], s[2:3], 2
	s_add_u32 s12, s6, s12
	s_addc_u32 s13, s7, s13
	s_load_dword s5, s[14:15], 0x0
	s_load_dword s16, s[12:13], 0x0
	s_waitcnt lgkmcnt(0)
	s_sub_i32 s5, s5, s16
	s_cmp_eq_u32 s5, 1
	s_cselect_b64 s[12:13], -1, 0
	s_andn2_b64 vcc, exec, s[8:9]
	s_cbranch_vccnz .LBB1220_3
.LBB1220_2:
	s_mov_b32 s3, 0
	s_mov_b64 s[12:13], -1
.LBB1220_3:
	s_andn2_b64 vcc, exec, s[12:13]
	s_cbranch_vccnz .LBB1220_20
; %bb.4:
	s_load_dwordx2 s[8:9], s[0:1], 0x28
	s_lshl_b64 s[12:13], s[2:3], 2
	s_waitcnt lgkmcnt(0)
	s_add_u32 s8, s8, s12
	s_addc_u32 s9, s9, s13
	s_load_dword s29, s[8:9], 0x0
	s_lshl_b32 s16, s28, 8
	s_waitcnt lgkmcnt(0)
	s_cmp_ge_i32 s16, s29
	s_cbranch_scc1 .LBB1220_20
; %bb.5:
	s_load_dwordx2 s[8:9], s[0:1], 0x20
	s_load_dword s5, s[0:1], 0x38
	s_add_i32 s14, s29, 31
	s_ashr_i32 s15, s14, 31
	v_and_b32_e32 v1, 0xcf, v0
	s_lshr_b32 s15, s15, 27
	v_add_u32_e32 v1, s16, v1
	s_add_i32 s14, s14, s15
	v_ashrrev_i32_e32 v2, 31, v1
	s_ashr_i32 s17, s14, 5
	v_lshrrev_b32_e32 v4, 27, v2
	s_add_i32 s17, s17, -1
	s_waitcnt lgkmcnt(0)
	s_mul_i32 s14, s2, s5
	s_mov_b32 s15, 0
	v_add_u32_e32 v2, v1, v4
	s_lshl_b64 s[14:15], s[14:15], 2
	v_ashrrev_i32_e32 v2, 5, v2
	v_mov_b32_e32 v5, s17
	v_cmp_gt_i32_e32 vcc, s29, v1
	s_add_u32 s8, s8, s14
	s_addc_u32 s9, s9, s15
	v_cndmask_b32_e32 v2, v5, v2, vcc
	v_ashrrev_i32_e32 v3, 31, v2
	v_lshl_add_u64 v[6:7], v[2:3], 2, s[8:9]
	v_or_b32_e32 v2, 16, v1
	v_add_u32_e32 v3, v2, v4
	v_ashrrev_i32_e32 v3, 5, v3
	v_cmp_gt_i32_e32 vcc, s29, v2
	s_load_dwordx2 s[14:15], s[0:1], 0x8
	s_nop 0
	v_cndmask_b32_e32 v2, v5, v3, vcc
	v_ashrrev_i32_e32 v3, 31, v2
	v_lshl_add_u64 v[8:9], v[2:3], 2, s[8:9]
	v_or_b32_e32 v2, 32, v1
	v_add_u32_e32 v3, v2, v4
	v_ashrrev_i32_e32 v3, 5, v3
	v_cmp_gt_i32_e32 vcc, s29, v2
	v_or_b32_e32 v1, 48, v1
	s_nop 0
	v_cndmask_b32_e32 v2, v5, v3, vcc
	v_ashrrev_i32_e32 v3, 31, v2
	v_lshl_add_u64 v[10:11], v[2:3], 2, s[8:9]
	v_add_u32_e32 v2, v1, v4
	v_ashrrev_i32_e32 v2, 5, v2
	v_cmp_gt_i32_e32 vcc, s29, v1
	s_nop 1
	v_cndmask_b32_e32 v2, v5, v2, vcc
	v_ashrrev_i32_e32 v3, 31, v2
	v_lshl_add_u64 v[12:13], v[2:3], 2, s[8:9]
	global_load_dword v5, v[6:7], off
	global_load_dword v4, v[8:9], off
	;; [unrolled: 1-line block ×4, first 2 shown]
	s_andn2_b64 vcc, exec, s[10:11]
	s_cbranch_vccnz .LBB1220_8
; %bb.6:
	s_add_u32 s6, s6, s12
	s_addc_u32 s7, s7, s13
	s_load_dword s5, s[6:7], 0x0
	s_branch .LBB1220_9
.LBB1220_7:
	s_mov_b64 s[12:13], 0
	s_branch .LBB1220_2
.LBB1220_8:
	s_mov_b32 s5, s2
.LBB1220_9:
	s_load_dwordx2 s[10:11], s[0:1], 0x10
	s_load_dwordx4 s[44:47], s[0:1], 0x48
	v_lshrrev_b32_e32 v29, 6, v0
	v_bfe_u32 v42, v0, 4, 2
	v_lshl_or_b32 v6, v29, 2, v42
	v_and_b32_e32 v28, 15, v0
	v_lshlrev_b32_e32 v1, 3, v28
	v_cmp_gt_u32_e32 vcc, 13, v6
	v_cmp_gt_u32_e64 s[30:31], 8, v28
	s_mul_i32 s48, s4, 13
	s_and_b64 s[12:13], s[30:31], vcc
	v_lshlrev_b32_e32 v26, 1, v1
	v_lshlrev_b32_e32 v1, 4, v0
	s_and_saveexec_b64 s[6:7], s[12:13]
	s_cbranch_execz .LBB1220_11
; %bb.10:
	s_load_dwordx2 s[12:13], s[0:1], 0x0
	s_waitcnt lgkmcnt(0)
	s_ashr_i32 s18, s44, 31
	s_mul_hi_u32 s19, s5, s44
	s_mul_i32 s18, s5, s18
	s_add_i32 s19, s19, s18
	s_mul_i32 s18, s5, s44
	s_lshl_b64 s[18:19], s[18:19], 1
	s_add_u32 s12, s12, s18
	v_add_lshl_u32 v8, v6, s48, 6
	s_addc_u32 s13, s13, s19
	v_ashrrev_i32_e32 v9, 31, v8
	v_lshl_add_u64 v[8:9], v[8:9], 1, s[12:13]
	v_mov_b32_e32 v27, 0
	v_lshl_add_u64 v[8:9], v[8:9], 0, v[26:27]
	global_load_dwordx4 v[8:11], v[8:9], off
	v_lshlrev_b32_e32 v12, 8, v28
	v_lshlrev_b32_e32 v6, 5, v6
	v_and_b32_e32 v7, 16, v1
	v_and_b32_e32 v12, 0xe00, v12
	v_or3_b32 v6, v12, v6, v7
	s_waitcnt vmcnt(0)
	ds_write_b128 v6, v[8:11]
.LBB1220_11:
	s_or_b64 exec, exec, s[6:7]
	s_waitcnt lgkmcnt(0)
	s_mul_i32 s12, s4, s46
	s_add_u32 s4, s14, s12
	s_addc_u32 s5, s15, 0
	v_mov_b32_e32 v31, 0
	v_mov_b64_e32 v[6:7], s[4:5]
	v_lshlrev_b32_e32 v10, 4, v28
	v_and_b32_e32 v27, 48, v0
	s_waitcnt vmcnt(3)
	v_mad_i64_i32 v[8:9], s[4:5], v5, s45, v[6:7]
	v_mov_b32_e32 v11, v31
	s_waitcnt vmcnt(2)
	v_mad_i64_i32 v[4:5], s[4:5], v4, s45, v[6:7]
	v_or_b32_e32 v12, 0x100, v10
	v_mov_b32_e32 v13, v31
	v_lshlrev_b32_e32 v30, 5, v27
	v_lshl_add_u64 v[8:9], v[8:9], 0, v[10:11]
	v_lshl_add_u64 v[4:5], v[4:5], 0, v[12:13]
	v_lshl_add_u64 v[8:9], v[8:9], 0, v[30:31]
	v_lshl_add_u64 v[4:5], v[4:5], 0, v[30:31]
	s_barrier
	global_load_dwordx4 v[22:25], v[8:9], off
	global_load_dwordx4 v[18:21], v[4:5], off
	s_waitcnt vmcnt(3)
	v_mad_i64_i32 v[4:5], s[4:5], v3, s45, v[6:7]
	v_lshl_add_u64 v[4:5], v[4:5], 0, v[10:11]
	s_waitcnt vmcnt(2)
	v_mad_i64_i32 v[2:3], s[4:5], v2, s45, v[6:7]
	v_lshl_add_u64 v[4:5], v[4:5], 0, v[30:31]
	v_lshl_add_u64 v[2:3], v[2:3], 0, v[12:13]
	;; [unrolled: 1-line block ×3, first 2 shown]
	global_load_dwordx4 v[14:17], v[4:5], off
	global_load_dwordx4 v[6:9], v[2:3], off
	v_add_u32_e32 v2, -13, v28
	v_cmp_gt_u32_e32 vcc, 13, v28
	v_and_b32_e32 v43, 63, v0
	v_mov_b32_e32 v44, 0
	v_cndmask_b32_e32 v2, v2, v28, vcc
	v_lshlrev_b32_e32 v2, 5, v2
	v_lshl_add_u32 v2, v42, 9, v2
	ds_read_b128 v[10:13], v2
	ds_read_b128 v[2:5], v2 offset:16
	s_and_saveexec_b64 s[4:5], vcc
	s_cbranch_execz .LBB1220_13
; %bb.12:
	s_load_dwordx2 s[6:7], s[0:1], 0x40
	v_add_u32_e32 v32, s48, v28
	v_ashrrev_i32_e32 v33, 31, v32
	s_waitcnt lgkmcnt(0)
	v_lshl_add_u64 v[32:33], v[32:33], 2, s[6:7]
	global_load_dword v44, v[32:33], off
.LBB1220_13:
	s_or_b64 exec, exec, s[4:5]
	s_ashr_i32 s4, s16, 31
	v_or_b32_e32 v45, s16, v27
	s_lshr_b32 s13, s4, 27
	v_add_u32_e32 v27, s13, v45
	v_ashrrev_i32_e32 v27, 5, v27
	s_waitcnt vmcnt(3)
	v_cvt_pk_f32_fp8_e32 v[34:35], v22
	v_cvt_pk_f32_fp8_sdwa v[36:37], v22 src0_sel:WORD_1
	s_waitcnt vmcnt(2)
	v_cvt_pk_f32_fp8_e32 v[56:57], v20
	v_cvt_pk_f32_fp8_sdwa v[58:59], v20 src0_sel:WORD_1
	v_mov_b32_e32 v20, s17
	v_cmp_gt_i32_e32 vcc, s29, v45
	v_cvt_pk_f32_fp8_e32 v[48:49], v18
	v_cvt_pk_f32_fp8_sdwa v[50:51], v18 src0_sel:WORD_1
	v_cndmask_b32_e32 v18, v20, v27, vcc
	v_cvt_pk_f32_fp8_e32 v[52:53], v19
	v_cvt_pk_f32_fp8_sdwa v[54:55], v19 src0_sel:WORD_1
	v_ashrrev_i32_e32 v19, 31, v18
	v_lshl_add_u64 v[18:19], v[18:19], 2, s[8:9]
	s_mov_b32 s33, 0x7060302
	v_cvt_pk_f32_fp8_e32 v[32:33], v23
	v_cvt_pk_f32_fp8_sdwa v[22:23], v23 src0_sel:WORD_1
	global_load_dword v70, v[18:19], off
	v_perm_b32 v18, v35, v34, s33
	v_perm_b32 v19, v37, v36, s33
	v_cvt_pk_f32_fp8_e32 v[60:61], v21
	v_cvt_pk_f32_fp8_sdwa v[62:63], v21 src0_sel:WORD_1
	v_or_b32_e32 v21, 64, v45
	v_or_b32_e32 v34, 0x80, v45
	v_or_b32_e32 v35, 0xc0, v45
	v_cmp_gt_i32_e32 vcc, s29, v21
	v_add_u32_e32 v21, s13, v21
	v_cmp_gt_i32_e64 s[4:5], s29, v34
	v_add_u32_e32 v34, s13, v34
	v_cmp_gt_i32_e64 s[6:7], s29, v35
	v_add_u32_e32 v35, s13, v35
	v_cvt_pk_f32_fp8_e32 v[38:39], v24
	v_cvt_pk_f32_fp8_sdwa v[40:41], v24 src0_sel:WORD_1
	v_cvt_pk_f32_fp8_e32 v[46:47], v25
	v_ashrrev_i32_e32 v21, 5, v21
	v_ashrrev_i32_e32 v34, 5, v34
	;; [unrolled: 1-line block ×3, first 2 shown]
	v_perm_b32 v32, v33, v32, s33
	v_perm_b32 v33, v23, v22, s33
	v_perm_b32 v22, v49, v48, s33
	v_perm_b32 v23, v51, v50, s33
	v_cvt_pk_f32_fp8_sdwa v[24:25], v25 src0_sel:WORD_1
	v_cndmask_b32_e32 v36, v20, v21, vcc
	v_cndmask_b32_e64 v64, v20, v34, s[4:5]
	v_cndmask_b32_e64 v66, v20, v35, s[6:7]
	s_waitcnt lgkmcnt(1)
	v_mfma_f32_16x16x16_bf16 v[18:21], v[18:19], v[10:11], 0
	v_perm_b32 v38, v39, v38, s33
	v_perm_b32 v39, v41, v40, s33
	v_perm_b32 v68, v47, v46, s33
	v_perm_b32 v46, v53, v52, s33
	v_perm_b32 v47, v55, v54, s33
	s_load_dword s14, s[0:1], 0x1c
	s_load_dwordx4 s[40:43], s[0:1], 0x80
	v_perm_b32 v69, v25, v24, s33
	v_mfma_f32_16x16x16_bf16 v[22:25], v[22:23], v[10:11], 0
	s_add_u32 s10, s10, s12
	v_and_b32_e32 v30, 16, v0
	v_lshlrev_b32_e32 v27, 5, v28
	v_mfma_f32_16x16x16_bf16 v[32:35], v[32:33], v[12:13], v[18:21]
	s_addc_u32 s11, s11, 0
	v_lshl_add_u64 v[40:41], s[10:11], 0, v[30:31]
	v_lshl_or_b32 v30, v29, 9, v27
	v_ashrrev_i32_e32 v37, 31, v36
	v_ashrrev_i32_e32 v65, 31, v64
	;; [unrolled: 1-line block ×3, first 2 shown]
	v_perm_b32 v48, v57, v56, s33
	v_perm_b32 v49, v59, v58, s33
	v_mfma_f32_16x16x16_bf16 v[20:23], v[46:47], v[12:13], v[22:25]
	v_lshl_add_u64 v[18:19], v[40:41], 0, v[30:31]
	s_waitcnt lgkmcnt(0)
	s_load_dword s6, s[40:41], 0x0
	v_perm_b32 v50, v61, v60, s33
	v_mfma_f32_16x16x16_bf16 v[30:33], v[38:39], v[2:3], v[32:35]
	v_lshl_add_u64 v[24:25], v[36:37], 2, s[8:9]
	v_lshl_add_u64 v[36:37], v[66:67], 2, s[8:9]
	v_perm_b32 v51, v63, v62, s33
	v_lshl_add_u64 v[34:35], v[64:65], 2, s[8:9]
	global_load_dword v47, v[24:25], off
	global_load_dword v45, v[34:35], off
	;; [unrolled: 1-line block ×3, first 2 shown]
	s_waitcnt vmcnt(5)
	v_cvt_pk_f32_fp8_e32 v[34:35], v14
	v_cvt_pk_f32_fp8_sdwa v[36:37], v14 src0_sel:WORD_1
	v_mfma_f32_16x16x16_bf16 v[20:23], v[48:49], v[2:3], v[20:23]
	v_cvt_pk_f32_fp8_e32 v[38:39], v15
	v_perm_b32 v34, v35, v34, s33
	v_perm_b32 v35, v37, v36, s33
	v_cvt_pk_f32_fp8_sdwa v[14:15], v15 src0_sel:WORD_1
	v_mov_b32_e32 v40, s14
	s_waitcnt lgkmcnt(0)
	v_mul_f32_e32 v48, s6, v40
	v_mfma_f32_16x16x16_bf16 v[20:23], v[50:51], v[4:5], v[20:23]
	v_perm_b32 v38, v39, v38, s33
	v_cvt_pk_f32_fp8_e32 v[40:41], v16
	v_cvt_pk_f32_fp8_sdwa v[50:51], v16 src0_sel:WORD_1
	v_perm_b32 v39, v15, v14, s33
	v_mfma_f32_16x16x16_bf16 v[34:37], v[34:35], v[10:11], 0
	v_perm_b32 v40, v41, v40, s33
	v_perm_b32 v41, v51, v50, s33
	v_cvt_pk_f32_fp8_e32 v[50:51], v17
	v_cvt_pk_f32_fp8_sdwa v[52:53], v17 src0_sel:WORD_1
	v_mfma_f32_16x16x16_bf16 v[30:33], v[68:69], v[4:5], v[30:33]
	s_mov_b32 s44, 0xff7fffff
	s_waitcnt vmcnt(3)
	v_mad_i64_i32 v[24:25], s[4:5], v70, s45, v[18:19]
	v_mfma_f32_16x16x16_bf16 v[14:17], v[38:39], v[12:13], v[34:37]
	s_nop 2
	v_perm_b32 v34, v51, v50, s33
	v_perm_b32 v35, v53, v52, s33
	v_mfma_f32_16x16x16_bf16 v[14:17], v[40:41], v[2:3], v[14:17]
	v_pk_mul_f32 v[38:39], v[48:49], v[30:31] op_sel_hi:[0,1]
	v_cvt_pk_f32_fp8_e32 v[30:31], v6
	v_cvt_pk_f32_fp8_sdwa v[36:37], v6 src0_sel:WORD_1
	v_mfma_f32_16x16x16_bf16 v[14:17], v[34:35], v[4:5], v[14:17]
	v_cvt_pk_f32_fp8_e32 v[34:35], v7
	v_perm_b32 v30, v31, v30, s33
	v_perm_b32 v31, v37, v36, s33
	v_cvt_pk_f32_fp8_sdwa v[6:7], v7 src0_sel:WORD_1
	v_perm_b32 v40, v35, v34, s33
	v_cvt_pk_f32_fp8_e32 v[50:51], v8
	v_cvt_pk_f32_fp8_sdwa v[52:53], v8 src0_sel:WORD_1
	v_perm_b32 v41, v7, v6, s33
	v_mfma_f32_16x16x16_bf16 v[34:37], v[30:31], v[10:11], 0
	v_perm_b32 v10, v51, v50, s33
	v_perm_b32 v11, v53, v52, s33
	v_cvt_pk_f32_fp8_e32 v[30:31], v9
	v_cvt_pk_f32_fp8_sdwa v[50:51], v9 src0_sel:WORD_1
	v_mfma_f32_16x16x16_bf16 v[6:9], v[40:41], v[12:13], v[34:37]
	v_pk_mul_f32 v[40:41], v[48:49], v[20:21] op_sel_hi:[0,1]
	v_perm_b32 v12, v31, v30, s33
	v_perm_b32 v13, v51, v50, s33
	v_mfma_f32_16x16x16_bf16 v[6:9], v[10:11], v[2:3], v[6:9]
	v_pk_mul_f32 v[36:37], v[48:49], v[22:23] op_sel_hi:[0,1]
	v_pk_mul_f32 v[32:33], v[48:49], v[32:33] op_sel_hi:[0,1]
	;; [unrolled: 1-line block ×3, first 2 shown]
	v_mfma_f32_16x16x16_bf16 v[2:5], v[12:13], v[4:5], v[6:9]
	v_pk_mul_f32 v[34:35], v[48:49], v[14:15] op_sel_hi:[0,1]
	s_nop 5
	v_pk_mul_f32 v[22:23], v[48:49], v[2:3] op_sel_hi:[0,1]
	v_and_b32_e32 v2, 0xc0, v0
	v_add_u32_e32 v2, s16, v2
	v_lshl_or_b32 v2, v42, 2, v2
	v_or_b32_e32 v3, 1, v2
	v_pk_mul_f32 v[20:21], v[48:49], v[4:5] op_sel_hi:[0,1]
	v_subrev_u32_e32 v4, s29, v3
	v_add_u32_e32 v6, 1, v4
	v_add_u32_e32 v7, 2, v4
	;; [unrolled: 1-line block ×3, first 2 shown]
	v_cvt_f32_i32_e32 v6, v6
	v_cvt_f32_i32_e32 v7, v7
	;; [unrolled: 1-line block ×3, first 2 shown]
	v_add_u32_e32 v9, 19, v4
	v_fmac_f32_e32 v39, v44, v6
	v_fma_f32 v32, v44, v7, v32
	v_fmac_f32_e32 v33, v44, v8
	v_add_u32_e32 v6, 16, v4
	v_add_u32_e32 v7, 17, v4
	;; [unrolled: 1-line block ×3, first 2 shown]
	v_cvt_f32_i32_e32 v6, v6
	v_cvt_f32_i32_e32 v7, v7
	;; [unrolled: 1-line block ×4, first 2 shown]
	v_fma_f32 v40, v44, v6, v40
	v_fmac_f32_e32 v41, v44, v7
	v_fma_f32 v36, v44, v8, v36
	v_add_u32_e32 v6, 32, v4
	v_add_u32_e32 v7, 33, v4
	;; [unrolled: 1-line block ×3, first 2 shown]
	v_cvt_f32_i32_e32 v6, v6
	v_cvt_f32_i32_e32 v7, v7
	v_cvt_f32_i32_e32 v8, v8
	v_cvt_f32_i32_e32 v5, v4
	v_fmac_f32_e32 v37, v44, v9
	v_add_u32_e32 v9, 35, v4
	v_fma_f32 v48, v44, v6, v34
	v_fmac_f32_e32 v35, v44, v7
	v_fma_f32 v30, v44, v8, v30
	v_add_u32_e32 v6, 48, v4
	v_add_u32_e32 v7, 49, v4
	;; [unrolled: 1-line block ×4, first 2 shown]
	v_cvt_f32_i32_e32 v4, v4
	v_cvt_f32_i32_e32 v6, v6
	;; [unrolled: 1-line block ×3, first 2 shown]
	v_fma_f32 v5, v44, v5, v38
	v_fmac_f32_e32 v21, v44, v4
	v_mov_b32_e32 v4, 0xff7fffff
	v_cmp_gt_i32_e64 s[4:5], s29, v2
	v_cmp_gt_i32_e64 s[34:35], s29, v3
	v_fma_f32 v22, v44, v6, v22
	v_cndmask_b32_e64 v6, v4, v5, s[4:5]
	v_cndmask_b32_e64 v3, v4, v39, s[34:35]
	v_fmac_f32_e32 v23, v44, v7
	v_max3_f32 v3, v6, s44, v3
	v_or_b32_e32 v6, 2, v2
	v_or_b32_e32 v7, 3, v2
	v_cmp_gt_i32_e64 s[36:37], s29, v6
	v_cmp_gt_i32_e64 s[38:39], s29, v7
	v_cvt_f32_i32_e32 v9, v9
	v_cndmask_b32_e64 v6, v4, v32, s[36:37]
	v_cndmask_b32_e64 v7, v4, v33, s[38:39]
	v_max3_f32 v3, v3, v6, v7
	v_or_b32_e32 v6, 16, v2
	v_or_b32_e32 v7, 17, v2
	v_cmp_gt_i32_e64 s[24:25], s29, v6
	v_cmp_gt_i32_e64 s[26:27], s29, v7
	v_fmac_f32_e32 v31, v44, v9
	v_cndmask_b32_e64 v6, v4, v40, s[24:25]
	v_cndmask_b32_e64 v7, v4, v41, s[26:27]
	v_max3_f32 v3, v3, v6, v7
	v_or_b32_e32 v6, 18, v2
	v_or_b32_e32 v7, 19, v2
	v_cmp_gt_i32_e64 s[20:21], s29, v6
	v_cmp_gt_i32_e64 s[22:23], s29, v7
	v_cvt_f32_i32_e32 v8, v8
	v_cndmask_b32_e64 v6, v4, v36, s[20:21]
	v_cndmask_b32_e64 v7, v4, v37, s[22:23]
	v_max3_f32 v3, v3, v6, v7
	v_or_b32_e32 v6, 32, v2
	v_or_b32_e32 v7, 33, v2
	v_cmp_gt_i32_e64 s[16:17], s29, v6
	v_cmp_gt_i32_e64 s[18:19], s29, v7
	v_fma_f32 v20, v44, v8, v20
	v_cndmask_b32_e64 v6, v4, v48, s[16:17]
	v_cndmask_b32_e64 v7, v4, v35, s[18:19]
	v_max3_f32 v3, v3, v6, v7
	v_or_b32_e32 v6, 34, v2
	v_or_b32_e32 v7, 35, v2
	v_cmp_gt_i32_e64 s[12:13], s29, v6
	v_cmp_gt_i32_e64 s[14:15], s29, v7
	s_nop 0
	v_cndmask_b32_e64 v6, v4, v30, s[12:13]
	v_cndmask_b32_e64 v7, v4, v31, s[14:15]
	v_max3_f32 v3, v3, v6, v7
	v_or_b32_e32 v6, 48, v2
	v_or_b32_e32 v7, 49, v2
	v_cmp_gt_i32_e64 s[8:9], s29, v6
	v_cmp_gt_i32_e64 s[10:11], s29, v7
	s_nop 0
	v_cndmask_b32_e64 v6, v4, v22, s[8:9]
	v_cndmask_b32_e64 v7, v4, v23, s[10:11]
	v_max3_f32 v3, v3, v6, v7
	v_or_b32_e32 v6, 50, v2
	v_or_b32_e32 v2, 51, v2
	v_cmp_gt_i32_e32 vcc, s29, v6
	v_cmp_gt_i32_e64 s[6:7], s29, v2
	s_nop 0
	v_cndmask_b32_e32 v6, v4, v20, vcc
	v_cndmask_b32_e64 v2, v4, v21, s[6:7]
	v_max3_f32 v4, v3, v6, v2
	v_mbcnt_lo_u32_b32 v2, -1, 0
	v_mbcnt_hi_u32_b32 v6, -1, v2
	v_and_b32_e32 v2, 64, v6
	v_add_u32_e32 v7, 64, v2
	v_xor_b32_e32 v2, 32, v6
	v_cmp_lt_i32_e64 s[40:41], v2, v7
	s_nop 1
	v_cndmask_b32_e64 v2, v6, v2, s[40:41]
	v_lshlrev_b32_e32 v44, 2, v2
	ds_bpermute_b32 v8, v44, v4
	s_waitcnt vmcnt(2)
	v_mad_i64_i32 v[2:3], s[40:41], v47, s45, v[18:19]
	global_load_dwordx4 v[14:17], v[24:25], off
	global_load_dwordx4 v[10:13], v[2:3], off
	v_xor_b32_e32 v3, 16, v6
	v_cmp_lt_i32_e64 s[40:41], v3, v7
	s_waitcnt lgkmcnt(0)
	v_max_f32_e32 v2, v8, v8
	v_max_f32_e32 v2, v4, v2
	v_cndmask_b32_e64 v3, v6, v3, s[40:41]
	v_lshlrev_b32_e32 v47, 2, v3
	ds_bpermute_b32 v3, v47, v2
	s_waitcnt vmcnt(3)
	v_mad_i64_i32 v[24:25], s[40:41], v45, s45, v[18:19]
	s_waitcnt vmcnt(2)
	v_mad_i64_i32 v[18:19], s[40:41], v46, s45, v[18:19]
	s_waitcnt lgkmcnt(0)
	v_max_f32_e32 v3, v3, v3
	v_max_f32_e32 v34, v2, v3
	v_sub_f32_e32 v2, v5, v34
	v_mul_f32_e32 v2, 0x3fb8aa3b, v2
	v_exp_f32_e32 v38, v2
	v_sub_f32_e32 v2, v39, v34
	v_mul_f32_e32 v2, 0x3fb8aa3b, v2
	v_exp_f32_e32 v39, v2
	global_load_dwordx4 v[6:9], v[24:25], off
	global_load_dwordx4 v[2:5], v[18:19], off
	v_sub_f32_e32 v25, v32, v34
	v_sub_f32_e32 v32, v33, v34
	v_mul_f32_e32 v25, 0x3fb8aa3b, v25
	v_mul_f32_e32 v32, 0x3fb8aa3b, v32
	v_exp_f32_e32 v25, v25
	v_exp_f32_e32 v32, v32
	v_cndmask_b32_e64 v18, 0, v38, s[4:5]
	v_cndmask_b32_e64 v19, 0, v39, s[34:35]
	;; [unrolled: 1-line block ×4, first 2 shown]
	v_sub_f32_e32 v25, v40, v34
	v_sub_f32_e32 v32, v41, v34
	v_mul_f32_e32 v25, 0x3fb8aa3b, v25
	v_mul_f32_e32 v32, 0x3fb8aa3b, v32
	v_exp_f32_e32 v25, v25
	v_exp_f32_e32 v32, v32
	v_add_f32_e32 v24, 0, v18
	v_add_f32_e32 v24, v24, v19
	;; [unrolled: 1-line block ×4, first 2 shown]
	v_cndmask_b32_e64 v24, 0, v25, s[24:25]
	v_cndmask_b32_e64 v25, 0, v32, s[26:27]
	v_sub_f32_e32 v32, v36, v34
	v_mul_f32_e32 v32, 0x3fb8aa3b, v32
	v_exp_f32_e32 v32, v32
	v_sub_f32_e32 v36, v37, v34
	v_add_f32_e32 v33, v33, v24
	v_mul_f32_e32 v36, 0x3fb8aa3b, v36
	v_exp_f32_e32 v37, v36
	v_add_f32_e32 v33, v33, v25
	v_cndmask_b32_e64 v36, 0, v32, s[20:21]
	v_add_f32_e32 v32, v33, v36
	v_sub_f32_e32 v33, v48, v34
	v_mul_f32_e32 v33, 0x3fb8aa3b, v33
	v_sub_f32_e32 v35, v35, v34
	v_exp_f32_e32 v33, v33
	v_mul_f32_e32 v35, 0x3fb8aa3b, v35
	v_sub_f32_e32 v30, v30, v34
	v_exp_f32_e32 v35, v35
	;; [unrolled: 3-line block ×3, first 2 shown]
	v_mul_f32_e32 v31, 0x3fb8aa3b, v31
	v_sub_f32_e32 v22, v22, v34
	v_cndmask_b32_e64 v37, 0, v37, s[22:23]
	v_exp_f32_e32 v31, v31
	v_mul_f32_e32 v22, 0x3fb8aa3b, v22
	v_sub_f32_e32 v23, v23, v34
	v_add_f32_e32 v40, v32, v37
	v_cndmask_b32_e64 v32, 0, v33, s[16:17]
	v_exp_f32_e32 v22, v22
	v_mul_f32_e32 v23, 0x3fb8aa3b, v23
	v_sub_f32_e32 v20, v20, v34
	v_add_f32_e32 v40, v40, v32
	;; [unrolled: 5-line block ×3, first 2 shown]
	v_cndmask_b32_e64 v30, 0, v30, s[12:13]
	v_exp_f32_e32 v20, v20
	v_mul_f32_e32 v21, 0x3fb8aa3b, v21
	v_add_f32_e32 v35, v35, v30
	v_cndmask_b32_e64 v31, 0, v31, s[14:15]
	v_exp_f32_e32 v21, v21
	v_add_f32_e32 v35, v35, v31
	v_cndmask_b32_e64 v22, 0, v22, s[8:9]
	v_add_f32_e32 v35, v35, v22
	v_cndmask_b32_e64 v23, 0, v23, s[10:11]
	v_add_f32_e32 v35, v35, v23
	v_cndmask_b32_e32 v20, 0, v20, vcc
	v_add_f32_e32 v35, v35, v20
	v_cndmask_b32_e64 v21, 0, v21, s[6:7]
	v_add_f32_e32 v35, v35, v21
	ds_bpermute_b32 v40, v44, v35
	s_load_dword s9, s[0:1], 0x98
	v_cmp_gt_u32_e64 s[6:7], 16, v43
	s_waitcnt lgkmcnt(0)
	s_barrier
	v_add_f32_e32 v40, v35, v40
	ds_bpermute_b32 v41, v47, v40
	v_lshlrev_b32_e32 v35, 2, v28
	s_waitcnt lgkmcnt(0)
	s_and_saveexec_b64 s[4:5], s[6:7]
	s_cbranch_execz .LBB1220_15
; %bb.14:
	v_add_f32_e32 v40, v40, v41
	v_lshl_or_b32 v41, v29, 6, v35
	ds_write2st64_b32 v41, v34, v40 offset1:1
.LBB1220_15:
	s_or_b64 exec, exec, s[4:5]
	s_load_dword s8, s[0:1], 0x94
	s_waitcnt lgkmcnt(0)
	s_barrier
	ds_read2_b32 v[40:41], v35 offset1:16
	ds_read2_b32 v[44:45], v35 offset0:32 offset1:48
	ds_read2_b32 v[46:47], v35 offset0:64 offset1:80
	s_movk_i32 s10, 0x7fff
	s_mul_i32 s9, s9, 13
	s_waitcnt lgkmcnt(2)
	v_max3_f32 v34, v40, s44, v41
	s_waitcnt lgkmcnt(1)
	v_max3_f32 v34, v34, v44, v45
	v_sub_f32_e32 v40, v40, v34
	v_mul_f32_e32 v40, 0x3fb8aa3b, v40
	v_exp_f32_e32 v43, v40
	v_sub_f32_e32 v40, v41, v34
	v_mul_f32_e32 v40, 0x3fb8aa3b, v40
	v_exp_f32_e32 v48, v40
	;; [unrolled: 3-line block ×3, first 2 shown]
	ds_read2_b32 v[40:41], v35 offset0:96 offset1:112
	v_sub_f32_e32 v35, v45, v34
	v_mul_f32_e32 v35, 0x3fb8aa3b, v35
	v_exp_f32_e32 v45, v35
	s_waitcnt lgkmcnt(1)
	v_fma_f32 v35, v43, v46, 0
	v_fmac_f32_e32 v35, v48, v47
	s_waitcnt lgkmcnt(0)
	v_fmac_f32_e32 v35, v44, v40
	v_fmac_f32_e32 v35, v45, v41
	v_add_f32_e32 v40, 0x358637bd, v35
	v_div_scale_f32 v41, s[4:5], v40, v40, 1.0
	v_rcp_f32_e32 v46, v41
	s_barrier
	v_fma_f32 v47, -v41, v46, 1.0
	v_fmac_f32_e32 v46, v47, v46
	v_div_scale_f32 v47, vcc, 1.0, v40, 1.0
	v_mul_f32_e32 v49, v47, v46
	v_fma_f32 v50, -v41, v49, v47
	v_fmac_f32_e32 v49, v50, v46
	v_fma_f32 v41, -v41, v49, v47
	v_div_fmas_f32 v41, v41, v46, v49
	v_cmp_eq_u32_e32 vcc, 1, v29
	v_div_fixup_f32 v40, v41, v40, 1.0
	s_nop 0
	v_cndmask_b32_e32 v41, v43, v48, vcc
	v_cmp_eq_u32_e32 vcc, 2, v29
	s_nop 1
	v_cndmask_b32_e32 v41, v41, v44, vcc
	v_cmp_eq_u32_e32 vcc, 3, v29
	s_nop 1
	v_cndmask_b32_e32 v41, v41, v45, vcc
	v_mul_f32_e32 v40, v41, v40
	v_pk_mul_f32 v[18:19], v[40:41], v[18:19] op_sel_hi:[0,1]
	v_pk_mul_f32 v[38:39], v[40:41], v[38:39] op_sel_hi:[0,1]
	v_bfe_u32 v41, v19, 16, 1
	v_bfe_u32 v43, v18, 16, 1
	v_add3_u32 v18, v18, v43, s10
	v_add3_u32 v19, v19, v41, s10
	v_perm_b32 v44, v19, v18, s33
	v_bfe_u32 v18, v39, 16, 1
	v_bfe_u32 v19, v38, 16, 1
	v_add3_u32 v19, v38, v19, s10
	v_add3_u32 v18, v39, v18, s10
	v_perm_b32 v45, v18, v19, s33
	v_lshlrev_b32_e32 v18, 3, v42
	v_lshlrev_b32_e32 v19, 11, v29
	v_pk_mul_f32 v[24:25], v[40:41], v[24:25] op_sel_hi:[0,1]
	v_or3_b32 v18, v19, v27, v18
	v_bfe_u32 v19, v25, 16, 1
	v_bfe_u32 v29, v24, 16, 1
	v_pk_mul_f32 v[36:37], v[40:41], v[36:37] op_sel_hi:[0,1]
	v_add3_u32 v24, v24, v29, s10
	v_add3_u32 v19, v25, v19, s10
	v_perm_b32 v24, v19, v24, s33
	v_bfe_u32 v19, v37, 16, 1
	v_bfe_u32 v25, v36, 16, 1
	v_add3_u32 v25, v36, v25, s10
	v_add3_u32 v19, v37, v19, s10
	v_perm_b32 v25, v19, v25, s33
	ds_write2st64_b64 v18, v[44:45], v[24:25] offset1:1
	v_pk_mul_f32 v[24:25], v[40:41], v[30:31] op_sel_hi:[0,1]
	v_pk_mul_f32 v[30:31], v[40:41], v[32:33] op_sel_hi:[0,1]
	v_bfe_u32 v19, v31, 16, 1
	v_bfe_u32 v29, v30, 16, 1
	v_add3_u32 v29, v30, v29, s10
	v_add3_u32 v19, v31, v19, s10
	v_perm_b32 v30, v19, v29, s33
	v_bfe_u32 v19, v25, 16, 1
	v_bfe_u32 v29, v24, 16, 1
	v_add3_u32 v24, v24, v29, s10
	v_add3_u32 v19, v25, v19, s10
	v_pk_mul_f32 v[22:23], v[40:41], v[22:23] op_sel_hi:[0,1]
	v_perm_b32 v31, v19, v24, s33
	v_bfe_u32 v19, v23, 16, 1
	v_bfe_u32 v24, v22, 16, 1
	v_pk_mul_f32 v[20:21], v[40:41], v[20:21] op_sel_hi:[0,1]
	v_add3_u32 v22, v22, v24, s10
	v_add3_u32 v19, v23, v19, s10
	v_perm_b32 v22, v19, v22, s33
	v_bfe_u32 v19, v21, 16, 1
	v_bfe_u32 v23, v20, 16, 1
	v_add3_u32 v20, v20, v23, s10
	v_add3_u32 v19, v21, v19, s10
	v_perm_b32 v23, v19, v20, s33
	v_cmp_gt_u32_e32 vcc, 13, v0
	ds_write2st64_b64 v18, v[30:31], v[22:23] offset0:2 offset1:3
	s_and_saveexec_b64 s[4:5], vcc
	s_cbranch_execz .LBB1220_17
; %bb.16:
	s_mov_b32 s49, 0
	v_mov_b32_e32 v29, 0
	v_lshl_add_u64 v[20:21], s[48:49], 0, v[28:29]
	v_mov_b32_e32 v19, s9
	v_mad_u64_u32 v[20:21], s[16:17], s2, v19, v[20:21]
	s_mul_i32 s3, s3, s9
	v_mov_b32_e32 v28, s28
	s_load_dwordx4 s[12:15], s[0:1], 0x58
	v_add_u32_e32 v19, s3, v21
	v_mad_u64_u32 v[20:21], s[16:17], v20, s8, v[28:29]
	v_mov_b32_e32 v22, v21
	v_mad_u64_u32 v[22:23], s[16:17], v19, s8, v[22:23]
	v_mov_b32_e32 v21, v22
	v_lshlrev_b64 v[20:21], 2, v[20:21]
	s_waitcnt lgkmcnt(0)
	v_lshl_add_u64 v[22:23], s[14:15], 0, v[20:21]
	v_lshl_add_u64 v[20:21], s[12:13], 0, v[20:21]
	global_store_dword v[22:23], v34, off
	global_store_dword v[20:21], v35, off
.LBB1220_17:
	s_or_b64 exec, exec, s[4:5]
	s_waitcnt vmcnt(3)
	v_cvt_pk_f32_fp8_e32 v[20:21], v14
	v_cvt_pk_f32_fp8_sdwa v[22:23], v14 src0_sel:WORD_1
	s_mov_b32 s4, 0x7060302
	v_lshl_or_b32 v14, v42, 9, v27
	s_waitcnt lgkmcnt(0)
	s_barrier
	v_perm_b32 v24, v21, v20, s4
	v_perm_b32 v25, v23, v22, s4
	v_cvt_pk_f32_fp8_e32 v[28:29], v15
	ds_read_b128 v[20:23], v14
	v_cvt_pk_f32_fp8_sdwa v[36:37], v15 src0_sel:WORD_1
	s_load_dword s12, s[42:43], 0x0
	v_perm_b32 v38, v29, v28, s4
	ds_read_b128 v[28:31], v14 offset:16
	v_perm_b32 v39, v37, v36, s4
	s_waitcnt lgkmcnt(0)
	v_mfma_f32_16x16x16_bf16 v[32:35], v[24:25], v[20:21], 0
	v_cvt_pk_f32_fp8_e32 v[24:25], v16
	v_cvt_pk_f32_fp8_sdwa v[36:37], v16 src0_sel:WORD_1
	v_cmp_gt_u32_e32 vcc, 64, v0
	v_mfma_f32_16x16x16_bf16 v[20:23], v[38:39], v[22:23], v[32:35]
	v_perm_b32 v24, v25, v24, s4
	v_perm_b32 v25, v37, v36, s4
	s_mov_b32 s3, 0
	v_cvt_pk_f32_fp8_e32 v[32:33], v17
	v_cvt_pk_f32_fp8_sdwa v[16:17], v17 src0_sel:WORD_1
	s_waitcnt vmcnt(2)
	v_cvt_pk_f32_fp8_sdwa v[34:35], v10 src0_sel:WORD_1
	v_mfma_f32_16x16x16_bf16 v[20:23], v[24:25], v[28:29], v[20:23]
	v_perm_b32 v36, v33, v32, s4
	v_cvt_pk_f32_fp8_e32 v[32:33], v10
	v_perm_b32 v37, v17, v16, s4
	v_perm_b32 v17, v35, v34, s4
	v_cvt_pk_f32_fp8_e32 v[24:25], v11
	v_perm_b32 v16, v33, v32, s4
	ds_read_b128 v[32:35], v14 offset:2048
	v_cvt_pk_f32_fp8_sdwa v[10:11], v11 src0_sel:WORD_1
	v_mfma_f32_16x16x16_bf16 v[20:23], v[36:37], v[30:31], v[20:23]
	ds_read_b128 v[28:31], v14 offset:2064
	v_perm_b32 v24, v25, v24, s4
	v_perm_b32 v25, v11, v10, s4
	s_waitcnt lgkmcnt(1)
	v_mfma_f32_16x16x16_bf16 v[20:23], v[16:17], v[32:33], v[20:23]
	v_cvt_pk_f32_fp8_e32 v[10:11], v12
	v_cvt_pk_f32_fp8_sdwa v[16:17], v12 src0_sel:WORD_1
	s_waitcnt vmcnt(1)
	v_cvt_pk_f32_fp8_sdwa v[32:33], v6 src0_sel:WORD_1
	v_mfma_f32_16x16x16_bf16 v[20:23], v[24:25], v[34:35], v[20:23]
	v_cvt_pk_f32_fp8_e32 v[24:25], v13
	v_perm_b32 v10, v11, v10, s4
	v_perm_b32 v11, v17, v16, s4
	v_cvt_pk_f32_fp8_sdwa v[12:13], v13 src0_sel:WORD_1
	v_perm_b32 v16, v25, v24, s4
	v_cvt_pk_f32_fp8_e32 v[24:25], v6
	v_mov_b32_e32 v27, 0
	v_perm_b32 v17, v13, v12, s4
	s_waitcnt lgkmcnt(0)
	v_mfma_f32_16x16x16_bf16 v[10:13], v[10:11], v[28:29], v[20:23]
	v_perm_b32 v24, v25, v24, s4
	v_perm_b32 v25, v33, v32, s4
	v_cvt_pk_f32_fp8_e32 v[28:29], v7
	ds_read_b128 v[20:23], v14 offset:4096
	v_cvt_pk_f32_fp8_sdwa v[6:7], v7 src0_sel:WORD_1
	v_mfma_f32_16x16x16_bf16 v[10:13], v[16:17], v[30:31], v[10:13]
	v_perm_b32 v16, v29, v28, s4
	ds_read_b128 v[28:31], v14 offset:4112
	v_perm_b32 v17, v7, v6, s4
	s_waitcnt lgkmcnt(1)
	v_mfma_f32_16x16x16_bf16 v[10:13], v[24:25], v[20:21], v[10:13]
	v_cvt_pk_f32_fp8_e32 v[6:7], v8
	v_cvt_pk_f32_fp8_sdwa v[20:21], v8 src0_sel:WORD_1
	v_perm_b32 v6, v7, v6, s4
	v_mfma_f32_16x16x16_bf16 v[10:13], v[16:17], v[22:23], v[10:13]
	v_cvt_pk_f32_fp8_e32 v[16:17], v9
	v_perm_b32 v7, v21, v20, s4
	v_cvt_pk_f32_fp8_sdwa v[8:9], v9 src0_sel:WORD_1
	s_waitcnt vmcnt(0)
	v_cvt_pk_f32_fp8_e32 v[20:21], v2
	v_perm_b32 v16, v17, v16, s4
	v_cvt_pk_f32_fp8_sdwa v[22:23], v2 src0_sel:WORD_1
	v_perm_b32 v17, v9, v8, s4
	s_waitcnt lgkmcnt(0)
	v_mfma_f32_16x16x16_bf16 v[6:9], v[6:7], v[28:29], v[10:13]
	v_perm_b32 v20, v21, v20, s4
	v_perm_b32 v21, v23, v22, s4
	v_cvt_pk_f32_fp8_e32 v[22:23], v3
	ds_read_b128 v[10:13], v14 offset:6144
	v_cvt_pk_f32_fp8_sdwa v[2:3], v3 src0_sel:WORD_1
	v_mfma_f32_16x16x16_bf16 v[6:9], v[16:17], v[30:31], v[6:9]
	v_perm_b32 v22, v23, v22, s4
	ds_read_b128 v[14:17], v14 offset:6160
	v_perm_b32 v23, v3, v2, s4
	s_waitcnt lgkmcnt(1)
	v_mfma_f32_16x16x16_bf16 v[6:9], v[20:21], v[10:11], v[6:9]
	v_cvt_pk_f32_fp8_e32 v[2:3], v4
	v_cvt_pk_f32_fp8_sdwa v[10:11], v4 src0_sel:WORD_1
	s_waitcnt lgkmcnt(0)
	v_mfma_f32_16x16x16_bf16 v[6:9], v[22:23], v[12:13], v[6:9]
	v_perm_b32 v2, v3, v2, s4
	v_perm_b32 v3, v11, v10, s4
	v_cvt_pk_f32_fp8_e32 v[10:11], v5
	v_cvt_pk_f32_fp8_sdwa v[4:5], v5 src0_sel:WORD_1
	s_barrier
	v_perm_b32 v10, v11, v10, s4
	v_perm_b32 v11, v5, v4, s4
	v_mfma_f32_16x16x16_bf16 v[2:5], v[2:3], v[14:15], v[6:9]
	s_nop 0
	v_mfma_f32_16x16x16_bf16 v[2:5], v[10:11], v[16:17], v[2:5]
	s_nop 6
	v_pk_mul_f32 v[2:3], v[2:3], s[12:13] op_sel_hi:[1,0]
	v_pk_mul_f32 v[4:5], v[4:5], s[12:13] op_sel_hi:[1,0]
	v_bfe_u32 v6, v3, 16, 1
	v_bfe_u32 v7, v2, 16, 1
	v_add3_u32 v2, v2, v7, s10
	v_add3_u32 v3, v3, v6, s10
	v_perm_b32 v2, v3, v2, s4
	v_bfe_u32 v3, v5, 16, 1
	v_bfe_u32 v6, v4, 16, 1
	v_add3_u32 v4, v4, v6, s10
	v_add3_u32 v3, v5, v3, s10
	v_perm_b32 v3, v3, v4, s4
	s_and_b64 s[4:5], vcc, s[30:31]
	ds_write_b64 v18, v[2:3]
	s_waitcnt lgkmcnt(0)
	s_barrier
	s_and_saveexec_b64 s[10:11], s[4:5]
	s_cbranch_execz .LBB1220_20
; %bb.18:
	s_load_dwordx2 s[4:5], s[0:1], 0x68
	s_lshl_b32 s0, s8, 6
	s_mul_i32 s1, s9, s2
	s_mul_hi_u32 s9, s1, s0
	s_mul_i32 s8, s1, s0
	v_lshlrev_b32_e32 v0, 10, v0
	s_lshl_b64 s[8:9], s[8:9], 1
	v_and_b32_e32 v0, 0x1800, v0
	v_lshlrev_b32_e32 v2, 5, v42
	v_and_b32_e32 v1, 16, v1
	s_waitcnt lgkmcnt(0)
	s_add_u32 s1, s4, s8
	v_or3_b32 v2, v0, v2, v1
	s_addc_u32 s4, s5, s9
	s_lshl_b32 s2, s28, 6
	ds_read_b128 v[4:7], v2 offset:256
	s_lshl_b64 s[2:3], s[2:3], 1
	ds_read_b128 v[8:11], v2 offset:128
	ds_read_b128 v[12:15], v2
	s_add_u32 s2, s1, s2
	s_addc_u32 s3, s4, s3
	v_add_u32_e32 v3, s48, v42
	v_lshl_add_u64 v[0:1], s[2:3], 0, v[26:27]
	v_mad_u64_u32 v[16:17], s[2:3], v3, s0, 0
	v_lshl_add_u64 v[16:17], v[16:17], 1, v[0:1]
	s_waitcnt lgkmcnt(0)
	global_store_dwordx4 v[16:17], v[12:15], off
	s_nop 1
	v_add_u32_e32 v12, 4, v3
	v_mad_u64_u32 v[12:13], s[2:3], v12, s0, 0
	v_lshl_add_u64 v[12:13], v[12:13], 1, v[0:1]
	v_add_u32_e32 v3, 8, v3
	global_store_dwordx4 v[12:13], v[8:11], off
	s_nop 1
	v_mad_u64_u32 v[8:9], s[2:3], v3, s0, 0
	v_lshl_add_u64 v[8:9], v[8:9], 1, v[0:1]
	global_store_dwordx4 v[8:9], v[4:7], off
	s_and_b64 exec, exec, s[6:7]
	s_cbranch_execz .LBB1220_20
; %bb.19:
	ds_read_b128 v[2:5], v2 offset:384
	v_add3_u32 v6, s48, v42, 12
	v_mad_u64_u32 v[6:7], s[0:1], v6, s0, 0
	v_lshl_add_u64 v[0:1], v[6:7], 1, v[0:1]
	s_waitcnt lgkmcnt(0)
	global_store_dwordx4 v[0:1], v[2:5], off
.LBB1220_20:
	s_endpgm
	.section	.rodata,"a",@progbits
	.p2align	6, 0x0
	.amdhsa_kernel _Z39paged_attention_ll4mi_QKV_mfma16_kernelI14__hip_bfloat16hLN4vllm18Fp8KVCacheDataTypeE1ES0_Li32ELi64ELi256ELb1ELi13EEvPKT_PKT0_S8_ifPKiSA_SA_iPKfiiiPfSD_PS3_PT2_iSC_SC_
		.amdhsa_group_segment_fixed_size 8192
		.amdhsa_private_segment_fixed_size 0
		.amdhsa_kernarg_size 400
		.amdhsa_user_sgpr_count 2
		.amdhsa_user_sgpr_dispatch_ptr 0
		.amdhsa_user_sgpr_queue_ptr 0
		.amdhsa_user_sgpr_kernarg_segment_ptr 1
		.amdhsa_user_sgpr_dispatch_id 0
		.amdhsa_user_sgpr_kernarg_preload_length 0
		.amdhsa_user_sgpr_kernarg_preload_offset 0
		.amdhsa_user_sgpr_private_segment_size 0
		.amdhsa_uses_dynamic_stack 0
		.amdhsa_enable_private_segment 0
		.amdhsa_system_sgpr_workgroup_id_x 1
		.amdhsa_system_sgpr_workgroup_id_y 1
		.amdhsa_system_sgpr_workgroup_id_z 1
		.amdhsa_system_sgpr_workgroup_info 0
		.amdhsa_system_vgpr_workitem_id 0
		.amdhsa_next_free_vgpr 71
		.amdhsa_next_free_sgpr 50
		.amdhsa_accum_offset 72
		.amdhsa_reserve_vcc 1
		.amdhsa_float_round_mode_32 0
		.amdhsa_float_round_mode_16_64 0
		.amdhsa_float_denorm_mode_32 3
		.amdhsa_float_denorm_mode_16_64 3
		.amdhsa_dx10_clamp 1
		.amdhsa_ieee_mode 1
		.amdhsa_fp16_overflow 0
		.amdhsa_tg_split 0
		.amdhsa_exception_fp_ieee_invalid_op 0
		.amdhsa_exception_fp_denorm_src 0
		.amdhsa_exception_fp_ieee_div_zero 0
		.amdhsa_exception_fp_ieee_overflow 0
		.amdhsa_exception_fp_ieee_underflow 0
		.amdhsa_exception_fp_ieee_inexact 0
		.amdhsa_exception_int_div_zero 0
	.end_amdhsa_kernel
	.section	.text._Z39paged_attention_ll4mi_QKV_mfma16_kernelI14__hip_bfloat16hLN4vllm18Fp8KVCacheDataTypeE1ES0_Li32ELi64ELi256ELb1ELi13EEvPKT_PKT0_S8_ifPKiSA_SA_iPKfiiiPfSD_PS3_PT2_iSC_SC_,"axG",@progbits,_Z39paged_attention_ll4mi_QKV_mfma16_kernelI14__hip_bfloat16hLN4vllm18Fp8KVCacheDataTypeE1ES0_Li32ELi64ELi256ELb1ELi13EEvPKT_PKT0_S8_ifPKiSA_SA_iPKfiiiPfSD_PS3_PT2_iSC_SC_,comdat
.Lfunc_end1220:
	.size	_Z39paged_attention_ll4mi_QKV_mfma16_kernelI14__hip_bfloat16hLN4vllm18Fp8KVCacheDataTypeE1ES0_Li32ELi64ELi256ELb1ELi13EEvPKT_PKT0_S8_ifPKiSA_SA_iPKfiiiPfSD_PS3_PT2_iSC_SC_, .Lfunc_end1220-_Z39paged_attention_ll4mi_QKV_mfma16_kernelI14__hip_bfloat16hLN4vllm18Fp8KVCacheDataTypeE1ES0_Li32ELi64ELi256ELb1ELi13EEvPKT_PKT0_S8_ifPKiSA_SA_iPKfiiiPfSD_PS3_PT2_iSC_SC_
                                        ; -- End function
	.section	.AMDGPU.csdata,"",@progbits
; Kernel info:
; codeLenInByte = 5276
; NumSgprs: 56
; NumVgprs: 71
; NumAgprs: 0
; TotalNumVgprs: 71
; ScratchSize: 0
; MemoryBound: 0
; FloatMode: 240
; IeeeMode: 1
; LDSByteSize: 8192 bytes/workgroup (compile time only)
; SGPRBlocks: 6
; VGPRBlocks: 8
; NumSGPRsForWavesPerEU: 56
; NumVGPRsForWavesPerEU: 71
; AccumOffset: 72
; Occupancy: 7
; WaveLimiterHint : 1
; COMPUTE_PGM_RSRC2:SCRATCH_EN: 0
; COMPUTE_PGM_RSRC2:USER_SGPR: 2
; COMPUTE_PGM_RSRC2:TRAP_HANDLER: 0
; COMPUTE_PGM_RSRC2:TGID_X_EN: 1
; COMPUTE_PGM_RSRC2:TGID_Y_EN: 1
; COMPUTE_PGM_RSRC2:TGID_Z_EN: 1
; COMPUTE_PGM_RSRC2:TIDIG_COMP_CNT: 0
; COMPUTE_PGM_RSRC3_GFX90A:ACCUM_OFFSET: 17
; COMPUTE_PGM_RSRC3_GFX90A:TG_SPLIT: 0
	.section	.text._Z39paged_attention_ll4mi_QKV_mfma16_kernelI14__hip_bfloat16hLN4vllm18Fp8KVCacheDataTypeE1ES0_Li32ELi64ELi256ELb1ELi14EEvPKT_PKT0_S8_ifPKiSA_SA_iPKfiiiPfSD_PS3_PT2_iSC_SC_,"axG",@progbits,_Z39paged_attention_ll4mi_QKV_mfma16_kernelI14__hip_bfloat16hLN4vllm18Fp8KVCacheDataTypeE1ES0_Li32ELi64ELi256ELb1ELi14EEvPKT_PKT0_S8_ifPKiSA_SA_iPKfiiiPfSD_PS3_PT2_iSC_SC_,comdat
	.protected	_Z39paged_attention_ll4mi_QKV_mfma16_kernelI14__hip_bfloat16hLN4vllm18Fp8KVCacheDataTypeE1ES0_Li32ELi64ELi256ELb1ELi14EEvPKT_PKT0_S8_ifPKiSA_SA_iPKfiiiPfSD_PS3_PT2_iSC_SC_ ; -- Begin function _Z39paged_attention_ll4mi_QKV_mfma16_kernelI14__hip_bfloat16hLN4vllm18Fp8KVCacheDataTypeE1ES0_Li32ELi64ELi256ELb1ELi14EEvPKT_PKT0_S8_ifPKiSA_SA_iPKfiiiPfSD_PS3_PT2_iSC_SC_
	.globl	_Z39paged_attention_ll4mi_QKV_mfma16_kernelI14__hip_bfloat16hLN4vllm18Fp8KVCacheDataTypeE1ES0_Li32ELi64ELi256ELb1ELi14EEvPKT_PKT0_S8_ifPKiSA_SA_iPKfiiiPfSD_PS3_PT2_iSC_SC_
	.p2align	8
	.type	_Z39paged_attention_ll4mi_QKV_mfma16_kernelI14__hip_bfloat16hLN4vllm18Fp8KVCacheDataTypeE1ES0_Li32ELi64ELi256ELb1ELi14EEvPKT_PKT0_S8_ifPKiSA_SA_iPKfiiiPfSD_PS3_PT2_iSC_SC_,@function
_Z39paged_attention_ll4mi_QKV_mfma16_kernelI14__hip_bfloat16hLN4vllm18Fp8KVCacheDataTypeE1ES0_Li32ELi64ELi256ELb1ELi14EEvPKT_PKT0_S8_ifPKiSA_SA_iPKfiiiPfSD_PS3_PT2_iSC_SC_: ; @_Z39paged_attention_ll4mi_QKV_mfma16_kernelI14__hip_bfloat16hLN4vllm18Fp8KVCacheDataTypeE1ES0_Li32ELi64ELi256ELb1ELi14EEvPKT_PKT0_S8_ifPKiSA_SA_iPKfiiiPfSD_PS3_PT2_iSC_SC_
; %bb.0:
	s_load_dwordx2 s[6:7], s[0:1], 0x30
	s_mov_b32 s28, s3
	s_mov_b64 s[8:9], 0
	s_waitcnt lgkmcnt(0)
	s_cmp_lg_u64 s[6:7], 0
	s_cselect_b64 s[10:11], -1, 0
	s_and_b64 vcc, exec, s[10:11]
	s_cbranch_vccz .LBB1221_7
; %bb.1:
	s_add_i32 s12, s2, 1
	s_mov_b32 s13, 0
	s_lshl_b64 s[14:15], s[12:13], 2
	s_add_u32 s14, s6, s14
	s_mov_b32 s3, s13
	s_addc_u32 s15, s7, s15
	s_lshl_b64 s[12:13], s[2:3], 2
	s_add_u32 s12, s6, s12
	s_addc_u32 s13, s7, s13
	s_load_dword s5, s[14:15], 0x0
	s_load_dword s16, s[12:13], 0x0
	s_waitcnt lgkmcnt(0)
	s_sub_i32 s5, s5, s16
	s_cmp_eq_u32 s5, 1
	s_cselect_b64 s[12:13], -1, 0
	s_andn2_b64 vcc, exec, s[8:9]
	s_cbranch_vccnz .LBB1221_3
.LBB1221_2:
	s_mov_b32 s3, 0
	s_mov_b64 s[12:13], -1
.LBB1221_3:
	s_andn2_b64 vcc, exec, s[12:13]
	s_cbranch_vccnz .LBB1221_20
; %bb.4:
	s_load_dwordx2 s[8:9], s[0:1], 0x28
	s_lshl_b64 s[12:13], s[2:3], 2
	s_waitcnt lgkmcnt(0)
	s_add_u32 s8, s8, s12
	s_addc_u32 s9, s9, s13
	s_load_dword s29, s[8:9], 0x0
	s_lshl_b32 s16, s28, 8
	s_waitcnt lgkmcnt(0)
	s_cmp_ge_i32 s16, s29
	s_cbranch_scc1 .LBB1221_20
; %bb.5:
	s_load_dwordx2 s[8:9], s[0:1], 0x20
	s_load_dword s5, s[0:1], 0x38
	s_add_i32 s14, s29, 31
	s_ashr_i32 s15, s14, 31
	v_and_b32_e32 v1, 0xcf, v0
	s_lshr_b32 s15, s15, 27
	v_add_u32_e32 v1, s16, v1
	s_add_i32 s14, s14, s15
	v_ashrrev_i32_e32 v2, 31, v1
	s_ashr_i32 s17, s14, 5
	v_lshrrev_b32_e32 v4, 27, v2
	s_add_i32 s17, s17, -1
	s_waitcnt lgkmcnt(0)
	s_mul_i32 s14, s2, s5
	s_mov_b32 s15, 0
	v_add_u32_e32 v2, v1, v4
	s_lshl_b64 s[14:15], s[14:15], 2
	v_ashrrev_i32_e32 v2, 5, v2
	v_mov_b32_e32 v5, s17
	v_cmp_gt_i32_e32 vcc, s29, v1
	s_add_u32 s8, s8, s14
	s_addc_u32 s9, s9, s15
	v_cndmask_b32_e32 v2, v5, v2, vcc
	v_ashrrev_i32_e32 v3, 31, v2
	v_lshl_add_u64 v[6:7], v[2:3], 2, s[8:9]
	v_or_b32_e32 v2, 16, v1
	v_add_u32_e32 v3, v2, v4
	v_ashrrev_i32_e32 v3, 5, v3
	v_cmp_gt_i32_e32 vcc, s29, v2
	s_load_dwordx2 s[14:15], s[0:1], 0x8
	s_nop 0
	v_cndmask_b32_e32 v2, v5, v3, vcc
	v_ashrrev_i32_e32 v3, 31, v2
	v_lshl_add_u64 v[8:9], v[2:3], 2, s[8:9]
	v_or_b32_e32 v2, 32, v1
	v_add_u32_e32 v3, v2, v4
	v_ashrrev_i32_e32 v3, 5, v3
	v_cmp_gt_i32_e32 vcc, s29, v2
	v_or_b32_e32 v1, 48, v1
	s_nop 0
	v_cndmask_b32_e32 v2, v5, v3, vcc
	v_ashrrev_i32_e32 v3, 31, v2
	v_lshl_add_u64 v[10:11], v[2:3], 2, s[8:9]
	v_add_u32_e32 v2, v1, v4
	v_ashrrev_i32_e32 v2, 5, v2
	v_cmp_gt_i32_e32 vcc, s29, v1
	s_nop 1
	v_cndmask_b32_e32 v2, v5, v2, vcc
	v_ashrrev_i32_e32 v3, 31, v2
	v_lshl_add_u64 v[12:13], v[2:3], 2, s[8:9]
	global_load_dword v5, v[6:7], off
	global_load_dword v4, v[8:9], off
	;; [unrolled: 1-line block ×4, first 2 shown]
	s_andn2_b64 vcc, exec, s[10:11]
	s_cbranch_vccnz .LBB1221_8
; %bb.6:
	s_add_u32 s6, s6, s12
	s_addc_u32 s7, s7, s13
	s_load_dword s5, s[6:7], 0x0
	s_branch .LBB1221_9
.LBB1221_7:
	s_mov_b64 s[12:13], 0
	s_branch .LBB1221_2
.LBB1221_8:
	s_mov_b32 s5, s2
.LBB1221_9:
	s_load_dwordx2 s[10:11], s[0:1], 0x10
	s_load_dwordx4 s[44:47], s[0:1], 0x48
	v_lshrrev_b32_e32 v29, 6, v0
	v_bfe_u32 v42, v0, 4, 2
	v_lshl_or_b32 v6, v29, 2, v42
	v_and_b32_e32 v28, 15, v0
	v_lshlrev_b32_e32 v1, 3, v28
	v_cmp_gt_u32_e32 vcc, 14, v6
	v_cmp_gt_u32_e64 s[30:31], 8, v28
	s_mul_i32 s48, s4, 14
	s_and_b64 s[12:13], s[30:31], vcc
	v_lshlrev_b32_e32 v26, 1, v1
	v_lshlrev_b32_e32 v1, 4, v0
	s_and_saveexec_b64 s[6:7], s[12:13]
	s_cbranch_execz .LBB1221_11
; %bb.10:
	s_load_dwordx2 s[12:13], s[0:1], 0x0
	s_waitcnt lgkmcnt(0)
	s_ashr_i32 s18, s44, 31
	s_mul_hi_u32 s19, s5, s44
	s_mul_i32 s18, s5, s18
	s_add_i32 s19, s19, s18
	s_mul_i32 s18, s5, s44
	s_lshl_b64 s[18:19], s[18:19], 1
	s_add_u32 s12, s12, s18
	v_add_lshl_u32 v8, v6, s48, 6
	s_addc_u32 s13, s13, s19
	v_ashrrev_i32_e32 v9, 31, v8
	v_lshl_add_u64 v[8:9], v[8:9], 1, s[12:13]
	v_mov_b32_e32 v27, 0
	v_lshl_add_u64 v[8:9], v[8:9], 0, v[26:27]
	global_load_dwordx4 v[8:11], v[8:9], off
	v_lshlrev_b32_e32 v12, 8, v28
	v_lshlrev_b32_e32 v6, 5, v6
	v_and_b32_e32 v7, 16, v1
	v_and_b32_e32 v12, 0xe00, v12
	v_or3_b32 v6, v12, v6, v7
	s_waitcnt vmcnt(0)
	ds_write_b128 v6, v[8:11]
.LBB1221_11:
	s_or_b64 exec, exec, s[6:7]
	s_waitcnt lgkmcnt(0)
	s_mul_i32 s12, s4, s46
	s_add_u32 s4, s14, s12
	s_addc_u32 s5, s15, 0
	v_mov_b32_e32 v31, 0
	v_mov_b64_e32 v[6:7], s[4:5]
	v_lshlrev_b32_e32 v10, 4, v28
	v_and_b32_e32 v27, 48, v0
	s_waitcnt vmcnt(3)
	v_mad_i64_i32 v[8:9], s[4:5], v5, s45, v[6:7]
	v_mov_b32_e32 v11, v31
	s_waitcnt vmcnt(2)
	v_mad_i64_i32 v[4:5], s[4:5], v4, s45, v[6:7]
	v_or_b32_e32 v12, 0x100, v10
	v_mov_b32_e32 v13, v31
	v_lshlrev_b32_e32 v30, 5, v27
	v_lshl_add_u64 v[8:9], v[8:9], 0, v[10:11]
	v_lshl_add_u64 v[4:5], v[4:5], 0, v[12:13]
	;; [unrolled: 1-line block ×4, first 2 shown]
	s_barrier
	global_load_dwordx4 v[22:25], v[8:9], off
	global_load_dwordx4 v[18:21], v[4:5], off
	s_waitcnt vmcnt(3)
	v_mad_i64_i32 v[4:5], s[4:5], v3, s45, v[6:7]
	v_lshl_add_u64 v[4:5], v[4:5], 0, v[10:11]
	s_waitcnt vmcnt(2)
	v_mad_i64_i32 v[2:3], s[4:5], v2, s45, v[6:7]
	v_lshl_add_u64 v[4:5], v[4:5], 0, v[30:31]
	v_lshl_add_u64 v[2:3], v[2:3], 0, v[12:13]
	;; [unrolled: 1-line block ×3, first 2 shown]
	global_load_dwordx4 v[14:17], v[4:5], off
	global_load_dwordx4 v[6:9], v[2:3], off
	v_add_u32_e32 v2, -14, v28
	v_cmp_gt_u32_e32 vcc, 14, v28
	v_and_b32_e32 v43, 63, v0
	v_mov_b32_e32 v44, 0
	v_cndmask_b32_e32 v2, v2, v28, vcc
	v_lshlrev_b32_e32 v2, 5, v2
	v_lshl_add_u32 v2, v42, 9, v2
	ds_read_b128 v[10:13], v2
	ds_read_b128 v[2:5], v2 offset:16
	s_and_saveexec_b64 s[4:5], vcc
	s_cbranch_execz .LBB1221_13
; %bb.12:
	s_load_dwordx2 s[6:7], s[0:1], 0x40
	v_add_u32_e32 v32, s48, v28
	v_ashrrev_i32_e32 v33, 31, v32
	s_waitcnt lgkmcnt(0)
	v_lshl_add_u64 v[32:33], v[32:33], 2, s[6:7]
	global_load_dword v44, v[32:33], off
.LBB1221_13:
	s_or_b64 exec, exec, s[4:5]
	s_ashr_i32 s4, s16, 31
	v_or_b32_e32 v45, s16, v27
	s_lshr_b32 s13, s4, 27
	v_add_u32_e32 v27, s13, v45
	v_ashrrev_i32_e32 v27, 5, v27
	s_waitcnt vmcnt(3)
	v_cvt_pk_f32_fp8_e32 v[34:35], v22
	v_cvt_pk_f32_fp8_sdwa v[36:37], v22 src0_sel:WORD_1
	s_waitcnt vmcnt(2)
	v_cvt_pk_f32_fp8_e32 v[56:57], v20
	v_cvt_pk_f32_fp8_sdwa v[58:59], v20 src0_sel:WORD_1
	v_mov_b32_e32 v20, s17
	v_cmp_gt_i32_e32 vcc, s29, v45
	v_cvt_pk_f32_fp8_e32 v[48:49], v18
	v_cvt_pk_f32_fp8_sdwa v[50:51], v18 src0_sel:WORD_1
	v_cndmask_b32_e32 v18, v20, v27, vcc
	v_cvt_pk_f32_fp8_e32 v[52:53], v19
	v_cvt_pk_f32_fp8_sdwa v[54:55], v19 src0_sel:WORD_1
	v_ashrrev_i32_e32 v19, 31, v18
	v_lshl_add_u64 v[18:19], v[18:19], 2, s[8:9]
	s_mov_b32 s33, 0x7060302
	v_cvt_pk_f32_fp8_e32 v[32:33], v23
	v_cvt_pk_f32_fp8_sdwa v[22:23], v23 src0_sel:WORD_1
	global_load_dword v70, v[18:19], off
	v_perm_b32 v18, v35, v34, s33
	v_perm_b32 v19, v37, v36, s33
	v_cvt_pk_f32_fp8_e32 v[60:61], v21
	v_cvt_pk_f32_fp8_sdwa v[62:63], v21 src0_sel:WORD_1
	v_or_b32_e32 v21, 64, v45
	v_or_b32_e32 v34, 0x80, v45
	;; [unrolled: 1-line block ×3, first 2 shown]
	v_cmp_gt_i32_e32 vcc, s29, v21
	v_add_u32_e32 v21, s13, v21
	v_cmp_gt_i32_e64 s[4:5], s29, v34
	v_add_u32_e32 v34, s13, v34
	v_cmp_gt_i32_e64 s[6:7], s29, v35
	v_add_u32_e32 v35, s13, v35
	v_cvt_pk_f32_fp8_e32 v[38:39], v24
	v_cvt_pk_f32_fp8_sdwa v[40:41], v24 src0_sel:WORD_1
	v_cvt_pk_f32_fp8_e32 v[46:47], v25
	v_ashrrev_i32_e32 v21, 5, v21
	v_ashrrev_i32_e32 v34, 5, v34
	;; [unrolled: 1-line block ×3, first 2 shown]
	v_perm_b32 v32, v33, v32, s33
	v_perm_b32 v33, v23, v22, s33
	;; [unrolled: 1-line block ×4, first 2 shown]
	v_cvt_pk_f32_fp8_sdwa v[24:25], v25 src0_sel:WORD_1
	v_cndmask_b32_e32 v36, v20, v21, vcc
	v_cndmask_b32_e64 v64, v20, v34, s[4:5]
	v_cndmask_b32_e64 v66, v20, v35, s[6:7]
	s_waitcnt lgkmcnt(1)
	v_mfma_f32_16x16x16_bf16 v[18:21], v[18:19], v[10:11], 0
	v_perm_b32 v38, v39, v38, s33
	v_perm_b32 v39, v41, v40, s33
	;; [unrolled: 1-line block ×5, first 2 shown]
	s_load_dword s14, s[0:1], 0x1c
	s_load_dwordx4 s[40:43], s[0:1], 0x80
	v_perm_b32 v69, v25, v24, s33
	v_mfma_f32_16x16x16_bf16 v[22:25], v[22:23], v[10:11], 0
	s_add_u32 s10, s10, s12
	v_and_b32_e32 v30, 16, v0
	v_lshlrev_b32_e32 v27, 5, v28
	v_mfma_f32_16x16x16_bf16 v[32:35], v[32:33], v[12:13], v[18:21]
	s_addc_u32 s11, s11, 0
	v_lshl_add_u64 v[40:41], s[10:11], 0, v[30:31]
	v_lshl_or_b32 v30, v29, 9, v27
	v_ashrrev_i32_e32 v37, 31, v36
	v_ashrrev_i32_e32 v65, 31, v64
	;; [unrolled: 1-line block ×3, first 2 shown]
	v_perm_b32 v48, v57, v56, s33
	v_perm_b32 v49, v59, v58, s33
	v_mfma_f32_16x16x16_bf16 v[20:23], v[46:47], v[12:13], v[22:25]
	v_lshl_add_u64 v[18:19], v[40:41], 0, v[30:31]
	s_waitcnt lgkmcnt(0)
	s_load_dword s6, s[40:41], 0x0
	v_perm_b32 v50, v61, v60, s33
	v_mfma_f32_16x16x16_bf16 v[30:33], v[38:39], v[2:3], v[32:35]
	v_lshl_add_u64 v[24:25], v[36:37], 2, s[8:9]
	v_lshl_add_u64 v[36:37], v[66:67], 2, s[8:9]
	v_perm_b32 v51, v63, v62, s33
	v_lshl_add_u64 v[34:35], v[64:65], 2, s[8:9]
	global_load_dword v47, v[24:25], off
	global_load_dword v45, v[34:35], off
	;; [unrolled: 1-line block ×3, first 2 shown]
	s_waitcnt vmcnt(5)
	v_cvt_pk_f32_fp8_e32 v[34:35], v14
	v_cvt_pk_f32_fp8_sdwa v[36:37], v14 src0_sel:WORD_1
	v_mfma_f32_16x16x16_bf16 v[20:23], v[48:49], v[2:3], v[20:23]
	v_cvt_pk_f32_fp8_e32 v[38:39], v15
	v_perm_b32 v34, v35, v34, s33
	v_perm_b32 v35, v37, v36, s33
	v_cvt_pk_f32_fp8_sdwa v[14:15], v15 src0_sel:WORD_1
	v_mov_b32_e32 v40, s14
	s_waitcnt lgkmcnt(0)
	v_mul_f32_e32 v48, s6, v40
	v_mfma_f32_16x16x16_bf16 v[20:23], v[50:51], v[4:5], v[20:23]
	v_perm_b32 v38, v39, v38, s33
	v_cvt_pk_f32_fp8_e32 v[40:41], v16
	v_cvt_pk_f32_fp8_sdwa v[50:51], v16 src0_sel:WORD_1
	v_perm_b32 v39, v15, v14, s33
	v_mfma_f32_16x16x16_bf16 v[34:37], v[34:35], v[10:11], 0
	v_perm_b32 v40, v41, v40, s33
	v_perm_b32 v41, v51, v50, s33
	v_cvt_pk_f32_fp8_e32 v[50:51], v17
	v_cvt_pk_f32_fp8_sdwa v[52:53], v17 src0_sel:WORD_1
	v_mfma_f32_16x16x16_bf16 v[30:33], v[68:69], v[4:5], v[30:33]
	s_mov_b32 s44, 0xff7fffff
	s_waitcnt vmcnt(3)
	v_mad_i64_i32 v[24:25], s[4:5], v70, s45, v[18:19]
	v_mfma_f32_16x16x16_bf16 v[14:17], v[38:39], v[12:13], v[34:37]
	s_nop 2
	v_perm_b32 v34, v51, v50, s33
	v_perm_b32 v35, v53, v52, s33
	v_mfma_f32_16x16x16_bf16 v[14:17], v[40:41], v[2:3], v[14:17]
	v_pk_mul_f32 v[38:39], v[48:49], v[30:31] op_sel_hi:[0,1]
	v_cvt_pk_f32_fp8_e32 v[30:31], v6
	v_cvt_pk_f32_fp8_sdwa v[36:37], v6 src0_sel:WORD_1
	v_mfma_f32_16x16x16_bf16 v[14:17], v[34:35], v[4:5], v[14:17]
	v_cvt_pk_f32_fp8_e32 v[34:35], v7
	v_perm_b32 v30, v31, v30, s33
	v_perm_b32 v31, v37, v36, s33
	v_cvt_pk_f32_fp8_sdwa v[6:7], v7 src0_sel:WORD_1
	v_perm_b32 v40, v35, v34, s33
	v_cvt_pk_f32_fp8_e32 v[50:51], v8
	v_cvt_pk_f32_fp8_sdwa v[52:53], v8 src0_sel:WORD_1
	v_perm_b32 v41, v7, v6, s33
	v_mfma_f32_16x16x16_bf16 v[34:37], v[30:31], v[10:11], 0
	v_perm_b32 v10, v51, v50, s33
	v_perm_b32 v11, v53, v52, s33
	v_cvt_pk_f32_fp8_e32 v[30:31], v9
	v_cvt_pk_f32_fp8_sdwa v[50:51], v9 src0_sel:WORD_1
	v_mfma_f32_16x16x16_bf16 v[6:9], v[40:41], v[12:13], v[34:37]
	v_pk_mul_f32 v[40:41], v[48:49], v[20:21] op_sel_hi:[0,1]
	v_perm_b32 v12, v31, v30, s33
	v_perm_b32 v13, v51, v50, s33
	v_mfma_f32_16x16x16_bf16 v[6:9], v[10:11], v[2:3], v[6:9]
	v_pk_mul_f32 v[36:37], v[48:49], v[22:23] op_sel_hi:[0,1]
	v_pk_mul_f32 v[32:33], v[48:49], v[32:33] op_sel_hi:[0,1]
	;; [unrolled: 1-line block ×3, first 2 shown]
	v_mfma_f32_16x16x16_bf16 v[2:5], v[12:13], v[4:5], v[6:9]
	v_pk_mul_f32 v[34:35], v[48:49], v[14:15] op_sel_hi:[0,1]
	s_nop 5
	v_pk_mul_f32 v[22:23], v[48:49], v[2:3] op_sel_hi:[0,1]
	v_and_b32_e32 v2, 0xc0, v0
	v_add_u32_e32 v2, s16, v2
	v_lshl_or_b32 v2, v42, 2, v2
	v_or_b32_e32 v3, 1, v2
	v_pk_mul_f32 v[20:21], v[48:49], v[4:5] op_sel_hi:[0,1]
	v_subrev_u32_e32 v4, s29, v3
	v_add_u32_e32 v6, 1, v4
	v_add_u32_e32 v7, 2, v4
	;; [unrolled: 1-line block ×3, first 2 shown]
	v_cvt_f32_i32_e32 v6, v6
	v_cvt_f32_i32_e32 v7, v7
	;; [unrolled: 1-line block ×3, first 2 shown]
	v_add_u32_e32 v9, 19, v4
	v_fmac_f32_e32 v39, v44, v6
	v_fma_f32 v32, v44, v7, v32
	v_fmac_f32_e32 v33, v44, v8
	v_add_u32_e32 v6, 16, v4
	v_add_u32_e32 v7, 17, v4
	;; [unrolled: 1-line block ×3, first 2 shown]
	v_cvt_f32_i32_e32 v6, v6
	v_cvt_f32_i32_e32 v7, v7
	;; [unrolled: 1-line block ×4, first 2 shown]
	v_fma_f32 v40, v44, v6, v40
	v_fmac_f32_e32 v41, v44, v7
	v_fma_f32 v36, v44, v8, v36
	v_add_u32_e32 v6, 32, v4
	v_add_u32_e32 v7, 33, v4
	;; [unrolled: 1-line block ×3, first 2 shown]
	v_cvt_f32_i32_e32 v6, v6
	v_cvt_f32_i32_e32 v7, v7
	;; [unrolled: 1-line block ×4, first 2 shown]
	v_fmac_f32_e32 v37, v44, v9
	v_add_u32_e32 v9, 35, v4
	v_fma_f32 v48, v44, v6, v34
	v_fmac_f32_e32 v35, v44, v7
	v_fma_f32 v30, v44, v8, v30
	v_add_u32_e32 v6, 48, v4
	v_add_u32_e32 v7, 49, v4
	;; [unrolled: 1-line block ×4, first 2 shown]
	v_cvt_f32_i32_e32 v4, v4
	v_cvt_f32_i32_e32 v6, v6
	;; [unrolled: 1-line block ×3, first 2 shown]
	v_fma_f32 v5, v44, v5, v38
	v_fmac_f32_e32 v21, v44, v4
	v_mov_b32_e32 v4, 0xff7fffff
	v_cmp_gt_i32_e64 s[4:5], s29, v2
	v_cmp_gt_i32_e64 s[34:35], s29, v3
	v_fma_f32 v22, v44, v6, v22
	v_cndmask_b32_e64 v6, v4, v5, s[4:5]
	v_cndmask_b32_e64 v3, v4, v39, s[34:35]
	v_fmac_f32_e32 v23, v44, v7
	v_max3_f32 v3, v6, s44, v3
	v_or_b32_e32 v6, 2, v2
	v_or_b32_e32 v7, 3, v2
	v_cmp_gt_i32_e64 s[36:37], s29, v6
	v_cmp_gt_i32_e64 s[38:39], s29, v7
	v_cvt_f32_i32_e32 v9, v9
	v_cndmask_b32_e64 v6, v4, v32, s[36:37]
	v_cndmask_b32_e64 v7, v4, v33, s[38:39]
	v_max3_f32 v3, v3, v6, v7
	v_or_b32_e32 v6, 16, v2
	v_or_b32_e32 v7, 17, v2
	v_cmp_gt_i32_e64 s[24:25], s29, v6
	v_cmp_gt_i32_e64 s[26:27], s29, v7
	v_fmac_f32_e32 v31, v44, v9
	v_cndmask_b32_e64 v6, v4, v40, s[24:25]
	v_cndmask_b32_e64 v7, v4, v41, s[26:27]
	v_max3_f32 v3, v3, v6, v7
	v_or_b32_e32 v6, 18, v2
	v_or_b32_e32 v7, 19, v2
	v_cmp_gt_i32_e64 s[20:21], s29, v6
	v_cmp_gt_i32_e64 s[22:23], s29, v7
	v_cvt_f32_i32_e32 v8, v8
	v_cndmask_b32_e64 v6, v4, v36, s[20:21]
	v_cndmask_b32_e64 v7, v4, v37, s[22:23]
	v_max3_f32 v3, v3, v6, v7
	v_or_b32_e32 v6, 32, v2
	v_or_b32_e32 v7, 33, v2
	v_cmp_gt_i32_e64 s[16:17], s29, v6
	v_cmp_gt_i32_e64 s[18:19], s29, v7
	v_fma_f32 v20, v44, v8, v20
	v_cndmask_b32_e64 v6, v4, v48, s[16:17]
	v_cndmask_b32_e64 v7, v4, v35, s[18:19]
	v_max3_f32 v3, v3, v6, v7
	v_or_b32_e32 v6, 34, v2
	v_or_b32_e32 v7, 35, v2
	v_cmp_gt_i32_e64 s[12:13], s29, v6
	v_cmp_gt_i32_e64 s[14:15], s29, v7
	s_nop 0
	v_cndmask_b32_e64 v6, v4, v30, s[12:13]
	v_cndmask_b32_e64 v7, v4, v31, s[14:15]
	v_max3_f32 v3, v3, v6, v7
	v_or_b32_e32 v6, 48, v2
	v_or_b32_e32 v7, 49, v2
	v_cmp_gt_i32_e64 s[8:9], s29, v6
	v_cmp_gt_i32_e64 s[10:11], s29, v7
	s_nop 0
	v_cndmask_b32_e64 v6, v4, v22, s[8:9]
	v_cndmask_b32_e64 v7, v4, v23, s[10:11]
	v_max3_f32 v3, v3, v6, v7
	v_or_b32_e32 v6, 50, v2
	v_or_b32_e32 v2, 51, v2
	v_cmp_gt_i32_e32 vcc, s29, v6
	v_cmp_gt_i32_e64 s[6:7], s29, v2
	s_nop 0
	v_cndmask_b32_e32 v6, v4, v20, vcc
	v_cndmask_b32_e64 v2, v4, v21, s[6:7]
	v_max3_f32 v4, v3, v6, v2
	v_mbcnt_lo_u32_b32 v2, -1, 0
	v_mbcnt_hi_u32_b32 v6, -1, v2
	v_and_b32_e32 v2, 64, v6
	v_add_u32_e32 v7, 64, v2
	v_xor_b32_e32 v2, 32, v6
	v_cmp_lt_i32_e64 s[40:41], v2, v7
	s_nop 1
	v_cndmask_b32_e64 v2, v6, v2, s[40:41]
	v_lshlrev_b32_e32 v44, 2, v2
	ds_bpermute_b32 v8, v44, v4
	s_waitcnt vmcnt(2)
	v_mad_i64_i32 v[2:3], s[40:41], v47, s45, v[18:19]
	global_load_dwordx4 v[14:17], v[24:25], off
	global_load_dwordx4 v[10:13], v[2:3], off
	v_xor_b32_e32 v3, 16, v6
	v_cmp_lt_i32_e64 s[40:41], v3, v7
	s_waitcnt lgkmcnt(0)
	v_max_f32_e32 v2, v8, v8
	v_max_f32_e32 v2, v4, v2
	v_cndmask_b32_e64 v3, v6, v3, s[40:41]
	v_lshlrev_b32_e32 v47, 2, v3
	ds_bpermute_b32 v3, v47, v2
	s_waitcnt vmcnt(3)
	v_mad_i64_i32 v[24:25], s[40:41], v45, s45, v[18:19]
	s_waitcnt vmcnt(2)
	v_mad_i64_i32 v[18:19], s[40:41], v46, s45, v[18:19]
	s_waitcnt lgkmcnt(0)
	v_max_f32_e32 v3, v3, v3
	v_max_f32_e32 v34, v2, v3
	v_sub_f32_e32 v2, v5, v34
	v_mul_f32_e32 v2, 0x3fb8aa3b, v2
	v_exp_f32_e32 v38, v2
	v_sub_f32_e32 v2, v39, v34
	v_mul_f32_e32 v2, 0x3fb8aa3b, v2
	v_exp_f32_e32 v39, v2
	global_load_dwordx4 v[6:9], v[24:25], off
	global_load_dwordx4 v[2:5], v[18:19], off
	v_sub_f32_e32 v25, v32, v34
	v_sub_f32_e32 v32, v33, v34
	v_mul_f32_e32 v25, 0x3fb8aa3b, v25
	v_mul_f32_e32 v32, 0x3fb8aa3b, v32
	v_exp_f32_e32 v25, v25
	v_exp_f32_e32 v32, v32
	v_cndmask_b32_e64 v18, 0, v38, s[4:5]
	v_cndmask_b32_e64 v19, 0, v39, s[34:35]
	v_cndmask_b32_e64 v38, 0, v25, s[36:37]
	v_cndmask_b32_e64 v39, 0, v32, s[38:39]
	v_sub_f32_e32 v25, v40, v34
	v_sub_f32_e32 v32, v41, v34
	v_mul_f32_e32 v25, 0x3fb8aa3b, v25
	v_mul_f32_e32 v32, 0x3fb8aa3b, v32
	v_exp_f32_e32 v25, v25
	v_exp_f32_e32 v32, v32
	v_add_f32_e32 v24, 0, v18
	v_add_f32_e32 v24, v24, v19
	;; [unrolled: 1-line block ×4, first 2 shown]
	v_cndmask_b32_e64 v24, 0, v25, s[24:25]
	v_cndmask_b32_e64 v25, 0, v32, s[26:27]
	v_sub_f32_e32 v32, v36, v34
	v_mul_f32_e32 v32, 0x3fb8aa3b, v32
	v_exp_f32_e32 v32, v32
	v_sub_f32_e32 v36, v37, v34
	v_add_f32_e32 v33, v33, v24
	v_mul_f32_e32 v36, 0x3fb8aa3b, v36
	v_exp_f32_e32 v37, v36
	v_add_f32_e32 v33, v33, v25
	v_cndmask_b32_e64 v36, 0, v32, s[20:21]
	v_add_f32_e32 v32, v33, v36
	v_sub_f32_e32 v33, v48, v34
	v_mul_f32_e32 v33, 0x3fb8aa3b, v33
	v_sub_f32_e32 v35, v35, v34
	v_exp_f32_e32 v33, v33
	v_mul_f32_e32 v35, 0x3fb8aa3b, v35
	v_sub_f32_e32 v30, v30, v34
	v_exp_f32_e32 v35, v35
	;; [unrolled: 3-line block ×3, first 2 shown]
	v_mul_f32_e32 v31, 0x3fb8aa3b, v31
	v_sub_f32_e32 v22, v22, v34
	v_cndmask_b32_e64 v37, 0, v37, s[22:23]
	v_exp_f32_e32 v31, v31
	v_mul_f32_e32 v22, 0x3fb8aa3b, v22
	v_sub_f32_e32 v23, v23, v34
	v_add_f32_e32 v40, v32, v37
	v_cndmask_b32_e64 v32, 0, v33, s[16:17]
	v_exp_f32_e32 v22, v22
	v_mul_f32_e32 v23, 0x3fb8aa3b, v23
	v_sub_f32_e32 v20, v20, v34
	v_add_f32_e32 v40, v40, v32
	;; [unrolled: 5-line block ×3, first 2 shown]
	v_cndmask_b32_e64 v30, 0, v30, s[12:13]
	v_exp_f32_e32 v20, v20
	v_mul_f32_e32 v21, 0x3fb8aa3b, v21
	v_add_f32_e32 v35, v35, v30
	v_cndmask_b32_e64 v31, 0, v31, s[14:15]
	v_exp_f32_e32 v21, v21
	v_add_f32_e32 v35, v35, v31
	v_cndmask_b32_e64 v22, 0, v22, s[8:9]
	v_add_f32_e32 v35, v35, v22
	v_cndmask_b32_e64 v23, 0, v23, s[10:11]
	v_add_f32_e32 v35, v35, v23
	v_cndmask_b32_e32 v20, 0, v20, vcc
	v_add_f32_e32 v35, v35, v20
	v_cndmask_b32_e64 v21, 0, v21, s[6:7]
	v_add_f32_e32 v35, v35, v21
	ds_bpermute_b32 v40, v44, v35
	s_load_dword s7, s[0:1], 0x98
	v_cmp_gt_u32_e32 vcc, 16, v43
	s_waitcnt lgkmcnt(0)
	s_barrier
	v_add_f32_e32 v40, v35, v40
	ds_bpermute_b32 v41, v47, v40
	v_lshlrev_b32_e32 v35, 2, v28
	s_waitcnt lgkmcnt(0)
	s_and_saveexec_b64 s[4:5], vcc
	s_cbranch_execz .LBB1221_15
; %bb.14:
	v_add_f32_e32 v40, v40, v41
	v_lshl_or_b32 v41, v29, 6, v35
	ds_write2st64_b32 v41, v34, v40 offset1:1
.LBB1221_15:
	s_or_b64 exec, exec, s[4:5]
	s_load_dword s6, s[0:1], 0x94
	s_waitcnt lgkmcnt(0)
	s_barrier
	ds_read2_b32 v[40:41], v35 offset1:16
	ds_read2_b32 v[44:45], v35 offset0:32 offset1:48
	ds_read2_b32 v[46:47], v35 offset0:64 offset1:80
	s_movk_i32 s8, 0x7fff
	s_mul_i32 s7, s7, 14
	s_waitcnt lgkmcnt(2)
	v_max3_f32 v34, v40, s44, v41
	s_waitcnt lgkmcnt(1)
	v_max3_f32 v34, v34, v44, v45
	v_sub_f32_e32 v40, v40, v34
	v_mul_f32_e32 v40, 0x3fb8aa3b, v40
	v_exp_f32_e32 v43, v40
	v_sub_f32_e32 v40, v41, v34
	v_mul_f32_e32 v40, 0x3fb8aa3b, v40
	v_exp_f32_e32 v48, v40
	;; [unrolled: 3-line block ×3, first 2 shown]
	ds_read2_b32 v[40:41], v35 offset0:96 offset1:112
	v_sub_f32_e32 v35, v45, v34
	v_mul_f32_e32 v35, 0x3fb8aa3b, v35
	v_exp_f32_e32 v45, v35
	s_waitcnt lgkmcnt(1)
	v_fma_f32 v35, v43, v46, 0
	v_fmac_f32_e32 v35, v48, v47
	s_waitcnt lgkmcnt(0)
	v_fmac_f32_e32 v35, v44, v40
	v_fmac_f32_e32 v35, v45, v41
	v_add_f32_e32 v40, 0x358637bd, v35
	v_div_scale_f32 v41, s[4:5], v40, v40, 1.0
	v_rcp_f32_e32 v46, v41
	s_barrier
	v_fma_f32 v47, -v41, v46, 1.0
	v_fmac_f32_e32 v46, v47, v46
	v_div_scale_f32 v47, vcc, 1.0, v40, 1.0
	v_mul_f32_e32 v49, v47, v46
	v_fma_f32 v50, -v41, v49, v47
	v_fmac_f32_e32 v49, v50, v46
	v_fma_f32 v41, -v41, v49, v47
	v_div_fmas_f32 v41, v41, v46, v49
	v_cmp_eq_u32_e32 vcc, 1, v29
	v_div_fixup_f32 v40, v41, v40, 1.0
	s_nop 0
	v_cndmask_b32_e32 v41, v43, v48, vcc
	v_cmp_eq_u32_e32 vcc, 2, v29
	s_nop 1
	v_cndmask_b32_e32 v41, v41, v44, vcc
	v_cmp_eq_u32_e32 vcc, 3, v29
	s_nop 1
	v_cndmask_b32_e32 v41, v41, v45, vcc
	v_mul_f32_e32 v40, v41, v40
	v_pk_mul_f32 v[18:19], v[40:41], v[18:19] op_sel_hi:[0,1]
	v_pk_mul_f32 v[38:39], v[40:41], v[38:39] op_sel_hi:[0,1]
	v_bfe_u32 v41, v19, 16, 1
	v_bfe_u32 v43, v18, 16, 1
	v_add3_u32 v18, v18, v43, s8
	v_add3_u32 v19, v19, v41, s8
	v_perm_b32 v44, v19, v18, s33
	v_bfe_u32 v18, v39, 16, 1
	v_bfe_u32 v19, v38, 16, 1
	v_add3_u32 v19, v38, v19, s8
	v_add3_u32 v18, v39, v18, s8
	v_perm_b32 v45, v18, v19, s33
	v_lshlrev_b32_e32 v18, 3, v42
	v_lshlrev_b32_e32 v19, 11, v29
	v_pk_mul_f32 v[24:25], v[40:41], v[24:25] op_sel_hi:[0,1]
	v_or3_b32 v18, v19, v27, v18
	v_bfe_u32 v19, v25, 16, 1
	v_bfe_u32 v29, v24, 16, 1
	v_pk_mul_f32 v[36:37], v[40:41], v[36:37] op_sel_hi:[0,1]
	v_add3_u32 v24, v24, v29, s8
	v_add3_u32 v19, v25, v19, s8
	v_perm_b32 v24, v19, v24, s33
	v_bfe_u32 v19, v37, 16, 1
	v_bfe_u32 v25, v36, 16, 1
	v_add3_u32 v25, v36, v25, s8
	v_add3_u32 v19, v37, v19, s8
	v_perm_b32 v25, v19, v25, s33
	ds_write2st64_b64 v18, v[44:45], v[24:25] offset1:1
	v_pk_mul_f32 v[24:25], v[40:41], v[30:31] op_sel_hi:[0,1]
	v_pk_mul_f32 v[30:31], v[40:41], v[32:33] op_sel_hi:[0,1]
	v_bfe_u32 v19, v31, 16, 1
	v_bfe_u32 v29, v30, 16, 1
	v_add3_u32 v29, v30, v29, s8
	v_add3_u32 v19, v31, v19, s8
	v_perm_b32 v30, v19, v29, s33
	v_bfe_u32 v19, v25, 16, 1
	v_bfe_u32 v29, v24, 16, 1
	v_add3_u32 v24, v24, v29, s8
	v_add3_u32 v19, v25, v19, s8
	v_pk_mul_f32 v[22:23], v[40:41], v[22:23] op_sel_hi:[0,1]
	v_perm_b32 v31, v19, v24, s33
	v_bfe_u32 v19, v23, 16, 1
	v_bfe_u32 v24, v22, 16, 1
	v_pk_mul_f32 v[20:21], v[40:41], v[20:21] op_sel_hi:[0,1]
	v_add3_u32 v22, v22, v24, s8
	v_add3_u32 v19, v23, v19, s8
	v_perm_b32 v22, v19, v22, s33
	v_bfe_u32 v19, v21, 16, 1
	v_bfe_u32 v23, v20, 16, 1
	v_add3_u32 v20, v20, v23, s8
	v_add3_u32 v19, v21, v19, s8
	v_perm_b32 v23, v19, v20, s33
	v_cmp_gt_u32_e32 vcc, 14, v0
	ds_write2st64_b64 v18, v[30:31], v[22:23] offset0:2 offset1:3
	s_and_saveexec_b64 s[4:5], vcc
	s_cbranch_execz .LBB1221_17
; %bb.16:
	s_mov_b32 s49, 0
	v_mov_b32_e32 v29, 0
	v_lshl_add_u64 v[20:21], s[48:49], 0, v[28:29]
	v_mov_b32_e32 v19, s7
	v_mad_u64_u32 v[20:21], s[10:11], s2, v19, v[20:21]
	s_mul_i32 s3, s3, s7
	v_mov_b32_e32 v28, s28
	s_load_dwordx4 s[12:15], s[0:1], 0x58
	v_add_u32_e32 v19, s3, v21
	v_mad_u64_u32 v[20:21], s[10:11], v20, s6, v[28:29]
	v_mov_b32_e32 v22, v21
	v_mad_u64_u32 v[22:23], s[10:11], v19, s6, v[22:23]
	v_mov_b32_e32 v21, v22
	v_lshlrev_b64 v[20:21], 2, v[20:21]
	s_waitcnt lgkmcnt(0)
	v_lshl_add_u64 v[22:23], s[14:15], 0, v[20:21]
	v_lshl_add_u64 v[20:21], s[12:13], 0, v[20:21]
	global_store_dword v[22:23], v34, off
	global_store_dword v[20:21], v35, off
.LBB1221_17:
	s_or_b64 exec, exec, s[4:5]
	s_waitcnt vmcnt(3)
	v_cvt_pk_f32_fp8_e32 v[20:21], v14
	v_cvt_pk_f32_fp8_sdwa v[22:23], v14 src0_sel:WORD_1
	s_mov_b32 s4, 0x7060302
	v_lshl_or_b32 v14, v42, 9, v27
	s_waitcnt lgkmcnt(0)
	s_barrier
	v_perm_b32 v24, v21, v20, s4
	v_perm_b32 v25, v23, v22, s4
	v_cvt_pk_f32_fp8_e32 v[28:29], v15
	ds_read_b128 v[20:23], v14
	v_cvt_pk_f32_fp8_sdwa v[36:37], v15 src0_sel:WORD_1
	s_load_dword s10, s[42:43], 0x0
	v_perm_b32 v38, v29, v28, s4
	ds_read_b128 v[28:31], v14 offset:16
	v_perm_b32 v39, v37, v36, s4
	s_waitcnt lgkmcnt(0)
	v_mfma_f32_16x16x16_bf16 v[32:35], v[24:25], v[20:21], 0
	v_cvt_pk_f32_fp8_e32 v[24:25], v16
	v_cvt_pk_f32_fp8_sdwa v[36:37], v16 src0_sel:WORD_1
	v_cmp_gt_u32_e32 vcc, 64, v0
	v_mfma_f32_16x16x16_bf16 v[20:23], v[38:39], v[22:23], v[32:35]
	v_perm_b32 v24, v25, v24, s4
	v_perm_b32 v25, v37, v36, s4
	s_mov_b32 s3, 0
	v_cvt_pk_f32_fp8_e32 v[32:33], v17
	v_cvt_pk_f32_fp8_sdwa v[16:17], v17 src0_sel:WORD_1
	s_waitcnt vmcnt(2)
	v_cvt_pk_f32_fp8_sdwa v[34:35], v10 src0_sel:WORD_1
	v_mfma_f32_16x16x16_bf16 v[20:23], v[24:25], v[28:29], v[20:23]
	v_perm_b32 v36, v33, v32, s4
	v_cvt_pk_f32_fp8_e32 v[32:33], v10
	v_perm_b32 v37, v17, v16, s4
	v_perm_b32 v17, v35, v34, s4
	v_cvt_pk_f32_fp8_e32 v[24:25], v11
	v_perm_b32 v16, v33, v32, s4
	ds_read_b128 v[32:35], v14 offset:2048
	v_cvt_pk_f32_fp8_sdwa v[10:11], v11 src0_sel:WORD_1
	v_mfma_f32_16x16x16_bf16 v[20:23], v[36:37], v[30:31], v[20:23]
	ds_read_b128 v[28:31], v14 offset:2064
	v_perm_b32 v24, v25, v24, s4
	v_perm_b32 v25, v11, v10, s4
	s_waitcnt lgkmcnt(1)
	v_mfma_f32_16x16x16_bf16 v[20:23], v[16:17], v[32:33], v[20:23]
	v_cvt_pk_f32_fp8_e32 v[10:11], v12
	v_cvt_pk_f32_fp8_sdwa v[16:17], v12 src0_sel:WORD_1
	s_waitcnt vmcnt(1)
	v_cvt_pk_f32_fp8_sdwa v[32:33], v6 src0_sel:WORD_1
	v_mfma_f32_16x16x16_bf16 v[20:23], v[24:25], v[34:35], v[20:23]
	v_cvt_pk_f32_fp8_e32 v[24:25], v13
	v_perm_b32 v10, v11, v10, s4
	v_perm_b32 v11, v17, v16, s4
	v_cvt_pk_f32_fp8_sdwa v[12:13], v13 src0_sel:WORD_1
	v_perm_b32 v16, v25, v24, s4
	v_cvt_pk_f32_fp8_e32 v[24:25], v6
	v_mov_b32_e32 v27, 0
	v_perm_b32 v17, v13, v12, s4
	s_waitcnt lgkmcnt(0)
	v_mfma_f32_16x16x16_bf16 v[10:13], v[10:11], v[28:29], v[20:23]
	v_perm_b32 v24, v25, v24, s4
	v_perm_b32 v25, v33, v32, s4
	v_cvt_pk_f32_fp8_e32 v[28:29], v7
	ds_read_b128 v[20:23], v14 offset:4096
	v_cvt_pk_f32_fp8_sdwa v[6:7], v7 src0_sel:WORD_1
	v_mfma_f32_16x16x16_bf16 v[10:13], v[16:17], v[30:31], v[10:13]
	v_perm_b32 v16, v29, v28, s4
	ds_read_b128 v[28:31], v14 offset:4112
	v_perm_b32 v17, v7, v6, s4
	s_waitcnt lgkmcnt(1)
	v_mfma_f32_16x16x16_bf16 v[10:13], v[24:25], v[20:21], v[10:13]
	v_cvt_pk_f32_fp8_e32 v[6:7], v8
	v_cvt_pk_f32_fp8_sdwa v[20:21], v8 src0_sel:WORD_1
	v_perm_b32 v6, v7, v6, s4
	v_mfma_f32_16x16x16_bf16 v[10:13], v[16:17], v[22:23], v[10:13]
	v_cvt_pk_f32_fp8_e32 v[16:17], v9
	v_perm_b32 v7, v21, v20, s4
	v_cvt_pk_f32_fp8_sdwa v[8:9], v9 src0_sel:WORD_1
	s_waitcnt vmcnt(0)
	v_cvt_pk_f32_fp8_e32 v[20:21], v2
	v_perm_b32 v16, v17, v16, s4
	v_cvt_pk_f32_fp8_sdwa v[22:23], v2 src0_sel:WORD_1
	v_perm_b32 v17, v9, v8, s4
	s_waitcnt lgkmcnt(0)
	v_mfma_f32_16x16x16_bf16 v[6:9], v[6:7], v[28:29], v[10:13]
	v_perm_b32 v20, v21, v20, s4
	v_perm_b32 v21, v23, v22, s4
	v_cvt_pk_f32_fp8_e32 v[22:23], v3
	ds_read_b128 v[10:13], v14 offset:6144
	v_cvt_pk_f32_fp8_sdwa v[2:3], v3 src0_sel:WORD_1
	v_mfma_f32_16x16x16_bf16 v[6:9], v[16:17], v[30:31], v[6:9]
	v_perm_b32 v22, v23, v22, s4
	ds_read_b128 v[14:17], v14 offset:6160
	v_perm_b32 v23, v3, v2, s4
	s_waitcnt lgkmcnt(1)
	v_mfma_f32_16x16x16_bf16 v[6:9], v[20:21], v[10:11], v[6:9]
	v_cvt_pk_f32_fp8_e32 v[2:3], v4
	v_cvt_pk_f32_fp8_sdwa v[10:11], v4 src0_sel:WORD_1
	s_waitcnt lgkmcnt(0)
	v_mfma_f32_16x16x16_bf16 v[6:9], v[22:23], v[12:13], v[6:9]
	v_perm_b32 v2, v3, v2, s4
	v_perm_b32 v3, v11, v10, s4
	v_cvt_pk_f32_fp8_e32 v[10:11], v5
	v_cvt_pk_f32_fp8_sdwa v[4:5], v5 src0_sel:WORD_1
	s_barrier
	v_perm_b32 v10, v11, v10, s4
	v_perm_b32 v11, v5, v4, s4
	v_mfma_f32_16x16x16_bf16 v[2:5], v[2:3], v[14:15], v[6:9]
	s_nop 0
	v_mfma_f32_16x16x16_bf16 v[2:5], v[10:11], v[16:17], v[2:5]
	s_nop 6
	v_pk_mul_f32 v[2:3], v[2:3], s[10:11] op_sel_hi:[1,0]
	v_pk_mul_f32 v[4:5], v[4:5], s[10:11] op_sel_hi:[1,0]
	v_bfe_u32 v6, v3, 16, 1
	v_bfe_u32 v7, v2, 16, 1
	v_add3_u32 v2, v2, v7, s8
	v_add3_u32 v3, v3, v6, s8
	v_perm_b32 v2, v3, v2, s4
	v_bfe_u32 v3, v5, 16, 1
	v_bfe_u32 v6, v4, 16, 1
	v_add3_u32 v4, v4, v6, s8
	v_add3_u32 v3, v5, v3, s8
	v_perm_b32 v3, v3, v4, s4
	s_and_b64 s[4:5], vcc, s[30:31]
	ds_write_b64 v18, v[2:3]
	s_waitcnt lgkmcnt(0)
	s_barrier
	s_and_saveexec_b64 s[8:9], s[4:5]
	s_cbranch_execz .LBB1221_20
; %bb.18:
	s_load_dwordx2 s[4:5], s[0:1], 0x68
	s_lshl_b32 s0, s6, 6
	s_mul_i32 s1, s7, s2
	s_mul_hi_u32 s7, s1, s0
	s_mul_i32 s6, s1, s0
	v_lshlrev_b32_e32 v0, 10, v0
	s_lshl_b64 s[6:7], s[6:7], 1
	v_and_b32_e32 v0, 0x1800, v0
	v_lshlrev_b32_e32 v2, 5, v42
	v_and_b32_e32 v1, 16, v1
	s_waitcnt lgkmcnt(0)
	s_add_u32 s1, s4, s6
	v_or3_b32 v2, v0, v2, v1
	s_addc_u32 s4, s5, s7
	s_lshl_b32 s2, s28, 6
	ds_read_b128 v[4:7], v2 offset:256
	s_lshl_b64 s[2:3], s[2:3], 1
	ds_read_b128 v[8:11], v2 offset:128
	ds_read_b128 v[12:15], v2
	s_add_u32 s2, s1, s2
	s_addc_u32 s3, s4, s3
	v_add_u32_e32 v18, s48, v42
	v_lshl_add_u64 v[0:1], s[2:3], 0, v[26:27]
	v_mad_u64_u32 v[16:17], s[2:3], v18, s0, 0
	v_lshl_add_u64 v[16:17], v[16:17], 1, v[0:1]
	s_waitcnt lgkmcnt(0)
	global_store_dwordx4 v[16:17], v[12:15], off
	v_or_b32_e32 v3, 12, v42
	v_cmp_gt_u32_e32 vcc, 14, v3
	v_add_u32_e32 v12, 4, v18
	v_mad_u64_u32 v[12:13], s[2:3], v12, s0, 0
	v_lshl_add_u64 v[12:13], v[12:13], 1, v[0:1]
	global_store_dwordx4 v[12:13], v[8:11], off
	s_nop 1
	v_add_u32_e32 v8, 8, v18
	v_mad_u64_u32 v[8:9], s[2:3], v8, s0, 0
	v_lshl_add_u64 v[8:9], v[8:9], 1, v[0:1]
	global_store_dwordx4 v[8:9], v[4:7], off
	s_and_b64 exec, exec, vcc
	s_cbranch_execz .LBB1221_20
; %bb.19:
	ds_read_b128 v[4:7], v2 offset:384
	v_add_u32_e32 v2, s48, v3
	v_mad_u64_u32 v[2:3], s[0:1], v2, s0, 0
	v_lshl_add_u64 v[0:1], v[2:3], 1, v[0:1]
	s_waitcnt lgkmcnt(0)
	global_store_dwordx4 v[0:1], v[4:7], off
.LBB1221_20:
	s_endpgm
	.section	.rodata,"a",@progbits
	.p2align	6, 0x0
	.amdhsa_kernel _Z39paged_attention_ll4mi_QKV_mfma16_kernelI14__hip_bfloat16hLN4vllm18Fp8KVCacheDataTypeE1ES0_Li32ELi64ELi256ELb1ELi14EEvPKT_PKT0_S8_ifPKiSA_SA_iPKfiiiPfSD_PS3_PT2_iSC_SC_
		.amdhsa_group_segment_fixed_size 8192
		.amdhsa_private_segment_fixed_size 0
		.amdhsa_kernarg_size 400
		.amdhsa_user_sgpr_count 2
		.amdhsa_user_sgpr_dispatch_ptr 0
		.amdhsa_user_sgpr_queue_ptr 0
		.amdhsa_user_sgpr_kernarg_segment_ptr 1
		.amdhsa_user_sgpr_dispatch_id 0
		.amdhsa_user_sgpr_kernarg_preload_length 0
		.amdhsa_user_sgpr_kernarg_preload_offset 0
		.amdhsa_user_sgpr_private_segment_size 0
		.amdhsa_uses_dynamic_stack 0
		.amdhsa_enable_private_segment 0
		.amdhsa_system_sgpr_workgroup_id_x 1
		.amdhsa_system_sgpr_workgroup_id_y 1
		.amdhsa_system_sgpr_workgroup_id_z 1
		.amdhsa_system_sgpr_workgroup_info 0
		.amdhsa_system_vgpr_workitem_id 0
		.amdhsa_next_free_vgpr 71
		.amdhsa_next_free_sgpr 50
		.amdhsa_accum_offset 72
		.amdhsa_reserve_vcc 1
		.amdhsa_float_round_mode_32 0
		.amdhsa_float_round_mode_16_64 0
		.amdhsa_float_denorm_mode_32 3
		.amdhsa_float_denorm_mode_16_64 3
		.amdhsa_dx10_clamp 1
		.amdhsa_ieee_mode 1
		.amdhsa_fp16_overflow 0
		.amdhsa_tg_split 0
		.amdhsa_exception_fp_ieee_invalid_op 0
		.amdhsa_exception_fp_denorm_src 0
		.amdhsa_exception_fp_ieee_div_zero 0
		.amdhsa_exception_fp_ieee_overflow 0
		.amdhsa_exception_fp_ieee_underflow 0
		.amdhsa_exception_fp_ieee_inexact 0
		.amdhsa_exception_int_div_zero 0
	.end_amdhsa_kernel
	.section	.text._Z39paged_attention_ll4mi_QKV_mfma16_kernelI14__hip_bfloat16hLN4vllm18Fp8KVCacheDataTypeE1ES0_Li32ELi64ELi256ELb1ELi14EEvPKT_PKT0_S8_ifPKiSA_SA_iPKfiiiPfSD_PS3_PT2_iSC_SC_,"axG",@progbits,_Z39paged_attention_ll4mi_QKV_mfma16_kernelI14__hip_bfloat16hLN4vllm18Fp8KVCacheDataTypeE1ES0_Li32ELi64ELi256ELb1ELi14EEvPKT_PKT0_S8_ifPKiSA_SA_iPKfiiiPfSD_PS3_PT2_iSC_SC_,comdat
.Lfunc_end1221:
	.size	_Z39paged_attention_ll4mi_QKV_mfma16_kernelI14__hip_bfloat16hLN4vllm18Fp8KVCacheDataTypeE1ES0_Li32ELi64ELi256ELb1ELi14EEvPKT_PKT0_S8_ifPKiSA_SA_iPKfiiiPfSD_PS3_PT2_iSC_SC_, .Lfunc_end1221-_Z39paged_attention_ll4mi_QKV_mfma16_kernelI14__hip_bfloat16hLN4vllm18Fp8KVCacheDataTypeE1ES0_Li32ELi64ELi256ELb1ELi14EEvPKT_PKT0_S8_ifPKiSA_SA_iPKfiiiPfSD_PS3_PT2_iSC_SC_
                                        ; -- End function
	.section	.AMDGPU.csdata,"",@progbits
; Kernel info:
; codeLenInByte = 5272
; NumSgprs: 56
; NumVgprs: 71
; NumAgprs: 0
; TotalNumVgprs: 71
; ScratchSize: 0
; MemoryBound: 0
; FloatMode: 240
; IeeeMode: 1
; LDSByteSize: 8192 bytes/workgroup (compile time only)
; SGPRBlocks: 6
; VGPRBlocks: 8
; NumSGPRsForWavesPerEU: 56
; NumVGPRsForWavesPerEU: 71
; AccumOffset: 72
; Occupancy: 7
; WaveLimiterHint : 1
; COMPUTE_PGM_RSRC2:SCRATCH_EN: 0
; COMPUTE_PGM_RSRC2:USER_SGPR: 2
; COMPUTE_PGM_RSRC2:TRAP_HANDLER: 0
; COMPUTE_PGM_RSRC2:TGID_X_EN: 1
; COMPUTE_PGM_RSRC2:TGID_Y_EN: 1
; COMPUTE_PGM_RSRC2:TGID_Z_EN: 1
; COMPUTE_PGM_RSRC2:TIDIG_COMP_CNT: 0
; COMPUTE_PGM_RSRC3_GFX90A:ACCUM_OFFSET: 17
; COMPUTE_PGM_RSRC3_GFX90A:TG_SPLIT: 0
	.section	.text._Z39paged_attention_ll4mi_QKV_mfma16_kernelI14__hip_bfloat16hLN4vllm18Fp8KVCacheDataTypeE1ES0_Li32ELi64ELi256ELb1ELi15EEvPKT_PKT0_S8_ifPKiSA_SA_iPKfiiiPfSD_PS3_PT2_iSC_SC_,"axG",@progbits,_Z39paged_attention_ll4mi_QKV_mfma16_kernelI14__hip_bfloat16hLN4vllm18Fp8KVCacheDataTypeE1ES0_Li32ELi64ELi256ELb1ELi15EEvPKT_PKT0_S8_ifPKiSA_SA_iPKfiiiPfSD_PS3_PT2_iSC_SC_,comdat
	.protected	_Z39paged_attention_ll4mi_QKV_mfma16_kernelI14__hip_bfloat16hLN4vllm18Fp8KVCacheDataTypeE1ES0_Li32ELi64ELi256ELb1ELi15EEvPKT_PKT0_S8_ifPKiSA_SA_iPKfiiiPfSD_PS3_PT2_iSC_SC_ ; -- Begin function _Z39paged_attention_ll4mi_QKV_mfma16_kernelI14__hip_bfloat16hLN4vllm18Fp8KVCacheDataTypeE1ES0_Li32ELi64ELi256ELb1ELi15EEvPKT_PKT0_S8_ifPKiSA_SA_iPKfiiiPfSD_PS3_PT2_iSC_SC_
	.globl	_Z39paged_attention_ll4mi_QKV_mfma16_kernelI14__hip_bfloat16hLN4vllm18Fp8KVCacheDataTypeE1ES0_Li32ELi64ELi256ELb1ELi15EEvPKT_PKT0_S8_ifPKiSA_SA_iPKfiiiPfSD_PS3_PT2_iSC_SC_
	.p2align	8
	.type	_Z39paged_attention_ll4mi_QKV_mfma16_kernelI14__hip_bfloat16hLN4vllm18Fp8KVCacheDataTypeE1ES0_Li32ELi64ELi256ELb1ELi15EEvPKT_PKT0_S8_ifPKiSA_SA_iPKfiiiPfSD_PS3_PT2_iSC_SC_,@function
_Z39paged_attention_ll4mi_QKV_mfma16_kernelI14__hip_bfloat16hLN4vllm18Fp8KVCacheDataTypeE1ES0_Li32ELi64ELi256ELb1ELi15EEvPKT_PKT0_S8_ifPKiSA_SA_iPKfiiiPfSD_PS3_PT2_iSC_SC_: ; @_Z39paged_attention_ll4mi_QKV_mfma16_kernelI14__hip_bfloat16hLN4vllm18Fp8KVCacheDataTypeE1ES0_Li32ELi64ELi256ELb1ELi15EEvPKT_PKT0_S8_ifPKiSA_SA_iPKfiiiPfSD_PS3_PT2_iSC_SC_
; %bb.0:
	s_load_dwordx2 s[6:7], s[0:1], 0x30
	s_mov_b32 s28, s3
	s_mov_b64 s[8:9], 0
	s_waitcnt lgkmcnt(0)
	s_cmp_lg_u64 s[6:7], 0
	s_cselect_b64 s[10:11], -1, 0
	s_and_b64 vcc, exec, s[10:11]
	s_cbranch_vccz .LBB1222_7
; %bb.1:
	s_add_i32 s12, s2, 1
	s_mov_b32 s13, 0
	s_lshl_b64 s[14:15], s[12:13], 2
	s_add_u32 s14, s6, s14
	s_mov_b32 s3, s13
	s_addc_u32 s15, s7, s15
	s_lshl_b64 s[12:13], s[2:3], 2
	s_add_u32 s12, s6, s12
	s_addc_u32 s13, s7, s13
	s_load_dword s5, s[14:15], 0x0
	s_load_dword s16, s[12:13], 0x0
	s_waitcnt lgkmcnt(0)
	s_sub_i32 s5, s5, s16
	s_cmp_eq_u32 s5, 1
	s_cselect_b64 s[12:13], -1, 0
	s_andn2_b64 vcc, exec, s[8:9]
	s_cbranch_vccnz .LBB1222_3
.LBB1222_2:
	s_mov_b32 s3, 0
	s_mov_b64 s[12:13], -1
.LBB1222_3:
	s_andn2_b64 vcc, exec, s[12:13]
	s_cbranch_vccnz .LBB1222_20
; %bb.4:
	s_load_dwordx2 s[8:9], s[0:1], 0x28
	s_lshl_b64 s[12:13], s[2:3], 2
	s_waitcnt lgkmcnt(0)
	s_add_u32 s8, s8, s12
	s_addc_u32 s9, s9, s13
	s_load_dword s29, s[8:9], 0x0
	s_lshl_b32 s16, s28, 8
	s_waitcnt lgkmcnt(0)
	s_cmp_ge_i32 s16, s29
	s_cbranch_scc1 .LBB1222_20
; %bb.5:
	s_load_dwordx2 s[8:9], s[0:1], 0x20
	s_load_dword s5, s[0:1], 0x38
	s_add_i32 s14, s29, 31
	s_ashr_i32 s15, s14, 31
	v_and_b32_e32 v1, 0xcf, v0
	s_lshr_b32 s15, s15, 27
	v_add_u32_e32 v1, s16, v1
	s_add_i32 s14, s14, s15
	v_ashrrev_i32_e32 v2, 31, v1
	s_ashr_i32 s17, s14, 5
	v_lshrrev_b32_e32 v4, 27, v2
	s_add_i32 s17, s17, -1
	s_waitcnt lgkmcnt(0)
	s_mul_i32 s14, s2, s5
	s_mov_b32 s15, 0
	v_add_u32_e32 v2, v1, v4
	s_lshl_b64 s[14:15], s[14:15], 2
	v_ashrrev_i32_e32 v2, 5, v2
	v_mov_b32_e32 v5, s17
	v_cmp_gt_i32_e32 vcc, s29, v1
	s_add_u32 s8, s8, s14
	s_addc_u32 s9, s9, s15
	v_cndmask_b32_e32 v2, v5, v2, vcc
	v_ashrrev_i32_e32 v3, 31, v2
	v_lshl_add_u64 v[6:7], v[2:3], 2, s[8:9]
	v_or_b32_e32 v2, 16, v1
	v_add_u32_e32 v3, v2, v4
	v_ashrrev_i32_e32 v3, 5, v3
	v_cmp_gt_i32_e32 vcc, s29, v2
	s_load_dwordx2 s[14:15], s[0:1], 0x8
	s_nop 0
	v_cndmask_b32_e32 v2, v5, v3, vcc
	v_ashrrev_i32_e32 v3, 31, v2
	v_lshl_add_u64 v[8:9], v[2:3], 2, s[8:9]
	v_or_b32_e32 v2, 32, v1
	v_add_u32_e32 v3, v2, v4
	v_ashrrev_i32_e32 v3, 5, v3
	v_cmp_gt_i32_e32 vcc, s29, v2
	v_or_b32_e32 v1, 48, v1
	s_nop 0
	v_cndmask_b32_e32 v2, v5, v3, vcc
	v_ashrrev_i32_e32 v3, 31, v2
	v_lshl_add_u64 v[10:11], v[2:3], 2, s[8:9]
	v_add_u32_e32 v2, v1, v4
	v_ashrrev_i32_e32 v2, 5, v2
	v_cmp_gt_i32_e32 vcc, s29, v1
	s_nop 1
	v_cndmask_b32_e32 v2, v5, v2, vcc
	v_ashrrev_i32_e32 v3, 31, v2
	v_lshl_add_u64 v[12:13], v[2:3], 2, s[8:9]
	global_load_dword v5, v[6:7], off
	global_load_dword v4, v[8:9], off
	;; [unrolled: 1-line block ×4, first 2 shown]
	s_andn2_b64 vcc, exec, s[10:11]
	s_cbranch_vccnz .LBB1222_8
; %bb.6:
	s_add_u32 s6, s6, s12
	s_addc_u32 s7, s7, s13
	s_load_dword s5, s[6:7], 0x0
	s_branch .LBB1222_9
.LBB1222_7:
	s_mov_b64 s[12:13], 0
	s_branch .LBB1222_2
.LBB1222_8:
	s_mov_b32 s5, s2
.LBB1222_9:
	s_load_dwordx2 s[10:11], s[0:1], 0x10
	s_load_dwordx4 s[44:47], s[0:1], 0x48
	v_lshrrev_b32_e32 v29, 6, v0
	v_bfe_u32 v42, v0, 4, 2
	v_lshl_or_b32 v6, v29, 2, v42
	v_and_b32_e32 v28, 15, v0
	v_lshlrev_b32_e32 v1, 3, v28
	v_cmp_gt_u32_e32 vcc, 15, v6
	v_cmp_gt_u32_e64 s[30:31], 8, v28
	s_mul_i32 s48, s4, 15
	s_and_b64 s[12:13], s[30:31], vcc
	v_lshlrev_b32_e32 v26, 1, v1
	v_lshlrev_b32_e32 v1, 4, v0
	s_and_saveexec_b64 s[6:7], s[12:13]
	s_cbranch_execz .LBB1222_11
; %bb.10:
	s_load_dwordx2 s[12:13], s[0:1], 0x0
	s_waitcnt lgkmcnt(0)
	s_ashr_i32 s18, s44, 31
	s_mul_hi_u32 s19, s5, s44
	s_mul_i32 s18, s5, s18
	s_add_i32 s19, s19, s18
	s_mul_i32 s18, s5, s44
	s_lshl_b64 s[18:19], s[18:19], 1
	s_add_u32 s12, s12, s18
	v_add_lshl_u32 v8, v6, s48, 6
	s_addc_u32 s13, s13, s19
	v_ashrrev_i32_e32 v9, 31, v8
	v_lshl_add_u64 v[8:9], v[8:9], 1, s[12:13]
	v_mov_b32_e32 v27, 0
	v_lshl_add_u64 v[8:9], v[8:9], 0, v[26:27]
	global_load_dwordx4 v[8:11], v[8:9], off
	v_lshlrev_b32_e32 v12, 8, v28
	v_lshlrev_b32_e32 v6, 5, v6
	v_and_b32_e32 v7, 16, v1
	v_and_b32_e32 v12, 0xe00, v12
	v_or3_b32 v6, v12, v6, v7
	s_waitcnt vmcnt(0)
	ds_write_b128 v6, v[8:11]
.LBB1222_11:
	s_or_b64 exec, exec, s[6:7]
	s_waitcnt lgkmcnt(0)
	s_mul_i32 s12, s4, s46
	s_add_u32 s4, s14, s12
	s_addc_u32 s5, s15, 0
	v_mov_b32_e32 v31, 0
	v_mov_b64_e32 v[6:7], s[4:5]
	v_lshlrev_b32_e32 v10, 4, v28
	v_and_b32_e32 v27, 48, v0
	s_waitcnt vmcnt(3)
	v_mad_i64_i32 v[8:9], s[4:5], v5, s45, v[6:7]
	v_mov_b32_e32 v11, v31
	s_waitcnt vmcnt(2)
	v_mad_i64_i32 v[4:5], s[4:5], v4, s45, v[6:7]
	v_or_b32_e32 v12, 0x100, v10
	v_mov_b32_e32 v13, v31
	v_lshlrev_b32_e32 v30, 5, v27
	v_lshl_add_u64 v[8:9], v[8:9], 0, v[10:11]
	v_lshl_add_u64 v[4:5], v[4:5], 0, v[12:13]
	;; [unrolled: 1-line block ×4, first 2 shown]
	s_barrier
	global_load_dwordx4 v[22:25], v[8:9], off
	global_load_dwordx4 v[18:21], v[4:5], off
	s_waitcnt vmcnt(3)
	v_mad_i64_i32 v[4:5], s[4:5], v3, s45, v[6:7]
	v_lshl_add_u64 v[4:5], v[4:5], 0, v[10:11]
	s_waitcnt vmcnt(2)
	v_mad_i64_i32 v[2:3], s[4:5], v2, s45, v[6:7]
	v_lshl_add_u64 v[4:5], v[4:5], 0, v[30:31]
	v_lshl_add_u64 v[2:3], v[2:3], 0, v[12:13]
	;; [unrolled: 1-line block ×3, first 2 shown]
	global_load_dwordx4 v[14:17], v[4:5], off
	global_load_dwordx4 v[6:9], v[2:3], off
	v_cmp_ne_u32_e32 vcc, 15, v28
	v_and_b32_e32 v43, 63, v0
	v_mov_b32_e32 v44, 0
	v_cndmask_b32_e32 v2, 0, v28, vcc
	v_lshlrev_b32_e32 v2, 5, v2
	v_lshl_or_b32 v2, v42, 9, v2
	ds_read_b128 v[10:13], v2
	ds_read_b128 v[2:5], v2 offset:16
	s_and_saveexec_b64 s[4:5], vcc
	s_cbranch_execz .LBB1222_13
; %bb.12:
	s_load_dwordx2 s[6:7], s[0:1], 0x40
	v_add_u32_e32 v32, s48, v28
	v_ashrrev_i32_e32 v33, 31, v32
	s_waitcnt lgkmcnt(0)
	v_lshl_add_u64 v[32:33], v[32:33], 2, s[6:7]
	global_load_dword v44, v[32:33], off
.LBB1222_13:
	s_or_b64 exec, exec, s[4:5]
	s_ashr_i32 s4, s16, 31
	v_or_b32_e32 v45, s16, v27
	s_lshr_b32 s13, s4, 27
	v_add_u32_e32 v27, s13, v45
	v_ashrrev_i32_e32 v27, 5, v27
	s_waitcnt vmcnt(3)
	v_cvt_pk_f32_fp8_e32 v[34:35], v22
	v_cvt_pk_f32_fp8_sdwa v[36:37], v22 src0_sel:WORD_1
	s_waitcnt vmcnt(2)
	v_cvt_pk_f32_fp8_e32 v[56:57], v20
	v_cvt_pk_f32_fp8_sdwa v[58:59], v20 src0_sel:WORD_1
	v_mov_b32_e32 v20, s17
	v_cmp_gt_i32_e32 vcc, s29, v45
	v_cvt_pk_f32_fp8_e32 v[48:49], v18
	v_cvt_pk_f32_fp8_sdwa v[50:51], v18 src0_sel:WORD_1
	v_cndmask_b32_e32 v18, v20, v27, vcc
	v_cvt_pk_f32_fp8_e32 v[52:53], v19
	v_cvt_pk_f32_fp8_sdwa v[54:55], v19 src0_sel:WORD_1
	v_ashrrev_i32_e32 v19, 31, v18
	v_lshl_add_u64 v[18:19], v[18:19], 2, s[8:9]
	s_mov_b32 s33, 0x7060302
	v_cvt_pk_f32_fp8_e32 v[32:33], v23
	v_cvt_pk_f32_fp8_sdwa v[22:23], v23 src0_sel:WORD_1
	global_load_dword v70, v[18:19], off
	v_perm_b32 v18, v35, v34, s33
	v_perm_b32 v19, v37, v36, s33
	v_cvt_pk_f32_fp8_e32 v[60:61], v21
	v_cvt_pk_f32_fp8_sdwa v[62:63], v21 src0_sel:WORD_1
	v_or_b32_e32 v21, 64, v45
	v_or_b32_e32 v34, 0x80, v45
	;; [unrolled: 1-line block ×3, first 2 shown]
	v_cmp_gt_i32_e32 vcc, s29, v21
	v_add_u32_e32 v21, s13, v21
	v_cmp_gt_i32_e64 s[4:5], s29, v34
	v_add_u32_e32 v34, s13, v34
	v_cmp_gt_i32_e64 s[6:7], s29, v35
	v_add_u32_e32 v35, s13, v35
	v_cvt_pk_f32_fp8_e32 v[38:39], v24
	v_cvt_pk_f32_fp8_sdwa v[40:41], v24 src0_sel:WORD_1
	v_cvt_pk_f32_fp8_e32 v[46:47], v25
	v_ashrrev_i32_e32 v21, 5, v21
	v_ashrrev_i32_e32 v34, 5, v34
	;; [unrolled: 1-line block ×3, first 2 shown]
	v_perm_b32 v32, v33, v32, s33
	v_perm_b32 v33, v23, v22, s33
	;; [unrolled: 1-line block ×4, first 2 shown]
	v_cvt_pk_f32_fp8_sdwa v[24:25], v25 src0_sel:WORD_1
	v_cndmask_b32_e32 v36, v20, v21, vcc
	v_cndmask_b32_e64 v64, v20, v34, s[4:5]
	v_cndmask_b32_e64 v66, v20, v35, s[6:7]
	s_waitcnt lgkmcnt(1)
	v_mfma_f32_16x16x16_bf16 v[18:21], v[18:19], v[10:11], 0
	v_perm_b32 v38, v39, v38, s33
	v_perm_b32 v39, v41, v40, s33
	;; [unrolled: 1-line block ×5, first 2 shown]
	s_load_dword s14, s[0:1], 0x1c
	s_load_dwordx4 s[40:43], s[0:1], 0x80
	v_perm_b32 v69, v25, v24, s33
	v_mfma_f32_16x16x16_bf16 v[22:25], v[22:23], v[10:11], 0
	s_add_u32 s10, s10, s12
	v_and_b32_e32 v30, 16, v0
	v_lshlrev_b32_e32 v27, 5, v28
	v_mfma_f32_16x16x16_bf16 v[32:35], v[32:33], v[12:13], v[18:21]
	s_addc_u32 s11, s11, 0
	v_lshl_add_u64 v[40:41], s[10:11], 0, v[30:31]
	v_lshl_or_b32 v30, v29, 9, v27
	v_ashrrev_i32_e32 v37, 31, v36
	v_ashrrev_i32_e32 v65, 31, v64
	;; [unrolled: 1-line block ×3, first 2 shown]
	v_perm_b32 v48, v57, v56, s33
	v_perm_b32 v49, v59, v58, s33
	v_mfma_f32_16x16x16_bf16 v[20:23], v[46:47], v[12:13], v[22:25]
	v_lshl_add_u64 v[18:19], v[40:41], 0, v[30:31]
	s_waitcnt lgkmcnt(0)
	s_load_dword s6, s[40:41], 0x0
	v_perm_b32 v50, v61, v60, s33
	v_mfma_f32_16x16x16_bf16 v[30:33], v[38:39], v[2:3], v[32:35]
	v_lshl_add_u64 v[24:25], v[36:37], 2, s[8:9]
	v_lshl_add_u64 v[36:37], v[66:67], 2, s[8:9]
	v_perm_b32 v51, v63, v62, s33
	v_lshl_add_u64 v[34:35], v[64:65], 2, s[8:9]
	global_load_dword v47, v[24:25], off
	global_load_dword v45, v[34:35], off
	;; [unrolled: 1-line block ×3, first 2 shown]
	s_waitcnt vmcnt(5)
	v_cvt_pk_f32_fp8_e32 v[34:35], v14
	v_cvt_pk_f32_fp8_sdwa v[36:37], v14 src0_sel:WORD_1
	v_mfma_f32_16x16x16_bf16 v[20:23], v[48:49], v[2:3], v[20:23]
	v_cvt_pk_f32_fp8_e32 v[38:39], v15
	v_perm_b32 v34, v35, v34, s33
	v_perm_b32 v35, v37, v36, s33
	v_cvt_pk_f32_fp8_sdwa v[14:15], v15 src0_sel:WORD_1
	v_mov_b32_e32 v40, s14
	s_waitcnt lgkmcnt(0)
	v_mul_f32_e32 v48, s6, v40
	v_mfma_f32_16x16x16_bf16 v[20:23], v[50:51], v[4:5], v[20:23]
	v_perm_b32 v38, v39, v38, s33
	v_cvt_pk_f32_fp8_e32 v[40:41], v16
	v_cvt_pk_f32_fp8_sdwa v[50:51], v16 src0_sel:WORD_1
	v_perm_b32 v39, v15, v14, s33
	v_mfma_f32_16x16x16_bf16 v[34:37], v[34:35], v[10:11], 0
	v_perm_b32 v40, v41, v40, s33
	v_perm_b32 v41, v51, v50, s33
	v_cvt_pk_f32_fp8_e32 v[50:51], v17
	v_cvt_pk_f32_fp8_sdwa v[52:53], v17 src0_sel:WORD_1
	v_mfma_f32_16x16x16_bf16 v[30:33], v[68:69], v[4:5], v[30:33]
	s_mov_b32 s44, 0xff7fffff
	s_waitcnt vmcnt(3)
	v_mad_i64_i32 v[24:25], s[4:5], v70, s45, v[18:19]
	v_mfma_f32_16x16x16_bf16 v[14:17], v[38:39], v[12:13], v[34:37]
	s_nop 2
	v_perm_b32 v34, v51, v50, s33
	v_perm_b32 v35, v53, v52, s33
	v_mfma_f32_16x16x16_bf16 v[14:17], v[40:41], v[2:3], v[14:17]
	v_pk_mul_f32 v[38:39], v[48:49], v[30:31] op_sel_hi:[0,1]
	v_cvt_pk_f32_fp8_e32 v[30:31], v6
	v_cvt_pk_f32_fp8_sdwa v[36:37], v6 src0_sel:WORD_1
	v_mfma_f32_16x16x16_bf16 v[14:17], v[34:35], v[4:5], v[14:17]
	v_cvt_pk_f32_fp8_e32 v[34:35], v7
	v_perm_b32 v30, v31, v30, s33
	v_perm_b32 v31, v37, v36, s33
	v_cvt_pk_f32_fp8_sdwa v[6:7], v7 src0_sel:WORD_1
	v_perm_b32 v40, v35, v34, s33
	v_cvt_pk_f32_fp8_e32 v[50:51], v8
	v_cvt_pk_f32_fp8_sdwa v[52:53], v8 src0_sel:WORD_1
	v_perm_b32 v41, v7, v6, s33
	v_mfma_f32_16x16x16_bf16 v[34:37], v[30:31], v[10:11], 0
	v_perm_b32 v10, v51, v50, s33
	v_perm_b32 v11, v53, v52, s33
	v_cvt_pk_f32_fp8_e32 v[30:31], v9
	v_cvt_pk_f32_fp8_sdwa v[50:51], v9 src0_sel:WORD_1
	v_mfma_f32_16x16x16_bf16 v[6:9], v[40:41], v[12:13], v[34:37]
	v_pk_mul_f32 v[40:41], v[48:49], v[20:21] op_sel_hi:[0,1]
	v_perm_b32 v12, v31, v30, s33
	v_perm_b32 v13, v51, v50, s33
	v_mfma_f32_16x16x16_bf16 v[6:9], v[10:11], v[2:3], v[6:9]
	v_pk_mul_f32 v[36:37], v[48:49], v[22:23] op_sel_hi:[0,1]
	v_pk_mul_f32 v[32:33], v[48:49], v[32:33] op_sel_hi:[0,1]
	;; [unrolled: 1-line block ×3, first 2 shown]
	v_mfma_f32_16x16x16_bf16 v[2:5], v[12:13], v[4:5], v[6:9]
	v_pk_mul_f32 v[34:35], v[48:49], v[14:15] op_sel_hi:[0,1]
	s_nop 5
	v_pk_mul_f32 v[22:23], v[48:49], v[2:3] op_sel_hi:[0,1]
	v_and_b32_e32 v2, 0xc0, v0
	v_add_u32_e32 v2, s16, v2
	v_lshl_or_b32 v2, v42, 2, v2
	v_or_b32_e32 v3, 1, v2
	v_pk_mul_f32 v[20:21], v[48:49], v[4:5] op_sel_hi:[0,1]
	v_subrev_u32_e32 v4, s29, v3
	v_add_u32_e32 v6, 1, v4
	v_add_u32_e32 v7, 2, v4
	;; [unrolled: 1-line block ×3, first 2 shown]
	v_cvt_f32_i32_e32 v6, v6
	v_cvt_f32_i32_e32 v7, v7
	v_cvt_f32_i32_e32 v8, v8
	v_add_u32_e32 v9, 19, v4
	v_fmac_f32_e32 v39, v44, v6
	v_fma_f32 v32, v44, v7, v32
	v_fmac_f32_e32 v33, v44, v8
	v_add_u32_e32 v6, 16, v4
	v_add_u32_e32 v7, 17, v4
	;; [unrolled: 1-line block ×3, first 2 shown]
	v_cvt_f32_i32_e32 v6, v6
	v_cvt_f32_i32_e32 v7, v7
	;; [unrolled: 1-line block ×4, first 2 shown]
	v_fma_f32 v40, v44, v6, v40
	v_fmac_f32_e32 v41, v44, v7
	v_fma_f32 v36, v44, v8, v36
	v_add_u32_e32 v6, 32, v4
	v_add_u32_e32 v7, 33, v4
	;; [unrolled: 1-line block ×3, first 2 shown]
	v_cvt_f32_i32_e32 v6, v6
	v_cvt_f32_i32_e32 v7, v7
	;; [unrolled: 1-line block ×4, first 2 shown]
	v_fmac_f32_e32 v37, v44, v9
	v_add_u32_e32 v9, 35, v4
	v_fma_f32 v48, v44, v6, v34
	v_fmac_f32_e32 v35, v44, v7
	v_fma_f32 v30, v44, v8, v30
	v_add_u32_e32 v6, 48, v4
	v_add_u32_e32 v7, 49, v4
	;; [unrolled: 1-line block ×4, first 2 shown]
	v_cvt_f32_i32_e32 v4, v4
	v_cvt_f32_i32_e32 v6, v6
	;; [unrolled: 1-line block ×3, first 2 shown]
	v_fma_f32 v5, v44, v5, v38
	v_fmac_f32_e32 v21, v44, v4
	v_mov_b32_e32 v4, 0xff7fffff
	v_cmp_gt_i32_e64 s[4:5], s29, v2
	v_cmp_gt_i32_e64 s[34:35], s29, v3
	v_fma_f32 v22, v44, v6, v22
	v_cndmask_b32_e64 v6, v4, v5, s[4:5]
	v_cndmask_b32_e64 v3, v4, v39, s[34:35]
	v_fmac_f32_e32 v23, v44, v7
	v_max3_f32 v3, v6, s44, v3
	v_or_b32_e32 v6, 2, v2
	v_or_b32_e32 v7, 3, v2
	v_cmp_gt_i32_e64 s[36:37], s29, v6
	v_cmp_gt_i32_e64 s[38:39], s29, v7
	v_cvt_f32_i32_e32 v9, v9
	v_cndmask_b32_e64 v6, v4, v32, s[36:37]
	v_cndmask_b32_e64 v7, v4, v33, s[38:39]
	v_max3_f32 v3, v3, v6, v7
	v_or_b32_e32 v6, 16, v2
	v_or_b32_e32 v7, 17, v2
	v_cmp_gt_i32_e64 s[24:25], s29, v6
	v_cmp_gt_i32_e64 s[26:27], s29, v7
	v_fmac_f32_e32 v31, v44, v9
	v_cndmask_b32_e64 v6, v4, v40, s[24:25]
	v_cndmask_b32_e64 v7, v4, v41, s[26:27]
	v_max3_f32 v3, v3, v6, v7
	v_or_b32_e32 v6, 18, v2
	v_or_b32_e32 v7, 19, v2
	v_cmp_gt_i32_e64 s[20:21], s29, v6
	v_cmp_gt_i32_e64 s[22:23], s29, v7
	v_cvt_f32_i32_e32 v8, v8
	v_cndmask_b32_e64 v6, v4, v36, s[20:21]
	v_cndmask_b32_e64 v7, v4, v37, s[22:23]
	v_max3_f32 v3, v3, v6, v7
	v_or_b32_e32 v6, 32, v2
	v_or_b32_e32 v7, 33, v2
	v_cmp_gt_i32_e64 s[16:17], s29, v6
	v_cmp_gt_i32_e64 s[18:19], s29, v7
	v_fma_f32 v20, v44, v8, v20
	v_cndmask_b32_e64 v6, v4, v48, s[16:17]
	v_cndmask_b32_e64 v7, v4, v35, s[18:19]
	v_max3_f32 v3, v3, v6, v7
	v_or_b32_e32 v6, 34, v2
	v_or_b32_e32 v7, 35, v2
	v_cmp_gt_i32_e64 s[12:13], s29, v6
	v_cmp_gt_i32_e64 s[14:15], s29, v7
	s_nop 0
	v_cndmask_b32_e64 v6, v4, v30, s[12:13]
	v_cndmask_b32_e64 v7, v4, v31, s[14:15]
	v_max3_f32 v3, v3, v6, v7
	v_or_b32_e32 v6, 48, v2
	v_or_b32_e32 v7, 49, v2
	v_cmp_gt_i32_e64 s[8:9], s29, v6
	v_cmp_gt_i32_e64 s[10:11], s29, v7
	s_nop 0
	v_cndmask_b32_e64 v6, v4, v22, s[8:9]
	v_cndmask_b32_e64 v7, v4, v23, s[10:11]
	v_max3_f32 v3, v3, v6, v7
	v_or_b32_e32 v6, 50, v2
	v_or_b32_e32 v2, 51, v2
	v_cmp_gt_i32_e32 vcc, s29, v6
	v_cmp_gt_i32_e64 s[6:7], s29, v2
	s_nop 0
	v_cndmask_b32_e32 v6, v4, v20, vcc
	v_cndmask_b32_e64 v2, v4, v21, s[6:7]
	v_max3_f32 v4, v3, v6, v2
	v_mbcnt_lo_u32_b32 v2, -1, 0
	v_mbcnt_hi_u32_b32 v6, -1, v2
	v_and_b32_e32 v2, 64, v6
	v_add_u32_e32 v7, 64, v2
	v_xor_b32_e32 v2, 32, v6
	v_cmp_lt_i32_e64 s[40:41], v2, v7
	s_nop 1
	v_cndmask_b32_e64 v2, v6, v2, s[40:41]
	v_lshlrev_b32_e32 v44, 2, v2
	ds_bpermute_b32 v8, v44, v4
	s_waitcnt vmcnt(2)
	v_mad_i64_i32 v[2:3], s[40:41], v47, s45, v[18:19]
	global_load_dwordx4 v[14:17], v[24:25], off
	global_load_dwordx4 v[10:13], v[2:3], off
	v_xor_b32_e32 v3, 16, v6
	v_cmp_lt_i32_e64 s[40:41], v3, v7
	s_waitcnt lgkmcnt(0)
	v_max_f32_e32 v2, v8, v8
	v_max_f32_e32 v2, v4, v2
	v_cndmask_b32_e64 v3, v6, v3, s[40:41]
	v_lshlrev_b32_e32 v47, 2, v3
	ds_bpermute_b32 v3, v47, v2
	s_waitcnt vmcnt(3)
	v_mad_i64_i32 v[24:25], s[40:41], v45, s45, v[18:19]
	s_waitcnt vmcnt(2)
	v_mad_i64_i32 v[18:19], s[40:41], v46, s45, v[18:19]
	s_waitcnt lgkmcnt(0)
	v_max_f32_e32 v3, v3, v3
	v_max_f32_e32 v34, v2, v3
	v_sub_f32_e32 v2, v5, v34
	v_mul_f32_e32 v2, 0x3fb8aa3b, v2
	v_exp_f32_e32 v38, v2
	v_sub_f32_e32 v2, v39, v34
	v_mul_f32_e32 v2, 0x3fb8aa3b, v2
	v_exp_f32_e32 v39, v2
	global_load_dwordx4 v[6:9], v[24:25], off
	global_load_dwordx4 v[2:5], v[18:19], off
	v_sub_f32_e32 v25, v32, v34
	v_sub_f32_e32 v32, v33, v34
	v_mul_f32_e32 v25, 0x3fb8aa3b, v25
	v_mul_f32_e32 v32, 0x3fb8aa3b, v32
	v_exp_f32_e32 v25, v25
	v_exp_f32_e32 v32, v32
	v_cndmask_b32_e64 v18, 0, v38, s[4:5]
	v_cndmask_b32_e64 v19, 0, v39, s[34:35]
	;; [unrolled: 1-line block ×4, first 2 shown]
	v_sub_f32_e32 v25, v40, v34
	v_sub_f32_e32 v32, v41, v34
	v_mul_f32_e32 v25, 0x3fb8aa3b, v25
	v_mul_f32_e32 v32, 0x3fb8aa3b, v32
	v_exp_f32_e32 v25, v25
	v_exp_f32_e32 v32, v32
	v_add_f32_e32 v24, 0, v18
	v_add_f32_e32 v24, v24, v19
	;; [unrolled: 1-line block ×4, first 2 shown]
	v_cndmask_b32_e64 v24, 0, v25, s[24:25]
	v_cndmask_b32_e64 v25, 0, v32, s[26:27]
	v_sub_f32_e32 v32, v36, v34
	v_mul_f32_e32 v32, 0x3fb8aa3b, v32
	v_exp_f32_e32 v32, v32
	v_sub_f32_e32 v36, v37, v34
	v_add_f32_e32 v33, v33, v24
	v_mul_f32_e32 v36, 0x3fb8aa3b, v36
	v_exp_f32_e32 v37, v36
	v_add_f32_e32 v33, v33, v25
	v_cndmask_b32_e64 v36, 0, v32, s[20:21]
	v_add_f32_e32 v32, v33, v36
	v_sub_f32_e32 v33, v48, v34
	v_mul_f32_e32 v33, 0x3fb8aa3b, v33
	v_sub_f32_e32 v35, v35, v34
	v_exp_f32_e32 v33, v33
	v_mul_f32_e32 v35, 0x3fb8aa3b, v35
	v_sub_f32_e32 v30, v30, v34
	v_exp_f32_e32 v35, v35
	;; [unrolled: 3-line block ×3, first 2 shown]
	v_mul_f32_e32 v31, 0x3fb8aa3b, v31
	v_sub_f32_e32 v22, v22, v34
	v_cndmask_b32_e64 v37, 0, v37, s[22:23]
	v_exp_f32_e32 v31, v31
	v_mul_f32_e32 v22, 0x3fb8aa3b, v22
	v_sub_f32_e32 v23, v23, v34
	v_add_f32_e32 v40, v32, v37
	v_cndmask_b32_e64 v32, 0, v33, s[16:17]
	v_exp_f32_e32 v22, v22
	v_mul_f32_e32 v23, 0x3fb8aa3b, v23
	v_sub_f32_e32 v20, v20, v34
	v_add_f32_e32 v40, v40, v32
	;; [unrolled: 5-line block ×3, first 2 shown]
	v_cndmask_b32_e64 v30, 0, v30, s[12:13]
	v_exp_f32_e32 v20, v20
	v_mul_f32_e32 v21, 0x3fb8aa3b, v21
	v_add_f32_e32 v35, v35, v30
	v_cndmask_b32_e64 v31, 0, v31, s[14:15]
	v_exp_f32_e32 v21, v21
	v_add_f32_e32 v35, v35, v31
	v_cndmask_b32_e64 v22, 0, v22, s[8:9]
	v_add_f32_e32 v35, v35, v22
	v_cndmask_b32_e64 v23, 0, v23, s[10:11]
	v_add_f32_e32 v35, v35, v23
	v_cndmask_b32_e32 v20, 0, v20, vcc
	v_add_f32_e32 v35, v35, v20
	v_cndmask_b32_e64 v21, 0, v21, s[6:7]
	v_add_f32_e32 v35, v35, v21
	ds_bpermute_b32 v40, v44, v35
	s_load_dword s7, s[0:1], 0x98
	v_cmp_gt_u32_e32 vcc, 16, v43
	s_waitcnt lgkmcnt(0)
	s_barrier
	v_add_f32_e32 v40, v35, v40
	ds_bpermute_b32 v41, v47, v40
	v_lshlrev_b32_e32 v35, 2, v28
	s_waitcnt lgkmcnt(0)
	s_and_saveexec_b64 s[4:5], vcc
	s_cbranch_execz .LBB1222_15
; %bb.14:
	v_add_f32_e32 v40, v40, v41
	v_lshl_or_b32 v41, v29, 6, v35
	ds_write2st64_b32 v41, v34, v40 offset1:1
.LBB1222_15:
	s_or_b64 exec, exec, s[4:5]
	s_load_dword s6, s[0:1], 0x94
	s_waitcnt lgkmcnt(0)
	s_barrier
	ds_read2_b32 v[40:41], v35 offset1:16
	ds_read2_b32 v[44:45], v35 offset0:32 offset1:48
	ds_read2_b32 v[46:47], v35 offset0:64 offset1:80
	s_movk_i32 s8, 0x7fff
	s_mul_i32 s7, s7, 15
	s_waitcnt lgkmcnt(2)
	v_max3_f32 v34, v40, s44, v41
	s_waitcnt lgkmcnt(1)
	v_max3_f32 v34, v34, v44, v45
	v_sub_f32_e32 v40, v40, v34
	v_mul_f32_e32 v40, 0x3fb8aa3b, v40
	v_exp_f32_e32 v43, v40
	v_sub_f32_e32 v40, v41, v34
	v_mul_f32_e32 v40, 0x3fb8aa3b, v40
	v_exp_f32_e32 v48, v40
	;; [unrolled: 3-line block ×3, first 2 shown]
	ds_read2_b32 v[40:41], v35 offset0:96 offset1:112
	v_sub_f32_e32 v35, v45, v34
	v_mul_f32_e32 v35, 0x3fb8aa3b, v35
	v_exp_f32_e32 v45, v35
	s_waitcnt lgkmcnt(1)
	v_fma_f32 v35, v43, v46, 0
	v_fmac_f32_e32 v35, v48, v47
	s_waitcnt lgkmcnt(0)
	v_fmac_f32_e32 v35, v44, v40
	v_fmac_f32_e32 v35, v45, v41
	v_add_f32_e32 v40, 0x358637bd, v35
	v_div_scale_f32 v41, s[4:5], v40, v40, 1.0
	v_rcp_f32_e32 v46, v41
	s_barrier
	v_fma_f32 v47, -v41, v46, 1.0
	v_fmac_f32_e32 v46, v47, v46
	v_div_scale_f32 v47, vcc, 1.0, v40, 1.0
	v_mul_f32_e32 v49, v47, v46
	v_fma_f32 v50, -v41, v49, v47
	v_fmac_f32_e32 v49, v50, v46
	v_fma_f32 v41, -v41, v49, v47
	v_div_fmas_f32 v41, v41, v46, v49
	v_cmp_eq_u32_e32 vcc, 1, v29
	v_div_fixup_f32 v40, v41, v40, 1.0
	s_nop 0
	v_cndmask_b32_e32 v41, v43, v48, vcc
	v_cmp_eq_u32_e32 vcc, 2, v29
	s_nop 1
	v_cndmask_b32_e32 v41, v41, v44, vcc
	v_cmp_eq_u32_e32 vcc, 3, v29
	s_nop 1
	v_cndmask_b32_e32 v41, v41, v45, vcc
	v_mul_f32_e32 v40, v41, v40
	v_pk_mul_f32 v[18:19], v[40:41], v[18:19] op_sel_hi:[0,1]
	v_pk_mul_f32 v[38:39], v[40:41], v[38:39] op_sel_hi:[0,1]
	v_bfe_u32 v41, v19, 16, 1
	v_bfe_u32 v43, v18, 16, 1
	v_add3_u32 v18, v18, v43, s8
	v_add3_u32 v19, v19, v41, s8
	v_perm_b32 v44, v19, v18, s33
	v_bfe_u32 v18, v39, 16, 1
	v_bfe_u32 v19, v38, 16, 1
	v_add3_u32 v19, v38, v19, s8
	v_add3_u32 v18, v39, v18, s8
	v_perm_b32 v45, v18, v19, s33
	v_lshlrev_b32_e32 v18, 3, v42
	v_lshlrev_b32_e32 v19, 11, v29
	v_pk_mul_f32 v[24:25], v[40:41], v[24:25] op_sel_hi:[0,1]
	v_or3_b32 v18, v19, v27, v18
	v_bfe_u32 v19, v25, 16, 1
	v_bfe_u32 v29, v24, 16, 1
	v_pk_mul_f32 v[36:37], v[40:41], v[36:37] op_sel_hi:[0,1]
	v_add3_u32 v24, v24, v29, s8
	v_add3_u32 v19, v25, v19, s8
	v_perm_b32 v24, v19, v24, s33
	v_bfe_u32 v19, v37, 16, 1
	v_bfe_u32 v25, v36, 16, 1
	v_add3_u32 v25, v36, v25, s8
	v_add3_u32 v19, v37, v19, s8
	v_perm_b32 v25, v19, v25, s33
	ds_write2st64_b64 v18, v[44:45], v[24:25] offset1:1
	v_pk_mul_f32 v[24:25], v[40:41], v[30:31] op_sel_hi:[0,1]
	v_pk_mul_f32 v[30:31], v[40:41], v[32:33] op_sel_hi:[0,1]
	v_bfe_u32 v19, v31, 16, 1
	v_bfe_u32 v29, v30, 16, 1
	v_add3_u32 v29, v30, v29, s8
	v_add3_u32 v19, v31, v19, s8
	v_perm_b32 v30, v19, v29, s33
	v_bfe_u32 v19, v25, 16, 1
	v_bfe_u32 v29, v24, 16, 1
	v_add3_u32 v24, v24, v29, s8
	v_add3_u32 v19, v25, v19, s8
	v_pk_mul_f32 v[22:23], v[40:41], v[22:23] op_sel_hi:[0,1]
	v_perm_b32 v31, v19, v24, s33
	v_bfe_u32 v19, v23, 16, 1
	v_bfe_u32 v24, v22, 16, 1
	v_pk_mul_f32 v[20:21], v[40:41], v[20:21] op_sel_hi:[0,1]
	v_add3_u32 v22, v22, v24, s8
	v_add3_u32 v19, v23, v19, s8
	v_perm_b32 v22, v19, v22, s33
	v_bfe_u32 v19, v21, 16, 1
	v_bfe_u32 v23, v20, 16, 1
	v_add3_u32 v20, v20, v23, s8
	v_add3_u32 v19, v21, v19, s8
	v_perm_b32 v23, v19, v20, s33
	v_cmp_gt_u32_e32 vcc, 15, v0
	ds_write2st64_b64 v18, v[30:31], v[22:23] offset0:2 offset1:3
	s_and_saveexec_b64 s[4:5], vcc
	s_cbranch_execz .LBB1222_17
; %bb.16:
	s_mov_b32 s49, 0
	v_mov_b32_e32 v29, 0
	v_lshl_add_u64 v[20:21], s[48:49], 0, v[28:29]
	v_mov_b32_e32 v19, s7
	v_mad_u64_u32 v[20:21], s[10:11], s2, v19, v[20:21]
	s_mul_i32 s3, s3, s7
	v_mov_b32_e32 v28, s28
	s_load_dwordx4 s[12:15], s[0:1], 0x58
	v_add_u32_e32 v19, s3, v21
	v_mad_u64_u32 v[20:21], s[10:11], v20, s6, v[28:29]
	v_mov_b32_e32 v22, v21
	v_mad_u64_u32 v[22:23], s[10:11], v19, s6, v[22:23]
	v_mov_b32_e32 v21, v22
	v_lshlrev_b64 v[20:21], 2, v[20:21]
	s_waitcnt lgkmcnt(0)
	v_lshl_add_u64 v[22:23], s[14:15], 0, v[20:21]
	v_lshl_add_u64 v[20:21], s[12:13], 0, v[20:21]
	global_store_dword v[22:23], v34, off
	global_store_dword v[20:21], v35, off
.LBB1222_17:
	s_or_b64 exec, exec, s[4:5]
	s_waitcnt vmcnt(3)
	v_cvt_pk_f32_fp8_e32 v[20:21], v14
	v_cvt_pk_f32_fp8_sdwa v[22:23], v14 src0_sel:WORD_1
	s_mov_b32 s4, 0x7060302
	v_lshl_or_b32 v14, v42, 9, v27
	s_waitcnt lgkmcnt(0)
	s_barrier
	v_perm_b32 v24, v21, v20, s4
	v_perm_b32 v25, v23, v22, s4
	v_cvt_pk_f32_fp8_e32 v[28:29], v15
	ds_read_b128 v[20:23], v14
	v_cvt_pk_f32_fp8_sdwa v[36:37], v15 src0_sel:WORD_1
	s_load_dword s10, s[42:43], 0x0
	v_perm_b32 v38, v29, v28, s4
	ds_read_b128 v[28:31], v14 offset:16
	v_perm_b32 v39, v37, v36, s4
	s_waitcnt lgkmcnt(0)
	v_mfma_f32_16x16x16_bf16 v[32:35], v[24:25], v[20:21], 0
	v_cvt_pk_f32_fp8_e32 v[24:25], v16
	v_cvt_pk_f32_fp8_sdwa v[36:37], v16 src0_sel:WORD_1
	v_cmp_gt_u32_e32 vcc, 64, v0
	v_mfma_f32_16x16x16_bf16 v[20:23], v[38:39], v[22:23], v[32:35]
	v_perm_b32 v24, v25, v24, s4
	v_perm_b32 v25, v37, v36, s4
	s_mov_b32 s3, 0
	v_cvt_pk_f32_fp8_e32 v[32:33], v17
	v_cvt_pk_f32_fp8_sdwa v[16:17], v17 src0_sel:WORD_1
	s_waitcnt vmcnt(2)
	v_cvt_pk_f32_fp8_sdwa v[34:35], v10 src0_sel:WORD_1
	v_mfma_f32_16x16x16_bf16 v[20:23], v[24:25], v[28:29], v[20:23]
	v_perm_b32 v36, v33, v32, s4
	v_cvt_pk_f32_fp8_e32 v[32:33], v10
	v_perm_b32 v37, v17, v16, s4
	v_perm_b32 v17, v35, v34, s4
	v_cvt_pk_f32_fp8_e32 v[24:25], v11
	v_perm_b32 v16, v33, v32, s4
	ds_read_b128 v[32:35], v14 offset:2048
	v_cvt_pk_f32_fp8_sdwa v[10:11], v11 src0_sel:WORD_1
	v_mfma_f32_16x16x16_bf16 v[20:23], v[36:37], v[30:31], v[20:23]
	ds_read_b128 v[28:31], v14 offset:2064
	v_perm_b32 v24, v25, v24, s4
	v_perm_b32 v25, v11, v10, s4
	s_waitcnt lgkmcnt(1)
	v_mfma_f32_16x16x16_bf16 v[20:23], v[16:17], v[32:33], v[20:23]
	v_cvt_pk_f32_fp8_e32 v[10:11], v12
	v_cvt_pk_f32_fp8_sdwa v[16:17], v12 src0_sel:WORD_1
	s_waitcnt vmcnt(1)
	v_cvt_pk_f32_fp8_sdwa v[32:33], v6 src0_sel:WORD_1
	v_mfma_f32_16x16x16_bf16 v[20:23], v[24:25], v[34:35], v[20:23]
	v_cvt_pk_f32_fp8_e32 v[24:25], v13
	v_perm_b32 v10, v11, v10, s4
	v_perm_b32 v11, v17, v16, s4
	v_cvt_pk_f32_fp8_sdwa v[12:13], v13 src0_sel:WORD_1
	v_perm_b32 v16, v25, v24, s4
	v_cvt_pk_f32_fp8_e32 v[24:25], v6
	v_mov_b32_e32 v27, 0
	v_perm_b32 v17, v13, v12, s4
	s_waitcnt lgkmcnt(0)
	v_mfma_f32_16x16x16_bf16 v[10:13], v[10:11], v[28:29], v[20:23]
	v_perm_b32 v24, v25, v24, s4
	v_perm_b32 v25, v33, v32, s4
	v_cvt_pk_f32_fp8_e32 v[28:29], v7
	ds_read_b128 v[20:23], v14 offset:4096
	v_cvt_pk_f32_fp8_sdwa v[6:7], v7 src0_sel:WORD_1
	v_mfma_f32_16x16x16_bf16 v[10:13], v[16:17], v[30:31], v[10:13]
	v_perm_b32 v16, v29, v28, s4
	ds_read_b128 v[28:31], v14 offset:4112
	v_perm_b32 v17, v7, v6, s4
	s_waitcnt lgkmcnt(1)
	v_mfma_f32_16x16x16_bf16 v[10:13], v[24:25], v[20:21], v[10:13]
	v_cvt_pk_f32_fp8_e32 v[6:7], v8
	v_cvt_pk_f32_fp8_sdwa v[20:21], v8 src0_sel:WORD_1
	v_perm_b32 v6, v7, v6, s4
	v_mfma_f32_16x16x16_bf16 v[10:13], v[16:17], v[22:23], v[10:13]
	v_cvt_pk_f32_fp8_e32 v[16:17], v9
	v_perm_b32 v7, v21, v20, s4
	v_cvt_pk_f32_fp8_sdwa v[8:9], v9 src0_sel:WORD_1
	s_waitcnt vmcnt(0)
	v_cvt_pk_f32_fp8_e32 v[20:21], v2
	v_perm_b32 v16, v17, v16, s4
	v_cvt_pk_f32_fp8_sdwa v[22:23], v2 src0_sel:WORD_1
	v_perm_b32 v17, v9, v8, s4
	s_waitcnt lgkmcnt(0)
	v_mfma_f32_16x16x16_bf16 v[6:9], v[6:7], v[28:29], v[10:13]
	v_perm_b32 v20, v21, v20, s4
	v_perm_b32 v21, v23, v22, s4
	v_cvt_pk_f32_fp8_e32 v[22:23], v3
	ds_read_b128 v[10:13], v14 offset:6144
	v_cvt_pk_f32_fp8_sdwa v[2:3], v3 src0_sel:WORD_1
	v_mfma_f32_16x16x16_bf16 v[6:9], v[16:17], v[30:31], v[6:9]
	v_perm_b32 v22, v23, v22, s4
	ds_read_b128 v[14:17], v14 offset:6160
	v_perm_b32 v23, v3, v2, s4
	s_waitcnt lgkmcnt(1)
	v_mfma_f32_16x16x16_bf16 v[6:9], v[20:21], v[10:11], v[6:9]
	v_cvt_pk_f32_fp8_e32 v[2:3], v4
	v_cvt_pk_f32_fp8_sdwa v[10:11], v4 src0_sel:WORD_1
	s_waitcnt lgkmcnt(0)
	v_mfma_f32_16x16x16_bf16 v[6:9], v[22:23], v[12:13], v[6:9]
	v_perm_b32 v2, v3, v2, s4
	v_perm_b32 v3, v11, v10, s4
	v_cvt_pk_f32_fp8_e32 v[10:11], v5
	v_cvt_pk_f32_fp8_sdwa v[4:5], v5 src0_sel:WORD_1
	s_barrier
	v_perm_b32 v10, v11, v10, s4
	v_perm_b32 v11, v5, v4, s4
	v_mfma_f32_16x16x16_bf16 v[2:5], v[2:3], v[14:15], v[6:9]
	s_nop 0
	v_mfma_f32_16x16x16_bf16 v[2:5], v[10:11], v[16:17], v[2:5]
	s_nop 6
	v_pk_mul_f32 v[2:3], v[2:3], s[10:11] op_sel_hi:[1,0]
	v_pk_mul_f32 v[4:5], v[4:5], s[10:11] op_sel_hi:[1,0]
	v_bfe_u32 v6, v3, 16, 1
	v_bfe_u32 v7, v2, 16, 1
	v_add3_u32 v2, v2, v7, s8
	v_add3_u32 v3, v3, v6, s8
	v_perm_b32 v2, v3, v2, s4
	v_bfe_u32 v3, v5, 16, 1
	v_bfe_u32 v6, v4, 16, 1
	v_add3_u32 v4, v4, v6, s8
	v_add3_u32 v3, v5, v3, s8
	v_perm_b32 v3, v3, v4, s4
	s_and_b64 s[4:5], vcc, s[30:31]
	ds_write_b64 v18, v[2:3]
	s_waitcnt lgkmcnt(0)
	s_barrier
	s_and_saveexec_b64 s[8:9], s[4:5]
	s_cbranch_execz .LBB1222_20
; %bb.18:
	s_load_dwordx2 s[4:5], s[0:1], 0x68
	s_lshl_b32 s0, s6, 6
	s_mul_i32 s1, s7, s2
	s_mul_hi_u32 s7, s1, s0
	s_mul_i32 s6, s1, s0
	v_lshlrev_b32_e32 v0, 10, v0
	s_lshl_b64 s[6:7], s[6:7], 1
	v_and_b32_e32 v0, 0x1800, v0
	v_lshlrev_b32_e32 v2, 5, v42
	v_and_b32_e32 v1, 16, v1
	s_waitcnt lgkmcnt(0)
	s_add_u32 s1, s4, s6
	v_or3_b32 v2, v0, v2, v1
	s_addc_u32 s4, s5, s7
	s_lshl_b32 s2, s28, 6
	ds_read_b128 v[4:7], v2 offset:256
	s_lshl_b64 s[2:3], s[2:3], 1
	ds_read_b128 v[8:11], v2 offset:128
	ds_read_b128 v[12:15], v2
	s_add_u32 s2, s1, s2
	s_addc_u32 s3, s4, s3
	v_add_u32_e32 v3, s48, v42
	v_lshl_add_u64 v[0:1], s[2:3], 0, v[26:27]
	v_mad_u64_u32 v[16:17], s[2:3], v3, s0, 0
	v_lshl_add_u64 v[16:17], v[16:17], 1, v[0:1]
	s_waitcnt lgkmcnt(0)
	global_store_dwordx4 v[16:17], v[12:15], off
	v_cmp_ne_u32_e32 vcc, 3, v42
	s_nop 0
	v_add_u32_e32 v12, 4, v3
	v_mad_u64_u32 v[12:13], s[2:3], v12, s0, 0
	v_lshl_add_u64 v[12:13], v[12:13], 1, v[0:1]
	v_add_u32_e32 v3, 8, v3
	global_store_dwordx4 v[12:13], v[8:11], off
	s_nop 1
	v_mad_u64_u32 v[8:9], s[2:3], v3, s0, 0
	v_lshl_add_u64 v[8:9], v[8:9], 1, v[0:1]
	global_store_dwordx4 v[8:9], v[4:7], off
	s_and_b64 exec, exec, vcc
	s_cbranch_execz .LBB1222_20
; %bb.19:
	ds_read_b128 v[2:5], v2 offset:384
	v_add3_u32 v6, s48, v42, 12
	v_mad_u64_u32 v[6:7], s[0:1], v6, s0, 0
	v_lshl_add_u64 v[0:1], v[6:7], 1, v[0:1]
	s_waitcnt lgkmcnt(0)
	global_store_dwordx4 v[0:1], v[2:5], off
.LBB1222_20:
	s_endpgm
	.section	.rodata,"a",@progbits
	.p2align	6, 0x0
	.amdhsa_kernel _Z39paged_attention_ll4mi_QKV_mfma16_kernelI14__hip_bfloat16hLN4vllm18Fp8KVCacheDataTypeE1ES0_Li32ELi64ELi256ELb1ELi15EEvPKT_PKT0_S8_ifPKiSA_SA_iPKfiiiPfSD_PS3_PT2_iSC_SC_
		.amdhsa_group_segment_fixed_size 8192
		.amdhsa_private_segment_fixed_size 0
		.amdhsa_kernarg_size 400
		.amdhsa_user_sgpr_count 2
		.amdhsa_user_sgpr_dispatch_ptr 0
		.amdhsa_user_sgpr_queue_ptr 0
		.amdhsa_user_sgpr_kernarg_segment_ptr 1
		.amdhsa_user_sgpr_dispatch_id 0
		.amdhsa_user_sgpr_kernarg_preload_length 0
		.amdhsa_user_sgpr_kernarg_preload_offset 0
		.amdhsa_user_sgpr_private_segment_size 0
		.amdhsa_uses_dynamic_stack 0
		.amdhsa_enable_private_segment 0
		.amdhsa_system_sgpr_workgroup_id_x 1
		.amdhsa_system_sgpr_workgroup_id_y 1
		.amdhsa_system_sgpr_workgroup_id_z 1
		.amdhsa_system_sgpr_workgroup_info 0
		.amdhsa_system_vgpr_workitem_id 0
		.amdhsa_next_free_vgpr 71
		.amdhsa_next_free_sgpr 50
		.amdhsa_accum_offset 72
		.amdhsa_reserve_vcc 1
		.amdhsa_float_round_mode_32 0
		.amdhsa_float_round_mode_16_64 0
		.amdhsa_float_denorm_mode_32 3
		.amdhsa_float_denorm_mode_16_64 3
		.amdhsa_dx10_clamp 1
		.amdhsa_ieee_mode 1
		.amdhsa_fp16_overflow 0
		.amdhsa_tg_split 0
		.amdhsa_exception_fp_ieee_invalid_op 0
		.amdhsa_exception_fp_denorm_src 0
		.amdhsa_exception_fp_ieee_div_zero 0
		.amdhsa_exception_fp_ieee_overflow 0
		.amdhsa_exception_fp_ieee_underflow 0
		.amdhsa_exception_fp_ieee_inexact 0
		.amdhsa_exception_int_div_zero 0
	.end_amdhsa_kernel
	.section	.text._Z39paged_attention_ll4mi_QKV_mfma16_kernelI14__hip_bfloat16hLN4vllm18Fp8KVCacheDataTypeE1ES0_Li32ELi64ELi256ELb1ELi15EEvPKT_PKT0_S8_ifPKiSA_SA_iPKfiiiPfSD_PS3_PT2_iSC_SC_,"axG",@progbits,_Z39paged_attention_ll4mi_QKV_mfma16_kernelI14__hip_bfloat16hLN4vllm18Fp8KVCacheDataTypeE1ES0_Li32ELi64ELi256ELb1ELi15EEvPKT_PKT0_S8_ifPKiSA_SA_iPKfiiiPfSD_PS3_PT2_iSC_SC_,comdat
.Lfunc_end1222:
	.size	_Z39paged_attention_ll4mi_QKV_mfma16_kernelI14__hip_bfloat16hLN4vllm18Fp8KVCacheDataTypeE1ES0_Li32ELi64ELi256ELb1ELi15EEvPKT_PKT0_S8_ifPKiSA_SA_iPKfiiiPfSD_PS3_PT2_iSC_SC_, .Lfunc_end1222-_Z39paged_attention_ll4mi_QKV_mfma16_kernelI14__hip_bfloat16hLN4vllm18Fp8KVCacheDataTypeE1ES0_Li32ELi64ELi256ELb1ELi15EEvPKT_PKT0_S8_ifPKiSA_SA_iPKfiiiPfSD_PS3_PT2_iSC_SC_
                                        ; -- End function
	.section	.AMDGPU.csdata,"",@progbits
; Kernel info:
; codeLenInByte = 5272
; NumSgprs: 56
; NumVgprs: 71
; NumAgprs: 0
; TotalNumVgprs: 71
; ScratchSize: 0
; MemoryBound: 0
; FloatMode: 240
; IeeeMode: 1
; LDSByteSize: 8192 bytes/workgroup (compile time only)
; SGPRBlocks: 6
; VGPRBlocks: 8
; NumSGPRsForWavesPerEU: 56
; NumVGPRsForWavesPerEU: 71
; AccumOffset: 72
; Occupancy: 7
; WaveLimiterHint : 1
; COMPUTE_PGM_RSRC2:SCRATCH_EN: 0
; COMPUTE_PGM_RSRC2:USER_SGPR: 2
; COMPUTE_PGM_RSRC2:TRAP_HANDLER: 0
; COMPUTE_PGM_RSRC2:TGID_X_EN: 1
; COMPUTE_PGM_RSRC2:TGID_Y_EN: 1
; COMPUTE_PGM_RSRC2:TGID_Z_EN: 1
; COMPUTE_PGM_RSRC2:TIDIG_COMP_CNT: 0
; COMPUTE_PGM_RSRC3_GFX90A:ACCUM_OFFSET: 17
; COMPUTE_PGM_RSRC3_GFX90A:TG_SPLIT: 0
	.section	.text._Z39paged_attention_ll4mi_QKV_mfma16_kernelI14__hip_bfloat16hLN4vllm18Fp8KVCacheDataTypeE1ES0_Li32ELi64ELi256ELb1ELi16EEvPKT_PKT0_S8_ifPKiSA_SA_iPKfiiiPfSD_PS3_PT2_iSC_SC_,"axG",@progbits,_Z39paged_attention_ll4mi_QKV_mfma16_kernelI14__hip_bfloat16hLN4vllm18Fp8KVCacheDataTypeE1ES0_Li32ELi64ELi256ELb1ELi16EEvPKT_PKT0_S8_ifPKiSA_SA_iPKfiiiPfSD_PS3_PT2_iSC_SC_,comdat
	.protected	_Z39paged_attention_ll4mi_QKV_mfma16_kernelI14__hip_bfloat16hLN4vllm18Fp8KVCacheDataTypeE1ES0_Li32ELi64ELi256ELb1ELi16EEvPKT_PKT0_S8_ifPKiSA_SA_iPKfiiiPfSD_PS3_PT2_iSC_SC_ ; -- Begin function _Z39paged_attention_ll4mi_QKV_mfma16_kernelI14__hip_bfloat16hLN4vllm18Fp8KVCacheDataTypeE1ES0_Li32ELi64ELi256ELb1ELi16EEvPKT_PKT0_S8_ifPKiSA_SA_iPKfiiiPfSD_PS3_PT2_iSC_SC_
	.globl	_Z39paged_attention_ll4mi_QKV_mfma16_kernelI14__hip_bfloat16hLN4vllm18Fp8KVCacheDataTypeE1ES0_Li32ELi64ELi256ELb1ELi16EEvPKT_PKT0_S8_ifPKiSA_SA_iPKfiiiPfSD_PS3_PT2_iSC_SC_
	.p2align	8
	.type	_Z39paged_attention_ll4mi_QKV_mfma16_kernelI14__hip_bfloat16hLN4vllm18Fp8KVCacheDataTypeE1ES0_Li32ELi64ELi256ELb1ELi16EEvPKT_PKT0_S8_ifPKiSA_SA_iPKfiiiPfSD_PS3_PT2_iSC_SC_,@function
_Z39paged_attention_ll4mi_QKV_mfma16_kernelI14__hip_bfloat16hLN4vllm18Fp8KVCacheDataTypeE1ES0_Li32ELi64ELi256ELb1ELi16EEvPKT_PKT0_S8_ifPKiSA_SA_iPKfiiiPfSD_PS3_PT2_iSC_SC_: ; @_Z39paged_attention_ll4mi_QKV_mfma16_kernelI14__hip_bfloat16hLN4vllm18Fp8KVCacheDataTypeE1ES0_Li32ELi64ELi256ELb1ELi16EEvPKT_PKT0_S8_ifPKiSA_SA_iPKfiiiPfSD_PS3_PT2_iSC_SC_
; %bb.0:
	s_load_dwordx2 s[14:15], s[0:1], 0x30
	s_mov_b32 s24, s3
	s_mov_b64 s[6:7], 0
	s_waitcnt lgkmcnt(0)
	s_cmp_lg_u64 s[14:15], 0
	s_cselect_b64 s[16:17], -1, 0
	s_and_b64 vcc, exec, s[16:17]
	s_cbranch_vccz .LBB1223_7
; %bb.1:
	s_add_i32 s8, s2, 1
	s_mov_b32 s9, 0
	s_lshl_b64 s[10:11], s[8:9], 2
	s_add_u32 s10, s14, s10
	s_mov_b32 s3, s9
	s_addc_u32 s11, s15, s11
	s_lshl_b64 s[8:9], s[2:3], 2
	s_add_u32 s8, s14, s8
	s_addc_u32 s9, s15, s9
	s_load_dword s5, s[10:11], 0x0
	s_load_dword s12, s[8:9], 0x0
	s_waitcnt lgkmcnt(0)
	s_sub_i32 s5, s5, s12
	s_cmp_eq_u32 s5, 1
	s_cselect_b64 s[8:9], -1, 0
	s_andn2_b64 vcc, exec, s[6:7]
	s_cbranch_vccnz .LBB1223_3
.LBB1223_2:
	s_mov_b32 s3, 0
	s_mov_b64 s[8:9], -1
.LBB1223_3:
	s_andn2_b64 vcc, exec, s[8:9]
	s_cbranch_vccnz .LBB1223_17
; %bb.4:
	s_load_dwordx2 s[6:7], s[0:1], 0x28
	s_lshl_b64 s[18:19], s[2:3], 2
	s_waitcnt lgkmcnt(0)
	s_add_u32 s6, s6, s18
	s_addc_u32 s7, s7, s19
	s_load_dword s48, s[6:7], 0x0
	s_lshl_b32 s5, s24, 8
	s_waitcnt lgkmcnt(0)
	s_cmp_ge_i32 s5, s48
	s_cbranch_scc1 .LBB1223_17
; %bb.5:
	s_load_dwordx2 s[6:7], s[0:1], 0x20
	s_load_dword s8, s[0:1], 0x38
	s_add_i32 s9, s48, 31
	s_ashr_i32 s10, s9, 31
	v_and_b32_e32 v1, 0xcf, v0
	s_lshr_b32 s10, s10, 27
	v_add_u32_e32 v1, s5, v1
	s_add_i32 s9, s9, s10
	v_ashrrev_i32_e32 v2, 31, v1
	s_ashr_i32 s20, s9, 5
	v_lshrrev_b32_e32 v10, 27, v2
	s_add_i32 s20, s20, -1
	s_waitcnt lgkmcnt(0)
	s_mul_i32 s8, s2, s8
	s_mov_b32 s9, 0
	v_add_u32_e32 v2, v1, v10
	s_lshl_b64 s[8:9], s[8:9], 2
	v_ashrrev_i32_e32 v2, 5, v2
	v_mov_b32_e32 v11, s20
	v_cmp_gt_i32_e32 vcc, s48, v1
	s_add_u32 s6, s6, s8
	s_addc_u32 s7, s7, s9
	v_cndmask_b32_e32 v2, v11, v2, vcc
	v_ashrrev_i32_e32 v3, 31, v2
	v_lshl_add_u64 v[4:5], v[2:3], 2, s[6:7]
	v_or_b32_e32 v2, 16, v1
	v_add_u32_e32 v3, v2, v10
	v_ashrrev_i32_e32 v3, 5, v3
	v_cmp_gt_i32_e32 vcc, s48, v2
	s_nop 1
	v_cndmask_b32_e32 v2, v11, v3, vcc
	v_ashrrev_i32_e32 v3, 31, v2
	v_lshl_add_u64 v[6:7], v[2:3], 2, s[6:7]
	v_or_b32_e32 v2, 32, v1
	v_add_u32_e32 v3, v2, v10
	v_ashrrev_i32_e32 v3, 5, v3
	v_cmp_gt_i32_e32 vcc, s48, v2
	v_or_b32_e32 v1, 48, v1
	s_nop 0
	v_cndmask_b32_e32 v2, v11, v3, vcc
	v_ashrrev_i32_e32 v3, 31, v2
	v_lshl_add_u64 v[8:9], v[2:3], 2, s[6:7]
	v_add_u32_e32 v2, v1, v10
	v_ashrrev_i32_e32 v2, 5, v2
	v_cmp_gt_i32_e32 vcc, s48, v1
	s_nop 1
	v_cndmask_b32_e32 v2, v11, v2, vcc
	v_ashrrev_i32_e32 v3, 31, v2
	v_lshl_add_u64 v[10:11], v[2:3], 2, s[6:7]
	global_load_dword v3, v[4:5], off
	global_load_dword v2, v[6:7], off
	;; [unrolled: 1-line block ×4, first 2 shown]
	s_load_dwordx2 s[12:13], s[0:1], 0x40
	s_load_dwordx4 s[8:11], s[0:1], 0x8
	s_andn2_b64 vcc, exec, s[16:17]
	s_cbranch_vccnz .LBB1223_8
; %bb.6:
	s_add_u32 s14, s14, s18
	s_addc_u32 s15, s15, s19
	s_load_dword s16, s[14:15], 0x0
	s_branch .LBB1223_9
.LBB1223_7:
	s_mov_b64 s[8:9], 0
	s_branch .LBB1223_2
.LBB1223_8:
	s_mov_b32 s16, s2
.LBB1223_9:
	s_load_dwordx4 s[44:47], s[0:1], 0x48
	v_and_b32_e32 v43, 15, v0
	s_movk_i32 s14, 0x100
	v_lshlrev_b32_e32 v4, 3, v43
	v_cmp_gt_u32_e32 vcc, s14, v0
	v_cmp_gt_u32_e64 s[26:27], 8, v43
	v_lshrrev_b32_e32 v41, 6, v0
	v_and_b32_e32 v42, 63, v0
	v_bfe_u32 v1, v0, 4, 2
	s_lshl_b32 s25, s4, 4
	s_and_b64 s[18:19], vcc, s[26:27]
	v_lshlrev_b32_e32 v26, 1, v4
	v_lshlrev_b32_e32 v40, 4, v0
	s_and_saveexec_b64 s[14:15], s[18:19]
	s_cbranch_execz .LBB1223_11
; %bb.10:
	s_load_dwordx2 s[18:19], s[0:1], 0x0
	s_waitcnt lgkmcnt(0)
	s_ashr_i32 s17, s44, 31
	s_mul_hi_u32 s21, s16, s44
	s_mul_i32 s17, s16, s17
	s_add_i32 s17, s21, s17
	s_mul_i32 s16, s16, s44
	v_lshl_or_b32 v8, v41, 2, v1
	s_lshl_b64 s[16:17], s[16:17], 1
	s_add_u32 s16, s18, s16
	v_add_lshl_u32 v4, v8, s25, 6
	s_addc_u32 s17, s19, s17
	v_ashrrev_i32_e32 v5, 31, v4
	v_lshl_add_u64 v[4:5], v[4:5], 1, s[16:17]
	v_mov_b32_e32 v27, 0
	v_lshl_add_u64 v[4:5], v[4:5], 0, v[26:27]
	global_load_dwordx4 v[4:7], v[4:5], off
	v_lshlrev_b32_e32 v10, 8, v43
	v_lshlrev_b32_e32 v8, 5, v8
	v_and_b32_e32 v9, 16, v40
	v_and_b32_e32 v10, 0xe00, v10
	v_or3_b32 v8, v10, v8, v9
	s_waitcnt vmcnt(0)
	ds_write_b128 v8, v[4:7]
.LBB1223_11:
	s_or_b64 exec, exec, s[14:15]
	s_waitcnt lgkmcnt(0)
	s_mul_i32 s4, s4, s46
	s_add_u32 s8, s8, s4
	s_addc_u32 s9, s9, 0
	v_mov_b32_e32 v31, 0
	v_mov_b64_e32 v[18:19], s[8:9]
	v_and_b32_e32 v6, 48, v0
	s_waitcnt vmcnt(3)
	v_mad_i64_i32 v[4:5], s[8:9], v3, s45, v[18:19]
	v_lshlrev_b32_e32 v20, 4, v43
	v_mov_b32_e32 v21, v31
	v_lshlrev_b32_e32 v30, 5, v6
	v_lshl_add_u64 v[4:5], v[4:5], 0, v[20:21]
	v_lshl_add_u64 v[4:5], v[4:5], 0, v[30:31]
	s_load_dword s33, s[0:1], 0x98
	s_load_dwordx4 s[40:43], s[0:1], 0x80
	s_waitcnt lgkmcnt(0)
	s_barrier
	global_load_dwordx4 v[10:13], v[4:5], off
	s_waitcnt vmcnt(3)
	v_mad_i64_i32 v[2:3], s[8:9], v2, s45, v[18:19]
	v_or_b32_e32 v34, 0x100, v20
	v_mov_b32_e32 v35, v31
	v_lshl_add_u64 v[2:3], v[2:3], 0, v[34:35]
	v_lshl_add_u64 v[2:3], v[2:3], 0, v[30:31]
	global_load_dwordx4 v[14:17], v[2:3], off
	s_ashr_i32 s8, s5, 31
	v_or_b32_e32 v33, s5, v6
	s_lshr_b32 s14, s8, 27
	v_add_u32_e32 v4, s14, v33
	v_ashrrev_i32_e32 v4, 5, v4
	v_mov_b32_e32 v38, s20
	v_cmp_gt_i32_e32 vcc, s48, v33
	s_waitcnt vmcnt(3)
	v_mad_i64_i32 v[22:23], s[8:9], v22, s45, v[18:19]
	v_cndmask_b32_e32 v4, v38, v4, vcc
	v_ashrrev_i32_e32 v5, 31, v4
	v_lshlrev_b32_e32 v44, 5, v43
	v_lshl_add_u64 v[20:21], v[22:23], 0, v[20:21]
	v_lshl_add_u64 v[4:5], v[4:5], 2, s[6:7]
	v_lshl_or_b32 v27, v1, 9, v44
	v_lshl_add_u64 v[20:21], v[20:21], 0, v[30:31]
	global_load_dword v47, v[4:5], off
	ds_read_b128 v[6:9], v27
	ds_read_b128 v[2:5], v27 offset:16
	global_load_dwordx4 v[22:25], v[20:21], off
	v_or_b32_e32 v28, s25, v43
	v_ashrrev_i32_e32 v29, 31, v28
	v_lshl_add_u64 v[36:37], v[28:29], 2, s[12:13]
	v_or_b32_e32 v29, 64, v33
	v_or_b32_e32 v20, 0x80, v33
	s_waitcnt vmcnt(4)
	v_mad_i64_i32 v[18:19], s[8:9], v32, s45, v[18:19]
	v_add_u32_e32 v32, s14, v29
	v_or_b32_e32 v21, 0xc0, v33
	v_add_u32_e32 v33, s14, v20
	v_lshl_add_u64 v[18:19], v[18:19], 0, v[34:35]
	v_ashrrev_i32_e32 v32, 5, v32
	v_cmp_gt_i32_e32 vcc, s48, v29
	v_ashrrev_i32_e32 v33, 5, v33
	v_lshl_add_u64 v[18:19], v[18:19], 0, v[30:31]
	v_cndmask_b32_e32 v32, v38, v32, vcc
	v_cmp_gt_i32_e32 vcc, s48, v20
	global_load_dword v46, v[36:37], off
	v_add_u32_e32 v36, s14, v21
	v_cndmask_b32_e32 v34, v38, v33, vcc
	v_cmp_gt_i32_e32 vcc, s48, v21
	global_load_dwordx4 v[18:21], v[18:19], off
	v_ashrrev_i32_e32 v35, 5, v36
	v_cndmask_b32_e32 v36, v38, v35, vcc
	v_ashrrev_i32_e32 v33, 31, v32
	v_ashrrev_i32_e32 v35, 31, v34
	v_lshl_add_u64 v[48:49], v[32:33], 2, s[6:7]
	v_lshl_add_u64 v[50:51], v[34:35], 2, s[6:7]
	s_add_u32 s8, s10, s4
	s_addc_u32 s9, s11, 0
	v_and_b32_e32 v30, 16, v0
	s_mov_b32 s44, 0x7060302
	v_lshl_add_u64 v[38:39], s[8:9], 0, v[30:31]
	v_lshl_or_b32 v30, v41, 9, v44
	v_lshl_add_u64 v[30:31], v[38:39], 0, v[30:31]
	v_ashrrev_i32_e32 v37, 31, v36
	v_lshl_add_u64 v[36:37], v[36:37], 2, s[6:7]
	s_load_dword s15, s[0:1], 0x1c
	s_mov_b32 s46, 0xff7fffff
	s_waitcnt vmcnt(5)
	v_cvt_pk_f32_fp8_e32 v[32:33], v10
	v_cvt_pk_f32_fp8_sdwa v[34:35], v10 src0_sel:WORD_1
	v_cvt_pk_f32_fp8_e32 v[38:39], v11
	v_cvt_pk_f32_fp8_sdwa v[10:11], v11 src0_sel:WORD_1
	v_perm_b32 v32, v33, v32, s44
	v_perm_b32 v33, v35, v34, s44
	;; [unrolled: 1-line block ×4, first 2 shown]
	v_cvt_pk_f32_fp8_e32 v[52:53], v12
	v_cvt_pk_f32_fp8_sdwa v[54:55], v12 src0_sel:WORD_1
	s_waitcnt lgkmcnt(0)
	v_mfma_f32_16x16x16_bf16 v[32:35], v[32:33], v[6:7], 0
	global_load_dword v12, v[48:49], off
	global_load_dword v29, v[50:51], off
	;; [unrolled: 1-line block ×3, first 2 shown]
	v_perm_b32 v36, v53, v52, s44
	v_perm_b32 v37, v55, v54, s44
	v_mfma_f32_16x16x16_bf16 v[32:35], v[38:39], v[8:9], v[32:35]
	v_cvt_pk_f32_fp8_e32 v[38:39], v13
	v_cvt_pk_f32_fp8_sdwa v[48:49], v13 src0_sel:WORD_1
	s_waitcnt vmcnt(7)
	v_cvt_pk_f32_fp8_e32 v[50:51], v16
	v_mfma_f32_16x16x16_bf16 v[32:35], v[36:37], v[2:3], v[32:35]
	v_perm_b32 v38, v39, v38, s44
	v_perm_b32 v39, v49, v48, s44
	v_cvt_pk_f32_fp8_e32 v[36:37], v14
	v_cvt_pk_f32_fp8_sdwa v[48:49], v14 src0_sel:WORD_1
	v_mfma_f32_16x16x16_bf16 v[32:35], v[38:39], v[4:5], v[32:35]
	v_cvt_pk_f32_fp8_e32 v[38:39], v15
	v_perm_b32 v36, v37, v36, s44
	v_perm_b32 v37, v49, v48, s44
	v_cvt_pk_f32_fp8_sdwa v[14:15], v15 src0_sel:WORD_1
	v_perm_b32 v48, v39, v38, s44
	v_cvt_pk_f32_fp8_sdwa v[52:53], v16 src0_sel:WORD_1
	v_mfma_f32_16x16x16_bf16 v[36:39], v[36:37], v[6:7], 0
	v_perm_b32 v49, v15, v14, s44
	v_perm_b32 v50, v51, v50, s44
	;; [unrolled: 1-line block ×3, first 2 shown]
	v_cvt_pk_f32_fp8_e32 v[52:53], v17
	v_cvt_pk_f32_fp8_sdwa v[54:55], v17 src0_sel:WORD_1
	v_mfma_f32_16x16x16_bf16 v[14:17], v[48:49], v[8:9], v[36:39]
	s_waitcnt vmcnt(5)
	v_cvt_pk_f32_fp8_sdwa v[48:49], v22 src0_sel:WORD_1
	s_load_dword s4, s[40:41], 0x0
	v_mov_b32_e32 v13, s15
	v_perm_b32 v36, v53, v52, s44
	v_perm_b32 v37, v55, v54, s44
	v_mfma_f32_16x16x16_bf16 v[14:17], v[50:51], v[2:3], v[14:17]
	v_cvt_pk_f32_fp8_e32 v[38:39], v22
	v_cvt_pk_f32_fp8_e32 v[50:51], v24
	v_cvt_pk_f32_fp8_sdwa v[54:55], v24 src0_sel:WORD_1
	v_mfma_f32_16x16x16_bf16 v[14:17], v[36:37], v[4:5], v[14:17]
	v_cvt_pk_f32_fp8_e32 v[36:37], v23
	v_perm_b32 v38, v39, v38, s44
	v_perm_b32 v39, v49, v48, s44
	v_cvt_pk_f32_fp8_sdwa v[22:23], v23 src0_sel:WORD_1
	v_perm_b32 v48, v37, v36, s44
	v_mfma_f32_16x16x16_bf16 v[36:39], v[38:39], v[6:7], 0
	v_perm_b32 v49, v23, v22, s44
	v_perm_b32 v22, v51, v50, s44
	;; [unrolled: 1-line block ×3, first 2 shown]
	v_cvt_pk_f32_fp8_e32 v[50:51], v25
	v_cvt_pk_f32_fp8_sdwa v[54:55], v25 src0_sel:WORD_1
	v_mfma_f32_16x16x16_bf16 v[36:39], v[48:49], v[8:9], v[36:39]
	s_waitcnt lgkmcnt(0)
	v_mul_f32_e32 v52, s4, v13
	v_pk_mul_f32 v[24:25], v[52:53], v[34:35] op_sel_hi:[0,1]
	v_perm_b32 v34, v51, v50, s44
	v_perm_b32 v35, v55, v54, s44
	v_mfma_f32_16x16x16_bf16 v[48:51], v[22:23], v[2:3], v[36:39]
	s_waitcnt vmcnt(3)
	v_cvt_pk_f32_fp8_e32 v[22:23], v18
	v_cvt_pk_f32_fp8_e32 v[54:55], v20
	v_cvt_pk_f32_fp8_sdwa v[56:57], v20 src0_sel:WORD_1
	v_pk_mul_f32 v[36:37], v[52:53], v[32:33] op_sel_hi:[0,1]
	v_cvt_pk_f32_fp8_sdwa v[32:33], v18 src0_sel:WORD_1
	v_mfma_f32_16x16x16_bf16 v[48:51], v[34:35], v[4:5], v[48:51]
	v_cvt_pk_f32_fp8_e32 v[34:35], v19
	v_perm_b32 v22, v23, v22, s44
	v_perm_b32 v23, v33, v32, s44
	v_cvt_pk_f32_fp8_sdwa v[18:19], v19 src0_sel:WORD_1
	v_perm_b32 v38, v35, v34, s44
	v_mfma_f32_16x16x16_bf16 v[32:35], v[22:23], v[6:7], 0
	v_perm_b32 v39, v19, v18, s44
	v_perm_b32 v18, v55, v54, s44
	;; [unrolled: 1-line block ×3, first 2 shown]
	v_cvt_pk_f32_fp8_e32 v[22:23], v21
	v_cvt_pk_f32_fp8_sdwa v[20:21], v21 src0_sel:WORD_1
	v_mfma_f32_16x16x16_bf16 v[6:9], v[38:39], v[8:9], v[32:35]
	v_pk_mul_f32 v[38:39], v[52:53], v[14:15] op_sel_hi:[0,1]
	v_mad_i64_i32 v[10:11], s[6:7], v47, s45, v[30:31]
	s_nop 0
	v_pk_mul_f32 v[34:35], v[52:53], v[16:17] op_sel_hi:[0,1]
	v_perm_b32 v16, v23, v22, s44
	v_perm_b32 v17, v21, v20, s44
	v_mfma_f32_16x16x16_bf16 v[6:9], v[18:19], v[2:3], v[6:9]
	v_pk_mul_f32 v[22:23], v[52:53], v[50:51] op_sel_hi:[0,1]
	v_pk_mul_f32 v[32:33], v[52:53], v[48:49] op_sel_hi:[0,1]
	v_mfma_f32_16x16x16_bf16 v[2:5], v[16:17], v[4:5], v[6:9]
	s_nop 6
	v_pk_mul_f32 v[20:21], v[52:53], v[2:3] op_sel_hi:[0,1]
	v_and_b32_e32 v2, 0xc0, v0
	v_add_u32_e32 v2, s5, v2
	v_lshl_or_b32 v2, v1, 2, v2
	v_or_b32_e32 v3, 1, v2
	v_pk_mul_f32 v[18:19], v[52:53], v[4:5] op_sel_hi:[0,1]
	v_subrev_u32_e32 v4, s48, v3
	v_add_u32_e32 v6, 1, v4
	v_add_u32_e32 v7, 2, v4
	v_cvt_f32_i32_e32 v5, v4
	v_cvt_f32_i32_e32 v6, v6
	;; [unrolled: 1-line block ×3, first 2 shown]
	v_add_u32_e32 v8, 3, v4
	v_fma_f32 v9, v46, v5, v36
	v_fmac_f32_e32 v37, v46, v6
	v_fma_f32 v24, v46, v7, v24
	v_add_u32_e32 v5, 16, v4
	v_add_u32_e32 v6, 17, v4
	;; [unrolled: 1-line block ×3, first 2 shown]
	v_cvt_f32_i32_e32 v8, v8
	v_cvt_f32_i32_e32 v5, v5
	;; [unrolled: 1-line block ×4, first 2 shown]
	v_fmac_f32_e32 v25, v46, v8
	v_add_u32_e32 v8, 19, v4
	v_fma_f32 v38, v46, v5, v38
	v_fmac_f32_e32 v39, v46, v6
	v_fma_f32 v34, v46, v7, v34
	v_add_u32_e32 v5, 32, v4
	v_add_u32_e32 v6, 33, v4
	;; [unrolled: 1-line block ×3, first 2 shown]
	v_cvt_f32_i32_e32 v8, v8
	v_cvt_f32_i32_e32 v5, v5
	;; [unrolled: 1-line block ×4, first 2 shown]
	v_fmac_f32_e32 v35, v46, v8
	v_add_u32_e32 v8, 35, v4
	v_fma_f32 v32, v46, v5, v32
	v_fmac_f32_e32 v33, v46, v6
	v_fma_f32 v22, v46, v7, v22
	v_add_u32_e32 v5, 48, v4
	v_add_u32_e32 v6, 49, v4
	;; [unrolled: 1-line block ×4, first 2 shown]
	v_cvt_f32_i32_e32 v4, v4
	v_cvt_f32_i32_e32 v5, v5
	;; [unrolled: 1-line block ×3, first 2 shown]
	v_cmp_gt_i32_e64 s[4:5], s48, v2
	v_fmac_f32_e32 v19, v46, v4
	v_mov_b32_e32 v4, 0xff7fffff
	v_cmp_gt_i32_e64 s[28:29], s48, v3
	v_fma_f32 v20, v46, v5, v20
	v_cndmask_b32_e64 v5, v4, v9, s[4:5]
	v_cndmask_b32_e64 v3, v4, v37, s[28:29]
	v_fmac_f32_e32 v21, v46, v6
	v_max3_f32 v3, v5, s46, v3
	v_or_b32_e32 v5, 2, v2
	v_or_b32_e32 v6, 3, v2
	v_cmp_gt_i32_e64 s[30:31], s48, v5
	v_cmp_gt_i32_e64 s[34:35], s48, v6
	v_cvt_f32_i32_e32 v8, v8
	v_cndmask_b32_e64 v5, v4, v24, s[30:31]
	v_cndmask_b32_e64 v6, v4, v25, s[34:35]
	v_max3_f32 v3, v3, v5, v6
	v_or_b32_e32 v5, 16, v2
	v_or_b32_e32 v6, 17, v2
	v_cmp_gt_i32_e64 s[36:37], s48, v5
	v_cmp_gt_i32_e64 s[38:39], s48, v6
	v_fmac_f32_e32 v23, v46, v8
	v_cndmask_b32_e64 v5, v4, v38, s[36:37]
	v_cndmask_b32_e64 v6, v4, v39, s[38:39]
	v_max3_f32 v3, v3, v5, v6
	v_or_b32_e32 v5, 18, v2
	v_or_b32_e32 v6, 19, v2
	v_cmp_gt_i32_e64 s[20:21], s48, v5
	v_cmp_gt_i32_e64 s[22:23], s48, v6
	v_cvt_f32_i32_e32 v7, v7
	v_cndmask_b32_e64 v5, v4, v34, s[20:21]
	v_cndmask_b32_e64 v6, v4, v35, s[22:23]
	v_max3_f32 v3, v3, v5, v6
	v_or_b32_e32 v5, 32, v2
	v_or_b32_e32 v6, 33, v2
	v_cmp_gt_i32_e64 s[16:17], s48, v5
	v_cmp_gt_i32_e64 s[18:19], s48, v6
	v_fma_f32 v18, v46, v7, v18
	v_cndmask_b32_e64 v5, v4, v32, s[16:17]
	v_cndmask_b32_e64 v6, v4, v33, s[18:19]
	v_max3_f32 v3, v3, v5, v6
	v_or_b32_e32 v5, 34, v2
	v_or_b32_e32 v6, 35, v2
	v_cmp_gt_i32_e64 s[12:13], s48, v5
	v_cmp_gt_i32_e64 s[14:15], s48, v6
	s_nop 0
	v_cndmask_b32_e64 v5, v4, v22, s[12:13]
	v_cndmask_b32_e64 v6, v4, v23, s[14:15]
	v_max3_f32 v3, v3, v5, v6
	v_or_b32_e32 v5, 48, v2
	v_or_b32_e32 v6, 49, v2
	v_cmp_gt_i32_e64 s[8:9], s48, v5
	v_cmp_gt_i32_e64 s[10:11], s48, v6
	s_nop 0
	v_cndmask_b32_e64 v5, v4, v20, s[8:9]
	v_cndmask_b32_e64 v6, v4, v21, s[10:11]
	v_max3_f32 v3, v3, v5, v6
	v_or_b32_e32 v5, 50, v2
	v_or_b32_e32 v2, 51, v2
	v_cmp_gt_i32_e32 vcc, s48, v5
	v_cmp_gt_i32_e64 s[6:7], s48, v2
	s_nop 0
	v_cndmask_b32_e32 v5, v4, v18, vcc
	v_cndmask_b32_e64 v2, v4, v19, s[6:7]
	v_max3_f32 v4, v3, v5, v2
	v_mbcnt_lo_u32_b32 v2, -1, 0
	v_mbcnt_hi_u32_b32 v5, -1, v2
	v_and_b32_e32 v2, 64, v5
	v_add_u32_e32 v6, 64, v2
	v_xor_b32_e32 v2, 32, v5
	v_cmp_lt_i32_e64 s[40:41], v2, v6
	s_nop 1
	v_cndmask_b32_e64 v2, v5, v2, s[40:41]
	v_lshlrev_b32_e32 v46, 2, v2
	ds_bpermute_b32 v7, v46, v4
	s_waitcnt vmcnt(2)
	v_mad_i64_i32 v[2:3], s[40:41], v12, s45, v[30:31]
	global_load_dwordx4 v[14:17], v[10:11], off
	s_nop 0
	global_load_dwordx4 v[10:13], v[2:3], off
	s_waitcnt lgkmcnt(0)
	v_max_f32_e32 v2, v7, v7
	v_max_f32_e32 v7, v4, v2
	v_xor_b32_e32 v2, 16, v5
	v_cmp_lt_i32_e64 s[40:41], v2, v6
	s_nop 1
	v_cndmask_b32_e64 v2, v5, v2, s[40:41]
	v_lshlrev_b32_e32 v47, 2, v2
	ds_bpermute_b32 v6, v47, v7
	s_waitcnt vmcnt(3)
	v_mad_i64_i32 v[2:3], s[40:41], v29, s45, v[30:31]
	s_waitcnt vmcnt(2)
	v_mad_i64_i32 v[4:5], s[40:41], v45, s45, v[30:31]
	s_waitcnt lgkmcnt(0)
	v_max_f32_e32 v6, v6, v6
	v_max_f32_e32 v29, v7, v6
	v_sub_f32_e32 v6, v9, v29
	v_mul_f32_e32 v6, 0x3fb8aa3b, v6
	v_exp_f32_e32 v30, v6
	v_sub_f32_e32 v6, v37, v29
	v_mul_f32_e32 v6, 0x3fb8aa3b, v6
	v_exp_f32_e32 v31, v6
	global_load_dwordx4 v[6:9], v[2:3], off
	s_nop 0
	global_load_dwordx4 v[2:5], v[4:5], off
	v_sub_f32_e32 v24, v24, v29
	v_mul_f32_e32 v24, 0x3fb8aa3b, v24
	v_sub_f32_e32 v25, v25, v29
	v_exp_f32_e32 v24, v24
	v_mul_f32_e32 v25, 0x3fb8aa3b, v25
	v_exp_f32_e32 v25, v25
	v_cndmask_b32_e64 v30, 0, v30, s[4:5]
	v_add_f32_e32 v36, 0, v30
	v_cndmask_b32_e64 v31, 0, v31, s[28:29]
	v_add_f32_e32 v37, v36, v31
	;; [unrolled: 2-line block ×3, first 2 shown]
	v_cndmask_b32_e64 v37, 0, v25, s[34:35]
	v_sub_f32_e32 v25, v38, v29
	v_mul_f32_e32 v25, 0x3fb8aa3b, v25
	v_sub_f32_e32 v38, v39, v29
	v_exp_f32_e32 v25, v25
	v_mul_f32_e32 v38, 0x3fb8aa3b, v38
	v_sub_f32_e32 v34, v34, v29
	v_exp_f32_e32 v38, v38
	;; [unrolled: 3-line block ×4, first 2 shown]
	v_mul_f32_e32 v32, 0x3fb8aa3b, v32
	v_sub_f32_e32 v33, v33, v29
	v_add_f32_e32 v39, v24, v37
	v_cndmask_b32_e64 v24, 0, v25, s[36:37]
	v_exp_f32_e32 v32, v32
	v_mul_f32_e32 v33, 0x3fb8aa3b, v33
	v_sub_f32_e32 v22, v22, v29
	v_add_f32_e32 v39, v39, v24
	v_cndmask_b32_e64 v25, 0, v38, s[38:39]
	v_exp_f32_e32 v33, v33
	;; [unrolled: 5-line block ×7, first 2 shown]
	v_mul_f32_e32 v19, 0x3fb8aa3b, v19
	v_add_f32_e32 v38, v38, v22
	v_cndmask_b32_e64 v23, 0, v23, s[14:15]
	v_exp_f32_e32 v19, v19
	v_add_f32_e32 v38, v38, v23
	v_cndmask_b32_e64 v20, 0, v20, s[8:9]
	v_add_f32_e32 v38, v38, v20
	v_cndmask_b32_e64 v21, 0, v21, s[10:11]
	v_add_f32_e32 v38, v38, v21
	v_cndmask_b32_e32 v18, 0, v18, vcc
	v_add_f32_e32 v38, v38, v18
	v_cndmask_b32_e64 v19, 0, v19, s[6:7]
	v_add_f32_e32 v38, v38, v19
	ds_bpermute_b32 v39, v46, v38
	v_cmp_gt_u32_e32 vcc, 16, v42
	s_waitcnt lgkmcnt(0)
	s_barrier
	v_add_f32_e32 v38, v38, v39
	ds_bpermute_b32 v45, v47, v38
	v_lshlrev_b32_e32 v39, 2, v43
	s_and_saveexec_b64 s[4:5], vcc
	s_cbranch_execz .LBB1223_13
; %bb.12:
	s_waitcnt lgkmcnt(0)
	v_add_f32_e32 v38, v38, v45
	v_lshl_or_b32 v42, v41, 6, v39
	ds_write2st64_b32 v42, v29, v38 offset1:1
.LBB1223_13:
	s_or_b64 exec, exec, s[4:5]
	s_load_dword s6, s[0:1], 0x94
	s_waitcnt lgkmcnt(0)
	s_barrier
	ds_read2_b32 v[42:43], v39 offset1:16
	ds_read2_b32 v[46:47], v39 offset0:32 offset1:48
	ds_read2_b32 v[48:49], v39 offset0:64 offset1:80
	s_movk_i32 s8, 0x7fff
	s_lshl_b32 s7, s33, 4
	s_waitcnt lgkmcnt(2)
	v_max3_f32 v29, v42, s46, v43
	s_waitcnt lgkmcnt(1)
	v_max3_f32 v38, v29, v46, v47
	v_sub_f32_e32 v29, v42, v38
	v_sub_f32_e32 v42, v43, v38
	v_mul_f32_e32 v42, 0x3fb8aa3b, v42
	v_mul_f32_e32 v29, 0x3fb8aa3b, v29
	v_exp_f32_e32 v45, v42
	v_sub_f32_e32 v42, v46, v38
	v_exp_f32_e32 v29, v29
	v_mul_f32_e32 v42, 0x3fb8aa3b, v42
	v_exp_f32_e32 v46, v42
	ds_read2_b32 v[42:43], v39 offset0:96 offset1:112
	v_sub_f32_e32 v39, v47, v38
	v_mul_f32_e32 v39, 0x3fb8aa3b, v39
	v_exp_f32_e32 v47, v39
	s_waitcnt lgkmcnt(1)
	v_fma_f32 v39, v29, v48, 0
	v_fmac_f32_e32 v39, v45, v49
	s_waitcnt lgkmcnt(0)
	v_fmac_f32_e32 v39, v46, v42
	v_fmac_f32_e32 v39, v47, v43
	v_add_f32_e32 v42, 0x358637bd, v39
	v_div_scale_f32 v43, s[4:5], v42, v42, 1.0
	v_rcp_f32_e32 v48, v43
	s_barrier
	v_fma_f32 v49, -v43, v48, 1.0
	v_fmac_f32_e32 v48, v49, v48
	v_div_scale_f32 v49, vcc, 1.0, v42, 1.0
	v_mul_f32_e32 v50, v49, v48
	v_fma_f32 v51, -v43, v50, v49
	v_fmac_f32_e32 v50, v51, v48
	v_fma_f32 v43, -v43, v50, v49
	v_div_fmas_f32 v43, v43, v48, v50
	v_cmp_eq_u32_e32 vcc, 1, v41
	v_div_fixup_f32 v42, v43, v42, 1.0
	s_nop 0
	v_cndmask_b32_e32 v29, v29, v45, vcc
	v_cmp_eq_u32_e32 vcc, 2, v41
	s_nop 1
	v_cndmask_b32_e32 v29, v29, v46, vcc
	v_cmp_eq_u32_e32 vcc, 3, v41
	s_nop 1
	v_cndmask_b32_e32 v29, v29, v47, vcc
	v_mul_f32_e32 v42, v29, v42
	v_pk_mul_f32 v[30:31], v[42:43], v[30:31] op_sel_hi:[0,1]
	v_pk_mul_f32 v[36:37], v[42:43], v[36:37] op_sel_hi:[0,1]
	v_bfe_u32 v29, v31, 16, 1
	v_bfe_u32 v43, v30, 16, 1
	v_add3_u32 v30, v30, v43, s8
	v_add3_u32 v29, v31, v29, s8
	v_perm_b32 v46, v29, v30, s44
	v_bfe_u32 v29, v37, 16, 1
	v_bfe_u32 v30, v36, 16, 1
	v_add3_u32 v30, v36, v30, s8
	v_add3_u32 v29, v37, v29, s8
	v_perm_b32 v47, v29, v30, s44
	v_lshlrev_b32_e32 v29, 3, v1
	v_lshlrev_b32_e32 v30, 11, v41
	v_pk_mul_f32 v[24:25], v[42:43], v[24:25] op_sel_hi:[0,1]
	v_or3_b32 v30, v30, v44, v29
	v_bfe_u32 v29, v25, 16, 1
	v_bfe_u32 v31, v24, 16, 1
	v_pk_mul_f32 v[34:35], v[42:43], v[34:35] op_sel_hi:[0,1]
	v_add3_u32 v24, v24, v31, s8
	v_add3_u32 v25, v25, v29, s8
	v_perm_b32 v24, v25, v24, s44
	v_bfe_u32 v25, v35, 16, 1
	v_bfe_u32 v29, v34, 16, 1
	v_add3_u32 v29, v34, v29, s8
	v_add3_u32 v25, v35, v25, s8
	v_perm_b32 v25, v25, v29, s44
	ds_write2st64_b64 v30, v[46:47], v[24:25] offset1:1
	v_pk_mul_f32 v[24:25], v[42:43], v[32:33] op_sel_hi:[0,1]
	v_bfe_u32 v29, v25, 16, 1
	v_bfe_u32 v31, v24, 16, 1
	v_pk_mul_f32 v[22:23], v[42:43], v[22:23] op_sel_hi:[0,1]
	v_add3_u32 v24, v24, v31, s8
	v_add3_u32 v25, v25, v29, s8
	v_perm_b32 v24, v25, v24, s44
	v_bfe_u32 v25, v23, 16, 1
	v_bfe_u32 v29, v22, 16, 1
	v_add3_u32 v22, v22, v29, s8
	v_add3_u32 v23, v23, v25, s8
	v_pk_mul_f32 v[20:21], v[42:43], v[20:21] op_sel_hi:[0,1]
	v_perm_b32 v25, v23, v22, s44
	v_bfe_u32 v22, v21, 16, 1
	v_bfe_u32 v23, v20, 16, 1
	v_pk_mul_f32 v[18:19], v[42:43], v[18:19] op_sel_hi:[0,1]
	v_add3_u32 v20, v20, v23, s8
	v_add3_u32 v21, v21, v22, s8
	v_perm_b32 v20, v21, v20, s44
	v_bfe_u32 v21, v19, 16, 1
	v_bfe_u32 v22, v18, 16, 1
	v_add3_u32 v18, v18, v22, s8
	v_add3_u32 v19, v19, v21, s8
	v_perm_b32 v21, v19, v18, s44
	v_cmp_gt_u32_e32 vcc, 16, v0
	ds_write2st64_b64 v30, v[24:25], v[20:21] offset0:2 offset1:3
	s_and_saveexec_b64 s[4:5], vcc
	s_cbranch_execz .LBB1223_15
; %bb.14:
	v_mov_b32_e32 v29, 0
	v_mov_b32_e32 v18, s7
	s_mul_i32 s3, s3, s7
	v_mad_u64_u32 v[18:19], s[10:11], s2, v18, v[28:29]
	v_mov_b32_e32 v28, s24
	s_load_dwordx4 s[12:15], s[0:1], 0x58
	v_add_u32_e32 v21, s3, v19
	v_mad_u64_u32 v[18:19], s[10:11], v18, s6, v[28:29]
	v_mov_b32_e32 v20, v19
	v_mad_u64_u32 v[20:21], s[10:11], v21, s6, v[20:21]
	v_mov_b32_e32 v19, v20
	v_lshlrev_b64 v[18:19], 2, v[18:19]
	s_waitcnt lgkmcnt(0)
	v_lshl_add_u64 v[20:21], s[14:15], 0, v[18:19]
	v_lshl_add_u64 v[18:19], s[12:13], 0, v[18:19]
	global_store_dword v[20:21], v38, off
	global_store_dword v[18:19], v39, off
.LBB1223_15:
	s_or_b64 exec, exec, s[4:5]
	s_waitcnt vmcnt(3)
	v_cvt_pk_f32_fp8_e32 v[18:19], v14
	v_cvt_pk_f32_fp8_sdwa v[20:21], v14 src0_sel:WORD_1
	s_mov_b32 s4, 0x7060302
	s_waitcnt lgkmcnt(0)
	s_barrier
	v_perm_b32 v28, v19, v18, s4
	v_perm_b32 v29, v21, v20, s4
	v_cvt_pk_f32_fp8_e32 v[22:23], v15
	ds_read_b128 v[18:21], v27
	v_cvt_pk_f32_fp8_sdwa v[14:15], v15 src0_sel:WORD_1
	s_load_dword s10, s[42:43], 0x0
	v_perm_b32 v36, v23, v22, s4
	ds_read_b128 v[22:25], v27 offset:16
	v_perm_b32 v37, v15, v14, s4
	s_waitcnt lgkmcnt(0)
	v_mfma_f32_16x16x16_bf16 v[32:35], v[28:29], v[18:19], 0
	v_cvt_pk_f32_fp8_e32 v[14:15], v16
	v_cvt_pk_f32_fp8_sdwa v[28:29], v16 src0_sel:WORD_1
	v_cmp_gt_u32_e32 vcc, 64, v0
	v_mfma_f32_16x16x16_bf16 v[18:21], v[36:37], v[20:21], v[32:35]
	v_perm_b32 v14, v15, v14, s4
	v_perm_b32 v15, v29, v28, s4
	s_mov_b32 s3, 0
	v_cvt_pk_f32_fp8_e32 v[32:33], v17
	v_cvt_pk_f32_fp8_sdwa v[16:17], v17 src0_sel:WORD_1
	s_waitcnt vmcnt(2)
	v_cvt_pk_f32_fp8_sdwa v[34:35], v10 src0_sel:WORD_1
	v_perm_b32 v28, v33, v32, s4
	v_cvt_pk_f32_fp8_e32 v[32:33], v10
	v_perm_b32 v29, v17, v16, s4
	v_mfma_f32_16x16x16_bf16 v[14:17], v[14:15], v[22:23], v[18:21]
	v_cvt_pk_f32_fp8_e32 v[22:23], v11
	v_perm_b32 v32, v33, v32, s4
	v_perm_b32 v33, v35, v34, s4
	ds_read_b128 v[18:21], v27 offset:2048
	v_cvt_pk_f32_fp8_sdwa v[10:11], v11 src0_sel:WORD_1
	v_mfma_f32_16x16x16_bf16 v[14:17], v[28:29], v[24:25], v[14:17]
	v_perm_b32 v28, v23, v22, s4
	ds_read_b128 v[22:25], v27 offset:2064
	v_perm_b32 v29, v11, v10, s4
	s_waitcnt lgkmcnt(1)
	v_mfma_f32_16x16x16_bf16 v[14:17], v[32:33], v[18:19], v[14:17]
	v_cvt_pk_f32_fp8_e32 v[10:11], v12
	v_cvt_pk_f32_fp8_sdwa v[18:19], v12 src0_sel:WORD_1
	v_perm_b32 v10, v11, v10, s4
	v_mfma_f32_16x16x16_bf16 v[14:17], v[28:29], v[20:21], v[14:17]
	v_cvt_pk_f32_fp8_e32 v[20:21], v13
	v_perm_b32 v11, v19, v18, s4
	v_cvt_pk_f32_fp8_sdwa v[12:13], v13 src0_sel:WORD_1
	s_waitcnt vmcnt(1)
	v_cvt_pk_f32_fp8_sdwa v[28:29], v6 src0_sel:WORD_1
	v_perm_b32 v18, v21, v20, s4
	v_cvt_pk_f32_fp8_e32 v[20:21], v6
	v_perm_b32 v19, v13, v12, s4
	s_waitcnt lgkmcnt(0)
	v_mfma_f32_16x16x16_bf16 v[10:13], v[10:11], v[22:23], v[14:17]
	v_perm_b32 v23, v29, v28, s4
	v_perm_b32 v22, v21, v20, s4
	v_cvt_pk_f32_fp8_e32 v[20:21], v7
	ds_read_b128 v[14:17], v27 offset:4096
	v_cvt_pk_f32_fp8_sdwa v[6:7], v7 src0_sel:WORD_1
	v_mfma_f32_16x16x16_bf16 v[10:13], v[18:19], v[24:25], v[10:13]
	v_perm_b32 v24, v21, v20, s4
	ds_read_b128 v[18:21], v27 offset:4112
	v_perm_b32 v25, v7, v6, s4
	s_waitcnt lgkmcnt(1)
	v_mfma_f32_16x16x16_bf16 v[10:13], v[22:23], v[14:15], v[10:13]
	v_cvt_pk_f32_fp8_e32 v[6:7], v8
	v_cvt_pk_f32_fp8_sdwa v[14:15], v8 src0_sel:WORD_1
	s_waitcnt vmcnt(0)
	v_cvt_pk_f32_fp8_sdwa v[22:23], v2 src0_sel:WORD_1
	v_mfma_f32_16x16x16_bf16 v[10:13], v[24:25], v[16:17], v[10:13]
	v_cvt_pk_f32_fp8_e32 v[16:17], v9
	v_perm_b32 v6, v7, v6, s4
	v_perm_b32 v7, v15, v14, s4
	v_cvt_pk_f32_fp8_sdwa v[8:9], v9 src0_sel:WORD_1
	v_perm_b32 v14, v17, v16, s4
	v_cvt_pk_f32_fp8_e32 v[16:17], v2
	v_perm_b32 v15, v9, v8, s4
	s_waitcnt lgkmcnt(0)
	v_mfma_f32_16x16x16_bf16 v[6:9], v[6:7], v[18:19], v[10:13]
	v_perm_b32 v18, v17, v16, s4
	v_perm_b32 v19, v23, v22, s4
	v_cvt_pk_f32_fp8_e32 v[16:17], v3
	ds_read_b128 v[10:13], v27 offset:6144
	v_cvt_pk_f32_fp8_sdwa v[2:3], v3 src0_sel:WORD_1
	v_mfma_f32_16x16x16_bf16 v[6:9], v[14:15], v[20:21], v[6:9]
	v_perm_b32 v20, v17, v16, s4
	ds_read_b128 v[14:17], v27 offset:6160
	v_perm_b32 v21, v3, v2, s4
	s_waitcnt lgkmcnt(1)
	v_mfma_f32_16x16x16_bf16 v[6:9], v[18:19], v[10:11], v[6:9]
	v_cvt_pk_f32_fp8_e32 v[2:3], v4
	v_cvt_pk_f32_fp8_sdwa v[10:11], v4 src0_sel:WORD_1
	v_mov_b32_e32 v27, 0
	v_mfma_f32_16x16x16_bf16 v[6:9], v[20:21], v[12:13], v[6:9]
	v_perm_b32 v2, v3, v2, s4
	v_perm_b32 v3, v11, v10, s4
	v_cvt_pk_f32_fp8_e32 v[10:11], v5
	v_cvt_pk_f32_fp8_sdwa v[4:5], v5 src0_sel:WORD_1
	s_waitcnt lgkmcnt(0)
	s_barrier
	v_perm_b32 v10, v11, v10, s4
	v_perm_b32 v11, v5, v4, s4
	v_mfma_f32_16x16x16_bf16 v[2:5], v[2:3], v[14:15], v[6:9]
	s_nop 0
	v_mfma_f32_16x16x16_bf16 v[2:5], v[10:11], v[16:17], v[2:5]
	s_nop 6
	v_pk_mul_f32 v[2:3], v[2:3], s[10:11] op_sel_hi:[1,0]
	v_pk_mul_f32 v[4:5], v[4:5], s[10:11] op_sel_hi:[1,0]
	v_bfe_u32 v6, v3, 16, 1
	v_bfe_u32 v7, v2, 16, 1
	v_add3_u32 v2, v2, v7, s8
	v_add3_u32 v3, v3, v6, s8
	v_perm_b32 v2, v3, v2, s4
	v_bfe_u32 v3, v5, 16, 1
	v_bfe_u32 v6, v4, 16, 1
	v_add3_u32 v4, v4, v6, s8
	v_add3_u32 v3, v5, v3, s8
	v_perm_b32 v3, v3, v4, s4
	s_and_b64 s[4:5], vcc, s[26:27]
	ds_write_b64 v30, v[2:3]
	s_waitcnt lgkmcnt(0)
	s_barrier
	s_and_saveexec_b64 s[8:9], s[4:5]
	s_cbranch_execz .LBB1223_17
; %bb.16:
	s_load_dwordx2 s[0:1], s[0:1], 0x68
	s_lshl_b32 s6, s6, 6
	s_mul_i32 s2, s7, s2
	s_mul_hi_u32 s5, s2, s6
	s_mul_i32 s4, s2, s6
	s_lshl_b64 s[4:5], s[4:5], 1
	s_waitcnt lgkmcnt(0)
	s_add_u32 s4, s0, s4
	s_addc_u32 s5, s1, s5
	s_lshl_b32 s2, s24, 6
	v_lshlrev_b32_e32 v0, 10, v0
	s_lshl_b64 s[0:1], s[2:3], 1
	v_and_b32_e32 v0, 0x1800, v0
	v_lshlrev_b32_e32 v2, 5, v1
	v_and_b32_e32 v3, 16, v40
	s_add_u32 s0, s4, s0
	v_or3_b32 v0, v0, v2, v3
	s_addc_u32 s1, s5, s1
	v_or_b32_e32 v20, s25, v1
	ds_read_b128 v[2:5], v0
	ds_read_b128 v[6:9], v0 offset:128
	ds_read_b128 v[10:13], v0 offset:256
	;; [unrolled: 1-line block ×3, first 2 shown]
	v_lshl_add_u64 v[18:19], s[0:1], 0, v[26:27]
	v_mad_u64_u32 v[0:1], s[0:1], v20, s6, 0
	v_lshl_add_u64 v[0:1], v[0:1], 1, v[18:19]
	s_waitcnt lgkmcnt(3)
	global_store_dwordx4 v[0:1], v[2:5], off
	v_or_b32_e32 v0, 4, v20
	v_mad_u64_u32 v[0:1], s[0:1], v0, s6, 0
	v_lshl_add_u64 v[0:1], v[0:1], 1, v[18:19]
	s_waitcnt lgkmcnt(2)
	global_store_dwordx4 v[0:1], v[6:9], off
	v_or_b32_e32 v0, 8, v20
	;; [unrolled: 5-line block ×3, first 2 shown]
	v_mad_u64_u32 v[0:1], s[0:1], v0, s6, 0
	v_lshl_add_u64 v[0:1], v[0:1], 1, v[18:19]
	s_waitcnt lgkmcnt(0)
	global_store_dwordx4 v[0:1], v[14:17], off
.LBB1223_17:
	s_endpgm
	.section	.rodata,"a",@progbits
	.p2align	6, 0x0
	.amdhsa_kernel _Z39paged_attention_ll4mi_QKV_mfma16_kernelI14__hip_bfloat16hLN4vllm18Fp8KVCacheDataTypeE1ES0_Li32ELi64ELi256ELb1ELi16EEvPKT_PKT0_S8_ifPKiSA_SA_iPKfiiiPfSD_PS3_PT2_iSC_SC_
		.amdhsa_group_segment_fixed_size 8192
		.amdhsa_private_segment_fixed_size 0
		.amdhsa_kernarg_size 400
		.amdhsa_user_sgpr_count 2
		.amdhsa_user_sgpr_dispatch_ptr 0
		.amdhsa_user_sgpr_queue_ptr 0
		.amdhsa_user_sgpr_kernarg_segment_ptr 1
		.amdhsa_user_sgpr_dispatch_id 0
		.amdhsa_user_sgpr_kernarg_preload_length 0
		.amdhsa_user_sgpr_kernarg_preload_offset 0
		.amdhsa_user_sgpr_private_segment_size 0
		.amdhsa_uses_dynamic_stack 0
		.amdhsa_enable_private_segment 0
		.amdhsa_system_sgpr_workgroup_id_x 1
		.amdhsa_system_sgpr_workgroup_id_y 1
		.amdhsa_system_sgpr_workgroup_id_z 1
		.amdhsa_system_sgpr_workgroup_info 0
		.amdhsa_system_vgpr_workitem_id 0
		.amdhsa_next_free_vgpr 58
		.amdhsa_next_free_sgpr 49
		.amdhsa_accum_offset 60
		.amdhsa_reserve_vcc 1
		.amdhsa_float_round_mode_32 0
		.amdhsa_float_round_mode_16_64 0
		.amdhsa_float_denorm_mode_32 3
		.amdhsa_float_denorm_mode_16_64 3
		.amdhsa_dx10_clamp 1
		.amdhsa_ieee_mode 1
		.amdhsa_fp16_overflow 0
		.amdhsa_tg_split 0
		.amdhsa_exception_fp_ieee_invalid_op 0
		.amdhsa_exception_fp_denorm_src 0
		.amdhsa_exception_fp_ieee_div_zero 0
		.amdhsa_exception_fp_ieee_overflow 0
		.amdhsa_exception_fp_ieee_underflow 0
		.amdhsa_exception_fp_ieee_inexact 0
		.amdhsa_exception_int_div_zero 0
	.end_amdhsa_kernel
	.section	.text._Z39paged_attention_ll4mi_QKV_mfma16_kernelI14__hip_bfloat16hLN4vllm18Fp8KVCacheDataTypeE1ES0_Li32ELi64ELi256ELb1ELi16EEvPKT_PKT0_S8_ifPKiSA_SA_iPKfiiiPfSD_PS3_PT2_iSC_SC_,"axG",@progbits,_Z39paged_attention_ll4mi_QKV_mfma16_kernelI14__hip_bfloat16hLN4vllm18Fp8KVCacheDataTypeE1ES0_Li32ELi64ELi256ELb1ELi16EEvPKT_PKT0_S8_ifPKiSA_SA_iPKfiiiPfSD_PS3_PT2_iSC_SC_,comdat
.Lfunc_end1223:
	.size	_Z39paged_attention_ll4mi_QKV_mfma16_kernelI14__hip_bfloat16hLN4vllm18Fp8KVCacheDataTypeE1ES0_Li32ELi64ELi256ELb1ELi16EEvPKT_PKT0_S8_ifPKiSA_SA_iPKfiiiPfSD_PS3_PT2_iSC_SC_, .Lfunc_end1223-_Z39paged_attention_ll4mi_QKV_mfma16_kernelI14__hip_bfloat16hLN4vllm18Fp8KVCacheDataTypeE1ES0_Li32ELi64ELi256ELb1ELi16EEvPKT_PKT0_S8_ifPKiSA_SA_iPKfiiiPfSD_PS3_PT2_iSC_SC_
                                        ; -- End function
	.section	.AMDGPU.csdata,"",@progbits
; Kernel info:
; codeLenInByte = 5196
; NumSgprs: 55
; NumVgprs: 58
; NumAgprs: 0
; TotalNumVgprs: 58
; ScratchSize: 0
; MemoryBound: 0
; FloatMode: 240
; IeeeMode: 1
; LDSByteSize: 8192 bytes/workgroup (compile time only)
; SGPRBlocks: 6
; VGPRBlocks: 7
; NumSGPRsForWavesPerEU: 55
; NumVGPRsForWavesPerEU: 58
; AccumOffset: 60
; Occupancy: 8
; WaveLimiterHint : 1
; COMPUTE_PGM_RSRC2:SCRATCH_EN: 0
; COMPUTE_PGM_RSRC2:USER_SGPR: 2
; COMPUTE_PGM_RSRC2:TRAP_HANDLER: 0
; COMPUTE_PGM_RSRC2:TGID_X_EN: 1
; COMPUTE_PGM_RSRC2:TGID_Y_EN: 1
; COMPUTE_PGM_RSRC2:TGID_Z_EN: 1
; COMPUTE_PGM_RSRC2:TIDIG_COMP_CNT: 0
; COMPUTE_PGM_RSRC3_GFX90A:ACCUM_OFFSET: 14
; COMPUTE_PGM_RSRC3_GFX90A:TG_SPLIT: 0
	.section	.text._Z39paged_attention_ll4mi_QKV_mfma16_kernelI14__hip_bfloat16hLN4vllm18Fp8KVCacheDataTypeE1ES0_Li32ELi64ELi256ELb1ELi1EEvPKT_PKT0_S8_ifPKiSA_SA_iPKfiiiPfSD_PS3_PT2_iSC_SC_,"axG",@progbits,_Z39paged_attention_ll4mi_QKV_mfma16_kernelI14__hip_bfloat16hLN4vllm18Fp8KVCacheDataTypeE1ES0_Li32ELi64ELi256ELb1ELi1EEvPKT_PKT0_S8_ifPKiSA_SA_iPKfiiiPfSD_PS3_PT2_iSC_SC_,comdat
	.protected	_Z39paged_attention_ll4mi_QKV_mfma16_kernelI14__hip_bfloat16hLN4vllm18Fp8KVCacheDataTypeE1ES0_Li32ELi64ELi256ELb1ELi1EEvPKT_PKT0_S8_ifPKiSA_SA_iPKfiiiPfSD_PS3_PT2_iSC_SC_ ; -- Begin function _Z39paged_attention_ll4mi_QKV_mfma16_kernelI14__hip_bfloat16hLN4vllm18Fp8KVCacheDataTypeE1ES0_Li32ELi64ELi256ELb1ELi1EEvPKT_PKT0_S8_ifPKiSA_SA_iPKfiiiPfSD_PS3_PT2_iSC_SC_
	.globl	_Z39paged_attention_ll4mi_QKV_mfma16_kernelI14__hip_bfloat16hLN4vllm18Fp8KVCacheDataTypeE1ES0_Li32ELi64ELi256ELb1ELi1EEvPKT_PKT0_S8_ifPKiSA_SA_iPKfiiiPfSD_PS3_PT2_iSC_SC_
	.p2align	8
	.type	_Z39paged_attention_ll4mi_QKV_mfma16_kernelI14__hip_bfloat16hLN4vllm18Fp8KVCacheDataTypeE1ES0_Li32ELi64ELi256ELb1ELi1EEvPKT_PKT0_S8_ifPKiSA_SA_iPKfiiiPfSD_PS3_PT2_iSC_SC_,@function
_Z39paged_attention_ll4mi_QKV_mfma16_kernelI14__hip_bfloat16hLN4vllm18Fp8KVCacheDataTypeE1ES0_Li32ELi64ELi256ELb1ELi1EEvPKT_PKT0_S8_ifPKiSA_SA_iPKfiiiPfSD_PS3_PT2_iSC_SC_: ; @_Z39paged_attention_ll4mi_QKV_mfma16_kernelI14__hip_bfloat16hLN4vllm18Fp8KVCacheDataTypeE1ES0_Li32ELi64ELi256ELb1ELi1EEvPKT_PKT0_S8_ifPKiSA_SA_iPKfiiiPfSD_PS3_PT2_iSC_SC_
; %bb.0:
	s_load_dwordx2 s[6:7], s[0:1], 0x30
	s_mov_b32 s30, s3
	s_mov_b64 s[8:9], 0
	s_waitcnt lgkmcnt(0)
	s_cmp_lg_u64 s[6:7], 0
	s_cselect_b64 s[10:11], -1, 0
	s_and_b64 vcc, exec, s[10:11]
	s_cbranch_vccz .LBB1224_7
; %bb.1:
	s_add_i32 s12, s2, 1
	s_mov_b32 s13, 0
	s_lshl_b64 s[14:15], s[12:13], 2
	s_add_u32 s14, s6, s14
	s_mov_b32 s3, s13
	s_addc_u32 s15, s7, s15
	s_lshl_b64 s[12:13], s[2:3], 2
	s_add_u32 s12, s6, s12
	s_addc_u32 s13, s7, s13
	s_load_dword s5, s[14:15], 0x0
	s_load_dword s16, s[12:13], 0x0
	s_waitcnt lgkmcnt(0)
	s_sub_i32 s5, s5, s16
	s_cmp_eq_u32 s5, 1
	s_cselect_b64 s[12:13], -1, 0
	s_andn2_b64 vcc, exec, s[8:9]
	s_cbranch_vccnz .LBB1224_3
.LBB1224_2:
	s_mov_b32 s3, 0
	s_mov_b64 s[12:13], -1
.LBB1224_3:
	s_andn2_b64 vcc, exec, s[12:13]
	s_cbranch_vccnz .LBB1224_19
; %bb.4:
	s_load_dwordx2 s[8:9], s[0:1], 0x28
	s_lshl_b64 s[12:13], s[2:3], 2
	s_waitcnt lgkmcnt(0)
	s_add_u32 s8, s8, s12
	s_addc_u32 s9, s9, s13
	s_load_dword s31, s[8:9], 0x0
	s_lshl_b32 s16, s30, 8
	s_waitcnt lgkmcnt(0)
	s_cmp_ge_i32 s16, s31
	s_cbranch_scc1 .LBB1224_19
; %bb.5:
	s_load_dwordx2 s[8:9], s[0:1], 0x20
	s_load_dword s5, s[0:1], 0x38
	s_add_i32 s14, s31, 31
	s_ashr_i32 s15, s14, 31
	v_and_b32_e32 v1, 0xcf, v0
	s_lshr_b32 s15, s15, 27
	v_add_u32_e32 v1, s16, v1
	s_add_i32 s14, s14, s15
	v_ashrrev_i32_e32 v2, 31, v1
	s_ashr_i32 s17, s14, 5
	v_lshrrev_b32_e32 v4, 27, v2
	s_add_i32 s17, s17, -1
	s_waitcnt lgkmcnt(0)
	s_mul_i32 s14, s2, s5
	s_mov_b32 s15, 0
	v_add_u32_e32 v2, v1, v4
	s_lshl_b64 s[14:15], s[14:15], 2
	v_ashrrev_i32_e32 v2, 5, v2
	v_mov_b32_e32 v5, s17
	v_cmp_gt_i32_e32 vcc, s31, v1
	s_add_u32 s8, s8, s14
	s_addc_u32 s9, s9, s15
	v_cndmask_b32_e32 v2, v5, v2, vcc
	v_ashrrev_i32_e32 v3, 31, v2
	v_lshl_add_u64 v[6:7], v[2:3], 2, s[8:9]
	v_or_b32_e32 v2, 16, v1
	v_add_u32_e32 v3, v2, v4
	v_ashrrev_i32_e32 v3, 5, v3
	v_cmp_gt_i32_e32 vcc, s31, v2
	s_load_dwordx2 s[14:15], s[0:1], 0x8
	s_nop 0
	v_cndmask_b32_e32 v2, v5, v3, vcc
	v_ashrrev_i32_e32 v3, 31, v2
	v_lshl_add_u64 v[8:9], v[2:3], 2, s[8:9]
	v_or_b32_e32 v2, 32, v1
	v_add_u32_e32 v3, v2, v4
	v_ashrrev_i32_e32 v3, 5, v3
	v_cmp_gt_i32_e32 vcc, s31, v2
	v_or_b32_e32 v1, 48, v1
	s_nop 0
	v_cndmask_b32_e32 v2, v5, v3, vcc
	v_ashrrev_i32_e32 v3, 31, v2
	v_lshl_add_u64 v[10:11], v[2:3], 2, s[8:9]
	v_add_u32_e32 v2, v1, v4
	v_ashrrev_i32_e32 v2, 5, v2
	v_cmp_gt_i32_e32 vcc, s31, v1
	s_nop 1
	v_cndmask_b32_e32 v2, v5, v2, vcc
	v_ashrrev_i32_e32 v3, 31, v2
	v_lshl_add_u64 v[12:13], v[2:3], 2, s[8:9]
	global_load_dword v5, v[6:7], off
	global_load_dword v4, v[8:9], off
	;; [unrolled: 1-line block ×4, first 2 shown]
	s_andn2_b64 vcc, exec, s[10:11]
	s_cbranch_vccnz .LBB1224_8
; %bb.6:
	s_add_u32 s6, s6, s12
	s_addc_u32 s7, s7, s13
	s_load_dword s5, s[6:7], 0x0
	s_branch .LBB1224_9
.LBB1224_7:
	s_mov_b64 s[12:13], 0
	s_branch .LBB1224_2
.LBB1224_8:
	s_mov_b32 s5, s2
.LBB1224_9:
	s_load_dwordx2 s[10:11], s[0:1], 0x10
	s_load_dwordx4 s[48:51], s[0:1], 0x48
	v_lshrrev_b32_e32 v40, 6, v0
	v_bfe_u32 v38, v0, 4, 2
	v_lshl_or_b32 v1, v40, 2, v38
	v_and_b32_e32 v42, 15, v0
	v_lshlrev_b32_e32 v6, 3, v42
	v_cmp_eq_u32_e32 vcc, 0, v1
	v_cmp_gt_u32_e64 s[6:7], 8, v42
	s_and_b64 s[18:19], s[6:7], vcc
	v_lshlrev_b32_e32 v1, 1, v6
	v_lshlrev_b32_e32 v39, 4, v0
	s_and_saveexec_b64 s[12:13], s[18:19]
	s_cbranch_execz .LBB1224_11
; %bb.10:
	s_load_dwordx2 s[18:19], s[0:1], 0x0
	s_waitcnt lgkmcnt(0)
	s_ashr_i32 s20, s48, 31
	s_mul_hi_u32 s21, s5, s48
	s_mul_i32 s20, s5, s20
	s_add_i32 s21, s21, s20
	s_mul_i32 s20, s5, s48
	s_lshl_b64 s[20:21], s[20:21], 1
	s_add_u32 s5, s18, s20
	s_addc_u32 s20, s19, s21
	s_lshl_b32 s18, s4, 6
	s_ashr_i32 s19, s18, 31
	s_lshl_b64 s[18:19], s[18:19], 1
	s_add_u32 s18, s5, s18
	s_addc_u32 s19, s20, s19
	global_load_dwordx4 v[6:9], v1, s[18:19]
	v_lshlrev_b32_e32 v10, 8, v42
	v_and_b32_e32 v11, 16, v39
	s_movk_i32 s5, 0xe00
	v_and_or_b32 v10, v10, s5, v11
	s_waitcnt vmcnt(0)
	ds_write_b128 v10, v[6:9]
.LBB1224_11:
	s_or_b64 exec, exec, s[12:13]
	s_waitcnt lgkmcnt(0)
	s_mul_i32 s18, s4, s50
	s_add_u32 s12, s14, s18
	s_addc_u32 s13, s15, 0
	v_mov_b32_e32 v27, 0
	v_mov_b64_e32 v[6:7], s[12:13]
	v_lshlrev_b32_e32 v10, 4, v42
	v_and_b32_e32 v28, 48, v0
	s_waitcnt vmcnt(3)
	v_mad_i64_i32 v[8:9], s[12:13], v5, s49, v[6:7]
	v_mov_b32_e32 v11, v27
	s_waitcnt vmcnt(2)
	v_mad_i64_i32 v[4:5], s[12:13], v4, s49, v[6:7]
	v_or_b32_e32 v12, 0x100, v10
	v_mov_b32_e32 v13, v27
	v_lshlrev_b32_e32 v26, 5, v28
	v_lshl_add_u64 v[8:9], v[8:9], 0, v[10:11]
	v_lshl_add_u64 v[4:5], v[4:5], 0, v[12:13]
	;; [unrolled: 1-line block ×4, first 2 shown]
	s_barrier
	global_load_dwordx4 v[22:25], v[8:9], off
	global_load_dwordx4 v[18:21], v[4:5], off
	s_waitcnt vmcnt(3)
	v_mad_i64_i32 v[4:5], s[12:13], v3, s49, v[6:7]
	v_lshl_add_u64 v[4:5], v[4:5], 0, v[10:11]
	s_waitcnt vmcnt(2)
	v_mad_i64_i32 v[2:3], s[12:13], v2, s49, v[6:7]
	v_lshl_add_u64 v[4:5], v[4:5], 0, v[26:27]
	v_lshl_add_u64 v[2:3], v[2:3], 0, v[12:13]
	;; [unrolled: 1-line block ×3, first 2 shown]
	global_load_dwordx4 v[14:17], v[4:5], off
	global_load_dwordx4 v[6:9], v[2:3], off
	v_lshlrev_b32_e32 v2, 9, v38
	ds_read_b128 v[10:13], v2
	ds_read_b128 v[2:5], v2 offset:16
	v_and_b32_e32 v43, 63, v0
	v_cmp_eq_u32_e32 vcc, 0, v42
	v_mov_b32_e32 v44, 0
	s_and_saveexec_b64 s[12:13], vcc
	s_cbranch_execz .LBB1224_13
; %bb.12:
	s_load_dwordx2 s[14:15], s[0:1], 0x40
	s_ashr_i32 s5, s4, 31
	s_lshl_b64 s[20:21], s[4:5], 2
	s_waitcnt lgkmcnt(0)
	s_add_u32 s14, s14, s20
	s_addc_u32 s15, s15, s21
	s_load_dword s5, s[14:15], 0x0
	s_waitcnt lgkmcnt(0)
	v_mov_b32_e32 v44, s5
.LBB1224_13:
	s_or_b64 exec, exec, s[12:13]
	s_ashr_i32 s5, s16, 31
	v_or_b32_e32 v45, s16, v28
	s_lshr_b32 s12, s5, 27
	v_add_u32_e32 v26, s12, v45
	v_ashrrev_i32_e32 v26, 5, v26
	v_mov_b32_e32 v65, s17
	v_cmp_gt_i32_e32 vcc, s31, v45
	s_waitcnt vmcnt(3)
	v_cvt_pk_f32_fp8_sdwa v[30:31], v22 src0_sel:WORD_1
	v_cvt_pk_f32_fp8_e32 v[32:33], v23
	v_cndmask_b32_e32 v28, v65, v26, vcc
	v_ashrrev_i32_e32 v29, 31, v28
	v_lshl_add_u64 v[28:29], v[28:29], 2, s[8:9]
	global_load_dword v72, v[28:29], off
	v_cvt_pk_f32_fp8_e32 v[28:29], v22
	v_cvt_pk_f32_fp8_sdwa v[22:23], v23 src0_sel:WORD_1
	s_waitcnt vmcnt(3)
	v_cvt_pk_f32_fp8_e32 v[48:49], v18
	v_cvt_pk_f32_fp8_sdwa v[50:51], v18 src0_sel:WORD_1
	v_or_b32_e32 v18, 64, v45
	v_cvt_pk_f32_fp8_e32 v[56:57], v20
	v_cvt_pk_f32_fp8_sdwa v[58:59], v20 src0_sel:WORD_1
	v_cvt_pk_f32_fp8_e32 v[60:61], v21
	v_cvt_pk_f32_fp8_sdwa v[62:63], v21 src0_sel:WORD_1
	v_or_b32_e32 v20, 0xc0, v45
	v_add_u32_e32 v21, s12, v18
	s_mov_b32 s5, 0x7060302
	v_cvt_pk_f32_fp8_e32 v[52:53], v19
	v_cvt_pk_f32_fp8_sdwa v[54:55], v19 src0_sel:WORD_1
	v_or_b32_e32 v19, 0x80, v45
	v_add_u32_e32 v64, s12, v20
	v_ashrrev_i32_e32 v21, 5, v21
	v_cmp_gt_i32_e32 vcc, s31, v18
	v_add_u32_e32 v45, s12, v19
	v_ashrrev_i32_e32 v67, 5, v64
	v_cndmask_b32_e32 v64, v65, v21, vcc
	v_cmp_gt_i32_e32 vcc, s31, v19
	v_perm_b32 v18, v29, v28, s5
	v_perm_b32 v19, v31, v30, s5
	v_cvt_pk_f32_fp8_sdwa v[36:37], v24 src0_sel:WORD_1
	v_perm_b32 v29, v23, v22, s5
	v_perm_b32 v22, v49, v48, s5
	v_perm_b32 v23, v51, v50, s5
	v_cvt_pk_f32_fp8_e32 v[34:35], v24
	v_cvt_pk_f32_fp8_e32 v[46:47], v25
	v_cvt_pk_f32_fp8_sdwa v[24:25], v25 src0_sel:WORD_1
	v_ashrrev_i32_e32 v45, 5, v45
	v_perm_b32 v28, v33, v32, s5
	v_cndmask_b32_e32 v66, v65, v45, vcc
	v_cmp_gt_i32_e32 vcc, s31, v20
	v_perm_b32 v33, v37, v36, s5
	s_waitcnt lgkmcnt(1)
	v_mfma_f32_16x16x16_bf16 v[18:21], v[18:19], v[10:11], 0
	v_perm_b32 v36, v53, v52, s5
	v_perm_b32 v37, v55, v54, s5
	v_perm_b32 v32, v35, v34, s5
	v_perm_b32 v35, v25, v24, s5
	v_mfma_f32_16x16x16_bf16 v[22:25], v[22:23], v[10:11], 0
	s_load_dword s13, s[0:1], 0x1c
	s_load_dwordx4 s[44:47], s[0:1], 0x80
	v_perm_b32 v34, v47, v46, s5
	v_perm_b32 v46, v57, v56, s5
	;; [unrolled: 1-line block ×3, first 2 shown]
	v_mfma_f32_16x16x16_bf16 v[28:31], v[28:29], v[12:13], v[18:21]
	s_add_u32 s10, s10, s18
	v_and_b32_e32 v26, 16, v0
	v_lshlrev_b32_e32 v41, 5, v42
	v_mfma_f32_16x16x16_bf16 v[20:23], v[36:37], v[12:13], v[22:25]
	s_addc_u32 s11, s11, 0
	v_cndmask_b32_e32 v68, v65, v67, vcc
	v_lshl_add_u64 v[70:71], s[10:11], 0, v[26:27]
	v_lshl_or_b32 v26, v40, 9, v41
	v_ashrrev_i32_e32 v65, 31, v64
	v_ashrrev_i32_e32 v67, 31, v66
	;; [unrolled: 1-line block ×3, first 2 shown]
	v_lshl_add_u64 v[18:19], v[70:71], 0, v[26:27]
	s_waitcnt lgkmcnt(0)
	v_mfma_f32_16x16x16_bf16 v[24:27], v[32:33], v[2:3], v[28:31]
	v_lshl_add_u64 v[32:33], v[68:69], 2, s[8:9]
	s_load_dword s10, s[44:45], 0x0
	v_perm_b32 v48, v61, v60, s5
	v_lshl_add_u64 v[28:29], v[64:65], 2, s[8:9]
	v_lshl_add_u64 v[30:31], v[66:67], 2, s[8:9]
	v_mfma_f32_16x16x16_bf16 v[20:23], v[46:47], v[2:3], v[20:23]
	global_load_dword v47, v[28:29], off
	global_load_dword v45, v[30:31], off
	;; [unrolled: 1-line block ×3, first 2 shown]
	s_waitcnt vmcnt(5)
	v_cvt_pk_f32_fp8_e32 v[30:31], v14
	v_cvt_pk_f32_fp8_sdwa v[32:33], v14 src0_sel:WORD_1
	v_perm_b32 v49, v63, v62, s5
	v_mfma_f32_16x16x16_bf16 v[26:29], v[34:35], v[4:5], v[24:27]
	v_cvt_pk_f32_fp8_e32 v[34:35], v15
	v_perm_b32 v30, v31, v30, s5
	v_perm_b32 v31, v33, v32, s5
	v_cvt_pk_f32_fp8_sdwa v[14:15], v15 src0_sel:WORD_1
	v_mov_b32_e32 v36, s13
	s_waitcnt lgkmcnt(0)
	v_mul_f32_e32 v50, s10, v36
	v_mfma_f32_16x16x16_bf16 v[20:23], v[48:49], v[4:5], v[20:23]
	v_perm_b32 v34, v35, v34, s5
	v_cvt_pk_f32_fp8_e32 v[36:37], v16
	v_cvt_pk_f32_fp8_sdwa v[48:49], v16 src0_sel:WORD_1
	v_perm_b32 v35, v15, v14, s5
	v_mfma_f32_16x16x16_bf16 v[30:33], v[30:31], v[10:11], 0
	v_perm_b32 v36, v37, v36, s5
	v_perm_b32 v37, v49, v48, s5
	v_cvt_pk_f32_fp8_e32 v[48:49], v17
	v_cvt_pk_f32_fp8_sdwa v[52:53], v17 src0_sel:WORD_1
	v_mfma_f32_16x16x16_bf16 v[14:17], v[34:35], v[12:13], v[30:33]
	v_pk_mul_f32 v[34:35], v[50:51], v[26:27] op_sel_hi:[0,1]
	s_waitcnt vmcnt(4)
	v_cvt_pk_f32_fp8_e32 v[26:27], v6
	v_pk_mul_f32 v[28:29], v[50:51], v[28:29] op_sel_hi:[0,1]
	v_perm_b32 v30, v49, v48, s5
	v_perm_b32 v31, v53, v52, s5
	v_mfma_f32_16x16x16_bf16 v[14:17], v[36:37], v[2:3], v[14:17]
	v_cvt_pk_f32_fp8_sdwa v[32:33], v6 src0_sel:WORD_1
	v_perm_b32 v26, v27, v26, s5
	v_cvt_pk_f32_fp8_e32 v[48:49], v8
	v_mfma_f32_16x16x16_bf16 v[14:17], v[30:31], v[4:5], v[14:17]
	v_cvt_pk_f32_fp8_e32 v[30:31], v7
	v_perm_b32 v27, v33, v32, s5
	v_cvt_pk_f32_fp8_sdwa v[6:7], v7 src0_sel:WORD_1
	v_cvt_pk_f32_fp8_sdwa v[52:53], v8 src0_sel:WORD_1
	v_perm_b32 v36, v31, v30, s5
	v_mfma_f32_16x16x16_bf16 v[30:33], v[26:27], v[10:11], 0
	v_perm_b32 v37, v7, v6, s5
	v_perm_b32 v10, v49, v48, s5
	;; [unrolled: 1-line block ×3, first 2 shown]
	v_cvt_pk_f32_fp8_e32 v[26:27], v9
	v_cvt_pk_f32_fp8_sdwa v[48:49], v9 src0_sel:WORD_1
	v_mfma_f32_16x16x16_bf16 v[6:9], v[36:37], v[12:13], v[30:33]
	v_pk_mul_f32 v[36:37], v[50:51], v[20:21] op_sel_hi:[0,1]
	v_perm_b32 v12, v27, v26, s5
	v_perm_b32 v13, v49, v48, s5
	v_mfma_f32_16x16x16_bf16 v[6:9], v[10:11], v[2:3], v[6:9]
	v_pk_mul_f32 v[32:33], v[50:51], v[22:23] op_sel_hi:[0,1]
	v_pk_mul_f32 v[26:27], v[50:51], v[16:17] op_sel_hi:[0,1]
	;; [unrolled: 1-line block ×3, first 2 shown]
	v_mfma_f32_16x16x16_bf16 v[2:5], v[12:13], v[4:5], v[6:9]
	s_mov_b32 s33, 0xff7fffff
	s_waitcnt vmcnt(3)
	v_mad_i64_i32 v[24:25], s[8:9], v72, s49, v[18:19]
	s_nop 3
	v_pk_mul_f32 v[22:23], v[50:51], v[2:3] op_sel_hi:[0,1]
	v_and_b32_e32 v2, 0xc0, v0
	v_add_u32_e32 v2, s16, v2
	v_lshl_or_b32 v2, v38, 2, v2
	v_or_b32_e32 v3, 1, v2
	v_pk_mul_f32 v[20:21], v[50:51], v[4:5] op_sel_hi:[0,1]
	v_subrev_u32_e32 v4, s31, v3
	v_add_u32_e32 v6, 1, v4
	v_add_u32_e32 v7, 2, v4
	v_add_u32_e32 v8, 3, v4
	v_cvt_f32_i32_e32 v6, v6
	v_cvt_f32_i32_e32 v7, v7
	v_cvt_f32_i32_e32 v8, v8
	v_add_u32_e32 v9, 19, v4
	v_fmac_f32_e32 v35, v44, v6
	v_fma_f32 v28, v44, v7, v28
	v_fmac_f32_e32 v29, v44, v8
	v_add_u32_e32 v6, 16, v4
	v_add_u32_e32 v7, 17, v4
	;; [unrolled: 1-line block ×3, first 2 shown]
	v_cvt_f32_i32_e32 v6, v6
	v_cvt_f32_i32_e32 v7, v7
	;; [unrolled: 1-line block ×4, first 2 shown]
	v_fma_f32 v36, v44, v6, v36
	v_fmac_f32_e32 v37, v44, v7
	v_fma_f32 v32, v44, v8, v32
	v_add_u32_e32 v6, 32, v4
	v_add_u32_e32 v7, 33, v4
	;; [unrolled: 1-line block ×3, first 2 shown]
	v_cvt_f32_i32_e32 v6, v6
	v_cvt_f32_i32_e32 v7, v7
	;; [unrolled: 1-line block ×4, first 2 shown]
	v_fmac_f32_e32 v33, v44, v9
	v_add_u32_e32 v9, 35, v4
	v_fma_f32 v48, v44, v6, v30
	v_fmac_f32_e32 v31, v44, v7
	v_fma_f32 v26, v44, v8, v26
	v_add_u32_e32 v6, 48, v4
	v_add_u32_e32 v7, 49, v4
	;; [unrolled: 1-line block ×4, first 2 shown]
	v_cvt_f32_i32_e32 v4, v4
	v_cvt_f32_i32_e32 v6, v6
	;; [unrolled: 1-line block ×3, first 2 shown]
	v_fma_f32 v5, v44, v5, v34
	v_fmac_f32_e32 v21, v44, v4
	v_mov_b32_e32 v4, 0xff7fffff
	v_cmp_gt_i32_e64 s[34:35], s31, v2
	v_cmp_gt_i32_e64 s[36:37], s31, v3
	v_fma_f32 v22, v44, v6, v22
	v_cndmask_b32_e64 v6, v4, v5, s[34:35]
	v_cndmask_b32_e64 v3, v4, v35, s[36:37]
	v_fmac_f32_e32 v23, v44, v7
	v_max3_f32 v3, v6, s33, v3
	v_or_b32_e32 v6, 2, v2
	v_or_b32_e32 v7, 3, v2
	v_cmp_gt_i32_e64 s[38:39], s31, v6
	v_cmp_gt_i32_e64 s[40:41], s31, v7
	v_cvt_f32_i32_e32 v9, v9
	v_cndmask_b32_e64 v6, v4, v28, s[38:39]
	v_cndmask_b32_e64 v7, v4, v29, s[40:41]
	v_max3_f32 v3, v3, v6, v7
	v_or_b32_e32 v6, 16, v2
	v_or_b32_e32 v7, 17, v2
	v_cmp_gt_i32_e64 s[26:27], s31, v6
	v_cmp_gt_i32_e64 s[28:29], s31, v7
	v_fmac_f32_e32 v27, v44, v9
	v_cndmask_b32_e64 v6, v4, v36, s[26:27]
	v_cndmask_b32_e64 v7, v4, v37, s[28:29]
	v_max3_f32 v3, v3, v6, v7
	v_or_b32_e32 v6, 18, v2
	v_or_b32_e32 v7, 19, v2
	v_cmp_gt_i32_e64 s[22:23], s31, v6
	v_cmp_gt_i32_e64 s[24:25], s31, v7
	v_cvt_f32_i32_e32 v8, v8
	v_cndmask_b32_e64 v6, v4, v32, s[22:23]
	v_cndmask_b32_e64 v7, v4, v33, s[24:25]
	v_max3_f32 v3, v3, v6, v7
	v_or_b32_e32 v6, 32, v2
	v_or_b32_e32 v7, 33, v2
	v_cmp_gt_i32_e64 s[18:19], s31, v6
	v_cmp_gt_i32_e64 s[20:21], s31, v7
	v_fma_f32 v20, v44, v8, v20
	v_cndmask_b32_e64 v6, v4, v48, s[18:19]
	v_cndmask_b32_e64 v7, v4, v31, s[20:21]
	v_max3_f32 v3, v3, v6, v7
	v_or_b32_e32 v6, 34, v2
	v_or_b32_e32 v7, 35, v2
	v_cmp_gt_i32_e64 s[14:15], s31, v6
	v_cmp_gt_i32_e64 s[16:17], s31, v7
	s_nop 0
	v_cndmask_b32_e64 v6, v4, v26, s[14:15]
	v_cndmask_b32_e64 v7, v4, v27, s[16:17]
	v_max3_f32 v3, v3, v6, v7
	v_or_b32_e32 v6, 48, v2
	v_or_b32_e32 v7, 49, v2
	v_cmp_gt_i32_e64 s[10:11], s31, v6
	v_cmp_gt_i32_e64 s[12:13], s31, v7
	s_nop 0
	v_cndmask_b32_e64 v6, v4, v22, s[10:11]
	v_cndmask_b32_e64 v7, v4, v23, s[12:13]
	v_max3_f32 v3, v3, v6, v7
	v_or_b32_e32 v6, 50, v2
	v_or_b32_e32 v2, 51, v2
	v_cmp_gt_i32_e32 vcc, s31, v6
	v_cmp_gt_i32_e64 s[8:9], s31, v2
	s_nop 0
	v_cndmask_b32_e32 v6, v4, v20, vcc
	v_cndmask_b32_e64 v2, v4, v21, s[8:9]
	v_max3_f32 v4, v3, v6, v2
	v_mbcnt_lo_u32_b32 v2, -1, 0
	v_mbcnt_hi_u32_b32 v6, -1, v2
	v_and_b32_e32 v2, 64, v6
	v_add_u32_e32 v7, 64, v2
	v_xor_b32_e32 v2, 32, v6
	v_cmp_lt_i32_e64 s[42:43], v2, v7
	s_nop 1
	v_cndmask_b32_e64 v2, v6, v2, s[42:43]
	v_lshlrev_b32_e32 v44, 2, v2
	ds_bpermute_b32 v8, v44, v4
	s_waitcnt vmcnt(2)
	v_mad_i64_i32 v[2:3], s[42:43], v47, s49, v[18:19]
	global_load_dwordx4 v[14:17], v[24:25], off
	global_load_dwordx4 v[10:13], v[2:3], off
	v_xor_b32_e32 v3, 16, v6
	v_cmp_lt_i32_e64 s[42:43], v3, v7
	s_waitcnt lgkmcnt(0)
	v_max_f32_e32 v2, v8, v8
	v_max_f32_e32 v2, v4, v2
	v_cndmask_b32_e64 v3, v6, v3, s[42:43]
	v_lshlrev_b32_e32 v47, 2, v3
	ds_bpermute_b32 v3, v47, v2
	s_waitcnt vmcnt(3)
	v_mad_i64_i32 v[24:25], s[42:43], v45, s49, v[18:19]
	s_waitcnt vmcnt(2)
	v_mad_i64_i32 v[18:19], s[42:43], v46, s49, v[18:19]
	s_waitcnt lgkmcnt(0)
	v_max_f32_e32 v3, v3, v3
	v_max_f32_e32 v30, v2, v3
	v_sub_f32_e32 v2, v5, v30
	v_mul_f32_e32 v2, 0x3fb8aa3b, v2
	v_exp_f32_e32 v34, v2
	v_sub_f32_e32 v2, v35, v30
	v_mul_f32_e32 v2, 0x3fb8aa3b, v2
	v_exp_f32_e32 v35, v2
	global_load_dwordx4 v[6:9], v[24:25], off
	global_load_dwordx4 v[2:5], v[18:19], off
	v_sub_f32_e32 v25, v28, v30
	v_sub_f32_e32 v28, v29, v30
	v_mul_f32_e32 v25, 0x3fb8aa3b, v25
	v_mul_f32_e32 v28, 0x3fb8aa3b, v28
	v_exp_f32_e32 v25, v25
	v_exp_f32_e32 v28, v28
	v_cndmask_b32_e64 v18, 0, v34, s[34:35]
	v_cndmask_b32_e64 v19, 0, v35, s[36:37]
	;; [unrolled: 1-line block ×4, first 2 shown]
	v_sub_f32_e32 v25, v36, v30
	v_sub_f32_e32 v28, v37, v30
	v_mul_f32_e32 v25, 0x3fb8aa3b, v25
	v_mul_f32_e32 v28, 0x3fb8aa3b, v28
	v_exp_f32_e32 v25, v25
	v_exp_f32_e32 v28, v28
	v_add_f32_e32 v24, 0, v18
	v_add_f32_e32 v24, v24, v19
	;; [unrolled: 1-line block ×4, first 2 shown]
	v_cndmask_b32_e64 v24, 0, v25, s[26:27]
	v_cndmask_b32_e64 v25, 0, v28, s[28:29]
	v_sub_f32_e32 v28, v32, v30
	v_mul_f32_e32 v28, 0x3fb8aa3b, v28
	v_exp_f32_e32 v28, v28
	v_sub_f32_e32 v32, v33, v30
	v_add_f32_e32 v29, v29, v24
	v_mul_f32_e32 v32, 0x3fb8aa3b, v32
	v_exp_f32_e32 v33, v32
	v_add_f32_e32 v29, v29, v25
	v_cndmask_b32_e64 v32, 0, v28, s[22:23]
	v_add_f32_e32 v28, v29, v32
	v_sub_f32_e32 v29, v48, v30
	v_mul_f32_e32 v29, 0x3fb8aa3b, v29
	v_sub_f32_e32 v31, v31, v30
	v_exp_f32_e32 v29, v29
	v_mul_f32_e32 v31, 0x3fb8aa3b, v31
	v_sub_f32_e32 v26, v26, v30
	v_exp_f32_e32 v31, v31
	;; [unrolled: 3-line block ×3, first 2 shown]
	v_mul_f32_e32 v27, 0x3fb8aa3b, v27
	v_sub_f32_e32 v22, v22, v30
	v_cndmask_b32_e64 v33, 0, v33, s[24:25]
	v_exp_f32_e32 v27, v27
	v_mul_f32_e32 v22, 0x3fb8aa3b, v22
	v_sub_f32_e32 v23, v23, v30
	v_add_f32_e32 v36, v28, v33
	v_cndmask_b32_e64 v28, 0, v29, s[18:19]
	v_exp_f32_e32 v22, v22
	v_mul_f32_e32 v23, 0x3fb8aa3b, v23
	v_sub_f32_e32 v20, v20, v30
	v_add_f32_e32 v36, v36, v28
	;; [unrolled: 5-line block ×3, first 2 shown]
	v_cndmask_b32_e64 v26, 0, v26, s[14:15]
	v_exp_f32_e32 v20, v20
	v_mul_f32_e32 v21, 0x3fb8aa3b, v21
	v_add_f32_e32 v31, v31, v26
	v_cndmask_b32_e64 v27, 0, v27, s[16:17]
	v_exp_f32_e32 v21, v21
	v_add_f32_e32 v31, v31, v27
	v_cndmask_b32_e64 v22, 0, v22, s[10:11]
	v_add_f32_e32 v31, v31, v22
	v_cndmask_b32_e64 v23, 0, v23, s[12:13]
	v_add_f32_e32 v31, v31, v23
	v_cndmask_b32_e32 v20, 0, v20, vcc
	v_add_f32_e32 v31, v31, v20
	v_cndmask_b32_e64 v21, 0, v21, s[8:9]
	v_add_f32_e32 v31, v31, v21
	ds_bpermute_b32 v36, v44, v31
	v_cmp_gt_u32_e64 s[8:9], 16, v43
	s_waitcnt lgkmcnt(0)
	s_barrier
	v_add_f32_e32 v36, v31, v36
	ds_bpermute_b32 v37, v47, v36
	v_lshlrev_b32_e32 v31, 2, v42
	s_and_saveexec_b64 s[10:11], s[8:9]
	s_cbranch_execz .LBB1224_15
; %bb.14:
	s_waitcnt lgkmcnt(0)
	v_add_f32_e32 v36, v36, v37
	v_lshl_or_b32 v37, v40, 6, v31
	ds_write2st64_b32 v37, v30, v36 offset1:1
.LBB1224_15:
	s_or_b64 exec, exec, s[10:11]
	s_load_dwordx2 s[10:11], s[0:1], 0x94
	s_waitcnt lgkmcnt(0)
	s_barrier
	ds_read2_b32 v[36:37], v31 offset1:16
	ds_read2_b32 v[42:43], v31 offset0:32 offset1:48
	ds_read2_b32 v[44:45], v31 offset0:64 offset1:80
	s_movk_i32 s14, 0x7fff
	s_waitcnt lgkmcnt(2)
	v_max3_f32 v30, v36, s33, v37
	s_waitcnt lgkmcnt(1)
	v_max3_f32 v30, v30, v42, v43
	v_sub_f32_e32 v36, v36, v30
	v_mul_f32_e32 v36, 0x3fb8aa3b, v36
	v_exp_f32_e32 v46, v36
	v_sub_f32_e32 v36, v37, v30
	v_mul_f32_e32 v36, 0x3fb8aa3b, v36
	v_exp_f32_e32 v47, v36
	;; [unrolled: 3-line block ×3, first 2 shown]
	ds_read2_b32 v[36:37], v31 offset0:96 offset1:112
	v_sub_f32_e32 v31, v43, v30
	v_mul_f32_e32 v31, 0x3fb8aa3b, v31
	v_exp_f32_e32 v43, v31
	s_waitcnt lgkmcnt(1)
	v_fma_f32 v31, v46, v44, 0
	v_fmac_f32_e32 v31, v47, v45
	s_waitcnt lgkmcnt(0)
	v_fmac_f32_e32 v31, v42, v36
	v_fmac_f32_e32 v31, v43, v37
	v_add_f32_e32 v37, 0x358637bd, v31
	v_div_scale_f32 v44, s[12:13], v37, v37, 1.0
	v_rcp_f32_e32 v45, v44
	s_barrier
	v_fma_f32 v48, -v44, v45, 1.0
	v_fmac_f32_e32 v45, v48, v45
	v_div_scale_f32 v48, vcc, 1.0, v37, 1.0
	v_mul_f32_e32 v49, v48, v45
	v_fma_f32 v50, -v44, v49, v48
	v_fmac_f32_e32 v49, v50, v45
	v_fma_f32 v44, -v44, v49, v48
	v_div_fmas_f32 v44, v44, v45, v49
	v_cmp_eq_u32_e32 vcc, 1, v40
	v_div_fixup_f32 v37, v44, v37, 1.0
	v_mov_b32_e32 v36, 0
	v_cndmask_b32_e32 v44, v46, v47, vcc
	v_cmp_eq_u32_e32 vcc, 2, v40
	s_nop 1
	v_cndmask_b32_e32 v42, v44, v42, vcc
	v_cmp_eq_u32_e32 vcc, 3, v40
	s_nop 1
	v_cndmask_b32_e32 v42, v42, v43, vcc
	v_mul_f32_e32 v42, v42, v37
	v_pk_mul_f32 v[18:19], v[42:43], v[18:19] op_sel_hi:[0,1]
	v_pk_mul_f32 v[34:35], v[42:43], v[34:35] op_sel_hi:[0,1]
	v_bfe_u32 v37, v19, 16, 1
	v_bfe_u32 v43, v18, 16, 1
	v_add3_u32 v18, v18, v43, s14
	v_add3_u32 v19, v19, v37, s14
	v_perm_b32 v44, v19, v18, s5
	v_bfe_u32 v18, v35, 16, 1
	v_bfe_u32 v19, v34, 16, 1
	v_add3_u32 v19, v34, v19, s14
	v_add3_u32 v18, v35, v18, s14
	v_perm_b32 v45, v18, v19, s5
	v_lshlrev_b32_e32 v18, 3, v38
	v_lshlrev_b32_e32 v19, 11, v40
	v_pk_mul_f32 v[24:25], v[42:43], v[24:25] op_sel_hi:[0,1]
	v_or3_b32 v18, v19, v41, v18
	v_bfe_u32 v19, v25, 16, 1
	v_bfe_u32 v34, v24, 16, 1
	v_pk_mul_f32 v[32:33], v[42:43], v[32:33] op_sel_hi:[0,1]
	v_add3_u32 v24, v24, v34, s14
	v_add3_u32 v19, v25, v19, s14
	v_perm_b32 v24, v19, v24, s5
	v_bfe_u32 v19, v33, 16, 1
	v_bfe_u32 v25, v32, 16, 1
	v_add3_u32 v25, v32, v25, s14
	v_add3_u32 v19, v33, v19, s14
	v_perm_b32 v25, v19, v25, s5
	ds_write2st64_b64 v18, v[44:45], v[24:25] offset1:1
	v_pk_mul_f32 v[24:25], v[42:43], v[26:27] op_sel_hi:[0,1]
	v_pk_mul_f32 v[26:27], v[42:43], v[28:29] op_sel_hi:[0,1]
	v_bfe_u32 v19, v27, 16, 1
	v_bfe_u32 v28, v26, 16, 1
	v_add3_u32 v26, v26, v28, s14
	v_add3_u32 v19, v27, v19, s14
	v_perm_b32 v26, v19, v26, s5
	v_bfe_u32 v19, v25, 16, 1
	v_bfe_u32 v27, v24, 16, 1
	v_add3_u32 v24, v24, v27, s14
	v_add3_u32 v19, v25, v19, s14
	v_pk_mul_f32 v[22:23], v[42:43], v[22:23] op_sel_hi:[0,1]
	v_perm_b32 v27, v19, v24, s5
	v_bfe_u32 v19, v23, 16, 1
	v_bfe_u32 v24, v22, 16, 1
	v_pk_mul_f32 v[20:21], v[42:43], v[20:21] op_sel_hi:[0,1]
	v_add3_u32 v22, v22, v24, s14
	v_add3_u32 v19, v23, v19, s14
	v_perm_b32 v22, v19, v22, s5
	v_bfe_u32 v19, v21, 16, 1
	v_bfe_u32 v23, v20, 16, 1
	v_add3_u32 v20, v20, v23, s14
	v_add3_u32 v19, v21, v19, s14
	v_perm_b32 v23, v19, v20, s5
	v_cmp_eq_u32_e32 vcc, 0, v0
	ds_write2st64_b64 v18, v[26:27], v[22:23] offset0:2 offset1:3
	s_and_saveexec_b64 s[12:13], vcc
	s_cbranch_execz .LBB1224_17
; %bb.16:
	s_mul_i32 s3, s3, s11
	s_mul_hi_u32 s5, s2, s11
	s_add_i32 s5, s5, s3
	s_mul_i32 s3, s2, s11
	s_add_u32 s3, s3, s4
	s_addc_u32 s5, s5, 0
	s_load_dwordx4 s[16:19], s[0:1], 0x58
	s_mul_i32 s5, s5, s10
	s_mul_hi_u32 s15, s3, s10
	s_add_i32 s15, s15, s5
	s_mul_i32 s3, s3, s10
	s_add_u32 s20, s3, s30
	s_addc_u32 s21, s15, 0
	s_lshl_b64 s[20:21], s[20:21], 2
	s_waitcnt lgkmcnt(0)
	s_add_u32 s18, s18, s20
	s_addc_u32 s19, s19, s21
	s_add_u32 s16, s16, s20
	s_addc_u32 s17, s17, s21
	global_store_dword v36, v30, s[18:19]
	global_store_dword v36, v31, s[16:17]
.LBB1224_17:
	s_or_b64 exec, exec, s[12:13]
	s_waitcnt vmcnt(3)
	v_cvt_pk_f32_fp8_e32 v[20:21], v14
	v_cvt_pk_f32_fp8_sdwa v[22:23], v14 src0_sel:WORD_1
	s_mov_b32 s5, 0x7060302
	v_lshl_or_b32 v14, v38, 9, v41
	s_waitcnt lgkmcnt(0)
	s_barrier
	v_cvt_pk_f32_fp8_e32 v[24:25], v15
	v_perm_b32 v28, v21, v20, s5
	v_perm_b32 v29, v23, v22, s5
	v_cvt_pk_f32_fp8_sdwa v[26:27], v15 src0_sel:WORD_1
	ds_read_b128 v[20:23], v14
	v_perm_b32 v32, v25, v24, s5
	v_cvt_pk_f32_fp8_e32 v[34:35], v16
	v_perm_b32 v33, v27, v26, s5
	ds_read_b128 v[24:27], v14 offset:16
	v_cvt_pk_f32_fp8_sdwa v[36:37], v16 src0_sel:WORD_1
	s_waitcnt lgkmcnt(1)
	v_mfma_f32_16x16x16_bf16 v[28:31], v[28:29], v[20:21], 0
	v_perm_b32 v34, v35, v34, s5
	s_load_dword s12, s[46:47], 0x0
	v_perm_b32 v35, v37, v36, s5
	v_cvt_pk_f32_fp8_e32 v[36:37], v17
	v_cvt_pk_f32_fp8_sdwa v[16:17], v17 src0_sel:WORD_1
	v_mfma_f32_16x16x16_bf16 v[20:23], v[32:33], v[22:23], v[28:31]
	v_cmp_gt_u32_e32 vcc, 64, v0
	s_and_b64 s[6:7], s[6:7], vcc
	s_mov_b32 s3, 0
	v_perm_b32 v28, v37, v36, s5
	v_perm_b32 v29, v17, v16, s5
	s_waitcnt lgkmcnt(0)
	v_mfma_f32_16x16x16_bf16 v[20:23], v[34:35], v[24:25], v[20:23]
	s_waitcnt vmcnt(2)
	v_cvt_pk_f32_fp8_e32 v[16:17], v10
	v_cvt_pk_f32_fp8_sdwa v[24:25], v10 src0_sel:WORD_1
	v_cvt_pk_f32_fp8_sdwa v[34:35], v12 src0_sel:WORD_1
	v_mfma_f32_16x16x16_bf16 v[20:23], v[28:29], v[26:27], v[20:23]
	v_cvt_pk_f32_fp8_e32 v[26:27], v11
	v_perm_b32 v10, v17, v16, s5
	v_cvt_pk_f32_fp8_sdwa v[16:17], v11 src0_sel:WORD_1
	v_perm_b32 v11, v25, v24, s5
	v_perm_b32 v32, v27, v26, s5
	ds_read_b128 v[24:27], v14 offset:2048
	ds_read_b128 v[28:31], v14 offset:2064
	v_perm_b32 v33, v17, v16, s5
	v_cvt_pk_f32_fp8_e32 v[16:17], v12
	s_waitcnt lgkmcnt(1)
	v_mfma_f32_16x16x16_bf16 v[20:23], v[10:11], v[24:25], v[20:23]
	v_perm_b32 v11, v35, v34, s5
	v_perm_b32 v10, v17, v16, s5
	v_cvt_pk_f32_fp8_e32 v[16:17], v13
	v_cvt_pk_f32_fp8_sdwa v[24:25], v13 src0_sel:WORD_1
	v_mfma_f32_16x16x16_bf16 v[20:23], v[32:33], v[26:27], v[20:23]
	s_and_b64 s[6:7], s[6:7], s[8:9]
	v_perm_b32 v16, v17, v16, s5
	v_perm_b32 v17, v25, v24, s5
	s_waitcnt lgkmcnt(0)
	v_mfma_f32_16x16x16_bf16 v[10:13], v[10:11], v[28:29], v[20:23]
	s_waitcnt vmcnt(1)
	v_cvt_pk_f32_fp8_sdwa v[24:25], v7 src0_sel:WORD_1
	v_cvt_pk_f32_fp8_e32 v[28:29], v8
	v_cvt_pk_f32_fp8_e32 v[20:21], v6
	v_mfma_f32_16x16x16_bf16 v[10:13], v[16:17], v[30:31], v[10:13]
	v_cvt_pk_f32_fp8_sdwa v[16:17], v6 src0_sel:WORD_1
	v_cvt_pk_f32_fp8_e32 v[22:23], v7
	v_perm_b32 v6, v21, v20, s5
	v_cvt_pk_f32_fp8_sdwa v[30:31], v8 src0_sel:WORD_1
	v_perm_b32 v7, v17, v16, s5
	v_perm_b32 v16, v23, v22, s5
	ds_read_b128 v[20:23], v14 offset:4096
	v_perm_b32 v17, v25, v24, s5
	ds_read_b128 v[24:27], v14 offset:4112
	s_waitcnt lgkmcnt(1)
	v_mfma_f32_16x16x16_bf16 v[10:13], v[6:7], v[20:21], v[10:13]
	v_perm_b32 v6, v29, v28, s5
	v_perm_b32 v7, v31, v30, s5
	v_cvt_pk_f32_fp8_e32 v[20:21], v9
	v_mfma_f32_16x16x16_bf16 v[10:13], v[16:17], v[22:23], v[10:13]
	v_cvt_pk_f32_fp8_sdwa v[16:17], v9 src0_sel:WORD_1
	v_perm_b32 v20, v21, v20, s5
	s_waitcnt lgkmcnt(0)
	v_mfma_f32_16x16x16_bf16 v[6:9], v[6:7], v[24:25], v[10:13]
	v_perm_b32 v21, v17, v16, s5
	s_waitcnt vmcnt(0)
	v_cvt_pk_f32_fp8_e32 v[16:17], v3
	v_cvt_pk_f32_fp8_sdwa v[24:25], v4 src0_sel:WORD_1
	v_cvt_pk_f32_fp8_e32 v[10:11], v2
	v_cvt_pk_f32_fp8_sdwa v[12:13], v2 src0_sel:WORD_1
	v_mfma_f32_16x16x16_bf16 v[6:9], v[20:21], v[26:27], v[6:9]
	v_cvt_pk_f32_fp8_sdwa v[20:21], v3 src0_sel:WORD_1
	v_perm_b32 v2, v11, v10, s5
	v_perm_b32 v3, v13, v12, s5
	ds_read_b128 v[10:13], v14 offset:6144
	v_perm_b32 v22, v17, v16, s5
	v_perm_b32 v23, v21, v20, s5
	v_cvt_pk_f32_fp8_e32 v[20:21], v4
	s_waitcnt lgkmcnt(0)
	v_mfma_f32_16x16x16_bf16 v[6:9], v[2:3], v[10:11], v[6:9]
	ds_read_b128 v[14:17], v14 offset:6160
	v_perm_b32 v2, v21, v20, s5
	v_perm_b32 v3, v25, v24, s5
	v_cvt_pk_f32_fp8_e32 v[10:11], v5
	v_mfma_f32_16x16x16_bf16 v[6:9], v[22:23], v[12:13], v[6:9]
	v_cvt_pk_f32_fp8_sdwa v[12:13], v5 src0_sel:WORD_1
	s_waitcnt lgkmcnt(0)
	v_perm_b32 v10, v11, v10, s5
	v_mfma_f32_16x16x16_bf16 v[2:5], v[2:3], v[14:15], v[6:9]
	v_perm_b32 v11, v13, v12, s5
	s_barrier
	s_nop 0
	v_mfma_f32_16x16x16_bf16 v[2:5], v[10:11], v[16:17], v[2:5]
	s_nop 6
	v_pk_mul_f32 v[2:3], v[2:3], s[12:13] op_sel_hi:[1,0]
	v_pk_mul_f32 v[4:5], v[4:5], s[12:13] op_sel_hi:[1,0]
	v_bfe_u32 v6, v3, 16, 1
	v_bfe_u32 v7, v2, 16, 1
	v_add3_u32 v2, v2, v7, s14
	v_add3_u32 v3, v3, v6, s14
	v_perm_b32 v2, v3, v2, s5
	v_bfe_u32 v3, v5, 16, 1
	v_bfe_u32 v6, v4, 16, 1
	v_add3_u32 v4, v4, v6, s14
	v_add3_u32 v3, v5, v3, s14
	v_perm_b32 v3, v3, v4, s5
	ds_write_b64 v18, v[2:3]
	s_waitcnt lgkmcnt(0)
	s_barrier
	s_and_saveexec_b64 s[8:9], s[6:7]
	s_cbranch_execz .LBB1224_19
; %bb.18:
	s_load_dwordx2 s[0:1], s[0:1], 0x68
	s_mul_i32 s2, s11, s2
	s_lshl_b32 s5, s10, 6
	s_mul_hi_u32 s7, s2, s5
	s_mul_i32 s6, s2, s5
	s_lshl_b64 s[6:7], s[6:7], 1
	v_lshlrev_b32_e32 v0, 10, v0
	s_waitcnt lgkmcnt(0)
	s_add_u32 s6, s0, s6
	v_and_b32_e32 v0, 0x1800, v0
	v_lshlrev_b32_e32 v2, 5, v38
	v_and_b32_e32 v3, 16, v39
	s_addc_u32 s7, s1, s7
	s_lshl_b32 s2, s30, 6
	v_or3_b32 v0, v0, v2, v3
	s_lshl_b64 s[0:1], s[2:3], 1
	ds_read_b128 v[2:5], v0
	s_add_u32 s2, s6, s0
	s_addc_u32 s3, s7, s1
	s_mul_hi_u32 s1, s5, s4
	s_mul_i32 s0, s5, s4
	s_lshl_b64 s[0:1], s[0:1], 1
	s_add_u32 s0, s2, s0
	s_addc_u32 s1, s3, s1
	s_waitcnt lgkmcnt(0)
	global_store_dwordx4 v1, v[2:5], s[0:1]
.LBB1224_19:
	s_endpgm
	.section	.rodata,"a",@progbits
	.p2align	6, 0x0
	.amdhsa_kernel _Z39paged_attention_ll4mi_QKV_mfma16_kernelI14__hip_bfloat16hLN4vllm18Fp8KVCacheDataTypeE1ES0_Li32ELi64ELi256ELb1ELi1EEvPKT_PKT0_S8_ifPKiSA_SA_iPKfiiiPfSD_PS3_PT2_iSC_SC_
		.amdhsa_group_segment_fixed_size 8192
		.amdhsa_private_segment_fixed_size 0
		.amdhsa_kernarg_size 400
		.amdhsa_user_sgpr_count 2
		.amdhsa_user_sgpr_dispatch_ptr 0
		.amdhsa_user_sgpr_queue_ptr 0
		.amdhsa_user_sgpr_kernarg_segment_ptr 1
		.amdhsa_user_sgpr_dispatch_id 0
		.amdhsa_user_sgpr_kernarg_preload_length 0
		.amdhsa_user_sgpr_kernarg_preload_offset 0
		.amdhsa_user_sgpr_private_segment_size 0
		.amdhsa_uses_dynamic_stack 0
		.amdhsa_enable_private_segment 0
		.amdhsa_system_sgpr_workgroup_id_x 1
		.amdhsa_system_sgpr_workgroup_id_y 1
		.amdhsa_system_sgpr_workgroup_id_z 1
		.amdhsa_system_sgpr_workgroup_info 0
		.amdhsa_system_vgpr_workitem_id 0
		.amdhsa_next_free_vgpr 73
		.amdhsa_next_free_sgpr 52
		.amdhsa_accum_offset 76
		.amdhsa_reserve_vcc 1
		.amdhsa_float_round_mode_32 0
		.amdhsa_float_round_mode_16_64 0
		.amdhsa_float_denorm_mode_32 3
		.amdhsa_float_denorm_mode_16_64 3
		.amdhsa_dx10_clamp 1
		.amdhsa_ieee_mode 1
		.amdhsa_fp16_overflow 0
		.amdhsa_tg_split 0
		.amdhsa_exception_fp_ieee_invalid_op 0
		.amdhsa_exception_fp_denorm_src 0
		.amdhsa_exception_fp_ieee_div_zero 0
		.amdhsa_exception_fp_ieee_overflow 0
		.amdhsa_exception_fp_ieee_underflow 0
		.amdhsa_exception_fp_ieee_inexact 0
		.amdhsa_exception_int_div_zero 0
	.end_amdhsa_kernel
	.section	.text._Z39paged_attention_ll4mi_QKV_mfma16_kernelI14__hip_bfloat16hLN4vllm18Fp8KVCacheDataTypeE1ES0_Li32ELi64ELi256ELb1ELi1EEvPKT_PKT0_S8_ifPKiSA_SA_iPKfiiiPfSD_PS3_PT2_iSC_SC_,"axG",@progbits,_Z39paged_attention_ll4mi_QKV_mfma16_kernelI14__hip_bfloat16hLN4vllm18Fp8KVCacheDataTypeE1ES0_Li32ELi64ELi256ELb1ELi1EEvPKT_PKT0_S8_ifPKiSA_SA_iPKfiiiPfSD_PS3_PT2_iSC_SC_,comdat
.Lfunc_end1224:
	.size	_Z39paged_attention_ll4mi_QKV_mfma16_kernelI14__hip_bfloat16hLN4vllm18Fp8KVCacheDataTypeE1ES0_Li32ELi64ELi256ELb1ELi1EEvPKT_PKT0_S8_ifPKiSA_SA_iPKfiiiPfSD_PS3_PT2_iSC_SC_, .Lfunc_end1224-_Z39paged_attention_ll4mi_QKV_mfma16_kernelI14__hip_bfloat16hLN4vllm18Fp8KVCacheDataTypeE1ES0_Li32ELi64ELi256ELb1ELi1EEvPKT_PKT0_S8_ifPKiSA_SA_iPKfiiiPfSD_PS3_PT2_iSC_SC_
                                        ; -- End function
	.section	.AMDGPU.csdata,"",@progbits
; Kernel info:
; codeLenInByte = 5060
; NumSgprs: 58
; NumVgprs: 73
; NumAgprs: 0
; TotalNumVgprs: 73
; ScratchSize: 0
; MemoryBound: 0
; FloatMode: 240
; IeeeMode: 1
; LDSByteSize: 8192 bytes/workgroup (compile time only)
; SGPRBlocks: 7
; VGPRBlocks: 9
; NumSGPRsForWavesPerEU: 58
; NumVGPRsForWavesPerEU: 73
; AccumOffset: 76
; Occupancy: 6
; WaveLimiterHint : 1
; COMPUTE_PGM_RSRC2:SCRATCH_EN: 0
; COMPUTE_PGM_RSRC2:USER_SGPR: 2
; COMPUTE_PGM_RSRC2:TRAP_HANDLER: 0
; COMPUTE_PGM_RSRC2:TGID_X_EN: 1
; COMPUTE_PGM_RSRC2:TGID_Y_EN: 1
; COMPUTE_PGM_RSRC2:TGID_Z_EN: 1
; COMPUTE_PGM_RSRC2:TIDIG_COMP_CNT: 0
; COMPUTE_PGM_RSRC3_GFX90A:ACCUM_OFFSET: 18
; COMPUTE_PGM_RSRC3_GFX90A:TG_SPLIT: 0
	.section	.text._Z39paged_attention_ll4mi_QKV_mfma16_kernelI14__hip_bfloat16hLN4vllm18Fp8KVCacheDataTypeE1ES0_Li32ELi64ELi256ELb1ELi2EEvPKT_PKT0_S8_ifPKiSA_SA_iPKfiiiPfSD_PS3_PT2_iSC_SC_,"axG",@progbits,_Z39paged_attention_ll4mi_QKV_mfma16_kernelI14__hip_bfloat16hLN4vllm18Fp8KVCacheDataTypeE1ES0_Li32ELi64ELi256ELb1ELi2EEvPKT_PKT0_S8_ifPKiSA_SA_iPKfiiiPfSD_PS3_PT2_iSC_SC_,comdat
	.protected	_Z39paged_attention_ll4mi_QKV_mfma16_kernelI14__hip_bfloat16hLN4vllm18Fp8KVCacheDataTypeE1ES0_Li32ELi64ELi256ELb1ELi2EEvPKT_PKT0_S8_ifPKiSA_SA_iPKfiiiPfSD_PS3_PT2_iSC_SC_ ; -- Begin function _Z39paged_attention_ll4mi_QKV_mfma16_kernelI14__hip_bfloat16hLN4vllm18Fp8KVCacheDataTypeE1ES0_Li32ELi64ELi256ELb1ELi2EEvPKT_PKT0_S8_ifPKiSA_SA_iPKfiiiPfSD_PS3_PT2_iSC_SC_
	.globl	_Z39paged_attention_ll4mi_QKV_mfma16_kernelI14__hip_bfloat16hLN4vllm18Fp8KVCacheDataTypeE1ES0_Li32ELi64ELi256ELb1ELi2EEvPKT_PKT0_S8_ifPKiSA_SA_iPKfiiiPfSD_PS3_PT2_iSC_SC_
	.p2align	8
	.type	_Z39paged_attention_ll4mi_QKV_mfma16_kernelI14__hip_bfloat16hLN4vllm18Fp8KVCacheDataTypeE1ES0_Li32ELi64ELi256ELb1ELi2EEvPKT_PKT0_S8_ifPKiSA_SA_iPKfiiiPfSD_PS3_PT2_iSC_SC_,@function
_Z39paged_attention_ll4mi_QKV_mfma16_kernelI14__hip_bfloat16hLN4vllm18Fp8KVCacheDataTypeE1ES0_Li32ELi64ELi256ELb1ELi2EEvPKT_PKT0_S8_ifPKiSA_SA_iPKfiiiPfSD_PS3_PT2_iSC_SC_: ; @_Z39paged_attention_ll4mi_QKV_mfma16_kernelI14__hip_bfloat16hLN4vllm18Fp8KVCacheDataTypeE1ES0_Li32ELi64ELi256ELb1ELi2EEvPKT_PKT0_S8_ifPKiSA_SA_iPKfiiiPfSD_PS3_PT2_iSC_SC_
; %bb.0:
	s_load_dwordx2 s[8:9], s[0:1], 0x30
	s_mov_b32 s28, s3
	s_mov_b64 s[6:7], 0
	s_waitcnt lgkmcnt(0)
	s_cmp_lg_u64 s[8:9], 0
	s_cselect_b64 s[10:11], -1, 0
	s_and_b64 vcc, exec, s[10:11]
	s_cbranch_vccz .LBB1225_7
; %bb.1:
	s_add_i32 s12, s2, 1
	s_mov_b32 s13, 0
	s_lshl_b64 s[14:15], s[12:13], 2
	s_add_u32 s14, s8, s14
	s_mov_b32 s3, s13
	s_addc_u32 s15, s9, s15
	s_lshl_b64 s[12:13], s[2:3], 2
	s_add_u32 s12, s8, s12
	s_addc_u32 s13, s9, s13
	s_load_dword s5, s[14:15], 0x0
	s_load_dword s16, s[12:13], 0x0
	s_waitcnt lgkmcnt(0)
	s_sub_i32 s5, s5, s16
	s_cmp_eq_u32 s5, 1
	s_cselect_b64 s[12:13], -1, 0
	s_andn2_b64 vcc, exec, s[6:7]
	s_cbranch_vccnz .LBB1225_3
.LBB1225_2:
	s_mov_b32 s3, 0
	s_mov_b64 s[12:13], -1
.LBB1225_3:
	s_andn2_b64 vcc, exec, s[12:13]
	s_cbranch_vccnz .LBB1225_19
; %bb.4:
	s_load_dwordx2 s[6:7], s[0:1], 0x28
	s_lshl_b64 s[12:13], s[2:3], 2
	s_waitcnt lgkmcnt(0)
	s_add_u32 s6, s6, s12
	s_addc_u32 s7, s7, s13
	s_load_dword s33, s[6:7], 0x0
	s_lshl_b32 s16, s28, 8
	s_waitcnt lgkmcnt(0)
	s_cmp_ge_i32 s16, s33
	s_cbranch_scc1 .LBB1225_19
; %bb.5:
	s_load_dwordx2 s[6:7], s[0:1], 0x20
	s_load_dword s5, s[0:1], 0x38
	s_add_i32 s14, s33, 31
	s_ashr_i32 s15, s14, 31
	v_and_b32_e32 v1, 0xcf, v0
	s_lshr_b32 s15, s15, 27
	v_add_u32_e32 v1, s16, v1
	s_add_i32 s14, s14, s15
	v_ashrrev_i32_e32 v2, 31, v1
	s_ashr_i32 s17, s14, 5
	v_lshrrev_b32_e32 v4, 27, v2
	s_add_i32 s17, s17, -1
	s_waitcnt lgkmcnt(0)
	s_mul_i32 s14, s2, s5
	s_mov_b32 s15, 0
	v_add_u32_e32 v2, v1, v4
	s_lshl_b64 s[14:15], s[14:15], 2
	v_ashrrev_i32_e32 v2, 5, v2
	v_mov_b32_e32 v5, s17
	v_cmp_gt_i32_e32 vcc, s33, v1
	s_add_u32 s6, s6, s14
	s_addc_u32 s7, s7, s15
	v_cndmask_b32_e32 v2, v5, v2, vcc
	v_ashrrev_i32_e32 v3, 31, v2
	v_lshl_add_u64 v[6:7], v[2:3], 2, s[6:7]
	v_or_b32_e32 v2, 16, v1
	v_add_u32_e32 v3, v2, v4
	v_ashrrev_i32_e32 v3, 5, v3
	v_cmp_gt_i32_e32 vcc, s33, v2
	s_load_dwordx2 s[14:15], s[0:1], 0x8
	s_nop 0
	v_cndmask_b32_e32 v2, v5, v3, vcc
	v_ashrrev_i32_e32 v3, 31, v2
	v_lshl_add_u64 v[8:9], v[2:3], 2, s[6:7]
	v_or_b32_e32 v2, 32, v1
	v_add_u32_e32 v3, v2, v4
	v_ashrrev_i32_e32 v3, 5, v3
	v_cmp_gt_i32_e32 vcc, s33, v2
	v_or_b32_e32 v1, 48, v1
	s_nop 0
	v_cndmask_b32_e32 v2, v5, v3, vcc
	v_ashrrev_i32_e32 v3, 31, v2
	v_lshl_add_u64 v[10:11], v[2:3], 2, s[6:7]
	v_add_u32_e32 v2, v1, v4
	v_ashrrev_i32_e32 v2, 5, v2
	v_cmp_gt_i32_e32 vcc, s33, v1
	s_nop 1
	v_cndmask_b32_e32 v2, v5, v2, vcc
	v_ashrrev_i32_e32 v3, 31, v2
	v_lshl_add_u64 v[12:13], v[2:3], 2, s[6:7]
	global_load_dword v5, v[6:7], off
	global_load_dword v4, v[8:9], off
	;; [unrolled: 1-line block ×4, first 2 shown]
	s_andn2_b64 vcc, exec, s[10:11]
	s_cbranch_vccnz .LBB1225_8
; %bb.6:
	s_add_u32 s8, s8, s12
	s_addc_u32 s9, s9, s13
	s_load_dword s5, s[8:9], 0x0
	s_branch .LBB1225_9
.LBB1225_7:
	s_mov_b64 s[12:13], 0
	s_branch .LBB1225_2
.LBB1225_8:
	s_mov_b32 s5, s2
.LBB1225_9:
	s_load_dwordx2 s[8:9], s[0:1], 0x10
	s_load_dwordx4 s[44:47], s[0:1], 0x48
	v_lshrrev_b32_e32 v42, 6, v0
	v_bfe_u32 v1, v0, 4, 2
	v_lshl_or_b32 v6, v42, 2, v1
	v_and_b32_e32 v43, 15, v0
	v_lshlrev_b32_e32 v7, 3, v43
	v_cmp_gt_u32_e32 vcc, 2, v6
	v_cmp_gt_u32_e64 s[30:31], 8, v43
	s_lshl_b32 s29, s4, 1
	s_and_b64 s[12:13], s[30:31], vcc
	v_lshlrev_b32_e32 v26, 1, v7
	v_lshlrev_b32_e32 v40, 4, v0
	s_and_saveexec_b64 s[10:11], s[12:13]
	s_cbranch_execz .LBB1225_11
; %bb.10:
	s_load_dwordx2 s[12:13], s[0:1], 0x0
	s_waitcnt lgkmcnt(0)
	s_ashr_i32 s18, s44, 31
	s_mul_hi_u32 s19, s5, s44
	s_mul_i32 s18, s5, s18
	s_add_i32 s19, s19, s18
	s_mul_i32 s18, s5, s44
	s_lshl_b64 s[18:19], s[18:19], 1
	s_add_u32 s12, s12, s18
	v_add_lshl_u32 v8, v1, s29, 6
	s_addc_u32 s13, s13, s19
	v_ashrrev_i32_e32 v9, 31, v8
	v_lshl_add_u64 v[8:9], v[8:9], 1, s[12:13]
	v_mov_b32_e32 v27, 0
	v_lshl_add_u64 v[8:9], v[8:9], 0, v[26:27]
	global_load_dwordx4 v[8:11], v[8:9], off
	v_lshlrev_b32_e32 v12, 8, v43
	v_lshlrev_b32_e32 v6, 5, v6
	v_and_b32_e32 v7, 16, v40
	v_and_b32_e32 v12, 0xe00, v12
	v_or3_b32 v6, v12, v6, v7
	s_waitcnt vmcnt(0)
	ds_write_b128 v6, v[8:11]
.LBB1225_11:
	s_or_b64 exec, exec, s[10:11]
	s_waitcnt lgkmcnt(0)
	s_mul_i32 s10, s4, s46
	s_add_u32 s4, s14, s10
	s_addc_u32 s5, s15, 0
	v_mov_b32_e32 v29, 0
	v_mov_b64_e32 v[6:7], s[4:5]
	v_lshlrev_b32_e32 v10, 4, v43
	v_and_b32_e32 v27, 48, v0
	s_waitcnt vmcnt(3)
	v_mad_i64_i32 v[8:9], s[4:5], v5, s45, v[6:7]
	v_mov_b32_e32 v11, v29
	s_waitcnt vmcnt(2)
	v_mad_i64_i32 v[4:5], s[4:5], v4, s45, v[6:7]
	v_or_b32_e32 v12, 0x100, v10
	v_mov_b32_e32 v13, v29
	v_lshlrev_b32_e32 v28, 5, v27
	v_lshl_add_u64 v[8:9], v[8:9], 0, v[10:11]
	v_lshl_add_u64 v[4:5], v[4:5], 0, v[12:13]
	;; [unrolled: 1-line block ×4, first 2 shown]
	s_barrier
	global_load_dwordx4 v[22:25], v[8:9], off
	global_load_dwordx4 v[18:21], v[4:5], off
	s_waitcnt vmcnt(3)
	v_mad_i64_i32 v[4:5], s[4:5], v3, s45, v[6:7]
	v_lshl_add_u64 v[4:5], v[4:5], 0, v[10:11]
	s_waitcnt vmcnt(2)
	v_mad_i64_i32 v[2:3], s[4:5], v2, s45, v[6:7]
	v_lshl_add_u64 v[4:5], v[4:5], 0, v[28:29]
	v_lshl_add_u64 v[2:3], v[2:3], 0, v[12:13]
	;; [unrolled: 1-line block ×3, first 2 shown]
	global_load_dwordx4 v[14:17], v[4:5], off
	global_load_dwordx4 v[6:9], v[2:3], off
	v_and_b32_e32 v2, 1, v0
	v_lshlrev_b32_e32 v2, 5, v2
	v_lshl_or_b32 v2, v1, 9, v2
	ds_read_b128 v[10:13], v2
	ds_read_b128 v[2:5], v2 offset:16
	v_and_b32_e32 v41, 63, v0
	v_cmp_gt_u32_e32 vcc, 2, v43
	v_mov_b32_e32 v44, 0
	s_and_saveexec_b64 s[4:5], vcc
	s_cbranch_execz .LBB1225_13
; %bb.12:
	s_load_dwordx2 s[12:13], s[0:1], 0x40
	v_or_b32_e32 v30, s29, v43
	v_ashrrev_i32_e32 v31, 31, v30
	s_waitcnt lgkmcnt(0)
	v_lshl_add_u64 v[30:31], v[30:31], 2, s[12:13]
	global_load_dword v44, v[30:31], off
.LBB1225_13:
	s_or_b64 exec, exec, s[4:5]
	s_ashr_i32 s4, s16, 31
	v_or_b32_e32 v45, s16, v27
	s_lshr_b32 s4, s4, 27
	v_add_u32_e32 v27, s4, v45
	v_ashrrev_i32_e32 v27, 5, v27
	v_mov_b32_e32 v65, s17
	v_cmp_gt_i32_e32 vcc, s33, v45
	s_waitcnt vmcnt(3)
	v_cvt_pk_f32_fp8_sdwa v[32:33], v22 src0_sel:WORD_1
	v_cvt_pk_f32_fp8_e32 v[34:35], v23
	v_cndmask_b32_e32 v30, v65, v27, vcc
	v_ashrrev_i32_e32 v31, 31, v30
	v_lshl_add_u64 v[30:31], v[30:31], 2, s[6:7]
	global_load_dword v72, v[30:31], off
	v_cvt_pk_f32_fp8_e32 v[30:31], v22
	v_cvt_pk_f32_fp8_sdwa v[22:23], v23 src0_sel:WORD_1
	s_waitcnt vmcnt(3)
	v_cvt_pk_f32_fp8_e32 v[48:49], v18
	v_cvt_pk_f32_fp8_sdwa v[50:51], v18 src0_sel:WORD_1
	v_or_b32_e32 v18, 64, v45
	v_cvt_pk_f32_fp8_e32 v[56:57], v20
	v_cvt_pk_f32_fp8_sdwa v[58:59], v20 src0_sel:WORD_1
	v_cvt_pk_f32_fp8_e32 v[60:61], v21
	v_cvt_pk_f32_fp8_sdwa v[62:63], v21 src0_sel:WORD_1
	v_or_b32_e32 v20, 0xc0, v45
	v_add_u32_e32 v21, s4, v18
	s_mov_b32 s44, 0x7060302
	v_cvt_pk_f32_fp8_e32 v[52:53], v19
	v_cvt_pk_f32_fp8_sdwa v[54:55], v19 src0_sel:WORD_1
	v_or_b32_e32 v19, 0x80, v45
	v_add_u32_e32 v64, s4, v20
	v_ashrrev_i32_e32 v21, 5, v21
	v_cmp_gt_i32_e32 vcc, s33, v18
	v_add_u32_e32 v45, s4, v19
	v_ashrrev_i32_e32 v67, 5, v64
	v_cndmask_b32_e32 v64, v65, v21, vcc
	v_cmp_gt_i32_e32 vcc, s33, v19
	v_perm_b32 v18, v31, v30, s44
	v_perm_b32 v19, v33, v32, s44
	v_cvt_pk_f32_fp8_sdwa v[38:39], v24 src0_sel:WORD_1
	v_perm_b32 v31, v23, v22, s44
	v_perm_b32 v22, v49, v48, s44
	;; [unrolled: 1-line block ×3, first 2 shown]
	v_cvt_pk_f32_fp8_e32 v[36:37], v24
	v_cvt_pk_f32_fp8_e32 v[46:47], v25
	v_cvt_pk_f32_fp8_sdwa v[24:25], v25 src0_sel:WORD_1
	v_ashrrev_i32_e32 v45, 5, v45
	v_perm_b32 v30, v35, v34, s44
	v_cndmask_b32_e32 v66, v65, v45, vcc
	v_cmp_gt_i32_e32 vcc, s33, v20
	v_perm_b32 v35, v39, v38, s44
	s_waitcnt lgkmcnt(1)
	v_mfma_f32_16x16x16_bf16 v[18:21], v[18:19], v[10:11], 0
	v_perm_b32 v38, v53, v52, s44
	v_perm_b32 v39, v55, v54, s44
	;; [unrolled: 1-line block ×4, first 2 shown]
	v_mfma_f32_16x16x16_bf16 v[22:25], v[22:23], v[10:11], 0
	s_load_dword s11, s[0:1], 0x1c
	s_load_dwordx4 s[40:43], s[0:1], 0x80
	v_perm_b32 v36, v47, v46, s44
	v_perm_b32 v46, v57, v56, s44
	;; [unrolled: 1-line block ×3, first 2 shown]
	v_mfma_f32_16x16x16_bf16 v[30:33], v[30:31], v[12:13], v[18:21]
	s_add_u32 s4, s8, s10
	v_and_b32_e32 v28, 16, v0
	v_lshlrev_b32_e32 v27, 5, v43
	v_mfma_f32_16x16x16_bf16 v[20:23], v[38:39], v[12:13], v[22:25]
	s_addc_u32 s5, s9, 0
	v_cndmask_b32_e32 v68, v65, v67, vcc
	v_lshl_add_u64 v[70:71], s[4:5], 0, v[28:29]
	v_lshl_or_b32 v28, v42, 9, v27
	v_ashrrev_i32_e32 v65, 31, v64
	v_ashrrev_i32_e32 v67, 31, v66
	;; [unrolled: 1-line block ×3, first 2 shown]
	v_lshl_add_u64 v[18:19], v[70:71], 0, v[28:29]
	s_waitcnt lgkmcnt(0)
	v_mfma_f32_16x16x16_bf16 v[28:31], v[34:35], v[2:3], v[30:33]
	v_lshl_add_u64 v[24:25], v[64:65], 2, s[6:7]
	v_lshl_add_u64 v[34:35], v[68:69], 2, s[6:7]
	s_load_dword s8, s[40:41], 0x0
	v_lshl_add_u64 v[32:33], v[66:67], 2, s[6:7]
	v_mfma_f32_16x16x16_bf16 v[20:23], v[46:47], v[2:3], v[20:23]
	global_load_dword v47, v[24:25], off
	global_load_dword v45, v[32:33], off
	global_load_dword v46, v[34:35], off
	s_waitcnt vmcnt(5)
	v_cvt_pk_f32_fp8_e32 v[32:33], v14
	v_cvt_pk_f32_fp8_sdwa v[34:35], v14 src0_sel:WORD_1
	v_perm_b32 v48, v61, v60, s44
	v_perm_b32 v49, v63, v62, s44
	v_mfma_f32_16x16x16_bf16 v[28:31], v[36:37], v[4:5], v[28:31]
	v_cvt_pk_f32_fp8_e32 v[36:37], v15
	v_perm_b32 v32, v33, v32, s44
	v_perm_b32 v33, v35, v34, s44
	v_cvt_pk_f32_fp8_sdwa v[14:15], v15 src0_sel:WORD_1
	v_mov_b32_e32 v38, s11
	s_waitcnt lgkmcnt(0)
	v_mul_f32_e32 v50, s8, v38
	v_mfma_f32_16x16x16_bf16 v[20:23], v[48:49], v[4:5], v[20:23]
	v_perm_b32 v36, v37, v36, s44
	v_cvt_pk_f32_fp8_e32 v[38:39], v16
	v_cvt_pk_f32_fp8_sdwa v[48:49], v16 src0_sel:WORD_1
	v_perm_b32 v37, v15, v14, s44
	v_mfma_f32_16x16x16_bf16 v[32:35], v[32:33], v[10:11], 0
	v_perm_b32 v38, v39, v38, s44
	v_perm_b32 v39, v49, v48, s44
	v_cvt_pk_f32_fp8_e32 v[48:49], v17
	v_cvt_pk_f32_fp8_sdwa v[52:53], v17 src0_sel:WORD_1
	v_mfma_f32_16x16x16_bf16 v[14:17], v[36:37], v[12:13], v[32:35]
	v_pk_mul_f32 v[36:37], v[50:51], v[28:29] op_sel_hi:[0,1]
	s_waitcnt vmcnt(4)
	v_cvt_pk_f32_fp8_e32 v[28:29], v6
	v_pk_mul_f32 v[30:31], v[50:51], v[30:31] op_sel_hi:[0,1]
	v_perm_b32 v32, v49, v48, s44
	v_perm_b32 v33, v53, v52, s44
	v_mfma_f32_16x16x16_bf16 v[14:17], v[38:39], v[2:3], v[14:17]
	v_cvt_pk_f32_fp8_sdwa v[34:35], v6 src0_sel:WORD_1
	v_perm_b32 v28, v29, v28, s44
	v_cvt_pk_f32_fp8_e32 v[48:49], v8
	v_mfma_f32_16x16x16_bf16 v[14:17], v[32:33], v[4:5], v[14:17]
	v_cvt_pk_f32_fp8_e32 v[32:33], v7
	v_perm_b32 v29, v35, v34, s44
	v_cvt_pk_f32_fp8_sdwa v[6:7], v7 src0_sel:WORD_1
	v_cvt_pk_f32_fp8_sdwa v[52:53], v8 src0_sel:WORD_1
	v_perm_b32 v38, v33, v32, s44
	v_mfma_f32_16x16x16_bf16 v[32:35], v[28:29], v[10:11], 0
	v_perm_b32 v39, v7, v6, s44
	v_perm_b32 v10, v49, v48, s44
	;; [unrolled: 1-line block ×3, first 2 shown]
	v_cvt_pk_f32_fp8_e32 v[28:29], v9
	v_cvt_pk_f32_fp8_sdwa v[48:49], v9 src0_sel:WORD_1
	v_mfma_f32_16x16x16_bf16 v[6:9], v[38:39], v[12:13], v[32:35]
	v_pk_mul_f32 v[38:39], v[50:51], v[20:21] op_sel_hi:[0,1]
	v_perm_b32 v12, v29, v28, s44
	v_perm_b32 v13, v49, v48, s44
	v_mfma_f32_16x16x16_bf16 v[6:9], v[10:11], v[2:3], v[6:9]
	v_pk_mul_f32 v[34:35], v[50:51], v[22:23] op_sel_hi:[0,1]
	v_pk_mul_f32 v[28:29], v[50:51], v[16:17] op_sel_hi:[0,1]
	;; [unrolled: 1-line block ×3, first 2 shown]
	v_mfma_f32_16x16x16_bf16 v[2:5], v[12:13], v[4:5], v[6:9]
	s_waitcnt vmcnt(3)
	v_mad_i64_i32 v[24:25], s[4:5], v72, s45, v[18:19]
	s_mov_b32 s46, 0xff7fffff
	s_nop 3
	v_pk_mul_f32 v[22:23], v[50:51], v[2:3] op_sel_hi:[0,1]
	v_and_b32_e32 v2, 0xc0, v0
	v_add_u32_e32 v2, s16, v2
	v_lshl_or_b32 v2, v1, 2, v2
	v_or_b32_e32 v3, 1, v2
	v_pk_mul_f32 v[20:21], v[50:51], v[4:5] op_sel_hi:[0,1]
	v_subrev_u32_e32 v4, s33, v3
	v_add_u32_e32 v6, 1, v4
	v_add_u32_e32 v7, 2, v4
	;; [unrolled: 1-line block ×3, first 2 shown]
	v_cvt_f32_i32_e32 v6, v6
	v_cvt_f32_i32_e32 v7, v7
	;; [unrolled: 1-line block ×3, first 2 shown]
	v_add_u32_e32 v9, 19, v4
	v_fmac_f32_e32 v37, v44, v6
	v_fma_f32 v30, v44, v7, v30
	v_fmac_f32_e32 v31, v44, v8
	v_add_u32_e32 v6, 16, v4
	v_add_u32_e32 v7, 17, v4
	;; [unrolled: 1-line block ×3, first 2 shown]
	v_cvt_f32_i32_e32 v6, v6
	v_cvt_f32_i32_e32 v7, v7
	;; [unrolled: 1-line block ×4, first 2 shown]
	v_fma_f32 v38, v44, v6, v38
	v_fmac_f32_e32 v39, v44, v7
	v_fma_f32 v34, v44, v8, v34
	v_add_u32_e32 v6, 32, v4
	v_add_u32_e32 v7, 33, v4
	v_add_u32_e32 v8, 34, v4
	v_cvt_f32_i32_e32 v6, v6
	v_cvt_f32_i32_e32 v7, v7
	;; [unrolled: 1-line block ×4, first 2 shown]
	v_fmac_f32_e32 v35, v44, v9
	v_add_u32_e32 v9, 35, v4
	v_fma_f32 v48, v44, v6, v32
	v_fmac_f32_e32 v33, v44, v7
	v_fma_f32 v28, v44, v8, v28
	v_add_u32_e32 v6, 48, v4
	v_add_u32_e32 v7, 49, v4
	;; [unrolled: 1-line block ×4, first 2 shown]
	v_cvt_f32_i32_e32 v4, v4
	v_cvt_f32_i32_e32 v6, v6
	;; [unrolled: 1-line block ×3, first 2 shown]
	v_fma_f32 v5, v44, v5, v36
	v_fmac_f32_e32 v21, v44, v4
	v_mov_b32_e32 v4, 0xff7fffff
	v_cmp_gt_i32_e64 s[4:5], s33, v2
	v_cmp_gt_i32_e64 s[34:35], s33, v3
	v_fma_f32 v22, v44, v6, v22
	v_cndmask_b32_e64 v6, v4, v5, s[4:5]
	v_cndmask_b32_e64 v3, v4, v37, s[34:35]
	v_fmac_f32_e32 v23, v44, v7
	v_max3_f32 v3, v6, s46, v3
	v_or_b32_e32 v6, 2, v2
	v_or_b32_e32 v7, 3, v2
	v_cmp_gt_i32_e64 s[36:37], s33, v6
	v_cmp_gt_i32_e64 s[38:39], s33, v7
	v_cvt_f32_i32_e32 v9, v9
	v_cndmask_b32_e64 v6, v4, v30, s[36:37]
	v_cndmask_b32_e64 v7, v4, v31, s[38:39]
	v_max3_f32 v3, v3, v6, v7
	v_or_b32_e32 v6, 16, v2
	v_or_b32_e32 v7, 17, v2
	v_cmp_gt_i32_e64 s[24:25], s33, v6
	v_cmp_gt_i32_e64 s[26:27], s33, v7
	v_fmac_f32_e32 v29, v44, v9
	v_cndmask_b32_e64 v6, v4, v38, s[24:25]
	v_cndmask_b32_e64 v7, v4, v39, s[26:27]
	v_max3_f32 v3, v3, v6, v7
	v_or_b32_e32 v6, 18, v2
	v_or_b32_e32 v7, 19, v2
	v_cmp_gt_i32_e64 s[20:21], s33, v6
	v_cmp_gt_i32_e64 s[22:23], s33, v7
	v_cvt_f32_i32_e32 v8, v8
	v_cndmask_b32_e64 v6, v4, v34, s[20:21]
	v_cndmask_b32_e64 v7, v4, v35, s[22:23]
	v_max3_f32 v3, v3, v6, v7
	v_or_b32_e32 v6, 32, v2
	v_or_b32_e32 v7, 33, v2
	v_cmp_gt_i32_e64 s[16:17], s33, v6
	v_cmp_gt_i32_e64 s[18:19], s33, v7
	v_fma_f32 v20, v44, v8, v20
	v_cndmask_b32_e64 v6, v4, v48, s[16:17]
	v_cndmask_b32_e64 v7, v4, v33, s[18:19]
	v_max3_f32 v3, v3, v6, v7
	v_or_b32_e32 v6, 34, v2
	v_or_b32_e32 v7, 35, v2
	v_cmp_gt_i32_e64 s[12:13], s33, v6
	v_cmp_gt_i32_e64 s[14:15], s33, v7
	s_nop 0
	v_cndmask_b32_e64 v6, v4, v28, s[12:13]
	v_cndmask_b32_e64 v7, v4, v29, s[14:15]
	v_max3_f32 v3, v3, v6, v7
	v_or_b32_e32 v6, 48, v2
	v_or_b32_e32 v7, 49, v2
	v_cmp_gt_i32_e64 s[8:9], s33, v6
	v_cmp_gt_i32_e64 s[10:11], s33, v7
	s_nop 0
	v_cndmask_b32_e64 v6, v4, v22, s[8:9]
	v_cndmask_b32_e64 v7, v4, v23, s[10:11]
	v_max3_f32 v3, v3, v6, v7
	v_or_b32_e32 v6, 50, v2
	v_or_b32_e32 v2, 51, v2
	v_cmp_gt_i32_e32 vcc, s33, v6
	v_cmp_gt_i32_e64 s[6:7], s33, v2
	s_nop 0
	v_cndmask_b32_e32 v6, v4, v20, vcc
	v_cndmask_b32_e64 v2, v4, v21, s[6:7]
	v_max3_f32 v4, v3, v6, v2
	v_mbcnt_lo_u32_b32 v2, -1, 0
	v_mbcnt_hi_u32_b32 v6, -1, v2
	v_and_b32_e32 v2, 64, v6
	v_add_u32_e32 v7, 64, v2
	v_xor_b32_e32 v2, 32, v6
	v_cmp_lt_i32_e64 s[40:41], v2, v7
	s_nop 1
	v_cndmask_b32_e64 v2, v6, v2, s[40:41]
	v_lshlrev_b32_e32 v44, 2, v2
	ds_bpermute_b32 v8, v44, v4
	s_waitcnt vmcnt(2)
	v_mad_i64_i32 v[2:3], s[40:41], v47, s45, v[18:19]
	global_load_dwordx4 v[14:17], v[24:25], off
	global_load_dwordx4 v[10:13], v[2:3], off
	v_xor_b32_e32 v3, 16, v6
	v_cmp_lt_i32_e64 s[40:41], v3, v7
	s_waitcnt lgkmcnt(0)
	v_max_f32_e32 v2, v8, v8
	v_max_f32_e32 v2, v4, v2
	v_cndmask_b32_e64 v3, v6, v3, s[40:41]
	v_lshlrev_b32_e32 v47, 2, v3
	ds_bpermute_b32 v3, v47, v2
	s_waitcnt vmcnt(3)
	v_mad_i64_i32 v[24:25], s[40:41], v45, s45, v[18:19]
	s_waitcnt vmcnt(2)
	v_mad_i64_i32 v[18:19], s[40:41], v46, s45, v[18:19]
	s_waitcnt lgkmcnt(0)
	v_max_f32_e32 v3, v3, v3
	v_max_f32_e32 v32, v2, v3
	v_sub_f32_e32 v2, v5, v32
	v_mul_f32_e32 v2, 0x3fb8aa3b, v2
	v_exp_f32_e32 v36, v2
	v_sub_f32_e32 v2, v37, v32
	v_mul_f32_e32 v2, 0x3fb8aa3b, v2
	v_exp_f32_e32 v37, v2
	global_load_dwordx4 v[6:9], v[24:25], off
	global_load_dwordx4 v[2:5], v[18:19], off
	v_sub_f32_e32 v25, v30, v32
	v_sub_f32_e32 v30, v31, v32
	v_mul_f32_e32 v25, 0x3fb8aa3b, v25
	v_mul_f32_e32 v30, 0x3fb8aa3b, v30
	v_exp_f32_e32 v25, v25
	v_exp_f32_e32 v30, v30
	v_cndmask_b32_e64 v18, 0, v36, s[4:5]
	v_cndmask_b32_e64 v19, 0, v37, s[34:35]
	;; [unrolled: 1-line block ×4, first 2 shown]
	v_sub_f32_e32 v25, v38, v32
	v_sub_f32_e32 v30, v39, v32
	v_mul_f32_e32 v25, 0x3fb8aa3b, v25
	v_mul_f32_e32 v30, 0x3fb8aa3b, v30
	v_exp_f32_e32 v25, v25
	v_exp_f32_e32 v30, v30
	v_add_f32_e32 v24, 0, v18
	v_add_f32_e32 v24, v24, v19
	;; [unrolled: 1-line block ×4, first 2 shown]
	v_cndmask_b32_e64 v24, 0, v25, s[24:25]
	v_cndmask_b32_e64 v25, 0, v30, s[26:27]
	v_sub_f32_e32 v30, v34, v32
	v_mul_f32_e32 v30, 0x3fb8aa3b, v30
	v_exp_f32_e32 v30, v30
	v_sub_f32_e32 v34, v35, v32
	v_add_f32_e32 v31, v31, v24
	v_mul_f32_e32 v34, 0x3fb8aa3b, v34
	v_exp_f32_e32 v35, v34
	v_add_f32_e32 v31, v31, v25
	v_cndmask_b32_e64 v34, 0, v30, s[20:21]
	v_add_f32_e32 v30, v31, v34
	v_sub_f32_e32 v31, v48, v32
	v_mul_f32_e32 v31, 0x3fb8aa3b, v31
	v_sub_f32_e32 v33, v33, v32
	v_exp_f32_e32 v31, v31
	v_mul_f32_e32 v33, 0x3fb8aa3b, v33
	v_sub_f32_e32 v28, v28, v32
	v_exp_f32_e32 v33, v33
	;; [unrolled: 3-line block ×3, first 2 shown]
	v_mul_f32_e32 v29, 0x3fb8aa3b, v29
	v_sub_f32_e32 v22, v22, v32
	v_cndmask_b32_e64 v35, 0, v35, s[22:23]
	v_exp_f32_e32 v29, v29
	v_mul_f32_e32 v22, 0x3fb8aa3b, v22
	v_sub_f32_e32 v23, v23, v32
	v_add_f32_e32 v38, v30, v35
	v_cndmask_b32_e64 v30, 0, v31, s[16:17]
	v_exp_f32_e32 v22, v22
	v_mul_f32_e32 v23, 0x3fb8aa3b, v23
	v_sub_f32_e32 v20, v20, v32
	v_add_f32_e32 v38, v38, v30
	;; [unrolled: 5-line block ×3, first 2 shown]
	v_cndmask_b32_e64 v28, 0, v28, s[12:13]
	v_exp_f32_e32 v20, v20
	v_mul_f32_e32 v21, 0x3fb8aa3b, v21
	v_add_f32_e32 v33, v33, v28
	v_cndmask_b32_e64 v29, 0, v29, s[14:15]
	v_exp_f32_e32 v21, v21
	v_add_f32_e32 v33, v33, v29
	v_cndmask_b32_e64 v22, 0, v22, s[8:9]
	v_add_f32_e32 v33, v33, v22
	v_cndmask_b32_e64 v23, 0, v23, s[10:11]
	v_add_f32_e32 v33, v33, v23
	v_cndmask_b32_e32 v20, 0, v20, vcc
	v_add_f32_e32 v33, v33, v20
	v_cndmask_b32_e64 v21, 0, v21, s[6:7]
	v_add_f32_e32 v33, v33, v21
	ds_bpermute_b32 v38, v44, v33
	s_load_dword s7, s[0:1], 0x98
	v_cmp_gt_u32_e32 vcc, 16, v41
	s_waitcnt lgkmcnt(0)
	s_barrier
	v_add_f32_e32 v38, v33, v38
	ds_bpermute_b32 v39, v47, v38
	v_lshlrev_b32_e32 v33, 2, v43
	s_waitcnt lgkmcnt(0)
	s_and_saveexec_b64 s[4:5], vcc
	s_cbranch_execz .LBB1225_15
; %bb.14:
	v_add_f32_e32 v38, v38, v39
	v_lshl_or_b32 v39, v42, 6, v33
	ds_write2st64_b32 v39, v32, v38 offset1:1
.LBB1225_15:
	s_or_b64 exec, exec, s[4:5]
	s_load_dword s6, s[0:1], 0x94
	s_waitcnt lgkmcnt(0)
	s_barrier
	ds_read2_b32 v[38:39], v33 offset1:16
	ds_read2_b32 v[44:45], v33 offset0:32 offset1:48
	ds_read2_b32 v[46:47], v33 offset0:64 offset1:80
	s_movk_i32 s8, 0x7fff
	s_lshl_b32 s7, s7, 1
	s_waitcnt lgkmcnt(2)
	v_max3_f32 v32, v38, s46, v39
	s_waitcnt lgkmcnt(1)
	v_max3_f32 v32, v32, v44, v45
	v_sub_f32_e32 v38, v38, v32
	v_mul_f32_e32 v38, 0x3fb8aa3b, v38
	v_exp_f32_e32 v43, v38
	v_sub_f32_e32 v38, v39, v32
	v_mul_f32_e32 v38, 0x3fb8aa3b, v38
	v_exp_f32_e32 v48, v38
	;; [unrolled: 3-line block ×3, first 2 shown]
	ds_read2_b32 v[38:39], v33 offset0:96 offset1:112
	v_sub_f32_e32 v33, v45, v32
	v_mul_f32_e32 v33, 0x3fb8aa3b, v33
	v_exp_f32_e32 v45, v33
	s_waitcnt lgkmcnt(1)
	v_fma_f32 v33, v43, v46, 0
	v_fmac_f32_e32 v33, v48, v47
	s_waitcnt lgkmcnt(0)
	v_fmac_f32_e32 v33, v44, v38
	v_fmac_f32_e32 v33, v45, v39
	v_add_f32_e32 v38, 0x358637bd, v33
	v_div_scale_f32 v39, s[4:5], v38, v38, 1.0
	v_rcp_f32_e32 v46, v39
	s_barrier
	v_fma_f32 v47, -v39, v46, 1.0
	v_fmac_f32_e32 v46, v47, v46
	v_div_scale_f32 v47, vcc, 1.0, v38, 1.0
	v_mul_f32_e32 v49, v47, v46
	v_fma_f32 v50, -v39, v49, v47
	v_fmac_f32_e32 v49, v50, v46
	v_fma_f32 v39, -v39, v49, v47
	v_div_fmas_f32 v39, v39, v46, v49
	v_cmp_eq_u32_e32 vcc, 1, v42
	v_div_fixup_f32 v38, v39, v38, 1.0
	s_nop 0
	v_cndmask_b32_e32 v39, v43, v48, vcc
	v_cmp_eq_u32_e32 vcc, 2, v42
	s_nop 1
	v_cndmask_b32_e32 v39, v39, v44, vcc
	v_cmp_eq_u32_e32 vcc, 3, v42
	s_nop 1
	v_cndmask_b32_e32 v39, v39, v45, vcc
	v_mul_f32_e32 v38, v39, v38
	v_pk_mul_f32 v[18:19], v[38:39], v[18:19] op_sel_hi:[0,1]
	v_pk_mul_f32 v[36:37], v[38:39], v[36:37] op_sel_hi:[0,1]
	v_bfe_u32 v39, v19, 16, 1
	v_bfe_u32 v43, v18, 16, 1
	v_add3_u32 v18, v18, v43, s8
	v_add3_u32 v19, v19, v39, s8
	v_perm_b32 v44, v19, v18, s44
	v_bfe_u32 v18, v37, 16, 1
	v_bfe_u32 v19, v36, 16, 1
	v_add3_u32 v19, v36, v19, s8
	v_add3_u32 v18, v37, v18, s8
	v_perm_b32 v45, v18, v19, s44
	v_lshlrev_b32_e32 v18, 3, v1
	v_lshlrev_b32_e32 v19, 11, v42
	v_pk_mul_f32 v[24:25], v[38:39], v[24:25] op_sel_hi:[0,1]
	v_or3_b32 v18, v19, v27, v18
	v_bfe_u32 v19, v25, 16, 1
	v_bfe_u32 v36, v24, 16, 1
	v_pk_mul_f32 v[34:35], v[38:39], v[34:35] op_sel_hi:[0,1]
	v_add3_u32 v24, v24, v36, s8
	v_add3_u32 v19, v25, v19, s8
	v_perm_b32 v24, v19, v24, s44
	v_bfe_u32 v19, v35, 16, 1
	v_bfe_u32 v25, v34, 16, 1
	v_add3_u32 v25, v34, v25, s8
	v_add3_u32 v19, v35, v19, s8
	v_perm_b32 v25, v19, v25, s44
	ds_write2st64_b64 v18, v[44:45], v[24:25] offset1:1
	v_pk_mul_f32 v[24:25], v[38:39], v[28:29] op_sel_hi:[0,1]
	v_pk_mul_f32 v[28:29], v[38:39], v[30:31] op_sel_hi:[0,1]
	v_bfe_u32 v19, v29, 16, 1
	v_bfe_u32 v30, v28, 16, 1
	v_add3_u32 v28, v28, v30, s8
	v_add3_u32 v19, v29, v19, s8
	v_perm_b32 v28, v19, v28, s44
	v_bfe_u32 v19, v25, 16, 1
	v_bfe_u32 v29, v24, 16, 1
	v_add3_u32 v24, v24, v29, s8
	v_add3_u32 v19, v25, v19, s8
	v_pk_mul_f32 v[22:23], v[38:39], v[22:23] op_sel_hi:[0,1]
	v_perm_b32 v29, v19, v24, s44
	v_bfe_u32 v19, v23, 16, 1
	v_bfe_u32 v24, v22, 16, 1
	v_pk_mul_f32 v[20:21], v[38:39], v[20:21] op_sel_hi:[0,1]
	v_add3_u32 v22, v22, v24, s8
	v_add3_u32 v19, v23, v19, s8
	v_perm_b32 v22, v19, v22, s44
	v_bfe_u32 v19, v21, 16, 1
	v_bfe_u32 v23, v20, 16, 1
	v_add3_u32 v20, v20, v23, s8
	v_add3_u32 v19, v21, v19, s8
	v_perm_b32 v23, v19, v20, s44
	v_cmp_gt_u32_e32 vcc, 2, v0
	ds_write2st64_b64 v18, v[28:29], v[22:23] offset0:2 offset1:3
	s_and_saveexec_b64 s[4:5], vcc
	s_cbranch_execz .LBB1225_17
; %bb.16:
	v_or_b32_e32 v20, s29, v0
	v_mov_b32_e32 v21, 0
	v_mov_b32_e32 v19, s7
	v_mad_u64_u32 v[22:23], s[10:11], s2, v19, v[20:21]
	v_mov_b32_e32 v20, s28
	s_load_dwordx4 s[12:15], s[0:1], 0x58
	s_mul_i32 s3, s3, s7
	v_mad_u64_u32 v[20:21], s[10:11], v22, s6, v[20:21]
	v_add_u32_e32 v19, s3, v23
	v_mov_b32_e32 v22, v21
	v_mad_u64_u32 v[22:23], s[10:11], v19, s6, v[22:23]
	v_mov_b32_e32 v21, v22
	v_lshlrev_b64 v[20:21], 2, v[20:21]
	s_waitcnt lgkmcnt(0)
	v_lshl_add_u64 v[22:23], s[14:15], 0, v[20:21]
	v_lshl_add_u64 v[20:21], s[12:13], 0, v[20:21]
	global_store_dword v[22:23], v32, off
	global_store_dword v[20:21], v33, off
.LBB1225_17:
	s_or_b64 exec, exec, s[4:5]
	s_waitcnt vmcnt(3)
	v_cvt_pk_f32_fp8_e32 v[20:21], v14
	v_cvt_pk_f32_fp8_sdwa v[22:23], v14 src0_sel:WORD_1
	s_mov_b32 s4, 0x7060302
	v_lshl_or_b32 v14, v1, 9, v27
	s_waitcnt lgkmcnt(0)
	s_barrier
	v_perm_b32 v24, v21, v20, s4
	v_perm_b32 v25, v23, v22, s4
	v_cvt_pk_f32_fp8_e32 v[28:29], v15
	ds_read_b128 v[20:23], v14
	v_cvt_pk_f32_fp8_sdwa v[36:37], v15 src0_sel:WORD_1
	s_load_dword s10, s[42:43], 0x0
	v_perm_b32 v38, v29, v28, s4
	ds_read_b128 v[28:31], v14 offset:16
	v_perm_b32 v39, v37, v36, s4
	s_waitcnt lgkmcnt(0)
	v_mfma_f32_16x16x16_bf16 v[32:35], v[24:25], v[20:21], 0
	v_cvt_pk_f32_fp8_e32 v[24:25], v16
	v_cvt_pk_f32_fp8_sdwa v[36:37], v16 src0_sel:WORD_1
	v_cmp_gt_u32_e32 vcc, 64, v0
	v_mfma_f32_16x16x16_bf16 v[20:23], v[38:39], v[22:23], v[32:35]
	v_perm_b32 v24, v25, v24, s4
	v_perm_b32 v25, v37, v36, s4
	s_mov_b32 s3, 0
	v_cvt_pk_f32_fp8_e32 v[32:33], v17
	v_cvt_pk_f32_fp8_sdwa v[16:17], v17 src0_sel:WORD_1
	s_waitcnt vmcnt(2)
	v_cvt_pk_f32_fp8_sdwa v[34:35], v10 src0_sel:WORD_1
	v_mfma_f32_16x16x16_bf16 v[20:23], v[24:25], v[28:29], v[20:23]
	v_perm_b32 v36, v33, v32, s4
	v_cvt_pk_f32_fp8_e32 v[32:33], v10
	v_perm_b32 v37, v17, v16, s4
	v_perm_b32 v17, v35, v34, s4
	v_cvt_pk_f32_fp8_e32 v[24:25], v11
	v_perm_b32 v16, v33, v32, s4
	ds_read_b128 v[32:35], v14 offset:2048
	v_cvt_pk_f32_fp8_sdwa v[10:11], v11 src0_sel:WORD_1
	v_mfma_f32_16x16x16_bf16 v[20:23], v[36:37], v[30:31], v[20:23]
	ds_read_b128 v[28:31], v14 offset:2064
	v_perm_b32 v24, v25, v24, s4
	v_perm_b32 v25, v11, v10, s4
	s_waitcnt lgkmcnt(1)
	v_mfma_f32_16x16x16_bf16 v[20:23], v[16:17], v[32:33], v[20:23]
	v_cvt_pk_f32_fp8_e32 v[10:11], v12
	v_cvt_pk_f32_fp8_sdwa v[16:17], v12 src0_sel:WORD_1
	s_waitcnt vmcnt(1)
	v_cvt_pk_f32_fp8_sdwa v[32:33], v6 src0_sel:WORD_1
	v_mfma_f32_16x16x16_bf16 v[20:23], v[24:25], v[34:35], v[20:23]
	v_cvt_pk_f32_fp8_e32 v[24:25], v13
	v_perm_b32 v10, v11, v10, s4
	v_perm_b32 v11, v17, v16, s4
	v_cvt_pk_f32_fp8_sdwa v[12:13], v13 src0_sel:WORD_1
	v_perm_b32 v16, v25, v24, s4
	v_cvt_pk_f32_fp8_e32 v[24:25], v6
	v_mov_b32_e32 v27, 0
	v_perm_b32 v17, v13, v12, s4
	s_waitcnt lgkmcnt(0)
	v_mfma_f32_16x16x16_bf16 v[10:13], v[10:11], v[28:29], v[20:23]
	v_perm_b32 v24, v25, v24, s4
	v_perm_b32 v25, v33, v32, s4
	v_cvt_pk_f32_fp8_e32 v[28:29], v7
	ds_read_b128 v[20:23], v14 offset:4096
	v_cvt_pk_f32_fp8_sdwa v[6:7], v7 src0_sel:WORD_1
	v_mfma_f32_16x16x16_bf16 v[10:13], v[16:17], v[30:31], v[10:13]
	v_perm_b32 v16, v29, v28, s4
	ds_read_b128 v[28:31], v14 offset:4112
	v_perm_b32 v17, v7, v6, s4
	s_waitcnt lgkmcnt(1)
	v_mfma_f32_16x16x16_bf16 v[10:13], v[24:25], v[20:21], v[10:13]
	v_cvt_pk_f32_fp8_e32 v[6:7], v8
	v_cvt_pk_f32_fp8_sdwa v[20:21], v8 src0_sel:WORD_1
	v_perm_b32 v6, v7, v6, s4
	v_mfma_f32_16x16x16_bf16 v[10:13], v[16:17], v[22:23], v[10:13]
	v_cvt_pk_f32_fp8_e32 v[16:17], v9
	v_perm_b32 v7, v21, v20, s4
	v_cvt_pk_f32_fp8_sdwa v[8:9], v9 src0_sel:WORD_1
	s_waitcnt vmcnt(0)
	v_cvt_pk_f32_fp8_e32 v[20:21], v2
	v_perm_b32 v16, v17, v16, s4
	v_cvt_pk_f32_fp8_sdwa v[22:23], v2 src0_sel:WORD_1
	v_perm_b32 v17, v9, v8, s4
	s_waitcnt lgkmcnt(0)
	v_mfma_f32_16x16x16_bf16 v[6:9], v[6:7], v[28:29], v[10:13]
	v_perm_b32 v20, v21, v20, s4
	v_perm_b32 v21, v23, v22, s4
	v_cvt_pk_f32_fp8_e32 v[22:23], v3
	ds_read_b128 v[10:13], v14 offset:6144
	v_cvt_pk_f32_fp8_sdwa v[2:3], v3 src0_sel:WORD_1
	v_mfma_f32_16x16x16_bf16 v[6:9], v[16:17], v[30:31], v[6:9]
	v_perm_b32 v22, v23, v22, s4
	ds_read_b128 v[14:17], v14 offset:6160
	v_perm_b32 v23, v3, v2, s4
	s_waitcnt lgkmcnt(1)
	v_mfma_f32_16x16x16_bf16 v[6:9], v[20:21], v[10:11], v[6:9]
	v_cvt_pk_f32_fp8_e32 v[2:3], v4
	v_cvt_pk_f32_fp8_sdwa v[10:11], v4 src0_sel:WORD_1
	s_waitcnt lgkmcnt(0)
	v_mfma_f32_16x16x16_bf16 v[6:9], v[22:23], v[12:13], v[6:9]
	v_perm_b32 v2, v3, v2, s4
	v_perm_b32 v3, v11, v10, s4
	v_cvt_pk_f32_fp8_e32 v[10:11], v5
	v_cvt_pk_f32_fp8_sdwa v[4:5], v5 src0_sel:WORD_1
	s_barrier
	v_perm_b32 v10, v11, v10, s4
	v_perm_b32 v11, v5, v4, s4
	v_mfma_f32_16x16x16_bf16 v[2:5], v[2:3], v[14:15], v[6:9]
	s_nop 0
	v_mfma_f32_16x16x16_bf16 v[2:5], v[10:11], v[16:17], v[2:5]
	s_nop 6
	v_pk_mul_f32 v[2:3], v[2:3], s[10:11] op_sel_hi:[1,0]
	v_pk_mul_f32 v[4:5], v[4:5], s[10:11] op_sel_hi:[1,0]
	v_bfe_u32 v6, v3, 16, 1
	v_bfe_u32 v7, v2, 16, 1
	v_add3_u32 v2, v2, v7, s8
	v_add3_u32 v3, v3, v6, s8
	v_perm_b32 v2, v3, v2, s4
	v_bfe_u32 v3, v5, 16, 1
	v_bfe_u32 v6, v4, 16, 1
	v_add3_u32 v4, v4, v6, s8
	v_add3_u32 v3, v5, v3, s8
	v_perm_b32 v3, v3, v4, s4
	v_cmp_gt_u32_e64 s[4:5], 32, v41
	s_and_b64 s[4:5], s[4:5], vcc
	s_and_b64 s[4:5], s[4:5], s[30:31]
	ds_write_b64 v18, v[2:3]
	s_waitcnt lgkmcnt(0)
	s_barrier
	s_and_saveexec_b64 s[8:9], s[4:5]
	s_cbranch_execz .LBB1225_19
; %bb.18:
	s_load_dwordx2 s[0:1], s[0:1], 0x68
	s_mul_i32 s2, s7, s2
	s_lshl_b32 s6, s6, 6
	s_mul_hi_u32 s5, s2, s6
	s_mul_i32 s4, s2, s6
	v_lshlrev_b32_e32 v0, 10, v0
	s_lshl_b64 s[4:5], s[4:5], 1
	v_and_b32_e32 v0, 0x1800, v0
	v_lshlrev_b32_e32 v2, 5, v1
	v_and_b32_e32 v3, 16, v40
	s_waitcnt lgkmcnt(0)
	s_add_u32 s4, s0, s4
	v_or3_b32 v0, v0, v2, v3
	s_addc_u32 s5, s1, s5
	s_lshl_b32 s2, s28, 6
	ds_read_b128 v[2:5], v0
	s_lshl_b64 s[0:1], s[2:3], 1
	s_add_u32 s0, s4, s0
	v_or_b32_e32 v0, s29, v1
	s_addc_u32 s1, s5, s1
	v_mad_u64_u32 v[0:1], s[2:3], s6, v0, 0
	v_lshl_add_u64 v[0:1], v[0:1], 1, s[0:1]
	v_lshl_add_u64 v[0:1], v[0:1], 0, v[26:27]
	s_waitcnt lgkmcnt(0)
	global_store_dwordx4 v[0:1], v[2:5], off
.LBB1225_19:
	s_endpgm
	.section	.rodata,"a",@progbits
	.p2align	6, 0x0
	.amdhsa_kernel _Z39paged_attention_ll4mi_QKV_mfma16_kernelI14__hip_bfloat16hLN4vllm18Fp8KVCacheDataTypeE1ES0_Li32ELi64ELi256ELb1ELi2EEvPKT_PKT0_S8_ifPKiSA_SA_iPKfiiiPfSD_PS3_PT2_iSC_SC_
		.amdhsa_group_segment_fixed_size 8192
		.amdhsa_private_segment_fixed_size 0
		.amdhsa_kernarg_size 400
		.amdhsa_user_sgpr_count 2
		.amdhsa_user_sgpr_dispatch_ptr 0
		.amdhsa_user_sgpr_queue_ptr 0
		.amdhsa_user_sgpr_kernarg_segment_ptr 1
		.amdhsa_user_sgpr_dispatch_id 0
		.amdhsa_user_sgpr_kernarg_preload_length 0
		.amdhsa_user_sgpr_kernarg_preload_offset 0
		.amdhsa_user_sgpr_private_segment_size 0
		.amdhsa_uses_dynamic_stack 0
		.amdhsa_enable_private_segment 0
		.amdhsa_system_sgpr_workgroup_id_x 1
		.amdhsa_system_sgpr_workgroup_id_y 1
		.amdhsa_system_sgpr_workgroup_id_z 1
		.amdhsa_system_sgpr_workgroup_info 0
		.amdhsa_system_vgpr_workitem_id 0
		.amdhsa_next_free_vgpr 73
		.amdhsa_next_free_sgpr 48
		.amdhsa_accum_offset 76
		.amdhsa_reserve_vcc 1
		.amdhsa_float_round_mode_32 0
		.amdhsa_float_round_mode_16_64 0
		.amdhsa_float_denorm_mode_32 3
		.amdhsa_float_denorm_mode_16_64 3
		.amdhsa_dx10_clamp 1
		.amdhsa_ieee_mode 1
		.amdhsa_fp16_overflow 0
		.amdhsa_tg_split 0
		.amdhsa_exception_fp_ieee_invalid_op 0
		.amdhsa_exception_fp_denorm_src 0
		.amdhsa_exception_fp_ieee_div_zero 0
		.amdhsa_exception_fp_ieee_overflow 0
		.amdhsa_exception_fp_ieee_underflow 0
		.amdhsa_exception_fp_ieee_inexact 0
		.amdhsa_exception_int_div_zero 0
	.end_amdhsa_kernel
	.section	.text._Z39paged_attention_ll4mi_QKV_mfma16_kernelI14__hip_bfloat16hLN4vllm18Fp8KVCacheDataTypeE1ES0_Li32ELi64ELi256ELb1ELi2EEvPKT_PKT0_S8_ifPKiSA_SA_iPKfiiiPfSD_PS3_PT2_iSC_SC_,"axG",@progbits,_Z39paged_attention_ll4mi_QKV_mfma16_kernelI14__hip_bfloat16hLN4vllm18Fp8KVCacheDataTypeE1ES0_Li32ELi64ELi256ELb1ELi2EEvPKT_PKT0_S8_ifPKiSA_SA_iPKfiiiPfSD_PS3_PT2_iSC_SC_,comdat
.Lfunc_end1225:
	.size	_Z39paged_attention_ll4mi_QKV_mfma16_kernelI14__hip_bfloat16hLN4vllm18Fp8KVCacheDataTypeE1ES0_Li32ELi64ELi256ELb1ELi2EEvPKT_PKT0_S8_ifPKiSA_SA_iPKfiiiPfSD_PS3_PT2_iSC_SC_, .Lfunc_end1225-_Z39paged_attention_ll4mi_QKV_mfma16_kernelI14__hip_bfloat16hLN4vllm18Fp8KVCacheDataTypeE1ES0_Li32ELi64ELi256ELb1ELi2EEvPKT_PKT0_S8_ifPKiSA_SA_iPKfiiiPfSD_PS3_PT2_iSC_SC_
                                        ; -- End function
	.section	.AMDGPU.csdata,"",@progbits
; Kernel info:
; codeLenInByte = 5124
; NumSgprs: 54
; NumVgprs: 73
; NumAgprs: 0
; TotalNumVgprs: 73
; ScratchSize: 0
; MemoryBound: 0
; FloatMode: 240
; IeeeMode: 1
; LDSByteSize: 8192 bytes/workgroup (compile time only)
; SGPRBlocks: 6
; VGPRBlocks: 9
; NumSGPRsForWavesPerEU: 54
; NumVGPRsForWavesPerEU: 73
; AccumOffset: 76
; Occupancy: 6
; WaveLimiterHint : 1
; COMPUTE_PGM_RSRC2:SCRATCH_EN: 0
; COMPUTE_PGM_RSRC2:USER_SGPR: 2
; COMPUTE_PGM_RSRC2:TRAP_HANDLER: 0
; COMPUTE_PGM_RSRC2:TGID_X_EN: 1
; COMPUTE_PGM_RSRC2:TGID_Y_EN: 1
; COMPUTE_PGM_RSRC2:TGID_Z_EN: 1
; COMPUTE_PGM_RSRC2:TIDIG_COMP_CNT: 0
; COMPUTE_PGM_RSRC3_GFX90A:ACCUM_OFFSET: 18
; COMPUTE_PGM_RSRC3_GFX90A:TG_SPLIT: 0
	.section	.text._Z39paged_attention_ll4mi_QKV_mfma16_kernelI14__hip_bfloat16hLN4vllm18Fp8KVCacheDataTypeE1ES0_Li32ELi64ELi256ELb1ELi3EEvPKT_PKT0_S8_ifPKiSA_SA_iPKfiiiPfSD_PS3_PT2_iSC_SC_,"axG",@progbits,_Z39paged_attention_ll4mi_QKV_mfma16_kernelI14__hip_bfloat16hLN4vllm18Fp8KVCacheDataTypeE1ES0_Li32ELi64ELi256ELb1ELi3EEvPKT_PKT0_S8_ifPKiSA_SA_iPKfiiiPfSD_PS3_PT2_iSC_SC_,comdat
	.protected	_Z39paged_attention_ll4mi_QKV_mfma16_kernelI14__hip_bfloat16hLN4vllm18Fp8KVCacheDataTypeE1ES0_Li32ELi64ELi256ELb1ELi3EEvPKT_PKT0_S8_ifPKiSA_SA_iPKfiiiPfSD_PS3_PT2_iSC_SC_ ; -- Begin function _Z39paged_attention_ll4mi_QKV_mfma16_kernelI14__hip_bfloat16hLN4vllm18Fp8KVCacheDataTypeE1ES0_Li32ELi64ELi256ELb1ELi3EEvPKT_PKT0_S8_ifPKiSA_SA_iPKfiiiPfSD_PS3_PT2_iSC_SC_
	.globl	_Z39paged_attention_ll4mi_QKV_mfma16_kernelI14__hip_bfloat16hLN4vllm18Fp8KVCacheDataTypeE1ES0_Li32ELi64ELi256ELb1ELi3EEvPKT_PKT0_S8_ifPKiSA_SA_iPKfiiiPfSD_PS3_PT2_iSC_SC_
	.p2align	8
	.type	_Z39paged_attention_ll4mi_QKV_mfma16_kernelI14__hip_bfloat16hLN4vllm18Fp8KVCacheDataTypeE1ES0_Li32ELi64ELi256ELb1ELi3EEvPKT_PKT0_S8_ifPKiSA_SA_iPKfiiiPfSD_PS3_PT2_iSC_SC_,@function
_Z39paged_attention_ll4mi_QKV_mfma16_kernelI14__hip_bfloat16hLN4vllm18Fp8KVCacheDataTypeE1ES0_Li32ELi64ELi256ELb1ELi3EEvPKT_PKT0_S8_ifPKiSA_SA_iPKfiiiPfSD_PS3_PT2_iSC_SC_: ; @_Z39paged_attention_ll4mi_QKV_mfma16_kernelI14__hip_bfloat16hLN4vllm18Fp8KVCacheDataTypeE1ES0_Li32ELi64ELi256ELb1ELi3EEvPKT_PKT0_S8_ifPKiSA_SA_iPKfiiiPfSD_PS3_PT2_iSC_SC_
; %bb.0:
	s_load_dwordx2 s[6:7], s[0:1], 0x30
	s_mov_b32 s28, s3
	s_mov_b64 s[8:9], 0
	s_waitcnt lgkmcnt(0)
	s_cmp_lg_u64 s[6:7], 0
	s_cselect_b64 s[10:11], -1, 0
	s_and_b64 vcc, exec, s[10:11]
	s_cbranch_vccz .LBB1226_7
; %bb.1:
	s_add_i32 s12, s2, 1
	s_mov_b32 s13, 0
	s_lshl_b64 s[14:15], s[12:13], 2
	s_add_u32 s14, s6, s14
	s_mov_b32 s3, s13
	s_addc_u32 s15, s7, s15
	s_lshl_b64 s[12:13], s[2:3], 2
	s_add_u32 s12, s6, s12
	s_addc_u32 s13, s7, s13
	s_load_dword s5, s[14:15], 0x0
	s_load_dword s16, s[12:13], 0x0
	s_waitcnt lgkmcnt(0)
	s_sub_i32 s5, s5, s16
	s_cmp_eq_u32 s5, 1
	s_cselect_b64 s[12:13], -1, 0
	s_andn2_b64 vcc, exec, s[8:9]
	s_cbranch_vccnz .LBB1226_3
.LBB1226_2:
	s_mov_b32 s3, 0
	s_mov_b64 s[12:13], -1
.LBB1226_3:
	s_andn2_b64 vcc, exec, s[12:13]
	s_cbranch_vccnz .LBB1226_19
; %bb.4:
	s_load_dwordx2 s[8:9], s[0:1], 0x28
	s_lshl_b64 s[12:13], s[2:3], 2
	s_waitcnt lgkmcnt(0)
	s_add_u32 s8, s8, s12
	s_addc_u32 s9, s9, s13
	s_load_dword s29, s[8:9], 0x0
	s_lshl_b32 s16, s28, 8
	s_waitcnt lgkmcnt(0)
	s_cmp_ge_i32 s16, s29
	s_cbranch_scc1 .LBB1226_19
; %bb.5:
	s_load_dwordx2 s[8:9], s[0:1], 0x20
	s_load_dword s5, s[0:1], 0x38
	s_add_i32 s14, s29, 31
	s_ashr_i32 s15, s14, 31
	v_and_b32_e32 v1, 0xcf, v0
	s_lshr_b32 s15, s15, 27
	v_add_u32_e32 v1, s16, v1
	s_add_i32 s14, s14, s15
	v_ashrrev_i32_e32 v2, 31, v1
	s_ashr_i32 s17, s14, 5
	v_lshrrev_b32_e32 v4, 27, v2
	s_add_i32 s17, s17, -1
	s_waitcnt lgkmcnt(0)
	s_mul_i32 s14, s2, s5
	s_mov_b32 s15, 0
	v_add_u32_e32 v2, v1, v4
	s_lshl_b64 s[14:15], s[14:15], 2
	v_ashrrev_i32_e32 v2, 5, v2
	v_mov_b32_e32 v5, s17
	v_cmp_gt_i32_e32 vcc, s29, v1
	s_add_u32 s8, s8, s14
	s_addc_u32 s9, s9, s15
	v_cndmask_b32_e32 v2, v5, v2, vcc
	v_ashrrev_i32_e32 v3, 31, v2
	v_lshl_add_u64 v[6:7], v[2:3], 2, s[8:9]
	v_or_b32_e32 v2, 16, v1
	v_add_u32_e32 v3, v2, v4
	v_ashrrev_i32_e32 v3, 5, v3
	v_cmp_gt_i32_e32 vcc, s29, v2
	s_load_dwordx2 s[14:15], s[0:1], 0x8
	s_nop 0
	v_cndmask_b32_e32 v2, v5, v3, vcc
	v_ashrrev_i32_e32 v3, 31, v2
	v_lshl_add_u64 v[8:9], v[2:3], 2, s[8:9]
	v_or_b32_e32 v2, 32, v1
	v_add_u32_e32 v3, v2, v4
	v_ashrrev_i32_e32 v3, 5, v3
	v_cmp_gt_i32_e32 vcc, s29, v2
	v_or_b32_e32 v1, 48, v1
	s_nop 0
	v_cndmask_b32_e32 v2, v5, v3, vcc
	v_ashrrev_i32_e32 v3, 31, v2
	v_lshl_add_u64 v[10:11], v[2:3], 2, s[8:9]
	v_add_u32_e32 v2, v1, v4
	v_ashrrev_i32_e32 v2, 5, v2
	v_cmp_gt_i32_e32 vcc, s29, v1
	s_nop 1
	v_cndmask_b32_e32 v2, v5, v2, vcc
	v_ashrrev_i32_e32 v3, 31, v2
	v_lshl_add_u64 v[12:13], v[2:3], 2, s[8:9]
	global_load_dword v5, v[6:7], off
	global_load_dword v4, v[8:9], off
	;; [unrolled: 1-line block ×4, first 2 shown]
	s_andn2_b64 vcc, exec, s[10:11]
	s_cbranch_vccnz .LBB1226_8
; %bb.6:
	s_add_u32 s6, s6, s12
	s_addc_u32 s7, s7, s13
	s_load_dword s5, s[6:7], 0x0
	s_branch .LBB1226_9
.LBB1226_7:
	s_mov_b64 s[12:13], 0
	s_branch .LBB1226_2
.LBB1226_8:
	s_mov_b32 s5, s2
.LBB1226_9:
	s_load_dwordx2 s[10:11], s[0:1], 0x10
	s_load_dwordx4 s[44:47], s[0:1], 0x48
	v_lshrrev_b32_e32 v29, 6, v0
	v_bfe_u32 v42, v0, 4, 2
	v_lshl_or_b32 v6, v29, 2, v42
	v_and_b32_e32 v28, 15, v0
	s_mul_i32 s48, s4, 3
	v_lshlrev_b32_e32 v7, 3, v28
	v_cmp_gt_u32_e32 vcc, 3, v6
	v_cmp_gt_u32_e64 s[30:31], 8, v28
	v_add_u32_e32 v1, s48, v42
	s_and_b64 s[12:13], s[30:31], vcc
	v_lshlrev_b32_e32 v26, 1, v7
	v_lshlrev_b32_e32 v43, 4, v0
	s_and_saveexec_b64 s[6:7], s[12:13]
	s_cbranch_execz .LBB1226_11
; %bb.10:
	s_load_dwordx2 s[12:13], s[0:1], 0x0
	s_waitcnt lgkmcnt(0)
	s_ashr_i32 s18, s44, 31
	s_mul_hi_u32 s19, s5, s44
	s_mul_i32 s18, s5, s18
	s_add_i32 s19, s19, s18
	s_mul_i32 s18, s5, s44
	s_lshl_b64 s[18:19], s[18:19], 1
	s_add_u32 s12, s12, s18
	v_lshlrev_b32_e32 v8, 6, v1
	s_addc_u32 s13, s13, s19
	v_ashrrev_i32_e32 v9, 31, v8
	v_lshl_add_u64 v[8:9], v[8:9], 1, s[12:13]
	v_mov_b32_e32 v27, 0
	v_lshl_add_u64 v[8:9], v[8:9], 0, v[26:27]
	global_load_dwordx4 v[8:11], v[8:9], off
	v_lshlrev_b32_e32 v12, 8, v28
	v_lshlrev_b32_e32 v6, 5, v6
	v_and_b32_e32 v7, 16, v43
	v_and_b32_e32 v12, 0xe00, v12
	v_or3_b32 v6, v12, v6, v7
	s_waitcnt vmcnt(0)
	ds_write_b128 v6, v[8:11]
.LBB1226_11:
	s_or_b64 exec, exec, s[6:7]
	s_waitcnt lgkmcnt(0)
	s_mul_i32 s12, s4, s46
	s_add_u32 s4, s14, s12
	s_addc_u32 s5, s15, 0
	v_mov_b32_e32 v31, 0
	v_mov_b64_e32 v[6:7], s[4:5]
	v_lshlrev_b32_e32 v10, 4, v28
	v_and_b32_e32 v27, 48, v0
	s_waitcnt vmcnt(3)
	v_mad_i64_i32 v[8:9], s[4:5], v5, s45, v[6:7]
	v_mov_b32_e32 v11, v31
	s_waitcnt vmcnt(2)
	v_mad_i64_i32 v[4:5], s[4:5], v4, s45, v[6:7]
	v_or_b32_e32 v12, 0x100, v10
	v_mov_b32_e32 v13, v31
	v_lshlrev_b32_e32 v30, 5, v27
	v_lshl_add_u64 v[8:9], v[8:9], 0, v[10:11]
	v_lshl_add_u64 v[4:5], v[4:5], 0, v[12:13]
	;; [unrolled: 1-line block ×4, first 2 shown]
	s_barrier
	global_load_dwordx4 v[22:25], v[8:9], off
	global_load_dwordx4 v[18:21], v[4:5], off
	s_waitcnt vmcnt(3)
	v_mad_i64_i32 v[4:5], s[4:5], v3, s45, v[6:7]
	v_lshl_add_u64 v[4:5], v[4:5], 0, v[10:11]
	s_waitcnt vmcnt(2)
	v_mad_i64_i32 v[2:3], s[4:5], v2, s45, v[6:7]
	v_lshl_add_u64 v[4:5], v[4:5], 0, v[30:31]
	v_lshl_add_u64 v[2:3], v[2:3], 0, v[12:13]
	;; [unrolled: 1-line block ×3, first 2 shown]
	global_load_dwordx4 v[14:17], v[4:5], off
	global_load_dwordx4 v[6:9], v[2:3], off
	v_mul_lo_u16_e32 v2, 0x56, v28
	v_mov_b32_e32 v3, 3
	v_mul_lo_u16_sdwa v2, v2, v3 dst_sel:DWORD dst_unused:UNUSED_PAD src0_sel:BYTE_1 src1_sel:DWORD
	v_sub_u16_e32 v2, v28, v2
	v_mov_b32_e32 v3, 5
	v_lshlrev_b32_sdwa v2, v3, v2 dst_sel:DWORD dst_unused:UNUSED_PAD src0_sel:DWORD src1_sel:BYTE_0
	v_lshl_add_u32 v2, v42, 9, v2
	ds_read_b128 v[10:13], v2
	ds_read_b128 v[2:5], v2 offset:16
	v_and_b32_e32 v44, 63, v0
	v_cmp_gt_u32_e32 vcc, 3, v28
	v_mov_b32_e32 v45, 0
	s_and_saveexec_b64 s[4:5], vcc
	s_cbranch_execz .LBB1226_13
; %bb.12:
	s_load_dwordx2 s[6:7], s[0:1], 0x40
	v_add_u32_e32 v32, s48, v28
	v_ashrrev_i32_e32 v33, 31, v32
	s_waitcnt lgkmcnt(0)
	v_lshl_add_u64 v[32:33], v[32:33], 2, s[6:7]
	global_load_dword v45, v[32:33], off
.LBB1226_13:
	s_or_b64 exec, exec, s[4:5]
	s_ashr_i32 s4, s16, 31
	v_or_b32_e32 v64, s16, v27
	s_lshr_b32 s13, s4, 27
	v_add_u32_e32 v27, s13, v64
	v_ashrrev_i32_e32 v27, 5, v27
	s_waitcnt vmcnt(3)
	v_cvt_pk_f32_fp8_e32 v[34:35], v22
	v_cvt_pk_f32_fp8_sdwa v[36:37], v22 src0_sel:WORD_1
	s_waitcnt vmcnt(2)
	v_cvt_pk_f32_fp8_e32 v[56:57], v20
	v_cvt_pk_f32_fp8_sdwa v[58:59], v20 src0_sel:WORD_1
	v_mov_b32_e32 v20, s17
	v_cmp_gt_i32_e32 vcc, s29, v64
	v_cvt_pk_f32_fp8_e32 v[32:33], v23
	v_cvt_pk_f32_fp8_sdwa v[22:23], v23 src0_sel:WORD_1
	v_cvt_pk_f32_fp8_e32 v[48:49], v18
	v_cvt_pk_f32_fp8_sdwa v[50:51], v18 src0_sel:WORD_1
	v_cndmask_b32_e32 v18, v20, v27, vcc
	v_cvt_pk_f32_fp8_e32 v[52:53], v19
	v_cvt_pk_f32_fp8_sdwa v[54:55], v19 src0_sel:WORD_1
	v_ashrrev_i32_e32 v19, 31, v18
	v_lshl_add_u64 v[18:19], v[18:19], 2, s[8:9]
	s_mov_b32 s33, 0x7060302
	global_load_dword v70, v[18:19], off
	v_perm_b32 v18, v35, v34, s33
	v_perm_b32 v19, v37, v36, s33
	v_cvt_pk_f32_fp8_e32 v[46:47], v25
	v_perm_b32 v32, v33, v32, s33
	v_perm_b32 v33, v23, v22, s33
	;; [unrolled: 1-line block ×4, first 2 shown]
	v_cvt_pk_f32_fp8_e32 v[38:39], v24
	v_cvt_pk_f32_fp8_sdwa v[40:41], v24 src0_sel:WORD_1
	v_cvt_pk_f32_fp8_sdwa v[24:25], v25 src0_sel:WORD_1
	v_cvt_pk_f32_fp8_e32 v[60:61], v21
	v_cvt_pk_f32_fp8_sdwa v[62:63], v21 src0_sel:WORD_1
	v_or_b32_e32 v21, 64, v64
	v_or_b32_e32 v34, 0x80, v64
	;; [unrolled: 1-line block ×3, first 2 shown]
	v_cmp_gt_i32_e32 vcc, s29, v21
	v_add_u32_e32 v21, s13, v21
	v_cmp_gt_i32_e64 s[4:5], s29, v34
	v_add_u32_e32 v34, s13, v34
	v_cmp_gt_i32_e64 s[6:7], s29, v35
	v_add_u32_e32 v35, s13, v35
	v_ashrrev_i32_e32 v21, 5, v21
	v_ashrrev_i32_e32 v34, 5, v34
	;; [unrolled: 1-line block ×3, first 2 shown]
	v_cndmask_b32_e32 v36, v20, v21, vcc
	v_cndmask_b32_e64 v64, v20, v34, s[4:5]
	v_cndmask_b32_e64 v66, v20, v35, s[6:7]
	v_perm_b32 v68, v47, v46, s33
	s_waitcnt lgkmcnt(1)
	v_mfma_f32_16x16x16_bf16 v[18:21], v[18:19], v[10:11], 0
	v_perm_b32 v46, v53, v52, s33
	v_perm_b32 v47, v55, v54, s33
	;; [unrolled: 1-line block ×3, first 2 shown]
	v_mfma_f32_16x16x16_bf16 v[22:25], v[22:23], v[10:11], 0
	v_perm_b32 v38, v39, v38, s33
	v_perm_b32 v39, v41, v40, s33
	s_load_dword s14, s[0:1], 0x1c
	s_load_dwordx4 s[40:43], s[0:1], 0x80
	v_perm_b32 v48, v57, v56, s33
	v_perm_b32 v49, v59, v58, s33
	v_mfma_f32_16x16x16_bf16 v[32:35], v[32:33], v[12:13], v[18:21]
	s_add_u32 s10, s10, s12
	v_and_b32_e32 v30, 16, v0
	v_lshlrev_b32_e32 v27, 5, v28
	v_mfma_f32_16x16x16_bf16 v[20:23], v[46:47], v[12:13], v[22:25]
	s_addc_u32 s11, s11, 0
	v_lshl_add_u64 v[40:41], s[10:11], 0, v[30:31]
	v_lshl_or_b32 v30, v29, 9, v27
	v_ashrrev_i32_e32 v37, 31, v36
	v_ashrrev_i32_e32 v65, 31, v64
	;; [unrolled: 1-line block ×3, first 2 shown]
	v_lshl_add_u64 v[18:19], v[40:41], 0, v[30:31]
	s_waitcnt lgkmcnt(0)
	v_mfma_f32_16x16x16_bf16 v[30:33], v[38:39], v[2:3], v[32:35]
	v_lshl_add_u64 v[24:25], v[36:37], 2, s[8:9]
	v_lshl_add_u64 v[36:37], v[66:67], 2, s[8:9]
	s_load_dword s6, s[40:41], 0x0
	v_lshl_add_u64 v[34:35], v[64:65], 2, s[8:9]
	v_mfma_f32_16x16x16_bf16 v[20:23], v[48:49], v[2:3], v[20:23]
	global_load_dword v48, v[24:25], off
	global_load_dword v46, v[34:35], off
	;; [unrolled: 1-line block ×3, first 2 shown]
	s_waitcnt vmcnt(5)
	v_cvt_pk_f32_fp8_e32 v[34:35], v14
	v_cvt_pk_f32_fp8_sdwa v[36:37], v14 src0_sel:WORD_1
	v_perm_b32 v50, v61, v60, s33
	v_perm_b32 v51, v63, v62, s33
	v_cvt_pk_f32_fp8_e32 v[38:39], v15
	v_perm_b32 v34, v35, v34, s33
	v_perm_b32 v35, v37, v36, s33
	v_cvt_pk_f32_fp8_sdwa v[14:15], v15 src0_sel:WORD_1
	v_mov_b32_e32 v40, s14
	s_waitcnt lgkmcnt(0)
	v_mul_f32_e32 v52, s6, v40
	v_mfma_f32_16x16x16_bf16 v[20:23], v[50:51], v[4:5], v[20:23]
	v_perm_b32 v38, v39, v38, s33
	v_cvt_pk_f32_fp8_e32 v[40:41], v16
	v_cvt_pk_f32_fp8_sdwa v[50:51], v16 src0_sel:WORD_1
	v_perm_b32 v39, v15, v14, s33
	v_mfma_f32_16x16x16_bf16 v[34:37], v[34:35], v[10:11], 0
	v_perm_b32 v40, v41, v40, s33
	v_perm_b32 v41, v51, v50, s33
	v_cvt_pk_f32_fp8_e32 v[50:51], v17
	v_cvt_pk_f32_fp8_sdwa v[54:55], v17 src0_sel:WORD_1
	v_mfma_f32_16x16x16_bf16 v[30:33], v[68:69], v[4:5], v[30:33]
	s_mov_b32 s44, 0xff7fffff
	s_waitcnt vmcnt(3)
	v_mad_i64_i32 v[24:25], s[4:5], v70, s45, v[18:19]
	v_mfma_f32_16x16x16_bf16 v[14:17], v[38:39], v[12:13], v[34:37]
	s_nop 2
	v_perm_b32 v34, v51, v50, s33
	v_perm_b32 v35, v55, v54, s33
	v_mfma_f32_16x16x16_bf16 v[14:17], v[40:41], v[2:3], v[14:17]
	v_pk_mul_f32 v[38:39], v[52:53], v[30:31] op_sel_hi:[0,1]
	v_cvt_pk_f32_fp8_e32 v[30:31], v6
	v_cvt_pk_f32_fp8_sdwa v[36:37], v6 src0_sel:WORD_1
	v_mfma_f32_16x16x16_bf16 v[14:17], v[34:35], v[4:5], v[14:17]
	v_cvt_pk_f32_fp8_e32 v[34:35], v7
	v_perm_b32 v30, v31, v30, s33
	v_perm_b32 v31, v37, v36, s33
	v_cvt_pk_f32_fp8_sdwa v[6:7], v7 src0_sel:WORD_1
	v_perm_b32 v40, v35, v34, s33
	v_cvt_pk_f32_fp8_e32 v[50:51], v8
	v_cvt_pk_f32_fp8_sdwa v[54:55], v8 src0_sel:WORD_1
	v_perm_b32 v41, v7, v6, s33
	v_mfma_f32_16x16x16_bf16 v[34:37], v[30:31], v[10:11], 0
	v_perm_b32 v10, v51, v50, s33
	v_perm_b32 v11, v55, v54, s33
	v_cvt_pk_f32_fp8_e32 v[30:31], v9
	v_cvt_pk_f32_fp8_sdwa v[50:51], v9 src0_sel:WORD_1
	v_mfma_f32_16x16x16_bf16 v[6:9], v[40:41], v[12:13], v[34:37]
	v_pk_mul_f32 v[40:41], v[52:53], v[20:21] op_sel_hi:[0,1]
	v_perm_b32 v12, v31, v30, s33
	v_perm_b32 v13, v51, v50, s33
	v_mfma_f32_16x16x16_bf16 v[6:9], v[10:11], v[2:3], v[6:9]
	v_pk_mul_f32 v[36:37], v[52:53], v[22:23] op_sel_hi:[0,1]
	v_pk_mul_f32 v[32:33], v[52:53], v[32:33] op_sel_hi:[0,1]
	;; [unrolled: 1-line block ×3, first 2 shown]
	v_mfma_f32_16x16x16_bf16 v[2:5], v[12:13], v[4:5], v[6:9]
	v_pk_mul_f32 v[34:35], v[52:53], v[14:15] op_sel_hi:[0,1]
	s_nop 5
	v_pk_mul_f32 v[22:23], v[52:53], v[2:3] op_sel_hi:[0,1]
	v_and_b32_e32 v2, 0xc0, v0
	v_add_u32_e32 v2, s16, v2
	v_lshl_or_b32 v2, v42, 2, v2
	v_or_b32_e32 v3, 1, v2
	v_pk_mul_f32 v[20:21], v[52:53], v[4:5] op_sel_hi:[0,1]
	v_subrev_u32_e32 v4, s29, v3
	v_add_u32_e32 v6, 1, v4
	v_add_u32_e32 v7, 2, v4
	;; [unrolled: 1-line block ×3, first 2 shown]
	v_cvt_f32_i32_e32 v6, v6
	v_cvt_f32_i32_e32 v7, v7
	;; [unrolled: 1-line block ×3, first 2 shown]
	v_add_u32_e32 v9, 19, v4
	v_fmac_f32_e32 v39, v45, v6
	v_fma_f32 v32, v45, v7, v32
	v_fmac_f32_e32 v33, v45, v8
	v_add_u32_e32 v6, 16, v4
	v_add_u32_e32 v7, 17, v4
	;; [unrolled: 1-line block ×3, first 2 shown]
	v_cvt_f32_i32_e32 v6, v6
	v_cvt_f32_i32_e32 v7, v7
	;; [unrolled: 1-line block ×4, first 2 shown]
	v_fma_f32 v40, v45, v6, v40
	v_fmac_f32_e32 v41, v45, v7
	v_fma_f32 v36, v45, v8, v36
	v_add_u32_e32 v6, 32, v4
	v_add_u32_e32 v7, 33, v4
	;; [unrolled: 1-line block ×3, first 2 shown]
	v_cvt_f32_i32_e32 v6, v6
	v_cvt_f32_i32_e32 v7, v7
	;; [unrolled: 1-line block ×4, first 2 shown]
	v_fmac_f32_e32 v37, v45, v9
	v_add_u32_e32 v9, 35, v4
	v_fma_f32 v49, v45, v6, v34
	v_fmac_f32_e32 v35, v45, v7
	v_fma_f32 v30, v45, v8, v30
	v_add_u32_e32 v6, 48, v4
	v_add_u32_e32 v7, 49, v4
	;; [unrolled: 1-line block ×4, first 2 shown]
	v_cvt_f32_i32_e32 v4, v4
	v_cvt_f32_i32_e32 v6, v6
	;; [unrolled: 1-line block ×3, first 2 shown]
	v_fma_f32 v5, v45, v5, v38
	v_fmac_f32_e32 v21, v45, v4
	v_mov_b32_e32 v4, 0xff7fffff
	v_cmp_gt_i32_e64 s[4:5], s29, v2
	v_cmp_gt_i32_e64 s[34:35], s29, v3
	v_fma_f32 v22, v45, v6, v22
	v_cndmask_b32_e64 v6, v4, v5, s[4:5]
	v_cndmask_b32_e64 v3, v4, v39, s[34:35]
	v_fmac_f32_e32 v23, v45, v7
	v_max3_f32 v3, v6, s44, v3
	v_or_b32_e32 v6, 2, v2
	v_or_b32_e32 v7, 3, v2
	v_cmp_gt_i32_e64 s[36:37], s29, v6
	v_cmp_gt_i32_e64 s[38:39], s29, v7
	v_cvt_f32_i32_e32 v9, v9
	v_cndmask_b32_e64 v6, v4, v32, s[36:37]
	v_cndmask_b32_e64 v7, v4, v33, s[38:39]
	v_max3_f32 v3, v3, v6, v7
	v_or_b32_e32 v6, 16, v2
	v_or_b32_e32 v7, 17, v2
	v_cmp_gt_i32_e64 s[24:25], s29, v6
	v_cmp_gt_i32_e64 s[26:27], s29, v7
	v_fmac_f32_e32 v31, v45, v9
	v_cndmask_b32_e64 v6, v4, v40, s[24:25]
	v_cndmask_b32_e64 v7, v4, v41, s[26:27]
	v_max3_f32 v3, v3, v6, v7
	v_or_b32_e32 v6, 18, v2
	v_or_b32_e32 v7, 19, v2
	v_cmp_gt_i32_e64 s[20:21], s29, v6
	v_cmp_gt_i32_e64 s[22:23], s29, v7
	v_cvt_f32_i32_e32 v8, v8
	v_cndmask_b32_e64 v6, v4, v36, s[20:21]
	v_cndmask_b32_e64 v7, v4, v37, s[22:23]
	v_max3_f32 v3, v3, v6, v7
	v_or_b32_e32 v6, 32, v2
	v_or_b32_e32 v7, 33, v2
	v_cmp_gt_i32_e64 s[16:17], s29, v6
	v_cmp_gt_i32_e64 s[18:19], s29, v7
	v_fma_f32 v20, v45, v8, v20
	v_cndmask_b32_e64 v6, v4, v49, s[16:17]
	v_cndmask_b32_e64 v7, v4, v35, s[18:19]
	v_max3_f32 v3, v3, v6, v7
	v_or_b32_e32 v6, 34, v2
	v_or_b32_e32 v7, 35, v2
	v_cmp_gt_i32_e64 s[12:13], s29, v6
	v_cmp_gt_i32_e64 s[14:15], s29, v7
	s_nop 0
	v_cndmask_b32_e64 v6, v4, v30, s[12:13]
	v_cndmask_b32_e64 v7, v4, v31, s[14:15]
	v_max3_f32 v3, v3, v6, v7
	v_or_b32_e32 v6, 48, v2
	v_or_b32_e32 v7, 49, v2
	v_cmp_gt_i32_e64 s[8:9], s29, v6
	v_cmp_gt_i32_e64 s[10:11], s29, v7
	s_nop 0
	v_cndmask_b32_e64 v6, v4, v22, s[8:9]
	v_cndmask_b32_e64 v7, v4, v23, s[10:11]
	v_max3_f32 v3, v3, v6, v7
	v_or_b32_e32 v6, 50, v2
	v_or_b32_e32 v2, 51, v2
	v_cmp_gt_i32_e32 vcc, s29, v6
	v_cmp_gt_i32_e64 s[6:7], s29, v2
	s_nop 0
	v_cndmask_b32_e32 v6, v4, v20, vcc
	v_cndmask_b32_e64 v2, v4, v21, s[6:7]
	v_max3_f32 v4, v3, v6, v2
	v_mbcnt_lo_u32_b32 v2, -1, 0
	v_mbcnt_hi_u32_b32 v6, -1, v2
	v_and_b32_e32 v2, 64, v6
	v_add_u32_e32 v7, 64, v2
	v_xor_b32_e32 v2, 32, v6
	v_cmp_lt_i32_e64 s[40:41], v2, v7
	s_nop 1
	v_cndmask_b32_e64 v2, v6, v2, s[40:41]
	v_lshlrev_b32_e32 v45, 2, v2
	ds_bpermute_b32 v8, v45, v4
	s_waitcnt vmcnt(2)
	v_mad_i64_i32 v[2:3], s[40:41], v48, s45, v[18:19]
	global_load_dwordx4 v[14:17], v[24:25], off
	global_load_dwordx4 v[10:13], v[2:3], off
	v_xor_b32_e32 v3, 16, v6
	v_cmp_lt_i32_e64 s[40:41], v3, v7
	s_waitcnt lgkmcnt(0)
	v_max_f32_e32 v2, v8, v8
	v_max_f32_e32 v2, v4, v2
	v_cndmask_b32_e64 v3, v6, v3, s[40:41]
	v_lshlrev_b32_e32 v48, 2, v3
	ds_bpermute_b32 v3, v48, v2
	s_waitcnt vmcnt(3)
	v_mad_i64_i32 v[24:25], s[40:41], v46, s45, v[18:19]
	s_waitcnt vmcnt(2)
	v_mad_i64_i32 v[18:19], s[40:41], v47, s45, v[18:19]
	s_waitcnt lgkmcnt(0)
	v_max_f32_e32 v3, v3, v3
	v_max_f32_e32 v34, v2, v3
	v_sub_f32_e32 v2, v5, v34
	v_mul_f32_e32 v2, 0x3fb8aa3b, v2
	v_exp_f32_e32 v38, v2
	v_sub_f32_e32 v2, v39, v34
	v_mul_f32_e32 v2, 0x3fb8aa3b, v2
	v_exp_f32_e32 v39, v2
	global_load_dwordx4 v[6:9], v[24:25], off
	global_load_dwordx4 v[2:5], v[18:19], off
	v_sub_f32_e32 v25, v32, v34
	v_sub_f32_e32 v32, v33, v34
	v_mul_f32_e32 v25, 0x3fb8aa3b, v25
	v_mul_f32_e32 v32, 0x3fb8aa3b, v32
	v_exp_f32_e32 v25, v25
	v_exp_f32_e32 v32, v32
	v_cndmask_b32_e64 v18, 0, v38, s[4:5]
	v_cndmask_b32_e64 v19, 0, v39, s[34:35]
	;; [unrolled: 1-line block ×4, first 2 shown]
	v_sub_f32_e32 v25, v40, v34
	v_sub_f32_e32 v32, v41, v34
	v_mul_f32_e32 v25, 0x3fb8aa3b, v25
	v_mul_f32_e32 v32, 0x3fb8aa3b, v32
	v_exp_f32_e32 v25, v25
	v_exp_f32_e32 v32, v32
	v_add_f32_e32 v24, 0, v18
	v_add_f32_e32 v24, v24, v19
	v_add_f32_e32 v24, v24, v38
	v_add_f32_e32 v33, v24, v39
	v_cndmask_b32_e64 v24, 0, v25, s[24:25]
	v_cndmask_b32_e64 v25, 0, v32, s[26:27]
	v_sub_f32_e32 v32, v36, v34
	v_mul_f32_e32 v32, 0x3fb8aa3b, v32
	v_exp_f32_e32 v32, v32
	v_sub_f32_e32 v36, v37, v34
	v_add_f32_e32 v33, v33, v24
	v_mul_f32_e32 v36, 0x3fb8aa3b, v36
	v_exp_f32_e32 v37, v36
	v_add_f32_e32 v33, v33, v25
	v_cndmask_b32_e64 v36, 0, v32, s[20:21]
	v_add_f32_e32 v32, v33, v36
	v_sub_f32_e32 v33, v49, v34
	v_mul_f32_e32 v33, 0x3fb8aa3b, v33
	v_sub_f32_e32 v35, v35, v34
	v_exp_f32_e32 v33, v33
	v_mul_f32_e32 v35, 0x3fb8aa3b, v35
	v_sub_f32_e32 v30, v30, v34
	v_exp_f32_e32 v35, v35
	;; [unrolled: 3-line block ×3, first 2 shown]
	v_mul_f32_e32 v31, 0x3fb8aa3b, v31
	v_sub_f32_e32 v22, v22, v34
	v_cndmask_b32_e64 v37, 0, v37, s[22:23]
	v_exp_f32_e32 v31, v31
	v_mul_f32_e32 v22, 0x3fb8aa3b, v22
	v_sub_f32_e32 v23, v23, v34
	v_add_f32_e32 v40, v32, v37
	v_cndmask_b32_e64 v32, 0, v33, s[16:17]
	v_exp_f32_e32 v22, v22
	v_mul_f32_e32 v23, 0x3fb8aa3b, v23
	v_sub_f32_e32 v20, v20, v34
	v_add_f32_e32 v40, v40, v32
	;; [unrolled: 5-line block ×3, first 2 shown]
	v_cndmask_b32_e64 v30, 0, v30, s[12:13]
	v_exp_f32_e32 v20, v20
	v_mul_f32_e32 v21, 0x3fb8aa3b, v21
	v_add_f32_e32 v35, v35, v30
	v_cndmask_b32_e64 v31, 0, v31, s[14:15]
	v_exp_f32_e32 v21, v21
	v_add_f32_e32 v35, v35, v31
	v_cndmask_b32_e64 v22, 0, v22, s[8:9]
	v_add_f32_e32 v35, v35, v22
	v_cndmask_b32_e64 v23, 0, v23, s[10:11]
	v_add_f32_e32 v35, v35, v23
	v_cndmask_b32_e32 v20, 0, v20, vcc
	v_add_f32_e32 v35, v35, v20
	v_cndmask_b32_e64 v21, 0, v21, s[6:7]
	v_add_f32_e32 v35, v35, v21
	ds_bpermute_b32 v40, v45, v35
	s_load_dword s7, s[0:1], 0x98
	v_cmp_gt_u32_e32 vcc, 16, v44
	s_waitcnt lgkmcnt(0)
	s_barrier
	v_add_f32_e32 v40, v35, v40
	ds_bpermute_b32 v41, v48, v40
	v_lshlrev_b32_e32 v35, 2, v28
	s_waitcnt lgkmcnt(0)
	s_and_saveexec_b64 s[4:5], vcc
	s_cbranch_execz .LBB1226_15
; %bb.14:
	v_add_f32_e32 v40, v40, v41
	v_lshl_or_b32 v41, v29, 6, v35
	ds_write2st64_b32 v41, v34, v40 offset1:1
.LBB1226_15:
	s_or_b64 exec, exec, s[4:5]
	s_load_dword s6, s[0:1], 0x94
	s_waitcnt lgkmcnt(0)
	s_barrier
	ds_read2_b32 v[40:41], v35 offset1:16
	ds_read2_b32 v[44:45], v35 offset0:32 offset1:48
	ds_read2_b32 v[46:47], v35 offset0:64 offset1:80
	s_movk_i32 s8, 0x7fff
	s_mul_i32 s7, s7, 3
	s_waitcnt lgkmcnt(2)
	v_max3_f32 v34, v40, s44, v41
	s_waitcnt lgkmcnt(1)
	v_max3_f32 v34, v34, v44, v45
	v_sub_f32_e32 v40, v40, v34
	v_mul_f32_e32 v40, 0x3fb8aa3b, v40
	v_exp_f32_e32 v48, v40
	v_sub_f32_e32 v40, v41, v34
	v_mul_f32_e32 v40, 0x3fb8aa3b, v40
	v_exp_f32_e32 v49, v40
	;; [unrolled: 3-line block ×3, first 2 shown]
	ds_read2_b32 v[40:41], v35 offset0:96 offset1:112
	v_sub_f32_e32 v35, v45, v34
	v_mul_f32_e32 v35, 0x3fb8aa3b, v35
	v_exp_f32_e32 v45, v35
	s_waitcnt lgkmcnt(1)
	v_fma_f32 v35, v48, v46, 0
	v_fmac_f32_e32 v35, v49, v47
	s_waitcnt lgkmcnt(0)
	v_fmac_f32_e32 v35, v44, v40
	v_fmac_f32_e32 v35, v45, v41
	v_add_f32_e32 v40, 0x358637bd, v35
	v_div_scale_f32 v41, s[4:5], v40, v40, 1.0
	v_rcp_f32_e32 v46, v41
	s_barrier
	v_fma_f32 v47, -v41, v46, 1.0
	v_fmac_f32_e32 v46, v47, v46
	v_div_scale_f32 v47, vcc, 1.0, v40, 1.0
	v_mul_f32_e32 v50, v47, v46
	v_fma_f32 v51, -v41, v50, v47
	v_fmac_f32_e32 v50, v51, v46
	v_fma_f32 v41, -v41, v50, v47
	v_div_fmas_f32 v41, v41, v46, v50
	v_cmp_eq_u32_e32 vcc, 1, v29
	v_div_fixup_f32 v40, v41, v40, 1.0
	s_nop 0
	v_cndmask_b32_e32 v41, v48, v49, vcc
	v_cmp_eq_u32_e32 vcc, 2, v29
	s_nop 1
	v_cndmask_b32_e32 v41, v41, v44, vcc
	v_cmp_eq_u32_e32 vcc, 3, v29
	s_nop 1
	v_cndmask_b32_e32 v41, v41, v45, vcc
	v_mul_f32_e32 v40, v41, v40
	v_pk_mul_f32 v[18:19], v[40:41], v[18:19] op_sel_hi:[0,1]
	v_pk_mul_f32 v[38:39], v[40:41], v[38:39] op_sel_hi:[0,1]
	v_bfe_u32 v41, v19, 16, 1
	v_bfe_u32 v44, v18, 16, 1
	v_add3_u32 v18, v18, v44, s8
	v_add3_u32 v19, v19, v41, s8
	v_perm_b32 v44, v19, v18, s33
	v_bfe_u32 v18, v39, 16, 1
	v_bfe_u32 v19, v38, 16, 1
	v_add3_u32 v19, v38, v19, s8
	v_add3_u32 v18, v39, v18, s8
	v_perm_b32 v45, v18, v19, s33
	v_lshlrev_b32_e32 v18, 3, v42
	v_lshlrev_b32_e32 v19, 11, v29
	v_pk_mul_f32 v[24:25], v[40:41], v[24:25] op_sel_hi:[0,1]
	v_or3_b32 v18, v19, v27, v18
	v_bfe_u32 v19, v25, 16, 1
	v_bfe_u32 v29, v24, 16, 1
	v_pk_mul_f32 v[36:37], v[40:41], v[36:37] op_sel_hi:[0,1]
	v_add3_u32 v24, v24, v29, s8
	v_add3_u32 v19, v25, v19, s8
	v_perm_b32 v24, v19, v24, s33
	v_bfe_u32 v19, v37, 16, 1
	v_bfe_u32 v25, v36, 16, 1
	v_add3_u32 v25, v36, v25, s8
	v_add3_u32 v19, v37, v19, s8
	v_perm_b32 v25, v19, v25, s33
	ds_write2st64_b64 v18, v[44:45], v[24:25] offset1:1
	v_pk_mul_f32 v[24:25], v[40:41], v[30:31] op_sel_hi:[0,1]
	v_pk_mul_f32 v[30:31], v[40:41], v[32:33] op_sel_hi:[0,1]
	v_bfe_u32 v19, v31, 16, 1
	v_bfe_u32 v29, v30, 16, 1
	v_add3_u32 v29, v30, v29, s8
	v_add3_u32 v19, v31, v19, s8
	v_perm_b32 v30, v19, v29, s33
	v_bfe_u32 v19, v25, 16, 1
	v_bfe_u32 v29, v24, 16, 1
	v_add3_u32 v24, v24, v29, s8
	v_add3_u32 v19, v25, v19, s8
	v_pk_mul_f32 v[22:23], v[40:41], v[22:23] op_sel_hi:[0,1]
	v_perm_b32 v31, v19, v24, s33
	v_bfe_u32 v19, v23, 16, 1
	v_bfe_u32 v24, v22, 16, 1
	v_pk_mul_f32 v[20:21], v[40:41], v[20:21] op_sel_hi:[0,1]
	v_add3_u32 v22, v22, v24, s8
	v_add3_u32 v19, v23, v19, s8
	v_perm_b32 v22, v19, v22, s33
	v_bfe_u32 v19, v21, 16, 1
	v_bfe_u32 v23, v20, 16, 1
	v_add3_u32 v20, v20, v23, s8
	v_add3_u32 v19, v21, v19, s8
	v_perm_b32 v23, v19, v20, s33
	v_cmp_gt_u32_e32 vcc, 3, v0
	ds_write2st64_b64 v18, v[30:31], v[22:23] offset0:2 offset1:3
	s_and_saveexec_b64 s[4:5], vcc
	s_cbranch_execz .LBB1226_17
; %bb.16:
	s_mov_b32 s49, 0
	v_mov_b32_e32 v29, 0
	v_lshl_add_u64 v[20:21], s[48:49], 0, v[28:29]
	v_mov_b32_e32 v19, s7
	v_mad_u64_u32 v[20:21], s[10:11], s2, v19, v[20:21]
	s_mul_i32 s3, s3, s7
	v_mov_b32_e32 v28, s28
	s_load_dwordx4 s[12:15], s[0:1], 0x58
	v_add_u32_e32 v19, s3, v21
	v_mad_u64_u32 v[20:21], s[10:11], v20, s6, v[28:29]
	v_mov_b32_e32 v22, v21
	v_mad_u64_u32 v[22:23], s[10:11], v19, s6, v[22:23]
	v_mov_b32_e32 v21, v22
	v_lshlrev_b64 v[20:21], 2, v[20:21]
	s_waitcnt lgkmcnt(0)
	v_lshl_add_u64 v[22:23], s[14:15], 0, v[20:21]
	v_lshl_add_u64 v[20:21], s[12:13], 0, v[20:21]
	global_store_dword v[22:23], v34, off
	global_store_dword v[20:21], v35, off
.LBB1226_17:
	s_or_b64 exec, exec, s[4:5]
	s_waitcnt vmcnt(3)
	v_cvt_pk_f32_fp8_e32 v[20:21], v14
	v_cvt_pk_f32_fp8_sdwa v[22:23], v14 src0_sel:WORD_1
	s_mov_b32 s4, 0x7060302
	v_lshl_or_b32 v14, v42, 9, v27
	s_waitcnt lgkmcnt(0)
	s_barrier
	v_perm_b32 v24, v21, v20, s4
	v_perm_b32 v25, v23, v22, s4
	v_cvt_pk_f32_fp8_e32 v[28:29], v15
	ds_read_b128 v[20:23], v14
	v_cvt_pk_f32_fp8_sdwa v[36:37], v15 src0_sel:WORD_1
	s_load_dword s10, s[42:43], 0x0
	v_perm_b32 v38, v29, v28, s4
	ds_read_b128 v[28:31], v14 offset:16
	v_perm_b32 v39, v37, v36, s4
	s_waitcnt lgkmcnt(0)
	v_mfma_f32_16x16x16_bf16 v[32:35], v[24:25], v[20:21], 0
	v_cvt_pk_f32_fp8_e32 v[24:25], v16
	v_cvt_pk_f32_fp8_sdwa v[36:37], v16 src0_sel:WORD_1
	v_cmp_gt_u32_e32 vcc, 64, v0
	v_mfma_f32_16x16x16_bf16 v[20:23], v[38:39], v[22:23], v[32:35]
	v_perm_b32 v24, v25, v24, s4
	v_perm_b32 v25, v37, v36, s4
	s_mov_b32 s3, 0
	v_cvt_pk_f32_fp8_e32 v[32:33], v17
	v_cvt_pk_f32_fp8_sdwa v[16:17], v17 src0_sel:WORD_1
	s_waitcnt vmcnt(2)
	v_cvt_pk_f32_fp8_sdwa v[34:35], v10 src0_sel:WORD_1
	v_mfma_f32_16x16x16_bf16 v[20:23], v[24:25], v[28:29], v[20:23]
	v_perm_b32 v36, v33, v32, s4
	v_cvt_pk_f32_fp8_e32 v[32:33], v10
	v_perm_b32 v37, v17, v16, s4
	v_perm_b32 v17, v35, v34, s4
	v_cvt_pk_f32_fp8_e32 v[24:25], v11
	v_perm_b32 v16, v33, v32, s4
	ds_read_b128 v[32:35], v14 offset:2048
	v_cvt_pk_f32_fp8_sdwa v[10:11], v11 src0_sel:WORD_1
	v_mfma_f32_16x16x16_bf16 v[20:23], v[36:37], v[30:31], v[20:23]
	ds_read_b128 v[28:31], v14 offset:2064
	v_perm_b32 v24, v25, v24, s4
	v_perm_b32 v25, v11, v10, s4
	s_waitcnt lgkmcnt(1)
	v_mfma_f32_16x16x16_bf16 v[20:23], v[16:17], v[32:33], v[20:23]
	v_cvt_pk_f32_fp8_e32 v[10:11], v12
	v_cvt_pk_f32_fp8_sdwa v[16:17], v12 src0_sel:WORD_1
	s_waitcnt vmcnt(1)
	v_cvt_pk_f32_fp8_sdwa v[32:33], v6 src0_sel:WORD_1
	v_mfma_f32_16x16x16_bf16 v[20:23], v[24:25], v[34:35], v[20:23]
	v_cvt_pk_f32_fp8_e32 v[24:25], v13
	v_perm_b32 v10, v11, v10, s4
	v_perm_b32 v11, v17, v16, s4
	v_cvt_pk_f32_fp8_sdwa v[12:13], v13 src0_sel:WORD_1
	v_perm_b32 v16, v25, v24, s4
	v_cvt_pk_f32_fp8_e32 v[24:25], v6
	v_mov_b32_e32 v27, 0
	v_perm_b32 v17, v13, v12, s4
	s_waitcnt lgkmcnt(0)
	v_mfma_f32_16x16x16_bf16 v[10:13], v[10:11], v[28:29], v[20:23]
	v_perm_b32 v24, v25, v24, s4
	v_perm_b32 v25, v33, v32, s4
	v_cvt_pk_f32_fp8_e32 v[28:29], v7
	ds_read_b128 v[20:23], v14 offset:4096
	v_cvt_pk_f32_fp8_sdwa v[6:7], v7 src0_sel:WORD_1
	v_mfma_f32_16x16x16_bf16 v[10:13], v[16:17], v[30:31], v[10:13]
	v_perm_b32 v16, v29, v28, s4
	ds_read_b128 v[28:31], v14 offset:4112
	v_perm_b32 v17, v7, v6, s4
	s_waitcnt lgkmcnt(1)
	v_mfma_f32_16x16x16_bf16 v[10:13], v[24:25], v[20:21], v[10:13]
	v_cvt_pk_f32_fp8_e32 v[6:7], v8
	v_cvt_pk_f32_fp8_sdwa v[20:21], v8 src0_sel:WORD_1
	v_perm_b32 v6, v7, v6, s4
	v_mfma_f32_16x16x16_bf16 v[10:13], v[16:17], v[22:23], v[10:13]
	v_cvt_pk_f32_fp8_e32 v[16:17], v9
	v_perm_b32 v7, v21, v20, s4
	v_cvt_pk_f32_fp8_sdwa v[8:9], v9 src0_sel:WORD_1
	s_waitcnt vmcnt(0)
	v_cvt_pk_f32_fp8_e32 v[20:21], v2
	v_perm_b32 v16, v17, v16, s4
	v_cvt_pk_f32_fp8_sdwa v[22:23], v2 src0_sel:WORD_1
	v_perm_b32 v17, v9, v8, s4
	s_waitcnt lgkmcnt(0)
	v_mfma_f32_16x16x16_bf16 v[6:9], v[6:7], v[28:29], v[10:13]
	v_perm_b32 v20, v21, v20, s4
	v_perm_b32 v21, v23, v22, s4
	v_cvt_pk_f32_fp8_e32 v[22:23], v3
	ds_read_b128 v[10:13], v14 offset:6144
	v_cvt_pk_f32_fp8_sdwa v[2:3], v3 src0_sel:WORD_1
	v_mfma_f32_16x16x16_bf16 v[6:9], v[16:17], v[30:31], v[6:9]
	v_perm_b32 v22, v23, v22, s4
	ds_read_b128 v[14:17], v14 offset:6160
	v_perm_b32 v23, v3, v2, s4
	s_waitcnt lgkmcnt(1)
	v_mfma_f32_16x16x16_bf16 v[6:9], v[20:21], v[10:11], v[6:9]
	v_cvt_pk_f32_fp8_e32 v[2:3], v4
	v_cvt_pk_f32_fp8_sdwa v[10:11], v4 src0_sel:WORD_1
	s_waitcnt lgkmcnt(0)
	v_mfma_f32_16x16x16_bf16 v[6:9], v[22:23], v[12:13], v[6:9]
	v_perm_b32 v2, v3, v2, s4
	v_perm_b32 v3, v11, v10, s4
	v_cvt_pk_f32_fp8_e32 v[10:11], v5
	v_cvt_pk_f32_fp8_sdwa v[4:5], v5 src0_sel:WORD_1
	s_barrier
	v_perm_b32 v10, v11, v10, s4
	v_perm_b32 v11, v5, v4, s4
	v_mfma_f32_16x16x16_bf16 v[2:5], v[2:3], v[14:15], v[6:9]
	s_nop 0
	v_mfma_f32_16x16x16_bf16 v[2:5], v[10:11], v[16:17], v[2:5]
	s_nop 6
	v_pk_mul_f32 v[2:3], v[2:3], s[10:11] op_sel_hi:[1,0]
	v_pk_mul_f32 v[4:5], v[4:5], s[10:11] op_sel_hi:[1,0]
	v_bfe_u32 v6, v3, 16, 1
	v_bfe_u32 v7, v2, 16, 1
	v_add3_u32 v2, v2, v7, s8
	v_add3_u32 v3, v3, v6, s8
	v_perm_b32 v2, v3, v2, s4
	v_bfe_u32 v3, v5, 16, 1
	v_bfe_u32 v6, v4, 16, 1
	v_add3_u32 v4, v4, v6, s8
	v_add3_u32 v3, v5, v3, s8
	v_perm_b32 v3, v3, v4, s4
	v_cmp_ne_u32_e64 s[4:5], 3, v42
	s_and_b64 s[4:5], s[4:5], vcc
	s_and_b64 s[4:5], s[4:5], s[30:31]
	ds_write_b64 v18, v[2:3]
	s_waitcnt lgkmcnt(0)
	s_barrier
	s_and_saveexec_b64 s[8:9], s[4:5]
	s_cbranch_execz .LBB1226_19
; %bb.18:
	s_load_dwordx2 s[0:1], s[0:1], 0x68
	s_mul_i32 s2, s7, s2
	s_lshl_b32 s6, s6, 6
	s_mul_hi_u32 s5, s2, s6
	s_mul_i32 s4, s2, s6
	v_lshlrev_b32_e32 v0, 10, v0
	s_lshl_b64 s[4:5], s[4:5], 1
	v_and_b32_e32 v0, 0x1800, v0
	v_lshlrev_b32_e32 v2, 5, v42
	v_and_b32_e32 v3, 16, v43
	s_waitcnt lgkmcnt(0)
	s_add_u32 s4, s0, s4
	v_or3_b32 v0, v0, v2, v3
	s_addc_u32 s5, s1, s5
	s_lshl_b32 s2, s28, 6
	ds_read_b128 v[2:5], v0
	s_lshl_b64 s[0:1], s[2:3], 1
	s_add_u32 s0, s4, s0
	s_addc_u32 s1, s5, s1
	v_mad_u64_u32 v[0:1], s[2:3], s6, v1, 0
	v_lshl_add_u64 v[0:1], v[0:1], 1, s[0:1]
	v_lshl_add_u64 v[0:1], v[0:1], 0, v[26:27]
	s_waitcnt lgkmcnt(0)
	global_store_dwordx4 v[0:1], v[2:5], off
.LBB1226_19:
	s_endpgm
	.section	.rodata,"a",@progbits
	.p2align	6, 0x0
	.amdhsa_kernel _Z39paged_attention_ll4mi_QKV_mfma16_kernelI14__hip_bfloat16hLN4vllm18Fp8KVCacheDataTypeE1ES0_Li32ELi64ELi256ELb1ELi3EEvPKT_PKT0_S8_ifPKiSA_SA_iPKfiiiPfSD_PS3_PT2_iSC_SC_
		.amdhsa_group_segment_fixed_size 8192
		.amdhsa_private_segment_fixed_size 0
		.amdhsa_kernarg_size 400
		.amdhsa_user_sgpr_count 2
		.amdhsa_user_sgpr_dispatch_ptr 0
		.amdhsa_user_sgpr_queue_ptr 0
		.amdhsa_user_sgpr_kernarg_segment_ptr 1
		.amdhsa_user_sgpr_dispatch_id 0
		.amdhsa_user_sgpr_kernarg_preload_length 0
		.amdhsa_user_sgpr_kernarg_preload_offset 0
		.amdhsa_user_sgpr_private_segment_size 0
		.amdhsa_uses_dynamic_stack 0
		.amdhsa_enable_private_segment 0
		.amdhsa_system_sgpr_workgroup_id_x 1
		.amdhsa_system_sgpr_workgroup_id_y 1
		.amdhsa_system_sgpr_workgroup_id_z 1
		.amdhsa_system_sgpr_workgroup_info 0
		.amdhsa_system_vgpr_workitem_id 0
		.amdhsa_next_free_vgpr 71
		.amdhsa_next_free_sgpr 50
		.amdhsa_accum_offset 72
		.amdhsa_reserve_vcc 1
		.amdhsa_float_round_mode_32 0
		.amdhsa_float_round_mode_16_64 0
		.amdhsa_float_denorm_mode_32 3
		.amdhsa_float_denorm_mode_16_64 3
		.amdhsa_dx10_clamp 1
		.amdhsa_ieee_mode 1
		.amdhsa_fp16_overflow 0
		.amdhsa_tg_split 0
		.amdhsa_exception_fp_ieee_invalid_op 0
		.amdhsa_exception_fp_denorm_src 0
		.amdhsa_exception_fp_ieee_div_zero 0
		.amdhsa_exception_fp_ieee_overflow 0
		.amdhsa_exception_fp_ieee_underflow 0
		.amdhsa_exception_fp_ieee_inexact 0
		.amdhsa_exception_int_div_zero 0
	.end_amdhsa_kernel
	.section	.text._Z39paged_attention_ll4mi_QKV_mfma16_kernelI14__hip_bfloat16hLN4vllm18Fp8KVCacheDataTypeE1ES0_Li32ELi64ELi256ELb1ELi3EEvPKT_PKT0_S8_ifPKiSA_SA_iPKfiiiPfSD_PS3_PT2_iSC_SC_,"axG",@progbits,_Z39paged_attention_ll4mi_QKV_mfma16_kernelI14__hip_bfloat16hLN4vllm18Fp8KVCacheDataTypeE1ES0_Li32ELi64ELi256ELb1ELi3EEvPKT_PKT0_S8_ifPKiSA_SA_iPKfiiiPfSD_PS3_PT2_iSC_SC_,comdat
.Lfunc_end1226:
	.size	_Z39paged_attention_ll4mi_QKV_mfma16_kernelI14__hip_bfloat16hLN4vllm18Fp8KVCacheDataTypeE1ES0_Li32ELi64ELi256ELb1ELi3EEvPKT_PKT0_S8_ifPKiSA_SA_iPKfiiiPfSD_PS3_PT2_iSC_SC_, .Lfunc_end1226-_Z39paged_attention_ll4mi_QKV_mfma16_kernelI14__hip_bfloat16hLN4vllm18Fp8KVCacheDataTypeE1ES0_Li32ELi64ELi256ELb1ELi3EEvPKT_PKT0_S8_ifPKiSA_SA_iPKfiiiPfSD_PS3_PT2_iSC_SC_
                                        ; -- End function
	.section	.AMDGPU.csdata,"",@progbits
; Kernel info:
; codeLenInByte = 5172
; NumSgprs: 56
; NumVgprs: 71
; NumAgprs: 0
; TotalNumVgprs: 71
; ScratchSize: 0
; MemoryBound: 0
; FloatMode: 240
; IeeeMode: 1
; LDSByteSize: 8192 bytes/workgroup (compile time only)
; SGPRBlocks: 6
; VGPRBlocks: 8
; NumSGPRsForWavesPerEU: 56
; NumVGPRsForWavesPerEU: 71
; AccumOffset: 72
; Occupancy: 7
; WaveLimiterHint : 1
; COMPUTE_PGM_RSRC2:SCRATCH_EN: 0
; COMPUTE_PGM_RSRC2:USER_SGPR: 2
; COMPUTE_PGM_RSRC2:TRAP_HANDLER: 0
; COMPUTE_PGM_RSRC2:TGID_X_EN: 1
; COMPUTE_PGM_RSRC2:TGID_Y_EN: 1
; COMPUTE_PGM_RSRC2:TGID_Z_EN: 1
; COMPUTE_PGM_RSRC2:TIDIG_COMP_CNT: 0
; COMPUTE_PGM_RSRC3_GFX90A:ACCUM_OFFSET: 17
; COMPUTE_PGM_RSRC3_GFX90A:TG_SPLIT: 0
	.section	.text._Z39paged_attention_ll4mi_QKV_mfma16_kernelI14__hip_bfloat16hLN4vllm18Fp8KVCacheDataTypeE1ES0_Li32ELi64ELi256ELb1ELi4EEvPKT_PKT0_S8_ifPKiSA_SA_iPKfiiiPfSD_PS3_PT2_iSC_SC_,"axG",@progbits,_Z39paged_attention_ll4mi_QKV_mfma16_kernelI14__hip_bfloat16hLN4vllm18Fp8KVCacheDataTypeE1ES0_Li32ELi64ELi256ELb1ELi4EEvPKT_PKT0_S8_ifPKiSA_SA_iPKfiiiPfSD_PS3_PT2_iSC_SC_,comdat
	.protected	_Z39paged_attention_ll4mi_QKV_mfma16_kernelI14__hip_bfloat16hLN4vllm18Fp8KVCacheDataTypeE1ES0_Li32ELi64ELi256ELb1ELi4EEvPKT_PKT0_S8_ifPKiSA_SA_iPKfiiiPfSD_PS3_PT2_iSC_SC_ ; -- Begin function _Z39paged_attention_ll4mi_QKV_mfma16_kernelI14__hip_bfloat16hLN4vllm18Fp8KVCacheDataTypeE1ES0_Li32ELi64ELi256ELb1ELi4EEvPKT_PKT0_S8_ifPKiSA_SA_iPKfiiiPfSD_PS3_PT2_iSC_SC_
	.globl	_Z39paged_attention_ll4mi_QKV_mfma16_kernelI14__hip_bfloat16hLN4vllm18Fp8KVCacheDataTypeE1ES0_Li32ELi64ELi256ELb1ELi4EEvPKT_PKT0_S8_ifPKiSA_SA_iPKfiiiPfSD_PS3_PT2_iSC_SC_
	.p2align	8
	.type	_Z39paged_attention_ll4mi_QKV_mfma16_kernelI14__hip_bfloat16hLN4vllm18Fp8KVCacheDataTypeE1ES0_Li32ELi64ELi256ELb1ELi4EEvPKT_PKT0_S8_ifPKiSA_SA_iPKfiiiPfSD_PS3_PT2_iSC_SC_,@function
_Z39paged_attention_ll4mi_QKV_mfma16_kernelI14__hip_bfloat16hLN4vllm18Fp8KVCacheDataTypeE1ES0_Li32ELi64ELi256ELb1ELi4EEvPKT_PKT0_S8_ifPKiSA_SA_iPKfiiiPfSD_PS3_PT2_iSC_SC_: ; @_Z39paged_attention_ll4mi_QKV_mfma16_kernelI14__hip_bfloat16hLN4vllm18Fp8KVCacheDataTypeE1ES0_Li32ELi64ELi256ELb1ELi4EEvPKT_PKT0_S8_ifPKiSA_SA_iPKfiiiPfSD_PS3_PT2_iSC_SC_
; %bb.0:
	s_load_dwordx2 s[6:7], s[0:1], 0x30
	s_mov_b32 s22, s3
	s_mov_b64 s[8:9], 0
	s_waitcnt lgkmcnt(0)
	s_cmp_lg_u64 s[6:7], 0
	s_cselect_b64 s[10:11], -1, 0
	s_and_b64 vcc, exec, s[10:11]
	s_cbranch_vccz .LBB1227_7
; %bb.1:
	s_add_i32 s12, s2, 1
	s_mov_b32 s13, 0
	s_lshl_b64 s[14:15], s[12:13], 2
	s_add_u32 s14, s6, s14
	s_mov_b32 s3, s13
	s_addc_u32 s15, s7, s15
	s_lshl_b64 s[12:13], s[2:3], 2
	s_add_u32 s12, s6, s12
	s_addc_u32 s13, s7, s13
	s_load_dword s5, s[14:15], 0x0
	s_load_dword s16, s[12:13], 0x0
	s_waitcnt lgkmcnt(0)
	s_sub_i32 s5, s5, s16
	s_cmp_eq_u32 s5, 1
	s_cselect_b64 s[12:13], -1, 0
	s_andn2_b64 vcc, exec, s[8:9]
	s_cbranch_vccnz .LBB1227_3
.LBB1227_2:
	s_mov_b32 s3, 0
	s_mov_b64 s[12:13], -1
.LBB1227_3:
	s_andn2_b64 vcc, exec, s[12:13]
	s_cbranch_vccnz .LBB1227_19
; %bb.4:
	s_load_dwordx2 s[8:9], s[0:1], 0x28
	s_lshl_b64 s[12:13], s[2:3], 2
	s_waitcnt lgkmcnt(0)
	s_add_u32 s8, s8, s12
	s_addc_u32 s9, s9, s13
	s_load_dword s33, s[8:9], 0x0
	s_lshl_b32 s16, s22, 8
	s_waitcnt lgkmcnt(0)
	s_cmp_ge_i32 s16, s33
	s_cbranch_scc1 .LBB1227_19
; %bb.5:
	s_load_dwordx2 s[8:9], s[0:1], 0x20
	s_load_dword s5, s[0:1], 0x38
	s_add_i32 s14, s33, 31
	s_ashr_i32 s15, s14, 31
	v_and_b32_e32 v1, 0xcf, v0
	s_lshr_b32 s15, s15, 27
	v_add_u32_e32 v1, s16, v1
	s_add_i32 s14, s14, s15
	v_ashrrev_i32_e32 v2, 31, v1
	s_ashr_i32 s17, s14, 5
	v_lshrrev_b32_e32 v4, 27, v2
	s_add_i32 s17, s17, -1
	s_waitcnt lgkmcnt(0)
	s_mul_i32 s14, s2, s5
	s_mov_b32 s15, 0
	v_add_u32_e32 v2, v1, v4
	s_lshl_b64 s[14:15], s[14:15], 2
	v_ashrrev_i32_e32 v2, 5, v2
	v_mov_b32_e32 v5, s17
	v_cmp_gt_i32_e32 vcc, s33, v1
	s_add_u32 s8, s8, s14
	s_addc_u32 s9, s9, s15
	v_cndmask_b32_e32 v2, v5, v2, vcc
	v_ashrrev_i32_e32 v3, 31, v2
	v_lshl_add_u64 v[6:7], v[2:3], 2, s[8:9]
	v_or_b32_e32 v2, 16, v1
	v_add_u32_e32 v3, v2, v4
	v_ashrrev_i32_e32 v3, 5, v3
	v_cmp_gt_i32_e32 vcc, s33, v2
	s_load_dwordx2 s[14:15], s[0:1], 0x8
	s_nop 0
	v_cndmask_b32_e32 v2, v5, v3, vcc
	v_ashrrev_i32_e32 v3, 31, v2
	v_lshl_add_u64 v[8:9], v[2:3], 2, s[8:9]
	v_or_b32_e32 v2, 32, v1
	v_add_u32_e32 v3, v2, v4
	v_ashrrev_i32_e32 v3, 5, v3
	v_cmp_gt_i32_e32 vcc, s33, v2
	v_or_b32_e32 v1, 48, v1
	s_nop 0
	v_cndmask_b32_e32 v2, v5, v3, vcc
	v_ashrrev_i32_e32 v3, 31, v2
	v_lshl_add_u64 v[10:11], v[2:3], 2, s[8:9]
	v_add_u32_e32 v2, v1, v4
	v_ashrrev_i32_e32 v2, 5, v2
	v_cmp_gt_i32_e32 vcc, s33, v1
	s_nop 1
	v_cndmask_b32_e32 v2, v5, v2, vcc
	v_ashrrev_i32_e32 v3, 31, v2
	v_lshl_add_u64 v[12:13], v[2:3], 2, s[8:9]
	global_load_dword v5, v[6:7], off
	global_load_dword v4, v[8:9], off
	;; [unrolled: 1-line block ×4, first 2 shown]
	s_andn2_b64 vcc, exec, s[10:11]
	s_cbranch_vccnz .LBB1227_8
; %bb.6:
	s_add_u32 s6, s6, s12
	s_addc_u32 s7, s7, s13
	s_load_dword s5, s[6:7], 0x0
	s_branch .LBB1227_9
.LBB1227_7:
	s_mov_b64 s[12:13], 0
	s_branch .LBB1227_2
.LBB1227_8:
	s_mov_b32 s5, s2
.LBB1227_9:
	s_load_dwordx2 s[10:11], s[0:1], 0x10
	s_load_dwordx4 s[44:47], s[0:1], 0x48
	v_and_b32_e32 v44, 15, v0
	v_bfe_u32 v42, v0, 4, 2
	s_lshl_b32 s23, s4, 2
	v_lshlrev_b32_e32 v6, 3, v44
	v_cmp_gt_u32_e32 vcc, 64, v0
	v_cmp_gt_u32_e64 s[6:7], 8, v44
	v_lshrrev_b32_e32 v43, 6, v0
	v_or_b32_e32 v1, s23, v42
	s_and_b64 s[48:49], vcc, s[6:7]
	v_lshlrev_b32_e32 v26, 1, v6
	v_lshlrev_b32_e32 v40, 5, v42
	;; [unrolled: 1-line block ×3, first 2 shown]
	s_and_saveexec_b64 s[6:7], s[48:49]
	s_cbranch_execz .LBB1227_11
; %bb.10:
	s_load_dwordx2 s[12:13], s[0:1], 0x0
	s_waitcnt lgkmcnt(0)
	s_ashr_i32 s18, s44, 31
	s_mul_hi_u32 s19, s5, s44
	s_mul_i32 s18, s5, s18
	s_add_i32 s19, s19, s18
	s_mul_i32 s18, s5, s44
	s_lshl_b64 s[18:19], s[18:19], 1
	s_add_u32 s12, s12, s18
	v_lshlrev_b32_e32 v6, 6, v1
	s_addc_u32 s13, s13, s19
	v_ashrrev_i32_e32 v7, 31, v6
	v_lshl_add_u64 v[6:7], v[6:7], 1, s[12:13]
	v_mov_b32_e32 v27, 0
	v_lshl_add_u64 v[6:7], v[6:7], 0, v[26:27]
	global_load_dwordx4 v[6:9], v[6:7], off
	v_lshlrev_b32_e32 v12, 8, v44
	v_lshl_or_b32 v10, v43, 7, v40
	v_and_b32_e32 v11, 16, v41
	v_and_b32_e32 v12, 0xe00, v12
	v_or3_b32 v10, v12, v10, v11
	s_waitcnt vmcnt(0)
	ds_write_b128 v10, v[6:9]
.LBB1227_11:
	s_or_b64 exec, exec, s[6:7]
	s_waitcnt lgkmcnt(0)
	s_mul_i32 s6, s4, s46
	s_add_u32 s4, s14, s6
	s_addc_u32 s5, s15, 0
	v_mov_b32_e32 v29, 0
	v_mov_b64_e32 v[6:7], s[4:5]
	v_lshlrev_b32_e32 v10, 4, v44
	v_and_b32_e32 v27, 48, v0
	s_waitcnt vmcnt(3)
	v_mad_i64_i32 v[8:9], s[4:5], v5, s45, v[6:7]
	v_mov_b32_e32 v11, v29
	s_waitcnt vmcnt(2)
	v_mad_i64_i32 v[4:5], s[4:5], v4, s45, v[6:7]
	v_or_b32_e32 v12, 0x100, v10
	v_mov_b32_e32 v13, v29
	v_lshlrev_b32_e32 v28, 5, v27
	v_lshl_add_u64 v[8:9], v[8:9], 0, v[10:11]
	v_lshl_add_u64 v[4:5], v[4:5], 0, v[12:13]
	;; [unrolled: 1-line block ×4, first 2 shown]
	s_barrier
	global_load_dwordx4 v[22:25], v[8:9], off
	global_load_dwordx4 v[18:21], v[4:5], off
	s_waitcnt vmcnt(3)
	v_mad_i64_i32 v[4:5], s[4:5], v3, s45, v[6:7]
	v_lshl_add_u64 v[4:5], v[4:5], 0, v[10:11]
	s_waitcnt vmcnt(2)
	v_mad_i64_i32 v[2:3], s[4:5], v2, s45, v[6:7]
	v_lshl_add_u64 v[4:5], v[4:5], 0, v[28:29]
	v_lshl_add_u64 v[2:3], v[2:3], 0, v[12:13]
	;; [unrolled: 1-line block ×3, first 2 shown]
	global_load_dwordx4 v[14:17], v[4:5], off
	global_load_dwordx4 v[6:9], v[2:3], off
	v_and_b32_e32 v2, 3, v0
	v_lshlrev_b32_e32 v2, 5, v2
	v_lshl_or_b32 v2, v42, 9, v2
	ds_read_b128 v[10:13], v2
	ds_read_b128 v[2:5], v2 offset:16
	v_and_b32_e32 v45, 63, v0
	v_cmp_gt_u32_e32 vcc, 4, v44
	v_mov_b32_e32 v46, 0
	s_and_saveexec_b64 s[4:5], vcc
	s_cbranch_execz .LBB1227_13
; %bb.12:
	s_load_dwordx2 s[12:13], s[0:1], 0x40
	v_or_b32_e32 v30, s23, v44
	v_ashrrev_i32_e32 v31, 31, v30
	s_waitcnt lgkmcnt(0)
	v_lshl_add_u64 v[30:31], v[30:31], 2, s[12:13]
	global_load_dword v46, v[30:31], off
.LBB1227_13:
	s_or_b64 exec, exec, s[4:5]
	s_ashr_i32 s4, s16, 31
	v_or_b32_e32 v47, s16, v27
	s_lshr_b32 s4, s4, 27
	v_add_u32_e32 v27, s4, v47
	v_ashrrev_i32_e32 v27, 5, v27
	v_mov_b32_e32 v67, s17
	v_cmp_gt_i32_e32 vcc, s33, v47
	s_waitcnt vmcnt(3)
	v_cvt_pk_f32_fp8_sdwa v[32:33], v22 src0_sel:WORD_1
	v_cvt_pk_f32_fp8_e32 v[34:35], v23
	v_cndmask_b32_e32 v30, v67, v27, vcc
	v_ashrrev_i32_e32 v31, 31, v30
	v_lshl_add_u64 v[30:31], v[30:31], 2, s[8:9]
	global_load_dword v74, v[30:31], off
	v_cvt_pk_f32_fp8_e32 v[30:31], v22
	v_cvt_pk_f32_fp8_sdwa v[22:23], v23 src0_sel:WORD_1
	s_waitcnt vmcnt(3)
	v_cvt_pk_f32_fp8_e32 v[50:51], v18
	v_cvt_pk_f32_fp8_sdwa v[52:53], v18 src0_sel:WORD_1
	v_or_b32_e32 v18, 64, v47
	v_cvt_pk_f32_fp8_e32 v[58:59], v20
	v_cvt_pk_f32_fp8_sdwa v[60:61], v20 src0_sel:WORD_1
	v_cvt_pk_f32_fp8_e32 v[62:63], v21
	v_cvt_pk_f32_fp8_sdwa v[64:65], v21 src0_sel:WORD_1
	v_or_b32_e32 v20, 0xc0, v47
	v_add_u32_e32 v21, s4, v18
	s_mov_b32 s44, 0x7060302
	v_cvt_pk_f32_fp8_e32 v[54:55], v19
	v_cvt_pk_f32_fp8_sdwa v[56:57], v19 src0_sel:WORD_1
	v_or_b32_e32 v19, 0x80, v47
	v_add_u32_e32 v66, s4, v20
	v_ashrrev_i32_e32 v21, 5, v21
	v_cmp_gt_i32_e32 vcc, s33, v18
	v_add_u32_e32 v47, s4, v19
	v_ashrrev_i32_e32 v69, 5, v66
	v_cndmask_b32_e32 v66, v67, v21, vcc
	v_cmp_gt_i32_e32 vcc, s33, v19
	v_perm_b32 v18, v31, v30, s44
	v_perm_b32 v19, v33, v32, s44
	v_cvt_pk_f32_fp8_sdwa v[38:39], v24 src0_sel:WORD_1
	v_perm_b32 v31, v23, v22, s44
	v_perm_b32 v22, v51, v50, s44
	;; [unrolled: 1-line block ×3, first 2 shown]
	v_cvt_pk_f32_fp8_e32 v[36:37], v24
	v_cvt_pk_f32_fp8_e32 v[48:49], v25
	v_cvt_pk_f32_fp8_sdwa v[24:25], v25 src0_sel:WORD_1
	v_ashrrev_i32_e32 v47, 5, v47
	v_perm_b32 v30, v35, v34, s44
	v_cndmask_b32_e32 v68, v67, v47, vcc
	v_cmp_gt_i32_e32 vcc, s33, v20
	v_perm_b32 v35, v39, v38, s44
	s_waitcnt lgkmcnt(1)
	v_mfma_f32_16x16x16_bf16 v[18:21], v[18:19], v[10:11], 0
	v_perm_b32 v38, v55, v54, s44
	v_perm_b32 v39, v57, v56, s44
	;; [unrolled: 1-line block ×4, first 2 shown]
	v_mfma_f32_16x16x16_bf16 v[22:25], v[22:23], v[10:11], 0
	s_load_dword s7, s[0:1], 0x1c
	s_load_dwordx4 s[40:43], s[0:1], 0x80
	v_perm_b32 v36, v49, v48, s44
	v_perm_b32 v48, v59, v58, s44
	;; [unrolled: 1-line block ×3, first 2 shown]
	v_mfma_f32_16x16x16_bf16 v[30:33], v[30:31], v[12:13], v[18:21]
	s_add_u32 s4, s10, s6
	v_and_b32_e32 v28, 16, v0
	v_lshlrev_b32_e32 v27, 5, v44
	v_mfma_f32_16x16x16_bf16 v[20:23], v[38:39], v[12:13], v[22:25]
	s_addc_u32 s5, s11, 0
	v_cndmask_b32_e32 v70, v67, v69, vcc
	v_lshl_add_u64 v[72:73], s[4:5], 0, v[28:29]
	v_lshl_or_b32 v28, v43, 9, v27
	v_ashrrev_i32_e32 v67, 31, v66
	v_ashrrev_i32_e32 v69, 31, v68
	;; [unrolled: 1-line block ×3, first 2 shown]
	v_lshl_add_u64 v[18:19], v[72:73], 0, v[28:29]
	s_waitcnt lgkmcnt(0)
	v_mfma_f32_16x16x16_bf16 v[28:31], v[34:35], v[2:3], v[30:33]
	v_lshl_add_u64 v[24:25], v[66:67], 2, s[8:9]
	v_lshl_add_u64 v[34:35], v[70:71], 2, s[8:9]
	s_load_dword s6, s[40:41], 0x0
	v_lshl_add_u64 v[32:33], v[68:69], 2, s[8:9]
	v_mfma_f32_16x16x16_bf16 v[20:23], v[48:49], v[2:3], v[20:23]
	global_load_dword v49, v[24:25], off
	global_load_dword v47, v[32:33], off
	;; [unrolled: 1-line block ×3, first 2 shown]
	s_waitcnt vmcnt(5)
	v_cvt_pk_f32_fp8_e32 v[32:33], v14
	v_cvt_pk_f32_fp8_sdwa v[34:35], v14 src0_sel:WORD_1
	v_perm_b32 v50, v63, v62, s44
	v_perm_b32 v51, v65, v64, s44
	v_mfma_f32_16x16x16_bf16 v[28:31], v[36:37], v[4:5], v[28:31]
	v_cvt_pk_f32_fp8_e32 v[36:37], v15
	v_perm_b32 v32, v33, v32, s44
	v_perm_b32 v33, v35, v34, s44
	v_cvt_pk_f32_fp8_sdwa v[14:15], v15 src0_sel:WORD_1
	v_mov_b32_e32 v38, s7
	s_waitcnt lgkmcnt(0)
	v_mul_f32_e32 v52, s6, v38
	v_mfma_f32_16x16x16_bf16 v[20:23], v[50:51], v[4:5], v[20:23]
	v_perm_b32 v36, v37, v36, s44
	v_cvt_pk_f32_fp8_e32 v[38:39], v16
	v_cvt_pk_f32_fp8_sdwa v[50:51], v16 src0_sel:WORD_1
	v_perm_b32 v37, v15, v14, s44
	v_mfma_f32_16x16x16_bf16 v[32:35], v[32:33], v[10:11], 0
	v_perm_b32 v38, v39, v38, s44
	v_perm_b32 v39, v51, v50, s44
	v_cvt_pk_f32_fp8_e32 v[50:51], v17
	v_cvt_pk_f32_fp8_sdwa v[54:55], v17 src0_sel:WORD_1
	v_mfma_f32_16x16x16_bf16 v[14:17], v[36:37], v[12:13], v[32:35]
	v_pk_mul_f32 v[36:37], v[52:53], v[28:29] op_sel_hi:[0,1]
	s_waitcnt vmcnt(4)
	v_cvt_pk_f32_fp8_e32 v[28:29], v6
	v_pk_mul_f32 v[30:31], v[52:53], v[30:31] op_sel_hi:[0,1]
	v_perm_b32 v32, v51, v50, s44
	v_perm_b32 v33, v55, v54, s44
	v_mfma_f32_16x16x16_bf16 v[14:17], v[38:39], v[2:3], v[14:17]
	v_cvt_pk_f32_fp8_sdwa v[34:35], v6 src0_sel:WORD_1
	v_perm_b32 v28, v29, v28, s44
	v_cvt_pk_f32_fp8_e32 v[50:51], v8
	v_mfma_f32_16x16x16_bf16 v[14:17], v[32:33], v[4:5], v[14:17]
	v_cvt_pk_f32_fp8_e32 v[32:33], v7
	v_perm_b32 v29, v35, v34, s44
	v_cvt_pk_f32_fp8_sdwa v[6:7], v7 src0_sel:WORD_1
	v_cvt_pk_f32_fp8_sdwa v[54:55], v8 src0_sel:WORD_1
	v_perm_b32 v38, v33, v32, s44
	v_mfma_f32_16x16x16_bf16 v[32:35], v[28:29], v[10:11], 0
	v_perm_b32 v39, v7, v6, s44
	v_perm_b32 v10, v51, v50, s44
	;; [unrolled: 1-line block ×3, first 2 shown]
	v_cvt_pk_f32_fp8_e32 v[28:29], v9
	v_cvt_pk_f32_fp8_sdwa v[50:51], v9 src0_sel:WORD_1
	v_mfma_f32_16x16x16_bf16 v[6:9], v[38:39], v[12:13], v[32:35]
	v_pk_mul_f32 v[38:39], v[52:53], v[20:21] op_sel_hi:[0,1]
	v_perm_b32 v12, v29, v28, s44
	v_perm_b32 v13, v51, v50, s44
	v_mfma_f32_16x16x16_bf16 v[6:9], v[10:11], v[2:3], v[6:9]
	v_pk_mul_f32 v[34:35], v[52:53], v[22:23] op_sel_hi:[0,1]
	v_pk_mul_f32 v[28:29], v[52:53], v[16:17] op_sel_hi:[0,1]
	;; [unrolled: 1-line block ×3, first 2 shown]
	v_mfma_f32_16x16x16_bf16 v[2:5], v[12:13], v[4:5], v[6:9]
	s_mov_b32 s40, 0xff7fffff
	s_waitcnt vmcnt(3)
	v_mad_i64_i32 v[24:25], s[4:5], v74, s45, v[18:19]
	s_nop 3
	v_pk_mul_f32 v[22:23], v[52:53], v[2:3] op_sel_hi:[0,1]
	v_and_b32_e32 v2, 0xc0, v0
	v_add_u32_e32 v2, s16, v2
	v_lshl_or_b32 v2, v42, 2, v2
	v_or_b32_e32 v3, 1, v2
	v_pk_mul_f32 v[20:21], v[52:53], v[4:5] op_sel_hi:[0,1]
	v_subrev_u32_e32 v4, s33, v3
	v_add_u32_e32 v6, 1, v4
	v_add_u32_e32 v7, 2, v4
	v_cvt_f32_i32_e32 v5, v4
	v_cvt_f32_i32_e32 v6, v6
	;; [unrolled: 1-line block ×3, first 2 shown]
	v_add_u32_e32 v8, 3, v4
	v_fma_f32 v9, v46, v5, v36
	v_fmac_f32_e32 v37, v46, v6
	v_fma_f32 v30, v46, v7, v30
	v_add_u32_e32 v5, 16, v4
	v_add_u32_e32 v6, 17, v4
	;; [unrolled: 1-line block ×3, first 2 shown]
	v_cvt_f32_i32_e32 v8, v8
	v_cvt_f32_i32_e32 v5, v5
	;; [unrolled: 1-line block ×4, first 2 shown]
	v_fmac_f32_e32 v31, v46, v8
	v_add_u32_e32 v8, 19, v4
	v_fma_f32 v38, v46, v5, v38
	v_fmac_f32_e32 v39, v46, v6
	v_fma_f32 v34, v46, v7, v34
	v_add_u32_e32 v5, 32, v4
	v_add_u32_e32 v6, 33, v4
	;; [unrolled: 1-line block ×3, first 2 shown]
	v_cvt_f32_i32_e32 v8, v8
	v_cvt_f32_i32_e32 v5, v5
	;; [unrolled: 1-line block ×4, first 2 shown]
	v_fmac_f32_e32 v35, v46, v8
	v_add_u32_e32 v8, 35, v4
	v_fma_f32 v50, v46, v5, v32
	v_fmac_f32_e32 v33, v46, v6
	v_fma_f32 v28, v46, v7, v28
	v_add_u32_e32 v5, 48, v4
	v_add_u32_e32 v6, 49, v4
	;; [unrolled: 1-line block ×4, first 2 shown]
	v_cvt_f32_i32_e32 v4, v4
	v_cvt_f32_i32_e32 v5, v5
	v_cvt_f32_i32_e32 v6, v6
	v_cmp_gt_i32_e64 s[24:25], s33, v2
	v_fmac_f32_e32 v21, v46, v4
	v_mov_b32_e32 v4, 0xff7fffff
	v_cmp_gt_i32_e64 s[26:27], s33, v3
	v_fma_f32 v22, v46, v5, v22
	v_cndmask_b32_e64 v5, v4, v9, s[24:25]
	v_cndmask_b32_e64 v3, v4, v37, s[26:27]
	v_fmac_f32_e32 v23, v46, v6
	v_max3_f32 v3, v5, s40, v3
	v_or_b32_e32 v5, 2, v2
	v_or_b32_e32 v6, 3, v2
	v_cmp_gt_i32_e64 s[28:29], s33, v5
	v_cmp_gt_i32_e64 s[30:31], s33, v6
	v_cvt_f32_i32_e32 v8, v8
	v_cndmask_b32_e64 v5, v4, v30, s[28:29]
	v_cndmask_b32_e64 v6, v4, v31, s[30:31]
	v_max3_f32 v3, v3, v5, v6
	v_or_b32_e32 v5, 16, v2
	v_or_b32_e32 v6, 17, v2
	v_cmp_gt_i32_e64 s[34:35], s33, v5
	v_cmp_gt_i32_e64 s[36:37], s33, v6
	v_fmac_f32_e32 v29, v46, v8
	v_cndmask_b32_e64 v5, v4, v38, s[34:35]
	v_cndmask_b32_e64 v6, v4, v39, s[36:37]
	v_max3_f32 v3, v3, v5, v6
	v_or_b32_e32 v5, 18, v2
	v_or_b32_e32 v6, 19, v2
	v_cmp_gt_i32_e64 s[18:19], s33, v5
	v_cmp_gt_i32_e64 s[20:21], s33, v6
	v_cvt_f32_i32_e32 v7, v7
	v_cndmask_b32_e64 v5, v4, v34, s[18:19]
	v_cndmask_b32_e64 v6, v4, v35, s[20:21]
	v_max3_f32 v3, v3, v5, v6
	v_or_b32_e32 v5, 32, v2
	v_or_b32_e32 v6, 33, v2
	v_cmp_gt_i32_e64 s[14:15], s33, v5
	v_cmp_gt_i32_e64 s[16:17], s33, v6
	v_fma_f32 v20, v46, v7, v20
	v_cndmask_b32_e64 v5, v4, v50, s[14:15]
	v_cndmask_b32_e64 v6, v4, v33, s[16:17]
	v_max3_f32 v3, v3, v5, v6
	v_or_b32_e32 v5, 34, v2
	v_or_b32_e32 v6, 35, v2
	v_cmp_gt_i32_e64 s[10:11], s33, v5
	v_cmp_gt_i32_e64 s[12:13], s33, v6
	s_nop 0
	v_cndmask_b32_e64 v5, v4, v28, s[10:11]
	v_cndmask_b32_e64 v6, v4, v29, s[12:13]
	v_max3_f32 v3, v3, v5, v6
	v_or_b32_e32 v5, 48, v2
	v_or_b32_e32 v6, 49, v2
	v_cmp_gt_i32_e64 s[6:7], s33, v5
	v_cmp_gt_i32_e64 s[8:9], s33, v6
	s_nop 0
	v_cndmask_b32_e64 v5, v4, v22, s[6:7]
	v_cndmask_b32_e64 v6, v4, v23, s[8:9]
	v_max3_f32 v3, v3, v5, v6
	v_or_b32_e32 v5, 50, v2
	v_or_b32_e32 v2, 51, v2
	v_cmp_gt_i32_e32 vcc, s33, v5
	v_cmp_gt_i32_e64 s[4:5], s33, v2
	s_nop 0
	v_cndmask_b32_e32 v5, v4, v20, vcc
	v_cndmask_b32_e64 v2, v4, v21, s[4:5]
	v_max3_f32 v4, v3, v5, v2
	v_mbcnt_lo_u32_b32 v2, -1, 0
	v_mbcnt_hi_u32_b32 v5, -1, v2
	v_and_b32_e32 v2, 64, v5
	v_add_u32_e32 v6, 64, v2
	v_xor_b32_e32 v2, 32, v5
	v_cmp_lt_i32_e64 s[38:39], v2, v6
	s_nop 1
	v_cndmask_b32_e64 v2, v5, v2, s[38:39]
	v_lshlrev_b32_e32 v46, 2, v2
	ds_bpermute_b32 v7, v46, v4
	s_waitcnt vmcnt(2)
	v_mad_i64_i32 v[2:3], s[38:39], v49, s45, v[18:19]
	global_load_dwordx4 v[14:17], v[24:25], off
	global_load_dwordx4 v[10:13], v[2:3], off
	s_waitcnt lgkmcnt(0)
	v_max_f32_e32 v2, v7, v7
	v_max_f32_e32 v7, v4, v2
	v_xor_b32_e32 v2, 16, v5
	v_cmp_lt_i32_e64 s[38:39], v2, v6
	s_nop 1
	v_cndmask_b32_e64 v2, v5, v2, s[38:39]
	v_lshlrev_b32_e32 v49, 2, v2
	ds_bpermute_b32 v6, v49, v7
	s_waitcnt vmcnt(3)
	v_mad_i64_i32 v[2:3], s[38:39], v47, s45, v[18:19]
	s_waitcnt vmcnt(2)
	v_mad_i64_i32 v[4:5], s[38:39], v48, s45, v[18:19]
	s_waitcnt lgkmcnt(0)
	v_max_f32_e32 v6, v6, v6
	v_max_f32_e32 v32, v7, v6
	v_sub_f32_e32 v6, v9, v32
	v_mul_f32_e32 v6, 0x3fb8aa3b, v6
	v_exp_f32_e32 v18, v6
	v_sub_f32_e32 v6, v37, v32
	v_mul_f32_e32 v6, 0x3fb8aa3b, v6
	v_exp_f32_e32 v19, v6
	global_load_dwordx4 v[6:9], v[2:3], off
	s_nop 0
	global_load_dwordx4 v[2:5], v[4:5], off
	v_sub_f32_e32 v25, v30, v32
	v_sub_f32_e32 v30, v31, v32
	v_mul_f32_e32 v25, 0x3fb8aa3b, v25
	v_mul_f32_e32 v30, 0x3fb8aa3b, v30
	v_exp_f32_e32 v25, v25
	v_exp_f32_e32 v30, v30
	v_cndmask_b32_e64 v18, 0, v18, s[24:25]
	v_add_f32_e32 v24, 0, v18
	v_cndmask_b32_e64 v36, 0, v25, s[28:29]
	v_cndmask_b32_e64 v37, 0, v30, s[30:31]
	v_sub_f32_e32 v25, v38, v32
	v_sub_f32_e32 v30, v39, v32
	v_mul_f32_e32 v25, 0x3fb8aa3b, v25
	v_mul_f32_e32 v30, 0x3fb8aa3b, v30
	v_exp_f32_e32 v25, v25
	v_exp_f32_e32 v30, v30
	v_cndmask_b32_e64 v19, 0, v19, s[26:27]
	v_add_f32_e32 v24, v24, v19
	v_add_f32_e32 v24, v24, v36
	;; [unrolled: 1-line block ×3, first 2 shown]
	v_cndmask_b32_e64 v24, 0, v25, s[34:35]
	v_cndmask_b32_e64 v25, 0, v30, s[36:37]
	v_sub_f32_e32 v30, v34, v32
	v_mul_f32_e32 v30, 0x3fb8aa3b, v30
	v_exp_f32_e32 v30, v30
	v_sub_f32_e32 v34, v35, v32
	v_add_f32_e32 v31, v31, v24
	v_mul_f32_e32 v34, 0x3fb8aa3b, v34
	v_exp_f32_e32 v35, v34
	v_add_f32_e32 v31, v31, v25
	v_cndmask_b32_e64 v34, 0, v30, s[18:19]
	v_add_f32_e32 v30, v31, v34
	v_sub_f32_e32 v31, v50, v32
	v_mul_f32_e32 v31, 0x3fb8aa3b, v31
	v_sub_f32_e32 v33, v33, v32
	v_exp_f32_e32 v31, v31
	v_mul_f32_e32 v33, 0x3fb8aa3b, v33
	v_sub_f32_e32 v28, v28, v32
	v_exp_f32_e32 v33, v33
	;; [unrolled: 3-line block ×3, first 2 shown]
	v_mul_f32_e32 v29, 0x3fb8aa3b, v29
	v_sub_f32_e32 v22, v22, v32
	v_cndmask_b32_e64 v35, 0, v35, s[20:21]
	v_exp_f32_e32 v29, v29
	v_mul_f32_e32 v22, 0x3fb8aa3b, v22
	v_sub_f32_e32 v23, v23, v32
	v_add_f32_e32 v38, v30, v35
	v_cndmask_b32_e64 v30, 0, v31, s[14:15]
	v_exp_f32_e32 v22, v22
	v_mul_f32_e32 v23, 0x3fb8aa3b, v23
	v_sub_f32_e32 v20, v20, v32
	v_add_f32_e32 v38, v38, v30
	v_cndmask_b32_e64 v31, 0, v33, s[16:17]
	v_exp_f32_e32 v23, v23
	v_mul_f32_e32 v20, 0x3fb8aa3b, v20
	v_sub_f32_e32 v21, v21, v32
	v_add_f32_e32 v33, v38, v31
	v_cndmask_b32_e64 v28, 0, v28, s[10:11]
	v_exp_f32_e32 v20, v20
	v_mul_f32_e32 v21, 0x3fb8aa3b, v21
	v_add_f32_e32 v33, v33, v28
	v_cndmask_b32_e64 v29, 0, v29, s[12:13]
	v_exp_f32_e32 v21, v21
	v_add_f32_e32 v33, v33, v29
	v_cndmask_b32_e64 v22, 0, v22, s[6:7]
	v_add_f32_e32 v33, v33, v22
	v_cndmask_b32_e64 v23, 0, v23, s[8:9]
	v_add_f32_e32 v33, v33, v23
	v_cndmask_b32_e32 v20, 0, v20, vcc
	v_add_f32_e32 v33, v33, v20
	v_cndmask_b32_e64 v21, 0, v21, s[4:5]
	v_add_f32_e32 v33, v33, v21
	ds_bpermute_b32 v38, v46, v33
	s_load_dword s7, s[0:1], 0x98
	v_cmp_gt_u32_e32 vcc, 16, v45
	s_waitcnt lgkmcnt(0)
	s_barrier
	v_add_f32_e32 v38, v33, v38
	ds_bpermute_b32 v39, v49, v38
	v_lshlrev_b32_e32 v33, 2, v44
	s_waitcnt lgkmcnt(0)
	s_and_saveexec_b64 s[4:5], vcc
	s_cbranch_execz .LBB1227_15
; %bb.14:
	v_add_f32_e32 v38, v38, v39
	v_lshl_or_b32 v39, v43, 6, v33
	ds_write2st64_b32 v39, v32, v38 offset1:1
.LBB1227_15:
	s_or_b64 exec, exec, s[4:5]
	s_load_dword s6, s[0:1], 0x94
	s_waitcnt lgkmcnt(0)
	s_barrier
	ds_read2_b32 v[38:39], v33 offset1:16
	ds_read2_b32 v[44:45], v33 offset0:32 offset1:48
	ds_read2_b32 v[46:47], v33 offset0:64 offset1:80
	s_movk_i32 s8, 0x7fff
	s_lshl_b32 s7, s7, 2
	s_waitcnt lgkmcnt(2)
	v_max3_f32 v32, v38, s40, v39
	s_waitcnt lgkmcnt(1)
	v_max3_f32 v32, v32, v44, v45
	v_sub_f32_e32 v38, v38, v32
	v_mul_f32_e32 v38, 0x3fb8aa3b, v38
	v_exp_f32_e32 v48, v38
	v_sub_f32_e32 v38, v39, v32
	v_mul_f32_e32 v38, 0x3fb8aa3b, v38
	v_exp_f32_e32 v49, v38
	;; [unrolled: 3-line block ×3, first 2 shown]
	ds_read2_b32 v[38:39], v33 offset0:96 offset1:112
	v_sub_f32_e32 v33, v45, v32
	v_mul_f32_e32 v33, 0x3fb8aa3b, v33
	v_exp_f32_e32 v45, v33
	s_waitcnt lgkmcnt(1)
	v_fma_f32 v33, v48, v46, 0
	v_fmac_f32_e32 v33, v49, v47
	s_waitcnt lgkmcnt(0)
	v_fmac_f32_e32 v33, v44, v38
	v_fmac_f32_e32 v33, v45, v39
	v_add_f32_e32 v38, 0x358637bd, v33
	v_div_scale_f32 v39, s[4:5], v38, v38, 1.0
	v_rcp_f32_e32 v46, v39
	s_barrier
	v_fma_f32 v47, -v39, v46, 1.0
	v_fmac_f32_e32 v46, v47, v46
	v_div_scale_f32 v47, vcc, 1.0, v38, 1.0
	v_mul_f32_e32 v50, v47, v46
	v_fma_f32 v51, -v39, v50, v47
	v_fmac_f32_e32 v50, v51, v46
	v_fma_f32 v39, -v39, v50, v47
	v_div_fmas_f32 v39, v39, v46, v50
	v_cmp_eq_u32_e32 vcc, 1, v43
	v_div_fixup_f32 v38, v39, v38, 1.0
	s_nop 0
	v_cndmask_b32_e32 v39, v48, v49, vcc
	v_cmp_eq_u32_e32 vcc, 2, v43
	s_nop 1
	v_cndmask_b32_e32 v39, v39, v44, vcc
	v_cmp_eq_u32_e32 vcc, 3, v43
	s_nop 1
	v_cndmask_b32_e32 v39, v39, v45, vcc
	v_mul_f32_e32 v38, v39, v38
	v_pk_mul_f32 v[18:19], v[38:39], v[18:19] op_sel_hi:[0,1]
	v_pk_mul_f32 v[36:37], v[38:39], v[36:37] op_sel_hi:[0,1]
	v_bfe_u32 v39, v19, 16, 1
	v_bfe_u32 v44, v18, 16, 1
	v_add3_u32 v18, v18, v44, s8
	v_add3_u32 v19, v19, v39, s8
	v_perm_b32 v44, v19, v18, s44
	v_bfe_u32 v18, v37, 16, 1
	v_bfe_u32 v19, v36, 16, 1
	v_add3_u32 v19, v36, v19, s8
	v_add3_u32 v18, v37, v18, s8
	v_perm_b32 v45, v18, v19, s44
	v_lshlrev_b32_e32 v18, 3, v42
	v_lshlrev_b32_e32 v19, 11, v43
	v_pk_mul_f32 v[24:25], v[38:39], v[24:25] op_sel_hi:[0,1]
	v_or3_b32 v18, v19, v27, v18
	v_bfe_u32 v19, v25, 16, 1
	v_bfe_u32 v36, v24, 16, 1
	v_pk_mul_f32 v[34:35], v[38:39], v[34:35] op_sel_hi:[0,1]
	v_add3_u32 v24, v24, v36, s8
	v_add3_u32 v19, v25, v19, s8
	v_perm_b32 v24, v19, v24, s44
	v_bfe_u32 v19, v35, 16, 1
	v_bfe_u32 v25, v34, 16, 1
	v_add3_u32 v25, v34, v25, s8
	v_add3_u32 v19, v35, v19, s8
	v_perm_b32 v25, v19, v25, s44
	ds_write2st64_b64 v18, v[44:45], v[24:25] offset1:1
	v_pk_mul_f32 v[24:25], v[38:39], v[28:29] op_sel_hi:[0,1]
	v_pk_mul_f32 v[28:29], v[38:39], v[30:31] op_sel_hi:[0,1]
	v_bfe_u32 v19, v29, 16, 1
	v_bfe_u32 v30, v28, 16, 1
	v_add3_u32 v28, v28, v30, s8
	v_add3_u32 v19, v29, v19, s8
	v_perm_b32 v28, v19, v28, s44
	v_bfe_u32 v19, v25, 16, 1
	v_bfe_u32 v29, v24, 16, 1
	v_add3_u32 v24, v24, v29, s8
	v_add3_u32 v19, v25, v19, s8
	v_pk_mul_f32 v[22:23], v[38:39], v[22:23] op_sel_hi:[0,1]
	v_perm_b32 v29, v19, v24, s44
	v_bfe_u32 v19, v23, 16, 1
	v_bfe_u32 v24, v22, 16, 1
	v_pk_mul_f32 v[20:21], v[38:39], v[20:21] op_sel_hi:[0,1]
	v_add3_u32 v22, v22, v24, s8
	v_add3_u32 v19, v23, v19, s8
	v_perm_b32 v22, v19, v22, s44
	v_bfe_u32 v19, v21, 16, 1
	v_bfe_u32 v23, v20, 16, 1
	v_add3_u32 v20, v20, v23, s8
	v_add3_u32 v19, v21, v19, s8
	v_perm_b32 v23, v19, v20, s44
	v_cmp_gt_u32_e32 vcc, 4, v0
	ds_write2st64_b64 v18, v[28:29], v[22:23] offset0:2 offset1:3
	s_and_saveexec_b64 s[4:5], vcc
	s_cbranch_execz .LBB1227_17
; %bb.16:
	v_or_b32_e32 v20, s23, v0
	v_mov_b32_e32 v21, 0
	v_mov_b32_e32 v19, s7
	v_mad_u64_u32 v[22:23], s[10:11], s2, v19, v[20:21]
	v_mov_b32_e32 v20, s22
	s_load_dwordx4 s[12:15], s[0:1], 0x58
	s_mul_i32 s3, s3, s7
	v_mad_u64_u32 v[20:21], s[10:11], v22, s6, v[20:21]
	v_add_u32_e32 v19, s3, v23
	v_mov_b32_e32 v22, v21
	v_mad_u64_u32 v[22:23], s[10:11], v19, s6, v[22:23]
	v_mov_b32_e32 v21, v22
	v_lshlrev_b64 v[20:21], 2, v[20:21]
	s_waitcnt lgkmcnt(0)
	v_lshl_add_u64 v[22:23], s[14:15], 0, v[20:21]
	v_lshl_add_u64 v[20:21], s[12:13], 0, v[20:21]
	global_store_dword v[22:23], v32, off
	global_store_dword v[20:21], v33, off
.LBB1227_17:
	s_or_b64 exec, exec, s[4:5]
	s_waitcnt vmcnt(3)
	v_cvt_pk_f32_fp8_e32 v[20:21], v14
	v_cvt_pk_f32_fp8_sdwa v[22:23], v14 src0_sel:WORD_1
	s_mov_b32 s4, 0x7060302
	v_lshl_or_b32 v14, v42, 9, v27
	s_waitcnt lgkmcnt(0)
	s_barrier
	v_perm_b32 v24, v21, v20, s4
	v_perm_b32 v25, v23, v22, s4
	v_cvt_pk_f32_fp8_e32 v[28:29], v15
	ds_read_b128 v[20:23], v14
	v_cvt_pk_f32_fp8_sdwa v[36:37], v15 src0_sel:WORD_1
	s_load_dword s10, s[42:43], 0x0
	v_perm_b32 v38, v29, v28, s4
	ds_read_b128 v[28:31], v14 offset:16
	v_perm_b32 v39, v37, v36, s4
	s_waitcnt lgkmcnt(0)
	v_mfma_f32_16x16x16_bf16 v[32:35], v[24:25], v[20:21], 0
	v_cvt_pk_f32_fp8_e32 v[24:25], v16
	v_cvt_pk_f32_fp8_sdwa v[36:37], v16 src0_sel:WORD_1
	s_mov_b32 s3, 0
	v_mfma_f32_16x16x16_bf16 v[20:23], v[38:39], v[22:23], v[32:35]
	v_perm_b32 v24, v25, v24, s4
	v_perm_b32 v25, v37, v36, s4
	v_mov_b32_e32 v27, 0
	v_cvt_pk_f32_fp8_e32 v[32:33], v17
	v_cvt_pk_f32_fp8_sdwa v[16:17], v17 src0_sel:WORD_1
	s_waitcnt vmcnt(2)
	v_cvt_pk_f32_fp8_sdwa v[34:35], v10 src0_sel:WORD_1
	v_mfma_f32_16x16x16_bf16 v[20:23], v[24:25], v[28:29], v[20:23]
	v_perm_b32 v36, v33, v32, s4
	v_cvt_pk_f32_fp8_e32 v[32:33], v10
	v_perm_b32 v37, v17, v16, s4
	v_perm_b32 v17, v35, v34, s4
	v_cvt_pk_f32_fp8_e32 v[24:25], v11
	v_perm_b32 v16, v33, v32, s4
	ds_read_b128 v[32:35], v14 offset:2048
	v_cvt_pk_f32_fp8_sdwa v[10:11], v11 src0_sel:WORD_1
	v_mfma_f32_16x16x16_bf16 v[20:23], v[36:37], v[30:31], v[20:23]
	ds_read_b128 v[28:31], v14 offset:2064
	v_perm_b32 v24, v25, v24, s4
	v_perm_b32 v25, v11, v10, s4
	s_waitcnt lgkmcnt(1)
	v_mfma_f32_16x16x16_bf16 v[20:23], v[16:17], v[32:33], v[20:23]
	v_cvt_pk_f32_fp8_e32 v[10:11], v12
	v_cvt_pk_f32_fp8_sdwa v[16:17], v12 src0_sel:WORD_1
	s_waitcnt vmcnt(1)
	v_cvt_pk_f32_fp8_sdwa v[32:33], v6 src0_sel:WORD_1
	v_mfma_f32_16x16x16_bf16 v[20:23], v[24:25], v[34:35], v[20:23]
	v_cvt_pk_f32_fp8_e32 v[24:25], v13
	v_perm_b32 v10, v11, v10, s4
	v_perm_b32 v11, v17, v16, s4
	v_cvt_pk_f32_fp8_sdwa v[12:13], v13 src0_sel:WORD_1
	v_perm_b32 v16, v25, v24, s4
	v_cvt_pk_f32_fp8_e32 v[24:25], v6
	v_perm_b32 v17, v13, v12, s4
	s_waitcnt lgkmcnt(0)
	v_mfma_f32_16x16x16_bf16 v[10:13], v[10:11], v[28:29], v[20:23]
	v_perm_b32 v24, v25, v24, s4
	v_perm_b32 v25, v33, v32, s4
	v_cvt_pk_f32_fp8_e32 v[28:29], v7
	ds_read_b128 v[20:23], v14 offset:4096
	v_cvt_pk_f32_fp8_sdwa v[6:7], v7 src0_sel:WORD_1
	v_mfma_f32_16x16x16_bf16 v[10:13], v[16:17], v[30:31], v[10:13]
	v_perm_b32 v16, v29, v28, s4
	ds_read_b128 v[28:31], v14 offset:4112
	v_perm_b32 v17, v7, v6, s4
	s_waitcnt lgkmcnt(1)
	v_mfma_f32_16x16x16_bf16 v[10:13], v[24:25], v[20:21], v[10:13]
	v_cvt_pk_f32_fp8_e32 v[6:7], v8
	v_cvt_pk_f32_fp8_sdwa v[20:21], v8 src0_sel:WORD_1
	v_perm_b32 v6, v7, v6, s4
	v_mfma_f32_16x16x16_bf16 v[10:13], v[16:17], v[22:23], v[10:13]
	v_cvt_pk_f32_fp8_e32 v[16:17], v9
	v_perm_b32 v7, v21, v20, s4
	v_cvt_pk_f32_fp8_sdwa v[8:9], v9 src0_sel:WORD_1
	s_waitcnt vmcnt(0)
	v_cvt_pk_f32_fp8_e32 v[20:21], v2
	v_perm_b32 v16, v17, v16, s4
	v_cvt_pk_f32_fp8_sdwa v[22:23], v2 src0_sel:WORD_1
	v_perm_b32 v17, v9, v8, s4
	s_waitcnt lgkmcnt(0)
	v_mfma_f32_16x16x16_bf16 v[6:9], v[6:7], v[28:29], v[10:13]
	v_perm_b32 v20, v21, v20, s4
	v_perm_b32 v21, v23, v22, s4
	v_cvt_pk_f32_fp8_e32 v[22:23], v3
	ds_read_b128 v[10:13], v14 offset:6144
	v_cvt_pk_f32_fp8_sdwa v[2:3], v3 src0_sel:WORD_1
	v_mfma_f32_16x16x16_bf16 v[6:9], v[16:17], v[30:31], v[6:9]
	v_perm_b32 v22, v23, v22, s4
	ds_read_b128 v[14:17], v14 offset:6160
	v_perm_b32 v23, v3, v2, s4
	s_waitcnt lgkmcnt(1)
	v_mfma_f32_16x16x16_bf16 v[6:9], v[20:21], v[10:11], v[6:9]
	v_cvt_pk_f32_fp8_e32 v[2:3], v4
	v_cvt_pk_f32_fp8_sdwa v[10:11], v4 src0_sel:WORD_1
	s_waitcnt lgkmcnt(0)
	v_mfma_f32_16x16x16_bf16 v[6:9], v[22:23], v[12:13], v[6:9]
	v_perm_b32 v2, v3, v2, s4
	v_perm_b32 v3, v11, v10, s4
	v_cvt_pk_f32_fp8_e32 v[10:11], v5
	v_cvt_pk_f32_fp8_sdwa v[4:5], v5 src0_sel:WORD_1
	s_barrier
	v_perm_b32 v10, v11, v10, s4
	v_perm_b32 v11, v5, v4, s4
	v_mfma_f32_16x16x16_bf16 v[2:5], v[2:3], v[14:15], v[6:9]
	s_nop 0
	v_mfma_f32_16x16x16_bf16 v[2:5], v[10:11], v[16:17], v[2:5]
	s_nop 6
	v_pk_mul_f32 v[2:3], v[2:3], s[10:11] op_sel_hi:[1,0]
	v_pk_mul_f32 v[4:5], v[4:5], s[10:11] op_sel_hi:[1,0]
	v_bfe_u32 v6, v3, 16, 1
	v_bfe_u32 v7, v2, 16, 1
	v_add3_u32 v2, v2, v7, s8
	v_add3_u32 v3, v3, v6, s8
	v_perm_b32 v2, v3, v2, s4
	v_bfe_u32 v3, v5, 16, 1
	v_bfe_u32 v6, v4, 16, 1
	v_add3_u32 v4, v4, v6, s8
	v_add3_u32 v3, v5, v3, s8
	v_perm_b32 v3, v3, v4, s4
	ds_write_b64 v18, v[2:3]
	s_waitcnt lgkmcnt(0)
	s_barrier
	s_and_saveexec_b64 s[4:5], s[48:49]
	s_cbranch_execz .LBB1227_19
; %bb.18:
	s_load_dwordx2 s[0:1], s[0:1], 0x68
	s_lshl_b32 s6, s6, 6
	s_mul_i32 s2, s7, s2
	s_mul_hi_u32 s5, s2, s6
	s_mul_i32 s4, s2, s6
	v_lshlrev_b32_e32 v0, 10, v0
	s_lshl_b64 s[4:5], s[4:5], 1
	v_and_b32_e32 v0, 0x1800, v0
	v_and_b32_e32 v2, 16, v41
	s_waitcnt lgkmcnt(0)
	s_add_u32 s4, s0, s4
	v_or3_b32 v0, v0, v40, v2
	s_addc_u32 s5, s1, s5
	s_lshl_b32 s2, s22, 6
	ds_read_b128 v[2:5], v0
	s_lshl_b64 s[0:1], s[2:3], 1
	s_add_u32 s0, s4, s0
	s_addc_u32 s1, s5, s1
	v_mad_u64_u32 v[0:1], s[2:3], s6, v1, 0
	v_lshl_add_u64 v[0:1], v[0:1], 1, s[0:1]
	v_lshl_add_u64 v[0:1], v[0:1], 0, v[26:27]
	s_waitcnt lgkmcnt(0)
	global_store_dwordx4 v[0:1], v[2:5], off
.LBB1227_19:
	s_endpgm
	.section	.rodata,"a",@progbits
	.p2align	6, 0x0
	.amdhsa_kernel _Z39paged_attention_ll4mi_QKV_mfma16_kernelI14__hip_bfloat16hLN4vllm18Fp8KVCacheDataTypeE1ES0_Li32ELi64ELi256ELb1ELi4EEvPKT_PKT0_S8_ifPKiSA_SA_iPKfiiiPfSD_PS3_PT2_iSC_SC_
		.amdhsa_group_segment_fixed_size 8192
		.amdhsa_private_segment_fixed_size 0
		.amdhsa_kernarg_size 400
		.amdhsa_user_sgpr_count 2
		.amdhsa_user_sgpr_dispatch_ptr 0
		.amdhsa_user_sgpr_queue_ptr 0
		.amdhsa_user_sgpr_kernarg_segment_ptr 1
		.amdhsa_user_sgpr_dispatch_id 0
		.amdhsa_user_sgpr_kernarg_preload_length 0
		.amdhsa_user_sgpr_kernarg_preload_offset 0
		.amdhsa_user_sgpr_private_segment_size 0
		.amdhsa_uses_dynamic_stack 0
		.amdhsa_enable_private_segment 0
		.amdhsa_system_sgpr_workgroup_id_x 1
		.amdhsa_system_sgpr_workgroup_id_y 1
		.amdhsa_system_sgpr_workgroup_id_z 1
		.amdhsa_system_sgpr_workgroup_info 0
		.amdhsa_system_vgpr_workitem_id 0
		.amdhsa_next_free_vgpr 75
		.amdhsa_next_free_sgpr 50
		.amdhsa_accum_offset 76
		.amdhsa_reserve_vcc 1
		.amdhsa_float_round_mode_32 0
		.amdhsa_float_round_mode_16_64 0
		.amdhsa_float_denorm_mode_32 3
		.amdhsa_float_denorm_mode_16_64 3
		.amdhsa_dx10_clamp 1
		.amdhsa_ieee_mode 1
		.amdhsa_fp16_overflow 0
		.amdhsa_tg_split 0
		.amdhsa_exception_fp_ieee_invalid_op 0
		.amdhsa_exception_fp_denorm_src 0
		.amdhsa_exception_fp_ieee_div_zero 0
		.amdhsa_exception_fp_ieee_overflow 0
		.amdhsa_exception_fp_ieee_underflow 0
		.amdhsa_exception_fp_ieee_inexact 0
		.amdhsa_exception_int_div_zero 0
	.end_amdhsa_kernel
	.section	.text._Z39paged_attention_ll4mi_QKV_mfma16_kernelI14__hip_bfloat16hLN4vllm18Fp8KVCacheDataTypeE1ES0_Li32ELi64ELi256ELb1ELi4EEvPKT_PKT0_S8_ifPKiSA_SA_iPKfiiiPfSD_PS3_PT2_iSC_SC_,"axG",@progbits,_Z39paged_attention_ll4mi_QKV_mfma16_kernelI14__hip_bfloat16hLN4vllm18Fp8KVCacheDataTypeE1ES0_Li32ELi64ELi256ELb1ELi4EEvPKT_PKT0_S8_ifPKiSA_SA_iPKfiiiPfSD_PS3_PT2_iSC_SC_,comdat
.Lfunc_end1227:
	.size	_Z39paged_attention_ll4mi_QKV_mfma16_kernelI14__hip_bfloat16hLN4vllm18Fp8KVCacheDataTypeE1ES0_Li32ELi64ELi256ELb1ELi4EEvPKT_PKT0_S8_ifPKiSA_SA_iPKfiiiPfSD_PS3_PT2_iSC_SC_, .Lfunc_end1227-_Z39paged_attention_ll4mi_QKV_mfma16_kernelI14__hip_bfloat16hLN4vllm18Fp8KVCacheDataTypeE1ES0_Li32ELi64ELi256ELb1ELi4EEvPKT_PKT0_S8_ifPKiSA_SA_iPKfiiiPfSD_PS3_PT2_iSC_SC_
                                        ; -- End function
	.section	.AMDGPU.csdata,"",@progbits
; Kernel info:
; codeLenInByte = 5104
; NumSgprs: 56
; NumVgprs: 75
; NumAgprs: 0
; TotalNumVgprs: 75
; ScratchSize: 0
; MemoryBound: 0
; FloatMode: 240
; IeeeMode: 1
; LDSByteSize: 8192 bytes/workgroup (compile time only)
; SGPRBlocks: 6
; VGPRBlocks: 9
; NumSGPRsForWavesPerEU: 56
; NumVGPRsForWavesPerEU: 75
; AccumOffset: 76
; Occupancy: 6
; WaveLimiterHint : 1
; COMPUTE_PGM_RSRC2:SCRATCH_EN: 0
; COMPUTE_PGM_RSRC2:USER_SGPR: 2
; COMPUTE_PGM_RSRC2:TRAP_HANDLER: 0
; COMPUTE_PGM_RSRC2:TGID_X_EN: 1
; COMPUTE_PGM_RSRC2:TGID_Y_EN: 1
; COMPUTE_PGM_RSRC2:TGID_Z_EN: 1
; COMPUTE_PGM_RSRC2:TIDIG_COMP_CNT: 0
; COMPUTE_PGM_RSRC3_GFX90A:ACCUM_OFFSET: 18
; COMPUTE_PGM_RSRC3_GFX90A:TG_SPLIT: 0
	.section	.text._Z38paged_attention_ll4mi_QKV_mfma4_kernelI14__hip_bfloat16hLN4vllm18Fp8KVCacheDataTypeE1ES0_Li32ELi64ELi256ELb0ELi1EEvPKT_PKT0_S8_ifPKiSA_SA_iPKfiiiPfSD_PS3_PT2_iSC_SC_,"axG",@progbits,_Z38paged_attention_ll4mi_QKV_mfma4_kernelI14__hip_bfloat16hLN4vllm18Fp8KVCacheDataTypeE1ES0_Li32ELi64ELi256ELb0ELi1EEvPKT_PKT0_S8_ifPKiSA_SA_iPKfiiiPfSD_PS3_PT2_iSC_SC_,comdat
	.protected	_Z38paged_attention_ll4mi_QKV_mfma4_kernelI14__hip_bfloat16hLN4vllm18Fp8KVCacheDataTypeE1ES0_Li32ELi64ELi256ELb0ELi1EEvPKT_PKT0_S8_ifPKiSA_SA_iPKfiiiPfSD_PS3_PT2_iSC_SC_ ; -- Begin function _Z38paged_attention_ll4mi_QKV_mfma4_kernelI14__hip_bfloat16hLN4vllm18Fp8KVCacheDataTypeE1ES0_Li32ELi64ELi256ELb0ELi1EEvPKT_PKT0_S8_ifPKiSA_SA_iPKfiiiPfSD_PS3_PT2_iSC_SC_
	.globl	_Z38paged_attention_ll4mi_QKV_mfma4_kernelI14__hip_bfloat16hLN4vllm18Fp8KVCacheDataTypeE1ES0_Li32ELi64ELi256ELb0ELi1EEvPKT_PKT0_S8_ifPKiSA_SA_iPKfiiiPfSD_PS3_PT2_iSC_SC_
	.p2align	8
	.type	_Z38paged_attention_ll4mi_QKV_mfma4_kernelI14__hip_bfloat16hLN4vllm18Fp8KVCacheDataTypeE1ES0_Li32ELi64ELi256ELb0ELi1EEvPKT_PKT0_S8_ifPKiSA_SA_iPKfiiiPfSD_PS3_PT2_iSC_SC_,@function
_Z38paged_attention_ll4mi_QKV_mfma4_kernelI14__hip_bfloat16hLN4vllm18Fp8KVCacheDataTypeE1ES0_Li32ELi64ELi256ELb0ELi1EEvPKT_PKT0_S8_ifPKiSA_SA_iPKfiiiPfSD_PS3_PT2_iSC_SC_: ; @_Z38paged_attention_ll4mi_QKV_mfma4_kernelI14__hip_bfloat16hLN4vllm18Fp8KVCacheDataTypeE1ES0_Li32ELi64ELi256ELb0ELi1EEvPKT_PKT0_S8_ifPKiSA_SA_iPKfiiiPfSD_PS3_PT2_iSC_SC_
; %bb.0:
	s_load_dwordx2 s[20:21], s[0:1], 0x30
	s_mov_b32 s24, s3
	s_mov_b64 s[6:7], 0
	s_waitcnt lgkmcnt(0)
	s_cmp_lg_u64 s[20:21], 0
	s_cselect_b64 s[22:23], -1, 0
	s_and_b64 vcc, exec, s[22:23]
	s_cbranch_vccz .LBB1228_10
; %bb.1:
	s_add_i32 s8, s2, 1
	s_mov_b32 s9, 0
	s_lshl_b64 s[10:11], s[8:9], 2
	s_add_u32 s10, s20, s10
	s_mov_b32 s3, s9
	s_addc_u32 s11, s21, s11
	s_lshl_b64 s[8:9], s[2:3], 2
	s_add_u32 s8, s20, s8
	s_addc_u32 s9, s21, s9
	s_load_dword s5, s[10:11], 0x0
	s_load_dword s12, s[8:9], 0x0
	s_waitcnt lgkmcnt(0)
	s_sub_i32 s5, s5, s12
	s_cmp_eq_u32 s5, 1
	s_cselect_b64 s[8:9], -1, 0
	s_andn2_b64 vcc, exec, s[6:7]
	s_cbranch_vccnz .LBB1228_3
.LBB1228_2:
	s_mov_b32 s3, 0
	s_mov_b64 s[8:9], -1
.LBB1228_3:
	s_andn2_b64 vcc, exec, s[8:9]
	s_cbranch_vccnz .LBB1228_23
; %bb.4:
	s_load_dword s5, s[0:1], 0x9c
	s_load_dwordx2 s[6:7], s[0:1], 0x28
	s_add_u32 s28, s0, 0x90
	s_addc_u32 s29, s1, 0
	s_lshl_b64 s[34:35], s[2:3], 2
	s_waitcnt lgkmcnt(0)
	s_and_b32 s5, s5, 0xffff
	s_add_u32 s6, s6, s34
	s_addc_u32 s7, s7, s35
	s_load_dword s3, s[6:7], 0x0
	s_mul_i32 s10, s24, s5
	s_waitcnt lgkmcnt(0)
	s_cmp_ge_i32 s10, s3
	s_cbranch_scc1 .LBB1228_23
; %bb.5:
	v_and_b32_e32 v2, 0xc0, v0
	v_add_u32_e32 v4, s10, v2
	v_lshrrev_b32_e32 v1, 6, v0
	v_cmp_gt_i32_e64 s[6:7], s3, v4
	v_cmp_le_i32_e32 vcc, s3, v4
                                        ; implicit-def: $sgpr25
                                        ; implicit-def: $sgpr11
	s_and_saveexec_b64 s[8:9], vcc
	s_xor_b64 s[8:9], exec, s[8:9]
	s_cbranch_execz .LBB1228_7
; %bb.6:
	v_mul_u32_u24_e32 v2, 20, v1
	v_or_b32_e32 v2, 0xa00, v2
	v_mov_b32_e32 v3, 0xa50
	v_mov_b32_e32 v4, 0xff7fffff
	v_mad_u32_u24 v3, v1, 20, v3
	ds_write2_b32 v2, v4, v4 offset1:1
	v_mov_b32_e32 v2, 0
	ds_write2_b32 v3, v2, v2 offset1:1
	v_mov_b32_e32 v3, 0xa08
	s_mov_b32 s11, 0xff7fffff
	s_mov_b32 s25, 0
	v_mad_u32_u24 v3, v1, 20, v3
	v_mov_b32_e32 v5, 0xa58
	v_mad_u32_u24 v5, v1, 20, v5
	ds_write2_b32 v3, v4, v4 offset1:1
	ds_write2_b32 v5, v2, v2 offset1:1
                                        ; implicit-def: $vgpr4
.LBB1228_7:
	s_or_saveexec_b64 s[30:31], s[8:9]
	s_load_dwordx2 s[26:27], s[0:1], 0x68
	s_load_dwordx4 s[16:19], s[0:1], 0x58
	s_load_dword s5, s[28:29], 0x4
	s_load_dwordx4 s[12:15], s[0:1], 0x80
	v_and_b32_e32 v30, 63, v0
	v_and_b32_e32 v31, 3, v0
	v_mov_b32_e32 v21, s25
	v_mov_b32_e32 v24, s11
	;; [unrolled: 1-line block ×5, first 2 shown]
                                        ; implicit-def: $vgpr10_vgpr11
                                        ; implicit-def: $vgpr6_vgpr7
                                        ; implicit-def: $vgpr14_vgpr15
                                        ; implicit-def: $vgpr2_vgpr3
	s_xor_b64 exec, exec, s[30:31]
	s_cbranch_execz .LBB1228_17
; %bb.8:
	s_load_dwordx2 s[8:9], s[0:1], 0x20
	s_load_dword s11, s[0:1], 0x38
	s_add_i32 s25, s3, 31
	s_ashr_i32 s33, s25, 31
	s_lshr_b32 s33, s33, 27
	v_add_u32_e32 v32, s10, v0
	s_add_i32 s25, s25, s33
	v_ashrrev_i32_e32 v2, 31, v32
	v_ashrrev_i32_e32 v5, 31, v4
	s_ashr_i32 s25, s25, 5
	v_lshrrev_b32_e32 v2, 27, v2
	v_lshrrev_b32_e32 v5, 27, v5
	s_add_i32 s25, s25, -1
	s_waitcnt lgkmcnt(0)
	s_mul_i32 s36, s2, s11
	s_mov_b32 s37, 0
	v_add_u32_e32 v2, v32, v2
	v_add_u32_e32 v4, v4, v5
	s_lshl_b64 s[36:37], s[36:37], 2
	v_ashrrev_i32_e32 v2, 5, v2
	v_mov_b32_e32 v3, s25
	v_cmp_gt_i32_e32 vcc, s3, v32
	v_ashrrev_i32_e32 v6, 5, v4
	s_add_u32 s8, s8, s36
	v_cndmask_b32_e32 v2, v3, v2, vcc
	v_min_i32_e32 v4, s25, v6
	v_add_u32_e32 v6, 1, v6
	s_addc_u32 s9, s9, s37
	v_ashrrev_i32_e32 v3, 31, v2
	v_min_i32_e32 v6, s25, v6
	v_lshl_add_u64 v[2:3], v[2:3], 2, s[8:9]
	v_ashrrev_i32_e32 v5, 31, v4
	v_ashrrev_i32_e32 v7, 31, v6
	v_lshl_add_u64 v[4:5], v[4:5], 2, s[8:9]
	v_lshl_add_u64 v[10:11], v[6:7], 2, s[8:9]
	global_load_dword v6, v[2:3], off
	global_load_dword v9, v[4:5], off
	;; [unrolled: 1-line block ×3, first 2 shown]
	s_load_dwordx4 s[8:11], s[0:1], 0x8
	s_andn2_b64 vcc, exec, s[22:23]
	s_cbranch_vccnz .LBB1228_11
; %bb.9:
	s_add_u32 s20, s20, s34
	s_addc_u32 s21, s21, s35
	s_load_dword s25, s[20:21], 0x0
	s_branch .LBB1228_12
.LBB1228_10:
	s_mov_b64 s[8:9], 0
	s_branch .LBB1228_2
.LBB1228_11:
	s_mov_b32 s25, s2
.LBB1228_12:
	s_load_dwordx4 s[20:23], s[0:1], 0x48
	v_cmp_eq_u32_e32 vcc, 0, v31
	s_mov_b32 s37, 0
	v_mov_b32_e32 v33, 0
	v_mov_b32_e32 v7, 0
	;; [unrolled: 1-line block ×6, first 2 shown]
	s_and_saveexec_b64 s[34:35], vcc
	s_cbranch_execz .LBB1228_14
; %bb.13:
	s_load_dwordx2 s[38:39], s[0:1], 0x0
	s_waitcnt lgkmcnt(0)
	s_ashr_i32 s23, s20, 31
	s_mul_hi_u32 s33, s25, s20
	s_mul_i32 s23, s25, s23
	s_add_i32 s41, s33, s23
	s_mul_i32 s40, s25, s20
	s_lshl_b64 s[40:41], s[40:41], 1
	s_add_u32 s20, s38, s40
	s_addc_u32 s23, s39, s41
	s_lshl_b32 s36, s4, 6
	s_lshl_b64 s[36:37], s[36:37], 1
	s_add_u32 s36, s20, s36
	s_addc_u32 s37, s23, s37
	v_lshlrev_b32_e32 v2, 2, v30
	global_load_dwordx4 v[2:5], v2, s[36:37]
	v_mov_b32_e32 v33, 1.0
.LBB1228_14:
	s_or_b64 exec, exec, s[34:35]
	s_waitcnt lgkmcnt(0)
	s_mul_i32 s20, s4, s22
	s_add_u32 s8, s20, s8
	s_addc_u32 s9, 0, s9
	v_mov_b64_e32 v[10:11], s[8:9]
	s_waitcnt vmcnt(2)
	v_mad_i64_i32 v[10:11], s[8:9], v6, s21, v[10:11]
	v_lshlrev_b32_e32 v6, 4, v0
	v_and_b32_e32 v6, 0x1f0, v6
	v_lshl_add_u64 v[10:11], v[10:11], 0, v[6:7]
	global_load_dwordx4 v[26:29], v[10:11], off
	global_load_dwordx4 v[22:25], v[10:11], off offset:512
	global_load_dwordx4 v[18:21], v[10:11], off offset:1024
	;; [unrolled: 1-line block ×3, first 2 shown]
	s_load_dword s9, s[0:1], 0x1c
	s_load_dword s22, s[12:13], 0x0
	s_waitcnt vmcnt(5)
	v_mul_hi_i32 v6, v9, s21
	s_add_u32 s0, s10, s20
	s_waitcnt vmcnt(4)
	v_mul_hi_i32 v10, v8, s21
	v_ashrrev_i32_e32 v12, 31, v6
	s_addc_u32 s1, s11, 0
	v_lshlrev_b32_e32 v6, 5, v30
	v_ashrrev_i32_e32 v36, 31, v10
	s_waitcnt lgkmcnt(0)
	v_mov_b32_e32 v13, s9
	v_lshl_add_u64 v[10:11], s[0:1], 0, v[6:7]
	v_lshrrev_b32_e32 v6, 29, v12
	v_mul_f32_e32 v34, s22, v13
	v_mad_i64_i32 v[12:13], s[0:1], v9, s21, v[6:7]
	v_lshrrev_b32_e32 v6, 29, v36
	v_and_b32_e32 v12, -8, v12
	v_mad_i64_i32 v[6:7], s[0:1], v8, s21, v[6:7]
	v_lshl_add_u64 v[36:37], v[10:11], 0, v[12:13]
	v_and_b32_e32 v6, -8, v6
	v_lshl_add_u64 v[38:39], v[10:11], 0, v[6:7]
	global_load_dwordx4 v[6:9], v[36:37], off offset:16
	global_load_dwordx4 v[10:13], v[36:37], off
	s_mov_b32 s8, 0x7060302
	v_and_b32_e32 v35, -4, v32
	v_cmp_eq_u32_e32 vcc, 1, v31
	s_waitcnt vmcnt(5)
	v_cvt_pk_f32_fp8_e32 v[36:37], v26
	v_cvt_pk_f32_fp8_sdwa v[40:41], v26 src0_sel:WORD_1
	v_cvt_pk_f32_fp8_e32 v[42:43], v27
	v_cvt_pk_f32_fp8_sdwa v[26:27], v27 src0_sel:WORD_1
	;; [unrolled: 2-line block ×3, first 2 shown]
	v_perm_b32 v36, v37, v36, s8
	v_perm_b32 v37, v41, v40, s8
	v_cvt_pk_f32_fp8_e32 v[48:49], v29
	v_cvt_pk_f32_fp8_sdwa v[28:29], v29 src0_sel:WORD_1
	v_mfma_f32_4x4x4_16b_bf16 a[0:3], v[2:3], v[36:37], 0 cbsz:4
	v_perm_b32 v40, v43, v42, s8
	v_perm_b32 v41, v27, v26, s8
	s_waitcnt vmcnt(4)
	v_cvt_pk_f32_fp8_e32 v[50:51], v22
	v_cvt_pk_f32_fp8_sdwa v[52:53], v22 src0_sel:WORD_1
	v_mfma_f32_4x4x4_16b_bf16 a[0:3], v[4:5], v[40:41], a[0:3] cbsz:4
	v_perm_b32 v26, v45, v44, s8
	v_perm_b32 v27, v47, v46, s8
	v_cvt_pk_f32_fp8_e32 v[54:55], v23
	v_cvt_pk_f32_fp8_sdwa v[22:23], v23 src0_sel:WORD_1
	v_mfma_f32_4x4x4_16b_bf16 a[0:3], v[2:3], v[26:27], a[0:3] cbsz:4 abid:1
	v_perm_b32 v42, v49, v48, s8
	v_perm_b32 v43, v29, v28, s8
	v_cvt_pk_f32_fp8_e32 v[56:57], v24
	v_cvt_pk_f32_fp8_sdwa v[58:59], v24 src0_sel:WORD_1
	v_mfma_f32_4x4x4_16b_bf16 a[0:3], v[4:5], v[42:43], a[0:3] cbsz:4 abid:1
	;; [unrolled: 5-line block ×3, first 2 shown]
	v_perm_b32 v44, v55, v54, s8
	v_perm_b32 v45, v23, v22, s8
	s_waitcnt vmcnt(3)
	v_cvt_pk_f32_fp8_e32 v[62:63], v18
	v_cvt_pk_f32_fp8_sdwa v[64:65], v18 src0_sel:WORD_1
	v_mfma_f32_4x4x4_16b_bf16 a[0:3], v[4:5], v[44:45], a[0:3] cbsz:4 abid:2
	v_perm_b32 v22, v57, v56, s8
	v_perm_b32 v23, v59, v58, s8
	v_cvt_pk_f32_fp8_e32 v[66:67], v19
	v_cvt_pk_f32_fp8_sdwa v[18:19], v19 src0_sel:WORD_1
	v_mfma_f32_4x4x4_16b_bf16 a[0:3], v[2:3], v[22:23], a[0:3] cbsz:4 abid:3
	v_perm_b32 v46, v61, v60, s8
	v_perm_b32 v47, v25, v24, s8
	;; [unrolled: 5-line block ×4, first 2 shown]
	s_waitcnt vmcnt(2)
	v_cvt_pk_f32_fp8_e32 v[74:75], v14
	v_cvt_pk_f32_fp8_sdwa v[76:77], v14 src0_sel:WORD_1
	v_mfma_f32_4x4x4_16b_bf16 a[0:3], v[4:5], v[36:37], a[0:3] cbsz:4 abid:4
	v_perm_b32 v18, v69, v68, s8
	v_perm_b32 v19, v71, v70, s8
	v_cvt_pk_f32_fp8_e32 v[78:79], v15
	v_cvt_pk_f32_fp8_sdwa v[14:15], v15 src0_sel:WORD_1
	v_mfma_f32_4x4x4_16b_bf16 a[0:3], v[2:3], v[18:19], a[0:3] cbsz:4 abid:5
	v_perm_b32 v26, v73, v72, s8
	v_perm_b32 v27, v21, v20, s8
	v_cvt_pk_f32_fp8_e32 v[80:81], v16
	v_cvt_pk_f32_fp8_sdwa v[82:83], v16 src0_sel:WORD_1
	v_mfma_f32_4x4x4_16b_bf16 a[0:3], v[4:5], v[26:27], a[0:3] cbsz:4 abid:5
	v_perm_b32 v20, v75, v74, s8
	v_perm_b32 v21, v77, v76, s8
	v_cvt_pk_f32_fp8_e32 v[84:85], v17
	v_cvt_pk_f32_fp8_sdwa v[16:17], v17 src0_sel:WORD_1
	v_mfma_f32_4x4x4_16b_bf16 a[0:3], v[2:3], v[20:21], a[0:3] cbsz:4 abid:6
	v_perm_b32 v22, v79, v78, s8
	v_perm_b32 v23, v15, v14, s8
	v_perm_b32 v14, v81, v80, s8
	v_perm_b32 v15, v83, v82, s8
	v_mfma_f32_4x4x4_16b_bf16 a[0:3], v[4:5], v[22:23], a[0:3] cbsz:4 abid:6
	v_perm_b32 v18, v85, v84, s8
	v_perm_b32 v19, v17, v16, s8
	v_mfma_f32_4x4x4_16b_bf16 a[0:3], v[2:3], v[14:15], a[0:3] cbsz:4 abid:7
	s_nop 1
	v_mfma_f32_4x4x4_16b_bf16 a[0:3], v[4:5], v[18:19], a[0:3] cbsz:4 abid:7
	s_nop 4
	v_accvgpr_read_b32 v3, a1
	v_accvgpr_read_b32 v2, a0
	v_pk_mul_f32 v[18:19], v[2:3], v[34:35] op_sel_hi:[1,0]
	global_load_dwordx4 v[2:5], v[38:39], off offset:16
	global_load_dwordx4 v[14:17], v[38:39], off
	v_accvgpr_read_b32 v21, a3
	v_accvgpr_read_b32 v20, a2
	v_pk_mul_f32 v[20:21], v[20:21], v[34:35] op_sel_hi:[1,0]
	v_mfma_f32_4x4x1_16b_f32 a[0:3], v18, v33, 0
	v_cndmask_b32_e64 v18, 0, 1.0, vcc
	v_cmp_eq_u32_e32 vcc, 2, v31
	s_nop 0
	v_mfma_f32_4x4x1_16b_f32 a[0:3], v19, v18, a[0:3]
	v_cndmask_b32_e64 v18, 0, 1.0, vcc
	v_cmp_eq_u32_e32 vcc, 3, v31
	s_nop 0
	v_mfma_f32_4x4x1_16b_f32 a[0:3], v20, v18, a[0:3]
	v_cndmask_b32_e64 v18, 0, 1.0, vcc
	v_cmp_gt_i32_e32 vcc, s3, v35
	s_nop 0
	v_mfma_f32_4x4x1_16b_f32 a[0:3], v21, v18, a[0:3]
	v_mov_b32_e32 v21, 0xff7fffff
	v_lshlrev_b32_e32 v18, 2, v0
	v_and_or_b32 v18, v18, 48, v31
	v_lshlrev_b32_e32 v26, 2, v18
	v_accvgpr_read_b32 v19, a0
	v_max_f32_e32 v20, v19, v19
	v_max_f32_e32 v20, 0xff7fffff, v20
	v_accvgpr_read_b32 v22, a1
	v_cndmask_b32_e32 v20, v21, v20, vcc
	v_or_b32_e32 v21, 1, v35
	v_max_f32_e32 v23, v22, v22
	v_max_f32_e32 v23, v20, v23
	v_cmp_gt_i32_e64 s[0:1], s3, v21
	v_or_b32_e32 v21, 2, v35
	v_cmp_gt_i32_e64 s[8:9], s3, v21
	v_cndmask_b32_e64 v20, v20, v23, s[0:1]
	v_accvgpr_read_b32 v23, a2
	v_max_f32_e32 v24, v23, v23
	v_max_f32_e32 v24, v20, v24
	v_accvgpr_read_b32 v25, a3
	v_cndmask_b32_e64 v20, v20, v24, s[8:9]
	v_or_b32_e32 v21, 3, v32
	v_max_f32_e32 v24, v25, v25
	v_max_f32_e32 v24, v20, v24
	v_cmp_gt_i32_e64 s[10:11], s3, v21
	s_nop 1
	v_cndmask_b32_e64 v20, v20, v24, s[10:11]
	;;#ASMSTART
	v_nop
 v_nop
 v_max_f32_dpp v18, v20, v20 row_ror:4
	;;#ASMEND
	s_nop 0
	;;#ASMSTART
	v_nop
 v_nop
 v_max_f32_dpp v18, v18, v18 row_ror:8
	;;#ASMEND
	ds_bpermute_b32 v18, v26, v18
	s_waitcnt lgkmcnt(0)
	;;#ASMSTART
	v_nop
 v_nop
 v_max_f32_dpp v18, v18, v18 row_ror:4
	;;#ASMEND
	s_nop 0
	;;#ASMSTART
	v_nop
 v_nop
 v_max_f32_dpp v24, v18, v18 row_ror:8
	;;#ASMEND
	s_nop 0
	v_sub_f32_e32 v18, v19, v24
	v_mul_f32_e32 v18, 0x3fb8aa3b, v18
	v_sub_f32_e32 v19, v22, v24
	v_exp_f32_e32 v18, v18
	v_mul_f32_e32 v19, 0x3fb8aa3b, v19
	v_sub_f32_e32 v21, v23, v24
	v_exp_f32_e32 v19, v19
	;; [unrolled: 3-line block ×3, first 2 shown]
	v_mul_f32_e32 v22, 0x3fb8aa3b, v22
	v_exp_f32_e32 v22, v22
	v_cndmask_b32_e32 v18, 0, v18, vcc
	v_add_f32_e32 v20, 0, v18
	v_cndmask_b32_e64 v19, 0, v19, s[0:1]
	v_add_f32_e32 v23, v20, v19
	v_cndmask_b32_e64 v20, 0, v21, s[8:9]
	;; [unrolled: 2-line block ×3, first 2 shown]
	v_add_f32_e32 v22, v23, v21
	;;#ASMSTART
	v_nop
 v_nop
 v_add_f32_dpp v22, v22, v22 row_ror:4
	;;#ASMEND
	v_cmp_gt_u32_e32 vcc, 4, v30
	;;#ASMSTART
	v_nop
 v_nop
 v_add_f32_dpp v22, v22, v22 row_ror:8
	;;#ASMEND
	ds_bpermute_b32 v22, v26, v22
	s_waitcnt lgkmcnt(0)
	;;#ASMSTART
	v_nop
 v_nop
 v_add_f32_dpp v22, v22, v22 row_ror:4
	;;#ASMEND
	s_nop 0
	;;#ASMSTART
	v_nop
 v_nop
 v_add_f32_dpp v22, v22, v22 row_ror:8
	;;#ASMEND
	s_and_saveexec_b64 s[0:1], vcc
	s_cbranch_execz .LBB1228_16
; %bb.15:
	v_mul_u32_u24_e32 v23, 20, v1
	v_lshl_add_u32 v23, v31, 2, v23
	v_add_u32_e32 v23, 0x800, v23
	ds_write2_b32 v23, v24, v22 offset0:128 offset1:148
.LBB1228_16:
	s_or_b64 exec, exec, s[0:1]
.LBB1228_17:
	s_or_b64 exec, exec, s[30:31]
	s_waitcnt lgkmcnt(0)
	s_barrier
	s_load_dword s0, s[28:29], 0x8
	v_lshlrev_b32_e32 v22, 2, v31
	v_add_u32_e32 v32, 0x800, v22
	ds_read2_b32 v[22:23], v32 offset0:128 offset1:133
	ds_read2_b32 v[26:27], v32 offset0:138 offset1:143
	s_mul_i32 s1, s5, s2
	s_waitcnt lgkmcnt(0)
	s_mul_i32 s0, s1, s0
	s_mov_b32 s1, 0xff7fffff
	v_max3_f32 v25, v22, s1, v23
	v_max3_f32 v25, v25, v26, v27
	v_sub_f32_e32 v22, v22, v25
	ds_read2_b32 v[28:29], v32 offset0:148 offset1:153
	v_mul_f32_e32 v22, 0x3fb8aa3b, v22
	v_sub_f32_e32 v23, v23, v25
	v_sub_f32_e32 v26, v26, v25
	v_exp_f32_e32 v34, v22
	v_mul_f32_e32 v23, 0x3fb8aa3b, v23
	v_mul_f32_e32 v26, 0x3fb8aa3b, v26
	v_exp_f32_e32 v23, v23
	ds_read2_b32 v[32:33], v32 offset0:158 offset1:163
	v_exp_f32_e32 v35, v26
	v_sub_f32_e32 v26, v27, v25
	v_mul_f32_e32 v26, 0x3fb8aa3b, v26
	v_exp_f32_e32 v27, v26
	s_waitcnt lgkmcnt(1)
	v_fma_f32 v26, v34, v28, 0
	v_fmac_f32_e32 v26, v23, v29
	s_waitcnt lgkmcnt(0)
	v_fmac_f32_e32 v26, v35, v32
	v_mov_b32_e32 v22, 0
	v_fmac_f32_e32 v26, v27, v33
	s_mov_b32 s1, 0
	v_cmp_eq_u32_e32 vcc, 0, v31
	s_and_saveexec_b64 s[2:3], vcc
	s_cbranch_execz .LBB1228_19
; %bb.18:
	s_lshl_b64 s[8:9], s[0:1], 2
	s_add_u32 s12, s16, s8
	s_mov_b32 s25, s1
	s_addc_u32 s13, s17, s9
	s_lshl_b64 s[10:11], s[24:25], 2
	s_add_u32 s12, s12, s10
	s_addc_u32 s13, s13, s11
	s_add_u32 s8, s18, s8
	s_addc_u32 s9, s19, s9
	s_add_u32 s16, s8, s10
	s_addc_u32 s17, s9, s11
	s_mul_i32 s8, s5, s4
	s_mov_b32 s9, s1
	s_lshl_b64 s[8:9], s[8:9], 2
	s_add_u32 s10, s12, s8
	s_addc_u32 s11, s13, s9
	s_add_u32 s8, s16, s8
	s_addc_u32 s9, s17, s9
	global_store_dword v22, v25, s[8:9]
	global_store_dword v22, v26, s[10:11]
.LBB1228_19:
	s_or_b64 exec, exec, s[2:3]
	v_mov_b32_e32 v23, 0
	s_and_saveexec_b64 s[2:3], s[6:7]
	s_cbranch_execz .LBB1228_21
; %bb.20:
	v_add_f32_e32 v22, 0x358637bd, v26
	v_div_scale_f32 v23, s[6:7], v22, v22, 1.0
	v_rcp_f32_e32 v26, v23
	v_div_scale_f32 v27, vcc, 1.0, v22, 1.0
	v_sub_f32_e32 v24, v24, v25
	v_fma_f32 v28, -v23, v26, 1.0
	v_fmac_f32_e32 v26, v28, v26
	v_mul_f32_e32 v28, v27, v26
	v_fma_f32 v29, -v23, v28, v27
	v_mul_f32_e32 v24, 0x3fb8aa3b, v24
	v_fmac_f32_e32 v28, v29, v26
	v_exp_f32_e32 v24, v24
	v_fma_f32 v23, -v23, v28, v27
	v_div_fmas_f32 v23, v23, v26, v28
	v_div_fixup_f32 v22, v23, v22, 1.0
	v_mul_f32_e32 v22, v24, v22
	v_pk_mul_f32 v[18:19], v[18:19], v[22:23] op_sel_hi:[1,0]
	v_pk_mul_f32 v[20:21], v[20:21], v[22:23] op_sel_hi:[1,0]
	v_bfe_u32 v22, v19, 16, 1
	v_bfe_u32 v23, v18, 16, 1
	s_movk_i32 s1, 0x7fff
	v_add3_u32 v18, v18, v23, s1
	v_add3_u32 v19, v19, v22, s1
	s_mov_b32 s7, 0x7060302
	v_perm_b32 v18, v19, v18, s7
	v_bfe_u32 v19, v21, 16, 1
	v_bfe_u32 v22, v20, 16, 1
	v_add3_u32 v22, v20, v22, s1
	v_add3_u32 v19, v21, v19, s1
	s_waitcnt vmcnt(2)
	v_cvt_pk_f32_fp8_e32 v[20:21], v10
	v_perm_b32 v19, v19, v22, s7
	v_cvt_pk_f32_fp8_sdwa v[22:23], v10 src0_sel:WORD_1
	v_cvt_pk_f32_fp8_e32 v[24:25], v11
	v_perm_b32 v10, v21, v20, s7
	v_cvt_pk_f32_fp8_sdwa v[20:21], v11 src0_sel:WORD_1
	v_perm_b32 v11, v23, v22, s7
	v_perm_b32 v22, v25, v24, s7
	s_load_dword s6, s[14:15], 0x0
	v_mfma_f32_4x4x4_16b_bf16 a[0:3], v[18:19], v[10:11], 0 cbsz:4
	v_perm_b32 v23, v21, v20, s7
	v_cvt_pk_f32_fp8_e32 v[10:11], v12
	v_cvt_pk_f32_fp8_sdwa v[20:21], v12 src0_sel:WORD_1
	v_mfma_f32_4x4x4_16b_bf16 a[0:3], v[18:19], v[22:23], a[0:3] cbsz:4 abid:1
	v_cvt_pk_f32_fp8_e32 v[22:23], v13
	v_cvt_pk_f32_fp8_sdwa v[12:13], v13 src0_sel:WORD_1
	v_perm_b32 v10, v11, v10, s7
	v_perm_b32 v11, v21, v20, s7
	v_perm_b32 v20, v23, v22, s7
	v_perm_b32 v21, v13, v12, s7
	v_mfma_f32_4x4x4_16b_bf16 a[0:3], v[18:19], v[10:11], a[0:3] cbsz:4 abid:2
	v_cvt_pk_f32_fp8_e32 v[10:11], v6
	v_cvt_pk_f32_fp8_sdwa v[12:13], v6 src0_sel:WORD_1
	v_mfma_f32_4x4x4_16b_bf16 a[0:3], v[18:19], v[20:21], a[0:3] cbsz:4 abid:3
	v_cvt_pk_f32_fp8_e32 v[20:21], v7
	v_perm_b32 v6, v11, v10, s7
	v_cvt_pk_f32_fp8_sdwa v[10:11], v7 src0_sel:WORD_1
	v_perm_b32 v7, v13, v12, s7
	v_perm_b32 v12, v21, v20, s7
	;; [unrolled: 1-line block ×3, first 2 shown]
	v_mfma_f32_4x4x4_16b_bf16 a[0:3], v[18:19], v[6:7], a[0:3] cbsz:4 abid:4
	v_cvt_pk_f32_fp8_e32 v[6:7], v8
	v_cvt_pk_f32_fp8_sdwa v[10:11], v8 src0_sel:WORD_1
	v_mfma_f32_4x4x4_16b_bf16 a[0:3], v[18:19], v[12:13], a[0:3] cbsz:4 abid:5
	v_cvt_pk_f32_fp8_e32 v[12:13], v9
	v_cvt_pk_f32_fp8_sdwa v[8:9], v9 src0_sel:WORD_1
	v_perm_b32 v6, v7, v6, s7
	v_perm_b32 v7, v11, v10, s7
	;; [unrolled: 1-line block ×4, first 2 shown]
	v_mfma_f32_4x4x4_16b_bf16 a[0:3], v[18:19], v[6:7], a[0:3] cbsz:4 abid:6
	s_waitcnt vmcnt(0)
	v_cvt_pk_f32_fp8_e32 v[6:7], v14
	v_cvt_pk_f32_fp8_sdwa v[8:9], v14 src0_sel:WORD_1
	v_mfma_f32_4x4x4_16b_bf16 a[0:3], v[18:19], v[10:11], a[0:3] cbsz:4 abid:7
	v_cvt_pk_f32_fp8_e32 v[10:11], v15
	v_cvt_pk_f32_fp8_sdwa v[12:13], v15 src0_sel:WORD_1
	v_perm_b32 v6, v7, v6, s7
	v_perm_b32 v7, v9, v8, s7
	;; [unrolled: 1-line block ×4, first 2 shown]
	v_mfma_f32_4x4x4_16b_bf16 a[0:3], v[18:19], v[6:7], a[0:3] cbsz:4 abid:8
	v_cvt_pk_f32_fp8_e32 v[6:7], v16
	v_cvt_pk_f32_fp8_e32 v[10:11], v17
	v_mfma_f32_4x4x4_16b_bf16 a[0:3], v[18:19], v[8:9], a[0:3] cbsz:4 abid:9
	v_cvt_pk_f32_fp8_sdwa v[8:9], v16 src0_sel:WORD_1
	v_cvt_pk_f32_fp8_sdwa v[12:13], v17 src0_sel:WORD_1
	v_perm_b32 v6, v7, v6, s7
	v_perm_b32 v7, v9, v8, s7
	;; [unrolled: 1-line block ×3, first 2 shown]
	s_nop 0
	v_mfma_f32_4x4x4_16b_bf16 a[0:3], v[18:19], v[6:7], a[0:3] cbsz:4 abid:10
	v_cvt_pk_f32_fp8_e32 v[6:7], v2
	v_perm_b32 v9, v13, v12, s7
	v_cvt_pk_f32_fp8_e32 v[10:11], v3
	s_nop 0
	v_mfma_f32_4x4x4_16b_bf16 a[0:3], v[18:19], v[8:9], a[0:3] cbsz:4 abid:11
	v_cvt_pk_f32_fp8_sdwa v[8:9], v2 src0_sel:WORD_1
	v_perm_b32 v2, v7, v6, s7
	v_cvt_pk_f32_fp8_sdwa v[6:7], v3 src0_sel:WORD_1
	v_perm_b32 v3, v9, v8, s7
	v_perm_b32 v8, v11, v10, s7
	s_nop 0
	v_mfma_f32_4x4x4_16b_bf16 a[0:3], v[18:19], v[2:3], a[0:3] cbsz:4 abid:12
	v_perm_b32 v9, v7, v6, s7
	v_cvt_pk_f32_fp8_e32 v[2:3], v4
	v_cvt_pk_f32_fp8_sdwa v[6:7], v4 src0_sel:WORD_1
	v_mfma_f32_4x4x4_16b_bf16 a[0:3], v[18:19], v[8:9], a[0:3] cbsz:4 abid:13
	v_cvt_pk_f32_fp8_e32 v[8:9], v5
	v_cvt_pk_f32_fp8_sdwa v[4:5], v5 src0_sel:WORD_1
	v_perm_b32 v2, v3, v2, s7
	v_perm_b32 v3, v7, v6, s7
	;; [unrolled: 1-line block ×4, first 2 shown]
	v_mfma_f32_4x4x4_16b_bf16 a[0:3], v[18:19], v[2:3], a[0:3] cbsz:4 abid:14
	s_nop 1
	v_mfma_f32_4x4x4_16b_bf16 a[0:3], v[18:19], v[6:7], a[0:3] cbsz:4 abid:15
	s_nop 4
	v_accvgpr_read_b32 v5, a1
	v_accvgpr_read_b32 v4, a0
	;; [unrolled: 1-line block ×4, first 2 shown]
	s_waitcnt lgkmcnt(0)
	v_pk_mul_f32 v[4:5], v[4:5], s[6:7] op_sel_hi:[1,0]
	v_pk_mul_f32 v[2:3], v[2:3], s[6:7] op_sel_hi:[1,0]
	v_bfe_u32 v6, v5, 16, 1
	v_bfe_u32 v7, v4, 16, 1
	v_add3_u32 v4, v4, v7, s1
	v_add3_u32 v5, v5, v6, s1
	v_bfe_u32 v6, v3, 16, 1
	v_bfe_u32 v7, v2, 16, 1
	v_add3_u32 v2, v2, v7, s1
	v_add3_u32 v3, v3, v6, s1
	v_perm_b32 v23, v3, v2, s7
	v_perm_b32 v22, v5, v4, s7
.LBB1228_21:
	s_or_b64 exec, exec, s[2:3]
	v_lshlrev_b32_e32 v1, 3, v1
	v_mad_u32_u24 v1, v30, 40, v1
	v_cmp_gt_u32_e32 vcc, 64, v0
	ds_write_b64 v1, v[22:23]
	s_waitcnt lgkmcnt(0)
	s_barrier
	s_and_saveexec_b64 s[2:3], vcc
	s_cbranch_execz .LBB1228_23
; %bb.22:
	s_waitcnt vmcnt(3)
	v_mul_u32_u24_e32 v6, 40, v30
	s_waitcnt vmcnt(1)
	ds_read2_b64 v[2:5], v6 offset1:1
	ds_read2_b64 v[6:9], v6 offset0:2 offset1:3
	s_lshl_b32 s0, s0, 6
	s_mov_b32 s1, 0
	s_lshl_b64 s[2:3], s[0:1], 1
	s_waitcnt lgkmcnt(1)
	v_lshlrev_b32_e32 v2, 16, v2
	v_add_f32_e32 v2, 0, v2
	s_add_u32 s2, s26, s2
	v_and_b32_e32 v2, 0xffff0000, v2
	v_lshlrev_b32_e32 v3, 16, v4
	s_addc_u32 s3, s27, s3
	s_lshl_b32 s0, s24, 6
	v_add_f32_e32 v2, v2, v3
	s_lshl_b64 s[0:1], s[0:1], 1
	v_and_b32_e32 v2, 0xffff0000, v2
	s_waitcnt lgkmcnt(0)
	v_lshlrev_b32_e32 v3, 16, v6
	s_add_u32 s0, s2, s0
	s_mul_i32 s4, s4, s5
	v_add_f32_e32 v2, v2, v3
	s_addc_u32 s1, s3, s1
	v_lshl_or_b32 v0, s4, 6, v0
	v_mov_b32_e32 v1, 0
	v_and_b32_e32 v2, 0xffff0000, v2
	v_lshlrev_b32_e32 v3, 16, v8
	v_lshl_add_u64 v[0:1], v[0:1], 1, s[0:1]
	v_add_f32_e32 v2, v2, v3
	global_store_short_d16_hi v[0:1], v2, off
.LBB1228_23:
	s_endpgm
	.section	.rodata,"a",@progbits
	.p2align	6, 0x0
	.amdhsa_kernel _Z38paged_attention_ll4mi_QKV_mfma4_kernelI14__hip_bfloat16hLN4vllm18Fp8KVCacheDataTypeE1ES0_Li32ELi64ELi256ELb0ELi1EEvPKT_PKT0_S8_ifPKiSA_SA_iPKfiiiPfSD_PS3_PT2_iSC_SC_
		.amdhsa_group_segment_fixed_size 2720
		.amdhsa_private_segment_fixed_size 0
		.amdhsa_kernarg_size 400
		.amdhsa_user_sgpr_count 2
		.amdhsa_user_sgpr_dispatch_ptr 0
		.amdhsa_user_sgpr_queue_ptr 0
		.amdhsa_user_sgpr_kernarg_segment_ptr 1
		.amdhsa_user_sgpr_dispatch_id 0
		.amdhsa_user_sgpr_kernarg_preload_length 0
		.amdhsa_user_sgpr_kernarg_preload_offset 0
		.amdhsa_user_sgpr_private_segment_size 0
		.amdhsa_uses_dynamic_stack 0
		.amdhsa_enable_private_segment 0
		.amdhsa_system_sgpr_workgroup_id_x 1
		.amdhsa_system_sgpr_workgroup_id_y 1
		.amdhsa_system_sgpr_workgroup_id_z 1
		.amdhsa_system_sgpr_workgroup_info 0
		.amdhsa_system_vgpr_workitem_id 0
		.amdhsa_next_free_vgpr 92
		.amdhsa_next_free_sgpr 42
		.amdhsa_accum_offset 88
		.amdhsa_reserve_vcc 1
		.amdhsa_float_round_mode_32 0
		.amdhsa_float_round_mode_16_64 0
		.amdhsa_float_denorm_mode_32 3
		.amdhsa_float_denorm_mode_16_64 3
		.amdhsa_dx10_clamp 1
		.amdhsa_ieee_mode 1
		.amdhsa_fp16_overflow 0
		.amdhsa_tg_split 0
		.amdhsa_exception_fp_ieee_invalid_op 0
		.amdhsa_exception_fp_denorm_src 0
		.amdhsa_exception_fp_ieee_div_zero 0
		.amdhsa_exception_fp_ieee_overflow 0
		.amdhsa_exception_fp_ieee_underflow 0
		.amdhsa_exception_fp_ieee_inexact 0
		.amdhsa_exception_int_div_zero 0
	.end_amdhsa_kernel
	.section	.text._Z38paged_attention_ll4mi_QKV_mfma4_kernelI14__hip_bfloat16hLN4vllm18Fp8KVCacheDataTypeE1ES0_Li32ELi64ELi256ELb0ELi1EEvPKT_PKT0_S8_ifPKiSA_SA_iPKfiiiPfSD_PS3_PT2_iSC_SC_,"axG",@progbits,_Z38paged_attention_ll4mi_QKV_mfma4_kernelI14__hip_bfloat16hLN4vllm18Fp8KVCacheDataTypeE1ES0_Li32ELi64ELi256ELb0ELi1EEvPKT_PKT0_S8_ifPKiSA_SA_iPKfiiiPfSD_PS3_PT2_iSC_SC_,comdat
.Lfunc_end1228:
	.size	_Z38paged_attention_ll4mi_QKV_mfma4_kernelI14__hip_bfloat16hLN4vllm18Fp8KVCacheDataTypeE1ES0_Li32ELi64ELi256ELb0ELi1EEvPKT_PKT0_S8_ifPKiSA_SA_iPKfiiiPfSD_PS3_PT2_iSC_SC_, .Lfunc_end1228-_Z38paged_attention_ll4mi_QKV_mfma4_kernelI14__hip_bfloat16hLN4vllm18Fp8KVCacheDataTypeE1ES0_Li32ELi64ELi256ELb0ELi1EEvPKT_PKT0_S8_ifPKiSA_SA_iPKfiiiPfSD_PS3_PT2_iSC_SC_
                                        ; -- End function
	.section	.AMDGPU.csdata,"",@progbits
; Kernel info:
; codeLenInByte = 3800
; NumSgprs: 48
; NumVgprs: 86
; NumAgprs: 4
; TotalNumVgprs: 92
; ScratchSize: 0
; MemoryBound: 0
; FloatMode: 240
; IeeeMode: 1
; LDSByteSize: 2720 bytes/workgroup (compile time only)
; SGPRBlocks: 5
; VGPRBlocks: 11
; NumSGPRsForWavesPerEU: 48
; NumVGPRsForWavesPerEU: 92
; AccumOffset: 88
; Occupancy: 5
; WaveLimiterHint : 1
; COMPUTE_PGM_RSRC2:SCRATCH_EN: 0
; COMPUTE_PGM_RSRC2:USER_SGPR: 2
; COMPUTE_PGM_RSRC2:TRAP_HANDLER: 0
; COMPUTE_PGM_RSRC2:TGID_X_EN: 1
; COMPUTE_PGM_RSRC2:TGID_Y_EN: 1
; COMPUTE_PGM_RSRC2:TGID_Z_EN: 1
; COMPUTE_PGM_RSRC2:TIDIG_COMP_CNT: 0
; COMPUTE_PGM_RSRC3_GFX90A:ACCUM_OFFSET: 21
; COMPUTE_PGM_RSRC3_GFX90A:TG_SPLIT: 0
	.section	.text._Z38paged_attention_ll4mi_QKV_mfma4_kernelI14__hip_bfloat16hLN4vllm18Fp8KVCacheDataTypeE1ES0_Li32ELi64ELi256ELb0ELi2EEvPKT_PKT0_S8_ifPKiSA_SA_iPKfiiiPfSD_PS3_PT2_iSC_SC_,"axG",@progbits,_Z38paged_attention_ll4mi_QKV_mfma4_kernelI14__hip_bfloat16hLN4vllm18Fp8KVCacheDataTypeE1ES0_Li32ELi64ELi256ELb0ELi2EEvPKT_PKT0_S8_ifPKiSA_SA_iPKfiiiPfSD_PS3_PT2_iSC_SC_,comdat
	.protected	_Z38paged_attention_ll4mi_QKV_mfma4_kernelI14__hip_bfloat16hLN4vllm18Fp8KVCacheDataTypeE1ES0_Li32ELi64ELi256ELb0ELi2EEvPKT_PKT0_S8_ifPKiSA_SA_iPKfiiiPfSD_PS3_PT2_iSC_SC_ ; -- Begin function _Z38paged_attention_ll4mi_QKV_mfma4_kernelI14__hip_bfloat16hLN4vllm18Fp8KVCacheDataTypeE1ES0_Li32ELi64ELi256ELb0ELi2EEvPKT_PKT0_S8_ifPKiSA_SA_iPKfiiiPfSD_PS3_PT2_iSC_SC_
	.globl	_Z38paged_attention_ll4mi_QKV_mfma4_kernelI14__hip_bfloat16hLN4vllm18Fp8KVCacheDataTypeE1ES0_Li32ELi64ELi256ELb0ELi2EEvPKT_PKT0_S8_ifPKiSA_SA_iPKfiiiPfSD_PS3_PT2_iSC_SC_
	.p2align	8
	.type	_Z38paged_attention_ll4mi_QKV_mfma4_kernelI14__hip_bfloat16hLN4vllm18Fp8KVCacheDataTypeE1ES0_Li32ELi64ELi256ELb0ELi2EEvPKT_PKT0_S8_ifPKiSA_SA_iPKfiiiPfSD_PS3_PT2_iSC_SC_,@function
_Z38paged_attention_ll4mi_QKV_mfma4_kernelI14__hip_bfloat16hLN4vllm18Fp8KVCacheDataTypeE1ES0_Li32ELi64ELi256ELb0ELi2EEvPKT_PKT0_S8_ifPKiSA_SA_iPKfiiiPfSD_PS3_PT2_iSC_SC_: ; @_Z38paged_attention_ll4mi_QKV_mfma4_kernelI14__hip_bfloat16hLN4vllm18Fp8KVCacheDataTypeE1ES0_Li32ELi64ELi256ELb0ELi2EEvPKT_PKT0_S8_ifPKiSA_SA_iPKfiiiPfSD_PS3_PT2_iSC_SC_
; %bb.0:
	s_load_dwordx2 s[20:21], s[0:1], 0x30
	s_mov_b32 s24, s3
	s_mov_b64 s[6:7], 0
	s_waitcnt lgkmcnt(0)
	s_cmp_lg_u64 s[20:21], 0
	s_cselect_b64 s[22:23], -1, 0
	s_and_b64 vcc, exec, s[22:23]
	s_cbranch_vccz .LBB1229_10
; %bb.1:
	s_add_i32 s8, s2, 1
	s_mov_b32 s9, 0
	s_lshl_b64 s[10:11], s[8:9], 2
	s_add_u32 s10, s20, s10
	s_mov_b32 s3, s9
	s_addc_u32 s11, s21, s11
	s_lshl_b64 s[8:9], s[2:3], 2
	s_add_u32 s8, s20, s8
	s_addc_u32 s9, s21, s9
	s_load_dword s5, s[10:11], 0x0
	s_load_dword s12, s[8:9], 0x0
	s_waitcnt lgkmcnt(0)
	s_sub_i32 s5, s5, s12
	s_cmp_eq_u32 s5, 1
	s_cselect_b64 s[8:9], -1, 0
	s_andn2_b64 vcc, exec, s[6:7]
	s_cbranch_vccnz .LBB1229_3
.LBB1229_2:
	s_mov_b32 s3, 0
	s_mov_b64 s[8:9], -1
.LBB1229_3:
	s_andn2_b64 vcc, exec, s[8:9]
	s_cbranch_vccnz .LBB1229_23
; %bb.4:
	s_load_dword s5, s[0:1], 0x9c
	s_load_dwordx2 s[6:7], s[0:1], 0x28
	s_add_u32 s28, s0, 0x90
	s_addc_u32 s29, s1, 0
	s_lshl_b64 s[34:35], s[2:3], 2
	s_waitcnt lgkmcnt(0)
	s_and_b32 s5, s5, 0xffff
	s_add_u32 s6, s6, s34
	s_addc_u32 s7, s7, s35
	s_load_dword s3, s[6:7], 0x0
	s_mul_i32 s10, s24, s5
	s_waitcnt lgkmcnt(0)
	s_cmp_ge_i32 s10, s3
	s_cbranch_scc1 .LBB1229_23
; %bb.5:
	v_and_b32_e32 v2, 0xc0, v0
	v_add_u32_e32 v4, s10, v2
	v_lshrrev_b32_e32 v1, 6, v0
	v_cmp_gt_i32_e64 s[6:7], s3, v4
	v_cmp_le_i32_e32 vcc, s3, v4
                                        ; implicit-def: $sgpr25
                                        ; implicit-def: $sgpr11
	s_and_saveexec_b64 s[8:9], vcc
	s_xor_b64 s[8:9], exec, s[8:9]
	s_cbranch_execz .LBB1229_7
; %bb.6:
	v_mul_u32_u24_e32 v2, 20, v1
	v_or_b32_e32 v2, 0xa00, v2
	v_mov_b32_e32 v3, 0xa50
	v_mov_b32_e32 v4, 0xff7fffff
	v_mad_u32_u24 v3, v1, 20, v3
	ds_write2_b32 v2, v4, v4 offset1:1
	v_mov_b32_e32 v2, 0
	ds_write2_b32 v3, v2, v2 offset1:1
	v_mov_b32_e32 v3, 0xa08
	s_mov_b32 s11, 0xff7fffff
	s_mov_b32 s25, 0
	v_mad_u32_u24 v3, v1, 20, v3
	v_mov_b32_e32 v5, 0xa58
	v_mad_u32_u24 v5, v1, 20, v5
	ds_write2_b32 v3, v4, v4 offset1:1
	ds_write2_b32 v5, v2, v2 offset1:1
                                        ; implicit-def: $vgpr4
.LBB1229_7:
	s_or_saveexec_b64 s[30:31], s[8:9]
	s_load_dwordx2 s[26:27], s[0:1], 0x68
	s_load_dwordx4 s[16:19], s[0:1], 0x58
	s_load_dword s5, s[28:29], 0x4
	s_load_dwordx4 s[12:15], s[0:1], 0x80
	v_and_b32_e32 v30, 63, v0
	v_and_b32_e32 v31, 3, v0
	v_mov_b32_e32 v21, s25
	v_mov_b32_e32 v24, s11
	;; [unrolled: 1-line block ×5, first 2 shown]
                                        ; implicit-def: $vgpr6_vgpr7
                                        ; implicit-def: $vgpr2_vgpr3
                                        ; implicit-def: $vgpr14_vgpr15
                                        ; implicit-def: $vgpr10_vgpr11
	s_xor_b64 exec, exec, s[30:31]
	s_cbranch_execz .LBB1229_17
; %bb.8:
	s_load_dwordx2 s[8:9], s[0:1], 0x20
	s_load_dword s11, s[0:1], 0x38
	s_add_i32 s25, s3, 31
	s_ashr_i32 s33, s25, 31
	s_lshr_b32 s33, s33, 27
	v_add_u32_e32 v32, s10, v0
	s_add_i32 s25, s25, s33
	v_ashrrev_i32_e32 v2, 31, v32
	s_ashr_i32 s25, s25, 5
	v_lshrrev_b32_e32 v2, 27, v2
	s_add_i32 s25, s25, -1
	s_waitcnt lgkmcnt(0)
	s_mul_i32 s36, s2, s11
	s_mov_b32 s37, 0
	v_add_u32_e32 v2, v32, v2
	s_lshl_b64 s[36:37], s[36:37], 2
	v_ashrrev_i32_e32 v2, 5, v2
	v_mov_b32_e32 v3, s25
	v_cmp_gt_i32_e32 vcc, s3, v32
	s_add_u32 s8, s8, s36
	s_addc_u32 s9, s9, s37
	v_cndmask_b32_e32 v2, v3, v2, vcc
	v_ashrrev_i32_e32 v3, 31, v2
	v_lshl_add_u64 v[6:7], v[2:3], 2, s[8:9]
	v_ashrrev_i32_e32 v2, 31, v4
	v_lshrrev_b32_e32 v2, 27, v2
	v_add_u32_e32 v2, v4, v2
	v_ashrrev_i32_e32 v4, 5, v2
	v_min_i32_e32 v2, s25, v4
	v_ashrrev_i32_e32 v3, 31, v2
	v_lshl_add_u64 v[8:9], v[2:3], 2, s[8:9]
	v_add_u32_e32 v2, 1, v4
	v_min_i32_e32 v2, s25, v2
	v_ashrrev_i32_e32 v3, 31, v2
	v_lshl_add_u64 v[10:11], v[2:3], 2, s[8:9]
	global_load_dword v2, v[6:7], off
	global_load_dword v5, v[8:9], off
	;; [unrolled: 1-line block ×3, first 2 shown]
	s_load_dwordx4 s[8:11], s[0:1], 0x8
	s_andn2_b64 vcc, exec, s[22:23]
	s_cbranch_vccnz .LBB1229_11
; %bb.9:
	s_add_u32 s20, s20, s34
	s_addc_u32 s21, s21, s35
	s_load_dword s25, s[20:21], 0x0
	s_branch .LBB1229_12
.LBB1229_10:
	s_mov_b64 s[8:9], 0
	s_branch .LBB1229_2
.LBB1229_11:
	s_mov_b32 s25, s2
.LBB1229_12:
	s_load_dwordx4 s[20:23], s[0:1], 0x48
	v_cmp_gt_u32_e32 vcc, 2, v31
	s_mov_b32 s37, 0
	v_mov_b32_e32 v3, 0
	v_mov_b32_e32 v10, 0
	;; [unrolled: 1-line block ×5, first 2 shown]
	s_and_saveexec_b64 s[34:35], vcc
	s_cbranch_execz .LBB1229_14
; %bb.13:
	s_load_dwordx2 s[38:39], s[0:1], 0x0
	s_waitcnt lgkmcnt(0)
	s_ashr_i32 s23, s20, 31
	s_mul_hi_u32 s33, s25, s20
	s_mul_i32 s23, s25, s23
	s_add_i32 s41, s33, s23
	s_mul_i32 s40, s25, s20
	s_lshl_b64 s[40:41], s[40:41], 1
	s_add_u32 s20, s38, s40
	s_addc_u32 s23, s39, s41
	s_lshl_b32 s36, s4, 7
	s_lshl_b64 s[36:37], s[36:37], 1
	s_add_u32 s36, s20, s36
	v_lshlrev_b32_e32 v6, 3, v31
	v_lshrrev_b32_e32 v7, 2, v30
	s_addc_u32 s37, s23, s37
	v_add_lshl_u32 v6, v6, v7, 4
	global_load_dwordx4 v[10:13], v6, s[36:37]
.LBB1229_14:
	s_or_b64 exec, exec, s[34:35]
	s_waitcnt lgkmcnt(0)
	s_mul_i32 s20, s4, s22
	s_add_u32 s8, s20, s8
	s_addc_u32 s9, 0, s9
	v_mov_b64_e32 v[6:7], s[8:9]
	s_waitcnt vmcnt(2)
	v_mad_i64_i32 v[6:7], s[8:9], v2, s21, v[6:7]
	v_lshlrev_b32_e32 v2, 4, v0
	v_and_b32_e32 v2, 0x1f0, v2
	v_lshl_add_u64 v[6:7], v[6:7], 0, v[2:3]
	global_load_dwordx4 v[26:29], v[6:7], off
	global_load_dwordx4 v[22:25], v[6:7], off offset:512
	global_load_dwordx4 v[18:21], v[6:7], off offset:1024
	;; [unrolled: 1-line block ×3, first 2 shown]
	s_load_dword s9, s[0:1], 0x1c
	s_load_dword s22, s[12:13], 0x0
	s_waitcnt vmcnt(5)
	v_mul_hi_i32 v2, v5, s21
	s_add_u32 s0, s10, s20
	s_waitcnt vmcnt(4)
	v_mul_hi_i32 v6, v4, s21
	v_ashrrev_i32_e32 v8, 31, v2
	s_addc_u32 s1, s11, 0
	v_lshlrev_b32_e32 v2, 5, v30
	v_ashrrev_i32_e32 v35, 31, v6
	s_waitcnt lgkmcnt(0)
	v_mov_b32_e32 v9, s9
	v_lshl_add_u64 v[6:7], s[0:1], 0, v[2:3]
	v_lshrrev_b32_e32 v2, 29, v8
	v_mul_f32_e32 v34, s22, v9
	v_mad_i64_i32 v[8:9], s[0:1], v5, s21, v[2:3]
	v_lshrrev_b32_e32 v2, 29, v35
	v_and_b32_e32 v8, -8, v8
	v_mad_i64_i32 v[2:3], s[0:1], v4, s21, v[2:3]
	v_lshl_add_u64 v[36:37], v[6:7], 0, v[8:9]
	v_and_b32_e32 v2, -8, v2
	v_lshl_add_u64 v[38:39], v[6:7], 0, v[2:3]
	global_load_dwordx4 v[2:5], v[36:37], off offset:16
	global_load_dwordx4 v[6:9], v[36:37], off
	s_mov_b32 s8, 0x7060302
	v_cmp_eq_u32_e32 vcc, 0, v31
	s_waitcnt vmcnt(5)
	v_cvt_pk_f32_fp8_e32 v[36:37], v26
	v_cvt_pk_f32_fp8_sdwa v[40:41], v26 src0_sel:WORD_1
	v_cvt_pk_f32_fp8_e32 v[42:43], v27
	v_cvt_pk_f32_fp8_sdwa v[26:27], v27 src0_sel:WORD_1
	;; [unrolled: 2-line block ×3, first 2 shown]
	v_perm_b32 v36, v37, v36, s8
	v_perm_b32 v37, v41, v40, s8
	v_cvt_pk_f32_fp8_e32 v[48:49], v29
	v_cvt_pk_f32_fp8_sdwa v[28:29], v29 src0_sel:WORD_1
	v_mfma_f32_4x4x4_16b_bf16 a[0:3], v[10:11], v[36:37], 0 cbsz:4
	v_perm_b32 v40, v43, v42, s8
	v_perm_b32 v41, v27, v26, s8
	s_waitcnt vmcnt(4)
	v_cvt_pk_f32_fp8_e32 v[50:51], v22
	v_cvt_pk_f32_fp8_sdwa v[52:53], v22 src0_sel:WORD_1
	v_mfma_f32_4x4x4_16b_bf16 a[0:3], v[12:13], v[40:41], a[0:3] cbsz:4
	v_perm_b32 v26, v45, v44, s8
	v_perm_b32 v27, v47, v46, s8
	v_cvt_pk_f32_fp8_e32 v[54:55], v23
	v_cvt_pk_f32_fp8_sdwa v[22:23], v23 src0_sel:WORD_1
	v_mfma_f32_4x4x4_16b_bf16 a[0:3], v[10:11], v[26:27], a[0:3] cbsz:4 abid:1
	v_perm_b32 v42, v49, v48, s8
	v_perm_b32 v43, v29, v28, s8
	v_cvt_pk_f32_fp8_e32 v[56:57], v24
	v_cvt_pk_f32_fp8_sdwa v[58:59], v24 src0_sel:WORD_1
	v_mfma_f32_4x4x4_16b_bf16 a[0:3], v[12:13], v[42:43], a[0:3] cbsz:4 abid:1
	;; [unrolled: 5-line block ×3, first 2 shown]
	v_perm_b32 v44, v55, v54, s8
	v_perm_b32 v45, v23, v22, s8
	s_waitcnt vmcnt(3)
	v_cvt_pk_f32_fp8_e32 v[62:63], v18
	v_cvt_pk_f32_fp8_sdwa v[64:65], v18 src0_sel:WORD_1
	v_mfma_f32_4x4x4_16b_bf16 a[0:3], v[12:13], v[44:45], a[0:3] cbsz:4 abid:2
	v_perm_b32 v22, v57, v56, s8
	v_perm_b32 v23, v59, v58, s8
	v_cvt_pk_f32_fp8_e32 v[66:67], v19
	v_cvt_pk_f32_fp8_sdwa v[18:19], v19 src0_sel:WORD_1
	v_mfma_f32_4x4x4_16b_bf16 a[0:3], v[10:11], v[22:23], a[0:3] cbsz:4 abid:3
	v_perm_b32 v46, v61, v60, s8
	v_perm_b32 v47, v25, v24, s8
	;; [unrolled: 5-line block ×4, first 2 shown]
	s_waitcnt vmcnt(2)
	v_cvt_pk_f32_fp8_e32 v[74:75], v14
	v_cvt_pk_f32_fp8_sdwa v[76:77], v14 src0_sel:WORD_1
	v_mfma_f32_4x4x4_16b_bf16 a[0:3], v[12:13], v[36:37], a[0:3] cbsz:4 abid:4
	v_perm_b32 v18, v69, v68, s8
	v_perm_b32 v19, v71, v70, s8
	v_cvt_pk_f32_fp8_e32 v[78:79], v15
	v_cvt_pk_f32_fp8_sdwa v[14:15], v15 src0_sel:WORD_1
	v_mfma_f32_4x4x4_16b_bf16 a[0:3], v[10:11], v[18:19], a[0:3] cbsz:4 abid:5
	v_perm_b32 v26, v73, v72, s8
	v_perm_b32 v27, v21, v20, s8
	v_cvt_pk_f32_fp8_e32 v[80:81], v16
	v_cvt_pk_f32_fp8_sdwa v[82:83], v16 src0_sel:WORD_1
	v_mfma_f32_4x4x4_16b_bf16 a[0:3], v[12:13], v[26:27], a[0:3] cbsz:4 abid:5
	v_perm_b32 v20, v75, v74, s8
	v_perm_b32 v21, v77, v76, s8
	v_cvt_pk_f32_fp8_e32 v[84:85], v17
	v_cvt_pk_f32_fp8_sdwa v[16:17], v17 src0_sel:WORD_1
	v_mfma_f32_4x4x4_16b_bf16 a[0:3], v[10:11], v[20:21], a[0:3] cbsz:4 abid:6
	v_perm_b32 v22, v79, v78, s8
	v_perm_b32 v23, v15, v14, s8
	v_perm_b32 v14, v81, v80, s8
	v_perm_b32 v15, v83, v82, s8
	v_mfma_f32_4x4x4_16b_bf16 a[0:3], v[12:13], v[22:23], a[0:3] cbsz:4 abid:6
	v_perm_b32 v18, v85, v84, s8
	v_perm_b32 v19, v17, v16, s8
	v_mfma_f32_4x4x4_16b_bf16 a[0:3], v[10:11], v[14:15], a[0:3] cbsz:4 abid:7
	v_cndmask_b32_e64 v33, 0, 1.0, vcc
	v_cmp_eq_u32_e32 vcc, 1, v31
	v_mfma_f32_4x4x4_16b_bf16 a[0:3], v[12:13], v[18:19], a[0:3] cbsz:4 abid:7
	v_mov_b32_e32 v22, 0xff7fffff
	s_nop 3
	v_accvgpr_read_b32 v11, a1
	v_accvgpr_read_b32 v10, a0
	v_pk_mul_f32 v[18:19], v[10:11], v[34:35] op_sel_hi:[1,0]
	global_load_dwordx4 v[10:13], v[38:39], off offset:16
	global_load_dwordx4 v[14:17], v[38:39], off
	v_accvgpr_read_b32 v21, a3
	v_accvgpr_read_b32 v20, a2
	v_pk_mul_f32 v[20:21], v[20:21], v[34:35] op_sel_hi:[1,0]
	v_mfma_f32_4x4x1_16b_f32 a[0:3], v18, v33, 0
	v_cndmask_b32_e64 v18, 0, 1.0, vcc
	v_cmp_eq_u32_e32 vcc, 2, v31
	s_nop 0
	v_mfma_f32_4x4x1_16b_f32 a[0:3], v19, v18, a[0:3]
	v_cndmask_b32_e64 v18, 0, 1.0, vcc
	v_cmp_eq_u32_e32 vcc, 3, v31
	v_lshlrev_b32_e32 v19, 2, v0
	v_mfma_f32_4x4x1_16b_f32 a[0:3], v20, v18, a[0:3]
	v_cndmask_b32_e64 v18, 0, 1.0, vcc
	v_and_or_b32 v19, v19, 48, v31
	v_lshlrev_b32_e32 v26, 2, v19
	v_mfma_f32_4x4x1_16b_f32 a[0:3], v21, v18, a[0:3]
	v_and_b32_e32 v18, -4, v32
	v_cmp_gt_i32_e32 vcc, s3, v18
	s_nop 1
	v_accvgpr_read_b32 v20, a0
	v_max_f32_e32 v21, v20, v20
	v_max_f32_e32 v21, 0xff7fffff, v21
	v_accvgpr_read_b32 v23, a1
	v_cndmask_b32_e32 v21, v22, v21, vcc
	v_or_b32_e32 v22, 1, v18
	v_max_f32_e32 v24, v23, v23
	v_max_f32_e32 v24, v21, v24
	v_cmp_gt_i32_e64 s[0:1], s3, v22
	v_accvgpr_read_b32 v22, a2
	v_or_b32_e32 v18, 2, v18
	v_cndmask_b32_e64 v21, v21, v24, s[0:1]
	v_max_f32_e32 v24, v22, v22
	v_max_f32_e32 v24, v21, v24
	v_cmp_gt_i32_e64 s[8:9], s3, v18
	v_accvgpr_read_b32 v25, a3
	s_nop 0
	v_cndmask_b32_e64 v18, v21, v24, s[8:9]
	v_or_b32_e32 v21, 3, v32
	v_max_f32_e32 v24, v25, v25
	v_max_f32_e32 v24, v18, v24
	v_cmp_gt_i32_e64 s[10:11], s3, v21
	s_nop 1
	v_cndmask_b32_e64 v18, v18, v24, s[10:11]
	;;#ASMSTART
	v_nop
 v_nop
 v_max_f32_dpp v18, v18, v18 row_ror:4
	;;#ASMEND
	s_nop 0
	;;#ASMSTART
	v_nop
 v_nop
 v_max_f32_dpp v18, v18, v18 row_ror:8
	;;#ASMEND
	ds_bpermute_b32 v18, v26, v18
	s_waitcnt lgkmcnt(0)
	;;#ASMSTART
	v_nop
 v_nop
 v_max_f32_dpp v18, v18, v18 row_ror:4
	;;#ASMEND
	s_nop 0
	;;#ASMSTART
	v_nop
 v_nop
 v_max_f32_dpp v24, v18, v18 row_ror:8
	;;#ASMEND
	s_nop 0
	v_sub_f32_e32 v18, v20, v24
	v_mul_f32_e32 v18, 0x3fb8aa3b, v18
	v_sub_f32_e32 v19, v23, v24
	v_exp_f32_e32 v18, v18
	v_mul_f32_e32 v19, 0x3fb8aa3b, v19
	v_sub_f32_e32 v21, v22, v24
	v_exp_f32_e32 v19, v19
	;; [unrolled: 3-line block ×3, first 2 shown]
	v_mul_f32_e32 v22, 0x3fb8aa3b, v22
	v_exp_f32_e32 v22, v22
	v_cndmask_b32_e32 v18, 0, v18, vcc
	v_add_f32_e32 v20, 0, v18
	v_cndmask_b32_e64 v19, 0, v19, s[0:1]
	v_add_f32_e32 v23, v20, v19
	v_cndmask_b32_e64 v20, 0, v21, s[8:9]
	;; [unrolled: 2-line block ×3, first 2 shown]
	v_add_f32_e32 v22, v23, v21
	;;#ASMSTART
	v_nop
 v_nop
 v_add_f32_dpp v22, v22, v22 row_ror:4
	;;#ASMEND
	v_cmp_gt_u32_e32 vcc, 4, v30
	;;#ASMSTART
	v_nop
 v_nop
 v_add_f32_dpp v22, v22, v22 row_ror:8
	;;#ASMEND
	ds_bpermute_b32 v22, v26, v22
	s_waitcnt lgkmcnt(0)
	;;#ASMSTART
	v_nop
 v_nop
 v_add_f32_dpp v22, v22, v22 row_ror:4
	;;#ASMEND
	s_nop 0
	;;#ASMSTART
	v_nop
 v_nop
 v_add_f32_dpp v22, v22, v22 row_ror:8
	;;#ASMEND
	s_and_saveexec_b64 s[0:1], vcc
	s_cbranch_execz .LBB1229_16
; %bb.15:
	v_mul_u32_u24_e32 v23, 20, v1
	v_lshl_add_u32 v23, v31, 2, v23
	v_add_u32_e32 v23, 0x800, v23
	ds_write2_b32 v23, v24, v22 offset0:128 offset1:148
.LBB1229_16:
	s_or_b64 exec, exec, s[0:1]
.LBB1229_17:
	s_or_b64 exec, exec, s[30:31]
	s_waitcnt lgkmcnt(0)
	s_barrier
	s_load_dword s0, s[28:29], 0x8
	v_lshlrev_b32_e32 v22, 2, v31
	v_add_u32_e32 v32, 0x800, v22
	ds_read2_b32 v[22:23], v32 offset0:128 offset1:133
	ds_read2_b32 v[26:27], v32 offset0:138 offset1:143
	s_mul_i32 s1, s2, s5
	s_waitcnt lgkmcnt(0)
	s_mul_i32 s1, s1, s0
	s_lshl_b32 s0, s1, 1
	s_mov_b32 s1, 0xff7fffff
	v_max3_f32 v25, v22, s1, v23
	v_max3_f32 v25, v25, v26, v27
	v_sub_f32_e32 v22, v22, v25
	v_mul_f32_e32 v22, 0x3fb8aa3b, v22
	ds_read2_b32 v[28:29], v32 offset0:148 offset1:153
	v_exp_f32_e32 v33, v22
	v_sub_f32_e32 v22, v23, v25
	v_sub_f32_e32 v26, v26, v25
	v_mul_f32_e32 v22, 0x3fb8aa3b, v22
	v_mul_f32_e32 v26, 0x3fb8aa3b, v26
	v_exp_f32_e32 v34, v22
	ds_read2_b32 v[22:23], v32 offset0:158 offset1:163
	v_exp_f32_e32 v32, v26
	v_sub_f32_e32 v26, v27, v25
	v_mul_f32_e32 v26, 0x3fb8aa3b, v26
	v_exp_f32_e32 v27, v26
	s_waitcnt lgkmcnt(1)
	v_fma_f32 v26, v33, v28, 0
	v_fmac_f32_e32 v26, v34, v29
	s_waitcnt lgkmcnt(0)
	v_fmac_f32_e32 v26, v32, v22
	s_lshl_b32 s4, s4, 1
	v_fmac_f32_e32 v26, v27, v23
	v_cmp_gt_u32_e32 vcc, 2, v31
	s_and_saveexec_b64 s[2:3], vcc
	s_cbranch_execz .LBB1229_19
; %bb.18:
	s_mov_b32 s1, 0
	s_lshl_b64 s[8:9], s[0:1], 2
	s_add_u32 s12, s16, s8
	s_mov_b32 s25, s1
	s_addc_u32 s13, s17, s9
	s_lshl_b64 s[10:11], s[24:25], 2
	s_add_u32 s12, s12, s10
	s_addc_u32 s13, s13, s11
	s_add_u32 s1, s18, s8
	s_addc_u32 s9, s19, s9
	v_or_b32_e32 v22, s4, v31
	s_add_u32 s8, s1, s10
	v_mul_lo_u32 v22, s5, v22
	v_mov_b32_e32 v23, 0
	s_addc_u32 s9, s9, s11
	v_lshlrev_b64 v[22:23], 2, v[22:23]
	v_lshl_add_u64 v[28:29], s[12:13], 0, v[22:23]
	v_lshl_add_u64 v[22:23], s[8:9], 0, v[22:23]
	global_store_dword v[22:23], v25, off
	global_store_dword v[28:29], v26, off
.LBB1229_19:
	s_or_b64 exec, exec, s[2:3]
	v_mov_b32_e32 v22, 0
	v_mov_b32_e32 v23, 0
	s_and_saveexec_b64 s[2:3], s[6:7]
	s_cbranch_execz .LBB1229_21
; %bb.20:
	v_add_f32_e32 v22, 0x358637bd, v26
	v_div_scale_f32 v23, s[6:7], v22, v22, 1.0
	v_rcp_f32_e32 v26, v23
	v_div_scale_f32 v27, vcc, 1.0, v22, 1.0
	v_sub_f32_e32 v24, v24, v25
	v_fma_f32 v28, -v23, v26, 1.0
	v_fmac_f32_e32 v26, v28, v26
	v_mul_f32_e32 v28, v27, v26
	v_fma_f32 v29, -v23, v28, v27
	v_mul_f32_e32 v24, 0x3fb8aa3b, v24
	v_fmac_f32_e32 v28, v29, v26
	v_exp_f32_e32 v24, v24
	v_fma_f32 v23, -v23, v28, v27
	v_div_fmas_f32 v23, v23, v26, v28
	v_div_fixup_f32 v22, v23, v22, 1.0
	v_mul_f32_e32 v22, v24, v22
	v_pk_mul_f32 v[18:19], v[18:19], v[22:23] op_sel_hi:[1,0]
	v_pk_mul_f32 v[20:21], v[20:21], v[22:23] op_sel_hi:[1,0]
	v_bfe_u32 v22, v19, 16, 1
	v_bfe_u32 v23, v18, 16, 1
	s_movk_i32 s1, 0x7fff
	v_add3_u32 v18, v18, v23, s1
	v_add3_u32 v19, v19, v22, s1
	s_mov_b32 s7, 0x7060302
	v_perm_b32 v18, v19, v18, s7
	v_bfe_u32 v19, v21, 16, 1
	v_bfe_u32 v22, v20, 16, 1
	v_add3_u32 v22, v20, v22, s1
	v_add3_u32 v19, v21, v19, s1
	s_waitcnt vmcnt(2)
	v_cvt_pk_f32_fp8_e32 v[20:21], v6
	v_perm_b32 v19, v19, v22, s7
	v_cvt_pk_f32_fp8_sdwa v[22:23], v6 src0_sel:WORD_1
	v_cvt_pk_f32_fp8_e32 v[24:25], v7
	v_perm_b32 v6, v21, v20, s7
	v_cvt_pk_f32_fp8_sdwa v[20:21], v7 src0_sel:WORD_1
	v_perm_b32 v7, v23, v22, s7
	v_perm_b32 v22, v25, v24, s7
	s_load_dword s6, s[14:15], 0x0
	v_mfma_f32_4x4x4_16b_bf16 a[0:3], v[18:19], v[6:7], 0 cbsz:4
	v_perm_b32 v23, v21, v20, s7
	v_cvt_pk_f32_fp8_e32 v[6:7], v8
	v_cvt_pk_f32_fp8_sdwa v[20:21], v8 src0_sel:WORD_1
	v_mfma_f32_4x4x4_16b_bf16 a[0:3], v[18:19], v[22:23], a[0:3] cbsz:4 abid:1
	v_cvt_pk_f32_fp8_e32 v[22:23], v9
	v_cvt_pk_f32_fp8_sdwa v[8:9], v9 src0_sel:WORD_1
	v_perm_b32 v6, v7, v6, s7
	v_perm_b32 v7, v21, v20, s7
	;; [unrolled: 1-line block ×4, first 2 shown]
	v_mfma_f32_4x4x4_16b_bf16 a[0:3], v[18:19], v[6:7], a[0:3] cbsz:4 abid:2
	v_cvt_pk_f32_fp8_e32 v[6:7], v2
	v_cvt_pk_f32_fp8_sdwa v[8:9], v2 src0_sel:WORD_1
	v_mfma_f32_4x4x4_16b_bf16 a[0:3], v[18:19], v[20:21], a[0:3] cbsz:4 abid:3
	v_cvt_pk_f32_fp8_e32 v[20:21], v3
	v_perm_b32 v2, v7, v6, s7
	v_cvt_pk_f32_fp8_sdwa v[6:7], v3 src0_sel:WORD_1
	v_perm_b32 v3, v9, v8, s7
	v_perm_b32 v8, v21, v20, s7
	;; [unrolled: 1-line block ×3, first 2 shown]
	v_mfma_f32_4x4x4_16b_bf16 a[0:3], v[18:19], v[2:3], a[0:3] cbsz:4 abid:4
	v_cvt_pk_f32_fp8_e32 v[2:3], v4
	v_cvt_pk_f32_fp8_sdwa v[6:7], v4 src0_sel:WORD_1
	v_mfma_f32_4x4x4_16b_bf16 a[0:3], v[18:19], v[8:9], a[0:3] cbsz:4 abid:5
	v_cvt_pk_f32_fp8_e32 v[8:9], v5
	v_cvt_pk_f32_fp8_sdwa v[4:5], v5 src0_sel:WORD_1
	v_perm_b32 v2, v3, v2, s7
	v_perm_b32 v3, v7, v6, s7
	;; [unrolled: 1-line block ×4, first 2 shown]
	v_mfma_f32_4x4x4_16b_bf16 a[0:3], v[18:19], v[2:3], a[0:3] cbsz:4 abid:6
	s_waitcnt vmcnt(0)
	v_cvt_pk_f32_fp8_e32 v[2:3], v14
	v_cvt_pk_f32_fp8_sdwa v[4:5], v14 src0_sel:WORD_1
	v_mfma_f32_4x4x4_16b_bf16 a[0:3], v[18:19], v[6:7], a[0:3] cbsz:4 abid:7
	v_cvt_pk_f32_fp8_e32 v[6:7], v15
	v_cvt_pk_f32_fp8_sdwa v[8:9], v15 src0_sel:WORD_1
	v_perm_b32 v2, v3, v2, s7
	v_perm_b32 v3, v5, v4, s7
	;; [unrolled: 1-line block ×4, first 2 shown]
	v_mfma_f32_4x4x4_16b_bf16 a[0:3], v[18:19], v[2:3], a[0:3] cbsz:4 abid:8
	v_cvt_pk_f32_fp8_e32 v[2:3], v16
	v_cvt_pk_f32_fp8_e32 v[6:7], v17
	v_mfma_f32_4x4x4_16b_bf16 a[0:3], v[18:19], v[4:5], a[0:3] cbsz:4 abid:9
	v_cvt_pk_f32_fp8_sdwa v[4:5], v16 src0_sel:WORD_1
	v_cvt_pk_f32_fp8_sdwa v[8:9], v17 src0_sel:WORD_1
	v_perm_b32 v2, v3, v2, s7
	v_perm_b32 v3, v5, v4, s7
	v_perm_b32 v4, v7, v6, s7
	s_nop 0
	v_mfma_f32_4x4x4_16b_bf16 a[0:3], v[18:19], v[2:3], a[0:3] cbsz:4 abid:10
	v_perm_b32 v5, v9, v8, s7
	v_cvt_pk_f32_fp8_e32 v[2:3], v10
	v_cvt_pk_f32_fp8_e32 v[6:7], v11
	v_mfma_f32_4x4x4_16b_bf16 a[0:3], v[18:19], v[4:5], a[0:3] cbsz:4 abid:11
	v_cvt_pk_f32_fp8_sdwa v[4:5], v10 src0_sel:WORD_1
	v_cvt_pk_f32_fp8_sdwa v[8:9], v11 src0_sel:WORD_1
	v_perm_b32 v2, v3, v2, s7
	v_perm_b32 v3, v5, v4, s7
	v_perm_b32 v4, v7, v6, s7
	s_nop 0
	v_mfma_f32_4x4x4_16b_bf16 a[0:3], v[18:19], v[2:3], a[0:3] cbsz:4 abid:12
	v_perm_b32 v5, v9, v8, s7
	;; [unrolled: 11-line block ×3, first 2 shown]
	s_nop 1
	v_mfma_f32_4x4x4_16b_bf16 a[0:3], v[18:19], v[4:5], a[0:3] cbsz:4 abid:15
	s_nop 4
	v_accvgpr_read_b32 v5, a1
	v_accvgpr_read_b32 v4, a0
	;; [unrolled: 1-line block ×4, first 2 shown]
	s_waitcnt lgkmcnt(0)
	v_pk_mul_f32 v[4:5], v[4:5], s[6:7] op_sel_hi:[1,0]
	v_pk_mul_f32 v[2:3], v[2:3], s[6:7] op_sel_hi:[1,0]
	v_bfe_u32 v6, v5, 16, 1
	v_bfe_u32 v7, v4, 16, 1
	v_add3_u32 v4, v4, v7, s1
	v_add3_u32 v5, v5, v6, s1
	v_bfe_u32 v6, v3, 16, 1
	v_bfe_u32 v7, v2, 16, 1
	v_add3_u32 v2, v2, v7, s1
	v_add3_u32 v3, v3, v6, s1
	v_perm_b32 v23, v3, v2, s7
	v_perm_b32 v22, v5, v4, s7
.LBB1229_21:
	s_or_b64 exec, exec, s[2:3]
	v_lshlrev_b32_e32 v1, 3, v1
	v_mad_u32_u24 v1, v30, 40, v1
	v_cmp_gt_u32_e32 vcc, 64, v0
	ds_write_b64 v1, v[22:23]
	s_waitcnt lgkmcnt(0)
	s_barrier
	s_and_saveexec_b64 s[2:3], vcc
	s_cbranch_execz .LBB1229_23
; %bb.22:
	v_mul_u32_u24_e32 v1, 40, v30
	s_waitcnt vmcnt(3)
	ds_read2_b64 v[2:5], v1 offset1:1
	s_waitcnt vmcnt(2)
	ds_read2_b64 v[6:9], v1 offset0:2 offset1:3
	s_mov_b32 s1, 0
	s_lshl_b32 s0, s0, 6
	s_lshl_b64 s[2:3], s[0:1], 1
	s_waitcnt lgkmcnt(1)
	v_and_b32_e32 v1, 0xffff0000, v2
	v_add_f32_e32 v1, 0, v1
	v_and_b32_e32 v3, 0xffff0000, v4
	v_and_b32_e32 v1, 0xffff0000, v1
	v_add_f32_e32 v1, v1, v3
	s_waitcnt lgkmcnt(0)
	v_and_b32_e32 v5, 0xffff0000, v6
	v_and_b32_e32 v1, 0xffff0000, v1
	v_add_f32_e32 v1, v1, v5
	v_and_b32_e32 v1, 0xffff0000, v1
	v_and_b32_e32 v3, 0xffff0000, v8
	v_add_f32_e32 v7, v1, v3
	v_lshlrev_b32_e32 v1, 16, v2
	s_add_u32 s2, s26, s2
	v_add_f32_e32 v1, 0, v1
	s_addc_u32 s3, s27, s3
	s_lshl_b32 s0, s24, 6
	v_and_b32_e32 v1, 0xffff0000, v1
	v_lshlrev_b32_e32 v2, 16, v4
	s_lshl_b64 s[0:1], s[0:1], 1
	v_add_f32_e32 v1, v1, v2
	s_add_u32 s0, s2, s0
	v_and_b32_e32 v1, 0xffff0000, v1
	v_lshlrev_b32_e32 v2, 16, v6
	s_addc_u32 s1, s3, s1
	s_lshl_b32 s2, s5, 6
	v_add_f32_e32 v1, v1, v2
	v_and_b32_e32 v1, 0xffff0000, v1
	v_lshlrev_b32_e32 v2, 16, v8
	s_mul_i32 s3, s2, s4
	v_add_f32_e32 v1, v1, v2
	v_or_b32_e32 v2, s3, v0
	v_mov_b32_e32 v3, 0
	s_add_i32 s3, s3, s2
	v_lshl_add_u64 v[4:5], v[2:3], 1, s[0:1]
	v_or_b32_e32 v2, s3, v0
	global_store_short_d16_hi v[4:5], v1, off
	v_lshl_add_u64 v[0:1], v[2:3], 1, s[0:1]
	global_store_short_d16_hi v[0:1], v7, off
.LBB1229_23:
	s_endpgm
	.section	.rodata,"a",@progbits
	.p2align	6, 0x0
	.amdhsa_kernel _Z38paged_attention_ll4mi_QKV_mfma4_kernelI14__hip_bfloat16hLN4vllm18Fp8KVCacheDataTypeE1ES0_Li32ELi64ELi256ELb0ELi2EEvPKT_PKT0_S8_ifPKiSA_SA_iPKfiiiPfSD_PS3_PT2_iSC_SC_
		.amdhsa_group_segment_fixed_size 2720
		.amdhsa_private_segment_fixed_size 0
		.amdhsa_kernarg_size 400
		.amdhsa_user_sgpr_count 2
		.amdhsa_user_sgpr_dispatch_ptr 0
		.amdhsa_user_sgpr_queue_ptr 0
		.amdhsa_user_sgpr_kernarg_segment_ptr 1
		.amdhsa_user_sgpr_dispatch_id 0
		.amdhsa_user_sgpr_kernarg_preload_length 0
		.amdhsa_user_sgpr_kernarg_preload_offset 0
		.amdhsa_user_sgpr_private_segment_size 0
		.amdhsa_uses_dynamic_stack 0
		.amdhsa_enable_private_segment 0
		.amdhsa_system_sgpr_workgroup_id_x 1
		.amdhsa_system_sgpr_workgroup_id_y 1
		.amdhsa_system_sgpr_workgroup_id_z 1
		.amdhsa_system_sgpr_workgroup_info 0
		.amdhsa_system_vgpr_workitem_id 0
		.amdhsa_next_free_vgpr 92
		.amdhsa_next_free_sgpr 42
		.amdhsa_accum_offset 88
		.amdhsa_reserve_vcc 1
		.amdhsa_float_round_mode_32 0
		.amdhsa_float_round_mode_16_64 0
		.amdhsa_float_denorm_mode_32 3
		.amdhsa_float_denorm_mode_16_64 3
		.amdhsa_dx10_clamp 1
		.amdhsa_ieee_mode 1
		.amdhsa_fp16_overflow 0
		.amdhsa_tg_split 0
		.amdhsa_exception_fp_ieee_invalid_op 0
		.amdhsa_exception_fp_denorm_src 0
		.amdhsa_exception_fp_ieee_div_zero 0
		.amdhsa_exception_fp_ieee_overflow 0
		.amdhsa_exception_fp_ieee_underflow 0
		.amdhsa_exception_fp_ieee_inexact 0
		.amdhsa_exception_int_div_zero 0
	.end_amdhsa_kernel
	.section	.text._Z38paged_attention_ll4mi_QKV_mfma4_kernelI14__hip_bfloat16hLN4vllm18Fp8KVCacheDataTypeE1ES0_Li32ELi64ELi256ELb0ELi2EEvPKT_PKT0_S8_ifPKiSA_SA_iPKfiiiPfSD_PS3_PT2_iSC_SC_,"axG",@progbits,_Z38paged_attention_ll4mi_QKV_mfma4_kernelI14__hip_bfloat16hLN4vllm18Fp8KVCacheDataTypeE1ES0_Li32ELi64ELi256ELb0ELi2EEvPKT_PKT0_S8_ifPKiSA_SA_iPKfiiiPfSD_PS3_PT2_iSC_SC_,comdat
.Lfunc_end1229:
	.size	_Z38paged_attention_ll4mi_QKV_mfma4_kernelI14__hip_bfloat16hLN4vllm18Fp8KVCacheDataTypeE1ES0_Li32ELi64ELi256ELb0ELi2EEvPKT_PKT0_S8_ifPKiSA_SA_iPKfiiiPfSD_PS3_PT2_iSC_SC_, .Lfunc_end1229-_Z38paged_attention_ll4mi_QKV_mfma4_kernelI14__hip_bfloat16hLN4vllm18Fp8KVCacheDataTypeE1ES0_Li32ELi64ELi256ELb0ELi2EEvPKT_PKT0_S8_ifPKiSA_SA_iPKfiiiPfSD_PS3_PT2_iSC_SC_
                                        ; -- End function
	.section	.AMDGPU.csdata,"",@progbits
; Kernel info:
; codeLenInByte = 3928
; NumSgprs: 48
; NumVgprs: 86
; NumAgprs: 4
; TotalNumVgprs: 92
; ScratchSize: 0
; MemoryBound: 0
; FloatMode: 240
; IeeeMode: 1
; LDSByteSize: 2720 bytes/workgroup (compile time only)
; SGPRBlocks: 5
; VGPRBlocks: 11
; NumSGPRsForWavesPerEU: 48
; NumVGPRsForWavesPerEU: 92
; AccumOffset: 88
; Occupancy: 5
; WaveLimiterHint : 1
; COMPUTE_PGM_RSRC2:SCRATCH_EN: 0
; COMPUTE_PGM_RSRC2:USER_SGPR: 2
; COMPUTE_PGM_RSRC2:TRAP_HANDLER: 0
; COMPUTE_PGM_RSRC2:TGID_X_EN: 1
; COMPUTE_PGM_RSRC2:TGID_Y_EN: 1
; COMPUTE_PGM_RSRC2:TGID_Z_EN: 1
; COMPUTE_PGM_RSRC2:TIDIG_COMP_CNT: 0
; COMPUTE_PGM_RSRC3_GFX90A:ACCUM_OFFSET: 21
; COMPUTE_PGM_RSRC3_GFX90A:TG_SPLIT: 0
	.section	.text._Z38paged_attention_ll4mi_QKV_mfma4_kernelI14__hip_bfloat16hLN4vllm18Fp8KVCacheDataTypeE1ES0_Li32ELi64ELi256ELb0ELi3EEvPKT_PKT0_S8_ifPKiSA_SA_iPKfiiiPfSD_PS3_PT2_iSC_SC_,"axG",@progbits,_Z38paged_attention_ll4mi_QKV_mfma4_kernelI14__hip_bfloat16hLN4vllm18Fp8KVCacheDataTypeE1ES0_Li32ELi64ELi256ELb0ELi3EEvPKT_PKT0_S8_ifPKiSA_SA_iPKfiiiPfSD_PS3_PT2_iSC_SC_,comdat
	.protected	_Z38paged_attention_ll4mi_QKV_mfma4_kernelI14__hip_bfloat16hLN4vllm18Fp8KVCacheDataTypeE1ES0_Li32ELi64ELi256ELb0ELi3EEvPKT_PKT0_S8_ifPKiSA_SA_iPKfiiiPfSD_PS3_PT2_iSC_SC_ ; -- Begin function _Z38paged_attention_ll4mi_QKV_mfma4_kernelI14__hip_bfloat16hLN4vllm18Fp8KVCacheDataTypeE1ES0_Li32ELi64ELi256ELb0ELi3EEvPKT_PKT0_S8_ifPKiSA_SA_iPKfiiiPfSD_PS3_PT2_iSC_SC_
	.globl	_Z38paged_attention_ll4mi_QKV_mfma4_kernelI14__hip_bfloat16hLN4vllm18Fp8KVCacheDataTypeE1ES0_Li32ELi64ELi256ELb0ELi3EEvPKT_PKT0_S8_ifPKiSA_SA_iPKfiiiPfSD_PS3_PT2_iSC_SC_
	.p2align	8
	.type	_Z38paged_attention_ll4mi_QKV_mfma4_kernelI14__hip_bfloat16hLN4vllm18Fp8KVCacheDataTypeE1ES0_Li32ELi64ELi256ELb0ELi3EEvPKT_PKT0_S8_ifPKiSA_SA_iPKfiiiPfSD_PS3_PT2_iSC_SC_,@function
_Z38paged_attention_ll4mi_QKV_mfma4_kernelI14__hip_bfloat16hLN4vllm18Fp8KVCacheDataTypeE1ES0_Li32ELi64ELi256ELb0ELi3EEvPKT_PKT0_S8_ifPKiSA_SA_iPKfiiiPfSD_PS3_PT2_iSC_SC_: ; @_Z38paged_attention_ll4mi_QKV_mfma4_kernelI14__hip_bfloat16hLN4vllm18Fp8KVCacheDataTypeE1ES0_Li32ELi64ELi256ELb0ELi3EEvPKT_PKT0_S8_ifPKiSA_SA_iPKfiiiPfSD_PS3_PT2_iSC_SC_
; %bb.0:
	s_load_dwordx2 s[20:21], s[0:1], 0x30
	s_mov_b32 s24, s3
	s_mov_b64 s[6:7], 0
	s_waitcnt lgkmcnt(0)
	s_cmp_lg_u64 s[20:21], 0
	s_cselect_b64 s[22:23], -1, 0
	s_and_b64 vcc, exec, s[22:23]
	s_cbranch_vccz .LBB1230_10
; %bb.1:
	s_add_i32 s8, s2, 1
	s_mov_b32 s9, 0
	s_lshl_b64 s[10:11], s[8:9], 2
	s_add_u32 s10, s20, s10
	s_mov_b32 s3, s9
	s_addc_u32 s11, s21, s11
	s_lshl_b64 s[8:9], s[2:3], 2
	s_add_u32 s8, s20, s8
	s_addc_u32 s9, s21, s9
	s_load_dword s5, s[10:11], 0x0
	s_load_dword s12, s[8:9], 0x0
	s_waitcnt lgkmcnt(0)
	s_sub_i32 s5, s5, s12
	s_cmp_eq_u32 s5, 1
	s_cselect_b64 s[8:9], -1, 0
	s_andn2_b64 vcc, exec, s[6:7]
	s_cbranch_vccnz .LBB1230_3
.LBB1230_2:
	s_mov_b32 s3, 0
	s_mov_b64 s[8:9], -1
.LBB1230_3:
	s_andn2_b64 vcc, exec, s[8:9]
	s_cbranch_vccnz .LBB1230_23
; %bb.4:
	s_load_dword s5, s[0:1], 0x9c
	s_load_dwordx2 s[6:7], s[0:1], 0x28
	s_add_u32 s28, s0, 0x90
	s_addc_u32 s29, s1, 0
	s_lshl_b64 s[34:35], s[2:3], 2
	s_waitcnt lgkmcnt(0)
	s_and_b32 s5, s5, 0xffff
	s_add_u32 s6, s6, s34
	s_addc_u32 s7, s7, s35
	s_load_dword s3, s[6:7], 0x0
	s_mul_i32 s10, s24, s5
	s_waitcnt lgkmcnt(0)
	s_cmp_ge_i32 s10, s3
	s_cbranch_scc1 .LBB1230_23
; %bb.5:
	v_and_b32_e32 v2, 0xc0, v0
	v_add_u32_e32 v4, s10, v2
	v_lshrrev_b32_e32 v1, 6, v0
	v_cmp_gt_i32_e64 s[6:7], s3, v4
	v_cmp_le_i32_e32 vcc, s3, v4
                                        ; implicit-def: $sgpr25
                                        ; implicit-def: $sgpr11
	s_and_saveexec_b64 s[8:9], vcc
	s_xor_b64 s[8:9], exec, s[8:9]
	s_cbranch_execz .LBB1230_7
; %bb.6:
	v_mul_u32_u24_e32 v2, 20, v1
	v_or_b32_e32 v2, 0xa00, v2
	v_mov_b32_e32 v3, 0xa50
	v_mov_b32_e32 v4, 0xff7fffff
	v_mad_u32_u24 v3, v1, 20, v3
	ds_write2_b32 v2, v4, v4 offset1:1
	v_mov_b32_e32 v2, 0
	ds_write2_b32 v3, v2, v2 offset1:1
	v_mov_b32_e32 v3, 0xa08
	s_mov_b32 s11, 0xff7fffff
	s_mov_b32 s25, 0
	v_mad_u32_u24 v3, v1, 20, v3
	v_mov_b32_e32 v5, 0xa58
	v_mad_u32_u24 v5, v1, 20, v5
	ds_write2_b32 v3, v4, v4 offset1:1
	ds_write2_b32 v5, v2, v2 offset1:1
                                        ; implicit-def: $vgpr4
.LBB1230_7:
	s_or_saveexec_b64 s[30:31], s[8:9]
	s_load_dwordx2 s[26:27], s[0:1], 0x68
	s_load_dwordx4 s[16:19], s[0:1], 0x58
	s_load_dword s5, s[28:29], 0x4
	s_load_dwordx4 s[12:15], s[0:1], 0x80
	v_and_b32_e32 v30, 63, v0
	v_and_b32_e32 v31, 3, v0
	v_mov_b32_e32 v21, s25
	v_mov_b32_e32 v24, s11
	;; [unrolled: 1-line block ×5, first 2 shown]
                                        ; implicit-def: $vgpr10_vgpr11
                                        ; implicit-def: $vgpr6_vgpr7
                                        ; implicit-def: $vgpr14_vgpr15
                                        ; implicit-def: $vgpr2_vgpr3
	s_xor_b64 exec, exec, s[30:31]
	s_cbranch_execz .LBB1230_17
; %bb.8:
	s_load_dwordx2 s[8:9], s[0:1], 0x20
	s_load_dword s11, s[0:1], 0x38
	s_add_i32 s25, s3, 31
	s_ashr_i32 s33, s25, 31
	s_lshr_b32 s33, s33, 27
	v_add_u32_e32 v32, s10, v0
	s_add_i32 s25, s25, s33
	v_ashrrev_i32_e32 v2, 31, v32
	v_ashrrev_i32_e32 v5, 31, v4
	s_ashr_i32 s25, s25, 5
	v_lshrrev_b32_e32 v2, 27, v2
	v_lshrrev_b32_e32 v5, 27, v5
	s_add_i32 s25, s25, -1
	s_waitcnt lgkmcnt(0)
	s_mul_i32 s36, s2, s11
	s_mov_b32 s37, 0
	v_add_u32_e32 v2, v32, v2
	v_add_u32_e32 v4, v4, v5
	s_lshl_b64 s[36:37], s[36:37], 2
	v_ashrrev_i32_e32 v2, 5, v2
	v_mov_b32_e32 v3, s25
	v_cmp_gt_i32_e32 vcc, s3, v32
	v_ashrrev_i32_e32 v6, 5, v4
	s_add_u32 s8, s8, s36
	v_cndmask_b32_e32 v2, v3, v2, vcc
	v_min_i32_e32 v4, s25, v6
	v_add_u32_e32 v6, 1, v6
	s_addc_u32 s9, s9, s37
	v_ashrrev_i32_e32 v3, 31, v2
	v_min_i32_e32 v6, s25, v6
	v_lshl_add_u64 v[2:3], v[2:3], 2, s[8:9]
	v_ashrrev_i32_e32 v5, 31, v4
	v_ashrrev_i32_e32 v7, 31, v6
	v_lshl_add_u64 v[4:5], v[4:5], 2, s[8:9]
	v_lshl_add_u64 v[10:11], v[6:7], 2, s[8:9]
	global_load_dword v6, v[2:3], off
	global_load_dword v9, v[4:5], off
	;; [unrolled: 1-line block ×3, first 2 shown]
	s_load_dwordx4 s[8:11], s[0:1], 0x8
	s_andn2_b64 vcc, exec, s[22:23]
	s_cbranch_vccnz .LBB1230_11
; %bb.9:
	s_add_u32 s20, s20, s34
	s_addc_u32 s21, s21, s35
	s_load_dword s25, s[20:21], 0x0
	s_branch .LBB1230_12
.LBB1230_10:
	s_mov_b64 s[8:9], 0
	s_branch .LBB1230_2
.LBB1230_11:
	s_mov_b32 s25, s2
.LBB1230_12:
	s_load_dwordx4 s[20:23], s[0:1], 0x48
	v_cmp_ne_u32_e32 vcc, 3, v31
	s_mov_b32 s37, 0
	v_mov_b32_e32 v33, 1.0
	v_mov_b32_e32 v7, 0
	v_mov_b32_e32 v2, 0
	;; [unrolled: 1-line block ×5, first 2 shown]
	s_and_saveexec_b64 s[34:35], vcc
	s_cbranch_execz .LBB1230_14
; %bb.13:
	s_load_dwordx2 s[38:39], s[0:1], 0x0
	s_waitcnt lgkmcnt(0)
	s_ashr_i32 s23, s20, 31
	s_mul_hi_u32 s33, s25, s20
	s_mul_i32 s23, s25, s23
	s_add_i32 s41, s33, s23
	s_mul_i32 s40, s25, s20
	s_lshl_b64 s[40:41], s[40:41], 1
	s_add_u32 s20, s38, s40
	s_mul_i32 s36, s4, 0xc0
	s_addc_u32 s23, s39, s41
	s_lshl_b64 s[36:37], s[36:37], 1
	s_add_u32 s36, s20, s36
	v_lshlrev_b32_e32 v2, 3, v31
	v_lshrrev_b32_e32 v3, 2, v30
	s_addc_u32 s37, s23, s37
	v_add_lshl_u32 v2, v2, v3, 4
	global_load_dwordx4 v[2:5], v2, s[36:37]
	v_mov_b32_e32 v33, 0
.LBB1230_14:
	s_or_b64 exec, exec, s[34:35]
	s_waitcnt lgkmcnt(0)
	s_mul_i32 s20, s4, s22
	s_add_u32 s8, s20, s8
	s_addc_u32 s9, 0, s9
	v_mov_b64_e32 v[10:11], s[8:9]
	s_waitcnt vmcnt(2)
	v_mad_i64_i32 v[10:11], s[8:9], v6, s21, v[10:11]
	v_lshlrev_b32_e32 v6, 4, v0
	v_and_b32_e32 v6, 0x1f0, v6
	v_lshl_add_u64 v[10:11], v[10:11], 0, v[6:7]
	global_load_dwordx4 v[26:29], v[10:11], off
	global_load_dwordx4 v[22:25], v[10:11], off offset:512
	global_load_dwordx4 v[18:21], v[10:11], off offset:1024
	;; [unrolled: 1-line block ×3, first 2 shown]
	s_load_dword s9, s[0:1], 0x1c
	s_load_dword s22, s[12:13], 0x0
	s_waitcnt vmcnt(5)
	v_mul_hi_i32 v6, v9, s21
	s_add_u32 s0, s10, s20
	s_waitcnt vmcnt(4)
	v_mul_hi_i32 v10, v8, s21
	v_ashrrev_i32_e32 v12, 31, v6
	s_addc_u32 s1, s11, 0
	v_lshlrev_b32_e32 v6, 5, v30
	v_ashrrev_i32_e32 v36, 31, v10
	s_waitcnt lgkmcnt(0)
	v_mov_b32_e32 v13, s9
	v_lshl_add_u64 v[10:11], s[0:1], 0, v[6:7]
	v_lshrrev_b32_e32 v6, 29, v12
	v_mul_f32_e32 v34, s22, v13
	v_mad_i64_i32 v[12:13], s[0:1], v9, s21, v[6:7]
	v_lshrrev_b32_e32 v6, 29, v36
	v_and_b32_e32 v12, -8, v12
	v_mad_i64_i32 v[6:7], s[0:1], v8, s21, v[6:7]
	v_lshl_add_u64 v[36:37], v[10:11], 0, v[12:13]
	v_and_b32_e32 v6, -8, v6
	v_lshl_add_u64 v[38:39], v[10:11], 0, v[6:7]
	global_load_dwordx4 v[6:9], v[36:37], off offset:16
	global_load_dwordx4 v[10:13], v[36:37], off
	s_mov_b32 s8, 0x7060302
	v_cmp_eq_u32_e32 vcc, 0, v31
	s_waitcnt vmcnt(5)
	v_cvt_pk_f32_fp8_e32 v[36:37], v26
	v_cvt_pk_f32_fp8_sdwa v[40:41], v26 src0_sel:WORD_1
	v_cvt_pk_f32_fp8_e32 v[42:43], v27
	v_cvt_pk_f32_fp8_sdwa v[26:27], v27 src0_sel:WORD_1
	;; [unrolled: 2-line block ×3, first 2 shown]
	v_perm_b32 v36, v37, v36, s8
	v_perm_b32 v37, v41, v40, s8
	v_cvt_pk_f32_fp8_e32 v[48:49], v29
	v_cvt_pk_f32_fp8_sdwa v[28:29], v29 src0_sel:WORD_1
	v_mfma_f32_4x4x4_16b_bf16 a[0:3], v[2:3], v[36:37], 0 cbsz:4
	v_perm_b32 v40, v43, v42, s8
	v_perm_b32 v41, v27, v26, s8
	s_waitcnt vmcnt(4)
	v_cvt_pk_f32_fp8_e32 v[50:51], v22
	v_cvt_pk_f32_fp8_sdwa v[52:53], v22 src0_sel:WORD_1
	v_mfma_f32_4x4x4_16b_bf16 a[0:3], v[4:5], v[40:41], a[0:3] cbsz:4
	v_perm_b32 v26, v45, v44, s8
	v_perm_b32 v27, v47, v46, s8
	v_cvt_pk_f32_fp8_e32 v[54:55], v23
	v_cvt_pk_f32_fp8_sdwa v[22:23], v23 src0_sel:WORD_1
	v_mfma_f32_4x4x4_16b_bf16 a[0:3], v[2:3], v[26:27], a[0:3] cbsz:4 abid:1
	v_perm_b32 v42, v49, v48, s8
	v_perm_b32 v43, v29, v28, s8
	v_cvt_pk_f32_fp8_e32 v[56:57], v24
	v_cvt_pk_f32_fp8_sdwa v[58:59], v24 src0_sel:WORD_1
	v_mfma_f32_4x4x4_16b_bf16 a[0:3], v[4:5], v[42:43], a[0:3] cbsz:4 abid:1
	;; [unrolled: 5-line block ×3, first 2 shown]
	v_perm_b32 v44, v55, v54, s8
	v_perm_b32 v45, v23, v22, s8
	s_waitcnt vmcnt(3)
	v_cvt_pk_f32_fp8_e32 v[62:63], v18
	v_cvt_pk_f32_fp8_sdwa v[64:65], v18 src0_sel:WORD_1
	v_mfma_f32_4x4x4_16b_bf16 a[0:3], v[4:5], v[44:45], a[0:3] cbsz:4 abid:2
	v_perm_b32 v22, v57, v56, s8
	v_perm_b32 v23, v59, v58, s8
	v_cvt_pk_f32_fp8_e32 v[66:67], v19
	v_cvt_pk_f32_fp8_sdwa v[18:19], v19 src0_sel:WORD_1
	v_mfma_f32_4x4x4_16b_bf16 a[0:3], v[2:3], v[22:23], a[0:3] cbsz:4 abid:3
	v_perm_b32 v46, v61, v60, s8
	v_perm_b32 v47, v25, v24, s8
	;; [unrolled: 5-line block ×4, first 2 shown]
	s_waitcnt vmcnt(2)
	v_cvt_pk_f32_fp8_e32 v[74:75], v14
	v_cvt_pk_f32_fp8_sdwa v[76:77], v14 src0_sel:WORD_1
	v_mfma_f32_4x4x4_16b_bf16 a[0:3], v[4:5], v[36:37], a[0:3] cbsz:4 abid:4
	v_perm_b32 v18, v69, v68, s8
	v_perm_b32 v19, v71, v70, s8
	v_cvt_pk_f32_fp8_e32 v[78:79], v15
	v_cvt_pk_f32_fp8_sdwa v[14:15], v15 src0_sel:WORD_1
	v_mfma_f32_4x4x4_16b_bf16 a[0:3], v[2:3], v[18:19], a[0:3] cbsz:4 abid:5
	v_perm_b32 v26, v73, v72, s8
	v_perm_b32 v27, v21, v20, s8
	;; [unrolled: 5-line block ×4, first 2 shown]
	v_perm_b32 v14, v81, v80, s8
	v_perm_b32 v15, v83, v82, s8
	v_mfma_f32_4x4x4_16b_bf16 a[0:3], v[4:5], v[22:23], a[0:3] cbsz:4 abid:6
	v_perm_b32 v18, v85, v84, s8
	v_perm_b32 v19, v17, v16, s8
	v_mfma_f32_4x4x4_16b_bf16 a[0:3], v[2:3], v[14:15], a[0:3] cbsz:4 abid:7
	v_cndmask_b32_e64 v35, 0, 1.0, vcc
	v_cmp_eq_u32_e32 vcc, 1, v31
	v_mfma_f32_4x4x4_16b_bf16 a[0:3], v[4:5], v[18:19], a[0:3] cbsz:4 abid:7
	v_mov_b32_e32 v22, 0xff7fffff
	s_nop 3
	v_accvgpr_read_b32 v3, a1
	v_accvgpr_read_b32 v2, a0
	v_pk_mul_f32 v[18:19], v[2:3], v[34:35] op_sel_hi:[1,0]
	global_load_dwordx4 v[2:5], v[38:39], off offset:16
	global_load_dwordx4 v[14:17], v[38:39], off
	v_accvgpr_read_b32 v21, a3
	v_accvgpr_read_b32 v20, a2
	v_pk_mul_f32 v[20:21], v[20:21], v[34:35] op_sel_hi:[1,0]
	v_mfma_f32_4x4x1_16b_f32 a[0:3], v18, v35, 0
	v_cndmask_b32_e64 v18, 0, 1.0, vcc
	v_cmp_eq_u32_e32 vcc, 2, v31
	s_nop 0
	v_mfma_f32_4x4x1_16b_f32 a[0:3], v19, v18, a[0:3]
	v_cndmask_b32_e64 v18, 0, 1.0, vcc
	v_lshlrev_b32_e32 v19, 2, v0
	v_and_or_b32 v19, v19, 48, v31
	v_mfma_f32_4x4x1_16b_f32 a[0:3], v20, v18, a[0:3]
	v_and_b32_e32 v18, -4, v32
	v_cmp_gt_i32_e32 vcc, s3, v18
	v_mfma_f32_4x4x1_16b_f32 a[0:3], v21, v33, a[0:3]
	v_lshlrev_b32_e32 v26, 2, v19
	s_nop 2
	v_accvgpr_read_b32 v20, a0
	v_max_f32_e32 v21, v20, v20
	v_max_f32_e32 v21, 0xff7fffff, v21
	v_accvgpr_read_b32 v23, a1
	v_cndmask_b32_e32 v21, v22, v21, vcc
	v_or_b32_e32 v22, 1, v18
	v_max_f32_e32 v24, v23, v23
	v_max_f32_e32 v24, v21, v24
	v_cmp_gt_i32_e64 s[0:1], s3, v22
	v_accvgpr_read_b32 v22, a2
	v_or_b32_e32 v18, 2, v18
	v_cndmask_b32_e64 v21, v21, v24, s[0:1]
	v_max_f32_e32 v24, v22, v22
	v_max_f32_e32 v24, v21, v24
	v_cmp_gt_i32_e64 s[8:9], s3, v18
	v_accvgpr_read_b32 v25, a3
	s_nop 0
	v_cndmask_b32_e64 v18, v21, v24, s[8:9]
	v_or_b32_e32 v21, 3, v32
	v_max_f32_e32 v24, v25, v25
	v_max_f32_e32 v24, v18, v24
	v_cmp_gt_i32_e64 s[10:11], s3, v21
	s_nop 1
	v_cndmask_b32_e64 v18, v18, v24, s[10:11]
	;;#ASMSTART
	v_nop
 v_nop
 v_max_f32_dpp v18, v18, v18 row_ror:4
	;;#ASMEND
	s_nop 0
	;;#ASMSTART
	v_nop
 v_nop
 v_max_f32_dpp v18, v18, v18 row_ror:8
	;;#ASMEND
	ds_bpermute_b32 v18, v26, v18
	s_waitcnt lgkmcnt(0)
	;;#ASMSTART
	v_nop
 v_nop
 v_max_f32_dpp v18, v18, v18 row_ror:4
	;;#ASMEND
	s_nop 0
	;;#ASMSTART
	v_nop
 v_nop
 v_max_f32_dpp v24, v18, v18 row_ror:8
	;;#ASMEND
	s_nop 0
	v_sub_f32_e32 v18, v20, v24
	v_mul_f32_e32 v18, 0x3fb8aa3b, v18
	v_sub_f32_e32 v19, v23, v24
	v_exp_f32_e32 v18, v18
	v_mul_f32_e32 v19, 0x3fb8aa3b, v19
	v_sub_f32_e32 v21, v22, v24
	v_exp_f32_e32 v19, v19
	v_mul_f32_e32 v21, 0x3fb8aa3b, v21
	v_sub_f32_e32 v22, v25, v24
	v_exp_f32_e32 v21, v21
	v_mul_f32_e32 v22, 0x3fb8aa3b, v22
	v_exp_f32_e32 v22, v22
	v_cndmask_b32_e32 v18, 0, v18, vcc
	v_add_f32_e32 v20, 0, v18
	v_cndmask_b32_e64 v19, 0, v19, s[0:1]
	v_add_f32_e32 v23, v20, v19
	v_cndmask_b32_e64 v20, 0, v21, s[8:9]
	v_add_f32_e32 v23, v23, v20
	v_cndmask_b32_e64 v21, 0, v22, s[10:11]
	v_add_f32_e32 v22, v23, v21
	;;#ASMSTART
	v_nop
 v_nop
 v_add_f32_dpp v22, v22, v22 row_ror:4
	;;#ASMEND
	v_cmp_gt_u32_e32 vcc, 4, v30
	;;#ASMSTART
	v_nop
 v_nop
 v_add_f32_dpp v22, v22, v22 row_ror:8
	;;#ASMEND
	ds_bpermute_b32 v22, v26, v22
	s_waitcnt lgkmcnt(0)
	;;#ASMSTART
	v_nop
 v_nop
 v_add_f32_dpp v22, v22, v22 row_ror:4
	;;#ASMEND
	s_nop 0
	;;#ASMSTART
	v_nop
 v_nop
 v_add_f32_dpp v22, v22, v22 row_ror:8
	;;#ASMEND
	s_and_saveexec_b64 s[0:1], vcc
	s_cbranch_execz .LBB1230_16
; %bb.15:
	v_mul_u32_u24_e32 v23, 20, v1
	v_lshl_add_u32 v23, v31, 2, v23
	v_add_u32_e32 v23, 0x800, v23
	ds_write2_b32 v23, v24, v22 offset0:128 offset1:148
.LBB1230_16:
	s_or_b64 exec, exec, s[0:1]
.LBB1230_17:
	s_or_b64 exec, exec, s[30:31]
	s_waitcnt lgkmcnt(0)
	s_barrier
	s_load_dword s0, s[28:29], 0x8
	v_lshlrev_b32_e32 v22, 2, v31
	v_add_u32_e32 v32, 0x800, v22
	ds_read2_b32 v[22:23], v32 offset0:128 offset1:133
	ds_read2_b32 v[26:27], v32 offset0:138 offset1:143
	s_mul_i32 s1, s2, s5
	s_waitcnt lgkmcnt(0)
	s_mul_i32 s0, s1, s0
	s_mov_b32 s1, 0xff7fffff
	v_max3_f32 v25, v22, s1, v23
	v_max3_f32 v25, v25, v26, v27
	v_sub_f32_e32 v22, v22, v25
	v_mul_f32_e32 v22, 0x3fb8aa3b, v22
	ds_read2_b32 v[28:29], v32 offset0:148 offset1:153
	v_exp_f32_e32 v33, v22
	v_sub_f32_e32 v22, v23, v25
	v_sub_f32_e32 v26, v26, v25
	v_mul_f32_e32 v22, 0x3fb8aa3b, v22
	v_mul_f32_e32 v26, 0x3fb8aa3b, v26
	v_exp_f32_e32 v34, v22
	ds_read2_b32 v[22:23], v32 offset0:158 offset1:163
	v_exp_f32_e32 v32, v26
	v_sub_f32_e32 v26, v27, v25
	v_mul_f32_e32 v26, 0x3fb8aa3b, v26
	v_exp_f32_e32 v27, v26
	s_waitcnt lgkmcnt(1)
	v_fma_f32 v26, v33, v28, 0
	v_fmac_f32_e32 v26, v34, v29
	s_waitcnt lgkmcnt(0)
	v_fmac_f32_e32 v26, v32, v22
	s_mul_i32 s4, s4, 3
	s_mul_i32 s0, s0, 3
	v_fmac_f32_e32 v26, v27, v23
	v_cmp_ne_u32_e32 vcc, 3, v31
	s_and_saveexec_b64 s[2:3], vcc
	s_cbranch_execz .LBB1230_19
; %bb.18:
	s_mov_b32 s1, 0
	s_lshl_b64 s[8:9], s[0:1], 2
	s_add_u32 s12, s16, s8
	s_mov_b32 s25, s1
	s_addc_u32 s13, s17, s9
	s_lshl_b64 s[10:11], s[24:25], 2
	s_add_u32 s12, s12, s10
	s_addc_u32 s13, s13, s11
	s_add_u32 s1, s18, s8
	s_addc_u32 s9, s19, s9
	v_add_u32_e32 v22, s4, v31
	s_add_u32 s8, s1, s10
	v_mul_lo_u32 v22, s5, v22
	v_mov_b32_e32 v23, 0
	s_addc_u32 s9, s9, s11
	v_lshlrev_b64 v[22:23], 2, v[22:23]
	v_lshl_add_u64 v[28:29], s[12:13], 0, v[22:23]
	v_lshl_add_u64 v[22:23], s[8:9], 0, v[22:23]
	global_store_dword v[22:23], v25, off
	global_store_dword v[28:29], v26, off
.LBB1230_19:
	s_or_b64 exec, exec, s[2:3]
	v_mov_b32_e32 v22, 0
	v_mov_b32_e32 v23, 0
	s_and_saveexec_b64 s[2:3], s[6:7]
	s_cbranch_execz .LBB1230_21
; %bb.20:
	v_add_f32_e32 v22, 0x358637bd, v26
	v_div_scale_f32 v23, s[6:7], v22, v22, 1.0
	v_rcp_f32_e32 v26, v23
	v_div_scale_f32 v27, vcc, 1.0, v22, 1.0
	v_sub_f32_e32 v24, v24, v25
	v_fma_f32 v28, -v23, v26, 1.0
	v_fmac_f32_e32 v26, v28, v26
	v_mul_f32_e32 v28, v27, v26
	v_fma_f32 v29, -v23, v28, v27
	v_mul_f32_e32 v24, 0x3fb8aa3b, v24
	v_fmac_f32_e32 v28, v29, v26
	v_exp_f32_e32 v24, v24
	v_fma_f32 v23, -v23, v28, v27
	v_div_fmas_f32 v23, v23, v26, v28
	v_div_fixup_f32 v22, v23, v22, 1.0
	v_mul_f32_e32 v22, v24, v22
	v_pk_mul_f32 v[18:19], v[18:19], v[22:23] op_sel_hi:[1,0]
	v_pk_mul_f32 v[20:21], v[20:21], v[22:23] op_sel_hi:[1,0]
	v_bfe_u32 v22, v19, 16, 1
	v_bfe_u32 v23, v18, 16, 1
	s_movk_i32 s1, 0x7fff
	v_add3_u32 v18, v18, v23, s1
	v_add3_u32 v19, v19, v22, s1
	s_mov_b32 s7, 0x7060302
	v_perm_b32 v18, v19, v18, s7
	v_bfe_u32 v19, v21, 16, 1
	v_bfe_u32 v22, v20, 16, 1
	v_add3_u32 v22, v20, v22, s1
	v_add3_u32 v19, v21, v19, s1
	s_waitcnt vmcnt(2)
	v_cvt_pk_f32_fp8_e32 v[20:21], v10
	v_perm_b32 v19, v19, v22, s7
	v_cvt_pk_f32_fp8_sdwa v[22:23], v10 src0_sel:WORD_1
	v_cvt_pk_f32_fp8_e32 v[24:25], v11
	v_perm_b32 v10, v21, v20, s7
	v_cvt_pk_f32_fp8_sdwa v[20:21], v11 src0_sel:WORD_1
	v_perm_b32 v11, v23, v22, s7
	v_perm_b32 v22, v25, v24, s7
	s_load_dword s6, s[14:15], 0x0
	v_mfma_f32_4x4x4_16b_bf16 a[0:3], v[18:19], v[10:11], 0 cbsz:4
	v_perm_b32 v23, v21, v20, s7
	v_cvt_pk_f32_fp8_e32 v[10:11], v12
	v_cvt_pk_f32_fp8_sdwa v[20:21], v12 src0_sel:WORD_1
	v_mfma_f32_4x4x4_16b_bf16 a[0:3], v[18:19], v[22:23], a[0:3] cbsz:4 abid:1
	v_cvt_pk_f32_fp8_e32 v[22:23], v13
	v_cvt_pk_f32_fp8_sdwa v[12:13], v13 src0_sel:WORD_1
	v_perm_b32 v10, v11, v10, s7
	v_perm_b32 v11, v21, v20, s7
	;; [unrolled: 1-line block ×4, first 2 shown]
	v_mfma_f32_4x4x4_16b_bf16 a[0:3], v[18:19], v[10:11], a[0:3] cbsz:4 abid:2
	v_cvt_pk_f32_fp8_e32 v[10:11], v6
	v_cvt_pk_f32_fp8_sdwa v[12:13], v6 src0_sel:WORD_1
	v_mfma_f32_4x4x4_16b_bf16 a[0:3], v[18:19], v[20:21], a[0:3] cbsz:4 abid:3
	v_cvt_pk_f32_fp8_e32 v[20:21], v7
	v_perm_b32 v6, v11, v10, s7
	v_cvt_pk_f32_fp8_sdwa v[10:11], v7 src0_sel:WORD_1
	v_perm_b32 v7, v13, v12, s7
	v_perm_b32 v12, v21, v20, s7
	;; [unrolled: 1-line block ×3, first 2 shown]
	v_mfma_f32_4x4x4_16b_bf16 a[0:3], v[18:19], v[6:7], a[0:3] cbsz:4 abid:4
	v_cvt_pk_f32_fp8_e32 v[6:7], v8
	v_cvt_pk_f32_fp8_sdwa v[10:11], v8 src0_sel:WORD_1
	v_mfma_f32_4x4x4_16b_bf16 a[0:3], v[18:19], v[12:13], a[0:3] cbsz:4 abid:5
	v_cvt_pk_f32_fp8_e32 v[12:13], v9
	v_cvt_pk_f32_fp8_sdwa v[8:9], v9 src0_sel:WORD_1
	v_perm_b32 v6, v7, v6, s7
	v_perm_b32 v7, v11, v10, s7
	;; [unrolled: 1-line block ×4, first 2 shown]
	v_mfma_f32_4x4x4_16b_bf16 a[0:3], v[18:19], v[6:7], a[0:3] cbsz:4 abid:6
	s_waitcnt vmcnt(0)
	v_cvt_pk_f32_fp8_e32 v[6:7], v14
	v_cvt_pk_f32_fp8_sdwa v[8:9], v14 src0_sel:WORD_1
	v_mfma_f32_4x4x4_16b_bf16 a[0:3], v[18:19], v[10:11], a[0:3] cbsz:4 abid:7
	v_cvt_pk_f32_fp8_e32 v[10:11], v15
	v_cvt_pk_f32_fp8_sdwa v[12:13], v15 src0_sel:WORD_1
	v_perm_b32 v6, v7, v6, s7
	v_perm_b32 v7, v9, v8, s7
	;; [unrolled: 1-line block ×4, first 2 shown]
	v_mfma_f32_4x4x4_16b_bf16 a[0:3], v[18:19], v[6:7], a[0:3] cbsz:4 abid:8
	v_cvt_pk_f32_fp8_e32 v[6:7], v16
	v_cvt_pk_f32_fp8_e32 v[10:11], v17
	v_mfma_f32_4x4x4_16b_bf16 a[0:3], v[18:19], v[8:9], a[0:3] cbsz:4 abid:9
	v_cvt_pk_f32_fp8_sdwa v[8:9], v16 src0_sel:WORD_1
	v_cvt_pk_f32_fp8_sdwa v[12:13], v17 src0_sel:WORD_1
	v_perm_b32 v6, v7, v6, s7
	v_perm_b32 v7, v9, v8, s7
	;; [unrolled: 1-line block ×3, first 2 shown]
	s_nop 0
	v_mfma_f32_4x4x4_16b_bf16 a[0:3], v[18:19], v[6:7], a[0:3] cbsz:4 abid:10
	v_cvt_pk_f32_fp8_e32 v[6:7], v2
	v_perm_b32 v9, v13, v12, s7
	v_cvt_pk_f32_fp8_e32 v[10:11], v3
	s_nop 0
	v_mfma_f32_4x4x4_16b_bf16 a[0:3], v[18:19], v[8:9], a[0:3] cbsz:4 abid:11
	v_cvt_pk_f32_fp8_sdwa v[8:9], v2 src0_sel:WORD_1
	v_perm_b32 v2, v7, v6, s7
	v_cvt_pk_f32_fp8_sdwa v[6:7], v3 src0_sel:WORD_1
	v_perm_b32 v3, v9, v8, s7
	v_perm_b32 v8, v11, v10, s7
	s_nop 0
	v_mfma_f32_4x4x4_16b_bf16 a[0:3], v[18:19], v[2:3], a[0:3] cbsz:4 abid:12
	v_perm_b32 v9, v7, v6, s7
	v_cvt_pk_f32_fp8_e32 v[2:3], v4
	v_cvt_pk_f32_fp8_sdwa v[6:7], v4 src0_sel:WORD_1
	v_mfma_f32_4x4x4_16b_bf16 a[0:3], v[18:19], v[8:9], a[0:3] cbsz:4 abid:13
	v_cvt_pk_f32_fp8_e32 v[8:9], v5
	v_cvt_pk_f32_fp8_sdwa v[4:5], v5 src0_sel:WORD_1
	v_perm_b32 v2, v3, v2, s7
	v_perm_b32 v3, v7, v6, s7
	;; [unrolled: 1-line block ×4, first 2 shown]
	v_mfma_f32_4x4x4_16b_bf16 a[0:3], v[18:19], v[2:3], a[0:3] cbsz:4 abid:14
	s_nop 1
	v_mfma_f32_4x4x4_16b_bf16 a[0:3], v[18:19], v[6:7], a[0:3] cbsz:4 abid:15
	s_nop 4
	v_accvgpr_read_b32 v5, a1
	v_accvgpr_read_b32 v4, a0
	;; [unrolled: 1-line block ×4, first 2 shown]
	s_waitcnt lgkmcnt(0)
	v_pk_mul_f32 v[4:5], v[4:5], s[6:7] op_sel_hi:[1,0]
	v_pk_mul_f32 v[2:3], v[2:3], s[6:7] op_sel_hi:[1,0]
	v_bfe_u32 v6, v5, 16, 1
	v_bfe_u32 v7, v4, 16, 1
	v_add3_u32 v4, v4, v7, s1
	v_add3_u32 v5, v5, v6, s1
	v_bfe_u32 v6, v3, 16, 1
	v_bfe_u32 v7, v2, 16, 1
	v_add3_u32 v2, v2, v7, s1
	v_add3_u32 v3, v3, v6, s1
	v_perm_b32 v23, v3, v2, s7
	v_perm_b32 v22, v5, v4, s7
.LBB1230_21:
	s_or_b64 exec, exec, s[2:3]
	v_lshlrev_b32_e32 v1, 3, v1
	v_mad_u32_u24 v1, v30, 40, v1
	v_cmp_gt_u32_e32 vcc, 64, v0
	ds_write_b64 v1, v[22:23]
	s_waitcnt lgkmcnt(0)
	s_barrier
	s_and_saveexec_b64 s[2:3], vcc
	s_cbranch_execz .LBB1230_23
; %bb.22:
	v_mul_u32_u24_e32 v1, 40, v30
	s_waitcnt vmcnt(1)
	ds_read2_b64 v[2:5], v1 offset1:1
	ds_read2_b64 v[6:9], v1 offset0:2 offset1:3
	s_mov_b32 s1, 0
	s_lshl_b32 s0, s0, 6
	s_lshl_b64 s[2:3], s[0:1], 1
	s_waitcnt lgkmcnt(1)
	v_and_b32_e32 v1, 0xffff0000, v2
	v_lshlrev_b32_e32 v3, 16, v3
	v_add_f32_e32 v1, 0, v1
	v_add_f32_e32 v3, 0, v3
	v_and_b32_e32 v1, 0xffff0000, v1
	v_and_b32_e32 v10, 0xffff0000, v4
	;; [unrolled: 1-line block ×3, first 2 shown]
	v_add_f32_e32 v1, v1, v10
	v_lshlrev_b32_e32 v5, 16, v5
	v_and_b32_e32 v1, 0xffff0000, v1
	v_add_f32_e32 v3, v3, v5
	s_waitcnt lgkmcnt(0)
	v_and_b32_e32 v5, 0xffff0000, v6
	v_and_b32_e32 v3, 0xffff0000, v3
	v_add_f32_e32 v1, v1, v5
	v_lshlrev_b32_e32 v5, 16, v7
	v_and_b32_e32 v1, 0xffff0000, v1
	v_add_f32_e32 v3, v3, v5
	v_and_b32_e32 v5, 0xffff0000, v8
	v_lshlrev_b32_e32 v2, 16, v2
	v_and_b32_e32 v3, 0xffff0000, v3
	v_add_f32_e32 v1, v1, v5
	v_lshlrev_b32_e32 v5, 16, v9
	s_add_u32 s2, s26, s2
	v_add_f32_e32 v2, 0, v2
	v_add_f32_e32 v7, v3, v5
	s_addc_u32 s3, s27, s3
	s_lshl_b32 s0, s24, 6
	v_and_b32_e32 v2, 0xffff0000, v2
	v_lshlrev_b32_e32 v3, 16, v4
	s_lshl_b64 s[0:1], s[0:1], 1
	v_add_f32_e32 v2, v2, v3
	s_add_u32 s0, s2, s0
	v_and_b32_e32 v2, 0xffff0000, v2
	v_lshlrev_b32_e32 v3, 16, v6
	s_addc_u32 s1, s3, s1
	s_lshl_b32 s2, s5, 6
	v_add_f32_e32 v2, v2, v3
	v_and_b32_e32 v2, 0xffff0000, v2
	v_lshlrev_b32_e32 v3, 16, v8
	s_mul_i32 s3, s2, s4
	v_add_f32_e32 v6, v2, v3
	v_or_b32_e32 v2, s3, v0
	v_mov_b32_e32 v3, 0
	s_add_i32 s3, s3, s2
	v_lshl_add_u64 v[4:5], v[2:3], 1, s[0:1]
	v_or_b32_e32 v2, s3, v0
	s_add_i32 s3, s3, s2
	global_store_short_d16_hi v[4:5], v6, off
	v_lshl_add_u64 v[4:5], v[2:3], 1, s[0:1]
	v_or_b32_e32 v2, s3, v0
	global_store_short_d16_hi v[4:5], v1, off
	v_lshl_add_u64 v[0:1], v[2:3], 1, s[0:1]
	global_store_short_d16_hi v[0:1], v7, off
.LBB1230_23:
	s_endpgm
	.section	.rodata,"a",@progbits
	.p2align	6, 0x0
	.amdhsa_kernel _Z38paged_attention_ll4mi_QKV_mfma4_kernelI14__hip_bfloat16hLN4vllm18Fp8KVCacheDataTypeE1ES0_Li32ELi64ELi256ELb0ELi3EEvPKT_PKT0_S8_ifPKiSA_SA_iPKfiiiPfSD_PS3_PT2_iSC_SC_
		.amdhsa_group_segment_fixed_size 2720
		.amdhsa_private_segment_fixed_size 0
		.amdhsa_kernarg_size 400
		.amdhsa_user_sgpr_count 2
		.amdhsa_user_sgpr_dispatch_ptr 0
		.amdhsa_user_sgpr_queue_ptr 0
		.amdhsa_user_sgpr_kernarg_segment_ptr 1
		.amdhsa_user_sgpr_dispatch_id 0
		.amdhsa_user_sgpr_kernarg_preload_length 0
		.amdhsa_user_sgpr_kernarg_preload_offset 0
		.amdhsa_user_sgpr_private_segment_size 0
		.amdhsa_uses_dynamic_stack 0
		.amdhsa_enable_private_segment 0
		.amdhsa_system_sgpr_workgroup_id_x 1
		.amdhsa_system_sgpr_workgroup_id_y 1
		.amdhsa_system_sgpr_workgroup_id_z 1
		.amdhsa_system_sgpr_workgroup_info 0
		.amdhsa_system_vgpr_workitem_id 0
		.amdhsa_next_free_vgpr 92
		.amdhsa_next_free_sgpr 42
		.amdhsa_accum_offset 88
		.amdhsa_reserve_vcc 1
		.amdhsa_float_round_mode_32 0
		.amdhsa_float_round_mode_16_64 0
		.amdhsa_float_denorm_mode_32 3
		.amdhsa_float_denorm_mode_16_64 3
		.amdhsa_dx10_clamp 1
		.amdhsa_ieee_mode 1
		.amdhsa_fp16_overflow 0
		.amdhsa_tg_split 0
		.amdhsa_exception_fp_ieee_invalid_op 0
		.amdhsa_exception_fp_denorm_src 0
		.amdhsa_exception_fp_ieee_div_zero 0
		.amdhsa_exception_fp_ieee_overflow 0
		.amdhsa_exception_fp_ieee_underflow 0
		.amdhsa_exception_fp_ieee_inexact 0
		.amdhsa_exception_int_div_zero 0
	.end_amdhsa_kernel
	.section	.text._Z38paged_attention_ll4mi_QKV_mfma4_kernelI14__hip_bfloat16hLN4vllm18Fp8KVCacheDataTypeE1ES0_Li32ELi64ELi256ELb0ELi3EEvPKT_PKT0_S8_ifPKiSA_SA_iPKfiiiPfSD_PS3_PT2_iSC_SC_,"axG",@progbits,_Z38paged_attention_ll4mi_QKV_mfma4_kernelI14__hip_bfloat16hLN4vllm18Fp8KVCacheDataTypeE1ES0_Li32ELi64ELi256ELb0ELi3EEvPKT_PKT0_S8_ifPKiSA_SA_iPKfiiiPfSD_PS3_PT2_iSC_SC_,comdat
.Lfunc_end1230:
	.size	_Z38paged_attention_ll4mi_QKV_mfma4_kernelI14__hip_bfloat16hLN4vllm18Fp8KVCacheDataTypeE1ES0_Li32ELi64ELi256ELb0ELi3EEvPKT_PKT0_S8_ifPKiSA_SA_iPKfiiiPfSD_PS3_PT2_iSC_SC_, .Lfunc_end1230-_Z38paged_attention_ll4mi_QKV_mfma4_kernelI14__hip_bfloat16hLN4vllm18Fp8KVCacheDataTypeE1ES0_Li32ELi64ELi256ELb0ELi3EEvPKT_PKT0_S8_ifPKiSA_SA_iPKfiiiPfSD_PS3_PT2_iSC_SC_
                                        ; -- End function
	.section	.AMDGPU.csdata,"",@progbits
; Kernel info:
; codeLenInByte = 4004
; NumSgprs: 48
; NumVgprs: 86
; NumAgprs: 4
; TotalNumVgprs: 92
; ScratchSize: 0
; MemoryBound: 0
; FloatMode: 240
; IeeeMode: 1
; LDSByteSize: 2720 bytes/workgroup (compile time only)
; SGPRBlocks: 5
; VGPRBlocks: 11
; NumSGPRsForWavesPerEU: 48
; NumVGPRsForWavesPerEU: 92
; AccumOffset: 88
; Occupancy: 5
; WaveLimiterHint : 1
; COMPUTE_PGM_RSRC2:SCRATCH_EN: 0
; COMPUTE_PGM_RSRC2:USER_SGPR: 2
; COMPUTE_PGM_RSRC2:TRAP_HANDLER: 0
; COMPUTE_PGM_RSRC2:TGID_X_EN: 1
; COMPUTE_PGM_RSRC2:TGID_Y_EN: 1
; COMPUTE_PGM_RSRC2:TGID_Z_EN: 1
; COMPUTE_PGM_RSRC2:TIDIG_COMP_CNT: 0
; COMPUTE_PGM_RSRC3_GFX90A:ACCUM_OFFSET: 21
; COMPUTE_PGM_RSRC3_GFX90A:TG_SPLIT: 0
	.section	.text._Z38paged_attention_ll4mi_QKV_mfma4_kernelI14__hip_bfloat16hLN4vllm18Fp8KVCacheDataTypeE1ES0_Li32ELi64ELi256ELb0ELi4EEvPKT_PKT0_S8_ifPKiSA_SA_iPKfiiiPfSD_PS3_PT2_iSC_SC_,"axG",@progbits,_Z38paged_attention_ll4mi_QKV_mfma4_kernelI14__hip_bfloat16hLN4vllm18Fp8KVCacheDataTypeE1ES0_Li32ELi64ELi256ELb0ELi4EEvPKT_PKT0_S8_ifPKiSA_SA_iPKfiiiPfSD_PS3_PT2_iSC_SC_,comdat
	.protected	_Z38paged_attention_ll4mi_QKV_mfma4_kernelI14__hip_bfloat16hLN4vllm18Fp8KVCacheDataTypeE1ES0_Li32ELi64ELi256ELb0ELi4EEvPKT_PKT0_S8_ifPKiSA_SA_iPKfiiiPfSD_PS3_PT2_iSC_SC_ ; -- Begin function _Z38paged_attention_ll4mi_QKV_mfma4_kernelI14__hip_bfloat16hLN4vllm18Fp8KVCacheDataTypeE1ES0_Li32ELi64ELi256ELb0ELi4EEvPKT_PKT0_S8_ifPKiSA_SA_iPKfiiiPfSD_PS3_PT2_iSC_SC_
	.globl	_Z38paged_attention_ll4mi_QKV_mfma4_kernelI14__hip_bfloat16hLN4vllm18Fp8KVCacheDataTypeE1ES0_Li32ELi64ELi256ELb0ELi4EEvPKT_PKT0_S8_ifPKiSA_SA_iPKfiiiPfSD_PS3_PT2_iSC_SC_
	.p2align	8
	.type	_Z38paged_attention_ll4mi_QKV_mfma4_kernelI14__hip_bfloat16hLN4vllm18Fp8KVCacheDataTypeE1ES0_Li32ELi64ELi256ELb0ELi4EEvPKT_PKT0_S8_ifPKiSA_SA_iPKfiiiPfSD_PS3_PT2_iSC_SC_,@function
_Z38paged_attention_ll4mi_QKV_mfma4_kernelI14__hip_bfloat16hLN4vllm18Fp8KVCacheDataTypeE1ES0_Li32ELi64ELi256ELb0ELi4EEvPKT_PKT0_S8_ifPKiSA_SA_iPKfiiiPfSD_PS3_PT2_iSC_SC_: ; @_Z38paged_attention_ll4mi_QKV_mfma4_kernelI14__hip_bfloat16hLN4vllm18Fp8KVCacheDataTypeE1ES0_Li32ELi64ELi256ELb0ELi4EEvPKT_PKT0_S8_ifPKiSA_SA_iPKfiiiPfSD_PS3_PT2_iSC_SC_
; %bb.0:
	s_load_dwordx2 s[8:9], s[0:1], 0x30
	s_mov_b32 s24, s3
	s_mov_b64 s[6:7], 0
	s_waitcnt lgkmcnt(0)
	s_cmp_lg_u64 s[8:9], 0
	s_cselect_b64 s[10:11], -1, 0
	s_and_b64 vcc, exec, s[10:11]
	s_cbranch_vccz .LBB1231_18
; %bb.1:
	s_add_i32 s12, s2, 1
	s_mov_b32 s13, 0
	s_lshl_b64 s[14:15], s[12:13], 2
	s_add_u32 s14, s8, s14
	s_mov_b32 s3, s13
	s_addc_u32 s15, s9, s15
	s_lshl_b64 s[12:13], s[2:3], 2
	s_add_u32 s12, s8, s12
	s_addc_u32 s13, s9, s13
	s_load_dword s5, s[14:15], 0x0
	s_load_dword s16, s[12:13], 0x0
	s_mov_b64 s[34:35], s[2:3]
	s_waitcnt lgkmcnt(0)
	s_sub_i32 s5, s5, s16
	s_cmp_eq_u32 s5, 1
	s_cselect_b64 s[12:13], -1, 0
	s_andn2_b64 vcc, exec, s[6:7]
	s_cbranch_vccnz .LBB1231_3
.LBB1231_2:
	s_mov_b32 s3, 0
	s_mov_b64 s[12:13], -1
	s_mov_b64 s[34:35], s[2:3]
.LBB1231_3:
	s_andn2_b64 vcc, exec, s[12:13]
	s_cbranch_vccnz .LBB1231_17
; %bb.4:
	s_load_dword s3, s[0:1], 0x9c
	s_load_dwordx2 s[6:7], s[0:1], 0x28
	s_add_u32 s28, s0, 0x90
	s_addc_u32 s29, s1, 0
	s_lshl_b64 s[40:41], s[34:35], 2
	s_waitcnt lgkmcnt(0)
	s_and_b32 s5, s3, 0xffff
	s_add_u32 s6, s6, s40
	s_addc_u32 s7, s7, s41
	s_load_dword s3, s[6:7], 0x0
	s_mul_i32 s20, s24, s5
	s_waitcnt lgkmcnt(0)
	s_cmp_ge_i32 s20, s3
	s_cbranch_scc1 .LBB1231_17
; %bb.5:
	v_and_b32_e32 v2, 0xc0, v0
	v_add_u32_e32 v4, s20, v2
	v_lshrrev_b32_e32 v1, 6, v0
	v_cmp_gt_i32_e64 s[6:7], s3, v4
	v_cmp_le_i32_e32 vcc, s3, v4
                                        ; implicit-def: $sgpr22
                                        ; implicit-def: $sgpr21
	s_and_saveexec_b64 s[12:13], vcc
	s_xor_b64 s[12:13], exec, s[12:13]
	s_cbranch_execz .LBB1231_7
; %bb.6:
	v_mul_u32_u24_e32 v2, 20, v1
	v_or_b32_e32 v2, 0xa00, v2
	v_mov_b32_e32 v3, 0xa50
	v_mov_b32_e32 v4, 0xff7fffff
	v_mad_u32_u24 v3, v1, 20, v3
	ds_write2_b32 v2, v4, v4 offset1:1
	v_mov_b32_e32 v2, 0
	ds_write2_b32 v3, v2, v2 offset1:1
	v_mov_b32_e32 v3, 0xa08
	s_mov_b32 s21, 0xff7fffff
	s_mov_b32 s22, 0
	v_mad_u32_u24 v3, v1, 20, v3
	v_mov_b32_e32 v5, 0xa58
	v_mad_u32_u24 v5, v1, 20, v5
	ds_write2_b32 v3, v4, v4 offset1:1
	ds_write2_b32 v5, v2, v2 offset1:1
                                        ; implicit-def: $vgpr4
.LBB1231_7:
	s_or_saveexec_b64 s[30:31], s[12:13]
	s_load_dwordx2 s[26:27], s[0:1], 0x68
	s_load_dwordx4 s[16:19], s[0:1], 0x58
	s_load_dword s5, s[28:29], 0x4
	s_load_dwordx4 s[12:15], s[0:1], 0x80
	v_and_b32_e32 v24, 63, v0
	v_and_b32_e32 v22, 3, v0
	v_mov_b32_e32 v21, s22
	v_mov_b32_e32 v25, s21
	;; [unrolled: 1-line block ×5, first 2 shown]
                                        ; implicit-def: $vgpr14_vgpr15
                                        ; implicit-def: $vgpr10_vgpr11
                                        ; implicit-def: $vgpr6_vgpr7
                                        ; implicit-def: $vgpr2_vgpr3
	s_xor_b64 exec, exec, s[30:31]
	s_cbranch_execz .LBB1231_13
; %bb.8:
	s_load_dwordx2 s[22:23], s[0:1], 0x20
	s_load_dword s21, s[0:1], 0x38
	s_add_i32 s25, s3, 31
	s_ashr_i32 s33, s25, 31
	s_lshr_b32 s33, s33, 27
	v_add_u32_e32 v18, s20, v0
	s_add_i32 s25, s25, s33
	v_ashrrev_i32_e32 v2, 31, v18
	s_ashr_i32 s25, s25, 5
	v_lshrrev_b32_e32 v2, 27, v2
	s_add_i32 s25, s25, -1
	s_waitcnt lgkmcnt(0)
	s_mul_i32 s36, s2, s21
	s_mov_b32 s37, 0
	v_add_u32_e32 v2, v18, v2
	s_lshl_b64 s[38:39], s[36:37], 2
	v_ashrrev_i32_e32 v2, 5, v2
	v_mov_b32_e32 v3, s25
	v_cmp_gt_i32_e32 vcc, s3, v18
	s_add_u32 s22, s22, s38
	s_addc_u32 s23, s23, s39
	v_cndmask_b32_e32 v2, v3, v2, vcc
	v_ashrrev_i32_e32 v3, 31, v2
	v_lshl_add_u64 v[6:7], v[2:3], 2, s[22:23]
	v_ashrrev_i32_e32 v2, 31, v4
	v_lshrrev_b32_e32 v2, 27, v2
	v_add_u32_e32 v2, v4, v2
	v_ashrrev_i32_e32 v4, 5, v2
	v_min_i32_e32 v2, s25, v4
	v_ashrrev_i32_e32 v3, 31, v2
	v_lshl_add_u64 v[8:9], v[2:3], 2, s[22:23]
	v_add_u32_e32 v2, 1, v4
	v_min_i32_e32 v2, s25, v2
	v_ashrrev_i32_e32 v3, 31, v2
	v_lshl_add_u64 v[10:11], v[2:3], 2, s[22:23]
	global_load_dword v4, v[6:7], off
	global_load_dword v3, v[8:9], off
	global_load_dword v2, v[10:11], off
	s_load_dwordx4 s[20:23], s[0:1], 0x0
	s_load_dwordx2 s[38:39], s[0:1], 0x10
	s_andn2_b64 vcc, exec, s[10:11]
	s_cbranch_vccnz .LBB1231_10
; %bb.9:
	s_add_u32 s8, s8, s40
	s_addc_u32 s9, s9, s41
	s_load_dword s36, s[8:9], 0x0
	s_waitcnt lgkmcnt(0)
	s_mov_b64 s[34:35], s[36:37]
.LBB1231_10:
	s_load_dwordx4 s[8:11], s[0:1], 0x48
	s_load_dword s25, s[0:1], 0x1c
	v_cmp_eq_u32_e32 vcc, 0, v22
	v_mov_b32_e32 v25, 0xff7fffff
	s_waitcnt lgkmcnt(0)
	s_ashr_i32 s1, s8, 31
	s_mul_hi_u32 s11, s34, s8
	s_mul_i32 s1, s34, s1
	s_mul_i32 s33, s35, s8
	s_add_i32 s1, s11, s1
	s_mul_i32 s0, s34, s8
	s_add_i32 s1, s1, s33
	s_lshl_b64 s[0:1], s[0:1], 1
	s_add_u32 s8, s20, s0
	s_addc_u32 s11, s21, s1
	s_lshl_b32 s36, s4, 8
	s_lshl_b64 s[0:1], s[36:37], 1
	s_add_u32 s0, s8, s0
	s_addc_u32 s1, s11, s1
	s_mul_i32 s8, s4, s10
	s_add_u32 s10, s8, s22
	s_addc_u32 s11, 0, s23
	v_mov_b64_e32 v[6:7], s[10:11]
	s_waitcnt vmcnt(2)
	v_mad_i64_i32 v[4:5], s[10:11], v4, s9, v[6:7]
	v_lshlrev_b32_e32 v6, 4, v0
	v_and_b32_e32 v6, 0x1f0, v6
	v_mov_b32_e32 v7, 0
	v_lshl_add_u64 v[4:5], v[4:5], 0, v[6:7]
	global_load_dwordx4 v[26:29], v[4:5], off
	global_load_dwordx4 v[30:33], v[4:5], off offset:512
	global_load_dwordx4 v[34:37], v[4:5], off offset:1024
	;; [unrolled: 1-line block ×3, first 2 shown]
	v_lshrrev_b32_e32 v4, 2, v24
	v_lshlrev_b32_e32 v5, 3, v22
	v_add_lshl_u32 v4, v5, v4, 4
	global_load_dwordx4 v[42:45], v4, s[0:1]
	s_waitcnt vmcnt(6)
	v_mul_hi_i32 v4, v3, s9
	s_add_u32 s0, s38, s8
	s_waitcnt vmcnt(5)
	v_mul_hi_i32 v5, v2, s9
	v_ashrrev_i32_e32 v8, 31, v4
	s_addc_u32 s1, s39, 0
	v_lshlrev_b32_e32 v6, 5, v24
	v_ashrrev_i32_e32 v10, 31, v5
	v_lshl_add_u64 v[4:5], s[0:1], 0, v[6:7]
	v_lshrrev_b32_e32 v6, 29, v8
	v_mad_i64_i32 v[8:9], s[0:1], v3, s9, v[6:7]
	v_lshrrev_b32_e32 v6, 29, v10
	v_mad_i64_i32 v[2:3], s[0:1], v2, s9, v[6:7]
	v_and_b32_e32 v8, -8, v8
	v_and_b32_e32 v2, -8, v2
	v_lshl_add_u64 v[20:21], v[4:5], 0, v[8:9]
	v_lshl_add_u64 v[46:47], v[4:5], 0, v[2:3]
	global_load_dwordx4 v[10:13], v[20:21], off offset:16
	global_load_dwordx4 v[14:17], v[20:21], off
	global_load_dwordx4 v[2:5], v[46:47], off offset:16
	global_load_dwordx4 v[6:9], v[46:47], off
	s_mov_b32 s10, 0x7060302
	s_load_dword s0, s[12:13], 0x0
	v_mov_b32_e32 v19, s25
	s_waitcnt vmcnt(8)
	v_cvt_pk_f32_fp8_e32 v[20:21], v26
	v_cvt_pk_f32_fp8_sdwa v[46:47], v26 src0_sel:WORD_1
	v_cvt_pk_f32_fp8_e32 v[48:49], v27
	v_cvt_pk_f32_fp8_sdwa v[26:27], v27 src0_sel:WORD_1
	v_cvt_pk_f32_fp8_e32 v[50:51], v28
	v_cvt_pk_f32_fp8_sdwa v[52:53], v28 src0_sel:WORD_1
	v_perm_b32 v20, v21, v20, s10
	v_perm_b32 v21, v47, v46, s10
	v_cvt_pk_f32_fp8_e32 v[54:55], v29
	v_cvt_pk_f32_fp8_sdwa v[28:29], v29 src0_sel:WORD_1
	s_waitcnt vmcnt(4)
	v_mfma_f32_4x4x4_16b_bf16 a[0:3], v[42:43], v[20:21], 0 cbsz:4
	v_perm_b32 v46, v49, v48, s10
	v_perm_b32 v47, v27, v26, s10
	v_cvt_pk_f32_fp8_e32 v[56:57], v30
	v_cvt_pk_f32_fp8_sdwa v[58:59], v30 src0_sel:WORD_1
	v_mfma_f32_4x4x4_16b_bf16 a[0:3], v[44:45], v[46:47], a[0:3] cbsz:4
	v_perm_b32 v26, v51, v50, s10
	v_perm_b32 v27, v53, v52, s10
	v_cvt_pk_f32_fp8_e32 v[60:61], v31
	v_cvt_pk_f32_fp8_sdwa v[30:31], v31 src0_sel:WORD_1
	v_mfma_f32_4x4x4_16b_bf16 a[0:3], v[42:43], v[26:27], a[0:3] cbsz:4 abid:1
	v_perm_b32 v48, v55, v54, s10
	v_perm_b32 v49, v29, v28, s10
	v_cvt_pk_f32_fp8_e32 v[62:63], v32
	v_cvt_pk_f32_fp8_sdwa v[64:65], v32 src0_sel:WORD_1
	v_mfma_f32_4x4x4_16b_bf16 a[0:3], v[44:45], v[48:49], a[0:3] cbsz:4 abid:1
	;; [unrolled: 5-line block ×11, first 2 shown]
	v_perm_b32 v26, v85, v84, s10
	v_perm_b32 v27, v39, v38, s10
	;; [unrolled: 1-line block ×4, first 2 shown]
	v_mfma_f32_4x4x4_16b_bf16 a[0:3], v[44:45], v[26:27], a[0:3] cbsz:4 abid:6
	v_perm_b32 v26, v91, v90, s10
	v_perm_b32 v27, v41, v40, s10
	v_mfma_f32_4x4x4_16b_bf16 a[0:3], v[42:43], v[20:21], a[0:3] cbsz:4 abid:7
	s_nop 1
	v_mfma_f32_4x4x4_16b_bf16 a[0:3], v[44:45], v[26:27], a[0:3] cbsz:4 abid:7
	s_waitcnt lgkmcnt(0)
	v_mul_f32_e32 v26, s0, v19
	v_cndmask_b32_e64 v19, 0, 1.0, vcc
	v_cmp_eq_u32_e32 vcc, 1, v22
	s_nop 0
	v_accvgpr_read_b32 v29, a1
	v_accvgpr_read_b32 v28, a0
	v_pk_mul_f32 v[28:29], v[28:29], v[26:27] op_sel_hi:[1,0]
	v_accvgpr_read_b32 v21, a3
	v_accvgpr_read_b32 v20, a2
	v_pk_mul_f32 v[20:21], v[20:21], v[26:27] op_sel_hi:[1,0]
	v_mfma_f32_4x4x1_16b_f32 a[0:3], v28, v19, 0
	v_cndmask_b32_e64 v19, 0, 1.0, vcc
	v_cmp_eq_u32_e32 vcc, 2, v22
	s_nop 0
	v_mfma_f32_4x4x1_16b_f32 a[0:3], v29, v19, a[0:3]
	v_cndmask_b32_e64 v19, 0, 1.0, vcc
	v_cmp_eq_u32_e32 vcc, 3, v22
	s_nop 0
	v_mfma_f32_4x4x1_16b_f32 a[0:3], v20, v19, a[0:3]
	v_cndmask_b32_e64 v19, 0, 1.0, vcc
	v_lshlrev_b32_e32 v20, 2, v0
	v_and_or_b32 v20, v20, 48, v22
	v_mfma_f32_4x4x1_16b_f32 a[0:3], v21, v19, a[0:3]
	v_and_b32_e32 v19, -4, v18
	v_cmp_gt_i32_e32 vcc, s3, v19
	v_or_b32_e32 v18, 3, v18
	v_cmp_gt_i32_e64 s[10:11], s3, v18
	v_accvgpr_read_b32 v21, a0
	v_max_f32_e32 v23, v21, v21
	v_max_f32_e32 v23, 0xff7fffff, v23
	v_accvgpr_read_b32 v26, a1
	v_cndmask_b32_e32 v23, v25, v23, vcc
	v_or_b32_e32 v25, 1, v19
	v_max_f32_e32 v27, v26, v26
	v_max_f32_e32 v27, v23, v27
	v_cmp_gt_i32_e64 s[0:1], s3, v25
	v_or_b32_e32 v19, 2, v19
	v_cmp_gt_i32_e64 s[8:9], s3, v19
	v_cndmask_b32_e64 v23, v23, v27, s[0:1]
	v_accvgpr_read_b32 v27, a2
	v_max_f32_e32 v25, v27, v27
	v_max_f32_e32 v25, v23, v25
	v_cndmask_b32_e64 v19, v23, v25, s[8:9]
	v_accvgpr_read_b32 v23, a3
	v_max_f32_e32 v25, v23, v23
	v_max_f32_e32 v25, v19, v25
	v_cndmask_b32_e64 v18, v19, v25, s[10:11]
	;;#ASMSTART
	v_nop
 v_nop
 v_max_f32_dpp v18, v18, v18 row_ror:4
	;;#ASMEND
	v_lshlrev_b32_e32 v28, 2, v20
	;;#ASMSTART
	v_nop
 v_nop
 v_max_f32_dpp v18, v18, v18 row_ror:8
	;;#ASMEND
	ds_bpermute_b32 v18, v28, v18
	s_waitcnt lgkmcnt(0)
	;;#ASMSTART
	v_nop
 v_nop
 v_max_f32_dpp v18, v18, v18 row_ror:4
	;;#ASMEND
	s_nop 0
	;;#ASMSTART
	v_nop
 v_nop
 v_max_f32_dpp v25, v18, v18 row_ror:8
	;;#ASMEND
	s_nop 0
	v_sub_f32_e32 v18, v21, v25
	v_mul_f32_e32 v18, 0x3fb8aa3b, v18
	v_sub_f32_e32 v19, v26, v25
	v_exp_f32_e32 v18, v18
	v_mul_f32_e32 v19, 0x3fb8aa3b, v19
	v_sub_f32_e32 v21, v27, v25
	v_exp_f32_e32 v19, v19
	v_mul_f32_e32 v21, 0x3fb8aa3b, v21
	v_sub_f32_e32 v23, v23, v25
	v_exp_f32_e32 v21, v21
	v_mul_f32_e32 v23, 0x3fb8aa3b, v23
	v_exp_f32_e32 v23, v23
	v_cndmask_b32_e32 v18, 0, v18, vcc
	v_add_f32_e32 v20, 0, v18
	v_cndmask_b32_e64 v19, 0, v19, s[0:1]
	v_add_f32_e32 v26, v20, v19
	v_cndmask_b32_e64 v20, 0, v21, s[8:9]
	;; [unrolled: 2-line block ×3, first 2 shown]
	v_add_f32_e32 v23, v26, v21
	;;#ASMSTART
	v_nop
 v_nop
 v_add_f32_dpp v23, v23, v23 row_ror:4
	;;#ASMEND
	v_cmp_gt_u32_e32 vcc, 4, v24
	;;#ASMSTART
	v_nop
 v_nop
 v_add_f32_dpp v23, v23, v23 row_ror:8
	;;#ASMEND
	ds_bpermute_b32 v23, v28, v23
	s_waitcnt lgkmcnt(0)
	;;#ASMSTART
	v_nop
 v_nop
 v_add_f32_dpp v23, v23, v23 row_ror:4
	;;#ASMEND
	s_nop 0
	;;#ASMSTART
	v_nop
 v_nop
 v_add_f32_dpp v23, v23, v23 row_ror:8
	;;#ASMEND
	s_and_saveexec_b64 s[0:1], vcc
	s_cbranch_execz .LBB1231_12
; %bb.11:
	v_mul_u32_u24_e32 v26, 20, v1
	v_lshl_add_u32 v26, v22, 2, v26
	v_add_u32_e32 v26, 0x800, v26
	ds_write2_b32 v26, v25, v23 offset0:128 offset1:148
.LBB1231_12:
	s_or_b64 exec, exec, s[0:1]
.LBB1231_13:
	s_or_b64 exec, exec, s[30:31]
	v_lshlrev_b32_e32 v23, 2, v22
	v_add_u32_e32 v23, 0x800, v23
	s_waitcnt lgkmcnt(0)
	s_barrier
	s_load_dword s0, s[28:29], 0x8
	ds_read2_b32 v[28:29], v23 offset0:128 offset1:133
	ds_read2_b32 v[30:31], v23 offset0:138 offset1:143
	s_mov_b32 s8, 0xff7fffff
	s_mul_i32 s1, s2, s5
	s_lshl_b32 s4, s4, 2
	s_waitcnt lgkmcnt(0)
	v_max3_f32 v26, v28, s8, v29
	s_mul_i32 s1, s1, s0
	v_max3_f32 v26, v26, v30, v31
	s_lshl_b32 s0, s1, 2
	s_mov_b32 s1, 0
	v_sub_f32_e32 v27, v28, v26
	v_sub_f32_e32 v28, v29, v26
	s_lshl_b64 s[2:3], s[0:1], 2
	ds_read2_b32 v[32:33], v23 offset0:148 offset1:153
	v_mul_f32_e32 v27, 0x3fb8aa3b, v27
	v_mul_f32_e32 v28, 0x3fb8aa3b, v28
	s_mov_b32 s25, s1
	s_add_u32 s1, s16, s2
	v_exp_f32_e32 v27, v27
	v_exp_f32_e32 v34, v28
	ds_read2_b32 v[28:29], v23 offset0:158 offset1:163
	v_sub_f32_e32 v23, v30, v26
	s_addc_u32 s10, s17, s3
	v_mul_f32_e32 v23, 0x3fb8aa3b, v23
	v_sub_f32_e32 v30, v31, v26
	s_add_u32 s8, s18, s2
	v_exp_f32_e32 v23, v23
	v_mul_f32_e32 v30, 0x3fb8aa3b, v30
	s_addc_u32 s9, s19, s3
	s_lshl_b64 s[2:3], s[24:25], 2
	v_exp_f32_e32 v30, v30
	s_add_u32 s8, s8, s2
	s_waitcnt lgkmcnt(1)
	v_fma_f32 v27, v27, v32, 0
	s_addc_u32 s9, s9, s3
	v_fmac_f32_e32 v27, v34, v33
	v_or_b32_e32 v22, s4, v22
	s_waitcnt lgkmcnt(0)
	v_fmac_f32_e32 v27, v23, v28
	s_add_u32 s2, s1, s2
	v_mul_lo_u32 v22, s5, v22
	v_mov_b32_e32 v23, 0
	v_fmac_f32_e32 v27, v30, v29
	s_addc_u32 s3, s10, s3
	v_lshlrev_b64 v[28:29], 2, v[22:23]
	v_lshl_add_u64 v[30:31], s[8:9], 0, v[28:29]
	v_lshl_add_u64 v[28:29], s[2:3], 0, v[28:29]
	v_mov_b32_e32 v22, v23
	global_store_dword v[30:31], v26, off
	global_store_dword v[28:29], v27, off
	s_and_saveexec_b64 s[2:3], s[6:7]
	s_cbranch_execz .LBB1231_15
; %bb.14:
	v_add_f32_e32 v22, 0x358637bd, v27
	v_div_scale_f32 v23, s[6:7], v22, v22, 1.0
	v_rcp_f32_e32 v27, v23
	v_div_scale_f32 v28, vcc, 1.0, v22, 1.0
	v_sub_f32_e32 v25, v25, v26
	v_fma_f32 v29, -v23, v27, 1.0
	v_fmac_f32_e32 v27, v29, v27
	v_mul_f32_e32 v29, v28, v27
	v_fma_f32 v30, -v23, v29, v28
	v_mul_f32_e32 v25, 0x3fb8aa3b, v25
	v_fmac_f32_e32 v29, v30, v27
	v_exp_f32_e32 v25, v25
	v_fma_f32 v23, -v23, v29, v28
	v_div_fmas_f32 v23, v23, v27, v29
	v_div_fixup_f32 v22, v23, v22, 1.0
	v_mul_f32_e32 v22, v25, v22
	v_pk_mul_f32 v[18:19], v[18:19], v[22:23] op_sel_hi:[1,0]
	v_pk_mul_f32 v[20:21], v[20:21], v[22:23] op_sel_hi:[1,0]
	v_bfe_u32 v22, v19, 16, 1
	v_bfe_u32 v23, v18, 16, 1
	s_movk_i32 s1, 0x7fff
	v_add3_u32 v18, v18, v23, s1
	v_add3_u32 v19, v19, v22, s1
	s_mov_b32 s7, 0x7060302
	v_perm_b32 v18, v19, v18, s7
	v_bfe_u32 v19, v21, 16, 1
	v_bfe_u32 v22, v20, 16, 1
	v_add3_u32 v22, v20, v22, s1
	v_add3_u32 v19, v21, v19, s1
	s_waitcnt vmcnt(4)
	v_cvt_pk_f32_fp8_e32 v[20:21], v14
	v_perm_b32 v19, v19, v22, s7
	v_cvt_pk_f32_fp8_sdwa v[22:23], v14 src0_sel:WORD_1
	v_cvt_pk_f32_fp8_e32 v[26:27], v15
	v_perm_b32 v14, v21, v20, s7
	v_cvt_pk_f32_fp8_sdwa v[20:21], v15 src0_sel:WORD_1
	v_perm_b32 v15, v23, v22, s7
	v_perm_b32 v22, v27, v26, s7
	s_load_dword s6, s[14:15], 0x0
	v_mfma_f32_4x4x4_16b_bf16 a[0:3], v[18:19], v[14:15], 0 cbsz:4
	v_perm_b32 v23, v21, v20, s7
	v_cvt_pk_f32_fp8_e32 v[14:15], v16
	v_cvt_pk_f32_fp8_sdwa v[20:21], v16 src0_sel:WORD_1
	v_mfma_f32_4x4x4_16b_bf16 a[0:3], v[18:19], v[22:23], a[0:3] cbsz:4 abid:1
	v_cvt_pk_f32_fp8_e32 v[22:23], v17
	v_cvt_pk_f32_fp8_sdwa v[16:17], v17 src0_sel:WORD_1
	v_perm_b32 v14, v15, v14, s7
	v_perm_b32 v15, v21, v20, s7
	;; [unrolled: 1-line block ×4, first 2 shown]
	v_mfma_f32_4x4x4_16b_bf16 a[0:3], v[18:19], v[14:15], a[0:3] cbsz:4 abid:2
	v_cvt_pk_f32_fp8_e32 v[14:15], v10
	v_cvt_pk_f32_fp8_sdwa v[16:17], v10 src0_sel:WORD_1
	v_mfma_f32_4x4x4_16b_bf16 a[0:3], v[18:19], v[20:21], a[0:3] cbsz:4 abid:3
	v_cvt_pk_f32_fp8_e32 v[20:21], v11
	v_perm_b32 v10, v15, v14, s7
	v_cvt_pk_f32_fp8_sdwa v[14:15], v11 src0_sel:WORD_1
	v_perm_b32 v11, v17, v16, s7
	v_perm_b32 v16, v21, v20, s7
	;; [unrolled: 1-line block ×3, first 2 shown]
	v_mfma_f32_4x4x4_16b_bf16 a[0:3], v[18:19], v[10:11], a[0:3] cbsz:4 abid:4
	v_cvt_pk_f32_fp8_e32 v[10:11], v12
	v_cvt_pk_f32_fp8_sdwa v[14:15], v12 src0_sel:WORD_1
	v_mfma_f32_4x4x4_16b_bf16 a[0:3], v[18:19], v[16:17], a[0:3] cbsz:4 abid:5
	v_cvt_pk_f32_fp8_e32 v[16:17], v13
	v_cvt_pk_f32_fp8_sdwa v[12:13], v13 src0_sel:WORD_1
	v_perm_b32 v10, v11, v10, s7
	v_perm_b32 v11, v15, v14, s7
	;; [unrolled: 1-line block ×4, first 2 shown]
	v_mfma_f32_4x4x4_16b_bf16 a[0:3], v[18:19], v[10:11], a[0:3] cbsz:4 abid:6
	s_waitcnt vmcnt(2)
	v_cvt_pk_f32_fp8_e32 v[10:11], v6
	v_cvt_pk_f32_fp8_sdwa v[12:13], v6 src0_sel:WORD_1
	v_mfma_f32_4x4x4_16b_bf16 a[0:3], v[18:19], v[14:15], a[0:3] cbsz:4 abid:7
	v_cvt_pk_f32_fp8_e32 v[14:15], v7
	v_perm_b32 v6, v11, v10, s7
	v_cvt_pk_f32_fp8_sdwa v[10:11], v7 src0_sel:WORD_1
	v_perm_b32 v7, v13, v12, s7
	v_perm_b32 v12, v15, v14, s7
	;; [unrolled: 1-line block ×3, first 2 shown]
	v_mfma_f32_4x4x4_16b_bf16 a[0:3], v[18:19], v[6:7], a[0:3] cbsz:4 abid:8
	v_cvt_pk_f32_fp8_e32 v[6:7], v8
	v_cvt_pk_f32_fp8_sdwa v[10:11], v8 src0_sel:WORD_1
	v_mfma_f32_4x4x4_16b_bf16 a[0:3], v[18:19], v[12:13], a[0:3] cbsz:4 abid:9
	v_cvt_pk_f32_fp8_e32 v[12:13], v9
	v_cvt_pk_f32_fp8_sdwa v[8:9], v9 src0_sel:WORD_1
	v_perm_b32 v6, v7, v6, s7
	v_perm_b32 v7, v11, v10, s7
	;; [unrolled: 1-line block ×4, first 2 shown]
	v_mfma_f32_4x4x4_16b_bf16 a[0:3], v[18:19], v[6:7], a[0:3] cbsz:4 abid:10
	v_cvt_pk_f32_fp8_e32 v[6:7], v2
	v_cvt_pk_f32_fp8_sdwa v[8:9], v2 src0_sel:WORD_1
	v_mfma_f32_4x4x4_16b_bf16 a[0:3], v[18:19], v[10:11], a[0:3] cbsz:4 abid:11
	v_cvt_pk_f32_fp8_e32 v[10:11], v3
	v_perm_b32 v2, v7, v6, s7
	v_cvt_pk_f32_fp8_sdwa v[6:7], v3 src0_sel:WORD_1
	v_perm_b32 v3, v9, v8, s7
	v_perm_b32 v8, v11, v10, s7
	;; [unrolled: 1-line block ×3, first 2 shown]
	v_mfma_f32_4x4x4_16b_bf16 a[0:3], v[18:19], v[2:3], a[0:3] cbsz:4 abid:12
	v_cvt_pk_f32_fp8_e32 v[2:3], v4
	v_cvt_pk_f32_fp8_sdwa v[6:7], v4 src0_sel:WORD_1
	v_mfma_f32_4x4x4_16b_bf16 a[0:3], v[18:19], v[8:9], a[0:3] cbsz:4 abid:13
	v_cvt_pk_f32_fp8_e32 v[8:9], v5
	v_cvt_pk_f32_fp8_sdwa v[4:5], v5 src0_sel:WORD_1
	v_perm_b32 v2, v3, v2, s7
	v_perm_b32 v3, v7, v6, s7
	v_perm_b32 v6, v9, v8, s7
	v_perm_b32 v7, v5, v4, s7
	v_mfma_f32_4x4x4_16b_bf16 a[0:3], v[18:19], v[2:3], a[0:3] cbsz:4 abid:14
	s_nop 1
	v_mfma_f32_4x4x4_16b_bf16 a[0:3], v[18:19], v[6:7], a[0:3] cbsz:4 abid:15
	s_nop 4
	v_accvgpr_read_b32 v5, a1
	v_accvgpr_read_b32 v4, a0
	;; [unrolled: 1-line block ×4, first 2 shown]
	s_waitcnt lgkmcnt(0)
	v_pk_mul_f32 v[4:5], v[4:5], s[6:7] op_sel_hi:[1,0]
	v_pk_mul_f32 v[2:3], v[2:3], s[6:7] op_sel_hi:[1,0]
	v_bfe_u32 v6, v5, 16, 1
	v_bfe_u32 v7, v4, 16, 1
	v_add3_u32 v4, v4, v7, s1
	v_add3_u32 v5, v5, v6, s1
	v_bfe_u32 v6, v3, 16, 1
	v_bfe_u32 v7, v2, 16, 1
	v_add3_u32 v2, v2, v7, s1
	v_add3_u32 v3, v3, v6, s1
	v_perm_b32 v23, v3, v2, s7
	v_perm_b32 v22, v5, v4, s7
.LBB1231_15:
	s_or_b64 exec, exec, s[2:3]
	v_lshlrev_b32_e32 v1, 3, v1
	v_mad_u32_u24 v1, v24, 40, v1
	v_cmp_gt_u32_e32 vcc, 64, v0
	ds_write_b64 v1, v[22:23]
	s_waitcnt lgkmcnt(0)
	s_barrier
	s_and_saveexec_b64 s[2:3], vcc
	s_cbranch_execz .LBB1231_17
; %bb.16:
	v_mul_u32_u24_e32 v1, 40, v24
	s_waitcnt vmcnt(3)
	ds_read2_b64 v[2:5], v1 offset1:1
	s_waitcnt vmcnt(2)
	ds_read2_b64 v[6:9], v1 offset0:2 offset1:3
	s_mov_b32 s1, 0
	s_lshl_b32 s0, s0, 6
	s_lshl_b64 s[2:3], s[0:1], 1
	s_waitcnt lgkmcnt(1)
	v_lshlrev_b32_e32 v1, 16, v2
	v_and_b32_e32 v2, 0xffff0000, v2
	v_add_f32_e32 v1, 0, v1
	v_add_f32_e32 v2, 0, v2
	v_lshlrev_b32_e32 v10, 16, v3
	v_and_b32_e32 v3, 0xffff0000, v3
	v_and_b32_e32 v1, 0xffff0000, v1
	;; [unrolled: 1-line block ×3, first 2 shown]
	v_add_f32_e32 v3, 0, v3
	v_lshlrev_b32_e32 v11, 16, v4
	v_and_b32_e32 v4, 0xffff0000, v4
	v_add_f32_e32 v10, 0, v10
	v_and_b32_e32 v3, 0xffff0000, v3
	v_add_f32_e32 v1, v1, v11
	v_add_f32_e32 v2, v2, v4
	v_lshlrev_b32_e32 v4, 16, v5
	v_and_b32_e32 v5, 0xffff0000, v5
	v_and_b32_e32 v10, 0xffff0000, v10
	;; [unrolled: 1-line block ×3, first 2 shown]
	v_add_f32_e32 v3, v3, v5
	s_waitcnt lgkmcnt(0)
	v_lshlrev_b32_e32 v5, 16, v6
	v_and_b32_e32 v2, 0xffff0000, v2
	v_add_f32_e32 v4, v10, v4
	v_add_f32_e32 v1, v1, v5
	v_and_b32_e32 v5, 0xffff0000, v6
	v_and_b32_e32 v4, 0xffff0000, v4
	v_add_f32_e32 v2, v2, v5
	v_lshlrev_b32_e32 v5, 16, v7
	s_add_u32 s2, s26, s2
	v_and_b32_e32 v3, 0xffff0000, v3
	v_add_f32_e32 v4, v4, v5
	v_and_b32_e32 v5, 0xffff0000, v7
	s_addc_u32 s3, s27, s3
	s_lshl_b32 s0, s24, 6
	v_and_b32_e32 v1, 0xffff0000, v1
	v_add_f32_e32 v3, v3, v5
	v_lshlrev_b32_e32 v5, 16, v8
	s_lshl_b64 s[0:1], s[0:1], 1
	v_and_b32_e32 v2, 0xffff0000, v2
	v_add_f32_e32 v1, v1, v5
	v_and_b32_e32 v5, 0xffff0000, v8
	s_add_u32 s0, s2, s0
	v_and_b32_e32 v4, 0xffff0000, v4
	v_add_f32_e32 v6, v2, v5
	v_lshlrev_b32_e32 v2, 16, v9
	s_addc_u32 s1, s3, s1
	s_lshl_b32 s2, s5, 6
	v_and_b32_e32 v3, 0xffff0000, v3
	v_add_f32_e32 v7, v4, v2
	v_and_b32_e32 v2, 0xffff0000, v9
	s_mul_i32 s3, s2, s4
	v_add_f32_e32 v8, v3, v2
	v_or_b32_e32 v2, s3, v0
	v_mov_b32_e32 v3, 0
	s_add_i32 s3, s3, s2
	v_lshl_add_u64 v[4:5], v[2:3], 1, s[0:1]
	v_or_b32_e32 v2, s3, v0
	s_add_i32 s3, s3, s2
	global_store_short_d16_hi v[4:5], v1, off
	v_lshl_add_u64 v[4:5], v[2:3], 1, s[0:1]
	v_or_b32_e32 v2, s3, v0
	s_add_i32 s3, s3, s2
	global_store_short_d16_hi v[4:5], v6, off
	v_lshl_add_u64 v[4:5], v[2:3], 1, s[0:1]
	v_or_b32_e32 v2, s3, v0
	v_lshl_add_u64 v[0:1], v[2:3], 1, s[0:1]
	global_store_short_d16_hi v[4:5], v7, off
	global_store_short_d16_hi v[0:1], v8, off
.LBB1231_17:
	s_endpgm
.LBB1231_18:
	s_mov_b64 s[12:13], 0
                                        ; implicit-def: $sgpr34_sgpr35
	s_branch .LBB1231_2
	.section	.rodata,"a",@progbits
	.p2align	6, 0x0
	.amdhsa_kernel _Z38paged_attention_ll4mi_QKV_mfma4_kernelI14__hip_bfloat16hLN4vllm18Fp8KVCacheDataTypeE1ES0_Li32ELi64ELi256ELb0ELi4EEvPKT_PKT0_S8_ifPKiSA_SA_iPKfiiiPfSD_PS3_PT2_iSC_SC_
		.amdhsa_group_segment_fixed_size 2720
		.amdhsa_private_segment_fixed_size 0
		.amdhsa_kernarg_size 400
		.amdhsa_user_sgpr_count 2
		.amdhsa_user_sgpr_dispatch_ptr 0
		.amdhsa_user_sgpr_queue_ptr 0
		.amdhsa_user_sgpr_kernarg_segment_ptr 1
		.amdhsa_user_sgpr_dispatch_id 0
		.amdhsa_user_sgpr_kernarg_preload_length 0
		.amdhsa_user_sgpr_kernarg_preload_offset 0
		.amdhsa_user_sgpr_private_segment_size 0
		.amdhsa_uses_dynamic_stack 0
		.amdhsa_enable_private_segment 0
		.amdhsa_system_sgpr_workgroup_id_x 1
		.amdhsa_system_sgpr_workgroup_id_y 1
		.amdhsa_system_sgpr_workgroup_id_z 1
		.amdhsa_system_sgpr_workgroup_info 0
		.amdhsa_system_vgpr_workitem_id 0
		.amdhsa_next_free_vgpr 96
		.amdhsa_next_free_sgpr 42
		.amdhsa_accum_offset 92
		.amdhsa_reserve_vcc 1
		.amdhsa_float_round_mode_32 0
		.amdhsa_float_round_mode_16_64 0
		.amdhsa_float_denorm_mode_32 3
		.amdhsa_float_denorm_mode_16_64 3
		.amdhsa_dx10_clamp 1
		.amdhsa_ieee_mode 1
		.amdhsa_fp16_overflow 0
		.amdhsa_tg_split 0
		.amdhsa_exception_fp_ieee_invalid_op 0
		.amdhsa_exception_fp_denorm_src 0
		.amdhsa_exception_fp_ieee_div_zero 0
		.amdhsa_exception_fp_ieee_overflow 0
		.amdhsa_exception_fp_ieee_underflow 0
		.amdhsa_exception_fp_ieee_inexact 0
		.amdhsa_exception_int_div_zero 0
	.end_amdhsa_kernel
	.section	.text._Z38paged_attention_ll4mi_QKV_mfma4_kernelI14__hip_bfloat16hLN4vllm18Fp8KVCacheDataTypeE1ES0_Li32ELi64ELi256ELb0ELi4EEvPKT_PKT0_S8_ifPKiSA_SA_iPKfiiiPfSD_PS3_PT2_iSC_SC_,"axG",@progbits,_Z38paged_attention_ll4mi_QKV_mfma4_kernelI14__hip_bfloat16hLN4vllm18Fp8KVCacheDataTypeE1ES0_Li32ELi64ELi256ELb0ELi4EEvPKT_PKT0_S8_ifPKiSA_SA_iPKfiiiPfSD_PS3_PT2_iSC_SC_,comdat
.Lfunc_end1231:
	.size	_Z38paged_attention_ll4mi_QKV_mfma4_kernelI14__hip_bfloat16hLN4vllm18Fp8KVCacheDataTypeE1ES0_Li32ELi64ELi256ELb0ELi4EEvPKT_PKT0_S8_ifPKiSA_SA_iPKfiiiPfSD_PS3_PT2_iSC_SC_, .Lfunc_end1231-_Z38paged_attention_ll4mi_QKV_mfma4_kernelI14__hip_bfloat16hLN4vllm18Fp8KVCacheDataTypeE1ES0_Li32ELi64ELi256ELb0ELi4EEvPKT_PKT0_S8_ifPKiSA_SA_iPKfiiiPfSD_PS3_PT2_iSC_SC_
                                        ; -- End function
	.section	.AMDGPU.csdata,"",@progbits
; Kernel info:
; codeLenInByte = 4032
; NumSgprs: 48
; NumVgprs: 92
; NumAgprs: 4
; TotalNumVgprs: 96
; ScratchSize: 0
; MemoryBound: 0
; FloatMode: 240
; IeeeMode: 1
; LDSByteSize: 2720 bytes/workgroup (compile time only)
; SGPRBlocks: 5
; VGPRBlocks: 11
; NumSGPRsForWavesPerEU: 48
; NumVGPRsForWavesPerEU: 96
; AccumOffset: 92
; Occupancy: 5
; WaveLimiterHint : 1
; COMPUTE_PGM_RSRC2:SCRATCH_EN: 0
; COMPUTE_PGM_RSRC2:USER_SGPR: 2
; COMPUTE_PGM_RSRC2:TRAP_HANDLER: 0
; COMPUTE_PGM_RSRC2:TGID_X_EN: 1
; COMPUTE_PGM_RSRC2:TGID_Y_EN: 1
; COMPUTE_PGM_RSRC2:TGID_Z_EN: 1
; COMPUTE_PGM_RSRC2:TIDIG_COMP_CNT: 0
; COMPUTE_PGM_RSRC3_GFX90A:ACCUM_OFFSET: 22
; COMPUTE_PGM_RSRC3_GFX90A:TG_SPLIT: 0
	.section	.text._Z39paged_attention_ll4mi_QKV_mfma16_kernelI14__hip_bfloat16hLN4vllm18Fp8KVCacheDataTypeE1ES0_Li32ELi64ELi256ELb0ELi5EEvPKT_PKT0_S8_ifPKiSA_SA_iPKfiiiPfSD_PS3_PT2_iSC_SC_,"axG",@progbits,_Z39paged_attention_ll4mi_QKV_mfma16_kernelI14__hip_bfloat16hLN4vllm18Fp8KVCacheDataTypeE1ES0_Li32ELi64ELi256ELb0ELi5EEvPKT_PKT0_S8_ifPKiSA_SA_iPKfiiiPfSD_PS3_PT2_iSC_SC_,comdat
	.protected	_Z39paged_attention_ll4mi_QKV_mfma16_kernelI14__hip_bfloat16hLN4vllm18Fp8KVCacheDataTypeE1ES0_Li32ELi64ELi256ELb0ELi5EEvPKT_PKT0_S8_ifPKiSA_SA_iPKfiiiPfSD_PS3_PT2_iSC_SC_ ; -- Begin function _Z39paged_attention_ll4mi_QKV_mfma16_kernelI14__hip_bfloat16hLN4vllm18Fp8KVCacheDataTypeE1ES0_Li32ELi64ELi256ELb0ELi5EEvPKT_PKT0_S8_ifPKiSA_SA_iPKfiiiPfSD_PS3_PT2_iSC_SC_
	.globl	_Z39paged_attention_ll4mi_QKV_mfma16_kernelI14__hip_bfloat16hLN4vllm18Fp8KVCacheDataTypeE1ES0_Li32ELi64ELi256ELb0ELi5EEvPKT_PKT0_S8_ifPKiSA_SA_iPKfiiiPfSD_PS3_PT2_iSC_SC_
	.p2align	8
	.type	_Z39paged_attention_ll4mi_QKV_mfma16_kernelI14__hip_bfloat16hLN4vllm18Fp8KVCacheDataTypeE1ES0_Li32ELi64ELi256ELb0ELi5EEvPKT_PKT0_S8_ifPKiSA_SA_iPKfiiiPfSD_PS3_PT2_iSC_SC_,@function
_Z39paged_attention_ll4mi_QKV_mfma16_kernelI14__hip_bfloat16hLN4vllm18Fp8KVCacheDataTypeE1ES0_Li32ELi64ELi256ELb0ELi5EEvPKT_PKT0_S8_ifPKiSA_SA_iPKfiiiPfSD_PS3_PT2_iSC_SC_: ; @_Z39paged_attention_ll4mi_QKV_mfma16_kernelI14__hip_bfloat16hLN4vllm18Fp8KVCacheDataTypeE1ES0_Li32ELi64ELi256ELb0ELi5EEvPKT_PKT0_S8_ifPKiSA_SA_iPKfiiiPfSD_PS3_PT2_iSC_SC_
; %bb.0:
	s_load_dwordx2 s[12:13], s[0:1], 0x30
	s_mov_b32 s28, s3
	s_mov_b64 s[6:7], 0
	s_waitcnt lgkmcnt(0)
	s_cmp_lg_u64 s[12:13], 0
	s_cselect_b64 s[14:15], -1, 0
	s_and_b64 vcc, exec, s[14:15]
	s_cbranch_vccz .LBB1232_7
; %bb.1:
	s_add_i32 s8, s2, 1
	s_mov_b32 s9, 0
	s_lshl_b64 s[10:11], s[8:9], 2
	s_add_u32 s10, s12, s10
	s_mov_b32 s3, s9
	s_addc_u32 s11, s13, s11
	s_lshl_b64 s[8:9], s[2:3], 2
	s_add_u32 s8, s12, s8
	s_addc_u32 s9, s13, s9
	s_load_dword s5, s[10:11], 0x0
	s_load_dword s16, s[8:9], 0x0
	s_waitcnt lgkmcnt(0)
	s_sub_i32 s5, s5, s16
	s_cmp_eq_u32 s5, 1
	s_cselect_b64 s[8:9], -1, 0
	s_andn2_b64 vcc, exec, s[6:7]
	s_cbranch_vccnz .LBB1232_3
.LBB1232_2:
	s_mov_b32 s3, 0
	s_mov_b64 s[8:9], -1
.LBB1232_3:
	s_andn2_b64 vcc, exec, s[8:9]
	s_cbranch_vccnz .LBB1232_18
; %bb.4:
	s_load_dwordx2 s[6:7], s[0:1], 0x28
	s_lshl_b64 s[16:17], s[2:3], 2
	s_waitcnt lgkmcnt(0)
	s_add_u32 s6, s6, s16
	s_addc_u32 s7, s7, s17
	s_load_dword s33, s[6:7], 0x0
	s_lshl_b32 s5, s28, 8
	s_waitcnt lgkmcnt(0)
	s_cmp_ge_i32 s5, s33
	s_cbranch_scc1 .LBB1232_18
; %bb.5:
	s_add_i32 s9, s33, 31
	s_load_dwordx2 s[6:7], s[0:1], 0x20
	s_load_dword s8, s[0:1], 0x38
	s_ashr_i32 s10, s9, 31
	v_and_b32_e32 v1, 0xcf, v0
	s_lshr_b32 s10, s10, 27
	v_add_u32_e32 v1, s5, v1
	s_add_i32 s9, s9, s10
	v_ashrrev_i32_e32 v2, 31, v1
	s_ashr_i32 s18, s9, 5
	v_lshrrev_b32_e32 v6, 27, v2
	s_add_i32 s18, s18, -1
	v_add_u32_e32 v2, v1, v6
	v_or_b32_e32 v4, 16, v1
	s_waitcnt lgkmcnt(0)
	s_mul_i32 s8, s2, s8
	s_mov_b32 s9, 0
	v_ashrrev_i32_e32 v2, 5, v2
	v_mov_b32_e32 v7, s18
	v_cmp_gt_i32_e32 vcc, s33, v1
	v_add_u32_e32 v5, v4, v6
	s_lshl_b64 s[8:9], s[8:9], 2
	v_cndmask_b32_e32 v2, v7, v2, vcc
	v_ashrrev_i32_e32 v5, 5, v5
	v_cmp_gt_i32_e32 vcc, s33, v4
	s_add_u32 s6, s6, s8
	s_addc_u32 s7, s7, s9
	v_cndmask_b32_e32 v4, v7, v5, vcc
	v_ashrrev_i32_e32 v5, 31, v4
	v_lshl_add_u64 v[10:11], v[4:5], 2, s[6:7]
	v_or_b32_e32 v4, 32, v1
	v_add_u32_e32 v5, v4, v6
	v_ashrrev_i32_e32 v5, 5, v5
	v_cmp_gt_i32_e32 vcc, s33, v4
	v_or_b32_e32 v1, 48, v1
	v_ashrrev_i32_e32 v3, 31, v2
	v_cndmask_b32_e32 v4, v7, v5, vcc
	v_ashrrev_i32_e32 v5, 31, v4
	v_lshl_add_u64 v[12:13], v[4:5], 2, s[6:7]
	v_add_u32_e32 v4, v1, v6
	v_ashrrev_i32_e32 v4, 5, v4
	v_cmp_gt_i32_e32 vcc, s33, v1
	v_lshl_add_u64 v[2:3], v[2:3], 2, s[6:7]
	s_load_dwordx4 s[8:11], s[0:1], 0x8
	v_cndmask_b32_e32 v4, v7, v4, vcc
	v_ashrrev_i32_e32 v5, 31, v4
	v_lshl_add_u64 v[14:15], v[4:5], 2, s[6:7]
	global_load_dword v4, v[2:3], off
	global_load_dword v8, v[10:11], off
	;; [unrolled: 1-line block ×4, first 2 shown]
	s_andn2_b64 vcc, exec, s[14:15]
	s_cbranch_vccnz .LBB1232_8
; %bb.6:
	s_add_u32 s12, s12, s16
	s_addc_u32 s13, s13, s17
	s_load_dword s14, s[12:13], 0x0
	s_branch .LBB1232_9
.LBB1232_7:
	s_mov_b64 s[8:9], 0
	s_branch .LBB1232_2
.LBB1232_8:
	s_mov_b32 s14, s2
.LBB1232_9:
	s_load_dwordx4 s[44:47], s[0:1], 0x48
	v_lshrrev_b32_e32 v29, 6, v0
	v_bfe_u32 v42, v0, 4, 2
	v_lshl_or_b32 v2, v29, 2, v42
	v_and_b32_e32 v28, 15, v0
	v_lshlrev_b32_e32 v1, 3, v28
	v_cmp_gt_u32_e32 vcc, 5, v2
	v_cmp_gt_u32_e64 s[30:31], 8, v28
	v_and_b32_e32 v43, 63, v0
	s_mul_i32 s48, s4, 5
	s_and_b64 s[16:17], s[30:31], vcc
	v_lshlrev_b32_e32 v26, 1, v1
	v_lshlrev_b32_e32 v1, 4, v0
	s_and_saveexec_b64 s[12:13], s[16:17]
	s_cbranch_execz .LBB1232_11
; %bb.10:
	s_load_dwordx2 s[16:17], s[0:1], 0x0
	s_waitcnt lgkmcnt(0)
	s_ashr_i32 s15, s44, 31
	s_mul_hi_u32 s19, s14, s44
	s_mul_i32 s15, s14, s15
	s_add_i32 s15, s19, s15
	s_mul_i32 s14, s14, s44
	s_lshl_b64 s[14:15], s[14:15], 1
	s_add_u32 s14, s16, s14
	v_add_lshl_u32 v10, v2, s48, 6
	s_addc_u32 s15, s17, s15
	v_ashrrev_i32_e32 v11, 31, v10
	v_lshl_add_u64 v[10:11], v[10:11], 1, s[14:15]
	v_mov_b32_e32 v27, 0
	v_lshl_add_u64 v[10:11], v[10:11], 0, v[26:27]
	global_load_dwordx4 v[10:13], v[10:11], off
	v_lshlrev_b32_e32 v5, 8, v28
	v_lshlrev_b32_e32 v2, 5, v2
	v_and_b32_e32 v3, 16, v1
	v_and_b32_e32 v5, 0xe00, v5
	v_or3_b32 v2, v5, v2, v3
	s_waitcnt vmcnt(0)
	ds_write_b128 v2, v[10:13]
.LBB1232_11:
	s_or_b64 exec, exec, s[12:13]
	s_waitcnt lgkmcnt(0)
	s_mul_i32 s4, s4, s46
	s_add_u32 s8, s8, s4
	s_addc_u32 s9, s9, 0
	v_mov_b32_e32 v31, 0
	v_mov_b64_e32 v[2:3], s[8:9]
	v_and_b32_e32 v14, 48, v0
	s_waitcnt vmcnt(3)
	v_mad_i64_i32 v[10:11], s[8:9], v4, s45, v[2:3]
	v_lshlrev_b32_e32 v4, 4, v28
	v_mov_b32_e32 v5, v31
	v_lshlrev_b32_e32 v30, 5, v14
	v_lshl_add_u64 v[10:11], v[10:11], 0, v[4:5]
	v_lshl_add_u64 v[10:11], v[10:11], 0, v[30:31]
	s_load_dword s29, s[0:1], 0x98
	s_load_dwordx4 s[40:43], s[0:1], 0x80
	s_waitcnt lgkmcnt(0)
	s_barrier
	global_load_dwordx4 v[10:13], v[10:11], off
	s_waitcnt vmcnt(3)
	v_mad_i64_i32 v[8:9], s[8:9], v8, s45, v[2:3]
	s_ashr_i32 s8, s5, 31
	v_or_b32_e32 v20, s5, v14
	s_lshr_b32 s12, s8, 27
	v_add_u32_e32 v14, s12, v20
	v_ashrrev_i32_e32 v14, 5, v14
	v_mov_b32_e32 v33, s18
	v_cmp_gt_i32_e32 vcc, s33, v20
	v_or_b32_e32 v18, 0x100, v4
	v_mov_b32_e32 v19, v31
	v_cndmask_b32_e32 v14, v33, v14, vcc
	v_ashrrev_i32_e32 v15, 31, v14
	v_lshl_add_u64 v[8:9], v[8:9], 0, v[18:19]
	v_lshl_add_u64 v[14:15], v[14:15], 2, s[6:7]
	;; [unrolled: 1-line block ×3, first 2 shown]
	global_load_dword v50, v[14:15], off
	v_or_b32_e32 v32, 64, v20
	global_load_dwordx4 v[14:17], v[8:9], off
	v_mul_lo_u16_e32 v8, 52, v28
	v_mov_b32_e32 v9, 5
	v_mul_lo_u16_sdwa v8, v8, v9 dst_sel:DWORD dst_unused:UNUSED_PAD src0_sel:BYTE_1 src1_sel:DWORD
	v_sub_u16_e32 v8, v28, v8
	v_or_b32_e32 v34, 0x80, v20
	v_or_b32_e32 v35, 0xc0, v20
	v_lshlrev_b32_sdwa v20, v9, v8 dst_sel:DWORD dst_unused:UNUSED_PAD src0_sel:DWORD src1_sel:BYTE_0
	s_waitcnt vmcnt(4)
	v_mad_i64_i32 v[8:9], s[8:9], v7, s45, v[2:3]
	v_lshl_add_u64 v[4:5], v[8:9], 0, v[4:5]
	v_lshl_add_u64 v[4:5], v[4:5], 0, v[30:31]
	global_load_dwordx4 v[22:25], v[4:5], off
	v_lshl_add_u32 v4, v42, 9, v20
	s_waitcnt vmcnt(4)
	v_mad_i64_i32 v[20:21], s[8:9], v6, s45, v[2:3]
	v_add_u32_e32 v36, s12, v32
	v_add_u32_e32 v37, s12, v34
	v_lshl_add_u64 v[18:19], v[20:21], 0, v[18:19]
	v_ashrrev_i32_e32 v20, 5, v36
	v_cmp_gt_i32_e32 vcc, s33, v32
	v_ashrrev_i32_e32 v21, 5, v37
	v_lshl_add_u64 v[18:19], v[18:19], 0, v[30:31]
	v_cndmask_b32_e32 v32, v33, v20, vcc
	v_cmp_gt_i32_e32 vcc, s33, v34
	ds_read_b128 v[6:9], v4
	ds_read_b128 v[2:5], v4 offset:16
	v_cndmask_b32_e32 v34, v33, v21, vcc
	global_load_dwordx4 v[18:21], v[18:19], off
	v_add_u32_e32 v38, s12, v35
	v_ashrrev_i32_e32 v36, 5, v38
	v_cmp_gt_i32_e32 vcc, s33, v35
	v_ashrrev_i32_e32 v35, 31, v34
	v_lshl_add_u64 v[44:45], v[34:35], 2, s[6:7]
	v_cndmask_b32_e32 v36, v33, v36, vcc
	v_ashrrev_i32_e32 v33, 31, v32
	v_lshl_add_u64 v[40:41], v[32:33], 2, s[6:7]
	s_add_u32 s8, s10, s4
	v_lshlrev_b32_e32 v27, 5, v28
	s_addc_u32 s9, s11, 0
	v_and_b32_e32 v30, 16, v0
	s_mov_b32 s44, 0x7060302
	v_lshl_add_u64 v[38:39], s[8:9], 0, v[30:31]
	v_lshl_or_b32 v30, v29, 9, v27
	v_lshl_add_u64 v[30:31], v[38:39], 0, v[30:31]
	v_ashrrev_i32_e32 v37, 31, v36
	v_lshl_add_u64 v[36:37], v[36:37], 2, s[6:7]
	s_load_dword s13, s[0:1], 0x1c
	s_mov_b32 s46, 0xff7fffff
	s_waitcnt vmcnt(4)
	v_cvt_pk_f32_fp8_e32 v[32:33], v10
	v_cvt_pk_f32_fp8_sdwa v[34:35], v10 src0_sel:WORD_1
	v_cvt_pk_f32_fp8_e32 v[38:39], v11
	v_cvt_pk_f32_fp8_sdwa v[10:11], v11 src0_sel:WORD_1
	v_perm_b32 v32, v33, v32, s44
	v_perm_b32 v33, v35, v34, s44
	;; [unrolled: 1-line block ×4, first 2 shown]
	v_cvt_pk_f32_fp8_e32 v[46:47], v12
	v_cvt_pk_f32_fp8_sdwa v[48:49], v12 src0_sel:WORD_1
	s_waitcnt lgkmcnt(0)
	v_mfma_f32_16x16x16_bf16 v[32:35], v[32:33], v[6:7], 0
	global_load_dword v12, v[40:41], off
	s_nop 0
	global_load_dword v44, v[44:45], off
	s_nop 0
	global_load_dword v45, v[36:37], off
	v_perm_b32 v36, v47, v46, s44
	v_perm_b32 v37, v49, v48, s44
	v_mfma_f32_16x16x16_bf16 v[32:35], v[38:39], v[8:9], v[32:35]
	v_cvt_pk_f32_fp8_e32 v[38:39], v13
	v_cvt_pk_f32_fp8_sdwa v[40:41], v13 src0_sel:WORD_1
	s_waitcnt vmcnt(6)
	v_mad_i64_i32 v[10:11], s[6:7], v50, s45, v[30:31]
	v_perm_b32 v38, v39, v38, s44
	v_perm_b32 v39, v41, v40, s44
	v_mfma_f32_16x16x16_bf16 v[32:35], v[36:37], v[2:3], v[32:35]
	s_waitcnt vmcnt(5)
	v_cvt_pk_f32_fp8_e32 v[36:37], v14
	v_cvt_pk_f32_fp8_sdwa v[40:41], v14 src0_sel:WORD_1
	v_cvt_pk_f32_fp8_e32 v[46:47], v16
	v_mfma_f32_16x16x16_bf16 v[32:35], v[38:39], v[4:5], v[32:35]
	v_cvt_pk_f32_fp8_e32 v[38:39], v15
	v_perm_b32 v36, v37, v36, s44
	v_perm_b32 v37, v41, v40, s44
	v_cvt_pk_f32_fp8_sdwa v[14:15], v15 src0_sel:WORD_1
	v_perm_b32 v40, v39, v38, s44
	v_cvt_pk_f32_fp8_sdwa v[48:49], v16 src0_sel:WORD_1
	v_mfma_f32_16x16x16_bf16 v[36:39], v[36:37], v[6:7], 0
	v_perm_b32 v41, v15, v14, s44
	v_perm_b32 v46, v47, v46, s44
	;; [unrolled: 1-line block ×3, first 2 shown]
	v_cvt_pk_f32_fp8_e32 v[48:49], v17
	v_cvt_pk_f32_fp8_sdwa v[50:51], v17 src0_sel:WORD_1
	v_mfma_f32_16x16x16_bf16 v[14:17], v[40:41], v[8:9], v[36:39]
	s_waitcnt vmcnt(4)
	v_cvt_pk_f32_fp8_sdwa v[40:41], v22 src0_sel:WORD_1
	s_load_dword s4, s[40:41], 0x0
	v_mov_b32_e32 v13, s13
	v_perm_b32 v36, v49, v48, s44
	v_perm_b32 v37, v51, v50, s44
	v_mfma_f32_16x16x16_bf16 v[14:17], v[46:47], v[2:3], v[14:17]
	v_cvt_pk_f32_fp8_e32 v[38:39], v22
	v_cvt_pk_f32_fp8_e32 v[46:47], v24
	v_cvt_pk_f32_fp8_sdwa v[48:49], v24 src0_sel:WORD_1
	v_mfma_f32_16x16x16_bf16 v[14:17], v[36:37], v[4:5], v[14:17]
	v_cvt_pk_f32_fp8_e32 v[36:37], v23
	v_perm_b32 v38, v39, v38, s44
	v_perm_b32 v39, v41, v40, s44
	v_cvt_pk_f32_fp8_sdwa v[22:23], v23 src0_sel:WORD_1
	v_perm_b32 v40, v37, v36, s44
	v_mfma_f32_16x16x16_bf16 v[36:39], v[38:39], v[6:7], 0
	v_perm_b32 v41, v23, v22, s44
	v_perm_b32 v46, v47, v46, s44
	;; [unrolled: 1-line block ×3, first 2 shown]
	v_cvt_pk_f32_fp8_e32 v[48:49], v25
	v_cvt_pk_f32_fp8_sdwa v[24:25], v25 src0_sel:WORD_1
	v_mfma_f32_16x16x16_bf16 v[36:39], v[40:41], v[8:9], v[36:39]
	s_waitcnt lgkmcnt(0)
	v_mul_f32_e32 v50, s4, v13
	v_perm_b32 v40, v49, v48, s44
	v_perm_b32 v41, v25, v24, s44
	v_pk_mul_f32 v[22:23], v[50:51], v[34:35] op_sel_hi:[0,1]
	v_mfma_f32_16x16x16_bf16 v[36:39], v[46:47], v[2:3], v[36:39]
	v_pk_mul_f32 v[34:35], v[50:51], v[32:33] op_sel_hi:[0,1]
	s_waitcnt vmcnt(3)
	v_cvt_pk_f32_fp8_e32 v[24:25], v18
	v_cvt_pk_f32_fp8_sdwa v[32:33], v18 src0_sel:WORD_1
	v_mfma_f32_16x16x16_bf16 v[46:49], v[40:41], v[4:5], v[36:39]
	v_cvt_pk_f32_fp8_e32 v[40:41], v20
	v_perm_b32 v24, v25, v24, s44
	v_perm_b32 v25, v33, v32, s44
	v_cvt_pk_f32_fp8_e32 v[36:37], v19
	v_cvt_pk_f32_fp8_sdwa v[18:19], v19 src0_sel:WORD_1
	v_cvt_pk_f32_fp8_sdwa v[52:53], v20 src0_sel:WORD_1
	v_perm_b32 v32, v37, v36, s44
	v_perm_b32 v33, v19, v18, s44
	v_mfma_f32_16x16x16_bf16 v[36:39], v[24:25], v[6:7], 0
	v_perm_b32 v18, v41, v40, s44
	v_perm_b32 v19, v53, v52, s44
	v_cvt_pk_f32_fp8_e32 v[24:25], v21
	v_cvt_pk_f32_fp8_sdwa v[20:21], v21 src0_sel:WORD_1
	v_mfma_f32_16x16x16_bf16 v[6:9], v[32:33], v[8:9], v[36:39]
	v_pk_mul_f32 v[40:41], v[50:51], v[14:15] op_sel_hi:[0,1]
	v_pk_mul_f32 v[32:33], v[50:51], v[48:49] op_sel_hi:[0,1]
	s_nop 0
	v_pk_mul_f32 v[36:37], v[50:51], v[16:17] op_sel_hi:[0,1]
	v_perm_b32 v16, v25, v24, s44
	v_perm_b32 v17, v21, v20, s44
	v_mfma_f32_16x16x16_bf16 v[6:9], v[18:19], v[2:3], v[6:9]
	v_pk_mul_f32 v[38:39], v[50:51], v[46:47] op_sel_hi:[0,1]
	v_mfma_f32_16x16x16_bf16 v[2:5], v[16:17], v[4:5], v[6:9]
	s_nop 6
	v_pk_mul_f32 v[24:25], v[50:51], v[2:3] op_sel_hi:[0,1]
	v_and_b32_e32 v2, 0xc0, v0
	v_add_u32_e32 v2, s5, v2
	v_lshl_or_b32 v2, v42, 2, v2
	v_pk_mul_f32 v[18:19], v[50:51], v[4:5] op_sel_hi:[0,1]
	v_or_b32_e32 v5, 1, v2
	v_mov_b32_e32 v3, 0xff7fffff
	v_cmp_gt_i32_e64 s[4:5], s33, v2
	v_cmp_gt_i32_e64 s[34:35], s33, v5
	v_or_b32_e32 v6, 3, v2
	v_cndmask_b32_e64 v4, v3, v34, s[4:5]
	v_cndmask_b32_e64 v5, v3, v35, s[34:35]
	v_max3_f32 v4, v4, s46, v5
	v_or_b32_e32 v5, 2, v2
	v_cmp_gt_i32_e64 s[36:37], s33, v5
	v_cmp_gt_i32_e64 s[38:39], s33, v6
	s_nop 0
	v_cndmask_b32_e64 v5, v3, v22, s[36:37]
	v_cndmask_b32_e64 v6, v3, v23, s[38:39]
	v_max3_f32 v4, v4, v5, v6
	v_or_b32_e32 v5, 16, v2
	v_or_b32_e32 v6, 17, v2
	v_cmp_gt_i32_e64 s[24:25], s33, v5
	v_cmp_gt_i32_e64 s[26:27], s33, v6
	s_nop 0
	v_cndmask_b32_e64 v5, v3, v40, s[24:25]
	v_cndmask_b32_e64 v6, v3, v41, s[26:27]
	v_max3_f32 v4, v4, v5, v6
	v_or_b32_e32 v5, 18, v2
	;; [unrolled: 8-line block ×6, first 2 shown]
	v_or_b32_e32 v2, 51, v2
	v_cmp_gt_i32_e32 vcc, s33, v5
	v_cmp_gt_i32_e64 s[6:7], s33, v2
	s_nop 0
	v_cndmask_b32_e32 v5, v3, v18, vcc
	v_cndmask_b32_e64 v2, v3, v19, s[6:7]
	v_max3_f32 v4, v4, v5, v2
	v_mbcnt_lo_u32_b32 v2, -1, 0
	v_mbcnt_hi_u32_b32 v5, -1, v2
	v_and_b32_e32 v2, 64, v5
	v_add_u32_e32 v6, 64, v2
	v_xor_b32_e32 v2, 32, v5
	v_cmp_lt_i32_e64 s[40:41], v2, v6
	s_nop 1
	v_cndmask_b32_e64 v2, v5, v2, s[40:41]
	v_lshlrev_b32_e32 v46, 2, v2
	ds_bpermute_b32 v7, v46, v4
	s_waitcnt vmcnt(2)
	v_mad_i64_i32 v[2:3], s[40:41], v12, s45, v[30:31]
	global_load_dwordx4 v[14:17], v[10:11], off
	s_nop 0
	global_load_dwordx4 v[10:13], v[2:3], off
	v_xor_b32_e32 v3, 16, v5
	v_cmp_lt_i32_e64 s[40:41], v3, v6
	s_waitcnt lgkmcnt(0)
	v_max_f32_e32 v2, v7, v7
	v_max_f32_e32 v2, v4, v2
	v_cndmask_b32_e64 v3, v5, v3, s[40:41]
	v_lshlrev_b32_e32 v47, 2, v3
	ds_bpermute_b32 v3, v47, v2
	s_waitcnt vmcnt(3)
	v_mad_i64_i32 v[20:21], s[40:41], v44, s45, v[30:31]
	s_waitcnt vmcnt(2)
	v_mad_i64_i32 v[30:31], s[40:41], v45, s45, v[30:31]
	s_waitcnt lgkmcnt(0)
	v_max_f32_e32 v3, v3, v3
	v_max_f32_e32 v44, v2, v3
	v_sub_f32_e32 v2, v34, v44
	v_mul_f32_e32 v2, 0x3fb8aa3b, v2
	v_exp_f32_e32 v34, v2
	v_sub_f32_e32 v2, v35, v44
	v_mul_f32_e32 v2, 0x3fb8aa3b, v2
	v_exp_f32_e32 v35, v2
	global_load_dwordx4 v[6:9], v[20:21], off
	global_load_dwordx4 v[2:5], v[30:31], off
	v_sub_f32_e32 v22, v22, v44
	v_mul_f32_e32 v22, 0x3fb8aa3b, v22
	v_sub_f32_e32 v23, v23, v44
	v_exp_f32_e32 v22, v22
	v_mul_f32_e32 v23, 0x3fb8aa3b, v23
	v_exp_f32_e32 v23, v23
	v_cndmask_b32_e64 v20, 0, v34, s[4:5]
	v_add_f32_e32 v30, 0, v20
	v_cndmask_b32_e64 v21, 0, v35, s[34:35]
	v_add_f32_e32 v30, v30, v21
	;; [unrolled: 2-line block ×3, first 2 shown]
	v_cndmask_b32_e64 v35, 0, v23, s[38:39]
	v_sub_f32_e32 v23, v40, v44
	v_sub_f32_e32 v30, v41, v44
	v_mul_f32_e32 v23, 0x3fb8aa3b, v23
	v_mul_f32_e32 v30, 0x3fb8aa3b, v30
	v_exp_f32_e32 v23, v23
	v_exp_f32_e32 v30, v30
	v_add_f32_e32 v31, v22, v35
	v_sub_f32_e32 v32, v32, v44
	v_cndmask_b32_e64 v22, 0, v23, s[24:25]
	v_cndmask_b32_e64 v23, 0, v30, s[26:27]
	v_sub_f32_e32 v30, v36, v44
	v_mul_f32_e32 v30, 0x3fb8aa3b, v30
	v_exp_f32_e32 v30, v30
	v_sub_f32_e32 v36, v37, v44
	v_add_f32_e32 v31, v31, v22
	v_mul_f32_e32 v36, 0x3fb8aa3b, v36
	v_exp_f32_e32 v37, v36
	v_add_f32_e32 v31, v31, v23
	v_cndmask_b32_e64 v36, 0, v30, s[20:21]
	v_add_f32_e32 v30, v31, v36
	v_sub_f32_e32 v31, v38, v44
	v_mul_f32_e32 v31, 0x3fb8aa3b, v31
	v_sub_f32_e32 v38, v39, v44
	v_exp_f32_e32 v31, v31
	v_mul_f32_e32 v38, 0x3fb8aa3b, v38
	v_exp_f32_e32 v38, v38
	v_mul_f32_e32 v32, 0x3fb8aa3b, v32
	v_sub_f32_e32 v33, v33, v44
	v_exp_f32_e32 v32, v32
	v_mul_f32_e32 v33, 0x3fb8aa3b, v33
	v_sub_f32_e32 v24, v24, v44
	v_cndmask_b32_e64 v37, 0, v37, s[22:23]
	v_exp_f32_e32 v33, v33
	v_mul_f32_e32 v24, 0x3fb8aa3b, v24
	v_sub_f32_e32 v25, v25, v44
	v_add_f32_e32 v39, v30, v37
	v_cndmask_b32_e64 v30, 0, v31, s[16:17]
	v_exp_f32_e32 v24, v24
	v_mul_f32_e32 v25, 0x3fb8aa3b, v25
	v_sub_f32_e32 v18, v18, v44
	v_add_f32_e32 v39, v39, v30
	;; [unrolled: 5-line block ×3, first 2 shown]
	v_cndmask_b32_e64 v32, 0, v32, s[12:13]
	v_exp_f32_e32 v18, v18
	v_mul_f32_e32 v19, 0x3fb8aa3b, v19
	v_add_f32_e32 v38, v38, v32
	v_cndmask_b32_e64 v33, 0, v33, s[14:15]
	v_exp_f32_e32 v19, v19
	v_add_f32_e32 v38, v38, v33
	v_cndmask_b32_e64 v24, 0, v24, s[8:9]
	v_add_f32_e32 v38, v38, v24
	v_cndmask_b32_e64 v25, 0, v25, s[10:11]
	v_add_f32_e32 v38, v38, v25
	v_cndmask_b32_e32 v18, 0, v18, vcc
	v_add_f32_e32 v38, v38, v18
	v_cndmask_b32_e64 v19, 0, v19, s[6:7]
	v_add_f32_e32 v38, v38, v19
	ds_bpermute_b32 v39, v46, v38
	v_cmp_gt_u32_e64 s[6:7], 16, v43
	s_waitcnt lgkmcnt(0)
	s_barrier
	v_add_f32_e32 v38, v38, v39
	ds_bpermute_b32 v40, v47, v38
	v_lshlrev_b32_e32 v39, 2, v28
	s_and_saveexec_b64 s[4:5], s[6:7]
	s_cbranch_execz .LBB1232_13
; %bb.12:
	s_waitcnt lgkmcnt(0)
	v_add_f32_e32 v38, v38, v40
	v_lshl_or_b32 v40, v29, 6, v39
	ds_write2st64_b32 v40, v44, v38 offset1:1
.LBB1232_13:
	s_or_b64 exec, exec, s[4:5]
	s_load_dword s8, s[0:1], 0x94
	s_waitcnt lgkmcnt(0)
	s_barrier
	ds_read2_b32 v[40:41], v39 offset1:16
	ds_read2_b32 v[44:45], v39 offset0:32 offset1:48
	ds_read2_b32 v[46:47], v39 offset0:64 offset1:80
	s_movk_i32 s10, 0x7fff
	s_mul_i32 s9, s29, 5
	s_waitcnt lgkmcnt(2)
	v_max3_f32 v38, v40, s46, v41
	s_waitcnt lgkmcnt(1)
	v_max3_f32 v38, v38, v44, v45
	v_sub_f32_e32 v40, v40, v38
	v_mul_f32_e32 v40, 0x3fb8aa3b, v40
	v_exp_f32_e32 v43, v40
	v_sub_f32_e32 v40, v41, v38
	v_mul_f32_e32 v40, 0x3fb8aa3b, v40
	v_exp_f32_e32 v48, v40
	;; [unrolled: 3-line block ×3, first 2 shown]
	ds_read2_b32 v[40:41], v39 offset0:96 offset1:112
	v_sub_f32_e32 v39, v45, v38
	v_mul_f32_e32 v39, 0x3fb8aa3b, v39
	v_exp_f32_e32 v45, v39
	s_waitcnt lgkmcnt(1)
	v_fma_f32 v39, v43, v46, 0
	v_fmac_f32_e32 v39, v48, v47
	s_waitcnt lgkmcnt(0)
	v_fmac_f32_e32 v39, v44, v40
	v_fmac_f32_e32 v39, v45, v41
	v_add_f32_e32 v40, 0x358637bd, v39
	v_div_scale_f32 v41, s[4:5], v40, v40, 1.0
	v_rcp_f32_e32 v46, v41
	s_barrier
	v_fma_f32 v47, -v41, v46, 1.0
	v_fmac_f32_e32 v46, v47, v46
	v_div_scale_f32 v47, vcc, 1.0, v40, 1.0
	v_mul_f32_e32 v49, v47, v46
	v_fma_f32 v50, -v41, v49, v47
	v_fmac_f32_e32 v49, v50, v46
	v_fma_f32 v41, -v41, v49, v47
	v_div_fmas_f32 v41, v41, v46, v49
	v_cmp_eq_u32_e32 vcc, 1, v29
	v_div_fixup_f32 v40, v41, v40, 1.0
	s_nop 0
	v_cndmask_b32_e32 v41, v43, v48, vcc
	v_cmp_eq_u32_e32 vcc, 2, v29
	s_nop 1
	v_cndmask_b32_e32 v41, v41, v44, vcc
	v_cmp_eq_u32_e32 vcc, 3, v29
	s_nop 1
	v_cndmask_b32_e32 v41, v41, v45, vcc
	v_mul_f32_e32 v40, v41, v40
	v_pk_mul_f32 v[20:21], v[40:41], v[20:21] op_sel_hi:[0,1]
	v_pk_mul_f32 v[34:35], v[40:41], v[34:35] op_sel_hi:[0,1]
	v_bfe_u32 v41, v21, 16, 1
	v_bfe_u32 v43, v20, 16, 1
	v_add3_u32 v20, v20, v43, s10
	v_add3_u32 v21, v21, v41, s10
	v_perm_b32 v44, v21, v20, s44
	v_bfe_u32 v20, v35, 16, 1
	v_bfe_u32 v21, v34, 16, 1
	v_add3_u32 v21, v34, v21, s10
	v_add3_u32 v20, v35, v20, s10
	v_perm_b32 v45, v20, v21, s44
	v_lshlrev_b32_e32 v20, 3, v42
	v_lshlrev_b32_e32 v21, 11, v29
	v_pk_mul_f32 v[22:23], v[40:41], v[22:23] op_sel_hi:[0,1]
	v_or3_b32 v20, v21, v27, v20
	v_bfe_u32 v21, v23, 16, 1
	v_bfe_u32 v29, v22, 16, 1
	v_pk_mul_f32 v[34:35], v[40:41], v[36:37] op_sel_hi:[0,1]
	v_add3_u32 v22, v22, v29, s10
	v_add3_u32 v21, v23, v21, s10
	v_perm_b32 v22, v21, v22, s44
	v_bfe_u32 v21, v35, 16, 1
	v_bfe_u32 v23, v34, 16, 1
	v_add3_u32 v23, v34, v23, s10
	v_add3_u32 v21, v35, v21, s10
	v_pk_mul_f32 v[30:31], v[40:41], v[30:31] op_sel_hi:[0,1]
	v_perm_b32 v23, v21, v23, s44
	v_bfe_u32 v21, v31, 16, 1
	v_bfe_u32 v29, v30, 16, 1
	ds_write2st64_b64 v20, v[44:45], v[22:23] offset1:1
	v_pk_mul_f32 v[22:23], v[40:41], v[32:33] op_sel_hi:[0,1]
	v_add3_u32 v29, v30, v29, s10
	v_add3_u32 v21, v31, v21, s10
	v_perm_b32 v30, v21, v29, s44
	v_bfe_u32 v21, v23, 16, 1
	v_bfe_u32 v29, v22, 16, 1
	v_add3_u32 v22, v22, v29, s10
	v_add3_u32 v21, v23, v21, s10
	v_perm_b32 v31, v21, v22, s44
	v_pk_mul_f32 v[22:23], v[40:41], v[24:25] op_sel_hi:[0,1]
	v_bfe_u32 v21, v23, 16, 1
	v_bfe_u32 v24, v22, 16, 1
	v_pk_mul_f32 v[18:19], v[40:41], v[18:19] op_sel_hi:[0,1]
	v_add3_u32 v22, v22, v24, s10
	v_add3_u32 v21, v23, v21, s10
	v_perm_b32 v22, v21, v22, s44
	v_bfe_u32 v21, v19, 16, 1
	v_bfe_u32 v23, v18, 16, 1
	v_add3_u32 v18, v18, v23, s10
	v_add3_u32 v19, v19, v21, s10
	v_perm_b32 v23, v19, v18, s44
	v_cmp_gt_u32_e32 vcc, 5, v0
	ds_write2st64_b64 v20, v[30:31], v[22:23] offset0:2 offset1:3
	s_and_saveexec_b64 s[4:5], vcc
	s_cbranch_execz .LBB1232_15
; %bb.14:
	s_mov_b32 s49, 0
	v_mov_b32_e32 v29, 0
	v_lshl_add_u64 v[18:19], s[48:49], 0, v[28:29]
	v_mov_b32_e32 v21, s9
	v_mad_u64_u32 v[18:19], s[16:17], s2, v21, v[18:19]
	s_mul_i32 s3, s3, s9
	v_mov_b32_e32 v28, s28
	s_load_dwordx4 s[12:15], s[0:1], 0x58
	v_add_u32_e32 v21, s3, v19
	v_mad_u64_u32 v[18:19], s[16:17], v18, s8, v[28:29]
	v_mov_b32_e32 v22, v19
	v_mad_u64_u32 v[22:23], s[16:17], v21, s8, v[22:23]
	v_mov_b32_e32 v19, v22
	v_lshlrev_b64 v[18:19], 2, v[18:19]
	s_waitcnt lgkmcnt(0)
	v_lshl_add_u64 v[22:23], s[14:15], 0, v[18:19]
	v_lshl_add_u64 v[18:19], s[12:13], 0, v[18:19]
	global_store_dword v[22:23], v38, off
	global_store_dword v[18:19], v39, off
.LBB1232_15:
	s_or_b64 exec, exec, s[4:5]
	s_waitcnt vmcnt(3)
	v_cvt_pk_f32_fp8_e32 v[18:19], v14
	v_cvt_pk_f32_fp8_sdwa v[22:23], v14 src0_sel:WORD_1
	s_mov_b32 s4, 0x7060302
	v_lshl_or_b32 v14, v42, 9, v27
	s_waitcnt lgkmcnt(0)
	s_barrier
	v_perm_b32 v18, v19, v18, s4
	v_perm_b32 v19, v23, v22, s4
	v_cvt_pk_f32_fp8_e32 v[28:29], v15
	ds_read_b128 v[22:25], v14
	v_cvt_pk_f32_fp8_sdwa v[36:37], v15 src0_sel:WORD_1
	s_load_dword s12, s[42:43], 0x0
	v_perm_b32 v38, v29, v28, s4
	ds_read_b128 v[28:31], v14 offset:16
	v_perm_b32 v39, v37, v36, s4
	s_waitcnt lgkmcnt(0)
	v_mfma_f32_16x16x16_bf16 v[32:35], v[18:19], v[22:23], 0
	v_cvt_pk_f32_fp8_e32 v[18:19], v16
	v_cvt_pk_f32_fp8_sdwa v[36:37], v16 src0_sel:WORD_1
	v_cmp_gt_u32_e32 vcc, 64, v0
	v_mfma_f32_16x16x16_bf16 v[22:25], v[38:39], v[24:25], v[32:35]
	v_perm_b32 v18, v19, v18, s4
	v_perm_b32 v19, v37, v36, s4
	s_waitcnt vmcnt(2)
	v_cvt_pk_f32_fp8_sdwa v[36:37], v10 src0_sel:WORD_1
	v_cvt_pk_f32_fp8_e32 v[32:33], v17
	v_cvt_pk_f32_fp8_sdwa v[16:17], v17 src0_sel:WORD_1
	v_cvt_pk_f32_fp8_e32 v[34:35], v10
	s_mov_b32 s3, 0
	v_perm_b32 v32, v33, v32, s4
	v_perm_b32 v33, v17, v16, s4
	v_mfma_f32_16x16x16_bf16 v[16:19], v[18:19], v[28:29], v[22:25]
	v_perm_b32 v34, v35, v34, s4
	v_perm_b32 v35, v37, v36, s4
	v_cvt_pk_f32_fp8_e32 v[28:29], v11
	ds_read_b128 v[22:25], v14 offset:2048
	v_cvt_pk_f32_fp8_sdwa v[10:11], v11 src0_sel:WORD_1
	v_mfma_f32_16x16x16_bf16 v[16:19], v[32:33], v[30:31], v[16:19]
	v_perm_b32 v32, v29, v28, s4
	ds_read_b128 v[28:31], v14 offset:2064
	v_perm_b32 v33, v11, v10, s4
	s_waitcnt lgkmcnt(1)
	v_mfma_f32_16x16x16_bf16 v[16:19], v[34:35], v[22:23], v[16:19]
	v_cvt_pk_f32_fp8_e32 v[10:11], v12
	v_cvt_pk_f32_fp8_sdwa v[22:23], v12 src0_sel:WORD_1
	v_mov_b32_e32 v27, 0
	v_mfma_f32_16x16x16_bf16 v[16:19], v[32:33], v[24:25], v[16:19]
	v_cvt_pk_f32_fp8_e32 v[24:25], v13
	v_perm_b32 v10, v11, v10, s4
	v_perm_b32 v11, v23, v22, s4
	v_cvt_pk_f32_fp8_sdwa v[12:13], v13 src0_sel:WORD_1
	v_perm_b32 v22, v25, v24, s4
	s_waitcnt vmcnt(1)
	v_cvt_pk_f32_fp8_e32 v[24:25], v6
	v_cvt_pk_f32_fp8_sdwa v[32:33], v6 src0_sel:WORD_1
	v_perm_b32 v23, v13, v12, s4
	s_waitcnt lgkmcnt(0)
	v_mfma_f32_16x16x16_bf16 v[10:13], v[10:11], v[28:29], v[16:19]
	v_perm_b32 v28, v25, v24, s4
	v_perm_b32 v29, v33, v32, s4
	v_cvt_pk_f32_fp8_e32 v[24:25], v7
	ds_read_b128 v[16:19], v14 offset:4096
	v_cvt_pk_f32_fp8_sdwa v[6:7], v7 src0_sel:WORD_1
	v_mfma_f32_16x16x16_bf16 v[10:13], v[22:23], v[30:31], v[10:13]
	v_perm_b32 v30, v25, v24, s4
	ds_read_b128 v[22:25], v14 offset:4112
	v_perm_b32 v31, v7, v6, s4
	s_waitcnt lgkmcnt(1)
	v_mfma_f32_16x16x16_bf16 v[10:13], v[28:29], v[16:17], v[10:13]
	v_cvt_pk_f32_fp8_e32 v[6:7], v8
	v_cvt_pk_f32_fp8_sdwa v[16:17], v8 src0_sel:WORD_1
	s_waitcnt vmcnt(0)
	v_cvt_pk_f32_fp8_sdwa v[28:29], v2 src0_sel:WORD_1
	v_mfma_f32_16x16x16_bf16 v[10:13], v[30:31], v[18:19], v[10:13]
	v_cvt_pk_f32_fp8_e32 v[18:19], v9
	v_perm_b32 v6, v7, v6, s4
	v_perm_b32 v7, v17, v16, s4
	v_cvt_pk_f32_fp8_sdwa v[8:9], v9 src0_sel:WORD_1
	v_perm_b32 v16, v19, v18, s4
	v_cvt_pk_f32_fp8_e32 v[18:19], v2
	v_perm_b32 v17, v9, v8, s4
	s_waitcnt lgkmcnt(0)
	v_mfma_f32_16x16x16_bf16 v[6:9], v[6:7], v[22:23], v[10:13]
	v_perm_b32 v18, v19, v18, s4
	v_perm_b32 v19, v29, v28, s4
	v_cvt_pk_f32_fp8_e32 v[22:23], v3
	ds_read_b128 v[10:13], v14 offset:6144
	v_cvt_pk_f32_fp8_sdwa v[2:3], v3 src0_sel:WORD_1
	v_mfma_f32_16x16x16_bf16 v[6:9], v[16:17], v[24:25], v[6:9]
	v_perm_b32 v22, v23, v22, s4
	ds_read_b128 v[14:17], v14 offset:6160
	v_perm_b32 v23, v3, v2, s4
	s_waitcnt lgkmcnt(1)
	v_mfma_f32_16x16x16_bf16 v[6:9], v[18:19], v[10:11], v[6:9]
	v_cvt_pk_f32_fp8_e32 v[2:3], v4
	v_cvt_pk_f32_fp8_sdwa v[10:11], v4 src0_sel:WORD_1
	s_waitcnt lgkmcnt(0)
	v_mfma_f32_16x16x16_bf16 v[6:9], v[22:23], v[12:13], v[6:9]
	v_perm_b32 v2, v3, v2, s4
	v_perm_b32 v3, v11, v10, s4
	v_cvt_pk_f32_fp8_e32 v[10:11], v5
	v_cvt_pk_f32_fp8_sdwa v[4:5], v5 src0_sel:WORD_1
	s_barrier
	v_perm_b32 v10, v11, v10, s4
	v_perm_b32 v11, v5, v4, s4
	v_mfma_f32_16x16x16_bf16 v[2:5], v[2:3], v[14:15], v[6:9]
	s_nop 0
	v_mfma_f32_16x16x16_bf16 v[2:5], v[10:11], v[16:17], v[2:5]
	s_nop 6
	v_pk_mul_f32 v[2:3], v[2:3], s[12:13] op_sel_hi:[1,0]
	v_pk_mul_f32 v[4:5], v[4:5], s[12:13] op_sel_hi:[1,0]
	v_bfe_u32 v6, v3, 16, 1
	v_bfe_u32 v7, v2, 16, 1
	v_add3_u32 v2, v2, v7, s10
	v_add3_u32 v3, v3, v6, s10
	v_perm_b32 v2, v3, v2, s4
	v_bfe_u32 v3, v5, 16, 1
	v_bfe_u32 v6, v4, 16, 1
	v_add3_u32 v4, v4, v6, s10
	v_add3_u32 v3, v5, v3, s10
	v_perm_b32 v3, v3, v4, s4
	s_and_b64 s[4:5], vcc, s[30:31]
	ds_write_b64 v20, v[2:3]
	s_waitcnt lgkmcnt(0)
	s_barrier
	s_and_saveexec_b64 s[10:11], s[4:5]
	s_cbranch_execz .LBB1232_18
; %bb.16:
	s_load_dwordx2 s[4:5], s[0:1], 0x68
	s_lshl_b32 s0, s8, 6
	s_mul_i32 s1, s9, s2
	s_mul_hi_u32 s9, s1, s0
	s_mul_i32 s8, s1, s0
	v_lshlrev_b32_e32 v0, 10, v0
	s_lshl_b64 s[8:9], s[8:9], 1
	v_and_b32_e32 v0, 0x1800, v0
	v_lshlrev_b32_e32 v2, 5, v42
	v_and_b32_e32 v1, 16, v1
	s_waitcnt lgkmcnt(0)
	s_add_u32 s1, s4, s8
	v_or3_b32 v2, v0, v2, v1
	s_addc_u32 s4, s5, s9
	s_lshl_b32 s2, s28, 6
	s_lshl_b64 s[2:3], s[2:3], 1
	ds_read_b128 v[4:7], v2
	s_add_u32 s2, s1, s2
	s_addc_u32 s3, s4, s3
	v_add_u32_e32 v3, s48, v42
	v_lshl_add_u64 v[0:1], s[2:3], 0, v[26:27]
	v_mad_u64_u32 v[8:9], s[2:3], v3, s0, 0
	v_lshl_add_u64 v[8:9], v[8:9], 1, v[0:1]
	s_waitcnt lgkmcnt(0)
	global_store_dwordx4 v[8:9], v[4:7], off
	s_and_b64 exec, exec, s[6:7]
	s_cbranch_execz .LBB1232_18
; %bb.17:
	ds_read_b128 v[2:5], v2 offset:128
	v_add3_u32 v6, s48, v42, 4
	v_mad_u64_u32 v[6:7], s[0:1], v6, s0, 0
	v_lshl_add_u64 v[0:1], v[6:7], 1, v[0:1]
	s_waitcnt lgkmcnt(0)
	global_store_dwordx4 v[0:1], v[2:5], off
.LBB1232_18:
	s_endpgm
	.section	.rodata,"a",@progbits
	.p2align	6, 0x0
	.amdhsa_kernel _Z39paged_attention_ll4mi_QKV_mfma16_kernelI14__hip_bfloat16hLN4vllm18Fp8KVCacheDataTypeE1ES0_Li32ELi64ELi256ELb0ELi5EEvPKT_PKT0_S8_ifPKiSA_SA_iPKfiiiPfSD_PS3_PT2_iSC_SC_
		.amdhsa_group_segment_fixed_size 8192
		.amdhsa_private_segment_fixed_size 0
		.amdhsa_kernarg_size 400
		.amdhsa_user_sgpr_count 2
		.amdhsa_user_sgpr_dispatch_ptr 0
		.amdhsa_user_sgpr_queue_ptr 0
		.amdhsa_user_sgpr_kernarg_segment_ptr 1
		.amdhsa_user_sgpr_dispatch_id 0
		.amdhsa_user_sgpr_kernarg_preload_length 0
		.amdhsa_user_sgpr_kernarg_preload_offset 0
		.amdhsa_user_sgpr_private_segment_size 0
		.amdhsa_uses_dynamic_stack 0
		.amdhsa_enable_private_segment 0
		.amdhsa_system_sgpr_workgroup_id_x 1
		.amdhsa_system_sgpr_workgroup_id_y 1
		.amdhsa_system_sgpr_workgroup_id_z 1
		.amdhsa_system_sgpr_workgroup_info 0
		.amdhsa_system_vgpr_workitem_id 0
		.amdhsa_next_free_vgpr 54
		.amdhsa_next_free_sgpr 50
		.amdhsa_accum_offset 56
		.amdhsa_reserve_vcc 1
		.amdhsa_float_round_mode_32 0
		.amdhsa_float_round_mode_16_64 0
		.amdhsa_float_denorm_mode_32 3
		.amdhsa_float_denorm_mode_16_64 3
		.amdhsa_dx10_clamp 1
		.amdhsa_ieee_mode 1
		.amdhsa_fp16_overflow 0
		.amdhsa_tg_split 0
		.amdhsa_exception_fp_ieee_invalid_op 0
		.amdhsa_exception_fp_denorm_src 0
		.amdhsa_exception_fp_ieee_div_zero 0
		.amdhsa_exception_fp_ieee_overflow 0
		.amdhsa_exception_fp_ieee_underflow 0
		.amdhsa_exception_fp_ieee_inexact 0
		.amdhsa_exception_int_div_zero 0
	.end_amdhsa_kernel
	.section	.text._Z39paged_attention_ll4mi_QKV_mfma16_kernelI14__hip_bfloat16hLN4vllm18Fp8KVCacheDataTypeE1ES0_Li32ELi64ELi256ELb0ELi5EEvPKT_PKT0_S8_ifPKiSA_SA_iPKfiiiPfSD_PS3_PT2_iSC_SC_,"axG",@progbits,_Z39paged_attention_ll4mi_QKV_mfma16_kernelI14__hip_bfloat16hLN4vllm18Fp8KVCacheDataTypeE1ES0_Li32ELi64ELi256ELb0ELi5EEvPKT_PKT0_S8_ifPKiSA_SA_iPKfiiiPfSD_PS3_PT2_iSC_SC_,comdat
.Lfunc_end1232:
	.size	_Z39paged_attention_ll4mi_QKV_mfma16_kernelI14__hip_bfloat16hLN4vllm18Fp8KVCacheDataTypeE1ES0_Li32ELi64ELi256ELb0ELi5EEvPKT_PKT0_S8_ifPKiSA_SA_iPKfiiiPfSD_PS3_PT2_iSC_SC_, .Lfunc_end1232-_Z39paged_attention_ll4mi_QKV_mfma16_kernelI14__hip_bfloat16hLN4vllm18Fp8KVCacheDataTypeE1ES0_Li32ELi64ELi256ELb0ELi5EEvPKT_PKT0_S8_ifPKiSA_SA_iPKfiiiPfSD_PS3_PT2_iSC_SC_
                                        ; -- End function
	.section	.AMDGPU.csdata,"",@progbits
; Kernel info:
; codeLenInByte = 4928
; NumSgprs: 56
; NumVgprs: 54
; NumAgprs: 0
; TotalNumVgprs: 54
; ScratchSize: 0
; MemoryBound: 0
; FloatMode: 240
; IeeeMode: 1
; LDSByteSize: 8192 bytes/workgroup (compile time only)
; SGPRBlocks: 6
; VGPRBlocks: 6
; NumSGPRsForWavesPerEU: 56
; NumVGPRsForWavesPerEU: 54
; AccumOffset: 56
; Occupancy: 8
; WaveLimiterHint : 1
; COMPUTE_PGM_RSRC2:SCRATCH_EN: 0
; COMPUTE_PGM_RSRC2:USER_SGPR: 2
; COMPUTE_PGM_RSRC2:TRAP_HANDLER: 0
; COMPUTE_PGM_RSRC2:TGID_X_EN: 1
; COMPUTE_PGM_RSRC2:TGID_Y_EN: 1
; COMPUTE_PGM_RSRC2:TGID_Z_EN: 1
; COMPUTE_PGM_RSRC2:TIDIG_COMP_CNT: 0
; COMPUTE_PGM_RSRC3_GFX90A:ACCUM_OFFSET: 13
; COMPUTE_PGM_RSRC3_GFX90A:TG_SPLIT: 0
	.section	.text._Z39paged_attention_ll4mi_QKV_mfma16_kernelI14__hip_bfloat16hLN4vllm18Fp8KVCacheDataTypeE1ES0_Li32ELi64ELi256ELb0ELi6EEvPKT_PKT0_S8_ifPKiSA_SA_iPKfiiiPfSD_PS3_PT2_iSC_SC_,"axG",@progbits,_Z39paged_attention_ll4mi_QKV_mfma16_kernelI14__hip_bfloat16hLN4vllm18Fp8KVCacheDataTypeE1ES0_Li32ELi64ELi256ELb0ELi6EEvPKT_PKT0_S8_ifPKiSA_SA_iPKfiiiPfSD_PS3_PT2_iSC_SC_,comdat
	.protected	_Z39paged_attention_ll4mi_QKV_mfma16_kernelI14__hip_bfloat16hLN4vllm18Fp8KVCacheDataTypeE1ES0_Li32ELi64ELi256ELb0ELi6EEvPKT_PKT0_S8_ifPKiSA_SA_iPKfiiiPfSD_PS3_PT2_iSC_SC_ ; -- Begin function _Z39paged_attention_ll4mi_QKV_mfma16_kernelI14__hip_bfloat16hLN4vllm18Fp8KVCacheDataTypeE1ES0_Li32ELi64ELi256ELb0ELi6EEvPKT_PKT0_S8_ifPKiSA_SA_iPKfiiiPfSD_PS3_PT2_iSC_SC_
	.globl	_Z39paged_attention_ll4mi_QKV_mfma16_kernelI14__hip_bfloat16hLN4vllm18Fp8KVCacheDataTypeE1ES0_Li32ELi64ELi256ELb0ELi6EEvPKT_PKT0_S8_ifPKiSA_SA_iPKfiiiPfSD_PS3_PT2_iSC_SC_
	.p2align	8
	.type	_Z39paged_attention_ll4mi_QKV_mfma16_kernelI14__hip_bfloat16hLN4vllm18Fp8KVCacheDataTypeE1ES0_Li32ELi64ELi256ELb0ELi6EEvPKT_PKT0_S8_ifPKiSA_SA_iPKfiiiPfSD_PS3_PT2_iSC_SC_,@function
_Z39paged_attention_ll4mi_QKV_mfma16_kernelI14__hip_bfloat16hLN4vllm18Fp8KVCacheDataTypeE1ES0_Li32ELi64ELi256ELb0ELi6EEvPKT_PKT0_S8_ifPKiSA_SA_iPKfiiiPfSD_PS3_PT2_iSC_SC_: ; @_Z39paged_attention_ll4mi_QKV_mfma16_kernelI14__hip_bfloat16hLN4vllm18Fp8KVCacheDataTypeE1ES0_Li32ELi64ELi256ELb0ELi6EEvPKT_PKT0_S8_ifPKiSA_SA_iPKfiiiPfSD_PS3_PT2_iSC_SC_
; %bb.0:
	s_load_dwordx2 s[12:13], s[0:1], 0x30
	s_mov_b32 s28, s3
	s_mov_b64 s[6:7], 0
	s_waitcnt lgkmcnt(0)
	s_cmp_lg_u64 s[12:13], 0
	s_cselect_b64 s[14:15], -1, 0
	s_and_b64 vcc, exec, s[14:15]
	s_cbranch_vccz .LBB1233_7
; %bb.1:
	s_add_i32 s8, s2, 1
	s_mov_b32 s9, 0
	s_lshl_b64 s[10:11], s[8:9], 2
	s_add_u32 s10, s12, s10
	s_mov_b32 s3, s9
	s_addc_u32 s11, s13, s11
	s_lshl_b64 s[8:9], s[2:3], 2
	s_add_u32 s8, s12, s8
	s_addc_u32 s9, s13, s9
	s_load_dword s5, s[10:11], 0x0
	s_load_dword s16, s[8:9], 0x0
	s_waitcnt lgkmcnt(0)
	s_sub_i32 s5, s5, s16
	s_cmp_eq_u32 s5, 1
	s_cselect_b64 s[8:9], -1, 0
	s_andn2_b64 vcc, exec, s[6:7]
	s_cbranch_vccnz .LBB1233_3
.LBB1233_2:
	s_mov_b32 s3, 0
	s_mov_b64 s[8:9], -1
.LBB1233_3:
	s_andn2_b64 vcc, exec, s[8:9]
	s_cbranch_vccnz .LBB1233_18
; %bb.4:
	s_load_dwordx2 s[6:7], s[0:1], 0x28
	s_lshl_b64 s[16:17], s[2:3], 2
	s_waitcnt lgkmcnt(0)
	s_add_u32 s6, s6, s16
	s_addc_u32 s7, s7, s17
	s_load_dword s33, s[6:7], 0x0
	s_lshl_b32 s5, s28, 8
	s_waitcnt lgkmcnt(0)
	s_cmp_ge_i32 s5, s33
	s_cbranch_scc1 .LBB1233_18
; %bb.5:
	s_add_i32 s9, s33, 31
	s_load_dwordx2 s[6:7], s[0:1], 0x20
	s_load_dword s8, s[0:1], 0x38
	s_ashr_i32 s10, s9, 31
	v_and_b32_e32 v1, 0xcf, v0
	s_lshr_b32 s10, s10, 27
	v_add_u32_e32 v1, s5, v1
	s_add_i32 s9, s9, s10
	v_ashrrev_i32_e32 v2, 31, v1
	s_ashr_i32 s18, s9, 5
	v_lshrrev_b32_e32 v10, 27, v2
	s_add_i32 s18, s18, -1
	v_add_u32_e32 v2, v1, v10
	v_or_b32_e32 v4, 16, v1
	s_waitcnt lgkmcnt(0)
	s_mul_i32 s8, s2, s8
	s_mov_b32 s9, 0
	v_ashrrev_i32_e32 v2, 5, v2
	v_mov_b32_e32 v11, s18
	v_cmp_gt_i32_e32 vcc, s33, v1
	v_add_u32_e32 v5, v4, v10
	s_lshl_b64 s[8:9], s[8:9], 2
	v_cndmask_b32_e32 v2, v11, v2, vcc
	v_ashrrev_i32_e32 v5, 5, v5
	v_cmp_gt_i32_e32 vcc, s33, v4
	s_add_u32 s6, s6, s8
	s_addc_u32 s7, s7, s9
	v_cndmask_b32_e32 v4, v11, v5, vcc
	v_ashrrev_i32_e32 v5, 31, v4
	v_lshl_add_u64 v[6:7], v[4:5], 2, s[6:7]
	v_or_b32_e32 v4, 32, v1
	v_add_u32_e32 v5, v4, v10
	v_ashrrev_i32_e32 v5, 5, v5
	v_cmp_gt_i32_e32 vcc, s33, v4
	v_or_b32_e32 v1, 48, v1
	v_ashrrev_i32_e32 v3, 31, v2
	v_cndmask_b32_e32 v4, v11, v5, vcc
	v_ashrrev_i32_e32 v5, 31, v4
	v_lshl_add_u64 v[8:9], v[4:5], 2, s[6:7]
	v_add_u32_e32 v4, v1, v10
	v_ashrrev_i32_e32 v4, 5, v4
	v_cmp_gt_i32_e32 vcc, s33, v1
	v_lshl_add_u64 v[2:3], v[2:3], 2, s[6:7]
	s_load_dwordx4 s[8:11], s[0:1], 0x8
	v_cndmask_b32_e32 v4, v11, v4, vcc
	v_ashrrev_i32_e32 v5, 31, v4
	v_lshl_add_u64 v[14:15], v[4:5], 2, s[6:7]
	global_load_dword v4, v[2:3], off
	global_load_dword v12, v[6:7], off
	;; [unrolled: 1-line block ×4, first 2 shown]
	s_andn2_b64 vcc, exec, s[14:15]
	s_cbranch_vccnz .LBB1233_8
; %bb.6:
	s_add_u32 s12, s12, s16
	s_addc_u32 s13, s13, s17
	s_load_dword s14, s[12:13], 0x0
	s_branch .LBB1233_9
.LBB1233_7:
	s_mov_b64 s[8:9], 0
	s_branch .LBB1233_2
.LBB1233_8:
	s_mov_b32 s14, s2
.LBB1233_9:
	s_load_dwordx4 s[44:47], s[0:1], 0x48
	v_lshrrev_b32_e32 v29, 6, v0
	v_bfe_u32 v42, v0, 4, 2
	v_lshl_or_b32 v2, v29, 2, v42
	v_and_b32_e32 v28, 15, v0
	v_lshlrev_b32_e32 v1, 3, v28
	v_cmp_gt_u32_e32 vcc, 6, v2
	v_cmp_gt_u32_e64 s[30:31], 8, v28
	v_and_b32_e32 v43, 63, v0
	s_mul_i32 s48, s4, 6
	s_and_b64 s[16:17], s[30:31], vcc
	v_lshlrev_b32_e32 v26, 1, v1
	v_lshlrev_b32_e32 v1, 4, v0
	s_and_saveexec_b64 s[12:13], s[16:17]
	s_cbranch_execz .LBB1233_11
; %bb.10:
	s_load_dwordx2 s[16:17], s[0:1], 0x0
	s_waitcnt lgkmcnt(0)
	s_ashr_i32 s15, s44, 31
	s_mul_hi_u32 s19, s14, s44
	s_mul_i32 s15, s14, s15
	s_add_i32 s15, s19, s15
	s_mul_i32 s14, s14, s44
	s_lshl_b64 s[14:15], s[14:15], 1
	s_add_u32 s14, s16, s14
	v_add_lshl_u32 v6, v2, s48, 6
	s_addc_u32 s15, s17, s15
	v_ashrrev_i32_e32 v7, 31, v6
	v_lshl_add_u64 v[6:7], v[6:7], 1, s[14:15]
	v_mov_b32_e32 v27, 0
	v_lshl_add_u64 v[6:7], v[6:7], 0, v[26:27]
	global_load_dwordx4 v[6:9], v[6:7], off
	v_lshlrev_b32_e32 v5, 8, v28
	v_lshlrev_b32_e32 v2, 5, v2
	v_and_b32_e32 v3, 16, v1
	v_and_b32_e32 v5, 0xe00, v5
	v_or3_b32 v2, v5, v2, v3
	s_waitcnt vmcnt(0)
	ds_write_b128 v2, v[6:9]
.LBB1233_11:
	s_or_b64 exec, exec, s[12:13]
	s_waitcnt lgkmcnt(0)
	s_mul_i32 s4, s4, s46
	s_add_u32 s8, s8, s4
	s_addc_u32 s9, s9, 0
	v_mov_b32_e32 v31, 0
	v_mov_b64_e32 v[2:3], s[8:9]
	v_and_b32_e32 v14, 48, v0
	s_waitcnt vmcnt(3)
	v_mad_i64_i32 v[6:7], s[8:9], v4, s45, v[2:3]
	v_lshlrev_b32_e32 v4, 4, v28
	v_mov_b32_e32 v5, v31
	v_lshlrev_b32_e32 v30, 5, v14
	v_lshl_add_u64 v[6:7], v[6:7], 0, v[4:5]
	v_lshl_add_u64 v[6:7], v[6:7], 0, v[30:31]
	s_load_dword s29, s[0:1], 0x98
	s_load_dwordx4 s[40:43], s[0:1], 0x80
	s_waitcnt lgkmcnt(0)
	s_barrier
	global_load_dwordx4 v[6:9], v[6:7], off
	s_waitcnt vmcnt(3)
	v_mad_i64_i32 v[12:13], s[8:9], v12, s45, v[2:3]
	s_ashr_i32 s8, s5, 31
	v_or_b32_e32 v20, s5, v14
	s_lshr_b32 s12, s8, 27
	v_add_u32_e32 v14, s12, v20
	v_ashrrev_i32_e32 v14, 5, v14
	v_mov_b32_e32 v33, s18
	v_cmp_gt_i32_e32 vcc, s33, v20
	v_or_b32_e32 v18, 0x100, v4
	v_mov_b32_e32 v19, v31
	v_cndmask_b32_e32 v14, v33, v14, vcc
	v_ashrrev_i32_e32 v15, 31, v14
	v_lshl_add_u64 v[12:13], v[12:13], 0, v[18:19]
	v_lshl_add_u64 v[14:15], v[14:15], 2, s[6:7]
	;; [unrolled: 1-line block ×3, first 2 shown]
	global_load_dword v52, v[14:15], off
	v_mov_b32_e32 v21, 5
	global_load_dwordx4 v[14:17], v[12:13], off
	v_mul_lo_u16_e32 v12, 43, v28
	v_mov_b32_e32 v13, 6
	v_mul_lo_u16_sdwa v12, v12, v13 dst_sel:DWORD dst_unused:UNUSED_PAD src0_sel:BYTE_1 src1_sel:DWORD
	v_sub_u16_e32 v12, v28, v12
	v_or_b32_e32 v32, 64, v20
	v_or_b32_e32 v34, 0x80, v20
	;; [unrolled: 1-line block ×3, first 2 shown]
	v_lshlrev_b32_sdwa v20, v21, v12 dst_sel:DWORD dst_unused:UNUSED_PAD src0_sel:DWORD src1_sel:BYTE_0
	s_waitcnt vmcnt(4)
	v_mad_i64_i32 v[12:13], s[8:9], v11, s45, v[2:3]
	v_lshl_add_u64 v[4:5], v[12:13], 0, v[4:5]
	v_lshl_add_u64 v[4:5], v[4:5], 0, v[30:31]
	global_load_dwordx4 v[22:25], v[4:5], off
	v_lshl_add_u32 v4, v42, 9, v20
	s_waitcnt vmcnt(4)
	v_mad_i64_i32 v[20:21], s[8:9], v10, s45, v[2:3]
	v_add_u32_e32 v36, s12, v32
	v_add_u32_e32 v37, s12, v34
	v_lshl_add_u64 v[18:19], v[20:21], 0, v[18:19]
	v_ashrrev_i32_e32 v20, 5, v36
	v_cmp_gt_i32_e32 vcc, s33, v32
	v_ashrrev_i32_e32 v21, 5, v37
	v_lshl_add_u64 v[18:19], v[18:19], 0, v[30:31]
	v_cndmask_b32_e32 v32, v33, v20, vcc
	v_cmp_gt_i32_e32 vcc, s33, v34
	ds_read_b128 v[10:13], v4
	ds_read_b128 v[2:5], v4 offset:16
	v_cndmask_b32_e32 v34, v33, v21, vcc
	global_load_dwordx4 v[18:21], v[18:19], off
	v_add_u32_e32 v38, s12, v35
	s_add_u32 s8, s10, s4
	v_ashrrev_i32_e32 v36, 5, v38
	v_cmp_gt_i32_e32 vcc, s33, v35
	v_lshlrev_b32_e32 v27, 5, v28
	s_addc_u32 s9, s11, 0
	v_cndmask_b32_e32 v36, v33, v36, vcc
	v_and_b32_e32 v30, 16, v0
	v_ashrrev_i32_e32 v37, 31, v36
	v_lshl_add_u64 v[38:39], s[8:9], 0, v[30:31]
	v_lshl_or_b32 v30, v29, 9, v27
	v_lshl_add_u64 v[40:41], v[36:37], 2, s[6:7]
	v_lshl_add_u64 v[30:31], v[38:39], 0, v[30:31]
	s_mov_b32 s44, 0x7060302
	v_ashrrev_i32_e32 v33, 31, v32
	v_ashrrev_i32_e32 v35, 31, v34
	v_lshl_add_u64 v[32:33], v[32:33], 2, s[6:7]
	v_lshl_add_u64 v[34:35], v[34:35], 2, s[6:7]
	s_load_dword s13, s[0:1], 0x1c
	s_mov_b32 s46, 0xff7fffff
	s_waitcnt vmcnt(4)
	v_cvt_pk_f32_fp8_e32 v[36:37], v6
	v_cvt_pk_f32_fp8_sdwa v[38:39], v6 src0_sel:WORD_1
	v_cvt_pk_f32_fp8_e32 v[44:45], v7
	v_cvt_pk_f32_fp8_sdwa v[6:7], v7 src0_sel:WORD_1
	v_perm_b32 v36, v37, v36, s44
	v_perm_b32 v37, v39, v38, s44
	v_cvt_pk_f32_fp8_e32 v[46:47], v8
	v_cvt_pk_f32_fp8_sdwa v[48:49], v8 src0_sel:WORD_1
	v_perm_b32 v50, v45, v44, s44
	v_perm_b32 v51, v7, v6, s44
	s_waitcnt lgkmcnt(0)
	v_mfma_f32_16x16x16_bf16 v[36:39], v[36:37], v[10:11], 0
	global_load_dword v44, v[32:33], off
	s_nop 0
	global_load_dword v34, v[34:35], off
	s_nop 0
	global_load_dword v35, v[40:41], off
	v_perm_b32 v32, v47, v46, s44
	v_perm_b32 v33, v49, v48, s44
	v_cvt_pk_f32_fp8_e32 v[40:41], v9
	v_cvt_pk_f32_fp8_sdwa v[8:9], v9 src0_sel:WORD_1
	v_mfma_f32_16x16x16_bf16 v[36:39], v[50:51], v[12:13], v[36:39]
	s_waitcnt vmcnt(6)
	v_mad_i64_i32 v[6:7], s[6:7], v52, s45, v[30:31]
	v_perm_b32 v40, v41, v40, s44
	v_perm_b32 v41, v9, v8, s44
	v_mfma_f32_16x16x16_bf16 v[36:39], v[32:33], v[2:3], v[36:39]
	s_waitcnt vmcnt(5)
	v_cvt_pk_f32_fp8_e32 v[8:9], v14
	v_cvt_pk_f32_fp8_sdwa v[32:33], v14 src0_sel:WORD_1
	v_cvt_pk_f32_fp8_sdwa v[50:51], v16 src0_sel:WORD_1
	v_mfma_f32_16x16x16_bf16 v[36:39], v[40:41], v[4:5], v[36:39]
	v_cvt_pk_f32_fp8_e32 v[40:41], v15
	v_perm_b32 v8, v9, v8, s44
	v_perm_b32 v9, v33, v32, s44
	v_cvt_pk_f32_fp8_sdwa v[14:15], v15 src0_sel:WORD_1
	v_perm_b32 v32, v41, v40, s44
	v_cvt_pk_f32_fp8_e32 v[40:41], v16
	v_mfma_f32_16x16x16_bf16 v[46:49], v[8:9], v[10:11], 0
	v_perm_b32 v33, v15, v14, s44
	v_perm_b32 v8, v41, v40, s44
	v_perm_b32 v9, v51, v50, s44
	v_cvt_pk_f32_fp8_e32 v[40:41], v17
	v_cvt_pk_f32_fp8_sdwa v[50:51], v17 src0_sel:WORD_1
	v_mfma_f32_16x16x16_bf16 v[14:17], v[32:33], v[12:13], v[46:49]
	s_waitcnt vmcnt(4)
	v_cvt_pk_f32_fp8_sdwa v[52:53], v24 src0_sel:WORD_1
	v_perm_b32 v32, v41, v40, s44
	v_perm_b32 v33, v51, v50, s44
	v_mfma_f32_16x16x16_bf16 v[14:17], v[8:9], v[2:3], v[14:17]
	v_cvt_pk_f32_fp8_e32 v[8:9], v22
	v_cvt_pk_f32_fp8_sdwa v[40:41], v22 src0_sel:WORD_1
	s_load_dword s4, s[40:41], 0x0
	v_mfma_f32_16x16x16_bf16 v[14:17], v[32:33], v[4:5], v[14:17]
	v_cvt_pk_f32_fp8_e32 v[32:33], v23
	v_perm_b32 v8, v9, v8, s44
	v_perm_b32 v9, v41, v40, s44
	v_cvt_pk_f32_fp8_sdwa v[22:23], v23 src0_sel:WORD_1
	v_perm_b32 v32, v33, v32, s44
	v_cvt_pk_f32_fp8_e32 v[40:41], v24
	v_mfma_f32_16x16x16_bf16 v[46:49], v[8:9], v[10:11], 0
	v_perm_b32 v33, v23, v22, s44
	v_perm_b32 v8, v41, v40, s44
	;; [unrolled: 1-line block ×3, first 2 shown]
	v_cvt_pk_f32_fp8_e32 v[40:41], v25
	v_cvt_pk_f32_fp8_sdwa v[24:25], v25 src0_sel:WORD_1
	v_mfma_f32_16x16x16_bf16 v[46:49], v[32:33], v[12:13], v[46:49]
	v_mov_b32_e32 v45, s13
	s_waitcnt lgkmcnt(0)
	v_mul_f32_e32 v50, s4, v45
	v_perm_b32 v32, v41, v40, s44
	v_perm_b32 v33, v25, v24, s44
	v_pk_mul_f32 v[22:23], v[50:51], v[38:39] op_sel_hi:[0,1]
	v_mfma_f32_16x16x16_bf16 v[38:41], v[8:9], v[2:3], v[46:49]
	v_pk_mul_f32 v[8:9], v[50:51], v[36:37] op_sel_hi:[0,1]
	s_waitcnt vmcnt(3)
	v_cvt_pk_f32_fp8_e32 v[24:25], v18
	v_cvt_pk_f32_fp8_sdwa v[36:37], v18 src0_sel:WORD_1
	v_mfma_f32_16x16x16_bf16 v[46:49], v[32:33], v[4:5], v[38:41]
	v_cvt_pk_f32_fp8_e32 v[32:33], v19
	v_perm_b32 v24, v25, v24, s44
	v_perm_b32 v25, v37, v36, s44
	v_cvt_pk_f32_fp8_sdwa v[18:19], v19 src0_sel:WORD_1
	v_perm_b32 v32, v33, v32, s44
	v_cvt_pk_f32_fp8_e32 v[40:41], v20
	v_cvt_pk_f32_fp8_sdwa v[52:53], v20 src0_sel:WORD_1
	v_perm_b32 v33, v19, v18, s44
	v_mfma_f32_16x16x16_bf16 v[36:39], v[24:25], v[10:11], 0
	v_perm_b32 v18, v41, v40, s44
	v_perm_b32 v19, v53, v52, s44
	v_cvt_pk_f32_fp8_e32 v[24:25], v21
	v_cvt_pk_f32_fp8_sdwa v[20:21], v21 src0_sel:WORD_1
	v_mfma_f32_16x16x16_bf16 v[10:13], v[32:33], v[12:13], v[36:39]
	v_pk_mul_f32 v[40:41], v[50:51], v[14:15] op_sel_hi:[0,1]
	v_pk_mul_f32 v[32:33], v[50:51], v[48:49] op_sel_hi:[0,1]
	s_nop 0
	v_pk_mul_f32 v[36:37], v[50:51], v[16:17] op_sel_hi:[0,1]
	v_perm_b32 v16, v25, v24, s44
	v_perm_b32 v17, v21, v20, s44
	v_mfma_f32_16x16x16_bf16 v[10:13], v[18:19], v[2:3], v[10:13]
	v_pk_mul_f32 v[38:39], v[50:51], v[46:47] op_sel_hi:[0,1]
	v_mfma_f32_16x16x16_bf16 v[2:5], v[16:17], v[4:5], v[10:13]
	s_nop 6
	v_pk_mul_f32 v[24:25], v[50:51], v[2:3] op_sel_hi:[0,1]
	v_and_b32_e32 v2, 0xc0, v0
	v_add_u32_e32 v2, s5, v2
	v_lshl_or_b32 v2, v42, 2, v2
	v_pk_mul_f32 v[18:19], v[50:51], v[4:5] op_sel_hi:[0,1]
	v_or_b32_e32 v5, 1, v2
	v_mov_b32_e32 v3, 0xff7fffff
	v_cmp_gt_i32_e64 s[4:5], s33, v2
	v_cmp_gt_i32_e64 s[34:35], s33, v5
	v_or_b32_e32 v10, 3, v2
	v_cndmask_b32_e64 v4, v3, v8, s[4:5]
	v_cndmask_b32_e64 v5, v3, v9, s[34:35]
	v_max3_f32 v4, v4, s46, v5
	v_or_b32_e32 v5, 2, v2
	v_cmp_gt_i32_e64 s[36:37], s33, v5
	v_cmp_gt_i32_e64 s[38:39], s33, v10
	s_nop 0
	v_cndmask_b32_e64 v5, v3, v22, s[36:37]
	v_cndmask_b32_e64 v10, v3, v23, s[38:39]
	v_max3_f32 v4, v4, v5, v10
	v_or_b32_e32 v5, 16, v2
	v_or_b32_e32 v10, 17, v2
	v_cmp_gt_i32_e64 s[24:25], s33, v5
	v_cmp_gt_i32_e64 s[26:27], s33, v10
	s_nop 0
	v_cndmask_b32_e64 v5, v3, v40, s[24:25]
	v_cndmask_b32_e64 v10, v3, v41, s[26:27]
	v_max3_f32 v4, v4, v5, v10
	v_or_b32_e32 v5, 18, v2
	;; [unrolled: 8-line block ×6, first 2 shown]
	v_or_b32_e32 v2, 51, v2
	v_cmp_gt_i32_e32 vcc, s33, v5
	v_cmp_gt_i32_e64 s[6:7], s33, v2
	s_nop 0
	v_cndmask_b32_e32 v5, v3, v18, vcc
	v_cndmask_b32_e64 v2, v3, v19, s[6:7]
	v_max3_f32 v4, v4, v5, v2
	v_mbcnt_lo_u32_b32 v2, -1, 0
	v_mbcnt_hi_u32_b32 v5, -1, v2
	v_and_b32_e32 v2, 64, v5
	v_add_u32_e32 v20, 64, v2
	v_xor_b32_e32 v2, 32, v5
	v_cmp_lt_i32_e64 s[40:41], v2, v20
	s_nop 1
	v_cndmask_b32_e64 v2, v5, v2, s[40:41]
	v_lshlrev_b32_e32 v45, 2, v2
	ds_bpermute_b32 v21, v45, v4
	s_waitcnt vmcnt(2)
	v_mad_i64_i32 v[2:3], s[40:41], v44, s45, v[30:31]
	global_load_dwordx4 v[14:17], v[6:7], off
	global_load_dwordx4 v[10:13], v[2:3], off
	v_xor_b32_e32 v3, 16, v5
	v_cmp_lt_i32_e64 s[40:41], v3, v20
	s_waitcnt lgkmcnt(0)
	v_max_f32_e32 v2, v21, v21
	v_max_f32_e32 v2, v4, v2
	v_cndmask_b32_e64 v3, v5, v3, s[40:41]
	v_lshlrev_b32_e32 v46, 2, v3
	ds_bpermute_b32 v3, v46, v2
	s_waitcnt vmcnt(3)
	v_mad_i64_i32 v[20:21], s[40:41], v34, s45, v[30:31]
	s_waitcnt vmcnt(2)
	v_mad_i64_i32 v[30:31], s[40:41], v35, s45, v[30:31]
	s_waitcnt lgkmcnt(0)
	v_max_f32_e32 v3, v3, v3
	v_max_f32_e32 v44, v2, v3
	v_sub_f32_e32 v2, v8, v44
	v_mul_f32_e32 v2, 0x3fb8aa3b, v2
	v_exp_f32_e32 v34, v2
	v_sub_f32_e32 v2, v9, v44
	v_mul_f32_e32 v2, 0x3fb8aa3b, v2
	v_exp_f32_e32 v35, v2
	global_load_dwordx4 v[6:9], v[20:21], off
	global_load_dwordx4 v[2:5], v[30:31], off
	v_sub_f32_e32 v22, v22, v44
	v_mul_f32_e32 v22, 0x3fb8aa3b, v22
	v_sub_f32_e32 v23, v23, v44
	v_exp_f32_e32 v22, v22
	v_mul_f32_e32 v23, 0x3fb8aa3b, v23
	v_exp_f32_e32 v23, v23
	v_cndmask_b32_e64 v20, 0, v34, s[4:5]
	v_add_f32_e32 v30, 0, v20
	v_cndmask_b32_e64 v21, 0, v35, s[34:35]
	v_add_f32_e32 v30, v30, v21
	;; [unrolled: 2-line block ×3, first 2 shown]
	v_cndmask_b32_e64 v35, 0, v23, s[38:39]
	v_sub_f32_e32 v23, v40, v44
	v_sub_f32_e32 v30, v41, v44
	v_mul_f32_e32 v23, 0x3fb8aa3b, v23
	v_mul_f32_e32 v30, 0x3fb8aa3b, v30
	v_exp_f32_e32 v23, v23
	v_exp_f32_e32 v30, v30
	v_add_f32_e32 v31, v22, v35
	v_sub_f32_e32 v32, v32, v44
	v_cndmask_b32_e64 v22, 0, v23, s[24:25]
	v_cndmask_b32_e64 v23, 0, v30, s[26:27]
	v_sub_f32_e32 v30, v36, v44
	v_mul_f32_e32 v30, 0x3fb8aa3b, v30
	v_exp_f32_e32 v30, v30
	v_sub_f32_e32 v36, v37, v44
	v_add_f32_e32 v31, v31, v22
	v_mul_f32_e32 v36, 0x3fb8aa3b, v36
	v_exp_f32_e32 v37, v36
	v_add_f32_e32 v31, v31, v23
	v_cndmask_b32_e64 v36, 0, v30, s[20:21]
	v_add_f32_e32 v30, v31, v36
	v_sub_f32_e32 v31, v38, v44
	v_mul_f32_e32 v31, 0x3fb8aa3b, v31
	v_sub_f32_e32 v38, v39, v44
	v_exp_f32_e32 v31, v31
	v_mul_f32_e32 v38, 0x3fb8aa3b, v38
	v_exp_f32_e32 v38, v38
	v_mul_f32_e32 v32, 0x3fb8aa3b, v32
	v_sub_f32_e32 v33, v33, v44
	v_exp_f32_e32 v32, v32
	v_mul_f32_e32 v33, 0x3fb8aa3b, v33
	v_sub_f32_e32 v24, v24, v44
	v_cndmask_b32_e64 v37, 0, v37, s[22:23]
	v_exp_f32_e32 v33, v33
	v_mul_f32_e32 v24, 0x3fb8aa3b, v24
	v_sub_f32_e32 v25, v25, v44
	v_add_f32_e32 v39, v30, v37
	v_cndmask_b32_e64 v30, 0, v31, s[16:17]
	v_exp_f32_e32 v24, v24
	v_mul_f32_e32 v25, 0x3fb8aa3b, v25
	v_sub_f32_e32 v18, v18, v44
	v_add_f32_e32 v39, v39, v30
	;; [unrolled: 5-line block ×3, first 2 shown]
	v_cndmask_b32_e64 v32, 0, v32, s[12:13]
	v_exp_f32_e32 v18, v18
	v_mul_f32_e32 v19, 0x3fb8aa3b, v19
	v_add_f32_e32 v38, v38, v32
	v_cndmask_b32_e64 v33, 0, v33, s[14:15]
	v_exp_f32_e32 v19, v19
	v_add_f32_e32 v38, v38, v33
	v_cndmask_b32_e64 v24, 0, v24, s[8:9]
	v_add_f32_e32 v38, v38, v24
	v_cndmask_b32_e64 v25, 0, v25, s[10:11]
	v_add_f32_e32 v38, v38, v25
	v_cndmask_b32_e32 v18, 0, v18, vcc
	v_add_f32_e32 v38, v38, v18
	v_cndmask_b32_e64 v19, 0, v19, s[6:7]
	v_add_f32_e32 v38, v38, v19
	ds_bpermute_b32 v39, v45, v38
	v_cmp_gt_u32_e32 vcc, 16, v43
	s_waitcnt lgkmcnt(0)
	s_barrier
	v_add_f32_e32 v38, v38, v39
	ds_bpermute_b32 v40, v46, v38
	v_lshlrev_b32_e32 v39, 2, v28
	s_and_saveexec_b64 s[4:5], vcc
	s_cbranch_execz .LBB1233_13
; %bb.12:
	s_waitcnt lgkmcnt(0)
	v_add_f32_e32 v38, v38, v40
	v_lshl_or_b32 v40, v29, 6, v39
	ds_write2st64_b32 v40, v44, v38 offset1:1
.LBB1233_13:
	s_or_b64 exec, exec, s[4:5]
	s_load_dword s6, s[0:1], 0x94
	s_waitcnt lgkmcnt(0)
	s_barrier
	ds_read2_b32 v[40:41], v39 offset1:16
	ds_read2_b32 v[44:45], v39 offset0:32 offset1:48
	ds_read2_b32 v[46:47], v39 offset0:64 offset1:80
	s_movk_i32 s8, 0x7fff
	s_mul_i32 s7, s29, 6
	s_waitcnt lgkmcnt(2)
	v_max3_f32 v38, v40, s46, v41
	s_waitcnt lgkmcnt(1)
	v_max3_f32 v38, v38, v44, v45
	v_sub_f32_e32 v40, v40, v38
	v_mul_f32_e32 v40, 0x3fb8aa3b, v40
	v_exp_f32_e32 v43, v40
	v_sub_f32_e32 v40, v41, v38
	v_mul_f32_e32 v40, 0x3fb8aa3b, v40
	v_exp_f32_e32 v48, v40
	;; [unrolled: 3-line block ×3, first 2 shown]
	ds_read2_b32 v[40:41], v39 offset0:96 offset1:112
	v_sub_f32_e32 v39, v45, v38
	v_mul_f32_e32 v39, 0x3fb8aa3b, v39
	v_exp_f32_e32 v45, v39
	s_waitcnt lgkmcnt(1)
	v_fma_f32 v39, v43, v46, 0
	v_fmac_f32_e32 v39, v48, v47
	s_waitcnt lgkmcnt(0)
	v_fmac_f32_e32 v39, v44, v40
	v_fmac_f32_e32 v39, v45, v41
	v_add_f32_e32 v40, 0x358637bd, v39
	v_div_scale_f32 v41, s[4:5], v40, v40, 1.0
	v_rcp_f32_e32 v46, v41
	s_barrier
	v_fma_f32 v47, -v41, v46, 1.0
	v_fmac_f32_e32 v46, v47, v46
	v_div_scale_f32 v47, vcc, 1.0, v40, 1.0
	v_mul_f32_e32 v49, v47, v46
	v_fma_f32 v50, -v41, v49, v47
	v_fmac_f32_e32 v49, v50, v46
	v_fma_f32 v41, -v41, v49, v47
	v_div_fmas_f32 v41, v41, v46, v49
	v_cmp_eq_u32_e32 vcc, 1, v29
	v_div_fixup_f32 v40, v41, v40, 1.0
	s_nop 0
	v_cndmask_b32_e32 v41, v43, v48, vcc
	v_cmp_eq_u32_e32 vcc, 2, v29
	s_nop 1
	v_cndmask_b32_e32 v41, v41, v44, vcc
	v_cmp_eq_u32_e32 vcc, 3, v29
	s_nop 1
	v_cndmask_b32_e32 v41, v41, v45, vcc
	v_mul_f32_e32 v40, v41, v40
	v_pk_mul_f32 v[20:21], v[40:41], v[20:21] op_sel_hi:[0,1]
	v_pk_mul_f32 v[34:35], v[40:41], v[34:35] op_sel_hi:[0,1]
	v_bfe_u32 v41, v21, 16, 1
	v_bfe_u32 v43, v20, 16, 1
	v_add3_u32 v20, v20, v43, s8
	v_add3_u32 v21, v21, v41, s8
	v_perm_b32 v44, v21, v20, s44
	v_bfe_u32 v20, v35, 16, 1
	v_bfe_u32 v21, v34, 16, 1
	v_add3_u32 v21, v34, v21, s8
	v_add3_u32 v20, v35, v20, s8
	v_perm_b32 v45, v20, v21, s44
	v_lshlrev_b32_e32 v20, 3, v42
	v_lshlrev_b32_e32 v21, 11, v29
	v_pk_mul_f32 v[22:23], v[40:41], v[22:23] op_sel_hi:[0,1]
	v_or3_b32 v20, v21, v27, v20
	v_bfe_u32 v21, v23, 16, 1
	v_bfe_u32 v29, v22, 16, 1
	v_pk_mul_f32 v[34:35], v[40:41], v[36:37] op_sel_hi:[0,1]
	v_add3_u32 v22, v22, v29, s8
	v_add3_u32 v21, v23, v21, s8
	v_perm_b32 v22, v21, v22, s44
	v_bfe_u32 v21, v35, 16, 1
	v_bfe_u32 v23, v34, 16, 1
	v_add3_u32 v23, v34, v23, s8
	v_add3_u32 v21, v35, v21, s8
	v_pk_mul_f32 v[30:31], v[40:41], v[30:31] op_sel_hi:[0,1]
	v_perm_b32 v23, v21, v23, s44
	v_bfe_u32 v21, v31, 16, 1
	v_bfe_u32 v29, v30, 16, 1
	ds_write2st64_b64 v20, v[44:45], v[22:23] offset1:1
	v_pk_mul_f32 v[22:23], v[40:41], v[32:33] op_sel_hi:[0,1]
	v_add3_u32 v29, v30, v29, s8
	v_add3_u32 v21, v31, v21, s8
	v_perm_b32 v30, v21, v29, s44
	v_bfe_u32 v21, v23, 16, 1
	v_bfe_u32 v29, v22, 16, 1
	v_add3_u32 v22, v22, v29, s8
	v_add3_u32 v21, v23, v21, s8
	v_perm_b32 v31, v21, v22, s44
	v_pk_mul_f32 v[22:23], v[40:41], v[24:25] op_sel_hi:[0,1]
	v_bfe_u32 v21, v23, 16, 1
	v_bfe_u32 v24, v22, 16, 1
	v_pk_mul_f32 v[18:19], v[40:41], v[18:19] op_sel_hi:[0,1]
	v_add3_u32 v22, v22, v24, s8
	v_add3_u32 v21, v23, v21, s8
	v_perm_b32 v22, v21, v22, s44
	v_bfe_u32 v21, v19, 16, 1
	v_bfe_u32 v23, v18, 16, 1
	v_add3_u32 v18, v18, v23, s8
	v_add3_u32 v19, v19, v21, s8
	v_perm_b32 v23, v19, v18, s44
	v_cmp_gt_u32_e32 vcc, 6, v0
	ds_write2st64_b64 v20, v[30:31], v[22:23] offset0:2 offset1:3
	s_and_saveexec_b64 s[4:5], vcc
	s_cbranch_execz .LBB1233_15
; %bb.14:
	s_mov_b32 s49, 0
	v_mov_b32_e32 v29, 0
	v_lshl_add_u64 v[18:19], s[48:49], 0, v[28:29]
	v_mov_b32_e32 v21, s7
	v_mad_u64_u32 v[18:19], s[10:11], s2, v21, v[18:19]
	s_mul_i32 s3, s3, s7
	v_mov_b32_e32 v28, s28
	s_load_dwordx4 s[12:15], s[0:1], 0x58
	v_add_u32_e32 v21, s3, v19
	v_mad_u64_u32 v[18:19], s[10:11], v18, s6, v[28:29]
	v_mov_b32_e32 v22, v19
	v_mad_u64_u32 v[22:23], s[10:11], v21, s6, v[22:23]
	v_mov_b32_e32 v19, v22
	v_lshlrev_b64 v[18:19], 2, v[18:19]
	s_waitcnt lgkmcnt(0)
	v_lshl_add_u64 v[22:23], s[14:15], 0, v[18:19]
	v_lshl_add_u64 v[18:19], s[12:13], 0, v[18:19]
	global_store_dword v[22:23], v38, off
	global_store_dword v[18:19], v39, off
.LBB1233_15:
	s_or_b64 exec, exec, s[4:5]
	s_waitcnt vmcnt(3)
	v_cvt_pk_f32_fp8_e32 v[18:19], v14
	v_cvt_pk_f32_fp8_sdwa v[22:23], v14 src0_sel:WORD_1
	s_mov_b32 s4, 0x7060302
	v_lshl_or_b32 v14, v42, 9, v27
	s_waitcnt lgkmcnt(0)
	s_barrier
	v_perm_b32 v18, v19, v18, s4
	v_perm_b32 v19, v23, v22, s4
	v_cvt_pk_f32_fp8_e32 v[28:29], v15
	ds_read_b128 v[22:25], v14
	v_cvt_pk_f32_fp8_sdwa v[36:37], v15 src0_sel:WORD_1
	s_load_dword s10, s[42:43], 0x0
	v_perm_b32 v38, v29, v28, s4
	ds_read_b128 v[28:31], v14 offset:16
	v_perm_b32 v39, v37, v36, s4
	s_waitcnt lgkmcnt(0)
	v_mfma_f32_16x16x16_bf16 v[32:35], v[18:19], v[22:23], 0
	v_cvt_pk_f32_fp8_e32 v[18:19], v16
	v_cvt_pk_f32_fp8_sdwa v[36:37], v16 src0_sel:WORD_1
	v_cmp_gt_u32_e32 vcc, 64, v0
	v_mfma_f32_16x16x16_bf16 v[22:25], v[38:39], v[24:25], v[32:35]
	v_perm_b32 v18, v19, v18, s4
	v_perm_b32 v19, v37, v36, s4
	s_waitcnt vmcnt(2)
	v_cvt_pk_f32_fp8_sdwa v[36:37], v10 src0_sel:WORD_1
	v_cvt_pk_f32_fp8_e32 v[32:33], v17
	v_cvt_pk_f32_fp8_sdwa v[16:17], v17 src0_sel:WORD_1
	v_cvt_pk_f32_fp8_e32 v[34:35], v10
	s_mov_b32 s3, 0
	v_perm_b32 v32, v33, v32, s4
	v_perm_b32 v33, v17, v16, s4
	v_mfma_f32_16x16x16_bf16 v[16:19], v[18:19], v[28:29], v[22:25]
	v_perm_b32 v34, v35, v34, s4
	v_perm_b32 v35, v37, v36, s4
	v_cvt_pk_f32_fp8_e32 v[28:29], v11
	ds_read_b128 v[22:25], v14 offset:2048
	v_cvt_pk_f32_fp8_sdwa v[10:11], v11 src0_sel:WORD_1
	v_mfma_f32_16x16x16_bf16 v[16:19], v[32:33], v[30:31], v[16:19]
	v_perm_b32 v32, v29, v28, s4
	ds_read_b128 v[28:31], v14 offset:2064
	v_perm_b32 v33, v11, v10, s4
	s_waitcnt lgkmcnt(1)
	v_mfma_f32_16x16x16_bf16 v[16:19], v[34:35], v[22:23], v[16:19]
	v_cvt_pk_f32_fp8_e32 v[10:11], v12
	v_cvt_pk_f32_fp8_sdwa v[22:23], v12 src0_sel:WORD_1
	v_mov_b32_e32 v27, 0
	v_mfma_f32_16x16x16_bf16 v[16:19], v[32:33], v[24:25], v[16:19]
	v_cvt_pk_f32_fp8_e32 v[24:25], v13
	v_perm_b32 v10, v11, v10, s4
	v_perm_b32 v11, v23, v22, s4
	v_cvt_pk_f32_fp8_sdwa v[12:13], v13 src0_sel:WORD_1
	v_perm_b32 v22, v25, v24, s4
	s_waitcnt vmcnt(1)
	v_cvt_pk_f32_fp8_e32 v[24:25], v6
	v_cvt_pk_f32_fp8_sdwa v[32:33], v6 src0_sel:WORD_1
	v_perm_b32 v23, v13, v12, s4
	s_waitcnt lgkmcnt(0)
	v_mfma_f32_16x16x16_bf16 v[10:13], v[10:11], v[28:29], v[16:19]
	v_perm_b32 v28, v25, v24, s4
	v_perm_b32 v29, v33, v32, s4
	v_cvt_pk_f32_fp8_e32 v[24:25], v7
	ds_read_b128 v[16:19], v14 offset:4096
	v_cvt_pk_f32_fp8_sdwa v[6:7], v7 src0_sel:WORD_1
	v_mfma_f32_16x16x16_bf16 v[10:13], v[22:23], v[30:31], v[10:13]
	v_perm_b32 v30, v25, v24, s4
	ds_read_b128 v[22:25], v14 offset:4112
	v_perm_b32 v31, v7, v6, s4
	s_waitcnt lgkmcnt(1)
	v_mfma_f32_16x16x16_bf16 v[10:13], v[28:29], v[16:17], v[10:13]
	v_cvt_pk_f32_fp8_e32 v[6:7], v8
	v_cvt_pk_f32_fp8_sdwa v[16:17], v8 src0_sel:WORD_1
	s_waitcnt vmcnt(0)
	v_cvt_pk_f32_fp8_sdwa v[28:29], v2 src0_sel:WORD_1
	v_mfma_f32_16x16x16_bf16 v[10:13], v[30:31], v[18:19], v[10:13]
	v_cvt_pk_f32_fp8_e32 v[18:19], v9
	v_perm_b32 v6, v7, v6, s4
	v_perm_b32 v7, v17, v16, s4
	v_cvt_pk_f32_fp8_sdwa v[8:9], v9 src0_sel:WORD_1
	v_perm_b32 v16, v19, v18, s4
	v_cvt_pk_f32_fp8_e32 v[18:19], v2
	v_perm_b32 v17, v9, v8, s4
	s_waitcnt lgkmcnt(0)
	v_mfma_f32_16x16x16_bf16 v[6:9], v[6:7], v[22:23], v[10:13]
	v_perm_b32 v18, v19, v18, s4
	v_perm_b32 v19, v29, v28, s4
	v_cvt_pk_f32_fp8_e32 v[22:23], v3
	ds_read_b128 v[10:13], v14 offset:6144
	v_cvt_pk_f32_fp8_sdwa v[2:3], v3 src0_sel:WORD_1
	v_mfma_f32_16x16x16_bf16 v[6:9], v[16:17], v[24:25], v[6:9]
	v_perm_b32 v22, v23, v22, s4
	ds_read_b128 v[14:17], v14 offset:6160
	v_perm_b32 v23, v3, v2, s4
	s_waitcnt lgkmcnt(1)
	v_mfma_f32_16x16x16_bf16 v[6:9], v[18:19], v[10:11], v[6:9]
	v_cvt_pk_f32_fp8_e32 v[2:3], v4
	v_cvt_pk_f32_fp8_sdwa v[10:11], v4 src0_sel:WORD_1
	s_waitcnt lgkmcnt(0)
	v_mfma_f32_16x16x16_bf16 v[6:9], v[22:23], v[12:13], v[6:9]
	v_perm_b32 v2, v3, v2, s4
	v_perm_b32 v3, v11, v10, s4
	v_cvt_pk_f32_fp8_e32 v[10:11], v5
	v_cvt_pk_f32_fp8_sdwa v[4:5], v5 src0_sel:WORD_1
	s_barrier
	v_perm_b32 v10, v11, v10, s4
	v_perm_b32 v11, v5, v4, s4
	v_mfma_f32_16x16x16_bf16 v[2:5], v[2:3], v[14:15], v[6:9]
	s_nop 0
	v_mfma_f32_16x16x16_bf16 v[2:5], v[10:11], v[16:17], v[2:5]
	s_nop 6
	v_pk_mul_f32 v[2:3], v[2:3], s[10:11] op_sel_hi:[1,0]
	v_pk_mul_f32 v[4:5], v[4:5], s[10:11] op_sel_hi:[1,0]
	v_bfe_u32 v6, v3, 16, 1
	v_bfe_u32 v7, v2, 16, 1
	v_add3_u32 v2, v2, v7, s8
	v_add3_u32 v3, v3, v6, s8
	v_perm_b32 v2, v3, v2, s4
	v_bfe_u32 v3, v5, 16, 1
	v_bfe_u32 v6, v4, 16, 1
	v_add3_u32 v4, v4, v6, s8
	v_add3_u32 v3, v5, v3, s8
	v_perm_b32 v3, v3, v4, s4
	s_and_b64 s[4:5], vcc, s[30:31]
	ds_write_b64 v20, v[2:3]
	s_waitcnt lgkmcnt(0)
	s_barrier
	s_and_saveexec_b64 s[8:9], s[4:5]
	s_cbranch_execz .LBB1233_18
; %bb.16:
	s_load_dwordx2 s[4:5], s[0:1], 0x68
	s_lshl_b32 s0, s6, 6
	s_mul_i32 s1, s7, s2
	s_mul_hi_u32 s7, s1, s0
	s_mul_i32 s6, s1, s0
	v_lshlrev_b32_e32 v0, 10, v0
	s_lshl_b64 s[6:7], s[6:7], 1
	v_and_b32_e32 v0, 0x1800, v0
	v_lshlrev_b32_e32 v3, 5, v42
	v_and_b32_e32 v1, 16, v1
	s_waitcnt lgkmcnt(0)
	s_add_u32 s1, s4, s6
	v_or3_b32 v3, v0, v3, v1
	s_addc_u32 s4, s5, s7
	s_lshl_b32 s2, s28, 6
	s_lshl_b64 s[2:3], s[2:3], 1
	ds_read_b128 v[4:7], v3
	s_add_u32 s2, s1, s2
	s_addc_u32 s3, s4, s3
	v_add_u32_e32 v8, s48, v42
	v_or_b32_e32 v2, 4, v42
	v_lshl_add_u64 v[0:1], s[2:3], 0, v[26:27]
	v_mad_u64_u32 v[8:9], s[2:3], v8, s0, 0
	v_lshl_add_u64 v[8:9], v[8:9], 1, v[0:1]
	v_cmp_gt_u32_e32 vcc, 6, v2
	s_waitcnt lgkmcnt(0)
	global_store_dwordx4 v[8:9], v[4:7], off
	s_and_b64 exec, exec, vcc
	s_cbranch_execz .LBB1233_18
; %bb.17:
	ds_read_b128 v[4:7], v3 offset:128
	v_add_u32_e32 v2, s48, v2
	v_mad_u64_u32 v[2:3], s[0:1], v2, s0, 0
	v_lshl_add_u64 v[0:1], v[2:3], 1, v[0:1]
	s_waitcnt lgkmcnt(0)
	global_store_dwordx4 v[0:1], v[4:7], off
.LBB1233_18:
	s_endpgm
	.section	.rodata,"a",@progbits
	.p2align	6, 0x0
	.amdhsa_kernel _Z39paged_attention_ll4mi_QKV_mfma16_kernelI14__hip_bfloat16hLN4vllm18Fp8KVCacheDataTypeE1ES0_Li32ELi64ELi256ELb0ELi6EEvPKT_PKT0_S8_ifPKiSA_SA_iPKfiiiPfSD_PS3_PT2_iSC_SC_
		.amdhsa_group_segment_fixed_size 8192
		.amdhsa_private_segment_fixed_size 0
		.amdhsa_kernarg_size 400
		.amdhsa_user_sgpr_count 2
		.amdhsa_user_sgpr_dispatch_ptr 0
		.amdhsa_user_sgpr_queue_ptr 0
		.amdhsa_user_sgpr_kernarg_segment_ptr 1
		.amdhsa_user_sgpr_dispatch_id 0
		.amdhsa_user_sgpr_kernarg_preload_length 0
		.amdhsa_user_sgpr_kernarg_preload_offset 0
		.amdhsa_user_sgpr_private_segment_size 0
		.amdhsa_uses_dynamic_stack 0
		.amdhsa_enable_private_segment 0
		.amdhsa_system_sgpr_workgroup_id_x 1
		.amdhsa_system_sgpr_workgroup_id_y 1
		.amdhsa_system_sgpr_workgroup_id_z 1
		.amdhsa_system_sgpr_workgroup_info 0
		.amdhsa_system_vgpr_workitem_id 0
		.amdhsa_next_free_vgpr 54
		.amdhsa_next_free_sgpr 50
		.amdhsa_accum_offset 56
		.amdhsa_reserve_vcc 1
		.amdhsa_float_round_mode_32 0
		.amdhsa_float_round_mode_16_64 0
		.amdhsa_float_denorm_mode_32 3
		.amdhsa_float_denorm_mode_16_64 3
		.amdhsa_dx10_clamp 1
		.amdhsa_ieee_mode 1
		.amdhsa_fp16_overflow 0
		.amdhsa_tg_split 0
		.amdhsa_exception_fp_ieee_invalid_op 0
		.amdhsa_exception_fp_denorm_src 0
		.amdhsa_exception_fp_ieee_div_zero 0
		.amdhsa_exception_fp_ieee_overflow 0
		.amdhsa_exception_fp_ieee_underflow 0
		.amdhsa_exception_fp_ieee_inexact 0
		.amdhsa_exception_int_div_zero 0
	.end_amdhsa_kernel
	.section	.text._Z39paged_attention_ll4mi_QKV_mfma16_kernelI14__hip_bfloat16hLN4vllm18Fp8KVCacheDataTypeE1ES0_Li32ELi64ELi256ELb0ELi6EEvPKT_PKT0_S8_ifPKiSA_SA_iPKfiiiPfSD_PS3_PT2_iSC_SC_,"axG",@progbits,_Z39paged_attention_ll4mi_QKV_mfma16_kernelI14__hip_bfloat16hLN4vllm18Fp8KVCacheDataTypeE1ES0_Li32ELi64ELi256ELb0ELi6EEvPKT_PKT0_S8_ifPKiSA_SA_iPKfiiiPfSD_PS3_PT2_iSC_SC_,comdat
.Lfunc_end1233:
	.size	_Z39paged_attention_ll4mi_QKV_mfma16_kernelI14__hip_bfloat16hLN4vllm18Fp8KVCacheDataTypeE1ES0_Li32ELi64ELi256ELb0ELi6EEvPKT_PKT0_S8_ifPKiSA_SA_iPKfiiiPfSD_PS3_PT2_iSC_SC_, .Lfunc_end1233-_Z39paged_attention_ll4mi_QKV_mfma16_kernelI14__hip_bfloat16hLN4vllm18Fp8KVCacheDataTypeE1ES0_Li32ELi64ELi256ELb0ELi6EEvPKT_PKT0_S8_ifPKiSA_SA_iPKfiiiPfSD_PS3_PT2_iSC_SC_
                                        ; -- End function
	.section	.AMDGPU.csdata,"",@progbits
; Kernel info:
; codeLenInByte = 4928
; NumSgprs: 56
; NumVgprs: 54
; NumAgprs: 0
; TotalNumVgprs: 54
; ScratchSize: 0
; MemoryBound: 0
; FloatMode: 240
; IeeeMode: 1
; LDSByteSize: 8192 bytes/workgroup (compile time only)
; SGPRBlocks: 6
; VGPRBlocks: 6
; NumSGPRsForWavesPerEU: 56
; NumVGPRsForWavesPerEU: 54
; AccumOffset: 56
; Occupancy: 8
; WaveLimiterHint : 1
; COMPUTE_PGM_RSRC2:SCRATCH_EN: 0
; COMPUTE_PGM_RSRC2:USER_SGPR: 2
; COMPUTE_PGM_RSRC2:TRAP_HANDLER: 0
; COMPUTE_PGM_RSRC2:TGID_X_EN: 1
; COMPUTE_PGM_RSRC2:TGID_Y_EN: 1
; COMPUTE_PGM_RSRC2:TGID_Z_EN: 1
; COMPUTE_PGM_RSRC2:TIDIG_COMP_CNT: 0
; COMPUTE_PGM_RSRC3_GFX90A:ACCUM_OFFSET: 13
; COMPUTE_PGM_RSRC3_GFX90A:TG_SPLIT: 0
	.section	.text._Z39paged_attention_ll4mi_QKV_mfma16_kernelI14__hip_bfloat16hLN4vllm18Fp8KVCacheDataTypeE1ES0_Li32ELi64ELi256ELb0ELi7EEvPKT_PKT0_S8_ifPKiSA_SA_iPKfiiiPfSD_PS3_PT2_iSC_SC_,"axG",@progbits,_Z39paged_attention_ll4mi_QKV_mfma16_kernelI14__hip_bfloat16hLN4vllm18Fp8KVCacheDataTypeE1ES0_Li32ELi64ELi256ELb0ELi7EEvPKT_PKT0_S8_ifPKiSA_SA_iPKfiiiPfSD_PS3_PT2_iSC_SC_,comdat
	.protected	_Z39paged_attention_ll4mi_QKV_mfma16_kernelI14__hip_bfloat16hLN4vllm18Fp8KVCacheDataTypeE1ES0_Li32ELi64ELi256ELb0ELi7EEvPKT_PKT0_S8_ifPKiSA_SA_iPKfiiiPfSD_PS3_PT2_iSC_SC_ ; -- Begin function _Z39paged_attention_ll4mi_QKV_mfma16_kernelI14__hip_bfloat16hLN4vllm18Fp8KVCacheDataTypeE1ES0_Li32ELi64ELi256ELb0ELi7EEvPKT_PKT0_S8_ifPKiSA_SA_iPKfiiiPfSD_PS3_PT2_iSC_SC_
	.globl	_Z39paged_attention_ll4mi_QKV_mfma16_kernelI14__hip_bfloat16hLN4vllm18Fp8KVCacheDataTypeE1ES0_Li32ELi64ELi256ELb0ELi7EEvPKT_PKT0_S8_ifPKiSA_SA_iPKfiiiPfSD_PS3_PT2_iSC_SC_
	.p2align	8
	.type	_Z39paged_attention_ll4mi_QKV_mfma16_kernelI14__hip_bfloat16hLN4vllm18Fp8KVCacheDataTypeE1ES0_Li32ELi64ELi256ELb0ELi7EEvPKT_PKT0_S8_ifPKiSA_SA_iPKfiiiPfSD_PS3_PT2_iSC_SC_,@function
_Z39paged_attention_ll4mi_QKV_mfma16_kernelI14__hip_bfloat16hLN4vllm18Fp8KVCacheDataTypeE1ES0_Li32ELi64ELi256ELb0ELi7EEvPKT_PKT0_S8_ifPKiSA_SA_iPKfiiiPfSD_PS3_PT2_iSC_SC_: ; @_Z39paged_attention_ll4mi_QKV_mfma16_kernelI14__hip_bfloat16hLN4vllm18Fp8KVCacheDataTypeE1ES0_Li32ELi64ELi256ELb0ELi7EEvPKT_PKT0_S8_ifPKiSA_SA_iPKfiiiPfSD_PS3_PT2_iSC_SC_
; %bb.0:
	s_load_dwordx2 s[12:13], s[0:1], 0x30
	s_mov_b32 s28, s3
	s_mov_b64 s[6:7], 0
	s_waitcnt lgkmcnt(0)
	s_cmp_lg_u64 s[12:13], 0
	s_cselect_b64 s[14:15], -1, 0
	s_and_b64 vcc, exec, s[14:15]
	s_cbranch_vccz .LBB1234_7
; %bb.1:
	s_add_i32 s8, s2, 1
	s_mov_b32 s9, 0
	s_lshl_b64 s[10:11], s[8:9], 2
	s_add_u32 s10, s12, s10
	s_mov_b32 s3, s9
	s_addc_u32 s11, s13, s11
	s_lshl_b64 s[8:9], s[2:3], 2
	s_add_u32 s8, s12, s8
	s_addc_u32 s9, s13, s9
	s_load_dword s5, s[10:11], 0x0
	s_load_dword s16, s[8:9], 0x0
	s_waitcnt lgkmcnt(0)
	s_sub_i32 s5, s5, s16
	s_cmp_eq_u32 s5, 1
	s_cselect_b64 s[8:9], -1, 0
	s_andn2_b64 vcc, exec, s[6:7]
	s_cbranch_vccnz .LBB1234_3
.LBB1234_2:
	s_mov_b32 s3, 0
	s_mov_b64 s[8:9], -1
.LBB1234_3:
	s_andn2_b64 vcc, exec, s[8:9]
	s_cbranch_vccnz .LBB1234_18
; %bb.4:
	s_load_dwordx2 s[6:7], s[0:1], 0x28
	s_lshl_b64 s[16:17], s[2:3], 2
	s_waitcnt lgkmcnt(0)
	s_add_u32 s6, s6, s16
	s_addc_u32 s7, s7, s17
	s_load_dword s33, s[6:7], 0x0
	s_lshl_b32 s5, s28, 8
	s_waitcnt lgkmcnt(0)
	s_cmp_ge_i32 s5, s33
	s_cbranch_scc1 .LBB1234_18
; %bb.5:
	s_add_i32 s9, s33, 31
	s_load_dwordx2 s[6:7], s[0:1], 0x20
	s_load_dword s8, s[0:1], 0x38
	s_ashr_i32 s10, s9, 31
	v_and_b32_e32 v1, 0xcf, v0
	s_lshr_b32 s10, s10, 27
	v_add_u32_e32 v1, s5, v1
	s_add_i32 s9, s9, s10
	v_ashrrev_i32_e32 v2, 31, v1
	s_ashr_i32 s18, s9, 5
	v_lshrrev_b32_e32 v10, 27, v2
	s_add_i32 s18, s18, -1
	v_add_u32_e32 v2, v1, v10
	v_or_b32_e32 v4, 16, v1
	s_waitcnt lgkmcnt(0)
	s_mul_i32 s8, s2, s8
	s_mov_b32 s9, 0
	v_ashrrev_i32_e32 v2, 5, v2
	v_mov_b32_e32 v11, s18
	v_cmp_gt_i32_e32 vcc, s33, v1
	v_add_u32_e32 v5, v4, v10
	s_lshl_b64 s[8:9], s[8:9], 2
	v_cndmask_b32_e32 v2, v11, v2, vcc
	v_ashrrev_i32_e32 v5, 5, v5
	v_cmp_gt_i32_e32 vcc, s33, v4
	s_add_u32 s6, s6, s8
	s_addc_u32 s7, s7, s9
	v_cndmask_b32_e32 v4, v11, v5, vcc
	v_ashrrev_i32_e32 v5, 31, v4
	v_lshl_add_u64 v[6:7], v[4:5], 2, s[6:7]
	v_or_b32_e32 v4, 32, v1
	v_add_u32_e32 v5, v4, v10
	v_ashrrev_i32_e32 v5, 5, v5
	v_cmp_gt_i32_e32 vcc, s33, v4
	v_or_b32_e32 v1, 48, v1
	v_ashrrev_i32_e32 v3, 31, v2
	v_cndmask_b32_e32 v4, v11, v5, vcc
	v_ashrrev_i32_e32 v5, 31, v4
	v_lshl_add_u64 v[8:9], v[4:5], 2, s[6:7]
	v_add_u32_e32 v4, v1, v10
	v_ashrrev_i32_e32 v4, 5, v4
	v_cmp_gt_i32_e32 vcc, s33, v1
	v_lshl_add_u64 v[2:3], v[2:3], 2, s[6:7]
	s_load_dwordx4 s[8:11], s[0:1], 0x8
	v_cndmask_b32_e32 v4, v11, v4, vcc
	v_ashrrev_i32_e32 v5, 31, v4
	v_lshl_add_u64 v[14:15], v[4:5], 2, s[6:7]
	global_load_dword v4, v[2:3], off
	global_load_dword v12, v[6:7], off
	;; [unrolled: 1-line block ×4, first 2 shown]
	s_andn2_b64 vcc, exec, s[14:15]
	s_cbranch_vccnz .LBB1234_8
; %bb.6:
	s_add_u32 s12, s12, s16
	s_addc_u32 s13, s13, s17
	s_load_dword s14, s[12:13], 0x0
	s_branch .LBB1234_9
.LBB1234_7:
	s_mov_b64 s[8:9], 0
	s_branch .LBB1234_2
.LBB1234_8:
	s_mov_b32 s14, s2
.LBB1234_9:
	s_load_dwordx4 s[44:47], s[0:1], 0x48
	v_lshrrev_b32_e32 v29, 6, v0
	v_bfe_u32 v42, v0, 4, 2
	v_lshl_or_b32 v2, v29, 2, v42
	v_and_b32_e32 v28, 15, v0
	v_lshlrev_b32_e32 v1, 3, v28
	v_cmp_gt_u32_e32 vcc, 7, v2
	v_cmp_gt_u32_e64 s[30:31], 8, v28
	v_and_b32_e32 v43, 63, v0
	s_mul_i32 s48, s4, 7
	s_and_b64 s[16:17], s[30:31], vcc
	v_lshlrev_b32_e32 v26, 1, v1
	v_lshlrev_b32_e32 v1, 4, v0
	s_and_saveexec_b64 s[12:13], s[16:17]
	s_cbranch_execz .LBB1234_11
; %bb.10:
	s_load_dwordx2 s[16:17], s[0:1], 0x0
	s_waitcnt lgkmcnt(0)
	s_ashr_i32 s15, s44, 31
	s_mul_hi_u32 s19, s14, s44
	s_mul_i32 s15, s14, s15
	s_add_i32 s15, s19, s15
	s_mul_i32 s14, s14, s44
	s_lshl_b64 s[14:15], s[14:15], 1
	s_add_u32 s14, s16, s14
	v_add_lshl_u32 v6, v2, s48, 6
	s_addc_u32 s15, s17, s15
	v_ashrrev_i32_e32 v7, 31, v6
	v_lshl_add_u64 v[6:7], v[6:7], 1, s[14:15]
	v_mov_b32_e32 v27, 0
	v_lshl_add_u64 v[6:7], v[6:7], 0, v[26:27]
	global_load_dwordx4 v[6:9], v[6:7], off
	v_lshlrev_b32_e32 v5, 8, v28
	v_lshlrev_b32_e32 v2, 5, v2
	v_and_b32_e32 v3, 16, v1
	v_and_b32_e32 v5, 0xe00, v5
	v_or3_b32 v2, v5, v2, v3
	s_waitcnt vmcnt(0)
	ds_write_b128 v2, v[6:9]
.LBB1234_11:
	s_or_b64 exec, exec, s[12:13]
	s_waitcnt lgkmcnt(0)
	s_mul_i32 s4, s4, s46
	s_add_u32 s8, s8, s4
	s_addc_u32 s9, s9, 0
	v_mov_b32_e32 v31, 0
	v_mov_b64_e32 v[2:3], s[8:9]
	v_and_b32_e32 v14, 48, v0
	s_waitcnt vmcnt(3)
	v_mad_i64_i32 v[6:7], s[8:9], v4, s45, v[2:3]
	v_lshlrev_b32_e32 v4, 4, v28
	v_mov_b32_e32 v5, v31
	v_lshlrev_b32_e32 v30, 5, v14
	v_lshl_add_u64 v[6:7], v[6:7], 0, v[4:5]
	v_lshl_add_u64 v[6:7], v[6:7], 0, v[30:31]
	s_load_dword s29, s[0:1], 0x98
	s_load_dwordx4 s[40:43], s[0:1], 0x80
	s_waitcnt lgkmcnt(0)
	s_barrier
	global_load_dwordx4 v[6:9], v[6:7], off
	s_waitcnt vmcnt(3)
	v_mad_i64_i32 v[12:13], s[8:9], v12, s45, v[2:3]
	s_ashr_i32 s8, s5, 31
	v_or_b32_e32 v20, s5, v14
	s_lshr_b32 s12, s8, 27
	v_add_u32_e32 v14, s12, v20
	v_ashrrev_i32_e32 v14, 5, v14
	v_mov_b32_e32 v33, s18
	v_cmp_gt_i32_e32 vcc, s33, v20
	v_or_b32_e32 v18, 0x100, v4
	v_mov_b32_e32 v19, v31
	v_cndmask_b32_e32 v14, v33, v14, vcc
	v_ashrrev_i32_e32 v15, 31, v14
	v_lshl_add_u64 v[12:13], v[12:13], 0, v[18:19]
	v_lshl_add_u64 v[14:15], v[14:15], 2, s[6:7]
	;; [unrolled: 1-line block ×3, first 2 shown]
	global_load_dword v52, v[14:15], off
	v_mov_b32_e32 v21, 5
	global_load_dwordx4 v[14:17], v[12:13], off
	v_mul_lo_u16_e32 v12, 37, v28
	v_mov_b32_e32 v13, 7
	v_mul_lo_u16_sdwa v12, v12, v13 dst_sel:DWORD dst_unused:UNUSED_PAD src0_sel:BYTE_1 src1_sel:DWORD
	v_sub_u16_e32 v12, v28, v12
	v_or_b32_e32 v32, 64, v20
	v_or_b32_e32 v34, 0x80, v20
	;; [unrolled: 1-line block ×3, first 2 shown]
	v_lshlrev_b32_sdwa v20, v21, v12 dst_sel:DWORD dst_unused:UNUSED_PAD src0_sel:DWORD src1_sel:BYTE_0
	s_waitcnt vmcnt(4)
	v_mad_i64_i32 v[12:13], s[8:9], v11, s45, v[2:3]
	v_lshl_add_u64 v[4:5], v[12:13], 0, v[4:5]
	v_lshl_add_u64 v[4:5], v[4:5], 0, v[30:31]
	global_load_dwordx4 v[22:25], v[4:5], off
	v_lshl_add_u32 v4, v42, 9, v20
	s_waitcnt vmcnt(4)
	v_mad_i64_i32 v[20:21], s[8:9], v10, s45, v[2:3]
	v_add_u32_e32 v36, s12, v32
	v_add_u32_e32 v37, s12, v34
	v_lshl_add_u64 v[18:19], v[20:21], 0, v[18:19]
	v_ashrrev_i32_e32 v20, 5, v36
	v_cmp_gt_i32_e32 vcc, s33, v32
	v_ashrrev_i32_e32 v21, 5, v37
	v_lshl_add_u64 v[18:19], v[18:19], 0, v[30:31]
	v_cndmask_b32_e32 v32, v33, v20, vcc
	v_cmp_gt_i32_e32 vcc, s33, v34
	ds_read_b128 v[10:13], v4
	ds_read_b128 v[2:5], v4 offset:16
	v_cndmask_b32_e32 v34, v33, v21, vcc
	global_load_dwordx4 v[18:21], v[18:19], off
	v_add_u32_e32 v38, s12, v35
	s_add_u32 s8, s10, s4
	v_ashrrev_i32_e32 v36, 5, v38
	v_cmp_gt_i32_e32 vcc, s33, v35
	v_lshlrev_b32_e32 v27, 5, v28
	s_addc_u32 s9, s11, 0
	v_cndmask_b32_e32 v36, v33, v36, vcc
	v_and_b32_e32 v30, 16, v0
	v_ashrrev_i32_e32 v37, 31, v36
	v_lshl_add_u64 v[38:39], s[8:9], 0, v[30:31]
	v_lshl_or_b32 v30, v29, 9, v27
	v_lshl_add_u64 v[40:41], v[36:37], 2, s[6:7]
	v_lshl_add_u64 v[30:31], v[38:39], 0, v[30:31]
	s_mov_b32 s44, 0x7060302
	v_ashrrev_i32_e32 v33, 31, v32
	v_ashrrev_i32_e32 v35, 31, v34
	v_lshl_add_u64 v[32:33], v[32:33], 2, s[6:7]
	v_lshl_add_u64 v[34:35], v[34:35], 2, s[6:7]
	s_load_dword s13, s[0:1], 0x1c
	s_mov_b32 s46, 0xff7fffff
	s_waitcnt vmcnt(4)
	v_cvt_pk_f32_fp8_e32 v[36:37], v6
	v_cvt_pk_f32_fp8_sdwa v[38:39], v6 src0_sel:WORD_1
	v_cvt_pk_f32_fp8_e32 v[44:45], v7
	v_cvt_pk_f32_fp8_sdwa v[6:7], v7 src0_sel:WORD_1
	v_perm_b32 v36, v37, v36, s44
	v_perm_b32 v37, v39, v38, s44
	v_cvt_pk_f32_fp8_e32 v[46:47], v8
	v_cvt_pk_f32_fp8_sdwa v[48:49], v8 src0_sel:WORD_1
	v_perm_b32 v50, v45, v44, s44
	v_perm_b32 v51, v7, v6, s44
	s_waitcnt lgkmcnt(0)
	v_mfma_f32_16x16x16_bf16 v[36:39], v[36:37], v[10:11], 0
	global_load_dword v44, v[32:33], off
	s_nop 0
	global_load_dword v34, v[34:35], off
	s_nop 0
	global_load_dword v35, v[40:41], off
	v_perm_b32 v32, v47, v46, s44
	v_perm_b32 v33, v49, v48, s44
	v_cvt_pk_f32_fp8_e32 v[40:41], v9
	v_cvt_pk_f32_fp8_sdwa v[8:9], v9 src0_sel:WORD_1
	v_mfma_f32_16x16x16_bf16 v[36:39], v[50:51], v[12:13], v[36:39]
	s_waitcnt vmcnt(6)
	v_mad_i64_i32 v[6:7], s[6:7], v52, s45, v[30:31]
	v_perm_b32 v40, v41, v40, s44
	v_perm_b32 v41, v9, v8, s44
	v_mfma_f32_16x16x16_bf16 v[36:39], v[32:33], v[2:3], v[36:39]
	s_waitcnt vmcnt(5)
	v_cvt_pk_f32_fp8_e32 v[8:9], v14
	v_cvt_pk_f32_fp8_sdwa v[32:33], v14 src0_sel:WORD_1
	v_cvt_pk_f32_fp8_sdwa v[50:51], v16 src0_sel:WORD_1
	v_mfma_f32_16x16x16_bf16 v[36:39], v[40:41], v[4:5], v[36:39]
	v_cvt_pk_f32_fp8_e32 v[40:41], v15
	v_perm_b32 v8, v9, v8, s44
	v_perm_b32 v9, v33, v32, s44
	v_cvt_pk_f32_fp8_sdwa v[14:15], v15 src0_sel:WORD_1
	v_perm_b32 v32, v41, v40, s44
	v_cvt_pk_f32_fp8_e32 v[40:41], v16
	v_mfma_f32_16x16x16_bf16 v[46:49], v[8:9], v[10:11], 0
	v_perm_b32 v33, v15, v14, s44
	v_perm_b32 v8, v41, v40, s44
	v_perm_b32 v9, v51, v50, s44
	v_cvt_pk_f32_fp8_e32 v[40:41], v17
	v_cvt_pk_f32_fp8_sdwa v[50:51], v17 src0_sel:WORD_1
	v_mfma_f32_16x16x16_bf16 v[14:17], v[32:33], v[12:13], v[46:49]
	s_waitcnt vmcnt(4)
	v_cvt_pk_f32_fp8_sdwa v[52:53], v24 src0_sel:WORD_1
	v_perm_b32 v32, v41, v40, s44
	v_perm_b32 v33, v51, v50, s44
	v_mfma_f32_16x16x16_bf16 v[14:17], v[8:9], v[2:3], v[14:17]
	v_cvt_pk_f32_fp8_e32 v[8:9], v22
	v_cvt_pk_f32_fp8_sdwa v[40:41], v22 src0_sel:WORD_1
	s_load_dword s4, s[40:41], 0x0
	v_mfma_f32_16x16x16_bf16 v[14:17], v[32:33], v[4:5], v[14:17]
	v_cvt_pk_f32_fp8_e32 v[32:33], v23
	v_perm_b32 v8, v9, v8, s44
	v_perm_b32 v9, v41, v40, s44
	v_cvt_pk_f32_fp8_sdwa v[22:23], v23 src0_sel:WORD_1
	v_perm_b32 v32, v33, v32, s44
	v_cvt_pk_f32_fp8_e32 v[40:41], v24
	v_mfma_f32_16x16x16_bf16 v[46:49], v[8:9], v[10:11], 0
	v_perm_b32 v33, v23, v22, s44
	v_perm_b32 v8, v41, v40, s44
	;; [unrolled: 1-line block ×3, first 2 shown]
	v_cvt_pk_f32_fp8_e32 v[40:41], v25
	v_cvt_pk_f32_fp8_sdwa v[24:25], v25 src0_sel:WORD_1
	v_mfma_f32_16x16x16_bf16 v[46:49], v[32:33], v[12:13], v[46:49]
	v_mov_b32_e32 v45, s13
	s_waitcnt lgkmcnt(0)
	v_mul_f32_e32 v50, s4, v45
	v_perm_b32 v32, v41, v40, s44
	v_perm_b32 v33, v25, v24, s44
	v_pk_mul_f32 v[22:23], v[50:51], v[38:39] op_sel_hi:[0,1]
	v_mfma_f32_16x16x16_bf16 v[38:41], v[8:9], v[2:3], v[46:49]
	v_pk_mul_f32 v[8:9], v[50:51], v[36:37] op_sel_hi:[0,1]
	s_waitcnt vmcnt(3)
	v_cvt_pk_f32_fp8_e32 v[24:25], v18
	v_cvt_pk_f32_fp8_sdwa v[36:37], v18 src0_sel:WORD_1
	v_mfma_f32_16x16x16_bf16 v[46:49], v[32:33], v[4:5], v[38:41]
	v_cvt_pk_f32_fp8_e32 v[32:33], v19
	v_perm_b32 v24, v25, v24, s44
	v_perm_b32 v25, v37, v36, s44
	v_cvt_pk_f32_fp8_sdwa v[18:19], v19 src0_sel:WORD_1
	v_perm_b32 v32, v33, v32, s44
	v_cvt_pk_f32_fp8_e32 v[40:41], v20
	v_cvt_pk_f32_fp8_sdwa v[52:53], v20 src0_sel:WORD_1
	v_perm_b32 v33, v19, v18, s44
	v_mfma_f32_16x16x16_bf16 v[36:39], v[24:25], v[10:11], 0
	v_perm_b32 v18, v41, v40, s44
	v_perm_b32 v19, v53, v52, s44
	v_cvt_pk_f32_fp8_e32 v[24:25], v21
	v_cvt_pk_f32_fp8_sdwa v[20:21], v21 src0_sel:WORD_1
	v_mfma_f32_16x16x16_bf16 v[10:13], v[32:33], v[12:13], v[36:39]
	v_pk_mul_f32 v[40:41], v[50:51], v[14:15] op_sel_hi:[0,1]
	v_pk_mul_f32 v[32:33], v[50:51], v[48:49] op_sel_hi:[0,1]
	s_nop 0
	v_pk_mul_f32 v[36:37], v[50:51], v[16:17] op_sel_hi:[0,1]
	v_perm_b32 v16, v25, v24, s44
	v_perm_b32 v17, v21, v20, s44
	v_mfma_f32_16x16x16_bf16 v[10:13], v[18:19], v[2:3], v[10:13]
	v_pk_mul_f32 v[38:39], v[50:51], v[46:47] op_sel_hi:[0,1]
	v_mfma_f32_16x16x16_bf16 v[2:5], v[16:17], v[4:5], v[10:13]
	s_nop 6
	v_pk_mul_f32 v[24:25], v[50:51], v[2:3] op_sel_hi:[0,1]
	v_and_b32_e32 v2, 0xc0, v0
	v_add_u32_e32 v2, s5, v2
	v_lshl_or_b32 v2, v42, 2, v2
	v_pk_mul_f32 v[18:19], v[50:51], v[4:5] op_sel_hi:[0,1]
	v_or_b32_e32 v5, 1, v2
	v_mov_b32_e32 v3, 0xff7fffff
	v_cmp_gt_i32_e64 s[4:5], s33, v2
	v_cmp_gt_i32_e64 s[34:35], s33, v5
	v_or_b32_e32 v10, 3, v2
	v_cndmask_b32_e64 v4, v3, v8, s[4:5]
	v_cndmask_b32_e64 v5, v3, v9, s[34:35]
	v_max3_f32 v4, v4, s46, v5
	v_or_b32_e32 v5, 2, v2
	v_cmp_gt_i32_e64 s[36:37], s33, v5
	v_cmp_gt_i32_e64 s[38:39], s33, v10
	s_nop 0
	v_cndmask_b32_e64 v5, v3, v22, s[36:37]
	v_cndmask_b32_e64 v10, v3, v23, s[38:39]
	v_max3_f32 v4, v4, v5, v10
	v_or_b32_e32 v5, 16, v2
	v_or_b32_e32 v10, 17, v2
	v_cmp_gt_i32_e64 s[24:25], s33, v5
	v_cmp_gt_i32_e64 s[26:27], s33, v10
	s_nop 0
	v_cndmask_b32_e64 v5, v3, v40, s[24:25]
	v_cndmask_b32_e64 v10, v3, v41, s[26:27]
	v_max3_f32 v4, v4, v5, v10
	v_or_b32_e32 v5, 18, v2
	;; [unrolled: 8-line block ×6, first 2 shown]
	v_or_b32_e32 v2, 51, v2
	v_cmp_gt_i32_e32 vcc, s33, v5
	v_cmp_gt_i32_e64 s[6:7], s33, v2
	s_nop 0
	v_cndmask_b32_e32 v5, v3, v18, vcc
	v_cndmask_b32_e64 v2, v3, v19, s[6:7]
	v_max3_f32 v4, v4, v5, v2
	v_mbcnt_lo_u32_b32 v2, -1, 0
	v_mbcnt_hi_u32_b32 v5, -1, v2
	v_and_b32_e32 v2, 64, v5
	v_add_u32_e32 v20, 64, v2
	v_xor_b32_e32 v2, 32, v5
	v_cmp_lt_i32_e64 s[40:41], v2, v20
	s_nop 1
	v_cndmask_b32_e64 v2, v5, v2, s[40:41]
	v_lshlrev_b32_e32 v45, 2, v2
	ds_bpermute_b32 v21, v45, v4
	s_waitcnt vmcnt(2)
	v_mad_i64_i32 v[2:3], s[40:41], v44, s45, v[30:31]
	global_load_dwordx4 v[14:17], v[6:7], off
	global_load_dwordx4 v[10:13], v[2:3], off
	v_xor_b32_e32 v3, 16, v5
	v_cmp_lt_i32_e64 s[40:41], v3, v20
	s_waitcnt lgkmcnt(0)
	v_max_f32_e32 v2, v21, v21
	v_max_f32_e32 v2, v4, v2
	v_cndmask_b32_e64 v3, v5, v3, s[40:41]
	v_lshlrev_b32_e32 v46, 2, v3
	ds_bpermute_b32 v3, v46, v2
	s_waitcnt vmcnt(3)
	v_mad_i64_i32 v[20:21], s[40:41], v34, s45, v[30:31]
	s_waitcnt vmcnt(2)
	v_mad_i64_i32 v[30:31], s[40:41], v35, s45, v[30:31]
	s_waitcnt lgkmcnt(0)
	v_max_f32_e32 v3, v3, v3
	v_max_f32_e32 v44, v2, v3
	v_sub_f32_e32 v2, v8, v44
	v_mul_f32_e32 v2, 0x3fb8aa3b, v2
	v_exp_f32_e32 v34, v2
	v_sub_f32_e32 v2, v9, v44
	v_mul_f32_e32 v2, 0x3fb8aa3b, v2
	v_exp_f32_e32 v35, v2
	global_load_dwordx4 v[6:9], v[20:21], off
	global_load_dwordx4 v[2:5], v[30:31], off
	v_sub_f32_e32 v22, v22, v44
	v_mul_f32_e32 v22, 0x3fb8aa3b, v22
	v_sub_f32_e32 v23, v23, v44
	v_exp_f32_e32 v22, v22
	v_mul_f32_e32 v23, 0x3fb8aa3b, v23
	v_exp_f32_e32 v23, v23
	v_cndmask_b32_e64 v20, 0, v34, s[4:5]
	v_add_f32_e32 v30, 0, v20
	v_cndmask_b32_e64 v21, 0, v35, s[34:35]
	v_add_f32_e32 v30, v30, v21
	;; [unrolled: 2-line block ×3, first 2 shown]
	v_cndmask_b32_e64 v35, 0, v23, s[38:39]
	v_sub_f32_e32 v23, v40, v44
	v_sub_f32_e32 v30, v41, v44
	v_mul_f32_e32 v23, 0x3fb8aa3b, v23
	v_mul_f32_e32 v30, 0x3fb8aa3b, v30
	v_exp_f32_e32 v23, v23
	v_exp_f32_e32 v30, v30
	v_add_f32_e32 v31, v22, v35
	v_sub_f32_e32 v32, v32, v44
	v_cndmask_b32_e64 v22, 0, v23, s[24:25]
	v_cndmask_b32_e64 v23, 0, v30, s[26:27]
	v_sub_f32_e32 v30, v36, v44
	v_mul_f32_e32 v30, 0x3fb8aa3b, v30
	v_exp_f32_e32 v30, v30
	v_sub_f32_e32 v36, v37, v44
	v_add_f32_e32 v31, v31, v22
	v_mul_f32_e32 v36, 0x3fb8aa3b, v36
	v_exp_f32_e32 v37, v36
	v_add_f32_e32 v31, v31, v23
	v_cndmask_b32_e64 v36, 0, v30, s[20:21]
	v_add_f32_e32 v30, v31, v36
	v_sub_f32_e32 v31, v38, v44
	v_mul_f32_e32 v31, 0x3fb8aa3b, v31
	v_sub_f32_e32 v38, v39, v44
	v_exp_f32_e32 v31, v31
	v_mul_f32_e32 v38, 0x3fb8aa3b, v38
	v_exp_f32_e32 v38, v38
	v_mul_f32_e32 v32, 0x3fb8aa3b, v32
	v_sub_f32_e32 v33, v33, v44
	v_exp_f32_e32 v32, v32
	v_mul_f32_e32 v33, 0x3fb8aa3b, v33
	v_sub_f32_e32 v24, v24, v44
	v_cndmask_b32_e64 v37, 0, v37, s[22:23]
	v_exp_f32_e32 v33, v33
	v_mul_f32_e32 v24, 0x3fb8aa3b, v24
	v_sub_f32_e32 v25, v25, v44
	v_add_f32_e32 v39, v30, v37
	v_cndmask_b32_e64 v30, 0, v31, s[16:17]
	v_exp_f32_e32 v24, v24
	v_mul_f32_e32 v25, 0x3fb8aa3b, v25
	v_sub_f32_e32 v18, v18, v44
	v_add_f32_e32 v39, v39, v30
	v_cndmask_b32_e64 v31, 0, v38, s[18:19]
	v_exp_f32_e32 v25, v25
	v_mul_f32_e32 v18, 0x3fb8aa3b, v18
	v_sub_f32_e32 v19, v19, v44
	v_add_f32_e32 v38, v39, v31
	v_cndmask_b32_e64 v32, 0, v32, s[12:13]
	v_exp_f32_e32 v18, v18
	v_mul_f32_e32 v19, 0x3fb8aa3b, v19
	v_add_f32_e32 v38, v38, v32
	v_cndmask_b32_e64 v33, 0, v33, s[14:15]
	v_exp_f32_e32 v19, v19
	v_add_f32_e32 v38, v38, v33
	v_cndmask_b32_e64 v24, 0, v24, s[8:9]
	v_add_f32_e32 v38, v38, v24
	v_cndmask_b32_e64 v25, 0, v25, s[10:11]
	v_add_f32_e32 v38, v38, v25
	v_cndmask_b32_e32 v18, 0, v18, vcc
	v_add_f32_e32 v38, v38, v18
	v_cndmask_b32_e64 v19, 0, v19, s[6:7]
	v_add_f32_e32 v38, v38, v19
	ds_bpermute_b32 v39, v45, v38
	v_cmp_gt_u32_e32 vcc, 16, v43
	s_waitcnt lgkmcnt(0)
	s_barrier
	v_add_f32_e32 v38, v38, v39
	ds_bpermute_b32 v40, v46, v38
	v_lshlrev_b32_e32 v39, 2, v28
	s_and_saveexec_b64 s[4:5], vcc
	s_cbranch_execz .LBB1234_13
; %bb.12:
	s_waitcnt lgkmcnt(0)
	v_add_f32_e32 v38, v38, v40
	v_lshl_or_b32 v40, v29, 6, v39
	ds_write2st64_b32 v40, v44, v38 offset1:1
.LBB1234_13:
	s_or_b64 exec, exec, s[4:5]
	s_load_dword s6, s[0:1], 0x94
	s_waitcnt lgkmcnt(0)
	s_barrier
	ds_read2_b32 v[40:41], v39 offset1:16
	ds_read2_b32 v[44:45], v39 offset0:32 offset1:48
	ds_read2_b32 v[46:47], v39 offset0:64 offset1:80
	s_movk_i32 s8, 0x7fff
	s_mul_i32 s7, s29, 7
	s_waitcnt lgkmcnt(2)
	v_max3_f32 v38, v40, s46, v41
	s_waitcnt lgkmcnt(1)
	v_max3_f32 v38, v38, v44, v45
	v_sub_f32_e32 v40, v40, v38
	v_mul_f32_e32 v40, 0x3fb8aa3b, v40
	v_exp_f32_e32 v43, v40
	v_sub_f32_e32 v40, v41, v38
	v_mul_f32_e32 v40, 0x3fb8aa3b, v40
	v_exp_f32_e32 v48, v40
	;; [unrolled: 3-line block ×3, first 2 shown]
	ds_read2_b32 v[40:41], v39 offset0:96 offset1:112
	v_sub_f32_e32 v39, v45, v38
	v_mul_f32_e32 v39, 0x3fb8aa3b, v39
	v_exp_f32_e32 v45, v39
	s_waitcnt lgkmcnt(1)
	v_fma_f32 v39, v43, v46, 0
	v_fmac_f32_e32 v39, v48, v47
	s_waitcnt lgkmcnt(0)
	v_fmac_f32_e32 v39, v44, v40
	v_fmac_f32_e32 v39, v45, v41
	v_add_f32_e32 v40, 0x358637bd, v39
	v_div_scale_f32 v41, s[4:5], v40, v40, 1.0
	v_rcp_f32_e32 v46, v41
	s_barrier
	v_fma_f32 v47, -v41, v46, 1.0
	v_fmac_f32_e32 v46, v47, v46
	v_div_scale_f32 v47, vcc, 1.0, v40, 1.0
	v_mul_f32_e32 v49, v47, v46
	v_fma_f32 v50, -v41, v49, v47
	v_fmac_f32_e32 v49, v50, v46
	v_fma_f32 v41, -v41, v49, v47
	v_div_fmas_f32 v41, v41, v46, v49
	v_cmp_eq_u32_e32 vcc, 1, v29
	v_div_fixup_f32 v40, v41, v40, 1.0
	s_nop 0
	v_cndmask_b32_e32 v41, v43, v48, vcc
	v_cmp_eq_u32_e32 vcc, 2, v29
	s_nop 1
	v_cndmask_b32_e32 v41, v41, v44, vcc
	v_cmp_eq_u32_e32 vcc, 3, v29
	s_nop 1
	v_cndmask_b32_e32 v41, v41, v45, vcc
	v_mul_f32_e32 v40, v41, v40
	v_pk_mul_f32 v[20:21], v[40:41], v[20:21] op_sel_hi:[0,1]
	v_pk_mul_f32 v[34:35], v[40:41], v[34:35] op_sel_hi:[0,1]
	v_bfe_u32 v41, v21, 16, 1
	v_bfe_u32 v43, v20, 16, 1
	v_add3_u32 v20, v20, v43, s8
	v_add3_u32 v21, v21, v41, s8
	v_perm_b32 v44, v21, v20, s44
	v_bfe_u32 v20, v35, 16, 1
	v_bfe_u32 v21, v34, 16, 1
	v_add3_u32 v21, v34, v21, s8
	v_add3_u32 v20, v35, v20, s8
	v_perm_b32 v45, v20, v21, s44
	v_lshlrev_b32_e32 v20, 3, v42
	v_lshlrev_b32_e32 v21, 11, v29
	v_pk_mul_f32 v[22:23], v[40:41], v[22:23] op_sel_hi:[0,1]
	v_or3_b32 v20, v21, v27, v20
	v_bfe_u32 v21, v23, 16, 1
	v_bfe_u32 v29, v22, 16, 1
	v_pk_mul_f32 v[34:35], v[40:41], v[36:37] op_sel_hi:[0,1]
	v_add3_u32 v22, v22, v29, s8
	v_add3_u32 v21, v23, v21, s8
	v_perm_b32 v22, v21, v22, s44
	v_bfe_u32 v21, v35, 16, 1
	v_bfe_u32 v23, v34, 16, 1
	v_add3_u32 v23, v34, v23, s8
	v_add3_u32 v21, v35, v21, s8
	v_pk_mul_f32 v[30:31], v[40:41], v[30:31] op_sel_hi:[0,1]
	v_perm_b32 v23, v21, v23, s44
	v_bfe_u32 v21, v31, 16, 1
	v_bfe_u32 v29, v30, 16, 1
	ds_write2st64_b64 v20, v[44:45], v[22:23] offset1:1
	v_pk_mul_f32 v[22:23], v[40:41], v[32:33] op_sel_hi:[0,1]
	v_add3_u32 v29, v30, v29, s8
	v_add3_u32 v21, v31, v21, s8
	v_perm_b32 v30, v21, v29, s44
	v_bfe_u32 v21, v23, 16, 1
	v_bfe_u32 v29, v22, 16, 1
	v_add3_u32 v22, v22, v29, s8
	v_add3_u32 v21, v23, v21, s8
	v_perm_b32 v31, v21, v22, s44
	v_pk_mul_f32 v[22:23], v[40:41], v[24:25] op_sel_hi:[0,1]
	v_bfe_u32 v21, v23, 16, 1
	v_bfe_u32 v24, v22, 16, 1
	v_pk_mul_f32 v[18:19], v[40:41], v[18:19] op_sel_hi:[0,1]
	v_add3_u32 v22, v22, v24, s8
	v_add3_u32 v21, v23, v21, s8
	v_perm_b32 v22, v21, v22, s44
	v_bfe_u32 v21, v19, 16, 1
	v_bfe_u32 v23, v18, 16, 1
	v_add3_u32 v18, v18, v23, s8
	v_add3_u32 v19, v19, v21, s8
	v_perm_b32 v23, v19, v18, s44
	v_cmp_gt_u32_e32 vcc, 7, v0
	ds_write2st64_b64 v20, v[30:31], v[22:23] offset0:2 offset1:3
	s_and_saveexec_b64 s[4:5], vcc
	s_cbranch_execz .LBB1234_15
; %bb.14:
	s_mov_b32 s49, 0
	v_mov_b32_e32 v29, 0
	v_lshl_add_u64 v[18:19], s[48:49], 0, v[28:29]
	v_mov_b32_e32 v21, s7
	v_mad_u64_u32 v[18:19], s[10:11], s2, v21, v[18:19]
	s_mul_i32 s3, s3, s7
	v_mov_b32_e32 v28, s28
	s_load_dwordx4 s[12:15], s[0:1], 0x58
	v_add_u32_e32 v21, s3, v19
	v_mad_u64_u32 v[18:19], s[10:11], v18, s6, v[28:29]
	v_mov_b32_e32 v22, v19
	v_mad_u64_u32 v[22:23], s[10:11], v21, s6, v[22:23]
	v_mov_b32_e32 v19, v22
	v_lshlrev_b64 v[18:19], 2, v[18:19]
	s_waitcnt lgkmcnt(0)
	v_lshl_add_u64 v[22:23], s[14:15], 0, v[18:19]
	v_lshl_add_u64 v[18:19], s[12:13], 0, v[18:19]
	global_store_dword v[22:23], v38, off
	global_store_dword v[18:19], v39, off
.LBB1234_15:
	s_or_b64 exec, exec, s[4:5]
	s_waitcnt vmcnt(3)
	v_cvt_pk_f32_fp8_e32 v[18:19], v14
	v_cvt_pk_f32_fp8_sdwa v[22:23], v14 src0_sel:WORD_1
	s_mov_b32 s4, 0x7060302
	v_lshl_or_b32 v14, v42, 9, v27
	s_waitcnt lgkmcnt(0)
	s_barrier
	v_perm_b32 v18, v19, v18, s4
	v_perm_b32 v19, v23, v22, s4
	v_cvt_pk_f32_fp8_e32 v[28:29], v15
	ds_read_b128 v[22:25], v14
	v_cvt_pk_f32_fp8_sdwa v[36:37], v15 src0_sel:WORD_1
	s_load_dword s10, s[42:43], 0x0
	v_perm_b32 v38, v29, v28, s4
	ds_read_b128 v[28:31], v14 offset:16
	v_perm_b32 v39, v37, v36, s4
	s_waitcnt lgkmcnt(0)
	v_mfma_f32_16x16x16_bf16 v[32:35], v[18:19], v[22:23], 0
	v_cvt_pk_f32_fp8_e32 v[18:19], v16
	v_cvt_pk_f32_fp8_sdwa v[36:37], v16 src0_sel:WORD_1
	v_cmp_gt_u32_e32 vcc, 64, v0
	v_mfma_f32_16x16x16_bf16 v[22:25], v[38:39], v[24:25], v[32:35]
	v_perm_b32 v18, v19, v18, s4
	v_perm_b32 v19, v37, v36, s4
	s_waitcnt vmcnt(2)
	v_cvt_pk_f32_fp8_sdwa v[36:37], v10 src0_sel:WORD_1
	v_cvt_pk_f32_fp8_e32 v[32:33], v17
	v_cvt_pk_f32_fp8_sdwa v[16:17], v17 src0_sel:WORD_1
	v_cvt_pk_f32_fp8_e32 v[34:35], v10
	s_mov_b32 s3, 0
	v_perm_b32 v32, v33, v32, s4
	v_perm_b32 v33, v17, v16, s4
	v_mfma_f32_16x16x16_bf16 v[16:19], v[18:19], v[28:29], v[22:25]
	v_perm_b32 v34, v35, v34, s4
	v_perm_b32 v35, v37, v36, s4
	v_cvt_pk_f32_fp8_e32 v[28:29], v11
	ds_read_b128 v[22:25], v14 offset:2048
	v_cvt_pk_f32_fp8_sdwa v[10:11], v11 src0_sel:WORD_1
	v_mfma_f32_16x16x16_bf16 v[16:19], v[32:33], v[30:31], v[16:19]
	v_perm_b32 v32, v29, v28, s4
	ds_read_b128 v[28:31], v14 offset:2064
	v_perm_b32 v33, v11, v10, s4
	s_waitcnt lgkmcnt(1)
	v_mfma_f32_16x16x16_bf16 v[16:19], v[34:35], v[22:23], v[16:19]
	v_cvt_pk_f32_fp8_e32 v[10:11], v12
	v_cvt_pk_f32_fp8_sdwa v[22:23], v12 src0_sel:WORD_1
	v_mov_b32_e32 v27, 0
	v_mfma_f32_16x16x16_bf16 v[16:19], v[32:33], v[24:25], v[16:19]
	v_cvt_pk_f32_fp8_e32 v[24:25], v13
	v_perm_b32 v10, v11, v10, s4
	v_perm_b32 v11, v23, v22, s4
	v_cvt_pk_f32_fp8_sdwa v[12:13], v13 src0_sel:WORD_1
	v_perm_b32 v22, v25, v24, s4
	s_waitcnt vmcnt(1)
	v_cvt_pk_f32_fp8_e32 v[24:25], v6
	v_cvt_pk_f32_fp8_sdwa v[32:33], v6 src0_sel:WORD_1
	v_perm_b32 v23, v13, v12, s4
	s_waitcnt lgkmcnt(0)
	v_mfma_f32_16x16x16_bf16 v[10:13], v[10:11], v[28:29], v[16:19]
	v_perm_b32 v28, v25, v24, s4
	v_perm_b32 v29, v33, v32, s4
	v_cvt_pk_f32_fp8_e32 v[24:25], v7
	ds_read_b128 v[16:19], v14 offset:4096
	v_cvt_pk_f32_fp8_sdwa v[6:7], v7 src0_sel:WORD_1
	v_mfma_f32_16x16x16_bf16 v[10:13], v[22:23], v[30:31], v[10:13]
	v_perm_b32 v30, v25, v24, s4
	ds_read_b128 v[22:25], v14 offset:4112
	v_perm_b32 v31, v7, v6, s4
	s_waitcnt lgkmcnt(1)
	v_mfma_f32_16x16x16_bf16 v[10:13], v[28:29], v[16:17], v[10:13]
	v_cvt_pk_f32_fp8_e32 v[6:7], v8
	v_cvt_pk_f32_fp8_sdwa v[16:17], v8 src0_sel:WORD_1
	s_waitcnt vmcnt(0)
	v_cvt_pk_f32_fp8_sdwa v[28:29], v2 src0_sel:WORD_1
	v_mfma_f32_16x16x16_bf16 v[10:13], v[30:31], v[18:19], v[10:13]
	v_cvt_pk_f32_fp8_e32 v[18:19], v9
	v_perm_b32 v6, v7, v6, s4
	v_perm_b32 v7, v17, v16, s4
	v_cvt_pk_f32_fp8_sdwa v[8:9], v9 src0_sel:WORD_1
	v_perm_b32 v16, v19, v18, s4
	v_cvt_pk_f32_fp8_e32 v[18:19], v2
	v_perm_b32 v17, v9, v8, s4
	s_waitcnt lgkmcnt(0)
	v_mfma_f32_16x16x16_bf16 v[6:9], v[6:7], v[22:23], v[10:13]
	v_perm_b32 v18, v19, v18, s4
	v_perm_b32 v19, v29, v28, s4
	v_cvt_pk_f32_fp8_e32 v[22:23], v3
	ds_read_b128 v[10:13], v14 offset:6144
	v_cvt_pk_f32_fp8_sdwa v[2:3], v3 src0_sel:WORD_1
	v_mfma_f32_16x16x16_bf16 v[6:9], v[16:17], v[24:25], v[6:9]
	v_perm_b32 v22, v23, v22, s4
	ds_read_b128 v[14:17], v14 offset:6160
	v_perm_b32 v23, v3, v2, s4
	s_waitcnt lgkmcnt(1)
	v_mfma_f32_16x16x16_bf16 v[6:9], v[18:19], v[10:11], v[6:9]
	v_cvt_pk_f32_fp8_e32 v[2:3], v4
	v_cvt_pk_f32_fp8_sdwa v[10:11], v4 src0_sel:WORD_1
	s_waitcnt lgkmcnt(0)
	v_mfma_f32_16x16x16_bf16 v[6:9], v[22:23], v[12:13], v[6:9]
	v_perm_b32 v2, v3, v2, s4
	v_perm_b32 v3, v11, v10, s4
	v_cvt_pk_f32_fp8_e32 v[10:11], v5
	v_cvt_pk_f32_fp8_sdwa v[4:5], v5 src0_sel:WORD_1
	s_barrier
	v_perm_b32 v10, v11, v10, s4
	v_perm_b32 v11, v5, v4, s4
	v_mfma_f32_16x16x16_bf16 v[2:5], v[2:3], v[14:15], v[6:9]
	s_nop 0
	v_mfma_f32_16x16x16_bf16 v[2:5], v[10:11], v[16:17], v[2:5]
	s_nop 6
	v_pk_mul_f32 v[2:3], v[2:3], s[10:11] op_sel_hi:[1,0]
	v_pk_mul_f32 v[4:5], v[4:5], s[10:11] op_sel_hi:[1,0]
	v_bfe_u32 v6, v3, 16, 1
	v_bfe_u32 v7, v2, 16, 1
	v_add3_u32 v2, v2, v7, s8
	v_add3_u32 v3, v3, v6, s8
	v_perm_b32 v2, v3, v2, s4
	v_bfe_u32 v3, v5, 16, 1
	v_bfe_u32 v6, v4, 16, 1
	v_add3_u32 v4, v4, v6, s8
	v_add3_u32 v3, v5, v3, s8
	v_perm_b32 v3, v3, v4, s4
	s_and_b64 s[4:5], vcc, s[30:31]
	ds_write_b64 v20, v[2:3]
	s_waitcnt lgkmcnt(0)
	s_barrier
	s_and_saveexec_b64 s[8:9], s[4:5]
	s_cbranch_execz .LBB1234_18
; %bb.16:
	s_load_dwordx2 s[4:5], s[0:1], 0x68
	s_lshl_b32 s0, s6, 6
	s_mul_i32 s1, s7, s2
	s_mul_hi_u32 s7, s1, s0
	s_mul_i32 s6, s1, s0
	v_lshlrev_b32_e32 v0, 10, v0
	s_lshl_b64 s[6:7], s[6:7], 1
	v_and_b32_e32 v0, 0x1800, v0
	v_lshlrev_b32_e32 v2, 5, v42
	v_and_b32_e32 v1, 16, v1
	s_waitcnt lgkmcnt(0)
	s_add_u32 s1, s4, s6
	v_or3_b32 v2, v0, v2, v1
	s_addc_u32 s4, s5, s7
	s_lshl_b32 s2, s28, 6
	s_lshl_b64 s[2:3], s[2:3], 1
	ds_read_b128 v[4:7], v2
	s_add_u32 s2, s1, s2
	s_addc_u32 s3, s4, s3
	v_add_u32_e32 v3, s48, v42
	v_lshl_add_u64 v[0:1], s[2:3], 0, v[26:27]
	v_mad_u64_u32 v[8:9], s[2:3], v3, s0, 0
	v_lshl_add_u64 v[8:9], v[8:9], 1, v[0:1]
	v_cmp_ne_u32_e32 vcc, 3, v42
	s_waitcnt lgkmcnt(0)
	global_store_dwordx4 v[8:9], v[4:7], off
	s_and_b64 exec, exec, vcc
	s_cbranch_execz .LBB1234_18
; %bb.17:
	ds_read_b128 v[2:5], v2 offset:128
	v_add3_u32 v6, s48, v42, 4
	v_mad_u64_u32 v[6:7], s[0:1], v6, s0, 0
	v_lshl_add_u64 v[0:1], v[6:7], 1, v[0:1]
	s_waitcnt lgkmcnt(0)
	global_store_dwordx4 v[0:1], v[2:5], off
.LBB1234_18:
	s_endpgm
	.section	.rodata,"a",@progbits
	.p2align	6, 0x0
	.amdhsa_kernel _Z39paged_attention_ll4mi_QKV_mfma16_kernelI14__hip_bfloat16hLN4vllm18Fp8KVCacheDataTypeE1ES0_Li32ELi64ELi256ELb0ELi7EEvPKT_PKT0_S8_ifPKiSA_SA_iPKfiiiPfSD_PS3_PT2_iSC_SC_
		.amdhsa_group_segment_fixed_size 8192
		.amdhsa_private_segment_fixed_size 0
		.amdhsa_kernarg_size 400
		.amdhsa_user_sgpr_count 2
		.amdhsa_user_sgpr_dispatch_ptr 0
		.amdhsa_user_sgpr_queue_ptr 0
		.amdhsa_user_sgpr_kernarg_segment_ptr 1
		.amdhsa_user_sgpr_dispatch_id 0
		.amdhsa_user_sgpr_kernarg_preload_length 0
		.amdhsa_user_sgpr_kernarg_preload_offset 0
		.amdhsa_user_sgpr_private_segment_size 0
		.amdhsa_uses_dynamic_stack 0
		.amdhsa_enable_private_segment 0
		.amdhsa_system_sgpr_workgroup_id_x 1
		.amdhsa_system_sgpr_workgroup_id_y 1
		.amdhsa_system_sgpr_workgroup_id_z 1
		.amdhsa_system_sgpr_workgroup_info 0
		.amdhsa_system_vgpr_workitem_id 0
		.amdhsa_next_free_vgpr 54
		.amdhsa_next_free_sgpr 50
		.amdhsa_accum_offset 56
		.amdhsa_reserve_vcc 1
		.amdhsa_float_round_mode_32 0
		.amdhsa_float_round_mode_16_64 0
		.amdhsa_float_denorm_mode_32 3
		.amdhsa_float_denorm_mode_16_64 3
		.amdhsa_dx10_clamp 1
		.amdhsa_ieee_mode 1
		.amdhsa_fp16_overflow 0
		.amdhsa_tg_split 0
		.amdhsa_exception_fp_ieee_invalid_op 0
		.amdhsa_exception_fp_denorm_src 0
		.amdhsa_exception_fp_ieee_div_zero 0
		.amdhsa_exception_fp_ieee_overflow 0
		.amdhsa_exception_fp_ieee_underflow 0
		.amdhsa_exception_fp_ieee_inexact 0
		.amdhsa_exception_int_div_zero 0
	.end_amdhsa_kernel
	.section	.text._Z39paged_attention_ll4mi_QKV_mfma16_kernelI14__hip_bfloat16hLN4vllm18Fp8KVCacheDataTypeE1ES0_Li32ELi64ELi256ELb0ELi7EEvPKT_PKT0_S8_ifPKiSA_SA_iPKfiiiPfSD_PS3_PT2_iSC_SC_,"axG",@progbits,_Z39paged_attention_ll4mi_QKV_mfma16_kernelI14__hip_bfloat16hLN4vllm18Fp8KVCacheDataTypeE1ES0_Li32ELi64ELi256ELb0ELi7EEvPKT_PKT0_S8_ifPKiSA_SA_iPKfiiiPfSD_PS3_PT2_iSC_SC_,comdat
.Lfunc_end1234:
	.size	_Z39paged_attention_ll4mi_QKV_mfma16_kernelI14__hip_bfloat16hLN4vllm18Fp8KVCacheDataTypeE1ES0_Li32ELi64ELi256ELb0ELi7EEvPKT_PKT0_S8_ifPKiSA_SA_iPKfiiiPfSD_PS3_PT2_iSC_SC_, .Lfunc_end1234-_Z39paged_attention_ll4mi_QKV_mfma16_kernelI14__hip_bfloat16hLN4vllm18Fp8KVCacheDataTypeE1ES0_Li32ELi64ELi256ELb0ELi7EEvPKT_PKT0_S8_ifPKiSA_SA_iPKfiiiPfSD_PS3_PT2_iSC_SC_
                                        ; -- End function
	.section	.AMDGPU.csdata,"",@progbits
; Kernel info:
; codeLenInByte = 4928
; NumSgprs: 56
; NumVgprs: 54
; NumAgprs: 0
; TotalNumVgprs: 54
; ScratchSize: 0
; MemoryBound: 0
; FloatMode: 240
; IeeeMode: 1
; LDSByteSize: 8192 bytes/workgroup (compile time only)
; SGPRBlocks: 6
; VGPRBlocks: 6
; NumSGPRsForWavesPerEU: 56
; NumVGPRsForWavesPerEU: 54
; AccumOffset: 56
; Occupancy: 8
; WaveLimiterHint : 1
; COMPUTE_PGM_RSRC2:SCRATCH_EN: 0
; COMPUTE_PGM_RSRC2:USER_SGPR: 2
; COMPUTE_PGM_RSRC2:TRAP_HANDLER: 0
; COMPUTE_PGM_RSRC2:TGID_X_EN: 1
; COMPUTE_PGM_RSRC2:TGID_Y_EN: 1
; COMPUTE_PGM_RSRC2:TGID_Z_EN: 1
; COMPUTE_PGM_RSRC2:TIDIG_COMP_CNT: 0
; COMPUTE_PGM_RSRC3_GFX90A:ACCUM_OFFSET: 13
; COMPUTE_PGM_RSRC3_GFX90A:TG_SPLIT: 0
	.section	.text._Z39paged_attention_ll4mi_QKV_mfma16_kernelI14__hip_bfloat16hLN4vllm18Fp8KVCacheDataTypeE1ES0_Li32ELi64ELi256ELb0ELi8EEvPKT_PKT0_S8_ifPKiSA_SA_iPKfiiiPfSD_PS3_PT2_iSC_SC_,"axG",@progbits,_Z39paged_attention_ll4mi_QKV_mfma16_kernelI14__hip_bfloat16hLN4vllm18Fp8KVCacheDataTypeE1ES0_Li32ELi64ELi256ELb0ELi8EEvPKT_PKT0_S8_ifPKiSA_SA_iPKfiiiPfSD_PS3_PT2_iSC_SC_,comdat
	.protected	_Z39paged_attention_ll4mi_QKV_mfma16_kernelI14__hip_bfloat16hLN4vllm18Fp8KVCacheDataTypeE1ES0_Li32ELi64ELi256ELb0ELi8EEvPKT_PKT0_S8_ifPKiSA_SA_iPKfiiiPfSD_PS3_PT2_iSC_SC_ ; -- Begin function _Z39paged_attention_ll4mi_QKV_mfma16_kernelI14__hip_bfloat16hLN4vllm18Fp8KVCacheDataTypeE1ES0_Li32ELi64ELi256ELb0ELi8EEvPKT_PKT0_S8_ifPKiSA_SA_iPKfiiiPfSD_PS3_PT2_iSC_SC_
	.globl	_Z39paged_attention_ll4mi_QKV_mfma16_kernelI14__hip_bfloat16hLN4vllm18Fp8KVCacheDataTypeE1ES0_Li32ELi64ELi256ELb0ELi8EEvPKT_PKT0_S8_ifPKiSA_SA_iPKfiiiPfSD_PS3_PT2_iSC_SC_
	.p2align	8
	.type	_Z39paged_attention_ll4mi_QKV_mfma16_kernelI14__hip_bfloat16hLN4vllm18Fp8KVCacheDataTypeE1ES0_Li32ELi64ELi256ELb0ELi8EEvPKT_PKT0_S8_ifPKiSA_SA_iPKfiiiPfSD_PS3_PT2_iSC_SC_,@function
_Z39paged_attention_ll4mi_QKV_mfma16_kernelI14__hip_bfloat16hLN4vllm18Fp8KVCacheDataTypeE1ES0_Li32ELi64ELi256ELb0ELi8EEvPKT_PKT0_S8_ifPKiSA_SA_iPKfiiiPfSD_PS3_PT2_iSC_SC_: ; @_Z39paged_attention_ll4mi_QKV_mfma16_kernelI14__hip_bfloat16hLN4vllm18Fp8KVCacheDataTypeE1ES0_Li32ELi64ELi256ELb0ELi8EEvPKT_PKT0_S8_ifPKiSA_SA_iPKfiiiPfSD_PS3_PT2_iSC_SC_
; %bb.0:
	s_load_dwordx2 s[12:13], s[0:1], 0x30
	s_mov_b32 s28, s3
	s_mov_b64 s[6:7], 0
	s_waitcnt lgkmcnt(0)
	s_cmp_lg_u64 s[12:13], 0
	s_cselect_b64 s[14:15], -1, 0
	s_and_b64 vcc, exec, s[14:15]
	s_cbranch_vccz .LBB1235_7
; %bb.1:
	s_add_i32 s8, s2, 1
	s_mov_b32 s9, 0
	s_lshl_b64 s[10:11], s[8:9], 2
	s_add_u32 s10, s12, s10
	s_mov_b32 s3, s9
	s_addc_u32 s11, s13, s11
	s_lshl_b64 s[8:9], s[2:3], 2
	s_add_u32 s8, s12, s8
	s_addc_u32 s9, s13, s9
	s_load_dword s5, s[10:11], 0x0
	s_load_dword s16, s[8:9], 0x0
	s_waitcnt lgkmcnt(0)
	s_sub_i32 s5, s5, s16
	s_cmp_eq_u32 s5, 1
	s_cselect_b64 s[8:9], -1, 0
	s_andn2_b64 vcc, exec, s[6:7]
	s_cbranch_vccnz .LBB1235_3
.LBB1235_2:
	s_mov_b32 s3, 0
	s_mov_b64 s[8:9], -1
.LBB1235_3:
	s_andn2_b64 vcc, exec, s[8:9]
	s_cbranch_vccnz .LBB1235_17
; %bb.4:
	s_load_dwordx2 s[6:7], s[0:1], 0x28
	s_lshl_b64 s[16:17], s[2:3], 2
	s_waitcnt lgkmcnt(0)
	s_add_u32 s6, s6, s16
	s_addc_u32 s7, s7, s17
	s_load_dword s48, s[6:7], 0x0
	s_lshl_b32 s5, s28, 8
	s_waitcnt lgkmcnt(0)
	s_cmp_ge_i32 s5, s48
	s_cbranch_scc1 .LBB1235_17
; %bb.5:
	s_load_dwordx2 s[6:7], s[0:1], 0x20
	s_load_dword s8, s[0:1], 0x38
	s_add_i32 s9, s48, 31
	s_ashr_i32 s10, s9, 31
	v_and_b32_e32 v1, 0xcf, v0
	s_lshr_b32 s10, s10, 27
	v_add_u32_e32 v1, s5, v1
	s_add_i32 s9, s9, s10
	v_ashrrev_i32_e32 v2, 31, v1
	s_ashr_i32 s18, s9, 5
	v_lshrrev_b32_e32 v4, 27, v2
	s_add_i32 s18, s18, -1
	s_waitcnt lgkmcnt(0)
	s_mul_i32 s8, s2, s8
	s_mov_b32 s9, 0
	v_add_u32_e32 v2, v1, v4
	s_lshl_b64 s[8:9], s[8:9], 2
	v_ashrrev_i32_e32 v2, 5, v2
	v_mov_b32_e32 v5, s18
	v_cmp_gt_i32_e32 vcc, s48, v1
	s_add_u32 s6, s6, s8
	s_addc_u32 s7, s7, s9
	v_cndmask_b32_e32 v2, v5, v2, vcc
	v_ashrrev_i32_e32 v3, 31, v2
	v_lshl_add_u64 v[6:7], v[2:3], 2, s[6:7]
	v_or_b32_e32 v2, 16, v1
	v_add_u32_e32 v3, v2, v4
	v_ashrrev_i32_e32 v3, 5, v3
	v_cmp_gt_i32_e32 vcc, s48, v2
	s_load_dwordx4 s[8:11], s[0:1], 0x8
	s_nop 0
	v_cndmask_b32_e32 v2, v5, v3, vcc
	v_ashrrev_i32_e32 v3, 31, v2
	v_lshl_add_u64 v[8:9], v[2:3], 2, s[6:7]
	v_or_b32_e32 v2, 32, v1
	v_add_u32_e32 v3, v2, v4
	v_ashrrev_i32_e32 v3, 5, v3
	v_cmp_gt_i32_e32 vcc, s48, v2
	v_or_b32_e32 v1, 48, v1
	s_nop 0
	v_cndmask_b32_e32 v2, v5, v3, vcc
	v_ashrrev_i32_e32 v3, 31, v2
	v_lshl_add_u64 v[10:11], v[2:3], 2, s[6:7]
	v_add_u32_e32 v2, v1, v4
	v_ashrrev_i32_e32 v2, 5, v2
	v_cmp_gt_i32_e32 vcc, s48, v1
	s_nop 1
	v_cndmask_b32_e32 v2, v5, v2, vcc
	v_ashrrev_i32_e32 v3, 31, v2
	v_lshl_add_u64 v[12:13], v[2:3], 2, s[6:7]
	global_load_dword v2, v[6:7], off
	global_load_dword v5, v[8:9], off
	;; [unrolled: 1-line block ×4, first 2 shown]
	s_andn2_b64 vcc, exec, s[14:15]
	s_cbranch_vccnz .LBB1235_8
; %bb.6:
	s_add_u32 s12, s12, s16
	s_addc_u32 s13, s13, s17
	s_load_dword s14, s[12:13], 0x0
	s_branch .LBB1235_9
.LBB1235_7:
	s_mov_b64 s[8:9], 0
	s_branch .LBB1235_2
.LBB1235_8:
	s_mov_b32 s14, s2
.LBB1235_9:
	s_load_dwordx4 s[44:47], s[0:1], 0x48
	v_and_b32_e32 v43, 15, v0
	s_movk_i32 s12, 0x80
	v_lshlrev_b32_e32 v3, 3, v43
	v_cmp_gt_u32_e32 vcc, s12, v0
	v_cmp_gt_u32_e64 s[30:31], 8, v43
	v_lshrrev_b32_e32 v41, 6, v0
	v_and_b32_e32 v42, 63, v0
	v_bfe_u32 v1, v0, 4, 2
	s_lshl_b32 s29, s4, 3
	s_and_b64 s[16:17], vcc, s[30:31]
	v_lshlrev_b32_e32 v26, 1, v3
	v_lshlrev_b32_e32 v40, 4, v0
	s_and_saveexec_b64 s[12:13], s[16:17]
	s_cbranch_execz .LBB1235_11
; %bb.10:
	s_load_dwordx2 s[16:17], s[0:1], 0x0
	s_waitcnt lgkmcnt(0)
	s_ashr_i32 s15, s44, 31
	s_mul_hi_u32 s19, s14, s44
	s_mul_i32 s15, s14, s15
	s_add_i32 s15, s19, s15
	s_mul_i32 s14, s14, s44
	v_lshl_or_b32 v3, v41, 2, v1
	s_lshl_b64 s[14:15], s[14:15], 1
	s_add_u32 s14, s16, s14
	v_add_lshl_u32 v6, v3, s29, 6
	s_addc_u32 s15, s17, s15
	v_ashrrev_i32_e32 v7, 31, v6
	v_lshl_add_u64 v[6:7], v[6:7], 1, s[14:15]
	v_mov_b32_e32 v27, 0
	v_lshl_add_u64 v[6:7], v[6:7], 0, v[26:27]
	global_load_dwordx4 v[6:9], v[6:7], off
	v_lshlrev_b32_e32 v11, 8, v43
	v_lshlrev_b32_e32 v3, 5, v3
	v_and_b32_e32 v10, 16, v40
	v_and_b32_e32 v11, 0xe00, v11
	v_or3_b32 v3, v11, v3, v10
	s_waitcnt vmcnt(0)
	ds_write_b128 v3, v[6:9]
.LBB1235_11:
	s_or_b64 exec, exec, s[12:13]
	s_waitcnt lgkmcnt(0)
	s_mul_i32 s4, s4, s46
	s_add_u32 s8, s8, s4
	s_addc_u32 s9, s9, 0
	v_mov_b32_e32 v29, 0
	v_mov_b64_e32 v[18:19], s[8:9]
	v_and_b32_e32 v8, 48, v0
	s_waitcnt vmcnt(3)
	v_mad_i64_i32 v[6:7], s[8:9], v2, s45, v[18:19]
	v_lshlrev_b32_e32 v2, 4, v43
	v_mov_b32_e32 v3, v29
	v_lshlrev_b32_e32 v28, 5, v8
	v_lshl_add_u64 v[6:7], v[6:7], 0, v[2:3]
	v_lshl_add_u64 v[6:7], v[6:7], 0, v[28:29]
	s_load_dword s33, s[0:1], 0x98
	s_load_dwordx4 s[40:43], s[0:1], 0x80
	s_waitcnt lgkmcnt(0)
	s_barrier
	global_load_dwordx4 v[10:13], v[6:7], off
	s_waitcnt vmcnt(3)
	v_mad_i64_i32 v[6:7], s[8:9], v5, s45, v[18:19]
	v_or_b32_e32 v30, 0x100, v2
	v_mov_b32_e32 v31, v29
	v_lshl_add_u64 v[6:7], v[6:7], 0, v[30:31]
	v_lshl_add_u64 v[6:7], v[6:7], 0, v[28:29]
	global_load_dwordx4 v[14:17], v[6:7], off
	s_ashr_i32 s8, s5, 31
	v_or_b32_e32 v21, s5, v8
	s_lshr_b32 s12, s8, 27
	v_add_u32_e32 v5, s12, v21
	v_ashrrev_i32_e32 v5, 5, v5
	v_mov_b32_e32 v33, s18
	v_cmp_gt_i32_e32 vcc, s48, v21
	v_or_b32_e32 v34, 64, v21
	v_or_b32_e32 v35, 0x80, v21
	v_cndmask_b32_e32 v8, v33, v5, vcc
	v_and_b32_e32 v5, 7, v0
	v_lshlrev_b32_e32 v5, 5, v5
	v_lshl_or_b32 v32, v1, 9, v5
	s_waitcnt vmcnt(3)
	v_mad_i64_i32 v[4:5], s[8:9], v4, s45, v[18:19]
	v_lshl_add_u64 v[2:3], v[4:5], 0, v[2:3]
	v_lshl_add_u64 v[2:3], v[2:3], 0, v[28:29]
	global_load_dwordx4 v[22:25], v[2:3], off
	v_ashrrev_i32_e32 v9, 31, v8
	v_lshl_add_u64 v[8:9], v[8:9], 2, s[6:7]
	s_waitcnt vmcnt(3)
	v_mad_i64_i32 v[18:19], s[8:9], v20, s45, v[18:19]
	v_add_u32_e32 v20, s12, v34
	global_load_dword v47, v[8:9], off
	ds_read_b128 v[6:9], v32
	ds_read_b128 v[2:5], v32 offset:16
	v_add_u32_e32 v32, s12, v35
	v_lshl_add_u64 v[18:19], v[18:19], 0, v[30:31]
	v_ashrrev_i32_e32 v20, 5, v20
	v_cmp_gt_i32_e32 vcc, s48, v34
	v_or_b32_e32 v21, 0xc0, v21
	v_ashrrev_i32_e32 v31, 5, v32
	v_lshl_add_u64 v[18:19], v[18:19], 0, v[28:29]
	v_cndmask_b32_e32 v30, v33, v20, vcc
	v_cmp_gt_i32_e32 vcc, s48, v35
	v_add_u32_e32 v36, s12, v21
	v_ashrrev_i32_e32 v36, 5, v36
	v_cndmask_b32_e32 v32, v33, v31, vcc
	v_cmp_gt_i32_e32 vcc, s48, v21
	global_load_dwordx4 v[18:21], v[18:19], off
	v_ashrrev_i32_e32 v31, 31, v30
	v_cndmask_b32_e32 v34, v33, v36, vcc
	v_ashrrev_i32_e32 v33, 31, v32
	v_ashrrev_i32_e32 v35, 31, v34
	v_lshl_add_u64 v[30:31], v[30:31], 2, s[6:7]
	v_lshl_add_u64 v[32:33], v[32:33], 2, s[6:7]
	;; [unrolled: 1-line block ×3, first 2 shown]
	global_load_dword v46, v[30:31], off
	global_load_dword v44, v[32:33], off
	;; [unrolled: 1-line block ×3, first 2 shown]
	s_mov_b32 s44, 0x7060302
	s_add_u32 s8, s10, s4
	v_lshlrev_b32_e32 v27, 5, v43
	s_addc_u32 s9, s11, 0
	v_and_b32_e32 v28, 16, v0
	v_lshl_add_u64 v[36:37], s[8:9], 0, v[28:29]
	v_lshl_or_b32 v28, v41, 9, v27
	v_lshl_add_u64 v[28:29], v[36:37], 0, v[28:29]
	s_load_dword s13, s[0:1], 0x1c
	s_load_dword s4, s[40:41], 0x0
	s_mov_b32 s46, 0xff7fffff
	s_waitcnt vmcnt(7)
	v_cvt_pk_f32_fp8_e32 v[30:31], v10
	v_cvt_pk_f32_fp8_sdwa v[32:33], v10 src0_sel:WORD_1
	v_cvt_pk_f32_fp8_e32 v[34:35], v11
	v_cvt_pk_f32_fp8_sdwa v[10:11], v11 src0_sel:WORD_1
	v_perm_b32 v30, v31, v30, s44
	v_perm_b32 v31, v33, v32, s44
	v_cvt_pk_f32_fp8_e32 v[36:37], v12
	v_cvt_pk_f32_fp8_sdwa v[38:39], v12 src0_sel:WORD_1
	v_perm_b32 v34, v35, v34, s44
	v_perm_b32 v35, v11, v10, s44
	s_waitcnt lgkmcnt(0)
	v_mfma_f32_16x16x16_bf16 v[30:33], v[30:31], v[6:7], 0
	v_cvt_pk_f32_fp8_e32 v[48:49], v13
	v_cvt_pk_f32_fp8_sdwa v[12:13], v13 src0_sel:WORD_1
	v_perm_b32 v36, v37, v36, s44
	v_perm_b32 v37, v39, v38, s44
	v_mfma_f32_16x16x16_bf16 v[30:33], v[34:35], v[8:9], v[30:33]
	v_perm_b32 v34, v49, v48, s44
	v_perm_b32 v35, v13, v12, s44
	s_waitcnt vmcnt(6)
	v_cvt_pk_f32_fp8_e32 v[12:13], v14
	v_mfma_f32_16x16x16_bf16 v[30:33], v[36:37], v[2:3], v[30:33]
	v_cvt_pk_f32_fp8_sdwa v[36:37], v14 src0_sel:WORD_1
	v_cvt_pk_f32_fp8_sdwa v[38:39], v16 src0_sel:WORD_1
	v_perm_b32 v12, v13, v12, s44
	v_mfma_f32_16x16x16_bf16 v[30:33], v[34:35], v[4:5], v[30:33]
	v_cvt_pk_f32_fp8_e32 v[34:35], v15
	v_perm_b32 v13, v37, v36, s44
	v_cvt_pk_f32_fp8_sdwa v[14:15], v15 src0_sel:WORD_1
	v_cvt_pk_f32_fp8_e32 v[36:37], v16
	v_perm_b32 v34, v35, v34, s44
	s_waitcnt vmcnt(5)
	v_cvt_pk_f32_fp8_e32 v[48:49], v24
	v_perm_b32 v35, v15, v14, s44
	v_mfma_f32_16x16x16_bf16 v[12:15], v[12:13], v[6:7], 0
	v_perm_b32 v36, v37, v36, s44
	v_perm_b32 v37, v39, v38, s44
	v_cvt_pk_f32_fp8_e32 v[38:39], v17
	v_cvt_pk_f32_fp8_sdwa v[16:17], v17 src0_sel:WORD_1
	v_mfma_f32_16x16x16_bf16 v[12:15], v[34:35], v[8:9], v[12:15]
	v_cvt_pk_f32_fp8_sdwa v[50:51], v24 src0_sel:WORD_1
	v_perm_b32 v34, v39, v38, s44
	v_perm_b32 v35, v17, v16, s44
	v_mfma_f32_16x16x16_bf16 v[12:15], v[36:37], v[2:3], v[12:15]
	v_cvt_pk_f32_fp8_e32 v[16:17], v22
	v_cvt_pk_f32_fp8_sdwa v[36:37], v22 src0_sel:WORD_1
	s_waitcnt vmcnt(4)
	v_mad_i64_i32 v[10:11], s[6:7], v47, s45, v[28:29]
	v_mfma_f32_16x16x16_bf16 v[12:15], v[34:35], v[4:5], v[12:15]
	v_cvt_pk_f32_fp8_e32 v[34:35], v23
	v_perm_b32 v16, v17, v16, s44
	v_perm_b32 v17, v37, v36, s44
	v_cvt_pk_f32_fp8_sdwa v[22:23], v23 src0_sel:WORD_1
	v_perm_b32 v38, v35, v34, s44
	v_mfma_f32_16x16x16_bf16 v[34:37], v[16:17], v[6:7], 0
	v_perm_b32 v39, v23, v22, s44
	v_perm_b32 v16, v49, v48, s44
	;; [unrolled: 1-line block ×3, first 2 shown]
	v_cvt_pk_f32_fp8_e32 v[48:49], v25
	v_cvt_pk_f32_fp8_sdwa v[24:25], v25 src0_sel:WORD_1
	v_mfma_f32_16x16x16_bf16 v[34:37], v[38:39], v[8:9], v[34:37]
	v_mov_b32_e32 v47, s13
	v_mul_f32_e32 v52, s4, v47
	v_perm_b32 v39, v25, v24, s44
	v_mfma_f32_16x16x16_bf16 v[34:37], v[16:17], v[2:3], v[34:37]
	s_waitcnt vmcnt(3)
	v_cvt_pk_f32_fp8_e32 v[16:17], v18
	v_cvt_pk_f32_fp8_sdwa v[24:25], v18 src0_sel:WORD_1
	v_perm_b32 v38, v49, v48, s44
	v_pk_mul_f32 v[22:23], v[52:53], v[32:33] op_sel_hi:[0,1]
	v_pk_mul_f32 v[32:33], v[52:53], v[30:31] op_sel_hi:[0,1]
	v_cvt_pk_f32_fp8_e32 v[30:31], v19
	v_perm_b32 v16, v17, v16, s44
	v_perm_b32 v17, v25, v24, s44
	v_cvt_pk_f32_fp8_sdwa v[18:19], v19 src0_sel:WORD_1
	v_mfma_f32_16x16x16_bf16 v[48:51], v[38:39], v[4:5], v[34:37]
	v_perm_b32 v24, v31, v30, s44
	v_cvt_pk_f32_fp8_e32 v[30:31], v20
	v_perm_b32 v25, v19, v18, s44
	v_cvt_pk_f32_fp8_sdwa v[34:35], v20 src0_sel:WORD_1
	v_mfma_f32_16x16x16_bf16 v[16:19], v[16:17], v[6:7], 0
	v_perm_b32 v30, v31, v30, s44
	v_cvt_pk_f32_fp8_e32 v[36:37], v21
	v_perm_b32 v31, v35, v34, s44
	v_cvt_pk_f32_fp8_sdwa v[20:21], v21 src0_sel:WORD_1
	v_mfma_f32_16x16x16_bf16 v[6:9], v[24:25], v[8:9], v[16:19]
	v_pk_mul_f32 v[34:35], v[52:53], v[14:15] op_sel_hi:[0,1]
	v_perm_b32 v14, v37, v36, s44
	v_perm_b32 v15, v21, v20, s44
	v_mfma_f32_16x16x16_bf16 v[6:9], v[30:31], v[2:3], v[6:9]
	v_pk_mul_f32 v[38:39], v[52:53], v[12:13] op_sel_hi:[0,1]
	v_pk_mul_f32 v[36:37], v[52:53], v[48:49] op_sel_hi:[0,1]
	v_pk_mul_f32 v[30:31], v[52:53], v[50:51] op_sel_hi:[0,1]
	v_mfma_f32_16x16x16_bf16 v[2:5], v[14:15], v[4:5], v[6:9]
	s_nop 6
	v_pk_mul_f32 v[24:25], v[52:53], v[2:3] op_sel_hi:[0,1]
	v_and_b32_e32 v2, 0xc0, v0
	v_add_u32_e32 v2, s5, v2
	v_lshl_or_b32 v2, v1, 2, v2
	v_pk_mul_f32 v[18:19], v[52:53], v[4:5] op_sel_hi:[0,1]
	v_or_b32_e32 v5, 1, v2
	v_mov_b32_e32 v3, 0xff7fffff
	v_cmp_gt_i32_e64 s[4:5], s48, v2
	v_cmp_gt_i32_e64 s[34:35], s48, v5
	v_or_b32_e32 v6, 3, v2
	v_cndmask_b32_e64 v4, v3, v32, s[4:5]
	v_cndmask_b32_e64 v5, v3, v33, s[34:35]
	v_max3_f32 v4, v4, s46, v5
	v_or_b32_e32 v5, 2, v2
	v_cmp_gt_i32_e64 s[36:37], s48, v5
	v_cmp_gt_i32_e64 s[38:39], s48, v6
	s_nop 0
	v_cndmask_b32_e64 v5, v3, v22, s[36:37]
	v_cndmask_b32_e64 v6, v3, v23, s[38:39]
	v_max3_f32 v4, v4, v5, v6
	v_or_b32_e32 v5, 16, v2
	v_or_b32_e32 v6, 17, v2
	v_cmp_gt_i32_e64 s[24:25], s48, v5
	v_cmp_gt_i32_e64 s[26:27], s48, v6
	s_nop 0
	v_cndmask_b32_e64 v5, v3, v38, s[24:25]
	v_cndmask_b32_e64 v6, v3, v39, s[26:27]
	v_max3_f32 v4, v4, v5, v6
	v_or_b32_e32 v5, 18, v2
	;; [unrolled: 8-line block ×6, first 2 shown]
	v_or_b32_e32 v2, 51, v2
	v_cmp_gt_i32_e32 vcc, s48, v5
	v_cmp_gt_i32_e64 s[6:7], s48, v2
	s_nop 0
	v_cndmask_b32_e32 v5, v3, v18, vcc
	v_cndmask_b32_e64 v2, v3, v19, s[6:7]
	v_max3_f32 v4, v4, v5, v2
	v_mbcnt_lo_u32_b32 v2, -1, 0
	v_mbcnt_hi_u32_b32 v5, -1, v2
	v_and_b32_e32 v2, 64, v5
	v_add_u32_e32 v6, 64, v2
	v_xor_b32_e32 v2, 32, v5
	v_cmp_lt_i32_e64 s[40:41], v2, v6
	s_nop 1
	v_cndmask_b32_e64 v2, v5, v2, s[40:41]
	v_lshlrev_b32_e32 v47, 2, v2
	ds_bpermute_b32 v7, v47, v4
	s_waitcnt vmcnt(2)
	v_mad_i64_i32 v[2:3], s[40:41], v46, s45, v[28:29]
	global_load_dwordx4 v[14:17], v[10:11], off
	s_nop 0
	global_load_dwordx4 v[10:13], v[2:3], off
	v_xor_b32_e32 v3, 16, v5
	v_cmp_lt_i32_e64 s[40:41], v3, v6
	s_waitcnt lgkmcnt(0)
	v_max_f32_e32 v2, v7, v7
	v_max_f32_e32 v2, v4, v2
	v_cndmask_b32_e64 v3, v5, v3, s[40:41]
	v_lshlrev_b32_e32 v46, 2, v3
	ds_bpermute_b32 v3, v46, v2
	s_waitcnt vmcnt(3)
	v_mad_i64_i32 v[20:21], s[40:41], v44, s45, v[28:29]
	s_waitcnt vmcnt(2)
	v_mad_i64_i32 v[28:29], s[40:41], v45, s45, v[28:29]
	s_waitcnt lgkmcnt(0)
	v_max_f32_e32 v3, v3, v3
	v_max_f32_e32 v44, v2, v3
	v_sub_f32_e32 v2, v32, v44
	v_mul_f32_e32 v2, 0x3fb8aa3b, v2
	v_exp_f32_e32 v32, v2
	v_sub_f32_e32 v2, v33, v44
	v_mul_f32_e32 v2, 0x3fb8aa3b, v2
	v_exp_f32_e32 v33, v2
	global_load_dwordx4 v[6:9], v[20:21], off
	global_load_dwordx4 v[2:5], v[28:29], off
	v_sub_f32_e32 v22, v22, v44
	v_mul_f32_e32 v22, 0x3fb8aa3b, v22
	v_sub_f32_e32 v23, v23, v44
	v_exp_f32_e32 v22, v22
	v_mul_f32_e32 v23, 0x3fb8aa3b, v23
	v_exp_f32_e32 v23, v23
	v_cndmask_b32_e64 v20, 0, v32, s[4:5]
	v_add_f32_e32 v28, 0, v20
	v_cndmask_b32_e64 v21, 0, v33, s[34:35]
	v_add_f32_e32 v28, v28, v21
	;; [unrolled: 2-line block ×3, first 2 shown]
	v_cndmask_b32_e64 v33, 0, v23, s[38:39]
	v_sub_f32_e32 v23, v38, v44
	v_sub_f32_e32 v28, v39, v44
	v_mul_f32_e32 v23, 0x3fb8aa3b, v23
	v_mul_f32_e32 v28, 0x3fb8aa3b, v28
	v_exp_f32_e32 v23, v23
	v_exp_f32_e32 v28, v28
	v_add_f32_e32 v29, v22, v33
	v_sub_f32_e32 v30, v30, v44
	v_cndmask_b32_e64 v22, 0, v23, s[24:25]
	v_cndmask_b32_e64 v23, 0, v28, s[26:27]
	v_sub_f32_e32 v28, v34, v44
	v_mul_f32_e32 v28, 0x3fb8aa3b, v28
	v_exp_f32_e32 v28, v28
	v_sub_f32_e32 v34, v35, v44
	v_add_f32_e32 v29, v29, v22
	v_mul_f32_e32 v34, 0x3fb8aa3b, v34
	v_exp_f32_e32 v35, v34
	v_add_f32_e32 v29, v29, v23
	v_cndmask_b32_e64 v34, 0, v28, s[20:21]
	v_add_f32_e32 v28, v29, v34
	v_sub_f32_e32 v29, v36, v44
	v_mul_f32_e32 v29, 0x3fb8aa3b, v29
	v_sub_f32_e32 v36, v37, v44
	v_exp_f32_e32 v29, v29
	v_mul_f32_e32 v36, 0x3fb8aa3b, v36
	v_exp_f32_e32 v36, v36
	v_mul_f32_e32 v30, 0x3fb8aa3b, v30
	v_sub_f32_e32 v31, v31, v44
	v_exp_f32_e32 v30, v30
	v_mul_f32_e32 v31, 0x3fb8aa3b, v31
	v_sub_f32_e32 v24, v24, v44
	v_cndmask_b32_e64 v35, 0, v35, s[22:23]
	v_exp_f32_e32 v31, v31
	v_mul_f32_e32 v24, 0x3fb8aa3b, v24
	v_sub_f32_e32 v25, v25, v44
	v_add_f32_e32 v37, v28, v35
	v_cndmask_b32_e64 v28, 0, v29, s[16:17]
	v_exp_f32_e32 v24, v24
	v_mul_f32_e32 v25, 0x3fb8aa3b, v25
	v_sub_f32_e32 v18, v18, v44
	v_add_f32_e32 v37, v37, v28
	;; [unrolled: 5-line block ×3, first 2 shown]
	v_cndmask_b32_e64 v30, 0, v30, s[12:13]
	v_exp_f32_e32 v18, v18
	v_mul_f32_e32 v19, 0x3fb8aa3b, v19
	v_add_f32_e32 v36, v36, v30
	v_cndmask_b32_e64 v31, 0, v31, s[14:15]
	v_exp_f32_e32 v19, v19
	v_add_f32_e32 v36, v36, v31
	v_cndmask_b32_e64 v24, 0, v24, s[8:9]
	v_add_f32_e32 v36, v36, v24
	v_cndmask_b32_e64 v25, 0, v25, s[10:11]
	v_add_f32_e32 v36, v36, v25
	v_cndmask_b32_e32 v18, 0, v18, vcc
	v_add_f32_e32 v36, v36, v18
	v_cndmask_b32_e64 v19, 0, v19, s[6:7]
	v_add_f32_e32 v36, v36, v19
	ds_bpermute_b32 v37, v47, v36
	v_cmp_gt_u32_e32 vcc, 16, v42
	s_waitcnt lgkmcnt(0)
	s_barrier
	v_add_f32_e32 v36, v36, v37
	ds_bpermute_b32 v38, v46, v36
	v_lshlrev_b32_e32 v37, 2, v43
	s_and_saveexec_b64 s[4:5], vcc
	s_cbranch_execz .LBB1235_13
; %bb.12:
	s_waitcnt lgkmcnt(0)
	v_add_f32_e32 v36, v36, v38
	v_lshl_or_b32 v38, v41, 6, v37
	ds_write2st64_b32 v38, v44, v36 offset1:1
.LBB1235_13:
	s_or_b64 exec, exec, s[4:5]
	s_load_dword s6, s[0:1], 0x94
	s_waitcnt lgkmcnt(0)
	s_barrier
	ds_read2_b32 v[38:39], v37 offset1:16
	ds_read2_b32 v[42:43], v37 offset0:32 offset1:48
	ds_read2_b32 v[44:45], v37 offset0:64 offset1:80
	s_movk_i32 s8, 0x7fff
	s_lshl_b32 s7, s33, 3
	s_waitcnt lgkmcnt(2)
	v_max3_f32 v36, v38, s46, v39
	s_waitcnt lgkmcnt(1)
	v_max3_f32 v36, v36, v42, v43
	v_sub_f32_e32 v38, v38, v36
	v_mul_f32_e32 v38, 0x3fb8aa3b, v38
	v_exp_f32_e32 v46, v38
	v_sub_f32_e32 v38, v39, v36
	v_mul_f32_e32 v38, 0x3fb8aa3b, v38
	v_exp_f32_e32 v47, v38
	;; [unrolled: 3-line block ×3, first 2 shown]
	ds_read2_b32 v[38:39], v37 offset0:96 offset1:112
	v_sub_f32_e32 v37, v43, v36
	v_mul_f32_e32 v37, 0x3fb8aa3b, v37
	v_exp_f32_e32 v43, v37
	s_waitcnt lgkmcnt(1)
	v_fma_f32 v37, v46, v44, 0
	v_fmac_f32_e32 v37, v47, v45
	s_waitcnt lgkmcnt(0)
	v_fmac_f32_e32 v37, v42, v38
	v_fmac_f32_e32 v37, v43, v39
	v_add_f32_e32 v38, 0x358637bd, v37
	v_div_scale_f32 v39, s[4:5], v38, v38, 1.0
	v_rcp_f32_e32 v44, v39
	s_barrier
	v_fma_f32 v45, -v39, v44, 1.0
	v_fmac_f32_e32 v44, v45, v44
	v_div_scale_f32 v45, vcc, 1.0, v38, 1.0
	v_mul_f32_e32 v48, v45, v44
	v_fma_f32 v49, -v39, v48, v45
	v_fmac_f32_e32 v48, v49, v44
	v_fma_f32 v39, -v39, v48, v45
	v_div_fmas_f32 v39, v39, v44, v48
	v_cmp_eq_u32_e32 vcc, 1, v41
	v_div_fixup_f32 v38, v39, v38, 1.0
	s_nop 0
	v_cndmask_b32_e32 v39, v46, v47, vcc
	v_cmp_eq_u32_e32 vcc, 2, v41
	s_nop 1
	v_cndmask_b32_e32 v39, v39, v42, vcc
	v_cmp_eq_u32_e32 vcc, 3, v41
	s_nop 1
	v_cndmask_b32_e32 v39, v39, v43, vcc
	v_mul_f32_e32 v38, v39, v38
	v_pk_mul_f32 v[20:21], v[38:39], v[20:21] op_sel_hi:[0,1]
	v_pk_mul_f32 v[32:33], v[38:39], v[32:33] op_sel_hi:[0,1]
	v_bfe_u32 v39, v21, 16, 1
	v_bfe_u32 v42, v20, 16, 1
	v_add3_u32 v20, v20, v42, s8
	v_add3_u32 v21, v21, v39, s8
	v_perm_b32 v42, v21, v20, s44
	v_bfe_u32 v20, v33, 16, 1
	v_bfe_u32 v21, v32, 16, 1
	v_add3_u32 v21, v32, v21, s8
	v_add3_u32 v20, v33, v20, s8
	v_perm_b32 v43, v20, v21, s44
	v_lshlrev_b32_e32 v20, 3, v1
	v_lshlrev_b32_e32 v21, 11, v41
	v_pk_mul_f32 v[22:23], v[38:39], v[22:23] op_sel_hi:[0,1]
	v_or3_b32 v20, v21, v27, v20
	v_pk_mul_f32 v[32:33], v[38:39], v[34:35] op_sel_hi:[0,1]
	v_bfe_u32 v21, v23, 16, 1
	v_bfe_u32 v34, v22, 16, 1
	v_add3_u32 v22, v22, v34, s8
	v_add3_u32 v21, v23, v21, s8
	v_perm_b32 v22, v21, v22, s44
	v_bfe_u32 v21, v33, 16, 1
	v_bfe_u32 v23, v32, 16, 1
	v_add3_u32 v23, v32, v23, s8
	v_add3_u32 v21, v33, v21, s8
	v_perm_b32 v23, v21, v23, s44
	v_pk_mul_f32 v[28:29], v[38:39], v[28:29] op_sel_hi:[0,1]
	ds_write2st64_b64 v20, v[42:43], v[22:23] offset1:1
	v_pk_mul_f32 v[22:23], v[38:39], v[30:31] op_sel_hi:[0,1]
	v_bfe_u32 v21, v29, 16, 1
	v_bfe_u32 v30, v28, 16, 1
	v_add3_u32 v28, v28, v30, s8
	v_add3_u32 v21, v29, v21, s8
	v_perm_b32 v28, v21, v28, s44
	v_bfe_u32 v21, v23, 16, 1
	v_bfe_u32 v29, v22, 16, 1
	v_add3_u32 v22, v22, v29, s8
	v_add3_u32 v21, v23, v21, s8
	v_perm_b32 v29, v21, v22, s44
	v_pk_mul_f32 v[22:23], v[38:39], v[24:25] op_sel_hi:[0,1]
	v_bfe_u32 v21, v23, 16, 1
	v_bfe_u32 v24, v22, 16, 1
	v_pk_mul_f32 v[18:19], v[38:39], v[18:19] op_sel_hi:[0,1]
	v_add3_u32 v22, v22, v24, s8
	v_add3_u32 v21, v23, v21, s8
	v_perm_b32 v22, v21, v22, s44
	v_bfe_u32 v21, v19, 16, 1
	v_bfe_u32 v23, v18, 16, 1
	v_add3_u32 v18, v18, v23, s8
	v_add3_u32 v19, v19, v21, s8
	v_perm_b32 v23, v19, v18, s44
	v_cmp_gt_u32_e32 vcc, 8, v0
	ds_write2st64_b64 v20, v[28:29], v[22:23] offset0:2 offset1:3
	s_and_saveexec_b64 s[4:5], vcc
	s_cbranch_execz .LBB1235_15
; %bb.14:
	v_or_b32_e32 v18, s29, v0
	v_mov_b32_e32 v19, 0
	v_mov_b32_e32 v21, s7
	v_mad_u64_u32 v[22:23], s[10:11], s2, v21, v[18:19]
	v_mov_b32_e32 v18, s28
	s_load_dwordx4 s[12:15], s[0:1], 0x58
	s_mul_i32 s3, s3, s7
	v_mad_u64_u32 v[18:19], s[10:11], v22, s6, v[18:19]
	v_add_u32_e32 v21, s3, v23
	v_mov_b32_e32 v22, v19
	v_mad_u64_u32 v[22:23], s[10:11], v21, s6, v[22:23]
	v_mov_b32_e32 v19, v22
	v_lshlrev_b64 v[18:19], 2, v[18:19]
	s_waitcnt lgkmcnt(0)
	v_lshl_add_u64 v[22:23], s[14:15], 0, v[18:19]
	v_lshl_add_u64 v[18:19], s[12:13], 0, v[18:19]
	global_store_dword v[22:23], v36, off
	global_store_dword v[18:19], v37, off
.LBB1235_15:
	s_or_b64 exec, exec, s[4:5]
	s_waitcnt vmcnt(3)
	v_cvt_pk_f32_fp8_e32 v[18:19], v14
	v_cvt_pk_f32_fp8_sdwa v[22:23], v14 src0_sel:WORD_1
	s_mov_b32 s4, 0x7060302
	v_lshl_or_b32 v14, v1, 9, v27
	s_waitcnt lgkmcnt(0)
	s_barrier
	v_perm_b32 v18, v19, v18, s4
	v_perm_b32 v19, v23, v22, s4
	v_cvt_pk_f32_fp8_e32 v[28:29], v15
	ds_read_b128 v[22:25], v14
	v_cvt_pk_f32_fp8_sdwa v[36:37], v15 src0_sel:WORD_1
	s_load_dword s10, s[42:43], 0x0
	v_perm_b32 v38, v29, v28, s4
	ds_read_b128 v[28:31], v14 offset:16
	v_perm_b32 v39, v37, v36, s4
	s_waitcnt lgkmcnt(0)
	v_mfma_f32_16x16x16_bf16 v[32:35], v[18:19], v[22:23], 0
	v_cvt_pk_f32_fp8_e32 v[18:19], v16
	v_cvt_pk_f32_fp8_sdwa v[36:37], v16 src0_sel:WORD_1
	v_cmp_gt_u32_e32 vcc, 64, v0
	v_mfma_f32_16x16x16_bf16 v[22:25], v[38:39], v[24:25], v[32:35]
	v_perm_b32 v18, v19, v18, s4
	v_perm_b32 v19, v37, v36, s4
	s_waitcnt vmcnt(2)
	v_cvt_pk_f32_fp8_sdwa v[36:37], v10 src0_sel:WORD_1
	v_cvt_pk_f32_fp8_e32 v[32:33], v17
	v_cvt_pk_f32_fp8_sdwa v[16:17], v17 src0_sel:WORD_1
	v_cvt_pk_f32_fp8_e32 v[34:35], v10
	s_mov_b32 s3, 0
	v_perm_b32 v32, v33, v32, s4
	v_perm_b32 v33, v17, v16, s4
	v_mfma_f32_16x16x16_bf16 v[16:19], v[18:19], v[28:29], v[22:25]
	v_perm_b32 v34, v35, v34, s4
	v_perm_b32 v35, v37, v36, s4
	v_cvt_pk_f32_fp8_e32 v[28:29], v11
	ds_read_b128 v[22:25], v14 offset:2048
	v_cvt_pk_f32_fp8_sdwa v[10:11], v11 src0_sel:WORD_1
	v_mfma_f32_16x16x16_bf16 v[16:19], v[32:33], v[30:31], v[16:19]
	v_perm_b32 v32, v29, v28, s4
	ds_read_b128 v[28:31], v14 offset:2064
	v_perm_b32 v33, v11, v10, s4
	s_waitcnt lgkmcnt(1)
	v_mfma_f32_16x16x16_bf16 v[16:19], v[34:35], v[22:23], v[16:19]
	v_cvt_pk_f32_fp8_e32 v[10:11], v12
	v_cvt_pk_f32_fp8_sdwa v[22:23], v12 src0_sel:WORD_1
	v_mov_b32_e32 v27, 0
	v_mfma_f32_16x16x16_bf16 v[16:19], v[32:33], v[24:25], v[16:19]
	v_cvt_pk_f32_fp8_e32 v[24:25], v13
	v_perm_b32 v10, v11, v10, s4
	v_perm_b32 v11, v23, v22, s4
	v_cvt_pk_f32_fp8_sdwa v[12:13], v13 src0_sel:WORD_1
	v_perm_b32 v22, v25, v24, s4
	s_waitcnt vmcnt(1)
	v_cvt_pk_f32_fp8_e32 v[24:25], v6
	v_cvt_pk_f32_fp8_sdwa v[32:33], v6 src0_sel:WORD_1
	v_perm_b32 v23, v13, v12, s4
	s_waitcnt lgkmcnt(0)
	v_mfma_f32_16x16x16_bf16 v[10:13], v[10:11], v[28:29], v[16:19]
	v_perm_b32 v28, v25, v24, s4
	v_perm_b32 v29, v33, v32, s4
	v_cvt_pk_f32_fp8_e32 v[24:25], v7
	ds_read_b128 v[16:19], v14 offset:4096
	v_cvt_pk_f32_fp8_sdwa v[6:7], v7 src0_sel:WORD_1
	v_mfma_f32_16x16x16_bf16 v[10:13], v[22:23], v[30:31], v[10:13]
	v_perm_b32 v30, v25, v24, s4
	ds_read_b128 v[22:25], v14 offset:4112
	v_perm_b32 v31, v7, v6, s4
	s_waitcnt lgkmcnt(1)
	v_mfma_f32_16x16x16_bf16 v[10:13], v[28:29], v[16:17], v[10:13]
	v_cvt_pk_f32_fp8_e32 v[6:7], v8
	v_cvt_pk_f32_fp8_sdwa v[16:17], v8 src0_sel:WORD_1
	s_waitcnt vmcnt(0)
	v_cvt_pk_f32_fp8_sdwa v[28:29], v2 src0_sel:WORD_1
	v_mfma_f32_16x16x16_bf16 v[10:13], v[30:31], v[18:19], v[10:13]
	v_cvt_pk_f32_fp8_e32 v[18:19], v9
	v_perm_b32 v6, v7, v6, s4
	v_perm_b32 v7, v17, v16, s4
	v_cvt_pk_f32_fp8_sdwa v[8:9], v9 src0_sel:WORD_1
	v_perm_b32 v16, v19, v18, s4
	v_cvt_pk_f32_fp8_e32 v[18:19], v2
	v_perm_b32 v17, v9, v8, s4
	s_waitcnt lgkmcnt(0)
	v_mfma_f32_16x16x16_bf16 v[6:9], v[6:7], v[22:23], v[10:13]
	v_perm_b32 v18, v19, v18, s4
	v_perm_b32 v19, v29, v28, s4
	v_cvt_pk_f32_fp8_e32 v[22:23], v3
	ds_read_b128 v[10:13], v14 offset:6144
	v_cvt_pk_f32_fp8_sdwa v[2:3], v3 src0_sel:WORD_1
	v_mfma_f32_16x16x16_bf16 v[6:9], v[16:17], v[24:25], v[6:9]
	v_perm_b32 v22, v23, v22, s4
	ds_read_b128 v[14:17], v14 offset:6160
	v_perm_b32 v23, v3, v2, s4
	s_waitcnt lgkmcnt(1)
	v_mfma_f32_16x16x16_bf16 v[6:9], v[18:19], v[10:11], v[6:9]
	v_cvt_pk_f32_fp8_e32 v[2:3], v4
	v_cvt_pk_f32_fp8_sdwa v[10:11], v4 src0_sel:WORD_1
	s_waitcnt lgkmcnt(0)
	v_mfma_f32_16x16x16_bf16 v[6:9], v[22:23], v[12:13], v[6:9]
	v_perm_b32 v2, v3, v2, s4
	v_perm_b32 v3, v11, v10, s4
	v_cvt_pk_f32_fp8_e32 v[10:11], v5
	v_cvt_pk_f32_fp8_sdwa v[4:5], v5 src0_sel:WORD_1
	s_barrier
	v_perm_b32 v10, v11, v10, s4
	v_perm_b32 v11, v5, v4, s4
	v_mfma_f32_16x16x16_bf16 v[2:5], v[2:3], v[14:15], v[6:9]
	s_nop 0
	v_mfma_f32_16x16x16_bf16 v[2:5], v[10:11], v[16:17], v[2:5]
	s_nop 6
	v_pk_mul_f32 v[2:3], v[2:3], s[10:11] op_sel_hi:[1,0]
	v_pk_mul_f32 v[4:5], v[4:5], s[10:11] op_sel_hi:[1,0]
	v_bfe_u32 v6, v3, 16, 1
	v_bfe_u32 v7, v2, 16, 1
	v_add3_u32 v2, v2, v7, s8
	v_add3_u32 v3, v3, v6, s8
	v_perm_b32 v2, v3, v2, s4
	v_bfe_u32 v3, v5, 16, 1
	v_bfe_u32 v6, v4, 16, 1
	v_add3_u32 v4, v4, v6, s8
	v_add3_u32 v3, v5, v3, s8
	v_perm_b32 v3, v3, v4, s4
	s_and_b64 s[4:5], vcc, s[30:31]
	ds_write_b64 v20, v[2:3]
	s_waitcnt lgkmcnt(0)
	s_barrier
	s_and_saveexec_b64 s[8:9], s[4:5]
	s_cbranch_execz .LBB1235_17
; %bb.16:
	s_load_dwordx2 s[0:1], s[0:1], 0x68
	s_lshl_b32 s6, s6, 6
	s_mul_i32 s2, s7, s2
	s_mul_hi_u32 s5, s2, s6
	s_mul_i32 s4, s2, s6
	s_lshl_b64 s[4:5], s[4:5], 1
	v_lshlrev_b32_e32 v0, 10, v0
	s_waitcnt lgkmcnt(0)
	s_add_u32 s4, s0, s4
	v_and_b32_e32 v0, 0x1800, v0
	v_lshlrev_b32_e32 v2, 5, v1
	v_and_b32_e32 v3, 16, v40
	s_addc_u32 s5, s1, s5
	s_lshl_b32 s2, s28, 6
	v_or3_b32 v0, v0, v2, v3
	s_lshl_b64 s[0:1], s[2:3], 1
	ds_read_b128 v[2:5], v0
	ds_read_b128 v[6:9], v0 offset:128
	s_add_u32 s0, s4, s0
	s_addc_u32 s1, s5, s1
	v_or_b32_e32 v12, s29, v1
	v_lshl_add_u64 v[10:11], s[0:1], 0, v[26:27]
	v_mad_u64_u32 v[0:1], s[0:1], v12, s6, 0
	v_lshl_add_u64 v[0:1], v[0:1], 1, v[10:11]
	s_waitcnt lgkmcnt(1)
	global_store_dwordx4 v[0:1], v[2:5], off
	v_or_b32_e32 v0, 4, v12
	v_mad_u64_u32 v[0:1], s[0:1], v0, s6, 0
	v_lshl_add_u64 v[0:1], v[0:1], 1, v[10:11]
	s_waitcnt lgkmcnt(0)
	global_store_dwordx4 v[0:1], v[6:9], off
.LBB1235_17:
	s_endpgm
	.section	.rodata,"a",@progbits
	.p2align	6, 0x0
	.amdhsa_kernel _Z39paged_attention_ll4mi_QKV_mfma16_kernelI14__hip_bfloat16hLN4vllm18Fp8KVCacheDataTypeE1ES0_Li32ELi64ELi256ELb0ELi8EEvPKT_PKT0_S8_ifPKiSA_SA_iPKfiiiPfSD_PS3_PT2_iSC_SC_
		.amdhsa_group_segment_fixed_size 8192
		.amdhsa_private_segment_fixed_size 0
		.amdhsa_kernarg_size 400
		.amdhsa_user_sgpr_count 2
		.amdhsa_user_sgpr_dispatch_ptr 0
		.amdhsa_user_sgpr_queue_ptr 0
		.amdhsa_user_sgpr_kernarg_segment_ptr 1
		.amdhsa_user_sgpr_dispatch_id 0
		.amdhsa_user_sgpr_kernarg_preload_length 0
		.amdhsa_user_sgpr_kernarg_preload_offset 0
		.amdhsa_user_sgpr_private_segment_size 0
		.amdhsa_uses_dynamic_stack 0
		.amdhsa_enable_private_segment 0
		.amdhsa_system_sgpr_workgroup_id_x 1
		.amdhsa_system_sgpr_workgroup_id_y 1
		.amdhsa_system_sgpr_workgroup_id_z 1
		.amdhsa_system_sgpr_workgroup_info 0
		.amdhsa_system_vgpr_workitem_id 0
		.amdhsa_next_free_vgpr 54
		.amdhsa_next_free_sgpr 49
		.amdhsa_accum_offset 56
		.amdhsa_reserve_vcc 1
		.amdhsa_float_round_mode_32 0
		.amdhsa_float_round_mode_16_64 0
		.amdhsa_float_denorm_mode_32 3
		.amdhsa_float_denorm_mode_16_64 3
		.amdhsa_dx10_clamp 1
		.amdhsa_ieee_mode 1
		.amdhsa_fp16_overflow 0
		.amdhsa_tg_split 0
		.amdhsa_exception_fp_ieee_invalid_op 0
		.amdhsa_exception_fp_denorm_src 0
		.amdhsa_exception_fp_ieee_div_zero 0
		.amdhsa_exception_fp_ieee_overflow 0
		.amdhsa_exception_fp_ieee_underflow 0
		.amdhsa_exception_fp_ieee_inexact 0
		.amdhsa_exception_int_div_zero 0
	.end_amdhsa_kernel
	.section	.text._Z39paged_attention_ll4mi_QKV_mfma16_kernelI14__hip_bfloat16hLN4vllm18Fp8KVCacheDataTypeE1ES0_Li32ELi64ELi256ELb0ELi8EEvPKT_PKT0_S8_ifPKiSA_SA_iPKfiiiPfSD_PS3_PT2_iSC_SC_,"axG",@progbits,_Z39paged_attention_ll4mi_QKV_mfma16_kernelI14__hip_bfloat16hLN4vllm18Fp8KVCacheDataTypeE1ES0_Li32ELi64ELi256ELb0ELi8EEvPKT_PKT0_S8_ifPKiSA_SA_iPKfiiiPfSD_PS3_PT2_iSC_SC_,comdat
.Lfunc_end1235:
	.size	_Z39paged_attention_ll4mi_QKV_mfma16_kernelI14__hip_bfloat16hLN4vllm18Fp8KVCacheDataTypeE1ES0_Li32ELi64ELi256ELb0ELi8EEvPKT_PKT0_S8_ifPKiSA_SA_iPKfiiiPfSD_PS3_PT2_iSC_SC_, .Lfunc_end1235-_Z39paged_attention_ll4mi_QKV_mfma16_kernelI14__hip_bfloat16hLN4vllm18Fp8KVCacheDataTypeE1ES0_Li32ELi64ELi256ELb0ELi8EEvPKT_PKT0_S8_ifPKiSA_SA_iPKfiiiPfSD_PS3_PT2_iSC_SC_
                                        ; -- End function
	.section	.AMDGPU.csdata,"",@progbits
; Kernel info:
; codeLenInByte = 4884
; NumSgprs: 55
; NumVgprs: 54
; NumAgprs: 0
; TotalNumVgprs: 54
; ScratchSize: 0
; MemoryBound: 0
; FloatMode: 240
; IeeeMode: 1
; LDSByteSize: 8192 bytes/workgroup (compile time only)
; SGPRBlocks: 6
; VGPRBlocks: 6
; NumSGPRsForWavesPerEU: 55
; NumVGPRsForWavesPerEU: 54
; AccumOffset: 56
; Occupancy: 8
; WaveLimiterHint : 1
; COMPUTE_PGM_RSRC2:SCRATCH_EN: 0
; COMPUTE_PGM_RSRC2:USER_SGPR: 2
; COMPUTE_PGM_RSRC2:TRAP_HANDLER: 0
; COMPUTE_PGM_RSRC2:TGID_X_EN: 1
; COMPUTE_PGM_RSRC2:TGID_Y_EN: 1
; COMPUTE_PGM_RSRC2:TGID_Z_EN: 1
; COMPUTE_PGM_RSRC2:TIDIG_COMP_CNT: 0
; COMPUTE_PGM_RSRC3_GFX90A:ACCUM_OFFSET: 13
; COMPUTE_PGM_RSRC3_GFX90A:TG_SPLIT: 0
	.section	.text._Z39paged_attention_ll4mi_QKV_mfma16_kernelI14__hip_bfloat16hLN4vllm18Fp8KVCacheDataTypeE1ES0_Li32ELi64ELi256ELb0ELi9EEvPKT_PKT0_S8_ifPKiSA_SA_iPKfiiiPfSD_PS3_PT2_iSC_SC_,"axG",@progbits,_Z39paged_attention_ll4mi_QKV_mfma16_kernelI14__hip_bfloat16hLN4vllm18Fp8KVCacheDataTypeE1ES0_Li32ELi64ELi256ELb0ELi9EEvPKT_PKT0_S8_ifPKiSA_SA_iPKfiiiPfSD_PS3_PT2_iSC_SC_,comdat
	.protected	_Z39paged_attention_ll4mi_QKV_mfma16_kernelI14__hip_bfloat16hLN4vllm18Fp8KVCacheDataTypeE1ES0_Li32ELi64ELi256ELb0ELi9EEvPKT_PKT0_S8_ifPKiSA_SA_iPKfiiiPfSD_PS3_PT2_iSC_SC_ ; -- Begin function _Z39paged_attention_ll4mi_QKV_mfma16_kernelI14__hip_bfloat16hLN4vllm18Fp8KVCacheDataTypeE1ES0_Li32ELi64ELi256ELb0ELi9EEvPKT_PKT0_S8_ifPKiSA_SA_iPKfiiiPfSD_PS3_PT2_iSC_SC_
	.globl	_Z39paged_attention_ll4mi_QKV_mfma16_kernelI14__hip_bfloat16hLN4vllm18Fp8KVCacheDataTypeE1ES0_Li32ELi64ELi256ELb0ELi9EEvPKT_PKT0_S8_ifPKiSA_SA_iPKfiiiPfSD_PS3_PT2_iSC_SC_
	.p2align	8
	.type	_Z39paged_attention_ll4mi_QKV_mfma16_kernelI14__hip_bfloat16hLN4vllm18Fp8KVCacheDataTypeE1ES0_Li32ELi64ELi256ELb0ELi9EEvPKT_PKT0_S8_ifPKiSA_SA_iPKfiiiPfSD_PS3_PT2_iSC_SC_,@function
_Z39paged_attention_ll4mi_QKV_mfma16_kernelI14__hip_bfloat16hLN4vllm18Fp8KVCacheDataTypeE1ES0_Li32ELi64ELi256ELb0ELi9EEvPKT_PKT0_S8_ifPKiSA_SA_iPKfiiiPfSD_PS3_PT2_iSC_SC_: ; @_Z39paged_attention_ll4mi_QKV_mfma16_kernelI14__hip_bfloat16hLN4vllm18Fp8KVCacheDataTypeE1ES0_Li32ELi64ELi256ELb0ELi9EEvPKT_PKT0_S8_ifPKiSA_SA_iPKfiiiPfSD_PS3_PT2_iSC_SC_
; %bb.0:
	s_load_dwordx2 s[12:13], s[0:1], 0x30
	s_mov_b32 s28, s3
	s_mov_b64 s[6:7], 0
	s_waitcnt lgkmcnt(0)
	s_cmp_lg_u64 s[12:13], 0
	s_cselect_b64 s[14:15], -1, 0
	s_and_b64 vcc, exec, s[14:15]
	s_cbranch_vccz .LBB1236_7
; %bb.1:
	s_add_i32 s8, s2, 1
	s_mov_b32 s9, 0
	s_lshl_b64 s[10:11], s[8:9], 2
	s_add_u32 s10, s12, s10
	s_mov_b32 s3, s9
	s_addc_u32 s11, s13, s11
	s_lshl_b64 s[8:9], s[2:3], 2
	s_add_u32 s8, s12, s8
	s_addc_u32 s9, s13, s9
	s_load_dword s5, s[10:11], 0x0
	s_load_dword s16, s[8:9], 0x0
	s_waitcnt lgkmcnt(0)
	s_sub_i32 s5, s5, s16
	s_cmp_eq_u32 s5, 1
	s_cselect_b64 s[8:9], -1, 0
	s_andn2_b64 vcc, exec, s[6:7]
	s_cbranch_vccnz .LBB1236_3
.LBB1236_2:
	s_mov_b32 s3, 0
	s_mov_b64 s[8:9], -1
.LBB1236_3:
	s_andn2_b64 vcc, exec, s[8:9]
	s_cbranch_vccnz .LBB1236_18
; %bb.4:
	s_load_dwordx2 s[6:7], s[0:1], 0x28
	s_lshl_b64 s[16:17], s[2:3], 2
	s_waitcnt lgkmcnt(0)
	s_add_u32 s6, s6, s16
	s_addc_u32 s7, s7, s17
	s_load_dword s33, s[6:7], 0x0
	s_lshl_b32 s5, s28, 8
	s_waitcnt lgkmcnt(0)
	s_cmp_ge_i32 s5, s33
	s_cbranch_scc1 .LBB1236_18
; %bb.5:
	s_load_dwordx2 s[6:7], s[0:1], 0x20
	s_load_dword s8, s[0:1], 0x38
	s_add_i32 s9, s33, 31
	s_ashr_i32 s10, s9, 31
	v_and_b32_e32 v1, 0xcf, v0
	s_lshr_b32 s10, s10, 27
	v_add_u32_e32 v1, s5, v1
	s_add_i32 s9, s9, s10
	v_ashrrev_i32_e32 v2, 31, v1
	s_ashr_i32 s18, s9, 5
	v_lshrrev_b32_e32 v4, 27, v2
	s_add_i32 s18, s18, -1
	s_waitcnt lgkmcnt(0)
	s_mul_i32 s8, s2, s8
	s_mov_b32 s9, 0
	v_add_u32_e32 v2, v1, v4
	s_lshl_b64 s[8:9], s[8:9], 2
	v_ashrrev_i32_e32 v2, 5, v2
	v_mov_b32_e32 v5, s18
	v_cmp_gt_i32_e32 vcc, s33, v1
	s_add_u32 s6, s6, s8
	s_addc_u32 s7, s7, s9
	v_cndmask_b32_e32 v2, v5, v2, vcc
	v_ashrrev_i32_e32 v3, 31, v2
	v_lshl_add_u64 v[6:7], v[2:3], 2, s[6:7]
	v_or_b32_e32 v2, 16, v1
	v_add_u32_e32 v3, v2, v4
	v_ashrrev_i32_e32 v3, 5, v3
	v_cmp_gt_i32_e32 vcc, s33, v2
	s_load_dwordx4 s[8:11], s[0:1], 0x8
	s_nop 0
	v_cndmask_b32_e32 v2, v5, v3, vcc
	v_ashrrev_i32_e32 v3, 31, v2
	v_lshl_add_u64 v[8:9], v[2:3], 2, s[6:7]
	v_or_b32_e32 v2, 32, v1
	v_add_u32_e32 v3, v2, v4
	v_ashrrev_i32_e32 v3, 5, v3
	v_cmp_gt_i32_e32 vcc, s33, v2
	v_or_b32_e32 v1, 48, v1
	s_nop 0
	v_cndmask_b32_e32 v2, v5, v3, vcc
	v_ashrrev_i32_e32 v3, 31, v2
	v_lshl_add_u64 v[10:11], v[2:3], 2, s[6:7]
	v_add_u32_e32 v2, v1, v4
	v_ashrrev_i32_e32 v2, 5, v2
	v_cmp_gt_i32_e32 vcc, s33, v1
	s_nop 1
	v_cndmask_b32_e32 v2, v5, v2, vcc
	v_ashrrev_i32_e32 v3, 31, v2
	v_lshl_add_u64 v[12:13], v[2:3], 2, s[6:7]
	global_load_dword v2, v[6:7], off
	global_load_dword v5, v[8:9], off
	;; [unrolled: 1-line block ×4, first 2 shown]
	s_andn2_b64 vcc, exec, s[14:15]
	s_cbranch_vccnz .LBB1236_8
; %bb.6:
	s_add_u32 s12, s12, s16
	s_addc_u32 s13, s13, s17
	s_load_dword s14, s[12:13], 0x0
	s_branch .LBB1236_9
.LBB1236_7:
	s_mov_b64 s[8:9], 0
	s_branch .LBB1236_2
.LBB1236_8:
	s_mov_b32 s14, s2
.LBB1236_9:
	s_load_dwordx4 s[44:47], s[0:1], 0x48
	v_lshrrev_b32_e32 v29, 6, v0
	v_bfe_u32 v42, v0, 4, 2
	v_lshl_or_b32 v3, v29, 2, v42
	v_and_b32_e32 v28, 15, v0
	v_lshlrev_b32_e32 v1, 3, v28
	v_cmp_gt_u32_e32 vcc, 9, v3
	v_cmp_gt_u32_e64 s[30:31], 8, v28
	v_and_b32_e32 v43, 63, v0
	s_mul_i32 s48, s4, 9
	s_and_b64 s[16:17], s[30:31], vcc
	v_lshlrev_b32_e32 v26, 1, v1
	v_lshlrev_b32_e32 v1, 4, v0
	s_and_saveexec_b64 s[12:13], s[16:17]
	s_cbranch_execz .LBB1236_11
; %bb.10:
	s_load_dwordx2 s[16:17], s[0:1], 0x0
	s_waitcnt lgkmcnt(0)
	s_ashr_i32 s15, s44, 31
	s_mul_hi_u32 s19, s14, s44
	s_mul_i32 s15, s14, s15
	s_add_i32 s15, s19, s15
	s_mul_i32 s14, s14, s44
	s_lshl_b64 s[14:15], s[14:15], 1
	s_add_u32 s14, s16, s14
	v_add_lshl_u32 v6, v3, s48, 6
	s_addc_u32 s15, s17, s15
	v_ashrrev_i32_e32 v7, 31, v6
	v_lshl_add_u64 v[6:7], v[6:7], 1, s[14:15]
	v_mov_b32_e32 v27, 0
	v_lshl_add_u64 v[6:7], v[6:7], 0, v[26:27]
	global_load_dwordx4 v[6:9], v[6:7], off
	v_lshlrev_b32_e32 v11, 8, v28
	v_lshlrev_b32_e32 v3, 5, v3
	v_and_b32_e32 v10, 16, v1
	v_and_b32_e32 v11, 0xe00, v11
	v_or3_b32 v3, v11, v3, v10
	s_waitcnt vmcnt(0)
	ds_write_b128 v3, v[6:9]
.LBB1236_11:
	s_or_b64 exec, exec, s[12:13]
	s_waitcnt lgkmcnt(0)
	s_mul_i32 s4, s4, s46
	s_add_u32 s8, s8, s4
	s_addc_u32 s9, s9, 0
	v_mov_b32_e32 v31, 0
	v_mov_b64_e32 v[18:19], s[8:9]
	v_and_b32_e32 v8, 48, v0
	s_waitcnt vmcnt(3)
	v_mad_i64_i32 v[6:7], s[8:9], v2, s45, v[18:19]
	v_lshlrev_b32_e32 v2, 4, v28
	v_mov_b32_e32 v3, v31
	v_lshlrev_b32_e32 v30, 5, v8
	v_lshl_add_u64 v[6:7], v[6:7], 0, v[2:3]
	v_lshl_add_u64 v[6:7], v[6:7], 0, v[30:31]
	s_load_dword s29, s[0:1], 0x98
	s_load_dwordx4 s[40:43], s[0:1], 0x80
	s_waitcnt lgkmcnt(0)
	s_barrier
	global_load_dwordx4 v[10:13], v[6:7], off
	s_waitcnt vmcnt(3)
	v_mad_i64_i32 v[6:7], s[8:9], v5, s45, v[18:19]
	v_or_b32_e32 v32, 0x100, v2
	v_mov_b32_e32 v33, v31
	v_lshl_add_u64 v[6:7], v[6:7], 0, v[32:33]
	v_lshl_add_u64 v[6:7], v[6:7], 0, v[30:31]
	global_load_dwordx4 v[14:17], v[6:7], off
	s_ashr_i32 s8, s5, 31
	v_or_b32_e32 v5, s5, v8
	s_lshr_b32 s12, s8, 27
	v_add_u32_e32 v8, s12, v5
	v_ashrrev_i32_e32 v8, 5, v8
	v_mov_b32_e32 v21, s18
	v_cmp_gt_i32_e32 vcc, s33, v5
	v_or_b32_e32 v34, 64, v5
	v_or_b32_e32 v35, 0x80, v5
	v_cndmask_b32_e32 v8, v21, v8, vcc
	v_ashrrev_i32_e32 v9, 31, v8
	v_lshl_add_u64 v[8:9], v[8:9], 2, s[6:7]
	global_load_dword v50, v[8:9], off
	v_or_b32_e32 v36, 0xc0, v5
	s_waitcnt vmcnt(4)
	v_mad_i64_i32 v[4:5], s[8:9], v4, s45, v[18:19]
	v_lshl_add_u64 v[2:3], v[4:5], 0, v[2:3]
	v_lshl_add_u64 v[2:3], v[2:3], 0, v[30:31]
	global_load_dwordx4 v[22:25], v[2:3], off
	v_add_u32_e32 v6, -9, v28
	v_cmp_gt_u32_e32 vcc, 9, v28
	s_waitcnt vmcnt(4)
	v_mad_i64_i32 v[18:19], s[8:9], v20, s45, v[18:19]
	v_add_u32_e32 v20, s12, v34
	v_cndmask_b32_e32 v6, v6, v28, vcc
	v_add_u32_e32 v37, s12, v35
	v_ashrrev_i32_e32 v20, 5, v20
	v_cmp_gt_i32_e32 vcc, s33, v34
	v_lshlrev_b32_e32 v6, 5, v6
	v_add_u32_e32 v38, s12, v36
	v_lshl_add_u64 v[18:19], v[18:19], 0, v[32:33]
	v_ashrrev_i32_e32 v33, 5, v37
	v_cndmask_b32_e32 v32, v21, v20, vcc
	v_cmp_gt_i32_e32 vcc, s33, v35
	v_lshl_add_u32 v2, v42, 9, v6
	v_ashrrev_i32_e32 v37, 5, v38
	v_lshl_add_u64 v[18:19], v[18:19], 0, v[30:31]
	v_cndmask_b32_e32 v34, v21, v33, vcc
	v_cmp_gt_i32_e32 vcc, s33, v36
	ds_read_b128 v[6:9], v2
	ds_read_b128 v[2:5], v2 offset:16
	v_cndmask_b32_e32 v36, v21, v37, vcc
	global_load_dwordx4 v[18:21], v[18:19], off
	v_ashrrev_i32_e32 v33, 31, v32
	v_ashrrev_i32_e32 v35, 31, v34
	v_lshl_add_u64 v[40:41], v[32:33], 2, s[6:7]
	v_lshl_add_u64 v[44:45], v[34:35], 2, s[6:7]
	s_add_u32 s8, s10, s4
	v_lshlrev_b32_e32 v27, 5, v28
	s_addc_u32 s9, s11, 0
	v_and_b32_e32 v30, 16, v0
	s_mov_b32 s44, 0x7060302
	v_lshl_add_u64 v[38:39], s[8:9], 0, v[30:31]
	v_lshl_or_b32 v30, v29, 9, v27
	v_lshl_add_u64 v[30:31], v[38:39], 0, v[30:31]
	v_ashrrev_i32_e32 v37, 31, v36
	v_lshl_add_u64 v[36:37], v[36:37], 2, s[6:7]
	s_load_dword s13, s[0:1], 0x1c
	s_mov_b32 s46, 0xff7fffff
	s_waitcnt vmcnt(4)
	v_cvt_pk_f32_fp8_e32 v[32:33], v10
	v_cvt_pk_f32_fp8_sdwa v[34:35], v10 src0_sel:WORD_1
	v_cvt_pk_f32_fp8_e32 v[38:39], v11
	v_cvt_pk_f32_fp8_sdwa v[10:11], v11 src0_sel:WORD_1
	v_perm_b32 v32, v33, v32, s44
	v_perm_b32 v33, v35, v34, s44
	;; [unrolled: 1-line block ×4, first 2 shown]
	v_cvt_pk_f32_fp8_e32 v[46:47], v12
	v_cvt_pk_f32_fp8_sdwa v[48:49], v12 src0_sel:WORD_1
	s_waitcnt lgkmcnt(0)
	v_mfma_f32_16x16x16_bf16 v[32:35], v[32:33], v[6:7], 0
	global_load_dword v12, v[40:41], off
	s_nop 0
	global_load_dword v44, v[44:45], off
	s_nop 0
	global_load_dword v45, v[36:37], off
	v_perm_b32 v36, v47, v46, s44
	v_perm_b32 v37, v49, v48, s44
	v_mfma_f32_16x16x16_bf16 v[32:35], v[38:39], v[8:9], v[32:35]
	v_cvt_pk_f32_fp8_e32 v[38:39], v13
	v_cvt_pk_f32_fp8_sdwa v[40:41], v13 src0_sel:WORD_1
	s_waitcnt vmcnt(6)
	v_cvt_pk_f32_fp8_e32 v[46:47], v16
	v_mfma_f32_16x16x16_bf16 v[32:35], v[36:37], v[2:3], v[32:35]
	v_perm_b32 v38, v39, v38, s44
	v_perm_b32 v39, v41, v40, s44
	v_cvt_pk_f32_fp8_e32 v[36:37], v14
	v_cvt_pk_f32_fp8_sdwa v[40:41], v14 src0_sel:WORD_1
	v_mfma_f32_16x16x16_bf16 v[32:35], v[38:39], v[4:5], v[32:35]
	v_cvt_pk_f32_fp8_e32 v[38:39], v15
	v_perm_b32 v36, v37, v36, s44
	v_perm_b32 v37, v41, v40, s44
	v_cvt_pk_f32_fp8_sdwa v[14:15], v15 src0_sel:WORD_1
	v_perm_b32 v40, v39, v38, s44
	v_cvt_pk_f32_fp8_sdwa v[48:49], v16 src0_sel:WORD_1
	v_mfma_f32_16x16x16_bf16 v[36:39], v[36:37], v[6:7], 0
	v_perm_b32 v41, v15, v14, s44
	s_waitcnt vmcnt(5)
	v_mad_i64_i32 v[10:11], s[6:7], v50, s45, v[30:31]
	v_perm_b32 v46, v47, v46, s44
	v_perm_b32 v47, v49, v48, s44
	v_cvt_pk_f32_fp8_e32 v[48:49], v17
	v_cvt_pk_f32_fp8_sdwa v[50:51], v17 src0_sel:WORD_1
	v_mfma_f32_16x16x16_bf16 v[14:17], v[40:41], v[8:9], v[36:39]
	s_waitcnt vmcnt(4)
	v_cvt_pk_f32_fp8_sdwa v[40:41], v22 src0_sel:WORD_1
	s_load_dword s4, s[40:41], 0x0
	v_mov_b32_e32 v13, s13
	v_perm_b32 v36, v49, v48, s44
	v_perm_b32 v37, v51, v50, s44
	v_mfma_f32_16x16x16_bf16 v[14:17], v[46:47], v[2:3], v[14:17]
	v_cvt_pk_f32_fp8_e32 v[38:39], v22
	v_cvt_pk_f32_fp8_e32 v[46:47], v24
	v_cvt_pk_f32_fp8_sdwa v[48:49], v24 src0_sel:WORD_1
	v_mfma_f32_16x16x16_bf16 v[14:17], v[36:37], v[4:5], v[14:17]
	v_cvt_pk_f32_fp8_e32 v[36:37], v23
	v_perm_b32 v38, v39, v38, s44
	v_perm_b32 v39, v41, v40, s44
	v_cvt_pk_f32_fp8_sdwa v[22:23], v23 src0_sel:WORD_1
	v_perm_b32 v40, v37, v36, s44
	v_mfma_f32_16x16x16_bf16 v[36:39], v[38:39], v[6:7], 0
	v_perm_b32 v41, v23, v22, s44
	v_perm_b32 v46, v47, v46, s44
	;; [unrolled: 1-line block ×3, first 2 shown]
	v_cvt_pk_f32_fp8_e32 v[48:49], v25
	v_cvt_pk_f32_fp8_sdwa v[24:25], v25 src0_sel:WORD_1
	v_mfma_f32_16x16x16_bf16 v[36:39], v[40:41], v[8:9], v[36:39]
	s_waitcnt lgkmcnt(0)
	v_mul_f32_e32 v50, s4, v13
	v_perm_b32 v40, v49, v48, s44
	v_perm_b32 v41, v25, v24, s44
	v_pk_mul_f32 v[22:23], v[50:51], v[34:35] op_sel_hi:[0,1]
	v_mfma_f32_16x16x16_bf16 v[36:39], v[46:47], v[2:3], v[36:39]
	v_pk_mul_f32 v[34:35], v[50:51], v[32:33] op_sel_hi:[0,1]
	s_waitcnt vmcnt(3)
	v_cvt_pk_f32_fp8_e32 v[24:25], v18
	v_cvt_pk_f32_fp8_sdwa v[32:33], v18 src0_sel:WORD_1
	v_mfma_f32_16x16x16_bf16 v[46:49], v[40:41], v[4:5], v[36:39]
	v_cvt_pk_f32_fp8_e32 v[40:41], v20
	v_perm_b32 v24, v25, v24, s44
	v_perm_b32 v25, v33, v32, s44
	v_cvt_pk_f32_fp8_e32 v[36:37], v19
	v_cvt_pk_f32_fp8_sdwa v[18:19], v19 src0_sel:WORD_1
	v_cvt_pk_f32_fp8_sdwa v[52:53], v20 src0_sel:WORD_1
	v_perm_b32 v32, v37, v36, s44
	v_perm_b32 v33, v19, v18, s44
	v_mfma_f32_16x16x16_bf16 v[36:39], v[24:25], v[6:7], 0
	v_perm_b32 v18, v41, v40, s44
	v_perm_b32 v19, v53, v52, s44
	v_cvt_pk_f32_fp8_e32 v[24:25], v21
	v_cvt_pk_f32_fp8_sdwa v[20:21], v21 src0_sel:WORD_1
	v_mfma_f32_16x16x16_bf16 v[6:9], v[32:33], v[8:9], v[36:39]
	v_pk_mul_f32 v[40:41], v[50:51], v[14:15] op_sel_hi:[0,1]
	v_pk_mul_f32 v[32:33], v[50:51], v[48:49] op_sel_hi:[0,1]
	s_nop 0
	v_pk_mul_f32 v[36:37], v[50:51], v[16:17] op_sel_hi:[0,1]
	v_perm_b32 v16, v25, v24, s44
	v_perm_b32 v17, v21, v20, s44
	v_mfma_f32_16x16x16_bf16 v[6:9], v[18:19], v[2:3], v[6:9]
	v_pk_mul_f32 v[38:39], v[50:51], v[46:47] op_sel_hi:[0,1]
	v_mfma_f32_16x16x16_bf16 v[2:5], v[16:17], v[4:5], v[6:9]
	s_nop 6
	v_pk_mul_f32 v[24:25], v[50:51], v[2:3] op_sel_hi:[0,1]
	v_and_b32_e32 v2, 0xc0, v0
	v_add_u32_e32 v2, s5, v2
	v_lshl_or_b32 v2, v42, 2, v2
	v_pk_mul_f32 v[18:19], v[50:51], v[4:5] op_sel_hi:[0,1]
	v_or_b32_e32 v5, 1, v2
	v_mov_b32_e32 v3, 0xff7fffff
	v_cmp_gt_i32_e64 s[4:5], s33, v2
	v_cmp_gt_i32_e64 s[34:35], s33, v5
	v_or_b32_e32 v6, 3, v2
	v_cndmask_b32_e64 v4, v3, v34, s[4:5]
	v_cndmask_b32_e64 v5, v3, v35, s[34:35]
	v_max3_f32 v4, v4, s46, v5
	v_or_b32_e32 v5, 2, v2
	v_cmp_gt_i32_e64 s[36:37], s33, v5
	v_cmp_gt_i32_e64 s[38:39], s33, v6
	s_nop 0
	v_cndmask_b32_e64 v5, v3, v22, s[36:37]
	v_cndmask_b32_e64 v6, v3, v23, s[38:39]
	v_max3_f32 v4, v4, v5, v6
	v_or_b32_e32 v5, 16, v2
	v_or_b32_e32 v6, 17, v2
	v_cmp_gt_i32_e64 s[24:25], s33, v5
	v_cmp_gt_i32_e64 s[26:27], s33, v6
	s_nop 0
	v_cndmask_b32_e64 v5, v3, v40, s[24:25]
	v_cndmask_b32_e64 v6, v3, v41, s[26:27]
	v_max3_f32 v4, v4, v5, v6
	v_or_b32_e32 v5, 18, v2
	;; [unrolled: 8-line block ×6, first 2 shown]
	v_or_b32_e32 v2, 51, v2
	v_cmp_gt_i32_e32 vcc, s33, v5
	v_cmp_gt_i32_e64 s[6:7], s33, v2
	s_nop 0
	v_cndmask_b32_e32 v5, v3, v18, vcc
	v_cndmask_b32_e64 v2, v3, v19, s[6:7]
	v_max3_f32 v4, v4, v5, v2
	v_mbcnt_lo_u32_b32 v2, -1, 0
	v_mbcnt_hi_u32_b32 v5, -1, v2
	v_and_b32_e32 v2, 64, v5
	v_add_u32_e32 v6, 64, v2
	v_xor_b32_e32 v2, 32, v5
	v_cmp_lt_i32_e64 s[40:41], v2, v6
	s_nop 1
	v_cndmask_b32_e64 v2, v5, v2, s[40:41]
	v_lshlrev_b32_e32 v46, 2, v2
	ds_bpermute_b32 v7, v46, v4
	s_waitcnt vmcnt(2)
	v_mad_i64_i32 v[2:3], s[40:41], v12, s45, v[30:31]
	global_load_dwordx4 v[14:17], v[10:11], off
	s_nop 0
	global_load_dwordx4 v[10:13], v[2:3], off
	v_xor_b32_e32 v3, 16, v5
	v_cmp_lt_i32_e64 s[40:41], v3, v6
	s_waitcnt lgkmcnt(0)
	v_max_f32_e32 v2, v7, v7
	v_max_f32_e32 v2, v4, v2
	v_cndmask_b32_e64 v3, v5, v3, s[40:41]
	v_lshlrev_b32_e32 v47, 2, v3
	ds_bpermute_b32 v3, v47, v2
	s_waitcnt vmcnt(3)
	v_mad_i64_i32 v[20:21], s[40:41], v44, s45, v[30:31]
	s_waitcnt vmcnt(2)
	v_mad_i64_i32 v[30:31], s[40:41], v45, s45, v[30:31]
	s_waitcnt lgkmcnt(0)
	v_max_f32_e32 v3, v3, v3
	v_max_f32_e32 v44, v2, v3
	v_sub_f32_e32 v2, v34, v44
	v_mul_f32_e32 v2, 0x3fb8aa3b, v2
	v_exp_f32_e32 v34, v2
	v_sub_f32_e32 v2, v35, v44
	v_mul_f32_e32 v2, 0x3fb8aa3b, v2
	v_exp_f32_e32 v35, v2
	global_load_dwordx4 v[6:9], v[20:21], off
	global_load_dwordx4 v[2:5], v[30:31], off
	v_sub_f32_e32 v22, v22, v44
	v_mul_f32_e32 v22, 0x3fb8aa3b, v22
	v_sub_f32_e32 v23, v23, v44
	v_exp_f32_e32 v22, v22
	v_mul_f32_e32 v23, 0x3fb8aa3b, v23
	v_exp_f32_e32 v23, v23
	v_cndmask_b32_e64 v20, 0, v34, s[4:5]
	v_add_f32_e32 v30, 0, v20
	v_cndmask_b32_e64 v21, 0, v35, s[34:35]
	v_add_f32_e32 v30, v30, v21
	;; [unrolled: 2-line block ×3, first 2 shown]
	v_cndmask_b32_e64 v35, 0, v23, s[38:39]
	v_sub_f32_e32 v23, v40, v44
	v_sub_f32_e32 v30, v41, v44
	v_mul_f32_e32 v23, 0x3fb8aa3b, v23
	v_mul_f32_e32 v30, 0x3fb8aa3b, v30
	v_exp_f32_e32 v23, v23
	v_exp_f32_e32 v30, v30
	v_add_f32_e32 v31, v22, v35
	v_sub_f32_e32 v32, v32, v44
	v_cndmask_b32_e64 v22, 0, v23, s[24:25]
	v_cndmask_b32_e64 v23, 0, v30, s[26:27]
	v_sub_f32_e32 v30, v36, v44
	v_mul_f32_e32 v30, 0x3fb8aa3b, v30
	v_exp_f32_e32 v30, v30
	v_sub_f32_e32 v36, v37, v44
	v_add_f32_e32 v31, v31, v22
	v_mul_f32_e32 v36, 0x3fb8aa3b, v36
	v_exp_f32_e32 v37, v36
	v_add_f32_e32 v31, v31, v23
	v_cndmask_b32_e64 v36, 0, v30, s[20:21]
	v_add_f32_e32 v30, v31, v36
	v_sub_f32_e32 v31, v38, v44
	v_mul_f32_e32 v31, 0x3fb8aa3b, v31
	v_sub_f32_e32 v38, v39, v44
	v_exp_f32_e32 v31, v31
	v_mul_f32_e32 v38, 0x3fb8aa3b, v38
	v_exp_f32_e32 v38, v38
	v_mul_f32_e32 v32, 0x3fb8aa3b, v32
	v_sub_f32_e32 v33, v33, v44
	v_exp_f32_e32 v32, v32
	v_mul_f32_e32 v33, 0x3fb8aa3b, v33
	v_sub_f32_e32 v24, v24, v44
	v_cndmask_b32_e64 v37, 0, v37, s[22:23]
	v_exp_f32_e32 v33, v33
	v_mul_f32_e32 v24, 0x3fb8aa3b, v24
	v_sub_f32_e32 v25, v25, v44
	v_add_f32_e32 v39, v30, v37
	v_cndmask_b32_e64 v30, 0, v31, s[16:17]
	v_exp_f32_e32 v24, v24
	v_mul_f32_e32 v25, 0x3fb8aa3b, v25
	v_sub_f32_e32 v18, v18, v44
	v_add_f32_e32 v39, v39, v30
	;; [unrolled: 5-line block ×3, first 2 shown]
	v_cndmask_b32_e64 v32, 0, v32, s[12:13]
	v_exp_f32_e32 v18, v18
	v_mul_f32_e32 v19, 0x3fb8aa3b, v19
	v_add_f32_e32 v38, v38, v32
	v_cndmask_b32_e64 v33, 0, v33, s[14:15]
	v_exp_f32_e32 v19, v19
	v_add_f32_e32 v38, v38, v33
	v_cndmask_b32_e64 v24, 0, v24, s[8:9]
	v_add_f32_e32 v38, v38, v24
	v_cndmask_b32_e64 v25, 0, v25, s[10:11]
	v_add_f32_e32 v38, v38, v25
	v_cndmask_b32_e32 v18, 0, v18, vcc
	v_add_f32_e32 v38, v38, v18
	v_cndmask_b32_e64 v19, 0, v19, s[6:7]
	v_add_f32_e32 v38, v38, v19
	ds_bpermute_b32 v39, v46, v38
	v_cmp_gt_u32_e64 s[6:7], 16, v43
	s_waitcnt lgkmcnt(0)
	s_barrier
	v_add_f32_e32 v38, v38, v39
	ds_bpermute_b32 v40, v47, v38
	v_lshlrev_b32_e32 v39, 2, v28
	s_and_saveexec_b64 s[4:5], s[6:7]
	s_cbranch_execz .LBB1236_13
; %bb.12:
	s_waitcnt lgkmcnt(0)
	v_add_f32_e32 v38, v38, v40
	v_lshl_or_b32 v40, v29, 6, v39
	ds_write2st64_b32 v40, v44, v38 offset1:1
.LBB1236_13:
	s_or_b64 exec, exec, s[4:5]
	s_load_dword s8, s[0:1], 0x94
	s_waitcnt lgkmcnt(0)
	s_barrier
	ds_read2_b32 v[40:41], v39 offset1:16
	ds_read2_b32 v[44:45], v39 offset0:32 offset1:48
	ds_read2_b32 v[46:47], v39 offset0:64 offset1:80
	s_movk_i32 s10, 0x7fff
	s_mul_i32 s9, s29, 9
	s_waitcnt lgkmcnt(2)
	v_max3_f32 v38, v40, s46, v41
	s_waitcnt lgkmcnt(1)
	v_max3_f32 v38, v38, v44, v45
	v_sub_f32_e32 v40, v40, v38
	v_mul_f32_e32 v40, 0x3fb8aa3b, v40
	v_exp_f32_e32 v43, v40
	v_sub_f32_e32 v40, v41, v38
	v_mul_f32_e32 v40, 0x3fb8aa3b, v40
	v_exp_f32_e32 v48, v40
	;; [unrolled: 3-line block ×3, first 2 shown]
	ds_read2_b32 v[40:41], v39 offset0:96 offset1:112
	v_sub_f32_e32 v39, v45, v38
	v_mul_f32_e32 v39, 0x3fb8aa3b, v39
	v_exp_f32_e32 v45, v39
	s_waitcnt lgkmcnt(1)
	v_fma_f32 v39, v43, v46, 0
	v_fmac_f32_e32 v39, v48, v47
	s_waitcnt lgkmcnt(0)
	v_fmac_f32_e32 v39, v44, v40
	v_fmac_f32_e32 v39, v45, v41
	v_add_f32_e32 v40, 0x358637bd, v39
	v_div_scale_f32 v41, s[4:5], v40, v40, 1.0
	v_rcp_f32_e32 v46, v41
	s_barrier
	v_fma_f32 v47, -v41, v46, 1.0
	v_fmac_f32_e32 v46, v47, v46
	v_div_scale_f32 v47, vcc, 1.0, v40, 1.0
	v_mul_f32_e32 v49, v47, v46
	v_fma_f32 v50, -v41, v49, v47
	v_fmac_f32_e32 v49, v50, v46
	v_fma_f32 v41, -v41, v49, v47
	v_div_fmas_f32 v41, v41, v46, v49
	v_cmp_eq_u32_e32 vcc, 1, v29
	v_div_fixup_f32 v40, v41, v40, 1.0
	s_nop 0
	v_cndmask_b32_e32 v41, v43, v48, vcc
	v_cmp_eq_u32_e32 vcc, 2, v29
	s_nop 1
	v_cndmask_b32_e32 v41, v41, v44, vcc
	v_cmp_eq_u32_e32 vcc, 3, v29
	s_nop 1
	v_cndmask_b32_e32 v41, v41, v45, vcc
	v_mul_f32_e32 v40, v41, v40
	v_pk_mul_f32 v[20:21], v[40:41], v[20:21] op_sel_hi:[0,1]
	v_pk_mul_f32 v[34:35], v[40:41], v[34:35] op_sel_hi:[0,1]
	v_bfe_u32 v41, v21, 16, 1
	v_bfe_u32 v43, v20, 16, 1
	v_add3_u32 v20, v20, v43, s10
	v_add3_u32 v21, v21, v41, s10
	v_perm_b32 v44, v21, v20, s44
	v_bfe_u32 v20, v35, 16, 1
	v_bfe_u32 v21, v34, 16, 1
	v_add3_u32 v21, v34, v21, s10
	v_add3_u32 v20, v35, v20, s10
	v_perm_b32 v45, v20, v21, s44
	v_lshlrev_b32_e32 v20, 3, v42
	v_lshlrev_b32_e32 v21, 11, v29
	v_pk_mul_f32 v[22:23], v[40:41], v[22:23] op_sel_hi:[0,1]
	v_or3_b32 v20, v21, v27, v20
	v_bfe_u32 v21, v23, 16, 1
	v_bfe_u32 v29, v22, 16, 1
	v_pk_mul_f32 v[34:35], v[40:41], v[36:37] op_sel_hi:[0,1]
	v_add3_u32 v22, v22, v29, s10
	v_add3_u32 v21, v23, v21, s10
	v_perm_b32 v22, v21, v22, s44
	v_bfe_u32 v21, v35, 16, 1
	v_bfe_u32 v23, v34, 16, 1
	v_add3_u32 v23, v34, v23, s10
	v_add3_u32 v21, v35, v21, s10
	v_pk_mul_f32 v[30:31], v[40:41], v[30:31] op_sel_hi:[0,1]
	v_perm_b32 v23, v21, v23, s44
	v_bfe_u32 v21, v31, 16, 1
	v_bfe_u32 v29, v30, 16, 1
	ds_write2st64_b64 v20, v[44:45], v[22:23] offset1:1
	v_pk_mul_f32 v[22:23], v[40:41], v[32:33] op_sel_hi:[0,1]
	v_add3_u32 v29, v30, v29, s10
	v_add3_u32 v21, v31, v21, s10
	v_perm_b32 v30, v21, v29, s44
	v_bfe_u32 v21, v23, 16, 1
	v_bfe_u32 v29, v22, 16, 1
	v_add3_u32 v22, v22, v29, s10
	v_add3_u32 v21, v23, v21, s10
	v_perm_b32 v31, v21, v22, s44
	v_pk_mul_f32 v[22:23], v[40:41], v[24:25] op_sel_hi:[0,1]
	v_bfe_u32 v21, v23, 16, 1
	v_bfe_u32 v24, v22, 16, 1
	v_pk_mul_f32 v[18:19], v[40:41], v[18:19] op_sel_hi:[0,1]
	v_add3_u32 v22, v22, v24, s10
	v_add3_u32 v21, v23, v21, s10
	v_perm_b32 v22, v21, v22, s44
	v_bfe_u32 v21, v19, 16, 1
	v_bfe_u32 v23, v18, 16, 1
	v_add3_u32 v18, v18, v23, s10
	v_add3_u32 v19, v19, v21, s10
	v_perm_b32 v23, v19, v18, s44
	v_cmp_gt_u32_e32 vcc, 9, v0
	ds_write2st64_b64 v20, v[30:31], v[22:23] offset0:2 offset1:3
	s_and_saveexec_b64 s[4:5], vcc
	s_cbranch_execz .LBB1236_15
; %bb.14:
	s_mov_b32 s49, 0
	v_mov_b32_e32 v29, 0
	v_lshl_add_u64 v[18:19], s[48:49], 0, v[28:29]
	v_mov_b32_e32 v21, s9
	v_mad_u64_u32 v[18:19], s[16:17], s2, v21, v[18:19]
	s_mul_i32 s3, s3, s9
	v_mov_b32_e32 v28, s28
	s_load_dwordx4 s[12:15], s[0:1], 0x58
	v_add_u32_e32 v21, s3, v19
	v_mad_u64_u32 v[18:19], s[16:17], v18, s8, v[28:29]
	v_mov_b32_e32 v22, v19
	v_mad_u64_u32 v[22:23], s[16:17], v21, s8, v[22:23]
	v_mov_b32_e32 v19, v22
	v_lshlrev_b64 v[18:19], 2, v[18:19]
	s_waitcnt lgkmcnt(0)
	v_lshl_add_u64 v[22:23], s[14:15], 0, v[18:19]
	v_lshl_add_u64 v[18:19], s[12:13], 0, v[18:19]
	global_store_dword v[22:23], v38, off
	global_store_dword v[18:19], v39, off
.LBB1236_15:
	s_or_b64 exec, exec, s[4:5]
	s_waitcnt vmcnt(3)
	v_cvt_pk_f32_fp8_e32 v[18:19], v14
	v_cvt_pk_f32_fp8_sdwa v[22:23], v14 src0_sel:WORD_1
	s_mov_b32 s4, 0x7060302
	v_lshl_or_b32 v14, v42, 9, v27
	s_waitcnt lgkmcnt(0)
	s_barrier
	v_perm_b32 v18, v19, v18, s4
	v_perm_b32 v19, v23, v22, s4
	v_cvt_pk_f32_fp8_e32 v[28:29], v15
	ds_read_b128 v[22:25], v14
	v_cvt_pk_f32_fp8_sdwa v[36:37], v15 src0_sel:WORD_1
	s_load_dword s12, s[42:43], 0x0
	v_perm_b32 v38, v29, v28, s4
	ds_read_b128 v[28:31], v14 offset:16
	v_perm_b32 v39, v37, v36, s4
	s_waitcnt lgkmcnt(0)
	v_mfma_f32_16x16x16_bf16 v[32:35], v[18:19], v[22:23], 0
	v_cvt_pk_f32_fp8_e32 v[18:19], v16
	v_cvt_pk_f32_fp8_sdwa v[36:37], v16 src0_sel:WORD_1
	v_cmp_gt_u32_e32 vcc, 64, v0
	v_mfma_f32_16x16x16_bf16 v[22:25], v[38:39], v[24:25], v[32:35]
	v_perm_b32 v18, v19, v18, s4
	v_perm_b32 v19, v37, v36, s4
	s_waitcnt vmcnt(2)
	v_cvt_pk_f32_fp8_sdwa v[36:37], v10 src0_sel:WORD_1
	v_cvt_pk_f32_fp8_e32 v[32:33], v17
	v_cvt_pk_f32_fp8_sdwa v[16:17], v17 src0_sel:WORD_1
	v_cvt_pk_f32_fp8_e32 v[34:35], v10
	s_mov_b32 s3, 0
	v_perm_b32 v32, v33, v32, s4
	v_perm_b32 v33, v17, v16, s4
	v_mfma_f32_16x16x16_bf16 v[16:19], v[18:19], v[28:29], v[22:25]
	v_perm_b32 v34, v35, v34, s4
	v_perm_b32 v35, v37, v36, s4
	v_cvt_pk_f32_fp8_e32 v[28:29], v11
	ds_read_b128 v[22:25], v14 offset:2048
	v_cvt_pk_f32_fp8_sdwa v[10:11], v11 src0_sel:WORD_1
	v_mfma_f32_16x16x16_bf16 v[16:19], v[32:33], v[30:31], v[16:19]
	v_perm_b32 v32, v29, v28, s4
	ds_read_b128 v[28:31], v14 offset:2064
	v_perm_b32 v33, v11, v10, s4
	s_waitcnt lgkmcnt(1)
	v_mfma_f32_16x16x16_bf16 v[16:19], v[34:35], v[22:23], v[16:19]
	v_cvt_pk_f32_fp8_e32 v[10:11], v12
	v_cvt_pk_f32_fp8_sdwa v[22:23], v12 src0_sel:WORD_1
	v_mov_b32_e32 v27, 0
	v_mfma_f32_16x16x16_bf16 v[16:19], v[32:33], v[24:25], v[16:19]
	v_cvt_pk_f32_fp8_e32 v[24:25], v13
	v_perm_b32 v10, v11, v10, s4
	v_perm_b32 v11, v23, v22, s4
	v_cvt_pk_f32_fp8_sdwa v[12:13], v13 src0_sel:WORD_1
	v_perm_b32 v22, v25, v24, s4
	s_waitcnt vmcnt(1)
	v_cvt_pk_f32_fp8_e32 v[24:25], v6
	v_cvt_pk_f32_fp8_sdwa v[32:33], v6 src0_sel:WORD_1
	v_perm_b32 v23, v13, v12, s4
	s_waitcnt lgkmcnt(0)
	v_mfma_f32_16x16x16_bf16 v[10:13], v[10:11], v[28:29], v[16:19]
	v_perm_b32 v28, v25, v24, s4
	v_perm_b32 v29, v33, v32, s4
	v_cvt_pk_f32_fp8_e32 v[24:25], v7
	ds_read_b128 v[16:19], v14 offset:4096
	v_cvt_pk_f32_fp8_sdwa v[6:7], v7 src0_sel:WORD_1
	v_mfma_f32_16x16x16_bf16 v[10:13], v[22:23], v[30:31], v[10:13]
	v_perm_b32 v30, v25, v24, s4
	ds_read_b128 v[22:25], v14 offset:4112
	v_perm_b32 v31, v7, v6, s4
	s_waitcnt lgkmcnt(1)
	v_mfma_f32_16x16x16_bf16 v[10:13], v[28:29], v[16:17], v[10:13]
	v_cvt_pk_f32_fp8_e32 v[6:7], v8
	v_cvt_pk_f32_fp8_sdwa v[16:17], v8 src0_sel:WORD_1
	s_waitcnt vmcnt(0)
	v_cvt_pk_f32_fp8_sdwa v[28:29], v2 src0_sel:WORD_1
	v_mfma_f32_16x16x16_bf16 v[10:13], v[30:31], v[18:19], v[10:13]
	v_cvt_pk_f32_fp8_e32 v[18:19], v9
	v_perm_b32 v6, v7, v6, s4
	v_perm_b32 v7, v17, v16, s4
	v_cvt_pk_f32_fp8_sdwa v[8:9], v9 src0_sel:WORD_1
	v_perm_b32 v16, v19, v18, s4
	v_cvt_pk_f32_fp8_e32 v[18:19], v2
	v_perm_b32 v17, v9, v8, s4
	s_waitcnt lgkmcnt(0)
	v_mfma_f32_16x16x16_bf16 v[6:9], v[6:7], v[22:23], v[10:13]
	v_perm_b32 v18, v19, v18, s4
	v_perm_b32 v19, v29, v28, s4
	v_cvt_pk_f32_fp8_e32 v[22:23], v3
	ds_read_b128 v[10:13], v14 offset:6144
	v_cvt_pk_f32_fp8_sdwa v[2:3], v3 src0_sel:WORD_1
	v_mfma_f32_16x16x16_bf16 v[6:9], v[16:17], v[24:25], v[6:9]
	v_perm_b32 v22, v23, v22, s4
	ds_read_b128 v[14:17], v14 offset:6160
	v_perm_b32 v23, v3, v2, s4
	s_waitcnt lgkmcnt(1)
	v_mfma_f32_16x16x16_bf16 v[6:9], v[18:19], v[10:11], v[6:9]
	v_cvt_pk_f32_fp8_e32 v[2:3], v4
	v_cvt_pk_f32_fp8_sdwa v[10:11], v4 src0_sel:WORD_1
	s_waitcnt lgkmcnt(0)
	v_mfma_f32_16x16x16_bf16 v[6:9], v[22:23], v[12:13], v[6:9]
	v_perm_b32 v2, v3, v2, s4
	v_perm_b32 v3, v11, v10, s4
	v_cvt_pk_f32_fp8_e32 v[10:11], v5
	v_cvt_pk_f32_fp8_sdwa v[4:5], v5 src0_sel:WORD_1
	s_barrier
	v_perm_b32 v10, v11, v10, s4
	v_perm_b32 v11, v5, v4, s4
	v_mfma_f32_16x16x16_bf16 v[2:5], v[2:3], v[14:15], v[6:9]
	s_nop 0
	v_mfma_f32_16x16x16_bf16 v[2:5], v[10:11], v[16:17], v[2:5]
	s_nop 6
	v_pk_mul_f32 v[2:3], v[2:3], s[12:13] op_sel_hi:[1,0]
	v_pk_mul_f32 v[4:5], v[4:5], s[12:13] op_sel_hi:[1,0]
	v_bfe_u32 v6, v3, 16, 1
	v_bfe_u32 v7, v2, 16, 1
	v_add3_u32 v2, v2, v7, s10
	v_add3_u32 v3, v3, v6, s10
	v_perm_b32 v2, v3, v2, s4
	v_bfe_u32 v3, v5, 16, 1
	v_bfe_u32 v6, v4, 16, 1
	v_add3_u32 v4, v4, v6, s10
	v_add3_u32 v3, v5, v3, s10
	v_perm_b32 v3, v3, v4, s4
	s_and_b64 s[4:5], vcc, s[30:31]
	ds_write_b64 v20, v[2:3]
	s_waitcnt lgkmcnt(0)
	s_barrier
	s_and_saveexec_b64 s[10:11], s[4:5]
	s_cbranch_execz .LBB1236_18
; %bb.16:
	s_load_dwordx2 s[4:5], s[0:1], 0x68
	s_lshl_b32 s0, s8, 6
	s_mul_i32 s1, s9, s2
	s_mul_hi_u32 s9, s1, s0
	s_mul_i32 s8, s1, s0
	v_lshlrev_b32_e32 v0, 10, v0
	s_lshl_b64 s[8:9], s[8:9], 1
	v_and_b32_e32 v0, 0x1800, v0
	v_lshlrev_b32_e32 v2, 5, v42
	v_and_b32_e32 v1, 16, v1
	s_waitcnt lgkmcnt(0)
	s_add_u32 s1, s4, s8
	v_or3_b32 v2, v0, v2, v1
	s_addc_u32 s4, s5, s9
	s_lshl_b32 s2, s28, 6
	s_lshl_b64 s[2:3], s[2:3], 1
	ds_read_b128 v[4:7], v2 offset:128
	ds_read_b128 v[8:11], v2
	s_add_u32 s2, s1, s2
	s_addc_u32 s3, s4, s3
	v_add_u32_e32 v3, s48, v42
	v_lshl_add_u64 v[0:1], s[2:3], 0, v[26:27]
	v_mad_u64_u32 v[12:13], s[2:3], v3, s0, 0
	v_lshl_add_u64 v[12:13], v[12:13], 1, v[0:1]
	v_add_u32_e32 v3, 4, v3
	s_waitcnt lgkmcnt(0)
	global_store_dwordx4 v[12:13], v[8:11], off
	s_nop 1
	v_mad_u64_u32 v[8:9], s[2:3], v3, s0, 0
	v_lshl_add_u64 v[8:9], v[8:9], 1, v[0:1]
	global_store_dwordx4 v[8:9], v[4:7], off
	s_and_b64 exec, exec, s[6:7]
	s_cbranch_execz .LBB1236_18
; %bb.17:
	ds_read_b128 v[2:5], v2 offset:256
	v_add3_u32 v6, s48, v42, 8
	v_mad_u64_u32 v[6:7], s[0:1], v6, s0, 0
	v_lshl_add_u64 v[0:1], v[6:7], 1, v[0:1]
	s_waitcnt lgkmcnt(0)
	global_store_dwordx4 v[0:1], v[2:5], off
.LBB1236_18:
	s_endpgm
	.section	.rodata,"a",@progbits
	.p2align	6, 0x0
	.amdhsa_kernel _Z39paged_attention_ll4mi_QKV_mfma16_kernelI14__hip_bfloat16hLN4vllm18Fp8KVCacheDataTypeE1ES0_Li32ELi64ELi256ELb0ELi9EEvPKT_PKT0_S8_ifPKiSA_SA_iPKfiiiPfSD_PS3_PT2_iSC_SC_
		.amdhsa_group_segment_fixed_size 8192
		.amdhsa_private_segment_fixed_size 0
		.amdhsa_kernarg_size 400
		.amdhsa_user_sgpr_count 2
		.amdhsa_user_sgpr_dispatch_ptr 0
		.amdhsa_user_sgpr_queue_ptr 0
		.amdhsa_user_sgpr_kernarg_segment_ptr 1
		.amdhsa_user_sgpr_dispatch_id 0
		.amdhsa_user_sgpr_kernarg_preload_length 0
		.amdhsa_user_sgpr_kernarg_preload_offset 0
		.amdhsa_user_sgpr_private_segment_size 0
		.amdhsa_uses_dynamic_stack 0
		.amdhsa_enable_private_segment 0
		.amdhsa_system_sgpr_workgroup_id_x 1
		.amdhsa_system_sgpr_workgroup_id_y 1
		.amdhsa_system_sgpr_workgroup_id_z 1
		.amdhsa_system_sgpr_workgroup_info 0
		.amdhsa_system_vgpr_workitem_id 0
		.amdhsa_next_free_vgpr 54
		.amdhsa_next_free_sgpr 50
		.amdhsa_accum_offset 56
		.amdhsa_reserve_vcc 1
		.amdhsa_float_round_mode_32 0
		.amdhsa_float_round_mode_16_64 0
		.amdhsa_float_denorm_mode_32 3
		.amdhsa_float_denorm_mode_16_64 3
		.amdhsa_dx10_clamp 1
		.amdhsa_ieee_mode 1
		.amdhsa_fp16_overflow 0
		.amdhsa_tg_split 0
		.amdhsa_exception_fp_ieee_invalid_op 0
		.amdhsa_exception_fp_denorm_src 0
		.amdhsa_exception_fp_ieee_div_zero 0
		.amdhsa_exception_fp_ieee_overflow 0
		.amdhsa_exception_fp_ieee_underflow 0
		.amdhsa_exception_fp_ieee_inexact 0
		.amdhsa_exception_int_div_zero 0
	.end_amdhsa_kernel
	.section	.text._Z39paged_attention_ll4mi_QKV_mfma16_kernelI14__hip_bfloat16hLN4vllm18Fp8KVCacheDataTypeE1ES0_Li32ELi64ELi256ELb0ELi9EEvPKT_PKT0_S8_ifPKiSA_SA_iPKfiiiPfSD_PS3_PT2_iSC_SC_,"axG",@progbits,_Z39paged_attention_ll4mi_QKV_mfma16_kernelI14__hip_bfloat16hLN4vllm18Fp8KVCacheDataTypeE1ES0_Li32ELi64ELi256ELb0ELi9EEvPKT_PKT0_S8_ifPKiSA_SA_iPKfiiiPfSD_PS3_PT2_iSC_SC_,comdat
.Lfunc_end1236:
	.size	_Z39paged_attention_ll4mi_QKV_mfma16_kernelI14__hip_bfloat16hLN4vllm18Fp8KVCacheDataTypeE1ES0_Li32ELi64ELi256ELb0ELi9EEvPKT_PKT0_S8_ifPKiSA_SA_iPKfiiiPfSD_PS3_PT2_iSC_SC_, .Lfunc_end1236-_Z39paged_attention_ll4mi_QKV_mfma16_kernelI14__hip_bfloat16hLN4vllm18Fp8KVCacheDataTypeE1ES0_Li32ELi64ELi256ELb0ELi9EEvPKT_PKT0_S8_ifPKiSA_SA_iPKfiiiPfSD_PS3_PT2_iSC_SC_
                                        ; -- End function
	.section	.AMDGPU.csdata,"",@progbits
; Kernel info:
; codeLenInByte = 4968
; NumSgprs: 56
; NumVgprs: 54
; NumAgprs: 0
; TotalNumVgprs: 54
; ScratchSize: 0
; MemoryBound: 0
; FloatMode: 240
; IeeeMode: 1
; LDSByteSize: 8192 bytes/workgroup (compile time only)
; SGPRBlocks: 6
; VGPRBlocks: 6
; NumSGPRsForWavesPerEU: 56
; NumVGPRsForWavesPerEU: 54
; AccumOffset: 56
; Occupancy: 8
; WaveLimiterHint : 1
; COMPUTE_PGM_RSRC2:SCRATCH_EN: 0
; COMPUTE_PGM_RSRC2:USER_SGPR: 2
; COMPUTE_PGM_RSRC2:TRAP_HANDLER: 0
; COMPUTE_PGM_RSRC2:TGID_X_EN: 1
; COMPUTE_PGM_RSRC2:TGID_Y_EN: 1
; COMPUTE_PGM_RSRC2:TGID_Z_EN: 1
; COMPUTE_PGM_RSRC2:TIDIG_COMP_CNT: 0
; COMPUTE_PGM_RSRC3_GFX90A:ACCUM_OFFSET: 13
; COMPUTE_PGM_RSRC3_GFX90A:TG_SPLIT: 0
	.section	.text._Z39paged_attention_ll4mi_QKV_mfma16_kernelI14__hip_bfloat16hLN4vllm18Fp8KVCacheDataTypeE1ES0_Li32ELi64ELi256ELb0ELi10EEvPKT_PKT0_S8_ifPKiSA_SA_iPKfiiiPfSD_PS3_PT2_iSC_SC_,"axG",@progbits,_Z39paged_attention_ll4mi_QKV_mfma16_kernelI14__hip_bfloat16hLN4vllm18Fp8KVCacheDataTypeE1ES0_Li32ELi64ELi256ELb0ELi10EEvPKT_PKT0_S8_ifPKiSA_SA_iPKfiiiPfSD_PS3_PT2_iSC_SC_,comdat
	.protected	_Z39paged_attention_ll4mi_QKV_mfma16_kernelI14__hip_bfloat16hLN4vllm18Fp8KVCacheDataTypeE1ES0_Li32ELi64ELi256ELb0ELi10EEvPKT_PKT0_S8_ifPKiSA_SA_iPKfiiiPfSD_PS3_PT2_iSC_SC_ ; -- Begin function _Z39paged_attention_ll4mi_QKV_mfma16_kernelI14__hip_bfloat16hLN4vllm18Fp8KVCacheDataTypeE1ES0_Li32ELi64ELi256ELb0ELi10EEvPKT_PKT0_S8_ifPKiSA_SA_iPKfiiiPfSD_PS3_PT2_iSC_SC_
	.globl	_Z39paged_attention_ll4mi_QKV_mfma16_kernelI14__hip_bfloat16hLN4vllm18Fp8KVCacheDataTypeE1ES0_Li32ELi64ELi256ELb0ELi10EEvPKT_PKT0_S8_ifPKiSA_SA_iPKfiiiPfSD_PS3_PT2_iSC_SC_
	.p2align	8
	.type	_Z39paged_attention_ll4mi_QKV_mfma16_kernelI14__hip_bfloat16hLN4vllm18Fp8KVCacheDataTypeE1ES0_Li32ELi64ELi256ELb0ELi10EEvPKT_PKT0_S8_ifPKiSA_SA_iPKfiiiPfSD_PS3_PT2_iSC_SC_,@function
_Z39paged_attention_ll4mi_QKV_mfma16_kernelI14__hip_bfloat16hLN4vllm18Fp8KVCacheDataTypeE1ES0_Li32ELi64ELi256ELb0ELi10EEvPKT_PKT0_S8_ifPKiSA_SA_iPKfiiiPfSD_PS3_PT2_iSC_SC_: ; @_Z39paged_attention_ll4mi_QKV_mfma16_kernelI14__hip_bfloat16hLN4vllm18Fp8KVCacheDataTypeE1ES0_Li32ELi64ELi256ELb0ELi10EEvPKT_PKT0_S8_ifPKiSA_SA_iPKfiiiPfSD_PS3_PT2_iSC_SC_
; %bb.0:
	s_load_dwordx2 s[12:13], s[0:1], 0x30
	s_mov_b32 s28, s3
	s_mov_b64 s[6:7], 0
	s_waitcnt lgkmcnt(0)
	s_cmp_lg_u64 s[12:13], 0
	s_cselect_b64 s[14:15], -1, 0
	s_and_b64 vcc, exec, s[14:15]
	s_cbranch_vccz .LBB1237_7
; %bb.1:
	s_add_i32 s8, s2, 1
	s_mov_b32 s9, 0
	s_lshl_b64 s[10:11], s[8:9], 2
	s_add_u32 s10, s12, s10
	s_mov_b32 s3, s9
	s_addc_u32 s11, s13, s11
	s_lshl_b64 s[8:9], s[2:3], 2
	s_add_u32 s8, s12, s8
	s_addc_u32 s9, s13, s9
	s_load_dword s5, s[10:11], 0x0
	s_load_dword s16, s[8:9], 0x0
	s_waitcnt lgkmcnt(0)
	s_sub_i32 s5, s5, s16
	s_cmp_eq_u32 s5, 1
	s_cselect_b64 s[8:9], -1, 0
	s_andn2_b64 vcc, exec, s[6:7]
	s_cbranch_vccnz .LBB1237_3
.LBB1237_2:
	s_mov_b32 s3, 0
	s_mov_b64 s[8:9], -1
.LBB1237_3:
	s_andn2_b64 vcc, exec, s[8:9]
	s_cbranch_vccnz .LBB1237_18
; %bb.4:
	s_load_dwordx2 s[6:7], s[0:1], 0x28
	s_lshl_b64 s[16:17], s[2:3], 2
	s_waitcnt lgkmcnt(0)
	s_add_u32 s6, s6, s16
	s_addc_u32 s7, s7, s17
	s_load_dword s33, s[6:7], 0x0
	s_lshl_b32 s5, s28, 8
	s_waitcnt lgkmcnt(0)
	s_cmp_ge_i32 s5, s33
	s_cbranch_scc1 .LBB1237_18
; %bb.5:
	s_load_dwordx2 s[6:7], s[0:1], 0x20
	s_load_dword s8, s[0:1], 0x38
	s_add_i32 s9, s33, 31
	s_ashr_i32 s10, s9, 31
	v_and_b32_e32 v1, 0xcf, v0
	s_lshr_b32 s10, s10, 27
	v_add_u32_e32 v1, s5, v1
	s_add_i32 s9, s9, s10
	v_ashrrev_i32_e32 v2, 31, v1
	s_ashr_i32 s18, s9, 5
	v_lshrrev_b32_e32 v4, 27, v2
	s_add_i32 s18, s18, -1
	s_waitcnt lgkmcnt(0)
	s_mul_i32 s8, s2, s8
	s_mov_b32 s9, 0
	v_add_u32_e32 v2, v1, v4
	s_lshl_b64 s[8:9], s[8:9], 2
	v_ashrrev_i32_e32 v2, 5, v2
	v_mov_b32_e32 v5, s18
	v_cmp_gt_i32_e32 vcc, s33, v1
	s_add_u32 s6, s6, s8
	s_addc_u32 s7, s7, s9
	v_cndmask_b32_e32 v2, v5, v2, vcc
	v_ashrrev_i32_e32 v3, 31, v2
	v_lshl_add_u64 v[6:7], v[2:3], 2, s[6:7]
	v_or_b32_e32 v2, 16, v1
	v_add_u32_e32 v3, v2, v4
	v_ashrrev_i32_e32 v3, 5, v3
	v_cmp_gt_i32_e32 vcc, s33, v2
	s_load_dwordx4 s[8:11], s[0:1], 0x8
	s_nop 0
	v_cndmask_b32_e32 v2, v5, v3, vcc
	v_ashrrev_i32_e32 v3, 31, v2
	v_lshl_add_u64 v[8:9], v[2:3], 2, s[6:7]
	v_or_b32_e32 v2, 32, v1
	v_add_u32_e32 v3, v2, v4
	v_ashrrev_i32_e32 v3, 5, v3
	v_cmp_gt_i32_e32 vcc, s33, v2
	v_or_b32_e32 v1, 48, v1
	s_nop 0
	v_cndmask_b32_e32 v2, v5, v3, vcc
	v_ashrrev_i32_e32 v3, 31, v2
	v_lshl_add_u64 v[10:11], v[2:3], 2, s[6:7]
	v_add_u32_e32 v2, v1, v4
	v_ashrrev_i32_e32 v2, 5, v2
	v_cmp_gt_i32_e32 vcc, s33, v1
	s_nop 1
	v_cndmask_b32_e32 v2, v5, v2, vcc
	v_ashrrev_i32_e32 v3, 31, v2
	v_lshl_add_u64 v[12:13], v[2:3], 2, s[6:7]
	global_load_dword v2, v[6:7], off
	global_load_dword v5, v[8:9], off
	;; [unrolled: 1-line block ×4, first 2 shown]
	s_andn2_b64 vcc, exec, s[14:15]
	s_cbranch_vccnz .LBB1237_8
; %bb.6:
	s_add_u32 s12, s12, s16
	s_addc_u32 s13, s13, s17
	s_load_dword s14, s[12:13], 0x0
	s_branch .LBB1237_9
.LBB1237_7:
	s_mov_b64 s[8:9], 0
	s_branch .LBB1237_2
.LBB1237_8:
	s_mov_b32 s14, s2
.LBB1237_9:
	s_load_dwordx4 s[44:47], s[0:1], 0x48
	v_lshrrev_b32_e32 v29, 6, v0
	v_bfe_u32 v42, v0, 4, 2
	v_lshl_or_b32 v3, v29, 2, v42
	v_and_b32_e32 v28, 15, v0
	v_lshlrev_b32_e32 v1, 3, v28
	v_cmp_gt_u32_e32 vcc, 10, v3
	v_cmp_gt_u32_e64 s[30:31], 8, v28
	v_and_b32_e32 v43, 63, v0
	s_mul_i32 s48, s4, 10
	s_and_b64 s[16:17], s[30:31], vcc
	v_lshlrev_b32_e32 v26, 1, v1
	v_lshlrev_b32_e32 v1, 4, v0
	s_and_saveexec_b64 s[12:13], s[16:17]
	s_cbranch_execz .LBB1237_11
; %bb.10:
	s_load_dwordx2 s[16:17], s[0:1], 0x0
	s_waitcnt lgkmcnt(0)
	s_ashr_i32 s15, s44, 31
	s_mul_hi_u32 s19, s14, s44
	s_mul_i32 s15, s14, s15
	s_add_i32 s15, s19, s15
	s_mul_i32 s14, s14, s44
	s_lshl_b64 s[14:15], s[14:15], 1
	s_add_u32 s14, s16, s14
	v_add_lshl_u32 v6, v3, s48, 6
	s_addc_u32 s15, s17, s15
	v_ashrrev_i32_e32 v7, 31, v6
	v_lshl_add_u64 v[6:7], v[6:7], 1, s[14:15]
	v_mov_b32_e32 v27, 0
	v_lshl_add_u64 v[6:7], v[6:7], 0, v[26:27]
	global_load_dwordx4 v[6:9], v[6:7], off
	v_lshlrev_b32_e32 v11, 8, v28
	v_lshlrev_b32_e32 v3, 5, v3
	v_and_b32_e32 v10, 16, v1
	v_and_b32_e32 v11, 0xe00, v11
	v_or3_b32 v3, v11, v3, v10
	s_waitcnt vmcnt(0)
	ds_write_b128 v3, v[6:9]
.LBB1237_11:
	s_or_b64 exec, exec, s[12:13]
	s_waitcnt lgkmcnt(0)
	s_mul_i32 s4, s4, s46
	s_add_u32 s8, s8, s4
	s_addc_u32 s9, s9, 0
	v_mov_b32_e32 v31, 0
	v_mov_b64_e32 v[18:19], s[8:9]
	v_and_b32_e32 v8, 48, v0
	s_waitcnt vmcnt(3)
	v_mad_i64_i32 v[6:7], s[8:9], v2, s45, v[18:19]
	v_lshlrev_b32_e32 v2, 4, v28
	v_mov_b32_e32 v3, v31
	v_lshlrev_b32_e32 v30, 5, v8
	v_lshl_add_u64 v[6:7], v[6:7], 0, v[2:3]
	v_lshl_add_u64 v[6:7], v[6:7], 0, v[30:31]
	s_load_dword s29, s[0:1], 0x98
	s_load_dwordx4 s[40:43], s[0:1], 0x80
	s_waitcnt lgkmcnt(0)
	s_barrier
	global_load_dwordx4 v[10:13], v[6:7], off
	s_waitcnt vmcnt(3)
	v_mad_i64_i32 v[6:7], s[8:9], v5, s45, v[18:19]
	v_or_b32_e32 v32, 0x100, v2
	v_mov_b32_e32 v33, v31
	v_lshl_add_u64 v[6:7], v[6:7], 0, v[32:33]
	v_lshl_add_u64 v[6:7], v[6:7], 0, v[30:31]
	global_load_dwordx4 v[14:17], v[6:7], off
	s_ashr_i32 s8, s5, 31
	v_or_b32_e32 v5, s5, v8
	s_lshr_b32 s12, s8, 27
	v_add_u32_e32 v8, s12, v5
	v_ashrrev_i32_e32 v8, 5, v8
	v_mov_b32_e32 v21, s18
	v_cmp_gt_i32_e32 vcc, s33, v5
	v_or_b32_e32 v34, 64, v5
	v_or_b32_e32 v35, 0x80, v5
	v_cndmask_b32_e32 v8, v21, v8, vcc
	v_ashrrev_i32_e32 v9, 31, v8
	v_lshl_add_u64 v[8:9], v[8:9], 2, s[6:7]
	global_load_dword v50, v[8:9], off
	v_or_b32_e32 v36, 0xc0, v5
	s_waitcnt vmcnt(4)
	v_mad_i64_i32 v[4:5], s[8:9], v4, s45, v[18:19]
	v_lshl_add_u64 v[2:3], v[4:5], 0, v[2:3]
	v_lshl_add_u64 v[2:3], v[2:3], 0, v[30:31]
	global_load_dwordx4 v[22:25], v[2:3], off
	v_add_u32_e32 v6, -10, v28
	v_cmp_gt_u32_e32 vcc, 10, v28
	s_waitcnt vmcnt(4)
	v_mad_i64_i32 v[18:19], s[8:9], v20, s45, v[18:19]
	v_add_u32_e32 v20, s12, v34
	v_cndmask_b32_e32 v6, v6, v28, vcc
	v_add_u32_e32 v37, s12, v35
	v_ashrrev_i32_e32 v20, 5, v20
	v_cmp_gt_i32_e32 vcc, s33, v34
	v_lshlrev_b32_e32 v6, 5, v6
	v_add_u32_e32 v38, s12, v36
	v_lshl_add_u64 v[18:19], v[18:19], 0, v[32:33]
	v_ashrrev_i32_e32 v33, 5, v37
	v_cndmask_b32_e32 v32, v21, v20, vcc
	v_cmp_gt_i32_e32 vcc, s33, v35
	v_lshl_add_u32 v2, v42, 9, v6
	v_ashrrev_i32_e32 v37, 5, v38
	v_lshl_add_u64 v[18:19], v[18:19], 0, v[30:31]
	v_cndmask_b32_e32 v34, v21, v33, vcc
	v_cmp_gt_i32_e32 vcc, s33, v36
	ds_read_b128 v[6:9], v2
	ds_read_b128 v[2:5], v2 offset:16
	v_cndmask_b32_e32 v36, v21, v37, vcc
	global_load_dwordx4 v[18:21], v[18:19], off
	v_ashrrev_i32_e32 v33, 31, v32
	v_ashrrev_i32_e32 v35, 31, v34
	v_lshl_add_u64 v[40:41], v[32:33], 2, s[6:7]
	v_lshl_add_u64 v[44:45], v[34:35], 2, s[6:7]
	s_add_u32 s8, s10, s4
	v_lshlrev_b32_e32 v27, 5, v28
	s_addc_u32 s9, s11, 0
	v_and_b32_e32 v30, 16, v0
	s_mov_b32 s44, 0x7060302
	v_lshl_add_u64 v[38:39], s[8:9], 0, v[30:31]
	v_lshl_or_b32 v30, v29, 9, v27
	v_lshl_add_u64 v[30:31], v[38:39], 0, v[30:31]
	v_ashrrev_i32_e32 v37, 31, v36
	v_lshl_add_u64 v[36:37], v[36:37], 2, s[6:7]
	s_load_dword s13, s[0:1], 0x1c
	s_mov_b32 s46, 0xff7fffff
	s_waitcnt vmcnt(4)
	v_cvt_pk_f32_fp8_e32 v[32:33], v10
	v_cvt_pk_f32_fp8_sdwa v[34:35], v10 src0_sel:WORD_1
	v_cvt_pk_f32_fp8_e32 v[38:39], v11
	v_cvt_pk_f32_fp8_sdwa v[10:11], v11 src0_sel:WORD_1
	v_perm_b32 v32, v33, v32, s44
	v_perm_b32 v33, v35, v34, s44
	;; [unrolled: 1-line block ×4, first 2 shown]
	v_cvt_pk_f32_fp8_e32 v[46:47], v12
	v_cvt_pk_f32_fp8_sdwa v[48:49], v12 src0_sel:WORD_1
	s_waitcnt lgkmcnt(0)
	v_mfma_f32_16x16x16_bf16 v[32:35], v[32:33], v[6:7], 0
	global_load_dword v12, v[40:41], off
	s_nop 0
	global_load_dword v44, v[44:45], off
	s_nop 0
	global_load_dword v45, v[36:37], off
	v_perm_b32 v36, v47, v46, s44
	v_perm_b32 v37, v49, v48, s44
	v_mfma_f32_16x16x16_bf16 v[32:35], v[38:39], v[8:9], v[32:35]
	v_cvt_pk_f32_fp8_e32 v[38:39], v13
	v_cvt_pk_f32_fp8_sdwa v[40:41], v13 src0_sel:WORD_1
	s_waitcnt vmcnt(6)
	v_cvt_pk_f32_fp8_e32 v[46:47], v16
	v_mfma_f32_16x16x16_bf16 v[32:35], v[36:37], v[2:3], v[32:35]
	v_perm_b32 v38, v39, v38, s44
	v_perm_b32 v39, v41, v40, s44
	v_cvt_pk_f32_fp8_e32 v[36:37], v14
	v_cvt_pk_f32_fp8_sdwa v[40:41], v14 src0_sel:WORD_1
	v_mfma_f32_16x16x16_bf16 v[32:35], v[38:39], v[4:5], v[32:35]
	v_cvt_pk_f32_fp8_e32 v[38:39], v15
	v_perm_b32 v36, v37, v36, s44
	v_perm_b32 v37, v41, v40, s44
	v_cvt_pk_f32_fp8_sdwa v[14:15], v15 src0_sel:WORD_1
	v_perm_b32 v40, v39, v38, s44
	v_cvt_pk_f32_fp8_sdwa v[48:49], v16 src0_sel:WORD_1
	v_mfma_f32_16x16x16_bf16 v[36:39], v[36:37], v[6:7], 0
	v_perm_b32 v41, v15, v14, s44
	s_waitcnt vmcnt(5)
	v_mad_i64_i32 v[10:11], s[6:7], v50, s45, v[30:31]
	v_perm_b32 v46, v47, v46, s44
	v_perm_b32 v47, v49, v48, s44
	v_cvt_pk_f32_fp8_e32 v[48:49], v17
	v_cvt_pk_f32_fp8_sdwa v[50:51], v17 src0_sel:WORD_1
	v_mfma_f32_16x16x16_bf16 v[14:17], v[40:41], v[8:9], v[36:39]
	s_waitcnt vmcnt(4)
	v_cvt_pk_f32_fp8_sdwa v[40:41], v22 src0_sel:WORD_1
	s_load_dword s4, s[40:41], 0x0
	v_mov_b32_e32 v13, s13
	v_perm_b32 v36, v49, v48, s44
	v_perm_b32 v37, v51, v50, s44
	v_mfma_f32_16x16x16_bf16 v[14:17], v[46:47], v[2:3], v[14:17]
	v_cvt_pk_f32_fp8_e32 v[38:39], v22
	v_cvt_pk_f32_fp8_e32 v[46:47], v24
	v_cvt_pk_f32_fp8_sdwa v[48:49], v24 src0_sel:WORD_1
	v_mfma_f32_16x16x16_bf16 v[14:17], v[36:37], v[4:5], v[14:17]
	v_cvt_pk_f32_fp8_e32 v[36:37], v23
	v_perm_b32 v38, v39, v38, s44
	v_perm_b32 v39, v41, v40, s44
	v_cvt_pk_f32_fp8_sdwa v[22:23], v23 src0_sel:WORD_1
	v_perm_b32 v40, v37, v36, s44
	v_mfma_f32_16x16x16_bf16 v[36:39], v[38:39], v[6:7], 0
	v_perm_b32 v41, v23, v22, s44
	v_perm_b32 v46, v47, v46, s44
	;; [unrolled: 1-line block ×3, first 2 shown]
	v_cvt_pk_f32_fp8_e32 v[48:49], v25
	v_cvt_pk_f32_fp8_sdwa v[24:25], v25 src0_sel:WORD_1
	v_mfma_f32_16x16x16_bf16 v[36:39], v[40:41], v[8:9], v[36:39]
	s_waitcnt lgkmcnt(0)
	v_mul_f32_e32 v50, s4, v13
	v_perm_b32 v40, v49, v48, s44
	v_perm_b32 v41, v25, v24, s44
	v_pk_mul_f32 v[22:23], v[50:51], v[34:35] op_sel_hi:[0,1]
	v_mfma_f32_16x16x16_bf16 v[36:39], v[46:47], v[2:3], v[36:39]
	v_pk_mul_f32 v[34:35], v[50:51], v[32:33] op_sel_hi:[0,1]
	s_waitcnt vmcnt(3)
	v_cvt_pk_f32_fp8_e32 v[24:25], v18
	v_cvt_pk_f32_fp8_sdwa v[32:33], v18 src0_sel:WORD_1
	v_mfma_f32_16x16x16_bf16 v[46:49], v[40:41], v[4:5], v[36:39]
	v_cvt_pk_f32_fp8_e32 v[40:41], v20
	v_perm_b32 v24, v25, v24, s44
	v_perm_b32 v25, v33, v32, s44
	v_cvt_pk_f32_fp8_e32 v[36:37], v19
	v_cvt_pk_f32_fp8_sdwa v[18:19], v19 src0_sel:WORD_1
	v_cvt_pk_f32_fp8_sdwa v[52:53], v20 src0_sel:WORD_1
	v_perm_b32 v32, v37, v36, s44
	v_perm_b32 v33, v19, v18, s44
	v_mfma_f32_16x16x16_bf16 v[36:39], v[24:25], v[6:7], 0
	v_perm_b32 v18, v41, v40, s44
	v_perm_b32 v19, v53, v52, s44
	v_cvt_pk_f32_fp8_e32 v[24:25], v21
	v_cvt_pk_f32_fp8_sdwa v[20:21], v21 src0_sel:WORD_1
	v_mfma_f32_16x16x16_bf16 v[6:9], v[32:33], v[8:9], v[36:39]
	v_pk_mul_f32 v[40:41], v[50:51], v[14:15] op_sel_hi:[0,1]
	v_pk_mul_f32 v[32:33], v[50:51], v[48:49] op_sel_hi:[0,1]
	s_nop 0
	v_pk_mul_f32 v[36:37], v[50:51], v[16:17] op_sel_hi:[0,1]
	v_perm_b32 v16, v25, v24, s44
	v_perm_b32 v17, v21, v20, s44
	v_mfma_f32_16x16x16_bf16 v[6:9], v[18:19], v[2:3], v[6:9]
	v_pk_mul_f32 v[38:39], v[50:51], v[46:47] op_sel_hi:[0,1]
	v_mfma_f32_16x16x16_bf16 v[2:5], v[16:17], v[4:5], v[6:9]
	s_nop 6
	v_pk_mul_f32 v[24:25], v[50:51], v[2:3] op_sel_hi:[0,1]
	v_and_b32_e32 v2, 0xc0, v0
	v_add_u32_e32 v2, s5, v2
	v_lshl_or_b32 v2, v42, 2, v2
	v_pk_mul_f32 v[18:19], v[50:51], v[4:5] op_sel_hi:[0,1]
	v_or_b32_e32 v5, 1, v2
	v_mov_b32_e32 v3, 0xff7fffff
	v_cmp_gt_i32_e64 s[4:5], s33, v2
	v_cmp_gt_i32_e64 s[34:35], s33, v5
	v_or_b32_e32 v6, 3, v2
	v_cndmask_b32_e64 v4, v3, v34, s[4:5]
	v_cndmask_b32_e64 v5, v3, v35, s[34:35]
	v_max3_f32 v4, v4, s46, v5
	v_or_b32_e32 v5, 2, v2
	v_cmp_gt_i32_e64 s[36:37], s33, v5
	v_cmp_gt_i32_e64 s[38:39], s33, v6
	s_nop 0
	v_cndmask_b32_e64 v5, v3, v22, s[36:37]
	v_cndmask_b32_e64 v6, v3, v23, s[38:39]
	v_max3_f32 v4, v4, v5, v6
	v_or_b32_e32 v5, 16, v2
	v_or_b32_e32 v6, 17, v2
	v_cmp_gt_i32_e64 s[24:25], s33, v5
	v_cmp_gt_i32_e64 s[26:27], s33, v6
	s_nop 0
	v_cndmask_b32_e64 v5, v3, v40, s[24:25]
	v_cndmask_b32_e64 v6, v3, v41, s[26:27]
	v_max3_f32 v4, v4, v5, v6
	v_or_b32_e32 v5, 18, v2
	;; [unrolled: 8-line block ×6, first 2 shown]
	v_or_b32_e32 v2, 51, v2
	v_cmp_gt_i32_e32 vcc, s33, v5
	v_cmp_gt_i32_e64 s[6:7], s33, v2
	s_nop 0
	v_cndmask_b32_e32 v5, v3, v18, vcc
	v_cndmask_b32_e64 v2, v3, v19, s[6:7]
	v_max3_f32 v4, v4, v5, v2
	v_mbcnt_lo_u32_b32 v2, -1, 0
	v_mbcnt_hi_u32_b32 v5, -1, v2
	v_and_b32_e32 v2, 64, v5
	v_add_u32_e32 v6, 64, v2
	v_xor_b32_e32 v2, 32, v5
	v_cmp_lt_i32_e64 s[40:41], v2, v6
	s_nop 1
	v_cndmask_b32_e64 v2, v5, v2, s[40:41]
	v_lshlrev_b32_e32 v46, 2, v2
	ds_bpermute_b32 v7, v46, v4
	s_waitcnt vmcnt(2)
	v_mad_i64_i32 v[2:3], s[40:41], v12, s45, v[30:31]
	global_load_dwordx4 v[14:17], v[10:11], off
	s_nop 0
	global_load_dwordx4 v[10:13], v[2:3], off
	v_xor_b32_e32 v3, 16, v5
	v_cmp_lt_i32_e64 s[40:41], v3, v6
	s_waitcnt lgkmcnt(0)
	v_max_f32_e32 v2, v7, v7
	v_max_f32_e32 v2, v4, v2
	v_cndmask_b32_e64 v3, v5, v3, s[40:41]
	v_lshlrev_b32_e32 v47, 2, v3
	ds_bpermute_b32 v3, v47, v2
	s_waitcnt vmcnt(3)
	v_mad_i64_i32 v[20:21], s[40:41], v44, s45, v[30:31]
	s_waitcnt vmcnt(2)
	v_mad_i64_i32 v[30:31], s[40:41], v45, s45, v[30:31]
	s_waitcnt lgkmcnt(0)
	v_max_f32_e32 v3, v3, v3
	v_max_f32_e32 v44, v2, v3
	v_sub_f32_e32 v2, v34, v44
	v_mul_f32_e32 v2, 0x3fb8aa3b, v2
	v_exp_f32_e32 v34, v2
	v_sub_f32_e32 v2, v35, v44
	v_mul_f32_e32 v2, 0x3fb8aa3b, v2
	v_exp_f32_e32 v35, v2
	global_load_dwordx4 v[6:9], v[20:21], off
	global_load_dwordx4 v[2:5], v[30:31], off
	v_sub_f32_e32 v22, v22, v44
	v_mul_f32_e32 v22, 0x3fb8aa3b, v22
	v_sub_f32_e32 v23, v23, v44
	v_exp_f32_e32 v22, v22
	v_mul_f32_e32 v23, 0x3fb8aa3b, v23
	v_exp_f32_e32 v23, v23
	v_cndmask_b32_e64 v20, 0, v34, s[4:5]
	v_add_f32_e32 v30, 0, v20
	v_cndmask_b32_e64 v21, 0, v35, s[34:35]
	v_add_f32_e32 v30, v30, v21
	;; [unrolled: 2-line block ×3, first 2 shown]
	v_cndmask_b32_e64 v35, 0, v23, s[38:39]
	v_sub_f32_e32 v23, v40, v44
	v_sub_f32_e32 v30, v41, v44
	v_mul_f32_e32 v23, 0x3fb8aa3b, v23
	v_mul_f32_e32 v30, 0x3fb8aa3b, v30
	v_exp_f32_e32 v23, v23
	v_exp_f32_e32 v30, v30
	v_add_f32_e32 v31, v22, v35
	v_sub_f32_e32 v32, v32, v44
	v_cndmask_b32_e64 v22, 0, v23, s[24:25]
	v_cndmask_b32_e64 v23, 0, v30, s[26:27]
	v_sub_f32_e32 v30, v36, v44
	v_mul_f32_e32 v30, 0x3fb8aa3b, v30
	v_exp_f32_e32 v30, v30
	v_sub_f32_e32 v36, v37, v44
	v_add_f32_e32 v31, v31, v22
	v_mul_f32_e32 v36, 0x3fb8aa3b, v36
	v_exp_f32_e32 v37, v36
	v_add_f32_e32 v31, v31, v23
	v_cndmask_b32_e64 v36, 0, v30, s[20:21]
	v_add_f32_e32 v30, v31, v36
	v_sub_f32_e32 v31, v38, v44
	v_mul_f32_e32 v31, 0x3fb8aa3b, v31
	v_sub_f32_e32 v38, v39, v44
	v_exp_f32_e32 v31, v31
	v_mul_f32_e32 v38, 0x3fb8aa3b, v38
	v_exp_f32_e32 v38, v38
	v_mul_f32_e32 v32, 0x3fb8aa3b, v32
	v_sub_f32_e32 v33, v33, v44
	v_exp_f32_e32 v32, v32
	v_mul_f32_e32 v33, 0x3fb8aa3b, v33
	v_sub_f32_e32 v24, v24, v44
	v_cndmask_b32_e64 v37, 0, v37, s[22:23]
	v_exp_f32_e32 v33, v33
	v_mul_f32_e32 v24, 0x3fb8aa3b, v24
	v_sub_f32_e32 v25, v25, v44
	v_add_f32_e32 v39, v30, v37
	v_cndmask_b32_e64 v30, 0, v31, s[16:17]
	v_exp_f32_e32 v24, v24
	v_mul_f32_e32 v25, 0x3fb8aa3b, v25
	v_sub_f32_e32 v18, v18, v44
	v_add_f32_e32 v39, v39, v30
	;; [unrolled: 5-line block ×3, first 2 shown]
	v_cndmask_b32_e64 v32, 0, v32, s[12:13]
	v_exp_f32_e32 v18, v18
	v_mul_f32_e32 v19, 0x3fb8aa3b, v19
	v_add_f32_e32 v38, v38, v32
	v_cndmask_b32_e64 v33, 0, v33, s[14:15]
	v_exp_f32_e32 v19, v19
	v_add_f32_e32 v38, v38, v33
	v_cndmask_b32_e64 v24, 0, v24, s[8:9]
	v_add_f32_e32 v38, v38, v24
	v_cndmask_b32_e64 v25, 0, v25, s[10:11]
	v_add_f32_e32 v38, v38, v25
	v_cndmask_b32_e32 v18, 0, v18, vcc
	v_add_f32_e32 v38, v38, v18
	v_cndmask_b32_e64 v19, 0, v19, s[6:7]
	v_add_f32_e32 v38, v38, v19
	ds_bpermute_b32 v39, v46, v38
	v_cmp_gt_u32_e32 vcc, 16, v43
	s_waitcnt lgkmcnt(0)
	s_barrier
	v_add_f32_e32 v38, v38, v39
	ds_bpermute_b32 v40, v47, v38
	v_lshlrev_b32_e32 v39, 2, v28
	s_and_saveexec_b64 s[4:5], vcc
	s_cbranch_execz .LBB1237_13
; %bb.12:
	s_waitcnt lgkmcnt(0)
	v_add_f32_e32 v38, v38, v40
	v_lshl_or_b32 v40, v29, 6, v39
	ds_write2st64_b32 v40, v44, v38 offset1:1
.LBB1237_13:
	s_or_b64 exec, exec, s[4:5]
	s_load_dword s6, s[0:1], 0x94
	s_waitcnt lgkmcnt(0)
	s_barrier
	ds_read2_b32 v[40:41], v39 offset1:16
	ds_read2_b32 v[44:45], v39 offset0:32 offset1:48
	ds_read2_b32 v[46:47], v39 offset0:64 offset1:80
	s_movk_i32 s8, 0x7fff
	s_mul_i32 s7, s29, 10
	s_waitcnt lgkmcnt(2)
	v_max3_f32 v38, v40, s46, v41
	s_waitcnt lgkmcnt(1)
	v_max3_f32 v38, v38, v44, v45
	v_sub_f32_e32 v40, v40, v38
	v_mul_f32_e32 v40, 0x3fb8aa3b, v40
	v_exp_f32_e32 v43, v40
	v_sub_f32_e32 v40, v41, v38
	v_mul_f32_e32 v40, 0x3fb8aa3b, v40
	v_exp_f32_e32 v48, v40
	;; [unrolled: 3-line block ×3, first 2 shown]
	ds_read2_b32 v[40:41], v39 offset0:96 offset1:112
	v_sub_f32_e32 v39, v45, v38
	v_mul_f32_e32 v39, 0x3fb8aa3b, v39
	v_exp_f32_e32 v45, v39
	s_waitcnt lgkmcnt(1)
	v_fma_f32 v39, v43, v46, 0
	v_fmac_f32_e32 v39, v48, v47
	s_waitcnt lgkmcnt(0)
	v_fmac_f32_e32 v39, v44, v40
	v_fmac_f32_e32 v39, v45, v41
	v_add_f32_e32 v40, 0x358637bd, v39
	v_div_scale_f32 v41, s[4:5], v40, v40, 1.0
	v_rcp_f32_e32 v46, v41
	s_barrier
	v_fma_f32 v47, -v41, v46, 1.0
	v_fmac_f32_e32 v46, v47, v46
	v_div_scale_f32 v47, vcc, 1.0, v40, 1.0
	v_mul_f32_e32 v49, v47, v46
	v_fma_f32 v50, -v41, v49, v47
	v_fmac_f32_e32 v49, v50, v46
	v_fma_f32 v41, -v41, v49, v47
	v_div_fmas_f32 v41, v41, v46, v49
	v_cmp_eq_u32_e32 vcc, 1, v29
	v_div_fixup_f32 v40, v41, v40, 1.0
	s_nop 0
	v_cndmask_b32_e32 v41, v43, v48, vcc
	v_cmp_eq_u32_e32 vcc, 2, v29
	s_nop 1
	v_cndmask_b32_e32 v41, v41, v44, vcc
	v_cmp_eq_u32_e32 vcc, 3, v29
	s_nop 1
	v_cndmask_b32_e32 v41, v41, v45, vcc
	v_mul_f32_e32 v40, v41, v40
	v_pk_mul_f32 v[20:21], v[40:41], v[20:21] op_sel_hi:[0,1]
	v_pk_mul_f32 v[34:35], v[40:41], v[34:35] op_sel_hi:[0,1]
	v_bfe_u32 v41, v21, 16, 1
	v_bfe_u32 v43, v20, 16, 1
	v_add3_u32 v20, v20, v43, s8
	v_add3_u32 v21, v21, v41, s8
	v_perm_b32 v44, v21, v20, s44
	v_bfe_u32 v20, v35, 16, 1
	v_bfe_u32 v21, v34, 16, 1
	v_add3_u32 v21, v34, v21, s8
	v_add3_u32 v20, v35, v20, s8
	v_perm_b32 v45, v20, v21, s44
	v_lshlrev_b32_e32 v20, 3, v42
	v_lshlrev_b32_e32 v21, 11, v29
	v_pk_mul_f32 v[22:23], v[40:41], v[22:23] op_sel_hi:[0,1]
	v_or3_b32 v20, v21, v27, v20
	v_bfe_u32 v21, v23, 16, 1
	v_bfe_u32 v29, v22, 16, 1
	v_pk_mul_f32 v[34:35], v[40:41], v[36:37] op_sel_hi:[0,1]
	v_add3_u32 v22, v22, v29, s8
	v_add3_u32 v21, v23, v21, s8
	v_perm_b32 v22, v21, v22, s44
	v_bfe_u32 v21, v35, 16, 1
	v_bfe_u32 v23, v34, 16, 1
	v_add3_u32 v23, v34, v23, s8
	v_add3_u32 v21, v35, v21, s8
	v_pk_mul_f32 v[30:31], v[40:41], v[30:31] op_sel_hi:[0,1]
	v_perm_b32 v23, v21, v23, s44
	v_bfe_u32 v21, v31, 16, 1
	v_bfe_u32 v29, v30, 16, 1
	ds_write2st64_b64 v20, v[44:45], v[22:23] offset1:1
	v_pk_mul_f32 v[22:23], v[40:41], v[32:33] op_sel_hi:[0,1]
	v_add3_u32 v29, v30, v29, s8
	v_add3_u32 v21, v31, v21, s8
	v_perm_b32 v30, v21, v29, s44
	v_bfe_u32 v21, v23, 16, 1
	v_bfe_u32 v29, v22, 16, 1
	v_add3_u32 v22, v22, v29, s8
	v_add3_u32 v21, v23, v21, s8
	v_perm_b32 v31, v21, v22, s44
	v_pk_mul_f32 v[22:23], v[40:41], v[24:25] op_sel_hi:[0,1]
	v_bfe_u32 v21, v23, 16, 1
	v_bfe_u32 v24, v22, 16, 1
	v_pk_mul_f32 v[18:19], v[40:41], v[18:19] op_sel_hi:[0,1]
	v_add3_u32 v22, v22, v24, s8
	v_add3_u32 v21, v23, v21, s8
	v_perm_b32 v22, v21, v22, s44
	v_bfe_u32 v21, v19, 16, 1
	v_bfe_u32 v23, v18, 16, 1
	v_add3_u32 v18, v18, v23, s8
	v_add3_u32 v19, v19, v21, s8
	v_perm_b32 v23, v19, v18, s44
	v_cmp_gt_u32_e32 vcc, 10, v0
	ds_write2st64_b64 v20, v[30:31], v[22:23] offset0:2 offset1:3
	s_and_saveexec_b64 s[4:5], vcc
	s_cbranch_execz .LBB1237_15
; %bb.14:
	s_mov_b32 s49, 0
	v_mov_b32_e32 v29, 0
	v_lshl_add_u64 v[18:19], s[48:49], 0, v[28:29]
	v_mov_b32_e32 v21, s7
	v_mad_u64_u32 v[18:19], s[10:11], s2, v21, v[18:19]
	s_mul_i32 s3, s3, s7
	v_mov_b32_e32 v28, s28
	s_load_dwordx4 s[12:15], s[0:1], 0x58
	v_add_u32_e32 v21, s3, v19
	v_mad_u64_u32 v[18:19], s[10:11], v18, s6, v[28:29]
	v_mov_b32_e32 v22, v19
	v_mad_u64_u32 v[22:23], s[10:11], v21, s6, v[22:23]
	v_mov_b32_e32 v19, v22
	v_lshlrev_b64 v[18:19], 2, v[18:19]
	s_waitcnt lgkmcnt(0)
	v_lshl_add_u64 v[22:23], s[14:15], 0, v[18:19]
	v_lshl_add_u64 v[18:19], s[12:13], 0, v[18:19]
	global_store_dword v[22:23], v38, off
	global_store_dword v[18:19], v39, off
.LBB1237_15:
	s_or_b64 exec, exec, s[4:5]
	s_waitcnt vmcnt(3)
	v_cvt_pk_f32_fp8_e32 v[18:19], v14
	v_cvt_pk_f32_fp8_sdwa v[22:23], v14 src0_sel:WORD_1
	s_mov_b32 s4, 0x7060302
	v_lshl_or_b32 v14, v42, 9, v27
	s_waitcnt lgkmcnt(0)
	s_barrier
	v_perm_b32 v18, v19, v18, s4
	v_perm_b32 v19, v23, v22, s4
	v_cvt_pk_f32_fp8_e32 v[28:29], v15
	ds_read_b128 v[22:25], v14
	v_cvt_pk_f32_fp8_sdwa v[36:37], v15 src0_sel:WORD_1
	s_load_dword s10, s[42:43], 0x0
	v_perm_b32 v38, v29, v28, s4
	ds_read_b128 v[28:31], v14 offset:16
	v_perm_b32 v39, v37, v36, s4
	s_waitcnt lgkmcnt(0)
	v_mfma_f32_16x16x16_bf16 v[32:35], v[18:19], v[22:23], 0
	v_cvt_pk_f32_fp8_e32 v[18:19], v16
	v_cvt_pk_f32_fp8_sdwa v[36:37], v16 src0_sel:WORD_1
	v_cmp_gt_u32_e32 vcc, 64, v0
	v_mfma_f32_16x16x16_bf16 v[22:25], v[38:39], v[24:25], v[32:35]
	v_perm_b32 v18, v19, v18, s4
	v_perm_b32 v19, v37, v36, s4
	s_waitcnt vmcnt(2)
	v_cvt_pk_f32_fp8_sdwa v[36:37], v10 src0_sel:WORD_1
	v_cvt_pk_f32_fp8_e32 v[32:33], v17
	v_cvt_pk_f32_fp8_sdwa v[16:17], v17 src0_sel:WORD_1
	v_cvt_pk_f32_fp8_e32 v[34:35], v10
	s_mov_b32 s3, 0
	v_perm_b32 v32, v33, v32, s4
	v_perm_b32 v33, v17, v16, s4
	v_mfma_f32_16x16x16_bf16 v[16:19], v[18:19], v[28:29], v[22:25]
	v_perm_b32 v34, v35, v34, s4
	v_perm_b32 v35, v37, v36, s4
	v_cvt_pk_f32_fp8_e32 v[28:29], v11
	ds_read_b128 v[22:25], v14 offset:2048
	v_cvt_pk_f32_fp8_sdwa v[10:11], v11 src0_sel:WORD_1
	v_mfma_f32_16x16x16_bf16 v[16:19], v[32:33], v[30:31], v[16:19]
	v_perm_b32 v32, v29, v28, s4
	ds_read_b128 v[28:31], v14 offset:2064
	v_perm_b32 v33, v11, v10, s4
	s_waitcnt lgkmcnt(1)
	v_mfma_f32_16x16x16_bf16 v[16:19], v[34:35], v[22:23], v[16:19]
	v_cvt_pk_f32_fp8_e32 v[10:11], v12
	v_cvt_pk_f32_fp8_sdwa v[22:23], v12 src0_sel:WORD_1
	v_mov_b32_e32 v27, 0
	v_mfma_f32_16x16x16_bf16 v[16:19], v[32:33], v[24:25], v[16:19]
	v_cvt_pk_f32_fp8_e32 v[24:25], v13
	v_perm_b32 v10, v11, v10, s4
	v_perm_b32 v11, v23, v22, s4
	v_cvt_pk_f32_fp8_sdwa v[12:13], v13 src0_sel:WORD_1
	v_perm_b32 v22, v25, v24, s4
	s_waitcnt vmcnt(1)
	v_cvt_pk_f32_fp8_e32 v[24:25], v6
	v_cvt_pk_f32_fp8_sdwa v[32:33], v6 src0_sel:WORD_1
	v_perm_b32 v23, v13, v12, s4
	s_waitcnt lgkmcnt(0)
	v_mfma_f32_16x16x16_bf16 v[10:13], v[10:11], v[28:29], v[16:19]
	v_perm_b32 v28, v25, v24, s4
	v_perm_b32 v29, v33, v32, s4
	v_cvt_pk_f32_fp8_e32 v[24:25], v7
	ds_read_b128 v[16:19], v14 offset:4096
	v_cvt_pk_f32_fp8_sdwa v[6:7], v7 src0_sel:WORD_1
	v_mfma_f32_16x16x16_bf16 v[10:13], v[22:23], v[30:31], v[10:13]
	v_perm_b32 v30, v25, v24, s4
	ds_read_b128 v[22:25], v14 offset:4112
	v_perm_b32 v31, v7, v6, s4
	s_waitcnt lgkmcnt(1)
	v_mfma_f32_16x16x16_bf16 v[10:13], v[28:29], v[16:17], v[10:13]
	v_cvt_pk_f32_fp8_e32 v[6:7], v8
	v_cvt_pk_f32_fp8_sdwa v[16:17], v8 src0_sel:WORD_1
	s_waitcnt vmcnt(0)
	v_cvt_pk_f32_fp8_sdwa v[28:29], v2 src0_sel:WORD_1
	v_mfma_f32_16x16x16_bf16 v[10:13], v[30:31], v[18:19], v[10:13]
	v_cvt_pk_f32_fp8_e32 v[18:19], v9
	v_perm_b32 v6, v7, v6, s4
	v_perm_b32 v7, v17, v16, s4
	v_cvt_pk_f32_fp8_sdwa v[8:9], v9 src0_sel:WORD_1
	v_perm_b32 v16, v19, v18, s4
	v_cvt_pk_f32_fp8_e32 v[18:19], v2
	v_perm_b32 v17, v9, v8, s4
	s_waitcnt lgkmcnt(0)
	v_mfma_f32_16x16x16_bf16 v[6:9], v[6:7], v[22:23], v[10:13]
	v_perm_b32 v18, v19, v18, s4
	v_perm_b32 v19, v29, v28, s4
	v_cvt_pk_f32_fp8_e32 v[22:23], v3
	ds_read_b128 v[10:13], v14 offset:6144
	v_cvt_pk_f32_fp8_sdwa v[2:3], v3 src0_sel:WORD_1
	v_mfma_f32_16x16x16_bf16 v[6:9], v[16:17], v[24:25], v[6:9]
	v_perm_b32 v22, v23, v22, s4
	ds_read_b128 v[14:17], v14 offset:6160
	v_perm_b32 v23, v3, v2, s4
	s_waitcnt lgkmcnt(1)
	v_mfma_f32_16x16x16_bf16 v[6:9], v[18:19], v[10:11], v[6:9]
	v_cvt_pk_f32_fp8_e32 v[2:3], v4
	v_cvt_pk_f32_fp8_sdwa v[10:11], v4 src0_sel:WORD_1
	s_waitcnt lgkmcnt(0)
	v_mfma_f32_16x16x16_bf16 v[6:9], v[22:23], v[12:13], v[6:9]
	v_perm_b32 v2, v3, v2, s4
	v_perm_b32 v3, v11, v10, s4
	v_cvt_pk_f32_fp8_e32 v[10:11], v5
	v_cvt_pk_f32_fp8_sdwa v[4:5], v5 src0_sel:WORD_1
	s_barrier
	v_perm_b32 v10, v11, v10, s4
	v_perm_b32 v11, v5, v4, s4
	v_mfma_f32_16x16x16_bf16 v[2:5], v[2:3], v[14:15], v[6:9]
	s_nop 0
	v_mfma_f32_16x16x16_bf16 v[2:5], v[10:11], v[16:17], v[2:5]
	s_nop 6
	v_pk_mul_f32 v[2:3], v[2:3], s[10:11] op_sel_hi:[1,0]
	v_pk_mul_f32 v[4:5], v[4:5], s[10:11] op_sel_hi:[1,0]
	v_bfe_u32 v6, v3, 16, 1
	v_bfe_u32 v7, v2, 16, 1
	v_add3_u32 v2, v2, v7, s8
	v_add3_u32 v3, v3, v6, s8
	v_perm_b32 v2, v3, v2, s4
	v_bfe_u32 v3, v5, 16, 1
	v_bfe_u32 v6, v4, 16, 1
	v_add3_u32 v4, v4, v6, s8
	v_add3_u32 v3, v5, v3, s8
	v_perm_b32 v3, v3, v4, s4
	s_and_b64 s[4:5], vcc, s[30:31]
	ds_write_b64 v20, v[2:3]
	s_waitcnt lgkmcnt(0)
	s_barrier
	s_and_saveexec_b64 s[8:9], s[4:5]
	s_cbranch_execz .LBB1237_18
; %bb.16:
	s_load_dwordx2 s[4:5], s[0:1], 0x68
	s_lshl_b32 s0, s6, 6
	s_mul_i32 s1, s7, s2
	s_mul_hi_u32 s7, s1, s0
	s_mul_i32 s6, s1, s0
	v_lshlrev_b32_e32 v0, 10, v0
	s_lshl_b64 s[6:7], s[6:7], 1
	v_and_b32_e32 v0, 0x1800, v0
	v_lshlrev_b32_e32 v2, 5, v42
	v_and_b32_e32 v1, 16, v1
	s_waitcnt lgkmcnt(0)
	s_add_u32 s1, s4, s6
	v_or3_b32 v2, v0, v2, v1
	s_addc_u32 s4, s5, s7
	s_lshl_b32 s2, s28, 6
	s_lshl_b64 s[2:3], s[2:3], 1
	ds_read_b128 v[4:7], v2 offset:128
	ds_read_b128 v[8:11], v2
	s_add_u32 s2, s1, s2
	s_addc_u32 s3, s4, s3
	v_add_u32_e32 v14, s48, v42
	v_lshl_add_u64 v[0:1], s[2:3], 0, v[26:27]
	v_mad_u64_u32 v[12:13], s[2:3], v14, s0, 0
	v_lshl_add_u64 v[12:13], v[12:13], 1, v[0:1]
	s_waitcnt lgkmcnt(0)
	global_store_dwordx4 v[12:13], v[8:11], off
	v_or_b32_e32 v3, 8, v42
	v_cmp_gt_u32_e32 vcc, 10, v3
	v_add_u32_e32 v8, 4, v14
	v_mad_u64_u32 v[8:9], s[2:3], v8, s0, 0
	v_lshl_add_u64 v[8:9], v[8:9], 1, v[0:1]
	global_store_dwordx4 v[8:9], v[4:7], off
	s_and_b64 exec, exec, vcc
	s_cbranch_execz .LBB1237_18
; %bb.17:
	ds_read_b128 v[4:7], v2 offset:256
	v_add_u32_e32 v2, s48, v3
	v_mad_u64_u32 v[2:3], s[0:1], v2, s0, 0
	v_lshl_add_u64 v[0:1], v[2:3], 1, v[0:1]
	s_waitcnt lgkmcnt(0)
	global_store_dwordx4 v[0:1], v[4:7], off
.LBB1237_18:
	s_endpgm
	.section	.rodata,"a",@progbits
	.p2align	6, 0x0
	.amdhsa_kernel _Z39paged_attention_ll4mi_QKV_mfma16_kernelI14__hip_bfloat16hLN4vllm18Fp8KVCacheDataTypeE1ES0_Li32ELi64ELi256ELb0ELi10EEvPKT_PKT0_S8_ifPKiSA_SA_iPKfiiiPfSD_PS3_PT2_iSC_SC_
		.amdhsa_group_segment_fixed_size 8192
		.amdhsa_private_segment_fixed_size 0
		.amdhsa_kernarg_size 400
		.amdhsa_user_sgpr_count 2
		.amdhsa_user_sgpr_dispatch_ptr 0
		.amdhsa_user_sgpr_queue_ptr 0
		.amdhsa_user_sgpr_kernarg_segment_ptr 1
		.amdhsa_user_sgpr_dispatch_id 0
		.amdhsa_user_sgpr_kernarg_preload_length 0
		.amdhsa_user_sgpr_kernarg_preload_offset 0
		.amdhsa_user_sgpr_private_segment_size 0
		.amdhsa_uses_dynamic_stack 0
		.amdhsa_enable_private_segment 0
		.amdhsa_system_sgpr_workgroup_id_x 1
		.amdhsa_system_sgpr_workgroup_id_y 1
		.amdhsa_system_sgpr_workgroup_id_z 1
		.amdhsa_system_sgpr_workgroup_info 0
		.amdhsa_system_vgpr_workitem_id 0
		.amdhsa_next_free_vgpr 54
		.amdhsa_next_free_sgpr 50
		.amdhsa_accum_offset 56
		.amdhsa_reserve_vcc 1
		.amdhsa_float_round_mode_32 0
		.amdhsa_float_round_mode_16_64 0
		.amdhsa_float_denorm_mode_32 3
		.amdhsa_float_denorm_mode_16_64 3
		.amdhsa_dx10_clamp 1
		.amdhsa_ieee_mode 1
		.amdhsa_fp16_overflow 0
		.amdhsa_tg_split 0
		.amdhsa_exception_fp_ieee_invalid_op 0
		.amdhsa_exception_fp_denorm_src 0
		.amdhsa_exception_fp_ieee_div_zero 0
		.amdhsa_exception_fp_ieee_overflow 0
		.amdhsa_exception_fp_ieee_underflow 0
		.amdhsa_exception_fp_ieee_inexact 0
		.amdhsa_exception_int_div_zero 0
	.end_amdhsa_kernel
	.section	.text._Z39paged_attention_ll4mi_QKV_mfma16_kernelI14__hip_bfloat16hLN4vllm18Fp8KVCacheDataTypeE1ES0_Li32ELi64ELi256ELb0ELi10EEvPKT_PKT0_S8_ifPKiSA_SA_iPKfiiiPfSD_PS3_PT2_iSC_SC_,"axG",@progbits,_Z39paged_attention_ll4mi_QKV_mfma16_kernelI14__hip_bfloat16hLN4vllm18Fp8KVCacheDataTypeE1ES0_Li32ELi64ELi256ELb0ELi10EEvPKT_PKT0_S8_ifPKiSA_SA_iPKfiiiPfSD_PS3_PT2_iSC_SC_,comdat
.Lfunc_end1237:
	.size	_Z39paged_attention_ll4mi_QKV_mfma16_kernelI14__hip_bfloat16hLN4vllm18Fp8KVCacheDataTypeE1ES0_Li32ELi64ELi256ELb0ELi10EEvPKT_PKT0_S8_ifPKiSA_SA_iPKfiiiPfSD_PS3_PT2_iSC_SC_, .Lfunc_end1237-_Z39paged_attention_ll4mi_QKV_mfma16_kernelI14__hip_bfloat16hLN4vllm18Fp8KVCacheDataTypeE1ES0_Li32ELi64ELi256ELb0ELi10EEvPKT_PKT0_S8_ifPKiSA_SA_iPKfiiiPfSD_PS3_PT2_iSC_SC_
                                        ; -- End function
	.section	.AMDGPU.csdata,"",@progbits
; Kernel info:
; codeLenInByte = 4964
; NumSgprs: 56
; NumVgprs: 54
; NumAgprs: 0
; TotalNumVgprs: 54
; ScratchSize: 0
; MemoryBound: 0
; FloatMode: 240
; IeeeMode: 1
; LDSByteSize: 8192 bytes/workgroup (compile time only)
; SGPRBlocks: 6
; VGPRBlocks: 6
; NumSGPRsForWavesPerEU: 56
; NumVGPRsForWavesPerEU: 54
; AccumOffset: 56
; Occupancy: 8
; WaveLimiterHint : 1
; COMPUTE_PGM_RSRC2:SCRATCH_EN: 0
; COMPUTE_PGM_RSRC2:USER_SGPR: 2
; COMPUTE_PGM_RSRC2:TRAP_HANDLER: 0
; COMPUTE_PGM_RSRC2:TGID_X_EN: 1
; COMPUTE_PGM_RSRC2:TGID_Y_EN: 1
; COMPUTE_PGM_RSRC2:TGID_Z_EN: 1
; COMPUTE_PGM_RSRC2:TIDIG_COMP_CNT: 0
; COMPUTE_PGM_RSRC3_GFX90A:ACCUM_OFFSET: 13
; COMPUTE_PGM_RSRC3_GFX90A:TG_SPLIT: 0
	.section	.text._Z39paged_attention_ll4mi_QKV_mfma16_kernelI14__hip_bfloat16hLN4vllm18Fp8KVCacheDataTypeE1ES0_Li32ELi64ELi256ELb0ELi11EEvPKT_PKT0_S8_ifPKiSA_SA_iPKfiiiPfSD_PS3_PT2_iSC_SC_,"axG",@progbits,_Z39paged_attention_ll4mi_QKV_mfma16_kernelI14__hip_bfloat16hLN4vllm18Fp8KVCacheDataTypeE1ES0_Li32ELi64ELi256ELb0ELi11EEvPKT_PKT0_S8_ifPKiSA_SA_iPKfiiiPfSD_PS3_PT2_iSC_SC_,comdat
	.protected	_Z39paged_attention_ll4mi_QKV_mfma16_kernelI14__hip_bfloat16hLN4vllm18Fp8KVCacheDataTypeE1ES0_Li32ELi64ELi256ELb0ELi11EEvPKT_PKT0_S8_ifPKiSA_SA_iPKfiiiPfSD_PS3_PT2_iSC_SC_ ; -- Begin function _Z39paged_attention_ll4mi_QKV_mfma16_kernelI14__hip_bfloat16hLN4vllm18Fp8KVCacheDataTypeE1ES0_Li32ELi64ELi256ELb0ELi11EEvPKT_PKT0_S8_ifPKiSA_SA_iPKfiiiPfSD_PS3_PT2_iSC_SC_
	.globl	_Z39paged_attention_ll4mi_QKV_mfma16_kernelI14__hip_bfloat16hLN4vllm18Fp8KVCacheDataTypeE1ES0_Li32ELi64ELi256ELb0ELi11EEvPKT_PKT0_S8_ifPKiSA_SA_iPKfiiiPfSD_PS3_PT2_iSC_SC_
	.p2align	8
	.type	_Z39paged_attention_ll4mi_QKV_mfma16_kernelI14__hip_bfloat16hLN4vllm18Fp8KVCacheDataTypeE1ES0_Li32ELi64ELi256ELb0ELi11EEvPKT_PKT0_S8_ifPKiSA_SA_iPKfiiiPfSD_PS3_PT2_iSC_SC_,@function
_Z39paged_attention_ll4mi_QKV_mfma16_kernelI14__hip_bfloat16hLN4vllm18Fp8KVCacheDataTypeE1ES0_Li32ELi64ELi256ELb0ELi11EEvPKT_PKT0_S8_ifPKiSA_SA_iPKfiiiPfSD_PS3_PT2_iSC_SC_: ; @_Z39paged_attention_ll4mi_QKV_mfma16_kernelI14__hip_bfloat16hLN4vllm18Fp8KVCacheDataTypeE1ES0_Li32ELi64ELi256ELb0ELi11EEvPKT_PKT0_S8_ifPKiSA_SA_iPKfiiiPfSD_PS3_PT2_iSC_SC_
; %bb.0:
	s_load_dwordx2 s[12:13], s[0:1], 0x30
	s_mov_b32 s28, s3
	s_mov_b64 s[6:7], 0
	s_waitcnt lgkmcnt(0)
	s_cmp_lg_u64 s[12:13], 0
	s_cselect_b64 s[14:15], -1, 0
	s_and_b64 vcc, exec, s[14:15]
	s_cbranch_vccz .LBB1238_7
; %bb.1:
	s_add_i32 s8, s2, 1
	s_mov_b32 s9, 0
	s_lshl_b64 s[10:11], s[8:9], 2
	s_add_u32 s10, s12, s10
	s_mov_b32 s3, s9
	s_addc_u32 s11, s13, s11
	s_lshl_b64 s[8:9], s[2:3], 2
	s_add_u32 s8, s12, s8
	s_addc_u32 s9, s13, s9
	s_load_dword s5, s[10:11], 0x0
	s_load_dword s16, s[8:9], 0x0
	s_waitcnt lgkmcnt(0)
	s_sub_i32 s5, s5, s16
	s_cmp_eq_u32 s5, 1
	s_cselect_b64 s[8:9], -1, 0
	s_andn2_b64 vcc, exec, s[6:7]
	s_cbranch_vccnz .LBB1238_3
.LBB1238_2:
	s_mov_b32 s3, 0
	s_mov_b64 s[8:9], -1
.LBB1238_3:
	s_andn2_b64 vcc, exec, s[8:9]
	s_cbranch_vccnz .LBB1238_18
; %bb.4:
	s_load_dwordx2 s[6:7], s[0:1], 0x28
	s_lshl_b64 s[16:17], s[2:3], 2
	s_waitcnt lgkmcnt(0)
	s_add_u32 s6, s6, s16
	s_addc_u32 s7, s7, s17
	s_load_dword s33, s[6:7], 0x0
	s_lshl_b32 s5, s28, 8
	s_waitcnt lgkmcnt(0)
	s_cmp_ge_i32 s5, s33
	s_cbranch_scc1 .LBB1238_18
; %bb.5:
	s_load_dwordx2 s[6:7], s[0:1], 0x20
	s_load_dword s8, s[0:1], 0x38
	s_add_i32 s9, s33, 31
	s_ashr_i32 s10, s9, 31
	v_and_b32_e32 v1, 0xcf, v0
	s_lshr_b32 s10, s10, 27
	v_add_u32_e32 v1, s5, v1
	s_add_i32 s9, s9, s10
	v_ashrrev_i32_e32 v2, 31, v1
	s_ashr_i32 s18, s9, 5
	v_lshrrev_b32_e32 v4, 27, v2
	s_add_i32 s18, s18, -1
	s_waitcnt lgkmcnt(0)
	s_mul_i32 s8, s2, s8
	s_mov_b32 s9, 0
	v_add_u32_e32 v2, v1, v4
	s_lshl_b64 s[8:9], s[8:9], 2
	v_ashrrev_i32_e32 v2, 5, v2
	v_mov_b32_e32 v5, s18
	v_cmp_gt_i32_e32 vcc, s33, v1
	s_add_u32 s6, s6, s8
	s_addc_u32 s7, s7, s9
	v_cndmask_b32_e32 v2, v5, v2, vcc
	v_ashrrev_i32_e32 v3, 31, v2
	v_lshl_add_u64 v[6:7], v[2:3], 2, s[6:7]
	v_or_b32_e32 v2, 16, v1
	v_add_u32_e32 v3, v2, v4
	v_ashrrev_i32_e32 v3, 5, v3
	v_cmp_gt_i32_e32 vcc, s33, v2
	s_load_dwordx4 s[8:11], s[0:1], 0x8
	s_nop 0
	v_cndmask_b32_e32 v2, v5, v3, vcc
	v_ashrrev_i32_e32 v3, 31, v2
	v_lshl_add_u64 v[8:9], v[2:3], 2, s[6:7]
	v_or_b32_e32 v2, 32, v1
	v_add_u32_e32 v3, v2, v4
	v_ashrrev_i32_e32 v3, 5, v3
	v_cmp_gt_i32_e32 vcc, s33, v2
	v_or_b32_e32 v1, 48, v1
	s_nop 0
	v_cndmask_b32_e32 v2, v5, v3, vcc
	v_ashrrev_i32_e32 v3, 31, v2
	v_lshl_add_u64 v[10:11], v[2:3], 2, s[6:7]
	v_add_u32_e32 v2, v1, v4
	v_ashrrev_i32_e32 v2, 5, v2
	v_cmp_gt_i32_e32 vcc, s33, v1
	s_nop 1
	v_cndmask_b32_e32 v2, v5, v2, vcc
	v_ashrrev_i32_e32 v3, 31, v2
	v_lshl_add_u64 v[12:13], v[2:3], 2, s[6:7]
	global_load_dword v2, v[6:7], off
	global_load_dword v5, v[8:9], off
	;; [unrolled: 1-line block ×4, first 2 shown]
	s_andn2_b64 vcc, exec, s[14:15]
	s_cbranch_vccnz .LBB1238_8
; %bb.6:
	s_add_u32 s12, s12, s16
	s_addc_u32 s13, s13, s17
	s_load_dword s14, s[12:13], 0x0
	s_branch .LBB1238_9
.LBB1238_7:
	s_mov_b64 s[8:9], 0
	s_branch .LBB1238_2
.LBB1238_8:
	s_mov_b32 s14, s2
.LBB1238_9:
	s_load_dwordx4 s[44:47], s[0:1], 0x48
	v_lshrrev_b32_e32 v29, 6, v0
	v_bfe_u32 v42, v0, 4, 2
	v_lshl_or_b32 v3, v29, 2, v42
	v_and_b32_e32 v28, 15, v0
	v_lshlrev_b32_e32 v1, 3, v28
	v_cmp_gt_u32_e32 vcc, 11, v3
	v_cmp_gt_u32_e64 s[30:31], 8, v28
	v_and_b32_e32 v43, 63, v0
	s_mul_i32 s48, s4, 11
	s_and_b64 s[16:17], s[30:31], vcc
	v_lshlrev_b32_e32 v26, 1, v1
	v_lshlrev_b32_e32 v1, 4, v0
	s_and_saveexec_b64 s[12:13], s[16:17]
	s_cbranch_execz .LBB1238_11
; %bb.10:
	s_load_dwordx2 s[16:17], s[0:1], 0x0
	s_waitcnt lgkmcnt(0)
	s_ashr_i32 s15, s44, 31
	s_mul_hi_u32 s19, s14, s44
	s_mul_i32 s15, s14, s15
	s_add_i32 s15, s19, s15
	s_mul_i32 s14, s14, s44
	s_lshl_b64 s[14:15], s[14:15], 1
	s_add_u32 s14, s16, s14
	v_add_lshl_u32 v6, v3, s48, 6
	s_addc_u32 s15, s17, s15
	v_ashrrev_i32_e32 v7, 31, v6
	v_lshl_add_u64 v[6:7], v[6:7], 1, s[14:15]
	v_mov_b32_e32 v27, 0
	v_lshl_add_u64 v[6:7], v[6:7], 0, v[26:27]
	global_load_dwordx4 v[6:9], v[6:7], off
	v_lshlrev_b32_e32 v11, 8, v28
	v_lshlrev_b32_e32 v3, 5, v3
	v_and_b32_e32 v10, 16, v1
	v_and_b32_e32 v11, 0xe00, v11
	v_or3_b32 v3, v11, v3, v10
	s_waitcnt vmcnt(0)
	ds_write_b128 v3, v[6:9]
.LBB1238_11:
	s_or_b64 exec, exec, s[12:13]
	s_waitcnt lgkmcnt(0)
	s_mul_i32 s4, s4, s46
	s_add_u32 s8, s8, s4
	s_addc_u32 s9, s9, 0
	v_mov_b32_e32 v31, 0
	v_mov_b64_e32 v[18:19], s[8:9]
	v_and_b32_e32 v8, 48, v0
	s_waitcnt vmcnt(3)
	v_mad_i64_i32 v[6:7], s[8:9], v2, s45, v[18:19]
	v_lshlrev_b32_e32 v2, 4, v28
	v_mov_b32_e32 v3, v31
	v_lshlrev_b32_e32 v30, 5, v8
	v_lshl_add_u64 v[6:7], v[6:7], 0, v[2:3]
	v_lshl_add_u64 v[6:7], v[6:7], 0, v[30:31]
	s_load_dword s29, s[0:1], 0x98
	s_load_dwordx4 s[40:43], s[0:1], 0x80
	s_waitcnt lgkmcnt(0)
	s_barrier
	global_load_dwordx4 v[10:13], v[6:7], off
	s_waitcnt vmcnt(3)
	v_mad_i64_i32 v[6:7], s[8:9], v5, s45, v[18:19]
	v_or_b32_e32 v32, 0x100, v2
	v_mov_b32_e32 v33, v31
	v_lshl_add_u64 v[6:7], v[6:7], 0, v[32:33]
	v_lshl_add_u64 v[6:7], v[6:7], 0, v[30:31]
	global_load_dwordx4 v[14:17], v[6:7], off
	s_ashr_i32 s8, s5, 31
	v_or_b32_e32 v5, s5, v8
	s_lshr_b32 s12, s8, 27
	v_add_u32_e32 v8, s12, v5
	v_ashrrev_i32_e32 v8, 5, v8
	v_mov_b32_e32 v21, s18
	v_cmp_gt_i32_e32 vcc, s33, v5
	v_or_b32_e32 v34, 64, v5
	v_or_b32_e32 v35, 0x80, v5
	v_cndmask_b32_e32 v8, v21, v8, vcc
	v_ashrrev_i32_e32 v9, 31, v8
	v_lshl_add_u64 v[8:9], v[8:9], 2, s[6:7]
	global_load_dword v50, v[8:9], off
	v_or_b32_e32 v36, 0xc0, v5
	s_waitcnt vmcnt(4)
	v_mad_i64_i32 v[4:5], s[8:9], v4, s45, v[18:19]
	v_lshl_add_u64 v[2:3], v[4:5], 0, v[2:3]
	v_lshl_add_u64 v[2:3], v[2:3], 0, v[30:31]
	global_load_dwordx4 v[22:25], v[2:3], off
	v_add_u32_e32 v6, -11, v28
	v_cmp_gt_u32_e32 vcc, 11, v28
	s_waitcnt vmcnt(4)
	v_mad_i64_i32 v[18:19], s[8:9], v20, s45, v[18:19]
	v_add_u32_e32 v20, s12, v34
	v_cndmask_b32_e32 v6, v6, v28, vcc
	v_add_u32_e32 v37, s12, v35
	v_ashrrev_i32_e32 v20, 5, v20
	v_cmp_gt_i32_e32 vcc, s33, v34
	v_lshlrev_b32_e32 v6, 5, v6
	v_add_u32_e32 v38, s12, v36
	v_lshl_add_u64 v[18:19], v[18:19], 0, v[32:33]
	v_ashrrev_i32_e32 v33, 5, v37
	v_cndmask_b32_e32 v32, v21, v20, vcc
	v_cmp_gt_i32_e32 vcc, s33, v35
	v_lshl_add_u32 v2, v42, 9, v6
	v_ashrrev_i32_e32 v37, 5, v38
	v_lshl_add_u64 v[18:19], v[18:19], 0, v[30:31]
	v_cndmask_b32_e32 v34, v21, v33, vcc
	v_cmp_gt_i32_e32 vcc, s33, v36
	ds_read_b128 v[6:9], v2
	ds_read_b128 v[2:5], v2 offset:16
	v_cndmask_b32_e32 v36, v21, v37, vcc
	global_load_dwordx4 v[18:21], v[18:19], off
	v_ashrrev_i32_e32 v33, 31, v32
	v_ashrrev_i32_e32 v35, 31, v34
	v_lshl_add_u64 v[40:41], v[32:33], 2, s[6:7]
	v_lshl_add_u64 v[44:45], v[34:35], 2, s[6:7]
	s_add_u32 s8, s10, s4
	v_lshlrev_b32_e32 v27, 5, v28
	s_addc_u32 s9, s11, 0
	v_and_b32_e32 v30, 16, v0
	s_mov_b32 s44, 0x7060302
	v_lshl_add_u64 v[38:39], s[8:9], 0, v[30:31]
	v_lshl_or_b32 v30, v29, 9, v27
	v_lshl_add_u64 v[30:31], v[38:39], 0, v[30:31]
	v_ashrrev_i32_e32 v37, 31, v36
	v_lshl_add_u64 v[36:37], v[36:37], 2, s[6:7]
	s_load_dword s13, s[0:1], 0x1c
	s_mov_b32 s46, 0xff7fffff
	s_waitcnt vmcnt(4)
	v_cvt_pk_f32_fp8_e32 v[32:33], v10
	v_cvt_pk_f32_fp8_sdwa v[34:35], v10 src0_sel:WORD_1
	v_cvt_pk_f32_fp8_e32 v[38:39], v11
	v_cvt_pk_f32_fp8_sdwa v[10:11], v11 src0_sel:WORD_1
	v_perm_b32 v32, v33, v32, s44
	v_perm_b32 v33, v35, v34, s44
	;; [unrolled: 1-line block ×4, first 2 shown]
	v_cvt_pk_f32_fp8_e32 v[46:47], v12
	v_cvt_pk_f32_fp8_sdwa v[48:49], v12 src0_sel:WORD_1
	s_waitcnt lgkmcnt(0)
	v_mfma_f32_16x16x16_bf16 v[32:35], v[32:33], v[6:7], 0
	global_load_dword v12, v[40:41], off
	s_nop 0
	global_load_dword v44, v[44:45], off
	s_nop 0
	global_load_dword v45, v[36:37], off
	v_perm_b32 v36, v47, v46, s44
	v_perm_b32 v37, v49, v48, s44
	v_mfma_f32_16x16x16_bf16 v[32:35], v[38:39], v[8:9], v[32:35]
	v_cvt_pk_f32_fp8_e32 v[38:39], v13
	v_cvt_pk_f32_fp8_sdwa v[40:41], v13 src0_sel:WORD_1
	s_waitcnt vmcnt(6)
	v_cvt_pk_f32_fp8_e32 v[46:47], v16
	v_mfma_f32_16x16x16_bf16 v[32:35], v[36:37], v[2:3], v[32:35]
	v_perm_b32 v38, v39, v38, s44
	v_perm_b32 v39, v41, v40, s44
	v_cvt_pk_f32_fp8_e32 v[36:37], v14
	v_cvt_pk_f32_fp8_sdwa v[40:41], v14 src0_sel:WORD_1
	v_mfma_f32_16x16x16_bf16 v[32:35], v[38:39], v[4:5], v[32:35]
	v_cvt_pk_f32_fp8_e32 v[38:39], v15
	v_perm_b32 v36, v37, v36, s44
	v_perm_b32 v37, v41, v40, s44
	v_cvt_pk_f32_fp8_sdwa v[14:15], v15 src0_sel:WORD_1
	v_perm_b32 v40, v39, v38, s44
	v_cvt_pk_f32_fp8_sdwa v[48:49], v16 src0_sel:WORD_1
	v_mfma_f32_16x16x16_bf16 v[36:39], v[36:37], v[6:7], 0
	v_perm_b32 v41, v15, v14, s44
	s_waitcnt vmcnt(5)
	v_mad_i64_i32 v[10:11], s[6:7], v50, s45, v[30:31]
	v_perm_b32 v46, v47, v46, s44
	v_perm_b32 v47, v49, v48, s44
	v_cvt_pk_f32_fp8_e32 v[48:49], v17
	v_cvt_pk_f32_fp8_sdwa v[50:51], v17 src0_sel:WORD_1
	v_mfma_f32_16x16x16_bf16 v[14:17], v[40:41], v[8:9], v[36:39]
	s_waitcnt vmcnt(4)
	v_cvt_pk_f32_fp8_sdwa v[40:41], v22 src0_sel:WORD_1
	s_load_dword s4, s[40:41], 0x0
	v_mov_b32_e32 v13, s13
	v_perm_b32 v36, v49, v48, s44
	v_perm_b32 v37, v51, v50, s44
	v_mfma_f32_16x16x16_bf16 v[14:17], v[46:47], v[2:3], v[14:17]
	v_cvt_pk_f32_fp8_e32 v[38:39], v22
	v_cvt_pk_f32_fp8_e32 v[46:47], v24
	v_cvt_pk_f32_fp8_sdwa v[48:49], v24 src0_sel:WORD_1
	v_mfma_f32_16x16x16_bf16 v[14:17], v[36:37], v[4:5], v[14:17]
	v_cvt_pk_f32_fp8_e32 v[36:37], v23
	v_perm_b32 v38, v39, v38, s44
	v_perm_b32 v39, v41, v40, s44
	v_cvt_pk_f32_fp8_sdwa v[22:23], v23 src0_sel:WORD_1
	v_perm_b32 v40, v37, v36, s44
	v_mfma_f32_16x16x16_bf16 v[36:39], v[38:39], v[6:7], 0
	v_perm_b32 v41, v23, v22, s44
	v_perm_b32 v46, v47, v46, s44
	;; [unrolled: 1-line block ×3, first 2 shown]
	v_cvt_pk_f32_fp8_e32 v[48:49], v25
	v_cvt_pk_f32_fp8_sdwa v[24:25], v25 src0_sel:WORD_1
	v_mfma_f32_16x16x16_bf16 v[36:39], v[40:41], v[8:9], v[36:39]
	s_waitcnt lgkmcnt(0)
	v_mul_f32_e32 v50, s4, v13
	v_perm_b32 v40, v49, v48, s44
	v_perm_b32 v41, v25, v24, s44
	v_pk_mul_f32 v[22:23], v[50:51], v[34:35] op_sel_hi:[0,1]
	v_mfma_f32_16x16x16_bf16 v[36:39], v[46:47], v[2:3], v[36:39]
	v_pk_mul_f32 v[34:35], v[50:51], v[32:33] op_sel_hi:[0,1]
	s_waitcnt vmcnt(3)
	v_cvt_pk_f32_fp8_e32 v[24:25], v18
	v_cvt_pk_f32_fp8_sdwa v[32:33], v18 src0_sel:WORD_1
	v_mfma_f32_16x16x16_bf16 v[46:49], v[40:41], v[4:5], v[36:39]
	v_cvt_pk_f32_fp8_e32 v[40:41], v20
	v_perm_b32 v24, v25, v24, s44
	v_perm_b32 v25, v33, v32, s44
	v_cvt_pk_f32_fp8_e32 v[36:37], v19
	v_cvt_pk_f32_fp8_sdwa v[18:19], v19 src0_sel:WORD_1
	v_cvt_pk_f32_fp8_sdwa v[52:53], v20 src0_sel:WORD_1
	v_perm_b32 v32, v37, v36, s44
	v_perm_b32 v33, v19, v18, s44
	v_mfma_f32_16x16x16_bf16 v[36:39], v[24:25], v[6:7], 0
	v_perm_b32 v18, v41, v40, s44
	v_perm_b32 v19, v53, v52, s44
	v_cvt_pk_f32_fp8_e32 v[24:25], v21
	v_cvt_pk_f32_fp8_sdwa v[20:21], v21 src0_sel:WORD_1
	v_mfma_f32_16x16x16_bf16 v[6:9], v[32:33], v[8:9], v[36:39]
	v_pk_mul_f32 v[40:41], v[50:51], v[14:15] op_sel_hi:[0,1]
	v_pk_mul_f32 v[32:33], v[50:51], v[48:49] op_sel_hi:[0,1]
	s_nop 0
	v_pk_mul_f32 v[36:37], v[50:51], v[16:17] op_sel_hi:[0,1]
	v_perm_b32 v16, v25, v24, s44
	v_perm_b32 v17, v21, v20, s44
	v_mfma_f32_16x16x16_bf16 v[6:9], v[18:19], v[2:3], v[6:9]
	v_pk_mul_f32 v[38:39], v[50:51], v[46:47] op_sel_hi:[0,1]
	v_mfma_f32_16x16x16_bf16 v[2:5], v[16:17], v[4:5], v[6:9]
	s_nop 6
	v_pk_mul_f32 v[24:25], v[50:51], v[2:3] op_sel_hi:[0,1]
	v_and_b32_e32 v2, 0xc0, v0
	v_add_u32_e32 v2, s5, v2
	v_lshl_or_b32 v2, v42, 2, v2
	v_pk_mul_f32 v[18:19], v[50:51], v[4:5] op_sel_hi:[0,1]
	v_or_b32_e32 v5, 1, v2
	v_mov_b32_e32 v3, 0xff7fffff
	v_cmp_gt_i32_e64 s[4:5], s33, v2
	v_cmp_gt_i32_e64 s[34:35], s33, v5
	v_or_b32_e32 v6, 3, v2
	v_cndmask_b32_e64 v4, v3, v34, s[4:5]
	v_cndmask_b32_e64 v5, v3, v35, s[34:35]
	v_max3_f32 v4, v4, s46, v5
	v_or_b32_e32 v5, 2, v2
	v_cmp_gt_i32_e64 s[36:37], s33, v5
	v_cmp_gt_i32_e64 s[38:39], s33, v6
	s_nop 0
	v_cndmask_b32_e64 v5, v3, v22, s[36:37]
	v_cndmask_b32_e64 v6, v3, v23, s[38:39]
	v_max3_f32 v4, v4, v5, v6
	v_or_b32_e32 v5, 16, v2
	v_or_b32_e32 v6, 17, v2
	v_cmp_gt_i32_e64 s[24:25], s33, v5
	v_cmp_gt_i32_e64 s[26:27], s33, v6
	s_nop 0
	v_cndmask_b32_e64 v5, v3, v40, s[24:25]
	v_cndmask_b32_e64 v6, v3, v41, s[26:27]
	v_max3_f32 v4, v4, v5, v6
	v_or_b32_e32 v5, 18, v2
	;; [unrolled: 8-line block ×6, first 2 shown]
	v_or_b32_e32 v2, 51, v2
	v_cmp_gt_i32_e32 vcc, s33, v5
	v_cmp_gt_i32_e64 s[6:7], s33, v2
	s_nop 0
	v_cndmask_b32_e32 v5, v3, v18, vcc
	v_cndmask_b32_e64 v2, v3, v19, s[6:7]
	v_max3_f32 v4, v4, v5, v2
	v_mbcnt_lo_u32_b32 v2, -1, 0
	v_mbcnt_hi_u32_b32 v5, -1, v2
	v_and_b32_e32 v2, 64, v5
	v_add_u32_e32 v6, 64, v2
	v_xor_b32_e32 v2, 32, v5
	v_cmp_lt_i32_e64 s[40:41], v2, v6
	s_nop 1
	v_cndmask_b32_e64 v2, v5, v2, s[40:41]
	v_lshlrev_b32_e32 v46, 2, v2
	ds_bpermute_b32 v7, v46, v4
	s_waitcnt vmcnt(2)
	v_mad_i64_i32 v[2:3], s[40:41], v12, s45, v[30:31]
	global_load_dwordx4 v[14:17], v[10:11], off
	s_nop 0
	global_load_dwordx4 v[10:13], v[2:3], off
	v_xor_b32_e32 v3, 16, v5
	v_cmp_lt_i32_e64 s[40:41], v3, v6
	s_waitcnt lgkmcnt(0)
	v_max_f32_e32 v2, v7, v7
	v_max_f32_e32 v2, v4, v2
	v_cndmask_b32_e64 v3, v5, v3, s[40:41]
	v_lshlrev_b32_e32 v47, 2, v3
	ds_bpermute_b32 v3, v47, v2
	s_waitcnt vmcnt(3)
	v_mad_i64_i32 v[20:21], s[40:41], v44, s45, v[30:31]
	s_waitcnt vmcnt(2)
	v_mad_i64_i32 v[30:31], s[40:41], v45, s45, v[30:31]
	s_waitcnt lgkmcnt(0)
	v_max_f32_e32 v3, v3, v3
	v_max_f32_e32 v44, v2, v3
	v_sub_f32_e32 v2, v34, v44
	v_mul_f32_e32 v2, 0x3fb8aa3b, v2
	v_exp_f32_e32 v34, v2
	v_sub_f32_e32 v2, v35, v44
	v_mul_f32_e32 v2, 0x3fb8aa3b, v2
	v_exp_f32_e32 v35, v2
	global_load_dwordx4 v[6:9], v[20:21], off
	global_load_dwordx4 v[2:5], v[30:31], off
	v_sub_f32_e32 v22, v22, v44
	v_mul_f32_e32 v22, 0x3fb8aa3b, v22
	v_sub_f32_e32 v23, v23, v44
	v_exp_f32_e32 v22, v22
	v_mul_f32_e32 v23, 0x3fb8aa3b, v23
	v_exp_f32_e32 v23, v23
	v_cndmask_b32_e64 v20, 0, v34, s[4:5]
	v_add_f32_e32 v30, 0, v20
	v_cndmask_b32_e64 v21, 0, v35, s[34:35]
	v_add_f32_e32 v30, v30, v21
	;; [unrolled: 2-line block ×3, first 2 shown]
	v_cndmask_b32_e64 v35, 0, v23, s[38:39]
	v_sub_f32_e32 v23, v40, v44
	v_sub_f32_e32 v30, v41, v44
	v_mul_f32_e32 v23, 0x3fb8aa3b, v23
	v_mul_f32_e32 v30, 0x3fb8aa3b, v30
	v_exp_f32_e32 v23, v23
	v_exp_f32_e32 v30, v30
	v_add_f32_e32 v31, v22, v35
	v_sub_f32_e32 v32, v32, v44
	v_cndmask_b32_e64 v22, 0, v23, s[24:25]
	v_cndmask_b32_e64 v23, 0, v30, s[26:27]
	v_sub_f32_e32 v30, v36, v44
	v_mul_f32_e32 v30, 0x3fb8aa3b, v30
	v_exp_f32_e32 v30, v30
	v_sub_f32_e32 v36, v37, v44
	v_add_f32_e32 v31, v31, v22
	v_mul_f32_e32 v36, 0x3fb8aa3b, v36
	v_exp_f32_e32 v37, v36
	v_add_f32_e32 v31, v31, v23
	v_cndmask_b32_e64 v36, 0, v30, s[20:21]
	v_add_f32_e32 v30, v31, v36
	v_sub_f32_e32 v31, v38, v44
	v_mul_f32_e32 v31, 0x3fb8aa3b, v31
	v_sub_f32_e32 v38, v39, v44
	v_exp_f32_e32 v31, v31
	v_mul_f32_e32 v38, 0x3fb8aa3b, v38
	v_exp_f32_e32 v38, v38
	v_mul_f32_e32 v32, 0x3fb8aa3b, v32
	v_sub_f32_e32 v33, v33, v44
	v_exp_f32_e32 v32, v32
	v_mul_f32_e32 v33, 0x3fb8aa3b, v33
	v_sub_f32_e32 v24, v24, v44
	v_cndmask_b32_e64 v37, 0, v37, s[22:23]
	v_exp_f32_e32 v33, v33
	v_mul_f32_e32 v24, 0x3fb8aa3b, v24
	v_sub_f32_e32 v25, v25, v44
	v_add_f32_e32 v39, v30, v37
	v_cndmask_b32_e64 v30, 0, v31, s[16:17]
	v_exp_f32_e32 v24, v24
	v_mul_f32_e32 v25, 0x3fb8aa3b, v25
	v_sub_f32_e32 v18, v18, v44
	v_add_f32_e32 v39, v39, v30
	;; [unrolled: 5-line block ×3, first 2 shown]
	v_cndmask_b32_e64 v32, 0, v32, s[12:13]
	v_exp_f32_e32 v18, v18
	v_mul_f32_e32 v19, 0x3fb8aa3b, v19
	v_add_f32_e32 v38, v38, v32
	v_cndmask_b32_e64 v33, 0, v33, s[14:15]
	v_exp_f32_e32 v19, v19
	v_add_f32_e32 v38, v38, v33
	v_cndmask_b32_e64 v24, 0, v24, s[8:9]
	v_add_f32_e32 v38, v38, v24
	v_cndmask_b32_e64 v25, 0, v25, s[10:11]
	v_add_f32_e32 v38, v38, v25
	v_cndmask_b32_e32 v18, 0, v18, vcc
	v_add_f32_e32 v38, v38, v18
	v_cndmask_b32_e64 v19, 0, v19, s[6:7]
	v_add_f32_e32 v38, v38, v19
	ds_bpermute_b32 v39, v46, v38
	v_cmp_gt_u32_e32 vcc, 16, v43
	s_waitcnt lgkmcnt(0)
	s_barrier
	v_add_f32_e32 v38, v38, v39
	ds_bpermute_b32 v40, v47, v38
	v_lshlrev_b32_e32 v39, 2, v28
	s_and_saveexec_b64 s[4:5], vcc
	s_cbranch_execz .LBB1238_13
; %bb.12:
	s_waitcnt lgkmcnt(0)
	v_add_f32_e32 v38, v38, v40
	v_lshl_or_b32 v40, v29, 6, v39
	ds_write2st64_b32 v40, v44, v38 offset1:1
.LBB1238_13:
	s_or_b64 exec, exec, s[4:5]
	s_load_dword s6, s[0:1], 0x94
	s_waitcnt lgkmcnt(0)
	s_barrier
	ds_read2_b32 v[40:41], v39 offset1:16
	ds_read2_b32 v[44:45], v39 offset0:32 offset1:48
	ds_read2_b32 v[46:47], v39 offset0:64 offset1:80
	s_movk_i32 s8, 0x7fff
	s_mul_i32 s7, s29, 11
	s_waitcnt lgkmcnt(2)
	v_max3_f32 v38, v40, s46, v41
	s_waitcnt lgkmcnt(1)
	v_max3_f32 v38, v38, v44, v45
	v_sub_f32_e32 v40, v40, v38
	v_mul_f32_e32 v40, 0x3fb8aa3b, v40
	v_exp_f32_e32 v43, v40
	v_sub_f32_e32 v40, v41, v38
	v_mul_f32_e32 v40, 0x3fb8aa3b, v40
	v_exp_f32_e32 v48, v40
	;; [unrolled: 3-line block ×3, first 2 shown]
	ds_read2_b32 v[40:41], v39 offset0:96 offset1:112
	v_sub_f32_e32 v39, v45, v38
	v_mul_f32_e32 v39, 0x3fb8aa3b, v39
	v_exp_f32_e32 v45, v39
	s_waitcnt lgkmcnt(1)
	v_fma_f32 v39, v43, v46, 0
	v_fmac_f32_e32 v39, v48, v47
	s_waitcnt lgkmcnt(0)
	v_fmac_f32_e32 v39, v44, v40
	v_fmac_f32_e32 v39, v45, v41
	v_add_f32_e32 v40, 0x358637bd, v39
	v_div_scale_f32 v41, s[4:5], v40, v40, 1.0
	v_rcp_f32_e32 v46, v41
	s_barrier
	v_fma_f32 v47, -v41, v46, 1.0
	v_fmac_f32_e32 v46, v47, v46
	v_div_scale_f32 v47, vcc, 1.0, v40, 1.0
	v_mul_f32_e32 v49, v47, v46
	v_fma_f32 v50, -v41, v49, v47
	v_fmac_f32_e32 v49, v50, v46
	v_fma_f32 v41, -v41, v49, v47
	v_div_fmas_f32 v41, v41, v46, v49
	v_cmp_eq_u32_e32 vcc, 1, v29
	v_div_fixup_f32 v40, v41, v40, 1.0
	s_nop 0
	v_cndmask_b32_e32 v41, v43, v48, vcc
	v_cmp_eq_u32_e32 vcc, 2, v29
	s_nop 1
	v_cndmask_b32_e32 v41, v41, v44, vcc
	v_cmp_eq_u32_e32 vcc, 3, v29
	s_nop 1
	v_cndmask_b32_e32 v41, v41, v45, vcc
	v_mul_f32_e32 v40, v41, v40
	v_pk_mul_f32 v[20:21], v[40:41], v[20:21] op_sel_hi:[0,1]
	v_pk_mul_f32 v[34:35], v[40:41], v[34:35] op_sel_hi:[0,1]
	v_bfe_u32 v41, v21, 16, 1
	v_bfe_u32 v43, v20, 16, 1
	v_add3_u32 v20, v20, v43, s8
	v_add3_u32 v21, v21, v41, s8
	v_perm_b32 v44, v21, v20, s44
	v_bfe_u32 v20, v35, 16, 1
	v_bfe_u32 v21, v34, 16, 1
	v_add3_u32 v21, v34, v21, s8
	v_add3_u32 v20, v35, v20, s8
	v_perm_b32 v45, v20, v21, s44
	v_lshlrev_b32_e32 v20, 3, v42
	v_lshlrev_b32_e32 v21, 11, v29
	v_pk_mul_f32 v[22:23], v[40:41], v[22:23] op_sel_hi:[0,1]
	v_or3_b32 v20, v21, v27, v20
	v_bfe_u32 v21, v23, 16, 1
	v_bfe_u32 v29, v22, 16, 1
	v_pk_mul_f32 v[34:35], v[40:41], v[36:37] op_sel_hi:[0,1]
	v_add3_u32 v22, v22, v29, s8
	v_add3_u32 v21, v23, v21, s8
	v_perm_b32 v22, v21, v22, s44
	v_bfe_u32 v21, v35, 16, 1
	v_bfe_u32 v23, v34, 16, 1
	v_add3_u32 v23, v34, v23, s8
	v_add3_u32 v21, v35, v21, s8
	v_pk_mul_f32 v[30:31], v[40:41], v[30:31] op_sel_hi:[0,1]
	v_perm_b32 v23, v21, v23, s44
	v_bfe_u32 v21, v31, 16, 1
	v_bfe_u32 v29, v30, 16, 1
	ds_write2st64_b64 v20, v[44:45], v[22:23] offset1:1
	v_pk_mul_f32 v[22:23], v[40:41], v[32:33] op_sel_hi:[0,1]
	v_add3_u32 v29, v30, v29, s8
	v_add3_u32 v21, v31, v21, s8
	v_perm_b32 v30, v21, v29, s44
	v_bfe_u32 v21, v23, 16, 1
	v_bfe_u32 v29, v22, 16, 1
	v_add3_u32 v22, v22, v29, s8
	v_add3_u32 v21, v23, v21, s8
	v_perm_b32 v31, v21, v22, s44
	v_pk_mul_f32 v[22:23], v[40:41], v[24:25] op_sel_hi:[0,1]
	v_bfe_u32 v21, v23, 16, 1
	v_bfe_u32 v24, v22, 16, 1
	v_pk_mul_f32 v[18:19], v[40:41], v[18:19] op_sel_hi:[0,1]
	v_add3_u32 v22, v22, v24, s8
	v_add3_u32 v21, v23, v21, s8
	v_perm_b32 v22, v21, v22, s44
	v_bfe_u32 v21, v19, 16, 1
	v_bfe_u32 v23, v18, 16, 1
	v_add3_u32 v18, v18, v23, s8
	v_add3_u32 v19, v19, v21, s8
	v_perm_b32 v23, v19, v18, s44
	v_cmp_gt_u32_e32 vcc, 11, v0
	ds_write2st64_b64 v20, v[30:31], v[22:23] offset0:2 offset1:3
	s_and_saveexec_b64 s[4:5], vcc
	s_cbranch_execz .LBB1238_15
; %bb.14:
	s_mov_b32 s49, 0
	v_mov_b32_e32 v29, 0
	v_lshl_add_u64 v[18:19], s[48:49], 0, v[28:29]
	v_mov_b32_e32 v21, s7
	v_mad_u64_u32 v[18:19], s[10:11], s2, v21, v[18:19]
	s_mul_i32 s3, s3, s7
	v_mov_b32_e32 v28, s28
	s_load_dwordx4 s[12:15], s[0:1], 0x58
	v_add_u32_e32 v21, s3, v19
	v_mad_u64_u32 v[18:19], s[10:11], v18, s6, v[28:29]
	v_mov_b32_e32 v22, v19
	v_mad_u64_u32 v[22:23], s[10:11], v21, s6, v[22:23]
	v_mov_b32_e32 v19, v22
	v_lshlrev_b64 v[18:19], 2, v[18:19]
	s_waitcnt lgkmcnt(0)
	v_lshl_add_u64 v[22:23], s[14:15], 0, v[18:19]
	v_lshl_add_u64 v[18:19], s[12:13], 0, v[18:19]
	global_store_dword v[22:23], v38, off
	global_store_dword v[18:19], v39, off
.LBB1238_15:
	s_or_b64 exec, exec, s[4:5]
	s_waitcnt vmcnt(3)
	v_cvt_pk_f32_fp8_e32 v[18:19], v14
	v_cvt_pk_f32_fp8_sdwa v[22:23], v14 src0_sel:WORD_1
	s_mov_b32 s4, 0x7060302
	v_lshl_or_b32 v14, v42, 9, v27
	s_waitcnt lgkmcnt(0)
	s_barrier
	v_perm_b32 v18, v19, v18, s4
	v_perm_b32 v19, v23, v22, s4
	v_cvt_pk_f32_fp8_e32 v[28:29], v15
	ds_read_b128 v[22:25], v14
	v_cvt_pk_f32_fp8_sdwa v[36:37], v15 src0_sel:WORD_1
	s_load_dword s10, s[42:43], 0x0
	v_perm_b32 v38, v29, v28, s4
	ds_read_b128 v[28:31], v14 offset:16
	v_perm_b32 v39, v37, v36, s4
	s_waitcnt lgkmcnt(0)
	v_mfma_f32_16x16x16_bf16 v[32:35], v[18:19], v[22:23], 0
	v_cvt_pk_f32_fp8_e32 v[18:19], v16
	v_cvt_pk_f32_fp8_sdwa v[36:37], v16 src0_sel:WORD_1
	v_cmp_gt_u32_e32 vcc, 64, v0
	v_mfma_f32_16x16x16_bf16 v[22:25], v[38:39], v[24:25], v[32:35]
	v_perm_b32 v18, v19, v18, s4
	v_perm_b32 v19, v37, v36, s4
	s_waitcnt vmcnt(2)
	v_cvt_pk_f32_fp8_sdwa v[36:37], v10 src0_sel:WORD_1
	v_cvt_pk_f32_fp8_e32 v[32:33], v17
	v_cvt_pk_f32_fp8_sdwa v[16:17], v17 src0_sel:WORD_1
	v_cvt_pk_f32_fp8_e32 v[34:35], v10
	s_mov_b32 s3, 0
	v_perm_b32 v32, v33, v32, s4
	v_perm_b32 v33, v17, v16, s4
	v_mfma_f32_16x16x16_bf16 v[16:19], v[18:19], v[28:29], v[22:25]
	v_perm_b32 v34, v35, v34, s4
	v_perm_b32 v35, v37, v36, s4
	v_cvt_pk_f32_fp8_e32 v[28:29], v11
	ds_read_b128 v[22:25], v14 offset:2048
	v_cvt_pk_f32_fp8_sdwa v[10:11], v11 src0_sel:WORD_1
	v_mfma_f32_16x16x16_bf16 v[16:19], v[32:33], v[30:31], v[16:19]
	v_perm_b32 v32, v29, v28, s4
	ds_read_b128 v[28:31], v14 offset:2064
	v_perm_b32 v33, v11, v10, s4
	s_waitcnt lgkmcnt(1)
	v_mfma_f32_16x16x16_bf16 v[16:19], v[34:35], v[22:23], v[16:19]
	v_cvt_pk_f32_fp8_e32 v[10:11], v12
	v_cvt_pk_f32_fp8_sdwa v[22:23], v12 src0_sel:WORD_1
	v_mov_b32_e32 v27, 0
	v_mfma_f32_16x16x16_bf16 v[16:19], v[32:33], v[24:25], v[16:19]
	v_cvt_pk_f32_fp8_e32 v[24:25], v13
	v_perm_b32 v10, v11, v10, s4
	v_perm_b32 v11, v23, v22, s4
	v_cvt_pk_f32_fp8_sdwa v[12:13], v13 src0_sel:WORD_1
	v_perm_b32 v22, v25, v24, s4
	s_waitcnt vmcnt(1)
	v_cvt_pk_f32_fp8_e32 v[24:25], v6
	v_cvt_pk_f32_fp8_sdwa v[32:33], v6 src0_sel:WORD_1
	v_perm_b32 v23, v13, v12, s4
	s_waitcnt lgkmcnt(0)
	v_mfma_f32_16x16x16_bf16 v[10:13], v[10:11], v[28:29], v[16:19]
	v_perm_b32 v28, v25, v24, s4
	v_perm_b32 v29, v33, v32, s4
	v_cvt_pk_f32_fp8_e32 v[24:25], v7
	ds_read_b128 v[16:19], v14 offset:4096
	v_cvt_pk_f32_fp8_sdwa v[6:7], v7 src0_sel:WORD_1
	v_mfma_f32_16x16x16_bf16 v[10:13], v[22:23], v[30:31], v[10:13]
	v_perm_b32 v30, v25, v24, s4
	ds_read_b128 v[22:25], v14 offset:4112
	v_perm_b32 v31, v7, v6, s4
	s_waitcnt lgkmcnt(1)
	v_mfma_f32_16x16x16_bf16 v[10:13], v[28:29], v[16:17], v[10:13]
	v_cvt_pk_f32_fp8_e32 v[6:7], v8
	v_cvt_pk_f32_fp8_sdwa v[16:17], v8 src0_sel:WORD_1
	s_waitcnt vmcnt(0)
	v_cvt_pk_f32_fp8_sdwa v[28:29], v2 src0_sel:WORD_1
	v_mfma_f32_16x16x16_bf16 v[10:13], v[30:31], v[18:19], v[10:13]
	v_cvt_pk_f32_fp8_e32 v[18:19], v9
	v_perm_b32 v6, v7, v6, s4
	v_perm_b32 v7, v17, v16, s4
	v_cvt_pk_f32_fp8_sdwa v[8:9], v9 src0_sel:WORD_1
	v_perm_b32 v16, v19, v18, s4
	v_cvt_pk_f32_fp8_e32 v[18:19], v2
	v_perm_b32 v17, v9, v8, s4
	s_waitcnt lgkmcnt(0)
	v_mfma_f32_16x16x16_bf16 v[6:9], v[6:7], v[22:23], v[10:13]
	v_perm_b32 v18, v19, v18, s4
	v_perm_b32 v19, v29, v28, s4
	v_cvt_pk_f32_fp8_e32 v[22:23], v3
	ds_read_b128 v[10:13], v14 offset:6144
	v_cvt_pk_f32_fp8_sdwa v[2:3], v3 src0_sel:WORD_1
	v_mfma_f32_16x16x16_bf16 v[6:9], v[16:17], v[24:25], v[6:9]
	v_perm_b32 v22, v23, v22, s4
	ds_read_b128 v[14:17], v14 offset:6160
	v_perm_b32 v23, v3, v2, s4
	s_waitcnt lgkmcnt(1)
	v_mfma_f32_16x16x16_bf16 v[6:9], v[18:19], v[10:11], v[6:9]
	v_cvt_pk_f32_fp8_e32 v[2:3], v4
	v_cvt_pk_f32_fp8_sdwa v[10:11], v4 src0_sel:WORD_1
	s_waitcnt lgkmcnt(0)
	v_mfma_f32_16x16x16_bf16 v[6:9], v[22:23], v[12:13], v[6:9]
	v_perm_b32 v2, v3, v2, s4
	v_perm_b32 v3, v11, v10, s4
	v_cvt_pk_f32_fp8_e32 v[10:11], v5
	v_cvt_pk_f32_fp8_sdwa v[4:5], v5 src0_sel:WORD_1
	s_barrier
	v_perm_b32 v10, v11, v10, s4
	v_perm_b32 v11, v5, v4, s4
	v_mfma_f32_16x16x16_bf16 v[2:5], v[2:3], v[14:15], v[6:9]
	s_nop 0
	v_mfma_f32_16x16x16_bf16 v[2:5], v[10:11], v[16:17], v[2:5]
	s_nop 6
	v_pk_mul_f32 v[2:3], v[2:3], s[10:11] op_sel_hi:[1,0]
	v_pk_mul_f32 v[4:5], v[4:5], s[10:11] op_sel_hi:[1,0]
	v_bfe_u32 v6, v3, 16, 1
	v_bfe_u32 v7, v2, 16, 1
	v_add3_u32 v2, v2, v7, s8
	v_add3_u32 v3, v3, v6, s8
	v_perm_b32 v2, v3, v2, s4
	v_bfe_u32 v3, v5, 16, 1
	v_bfe_u32 v6, v4, 16, 1
	v_add3_u32 v4, v4, v6, s8
	v_add3_u32 v3, v5, v3, s8
	v_perm_b32 v3, v3, v4, s4
	s_and_b64 s[4:5], vcc, s[30:31]
	ds_write_b64 v20, v[2:3]
	s_waitcnt lgkmcnt(0)
	s_barrier
	s_and_saveexec_b64 s[8:9], s[4:5]
	s_cbranch_execz .LBB1238_18
; %bb.16:
	s_load_dwordx2 s[4:5], s[0:1], 0x68
	s_lshl_b32 s0, s6, 6
	s_mul_i32 s1, s7, s2
	s_mul_hi_u32 s7, s1, s0
	s_mul_i32 s6, s1, s0
	v_lshlrev_b32_e32 v0, 10, v0
	s_lshl_b64 s[6:7], s[6:7], 1
	v_and_b32_e32 v0, 0x1800, v0
	v_lshlrev_b32_e32 v2, 5, v42
	v_and_b32_e32 v1, 16, v1
	s_waitcnt lgkmcnt(0)
	s_add_u32 s1, s4, s6
	v_or3_b32 v2, v0, v2, v1
	s_addc_u32 s4, s5, s7
	s_lshl_b32 s2, s28, 6
	s_lshl_b64 s[2:3], s[2:3], 1
	ds_read_b128 v[4:7], v2 offset:128
	ds_read_b128 v[8:11], v2
	s_add_u32 s2, s1, s2
	s_addc_u32 s3, s4, s3
	v_add_u32_e32 v3, s48, v42
	v_lshl_add_u64 v[0:1], s[2:3], 0, v[26:27]
	v_mad_u64_u32 v[12:13], s[2:3], v3, s0, 0
	v_lshl_add_u64 v[12:13], v[12:13], 1, v[0:1]
	v_add_u32_e32 v3, 4, v3
	s_waitcnt lgkmcnt(0)
	global_store_dwordx4 v[12:13], v[8:11], off
	v_cmp_ne_u32_e32 vcc, 3, v42
	s_nop 0
	v_mad_u64_u32 v[8:9], s[2:3], v3, s0, 0
	v_lshl_add_u64 v[8:9], v[8:9], 1, v[0:1]
	global_store_dwordx4 v[8:9], v[4:7], off
	s_and_b64 exec, exec, vcc
	s_cbranch_execz .LBB1238_18
; %bb.17:
	ds_read_b128 v[2:5], v2 offset:256
	v_add3_u32 v6, s48, v42, 8
	v_mad_u64_u32 v[6:7], s[0:1], v6, s0, 0
	v_lshl_add_u64 v[0:1], v[6:7], 1, v[0:1]
	s_waitcnt lgkmcnt(0)
	global_store_dwordx4 v[0:1], v[2:5], off
.LBB1238_18:
	s_endpgm
	.section	.rodata,"a",@progbits
	.p2align	6, 0x0
	.amdhsa_kernel _Z39paged_attention_ll4mi_QKV_mfma16_kernelI14__hip_bfloat16hLN4vllm18Fp8KVCacheDataTypeE1ES0_Li32ELi64ELi256ELb0ELi11EEvPKT_PKT0_S8_ifPKiSA_SA_iPKfiiiPfSD_PS3_PT2_iSC_SC_
		.amdhsa_group_segment_fixed_size 8192
		.amdhsa_private_segment_fixed_size 0
		.amdhsa_kernarg_size 400
		.amdhsa_user_sgpr_count 2
		.amdhsa_user_sgpr_dispatch_ptr 0
		.amdhsa_user_sgpr_queue_ptr 0
		.amdhsa_user_sgpr_kernarg_segment_ptr 1
		.amdhsa_user_sgpr_dispatch_id 0
		.amdhsa_user_sgpr_kernarg_preload_length 0
		.amdhsa_user_sgpr_kernarg_preload_offset 0
		.amdhsa_user_sgpr_private_segment_size 0
		.amdhsa_uses_dynamic_stack 0
		.amdhsa_enable_private_segment 0
		.amdhsa_system_sgpr_workgroup_id_x 1
		.amdhsa_system_sgpr_workgroup_id_y 1
		.amdhsa_system_sgpr_workgroup_id_z 1
		.amdhsa_system_sgpr_workgroup_info 0
		.amdhsa_system_vgpr_workitem_id 0
		.amdhsa_next_free_vgpr 54
		.amdhsa_next_free_sgpr 50
		.amdhsa_accum_offset 56
		.amdhsa_reserve_vcc 1
		.amdhsa_float_round_mode_32 0
		.amdhsa_float_round_mode_16_64 0
		.amdhsa_float_denorm_mode_32 3
		.amdhsa_float_denorm_mode_16_64 3
		.amdhsa_dx10_clamp 1
		.amdhsa_ieee_mode 1
		.amdhsa_fp16_overflow 0
		.amdhsa_tg_split 0
		.amdhsa_exception_fp_ieee_invalid_op 0
		.amdhsa_exception_fp_denorm_src 0
		.amdhsa_exception_fp_ieee_div_zero 0
		.amdhsa_exception_fp_ieee_overflow 0
		.amdhsa_exception_fp_ieee_underflow 0
		.amdhsa_exception_fp_ieee_inexact 0
		.amdhsa_exception_int_div_zero 0
	.end_amdhsa_kernel
	.section	.text._Z39paged_attention_ll4mi_QKV_mfma16_kernelI14__hip_bfloat16hLN4vllm18Fp8KVCacheDataTypeE1ES0_Li32ELi64ELi256ELb0ELi11EEvPKT_PKT0_S8_ifPKiSA_SA_iPKfiiiPfSD_PS3_PT2_iSC_SC_,"axG",@progbits,_Z39paged_attention_ll4mi_QKV_mfma16_kernelI14__hip_bfloat16hLN4vllm18Fp8KVCacheDataTypeE1ES0_Li32ELi64ELi256ELb0ELi11EEvPKT_PKT0_S8_ifPKiSA_SA_iPKfiiiPfSD_PS3_PT2_iSC_SC_,comdat
.Lfunc_end1238:
	.size	_Z39paged_attention_ll4mi_QKV_mfma16_kernelI14__hip_bfloat16hLN4vllm18Fp8KVCacheDataTypeE1ES0_Li32ELi64ELi256ELb0ELi11EEvPKT_PKT0_S8_ifPKiSA_SA_iPKfiiiPfSD_PS3_PT2_iSC_SC_, .Lfunc_end1238-_Z39paged_attention_ll4mi_QKV_mfma16_kernelI14__hip_bfloat16hLN4vllm18Fp8KVCacheDataTypeE1ES0_Li32ELi64ELi256ELb0ELi11EEvPKT_PKT0_S8_ifPKiSA_SA_iPKfiiiPfSD_PS3_PT2_iSC_SC_
                                        ; -- End function
	.section	.AMDGPU.csdata,"",@progbits
; Kernel info:
; codeLenInByte = 4968
; NumSgprs: 56
; NumVgprs: 54
; NumAgprs: 0
; TotalNumVgprs: 54
; ScratchSize: 0
; MemoryBound: 0
; FloatMode: 240
; IeeeMode: 1
; LDSByteSize: 8192 bytes/workgroup (compile time only)
; SGPRBlocks: 6
; VGPRBlocks: 6
; NumSGPRsForWavesPerEU: 56
; NumVGPRsForWavesPerEU: 54
; AccumOffset: 56
; Occupancy: 8
; WaveLimiterHint : 1
; COMPUTE_PGM_RSRC2:SCRATCH_EN: 0
; COMPUTE_PGM_RSRC2:USER_SGPR: 2
; COMPUTE_PGM_RSRC2:TRAP_HANDLER: 0
; COMPUTE_PGM_RSRC2:TGID_X_EN: 1
; COMPUTE_PGM_RSRC2:TGID_Y_EN: 1
; COMPUTE_PGM_RSRC2:TGID_Z_EN: 1
; COMPUTE_PGM_RSRC2:TIDIG_COMP_CNT: 0
; COMPUTE_PGM_RSRC3_GFX90A:ACCUM_OFFSET: 13
; COMPUTE_PGM_RSRC3_GFX90A:TG_SPLIT: 0
	.section	.text._Z39paged_attention_ll4mi_QKV_mfma16_kernelI14__hip_bfloat16hLN4vllm18Fp8KVCacheDataTypeE1ES0_Li32ELi64ELi256ELb0ELi12EEvPKT_PKT0_S8_ifPKiSA_SA_iPKfiiiPfSD_PS3_PT2_iSC_SC_,"axG",@progbits,_Z39paged_attention_ll4mi_QKV_mfma16_kernelI14__hip_bfloat16hLN4vllm18Fp8KVCacheDataTypeE1ES0_Li32ELi64ELi256ELb0ELi12EEvPKT_PKT0_S8_ifPKiSA_SA_iPKfiiiPfSD_PS3_PT2_iSC_SC_,comdat
	.protected	_Z39paged_attention_ll4mi_QKV_mfma16_kernelI14__hip_bfloat16hLN4vllm18Fp8KVCacheDataTypeE1ES0_Li32ELi64ELi256ELb0ELi12EEvPKT_PKT0_S8_ifPKiSA_SA_iPKfiiiPfSD_PS3_PT2_iSC_SC_ ; -- Begin function _Z39paged_attention_ll4mi_QKV_mfma16_kernelI14__hip_bfloat16hLN4vllm18Fp8KVCacheDataTypeE1ES0_Li32ELi64ELi256ELb0ELi12EEvPKT_PKT0_S8_ifPKiSA_SA_iPKfiiiPfSD_PS3_PT2_iSC_SC_
	.globl	_Z39paged_attention_ll4mi_QKV_mfma16_kernelI14__hip_bfloat16hLN4vllm18Fp8KVCacheDataTypeE1ES0_Li32ELi64ELi256ELb0ELi12EEvPKT_PKT0_S8_ifPKiSA_SA_iPKfiiiPfSD_PS3_PT2_iSC_SC_
	.p2align	8
	.type	_Z39paged_attention_ll4mi_QKV_mfma16_kernelI14__hip_bfloat16hLN4vllm18Fp8KVCacheDataTypeE1ES0_Li32ELi64ELi256ELb0ELi12EEvPKT_PKT0_S8_ifPKiSA_SA_iPKfiiiPfSD_PS3_PT2_iSC_SC_,@function
_Z39paged_attention_ll4mi_QKV_mfma16_kernelI14__hip_bfloat16hLN4vllm18Fp8KVCacheDataTypeE1ES0_Li32ELi64ELi256ELb0ELi12EEvPKT_PKT0_S8_ifPKiSA_SA_iPKfiiiPfSD_PS3_PT2_iSC_SC_: ; @_Z39paged_attention_ll4mi_QKV_mfma16_kernelI14__hip_bfloat16hLN4vllm18Fp8KVCacheDataTypeE1ES0_Li32ELi64ELi256ELb0ELi12EEvPKT_PKT0_S8_ifPKiSA_SA_iPKfiiiPfSD_PS3_PT2_iSC_SC_
; %bb.0:
	s_load_dwordx2 s[12:13], s[0:1], 0x30
	s_mov_b32 s28, s3
	s_mov_b64 s[6:7], 0
	s_waitcnt lgkmcnt(0)
	s_cmp_lg_u64 s[12:13], 0
	s_cselect_b64 s[14:15], -1, 0
	s_and_b64 vcc, exec, s[14:15]
	s_cbranch_vccz .LBB1239_7
; %bb.1:
	s_add_i32 s8, s2, 1
	s_mov_b32 s9, 0
	s_lshl_b64 s[10:11], s[8:9], 2
	s_add_u32 s10, s12, s10
	s_mov_b32 s3, s9
	s_addc_u32 s11, s13, s11
	s_lshl_b64 s[8:9], s[2:3], 2
	s_add_u32 s8, s12, s8
	s_addc_u32 s9, s13, s9
	s_load_dword s5, s[10:11], 0x0
	s_load_dword s16, s[8:9], 0x0
	s_waitcnt lgkmcnt(0)
	s_sub_i32 s5, s5, s16
	s_cmp_eq_u32 s5, 1
	s_cselect_b64 s[8:9], -1, 0
	s_andn2_b64 vcc, exec, s[6:7]
	s_cbranch_vccnz .LBB1239_3
.LBB1239_2:
	s_mov_b32 s3, 0
	s_mov_b64 s[8:9], -1
.LBB1239_3:
	s_andn2_b64 vcc, exec, s[8:9]
	s_cbranch_vccnz .LBB1239_17
; %bb.4:
	s_load_dwordx2 s[6:7], s[0:1], 0x28
	s_lshl_b64 s[16:17], s[2:3], 2
	s_waitcnt lgkmcnt(0)
	s_add_u32 s6, s6, s16
	s_addc_u32 s7, s7, s17
	s_load_dword s33, s[6:7], 0x0
	s_lshl_b32 s5, s28, 8
	s_waitcnt lgkmcnt(0)
	s_cmp_ge_i32 s5, s33
	s_cbranch_scc1 .LBB1239_17
; %bb.5:
	s_load_dwordx2 s[6:7], s[0:1], 0x20
	s_load_dword s8, s[0:1], 0x38
	s_add_i32 s9, s33, 31
	s_ashr_i32 s10, s9, 31
	v_and_b32_e32 v1, 0xcf, v0
	s_lshr_b32 s10, s10, 27
	v_add_u32_e32 v1, s5, v1
	s_add_i32 s9, s9, s10
	v_ashrrev_i32_e32 v2, 31, v1
	s_ashr_i32 s18, s9, 5
	v_lshrrev_b32_e32 v4, 27, v2
	s_add_i32 s18, s18, -1
	s_waitcnt lgkmcnt(0)
	s_mul_i32 s8, s2, s8
	s_mov_b32 s9, 0
	v_add_u32_e32 v2, v1, v4
	s_lshl_b64 s[8:9], s[8:9], 2
	v_ashrrev_i32_e32 v2, 5, v2
	v_mov_b32_e32 v5, s18
	v_cmp_gt_i32_e32 vcc, s33, v1
	s_add_u32 s6, s6, s8
	s_addc_u32 s7, s7, s9
	v_cndmask_b32_e32 v2, v5, v2, vcc
	v_ashrrev_i32_e32 v3, 31, v2
	v_lshl_add_u64 v[6:7], v[2:3], 2, s[6:7]
	v_or_b32_e32 v2, 16, v1
	v_add_u32_e32 v3, v2, v4
	v_ashrrev_i32_e32 v3, 5, v3
	v_cmp_gt_i32_e32 vcc, s33, v2
	s_load_dwordx4 s[8:11], s[0:1], 0x8
	s_nop 0
	v_cndmask_b32_e32 v2, v5, v3, vcc
	v_ashrrev_i32_e32 v3, 31, v2
	v_lshl_add_u64 v[8:9], v[2:3], 2, s[6:7]
	v_or_b32_e32 v2, 32, v1
	v_add_u32_e32 v3, v2, v4
	v_ashrrev_i32_e32 v3, 5, v3
	v_cmp_gt_i32_e32 vcc, s33, v2
	v_or_b32_e32 v1, 48, v1
	s_nop 0
	v_cndmask_b32_e32 v2, v5, v3, vcc
	v_ashrrev_i32_e32 v3, 31, v2
	v_lshl_add_u64 v[10:11], v[2:3], 2, s[6:7]
	v_add_u32_e32 v2, v1, v4
	v_ashrrev_i32_e32 v2, 5, v2
	v_cmp_gt_i32_e32 vcc, s33, v1
	s_nop 1
	v_cndmask_b32_e32 v2, v5, v2, vcc
	v_ashrrev_i32_e32 v3, 31, v2
	v_lshl_add_u64 v[12:13], v[2:3], 2, s[6:7]
	global_load_dword v2, v[6:7], off
	global_load_dword v5, v[8:9], off
	;; [unrolled: 1-line block ×4, first 2 shown]
	s_andn2_b64 vcc, exec, s[14:15]
	s_cbranch_vccnz .LBB1239_8
; %bb.6:
	s_add_u32 s12, s12, s16
	s_addc_u32 s13, s13, s17
	s_load_dword s14, s[12:13], 0x0
	s_branch .LBB1239_9
.LBB1239_7:
	s_mov_b64 s[8:9], 0
	s_branch .LBB1239_2
.LBB1239_8:
	s_mov_b32 s14, s2
.LBB1239_9:
	s_load_dwordx4 s[44:47], s[0:1], 0x48
	v_and_b32_e32 v28, 15, v0
	s_movk_i32 s12, 0xc0
	v_lshlrev_b32_e32 v3, 3, v28
	v_cmp_gt_u32_e32 vcc, s12, v0
	v_cmp_gt_u32_e64 s[30:31], 8, v28
	v_lshrrev_b32_e32 v29, 6, v0
	v_and_b32_e32 v43, 63, v0
	v_bfe_u32 v1, v0, 4, 2
	s_mul_i32 s48, s4, 12
	s_and_b64 s[16:17], vcc, s[30:31]
	v_lshlrev_b32_e32 v26, 1, v3
	v_lshlrev_b32_e32 v42, 4, v0
	s_and_saveexec_b64 s[12:13], s[16:17]
	s_cbranch_execz .LBB1239_11
; %bb.10:
	s_load_dwordx2 s[16:17], s[0:1], 0x0
	s_waitcnt lgkmcnt(0)
	s_ashr_i32 s15, s44, 31
	s_mul_hi_u32 s19, s14, s44
	s_mul_i32 s15, s14, s15
	s_add_i32 s15, s19, s15
	s_mul_i32 s14, s14, s44
	v_lshl_or_b32 v3, v29, 2, v1
	s_lshl_b64 s[14:15], s[14:15], 1
	s_add_u32 s14, s16, s14
	v_add_lshl_u32 v6, v3, s48, 6
	s_addc_u32 s15, s17, s15
	v_ashrrev_i32_e32 v7, 31, v6
	v_lshl_add_u64 v[6:7], v[6:7], 1, s[14:15]
	v_mov_b32_e32 v27, 0
	v_lshl_add_u64 v[6:7], v[6:7], 0, v[26:27]
	global_load_dwordx4 v[6:9], v[6:7], off
	v_lshlrev_b32_e32 v11, 8, v28
	v_lshlrev_b32_e32 v3, 5, v3
	v_and_b32_e32 v10, 16, v42
	v_and_b32_e32 v11, 0xe00, v11
	v_or3_b32 v3, v11, v3, v10
	s_waitcnt vmcnt(0)
	ds_write_b128 v3, v[6:9]
.LBB1239_11:
	s_or_b64 exec, exec, s[12:13]
	s_waitcnt lgkmcnt(0)
	s_mul_i32 s4, s4, s46
	s_add_u32 s8, s8, s4
	s_addc_u32 s9, s9, 0
	v_mov_b32_e32 v31, 0
	v_mov_b64_e32 v[18:19], s[8:9]
	v_and_b32_e32 v8, 48, v0
	s_waitcnt vmcnt(3)
	v_mad_i64_i32 v[6:7], s[8:9], v2, s45, v[18:19]
	v_lshlrev_b32_e32 v2, 4, v28
	v_mov_b32_e32 v3, v31
	v_lshlrev_b32_e32 v30, 5, v8
	v_lshl_add_u64 v[6:7], v[6:7], 0, v[2:3]
	v_lshl_add_u64 v[6:7], v[6:7], 0, v[30:31]
	s_load_dword s29, s[0:1], 0x98
	s_load_dwordx4 s[40:43], s[0:1], 0x80
	s_waitcnt lgkmcnt(0)
	s_barrier
	global_load_dwordx4 v[10:13], v[6:7], off
	s_waitcnt vmcnt(3)
	v_mad_i64_i32 v[6:7], s[8:9], v5, s45, v[18:19]
	v_or_b32_e32 v32, 0x100, v2
	v_mov_b32_e32 v33, v31
	v_lshl_add_u64 v[6:7], v[6:7], 0, v[32:33]
	v_lshl_add_u64 v[6:7], v[6:7], 0, v[30:31]
	global_load_dwordx4 v[14:17], v[6:7], off
	s_ashr_i32 s8, s5, 31
	v_or_b32_e32 v5, s5, v8
	s_lshr_b32 s12, s8, 27
	v_add_u32_e32 v8, s12, v5
	v_ashrrev_i32_e32 v8, 5, v8
	v_mov_b32_e32 v21, s18
	v_cmp_gt_i32_e32 vcc, s33, v5
	v_or_b32_e32 v34, 64, v5
	v_or_b32_e32 v35, 0x80, v5
	v_cndmask_b32_e32 v8, v21, v8, vcc
	v_ashrrev_i32_e32 v9, 31, v8
	v_lshl_add_u64 v[8:9], v[8:9], 2, s[6:7]
	global_load_dword v50, v[8:9], off
	v_or_b32_e32 v36, 0xc0, v5
	s_waitcnt vmcnt(4)
	v_mad_i64_i32 v[4:5], s[8:9], v4, s45, v[18:19]
	v_lshl_add_u64 v[2:3], v[4:5], 0, v[2:3]
	v_lshl_add_u64 v[2:3], v[2:3], 0, v[30:31]
	global_load_dwordx4 v[22:25], v[2:3], off
	v_add_u32_e32 v6, -12, v28
	v_cmp_gt_u32_e32 vcc, 12, v28
	s_waitcnt vmcnt(4)
	v_mad_i64_i32 v[18:19], s[8:9], v20, s45, v[18:19]
	v_add_u32_e32 v20, s12, v34
	v_cndmask_b32_e32 v6, v6, v28, vcc
	v_add_u32_e32 v37, s12, v35
	v_ashrrev_i32_e32 v20, 5, v20
	v_cmp_gt_i32_e32 vcc, s33, v34
	v_lshlrev_b32_e32 v6, 5, v6
	v_add_u32_e32 v38, s12, v36
	v_lshl_add_u64 v[18:19], v[18:19], 0, v[32:33]
	v_ashrrev_i32_e32 v33, 5, v37
	v_cndmask_b32_e32 v32, v21, v20, vcc
	v_cmp_gt_i32_e32 vcc, s33, v35
	v_lshl_add_u32 v2, v1, 9, v6
	v_ashrrev_i32_e32 v37, 5, v38
	v_lshl_add_u64 v[18:19], v[18:19], 0, v[30:31]
	v_cndmask_b32_e32 v34, v21, v33, vcc
	v_cmp_gt_i32_e32 vcc, s33, v36
	ds_read_b128 v[6:9], v2
	ds_read_b128 v[2:5], v2 offset:16
	v_cndmask_b32_e32 v36, v21, v37, vcc
	global_load_dwordx4 v[18:21], v[18:19], off
	v_ashrrev_i32_e32 v33, 31, v32
	v_ashrrev_i32_e32 v35, 31, v34
	v_lshl_add_u64 v[40:41], v[32:33], 2, s[6:7]
	v_lshl_add_u64 v[44:45], v[34:35], 2, s[6:7]
	s_add_u32 s8, s10, s4
	v_lshlrev_b32_e32 v27, 5, v28
	s_addc_u32 s9, s11, 0
	v_and_b32_e32 v30, 16, v0
	s_mov_b32 s44, 0x7060302
	v_lshl_add_u64 v[38:39], s[8:9], 0, v[30:31]
	v_lshl_or_b32 v30, v29, 9, v27
	v_lshl_add_u64 v[30:31], v[38:39], 0, v[30:31]
	v_ashrrev_i32_e32 v37, 31, v36
	v_lshl_add_u64 v[36:37], v[36:37], 2, s[6:7]
	s_load_dword s13, s[0:1], 0x1c
	s_mov_b32 s46, 0xff7fffff
	s_waitcnt vmcnt(4)
	v_cvt_pk_f32_fp8_e32 v[32:33], v10
	v_cvt_pk_f32_fp8_sdwa v[34:35], v10 src0_sel:WORD_1
	v_cvt_pk_f32_fp8_e32 v[38:39], v11
	v_cvt_pk_f32_fp8_sdwa v[10:11], v11 src0_sel:WORD_1
	v_perm_b32 v32, v33, v32, s44
	v_perm_b32 v33, v35, v34, s44
	;; [unrolled: 1-line block ×4, first 2 shown]
	v_cvt_pk_f32_fp8_e32 v[46:47], v12
	v_cvt_pk_f32_fp8_sdwa v[48:49], v12 src0_sel:WORD_1
	s_waitcnt lgkmcnt(0)
	v_mfma_f32_16x16x16_bf16 v[32:35], v[32:33], v[6:7], 0
	global_load_dword v12, v[40:41], off
	s_nop 0
	global_load_dword v44, v[44:45], off
	s_nop 0
	global_load_dword v45, v[36:37], off
	v_perm_b32 v36, v47, v46, s44
	v_perm_b32 v37, v49, v48, s44
	v_mfma_f32_16x16x16_bf16 v[32:35], v[38:39], v[8:9], v[32:35]
	v_cvt_pk_f32_fp8_e32 v[38:39], v13
	v_cvt_pk_f32_fp8_sdwa v[40:41], v13 src0_sel:WORD_1
	s_waitcnt vmcnt(6)
	v_cvt_pk_f32_fp8_e32 v[46:47], v16
	v_mfma_f32_16x16x16_bf16 v[32:35], v[36:37], v[2:3], v[32:35]
	v_perm_b32 v38, v39, v38, s44
	v_perm_b32 v39, v41, v40, s44
	v_cvt_pk_f32_fp8_e32 v[36:37], v14
	v_cvt_pk_f32_fp8_sdwa v[40:41], v14 src0_sel:WORD_1
	v_mfma_f32_16x16x16_bf16 v[32:35], v[38:39], v[4:5], v[32:35]
	v_cvt_pk_f32_fp8_e32 v[38:39], v15
	v_perm_b32 v36, v37, v36, s44
	v_perm_b32 v37, v41, v40, s44
	v_cvt_pk_f32_fp8_sdwa v[14:15], v15 src0_sel:WORD_1
	v_perm_b32 v40, v39, v38, s44
	v_cvt_pk_f32_fp8_sdwa v[48:49], v16 src0_sel:WORD_1
	v_mfma_f32_16x16x16_bf16 v[36:39], v[36:37], v[6:7], 0
	v_perm_b32 v41, v15, v14, s44
	s_waitcnt vmcnt(5)
	v_mad_i64_i32 v[10:11], s[6:7], v50, s45, v[30:31]
	v_perm_b32 v46, v47, v46, s44
	v_perm_b32 v47, v49, v48, s44
	v_cvt_pk_f32_fp8_e32 v[48:49], v17
	v_cvt_pk_f32_fp8_sdwa v[50:51], v17 src0_sel:WORD_1
	v_mfma_f32_16x16x16_bf16 v[14:17], v[40:41], v[8:9], v[36:39]
	s_waitcnt vmcnt(4)
	v_cvt_pk_f32_fp8_sdwa v[40:41], v22 src0_sel:WORD_1
	s_load_dword s4, s[40:41], 0x0
	v_mov_b32_e32 v13, s13
	v_perm_b32 v36, v49, v48, s44
	v_perm_b32 v37, v51, v50, s44
	v_mfma_f32_16x16x16_bf16 v[14:17], v[46:47], v[2:3], v[14:17]
	v_cvt_pk_f32_fp8_e32 v[38:39], v22
	v_cvt_pk_f32_fp8_e32 v[46:47], v24
	v_cvt_pk_f32_fp8_sdwa v[48:49], v24 src0_sel:WORD_1
	v_mfma_f32_16x16x16_bf16 v[14:17], v[36:37], v[4:5], v[14:17]
	v_cvt_pk_f32_fp8_e32 v[36:37], v23
	v_perm_b32 v38, v39, v38, s44
	v_perm_b32 v39, v41, v40, s44
	v_cvt_pk_f32_fp8_sdwa v[22:23], v23 src0_sel:WORD_1
	v_perm_b32 v40, v37, v36, s44
	v_mfma_f32_16x16x16_bf16 v[36:39], v[38:39], v[6:7], 0
	v_perm_b32 v41, v23, v22, s44
	v_perm_b32 v46, v47, v46, s44
	;; [unrolled: 1-line block ×3, first 2 shown]
	v_cvt_pk_f32_fp8_e32 v[48:49], v25
	v_cvt_pk_f32_fp8_sdwa v[24:25], v25 src0_sel:WORD_1
	v_mfma_f32_16x16x16_bf16 v[36:39], v[40:41], v[8:9], v[36:39]
	s_waitcnt lgkmcnt(0)
	v_mul_f32_e32 v50, s4, v13
	v_perm_b32 v40, v49, v48, s44
	v_perm_b32 v41, v25, v24, s44
	v_pk_mul_f32 v[22:23], v[50:51], v[34:35] op_sel_hi:[0,1]
	v_mfma_f32_16x16x16_bf16 v[36:39], v[46:47], v[2:3], v[36:39]
	v_pk_mul_f32 v[34:35], v[50:51], v[32:33] op_sel_hi:[0,1]
	s_waitcnt vmcnt(3)
	v_cvt_pk_f32_fp8_e32 v[24:25], v18
	v_cvt_pk_f32_fp8_sdwa v[32:33], v18 src0_sel:WORD_1
	v_mfma_f32_16x16x16_bf16 v[46:49], v[40:41], v[4:5], v[36:39]
	v_cvt_pk_f32_fp8_e32 v[40:41], v20
	v_perm_b32 v24, v25, v24, s44
	v_perm_b32 v25, v33, v32, s44
	v_cvt_pk_f32_fp8_e32 v[36:37], v19
	v_cvt_pk_f32_fp8_sdwa v[18:19], v19 src0_sel:WORD_1
	v_cvt_pk_f32_fp8_sdwa v[52:53], v20 src0_sel:WORD_1
	v_perm_b32 v32, v37, v36, s44
	v_perm_b32 v33, v19, v18, s44
	v_mfma_f32_16x16x16_bf16 v[36:39], v[24:25], v[6:7], 0
	v_perm_b32 v18, v41, v40, s44
	v_perm_b32 v19, v53, v52, s44
	v_cvt_pk_f32_fp8_e32 v[24:25], v21
	v_cvt_pk_f32_fp8_sdwa v[20:21], v21 src0_sel:WORD_1
	v_mfma_f32_16x16x16_bf16 v[6:9], v[32:33], v[8:9], v[36:39]
	v_pk_mul_f32 v[40:41], v[50:51], v[14:15] op_sel_hi:[0,1]
	v_pk_mul_f32 v[32:33], v[50:51], v[48:49] op_sel_hi:[0,1]
	s_nop 0
	v_pk_mul_f32 v[36:37], v[50:51], v[16:17] op_sel_hi:[0,1]
	v_perm_b32 v16, v25, v24, s44
	v_perm_b32 v17, v21, v20, s44
	v_mfma_f32_16x16x16_bf16 v[6:9], v[18:19], v[2:3], v[6:9]
	v_pk_mul_f32 v[38:39], v[50:51], v[46:47] op_sel_hi:[0,1]
	v_mfma_f32_16x16x16_bf16 v[2:5], v[16:17], v[4:5], v[6:9]
	s_nop 6
	v_pk_mul_f32 v[24:25], v[50:51], v[2:3] op_sel_hi:[0,1]
	v_and_b32_e32 v2, 0xc0, v0
	v_add_u32_e32 v2, s5, v2
	v_lshl_or_b32 v2, v1, 2, v2
	v_pk_mul_f32 v[18:19], v[50:51], v[4:5] op_sel_hi:[0,1]
	v_or_b32_e32 v5, 1, v2
	v_mov_b32_e32 v3, 0xff7fffff
	v_cmp_gt_i32_e64 s[4:5], s33, v2
	v_cmp_gt_i32_e64 s[34:35], s33, v5
	v_or_b32_e32 v6, 3, v2
	v_cndmask_b32_e64 v4, v3, v34, s[4:5]
	v_cndmask_b32_e64 v5, v3, v35, s[34:35]
	v_max3_f32 v4, v4, s46, v5
	v_or_b32_e32 v5, 2, v2
	v_cmp_gt_i32_e64 s[36:37], s33, v5
	v_cmp_gt_i32_e64 s[38:39], s33, v6
	s_nop 0
	v_cndmask_b32_e64 v5, v3, v22, s[36:37]
	v_cndmask_b32_e64 v6, v3, v23, s[38:39]
	v_max3_f32 v4, v4, v5, v6
	v_or_b32_e32 v5, 16, v2
	v_or_b32_e32 v6, 17, v2
	v_cmp_gt_i32_e64 s[24:25], s33, v5
	v_cmp_gt_i32_e64 s[26:27], s33, v6
	s_nop 0
	v_cndmask_b32_e64 v5, v3, v40, s[24:25]
	v_cndmask_b32_e64 v6, v3, v41, s[26:27]
	v_max3_f32 v4, v4, v5, v6
	v_or_b32_e32 v5, 18, v2
	v_or_b32_e32 v6, 19, v2
	v_cmp_gt_i32_e64 s[20:21], s33, v5
	v_cmp_gt_i32_e64 s[22:23], s33, v6
	s_nop 0
	v_cndmask_b32_e64 v5, v3, v36, s[20:21]
	v_cndmask_b32_e64 v6, v3, v37, s[22:23]
	v_max3_f32 v4, v4, v5, v6
	v_or_b32_e32 v5, 32, v2
	v_or_b32_e32 v6, 33, v2
	v_cmp_gt_i32_e64 s[16:17], s33, v5
	v_cmp_gt_i32_e64 s[18:19], s33, v6
	s_nop 0
	v_cndmask_b32_e64 v5, v3, v38, s[16:17]
	v_cndmask_b32_e64 v6, v3, v39, s[18:19]
	v_max3_f32 v4, v4, v5, v6
	v_or_b32_e32 v5, 34, v2
	v_or_b32_e32 v6, 35, v2
	v_cmp_gt_i32_e64 s[12:13], s33, v5
	v_cmp_gt_i32_e64 s[14:15], s33, v6
	s_nop 0
	v_cndmask_b32_e64 v5, v3, v32, s[12:13]
	v_cndmask_b32_e64 v6, v3, v33, s[14:15]
	v_max3_f32 v4, v4, v5, v6
	v_or_b32_e32 v5, 48, v2
	v_or_b32_e32 v6, 49, v2
	v_cmp_gt_i32_e64 s[8:9], s33, v5
	v_cmp_gt_i32_e64 s[10:11], s33, v6
	s_nop 0
	v_cndmask_b32_e64 v5, v3, v24, s[8:9]
	v_cndmask_b32_e64 v6, v3, v25, s[10:11]
	v_max3_f32 v4, v4, v5, v6
	v_or_b32_e32 v5, 50, v2
	v_or_b32_e32 v2, 51, v2
	v_cmp_gt_i32_e32 vcc, s33, v5
	v_cmp_gt_i32_e64 s[6:7], s33, v2
	s_nop 0
	v_cndmask_b32_e32 v5, v3, v18, vcc
	v_cndmask_b32_e64 v2, v3, v19, s[6:7]
	v_max3_f32 v4, v4, v5, v2
	v_mbcnt_lo_u32_b32 v2, -1, 0
	v_mbcnt_hi_u32_b32 v5, -1, v2
	v_and_b32_e32 v2, 64, v5
	v_add_u32_e32 v6, 64, v2
	v_xor_b32_e32 v2, 32, v5
	v_cmp_lt_i32_e64 s[40:41], v2, v6
	s_nop 1
	v_cndmask_b32_e64 v2, v5, v2, s[40:41]
	v_lshlrev_b32_e32 v46, 2, v2
	ds_bpermute_b32 v7, v46, v4
	s_waitcnt vmcnt(2)
	v_mad_i64_i32 v[2:3], s[40:41], v12, s45, v[30:31]
	global_load_dwordx4 v[14:17], v[10:11], off
	s_nop 0
	global_load_dwordx4 v[10:13], v[2:3], off
	v_xor_b32_e32 v3, 16, v5
	v_cmp_lt_i32_e64 s[40:41], v3, v6
	s_waitcnt lgkmcnt(0)
	v_max_f32_e32 v2, v7, v7
	v_max_f32_e32 v2, v4, v2
	v_cndmask_b32_e64 v3, v5, v3, s[40:41]
	v_lshlrev_b32_e32 v47, 2, v3
	ds_bpermute_b32 v3, v47, v2
	s_waitcnt vmcnt(3)
	v_mad_i64_i32 v[20:21], s[40:41], v44, s45, v[30:31]
	s_waitcnt vmcnt(2)
	v_mad_i64_i32 v[30:31], s[40:41], v45, s45, v[30:31]
	s_waitcnt lgkmcnt(0)
	v_max_f32_e32 v3, v3, v3
	v_max_f32_e32 v44, v2, v3
	v_sub_f32_e32 v2, v34, v44
	v_mul_f32_e32 v2, 0x3fb8aa3b, v2
	v_exp_f32_e32 v34, v2
	v_sub_f32_e32 v2, v35, v44
	v_mul_f32_e32 v2, 0x3fb8aa3b, v2
	v_exp_f32_e32 v35, v2
	global_load_dwordx4 v[6:9], v[20:21], off
	global_load_dwordx4 v[2:5], v[30:31], off
	v_sub_f32_e32 v22, v22, v44
	v_mul_f32_e32 v22, 0x3fb8aa3b, v22
	v_sub_f32_e32 v23, v23, v44
	v_exp_f32_e32 v22, v22
	v_mul_f32_e32 v23, 0x3fb8aa3b, v23
	v_exp_f32_e32 v23, v23
	v_cndmask_b32_e64 v20, 0, v34, s[4:5]
	v_add_f32_e32 v30, 0, v20
	v_cndmask_b32_e64 v21, 0, v35, s[34:35]
	v_add_f32_e32 v30, v30, v21
	;; [unrolled: 2-line block ×3, first 2 shown]
	v_cndmask_b32_e64 v35, 0, v23, s[38:39]
	v_sub_f32_e32 v23, v40, v44
	v_sub_f32_e32 v30, v41, v44
	v_mul_f32_e32 v23, 0x3fb8aa3b, v23
	v_mul_f32_e32 v30, 0x3fb8aa3b, v30
	v_exp_f32_e32 v23, v23
	v_exp_f32_e32 v30, v30
	v_add_f32_e32 v31, v22, v35
	v_sub_f32_e32 v32, v32, v44
	v_cndmask_b32_e64 v22, 0, v23, s[24:25]
	v_cndmask_b32_e64 v23, 0, v30, s[26:27]
	v_sub_f32_e32 v30, v36, v44
	v_mul_f32_e32 v30, 0x3fb8aa3b, v30
	v_exp_f32_e32 v30, v30
	v_sub_f32_e32 v36, v37, v44
	v_add_f32_e32 v31, v31, v22
	v_mul_f32_e32 v36, 0x3fb8aa3b, v36
	v_exp_f32_e32 v37, v36
	v_add_f32_e32 v31, v31, v23
	v_cndmask_b32_e64 v36, 0, v30, s[20:21]
	v_add_f32_e32 v30, v31, v36
	v_sub_f32_e32 v31, v38, v44
	v_mul_f32_e32 v31, 0x3fb8aa3b, v31
	v_sub_f32_e32 v38, v39, v44
	v_exp_f32_e32 v31, v31
	v_mul_f32_e32 v38, 0x3fb8aa3b, v38
	v_exp_f32_e32 v38, v38
	v_mul_f32_e32 v32, 0x3fb8aa3b, v32
	v_sub_f32_e32 v33, v33, v44
	v_exp_f32_e32 v32, v32
	v_mul_f32_e32 v33, 0x3fb8aa3b, v33
	v_sub_f32_e32 v24, v24, v44
	v_cndmask_b32_e64 v37, 0, v37, s[22:23]
	v_exp_f32_e32 v33, v33
	v_mul_f32_e32 v24, 0x3fb8aa3b, v24
	v_sub_f32_e32 v25, v25, v44
	v_add_f32_e32 v39, v30, v37
	v_cndmask_b32_e64 v30, 0, v31, s[16:17]
	v_exp_f32_e32 v24, v24
	v_mul_f32_e32 v25, 0x3fb8aa3b, v25
	v_sub_f32_e32 v18, v18, v44
	v_add_f32_e32 v39, v39, v30
	;; [unrolled: 5-line block ×3, first 2 shown]
	v_cndmask_b32_e64 v32, 0, v32, s[12:13]
	v_exp_f32_e32 v18, v18
	v_mul_f32_e32 v19, 0x3fb8aa3b, v19
	v_add_f32_e32 v38, v38, v32
	v_cndmask_b32_e64 v33, 0, v33, s[14:15]
	v_exp_f32_e32 v19, v19
	v_add_f32_e32 v38, v38, v33
	v_cndmask_b32_e64 v24, 0, v24, s[8:9]
	v_add_f32_e32 v38, v38, v24
	v_cndmask_b32_e64 v25, 0, v25, s[10:11]
	v_add_f32_e32 v38, v38, v25
	v_cndmask_b32_e32 v18, 0, v18, vcc
	v_add_f32_e32 v38, v38, v18
	v_cndmask_b32_e64 v19, 0, v19, s[6:7]
	v_add_f32_e32 v38, v38, v19
	ds_bpermute_b32 v39, v46, v38
	v_cmp_gt_u32_e32 vcc, 16, v43
	s_waitcnt lgkmcnt(0)
	s_barrier
	v_add_f32_e32 v38, v38, v39
	ds_bpermute_b32 v40, v47, v38
	v_lshlrev_b32_e32 v39, 2, v28
	s_and_saveexec_b64 s[4:5], vcc
	s_cbranch_execz .LBB1239_13
; %bb.12:
	s_waitcnt lgkmcnt(0)
	v_add_f32_e32 v38, v38, v40
	v_lshl_or_b32 v40, v29, 6, v39
	ds_write2st64_b32 v40, v44, v38 offset1:1
.LBB1239_13:
	s_or_b64 exec, exec, s[4:5]
	s_load_dword s6, s[0:1], 0x94
	s_waitcnt lgkmcnt(0)
	s_barrier
	ds_read2_b32 v[40:41], v39 offset1:16
	ds_read2_b32 v[44:45], v39 offset0:32 offset1:48
	ds_read2_b32 v[46:47], v39 offset0:64 offset1:80
	s_movk_i32 s8, 0x7fff
	s_mul_i32 s7, s29, 12
	s_waitcnt lgkmcnt(2)
	v_max3_f32 v38, v40, s46, v41
	s_waitcnt lgkmcnt(1)
	v_max3_f32 v38, v38, v44, v45
	v_sub_f32_e32 v40, v40, v38
	v_mul_f32_e32 v40, 0x3fb8aa3b, v40
	v_exp_f32_e32 v43, v40
	v_sub_f32_e32 v40, v41, v38
	v_mul_f32_e32 v40, 0x3fb8aa3b, v40
	v_exp_f32_e32 v48, v40
	;; [unrolled: 3-line block ×3, first 2 shown]
	ds_read2_b32 v[40:41], v39 offset0:96 offset1:112
	v_sub_f32_e32 v39, v45, v38
	v_mul_f32_e32 v39, 0x3fb8aa3b, v39
	v_exp_f32_e32 v45, v39
	s_waitcnt lgkmcnt(1)
	v_fma_f32 v39, v43, v46, 0
	v_fmac_f32_e32 v39, v48, v47
	s_waitcnt lgkmcnt(0)
	v_fmac_f32_e32 v39, v44, v40
	v_fmac_f32_e32 v39, v45, v41
	v_add_f32_e32 v40, 0x358637bd, v39
	v_div_scale_f32 v41, s[4:5], v40, v40, 1.0
	v_rcp_f32_e32 v46, v41
	s_barrier
	v_fma_f32 v47, -v41, v46, 1.0
	v_fmac_f32_e32 v46, v47, v46
	v_div_scale_f32 v47, vcc, 1.0, v40, 1.0
	v_mul_f32_e32 v49, v47, v46
	v_fma_f32 v50, -v41, v49, v47
	v_fmac_f32_e32 v49, v50, v46
	v_fma_f32 v41, -v41, v49, v47
	v_div_fmas_f32 v41, v41, v46, v49
	v_cmp_eq_u32_e32 vcc, 1, v29
	v_div_fixup_f32 v40, v41, v40, 1.0
	s_nop 0
	v_cndmask_b32_e32 v41, v43, v48, vcc
	v_cmp_eq_u32_e32 vcc, 2, v29
	s_nop 1
	v_cndmask_b32_e32 v41, v41, v44, vcc
	v_cmp_eq_u32_e32 vcc, 3, v29
	s_nop 1
	v_cndmask_b32_e32 v41, v41, v45, vcc
	v_mul_f32_e32 v40, v41, v40
	v_pk_mul_f32 v[20:21], v[40:41], v[20:21] op_sel_hi:[0,1]
	v_pk_mul_f32 v[34:35], v[40:41], v[34:35] op_sel_hi:[0,1]
	v_bfe_u32 v41, v21, 16, 1
	v_bfe_u32 v43, v20, 16, 1
	v_add3_u32 v20, v20, v43, s8
	v_add3_u32 v21, v21, v41, s8
	v_perm_b32 v44, v21, v20, s44
	v_bfe_u32 v20, v35, 16, 1
	v_bfe_u32 v21, v34, 16, 1
	v_add3_u32 v21, v34, v21, s8
	v_add3_u32 v20, v35, v20, s8
	v_perm_b32 v45, v20, v21, s44
	v_lshlrev_b32_e32 v20, 3, v1
	v_lshlrev_b32_e32 v21, 11, v29
	v_pk_mul_f32 v[22:23], v[40:41], v[22:23] op_sel_hi:[0,1]
	v_or3_b32 v20, v21, v27, v20
	v_bfe_u32 v21, v23, 16, 1
	v_bfe_u32 v29, v22, 16, 1
	v_pk_mul_f32 v[34:35], v[40:41], v[36:37] op_sel_hi:[0,1]
	v_add3_u32 v22, v22, v29, s8
	v_add3_u32 v21, v23, v21, s8
	v_perm_b32 v22, v21, v22, s44
	v_bfe_u32 v21, v35, 16, 1
	v_bfe_u32 v23, v34, 16, 1
	v_add3_u32 v23, v34, v23, s8
	v_add3_u32 v21, v35, v21, s8
	v_pk_mul_f32 v[30:31], v[40:41], v[30:31] op_sel_hi:[0,1]
	v_perm_b32 v23, v21, v23, s44
	v_bfe_u32 v21, v31, 16, 1
	v_bfe_u32 v29, v30, 16, 1
	ds_write2st64_b64 v20, v[44:45], v[22:23] offset1:1
	v_pk_mul_f32 v[22:23], v[40:41], v[32:33] op_sel_hi:[0,1]
	v_add3_u32 v29, v30, v29, s8
	v_add3_u32 v21, v31, v21, s8
	v_perm_b32 v30, v21, v29, s44
	v_bfe_u32 v21, v23, 16, 1
	v_bfe_u32 v29, v22, 16, 1
	v_add3_u32 v22, v22, v29, s8
	v_add3_u32 v21, v23, v21, s8
	v_perm_b32 v31, v21, v22, s44
	v_pk_mul_f32 v[22:23], v[40:41], v[24:25] op_sel_hi:[0,1]
	v_bfe_u32 v21, v23, 16, 1
	v_bfe_u32 v24, v22, 16, 1
	v_pk_mul_f32 v[18:19], v[40:41], v[18:19] op_sel_hi:[0,1]
	v_add3_u32 v22, v22, v24, s8
	v_add3_u32 v21, v23, v21, s8
	v_perm_b32 v22, v21, v22, s44
	v_bfe_u32 v21, v19, 16, 1
	v_bfe_u32 v23, v18, 16, 1
	v_add3_u32 v18, v18, v23, s8
	v_add3_u32 v19, v19, v21, s8
	v_perm_b32 v23, v19, v18, s44
	v_cmp_gt_u32_e32 vcc, 12, v0
	ds_write2st64_b64 v20, v[30:31], v[22:23] offset0:2 offset1:3
	s_and_saveexec_b64 s[4:5], vcc
	s_cbranch_execz .LBB1239_15
; %bb.14:
	s_mov_b32 s49, 0
	v_mov_b32_e32 v29, 0
	v_lshl_add_u64 v[18:19], s[48:49], 0, v[28:29]
	v_mov_b32_e32 v21, s7
	v_mad_u64_u32 v[18:19], s[10:11], s2, v21, v[18:19]
	s_mul_i32 s3, s3, s7
	v_mov_b32_e32 v28, s28
	s_load_dwordx4 s[12:15], s[0:1], 0x58
	v_add_u32_e32 v21, s3, v19
	v_mad_u64_u32 v[18:19], s[10:11], v18, s6, v[28:29]
	v_mov_b32_e32 v22, v19
	v_mad_u64_u32 v[22:23], s[10:11], v21, s6, v[22:23]
	v_mov_b32_e32 v19, v22
	v_lshlrev_b64 v[18:19], 2, v[18:19]
	s_waitcnt lgkmcnt(0)
	v_lshl_add_u64 v[22:23], s[14:15], 0, v[18:19]
	v_lshl_add_u64 v[18:19], s[12:13], 0, v[18:19]
	global_store_dword v[22:23], v38, off
	global_store_dword v[18:19], v39, off
.LBB1239_15:
	s_or_b64 exec, exec, s[4:5]
	s_waitcnt vmcnt(3)
	v_cvt_pk_f32_fp8_e32 v[18:19], v14
	v_cvt_pk_f32_fp8_sdwa v[22:23], v14 src0_sel:WORD_1
	s_mov_b32 s4, 0x7060302
	v_lshl_or_b32 v14, v1, 9, v27
	s_waitcnt lgkmcnt(0)
	s_barrier
	v_perm_b32 v18, v19, v18, s4
	v_perm_b32 v19, v23, v22, s4
	v_cvt_pk_f32_fp8_e32 v[28:29], v15
	ds_read_b128 v[22:25], v14
	v_cvt_pk_f32_fp8_sdwa v[36:37], v15 src0_sel:WORD_1
	s_load_dword s10, s[42:43], 0x0
	v_perm_b32 v38, v29, v28, s4
	ds_read_b128 v[28:31], v14 offset:16
	v_perm_b32 v39, v37, v36, s4
	s_waitcnt lgkmcnt(0)
	v_mfma_f32_16x16x16_bf16 v[32:35], v[18:19], v[22:23], 0
	v_cvt_pk_f32_fp8_e32 v[18:19], v16
	v_cvt_pk_f32_fp8_sdwa v[36:37], v16 src0_sel:WORD_1
	v_cmp_gt_u32_e32 vcc, 64, v0
	v_mfma_f32_16x16x16_bf16 v[22:25], v[38:39], v[24:25], v[32:35]
	v_perm_b32 v18, v19, v18, s4
	v_perm_b32 v19, v37, v36, s4
	s_waitcnt vmcnt(2)
	v_cvt_pk_f32_fp8_sdwa v[36:37], v10 src0_sel:WORD_1
	v_cvt_pk_f32_fp8_e32 v[32:33], v17
	v_cvt_pk_f32_fp8_sdwa v[16:17], v17 src0_sel:WORD_1
	v_cvt_pk_f32_fp8_e32 v[34:35], v10
	s_mov_b32 s3, 0
	v_perm_b32 v32, v33, v32, s4
	v_perm_b32 v33, v17, v16, s4
	v_mfma_f32_16x16x16_bf16 v[16:19], v[18:19], v[28:29], v[22:25]
	v_perm_b32 v34, v35, v34, s4
	v_perm_b32 v35, v37, v36, s4
	v_cvt_pk_f32_fp8_e32 v[28:29], v11
	ds_read_b128 v[22:25], v14 offset:2048
	v_cvt_pk_f32_fp8_sdwa v[10:11], v11 src0_sel:WORD_1
	v_mfma_f32_16x16x16_bf16 v[16:19], v[32:33], v[30:31], v[16:19]
	v_perm_b32 v32, v29, v28, s4
	ds_read_b128 v[28:31], v14 offset:2064
	v_perm_b32 v33, v11, v10, s4
	s_waitcnt lgkmcnt(1)
	v_mfma_f32_16x16x16_bf16 v[16:19], v[34:35], v[22:23], v[16:19]
	v_cvt_pk_f32_fp8_e32 v[10:11], v12
	v_cvt_pk_f32_fp8_sdwa v[22:23], v12 src0_sel:WORD_1
	v_mov_b32_e32 v27, 0
	v_mfma_f32_16x16x16_bf16 v[16:19], v[32:33], v[24:25], v[16:19]
	v_cvt_pk_f32_fp8_e32 v[24:25], v13
	v_perm_b32 v10, v11, v10, s4
	v_perm_b32 v11, v23, v22, s4
	v_cvt_pk_f32_fp8_sdwa v[12:13], v13 src0_sel:WORD_1
	v_perm_b32 v22, v25, v24, s4
	s_waitcnt vmcnt(1)
	v_cvt_pk_f32_fp8_e32 v[24:25], v6
	v_cvt_pk_f32_fp8_sdwa v[32:33], v6 src0_sel:WORD_1
	v_perm_b32 v23, v13, v12, s4
	s_waitcnt lgkmcnt(0)
	v_mfma_f32_16x16x16_bf16 v[10:13], v[10:11], v[28:29], v[16:19]
	v_perm_b32 v28, v25, v24, s4
	v_perm_b32 v29, v33, v32, s4
	v_cvt_pk_f32_fp8_e32 v[24:25], v7
	ds_read_b128 v[16:19], v14 offset:4096
	v_cvt_pk_f32_fp8_sdwa v[6:7], v7 src0_sel:WORD_1
	v_mfma_f32_16x16x16_bf16 v[10:13], v[22:23], v[30:31], v[10:13]
	v_perm_b32 v30, v25, v24, s4
	ds_read_b128 v[22:25], v14 offset:4112
	v_perm_b32 v31, v7, v6, s4
	s_waitcnt lgkmcnt(1)
	v_mfma_f32_16x16x16_bf16 v[10:13], v[28:29], v[16:17], v[10:13]
	v_cvt_pk_f32_fp8_e32 v[6:7], v8
	v_cvt_pk_f32_fp8_sdwa v[16:17], v8 src0_sel:WORD_1
	s_waitcnt vmcnt(0)
	v_cvt_pk_f32_fp8_sdwa v[28:29], v2 src0_sel:WORD_1
	v_mfma_f32_16x16x16_bf16 v[10:13], v[30:31], v[18:19], v[10:13]
	v_cvt_pk_f32_fp8_e32 v[18:19], v9
	v_perm_b32 v6, v7, v6, s4
	v_perm_b32 v7, v17, v16, s4
	v_cvt_pk_f32_fp8_sdwa v[8:9], v9 src0_sel:WORD_1
	v_perm_b32 v16, v19, v18, s4
	v_cvt_pk_f32_fp8_e32 v[18:19], v2
	v_perm_b32 v17, v9, v8, s4
	s_waitcnt lgkmcnt(0)
	v_mfma_f32_16x16x16_bf16 v[6:9], v[6:7], v[22:23], v[10:13]
	v_perm_b32 v18, v19, v18, s4
	v_perm_b32 v19, v29, v28, s4
	v_cvt_pk_f32_fp8_e32 v[22:23], v3
	ds_read_b128 v[10:13], v14 offset:6144
	v_cvt_pk_f32_fp8_sdwa v[2:3], v3 src0_sel:WORD_1
	v_mfma_f32_16x16x16_bf16 v[6:9], v[16:17], v[24:25], v[6:9]
	v_perm_b32 v22, v23, v22, s4
	ds_read_b128 v[14:17], v14 offset:6160
	v_perm_b32 v23, v3, v2, s4
	s_waitcnt lgkmcnt(1)
	v_mfma_f32_16x16x16_bf16 v[6:9], v[18:19], v[10:11], v[6:9]
	v_cvt_pk_f32_fp8_e32 v[2:3], v4
	v_cvt_pk_f32_fp8_sdwa v[10:11], v4 src0_sel:WORD_1
	s_waitcnt lgkmcnt(0)
	v_mfma_f32_16x16x16_bf16 v[6:9], v[22:23], v[12:13], v[6:9]
	v_perm_b32 v2, v3, v2, s4
	v_perm_b32 v3, v11, v10, s4
	v_cvt_pk_f32_fp8_e32 v[10:11], v5
	v_cvt_pk_f32_fp8_sdwa v[4:5], v5 src0_sel:WORD_1
	s_barrier
	v_perm_b32 v10, v11, v10, s4
	v_perm_b32 v11, v5, v4, s4
	v_mfma_f32_16x16x16_bf16 v[2:5], v[2:3], v[14:15], v[6:9]
	s_nop 0
	v_mfma_f32_16x16x16_bf16 v[2:5], v[10:11], v[16:17], v[2:5]
	s_nop 6
	v_pk_mul_f32 v[2:3], v[2:3], s[10:11] op_sel_hi:[1,0]
	v_pk_mul_f32 v[4:5], v[4:5], s[10:11] op_sel_hi:[1,0]
	v_bfe_u32 v6, v3, 16, 1
	v_bfe_u32 v7, v2, 16, 1
	v_add3_u32 v2, v2, v7, s8
	v_add3_u32 v3, v3, v6, s8
	v_perm_b32 v2, v3, v2, s4
	v_bfe_u32 v3, v5, 16, 1
	v_bfe_u32 v6, v4, 16, 1
	v_add3_u32 v4, v4, v6, s8
	v_add3_u32 v3, v5, v3, s8
	v_perm_b32 v3, v3, v4, s4
	s_and_b64 s[4:5], vcc, s[30:31]
	ds_write_b64 v20, v[2:3]
	s_waitcnt lgkmcnt(0)
	s_barrier
	s_and_saveexec_b64 s[8:9], s[4:5]
	s_cbranch_execz .LBB1239_17
; %bb.16:
	s_load_dwordx2 s[0:1], s[0:1], 0x68
	s_lshl_b32 s6, s6, 6
	s_mul_i32 s2, s7, s2
	s_mul_hi_u32 s5, s2, s6
	s_mul_i32 s4, s2, s6
	s_lshl_b64 s[4:5], s[4:5], 1
	s_waitcnt lgkmcnt(0)
	s_add_u32 s4, s0, s4
	v_lshlrev_b32_e32 v0, 10, v0
	s_addc_u32 s5, s1, s5
	s_lshl_b32 s2, s28, 6
	v_and_b32_e32 v0, 0x1800, v0
	v_lshlrev_b32_e32 v2, 5, v1
	v_and_b32_e32 v3, 16, v42
	s_lshl_b64 s[0:1], s[2:3], 1
	v_or3_b32 v0, v0, v2, v3
	s_add_u32 s0, s4, s0
	ds_read_b128 v[2:5], v0
	ds_read_b128 v[6:9], v0 offset:128
	ds_read_b128 v[10:13], v0 offset:256
	s_addc_u32 s1, s5, s1
	v_or_b32_e32 v16, s48, v1
	v_lshl_add_u64 v[0:1], s[0:1], 0, v[26:27]
	v_mad_u64_u32 v[14:15], s[0:1], v16, s6, 0
	v_lshl_add_u64 v[14:15], v[14:15], 1, v[0:1]
	s_waitcnt lgkmcnt(2)
	global_store_dwordx4 v[14:15], v[2:5], off
	s_nop 1
	v_add_u32_e32 v2, 4, v16
	v_mad_u64_u32 v[2:3], s[0:1], v2, s6, 0
	v_lshl_add_u64 v[2:3], v[2:3], 1, v[0:1]
	s_waitcnt lgkmcnt(1)
	global_store_dwordx4 v[2:3], v[6:9], off
	v_add_u32_e32 v2, 8, v16
	v_mad_u64_u32 v[2:3], s[0:1], v2, s6, 0
	v_lshl_add_u64 v[0:1], v[2:3], 1, v[0:1]
	s_waitcnt lgkmcnt(0)
	global_store_dwordx4 v[0:1], v[10:13], off
.LBB1239_17:
	s_endpgm
	.section	.rodata,"a",@progbits
	.p2align	6, 0x0
	.amdhsa_kernel _Z39paged_attention_ll4mi_QKV_mfma16_kernelI14__hip_bfloat16hLN4vllm18Fp8KVCacheDataTypeE1ES0_Li32ELi64ELi256ELb0ELi12EEvPKT_PKT0_S8_ifPKiSA_SA_iPKfiiiPfSD_PS3_PT2_iSC_SC_
		.amdhsa_group_segment_fixed_size 8192
		.amdhsa_private_segment_fixed_size 0
		.amdhsa_kernarg_size 400
		.amdhsa_user_sgpr_count 2
		.amdhsa_user_sgpr_dispatch_ptr 0
		.amdhsa_user_sgpr_queue_ptr 0
		.amdhsa_user_sgpr_kernarg_segment_ptr 1
		.amdhsa_user_sgpr_dispatch_id 0
		.amdhsa_user_sgpr_kernarg_preload_length 0
		.amdhsa_user_sgpr_kernarg_preload_offset 0
		.amdhsa_user_sgpr_private_segment_size 0
		.amdhsa_uses_dynamic_stack 0
		.amdhsa_enable_private_segment 0
		.amdhsa_system_sgpr_workgroup_id_x 1
		.amdhsa_system_sgpr_workgroup_id_y 1
		.amdhsa_system_sgpr_workgroup_id_z 1
		.amdhsa_system_sgpr_workgroup_info 0
		.amdhsa_system_vgpr_workitem_id 0
		.amdhsa_next_free_vgpr 54
		.amdhsa_next_free_sgpr 50
		.amdhsa_accum_offset 56
		.amdhsa_reserve_vcc 1
		.amdhsa_float_round_mode_32 0
		.amdhsa_float_round_mode_16_64 0
		.amdhsa_float_denorm_mode_32 3
		.amdhsa_float_denorm_mode_16_64 3
		.amdhsa_dx10_clamp 1
		.amdhsa_ieee_mode 1
		.amdhsa_fp16_overflow 0
		.amdhsa_tg_split 0
		.amdhsa_exception_fp_ieee_invalid_op 0
		.amdhsa_exception_fp_denorm_src 0
		.amdhsa_exception_fp_ieee_div_zero 0
		.amdhsa_exception_fp_ieee_overflow 0
		.amdhsa_exception_fp_ieee_underflow 0
		.amdhsa_exception_fp_ieee_inexact 0
		.amdhsa_exception_int_div_zero 0
	.end_amdhsa_kernel
	.section	.text._Z39paged_attention_ll4mi_QKV_mfma16_kernelI14__hip_bfloat16hLN4vllm18Fp8KVCacheDataTypeE1ES0_Li32ELi64ELi256ELb0ELi12EEvPKT_PKT0_S8_ifPKiSA_SA_iPKfiiiPfSD_PS3_PT2_iSC_SC_,"axG",@progbits,_Z39paged_attention_ll4mi_QKV_mfma16_kernelI14__hip_bfloat16hLN4vllm18Fp8KVCacheDataTypeE1ES0_Li32ELi64ELi256ELb0ELi12EEvPKT_PKT0_S8_ifPKiSA_SA_iPKfiiiPfSD_PS3_PT2_iSC_SC_,comdat
.Lfunc_end1239:
	.size	_Z39paged_attention_ll4mi_QKV_mfma16_kernelI14__hip_bfloat16hLN4vllm18Fp8KVCacheDataTypeE1ES0_Li32ELi64ELi256ELb0ELi12EEvPKT_PKT0_S8_ifPKiSA_SA_iPKfiiiPfSD_PS3_PT2_iSC_SC_, .Lfunc_end1239-_Z39paged_attention_ll4mi_QKV_mfma16_kernelI14__hip_bfloat16hLN4vllm18Fp8KVCacheDataTypeE1ES0_Li32ELi64ELi256ELb0ELi12EEvPKT_PKT0_S8_ifPKiSA_SA_iPKfiiiPfSD_PS3_PT2_iSC_SC_
                                        ; -- End function
	.section	.AMDGPU.csdata,"",@progbits
; Kernel info:
; codeLenInByte = 4960
; NumSgprs: 56
; NumVgprs: 54
; NumAgprs: 0
; TotalNumVgprs: 54
; ScratchSize: 0
; MemoryBound: 0
; FloatMode: 240
; IeeeMode: 1
; LDSByteSize: 8192 bytes/workgroup (compile time only)
; SGPRBlocks: 6
; VGPRBlocks: 6
; NumSGPRsForWavesPerEU: 56
; NumVGPRsForWavesPerEU: 54
; AccumOffset: 56
; Occupancy: 8
; WaveLimiterHint : 1
; COMPUTE_PGM_RSRC2:SCRATCH_EN: 0
; COMPUTE_PGM_RSRC2:USER_SGPR: 2
; COMPUTE_PGM_RSRC2:TRAP_HANDLER: 0
; COMPUTE_PGM_RSRC2:TGID_X_EN: 1
; COMPUTE_PGM_RSRC2:TGID_Y_EN: 1
; COMPUTE_PGM_RSRC2:TGID_Z_EN: 1
; COMPUTE_PGM_RSRC2:TIDIG_COMP_CNT: 0
; COMPUTE_PGM_RSRC3_GFX90A:ACCUM_OFFSET: 13
; COMPUTE_PGM_RSRC3_GFX90A:TG_SPLIT: 0
	.section	.text._Z39paged_attention_ll4mi_QKV_mfma16_kernelI14__hip_bfloat16hLN4vllm18Fp8KVCacheDataTypeE1ES0_Li32ELi64ELi256ELb0ELi13EEvPKT_PKT0_S8_ifPKiSA_SA_iPKfiiiPfSD_PS3_PT2_iSC_SC_,"axG",@progbits,_Z39paged_attention_ll4mi_QKV_mfma16_kernelI14__hip_bfloat16hLN4vllm18Fp8KVCacheDataTypeE1ES0_Li32ELi64ELi256ELb0ELi13EEvPKT_PKT0_S8_ifPKiSA_SA_iPKfiiiPfSD_PS3_PT2_iSC_SC_,comdat
	.protected	_Z39paged_attention_ll4mi_QKV_mfma16_kernelI14__hip_bfloat16hLN4vllm18Fp8KVCacheDataTypeE1ES0_Li32ELi64ELi256ELb0ELi13EEvPKT_PKT0_S8_ifPKiSA_SA_iPKfiiiPfSD_PS3_PT2_iSC_SC_ ; -- Begin function _Z39paged_attention_ll4mi_QKV_mfma16_kernelI14__hip_bfloat16hLN4vllm18Fp8KVCacheDataTypeE1ES0_Li32ELi64ELi256ELb0ELi13EEvPKT_PKT0_S8_ifPKiSA_SA_iPKfiiiPfSD_PS3_PT2_iSC_SC_
	.globl	_Z39paged_attention_ll4mi_QKV_mfma16_kernelI14__hip_bfloat16hLN4vllm18Fp8KVCacheDataTypeE1ES0_Li32ELi64ELi256ELb0ELi13EEvPKT_PKT0_S8_ifPKiSA_SA_iPKfiiiPfSD_PS3_PT2_iSC_SC_
	.p2align	8
	.type	_Z39paged_attention_ll4mi_QKV_mfma16_kernelI14__hip_bfloat16hLN4vllm18Fp8KVCacheDataTypeE1ES0_Li32ELi64ELi256ELb0ELi13EEvPKT_PKT0_S8_ifPKiSA_SA_iPKfiiiPfSD_PS3_PT2_iSC_SC_,@function
_Z39paged_attention_ll4mi_QKV_mfma16_kernelI14__hip_bfloat16hLN4vllm18Fp8KVCacheDataTypeE1ES0_Li32ELi64ELi256ELb0ELi13EEvPKT_PKT0_S8_ifPKiSA_SA_iPKfiiiPfSD_PS3_PT2_iSC_SC_: ; @_Z39paged_attention_ll4mi_QKV_mfma16_kernelI14__hip_bfloat16hLN4vllm18Fp8KVCacheDataTypeE1ES0_Li32ELi64ELi256ELb0ELi13EEvPKT_PKT0_S8_ifPKiSA_SA_iPKfiiiPfSD_PS3_PT2_iSC_SC_
; %bb.0:
	s_load_dwordx2 s[12:13], s[0:1], 0x30
	s_mov_b32 s28, s3
	s_mov_b64 s[6:7], 0
	s_waitcnt lgkmcnt(0)
	s_cmp_lg_u64 s[12:13], 0
	s_cselect_b64 s[14:15], -1, 0
	s_and_b64 vcc, exec, s[14:15]
	s_cbranch_vccz .LBB1240_7
; %bb.1:
	s_add_i32 s8, s2, 1
	s_mov_b32 s9, 0
	s_lshl_b64 s[10:11], s[8:9], 2
	s_add_u32 s10, s12, s10
	s_mov_b32 s3, s9
	s_addc_u32 s11, s13, s11
	s_lshl_b64 s[8:9], s[2:3], 2
	s_add_u32 s8, s12, s8
	s_addc_u32 s9, s13, s9
	s_load_dword s5, s[10:11], 0x0
	s_load_dword s16, s[8:9], 0x0
	s_waitcnt lgkmcnt(0)
	s_sub_i32 s5, s5, s16
	s_cmp_eq_u32 s5, 1
	s_cselect_b64 s[8:9], -1, 0
	s_andn2_b64 vcc, exec, s[6:7]
	s_cbranch_vccnz .LBB1240_3
.LBB1240_2:
	s_mov_b32 s3, 0
	s_mov_b64 s[8:9], -1
.LBB1240_3:
	s_andn2_b64 vcc, exec, s[8:9]
	s_cbranch_vccnz .LBB1240_18
; %bb.4:
	s_load_dwordx2 s[6:7], s[0:1], 0x28
	s_lshl_b64 s[16:17], s[2:3], 2
	s_waitcnt lgkmcnt(0)
	s_add_u32 s6, s6, s16
	s_addc_u32 s7, s7, s17
	s_load_dword s33, s[6:7], 0x0
	s_lshl_b32 s5, s28, 8
	s_waitcnt lgkmcnt(0)
	s_cmp_ge_i32 s5, s33
	s_cbranch_scc1 .LBB1240_18
; %bb.5:
	s_load_dwordx2 s[6:7], s[0:1], 0x20
	s_load_dword s8, s[0:1], 0x38
	s_add_i32 s9, s33, 31
	s_ashr_i32 s10, s9, 31
	v_and_b32_e32 v1, 0xcf, v0
	s_lshr_b32 s10, s10, 27
	v_add_u32_e32 v1, s5, v1
	s_add_i32 s9, s9, s10
	v_ashrrev_i32_e32 v2, 31, v1
	s_ashr_i32 s18, s9, 5
	v_lshrrev_b32_e32 v4, 27, v2
	s_add_i32 s18, s18, -1
	s_waitcnt lgkmcnt(0)
	s_mul_i32 s8, s2, s8
	s_mov_b32 s9, 0
	v_add_u32_e32 v2, v1, v4
	s_lshl_b64 s[8:9], s[8:9], 2
	v_ashrrev_i32_e32 v2, 5, v2
	v_mov_b32_e32 v5, s18
	v_cmp_gt_i32_e32 vcc, s33, v1
	s_add_u32 s6, s6, s8
	s_addc_u32 s7, s7, s9
	v_cndmask_b32_e32 v2, v5, v2, vcc
	v_ashrrev_i32_e32 v3, 31, v2
	v_lshl_add_u64 v[6:7], v[2:3], 2, s[6:7]
	v_or_b32_e32 v2, 16, v1
	v_add_u32_e32 v3, v2, v4
	v_ashrrev_i32_e32 v3, 5, v3
	v_cmp_gt_i32_e32 vcc, s33, v2
	s_load_dwordx4 s[8:11], s[0:1], 0x8
	s_nop 0
	v_cndmask_b32_e32 v2, v5, v3, vcc
	v_ashrrev_i32_e32 v3, 31, v2
	v_lshl_add_u64 v[8:9], v[2:3], 2, s[6:7]
	v_or_b32_e32 v2, 32, v1
	v_add_u32_e32 v3, v2, v4
	v_ashrrev_i32_e32 v3, 5, v3
	v_cmp_gt_i32_e32 vcc, s33, v2
	v_or_b32_e32 v1, 48, v1
	s_nop 0
	v_cndmask_b32_e32 v2, v5, v3, vcc
	v_ashrrev_i32_e32 v3, 31, v2
	v_lshl_add_u64 v[10:11], v[2:3], 2, s[6:7]
	v_add_u32_e32 v2, v1, v4
	v_ashrrev_i32_e32 v2, 5, v2
	v_cmp_gt_i32_e32 vcc, s33, v1
	s_nop 1
	v_cndmask_b32_e32 v2, v5, v2, vcc
	v_ashrrev_i32_e32 v3, 31, v2
	v_lshl_add_u64 v[12:13], v[2:3], 2, s[6:7]
	global_load_dword v2, v[6:7], off
	global_load_dword v5, v[8:9], off
	global_load_dword v4, v[10:11], off
	global_load_dword v20, v[12:13], off
	s_andn2_b64 vcc, exec, s[14:15]
	s_cbranch_vccnz .LBB1240_8
; %bb.6:
	s_add_u32 s12, s12, s16
	s_addc_u32 s13, s13, s17
	s_load_dword s14, s[12:13], 0x0
	s_branch .LBB1240_9
.LBB1240_7:
	s_mov_b64 s[8:9], 0
	s_branch .LBB1240_2
.LBB1240_8:
	s_mov_b32 s14, s2
.LBB1240_9:
	s_load_dwordx4 s[44:47], s[0:1], 0x48
	v_lshrrev_b32_e32 v29, 6, v0
	v_bfe_u32 v42, v0, 4, 2
	v_lshl_or_b32 v3, v29, 2, v42
	v_and_b32_e32 v28, 15, v0
	v_lshlrev_b32_e32 v1, 3, v28
	v_cmp_gt_u32_e32 vcc, 13, v3
	v_cmp_gt_u32_e64 s[30:31], 8, v28
	v_and_b32_e32 v43, 63, v0
	s_mul_i32 s48, s4, 13
	s_and_b64 s[16:17], s[30:31], vcc
	v_lshlrev_b32_e32 v26, 1, v1
	v_lshlrev_b32_e32 v1, 4, v0
	s_and_saveexec_b64 s[12:13], s[16:17]
	s_cbranch_execz .LBB1240_11
; %bb.10:
	s_load_dwordx2 s[16:17], s[0:1], 0x0
	s_waitcnt lgkmcnt(0)
	s_ashr_i32 s15, s44, 31
	s_mul_hi_u32 s19, s14, s44
	s_mul_i32 s15, s14, s15
	s_add_i32 s15, s19, s15
	s_mul_i32 s14, s14, s44
	s_lshl_b64 s[14:15], s[14:15], 1
	s_add_u32 s14, s16, s14
	v_add_lshl_u32 v6, v3, s48, 6
	s_addc_u32 s15, s17, s15
	v_ashrrev_i32_e32 v7, 31, v6
	v_lshl_add_u64 v[6:7], v[6:7], 1, s[14:15]
	v_mov_b32_e32 v27, 0
	v_lshl_add_u64 v[6:7], v[6:7], 0, v[26:27]
	global_load_dwordx4 v[6:9], v[6:7], off
	v_lshlrev_b32_e32 v11, 8, v28
	v_lshlrev_b32_e32 v3, 5, v3
	v_and_b32_e32 v10, 16, v1
	v_and_b32_e32 v11, 0xe00, v11
	v_or3_b32 v3, v11, v3, v10
	s_waitcnt vmcnt(0)
	ds_write_b128 v3, v[6:9]
.LBB1240_11:
	s_or_b64 exec, exec, s[12:13]
	s_waitcnt lgkmcnt(0)
	s_mul_i32 s4, s4, s46
	s_add_u32 s8, s8, s4
	s_addc_u32 s9, s9, 0
	v_mov_b32_e32 v31, 0
	v_mov_b64_e32 v[18:19], s[8:9]
	v_and_b32_e32 v8, 48, v0
	s_waitcnt vmcnt(3)
	v_mad_i64_i32 v[6:7], s[8:9], v2, s45, v[18:19]
	v_lshlrev_b32_e32 v2, 4, v28
	v_mov_b32_e32 v3, v31
	v_lshlrev_b32_e32 v30, 5, v8
	v_lshl_add_u64 v[6:7], v[6:7], 0, v[2:3]
	v_lshl_add_u64 v[6:7], v[6:7], 0, v[30:31]
	s_load_dword s29, s[0:1], 0x98
	s_load_dwordx4 s[40:43], s[0:1], 0x80
	s_waitcnt lgkmcnt(0)
	s_barrier
	global_load_dwordx4 v[10:13], v[6:7], off
	s_waitcnt vmcnt(3)
	v_mad_i64_i32 v[6:7], s[8:9], v5, s45, v[18:19]
	v_or_b32_e32 v32, 0x100, v2
	v_mov_b32_e32 v33, v31
	v_lshl_add_u64 v[6:7], v[6:7], 0, v[32:33]
	v_lshl_add_u64 v[6:7], v[6:7], 0, v[30:31]
	global_load_dwordx4 v[14:17], v[6:7], off
	s_ashr_i32 s8, s5, 31
	v_or_b32_e32 v5, s5, v8
	s_lshr_b32 s12, s8, 27
	v_add_u32_e32 v8, s12, v5
	v_ashrrev_i32_e32 v8, 5, v8
	v_mov_b32_e32 v21, s18
	v_cmp_gt_i32_e32 vcc, s33, v5
	v_or_b32_e32 v34, 64, v5
	v_or_b32_e32 v35, 0x80, v5
	v_cndmask_b32_e32 v8, v21, v8, vcc
	v_ashrrev_i32_e32 v9, 31, v8
	v_lshl_add_u64 v[8:9], v[8:9], 2, s[6:7]
	global_load_dword v50, v[8:9], off
	v_or_b32_e32 v36, 0xc0, v5
	s_waitcnt vmcnt(4)
	v_mad_i64_i32 v[4:5], s[8:9], v4, s45, v[18:19]
	v_lshl_add_u64 v[2:3], v[4:5], 0, v[2:3]
	v_lshl_add_u64 v[2:3], v[2:3], 0, v[30:31]
	global_load_dwordx4 v[22:25], v[2:3], off
	v_add_u32_e32 v6, -13, v28
	v_cmp_gt_u32_e32 vcc, 13, v28
	s_waitcnt vmcnt(4)
	v_mad_i64_i32 v[18:19], s[8:9], v20, s45, v[18:19]
	v_add_u32_e32 v20, s12, v34
	v_cndmask_b32_e32 v6, v6, v28, vcc
	v_add_u32_e32 v37, s12, v35
	v_ashrrev_i32_e32 v20, 5, v20
	v_cmp_gt_i32_e32 vcc, s33, v34
	v_lshlrev_b32_e32 v6, 5, v6
	v_add_u32_e32 v38, s12, v36
	v_lshl_add_u64 v[18:19], v[18:19], 0, v[32:33]
	v_ashrrev_i32_e32 v33, 5, v37
	v_cndmask_b32_e32 v32, v21, v20, vcc
	v_cmp_gt_i32_e32 vcc, s33, v35
	v_lshl_add_u32 v2, v42, 9, v6
	v_ashrrev_i32_e32 v37, 5, v38
	v_lshl_add_u64 v[18:19], v[18:19], 0, v[30:31]
	v_cndmask_b32_e32 v34, v21, v33, vcc
	v_cmp_gt_i32_e32 vcc, s33, v36
	ds_read_b128 v[6:9], v2
	ds_read_b128 v[2:5], v2 offset:16
	v_cndmask_b32_e32 v36, v21, v37, vcc
	global_load_dwordx4 v[18:21], v[18:19], off
	v_ashrrev_i32_e32 v33, 31, v32
	v_ashrrev_i32_e32 v35, 31, v34
	v_lshl_add_u64 v[40:41], v[32:33], 2, s[6:7]
	v_lshl_add_u64 v[44:45], v[34:35], 2, s[6:7]
	s_add_u32 s8, s10, s4
	v_lshlrev_b32_e32 v27, 5, v28
	s_addc_u32 s9, s11, 0
	v_and_b32_e32 v30, 16, v0
	s_mov_b32 s44, 0x7060302
	v_lshl_add_u64 v[38:39], s[8:9], 0, v[30:31]
	v_lshl_or_b32 v30, v29, 9, v27
	v_lshl_add_u64 v[30:31], v[38:39], 0, v[30:31]
	v_ashrrev_i32_e32 v37, 31, v36
	v_lshl_add_u64 v[36:37], v[36:37], 2, s[6:7]
	s_load_dword s13, s[0:1], 0x1c
	s_mov_b32 s46, 0xff7fffff
	s_waitcnt vmcnt(4)
	v_cvt_pk_f32_fp8_e32 v[32:33], v10
	v_cvt_pk_f32_fp8_sdwa v[34:35], v10 src0_sel:WORD_1
	v_cvt_pk_f32_fp8_e32 v[38:39], v11
	v_cvt_pk_f32_fp8_sdwa v[10:11], v11 src0_sel:WORD_1
	v_perm_b32 v32, v33, v32, s44
	v_perm_b32 v33, v35, v34, s44
	v_perm_b32 v38, v39, v38, s44
	v_perm_b32 v39, v11, v10, s44
	v_cvt_pk_f32_fp8_e32 v[46:47], v12
	v_cvt_pk_f32_fp8_sdwa v[48:49], v12 src0_sel:WORD_1
	s_waitcnt lgkmcnt(0)
	v_mfma_f32_16x16x16_bf16 v[32:35], v[32:33], v[6:7], 0
	global_load_dword v12, v[40:41], off
	s_nop 0
	global_load_dword v44, v[44:45], off
	s_nop 0
	global_load_dword v45, v[36:37], off
	v_perm_b32 v36, v47, v46, s44
	v_perm_b32 v37, v49, v48, s44
	v_mfma_f32_16x16x16_bf16 v[32:35], v[38:39], v[8:9], v[32:35]
	v_cvt_pk_f32_fp8_e32 v[38:39], v13
	v_cvt_pk_f32_fp8_sdwa v[40:41], v13 src0_sel:WORD_1
	s_waitcnt vmcnt(6)
	v_cvt_pk_f32_fp8_e32 v[46:47], v16
	v_mfma_f32_16x16x16_bf16 v[32:35], v[36:37], v[2:3], v[32:35]
	v_perm_b32 v38, v39, v38, s44
	v_perm_b32 v39, v41, v40, s44
	v_cvt_pk_f32_fp8_e32 v[36:37], v14
	v_cvt_pk_f32_fp8_sdwa v[40:41], v14 src0_sel:WORD_1
	v_mfma_f32_16x16x16_bf16 v[32:35], v[38:39], v[4:5], v[32:35]
	v_cvt_pk_f32_fp8_e32 v[38:39], v15
	v_perm_b32 v36, v37, v36, s44
	v_perm_b32 v37, v41, v40, s44
	v_cvt_pk_f32_fp8_sdwa v[14:15], v15 src0_sel:WORD_1
	v_perm_b32 v40, v39, v38, s44
	v_cvt_pk_f32_fp8_sdwa v[48:49], v16 src0_sel:WORD_1
	v_mfma_f32_16x16x16_bf16 v[36:39], v[36:37], v[6:7], 0
	v_perm_b32 v41, v15, v14, s44
	s_waitcnt vmcnt(5)
	v_mad_i64_i32 v[10:11], s[6:7], v50, s45, v[30:31]
	v_perm_b32 v46, v47, v46, s44
	v_perm_b32 v47, v49, v48, s44
	v_cvt_pk_f32_fp8_e32 v[48:49], v17
	v_cvt_pk_f32_fp8_sdwa v[50:51], v17 src0_sel:WORD_1
	v_mfma_f32_16x16x16_bf16 v[14:17], v[40:41], v[8:9], v[36:39]
	s_waitcnt vmcnt(4)
	v_cvt_pk_f32_fp8_sdwa v[40:41], v22 src0_sel:WORD_1
	s_load_dword s4, s[40:41], 0x0
	v_mov_b32_e32 v13, s13
	v_perm_b32 v36, v49, v48, s44
	v_perm_b32 v37, v51, v50, s44
	v_mfma_f32_16x16x16_bf16 v[14:17], v[46:47], v[2:3], v[14:17]
	v_cvt_pk_f32_fp8_e32 v[38:39], v22
	v_cvt_pk_f32_fp8_e32 v[46:47], v24
	v_cvt_pk_f32_fp8_sdwa v[48:49], v24 src0_sel:WORD_1
	v_mfma_f32_16x16x16_bf16 v[14:17], v[36:37], v[4:5], v[14:17]
	v_cvt_pk_f32_fp8_e32 v[36:37], v23
	v_perm_b32 v38, v39, v38, s44
	v_perm_b32 v39, v41, v40, s44
	v_cvt_pk_f32_fp8_sdwa v[22:23], v23 src0_sel:WORD_1
	v_perm_b32 v40, v37, v36, s44
	v_mfma_f32_16x16x16_bf16 v[36:39], v[38:39], v[6:7], 0
	v_perm_b32 v41, v23, v22, s44
	v_perm_b32 v46, v47, v46, s44
	;; [unrolled: 1-line block ×3, first 2 shown]
	v_cvt_pk_f32_fp8_e32 v[48:49], v25
	v_cvt_pk_f32_fp8_sdwa v[24:25], v25 src0_sel:WORD_1
	v_mfma_f32_16x16x16_bf16 v[36:39], v[40:41], v[8:9], v[36:39]
	s_waitcnt lgkmcnt(0)
	v_mul_f32_e32 v50, s4, v13
	v_perm_b32 v40, v49, v48, s44
	v_perm_b32 v41, v25, v24, s44
	v_pk_mul_f32 v[22:23], v[50:51], v[34:35] op_sel_hi:[0,1]
	v_mfma_f32_16x16x16_bf16 v[36:39], v[46:47], v[2:3], v[36:39]
	v_pk_mul_f32 v[34:35], v[50:51], v[32:33] op_sel_hi:[0,1]
	s_waitcnt vmcnt(3)
	v_cvt_pk_f32_fp8_e32 v[24:25], v18
	v_cvt_pk_f32_fp8_sdwa v[32:33], v18 src0_sel:WORD_1
	v_mfma_f32_16x16x16_bf16 v[46:49], v[40:41], v[4:5], v[36:39]
	v_cvt_pk_f32_fp8_e32 v[40:41], v20
	v_perm_b32 v24, v25, v24, s44
	v_perm_b32 v25, v33, v32, s44
	v_cvt_pk_f32_fp8_e32 v[36:37], v19
	v_cvt_pk_f32_fp8_sdwa v[18:19], v19 src0_sel:WORD_1
	v_cvt_pk_f32_fp8_sdwa v[52:53], v20 src0_sel:WORD_1
	v_perm_b32 v32, v37, v36, s44
	v_perm_b32 v33, v19, v18, s44
	v_mfma_f32_16x16x16_bf16 v[36:39], v[24:25], v[6:7], 0
	v_perm_b32 v18, v41, v40, s44
	v_perm_b32 v19, v53, v52, s44
	v_cvt_pk_f32_fp8_e32 v[24:25], v21
	v_cvt_pk_f32_fp8_sdwa v[20:21], v21 src0_sel:WORD_1
	v_mfma_f32_16x16x16_bf16 v[6:9], v[32:33], v[8:9], v[36:39]
	v_pk_mul_f32 v[40:41], v[50:51], v[14:15] op_sel_hi:[0,1]
	v_pk_mul_f32 v[32:33], v[50:51], v[48:49] op_sel_hi:[0,1]
	s_nop 0
	v_pk_mul_f32 v[36:37], v[50:51], v[16:17] op_sel_hi:[0,1]
	v_perm_b32 v16, v25, v24, s44
	v_perm_b32 v17, v21, v20, s44
	v_mfma_f32_16x16x16_bf16 v[6:9], v[18:19], v[2:3], v[6:9]
	v_pk_mul_f32 v[38:39], v[50:51], v[46:47] op_sel_hi:[0,1]
	v_mfma_f32_16x16x16_bf16 v[2:5], v[16:17], v[4:5], v[6:9]
	s_nop 6
	v_pk_mul_f32 v[24:25], v[50:51], v[2:3] op_sel_hi:[0,1]
	v_and_b32_e32 v2, 0xc0, v0
	v_add_u32_e32 v2, s5, v2
	v_lshl_or_b32 v2, v42, 2, v2
	v_pk_mul_f32 v[18:19], v[50:51], v[4:5] op_sel_hi:[0,1]
	v_or_b32_e32 v5, 1, v2
	v_mov_b32_e32 v3, 0xff7fffff
	v_cmp_gt_i32_e64 s[4:5], s33, v2
	v_cmp_gt_i32_e64 s[34:35], s33, v5
	v_or_b32_e32 v6, 3, v2
	v_cndmask_b32_e64 v4, v3, v34, s[4:5]
	v_cndmask_b32_e64 v5, v3, v35, s[34:35]
	v_max3_f32 v4, v4, s46, v5
	v_or_b32_e32 v5, 2, v2
	v_cmp_gt_i32_e64 s[36:37], s33, v5
	v_cmp_gt_i32_e64 s[38:39], s33, v6
	s_nop 0
	v_cndmask_b32_e64 v5, v3, v22, s[36:37]
	v_cndmask_b32_e64 v6, v3, v23, s[38:39]
	v_max3_f32 v4, v4, v5, v6
	v_or_b32_e32 v5, 16, v2
	v_or_b32_e32 v6, 17, v2
	v_cmp_gt_i32_e64 s[24:25], s33, v5
	v_cmp_gt_i32_e64 s[26:27], s33, v6
	s_nop 0
	v_cndmask_b32_e64 v5, v3, v40, s[24:25]
	v_cndmask_b32_e64 v6, v3, v41, s[26:27]
	v_max3_f32 v4, v4, v5, v6
	v_or_b32_e32 v5, 18, v2
	;; [unrolled: 8-line block ×6, first 2 shown]
	v_or_b32_e32 v2, 51, v2
	v_cmp_gt_i32_e32 vcc, s33, v5
	v_cmp_gt_i32_e64 s[6:7], s33, v2
	s_nop 0
	v_cndmask_b32_e32 v5, v3, v18, vcc
	v_cndmask_b32_e64 v2, v3, v19, s[6:7]
	v_max3_f32 v4, v4, v5, v2
	v_mbcnt_lo_u32_b32 v2, -1, 0
	v_mbcnt_hi_u32_b32 v5, -1, v2
	v_and_b32_e32 v2, 64, v5
	v_add_u32_e32 v6, 64, v2
	v_xor_b32_e32 v2, 32, v5
	v_cmp_lt_i32_e64 s[40:41], v2, v6
	s_nop 1
	v_cndmask_b32_e64 v2, v5, v2, s[40:41]
	v_lshlrev_b32_e32 v46, 2, v2
	ds_bpermute_b32 v7, v46, v4
	s_waitcnt vmcnt(2)
	v_mad_i64_i32 v[2:3], s[40:41], v12, s45, v[30:31]
	global_load_dwordx4 v[14:17], v[10:11], off
	s_nop 0
	global_load_dwordx4 v[10:13], v[2:3], off
	v_xor_b32_e32 v3, 16, v5
	v_cmp_lt_i32_e64 s[40:41], v3, v6
	s_waitcnt lgkmcnt(0)
	v_max_f32_e32 v2, v7, v7
	v_max_f32_e32 v2, v4, v2
	v_cndmask_b32_e64 v3, v5, v3, s[40:41]
	v_lshlrev_b32_e32 v47, 2, v3
	ds_bpermute_b32 v3, v47, v2
	s_waitcnt vmcnt(3)
	v_mad_i64_i32 v[20:21], s[40:41], v44, s45, v[30:31]
	s_waitcnt vmcnt(2)
	v_mad_i64_i32 v[30:31], s[40:41], v45, s45, v[30:31]
	s_waitcnt lgkmcnt(0)
	v_max_f32_e32 v3, v3, v3
	v_max_f32_e32 v44, v2, v3
	v_sub_f32_e32 v2, v34, v44
	v_mul_f32_e32 v2, 0x3fb8aa3b, v2
	v_exp_f32_e32 v34, v2
	v_sub_f32_e32 v2, v35, v44
	v_mul_f32_e32 v2, 0x3fb8aa3b, v2
	v_exp_f32_e32 v35, v2
	global_load_dwordx4 v[6:9], v[20:21], off
	global_load_dwordx4 v[2:5], v[30:31], off
	v_sub_f32_e32 v22, v22, v44
	v_mul_f32_e32 v22, 0x3fb8aa3b, v22
	v_sub_f32_e32 v23, v23, v44
	v_exp_f32_e32 v22, v22
	v_mul_f32_e32 v23, 0x3fb8aa3b, v23
	v_exp_f32_e32 v23, v23
	v_cndmask_b32_e64 v20, 0, v34, s[4:5]
	v_add_f32_e32 v30, 0, v20
	v_cndmask_b32_e64 v21, 0, v35, s[34:35]
	v_add_f32_e32 v30, v30, v21
	;; [unrolled: 2-line block ×3, first 2 shown]
	v_cndmask_b32_e64 v35, 0, v23, s[38:39]
	v_sub_f32_e32 v23, v40, v44
	v_sub_f32_e32 v30, v41, v44
	v_mul_f32_e32 v23, 0x3fb8aa3b, v23
	v_mul_f32_e32 v30, 0x3fb8aa3b, v30
	v_exp_f32_e32 v23, v23
	v_exp_f32_e32 v30, v30
	v_add_f32_e32 v31, v22, v35
	v_sub_f32_e32 v32, v32, v44
	v_cndmask_b32_e64 v22, 0, v23, s[24:25]
	v_cndmask_b32_e64 v23, 0, v30, s[26:27]
	v_sub_f32_e32 v30, v36, v44
	v_mul_f32_e32 v30, 0x3fb8aa3b, v30
	v_exp_f32_e32 v30, v30
	v_sub_f32_e32 v36, v37, v44
	v_add_f32_e32 v31, v31, v22
	v_mul_f32_e32 v36, 0x3fb8aa3b, v36
	v_exp_f32_e32 v37, v36
	v_add_f32_e32 v31, v31, v23
	v_cndmask_b32_e64 v36, 0, v30, s[20:21]
	v_add_f32_e32 v30, v31, v36
	v_sub_f32_e32 v31, v38, v44
	v_mul_f32_e32 v31, 0x3fb8aa3b, v31
	v_sub_f32_e32 v38, v39, v44
	v_exp_f32_e32 v31, v31
	v_mul_f32_e32 v38, 0x3fb8aa3b, v38
	v_exp_f32_e32 v38, v38
	v_mul_f32_e32 v32, 0x3fb8aa3b, v32
	v_sub_f32_e32 v33, v33, v44
	v_exp_f32_e32 v32, v32
	v_mul_f32_e32 v33, 0x3fb8aa3b, v33
	v_sub_f32_e32 v24, v24, v44
	v_cndmask_b32_e64 v37, 0, v37, s[22:23]
	v_exp_f32_e32 v33, v33
	v_mul_f32_e32 v24, 0x3fb8aa3b, v24
	v_sub_f32_e32 v25, v25, v44
	v_add_f32_e32 v39, v30, v37
	v_cndmask_b32_e64 v30, 0, v31, s[16:17]
	v_exp_f32_e32 v24, v24
	v_mul_f32_e32 v25, 0x3fb8aa3b, v25
	v_sub_f32_e32 v18, v18, v44
	v_add_f32_e32 v39, v39, v30
	v_cndmask_b32_e64 v31, 0, v38, s[18:19]
	v_exp_f32_e32 v25, v25
	v_mul_f32_e32 v18, 0x3fb8aa3b, v18
	v_sub_f32_e32 v19, v19, v44
	v_add_f32_e32 v38, v39, v31
	v_cndmask_b32_e64 v32, 0, v32, s[12:13]
	v_exp_f32_e32 v18, v18
	v_mul_f32_e32 v19, 0x3fb8aa3b, v19
	v_add_f32_e32 v38, v38, v32
	v_cndmask_b32_e64 v33, 0, v33, s[14:15]
	v_exp_f32_e32 v19, v19
	v_add_f32_e32 v38, v38, v33
	v_cndmask_b32_e64 v24, 0, v24, s[8:9]
	v_add_f32_e32 v38, v38, v24
	v_cndmask_b32_e64 v25, 0, v25, s[10:11]
	v_add_f32_e32 v38, v38, v25
	v_cndmask_b32_e32 v18, 0, v18, vcc
	v_add_f32_e32 v38, v38, v18
	v_cndmask_b32_e64 v19, 0, v19, s[6:7]
	v_add_f32_e32 v38, v38, v19
	ds_bpermute_b32 v39, v46, v38
	v_cmp_gt_u32_e64 s[6:7], 16, v43
	s_waitcnt lgkmcnt(0)
	s_barrier
	v_add_f32_e32 v38, v38, v39
	ds_bpermute_b32 v40, v47, v38
	v_lshlrev_b32_e32 v39, 2, v28
	s_and_saveexec_b64 s[4:5], s[6:7]
	s_cbranch_execz .LBB1240_13
; %bb.12:
	s_waitcnt lgkmcnt(0)
	v_add_f32_e32 v38, v38, v40
	v_lshl_or_b32 v40, v29, 6, v39
	ds_write2st64_b32 v40, v44, v38 offset1:1
.LBB1240_13:
	s_or_b64 exec, exec, s[4:5]
	s_load_dword s8, s[0:1], 0x94
	s_waitcnt lgkmcnt(0)
	s_barrier
	ds_read2_b32 v[40:41], v39 offset1:16
	ds_read2_b32 v[44:45], v39 offset0:32 offset1:48
	ds_read2_b32 v[46:47], v39 offset0:64 offset1:80
	s_movk_i32 s10, 0x7fff
	s_mul_i32 s9, s29, 13
	s_waitcnt lgkmcnt(2)
	v_max3_f32 v38, v40, s46, v41
	s_waitcnt lgkmcnt(1)
	v_max3_f32 v38, v38, v44, v45
	v_sub_f32_e32 v40, v40, v38
	v_mul_f32_e32 v40, 0x3fb8aa3b, v40
	v_exp_f32_e32 v43, v40
	v_sub_f32_e32 v40, v41, v38
	v_mul_f32_e32 v40, 0x3fb8aa3b, v40
	v_exp_f32_e32 v48, v40
	;; [unrolled: 3-line block ×3, first 2 shown]
	ds_read2_b32 v[40:41], v39 offset0:96 offset1:112
	v_sub_f32_e32 v39, v45, v38
	v_mul_f32_e32 v39, 0x3fb8aa3b, v39
	v_exp_f32_e32 v45, v39
	s_waitcnt lgkmcnt(1)
	v_fma_f32 v39, v43, v46, 0
	v_fmac_f32_e32 v39, v48, v47
	s_waitcnt lgkmcnt(0)
	v_fmac_f32_e32 v39, v44, v40
	v_fmac_f32_e32 v39, v45, v41
	v_add_f32_e32 v40, 0x358637bd, v39
	v_div_scale_f32 v41, s[4:5], v40, v40, 1.0
	v_rcp_f32_e32 v46, v41
	s_barrier
	v_fma_f32 v47, -v41, v46, 1.0
	v_fmac_f32_e32 v46, v47, v46
	v_div_scale_f32 v47, vcc, 1.0, v40, 1.0
	v_mul_f32_e32 v49, v47, v46
	v_fma_f32 v50, -v41, v49, v47
	v_fmac_f32_e32 v49, v50, v46
	v_fma_f32 v41, -v41, v49, v47
	v_div_fmas_f32 v41, v41, v46, v49
	v_cmp_eq_u32_e32 vcc, 1, v29
	v_div_fixup_f32 v40, v41, v40, 1.0
	s_nop 0
	v_cndmask_b32_e32 v41, v43, v48, vcc
	v_cmp_eq_u32_e32 vcc, 2, v29
	s_nop 1
	v_cndmask_b32_e32 v41, v41, v44, vcc
	v_cmp_eq_u32_e32 vcc, 3, v29
	s_nop 1
	v_cndmask_b32_e32 v41, v41, v45, vcc
	v_mul_f32_e32 v40, v41, v40
	v_pk_mul_f32 v[20:21], v[40:41], v[20:21] op_sel_hi:[0,1]
	v_pk_mul_f32 v[34:35], v[40:41], v[34:35] op_sel_hi:[0,1]
	v_bfe_u32 v41, v21, 16, 1
	v_bfe_u32 v43, v20, 16, 1
	v_add3_u32 v20, v20, v43, s10
	v_add3_u32 v21, v21, v41, s10
	v_perm_b32 v44, v21, v20, s44
	v_bfe_u32 v20, v35, 16, 1
	v_bfe_u32 v21, v34, 16, 1
	v_add3_u32 v21, v34, v21, s10
	v_add3_u32 v20, v35, v20, s10
	v_perm_b32 v45, v20, v21, s44
	v_lshlrev_b32_e32 v20, 3, v42
	v_lshlrev_b32_e32 v21, 11, v29
	v_pk_mul_f32 v[22:23], v[40:41], v[22:23] op_sel_hi:[0,1]
	v_or3_b32 v20, v21, v27, v20
	v_bfe_u32 v21, v23, 16, 1
	v_bfe_u32 v29, v22, 16, 1
	v_pk_mul_f32 v[34:35], v[40:41], v[36:37] op_sel_hi:[0,1]
	v_add3_u32 v22, v22, v29, s10
	v_add3_u32 v21, v23, v21, s10
	v_perm_b32 v22, v21, v22, s44
	v_bfe_u32 v21, v35, 16, 1
	v_bfe_u32 v23, v34, 16, 1
	v_add3_u32 v23, v34, v23, s10
	v_add3_u32 v21, v35, v21, s10
	v_pk_mul_f32 v[30:31], v[40:41], v[30:31] op_sel_hi:[0,1]
	v_perm_b32 v23, v21, v23, s44
	v_bfe_u32 v21, v31, 16, 1
	v_bfe_u32 v29, v30, 16, 1
	ds_write2st64_b64 v20, v[44:45], v[22:23] offset1:1
	v_pk_mul_f32 v[22:23], v[40:41], v[32:33] op_sel_hi:[0,1]
	v_add3_u32 v29, v30, v29, s10
	v_add3_u32 v21, v31, v21, s10
	v_perm_b32 v30, v21, v29, s44
	v_bfe_u32 v21, v23, 16, 1
	v_bfe_u32 v29, v22, 16, 1
	v_add3_u32 v22, v22, v29, s10
	v_add3_u32 v21, v23, v21, s10
	v_perm_b32 v31, v21, v22, s44
	v_pk_mul_f32 v[22:23], v[40:41], v[24:25] op_sel_hi:[0,1]
	v_bfe_u32 v21, v23, 16, 1
	v_bfe_u32 v24, v22, 16, 1
	v_pk_mul_f32 v[18:19], v[40:41], v[18:19] op_sel_hi:[0,1]
	v_add3_u32 v22, v22, v24, s10
	v_add3_u32 v21, v23, v21, s10
	v_perm_b32 v22, v21, v22, s44
	v_bfe_u32 v21, v19, 16, 1
	v_bfe_u32 v23, v18, 16, 1
	v_add3_u32 v18, v18, v23, s10
	v_add3_u32 v19, v19, v21, s10
	v_perm_b32 v23, v19, v18, s44
	v_cmp_gt_u32_e32 vcc, 13, v0
	ds_write2st64_b64 v20, v[30:31], v[22:23] offset0:2 offset1:3
	s_and_saveexec_b64 s[4:5], vcc
	s_cbranch_execz .LBB1240_15
; %bb.14:
	s_mov_b32 s49, 0
	v_mov_b32_e32 v29, 0
	v_lshl_add_u64 v[18:19], s[48:49], 0, v[28:29]
	v_mov_b32_e32 v21, s9
	v_mad_u64_u32 v[18:19], s[16:17], s2, v21, v[18:19]
	s_mul_i32 s3, s3, s9
	v_mov_b32_e32 v28, s28
	s_load_dwordx4 s[12:15], s[0:1], 0x58
	v_add_u32_e32 v21, s3, v19
	v_mad_u64_u32 v[18:19], s[16:17], v18, s8, v[28:29]
	v_mov_b32_e32 v22, v19
	v_mad_u64_u32 v[22:23], s[16:17], v21, s8, v[22:23]
	v_mov_b32_e32 v19, v22
	v_lshlrev_b64 v[18:19], 2, v[18:19]
	s_waitcnt lgkmcnt(0)
	v_lshl_add_u64 v[22:23], s[14:15], 0, v[18:19]
	v_lshl_add_u64 v[18:19], s[12:13], 0, v[18:19]
	global_store_dword v[22:23], v38, off
	global_store_dword v[18:19], v39, off
.LBB1240_15:
	s_or_b64 exec, exec, s[4:5]
	s_waitcnt vmcnt(3)
	v_cvt_pk_f32_fp8_e32 v[18:19], v14
	v_cvt_pk_f32_fp8_sdwa v[22:23], v14 src0_sel:WORD_1
	s_mov_b32 s4, 0x7060302
	v_lshl_or_b32 v14, v42, 9, v27
	s_waitcnt lgkmcnt(0)
	s_barrier
	v_perm_b32 v18, v19, v18, s4
	v_perm_b32 v19, v23, v22, s4
	v_cvt_pk_f32_fp8_e32 v[28:29], v15
	ds_read_b128 v[22:25], v14
	v_cvt_pk_f32_fp8_sdwa v[36:37], v15 src0_sel:WORD_1
	s_load_dword s12, s[42:43], 0x0
	v_perm_b32 v38, v29, v28, s4
	ds_read_b128 v[28:31], v14 offset:16
	v_perm_b32 v39, v37, v36, s4
	s_waitcnt lgkmcnt(0)
	v_mfma_f32_16x16x16_bf16 v[32:35], v[18:19], v[22:23], 0
	v_cvt_pk_f32_fp8_e32 v[18:19], v16
	v_cvt_pk_f32_fp8_sdwa v[36:37], v16 src0_sel:WORD_1
	v_cmp_gt_u32_e32 vcc, 64, v0
	v_mfma_f32_16x16x16_bf16 v[22:25], v[38:39], v[24:25], v[32:35]
	v_perm_b32 v18, v19, v18, s4
	v_perm_b32 v19, v37, v36, s4
	s_waitcnt vmcnt(2)
	v_cvt_pk_f32_fp8_sdwa v[36:37], v10 src0_sel:WORD_1
	v_cvt_pk_f32_fp8_e32 v[32:33], v17
	v_cvt_pk_f32_fp8_sdwa v[16:17], v17 src0_sel:WORD_1
	v_cvt_pk_f32_fp8_e32 v[34:35], v10
	s_mov_b32 s3, 0
	v_perm_b32 v32, v33, v32, s4
	v_perm_b32 v33, v17, v16, s4
	v_mfma_f32_16x16x16_bf16 v[16:19], v[18:19], v[28:29], v[22:25]
	v_perm_b32 v34, v35, v34, s4
	v_perm_b32 v35, v37, v36, s4
	v_cvt_pk_f32_fp8_e32 v[28:29], v11
	ds_read_b128 v[22:25], v14 offset:2048
	v_cvt_pk_f32_fp8_sdwa v[10:11], v11 src0_sel:WORD_1
	v_mfma_f32_16x16x16_bf16 v[16:19], v[32:33], v[30:31], v[16:19]
	v_perm_b32 v32, v29, v28, s4
	ds_read_b128 v[28:31], v14 offset:2064
	v_perm_b32 v33, v11, v10, s4
	s_waitcnt lgkmcnt(1)
	v_mfma_f32_16x16x16_bf16 v[16:19], v[34:35], v[22:23], v[16:19]
	v_cvt_pk_f32_fp8_e32 v[10:11], v12
	v_cvt_pk_f32_fp8_sdwa v[22:23], v12 src0_sel:WORD_1
	v_mov_b32_e32 v27, 0
	v_mfma_f32_16x16x16_bf16 v[16:19], v[32:33], v[24:25], v[16:19]
	v_cvt_pk_f32_fp8_e32 v[24:25], v13
	v_perm_b32 v10, v11, v10, s4
	v_perm_b32 v11, v23, v22, s4
	v_cvt_pk_f32_fp8_sdwa v[12:13], v13 src0_sel:WORD_1
	v_perm_b32 v22, v25, v24, s4
	s_waitcnt vmcnt(1)
	v_cvt_pk_f32_fp8_e32 v[24:25], v6
	v_cvt_pk_f32_fp8_sdwa v[32:33], v6 src0_sel:WORD_1
	v_perm_b32 v23, v13, v12, s4
	s_waitcnt lgkmcnt(0)
	v_mfma_f32_16x16x16_bf16 v[10:13], v[10:11], v[28:29], v[16:19]
	v_perm_b32 v28, v25, v24, s4
	v_perm_b32 v29, v33, v32, s4
	v_cvt_pk_f32_fp8_e32 v[24:25], v7
	ds_read_b128 v[16:19], v14 offset:4096
	v_cvt_pk_f32_fp8_sdwa v[6:7], v7 src0_sel:WORD_1
	v_mfma_f32_16x16x16_bf16 v[10:13], v[22:23], v[30:31], v[10:13]
	v_perm_b32 v30, v25, v24, s4
	ds_read_b128 v[22:25], v14 offset:4112
	v_perm_b32 v31, v7, v6, s4
	s_waitcnt lgkmcnt(1)
	v_mfma_f32_16x16x16_bf16 v[10:13], v[28:29], v[16:17], v[10:13]
	v_cvt_pk_f32_fp8_e32 v[6:7], v8
	v_cvt_pk_f32_fp8_sdwa v[16:17], v8 src0_sel:WORD_1
	s_waitcnt vmcnt(0)
	v_cvt_pk_f32_fp8_sdwa v[28:29], v2 src0_sel:WORD_1
	v_mfma_f32_16x16x16_bf16 v[10:13], v[30:31], v[18:19], v[10:13]
	v_cvt_pk_f32_fp8_e32 v[18:19], v9
	v_perm_b32 v6, v7, v6, s4
	v_perm_b32 v7, v17, v16, s4
	v_cvt_pk_f32_fp8_sdwa v[8:9], v9 src0_sel:WORD_1
	v_perm_b32 v16, v19, v18, s4
	v_cvt_pk_f32_fp8_e32 v[18:19], v2
	v_perm_b32 v17, v9, v8, s4
	s_waitcnt lgkmcnt(0)
	v_mfma_f32_16x16x16_bf16 v[6:9], v[6:7], v[22:23], v[10:13]
	v_perm_b32 v18, v19, v18, s4
	v_perm_b32 v19, v29, v28, s4
	v_cvt_pk_f32_fp8_e32 v[22:23], v3
	ds_read_b128 v[10:13], v14 offset:6144
	v_cvt_pk_f32_fp8_sdwa v[2:3], v3 src0_sel:WORD_1
	v_mfma_f32_16x16x16_bf16 v[6:9], v[16:17], v[24:25], v[6:9]
	v_perm_b32 v22, v23, v22, s4
	ds_read_b128 v[14:17], v14 offset:6160
	v_perm_b32 v23, v3, v2, s4
	s_waitcnt lgkmcnt(1)
	v_mfma_f32_16x16x16_bf16 v[6:9], v[18:19], v[10:11], v[6:9]
	v_cvt_pk_f32_fp8_e32 v[2:3], v4
	v_cvt_pk_f32_fp8_sdwa v[10:11], v4 src0_sel:WORD_1
	s_waitcnt lgkmcnt(0)
	v_mfma_f32_16x16x16_bf16 v[6:9], v[22:23], v[12:13], v[6:9]
	v_perm_b32 v2, v3, v2, s4
	v_perm_b32 v3, v11, v10, s4
	v_cvt_pk_f32_fp8_e32 v[10:11], v5
	v_cvt_pk_f32_fp8_sdwa v[4:5], v5 src0_sel:WORD_1
	s_barrier
	v_perm_b32 v10, v11, v10, s4
	v_perm_b32 v11, v5, v4, s4
	v_mfma_f32_16x16x16_bf16 v[2:5], v[2:3], v[14:15], v[6:9]
	s_nop 0
	v_mfma_f32_16x16x16_bf16 v[2:5], v[10:11], v[16:17], v[2:5]
	s_nop 6
	v_pk_mul_f32 v[2:3], v[2:3], s[12:13] op_sel_hi:[1,0]
	v_pk_mul_f32 v[4:5], v[4:5], s[12:13] op_sel_hi:[1,0]
	v_bfe_u32 v6, v3, 16, 1
	v_bfe_u32 v7, v2, 16, 1
	v_add3_u32 v2, v2, v7, s10
	v_add3_u32 v3, v3, v6, s10
	v_perm_b32 v2, v3, v2, s4
	v_bfe_u32 v3, v5, 16, 1
	v_bfe_u32 v6, v4, 16, 1
	v_add3_u32 v4, v4, v6, s10
	v_add3_u32 v3, v5, v3, s10
	v_perm_b32 v3, v3, v4, s4
	s_and_b64 s[4:5], vcc, s[30:31]
	ds_write_b64 v20, v[2:3]
	s_waitcnt lgkmcnt(0)
	s_barrier
	s_and_saveexec_b64 s[10:11], s[4:5]
	s_cbranch_execz .LBB1240_18
; %bb.16:
	s_load_dwordx2 s[4:5], s[0:1], 0x68
	s_lshl_b32 s0, s8, 6
	s_mul_i32 s1, s9, s2
	s_mul_hi_u32 s9, s1, s0
	s_mul_i32 s8, s1, s0
	v_lshlrev_b32_e32 v0, 10, v0
	s_lshl_b64 s[8:9], s[8:9], 1
	v_and_b32_e32 v0, 0x1800, v0
	v_lshlrev_b32_e32 v2, 5, v42
	v_and_b32_e32 v1, 16, v1
	s_waitcnt lgkmcnt(0)
	s_add_u32 s1, s4, s8
	v_or3_b32 v2, v0, v2, v1
	s_addc_u32 s4, s5, s9
	s_lshl_b32 s2, s28, 6
	ds_read_b128 v[4:7], v2 offset:256
	s_lshl_b64 s[2:3], s[2:3], 1
	ds_read_b128 v[8:11], v2 offset:128
	ds_read_b128 v[12:15], v2
	s_add_u32 s2, s1, s2
	s_addc_u32 s3, s4, s3
	v_add_u32_e32 v3, s48, v42
	v_lshl_add_u64 v[0:1], s[2:3], 0, v[26:27]
	v_mad_u64_u32 v[16:17], s[2:3], v3, s0, 0
	v_lshl_add_u64 v[16:17], v[16:17], 1, v[0:1]
	s_waitcnt lgkmcnt(0)
	global_store_dwordx4 v[16:17], v[12:15], off
	s_nop 1
	v_add_u32_e32 v12, 4, v3
	v_mad_u64_u32 v[12:13], s[2:3], v12, s0, 0
	v_lshl_add_u64 v[12:13], v[12:13], 1, v[0:1]
	v_add_u32_e32 v3, 8, v3
	global_store_dwordx4 v[12:13], v[8:11], off
	s_nop 1
	v_mad_u64_u32 v[8:9], s[2:3], v3, s0, 0
	v_lshl_add_u64 v[8:9], v[8:9], 1, v[0:1]
	global_store_dwordx4 v[8:9], v[4:7], off
	s_and_b64 exec, exec, s[6:7]
	s_cbranch_execz .LBB1240_18
; %bb.17:
	ds_read_b128 v[2:5], v2 offset:384
	v_add3_u32 v6, s48, v42, 12
	v_mad_u64_u32 v[6:7], s[0:1], v6, s0, 0
	v_lshl_add_u64 v[0:1], v[6:7], 1, v[0:1]
	s_waitcnt lgkmcnt(0)
	global_store_dwordx4 v[0:1], v[2:5], off
.LBB1240_18:
	s_endpgm
	.section	.rodata,"a",@progbits
	.p2align	6, 0x0
	.amdhsa_kernel _Z39paged_attention_ll4mi_QKV_mfma16_kernelI14__hip_bfloat16hLN4vllm18Fp8KVCacheDataTypeE1ES0_Li32ELi64ELi256ELb0ELi13EEvPKT_PKT0_S8_ifPKiSA_SA_iPKfiiiPfSD_PS3_PT2_iSC_SC_
		.amdhsa_group_segment_fixed_size 8192
		.amdhsa_private_segment_fixed_size 0
		.amdhsa_kernarg_size 400
		.amdhsa_user_sgpr_count 2
		.amdhsa_user_sgpr_dispatch_ptr 0
		.amdhsa_user_sgpr_queue_ptr 0
		.amdhsa_user_sgpr_kernarg_segment_ptr 1
		.amdhsa_user_sgpr_dispatch_id 0
		.amdhsa_user_sgpr_kernarg_preload_length 0
		.amdhsa_user_sgpr_kernarg_preload_offset 0
		.amdhsa_user_sgpr_private_segment_size 0
		.amdhsa_uses_dynamic_stack 0
		.amdhsa_enable_private_segment 0
		.amdhsa_system_sgpr_workgroup_id_x 1
		.amdhsa_system_sgpr_workgroup_id_y 1
		.amdhsa_system_sgpr_workgroup_id_z 1
		.amdhsa_system_sgpr_workgroup_info 0
		.amdhsa_system_vgpr_workitem_id 0
		.amdhsa_next_free_vgpr 54
		.amdhsa_next_free_sgpr 50
		.amdhsa_accum_offset 56
		.amdhsa_reserve_vcc 1
		.amdhsa_float_round_mode_32 0
		.amdhsa_float_round_mode_16_64 0
		.amdhsa_float_denorm_mode_32 3
		.amdhsa_float_denorm_mode_16_64 3
		.amdhsa_dx10_clamp 1
		.amdhsa_ieee_mode 1
		.amdhsa_fp16_overflow 0
		.amdhsa_tg_split 0
		.amdhsa_exception_fp_ieee_invalid_op 0
		.amdhsa_exception_fp_denorm_src 0
		.amdhsa_exception_fp_ieee_div_zero 0
		.amdhsa_exception_fp_ieee_overflow 0
		.amdhsa_exception_fp_ieee_underflow 0
		.amdhsa_exception_fp_ieee_inexact 0
		.amdhsa_exception_int_div_zero 0
	.end_amdhsa_kernel
	.section	.text._Z39paged_attention_ll4mi_QKV_mfma16_kernelI14__hip_bfloat16hLN4vllm18Fp8KVCacheDataTypeE1ES0_Li32ELi64ELi256ELb0ELi13EEvPKT_PKT0_S8_ifPKiSA_SA_iPKfiiiPfSD_PS3_PT2_iSC_SC_,"axG",@progbits,_Z39paged_attention_ll4mi_QKV_mfma16_kernelI14__hip_bfloat16hLN4vllm18Fp8KVCacheDataTypeE1ES0_Li32ELi64ELi256ELb0ELi13EEvPKT_PKT0_S8_ifPKiSA_SA_iPKfiiiPfSD_PS3_PT2_iSC_SC_,comdat
.Lfunc_end1240:
	.size	_Z39paged_attention_ll4mi_QKV_mfma16_kernelI14__hip_bfloat16hLN4vllm18Fp8KVCacheDataTypeE1ES0_Li32ELi64ELi256ELb0ELi13EEvPKT_PKT0_S8_ifPKiSA_SA_iPKfiiiPfSD_PS3_PT2_iSC_SC_, .Lfunc_end1240-_Z39paged_attention_ll4mi_QKV_mfma16_kernelI14__hip_bfloat16hLN4vllm18Fp8KVCacheDataTypeE1ES0_Li32ELi64ELi256ELb0ELi13EEvPKT_PKT0_S8_ifPKiSA_SA_iPKfiiiPfSD_PS3_PT2_iSC_SC_
                                        ; -- End function
	.section	.AMDGPU.csdata,"",@progbits
; Kernel info:
; codeLenInByte = 5008
; NumSgprs: 56
; NumVgprs: 54
; NumAgprs: 0
; TotalNumVgprs: 54
; ScratchSize: 0
; MemoryBound: 0
; FloatMode: 240
; IeeeMode: 1
; LDSByteSize: 8192 bytes/workgroup (compile time only)
; SGPRBlocks: 6
; VGPRBlocks: 6
; NumSGPRsForWavesPerEU: 56
; NumVGPRsForWavesPerEU: 54
; AccumOffset: 56
; Occupancy: 8
; WaveLimiterHint : 1
; COMPUTE_PGM_RSRC2:SCRATCH_EN: 0
; COMPUTE_PGM_RSRC2:USER_SGPR: 2
; COMPUTE_PGM_RSRC2:TRAP_HANDLER: 0
; COMPUTE_PGM_RSRC2:TGID_X_EN: 1
; COMPUTE_PGM_RSRC2:TGID_Y_EN: 1
; COMPUTE_PGM_RSRC2:TGID_Z_EN: 1
; COMPUTE_PGM_RSRC2:TIDIG_COMP_CNT: 0
; COMPUTE_PGM_RSRC3_GFX90A:ACCUM_OFFSET: 13
; COMPUTE_PGM_RSRC3_GFX90A:TG_SPLIT: 0
	.section	.text._Z39paged_attention_ll4mi_QKV_mfma16_kernelI14__hip_bfloat16hLN4vllm18Fp8KVCacheDataTypeE1ES0_Li32ELi64ELi256ELb0ELi14EEvPKT_PKT0_S8_ifPKiSA_SA_iPKfiiiPfSD_PS3_PT2_iSC_SC_,"axG",@progbits,_Z39paged_attention_ll4mi_QKV_mfma16_kernelI14__hip_bfloat16hLN4vllm18Fp8KVCacheDataTypeE1ES0_Li32ELi64ELi256ELb0ELi14EEvPKT_PKT0_S8_ifPKiSA_SA_iPKfiiiPfSD_PS3_PT2_iSC_SC_,comdat
	.protected	_Z39paged_attention_ll4mi_QKV_mfma16_kernelI14__hip_bfloat16hLN4vllm18Fp8KVCacheDataTypeE1ES0_Li32ELi64ELi256ELb0ELi14EEvPKT_PKT0_S8_ifPKiSA_SA_iPKfiiiPfSD_PS3_PT2_iSC_SC_ ; -- Begin function _Z39paged_attention_ll4mi_QKV_mfma16_kernelI14__hip_bfloat16hLN4vllm18Fp8KVCacheDataTypeE1ES0_Li32ELi64ELi256ELb0ELi14EEvPKT_PKT0_S8_ifPKiSA_SA_iPKfiiiPfSD_PS3_PT2_iSC_SC_
	.globl	_Z39paged_attention_ll4mi_QKV_mfma16_kernelI14__hip_bfloat16hLN4vllm18Fp8KVCacheDataTypeE1ES0_Li32ELi64ELi256ELb0ELi14EEvPKT_PKT0_S8_ifPKiSA_SA_iPKfiiiPfSD_PS3_PT2_iSC_SC_
	.p2align	8
	.type	_Z39paged_attention_ll4mi_QKV_mfma16_kernelI14__hip_bfloat16hLN4vllm18Fp8KVCacheDataTypeE1ES0_Li32ELi64ELi256ELb0ELi14EEvPKT_PKT0_S8_ifPKiSA_SA_iPKfiiiPfSD_PS3_PT2_iSC_SC_,@function
_Z39paged_attention_ll4mi_QKV_mfma16_kernelI14__hip_bfloat16hLN4vllm18Fp8KVCacheDataTypeE1ES0_Li32ELi64ELi256ELb0ELi14EEvPKT_PKT0_S8_ifPKiSA_SA_iPKfiiiPfSD_PS3_PT2_iSC_SC_: ; @_Z39paged_attention_ll4mi_QKV_mfma16_kernelI14__hip_bfloat16hLN4vllm18Fp8KVCacheDataTypeE1ES0_Li32ELi64ELi256ELb0ELi14EEvPKT_PKT0_S8_ifPKiSA_SA_iPKfiiiPfSD_PS3_PT2_iSC_SC_
; %bb.0:
	s_load_dwordx2 s[12:13], s[0:1], 0x30
	s_mov_b32 s28, s3
	s_mov_b64 s[6:7], 0
	s_waitcnt lgkmcnt(0)
	s_cmp_lg_u64 s[12:13], 0
	s_cselect_b64 s[14:15], -1, 0
	s_and_b64 vcc, exec, s[14:15]
	s_cbranch_vccz .LBB1241_7
; %bb.1:
	s_add_i32 s8, s2, 1
	s_mov_b32 s9, 0
	s_lshl_b64 s[10:11], s[8:9], 2
	s_add_u32 s10, s12, s10
	s_mov_b32 s3, s9
	s_addc_u32 s11, s13, s11
	s_lshl_b64 s[8:9], s[2:3], 2
	s_add_u32 s8, s12, s8
	s_addc_u32 s9, s13, s9
	s_load_dword s5, s[10:11], 0x0
	s_load_dword s16, s[8:9], 0x0
	s_waitcnt lgkmcnt(0)
	s_sub_i32 s5, s5, s16
	s_cmp_eq_u32 s5, 1
	s_cselect_b64 s[8:9], -1, 0
	s_andn2_b64 vcc, exec, s[6:7]
	s_cbranch_vccnz .LBB1241_3
.LBB1241_2:
	s_mov_b32 s3, 0
	s_mov_b64 s[8:9], -1
.LBB1241_3:
	s_andn2_b64 vcc, exec, s[8:9]
	s_cbranch_vccnz .LBB1241_18
; %bb.4:
	s_load_dwordx2 s[6:7], s[0:1], 0x28
	s_lshl_b64 s[16:17], s[2:3], 2
	s_waitcnt lgkmcnt(0)
	s_add_u32 s6, s6, s16
	s_addc_u32 s7, s7, s17
	s_load_dword s33, s[6:7], 0x0
	s_lshl_b32 s5, s28, 8
	s_waitcnt lgkmcnt(0)
	s_cmp_ge_i32 s5, s33
	s_cbranch_scc1 .LBB1241_18
; %bb.5:
	s_load_dwordx2 s[6:7], s[0:1], 0x20
	s_load_dword s8, s[0:1], 0x38
	s_add_i32 s9, s33, 31
	s_ashr_i32 s10, s9, 31
	v_and_b32_e32 v1, 0xcf, v0
	s_lshr_b32 s10, s10, 27
	v_add_u32_e32 v1, s5, v1
	s_add_i32 s9, s9, s10
	v_ashrrev_i32_e32 v2, 31, v1
	s_ashr_i32 s18, s9, 5
	v_lshrrev_b32_e32 v4, 27, v2
	s_add_i32 s18, s18, -1
	s_waitcnt lgkmcnt(0)
	s_mul_i32 s8, s2, s8
	s_mov_b32 s9, 0
	v_add_u32_e32 v2, v1, v4
	s_lshl_b64 s[8:9], s[8:9], 2
	v_ashrrev_i32_e32 v2, 5, v2
	v_mov_b32_e32 v5, s18
	v_cmp_gt_i32_e32 vcc, s33, v1
	s_add_u32 s6, s6, s8
	s_addc_u32 s7, s7, s9
	v_cndmask_b32_e32 v2, v5, v2, vcc
	v_ashrrev_i32_e32 v3, 31, v2
	v_lshl_add_u64 v[6:7], v[2:3], 2, s[6:7]
	v_or_b32_e32 v2, 16, v1
	v_add_u32_e32 v3, v2, v4
	v_ashrrev_i32_e32 v3, 5, v3
	v_cmp_gt_i32_e32 vcc, s33, v2
	s_load_dwordx4 s[8:11], s[0:1], 0x8
	s_nop 0
	v_cndmask_b32_e32 v2, v5, v3, vcc
	v_ashrrev_i32_e32 v3, 31, v2
	v_lshl_add_u64 v[8:9], v[2:3], 2, s[6:7]
	v_or_b32_e32 v2, 32, v1
	v_add_u32_e32 v3, v2, v4
	v_ashrrev_i32_e32 v3, 5, v3
	v_cmp_gt_i32_e32 vcc, s33, v2
	v_or_b32_e32 v1, 48, v1
	s_nop 0
	v_cndmask_b32_e32 v2, v5, v3, vcc
	v_ashrrev_i32_e32 v3, 31, v2
	v_lshl_add_u64 v[10:11], v[2:3], 2, s[6:7]
	v_add_u32_e32 v2, v1, v4
	v_ashrrev_i32_e32 v2, 5, v2
	v_cmp_gt_i32_e32 vcc, s33, v1
	s_nop 1
	v_cndmask_b32_e32 v2, v5, v2, vcc
	v_ashrrev_i32_e32 v3, 31, v2
	v_lshl_add_u64 v[12:13], v[2:3], 2, s[6:7]
	global_load_dword v2, v[6:7], off
	global_load_dword v5, v[8:9], off
	;; [unrolled: 1-line block ×4, first 2 shown]
	s_andn2_b64 vcc, exec, s[14:15]
	s_cbranch_vccnz .LBB1241_8
; %bb.6:
	s_add_u32 s12, s12, s16
	s_addc_u32 s13, s13, s17
	s_load_dword s14, s[12:13], 0x0
	s_branch .LBB1241_9
.LBB1241_7:
	s_mov_b64 s[8:9], 0
	s_branch .LBB1241_2
.LBB1241_8:
	s_mov_b32 s14, s2
.LBB1241_9:
	s_load_dwordx4 s[44:47], s[0:1], 0x48
	v_lshrrev_b32_e32 v29, 6, v0
	v_bfe_u32 v42, v0, 4, 2
	v_lshl_or_b32 v3, v29, 2, v42
	v_and_b32_e32 v28, 15, v0
	v_lshlrev_b32_e32 v1, 3, v28
	v_cmp_gt_u32_e32 vcc, 14, v3
	v_cmp_gt_u32_e64 s[30:31], 8, v28
	v_and_b32_e32 v43, 63, v0
	s_mul_i32 s48, s4, 14
	s_and_b64 s[16:17], s[30:31], vcc
	v_lshlrev_b32_e32 v26, 1, v1
	v_lshlrev_b32_e32 v1, 4, v0
	s_and_saveexec_b64 s[12:13], s[16:17]
	s_cbranch_execz .LBB1241_11
; %bb.10:
	s_load_dwordx2 s[16:17], s[0:1], 0x0
	s_waitcnt lgkmcnt(0)
	s_ashr_i32 s15, s44, 31
	s_mul_hi_u32 s19, s14, s44
	s_mul_i32 s15, s14, s15
	s_add_i32 s15, s19, s15
	s_mul_i32 s14, s14, s44
	s_lshl_b64 s[14:15], s[14:15], 1
	s_add_u32 s14, s16, s14
	v_add_lshl_u32 v6, v3, s48, 6
	s_addc_u32 s15, s17, s15
	v_ashrrev_i32_e32 v7, 31, v6
	v_lshl_add_u64 v[6:7], v[6:7], 1, s[14:15]
	v_mov_b32_e32 v27, 0
	v_lshl_add_u64 v[6:7], v[6:7], 0, v[26:27]
	global_load_dwordx4 v[6:9], v[6:7], off
	v_lshlrev_b32_e32 v11, 8, v28
	v_lshlrev_b32_e32 v3, 5, v3
	v_and_b32_e32 v10, 16, v1
	v_and_b32_e32 v11, 0xe00, v11
	v_or3_b32 v3, v11, v3, v10
	s_waitcnt vmcnt(0)
	ds_write_b128 v3, v[6:9]
.LBB1241_11:
	s_or_b64 exec, exec, s[12:13]
	s_waitcnt lgkmcnt(0)
	s_mul_i32 s4, s4, s46
	s_add_u32 s8, s8, s4
	s_addc_u32 s9, s9, 0
	v_mov_b32_e32 v31, 0
	v_mov_b64_e32 v[18:19], s[8:9]
	v_and_b32_e32 v8, 48, v0
	s_waitcnt vmcnt(3)
	v_mad_i64_i32 v[6:7], s[8:9], v2, s45, v[18:19]
	v_lshlrev_b32_e32 v2, 4, v28
	v_mov_b32_e32 v3, v31
	v_lshlrev_b32_e32 v30, 5, v8
	v_lshl_add_u64 v[6:7], v[6:7], 0, v[2:3]
	v_lshl_add_u64 v[6:7], v[6:7], 0, v[30:31]
	s_load_dword s29, s[0:1], 0x98
	s_load_dwordx4 s[40:43], s[0:1], 0x80
	s_waitcnt lgkmcnt(0)
	s_barrier
	global_load_dwordx4 v[10:13], v[6:7], off
	s_waitcnt vmcnt(3)
	v_mad_i64_i32 v[6:7], s[8:9], v5, s45, v[18:19]
	v_or_b32_e32 v32, 0x100, v2
	v_mov_b32_e32 v33, v31
	v_lshl_add_u64 v[6:7], v[6:7], 0, v[32:33]
	v_lshl_add_u64 v[6:7], v[6:7], 0, v[30:31]
	global_load_dwordx4 v[14:17], v[6:7], off
	s_ashr_i32 s8, s5, 31
	v_or_b32_e32 v5, s5, v8
	s_lshr_b32 s12, s8, 27
	v_add_u32_e32 v8, s12, v5
	v_ashrrev_i32_e32 v8, 5, v8
	v_mov_b32_e32 v21, s18
	v_cmp_gt_i32_e32 vcc, s33, v5
	v_or_b32_e32 v34, 64, v5
	v_or_b32_e32 v35, 0x80, v5
	v_cndmask_b32_e32 v8, v21, v8, vcc
	v_ashrrev_i32_e32 v9, 31, v8
	v_lshl_add_u64 v[8:9], v[8:9], 2, s[6:7]
	global_load_dword v50, v[8:9], off
	v_or_b32_e32 v36, 0xc0, v5
	s_waitcnt vmcnt(4)
	v_mad_i64_i32 v[4:5], s[8:9], v4, s45, v[18:19]
	v_lshl_add_u64 v[2:3], v[4:5], 0, v[2:3]
	v_lshl_add_u64 v[2:3], v[2:3], 0, v[30:31]
	global_load_dwordx4 v[22:25], v[2:3], off
	v_add_u32_e32 v6, -14, v28
	v_cmp_gt_u32_e32 vcc, 14, v28
	s_waitcnt vmcnt(4)
	v_mad_i64_i32 v[18:19], s[8:9], v20, s45, v[18:19]
	v_add_u32_e32 v20, s12, v34
	v_cndmask_b32_e32 v6, v6, v28, vcc
	v_add_u32_e32 v37, s12, v35
	v_ashrrev_i32_e32 v20, 5, v20
	v_cmp_gt_i32_e32 vcc, s33, v34
	v_lshlrev_b32_e32 v6, 5, v6
	v_add_u32_e32 v38, s12, v36
	v_lshl_add_u64 v[18:19], v[18:19], 0, v[32:33]
	v_ashrrev_i32_e32 v33, 5, v37
	v_cndmask_b32_e32 v32, v21, v20, vcc
	v_cmp_gt_i32_e32 vcc, s33, v35
	v_lshl_add_u32 v2, v42, 9, v6
	v_ashrrev_i32_e32 v37, 5, v38
	v_lshl_add_u64 v[18:19], v[18:19], 0, v[30:31]
	v_cndmask_b32_e32 v34, v21, v33, vcc
	v_cmp_gt_i32_e32 vcc, s33, v36
	ds_read_b128 v[6:9], v2
	ds_read_b128 v[2:5], v2 offset:16
	v_cndmask_b32_e32 v36, v21, v37, vcc
	global_load_dwordx4 v[18:21], v[18:19], off
	v_ashrrev_i32_e32 v33, 31, v32
	v_ashrrev_i32_e32 v35, 31, v34
	v_lshl_add_u64 v[40:41], v[32:33], 2, s[6:7]
	v_lshl_add_u64 v[44:45], v[34:35], 2, s[6:7]
	s_add_u32 s8, s10, s4
	v_lshlrev_b32_e32 v27, 5, v28
	s_addc_u32 s9, s11, 0
	v_and_b32_e32 v30, 16, v0
	s_mov_b32 s44, 0x7060302
	v_lshl_add_u64 v[38:39], s[8:9], 0, v[30:31]
	v_lshl_or_b32 v30, v29, 9, v27
	v_lshl_add_u64 v[30:31], v[38:39], 0, v[30:31]
	v_ashrrev_i32_e32 v37, 31, v36
	v_lshl_add_u64 v[36:37], v[36:37], 2, s[6:7]
	s_load_dword s13, s[0:1], 0x1c
	s_mov_b32 s46, 0xff7fffff
	s_waitcnt vmcnt(4)
	v_cvt_pk_f32_fp8_e32 v[32:33], v10
	v_cvt_pk_f32_fp8_sdwa v[34:35], v10 src0_sel:WORD_1
	v_cvt_pk_f32_fp8_e32 v[38:39], v11
	v_cvt_pk_f32_fp8_sdwa v[10:11], v11 src0_sel:WORD_1
	v_perm_b32 v32, v33, v32, s44
	v_perm_b32 v33, v35, v34, s44
	;; [unrolled: 1-line block ×4, first 2 shown]
	v_cvt_pk_f32_fp8_e32 v[46:47], v12
	v_cvt_pk_f32_fp8_sdwa v[48:49], v12 src0_sel:WORD_1
	s_waitcnt lgkmcnt(0)
	v_mfma_f32_16x16x16_bf16 v[32:35], v[32:33], v[6:7], 0
	global_load_dword v12, v[40:41], off
	s_nop 0
	global_load_dword v44, v[44:45], off
	s_nop 0
	global_load_dword v45, v[36:37], off
	v_perm_b32 v36, v47, v46, s44
	v_perm_b32 v37, v49, v48, s44
	v_mfma_f32_16x16x16_bf16 v[32:35], v[38:39], v[8:9], v[32:35]
	v_cvt_pk_f32_fp8_e32 v[38:39], v13
	v_cvt_pk_f32_fp8_sdwa v[40:41], v13 src0_sel:WORD_1
	s_waitcnt vmcnt(6)
	v_cvt_pk_f32_fp8_e32 v[46:47], v16
	v_mfma_f32_16x16x16_bf16 v[32:35], v[36:37], v[2:3], v[32:35]
	v_perm_b32 v38, v39, v38, s44
	v_perm_b32 v39, v41, v40, s44
	v_cvt_pk_f32_fp8_e32 v[36:37], v14
	v_cvt_pk_f32_fp8_sdwa v[40:41], v14 src0_sel:WORD_1
	v_mfma_f32_16x16x16_bf16 v[32:35], v[38:39], v[4:5], v[32:35]
	v_cvt_pk_f32_fp8_e32 v[38:39], v15
	v_perm_b32 v36, v37, v36, s44
	v_perm_b32 v37, v41, v40, s44
	v_cvt_pk_f32_fp8_sdwa v[14:15], v15 src0_sel:WORD_1
	v_perm_b32 v40, v39, v38, s44
	v_cvt_pk_f32_fp8_sdwa v[48:49], v16 src0_sel:WORD_1
	v_mfma_f32_16x16x16_bf16 v[36:39], v[36:37], v[6:7], 0
	v_perm_b32 v41, v15, v14, s44
	s_waitcnt vmcnt(5)
	v_mad_i64_i32 v[10:11], s[6:7], v50, s45, v[30:31]
	v_perm_b32 v46, v47, v46, s44
	v_perm_b32 v47, v49, v48, s44
	v_cvt_pk_f32_fp8_e32 v[48:49], v17
	v_cvt_pk_f32_fp8_sdwa v[50:51], v17 src0_sel:WORD_1
	v_mfma_f32_16x16x16_bf16 v[14:17], v[40:41], v[8:9], v[36:39]
	s_waitcnt vmcnt(4)
	v_cvt_pk_f32_fp8_sdwa v[40:41], v22 src0_sel:WORD_1
	s_load_dword s4, s[40:41], 0x0
	v_mov_b32_e32 v13, s13
	v_perm_b32 v36, v49, v48, s44
	v_perm_b32 v37, v51, v50, s44
	v_mfma_f32_16x16x16_bf16 v[14:17], v[46:47], v[2:3], v[14:17]
	v_cvt_pk_f32_fp8_e32 v[38:39], v22
	v_cvt_pk_f32_fp8_e32 v[46:47], v24
	v_cvt_pk_f32_fp8_sdwa v[48:49], v24 src0_sel:WORD_1
	v_mfma_f32_16x16x16_bf16 v[14:17], v[36:37], v[4:5], v[14:17]
	v_cvt_pk_f32_fp8_e32 v[36:37], v23
	v_perm_b32 v38, v39, v38, s44
	v_perm_b32 v39, v41, v40, s44
	v_cvt_pk_f32_fp8_sdwa v[22:23], v23 src0_sel:WORD_1
	v_perm_b32 v40, v37, v36, s44
	v_mfma_f32_16x16x16_bf16 v[36:39], v[38:39], v[6:7], 0
	v_perm_b32 v41, v23, v22, s44
	v_perm_b32 v46, v47, v46, s44
	;; [unrolled: 1-line block ×3, first 2 shown]
	v_cvt_pk_f32_fp8_e32 v[48:49], v25
	v_cvt_pk_f32_fp8_sdwa v[24:25], v25 src0_sel:WORD_1
	v_mfma_f32_16x16x16_bf16 v[36:39], v[40:41], v[8:9], v[36:39]
	s_waitcnt lgkmcnt(0)
	v_mul_f32_e32 v50, s4, v13
	v_perm_b32 v40, v49, v48, s44
	v_perm_b32 v41, v25, v24, s44
	v_pk_mul_f32 v[22:23], v[50:51], v[34:35] op_sel_hi:[0,1]
	v_mfma_f32_16x16x16_bf16 v[36:39], v[46:47], v[2:3], v[36:39]
	v_pk_mul_f32 v[34:35], v[50:51], v[32:33] op_sel_hi:[0,1]
	s_waitcnt vmcnt(3)
	v_cvt_pk_f32_fp8_e32 v[24:25], v18
	v_cvt_pk_f32_fp8_sdwa v[32:33], v18 src0_sel:WORD_1
	v_mfma_f32_16x16x16_bf16 v[46:49], v[40:41], v[4:5], v[36:39]
	v_cvt_pk_f32_fp8_e32 v[40:41], v20
	v_perm_b32 v24, v25, v24, s44
	v_perm_b32 v25, v33, v32, s44
	v_cvt_pk_f32_fp8_e32 v[36:37], v19
	v_cvt_pk_f32_fp8_sdwa v[18:19], v19 src0_sel:WORD_1
	v_cvt_pk_f32_fp8_sdwa v[52:53], v20 src0_sel:WORD_1
	v_perm_b32 v32, v37, v36, s44
	v_perm_b32 v33, v19, v18, s44
	v_mfma_f32_16x16x16_bf16 v[36:39], v[24:25], v[6:7], 0
	v_perm_b32 v18, v41, v40, s44
	v_perm_b32 v19, v53, v52, s44
	v_cvt_pk_f32_fp8_e32 v[24:25], v21
	v_cvt_pk_f32_fp8_sdwa v[20:21], v21 src0_sel:WORD_1
	v_mfma_f32_16x16x16_bf16 v[6:9], v[32:33], v[8:9], v[36:39]
	v_pk_mul_f32 v[40:41], v[50:51], v[14:15] op_sel_hi:[0,1]
	v_pk_mul_f32 v[32:33], v[50:51], v[48:49] op_sel_hi:[0,1]
	s_nop 0
	v_pk_mul_f32 v[36:37], v[50:51], v[16:17] op_sel_hi:[0,1]
	v_perm_b32 v16, v25, v24, s44
	v_perm_b32 v17, v21, v20, s44
	v_mfma_f32_16x16x16_bf16 v[6:9], v[18:19], v[2:3], v[6:9]
	v_pk_mul_f32 v[38:39], v[50:51], v[46:47] op_sel_hi:[0,1]
	v_mfma_f32_16x16x16_bf16 v[2:5], v[16:17], v[4:5], v[6:9]
	s_nop 6
	v_pk_mul_f32 v[24:25], v[50:51], v[2:3] op_sel_hi:[0,1]
	v_and_b32_e32 v2, 0xc0, v0
	v_add_u32_e32 v2, s5, v2
	v_lshl_or_b32 v2, v42, 2, v2
	v_pk_mul_f32 v[18:19], v[50:51], v[4:5] op_sel_hi:[0,1]
	v_or_b32_e32 v5, 1, v2
	v_mov_b32_e32 v3, 0xff7fffff
	v_cmp_gt_i32_e64 s[4:5], s33, v2
	v_cmp_gt_i32_e64 s[34:35], s33, v5
	v_or_b32_e32 v6, 3, v2
	v_cndmask_b32_e64 v4, v3, v34, s[4:5]
	v_cndmask_b32_e64 v5, v3, v35, s[34:35]
	v_max3_f32 v4, v4, s46, v5
	v_or_b32_e32 v5, 2, v2
	v_cmp_gt_i32_e64 s[36:37], s33, v5
	v_cmp_gt_i32_e64 s[38:39], s33, v6
	s_nop 0
	v_cndmask_b32_e64 v5, v3, v22, s[36:37]
	v_cndmask_b32_e64 v6, v3, v23, s[38:39]
	v_max3_f32 v4, v4, v5, v6
	v_or_b32_e32 v5, 16, v2
	v_or_b32_e32 v6, 17, v2
	v_cmp_gt_i32_e64 s[24:25], s33, v5
	v_cmp_gt_i32_e64 s[26:27], s33, v6
	s_nop 0
	v_cndmask_b32_e64 v5, v3, v40, s[24:25]
	v_cndmask_b32_e64 v6, v3, v41, s[26:27]
	v_max3_f32 v4, v4, v5, v6
	v_or_b32_e32 v5, 18, v2
	;; [unrolled: 8-line block ×6, first 2 shown]
	v_or_b32_e32 v2, 51, v2
	v_cmp_gt_i32_e32 vcc, s33, v5
	v_cmp_gt_i32_e64 s[6:7], s33, v2
	s_nop 0
	v_cndmask_b32_e32 v5, v3, v18, vcc
	v_cndmask_b32_e64 v2, v3, v19, s[6:7]
	v_max3_f32 v4, v4, v5, v2
	v_mbcnt_lo_u32_b32 v2, -1, 0
	v_mbcnt_hi_u32_b32 v5, -1, v2
	v_and_b32_e32 v2, 64, v5
	v_add_u32_e32 v6, 64, v2
	v_xor_b32_e32 v2, 32, v5
	v_cmp_lt_i32_e64 s[40:41], v2, v6
	s_nop 1
	v_cndmask_b32_e64 v2, v5, v2, s[40:41]
	v_lshlrev_b32_e32 v46, 2, v2
	ds_bpermute_b32 v7, v46, v4
	s_waitcnt vmcnt(2)
	v_mad_i64_i32 v[2:3], s[40:41], v12, s45, v[30:31]
	global_load_dwordx4 v[14:17], v[10:11], off
	s_nop 0
	global_load_dwordx4 v[10:13], v[2:3], off
	v_xor_b32_e32 v3, 16, v5
	v_cmp_lt_i32_e64 s[40:41], v3, v6
	s_waitcnt lgkmcnt(0)
	v_max_f32_e32 v2, v7, v7
	v_max_f32_e32 v2, v4, v2
	v_cndmask_b32_e64 v3, v5, v3, s[40:41]
	v_lshlrev_b32_e32 v47, 2, v3
	ds_bpermute_b32 v3, v47, v2
	s_waitcnt vmcnt(3)
	v_mad_i64_i32 v[20:21], s[40:41], v44, s45, v[30:31]
	s_waitcnt vmcnt(2)
	v_mad_i64_i32 v[30:31], s[40:41], v45, s45, v[30:31]
	s_waitcnt lgkmcnt(0)
	v_max_f32_e32 v3, v3, v3
	v_max_f32_e32 v44, v2, v3
	v_sub_f32_e32 v2, v34, v44
	v_mul_f32_e32 v2, 0x3fb8aa3b, v2
	v_exp_f32_e32 v34, v2
	v_sub_f32_e32 v2, v35, v44
	v_mul_f32_e32 v2, 0x3fb8aa3b, v2
	v_exp_f32_e32 v35, v2
	global_load_dwordx4 v[6:9], v[20:21], off
	global_load_dwordx4 v[2:5], v[30:31], off
	v_sub_f32_e32 v22, v22, v44
	v_mul_f32_e32 v22, 0x3fb8aa3b, v22
	v_sub_f32_e32 v23, v23, v44
	v_exp_f32_e32 v22, v22
	v_mul_f32_e32 v23, 0x3fb8aa3b, v23
	v_exp_f32_e32 v23, v23
	v_cndmask_b32_e64 v20, 0, v34, s[4:5]
	v_add_f32_e32 v30, 0, v20
	v_cndmask_b32_e64 v21, 0, v35, s[34:35]
	v_add_f32_e32 v30, v30, v21
	;; [unrolled: 2-line block ×3, first 2 shown]
	v_cndmask_b32_e64 v35, 0, v23, s[38:39]
	v_sub_f32_e32 v23, v40, v44
	v_sub_f32_e32 v30, v41, v44
	v_mul_f32_e32 v23, 0x3fb8aa3b, v23
	v_mul_f32_e32 v30, 0x3fb8aa3b, v30
	v_exp_f32_e32 v23, v23
	v_exp_f32_e32 v30, v30
	v_add_f32_e32 v31, v22, v35
	v_sub_f32_e32 v32, v32, v44
	v_cndmask_b32_e64 v22, 0, v23, s[24:25]
	v_cndmask_b32_e64 v23, 0, v30, s[26:27]
	v_sub_f32_e32 v30, v36, v44
	v_mul_f32_e32 v30, 0x3fb8aa3b, v30
	v_exp_f32_e32 v30, v30
	v_sub_f32_e32 v36, v37, v44
	v_add_f32_e32 v31, v31, v22
	v_mul_f32_e32 v36, 0x3fb8aa3b, v36
	v_exp_f32_e32 v37, v36
	v_add_f32_e32 v31, v31, v23
	v_cndmask_b32_e64 v36, 0, v30, s[20:21]
	v_add_f32_e32 v30, v31, v36
	v_sub_f32_e32 v31, v38, v44
	v_mul_f32_e32 v31, 0x3fb8aa3b, v31
	v_sub_f32_e32 v38, v39, v44
	v_exp_f32_e32 v31, v31
	v_mul_f32_e32 v38, 0x3fb8aa3b, v38
	v_exp_f32_e32 v38, v38
	v_mul_f32_e32 v32, 0x3fb8aa3b, v32
	v_sub_f32_e32 v33, v33, v44
	v_exp_f32_e32 v32, v32
	v_mul_f32_e32 v33, 0x3fb8aa3b, v33
	v_sub_f32_e32 v24, v24, v44
	v_cndmask_b32_e64 v37, 0, v37, s[22:23]
	v_exp_f32_e32 v33, v33
	v_mul_f32_e32 v24, 0x3fb8aa3b, v24
	v_sub_f32_e32 v25, v25, v44
	v_add_f32_e32 v39, v30, v37
	v_cndmask_b32_e64 v30, 0, v31, s[16:17]
	v_exp_f32_e32 v24, v24
	v_mul_f32_e32 v25, 0x3fb8aa3b, v25
	v_sub_f32_e32 v18, v18, v44
	v_add_f32_e32 v39, v39, v30
	;; [unrolled: 5-line block ×3, first 2 shown]
	v_cndmask_b32_e64 v32, 0, v32, s[12:13]
	v_exp_f32_e32 v18, v18
	v_mul_f32_e32 v19, 0x3fb8aa3b, v19
	v_add_f32_e32 v38, v38, v32
	v_cndmask_b32_e64 v33, 0, v33, s[14:15]
	v_exp_f32_e32 v19, v19
	v_add_f32_e32 v38, v38, v33
	v_cndmask_b32_e64 v24, 0, v24, s[8:9]
	v_add_f32_e32 v38, v38, v24
	v_cndmask_b32_e64 v25, 0, v25, s[10:11]
	v_add_f32_e32 v38, v38, v25
	v_cndmask_b32_e32 v18, 0, v18, vcc
	v_add_f32_e32 v38, v38, v18
	v_cndmask_b32_e64 v19, 0, v19, s[6:7]
	v_add_f32_e32 v38, v38, v19
	ds_bpermute_b32 v39, v46, v38
	v_cmp_gt_u32_e32 vcc, 16, v43
	s_waitcnt lgkmcnt(0)
	s_barrier
	v_add_f32_e32 v38, v38, v39
	ds_bpermute_b32 v40, v47, v38
	v_lshlrev_b32_e32 v39, 2, v28
	s_and_saveexec_b64 s[4:5], vcc
	s_cbranch_execz .LBB1241_13
; %bb.12:
	s_waitcnt lgkmcnt(0)
	v_add_f32_e32 v38, v38, v40
	v_lshl_or_b32 v40, v29, 6, v39
	ds_write2st64_b32 v40, v44, v38 offset1:1
.LBB1241_13:
	s_or_b64 exec, exec, s[4:5]
	s_load_dword s6, s[0:1], 0x94
	s_waitcnt lgkmcnt(0)
	s_barrier
	ds_read2_b32 v[40:41], v39 offset1:16
	ds_read2_b32 v[44:45], v39 offset0:32 offset1:48
	ds_read2_b32 v[46:47], v39 offset0:64 offset1:80
	s_movk_i32 s8, 0x7fff
	s_mul_i32 s7, s29, 14
	s_waitcnt lgkmcnt(2)
	v_max3_f32 v38, v40, s46, v41
	s_waitcnt lgkmcnt(1)
	v_max3_f32 v38, v38, v44, v45
	v_sub_f32_e32 v40, v40, v38
	v_mul_f32_e32 v40, 0x3fb8aa3b, v40
	v_exp_f32_e32 v43, v40
	v_sub_f32_e32 v40, v41, v38
	v_mul_f32_e32 v40, 0x3fb8aa3b, v40
	v_exp_f32_e32 v48, v40
	;; [unrolled: 3-line block ×3, first 2 shown]
	ds_read2_b32 v[40:41], v39 offset0:96 offset1:112
	v_sub_f32_e32 v39, v45, v38
	v_mul_f32_e32 v39, 0x3fb8aa3b, v39
	v_exp_f32_e32 v45, v39
	s_waitcnt lgkmcnt(1)
	v_fma_f32 v39, v43, v46, 0
	v_fmac_f32_e32 v39, v48, v47
	s_waitcnt lgkmcnt(0)
	v_fmac_f32_e32 v39, v44, v40
	v_fmac_f32_e32 v39, v45, v41
	v_add_f32_e32 v40, 0x358637bd, v39
	v_div_scale_f32 v41, s[4:5], v40, v40, 1.0
	v_rcp_f32_e32 v46, v41
	s_barrier
	v_fma_f32 v47, -v41, v46, 1.0
	v_fmac_f32_e32 v46, v47, v46
	v_div_scale_f32 v47, vcc, 1.0, v40, 1.0
	v_mul_f32_e32 v49, v47, v46
	v_fma_f32 v50, -v41, v49, v47
	v_fmac_f32_e32 v49, v50, v46
	v_fma_f32 v41, -v41, v49, v47
	v_div_fmas_f32 v41, v41, v46, v49
	v_cmp_eq_u32_e32 vcc, 1, v29
	v_div_fixup_f32 v40, v41, v40, 1.0
	s_nop 0
	v_cndmask_b32_e32 v41, v43, v48, vcc
	v_cmp_eq_u32_e32 vcc, 2, v29
	s_nop 1
	v_cndmask_b32_e32 v41, v41, v44, vcc
	v_cmp_eq_u32_e32 vcc, 3, v29
	s_nop 1
	v_cndmask_b32_e32 v41, v41, v45, vcc
	v_mul_f32_e32 v40, v41, v40
	v_pk_mul_f32 v[20:21], v[40:41], v[20:21] op_sel_hi:[0,1]
	v_pk_mul_f32 v[34:35], v[40:41], v[34:35] op_sel_hi:[0,1]
	v_bfe_u32 v41, v21, 16, 1
	v_bfe_u32 v43, v20, 16, 1
	v_add3_u32 v20, v20, v43, s8
	v_add3_u32 v21, v21, v41, s8
	v_perm_b32 v44, v21, v20, s44
	v_bfe_u32 v20, v35, 16, 1
	v_bfe_u32 v21, v34, 16, 1
	v_add3_u32 v21, v34, v21, s8
	v_add3_u32 v20, v35, v20, s8
	v_perm_b32 v45, v20, v21, s44
	v_lshlrev_b32_e32 v20, 3, v42
	v_lshlrev_b32_e32 v21, 11, v29
	v_pk_mul_f32 v[22:23], v[40:41], v[22:23] op_sel_hi:[0,1]
	v_or3_b32 v20, v21, v27, v20
	v_bfe_u32 v21, v23, 16, 1
	v_bfe_u32 v29, v22, 16, 1
	v_pk_mul_f32 v[34:35], v[40:41], v[36:37] op_sel_hi:[0,1]
	v_add3_u32 v22, v22, v29, s8
	v_add3_u32 v21, v23, v21, s8
	v_perm_b32 v22, v21, v22, s44
	v_bfe_u32 v21, v35, 16, 1
	v_bfe_u32 v23, v34, 16, 1
	v_add3_u32 v23, v34, v23, s8
	v_add3_u32 v21, v35, v21, s8
	v_pk_mul_f32 v[30:31], v[40:41], v[30:31] op_sel_hi:[0,1]
	v_perm_b32 v23, v21, v23, s44
	v_bfe_u32 v21, v31, 16, 1
	v_bfe_u32 v29, v30, 16, 1
	ds_write2st64_b64 v20, v[44:45], v[22:23] offset1:1
	v_pk_mul_f32 v[22:23], v[40:41], v[32:33] op_sel_hi:[0,1]
	v_add3_u32 v29, v30, v29, s8
	v_add3_u32 v21, v31, v21, s8
	v_perm_b32 v30, v21, v29, s44
	v_bfe_u32 v21, v23, 16, 1
	v_bfe_u32 v29, v22, 16, 1
	v_add3_u32 v22, v22, v29, s8
	v_add3_u32 v21, v23, v21, s8
	v_perm_b32 v31, v21, v22, s44
	v_pk_mul_f32 v[22:23], v[40:41], v[24:25] op_sel_hi:[0,1]
	v_bfe_u32 v21, v23, 16, 1
	v_bfe_u32 v24, v22, 16, 1
	v_pk_mul_f32 v[18:19], v[40:41], v[18:19] op_sel_hi:[0,1]
	v_add3_u32 v22, v22, v24, s8
	v_add3_u32 v21, v23, v21, s8
	v_perm_b32 v22, v21, v22, s44
	v_bfe_u32 v21, v19, 16, 1
	v_bfe_u32 v23, v18, 16, 1
	v_add3_u32 v18, v18, v23, s8
	v_add3_u32 v19, v19, v21, s8
	v_perm_b32 v23, v19, v18, s44
	v_cmp_gt_u32_e32 vcc, 14, v0
	ds_write2st64_b64 v20, v[30:31], v[22:23] offset0:2 offset1:3
	s_and_saveexec_b64 s[4:5], vcc
	s_cbranch_execz .LBB1241_15
; %bb.14:
	s_mov_b32 s49, 0
	v_mov_b32_e32 v29, 0
	v_lshl_add_u64 v[18:19], s[48:49], 0, v[28:29]
	v_mov_b32_e32 v21, s7
	v_mad_u64_u32 v[18:19], s[10:11], s2, v21, v[18:19]
	s_mul_i32 s3, s3, s7
	v_mov_b32_e32 v28, s28
	s_load_dwordx4 s[12:15], s[0:1], 0x58
	v_add_u32_e32 v21, s3, v19
	v_mad_u64_u32 v[18:19], s[10:11], v18, s6, v[28:29]
	v_mov_b32_e32 v22, v19
	v_mad_u64_u32 v[22:23], s[10:11], v21, s6, v[22:23]
	v_mov_b32_e32 v19, v22
	v_lshlrev_b64 v[18:19], 2, v[18:19]
	s_waitcnt lgkmcnt(0)
	v_lshl_add_u64 v[22:23], s[14:15], 0, v[18:19]
	v_lshl_add_u64 v[18:19], s[12:13], 0, v[18:19]
	global_store_dword v[22:23], v38, off
	global_store_dword v[18:19], v39, off
.LBB1241_15:
	s_or_b64 exec, exec, s[4:5]
	s_waitcnt vmcnt(3)
	v_cvt_pk_f32_fp8_e32 v[18:19], v14
	v_cvt_pk_f32_fp8_sdwa v[22:23], v14 src0_sel:WORD_1
	s_mov_b32 s4, 0x7060302
	v_lshl_or_b32 v14, v42, 9, v27
	s_waitcnt lgkmcnt(0)
	s_barrier
	v_perm_b32 v18, v19, v18, s4
	v_perm_b32 v19, v23, v22, s4
	v_cvt_pk_f32_fp8_e32 v[28:29], v15
	ds_read_b128 v[22:25], v14
	v_cvt_pk_f32_fp8_sdwa v[36:37], v15 src0_sel:WORD_1
	s_load_dword s10, s[42:43], 0x0
	v_perm_b32 v38, v29, v28, s4
	ds_read_b128 v[28:31], v14 offset:16
	v_perm_b32 v39, v37, v36, s4
	s_waitcnt lgkmcnt(0)
	v_mfma_f32_16x16x16_bf16 v[32:35], v[18:19], v[22:23], 0
	v_cvt_pk_f32_fp8_e32 v[18:19], v16
	v_cvt_pk_f32_fp8_sdwa v[36:37], v16 src0_sel:WORD_1
	v_cmp_gt_u32_e32 vcc, 64, v0
	v_mfma_f32_16x16x16_bf16 v[22:25], v[38:39], v[24:25], v[32:35]
	v_perm_b32 v18, v19, v18, s4
	v_perm_b32 v19, v37, v36, s4
	s_waitcnt vmcnt(2)
	v_cvt_pk_f32_fp8_sdwa v[36:37], v10 src0_sel:WORD_1
	v_cvt_pk_f32_fp8_e32 v[32:33], v17
	v_cvt_pk_f32_fp8_sdwa v[16:17], v17 src0_sel:WORD_1
	v_cvt_pk_f32_fp8_e32 v[34:35], v10
	s_mov_b32 s3, 0
	v_perm_b32 v32, v33, v32, s4
	v_perm_b32 v33, v17, v16, s4
	v_mfma_f32_16x16x16_bf16 v[16:19], v[18:19], v[28:29], v[22:25]
	v_perm_b32 v34, v35, v34, s4
	v_perm_b32 v35, v37, v36, s4
	v_cvt_pk_f32_fp8_e32 v[28:29], v11
	ds_read_b128 v[22:25], v14 offset:2048
	v_cvt_pk_f32_fp8_sdwa v[10:11], v11 src0_sel:WORD_1
	v_mfma_f32_16x16x16_bf16 v[16:19], v[32:33], v[30:31], v[16:19]
	v_perm_b32 v32, v29, v28, s4
	ds_read_b128 v[28:31], v14 offset:2064
	v_perm_b32 v33, v11, v10, s4
	s_waitcnt lgkmcnt(1)
	v_mfma_f32_16x16x16_bf16 v[16:19], v[34:35], v[22:23], v[16:19]
	v_cvt_pk_f32_fp8_e32 v[10:11], v12
	v_cvt_pk_f32_fp8_sdwa v[22:23], v12 src0_sel:WORD_1
	v_mov_b32_e32 v27, 0
	v_mfma_f32_16x16x16_bf16 v[16:19], v[32:33], v[24:25], v[16:19]
	v_cvt_pk_f32_fp8_e32 v[24:25], v13
	v_perm_b32 v10, v11, v10, s4
	v_perm_b32 v11, v23, v22, s4
	v_cvt_pk_f32_fp8_sdwa v[12:13], v13 src0_sel:WORD_1
	v_perm_b32 v22, v25, v24, s4
	s_waitcnt vmcnt(1)
	v_cvt_pk_f32_fp8_e32 v[24:25], v6
	v_cvt_pk_f32_fp8_sdwa v[32:33], v6 src0_sel:WORD_1
	v_perm_b32 v23, v13, v12, s4
	s_waitcnt lgkmcnt(0)
	v_mfma_f32_16x16x16_bf16 v[10:13], v[10:11], v[28:29], v[16:19]
	v_perm_b32 v28, v25, v24, s4
	v_perm_b32 v29, v33, v32, s4
	v_cvt_pk_f32_fp8_e32 v[24:25], v7
	ds_read_b128 v[16:19], v14 offset:4096
	v_cvt_pk_f32_fp8_sdwa v[6:7], v7 src0_sel:WORD_1
	v_mfma_f32_16x16x16_bf16 v[10:13], v[22:23], v[30:31], v[10:13]
	v_perm_b32 v30, v25, v24, s4
	ds_read_b128 v[22:25], v14 offset:4112
	v_perm_b32 v31, v7, v6, s4
	s_waitcnt lgkmcnt(1)
	v_mfma_f32_16x16x16_bf16 v[10:13], v[28:29], v[16:17], v[10:13]
	v_cvt_pk_f32_fp8_e32 v[6:7], v8
	v_cvt_pk_f32_fp8_sdwa v[16:17], v8 src0_sel:WORD_1
	s_waitcnt vmcnt(0)
	v_cvt_pk_f32_fp8_sdwa v[28:29], v2 src0_sel:WORD_1
	v_mfma_f32_16x16x16_bf16 v[10:13], v[30:31], v[18:19], v[10:13]
	v_cvt_pk_f32_fp8_e32 v[18:19], v9
	v_perm_b32 v6, v7, v6, s4
	v_perm_b32 v7, v17, v16, s4
	v_cvt_pk_f32_fp8_sdwa v[8:9], v9 src0_sel:WORD_1
	v_perm_b32 v16, v19, v18, s4
	v_cvt_pk_f32_fp8_e32 v[18:19], v2
	v_perm_b32 v17, v9, v8, s4
	s_waitcnt lgkmcnt(0)
	v_mfma_f32_16x16x16_bf16 v[6:9], v[6:7], v[22:23], v[10:13]
	v_perm_b32 v18, v19, v18, s4
	v_perm_b32 v19, v29, v28, s4
	v_cvt_pk_f32_fp8_e32 v[22:23], v3
	ds_read_b128 v[10:13], v14 offset:6144
	v_cvt_pk_f32_fp8_sdwa v[2:3], v3 src0_sel:WORD_1
	v_mfma_f32_16x16x16_bf16 v[6:9], v[16:17], v[24:25], v[6:9]
	v_perm_b32 v22, v23, v22, s4
	ds_read_b128 v[14:17], v14 offset:6160
	v_perm_b32 v23, v3, v2, s4
	s_waitcnt lgkmcnt(1)
	v_mfma_f32_16x16x16_bf16 v[6:9], v[18:19], v[10:11], v[6:9]
	v_cvt_pk_f32_fp8_e32 v[2:3], v4
	v_cvt_pk_f32_fp8_sdwa v[10:11], v4 src0_sel:WORD_1
	s_waitcnt lgkmcnt(0)
	v_mfma_f32_16x16x16_bf16 v[6:9], v[22:23], v[12:13], v[6:9]
	v_perm_b32 v2, v3, v2, s4
	v_perm_b32 v3, v11, v10, s4
	v_cvt_pk_f32_fp8_e32 v[10:11], v5
	v_cvt_pk_f32_fp8_sdwa v[4:5], v5 src0_sel:WORD_1
	s_barrier
	v_perm_b32 v10, v11, v10, s4
	v_perm_b32 v11, v5, v4, s4
	v_mfma_f32_16x16x16_bf16 v[2:5], v[2:3], v[14:15], v[6:9]
	s_nop 0
	v_mfma_f32_16x16x16_bf16 v[2:5], v[10:11], v[16:17], v[2:5]
	s_nop 6
	v_pk_mul_f32 v[2:3], v[2:3], s[10:11] op_sel_hi:[1,0]
	v_pk_mul_f32 v[4:5], v[4:5], s[10:11] op_sel_hi:[1,0]
	v_bfe_u32 v6, v3, 16, 1
	v_bfe_u32 v7, v2, 16, 1
	v_add3_u32 v2, v2, v7, s8
	v_add3_u32 v3, v3, v6, s8
	v_perm_b32 v2, v3, v2, s4
	v_bfe_u32 v3, v5, 16, 1
	v_bfe_u32 v6, v4, 16, 1
	v_add3_u32 v4, v4, v6, s8
	v_add3_u32 v3, v5, v3, s8
	v_perm_b32 v3, v3, v4, s4
	s_and_b64 s[4:5], vcc, s[30:31]
	ds_write_b64 v20, v[2:3]
	s_waitcnt lgkmcnt(0)
	s_barrier
	s_and_saveexec_b64 s[8:9], s[4:5]
	s_cbranch_execz .LBB1241_18
; %bb.16:
	s_load_dwordx2 s[4:5], s[0:1], 0x68
	s_lshl_b32 s0, s6, 6
	s_mul_i32 s1, s7, s2
	s_mul_hi_u32 s7, s1, s0
	s_mul_i32 s6, s1, s0
	v_lshlrev_b32_e32 v0, 10, v0
	s_lshl_b64 s[6:7], s[6:7], 1
	v_and_b32_e32 v0, 0x1800, v0
	v_lshlrev_b32_e32 v2, 5, v42
	v_and_b32_e32 v1, 16, v1
	s_waitcnt lgkmcnt(0)
	s_add_u32 s1, s4, s6
	v_or3_b32 v2, v0, v2, v1
	s_addc_u32 s4, s5, s7
	s_lshl_b32 s2, s28, 6
	ds_read_b128 v[4:7], v2 offset:256
	s_lshl_b64 s[2:3], s[2:3], 1
	ds_read_b128 v[8:11], v2 offset:128
	ds_read_b128 v[12:15], v2
	s_add_u32 s2, s1, s2
	s_addc_u32 s3, s4, s3
	v_add_u32_e32 v18, s48, v42
	v_lshl_add_u64 v[0:1], s[2:3], 0, v[26:27]
	v_mad_u64_u32 v[16:17], s[2:3], v18, s0, 0
	v_lshl_add_u64 v[16:17], v[16:17], 1, v[0:1]
	s_waitcnt lgkmcnt(0)
	global_store_dwordx4 v[16:17], v[12:15], off
	v_or_b32_e32 v3, 12, v42
	v_cmp_gt_u32_e32 vcc, 14, v3
	v_add_u32_e32 v12, 4, v18
	v_mad_u64_u32 v[12:13], s[2:3], v12, s0, 0
	v_lshl_add_u64 v[12:13], v[12:13], 1, v[0:1]
	global_store_dwordx4 v[12:13], v[8:11], off
	s_nop 1
	v_add_u32_e32 v8, 8, v18
	v_mad_u64_u32 v[8:9], s[2:3], v8, s0, 0
	v_lshl_add_u64 v[8:9], v[8:9], 1, v[0:1]
	global_store_dwordx4 v[8:9], v[4:7], off
	s_and_b64 exec, exec, vcc
	s_cbranch_execz .LBB1241_18
; %bb.17:
	ds_read_b128 v[4:7], v2 offset:384
	v_add_u32_e32 v2, s48, v3
	v_mad_u64_u32 v[2:3], s[0:1], v2, s0, 0
	v_lshl_add_u64 v[0:1], v[2:3], 1, v[0:1]
	s_waitcnt lgkmcnt(0)
	global_store_dwordx4 v[0:1], v[4:7], off
.LBB1241_18:
	s_endpgm
	.section	.rodata,"a",@progbits
	.p2align	6, 0x0
	.amdhsa_kernel _Z39paged_attention_ll4mi_QKV_mfma16_kernelI14__hip_bfloat16hLN4vllm18Fp8KVCacheDataTypeE1ES0_Li32ELi64ELi256ELb0ELi14EEvPKT_PKT0_S8_ifPKiSA_SA_iPKfiiiPfSD_PS3_PT2_iSC_SC_
		.amdhsa_group_segment_fixed_size 8192
		.amdhsa_private_segment_fixed_size 0
		.amdhsa_kernarg_size 400
		.amdhsa_user_sgpr_count 2
		.amdhsa_user_sgpr_dispatch_ptr 0
		.amdhsa_user_sgpr_queue_ptr 0
		.amdhsa_user_sgpr_kernarg_segment_ptr 1
		.amdhsa_user_sgpr_dispatch_id 0
		.amdhsa_user_sgpr_kernarg_preload_length 0
		.amdhsa_user_sgpr_kernarg_preload_offset 0
		.amdhsa_user_sgpr_private_segment_size 0
		.amdhsa_uses_dynamic_stack 0
		.amdhsa_enable_private_segment 0
		.amdhsa_system_sgpr_workgroup_id_x 1
		.amdhsa_system_sgpr_workgroup_id_y 1
		.amdhsa_system_sgpr_workgroup_id_z 1
		.amdhsa_system_sgpr_workgroup_info 0
		.amdhsa_system_vgpr_workitem_id 0
		.amdhsa_next_free_vgpr 54
		.amdhsa_next_free_sgpr 50
		.amdhsa_accum_offset 56
		.amdhsa_reserve_vcc 1
		.amdhsa_float_round_mode_32 0
		.amdhsa_float_round_mode_16_64 0
		.amdhsa_float_denorm_mode_32 3
		.amdhsa_float_denorm_mode_16_64 3
		.amdhsa_dx10_clamp 1
		.amdhsa_ieee_mode 1
		.amdhsa_fp16_overflow 0
		.amdhsa_tg_split 0
		.amdhsa_exception_fp_ieee_invalid_op 0
		.amdhsa_exception_fp_denorm_src 0
		.amdhsa_exception_fp_ieee_div_zero 0
		.amdhsa_exception_fp_ieee_overflow 0
		.amdhsa_exception_fp_ieee_underflow 0
		.amdhsa_exception_fp_ieee_inexact 0
		.amdhsa_exception_int_div_zero 0
	.end_amdhsa_kernel
	.section	.text._Z39paged_attention_ll4mi_QKV_mfma16_kernelI14__hip_bfloat16hLN4vllm18Fp8KVCacheDataTypeE1ES0_Li32ELi64ELi256ELb0ELi14EEvPKT_PKT0_S8_ifPKiSA_SA_iPKfiiiPfSD_PS3_PT2_iSC_SC_,"axG",@progbits,_Z39paged_attention_ll4mi_QKV_mfma16_kernelI14__hip_bfloat16hLN4vllm18Fp8KVCacheDataTypeE1ES0_Li32ELi64ELi256ELb0ELi14EEvPKT_PKT0_S8_ifPKiSA_SA_iPKfiiiPfSD_PS3_PT2_iSC_SC_,comdat
.Lfunc_end1241:
	.size	_Z39paged_attention_ll4mi_QKV_mfma16_kernelI14__hip_bfloat16hLN4vllm18Fp8KVCacheDataTypeE1ES0_Li32ELi64ELi256ELb0ELi14EEvPKT_PKT0_S8_ifPKiSA_SA_iPKfiiiPfSD_PS3_PT2_iSC_SC_, .Lfunc_end1241-_Z39paged_attention_ll4mi_QKV_mfma16_kernelI14__hip_bfloat16hLN4vllm18Fp8KVCacheDataTypeE1ES0_Li32ELi64ELi256ELb0ELi14EEvPKT_PKT0_S8_ifPKiSA_SA_iPKfiiiPfSD_PS3_PT2_iSC_SC_
                                        ; -- End function
	.section	.AMDGPU.csdata,"",@progbits
; Kernel info:
; codeLenInByte = 5004
; NumSgprs: 56
; NumVgprs: 54
; NumAgprs: 0
; TotalNumVgprs: 54
; ScratchSize: 0
; MemoryBound: 0
; FloatMode: 240
; IeeeMode: 1
; LDSByteSize: 8192 bytes/workgroup (compile time only)
; SGPRBlocks: 6
; VGPRBlocks: 6
; NumSGPRsForWavesPerEU: 56
; NumVGPRsForWavesPerEU: 54
; AccumOffset: 56
; Occupancy: 8
; WaveLimiterHint : 1
; COMPUTE_PGM_RSRC2:SCRATCH_EN: 0
; COMPUTE_PGM_RSRC2:USER_SGPR: 2
; COMPUTE_PGM_RSRC2:TRAP_HANDLER: 0
; COMPUTE_PGM_RSRC2:TGID_X_EN: 1
; COMPUTE_PGM_RSRC2:TGID_Y_EN: 1
; COMPUTE_PGM_RSRC2:TGID_Z_EN: 1
; COMPUTE_PGM_RSRC2:TIDIG_COMP_CNT: 0
; COMPUTE_PGM_RSRC3_GFX90A:ACCUM_OFFSET: 13
; COMPUTE_PGM_RSRC3_GFX90A:TG_SPLIT: 0
	.section	.text._Z39paged_attention_ll4mi_QKV_mfma16_kernelI14__hip_bfloat16hLN4vllm18Fp8KVCacheDataTypeE1ES0_Li32ELi64ELi256ELb0ELi15EEvPKT_PKT0_S8_ifPKiSA_SA_iPKfiiiPfSD_PS3_PT2_iSC_SC_,"axG",@progbits,_Z39paged_attention_ll4mi_QKV_mfma16_kernelI14__hip_bfloat16hLN4vllm18Fp8KVCacheDataTypeE1ES0_Li32ELi64ELi256ELb0ELi15EEvPKT_PKT0_S8_ifPKiSA_SA_iPKfiiiPfSD_PS3_PT2_iSC_SC_,comdat
	.protected	_Z39paged_attention_ll4mi_QKV_mfma16_kernelI14__hip_bfloat16hLN4vllm18Fp8KVCacheDataTypeE1ES0_Li32ELi64ELi256ELb0ELi15EEvPKT_PKT0_S8_ifPKiSA_SA_iPKfiiiPfSD_PS3_PT2_iSC_SC_ ; -- Begin function _Z39paged_attention_ll4mi_QKV_mfma16_kernelI14__hip_bfloat16hLN4vllm18Fp8KVCacheDataTypeE1ES0_Li32ELi64ELi256ELb0ELi15EEvPKT_PKT0_S8_ifPKiSA_SA_iPKfiiiPfSD_PS3_PT2_iSC_SC_
	.globl	_Z39paged_attention_ll4mi_QKV_mfma16_kernelI14__hip_bfloat16hLN4vllm18Fp8KVCacheDataTypeE1ES0_Li32ELi64ELi256ELb0ELi15EEvPKT_PKT0_S8_ifPKiSA_SA_iPKfiiiPfSD_PS3_PT2_iSC_SC_
	.p2align	8
	.type	_Z39paged_attention_ll4mi_QKV_mfma16_kernelI14__hip_bfloat16hLN4vllm18Fp8KVCacheDataTypeE1ES0_Li32ELi64ELi256ELb0ELi15EEvPKT_PKT0_S8_ifPKiSA_SA_iPKfiiiPfSD_PS3_PT2_iSC_SC_,@function
_Z39paged_attention_ll4mi_QKV_mfma16_kernelI14__hip_bfloat16hLN4vllm18Fp8KVCacheDataTypeE1ES0_Li32ELi64ELi256ELb0ELi15EEvPKT_PKT0_S8_ifPKiSA_SA_iPKfiiiPfSD_PS3_PT2_iSC_SC_: ; @_Z39paged_attention_ll4mi_QKV_mfma16_kernelI14__hip_bfloat16hLN4vllm18Fp8KVCacheDataTypeE1ES0_Li32ELi64ELi256ELb0ELi15EEvPKT_PKT0_S8_ifPKiSA_SA_iPKfiiiPfSD_PS3_PT2_iSC_SC_
; %bb.0:
	s_load_dwordx2 s[12:13], s[0:1], 0x30
	s_mov_b32 s28, s3
	s_mov_b64 s[6:7], 0
	s_waitcnt lgkmcnt(0)
	s_cmp_lg_u64 s[12:13], 0
	s_cselect_b64 s[14:15], -1, 0
	s_and_b64 vcc, exec, s[14:15]
	s_cbranch_vccz .LBB1242_7
; %bb.1:
	s_add_i32 s8, s2, 1
	s_mov_b32 s9, 0
	s_lshl_b64 s[10:11], s[8:9], 2
	s_add_u32 s10, s12, s10
	s_mov_b32 s3, s9
	s_addc_u32 s11, s13, s11
	s_lshl_b64 s[8:9], s[2:3], 2
	s_add_u32 s8, s12, s8
	s_addc_u32 s9, s13, s9
	s_load_dword s5, s[10:11], 0x0
	s_load_dword s16, s[8:9], 0x0
	s_waitcnt lgkmcnt(0)
	s_sub_i32 s5, s5, s16
	s_cmp_eq_u32 s5, 1
	s_cselect_b64 s[8:9], -1, 0
	s_andn2_b64 vcc, exec, s[6:7]
	s_cbranch_vccnz .LBB1242_3
.LBB1242_2:
	s_mov_b32 s3, 0
	s_mov_b64 s[8:9], -1
.LBB1242_3:
	s_andn2_b64 vcc, exec, s[8:9]
	s_cbranch_vccnz .LBB1242_18
; %bb.4:
	s_load_dwordx2 s[6:7], s[0:1], 0x28
	s_lshl_b64 s[16:17], s[2:3], 2
	s_waitcnt lgkmcnt(0)
	s_add_u32 s6, s6, s16
	s_addc_u32 s7, s7, s17
	s_load_dword s33, s[6:7], 0x0
	s_lshl_b32 s5, s28, 8
	s_waitcnt lgkmcnt(0)
	s_cmp_ge_i32 s5, s33
	s_cbranch_scc1 .LBB1242_18
; %bb.5:
	s_load_dwordx2 s[6:7], s[0:1], 0x20
	s_load_dword s8, s[0:1], 0x38
	s_add_i32 s9, s33, 31
	s_ashr_i32 s10, s9, 31
	v_and_b32_e32 v1, 0xcf, v0
	s_lshr_b32 s10, s10, 27
	v_add_u32_e32 v1, s5, v1
	s_add_i32 s9, s9, s10
	v_ashrrev_i32_e32 v2, 31, v1
	s_ashr_i32 s18, s9, 5
	v_lshrrev_b32_e32 v4, 27, v2
	s_add_i32 s18, s18, -1
	s_waitcnt lgkmcnt(0)
	s_mul_i32 s8, s2, s8
	s_mov_b32 s9, 0
	v_add_u32_e32 v2, v1, v4
	s_lshl_b64 s[8:9], s[8:9], 2
	v_ashrrev_i32_e32 v2, 5, v2
	v_mov_b32_e32 v5, s18
	v_cmp_gt_i32_e32 vcc, s33, v1
	s_add_u32 s6, s6, s8
	s_addc_u32 s7, s7, s9
	v_cndmask_b32_e32 v2, v5, v2, vcc
	v_ashrrev_i32_e32 v3, 31, v2
	v_lshl_add_u64 v[6:7], v[2:3], 2, s[6:7]
	v_or_b32_e32 v2, 16, v1
	v_add_u32_e32 v3, v2, v4
	v_ashrrev_i32_e32 v3, 5, v3
	v_cmp_gt_i32_e32 vcc, s33, v2
	s_load_dwordx4 s[8:11], s[0:1], 0x8
	s_nop 0
	v_cndmask_b32_e32 v2, v5, v3, vcc
	v_ashrrev_i32_e32 v3, 31, v2
	v_lshl_add_u64 v[8:9], v[2:3], 2, s[6:7]
	v_or_b32_e32 v2, 32, v1
	v_add_u32_e32 v3, v2, v4
	v_ashrrev_i32_e32 v3, 5, v3
	v_cmp_gt_i32_e32 vcc, s33, v2
	v_or_b32_e32 v1, 48, v1
	s_nop 0
	v_cndmask_b32_e32 v2, v5, v3, vcc
	v_ashrrev_i32_e32 v3, 31, v2
	v_lshl_add_u64 v[10:11], v[2:3], 2, s[6:7]
	v_add_u32_e32 v2, v1, v4
	v_ashrrev_i32_e32 v2, 5, v2
	v_cmp_gt_i32_e32 vcc, s33, v1
	s_nop 1
	v_cndmask_b32_e32 v2, v5, v2, vcc
	v_ashrrev_i32_e32 v3, 31, v2
	v_lshl_add_u64 v[12:13], v[2:3], 2, s[6:7]
	global_load_dword v2, v[6:7], off
	global_load_dword v5, v[8:9], off
	;; [unrolled: 1-line block ×4, first 2 shown]
	s_andn2_b64 vcc, exec, s[14:15]
	s_cbranch_vccnz .LBB1242_8
; %bb.6:
	s_add_u32 s12, s12, s16
	s_addc_u32 s13, s13, s17
	s_load_dword s14, s[12:13], 0x0
	s_branch .LBB1242_9
.LBB1242_7:
	s_mov_b64 s[8:9], 0
	s_branch .LBB1242_2
.LBB1242_8:
	s_mov_b32 s14, s2
.LBB1242_9:
	s_load_dwordx4 s[44:47], s[0:1], 0x48
	v_lshrrev_b32_e32 v29, 6, v0
	v_bfe_u32 v42, v0, 4, 2
	v_lshl_or_b32 v3, v29, 2, v42
	v_and_b32_e32 v28, 15, v0
	v_lshlrev_b32_e32 v1, 3, v28
	v_cmp_gt_u32_e32 vcc, 15, v3
	v_cmp_gt_u32_e64 s[30:31], 8, v28
	v_and_b32_e32 v43, 63, v0
	s_mul_i32 s48, s4, 15
	s_and_b64 s[16:17], s[30:31], vcc
	v_lshlrev_b32_e32 v26, 1, v1
	v_lshlrev_b32_e32 v1, 4, v0
	s_and_saveexec_b64 s[12:13], s[16:17]
	s_cbranch_execz .LBB1242_11
; %bb.10:
	s_load_dwordx2 s[16:17], s[0:1], 0x0
	s_waitcnt lgkmcnt(0)
	s_ashr_i32 s15, s44, 31
	s_mul_hi_u32 s19, s14, s44
	s_mul_i32 s15, s14, s15
	s_add_i32 s15, s19, s15
	s_mul_i32 s14, s14, s44
	s_lshl_b64 s[14:15], s[14:15], 1
	s_add_u32 s14, s16, s14
	v_add_lshl_u32 v6, v3, s48, 6
	s_addc_u32 s15, s17, s15
	v_ashrrev_i32_e32 v7, 31, v6
	v_lshl_add_u64 v[6:7], v[6:7], 1, s[14:15]
	v_mov_b32_e32 v27, 0
	v_lshl_add_u64 v[6:7], v[6:7], 0, v[26:27]
	global_load_dwordx4 v[6:9], v[6:7], off
	v_lshlrev_b32_e32 v11, 8, v28
	v_lshlrev_b32_e32 v3, 5, v3
	v_and_b32_e32 v10, 16, v1
	v_and_b32_e32 v11, 0xe00, v11
	v_or3_b32 v3, v11, v3, v10
	s_waitcnt vmcnt(0)
	ds_write_b128 v3, v[6:9]
.LBB1242_11:
	s_or_b64 exec, exec, s[12:13]
	s_waitcnt lgkmcnt(0)
	s_mul_i32 s4, s4, s46
	s_add_u32 s8, s8, s4
	s_addc_u32 s9, s9, 0
	v_mov_b32_e32 v31, 0
	v_mov_b64_e32 v[18:19], s[8:9]
	v_and_b32_e32 v8, 48, v0
	s_waitcnt vmcnt(3)
	v_mad_i64_i32 v[6:7], s[8:9], v2, s45, v[18:19]
	v_lshlrev_b32_e32 v2, 4, v28
	v_mov_b32_e32 v3, v31
	v_lshlrev_b32_e32 v30, 5, v8
	v_lshl_add_u64 v[6:7], v[6:7], 0, v[2:3]
	v_lshl_add_u64 v[6:7], v[6:7], 0, v[30:31]
	s_load_dword s29, s[0:1], 0x98
	s_load_dwordx4 s[40:43], s[0:1], 0x80
	s_waitcnt lgkmcnt(0)
	s_barrier
	global_load_dwordx4 v[10:13], v[6:7], off
	s_waitcnt vmcnt(3)
	v_mad_i64_i32 v[6:7], s[8:9], v5, s45, v[18:19]
	v_or_b32_e32 v32, 0x100, v2
	v_mov_b32_e32 v33, v31
	v_lshl_add_u64 v[6:7], v[6:7], 0, v[32:33]
	v_lshl_add_u64 v[6:7], v[6:7], 0, v[30:31]
	global_load_dwordx4 v[14:17], v[6:7], off
	s_ashr_i32 s8, s5, 31
	v_or_b32_e32 v21, s5, v8
	s_lshr_b32 s12, s8, 27
	v_add_u32_e32 v5, s12, v21
	v_ashrrev_i32_e32 v5, 5, v5
	v_mov_b32_e32 v35, s18
	v_cmp_gt_i32_e32 vcc, s33, v21
	v_or_b32_e32 v36, 64, v21
	v_or_b32_e32 v37, 0x80, v21
	v_cndmask_b32_e32 v8, v35, v5, vcc
	v_cmp_ne_u32_e32 vcc, 15, v28
	v_ashrrev_i32_e32 v9, 31, v8
	v_lshl_add_u64 v[8:9], v[8:9], 2, s[6:7]
	v_cndmask_b32_e32 v5, 0, v28, vcc
	v_lshlrev_b32_e32 v5, 5, v5
	v_lshl_or_b32 v34, v42, 9, v5
	s_waitcnt vmcnt(3)
	v_mad_i64_i32 v[4:5], s[8:9], v4, s45, v[18:19]
	v_lshl_add_u64 v[2:3], v[4:5], 0, v[2:3]
	v_lshl_add_u64 v[2:3], v[2:3], 0, v[30:31]
	global_load_dwordx4 v[22:25], v[2:3], off
	s_waitcnt vmcnt(3)
	v_mad_i64_i32 v[18:19], s[8:9], v20, s45, v[18:19]
	v_add_u32_e32 v20, s12, v36
	global_load_dword v47, v[8:9], off
	ds_read_b128 v[6:9], v34
	ds_read_b128 v[2:5], v34 offset:16
	v_add_u32_e32 v34, s12, v37
	v_lshl_add_u64 v[18:19], v[18:19], 0, v[32:33]
	v_ashrrev_i32_e32 v20, 5, v20
	v_cmp_gt_i32_e32 vcc, s33, v36
	v_or_b32_e32 v21, 0xc0, v21
	v_ashrrev_i32_e32 v33, 5, v34
	v_lshl_add_u64 v[18:19], v[18:19], 0, v[30:31]
	v_cndmask_b32_e32 v32, v35, v20, vcc
	v_cmp_gt_i32_e32 vcc, s33, v37
	v_add_u32_e32 v38, s12, v21
	v_ashrrev_i32_e32 v38, 5, v38
	v_cndmask_b32_e32 v34, v35, v33, vcc
	v_cmp_gt_i32_e32 vcc, s33, v21
	global_load_dwordx4 v[18:21], v[18:19], off
	v_ashrrev_i32_e32 v33, 31, v32
	v_cndmask_b32_e32 v36, v35, v38, vcc
	v_ashrrev_i32_e32 v35, 31, v34
	v_ashrrev_i32_e32 v37, 31, v36
	v_lshl_add_u64 v[32:33], v[32:33], 2, s[6:7]
	v_lshl_add_u64 v[34:35], v[34:35], 2, s[6:7]
	;; [unrolled: 1-line block ×3, first 2 shown]
	global_load_dword v46, v[32:33], off
	global_load_dword v44, v[34:35], off
	;; [unrolled: 1-line block ×3, first 2 shown]
	s_mov_b32 s44, 0x7060302
	s_add_u32 s8, s10, s4
	v_lshlrev_b32_e32 v27, 5, v28
	s_addc_u32 s9, s11, 0
	v_and_b32_e32 v30, 16, v0
	v_lshl_add_u64 v[38:39], s[8:9], 0, v[30:31]
	v_lshl_or_b32 v30, v29, 9, v27
	v_lshl_add_u64 v[30:31], v[38:39], 0, v[30:31]
	s_load_dword s13, s[0:1], 0x1c
	s_load_dword s4, s[40:41], 0x0
	s_mov_b32 s46, 0xff7fffff
	s_waitcnt vmcnt(7)
	v_cvt_pk_f32_fp8_e32 v[32:33], v10
	v_cvt_pk_f32_fp8_sdwa v[34:35], v10 src0_sel:WORD_1
	v_cvt_pk_f32_fp8_e32 v[36:37], v11
	v_cvt_pk_f32_fp8_sdwa v[10:11], v11 src0_sel:WORD_1
	v_perm_b32 v32, v33, v32, s44
	v_perm_b32 v33, v35, v34, s44
	v_cvt_pk_f32_fp8_e32 v[38:39], v12
	v_cvt_pk_f32_fp8_sdwa v[40:41], v12 src0_sel:WORD_1
	v_perm_b32 v36, v37, v36, s44
	v_perm_b32 v37, v11, v10, s44
	s_waitcnt lgkmcnt(0)
	v_mfma_f32_16x16x16_bf16 v[32:35], v[32:33], v[6:7], 0
	v_cvt_pk_f32_fp8_e32 v[48:49], v13
	v_perm_b32 v38, v39, v38, s44
	v_perm_b32 v39, v41, v40, s44
	v_cvt_pk_f32_fp8_sdwa v[12:13], v13 src0_sel:WORD_1
	v_mfma_f32_16x16x16_bf16 v[32:35], v[36:37], v[8:9], v[32:35]
	v_perm_b32 v36, v49, v48, s44
	s_waitcnt vmcnt(6)
	v_cvt_pk_f32_fp8_sdwa v[40:41], v16 src0_sel:WORD_1
	v_perm_b32 v37, v13, v12, s44
	v_mfma_f32_16x16x16_bf16 v[32:35], v[38:39], v[2:3], v[32:35]
	v_cvt_pk_f32_fp8_e32 v[12:13], v14
	v_cvt_pk_f32_fp8_sdwa v[38:39], v14 src0_sel:WORD_1
	v_perm_b32 v12, v13, v12, s44
	v_mfma_f32_16x16x16_bf16 v[32:35], v[36:37], v[4:5], v[32:35]
	v_cvt_pk_f32_fp8_e32 v[36:37], v15
	v_perm_b32 v13, v39, v38, s44
	v_cvt_pk_f32_fp8_sdwa v[14:15], v15 src0_sel:WORD_1
	v_cvt_pk_f32_fp8_e32 v[38:39], v16
	v_perm_b32 v36, v37, v36, s44
	s_waitcnt vmcnt(5)
	v_cvt_pk_f32_fp8_e32 v[48:49], v24
	v_perm_b32 v37, v15, v14, s44
	v_mfma_f32_16x16x16_bf16 v[12:15], v[12:13], v[6:7], 0
	v_perm_b32 v38, v39, v38, s44
	v_perm_b32 v39, v41, v40, s44
	v_cvt_pk_f32_fp8_e32 v[40:41], v17
	v_cvt_pk_f32_fp8_sdwa v[16:17], v17 src0_sel:WORD_1
	v_mfma_f32_16x16x16_bf16 v[12:15], v[36:37], v[8:9], v[12:15]
	v_cvt_pk_f32_fp8_sdwa v[50:51], v24 src0_sel:WORD_1
	v_perm_b32 v36, v41, v40, s44
	v_perm_b32 v37, v17, v16, s44
	v_mfma_f32_16x16x16_bf16 v[12:15], v[38:39], v[2:3], v[12:15]
	v_cvt_pk_f32_fp8_e32 v[16:17], v22
	v_cvt_pk_f32_fp8_sdwa v[38:39], v22 src0_sel:WORD_1
	s_waitcnt vmcnt(4)
	v_mad_i64_i32 v[10:11], s[6:7], v47, s45, v[30:31]
	v_mfma_f32_16x16x16_bf16 v[12:15], v[36:37], v[4:5], v[12:15]
	v_cvt_pk_f32_fp8_e32 v[36:37], v23
	v_perm_b32 v16, v17, v16, s44
	v_perm_b32 v17, v39, v38, s44
	v_cvt_pk_f32_fp8_sdwa v[22:23], v23 src0_sel:WORD_1
	v_perm_b32 v40, v37, v36, s44
	v_mfma_f32_16x16x16_bf16 v[36:39], v[16:17], v[6:7], 0
	v_perm_b32 v41, v23, v22, s44
	v_perm_b32 v16, v49, v48, s44
	;; [unrolled: 1-line block ×3, first 2 shown]
	v_cvt_pk_f32_fp8_e32 v[48:49], v25
	v_cvt_pk_f32_fp8_sdwa v[24:25], v25 src0_sel:WORD_1
	v_mfma_f32_16x16x16_bf16 v[36:39], v[40:41], v[8:9], v[36:39]
	v_mov_b32_e32 v47, s13
	v_mul_f32_e32 v52, s4, v47
	v_perm_b32 v41, v25, v24, s44
	v_mfma_f32_16x16x16_bf16 v[36:39], v[16:17], v[2:3], v[36:39]
	s_waitcnt vmcnt(3)
	v_cvt_pk_f32_fp8_e32 v[16:17], v18
	v_cvt_pk_f32_fp8_sdwa v[24:25], v18 src0_sel:WORD_1
	v_perm_b32 v40, v49, v48, s44
	v_pk_mul_f32 v[22:23], v[52:53], v[34:35] op_sel_hi:[0,1]
	v_pk_mul_f32 v[34:35], v[52:53], v[32:33] op_sel_hi:[0,1]
	v_cvt_pk_f32_fp8_e32 v[32:33], v19
	v_perm_b32 v16, v17, v16, s44
	v_perm_b32 v17, v25, v24, s44
	v_cvt_pk_f32_fp8_sdwa v[18:19], v19 src0_sel:WORD_1
	v_mfma_f32_16x16x16_bf16 v[48:51], v[40:41], v[4:5], v[36:39]
	v_perm_b32 v24, v33, v32, s44
	v_cvt_pk_f32_fp8_e32 v[32:33], v20
	v_perm_b32 v25, v19, v18, s44
	v_cvt_pk_f32_fp8_sdwa v[36:37], v20 src0_sel:WORD_1
	v_mfma_f32_16x16x16_bf16 v[16:19], v[16:17], v[6:7], 0
	v_perm_b32 v32, v33, v32, s44
	v_cvt_pk_f32_fp8_e32 v[38:39], v21
	v_perm_b32 v33, v37, v36, s44
	v_cvt_pk_f32_fp8_sdwa v[20:21], v21 src0_sel:WORD_1
	v_mfma_f32_16x16x16_bf16 v[6:9], v[24:25], v[8:9], v[16:19]
	v_pk_mul_f32 v[36:37], v[52:53], v[14:15] op_sel_hi:[0,1]
	v_perm_b32 v14, v39, v38, s44
	v_perm_b32 v15, v21, v20, s44
	v_mfma_f32_16x16x16_bf16 v[6:9], v[32:33], v[2:3], v[6:9]
	v_pk_mul_f32 v[40:41], v[52:53], v[12:13] op_sel_hi:[0,1]
	v_pk_mul_f32 v[38:39], v[52:53], v[48:49] op_sel_hi:[0,1]
	;; [unrolled: 1-line block ×3, first 2 shown]
	v_mfma_f32_16x16x16_bf16 v[2:5], v[14:15], v[4:5], v[6:9]
	s_nop 6
	v_pk_mul_f32 v[24:25], v[52:53], v[2:3] op_sel_hi:[0,1]
	v_and_b32_e32 v2, 0xc0, v0
	v_add_u32_e32 v2, s5, v2
	v_lshl_or_b32 v2, v42, 2, v2
	v_pk_mul_f32 v[18:19], v[52:53], v[4:5] op_sel_hi:[0,1]
	v_or_b32_e32 v5, 1, v2
	v_mov_b32_e32 v3, 0xff7fffff
	v_cmp_gt_i32_e64 s[4:5], s33, v2
	v_cmp_gt_i32_e64 s[34:35], s33, v5
	v_or_b32_e32 v6, 3, v2
	v_cndmask_b32_e64 v4, v3, v34, s[4:5]
	v_cndmask_b32_e64 v5, v3, v35, s[34:35]
	v_max3_f32 v4, v4, s46, v5
	v_or_b32_e32 v5, 2, v2
	v_cmp_gt_i32_e64 s[36:37], s33, v5
	v_cmp_gt_i32_e64 s[38:39], s33, v6
	s_nop 0
	v_cndmask_b32_e64 v5, v3, v22, s[36:37]
	v_cndmask_b32_e64 v6, v3, v23, s[38:39]
	v_max3_f32 v4, v4, v5, v6
	v_or_b32_e32 v5, 16, v2
	v_or_b32_e32 v6, 17, v2
	v_cmp_gt_i32_e64 s[24:25], s33, v5
	v_cmp_gt_i32_e64 s[26:27], s33, v6
	s_nop 0
	v_cndmask_b32_e64 v5, v3, v40, s[24:25]
	v_cndmask_b32_e64 v6, v3, v41, s[26:27]
	v_max3_f32 v4, v4, v5, v6
	v_or_b32_e32 v5, 18, v2
	;; [unrolled: 8-line block ×6, first 2 shown]
	v_or_b32_e32 v2, 51, v2
	v_cmp_gt_i32_e32 vcc, s33, v5
	v_cmp_gt_i32_e64 s[6:7], s33, v2
	s_nop 0
	v_cndmask_b32_e32 v5, v3, v18, vcc
	v_cndmask_b32_e64 v2, v3, v19, s[6:7]
	v_max3_f32 v4, v4, v5, v2
	v_mbcnt_lo_u32_b32 v2, -1, 0
	v_mbcnt_hi_u32_b32 v5, -1, v2
	v_and_b32_e32 v2, 64, v5
	v_add_u32_e32 v6, 64, v2
	v_xor_b32_e32 v2, 32, v5
	v_cmp_lt_i32_e64 s[40:41], v2, v6
	s_nop 1
	v_cndmask_b32_e64 v2, v5, v2, s[40:41]
	v_lshlrev_b32_e32 v47, 2, v2
	ds_bpermute_b32 v7, v47, v4
	s_waitcnt vmcnt(2)
	v_mad_i64_i32 v[2:3], s[40:41], v46, s45, v[30:31]
	global_load_dwordx4 v[14:17], v[10:11], off
	s_nop 0
	global_load_dwordx4 v[10:13], v[2:3], off
	v_xor_b32_e32 v3, 16, v5
	v_cmp_lt_i32_e64 s[40:41], v3, v6
	s_waitcnt lgkmcnt(0)
	v_max_f32_e32 v2, v7, v7
	v_max_f32_e32 v2, v4, v2
	v_cndmask_b32_e64 v3, v5, v3, s[40:41]
	v_lshlrev_b32_e32 v46, 2, v3
	ds_bpermute_b32 v3, v46, v2
	s_waitcnt vmcnt(3)
	v_mad_i64_i32 v[20:21], s[40:41], v44, s45, v[30:31]
	s_waitcnt vmcnt(2)
	v_mad_i64_i32 v[30:31], s[40:41], v45, s45, v[30:31]
	s_waitcnt lgkmcnt(0)
	v_max_f32_e32 v3, v3, v3
	v_max_f32_e32 v44, v2, v3
	v_sub_f32_e32 v2, v34, v44
	v_mul_f32_e32 v2, 0x3fb8aa3b, v2
	v_exp_f32_e32 v34, v2
	v_sub_f32_e32 v2, v35, v44
	v_mul_f32_e32 v2, 0x3fb8aa3b, v2
	v_exp_f32_e32 v35, v2
	global_load_dwordx4 v[6:9], v[20:21], off
	global_load_dwordx4 v[2:5], v[30:31], off
	v_sub_f32_e32 v22, v22, v44
	v_mul_f32_e32 v22, 0x3fb8aa3b, v22
	v_sub_f32_e32 v23, v23, v44
	v_exp_f32_e32 v22, v22
	v_mul_f32_e32 v23, 0x3fb8aa3b, v23
	v_exp_f32_e32 v23, v23
	v_cndmask_b32_e64 v20, 0, v34, s[4:5]
	v_add_f32_e32 v30, 0, v20
	v_cndmask_b32_e64 v21, 0, v35, s[34:35]
	v_add_f32_e32 v30, v30, v21
	;; [unrolled: 2-line block ×3, first 2 shown]
	v_cndmask_b32_e64 v35, 0, v23, s[38:39]
	v_sub_f32_e32 v23, v40, v44
	v_sub_f32_e32 v30, v41, v44
	v_mul_f32_e32 v23, 0x3fb8aa3b, v23
	v_mul_f32_e32 v30, 0x3fb8aa3b, v30
	v_exp_f32_e32 v23, v23
	v_exp_f32_e32 v30, v30
	v_add_f32_e32 v31, v22, v35
	v_sub_f32_e32 v32, v32, v44
	v_cndmask_b32_e64 v22, 0, v23, s[24:25]
	v_cndmask_b32_e64 v23, 0, v30, s[26:27]
	v_sub_f32_e32 v30, v36, v44
	v_mul_f32_e32 v30, 0x3fb8aa3b, v30
	v_exp_f32_e32 v30, v30
	v_sub_f32_e32 v36, v37, v44
	v_add_f32_e32 v31, v31, v22
	v_mul_f32_e32 v36, 0x3fb8aa3b, v36
	v_exp_f32_e32 v37, v36
	v_add_f32_e32 v31, v31, v23
	v_cndmask_b32_e64 v36, 0, v30, s[20:21]
	v_add_f32_e32 v30, v31, v36
	v_sub_f32_e32 v31, v38, v44
	v_mul_f32_e32 v31, 0x3fb8aa3b, v31
	v_sub_f32_e32 v38, v39, v44
	v_exp_f32_e32 v31, v31
	v_mul_f32_e32 v38, 0x3fb8aa3b, v38
	v_exp_f32_e32 v38, v38
	v_mul_f32_e32 v32, 0x3fb8aa3b, v32
	v_sub_f32_e32 v33, v33, v44
	v_exp_f32_e32 v32, v32
	v_mul_f32_e32 v33, 0x3fb8aa3b, v33
	v_sub_f32_e32 v24, v24, v44
	v_cndmask_b32_e64 v37, 0, v37, s[22:23]
	v_exp_f32_e32 v33, v33
	v_mul_f32_e32 v24, 0x3fb8aa3b, v24
	v_sub_f32_e32 v25, v25, v44
	v_add_f32_e32 v39, v30, v37
	v_cndmask_b32_e64 v30, 0, v31, s[16:17]
	v_exp_f32_e32 v24, v24
	v_mul_f32_e32 v25, 0x3fb8aa3b, v25
	v_sub_f32_e32 v18, v18, v44
	v_add_f32_e32 v39, v39, v30
	;; [unrolled: 5-line block ×3, first 2 shown]
	v_cndmask_b32_e64 v32, 0, v32, s[12:13]
	v_exp_f32_e32 v18, v18
	v_mul_f32_e32 v19, 0x3fb8aa3b, v19
	v_add_f32_e32 v38, v38, v32
	v_cndmask_b32_e64 v33, 0, v33, s[14:15]
	v_exp_f32_e32 v19, v19
	v_add_f32_e32 v38, v38, v33
	v_cndmask_b32_e64 v24, 0, v24, s[8:9]
	v_add_f32_e32 v38, v38, v24
	v_cndmask_b32_e64 v25, 0, v25, s[10:11]
	v_add_f32_e32 v38, v38, v25
	v_cndmask_b32_e32 v18, 0, v18, vcc
	v_add_f32_e32 v38, v38, v18
	v_cndmask_b32_e64 v19, 0, v19, s[6:7]
	v_add_f32_e32 v38, v38, v19
	ds_bpermute_b32 v39, v47, v38
	v_cmp_gt_u32_e32 vcc, 16, v43
	s_waitcnt lgkmcnt(0)
	s_barrier
	v_add_f32_e32 v38, v38, v39
	ds_bpermute_b32 v40, v46, v38
	v_lshlrev_b32_e32 v39, 2, v28
	s_and_saveexec_b64 s[4:5], vcc
	s_cbranch_execz .LBB1242_13
; %bb.12:
	s_waitcnt lgkmcnt(0)
	v_add_f32_e32 v38, v38, v40
	v_lshl_or_b32 v40, v29, 6, v39
	ds_write2st64_b32 v40, v44, v38 offset1:1
.LBB1242_13:
	s_or_b64 exec, exec, s[4:5]
	s_load_dword s6, s[0:1], 0x94
	s_waitcnt lgkmcnt(0)
	s_barrier
	ds_read2_b32 v[40:41], v39 offset1:16
	ds_read2_b32 v[44:45], v39 offset0:32 offset1:48
	ds_read2_b32 v[46:47], v39 offset0:64 offset1:80
	s_movk_i32 s8, 0x7fff
	s_mul_i32 s7, s29, 15
	s_waitcnt lgkmcnt(2)
	v_max3_f32 v38, v40, s46, v41
	s_waitcnt lgkmcnt(1)
	v_max3_f32 v38, v38, v44, v45
	v_sub_f32_e32 v40, v40, v38
	v_mul_f32_e32 v40, 0x3fb8aa3b, v40
	v_exp_f32_e32 v43, v40
	v_sub_f32_e32 v40, v41, v38
	v_mul_f32_e32 v40, 0x3fb8aa3b, v40
	v_exp_f32_e32 v48, v40
	;; [unrolled: 3-line block ×3, first 2 shown]
	ds_read2_b32 v[40:41], v39 offset0:96 offset1:112
	v_sub_f32_e32 v39, v45, v38
	v_mul_f32_e32 v39, 0x3fb8aa3b, v39
	v_exp_f32_e32 v45, v39
	s_waitcnt lgkmcnt(1)
	v_fma_f32 v39, v43, v46, 0
	v_fmac_f32_e32 v39, v48, v47
	s_waitcnt lgkmcnt(0)
	v_fmac_f32_e32 v39, v44, v40
	v_fmac_f32_e32 v39, v45, v41
	v_add_f32_e32 v40, 0x358637bd, v39
	v_div_scale_f32 v41, s[4:5], v40, v40, 1.0
	v_rcp_f32_e32 v46, v41
	s_barrier
	v_fma_f32 v47, -v41, v46, 1.0
	v_fmac_f32_e32 v46, v47, v46
	v_div_scale_f32 v47, vcc, 1.0, v40, 1.0
	v_mul_f32_e32 v49, v47, v46
	v_fma_f32 v50, -v41, v49, v47
	v_fmac_f32_e32 v49, v50, v46
	v_fma_f32 v41, -v41, v49, v47
	v_div_fmas_f32 v41, v41, v46, v49
	v_cmp_eq_u32_e32 vcc, 1, v29
	v_div_fixup_f32 v40, v41, v40, 1.0
	s_nop 0
	v_cndmask_b32_e32 v41, v43, v48, vcc
	v_cmp_eq_u32_e32 vcc, 2, v29
	s_nop 1
	v_cndmask_b32_e32 v41, v41, v44, vcc
	v_cmp_eq_u32_e32 vcc, 3, v29
	s_nop 1
	v_cndmask_b32_e32 v41, v41, v45, vcc
	v_mul_f32_e32 v40, v41, v40
	v_pk_mul_f32 v[20:21], v[40:41], v[20:21] op_sel_hi:[0,1]
	v_pk_mul_f32 v[34:35], v[40:41], v[34:35] op_sel_hi:[0,1]
	v_bfe_u32 v41, v21, 16, 1
	v_bfe_u32 v43, v20, 16, 1
	v_add3_u32 v20, v20, v43, s8
	v_add3_u32 v21, v21, v41, s8
	v_perm_b32 v44, v21, v20, s44
	v_bfe_u32 v20, v35, 16, 1
	v_bfe_u32 v21, v34, 16, 1
	v_add3_u32 v21, v34, v21, s8
	v_add3_u32 v20, v35, v20, s8
	v_perm_b32 v45, v20, v21, s44
	v_lshlrev_b32_e32 v20, 3, v42
	v_lshlrev_b32_e32 v21, 11, v29
	v_pk_mul_f32 v[22:23], v[40:41], v[22:23] op_sel_hi:[0,1]
	v_or3_b32 v20, v21, v27, v20
	v_bfe_u32 v21, v23, 16, 1
	v_bfe_u32 v29, v22, 16, 1
	v_pk_mul_f32 v[34:35], v[40:41], v[36:37] op_sel_hi:[0,1]
	v_add3_u32 v22, v22, v29, s8
	v_add3_u32 v21, v23, v21, s8
	v_perm_b32 v22, v21, v22, s44
	v_bfe_u32 v21, v35, 16, 1
	v_bfe_u32 v23, v34, 16, 1
	v_add3_u32 v23, v34, v23, s8
	v_add3_u32 v21, v35, v21, s8
	v_pk_mul_f32 v[30:31], v[40:41], v[30:31] op_sel_hi:[0,1]
	v_perm_b32 v23, v21, v23, s44
	v_bfe_u32 v21, v31, 16, 1
	v_bfe_u32 v29, v30, 16, 1
	ds_write2st64_b64 v20, v[44:45], v[22:23] offset1:1
	v_pk_mul_f32 v[22:23], v[40:41], v[32:33] op_sel_hi:[0,1]
	v_add3_u32 v29, v30, v29, s8
	v_add3_u32 v21, v31, v21, s8
	v_perm_b32 v30, v21, v29, s44
	v_bfe_u32 v21, v23, 16, 1
	v_bfe_u32 v29, v22, 16, 1
	v_add3_u32 v22, v22, v29, s8
	v_add3_u32 v21, v23, v21, s8
	v_perm_b32 v31, v21, v22, s44
	v_pk_mul_f32 v[22:23], v[40:41], v[24:25] op_sel_hi:[0,1]
	v_bfe_u32 v21, v23, 16, 1
	v_bfe_u32 v24, v22, 16, 1
	v_pk_mul_f32 v[18:19], v[40:41], v[18:19] op_sel_hi:[0,1]
	v_add3_u32 v22, v22, v24, s8
	v_add3_u32 v21, v23, v21, s8
	v_perm_b32 v22, v21, v22, s44
	v_bfe_u32 v21, v19, 16, 1
	v_bfe_u32 v23, v18, 16, 1
	v_add3_u32 v18, v18, v23, s8
	v_add3_u32 v19, v19, v21, s8
	v_perm_b32 v23, v19, v18, s44
	v_cmp_gt_u32_e32 vcc, 15, v0
	ds_write2st64_b64 v20, v[30:31], v[22:23] offset0:2 offset1:3
	s_and_saveexec_b64 s[4:5], vcc
	s_cbranch_execz .LBB1242_15
; %bb.14:
	s_mov_b32 s49, 0
	v_mov_b32_e32 v29, 0
	v_lshl_add_u64 v[18:19], s[48:49], 0, v[28:29]
	v_mov_b32_e32 v21, s7
	v_mad_u64_u32 v[18:19], s[10:11], s2, v21, v[18:19]
	s_mul_i32 s3, s3, s7
	v_mov_b32_e32 v28, s28
	s_load_dwordx4 s[12:15], s[0:1], 0x58
	v_add_u32_e32 v21, s3, v19
	v_mad_u64_u32 v[18:19], s[10:11], v18, s6, v[28:29]
	v_mov_b32_e32 v22, v19
	v_mad_u64_u32 v[22:23], s[10:11], v21, s6, v[22:23]
	v_mov_b32_e32 v19, v22
	v_lshlrev_b64 v[18:19], 2, v[18:19]
	s_waitcnt lgkmcnt(0)
	v_lshl_add_u64 v[22:23], s[14:15], 0, v[18:19]
	v_lshl_add_u64 v[18:19], s[12:13], 0, v[18:19]
	global_store_dword v[22:23], v38, off
	global_store_dword v[18:19], v39, off
.LBB1242_15:
	s_or_b64 exec, exec, s[4:5]
	s_waitcnt vmcnt(3)
	v_cvt_pk_f32_fp8_e32 v[18:19], v14
	v_cvt_pk_f32_fp8_sdwa v[22:23], v14 src0_sel:WORD_1
	s_mov_b32 s4, 0x7060302
	v_lshl_or_b32 v14, v42, 9, v27
	s_waitcnt lgkmcnt(0)
	s_barrier
	v_perm_b32 v18, v19, v18, s4
	v_perm_b32 v19, v23, v22, s4
	v_cvt_pk_f32_fp8_e32 v[28:29], v15
	ds_read_b128 v[22:25], v14
	v_cvt_pk_f32_fp8_sdwa v[36:37], v15 src0_sel:WORD_1
	s_load_dword s10, s[42:43], 0x0
	v_perm_b32 v38, v29, v28, s4
	ds_read_b128 v[28:31], v14 offset:16
	v_perm_b32 v39, v37, v36, s4
	s_waitcnt lgkmcnt(0)
	v_mfma_f32_16x16x16_bf16 v[32:35], v[18:19], v[22:23], 0
	v_cvt_pk_f32_fp8_e32 v[18:19], v16
	v_cvt_pk_f32_fp8_sdwa v[36:37], v16 src0_sel:WORD_1
	v_cmp_gt_u32_e32 vcc, 64, v0
	v_mfma_f32_16x16x16_bf16 v[22:25], v[38:39], v[24:25], v[32:35]
	v_perm_b32 v18, v19, v18, s4
	v_perm_b32 v19, v37, v36, s4
	s_waitcnt vmcnt(2)
	v_cvt_pk_f32_fp8_sdwa v[36:37], v10 src0_sel:WORD_1
	v_cvt_pk_f32_fp8_e32 v[32:33], v17
	v_cvt_pk_f32_fp8_sdwa v[16:17], v17 src0_sel:WORD_1
	v_cvt_pk_f32_fp8_e32 v[34:35], v10
	s_mov_b32 s3, 0
	v_perm_b32 v32, v33, v32, s4
	v_perm_b32 v33, v17, v16, s4
	v_mfma_f32_16x16x16_bf16 v[16:19], v[18:19], v[28:29], v[22:25]
	v_perm_b32 v34, v35, v34, s4
	v_perm_b32 v35, v37, v36, s4
	v_cvt_pk_f32_fp8_e32 v[28:29], v11
	ds_read_b128 v[22:25], v14 offset:2048
	v_cvt_pk_f32_fp8_sdwa v[10:11], v11 src0_sel:WORD_1
	v_mfma_f32_16x16x16_bf16 v[16:19], v[32:33], v[30:31], v[16:19]
	v_perm_b32 v32, v29, v28, s4
	ds_read_b128 v[28:31], v14 offset:2064
	v_perm_b32 v33, v11, v10, s4
	s_waitcnt lgkmcnt(1)
	v_mfma_f32_16x16x16_bf16 v[16:19], v[34:35], v[22:23], v[16:19]
	v_cvt_pk_f32_fp8_e32 v[10:11], v12
	v_cvt_pk_f32_fp8_sdwa v[22:23], v12 src0_sel:WORD_1
	v_mov_b32_e32 v27, 0
	v_mfma_f32_16x16x16_bf16 v[16:19], v[32:33], v[24:25], v[16:19]
	v_cvt_pk_f32_fp8_e32 v[24:25], v13
	v_perm_b32 v10, v11, v10, s4
	v_perm_b32 v11, v23, v22, s4
	v_cvt_pk_f32_fp8_sdwa v[12:13], v13 src0_sel:WORD_1
	v_perm_b32 v22, v25, v24, s4
	s_waitcnt vmcnt(1)
	v_cvt_pk_f32_fp8_e32 v[24:25], v6
	v_cvt_pk_f32_fp8_sdwa v[32:33], v6 src0_sel:WORD_1
	v_perm_b32 v23, v13, v12, s4
	s_waitcnt lgkmcnt(0)
	v_mfma_f32_16x16x16_bf16 v[10:13], v[10:11], v[28:29], v[16:19]
	v_perm_b32 v28, v25, v24, s4
	v_perm_b32 v29, v33, v32, s4
	v_cvt_pk_f32_fp8_e32 v[24:25], v7
	ds_read_b128 v[16:19], v14 offset:4096
	v_cvt_pk_f32_fp8_sdwa v[6:7], v7 src0_sel:WORD_1
	v_mfma_f32_16x16x16_bf16 v[10:13], v[22:23], v[30:31], v[10:13]
	v_perm_b32 v30, v25, v24, s4
	ds_read_b128 v[22:25], v14 offset:4112
	v_perm_b32 v31, v7, v6, s4
	s_waitcnt lgkmcnt(1)
	v_mfma_f32_16x16x16_bf16 v[10:13], v[28:29], v[16:17], v[10:13]
	v_cvt_pk_f32_fp8_e32 v[6:7], v8
	v_cvt_pk_f32_fp8_sdwa v[16:17], v8 src0_sel:WORD_1
	s_waitcnt vmcnt(0)
	v_cvt_pk_f32_fp8_sdwa v[28:29], v2 src0_sel:WORD_1
	v_mfma_f32_16x16x16_bf16 v[10:13], v[30:31], v[18:19], v[10:13]
	v_cvt_pk_f32_fp8_e32 v[18:19], v9
	v_perm_b32 v6, v7, v6, s4
	v_perm_b32 v7, v17, v16, s4
	v_cvt_pk_f32_fp8_sdwa v[8:9], v9 src0_sel:WORD_1
	v_perm_b32 v16, v19, v18, s4
	v_cvt_pk_f32_fp8_e32 v[18:19], v2
	v_perm_b32 v17, v9, v8, s4
	s_waitcnt lgkmcnt(0)
	v_mfma_f32_16x16x16_bf16 v[6:9], v[6:7], v[22:23], v[10:13]
	v_perm_b32 v18, v19, v18, s4
	v_perm_b32 v19, v29, v28, s4
	v_cvt_pk_f32_fp8_e32 v[22:23], v3
	ds_read_b128 v[10:13], v14 offset:6144
	v_cvt_pk_f32_fp8_sdwa v[2:3], v3 src0_sel:WORD_1
	v_mfma_f32_16x16x16_bf16 v[6:9], v[16:17], v[24:25], v[6:9]
	v_perm_b32 v22, v23, v22, s4
	ds_read_b128 v[14:17], v14 offset:6160
	v_perm_b32 v23, v3, v2, s4
	s_waitcnt lgkmcnt(1)
	v_mfma_f32_16x16x16_bf16 v[6:9], v[18:19], v[10:11], v[6:9]
	v_cvt_pk_f32_fp8_e32 v[2:3], v4
	v_cvt_pk_f32_fp8_sdwa v[10:11], v4 src0_sel:WORD_1
	s_waitcnt lgkmcnt(0)
	v_mfma_f32_16x16x16_bf16 v[6:9], v[22:23], v[12:13], v[6:9]
	v_perm_b32 v2, v3, v2, s4
	v_perm_b32 v3, v11, v10, s4
	v_cvt_pk_f32_fp8_e32 v[10:11], v5
	v_cvt_pk_f32_fp8_sdwa v[4:5], v5 src0_sel:WORD_1
	s_barrier
	v_perm_b32 v10, v11, v10, s4
	v_perm_b32 v11, v5, v4, s4
	v_mfma_f32_16x16x16_bf16 v[2:5], v[2:3], v[14:15], v[6:9]
	s_nop 0
	v_mfma_f32_16x16x16_bf16 v[2:5], v[10:11], v[16:17], v[2:5]
	s_nop 6
	v_pk_mul_f32 v[2:3], v[2:3], s[10:11] op_sel_hi:[1,0]
	v_pk_mul_f32 v[4:5], v[4:5], s[10:11] op_sel_hi:[1,0]
	v_bfe_u32 v6, v3, 16, 1
	v_bfe_u32 v7, v2, 16, 1
	v_add3_u32 v2, v2, v7, s8
	v_add3_u32 v3, v3, v6, s8
	v_perm_b32 v2, v3, v2, s4
	v_bfe_u32 v3, v5, 16, 1
	v_bfe_u32 v6, v4, 16, 1
	v_add3_u32 v4, v4, v6, s8
	v_add3_u32 v3, v5, v3, s8
	v_perm_b32 v3, v3, v4, s4
	s_and_b64 s[4:5], vcc, s[30:31]
	ds_write_b64 v20, v[2:3]
	s_waitcnt lgkmcnt(0)
	s_barrier
	s_and_saveexec_b64 s[8:9], s[4:5]
	s_cbranch_execz .LBB1242_18
; %bb.16:
	s_load_dwordx2 s[4:5], s[0:1], 0x68
	s_lshl_b32 s0, s6, 6
	s_mul_i32 s1, s7, s2
	s_mul_hi_u32 s7, s1, s0
	s_mul_i32 s6, s1, s0
	v_lshlrev_b32_e32 v0, 10, v0
	s_lshl_b64 s[6:7], s[6:7], 1
	v_and_b32_e32 v0, 0x1800, v0
	v_lshlrev_b32_e32 v2, 5, v42
	v_and_b32_e32 v1, 16, v1
	s_waitcnt lgkmcnt(0)
	s_add_u32 s1, s4, s6
	v_or3_b32 v2, v0, v2, v1
	s_addc_u32 s4, s5, s7
	s_lshl_b32 s2, s28, 6
	ds_read_b128 v[4:7], v2 offset:256
	s_lshl_b64 s[2:3], s[2:3], 1
	ds_read_b128 v[8:11], v2 offset:128
	ds_read_b128 v[12:15], v2
	s_add_u32 s2, s1, s2
	s_addc_u32 s3, s4, s3
	v_add_u32_e32 v3, s48, v42
	v_lshl_add_u64 v[0:1], s[2:3], 0, v[26:27]
	v_mad_u64_u32 v[16:17], s[2:3], v3, s0, 0
	v_lshl_add_u64 v[16:17], v[16:17], 1, v[0:1]
	s_waitcnt lgkmcnt(0)
	global_store_dwordx4 v[16:17], v[12:15], off
	v_cmp_ne_u32_e32 vcc, 3, v42
	s_nop 0
	v_add_u32_e32 v12, 4, v3
	v_mad_u64_u32 v[12:13], s[2:3], v12, s0, 0
	v_lshl_add_u64 v[12:13], v[12:13], 1, v[0:1]
	v_add_u32_e32 v3, 8, v3
	global_store_dwordx4 v[12:13], v[8:11], off
	s_nop 1
	v_mad_u64_u32 v[8:9], s[2:3], v3, s0, 0
	v_lshl_add_u64 v[8:9], v[8:9], 1, v[0:1]
	global_store_dwordx4 v[8:9], v[4:7], off
	s_and_b64 exec, exec, vcc
	s_cbranch_execz .LBB1242_18
; %bb.17:
	ds_read_b128 v[2:5], v2 offset:384
	v_add3_u32 v6, s48, v42, 12
	v_mad_u64_u32 v[6:7], s[0:1], v6, s0, 0
	v_lshl_add_u64 v[0:1], v[6:7], 1, v[0:1]
	s_waitcnt lgkmcnt(0)
	global_store_dwordx4 v[0:1], v[2:5], off
.LBB1242_18:
	s_endpgm
	.section	.rodata,"a",@progbits
	.p2align	6, 0x0
	.amdhsa_kernel _Z39paged_attention_ll4mi_QKV_mfma16_kernelI14__hip_bfloat16hLN4vllm18Fp8KVCacheDataTypeE1ES0_Li32ELi64ELi256ELb0ELi15EEvPKT_PKT0_S8_ifPKiSA_SA_iPKfiiiPfSD_PS3_PT2_iSC_SC_
		.amdhsa_group_segment_fixed_size 8192
		.amdhsa_private_segment_fixed_size 0
		.amdhsa_kernarg_size 400
		.amdhsa_user_sgpr_count 2
		.amdhsa_user_sgpr_dispatch_ptr 0
		.amdhsa_user_sgpr_queue_ptr 0
		.amdhsa_user_sgpr_kernarg_segment_ptr 1
		.amdhsa_user_sgpr_dispatch_id 0
		.amdhsa_user_sgpr_kernarg_preload_length 0
		.amdhsa_user_sgpr_kernarg_preload_offset 0
		.amdhsa_user_sgpr_private_segment_size 0
		.amdhsa_uses_dynamic_stack 0
		.amdhsa_enable_private_segment 0
		.amdhsa_system_sgpr_workgroup_id_x 1
		.amdhsa_system_sgpr_workgroup_id_y 1
		.amdhsa_system_sgpr_workgroup_id_z 1
		.amdhsa_system_sgpr_workgroup_info 0
		.amdhsa_system_vgpr_workitem_id 0
		.amdhsa_next_free_vgpr 54
		.amdhsa_next_free_sgpr 50
		.amdhsa_accum_offset 56
		.amdhsa_reserve_vcc 1
		.amdhsa_float_round_mode_32 0
		.amdhsa_float_round_mode_16_64 0
		.amdhsa_float_denorm_mode_32 3
		.amdhsa_float_denorm_mode_16_64 3
		.amdhsa_dx10_clamp 1
		.amdhsa_ieee_mode 1
		.amdhsa_fp16_overflow 0
		.amdhsa_tg_split 0
		.amdhsa_exception_fp_ieee_invalid_op 0
		.amdhsa_exception_fp_denorm_src 0
		.amdhsa_exception_fp_ieee_div_zero 0
		.amdhsa_exception_fp_ieee_overflow 0
		.amdhsa_exception_fp_ieee_underflow 0
		.amdhsa_exception_fp_ieee_inexact 0
		.amdhsa_exception_int_div_zero 0
	.end_amdhsa_kernel
	.section	.text._Z39paged_attention_ll4mi_QKV_mfma16_kernelI14__hip_bfloat16hLN4vllm18Fp8KVCacheDataTypeE1ES0_Li32ELi64ELi256ELb0ELi15EEvPKT_PKT0_S8_ifPKiSA_SA_iPKfiiiPfSD_PS3_PT2_iSC_SC_,"axG",@progbits,_Z39paged_attention_ll4mi_QKV_mfma16_kernelI14__hip_bfloat16hLN4vllm18Fp8KVCacheDataTypeE1ES0_Li32ELi64ELi256ELb0ELi15EEvPKT_PKT0_S8_ifPKiSA_SA_iPKfiiiPfSD_PS3_PT2_iSC_SC_,comdat
.Lfunc_end1242:
	.size	_Z39paged_attention_ll4mi_QKV_mfma16_kernelI14__hip_bfloat16hLN4vllm18Fp8KVCacheDataTypeE1ES0_Li32ELi64ELi256ELb0ELi15EEvPKT_PKT0_S8_ifPKiSA_SA_iPKfiiiPfSD_PS3_PT2_iSC_SC_, .Lfunc_end1242-_Z39paged_attention_ll4mi_QKV_mfma16_kernelI14__hip_bfloat16hLN4vllm18Fp8KVCacheDataTypeE1ES0_Li32ELi64ELi256ELb0ELi15EEvPKT_PKT0_S8_ifPKiSA_SA_iPKfiiiPfSD_PS3_PT2_iSC_SC_
                                        ; -- End function
	.section	.AMDGPU.csdata,"",@progbits
; Kernel info:
; codeLenInByte = 4988
; NumSgprs: 56
; NumVgprs: 54
; NumAgprs: 0
; TotalNumVgprs: 54
; ScratchSize: 0
; MemoryBound: 0
; FloatMode: 240
; IeeeMode: 1
; LDSByteSize: 8192 bytes/workgroup (compile time only)
; SGPRBlocks: 6
; VGPRBlocks: 6
; NumSGPRsForWavesPerEU: 56
; NumVGPRsForWavesPerEU: 54
; AccumOffset: 56
; Occupancy: 8
; WaveLimiterHint : 1
; COMPUTE_PGM_RSRC2:SCRATCH_EN: 0
; COMPUTE_PGM_RSRC2:USER_SGPR: 2
; COMPUTE_PGM_RSRC2:TRAP_HANDLER: 0
; COMPUTE_PGM_RSRC2:TGID_X_EN: 1
; COMPUTE_PGM_RSRC2:TGID_Y_EN: 1
; COMPUTE_PGM_RSRC2:TGID_Z_EN: 1
; COMPUTE_PGM_RSRC2:TIDIG_COMP_CNT: 0
; COMPUTE_PGM_RSRC3_GFX90A:ACCUM_OFFSET: 13
; COMPUTE_PGM_RSRC3_GFX90A:TG_SPLIT: 0
	.section	.text._Z39paged_attention_ll4mi_QKV_mfma16_kernelI14__hip_bfloat16hLN4vllm18Fp8KVCacheDataTypeE1ES0_Li32ELi64ELi256ELb0ELi16EEvPKT_PKT0_S8_ifPKiSA_SA_iPKfiiiPfSD_PS3_PT2_iSC_SC_,"axG",@progbits,_Z39paged_attention_ll4mi_QKV_mfma16_kernelI14__hip_bfloat16hLN4vllm18Fp8KVCacheDataTypeE1ES0_Li32ELi64ELi256ELb0ELi16EEvPKT_PKT0_S8_ifPKiSA_SA_iPKfiiiPfSD_PS3_PT2_iSC_SC_,comdat
	.protected	_Z39paged_attention_ll4mi_QKV_mfma16_kernelI14__hip_bfloat16hLN4vllm18Fp8KVCacheDataTypeE1ES0_Li32ELi64ELi256ELb0ELi16EEvPKT_PKT0_S8_ifPKiSA_SA_iPKfiiiPfSD_PS3_PT2_iSC_SC_ ; -- Begin function _Z39paged_attention_ll4mi_QKV_mfma16_kernelI14__hip_bfloat16hLN4vllm18Fp8KVCacheDataTypeE1ES0_Li32ELi64ELi256ELb0ELi16EEvPKT_PKT0_S8_ifPKiSA_SA_iPKfiiiPfSD_PS3_PT2_iSC_SC_
	.globl	_Z39paged_attention_ll4mi_QKV_mfma16_kernelI14__hip_bfloat16hLN4vllm18Fp8KVCacheDataTypeE1ES0_Li32ELi64ELi256ELb0ELi16EEvPKT_PKT0_S8_ifPKiSA_SA_iPKfiiiPfSD_PS3_PT2_iSC_SC_
	.p2align	8
	.type	_Z39paged_attention_ll4mi_QKV_mfma16_kernelI14__hip_bfloat16hLN4vllm18Fp8KVCacheDataTypeE1ES0_Li32ELi64ELi256ELb0ELi16EEvPKT_PKT0_S8_ifPKiSA_SA_iPKfiiiPfSD_PS3_PT2_iSC_SC_,@function
_Z39paged_attention_ll4mi_QKV_mfma16_kernelI14__hip_bfloat16hLN4vllm18Fp8KVCacheDataTypeE1ES0_Li32ELi64ELi256ELb0ELi16EEvPKT_PKT0_S8_ifPKiSA_SA_iPKfiiiPfSD_PS3_PT2_iSC_SC_: ; @_Z39paged_attention_ll4mi_QKV_mfma16_kernelI14__hip_bfloat16hLN4vllm18Fp8KVCacheDataTypeE1ES0_Li32ELi64ELi256ELb0ELi16EEvPKT_PKT0_S8_ifPKiSA_SA_iPKfiiiPfSD_PS3_PT2_iSC_SC_
; %bb.0:
	s_load_dwordx2 s[12:13], s[0:1], 0x30
	s_mov_b32 s28, s3
	s_mov_b64 s[6:7], 0
	s_waitcnt lgkmcnt(0)
	s_cmp_lg_u64 s[12:13], 0
	s_cselect_b64 s[14:15], -1, 0
	s_and_b64 vcc, exec, s[14:15]
	s_cbranch_vccz .LBB1243_7
; %bb.1:
	s_add_i32 s8, s2, 1
	s_mov_b32 s9, 0
	s_lshl_b64 s[10:11], s[8:9], 2
	s_add_u32 s10, s12, s10
	s_mov_b32 s3, s9
	s_addc_u32 s11, s13, s11
	s_lshl_b64 s[8:9], s[2:3], 2
	s_add_u32 s8, s12, s8
	s_addc_u32 s9, s13, s9
	s_load_dword s5, s[10:11], 0x0
	s_load_dword s16, s[8:9], 0x0
	s_waitcnt lgkmcnt(0)
	s_sub_i32 s5, s5, s16
	s_cmp_eq_u32 s5, 1
	s_cselect_b64 s[8:9], -1, 0
	s_andn2_b64 vcc, exec, s[6:7]
	s_cbranch_vccnz .LBB1243_3
.LBB1243_2:
	s_mov_b32 s3, 0
	s_mov_b64 s[8:9], -1
.LBB1243_3:
	s_andn2_b64 vcc, exec, s[8:9]
	s_cbranch_vccnz .LBB1243_17
; %bb.4:
	s_load_dwordx2 s[6:7], s[0:1], 0x28
	s_lshl_b64 s[16:17], s[2:3], 2
	s_waitcnt lgkmcnt(0)
	s_add_u32 s6, s6, s16
	s_addc_u32 s7, s7, s17
	s_load_dword s48, s[6:7], 0x0
	s_lshl_b32 s5, s28, 8
	s_waitcnt lgkmcnt(0)
	s_cmp_ge_i32 s5, s48
	s_cbranch_scc1 .LBB1243_17
; %bb.5:
	s_load_dwordx2 s[6:7], s[0:1], 0x20
	s_load_dword s8, s[0:1], 0x38
	s_add_i32 s9, s48, 31
	s_ashr_i32 s10, s9, 31
	v_and_b32_e32 v1, 0xcf, v0
	s_lshr_b32 s10, s10, 27
	v_add_u32_e32 v1, s5, v1
	s_add_i32 s9, s9, s10
	v_ashrrev_i32_e32 v2, 31, v1
	s_ashr_i32 s18, s9, 5
	v_lshrrev_b32_e32 v10, 27, v2
	s_add_i32 s18, s18, -1
	s_waitcnt lgkmcnt(0)
	s_mul_i32 s8, s2, s8
	s_mov_b32 s9, 0
	v_add_u32_e32 v2, v1, v10
	s_lshl_b64 s[8:9], s[8:9], 2
	v_ashrrev_i32_e32 v2, 5, v2
	v_mov_b32_e32 v11, s18
	v_cmp_gt_i32_e32 vcc, s48, v1
	s_add_u32 s6, s6, s8
	s_addc_u32 s7, s7, s9
	v_cndmask_b32_e32 v2, v11, v2, vcc
	v_ashrrev_i32_e32 v3, 31, v2
	v_lshl_add_u64 v[4:5], v[2:3], 2, s[6:7]
	v_or_b32_e32 v2, 16, v1
	v_add_u32_e32 v3, v2, v10
	v_ashrrev_i32_e32 v3, 5, v3
	v_cmp_gt_i32_e32 vcc, s48, v2
	s_load_dwordx4 s[8:11], s[0:1], 0x8
	s_nop 0
	v_cndmask_b32_e32 v2, v11, v3, vcc
	v_ashrrev_i32_e32 v3, 31, v2
	v_lshl_add_u64 v[6:7], v[2:3], 2, s[6:7]
	v_or_b32_e32 v2, 32, v1
	v_add_u32_e32 v3, v2, v10
	v_ashrrev_i32_e32 v3, 5, v3
	v_cmp_gt_i32_e32 vcc, s48, v2
	v_or_b32_e32 v1, 48, v1
	s_nop 0
	v_cndmask_b32_e32 v2, v11, v3, vcc
	v_ashrrev_i32_e32 v3, 31, v2
	v_lshl_add_u64 v[8:9], v[2:3], 2, s[6:7]
	v_add_u32_e32 v2, v1, v10
	v_ashrrev_i32_e32 v2, 5, v2
	v_cmp_gt_i32_e32 vcc, s48, v1
	s_nop 1
	v_cndmask_b32_e32 v2, v11, v2, vcc
	v_ashrrev_i32_e32 v3, 31, v2
	v_lshl_add_u64 v[10:11], v[2:3], 2, s[6:7]
	global_load_dword v3, v[4:5], off
	global_load_dword v2, v[6:7], off
	;; [unrolled: 1-line block ×4, first 2 shown]
	s_andn2_b64 vcc, exec, s[14:15]
	s_cbranch_vccnz .LBB1243_8
; %bb.6:
	s_add_u32 s12, s12, s16
	s_addc_u32 s13, s13, s17
	s_load_dword s14, s[12:13], 0x0
	s_branch .LBB1243_9
.LBB1243_7:
	s_mov_b64 s[8:9], 0
	s_branch .LBB1243_2
.LBB1243_8:
	s_mov_b32 s14, s2
.LBB1243_9:
	s_load_dwordx4 s[44:47], s[0:1], 0x48
	v_and_b32_e32 v43, 15, v0
	s_movk_i32 s12, 0x100
	v_lshlrev_b32_e32 v4, 3, v43
	v_cmp_gt_u32_e32 vcc, s12, v0
	v_cmp_gt_u32_e64 s[30:31], 8, v43
	v_lshrrev_b32_e32 v41, 6, v0
	v_and_b32_e32 v42, 63, v0
	v_bfe_u32 v1, v0, 4, 2
	s_lshl_b32 s29, s4, 4
	s_and_b64 s[16:17], vcc, s[30:31]
	v_lshlrev_b32_e32 v26, 1, v4
	v_lshlrev_b32_e32 v40, 4, v0
	s_and_saveexec_b64 s[12:13], s[16:17]
	s_cbranch_execz .LBB1243_11
; %bb.10:
	s_load_dwordx2 s[16:17], s[0:1], 0x0
	s_waitcnt lgkmcnt(0)
	s_ashr_i32 s15, s44, 31
	s_mul_hi_u32 s19, s14, s44
	s_mul_i32 s15, s14, s15
	s_add_i32 s15, s19, s15
	s_mul_i32 s14, s14, s44
	v_lshl_or_b32 v8, v41, 2, v1
	s_lshl_b64 s[14:15], s[14:15], 1
	s_add_u32 s14, s16, s14
	v_add_lshl_u32 v4, v8, s29, 6
	s_addc_u32 s15, s17, s15
	v_ashrrev_i32_e32 v5, 31, v4
	v_lshl_add_u64 v[4:5], v[4:5], 1, s[14:15]
	v_mov_b32_e32 v27, 0
	v_lshl_add_u64 v[4:5], v[4:5], 0, v[26:27]
	global_load_dwordx4 v[4:7], v[4:5], off
	v_lshlrev_b32_e32 v10, 8, v43
	v_lshlrev_b32_e32 v8, 5, v8
	v_and_b32_e32 v9, 16, v40
	v_and_b32_e32 v10, 0xe00, v10
	v_or3_b32 v8, v10, v8, v9
	s_waitcnt vmcnt(0)
	ds_write_b128 v8, v[4:7]
.LBB1243_11:
	s_or_b64 exec, exec, s[12:13]
	s_waitcnt lgkmcnt(0)
	s_mul_i32 s4, s4, s46
	s_add_u32 s8, s8, s4
	s_addc_u32 s9, s9, 0
	v_mov_b32_e32 v29, 0
	v_mov_b64_e32 v[14:15], s[8:9]
	v_and_b32_e32 v10, 48, v0
	s_waitcnt vmcnt(3)
	v_mad_i64_i32 v[4:5], s[8:9], v3, s45, v[14:15]
	v_lshlrev_b32_e32 v22, 4, v43
	v_mov_b32_e32 v23, v29
	v_lshlrev_b32_e32 v28, 5, v10
	v_lshl_add_u64 v[4:5], v[4:5], 0, v[22:23]
	v_lshl_add_u64 v[4:5], v[4:5], 0, v[28:29]
	s_load_dword s33, s[0:1], 0x98
	s_load_dwordx4 s[40:43], s[0:1], 0x80
	s_waitcnt lgkmcnt(0)
	s_barrier
	global_load_dwordx4 v[18:21], v[4:5], off
	s_waitcnt vmcnt(3)
	v_mad_i64_i32 v[2:3], s[8:9], v2, s45, v[14:15]
	v_or_b32_e32 v16, 0x100, v22
	v_mov_b32_e32 v17, v29
	v_lshl_add_u64 v[2:3], v[2:3], 0, v[16:17]
	v_lshl_add_u64 v[2:3], v[2:3], 0, v[28:29]
	global_load_dwordx4 v[6:9], v[2:3], off
	s_ashr_i32 s8, s5, 31
	v_or_b32_e32 v31, s5, v10
	s_lshr_b32 s12, s8, 27
	v_add_u32_e32 v2, s12, v31
	v_ashrrev_i32_e32 v2, 5, v2
	v_mov_b32_e32 v33, s18
	v_cmp_gt_i32_e32 vcc, s48, v31
	s_waitcnt vmcnt(3)
	v_mad_i64_i32 v[24:25], s[8:9], v24, s45, v[14:15]
	v_cndmask_b32_e32 v2, v33, v2, vcc
	v_ashrrev_i32_e32 v3, 31, v2
	v_lshlrev_b32_e32 v44, 5, v43
	v_lshl_add_u64 v[22:23], v[24:25], 0, v[22:23]
	v_lshl_add_u64 v[2:3], v[2:3], 2, s[6:7]
	v_lshl_or_b32 v27, v1, 9, v44
	v_lshl_add_u64 v[22:23], v[22:23], 0, v[28:29]
	global_load_dword v52, v[2:3], off
	ds_read_b128 v[10:13], v27
	ds_read_b128 v[2:5], v27 offset:16
	global_load_dwordx4 v[22:25], v[22:23], off
	v_or_b32_e32 v32, 64, v31
	v_or_b32_e32 v34, 0x80, v31
	s_waitcnt vmcnt(4)
	v_mad_i64_i32 v[14:15], s[8:9], v30, s45, v[14:15]
	v_add_u32_e32 v30, s12, v32
	v_add_u32_e32 v35, s12, v34
	v_lshl_add_u64 v[14:15], v[14:15], 0, v[16:17]
	v_ashrrev_i32_e32 v16, 5, v30
	v_cmp_gt_i32_e32 vcc, s48, v32
	v_ashrrev_i32_e32 v17, 5, v35
	v_lshl_add_u64 v[14:15], v[14:15], 0, v[28:29]
	v_cndmask_b32_e32 v30, v33, v16, vcc
	v_cmp_gt_i32_e32 vcc, s48, v34
	v_or_b32_e32 v31, 0xc0, v31
	v_add_u32_e32 v36, s12, v31
	v_cndmask_b32_e32 v32, v33, v17, vcc
	global_load_dwordx4 v[14:17], v[14:15], off
	v_ashrrev_i32_e32 v35, 5, v36
	v_cmp_gt_i32_e32 vcc, s48, v31
	v_ashrrev_i32_e32 v31, 31, v30
	v_lshl_add_u64 v[30:31], v[30:31], 2, s[6:7]
	v_cndmask_b32_e32 v34, v33, v35, vcc
	v_ashrrev_i32_e32 v35, 31, v34
	v_ashrrev_i32_e32 v33, 31, v32
	v_lshl_add_u64 v[34:35], v[34:35], 2, s[6:7]
	s_add_u32 s8, s10, s4
	s_load_dword s4, s[40:41], 0x0
	v_lshl_add_u64 v[38:39], v[32:33], 2, s[6:7]
	global_load_dword v45, v[30:31], off
	global_load_dword v32, v[38:39], off
	;; [unrolled: 1-line block ×3, first 2 shown]
	s_addc_u32 s9, s11, 0
	v_and_b32_e32 v28, 16, v0
	s_mov_b32 s44, 0x7060302
	v_lshl_add_u64 v[36:37], s[8:9], 0, v[28:29]
	v_lshl_or_b32 v28, v41, 9, v44
	v_lshl_add_u64 v[28:29], v[36:37], 0, v[28:29]
	s_load_dword s13, s[0:1], 0x1c
	s_mov_b32 s46, 0xff7fffff
	s_waitcnt vmcnt(7)
	v_cvt_pk_f32_fp8_e32 v[30:31], v18
	v_cvt_pk_f32_fp8_sdwa v[34:35], v18 src0_sel:WORD_1
	v_cvt_pk_f32_fp8_e32 v[36:37], v19
	v_cvt_pk_f32_fp8_sdwa v[18:19], v19 src0_sel:WORD_1
	v_perm_b32 v30, v31, v30, s44
	v_perm_b32 v31, v35, v34, s44
	v_cvt_pk_f32_fp8_e32 v[38:39], v20
	v_cvt_pk_f32_fp8_sdwa v[46:47], v20 src0_sel:WORD_1
	v_perm_b32 v36, v37, v36, s44
	v_perm_b32 v37, v19, v18, s44
	v_cvt_pk_f32_fp8_e32 v[34:35], v21
	v_cvt_pk_f32_fp8_sdwa v[48:49], v21 src0_sel:WORD_1
	s_waitcnt lgkmcnt(0)
	v_mfma_f32_16x16x16_bf16 v[18:21], v[30:31], v[10:11], 0
	v_perm_b32 v38, v39, v38, s44
	v_perm_b32 v39, v47, v46, s44
	s_waitcnt vmcnt(6)
	v_cvt_pk_f32_fp8_e32 v[30:31], v6
	v_mfma_f32_16x16x16_bf16 v[18:21], v[36:37], v[12:13], v[18:21]
	v_cvt_pk_f32_fp8_sdwa v[46:47], v6 src0_sel:WORD_1
	v_perm_b32 v50, v35, v34, s44
	v_perm_b32 v51, v49, v48, s44
	v_mfma_f32_16x16x16_bf16 v[34:37], v[38:39], v[2:3], v[18:21]
	v_perm_b32 v30, v31, v30, s44
	v_perm_b32 v31, v47, v46, s44
	v_cvt_pk_f32_fp8_e32 v[38:39], v8
	v_cvt_pk_f32_fp8_e32 v[20:21], v7
	v_cvt_pk_f32_fp8_sdwa v[6:7], v7 src0_sel:WORD_1
	v_mfma_f32_16x16x16_bf16 v[34:37], v[50:51], v[4:5], v[34:37]
	v_cvt_pk_f32_fp8_sdwa v[50:51], v8 src0_sel:WORD_1
	v_perm_b32 v20, v21, v20, s44
	v_perm_b32 v21, v7, v6, s44
	v_mfma_f32_16x16x16_bf16 v[46:49], v[30:31], v[10:11], 0
	v_perm_b32 v30, v39, v38, s44
	v_perm_b32 v31, v51, v50, s44
	v_cvt_pk_f32_fp8_e32 v[38:39], v9
	v_cvt_pk_f32_fp8_sdwa v[50:51], v9 src0_sel:WORD_1
	v_mfma_f32_16x16x16_bf16 v[6:9], v[20:21], v[12:13], v[46:49]
	s_waitcnt vmcnt(5)
	v_mad_i64_i32 v[18:19], s[6:7], v52, s45, v[28:29]
	v_perm_b32 v20, v39, v38, s44
	v_perm_b32 v21, v51, v50, s44
	v_mfma_f32_16x16x16_bf16 v[6:9], v[30:31], v[2:3], v[6:9]
	s_waitcnt vmcnt(4)
	v_cvt_pk_f32_fp8_e32 v[30:31], v22
	v_cvt_pk_f32_fp8_sdwa v[38:39], v22 src0_sel:WORD_1
	v_mov_b32_e32 v46, s13
	v_mul_f32_e32 v54, s4, v46
	v_mfma_f32_16x16x16_bf16 v[46:49], v[20:21], v[4:5], v[6:9]
	v_cvt_pk_f32_fp8_sdwa v[20:21], v23 src0_sel:WORD_1
	s_nop 1
	v_cvt_pk_f32_fp8_e32 v[6:7], v23
	v_perm_b32 v8, v31, v30, s44
	v_perm_b32 v9, v39, v38, s44
	v_cvt_pk_f32_fp8_e32 v[30:31], v24
	v_perm_b32 v22, v7, v6, s44
	v_cvt_pk_f32_fp8_sdwa v[38:39], v24 src0_sel:WORD_1
	v_perm_b32 v23, v21, v20, s44
	v_mfma_f32_16x16x16_bf16 v[6:9], v[8:9], v[10:11], 0
	v_perm_b32 v20, v31, v30, s44
	v_perm_b32 v21, v39, v38, s44
	v_cvt_pk_f32_fp8_e32 v[30:31], v25
	v_mfma_f32_16x16x16_bf16 v[6:9], v[22:23], v[12:13], v[6:9]
	v_cvt_pk_f32_fp8_sdwa v[24:25], v25 src0_sel:WORD_1
	v_pk_mul_f32 v[22:23], v[54:55], v[36:37] op_sel_hi:[0,1]
	v_perm_b32 v30, v31, v30, s44
	v_mfma_f32_16x16x16_bf16 v[36:39], v[20:21], v[2:3], v[6:9]
	s_waitcnt vmcnt(3)
	v_cvt_pk_f32_fp8_sdwa v[20:21], v14 src0_sel:WORD_1
	v_perm_b32 v31, v25, v24, s44
	v_cvt_pk_f32_fp8_e32 v[24:25], v15
	v_cvt_pk_f32_fp8_e32 v[8:9], v14
	v_cvt_pk_f32_fp8_sdwa v[14:15], v15 src0_sel:WORD_1
	v_mfma_f32_16x16x16_bf16 v[50:53], v[30:31], v[4:5], v[36:39]
	v_perm_b32 v8, v9, v8, s44
	v_perm_b32 v9, v21, v20, s44
	;; [unrolled: 1-line block ×3, first 2 shown]
	v_cvt_pk_f32_fp8_e32 v[24:25], v16
	v_cvt_pk_f32_fp8_sdwa v[30:31], v16 src0_sel:WORD_1
	v_perm_b32 v21, v15, v14, s44
	v_mfma_f32_16x16x16_bf16 v[8:11], v[8:9], v[10:11], 0
	v_perm_b32 v14, v25, v24, s44
	v_perm_b32 v15, v31, v30, s44
	v_cvt_pk_f32_fp8_e32 v[24:25], v17
	v_cvt_pk_f32_fp8_sdwa v[16:17], v17 src0_sel:WORD_1
	v_mfma_f32_16x16x16_bf16 v[8:11], v[20:21], v[12:13], v[8:11]
	v_pk_mul_f32 v[6:7], v[54:55], v[34:35] op_sel_hi:[0,1]
	v_perm_b32 v12, v25, v24, s44
	v_perm_b32 v13, v17, v16, s44
	v_mfma_f32_16x16x16_bf16 v[8:11], v[14:15], v[2:3], v[8:11]
	v_pk_mul_f32 v[38:39], v[54:55], v[46:47] op_sel_hi:[0,1]
	v_pk_mul_f32 v[34:35], v[54:55], v[48:49] op_sel_hi:[0,1]
	;; [unrolled: 1-line block ×3, first 2 shown]
	v_mfma_f32_16x16x16_bf16 v[2:5], v[12:13], v[4:5], v[8:11]
	v_pk_mul_f32 v[30:31], v[54:55], v[52:53] op_sel_hi:[0,1]
	s_nop 5
	v_pk_mul_f32 v[24:25], v[54:55], v[2:3] op_sel_hi:[0,1]
	v_and_b32_e32 v2, 0xc0, v0
	v_add_u32_e32 v2, s5, v2
	v_lshl_or_b32 v2, v1, 2, v2
	v_pk_mul_f32 v[20:21], v[54:55], v[4:5] op_sel_hi:[0,1]
	v_or_b32_e32 v5, 1, v2
	v_mov_b32_e32 v3, 0xff7fffff
	v_cmp_gt_i32_e64 s[4:5], s48, v2
	v_cmp_gt_i32_e64 s[34:35], s48, v5
	v_or_b32_e32 v8, 3, v2
	v_cndmask_b32_e64 v4, v3, v6, s[4:5]
	v_cndmask_b32_e64 v5, v3, v7, s[34:35]
	v_max3_f32 v4, v4, s46, v5
	v_or_b32_e32 v5, 2, v2
	v_cmp_gt_i32_e64 s[36:37], s48, v5
	v_cmp_gt_i32_e64 s[38:39], s48, v8
	s_nop 0
	v_cndmask_b32_e64 v5, v3, v22, s[36:37]
	v_cndmask_b32_e64 v8, v3, v23, s[38:39]
	v_max3_f32 v4, v4, v5, v8
	v_or_b32_e32 v5, 16, v2
	v_or_b32_e32 v8, 17, v2
	v_cmp_gt_i32_e64 s[24:25], s48, v5
	v_cmp_gt_i32_e64 s[26:27], s48, v8
	s_nop 0
	v_cndmask_b32_e64 v5, v3, v38, s[24:25]
	v_cndmask_b32_e64 v8, v3, v39, s[26:27]
	v_max3_f32 v4, v4, v5, v8
	v_or_b32_e32 v5, 18, v2
	;; [unrolled: 8-line block ×6, first 2 shown]
	v_or_b32_e32 v2, 51, v2
	v_cmp_gt_i32_e32 vcc, s48, v5
	v_cmp_gt_i32_e64 s[6:7], s48, v2
	s_nop 0
	v_cndmask_b32_e32 v5, v3, v20, vcc
	v_cndmask_b32_e64 v2, v3, v21, s[6:7]
	v_max3_f32 v4, v4, v5, v2
	v_mbcnt_lo_u32_b32 v2, -1, 0
	v_mbcnt_hi_u32_b32 v5, -1, v2
	v_and_b32_e32 v2, 64, v5
	v_add_u32_e32 v8, 64, v2
	v_xor_b32_e32 v2, 32, v5
	v_cmp_lt_i32_e64 s[40:41], v2, v8
	s_nop 1
	v_cndmask_b32_e64 v2, v5, v2, s[40:41]
	v_lshlrev_b32_e32 v46, 2, v2
	ds_bpermute_b32 v9, v46, v4
	s_waitcnt vmcnt(2)
	v_mad_i64_i32 v[2:3], s[40:41], v45, s45, v[28:29]
	global_load_dwordx4 v[14:17], v[18:19], off
	global_load_dwordx4 v[10:13], v[2:3], off
	v_xor_b32_e32 v3, 16, v5
	v_cmp_lt_i32_e64 s[40:41], v3, v8
	s_waitcnt lgkmcnt(0)
	v_max_f32_e32 v2, v9, v9
	v_max_f32_e32 v2, v4, v2
	v_cndmask_b32_e64 v3, v5, v3, s[40:41]
	v_lshlrev_b32_e32 v47, 2, v3
	ds_bpermute_b32 v3, v47, v2
	s_waitcnt vmcnt(3)
	v_mad_i64_i32 v[18:19], s[40:41], v32, s45, v[28:29]
	s_waitcnt vmcnt(2)
	v_mad_i64_i32 v[28:29], s[40:41], v33, s45, v[28:29]
	s_waitcnt lgkmcnt(0)
	v_max_f32_e32 v3, v3, v3
	v_max_f32_e32 v45, v2, v3
	v_sub_f32_e32 v2, v6, v45
	v_mul_f32_e32 v2, 0x3fb8aa3b, v2
	v_exp_f32_e32 v32, v2
	v_sub_f32_e32 v2, v7, v45
	v_mul_f32_e32 v2, 0x3fb8aa3b, v2
	v_exp_f32_e32 v33, v2
	global_load_dwordx4 v[6:9], v[18:19], off
	global_load_dwordx4 v[2:5], v[28:29], off
	v_sub_f32_e32 v22, v22, v45
	v_mul_f32_e32 v22, 0x3fb8aa3b, v22
	v_sub_f32_e32 v23, v23, v45
	v_exp_f32_e32 v22, v22
	v_mul_f32_e32 v23, 0x3fb8aa3b, v23
	v_exp_f32_e32 v23, v23
	v_cndmask_b32_e64 v18, 0, v32, s[4:5]
	v_add_f32_e32 v28, 0, v18
	v_cndmask_b32_e64 v19, 0, v33, s[34:35]
	v_add_f32_e32 v28, v28, v19
	;; [unrolled: 2-line block ×3, first 2 shown]
	v_cndmask_b32_e64 v33, 0, v23, s[38:39]
	v_sub_f32_e32 v23, v38, v45
	v_sub_f32_e32 v28, v39, v45
	v_mul_f32_e32 v23, 0x3fb8aa3b, v23
	v_mul_f32_e32 v28, 0x3fb8aa3b, v28
	v_exp_f32_e32 v23, v23
	v_exp_f32_e32 v28, v28
	v_add_f32_e32 v29, v22, v33
	v_sub_f32_e32 v30, v30, v45
	v_cndmask_b32_e64 v22, 0, v23, s[24:25]
	v_cndmask_b32_e64 v23, 0, v28, s[26:27]
	v_sub_f32_e32 v28, v34, v45
	v_mul_f32_e32 v28, 0x3fb8aa3b, v28
	v_exp_f32_e32 v28, v28
	v_sub_f32_e32 v34, v35, v45
	v_add_f32_e32 v29, v29, v22
	v_mul_f32_e32 v34, 0x3fb8aa3b, v34
	v_exp_f32_e32 v35, v34
	v_add_f32_e32 v29, v29, v23
	v_cndmask_b32_e64 v34, 0, v28, s[20:21]
	v_add_f32_e32 v28, v29, v34
	v_sub_f32_e32 v29, v36, v45
	v_mul_f32_e32 v29, 0x3fb8aa3b, v29
	v_sub_f32_e32 v36, v37, v45
	v_exp_f32_e32 v29, v29
	v_mul_f32_e32 v36, 0x3fb8aa3b, v36
	v_exp_f32_e32 v36, v36
	v_mul_f32_e32 v30, 0x3fb8aa3b, v30
	v_sub_f32_e32 v31, v31, v45
	v_exp_f32_e32 v30, v30
	v_mul_f32_e32 v31, 0x3fb8aa3b, v31
	v_sub_f32_e32 v24, v24, v45
	v_cndmask_b32_e64 v35, 0, v35, s[22:23]
	v_exp_f32_e32 v31, v31
	v_mul_f32_e32 v24, 0x3fb8aa3b, v24
	v_sub_f32_e32 v25, v25, v45
	v_add_f32_e32 v37, v28, v35
	v_cndmask_b32_e64 v28, 0, v29, s[16:17]
	v_exp_f32_e32 v24, v24
	v_mul_f32_e32 v25, 0x3fb8aa3b, v25
	v_sub_f32_e32 v20, v20, v45
	v_add_f32_e32 v37, v37, v28
	v_cndmask_b32_e64 v29, 0, v36, s[18:19]
	v_exp_f32_e32 v25, v25
	v_mul_f32_e32 v20, 0x3fb8aa3b, v20
	v_sub_f32_e32 v21, v21, v45
	v_add_f32_e32 v36, v37, v29
	v_cndmask_b32_e64 v30, 0, v30, s[12:13]
	v_exp_f32_e32 v20, v20
	v_mul_f32_e32 v21, 0x3fb8aa3b, v21
	v_add_f32_e32 v36, v36, v30
	v_cndmask_b32_e64 v31, 0, v31, s[14:15]
	v_exp_f32_e32 v21, v21
	v_add_f32_e32 v36, v36, v31
	v_cndmask_b32_e64 v24, 0, v24, s[8:9]
	v_add_f32_e32 v36, v36, v24
	v_cndmask_b32_e64 v25, 0, v25, s[10:11]
	v_add_f32_e32 v36, v36, v25
	v_cndmask_b32_e32 v20, 0, v20, vcc
	v_add_f32_e32 v36, v36, v20
	v_cndmask_b32_e64 v21, 0, v21, s[6:7]
	v_add_f32_e32 v36, v36, v21
	ds_bpermute_b32 v37, v46, v36
	v_cmp_gt_u32_e32 vcc, 16, v42
	s_waitcnt lgkmcnt(0)
	s_barrier
	v_add_f32_e32 v36, v36, v37
	ds_bpermute_b32 v38, v47, v36
	v_lshlrev_b32_e32 v37, 2, v43
	s_and_saveexec_b64 s[4:5], vcc
	s_cbranch_execz .LBB1243_13
; %bb.12:
	s_waitcnt lgkmcnt(0)
	v_add_f32_e32 v36, v36, v38
	v_lshl_or_b32 v38, v41, 6, v37
	ds_write2st64_b32 v38, v45, v36 offset1:1
.LBB1243_13:
	s_or_b64 exec, exec, s[4:5]
	s_load_dword s6, s[0:1], 0x94
	s_waitcnt lgkmcnt(0)
	s_barrier
	ds_read2_b32 v[38:39], v37 offset1:16
	ds_read2_b32 v[42:43], v37 offset0:32 offset1:48
	ds_read2_b32 v[46:47], v37 offset0:64 offset1:80
	s_movk_i32 s8, 0x7fff
	s_lshl_b32 s7, s33, 4
	s_waitcnt lgkmcnt(2)
	v_max3_f32 v36, v38, s46, v39
	s_waitcnt lgkmcnt(1)
	v_max3_f32 v36, v36, v42, v43
	v_sub_f32_e32 v38, v38, v36
	v_mul_f32_e32 v38, 0x3fb8aa3b, v38
	v_exp_f32_e32 v45, v38
	v_sub_f32_e32 v38, v39, v36
	v_mul_f32_e32 v38, 0x3fb8aa3b, v38
	v_exp_f32_e32 v48, v38
	;; [unrolled: 3-line block ×3, first 2 shown]
	ds_read2_b32 v[38:39], v37 offset0:96 offset1:112
	v_sub_f32_e32 v37, v43, v36
	v_mul_f32_e32 v37, 0x3fb8aa3b, v37
	v_exp_f32_e32 v43, v37
	s_waitcnt lgkmcnt(1)
	v_fma_f32 v37, v45, v46, 0
	v_fmac_f32_e32 v37, v48, v47
	s_waitcnt lgkmcnt(0)
	v_fmac_f32_e32 v37, v42, v38
	v_fmac_f32_e32 v37, v43, v39
	v_add_f32_e32 v38, 0x358637bd, v37
	v_div_scale_f32 v39, s[4:5], v38, v38, 1.0
	v_rcp_f32_e32 v46, v39
	s_barrier
	v_fma_f32 v47, -v39, v46, 1.0
	v_fmac_f32_e32 v46, v47, v46
	v_div_scale_f32 v47, vcc, 1.0, v38, 1.0
	v_mul_f32_e32 v49, v47, v46
	v_fma_f32 v50, -v39, v49, v47
	v_fmac_f32_e32 v49, v50, v46
	v_fma_f32 v39, -v39, v49, v47
	v_div_fmas_f32 v39, v39, v46, v49
	v_cmp_eq_u32_e32 vcc, 1, v41
	v_div_fixup_f32 v38, v39, v38, 1.0
	s_nop 0
	v_cndmask_b32_e32 v39, v45, v48, vcc
	v_cmp_eq_u32_e32 vcc, 2, v41
	s_nop 1
	v_cndmask_b32_e32 v39, v39, v42, vcc
	v_cmp_eq_u32_e32 vcc, 3, v41
	s_nop 1
	v_cndmask_b32_e32 v39, v39, v43, vcc
	v_mul_f32_e32 v38, v39, v38
	v_pk_mul_f32 v[18:19], v[38:39], v[18:19] op_sel_hi:[0,1]
	v_pk_mul_f32 v[32:33], v[38:39], v[32:33] op_sel_hi:[0,1]
	v_bfe_u32 v39, v19, 16, 1
	v_bfe_u32 v42, v18, 16, 1
	v_add3_u32 v18, v18, v42, s8
	v_add3_u32 v19, v19, v39, s8
	v_perm_b32 v42, v19, v18, s44
	v_bfe_u32 v18, v33, 16, 1
	v_bfe_u32 v19, v32, 16, 1
	v_add3_u32 v19, v32, v19, s8
	v_add3_u32 v18, v33, v18, s8
	v_perm_b32 v43, v18, v19, s44
	v_lshlrev_b32_e32 v18, 3, v1
	v_lshlrev_b32_e32 v19, 11, v41
	v_pk_mul_f32 v[22:23], v[38:39], v[22:23] op_sel_hi:[0,1]
	v_or3_b32 v18, v19, v44, v18
	v_pk_mul_f32 v[32:33], v[38:39], v[34:35] op_sel_hi:[0,1]
	v_bfe_u32 v19, v23, 16, 1
	v_bfe_u32 v34, v22, 16, 1
	v_add3_u32 v22, v22, v34, s8
	v_add3_u32 v19, v23, v19, s8
	v_perm_b32 v22, v19, v22, s44
	v_bfe_u32 v19, v33, 16, 1
	v_bfe_u32 v23, v32, 16, 1
	v_add3_u32 v23, v32, v23, s8
	v_add3_u32 v19, v33, v19, s8
	v_perm_b32 v23, v19, v23, s44
	v_pk_mul_f32 v[28:29], v[38:39], v[28:29] op_sel_hi:[0,1]
	ds_write2st64_b64 v18, v[42:43], v[22:23] offset1:1
	v_pk_mul_f32 v[22:23], v[38:39], v[30:31] op_sel_hi:[0,1]
	v_bfe_u32 v19, v29, 16, 1
	v_bfe_u32 v30, v28, 16, 1
	v_add3_u32 v28, v28, v30, s8
	v_add3_u32 v19, v29, v19, s8
	v_perm_b32 v28, v19, v28, s44
	v_bfe_u32 v19, v23, 16, 1
	v_bfe_u32 v29, v22, 16, 1
	v_add3_u32 v22, v22, v29, s8
	v_add3_u32 v19, v23, v19, s8
	v_perm_b32 v29, v19, v22, s44
	v_pk_mul_f32 v[22:23], v[38:39], v[24:25] op_sel_hi:[0,1]
	v_bfe_u32 v19, v23, 16, 1
	v_bfe_u32 v24, v22, 16, 1
	v_pk_mul_f32 v[20:21], v[38:39], v[20:21] op_sel_hi:[0,1]
	v_add3_u32 v22, v22, v24, s8
	v_add3_u32 v19, v23, v19, s8
	v_perm_b32 v22, v19, v22, s44
	v_bfe_u32 v19, v21, 16, 1
	v_bfe_u32 v23, v20, 16, 1
	v_add3_u32 v20, v20, v23, s8
	v_add3_u32 v19, v21, v19, s8
	v_perm_b32 v23, v19, v20, s44
	v_cmp_gt_u32_e32 vcc, 16, v0
	ds_write2st64_b64 v18, v[28:29], v[22:23] offset0:2 offset1:3
	s_and_saveexec_b64 s[4:5], vcc
	s_cbranch_execz .LBB1243_15
; %bb.14:
	v_or_b32_e32 v20, s29, v0
	v_mov_b32_e32 v21, 0
	v_mov_b32_e32 v19, s7
	v_mad_u64_u32 v[22:23], s[10:11], s2, v19, v[20:21]
	v_mov_b32_e32 v20, s28
	s_load_dwordx4 s[12:15], s[0:1], 0x58
	s_mul_i32 s3, s3, s7
	v_mad_u64_u32 v[20:21], s[10:11], v22, s6, v[20:21]
	v_add_u32_e32 v19, s3, v23
	v_mov_b32_e32 v22, v21
	v_mad_u64_u32 v[22:23], s[10:11], v19, s6, v[22:23]
	v_mov_b32_e32 v21, v22
	v_lshlrev_b64 v[20:21], 2, v[20:21]
	s_waitcnt lgkmcnt(0)
	v_lshl_add_u64 v[22:23], s[14:15], 0, v[20:21]
	v_lshl_add_u64 v[20:21], s[12:13], 0, v[20:21]
	global_store_dword v[22:23], v36, off
	global_store_dword v[20:21], v37, off
.LBB1243_15:
	s_or_b64 exec, exec, s[4:5]
	s_waitcnt vmcnt(3)
	v_cvt_pk_f32_fp8_e32 v[20:21], v14
	v_cvt_pk_f32_fp8_sdwa v[22:23], v14 src0_sel:WORD_1
	s_mov_b32 s4, 0x7060302
	s_waitcnt lgkmcnt(0)
	s_barrier
	v_perm_b32 v24, v21, v20, s4
	v_perm_b32 v25, v23, v22, s4
	v_cvt_pk_f32_fp8_e32 v[28:29], v15
	ds_read_b128 v[20:23], v27
	v_cvt_pk_f32_fp8_sdwa v[14:15], v15 src0_sel:WORD_1
	s_load_dword s10, s[42:43], 0x0
	v_perm_b32 v36, v29, v28, s4
	ds_read_b128 v[28:31], v27 offset:16
	v_perm_b32 v37, v15, v14, s4
	s_waitcnt lgkmcnt(0)
	v_mfma_f32_16x16x16_bf16 v[32:35], v[24:25], v[20:21], 0
	v_cvt_pk_f32_fp8_e32 v[14:15], v16
	v_cvt_pk_f32_fp8_sdwa v[24:25], v16 src0_sel:WORD_1
	v_cmp_gt_u32_e32 vcc, 64, v0
	v_mfma_f32_16x16x16_bf16 v[20:23], v[36:37], v[22:23], v[32:35]
	v_perm_b32 v14, v15, v14, s4
	v_perm_b32 v15, v25, v24, s4
	s_mov_b32 s3, 0
	v_cvt_pk_f32_fp8_e32 v[32:33], v17
	v_cvt_pk_f32_fp8_sdwa v[16:17], v17 src0_sel:WORD_1
	s_waitcnt vmcnt(2)
	v_cvt_pk_f32_fp8_sdwa v[34:35], v10 src0_sel:WORD_1
	v_perm_b32 v24, v33, v32, s4
	v_cvt_pk_f32_fp8_e32 v[32:33], v10
	v_perm_b32 v25, v17, v16, s4
	v_mfma_f32_16x16x16_bf16 v[14:17], v[14:15], v[28:29], v[20:23]
	v_cvt_pk_f32_fp8_e32 v[28:29], v11
	v_perm_b32 v32, v33, v32, s4
	v_perm_b32 v33, v35, v34, s4
	ds_read_b128 v[20:23], v27 offset:2048
	v_cvt_pk_f32_fp8_sdwa v[10:11], v11 src0_sel:WORD_1
	v_mfma_f32_16x16x16_bf16 v[14:17], v[24:25], v[30:31], v[14:17]
	v_perm_b32 v24, v29, v28, s4
	ds_read_b128 v[28:31], v27 offset:2064
	v_perm_b32 v25, v11, v10, s4
	s_waitcnt lgkmcnt(1)
	v_mfma_f32_16x16x16_bf16 v[14:17], v[32:33], v[20:21], v[14:17]
	v_cvt_pk_f32_fp8_e32 v[10:11], v12
	v_cvt_pk_f32_fp8_sdwa v[20:21], v12 src0_sel:WORD_1
	v_perm_b32 v10, v11, v10, s4
	v_mfma_f32_16x16x16_bf16 v[14:17], v[24:25], v[22:23], v[14:17]
	v_cvt_pk_f32_fp8_e32 v[22:23], v13
	v_perm_b32 v11, v21, v20, s4
	v_cvt_pk_f32_fp8_sdwa v[12:13], v13 src0_sel:WORD_1
	s_waitcnt vmcnt(1)
	v_cvt_pk_f32_fp8_sdwa v[24:25], v6 src0_sel:WORD_1
	v_perm_b32 v20, v23, v22, s4
	v_cvt_pk_f32_fp8_e32 v[22:23], v6
	v_perm_b32 v21, v13, v12, s4
	s_waitcnt lgkmcnt(0)
	v_mfma_f32_16x16x16_bf16 v[10:13], v[10:11], v[28:29], v[14:17]
	v_perm_b32 v29, v25, v24, s4
	v_perm_b32 v28, v23, v22, s4
	v_cvt_pk_f32_fp8_e32 v[22:23], v7
	ds_read_b128 v[14:17], v27 offset:4096
	v_cvt_pk_f32_fp8_sdwa v[6:7], v7 src0_sel:WORD_1
	v_mfma_f32_16x16x16_bf16 v[10:13], v[20:21], v[30:31], v[10:13]
	v_perm_b32 v24, v23, v22, s4
	ds_read_b128 v[20:23], v27 offset:4112
	v_perm_b32 v25, v7, v6, s4
	s_waitcnt lgkmcnt(1)
	v_mfma_f32_16x16x16_bf16 v[10:13], v[28:29], v[14:15], v[10:13]
	v_cvt_pk_f32_fp8_e32 v[6:7], v8
	v_cvt_pk_f32_fp8_sdwa v[14:15], v8 src0_sel:WORD_1
	v_perm_b32 v6, v7, v6, s4
	v_mfma_f32_16x16x16_bf16 v[10:13], v[24:25], v[16:17], v[10:13]
	v_cvt_pk_f32_fp8_e32 v[16:17], v9
	v_perm_b32 v7, v15, v14, s4
	v_cvt_pk_f32_fp8_sdwa v[8:9], v9 src0_sel:WORD_1
	s_waitcnt vmcnt(0)
	v_cvt_pk_f32_fp8_sdwa v[24:25], v2 src0_sel:WORD_1
	v_perm_b32 v14, v17, v16, s4
	v_cvt_pk_f32_fp8_e32 v[16:17], v2
	v_perm_b32 v15, v9, v8, s4
	s_waitcnt lgkmcnt(0)
	v_mfma_f32_16x16x16_bf16 v[6:9], v[6:7], v[20:21], v[10:13]
	v_perm_b32 v21, v25, v24, s4
	v_perm_b32 v20, v17, v16, s4
	v_cvt_pk_f32_fp8_e32 v[16:17], v3
	ds_read_b128 v[10:13], v27 offset:6144
	v_cvt_pk_f32_fp8_sdwa v[2:3], v3 src0_sel:WORD_1
	v_mfma_f32_16x16x16_bf16 v[6:9], v[14:15], v[22:23], v[6:9]
	v_perm_b32 v22, v17, v16, s4
	ds_read_b128 v[14:17], v27 offset:6160
	v_perm_b32 v23, v3, v2, s4
	s_waitcnt lgkmcnt(1)
	v_mfma_f32_16x16x16_bf16 v[6:9], v[20:21], v[10:11], v[6:9]
	v_cvt_pk_f32_fp8_e32 v[2:3], v4
	v_cvt_pk_f32_fp8_sdwa v[10:11], v4 src0_sel:WORD_1
	v_mov_b32_e32 v27, 0
	v_mfma_f32_16x16x16_bf16 v[6:9], v[22:23], v[12:13], v[6:9]
	v_perm_b32 v2, v3, v2, s4
	v_perm_b32 v3, v11, v10, s4
	v_cvt_pk_f32_fp8_e32 v[10:11], v5
	v_cvt_pk_f32_fp8_sdwa v[4:5], v5 src0_sel:WORD_1
	s_waitcnt lgkmcnt(0)
	s_barrier
	v_perm_b32 v10, v11, v10, s4
	v_perm_b32 v11, v5, v4, s4
	v_mfma_f32_16x16x16_bf16 v[2:5], v[2:3], v[14:15], v[6:9]
	s_nop 0
	v_mfma_f32_16x16x16_bf16 v[2:5], v[10:11], v[16:17], v[2:5]
	s_nop 6
	v_pk_mul_f32 v[2:3], v[2:3], s[10:11] op_sel_hi:[1,0]
	v_pk_mul_f32 v[4:5], v[4:5], s[10:11] op_sel_hi:[1,0]
	v_bfe_u32 v6, v3, 16, 1
	v_bfe_u32 v7, v2, 16, 1
	v_add3_u32 v2, v2, v7, s8
	v_add3_u32 v3, v3, v6, s8
	v_perm_b32 v2, v3, v2, s4
	v_bfe_u32 v3, v5, 16, 1
	v_bfe_u32 v6, v4, 16, 1
	v_add3_u32 v4, v4, v6, s8
	v_add3_u32 v3, v5, v3, s8
	v_perm_b32 v3, v3, v4, s4
	s_and_b64 s[4:5], vcc, s[30:31]
	ds_write_b64 v18, v[2:3]
	s_waitcnt lgkmcnt(0)
	s_barrier
	s_and_saveexec_b64 s[8:9], s[4:5]
	s_cbranch_execz .LBB1243_17
; %bb.16:
	s_load_dwordx2 s[0:1], s[0:1], 0x68
	s_lshl_b32 s6, s6, 6
	s_mul_i32 s2, s7, s2
	s_mul_hi_u32 s5, s2, s6
	s_mul_i32 s4, s2, s6
	s_lshl_b64 s[4:5], s[4:5], 1
	s_waitcnt lgkmcnt(0)
	s_add_u32 s4, s0, s4
	s_addc_u32 s5, s1, s5
	s_lshl_b32 s2, s28, 6
	v_lshlrev_b32_e32 v0, 10, v0
	s_lshl_b64 s[0:1], s[2:3], 1
	v_and_b32_e32 v0, 0x1800, v0
	v_lshlrev_b32_e32 v2, 5, v1
	v_and_b32_e32 v3, 16, v40
	s_add_u32 s0, s4, s0
	v_or3_b32 v0, v0, v2, v3
	s_addc_u32 s1, s5, s1
	v_or_b32_e32 v20, s29, v1
	ds_read_b128 v[2:5], v0
	ds_read_b128 v[6:9], v0 offset:128
	ds_read_b128 v[10:13], v0 offset:256
	;; [unrolled: 1-line block ×3, first 2 shown]
	v_lshl_add_u64 v[18:19], s[0:1], 0, v[26:27]
	v_mad_u64_u32 v[0:1], s[0:1], v20, s6, 0
	v_lshl_add_u64 v[0:1], v[0:1], 1, v[18:19]
	s_waitcnt lgkmcnt(3)
	global_store_dwordx4 v[0:1], v[2:5], off
	v_or_b32_e32 v0, 4, v20
	v_mad_u64_u32 v[0:1], s[0:1], v0, s6, 0
	v_lshl_add_u64 v[0:1], v[0:1], 1, v[18:19]
	s_waitcnt lgkmcnt(2)
	global_store_dwordx4 v[0:1], v[6:9], off
	v_or_b32_e32 v0, 8, v20
	;; [unrolled: 5-line block ×3, first 2 shown]
	v_mad_u64_u32 v[0:1], s[0:1], v0, s6, 0
	v_lshl_add_u64 v[0:1], v[0:1], 1, v[18:19]
	s_waitcnt lgkmcnt(0)
	global_store_dwordx4 v[0:1], v[14:17], off
.LBB1243_17:
	s_endpgm
	.section	.rodata,"a",@progbits
	.p2align	6, 0x0
	.amdhsa_kernel _Z39paged_attention_ll4mi_QKV_mfma16_kernelI14__hip_bfloat16hLN4vllm18Fp8KVCacheDataTypeE1ES0_Li32ELi64ELi256ELb0ELi16EEvPKT_PKT0_S8_ifPKiSA_SA_iPKfiiiPfSD_PS3_PT2_iSC_SC_
		.amdhsa_group_segment_fixed_size 8192
		.amdhsa_private_segment_fixed_size 0
		.amdhsa_kernarg_size 400
		.amdhsa_user_sgpr_count 2
		.amdhsa_user_sgpr_dispatch_ptr 0
		.amdhsa_user_sgpr_queue_ptr 0
		.amdhsa_user_sgpr_kernarg_segment_ptr 1
		.amdhsa_user_sgpr_dispatch_id 0
		.amdhsa_user_sgpr_kernarg_preload_length 0
		.amdhsa_user_sgpr_kernarg_preload_offset 0
		.amdhsa_user_sgpr_private_segment_size 0
		.amdhsa_uses_dynamic_stack 0
		.amdhsa_enable_private_segment 0
		.amdhsa_system_sgpr_workgroup_id_x 1
		.amdhsa_system_sgpr_workgroup_id_y 1
		.amdhsa_system_sgpr_workgroup_id_z 1
		.amdhsa_system_sgpr_workgroup_info 0
		.amdhsa_system_vgpr_workitem_id 0
		.amdhsa_next_free_vgpr 56
		.amdhsa_next_free_sgpr 49
		.amdhsa_accum_offset 56
		.amdhsa_reserve_vcc 1
		.amdhsa_float_round_mode_32 0
		.amdhsa_float_round_mode_16_64 0
		.amdhsa_float_denorm_mode_32 3
		.amdhsa_float_denorm_mode_16_64 3
		.amdhsa_dx10_clamp 1
		.amdhsa_ieee_mode 1
		.amdhsa_fp16_overflow 0
		.amdhsa_tg_split 0
		.amdhsa_exception_fp_ieee_invalid_op 0
		.amdhsa_exception_fp_denorm_src 0
		.amdhsa_exception_fp_ieee_div_zero 0
		.amdhsa_exception_fp_ieee_overflow 0
		.amdhsa_exception_fp_ieee_underflow 0
		.amdhsa_exception_fp_ieee_inexact 0
		.amdhsa_exception_int_div_zero 0
	.end_amdhsa_kernel
	.section	.text._Z39paged_attention_ll4mi_QKV_mfma16_kernelI14__hip_bfloat16hLN4vllm18Fp8KVCacheDataTypeE1ES0_Li32ELi64ELi256ELb0ELi16EEvPKT_PKT0_S8_ifPKiSA_SA_iPKfiiiPfSD_PS3_PT2_iSC_SC_,"axG",@progbits,_Z39paged_attention_ll4mi_QKV_mfma16_kernelI14__hip_bfloat16hLN4vllm18Fp8KVCacheDataTypeE1ES0_Li32ELi64ELi256ELb0ELi16EEvPKT_PKT0_S8_ifPKiSA_SA_iPKfiiiPfSD_PS3_PT2_iSC_SC_,comdat
.Lfunc_end1243:
	.size	_Z39paged_attention_ll4mi_QKV_mfma16_kernelI14__hip_bfloat16hLN4vllm18Fp8KVCacheDataTypeE1ES0_Li32ELi64ELi256ELb0ELi16EEvPKT_PKT0_S8_ifPKiSA_SA_iPKfiiiPfSD_PS3_PT2_iSC_SC_, .Lfunc_end1243-_Z39paged_attention_ll4mi_QKV_mfma16_kernelI14__hip_bfloat16hLN4vllm18Fp8KVCacheDataTypeE1ES0_Li32ELi64ELi256ELb0ELi16EEvPKT_PKT0_S8_ifPKiSA_SA_iPKfiiiPfSD_PS3_PT2_iSC_SC_
                                        ; -- End function
	.section	.AMDGPU.csdata,"",@progbits
; Kernel info:
; codeLenInByte = 4948
; NumSgprs: 55
; NumVgprs: 56
; NumAgprs: 0
; TotalNumVgprs: 56
; ScratchSize: 0
; MemoryBound: 0
; FloatMode: 240
; IeeeMode: 1
; LDSByteSize: 8192 bytes/workgroup (compile time only)
; SGPRBlocks: 6
; VGPRBlocks: 6
; NumSGPRsForWavesPerEU: 55
; NumVGPRsForWavesPerEU: 56
; AccumOffset: 56
; Occupancy: 8
; WaveLimiterHint : 1
; COMPUTE_PGM_RSRC2:SCRATCH_EN: 0
; COMPUTE_PGM_RSRC2:USER_SGPR: 2
; COMPUTE_PGM_RSRC2:TRAP_HANDLER: 0
; COMPUTE_PGM_RSRC2:TGID_X_EN: 1
; COMPUTE_PGM_RSRC2:TGID_Y_EN: 1
; COMPUTE_PGM_RSRC2:TGID_Z_EN: 1
; COMPUTE_PGM_RSRC2:TIDIG_COMP_CNT: 0
; COMPUTE_PGM_RSRC3_GFX90A:ACCUM_OFFSET: 13
; COMPUTE_PGM_RSRC3_GFX90A:TG_SPLIT: 0
	.section	.text._Z39paged_attention_ll4mi_QKV_mfma16_kernelI14__hip_bfloat16hLN4vllm18Fp8KVCacheDataTypeE1ES0_Li32ELi64ELi256ELb0ELi1EEvPKT_PKT0_S8_ifPKiSA_SA_iPKfiiiPfSD_PS3_PT2_iSC_SC_,"axG",@progbits,_Z39paged_attention_ll4mi_QKV_mfma16_kernelI14__hip_bfloat16hLN4vllm18Fp8KVCacheDataTypeE1ES0_Li32ELi64ELi256ELb0ELi1EEvPKT_PKT0_S8_ifPKiSA_SA_iPKfiiiPfSD_PS3_PT2_iSC_SC_,comdat
	.protected	_Z39paged_attention_ll4mi_QKV_mfma16_kernelI14__hip_bfloat16hLN4vllm18Fp8KVCacheDataTypeE1ES0_Li32ELi64ELi256ELb0ELi1EEvPKT_PKT0_S8_ifPKiSA_SA_iPKfiiiPfSD_PS3_PT2_iSC_SC_ ; -- Begin function _Z39paged_attention_ll4mi_QKV_mfma16_kernelI14__hip_bfloat16hLN4vllm18Fp8KVCacheDataTypeE1ES0_Li32ELi64ELi256ELb0ELi1EEvPKT_PKT0_S8_ifPKiSA_SA_iPKfiiiPfSD_PS3_PT2_iSC_SC_
	.globl	_Z39paged_attention_ll4mi_QKV_mfma16_kernelI14__hip_bfloat16hLN4vllm18Fp8KVCacheDataTypeE1ES0_Li32ELi64ELi256ELb0ELi1EEvPKT_PKT0_S8_ifPKiSA_SA_iPKfiiiPfSD_PS3_PT2_iSC_SC_
	.p2align	8
	.type	_Z39paged_attention_ll4mi_QKV_mfma16_kernelI14__hip_bfloat16hLN4vllm18Fp8KVCacheDataTypeE1ES0_Li32ELi64ELi256ELb0ELi1EEvPKT_PKT0_S8_ifPKiSA_SA_iPKfiiiPfSD_PS3_PT2_iSC_SC_,@function
_Z39paged_attention_ll4mi_QKV_mfma16_kernelI14__hip_bfloat16hLN4vllm18Fp8KVCacheDataTypeE1ES0_Li32ELi64ELi256ELb0ELi1EEvPKT_PKT0_S8_ifPKiSA_SA_iPKfiiiPfSD_PS3_PT2_iSC_SC_: ; @_Z39paged_attention_ll4mi_QKV_mfma16_kernelI14__hip_bfloat16hLN4vllm18Fp8KVCacheDataTypeE1ES0_Li32ELi64ELi256ELb0ELi1EEvPKT_PKT0_S8_ifPKiSA_SA_iPKfiiiPfSD_PS3_PT2_iSC_SC_
; %bb.0:
	s_load_dwordx2 s[12:13], s[0:1], 0x30
	s_mov_b32 s5, s3
	s_mov_b64 s[6:7], 0
	s_waitcnt lgkmcnt(0)
	s_cmp_lg_u64 s[12:13], 0
	s_cselect_b64 s[14:15], -1, 0
	s_and_b64 vcc, exec, s[14:15]
	s_cbranch_vccz .LBB1244_7
; %bb.1:
	s_add_i32 s8, s2, 1
	s_mov_b32 s9, 0
	s_lshl_b64 s[10:11], s[8:9], 2
	s_add_u32 s10, s12, s10
	s_mov_b32 s3, s9
	s_addc_u32 s11, s13, s11
	s_lshl_b64 s[8:9], s[2:3], 2
	s_add_u32 s8, s12, s8
	s_addc_u32 s9, s13, s9
	s_load_dword s16, s[10:11], 0x0
	s_load_dword s17, s[8:9], 0x0
	s_waitcnt lgkmcnt(0)
	s_sub_i32 s8, s16, s17
	s_cmp_eq_u32 s8, 1
	s_cselect_b64 s[8:9], -1, 0
	s_andn2_b64 vcc, exec, s[6:7]
	s_cbranch_vccnz .LBB1244_3
.LBB1244_2:
	s_mov_b32 s3, 0
	s_mov_b64 s[8:9], -1
.LBB1244_3:
	s_andn2_b64 vcc, exec, s[8:9]
	s_cbranch_vccnz .LBB1244_17
; %bb.4:
	s_load_dwordx2 s[6:7], s[0:1], 0x28
	s_lshl_b64 s[16:17], s[2:3], 2
	s_waitcnt lgkmcnt(0)
	s_add_u32 s6, s6, s16
	s_addc_u32 s7, s7, s17
	s_load_dword s33, s[6:7], 0x0
	s_lshl_b32 s18, s5, 8
	s_waitcnt lgkmcnt(0)
	s_cmp_ge_i32 s18, s33
	s_cbranch_scc1 .LBB1244_17
; %bb.5:
	s_load_dwordx2 s[6:7], s[0:1], 0x20
	s_load_dword s8, s[0:1], 0x38
	s_add_i32 s9, s33, 31
	s_ashr_i32 s10, s9, 31
	v_and_b32_e32 v1, 0xcf, v0
	s_lshr_b32 s10, s10, 27
	v_add_u32_e32 v1, s18, v1
	s_add_i32 s9, s9, s10
	v_ashrrev_i32_e32 v2, 31, v1
	s_ashr_i32 s19, s9, 5
	v_lshrrev_b32_e32 v10, 27, v2
	s_add_i32 s19, s19, -1
	s_waitcnt lgkmcnt(0)
	s_mul_i32 s8, s2, s8
	s_mov_b32 s9, 0
	v_add_u32_e32 v2, v1, v10
	s_lshl_b64 s[8:9], s[8:9], 2
	v_ashrrev_i32_e32 v2, 5, v2
	v_mov_b32_e32 v11, s19
	v_cmp_gt_i32_e32 vcc, s33, v1
	s_add_u32 s6, s6, s8
	s_addc_u32 s7, s7, s9
	v_cndmask_b32_e32 v2, v11, v2, vcc
	v_ashrrev_i32_e32 v3, 31, v2
	v_lshl_add_u64 v[4:5], v[2:3], 2, s[6:7]
	v_or_b32_e32 v2, 16, v1
	v_add_u32_e32 v3, v2, v10
	v_ashrrev_i32_e32 v3, 5, v3
	v_cmp_gt_i32_e32 vcc, s33, v2
	s_load_dwordx4 s[8:11], s[0:1], 0x8
	s_nop 0
	v_cndmask_b32_e32 v2, v11, v3, vcc
	v_ashrrev_i32_e32 v3, 31, v2
	v_lshl_add_u64 v[6:7], v[2:3], 2, s[6:7]
	v_or_b32_e32 v2, 32, v1
	v_add_u32_e32 v3, v2, v10
	v_ashrrev_i32_e32 v3, 5, v3
	v_cmp_gt_i32_e32 vcc, s33, v2
	v_or_b32_e32 v1, 48, v1
	s_nop 0
	v_cndmask_b32_e32 v2, v11, v3, vcc
	v_ashrrev_i32_e32 v3, 31, v2
	v_lshl_add_u64 v[8:9], v[2:3], 2, s[6:7]
	v_add_u32_e32 v2, v1, v10
	v_ashrrev_i32_e32 v2, 5, v2
	v_cmp_gt_i32_e32 vcc, s33, v1
	s_nop 1
	v_cndmask_b32_e32 v2, v11, v2, vcc
	v_ashrrev_i32_e32 v3, 31, v2
	v_lshl_add_u64 v[10:11], v[2:3], 2, s[6:7]
	global_load_dword v3, v[4:5], off
	global_load_dword v2, v[6:7], off
	;; [unrolled: 1-line block ×4, first 2 shown]
	s_andn2_b64 vcc, exec, s[14:15]
	s_cbranch_vccnz .LBB1244_8
; %bb.6:
	s_add_u32 s12, s12, s16
	s_addc_u32 s13, s13, s17
	s_load_dword s14, s[12:13], 0x0
	s_branch .LBB1244_9
.LBB1244_7:
	s_mov_b64 s[8:9], 0
	s_branch .LBB1244_2
.LBB1244_8:
	s_mov_b32 s14, s2
.LBB1244_9:
	s_load_dwordx4 s[44:47], s[0:1], 0x48
	v_lshrrev_b32_e32 v42, 6, v0
	v_bfe_u32 v40, v0, 4, 2
	v_lshl_or_b32 v1, v42, 2, v40
	v_and_b32_e32 v45, 15, v0
	v_lshlrev_b32_e32 v4, 3, v45
	v_cmp_eq_u32_e32 vcc, 0, v1
	v_cmp_gt_u32_e64 s[28:29], 8, v45
	v_and_b32_e32 v44, 63, v0
	s_and_b64 s[16:17], s[28:29], vcc
	v_lshlrev_b32_e32 v1, 1, v4
	v_lshlrev_b32_e32 v41, 4, v0
	s_and_saveexec_b64 s[12:13], s[16:17]
	s_cbranch_execz .LBB1244_11
; %bb.10:
	s_load_dwordx2 s[16:17], s[0:1], 0x0
	s_waitcnt lgkmcnt(0)
	s_ashr_i32 s15, s44, 31
	s_mul_hi_u32 s20, s14, s44
	s_mul_i32 s15, s14, s15
	s_add_i32 s15, s20, s15
	s_mul_i32 s14, s14, s44
	s_lshl_b64 s[14:15], s[14:15], 1
	s_add_u32 s16, s16, s14
	s_addc_u32 s17, s17, s15
	s_lshl_b32 s14, s4, 6
	s_ashr_i32 s15, s14, 31
	s_lshl_b64 s[14:15], s[14:15], 1
	s_add_u32 s14, s16, s14
	s_addc_u32 s15, s17, s15
	global_load_dwordx4 v[4:7], v1, s[14:15]
	v_lshlrev_b32_e32 v8, 8, v45
	v_and_b32_e32 v9, 16, v41
	s_movk_i32 s14, 0xe00
	v_and_or_b32 v8, v8, s14, v9
	s_waitcnt vmcnt(0)
	ds_write_b128 v8, v[4:7]
.LBB1244_11:
	s_or_b64 exec, exec, s[12:13]
	s_waitcnt lgkmcnt(0)
	s_mul_i32 s12, s4, s46
	s_add_u32 s8, s8, s12
	s_addc_u32 s9, s9, 0
	v_mov_b32_e32 v27, 0
	v_mov_b64_e32 v[14:15], s[8:9]
	v_and_b32_e32 v6, 48, v0
	s_waitcnt vmcnt(3)
	v_mad_i64_i32 v[4:5], s[8:9], v3, s45, v[14:15]
	v_lshlrev_b32_e32 v22, 4, v45
	v_mov_b32_e32 v23, v27
	v_lshlrev_b32_e32 v26, 5, v6
	v_lshl_add_u64 v[4:5], v[4:5], 0, v[22:23]
	v_lshl_add_u64 v[4:5], v[4:5], 0, v[26:27]
	s_barrier
	global_load_dwordx4 v[18:21], v[4:5], off
	s_waitcnt vmcnt(3)
	v_mad_i64_i32 v[2:3], s[8:9], v2, s45, v[14:15]
	v_or_b32_e32 v16, 0x100, v22
	v_mov_b32_e32 v17, v27
	v_lshl_add_u64 v[2:3], v[2:3], 0, v[16:17]
	v_lshl_add_u64 v[2:3], v[2:3], 0, v[26:27]
	global_load_dwordx4 v[2:5], v[2:3], off
	s_ashr_i32 s8, s18, 31
	v_or_b32_e32 v29, s18, v6
	s_lshr_b32 s13, s8, 27
	v_add_u32_e32 v6, s13, v29
	v_ashrrev_i32_e32 v6, 5, v6
	v_mov_b32_e32 v31, s19
	v_cmp_gt_i32_e32 vcc, s33, v29
	s_waitcnt vmcnt(3)
	v_mad_i64_i32 v[24:25], s[8:9], v24, s45, v[14:15]
	v_cndmask_b32_e32 v6, v31, v6, vcc
	v_ashrrev_i32_e32 v7, 31, v6
	v_lshl_add_u64 v[6:7], v[6:7], 2, s[6:7]
	v_lshl_add_u64 v[22:23], v[24:25], 0, v[22:23]
	global_load_dword v52, v[6:7], off
	v_lshlrev_b32_e32 v6, 9, v40
	v_lshl_add_u64 v[22:23], v[22:23], 0, v[26:27]
	s_load_dword s14, s[0:1], 0x1c
	s_load_dwordx4 s[40:43], s[0:1], 0x80
	ds_read_b128 v[10:13], v6
	ds_read_b128 v[6:9], v6 offset:16
	global_load_dwordx4 v[22:25], v[22:23], off
	v_or_b32_e32 v30, 64, v29
	v_or_b32_e32 v32, 0x80, v29
	s_waitcnt vmcnt(4)
	v_mad_i64_i32 v[14:15], s[8:9], v28, s45, v[14:15]
	v_add_u32_e32 v28, s13, v30
	v_add_u32_e32 v33, s13, v32
	v_lshl_add_u64 v[14:15], v[14:15], 0, v[16:17]
	v_ashrrev_i32_e32 v16, 5, v28
	v_cmp_gt_i32_e32 vcc, s33, v30
	v_ashrrev_i32_e32 v17, 5, v33
	v_lshl_add_u64 v[14:15], v[14:15], 0, v[26:27]
	v_cndmask_b32_e32 v28, v31, v16, vcc
	v_cmp_gt_i32_e32 vcc, s33, v32
	v_or_b32_e32 v29, 0xc0, v29
	v_add_u32_e32 v34, s13, v29
	v_cndmask_b32_e32 v30, v31, v17, vcc
	global_load_dwordx4 v[14:17], v[14:15], off
	s_add_u32 s8, s10, s12
	v_ashrrev_i32_e32 v33, 5, v34
	v_cmp_gt_i32_e32 vcc, s33, v29
	v_lshlrev_b32_e32 v43, 5, v45
	s_addc_u32 s9, s11, 0
	v_cndmask_b32_e32 v32, v31, v33, vcc
	v_and_b32_e32 v26, 16, v0
	v_ashrrev_i32_e32 v29, 31, v28
	v_ashrrev_i32_e32 v31, 31, v30
	;; [unrolled: 1-line block ×3, first 2 shown]
	v_lshl_add_u64 v[34:35], s[8:9], 0, v[26:27]
	v_lshl_or_b32 v26, v42, 9, v43
	v_lshl_add_u64 v[36:37], v[28:29], 2, s[6:7]
	v_lshl_add_u64 v[30:31], v[30:31], 2, s[6:7]
	s_waitcnt lgkmcnt(0)
	s_load_dword s10, s[40:41], 0x0
	v_lshl_add_u64 v[38:39], v[32:33], 2, s[6:7]
	v_lshl_add_u64 v[28:29], v[34:35], 0, v[26:27]
	global_load_dword v33, v[36:37], off
	global_load_dword v26, v[30:31], off
	global_load_dword v32, v[38:39], off
	s_mov_b32 s44, 0x7060302
	s_mov_b32 s46, 0xff7fffff
	s_waitcnt vmcnt(7)
	v_cvt_pk_f32_fp8_e32 v[30:31], v18
	v_cvt_pk_f32_fp8_sdwa v[34:35], v18 src0_sel:WORD_1
	v_cvt_pk_f32_fp8_e32 v[36:37], v19
	v_cvt_pk_f32_fp8_sdwa v[18:19], v19 src0_sel:WORD_1
	v_perm_b32 v30, v31, v30, s44
	v_perm_b32 v31, v35, v34, s44
	v_cvt_pk_f32_fp8_e32 v[38:39], v20
	v_cvt_pk_f32_fp8_sdwa v[46:47], v20 src0_sel:WORD_1
	v_perm_b32 v36, v37, v36, s44
	v_perm_b32 v37, v19, v18, s44
	v_cvt_pk_f32_fp8_e32 v[48:49], v21
	v_cvt_pk_f32_fp8_sdwa v[34:35], v21 src0_sel:WORD_1
	v_mfma_f32_16x16x16_bf16 v[18:21], v[30:31], v[10:11], 0
	v_perm_b32 v38, v39, v38, s44
	v_perm_b32 v39, v47, v46, s44
	s_waitcnt vmcnt(6)
	v_cvt_pk_f32_fp8_e32 v[50:51], v2
	v_cvt_pk_f32_fp8_sdwa v[30:31], v2 src0_sel:WORD_1
	v_mfma_f32_16x16x16_bf16 v[18:21], v[36:37], v[12:13], v[18:21]
	v_cvt_pk_f32_fp8_e32 v[46:47], v3
	v_perm_b32 v48, v49, v48, s44
	v_perm_b32 v49, v35, v34, s44
	v_mfma_f32_16x16x16_bf16 v[34:37], v[38:39], v[6:7], v[18:21]
	v_cvt_pk_f32_fp8_sdwa v[2:3], v3 src0_sel:WORD_1
	v_cvt_pk_f32_fp8_e32 v[38:39], v4
	s_nop 0
	v_perm_b32 v20, v51, v50, s44
	v_perm_b32 v21, v31, v30, s44
	;; [unrolled: 1-line block ×3, first 2 shown]
	v_cvt_pk_f32_fp8_sdwa v[50:51], v4 src0_sel:WORD_1
	v_perm_b32 v31, v3, v2, s44
	v_mfma_f32_16x16x16_bf16 v[34:37], v[48:49], v[8:9], v[34:37]
	s_waitcnt vmcnt(5)
	v_mad_i64_i32 v[18:19], s[6:7], v52, s45, v[28:29]
	v_mfma_f32_16x16x16_bf16 v[46:49], v[20:21], v[10:11], 0
	v_perm_b32 v20, v39, v38, s44
	v_perm_b32 v21, v51, v50, s44
	v_cvt_pk_f32_fp8_e32 v[38:39], v5
	v_cvt_pk_f32_fp8_sdwa v[50:51], v5 src0_sel:WORD_1
	v_mfma_f32_16x16x16_bf16 v[2:5], v[30:31], v[12:13], v[46:49]
	v_perm_b32 v30, v39, v38, s44
	v_perm_b32 v31, v51, v50, s44
	v_mfma_f32_16x16x16_bf16 v[2:5], v[20:21], v[6:7], v[2:5]
	s_waitcnt vmcnt(4)
	v_cvt_pk_f32_fp8_e32 v[20:21], v22
	v_cvt_pk_f32_fp8_sdwa v[38:39], v22 src0_sel:WORD_1
	v_mov_b32_e32 v46, s14
	s_waitcnt lgkmcnt(0)
	v_mul_f32_e32 v54, s10, v46
	v_mfma_f32_16x16x16_bf16 v[46:49], v[30:31], v[8:9], v[2:5]
	v_cvt_pk_f32_fp8_e32 v[30:31], v24
	s_nop 1
	v_cvt_pk_f32_fp8_e32 v[2:3], v23
	v_perm_b32 v4, v21, v20, s44
	v_perm_b32 v5, v39, v38, s44
	v_cvt_pk_f32_fp8_sdwa v[20:21], v23 src0_sel:WORD_1
	v_perm_b32 v22, v3, v2, s44
	v_cvt_pk_f32_fp8_sdwa v[38:39], v24 src0_sel:WORD_1
	v_mfma_f32_16x16x16_bf16 v[2:5], v[4:5], v[10:11], 0
	v_perm_b32 v23, v21, v20, s44
	v_perm_b32 v20, v31, v30, s44
	;; [unrolled: 1-line block ×3, first 2 shown]
	v_mfma_f32_16x16x16_bf16 v[2:5], v[22:23], v[12:13], v[2:5]
	v_cvt_pk_f32_fp8_e32 v[30:31], v25
	v_cvt_pk_f32_fp8_sdwa v[24:25], v25 src0_sel:WORD_1
	v_pk_mul_f32 v[22:23], v[54:55], v[36:37] op_sel_hi:[0,1]
	v_mfma_f32_16x16x16_bf16 v[36:39], v[20:21], v[6:7], v[2:5]
	s_waitcnt vmcnt(3)
	v_cvt_pk_f32_fp8_sdwa v[20:21], v14 src0_sel:WORD_1
	v_perm_b32 v30, v31, v30, s44
	v_perm_b32 v31, v25, v24, s44
	v_cvt_pk_f32_fp8_e32 v[4:5], v14
	v_cvt_pk_f32_fp8_e32 v[24:25], v15
	v_cvt_pk_f32_fp8_sdwa v[14:15], v15 src0_sel:WORD_1
	v_mfma_f32_16x16x16_bf16 v[50:53], v[30:31], v[8:9], v[36:39]
	v_perm_b32 v4, v5, v4, s44
	v_perm_b32 v5, v21, v20, s44
	;; [unrolled: 1-line block ×3, first 2 shown]
	v_cvt_pk_f32_fp8_e32 v[24:25], v16
	v_cvt_pk_f32_fp8_sdwa v[30:31], v16 src0_sel:WORD_1
	v_perm_b32 v21, v15, v14, s44
	v_pk_mul_f32 v[2:3], v[54:55], v[34:35] op_sel_hi:[0,1]
	v_mfma_f32_16x16x16_bf16 v[34:37], v[4:5], v[10:11], 0
	v_perm_b32 v4, v25, v24, s44
	v_perm_b32 v5, v31, v30, s44
	v_cvt_pk_f32_fp8_e32 v[14:15], v17
	v_cvt_pk_f32_fp8_sdwa v[16:17], v17 src0_sel:WORD_1
	v_mfma_f32_16x16x16_bf16 v[10:13], v[20:21], v[12:13], v[34:37]
	v_pk_mul_f32 v[38:39], v[54:55], v[46:47] op_sel_hi:[0,1]
	v_perm_b32 v14, v15, v14, s44
	v_perm_b32 v15, v17, v16, s44
	v_mfma_f32_16x16x16_bf16 v[4:7], v[4:5], v[6:7], v[10:13]
	v_pk_mul_f32 v[34:35], v[54:55], v[48:49] op_sel_hi:[0,1]
	v_pk_mul_f32 v[36:37], v[54:55], v[50:51] op_sel_hi:[0,1]
	;; [unrolled: 1-line block ×3, first 2 shown]
	v_mfma_f32_16x16x16_bf16 v[4:7], v[14:15], v[8:9], v[4:7]
	s_nop 6
	v_pk_mul_f32 v[24:25], v[54:55], v[4:5] op_sel_hi:[0,1]
	v_and_b32_e32 v4, 0xc0, v0
	v_add_u32_e32 v4, s18, v4
	v_lshl_or_b32 v4, v40, 2, v4
	v_pk_mul_f32 v[20:21], v[54:55], v[6:7] op_sel_hi:[0,1]
	v_or_b32_e32 v7, 1, v4
	v_mov_b32_e32 v5, 0xff7fffff
	v_cmp_gt_i32_e64 s[30:31], s33, v4
	v_cmp_gt_i32_e64 s[34:35], s33, v7
	v_or_b32_e32 v8, 3, v4
	v_cndmask_b32_e64 v6, v5, v2, s[30:31]
	v_cndmask_b32_e64 v7, v5, v3, s[34:35]
	v_max3_f32 v6, v6, s46, v7
	v_or_b32_e32 v7, 2, v4
	v_cmp_gt_i32_e64 s[36:37], s33, v7
	v_cmp_gt_i32_e64 s[38:39], s33, v8
	s_nop 0
	v_cndmask_b32_e64 v7, v5, v22, s[36:37]
	v_cndmask_b32_e64 v8, v5, v23, s[38:39]
	v_max3_f32 v6, v6, v7, v8
	v_or_b32_e32 v7, 16, v4
	v_or_b32_e32 v8, 17, v4
	v_cmp_gt_i32_e64 s[24:25], s33, v7
	v_cmp_gt_i32_e64 s[26:27], s33, v8
	s_nop 0
	v_cndmask_b32_e64 v7, v5, v38, s[24:25]
	v_cndmask_b32_e64 v8, v5, v39, s[26:27]
	v_max3_f32 v6, v6, v7, v8
	v_or_b32_e32 v7, 18, v4
	;; [unrolled: 8-line block ×6, first 2 shown]
	v_or_b32_e32 v4, 51, v4
	v_cmp_gt_i32_e32 vcc, s33, v7
	v_cmp_gt_i32_e64 s[6:7], s33, v4
	s_nop 0
	v_cndmask_b32_e32 v7, v5, v20, vcc
	v_cndmask_b32_e64 v4, v5, v21, s[6:7]
	v_max3_f32 v6, v6, v7, v4
	v_mbcnt_lo_u32_b32 v4, -1, 0
	v_mbcnt_hi_u32_b32 v7, -1, v4
	v_and_b32_e32 v4, 64, v7
	v_add_u32_e32 v8, 64, v4
	v_xor_b32_e32 v4, 32, v7
	v_cmp_lt_i32_e64 s[40:41], v4, v8
	s_nop 1
	v_cndmask_b32_e64 v4, v7, v4, s[40:41]
	v_lshlrev_b32_e32 v46, 2, v4
	ds_bpermute_b32 v9, v46, v6
	s_waitcnt vmcnt(2)
	v_mad_i64_i32 v[4:5], s[40:41], v33, s45, v[28:29]
	global_load_dwordx4 v[14:17], v[18:19], off
	global_load_dwordx4 v[10:13], v[4:5], off
	v_xor_b32_e32 v5, 16, v7
	v_cmp_lt_i32_e64 s[40:41], v5, v8
	s_waitcnt lgkmcnt(0)
	v_max_f32_e32 v4, v9, v9
	v_max_f32_e32 v4, v6, v4
	v_cndmask_b32_e64 v5, v7, v5, s[40:41]
	v_lshlrev_b32_e32 v47, 2, v5
	ds_bpermute_b32 v5, v47, v4
	s_waitcnt vmcnt(3)
	v_mad_i64_i32 v[18:19], s[40:41], v26, s45, v[28:29]
	s_waitcnt vmcnt(2)
	v_mad_i64_i32 v[28:29], s[40:41], v32, s45, v[28:29]
	s_waitcnt lgkmcnt(0)
	v_max_f32_e32 v5, v5, v5
	v_max_f32_e32 v26, v4, v5
	v_sub_f32_e32 v2, v2, v26
	v_mul_f32_e32 v2, 0x3fb8aa3b, v2
	v_exp_f32_e32 v32, v2
	v_sub_f32_e32 v2, v3, v26
	v_mul_f32_e32 v2, 0x3fb8aa3b, v2
	v_exp_f32_e32 v33, v2
	global_load_dwordx4 v[6:9], v[18:19], off
	global_load_dwordx4 v[2:5], v[28:29], off
	v_sub_f32_e32 v22, v22, v26
	v_mul_f32_e32 v22, 0x3fb8aa3b, v22
	v_sub_f32_e32 v23, v23, v26
	v_exp_f32_e32 v22, v22
	v_mul_f32_e32 v23, 0x3fb8aa3b, v23
	v_exp_f32_e32 v23, v23
	v_cndmask_b32_e64 v18, 0, v32, s[30:31]
	v_add_f32_e32 v28, 0, v18
	v_cndmask_b32_e64 v19, 0, v33, s[34:35]
	v_add_f32_e32 v28, v28, v19
	;; [unrolled: 2-line block ×3, first 2 shown]
	v_cndmask_b32_e64 v33, 0, v23, s[38:39]
	v_sub_f32_e32 v23, v38, v26
	v_sub_f32_e32 v28, v39, v26
	v_mul_f32_e32 v23, 0x3fb8aa3b, v23
	v_mul_f32_e32 v28, 0x3fb8aa3b, v28
	v_exp_f32_e32 v23, v23
	v_exp_f32_e32 v28, v28
	v_add_f32_e32 v29, v22, v33
	v_sub_f32_e32 v30, v30, v26
	v_cndmask_b32_e64 v22, 0, v23, s[24:25]
	v_cndmask_b32_e64 v23, 0, v28, s[26:27]
	v_sub_f32_e32 v28, v34, v26
	v_mul_f32_e32 v28, 0x3fb8aa3b, v28
	v_exp_f32_e32 v28, v28
	v_sub_f32_e32 v34, v35, v26
	v_add_f32_e32 v29, v29, v22
	v_mul_f32_e32 v34, 0x3fb8aa3b, v34
	v_exp_f32_e32 v35, v34
	v_add_f32_e32 v29, v29, v23
	v_cndmask_b32_e64 v34, 0, v28, s[20:21]
	v_add_f32_e32 v28, v29, v34
	v_sub_f32_e32 v29, v36, v26
	v_mul_f32_e32 v29, 0x3fb8aa3b, v29
	v_sub_f32_e32 v36, v37, v26
	v_exp_f32_e32 v29, v29
	v_mul_f32_e32 v36, 0x3fb8aa3b, v36
	v_exp_f32_e32 v36, v36
	v_mul_f32_e32 v30, 0x3fb8aa3b, v30
	v_sub_f32_e32 v31, v31, v26
	v_exp_f32_e32 v30, v30
	v_mul_f32_e32 v31, 0x3fb8aa3b, v31
	v_sub_f32_e32 v24, v24, v26
	v_cndmask_b32_e64 v35, 0, v35, s[22:23]
	v_exp_f32_e32 v31, v31
	v_mul_f32_e32 v24, 0x3fb8aa3b, v24
	v_sub_f32_e32 v25, v25, v26
	v_add_f32_e32 v37, v28, v35
	v_cndmask_b32_e64 v28, 0, v29, s[16:17]
	v_exp_f32_e32 v24, v24
	v_mul_f32_e32 v25, 0x3fb8aa3b, v25
	v_sub_f32_e32 v20, v20, v26
	v_add_f32_e32 v37, v37, v28
	;; [unrolled: 5-line block ×3, first 2 shown]
	v_cndmask_b32_e64 v30, 0, v30, s[12:13]
	v_exp_f32_e32 v20, v20
	v_mul_f32_e32 v21, 0x3fb8aa3b, v21
	v_add_f32_e32 v36, v36, v30
	v_cndmask_b32_e64 v31, 0, v31, s[14:15]
	v_exp_f32_e32 v21, v21
	v_add_f32_e32 v36, v36, v31
	v_cndmask_b32_e64 v24, 0, v24, s[8:9]
	v_add_f32_e32 v36, v36, v24
	v_cndmask_b32_e64 v25, 0, v25, s[10:11]
	v_add_f32_e32 v36, v36, v25
	v_cndmask_b32_e32 v20, 0, v20, vcc
	v_add_f32_e32 v36, v36, v20
	v_cndmask_b32_e64 v21, 0, v21, s[6:7]
	v_add_f32_e32 v36, v36, v21
	ds_bpermute_b32 v37, v46, v36
	v_cmp_gt_u32_e64 s[6:7], 16, v44
	s_waitcnt lgkmcnt(0)
	s_barrier
	v_add_f32_e32 v37, v36, v37
	ds_bpermute_b32 v38, v47, v37
	v_lshlrev_b32_e32 v36, 2, v45
	s_and_saveexec_b64 s[8:9], s[6:7]
	s_cbranch_execz .LBB1244_13
; %bb.12:
	s_waitcnt lgkmcnt(0)
	v_add_f32_e32 v37, v37, v38
	v_lshl_or_b32 v38, v42, 6, v36
	ds_write2st64_b32 v38, v26, v37 offset1:1
.LBB1244_13:
	s_or_b64 exec, exec, s[8:9]
	s_load_dwordx2 s[8:9], s[0:1], 0x94
	s_waitcnt lgkmcnt(0)
	s_barrier
	ds_read2_b32 v[38:39], v36 offset1:16
	ds_read2_b32 v[44:45], v36 offset0:32 offset1:48
	ds_read2_b32 v[46:47], v36 offset0:64 offset1:80
	s_movk_i32 s12, 0x7fff
	s_waitcnt lgkmcnt(2)
	v_max3_f32 v26, v38, s46, v39
	s_waitcnt lgkmcnt(1)
	v_max3_f32 v26, v26, v44, v45
	v_sub_f32_e32 v37, v38, v26
	v_sub_f32_e32 v38, v39, v26
	v_mul_f32_e32 v38, 0x3fb8aa3b, v38
	v_mul_f32_e32 v37, 0x3fb8aa3b, v37
	v_exp_f32_e32 v48, v38
	v_sub_f32_e32 v38, v44, v26
	v_exp_f32_e32 v37, v37
	v_mul_f32_e32 v38, 0x3fb8aa3b, v38
	v_exp_f32_e32 v44, v38
	ds_read2_b32 v[38:39], v36 offset0:96 offset1:112
	v_sub_f32_e32 v36, v45, v26
	v_mul_f32_e32 v36, 0x3fb8aa3b, v36
	v_exp_f32_e32 v45, v36
	s_waitcnt lgkmcnt(1)
	v_fma_f32 v36, v37, v46, 0
	v_fmac_f32_e32 v36, v48, v47
	s_waitcnt lgkmcnt(0)
	v_fmac_f32_e32 v36, v44, v38
	v_fmac_f32_e32 v36, v45, v39
	v_add_f32_e32 v38, 0x358637bd, v36
	v_div_scale_f32 v39, s[10:11], v38, v38, 1.0
	v_rcp_f32_e32 v46, v39
	s_barrier
	v_fma_f32 v47, -v39, v46, 1.0
	v_fmac_f32_e32 v46, v47, v46
	v_div_scale_f32 v47, vcc, 1.0, v38, 1.0
	v_mul_f32_e32 v49, v47, v46
	v_fma_f32 v50, -v39, v49, v47
	v_fmac_f32_e32 v49, v50, v46
	v_fma_f32 v39, -v39, v49, v47
	v_div_fmas_f32 v39, v39, v46, v49
	v_cmp_eq_u32_e32 vcc, 1, v42
	v_div_fixup_f32 v38, v39, v38, 1.0
	s_nop 0
	v_cndmask_b32_e32 v37, v37, v48, vcc
	v_cmp_eq_u32_e32 vcc, 2, v42
	s_nop 1
	v_cndmask_b32_e32 v37, v37, v44, vcc
	v_cmp_eq_u32_e32 vcc, 3, v42
	s_nop 1
	v_cndmask_b32_e32 v37, v37, v45, vcc
	v_mul_f32_e32 v38, v37, v38
	v_pk_mul_f32 v[18:19], v[38:39], v[18:19] op_sel_hi:[0,1]
	v_pk_mul_f32 v[32:33], v[38:39], v[32:33] op_sel_hi:[0,1]
	v_bfe_u32 v37, v19, 16, 1
	v_bfe_u32 v39, v18, 16, 1
	v_add3_u32 v18, v18, v39, s12
	v_add3_u32 v19, v19, v37, s12
	v_perm_b32 v44, v19, v18, s44
	v_bfe_u32 v18, v33, 16, 1
	v_bfe_u32 v19, v32, 16, 1
	v_add3_u32 v19, v32, v19, s12
	v_add3_u32 v18, v33, v18, s12
	v_perm_b32 v45, v18, v19, s44
	v_lshlrev_b32_e32 v18, 3, v40
	v_lshlrev_b32_e32 v19, 11, v42
	v_pk_mul_f32 v[22:23], v[38:39], v[22:23] op_sel_hi:[0,1]
	v_or3_b32 v18, v19, v43, v18
	v_pk_mul_f32 v[32:33], v[38:39], v[34:35] op_sel_hi:[0,1]
	v_bfe_u32 v19, v23, 16, 1
	v_bfe_u32 v34, v22, 16, 1
	v_add3_u32 v22, v22, v34, s12
	v_add3_u32 v19, v23, v19, s12
	v_perm_b32 v22, v19, v22, s44
	v_bfe_u32 v19, v33, 16, 1
	v_bfe_u32 v23, v32, 16, 1
	v_add3_u32 v23, v32, v23, s12
	v_add3_u32 v19, v33, v19, s12
	v_perm_b32 v23, v19, v23, s44
	v_pk_mul_f32 v[28:29], v[38:39], v[28:29] op_sel_hi:[0,1]
	ds_write2st64_b64 v18, v[44:45], v[22:23] offset1:1
	v_pk_mul_f32 v[22:23], v[38:39], v[30:31] op_sel_hi:[0,1]
	v_bfe_u32 v19, v29, 16, 1
	v_bfe_u32 v30, v28, 16, 1
	v_add3_u32 v28, v28, v30, s12
	v_add3_u32 v19, v29, v19, s12
	v_perm_b32 v28, v19, v28, s44
	v_bfe_u32 v19, v23, 16, 1
	v_bfe_u32 v29, v22, 16, 1
	v_add3_u32 v22, v22, v29, s12
	v_add3_u32 v19, v23, v19, s12
	v_perm_b32 v29, v19, v22, s44
	v_pk_mul_f32 v[22:23], v[38:39], v[24:25] op_sel_hi:[0,1]
	v_bfe_u32 v19, v23, 16, 1
	v_bfe_u32 v24, v22, 16, 1
	v_pk_mul_f32 v[20:21], v[38:39], v[20:21] op_sel_hi:[0,1]
	v_add3_u32 v22, v22, v24, s12
	v_add3_u32 v19, v23, v19, s12
	v_perm_b32 v22, v19, v22, s44
	v_bfe_u32 v19, v21, 16, 1
	v_bfe_u32 v23, v20, 16, 1
	v_add3_u32 v20, v20, v23, s12
	v_add3_u32 v19, v21, v19, s12
	v_perm_b32 v23, v19, v20, s44
	v_cmp_eq_u32_e32 vcc, 0, v0
	ds_write2st64_b64 v18, v[28:29], v[22:23] offset0:2 offset1:3
	s_and_saveexec_b64 s[10:11], vcc
	s_cbranch_execz .LBB1244_15
; %bb.14:
	s_mul_i32 s3, s3, s9
	s_mul_hi_u32 s13, s2, s9
	s_add_i32 s13, s13, s3
	s_mul_i32 s3, s2, s9
	s_add_u32 s3, s3, s4
	s_addc_u32 s13, s13, 0
	s_load_dwordx4 s[16:19], s[0:1], 0x58
	s_mul_i32 s13, s13, s8
	s_mul_hi_u32 s14, s3, s8
	s_add_i32 s13, s14, s13
	s_mul_i32 s3, s3, s8
	s_add_u32 s14, s3, s5
	s_addc_u32 s15, s13, 0
	s_lshl_b64 s[14:15], s[14:15], 2
	s_waitcnt lgkmcnt(0)
	s_add_u32 s18, s18, s14
	s_addc_u32 s19, s19, s15
	s_add_u32 s14, s16, s14
	s_addc_u32 s15, s17, s15
	global_store_dword v27, v26, s[18:19]
	global_store_dword v27, v36, s[14:15]
.LBB1244_15:
	s_or_b64 exec, exec, s[10:11]
	s_waitcnt vmcnt(3)
	v_cvt_pk_f32_fp8_e32 v[20:21], v14
	v_cvt_pk_f32_fp8_sdwa v[22:23], v14 src0_sel:WORD_1
	s_mov_b32 s10, 0x7060302
	v_lshl_or_b32 v14, v40, 9, v43
	s_waitcnt lgkmcnt(0)
	s_barrier
	v_cvt_pk_f32_fp8_e32 v[24:25], v15
	v_perm_b32 v28, v21, v20, s10
	v_perm_b32 v29, v23, v22, s10
	v_cvt_pk_f32_fp8_sdwa v[26:27], v15 src0_sel:WORD_1
	ds_read_b128 v[20:23], v14
	v_perm_b32 v32, v25, v24, s10
	v_cvt_pk_f32_fp8_e32 v[34:35], v16
	v_perm_b32 v33, v27, v26, s10
	ds_read_b128 v[24:27], v14 offset:16
	v_cvt_pk_f32_fp8_sdwa v[36:37], v16 src0_sel:WORD_1
	s_waitcnt lgkmcnt(1)
	v_mfma_f32_16x16x16_bf16 v[28:31], v[28:29], v[20:21], 0
	v_perm_b32 v34, v35, v34, s10
	s_load_dword s14, s[42:43], 0x0
	v_perm_b32 v35, v37, v36, s10
	v_cvt_pk_f32_fp8_e32 v[36:37], v17
	v_cvt_pk_f32_fp8_sdwa v[16:17], v17 src0_sel:WORD_1
	v_mfma_f32_16x16x16_bf16 v[20:23], v[32:33], v[22:23], v[28:31]
	v_cmp_gt_u32_e32 vcc, 64, v0
	s_mov_b32 s3, 0
	s_nop 0
	v_perm_b32 v28, v37, v36, s10
	v_perm_b32 v29, v17, v16, s10
	s_waitcnt lgkmcnt(0)
	v_mfma_f32_16x16x16_bf16 v[20:23], v[34:35], v[24:25], v[20:23]
	s_waitcnt vmcnt(2)
	v_cvt_pk_f32_fp8_e32 v[16:17], v10
	v_cvt_pk_f32_fp8_sdwa v[24:25], v10 src0_sel:WORD_1
	v_cvt_pk_f32_fp8_sdwa v[34:35], v12 src0_sel:WORD_1
	v_mfma_f32_16x16x16_bf16 v[20:23], v[28:29], v[26:27], v[20:23]
	v_cvt_pk_f32_fp8_e32 v[26:27], v11
	v_perm_b32 v10, v17, v16, s10
	v_cvt_pk_f32_fp8_sdwa v[16:17], v11 src0_sel:WORD_1
	v_perm_b32 v11, v25, v24, s10
	v_perm_b32 v32, v27, v26, s10
	ds_read_b128 v[24:27], v14 offset:2048
	ds_read_b128 v[28:31], v14 offset:2064
	v_perm_b32 v33, v17, v16, s10
	v_cvt_pk_f32_fp8_e32 v[16:17], v12
	s_waitcnt lgkmcnt(1)
	v_mfma_f32_16x16x16_bf16 v[20:23], v[10:11], v[24:25], v[20:23]
	v_perm_b32 v11, v35, v34, s10
	v_perm_b32 v10, v17, v16, s10
	v_cvt_pk_f32_fp8_e32 v[16:17], v13
	v_cvt_pk_f32_fp8_sdwa v[24:25], v13 src0_sel:WORD_1
	v_mfma_f32_16x16x16_bf16 v[20:23], v[32:33], v[26:27], v[20:23]
	v_perm_b32 v16, v17, v16, s10
	v_perm_b32 v17, v25, v24, s10
	s_waitcnt lgkmcnt(0)
	v_mfma_f32_16x16x16_bf16 v[10:13], v[10:11], v[28:29], v[20:23]
	s_waitcnt vmcnt(1)
	v_cvt_pk_f32_fp8_sdwa v[24:25], v7 src0_sel:WORD_1
	v_cvt_pk_f32_fp8_e32 v[28:29], v8
	v_cvt_pk_f32_fp8_e32 v[20:21], v6
	v_mfma_f32_16x16x16_bf16 v[10:13], v[16:17], v[30:31], v[10:13]
	v_cvt_pk_f32_fp8_sdwa v[16:17], v6 src0_sel:WORD_1
	v_cvt_pk_f32_fp8_e32 v[22:23], v7
	v_perm_b32 v6, v21, v20, s10
	v_cvt_pk_f32_fp8_sdwa v[30:31], v8 src0_sel:WORD_1
	v_perm_b32 v7, v17, v16, s10
	v_perm_b32 v16, v23, v22, s10
	ds_read_b128 v[20:23], v14 offset:4096
	v_perm_b32 v17, v25, v24, s10
	ds_read_b128 v[24:27], v14 offset:4112
	s_waitcnt lgkmcnt(1)
	v_mfma_f32_16x16x16_bf16 v[10:13], v[6:7], v[20:21], v[10:13]
	v_perm_b32 v6, v29, v28, s10
	v_perm_b32 v7, v31, v30, s10
	v_cvt_pk_f32_fp8_e32 v[20:21], v9
	v_mfma_f32_16x16x16_bf16 v[10:13], v[16:17], v[22:23], v[10:13]
	v_cvt_pk_f32_fp8_sdwa v[16:17], v9 src0_sel:WORD_1
	v_perm_b32 v20, v21, v20, s10
	s_waitcnt lgkmcnt(0)
	v_mfma_f32_16x16x16_bf16 v[6:9], v[6:7], v[24:25], v[10:13]
	v_perm_b32 v21, v17, v16, s10
	s_waitcnt vmcnt(0)
	v_cvt_pk_f32_fp8_e32 v[16:17], v3
	v_cvt_pk_f32_fp8_sdwa v[24:25], v4 src0_sel:WORD_1
	v_cvt_pk_f32_fp8_e32 v[10:11], v2
	v_cvt_pk_f32_fp8_sdwa v[12:13], v2 src0_sel:WORD_1
	v_mfma_f32_16x16x16_bf16 v[6:9], v[20:21], v[26:27], v[6:9]
	v_cvt_pk_f32_fp8_sdwa v[20:21], v3 src0_sel:WORD_1
	v_perm_b32 v2, v11, v10, s10
	v_perm_b32 v3, v13, v12, s10
	ds_read_b128 v[10:13], v14 offset:6144
	v_perm_b32 v22, v17, v16, s10
	v_perm_b32 v23, v21, v20, s10
	v_cvt_pk_f32_fp8_e32 v[20:21], v4
	s_waitcnt lgkmcnt(0)
	v_mfma_f32_16x16x16_bf16 v[6:9], v[2:3], v[10:11], v[6:9]
	ds_read_b128 v[14:17], v14 offset:6160
	v_perm_b32 v2, v21, v20, s10
	v_perm_b32 v3, v25, v24, s10
	v_cvt_pk_f32_fp8_e32 v[10:11], v5
	v_mfma_f32_16x16x16_bf16 v[6:9], v[22:23], v[12:13], v[6:9]
	v_cvt_pk_f32_fp8_sdwa v[12:13], v5 src0_sel:WORD_1
	s_waitcnt lgkmcnt(0)
	v_perm_b32 v10, v11, v10, s10
	v_mfma_f32_16x16x16_bf16 v[2:5], v[2:3], v[14:15], v[6:9]
	v_perm_b32 v11, v13, v12, s10
	s_barrier
	s_nop 0
	v_mfma_f32_16x16x16_bf16 v[2:5], v[10:11], v[16:17], v[2:5]
	s_nop 6
	v_pk_mul_f32 v[2:3], v[2:3], s[14:15] op_sel_hi:[1,0]
	v_pk_mul_f32 v[4:5], v[4:5], s[14:15] op_sel_hi:[1,0]
	v_bfe_u32 v6, v3, 16, 1
	v_bfe_u32 v7, v2, 16, 1
	v_add3_u32 v2, v2, v7, s12
	v_add3_u32 v3, v3, v6, s12
	v_perm_b32 v2, v3, v2, s10
	v_bfe_u32 v3, v5, 16, 1
	v_bfe_u32 v6, v4, 16, 1
	v_add3_u32 v4, v4, v6, s12
	v_add3_u32 v3, v5, v3, s12
	v_perm_b32 v3, v3, v4, s10
	s_and_b64 s[10:11], s[28:29], vcc
	s_and_b64 s[6:7], s[10:11], s[6:7]
	ds_write_b64 v18, v[2:3]
	s_waitcnt lgkmcnt(0)
	s_barrier
	s_and_saveexec_b64 s[10:11], s[6:7]
	s_cbranch_execz .LBB1244_17
; %bb.16:
	s_load_dwordx2 s[0:1], s[0:1], 0x68
	s_mul_i32 s2, s9, s2
	s_lshl_b32 s8, s8, 6
	s_mul_hi_u32 s7, s2, s8
	s_mul_i32 s6, s2, s8
	s_lshl_b64 s[6:7], s[6:7], 1
	v_lshlrev_b32_e32 v0, 10, v0
	s_waitcnt lgkmcnt(0)
	s_add_u32 s6, s0, s6
	v_and_b32_e32 v0, 0x1800, v0
	v_lshlrev_b32_e32 v2, 5, v40
	v_and_b32_e32 v3, 16, v41
	s_addc_u32 s7, s1, s7
	s_lshl_b32 s2, s5, 6
	v_or3_b32 v0, v0, v2, v3
	s_lshl_b64 s[0:1], s[2:3], 1
	ds_read_b128 v[2:5], v0
	s_add_u32 s2, s6, s0
	s_addc_u32 s3, s7, s1
	s_mul_hi_u32 s1, s8, s4
	s_mul_i32 s0, s8, s4
	s_lshl_b64 s[0:1], s[0:1], 1
	s_add_u32 s0, s2, s0
	s_addc_u32 s1, s3, s1
	s_waitcnt lgkmcnt(0)
	global_store_dwordx4 v1, v[2:5], s[0:1]
.LBB1244_17:
	s_endpgm
	.section	.rodata,"a",@progbits
	.p2align	6, 0x0
	.amdhsa_kernel _Z39paged_attention_ll4mi_QKV_mfma16_kernelI14__hip_bfloat16hLN4vllm18Fp8KVCacheDataTypeE1ES0_Li32ELi64ELi256ELb0ELi1EEvPKT_PKT0_S8_ifPKiSA_SA_iPKfiiiPfSD_PS3_PT2_iSC_SC_
		.amdhsa_group_segment_fixed_size 8192
		.amdhsa_private_segment_fixed_size 0
		.amdhsa_kernarg_size 400
		.amdhsa_user_sgpr_count 2
		.amdhsa_user_sgpr_dispatch_ptr 0
		.amdhsa_user_sgpr_queue_ptr 0
		.amdhsa_user_sgpr_kernarg_segment_ptr 1
		.amdhsa_user_sgpr_dispatch_id 0
		.amdhsa_user_sgpr_kernarg_preload_length 0
		.amdhsa_user_sgpr_kernarg_preload_offset 0
		.amdhsa_user_sgpr_private_segment_size 0
		.amdhsa_uses_dynamic_stack 0
		.amdhsa_enable_private_segment 0
		.amdhsa_system_sgpr_workgroup_id_x 1
		.amdhsa_system_sgpr_workgroup_id_y 1
		.amdhsa_system_sgpr_workgroup_id_z 1
		.amdhsa_system_sgpr_workgroup_info 0
		.amdhsa_system_vgpr_workitem_id 0
		.amdhsa_next_free_vgpr 56
		.amdhsa_next_free_sgpr 48
		.amdhsa_accum_offset 56
		.amdhsa_reserve_vcc 1
		.amdhsa_float_round_mode_32 0
		.amdhsa_float_round_mode_16_64 0
		.amdhsa_float_denorm_mode_32 3
		.amdhsa_float_denorm_mode_16_64 3
		.amdhsa_dx10_clamp 1
		.amdhsa_ieee_mode 1
		.amdhsa_fp16_overflow 0
		.amdhsa_tg_split 0
		.amdhsa_exception_fp_ieee_invalid_op 0
		.amdhsa_exception_fp_denorm_src 0
		.amdhsa_exception_fp_ieee_div_zero 0
		.amdhsa_exception_fp_ieee_overflow 0
		.amdhsa_exception_fp_ieee_underflow 0
		.amdhsa_exception_fp_ieee_inexact 0
		.amdhsa_exception_int_div_zero 0
	.end_amdhsa_kernel
	.section	.text._Z39paged_attention_ll4mi_QKV_mfma16_kernelI14__hip_bfloat16hLN4vllm18Fp8KVCacheDataTypeE1ES0_Li32ELi64ELi256ELb0ELi1EEvPKT_PKT0_S8_ifPKiSA_SA_iPKfiiiPfSD_PS3_PT2_iSC_SC_,"axG",@progbits,_Z39paged_attention_ll4mi_QKV_mfma16_kernelI14__hip_bfloat16hLN4vllm18Fp8KVCacheDataTypeE1ES0_Li32ELi64ELi256ELb0ELi1EEvPKT_PKT0_S8_ifPKiSA_SA_iPKfiiiPfSD_PS3_PT2_iSC_SC_,comdat
.Lfunc_end1244:
	.size	_Z39paged_attention_ll4mi_QKV_mfma16_kernelI14__hip_bfloat16hLN4vllm18Fp8KVCacheDataTypeE1ES0_Li32ELi64ELi256ELb0ELi1EEvPKT_PKT0_S8_ifPKiSA_SA_iPKfiiiPfSD_PS3_PT2_iSC_SC_, .Lfunc_end1244-_Z39paged_attention_ll4mi_QKV_mfma16_kernelI14__hip_bfloat16hLN4vllm18Fp8KVCacheDataTypeE1ES0_Li32ELi64ELi256ELb0ELi1EEvPKT_PKT0_S8_ifPKiSA_SA_iPKfiiiPfSD_PS3_PT2_iSC_SC_
                                        ; -- End function
	.section	.AMDGPU.csdata,"",@progbits
; Kernel info:
; codeLenInByte = 4788
; NumSgprs: 54
; NumVgprs: 56
; NumAgprs: 0
; TotalNumVgprs: 56
; ScratchSize: 0
; MemoryBound: 0
; FloatMode: 240
; IeeeMode: 1
; LDSByteSize: 8192 bytes/workgroup (compile time only)
; SGPRBlocks: 6
; VGPRBlocks: 6
; NumSGPRsForWavesPerEU: 54
; NumVGPRsForWavesPerEU: 56
; AccumOffset: 56
; Occupancy: 8
; WaveLimiterHint : 1
; COMPUTE_PGM_RSRC2:SCRATCH_EN: 0
; COMPUTE_PGM_RSRC2:USER_SGPR: 2
; COMPUTE_PGM_RSRC2:TRAP_HANDLER: 0
; COMPUTE_PGM_RSRC2:TGID_X_EN: 1
; COMPUTE_PGM_RSRC2:TGID_Y_EN: 1
; COMPUTE_PGM_RSRC2:TGID_Z_EN: 1
; COMPUTE_PGM_RSRC2:TIDIG_COMP_CNT: 0
; COMPUTE_PGM_RSRC3_GFX90A:ACCUM_OFFSET: 13
; COMPUTE_PGM_RSRC3_GFX90A:TG_SPLIT: 0
	.section	.text._Z39paged_attention_ll4mi_QKV_mfma16_kernelI14__hip_bfloat16hLN4vllm18Fp8KVCacheDataTypeE1ES0_Li32ELi64ELi256ELb0ELi2EEvPKT_PKT0_S8_ifPKiSA_SA_iPKfiiiPfSD_PS3_PT2_iSC_SC_,"axG",@progbits,_Z39paged_attention_ll4mi_QKV_mfma16_kernelI14__hip_bfloat16hLN4vllm18Fp8KVCacheDataTypeE1ES0_Li32ELi64ELi256ELb0ELi2EEvPKT_PKT0_S8_ifPKiSA_SA_iPKfiiiPfSD_PS3_PT2_iSC_SC_,comdat
	.protected	_Z39paged_attention_ll4mi_QKV_mfma16_kernelI14__hip_bfloat16hLN4vllm18Fp8KVCacheDataTypeE1ES0_Li32ELi64ELi256ELb0ELi2EEvPKT_PKT0_S8_ifPKiSA_SA_iPKfiiiPfSD_PS3_PT2_iSC_SC_ ; -- Begin function _Z39paged_attention_ll4mi_QKV_mfma16_kernelI14__hip_bfloat16hLN4vllm18Fp8KVCacheDataTypeE1ES0_Li32ELi64ELi256ELb0ELi2EEvPKT_PKT0_S8_ifPKiSA_SA_iPKfiiiPfSD_PS3_PT2_iSC_SC_
	.globl	_Z39paged_attention_ll4mi_QKV_mfma16_kernelI14__hip_bfloat16hLN4vllm18Fp8KVCacheDataTypeE1ES0_Li32ELi64ELi256ELb0ELi2EEvPKT_PKT0_S8_ifPKiSA_SA_iPKfiiiPfSD_PS3_PT2_iSC_SC_
	.p2align	8
	.type	_Z39paged_attention_ll4mi_QKV_mfma16_kernelI14__hip_bfloat16hLN4vllm18Fp8KVCacheDataTypeE1ES0_Li32ELi64ELi256ELb0ELi2EEvPKT_PKT0_S8_ifPKiSA_SA_iPKfiiiPfSD_PS3_PT2_iSC_SC_,@function
_Z39paged_attention_ll4mi_QKV_mfma16_kernelI14__hip_bfloat16hLN4vllm18Fp8KVCacheDataTypeE1ES0_Li32ELi64ELi256ELb0ELi2EEvPKT_PKT0_S8_ifPKiSA_SA_iPKfiiiPfSD_PS3_PT2_iSC_SC_: ; @_Z39paged_attention_ll4mi_QKV_mfma16_kernelI14__hip_bfloat16hLN4vllm18Fp8KVCacheDataTypeE1ES0_Li32ELi64ELi256ELb0ELi2EEvPKT_PKT0_S8_ifPKiSA_SA_iPKfiiiPfSD_PS3_PT2_iSC_SC_
; %bb.0:
	s_load_dwordx2 s[12:13], s[0:1], 0x30
	s_mov_b32 s28, s3
	s_mov_b64 s[6:7], 0
	s_waitcnt lgkmcnt(0)
	s_cmp_lg_u64 s[12:13], 0
	s_cselect_b64 s[14:15], -1, 0
	s_and_b64 vcc, exec, s[14:15]
	s_cbranch_vccz .LBB1245_7
; %bb.1:
	s_add_i32 s8, s2, 1
	s_mov_b32 s9, 0
	s_lshl_b64 s[10:11], s[8:9], 2
	s_add_u32 s10, s12, s10
	s_mov_b32 s3, s9
	s_addc_u32 s11, s13, s11
	s_lshl_b64 s[8:9], s[2:3], 2
	s_add_u32 s8, s12, s8
	s_addc_u32 s9, s13, s9
	s_load_dword s5, s[10:11], 0x0
	s_load_dword s16, s[8:9], 0x0
	s_waitcnt lgkmcnt(0)
	s_sub_i32 s5, s5, s16
	s_cmp_eq_u32 s5, 1
	s_cselect_b64 s[8:9], -1, 0
	s_andn2_b64 vcc, exec, s[6:7]
	s_cbranch_vccnz .LBB1245_3
.LBB1245_2:
	s_mov_b32 s3, 0
	s_mov_b64 s[8:9], -1
.LBB1245_3:
	s_andn2_b64 vcc, exec, s[8:9]
	s_cbranch_vccnz .LBB1245_17
; %bb.4:
	s_load_dwordx2 s[6:7], s[0:1], 0x28
	s_lshl_b64 s[16:17], s[2:3], 2
	s_waitcnt lgkmcnt(0)
	s_add_u32 s6, s6, s16
	s_addc_u32 s7, s7, s17
	s_load_dword s48, s[6:7], 0x0
	s_lshl_b32 s5, s28, 8
	s_waitcnt lgkmcnt(0)
	s_cmp_ge_i32 s5, s48
	s_cbranch_scc1 .LBB1245_17
; %bb.5:
	s_load_dwordx2 s[6:7], s[0:1], 0x20
	s_load_dword s8, s[0:1], 0x38
	s_add_i32 s9, s48, 31
	s_ashr_i32 s10, s9, 31
	v_and_b32_e32 v1, 0xcf, v0
	s_lshr_b32 s10, s10, 27
	v_add_u32_e32 v1, s5, v1
	s_add_i32 s9, s9, s10
	v_ashrrev_i32_e32 v2, 31, v1
	s_ashr_i32 s18, s9, 5
	v_lshrrev_b32_e32 v4, 27, v2
	s_add_i32 s18, s18, -1
	s_waitcnt lgkmcnt(0)
	s_mul_i32 s8, s2, s8
	s_mov_b32 s9, 0
	v_add_u32_e32 v2, v1, v4
	s_lshl_b64 s[8:9], s[8:9], 2
	v_ashrrev_i32_e32 v2, 5, v2
	v_mov_b32_e32 v5, s18
	v_cmp_gt_i32_e32 vcc, s48, v1
	s_add_u32 s6, s6, s8
	s_addc_u32 s7, s7, s9
	v_cndmask_b32_e32 v2, v5, v2, vcc
	v_ashrrev_i32_e32 v3, 31, v2
	v_lshl_add_u64 v[6:7], v[2:3], 2, s[6:7]
	v_or_b32_e32 v2, 16, v1
	v_add_u32_e32 v3, v2, v4
	v_ashrrev_i32_e32 v3, 5, v3
	v_cmp_gt_i32_e32 vcc, s48, v2
	s_load_dwordx4 s[8:11], s[0:1], 0x8
	s_nop 0
	v_cndmask_b32_e32 v2, v5, v3, vcc
	v_ashrrev_i32_e32 v3, 31, v2
	v_lshl_add_u64 v[8:9], v[2:3], 2, s[6:7]
	v_or_b32_e32 v2, 32, v1
	v_add_u32_e32 v3, v2, v4
	v_ashrrev_i32_e32 v3, 5, v3
	v_cmp_gt_i32_e32 vcc, s48, v2
	v_or_b32_e32 v1, 48, v1
	s_nop 0
	v_cndmask_b32_e32 v2, v5, v3, vcc
	v_ashrrev_i32_e32 v3, 31, v2
	v_lshl_add_u64 v[10:11], v[2:3], 2, s[6:7]
	v_add_u32_e32 v2, v1, v4
	v_ashrrev_i32_e32 v2, 5, v2
	v_cmp_gt_i32_e32 vcc, s48, v1
	s_nop 1
	v_cndmask_b32_e32 v2, v5, v2, vcc
	v_ashrrev_i32_e32 v3, 31, v2
	v_lshl_add_u64 v[12:13], v[2:3], 2, s[6:7]
	global_load_dword v2, v[6:7], off
	global_load_dword v5, v[8:9], off
	;; [unrolled: 1-line block ×4, first 2 shown]
	s_andn2_b64 vcc, exec, s[14:15]
	s_cbranch_vccnz .LBB1245_8
; %bb.6:
	s_add_u32 s12, s12, s16
	s_addc_u32 s13, s13, s17
	s_load_dword s14, s[12:13], 0x0
	s_branch .LBB1245_9
.LBB1245_7:
	s_mov_b64 s[8:9], 0
	s_branch .LBB1245_2
.LBB1245_8:
	s_mov_b32 s14, s2
.LBB1245_9:
	s_load_dwordx4 s[44:47], s[0:1], 0x48
	v_lshrrev_b32_e32 v42, 6, v0
	v_bfe_u32 v1, v0, 4, 2
	v_lshl_or_b32 v3, v42, 2, v1
	v_and_b32_e32 v43, 15, v0
	v_lshlrev_b32_e32 v6, 3, v43
	v_cmp_gt_u32_e32 vcc, 2, v3
	v_cmp_gt_u32_e64 s[30:31], 8, v43
	v_and_b32_e32 v41, 63, v0
	s_lshl_b32 s29, s4, 1
	s_and_b64 s[16:17], s[30:31], vcc
	v_lshlrev_b32_e32 v26, 1, v6
	v_lshlrev_b32_e32 v40, 4, v0
	s_and_saveexec_b64 s[12:13], s[16:17]
	s_cbranch_execz .LBB1245_11
; %bb.10:
	s_load_dwordx2 s[16:17], s[0:1], 0x0
	s_waitcnt lgkmcnt(0)
	s_ashr_i32 s15, s44, 31
	s_mul_hi_u32 s19, s14, s44
	s_mul_i32 s15, s14, s15
	s_add_i32 s15, s19, s15
	s_mul_i32 s14, s14, s44
	s_lshl_b64 s[14:15], s[14:15], 1
	s_add_u32 s14, s16, s14
	v_add_lshl_u32 v6, v1, s29, 6
	s_addc_u32 s15, s17, s15
	v_ashrrev_i32_e32 v7, 31, v6
	v_lshl_add_u64 v[6:7], v[6:7], 1, s[14:15]
	v_mov_b32_e32 v27, 0
	v_lshl_add_u64 v[6:7], v[6:7], 0, v[26:27]
	global_load_dwordx4 v[6:9], v[6:7], off
	v_lshlrev_b32_e32 v11, 8, v43
	v_lshlrev_b32_e32 v3, 5, v3
	v_and_b32_e32 v10, 16, v40
	v_and_b32_e32 v11, 0xe00, v11
	v_or3_b32 v3, v11, v3, v10
	s_waitcnt vmcnt(0)
	ds_write_b128 v3, v[6:9]
.LBB1245_11:
	s_or_b64 exec, exec, s[12:13]
	s_waitcnt lgkmcnt(0)
	s_mul_i32 s4, s4, s46
	s_add_u32 s8, s8, s4
	s_addc_u32 s9, s9, 0
	v_mov_b32_e32 v29, 0
	v_mov_b64_e32 v[18:19], s[8:9]
	v_and_b32_e32 v8, 48, v0
	s_waitcnt vmcnt(3)
	v_mad_i64_i32 v[6:7], s[8:9], v2, s45, v[18:19]
	v_lshlrev_b32_e32 v2, 4, v43
	v_mov_b32_e32 v3, v29
	v_lshlrev_b32_e32 v28, 5, v8
	v_lshl_add_u64 v[6:7], v[6:7], 0, v[2:3]
	v_lshl_add_u64 v[6:7], v[6:7], 0, v[28:29]
	s_load_dword s33, s[0:1], 0x98
	s_load_dwordx4 s[40:43], s[0:1], 0x80
	s_waitcnt lgkmcnt(0)
	s_barrier
	global_load_dwordx4 v[10:13], v[6:7], off
	s_waitcnt vmcnt(3)
	v_mad_i64_i32 v[6:7], s[8:9], v5, s45, v[18:19]
	v_or_b32_e32 v30, 0x100, v2
	v_mov_b32_e32 v31, v29
	v_lshl_add_u64 v[6:7], v[6:7], 0, v[30:31]
	v_lshl_add_u64 v[6:7], v[6:7], 0, v[28:29]
	global_load_dwordx4 v[14:17], v[6:7], off
	s_ashr_i32 s8, s5, 31
	v_or_b32_e32 v21, s5, v8
	s_lshr_b32 s12, s8, 27
	v_add_u32_e32 v5, s12, v21
	v_ashrrev_i32_e32 v5, 5, v5
	v_mov_b32_e32 v33, s18
	v_cmp_gt_i32_e32 vcc, s48, v21
	v_or_b32_e32 v34, 64, v21
	v_or_b32_e32 v35, 0x80, v21
	v_cndmask_b32_e32 v8, v33, v5, vcc
	v_and_b32_e32 v5, 1, v0
	v_lshlrev_b32_e32 v5, 5, v5
	v_lshl_or_b32 v32, v1, 9, v5
	s_waitcnt vmcnt(3)
	v_mad_i64_i32 v[4:5], s[8:9], v4, s45, v[18:19]
	v_lshl_add_u64 v[2:3], v[4:5], 0, v[2:3]
	v_lshl_add_u64 v[2:3], v[2:3], 0, v[28:29]
	global_load_dwordx4 v[22:25], v[2:3], off
	v_ashrrev_i32_e32 v9, 31, v8
	v_lshl_add_u64 v[8:9], v[8:9], 2, s[6:7]
	s_waitcnt vmcnt(3)
	v_mad_i64_i32 v[18:19], s[8:9], v20, s45, v[18:19]
	v_add_u32_e32 v20, s12, v34
	global_load_dword v47, v[8:9], off
	ds_read_b128 v[6:9], v32
	ds_read_b128 v[2:5], v32 offset:16
	v_add_u32_e32 v32, s12, v35
	v_lshl_add_u64 v[18:19], v[18:19], 0, v[30:31]
	v_ashrrev_i32_e32 v20, 5, v20
	v_cmp_gt_i32_e32 vcc, s48, v34
	v_or_b32_e32 v21, 0xc0, v21
	v_ashrrev_i32_e32 v31, 5, v32
	v_lshl_add_u64 v[18:19], v[18:19], 0, v[28:29]
	v_cndmask_b32_e32 v30, v33, v20, vcc
	v_cmp_gt_i32_e32 vcc, s48, v35
	v_add_u32_e32 v36, s12, v21
	v_ashrrev_i32_e32 v36, 5, v36
	v_cndmask_b32_e32 v32, v33, v31, vcc
	v_cmp_gt_i32_e32 vcc, s48, v21
	global_load_dwordx4 v[18:21], v[18:19], off
	v_ashrrev_i32_e32 v31, 31, v30
	v_cndmask_b32_e32 v34, v33, v36, vcc
	v_ashrrev_i32_e32 v33, 31, v32
	v_ashrrev_i32_e32 v35, 31, v34
	v_lshl_add_u64 v[30:31], v[30:31], 2, s[6:7]
	v_lshl_add_u64 v[32:33], v[32:33], 2, s[6:7]
	;; [unrolled: 1-line block ×3, first 2 shown]
	global_load_dword v46, v[30:31], off
	global_load_dword v44, v[32:33], off
	;; [unrolled: 1-line block ×3, first 2 shown]
	s_mov_b32 s44, 0x7060302
	s_add_u32 s8, s10, s4
	v_lshlrev_b32_e32 v27, 5, v43
	s_addc_u32 s9, s11, 0
	v_and_b32_e32 v28, 16, v0
	v_lshl_add_u64 v[36:37], s[8:9], 0, v[28:29]
	v_lshl_or_b32 v28, v42, 9, v27
	v_lshl_add_u64 v[28:29], v[36:37], 0, v[28:29]
	s_load_dword s13, s[0:1], 0x1c
	s_load_dword s4, s[40:41], 0x0
	s_mov_b32 s46, 0xff7fffff
	s_waitcnt vmcnt(7)
	v_cvt_pk_f32_fp8_e32 v[30:31], v10
	v_cvt_pk_f32_fp8_sdwa v[32:33], v10 src0_sel:WORD_1
	v_cvt_pk_f32_fp8_e32 v[34:35], v11
	v_cvt_pk_f32_fp8_sdwa v[10:11], v11 src0_sel:WORD_1
	v_perm_b32 v30, v31, v30, s44
	v_perm_b32 v31, v33, v32, s44
	v_cvt_pk_f32_fp8_e32 v[36:37], v12
	v_cvt_pk_f32_fp8_sdwa v[38:39], v12 src0_sel:WORD_1
	v_perm_b32 v34, v35, v34, s44
	v_perm_b32 v35, v11, v10, s44
	s_waitcnt lgkmcnt(0)
	v_mfma_f32_16x16x16_bf16 v[30:33], v[30:31], v[6:7], 0
	v_cvt_pk_f32_fp8_e32 v[48:49], v13
	v_cvt_pk_f32_fp8_sdwa v[12:13], v13 src0_sel:WORD_1
	v_perm_b32 v36, v37, v36, s44
	v_perm_b32 v37, v39, v38, s44
	v_mfma_f32_16x16x16_bf16 v[30:33], v[34:35], v[8:9], v[30:33]
	v_perm_b32 v34, v49, v48, s44
	v_perm_b32 v35, v13, v12, s44
	s_waitcnt vmcnt(6)
	v_cvt_pk_f32_fp8_e32 v[12:13], v14
	v_mfma_f32_16x16x16_bf16 v[30:33], v[36:37], v[2:3], v[30:33]
	v_cvt_pk_f32_fp8_sdwa v[36:37], v14 src0_sel:WORD_1
	v_cvt_pk_f32_fp8_sdwa v[38:39], v16 src0_sel:WORD_1
	v_perm_b32 v12, v13, v12, s44
	v_mfma_f32_16x16x16_bf16 v[30:33], v[34:35], v[4:5], v[30:33]
	v_cvt_pk_f32_fp8_e32 v[34:35], v15
	v_perm_b32 v13, v37, v36, s44
	v_cvt_pk_f32_fp8_sdwa v[14:15], v15 src0_sel:WORD_1
	v_cvt_pk_f32_fp8_e32 v[36:37], v16
	v_perm_b32 v34, v35, v34, s44
	s_waitcnt vmcnt(5)
	v_cvt_pk_f32_fp8_e32 v[48:49], v24
	v_perm_b32 v35, v15, v14, s44
	v_mfma_f32_16x16x16_bf16 v[12:15], v[12:13], v[6:7], 0
	v_perm_b32 v36, v37, v36, s44
	v_perm_b32 v37, v39, v38, s44
	v_cvt_pk_f32_fp8_e32 v[38:39], v17
	v_cvt_pk_f32_fp8_sdwa v[16:17], v17 src0_sel:WORD_1
	v_mfma_f32_16x16x16_bf16 v[12:15], v[34:35], v[8:9], v[12:15]
	v_cvt_pk_f32_fp8_sdwa v[50:51], v24 src0_sel:WORD_1
	v_perm_b32 v34, v39, v38, s44
	v_perm_b32 v35, v17, v16, s44
	v_mfma_f32_16x16x16_bf16 v[12:15], v[36:37], v[2:3], v[12:15]
	v_cvt_pk_f32_fp8_e32 v[16:17], v22
	v_cvt_pk_f32_fp8_sdwa v[36:37], v22 src0_sel:WORD_1
	s_waitcnt vmcnt(4)
	v_mad_i64_i32 v[10:11], s[6:7], v47, s45, v[28:29]
	v_mfma_f32_16x16x16_bf16 v[12:15], v[34:35], v[4:5], v[12:15]
	v_cvt_pk_f32_fp8_e32 v[34:35], v23
	v_perm_b32 v16, v17, v16, s44
	v_perm_b32 v17, v37, v36, s44
	v_cvt_pk_f32_fp8_sdwa v[22:23], v23 src0_sel:WORD_1
	v_perm_b32 v38, v35, v34, s44
	v_mfma_f32_16x16x16_bf16 v[34:37], v[16:17], v[6:7], 0
	v_perm_b32 v39, v23, v22, s44
	v_perm_b32 v16, v49, v48, s44
	;; [unrolled: 1-line block ×3, first 2 shown]
	v_cvt_pk_f32_fp8_e32 v[48:49], v25
	v_cvt_pk_f32_fp8_sdwa v[24:25], v25 src0_sel:WORD_1
	v_mfma_f32_16x16x16_bf16 v[34:37], v[38:39], v[8:9], v[34:37]
	v_mov_b32_e32 v47, s13
	v_mul_f32_e32 v52, s4, v47
	v_perm_b32 v39, v25, v24, s44
	v_mfma_f32_16x16x16_bf16 v[34:37], v[16:17], v[2:3], v[34:37]
	s_waitcnt vmcnt(3)
	v_cvt_pk_f32_fp8_e32 v[16:17], v18
	v_cvt_pk_f32_fp8_sdwa v[24:25], v18 src0_sel:WORD_1
	v_perm_b32 v38, v49, v48, s44
	v_pk_mul_f32 v[22:23], v[52:53], v[32:33] op_sel_hi:[0,1]
	v_pk_mul_f32 v[32:33], v[52:53], v[30:31] op_sel_hi:[0,1]
	v_cvt_pk_f32_fp8_e32 v[30:31], v19
	v_perm_b32 v16, v17, v16, s44
	v_perm_b32 v17, v25, v24, s44
	v_cvt_pk_f32_fp8_sdwa v[18:19], v19 src0_sel:WORD_1
	v_mfma_f32_16x16x16_bf16 v[48:51], v[38:39], v[4:5], v[34:37]
	v_perm_b32 v24, v31, v30, s44
	v_cvt_pk_f32_fp8_e32 v[30:31], v20
	v_perm_b32 v25, v19, v18, s44
	v_cvt_pk_f32_fp8_sdwa v[34:35], v20 src0_sel:WORD_1
	v_mfma_f32_16x16x16_bf16 v[16:19], v[16:17], v[6:7], 0
	v_perm_b32 v30, v31, v30, s44
	v_cvt_pk_f32_fp8_e32 v[36:37], v21
	v_perm_b32 v31, v35, v34, s44
	v_cvt_pk_f32_fp8_sdwa v[20:21], v21 src0_sel:WORD_1
	v_mfma_f32_16x16x16_bf16 v[6:9], v[24:25], v[8:9], v[16:19]
	v_pk_mul_f32 v[34:35], v[52:53], v[14:15] op_sel_hi:[0,1]
	v_perm_b32 v14, v37, v36, s44
	v_perm_b32 v15, v21, v20, s44
	v_mfma_f32_16x16x16_bf16 v[6:9], v[30:31], v[2:3], v[6:9]
	v_pk_mul_f32 v[38:39], v[52:53], v[12:13] op_sel_hi:[0,1]
	v_pk_mul_f32 v[36:37], v[52:53], v[48:49] op_sel_hi:[0,1]
	;; [unrolled: 1-line block ×3, first 2 shown]
	v_mfma_f32_16x16x16_bf16 v[2:5], v[14:15], v[4:5], v[6:9]
	s_nop 6
	v_pk_mul_f32 v[24:25], v[52:53], v[2:3] op_sel_hi:[0,1]
	v_and_b32_e32 v2, 0xc0, v0
	v_add_u32_e32 v2, s5, v2
	v_lshl_or_b32 v2, v1, 2, v2
	v_pk_mul_f32 v[18:19], v[52:53], v[4:5] op_sel_hi:[0,1]
	v_or_b32_e32 v5, 1, v2
	v_mov_b32_e32 v3, 0xff7fffff
	v_cmp_gt_i32_e64 s[4:5], s48, v2
	v_cmp_gt_i32_e64 s[34:35], s48, v5
	v_or_b32_e32 v6, 3, v2
	v_cndmask_b32_e64 v4, v3, v32, s[4:5]
	v_cndmask_b32_e64 v5, v3, v33, s[34:35]
	v_max3_f32 v4, v4, s46, v5
	v_or_b32_e32 v5, 2, v2
	v_cmp_gt_i32_e64 s[36:37], s48, v5
	v_cmp_gt_i32_e64 s[38:39], s48, v6
	s_nop 0
	v_cndmask_b32_e64 v5, v3, v22, s[36:37]
	v_cndmask_b32_e64 v6, v3, v23, s[38:39]
	v_max3_f32 v4, v4, v5, v6
	v_or_b32_e32 v5, 16, v2
	v_or_b32_e32 v6, 17, v2
	v_cmp_gt_i32_e64 s[24:25], s48, v5
	v_cmp_gt_i32_e64 s[26:27], s48, v6
	s_nop 0
	v_cndmask_b32_e64 v5, v3, v38, s[24:25]
	v_cndmask_b32_e64 v6, v3, v39, s[26:27]
	v_max3_f32 v4, v4, v5, v6
	v_or_b32_e32 v5, 18, v2
	;; [unrolled: 8-line block ×6, first 2 shown]
	v_or_b32_e32 v2, 51, v2
	v_cmp_gt_i32_e32 vcc, s48, v5
	v_cmp_gt_i32_e64 s[6:7], s48, v2
	s_nop 0
	v_cndmask_b32_e32 v5, v3, v18, vcc
	v_cndmask_b32_e64 v2, v3, v19, s[6:7]
	v_max3_f32 v4, v4, v5, v2
	v_mbcnt_lo_u32_b32 v2, -1, 0
	v_mbcnt_hi_u32_b32 v5, -1, v2
	v_and_b32_e32 v2, 64, v5
	v_add_u32_e32 v6, 64, v2
	v_xor_b32_e32 v2, 32, v5
	v_cmp_lt_i32_e64 s[40:41], v2, v6
	s_nop 1
	v_cndmask_b32_e64 v2, v5, v2, s[40:41]
	v_lshlrev_b32_e32 v47, 2, v2
	ds_bpermute_b32 v7, v47, v4
	s_waitcnt vmcnt(2)
	v_mad_i64_i32 v[2:3], s[40:41], v46, s45, v[28:29]
	global_load_dwordx4 v[14:17], v[10:11], off
	s_nop 0
	global_load_dwordx4 v[10:13], v[2:3], off
	v_xor_b32_e32 v3, 16, v5
	v_cmp_lt_i32_e64 s[40:41], v3, v6
	s_waitcnt lgkmcnt(0)
	v_max_f32_e32 v2, v7, v7
	v_max_f32_e32 v2, v4, v2
	v_cndmask_b32_e64 v3, v5, v3, s[40:41]
	v_lshlrev_b32_e32 v46, 2, v3
	ds_bpermute_b32 v3, v46, v2
	s_waitcnt vmcnt(3)
	v_mad_i64_i32 v[20:21], s[40:41], v44, s45, v[28:29]
	s_waitcnt vmcnt(2)
	v_mad_i64_i32 v[28:29], s[40:41], v45, s45, v[28:29]
	s_waitcnt lgkmcnt(0)
	v_max_f32_e32 v3, v3, v3
	v_max_f32_e32 v44, v2, v3
	v_sub_f32_e32 v2, v32, v44
	v_mul_f32_e32 v2, 0x3fb8aa3b, v2
	v_exp_f32_e32 v32, v2
	v_sub_f32_e32 v2, v33, v44
	v_mul_f32_e32 v2, 0x3fb8aa3b, v2
	v_exp_f32_e32 v33, v2
	global_load_dwordx4 v[6:9], v[20:21], off
	global_load_dwordx4 v[2:5], v[28:29], off
	v_sub_f32_e32 v22, v22, v44
	v_mul_f32_e32 v22, 0x3fb8aa3b, v22
	v_sub_f32_e32 v23, v23, v44
	v_exp_f32_e32 v22, v22
	v_mul_f32_e32 v23, 0x3fb8aa3b, v23
	v_exp_f32_e32 v23, v23
	v_cndmask_b32_e64 v20, 0, v32, s[4:5]
	v_add_f32_e32 v28, 0, v20
	v_cndmask_b32_e64 v21, 0, v33, s[34:35]
	v_add_f32_e32 v28, v28, v21
	;; [unrolled: 2-line block ×3, first 2 shown]
	v_cndmask_b32_e64 v33, 0, v23, s[38:39]
	v_sub_f32_e32 v23, v38, v44
	v_sub_f32_e32 v28, v39, v44
	v_mul_f32_e32 v23, 0x3fb8aa3b, v23
	v_mul_f32_e32 v28, 0x3fb8aa3b, v28
	v_exp_f32_e32 v23, v23
	v_exp_f32_e32 v28, v28
	v_add_f32_e32 v29, v22, v33
	v_sub_f32_e32 v30, v30, v44
	v_cndmask_b32_e64 v22, 0, v23, s[24:25]
	v_cndmask_b32_e64 v23, 0, v28, s[26:27]
	v_sub_f32_e32 v28, v34, v44
	v_mul_f32_e32 v28, 0x3fb8aa3b, v28
	v_exp_f32_e32 v28, v28
	v_sub_f32_e32 v34, v35, v44
	v_add_f32_e32 v29, v29, v22
	v_mul_f32_e32 v34, 0x3fb8aa3b, v34
	v_exp_f32_e32 v35, v34
	v_add_f32_e32 v29, v29, v23
	v_cndmask_b32_e64 v34, 0, v28, s[20:21]
	v_add_f32_e32 v28, v29, v34
	v_sub_f32_e32 v29, v36, v44
	v_mul_f32_e32 v29, 0x3fb8aa3b, v29
	v_sub_f32_e32 v36, v37, v44
	v_exp_f32_e32 v29, v29
	v_mul_f32_e32 v36, 0x3fb8aa3b, v36
	v_exp_f32_e32 v36, v36
	v_mul_f32_e32 v30, 0x3fb8aa3b, v30
	v_sub_f32_e32 v31, v31, v44
	v_exp_f32_e32 v30, v30
	v_mul_f32_e32 v31, 0x3fb8aa3b, v31
	v_sub_f32_e32 v24, v24, v44
	v_cndmask_b32_e64 v35, 0, v35, s[22:23]
	v_exp_f32_e32 v31, v31
	v_mul_f32_e32 v24, 0x3fb8aa3b, v24
	v_sub_f32_e32 v25, v25, v44
	v_add_f32_e32 v37, v28, v35
	v_cndmask_b32_e64 v28, 0, v29, s[16:17]
	v_exp_f32_e32 v24, v24
	v_mul_f32_e32 v25, 0x3fb8aa3b, v25
	v_sub_f32_e32 v18, v18, v44
	v_add_f32_e32 v37, v37, v28
	v_cndmask_b32_e64 v29, 0, v36, s[18:19]
	v_exp_f32_e32 v25, v25
	v_mul_f32_e32 v18, 0x3fb8aa3b, v18
	v_sub_f32_e32 v19, v19, v44
	v_add_f32_e32 v36, v37, v29
	v_cndmask_b32_e64 v30, 0, v30, s[12:13]
	v_exp_f32_e32 v18, v18
	v_mul_f32_e32 v19, 0x3fb8aa3b, v19
	v_add_f32_e32 v36, v36, v30
	v_cndmask_b32_e64 v31, 0, v31, s[14:15]
	v_exp_f32_e32 v19, v19
	v_add_f32_e32 v36, v36, v31
	v_cndmask_b32_e64 v24, 0, v24, s[8:9]
	v_add_f32_e32 v36, v36, v24
	v_cndmask_b32_e64 v25, 0, v25, s[10:11]
	v_add_f32_e32 v36, v36, v25
	v_cndmask_b32_e32 v18, 0, v18, vcc
	v_add_f32_e32 v36, v36, v18
	v_cndmask_b32_e64 v19, 0, v19, s[6:7]
	v_add_f32_e32 v36, v36, v19
	ds_bpermute_b32 v37, v47, v36
	v_cmp_gt_u32_e32 vcc, 16, v41
	s_waitcnt lgkmcnt(0)
	s_barrier
	v_add_f32_e32 v36, v36, v37
	ds_bpermute_b32 v38, v46, v36
	v_lshlrev_b32_e32 v37, 2, v43
	s_and_saveexec_b64 s[4:5], vcc
	s_cbranch_execz .LBB1245_13
; %bb.12:
	s_waitcnt lgkmcnt(0)
	v_add_f32_e32 v36, v36, v38
	v_lshl_or_b32 v38, v42, 6, v37
	ds_write2st64_b32 v38, v44, v36 offset1:1
.LBB1245_13:
	s_or_b64 exec, exec, s[4:5]
	s_load_dword s6, s[0:1], 0x94
	s_waitcnt lgkmcnt(0)
	s_barrier
	ds_read2_b32 v[38:39], v37 offset1:16
	ds_read2_b32 v[44:45], v37 offset0:32 offset1:48
	ds_read2_b32 v[46:47], v37 offset0:64 offset1:80
	s_movk_i32 s8, 0x7fff
	s_lshl_b32 s7, s33, 1
	s_waitcnt lgkmcnt(2)
	v_max3_f32 v36, v38, s46, v39
	s_waitcnt lgkmcnt(1)
	v_max3_f32 v36, v36, v44, v45
	v_sub_f32_e32 v38, v38, v36
	v_mul_f32_e32 v38, 0x3fb8aa3b, v38
	v_exp_f32_e32 v43, v38
	v_sub_f32_e32 v38, v39, v36
	v_mul_f32_e32 v38, 0x3fb8aa3b, v38
	v_exp_f32_e32 v48, v38
	v_sub_f32_e32 v38, v44, v36
	v_mul_f32_e32 v38, 0x3fb8aa3b, v38
	v_exp_f32_e32 v44, v38
	ds_read2_b32 v[38:39], v37 offset0:96 offset1:112
	v_sub_f32_e32 v37, v45, v36
	v_mul_f32_e32 v37, 0x3fb8aa3b, v37
	v_exp_f32_e32 v45, v37
	s_waitcnt lgkmcnt(1)
	v_fma_f32 v37, v43, v46, 0
	v_fmac_f32_e32 v37, v48, v47
	s_waitcnt lgkmcnt(0)
	v_fmac_f32_e32 v37, v44, v38
	v_fmac_f32_e32 v37, v45, v39
	v_add_f32_e32 v38, 0x358637bd, v37
	v_div_scale_f32 v39, s[4:5], v38, v38, 1.0
	v_rcp_f32_e32 v46, v39
	s_barrier
	v_fma_f32 v47, -v39, v46, 1.0
	v_fmac_f32_e32 v46, v47, v46
	v_div_scale_f32 v47, vcc, 1.0, v38, 1.0
	v_mul_f32_e32 v49, v47, v46
	v_fma_f32 v50, -v39, v49, v47
	v_fmac_f32_e32 v49, v50, v46
	v_fma_f32 v39, -v39, v49, v47
	v_div_fmas_f32 v39, v39, v46, v49
	v_cmp_eq_u32_e32 vcc, 1, v42
	v_div_fixup_f32 v38, v39, v38, 1.0
	s_nop 0
	v_cndmask_b32_e32 v39, v43, v48, vcc
	v_cmp_eq_u32_e32 vcc, 2, v42
	s_nop 1
	v_cndmask_b32_e32 v39, v39, v44, vcc
	v_cmp_eq_u32_e32 vcc, 3, v42
	s_nop 1
	v_cndmask_b32_e32 v39, v39, v45, vcc
	v_mul_f32_e32 v38, v39, v38
	v_pk_mul_f32 v[20:21], v[38:39], v[20:21] op_sel_hi:[0,1]
	v_pk_mul_f32 v[32:33], v[38:39], v[32:33] op_sel_hi:[0,1]
	v_bfe_u32 v39, v21, 16, 1
	v_bfe_u32 v43, v20, 16, 1
	v_add3_u32 v20, v20, v43, s8
	v_add3_u32 v21, v21, v39, s8
	v_perm_b32 v44, v21, v20, s44
	v_bfe_u32 v20, v33, 16, 1
	v_bfe_u32 v21, v32, 16, 1
	v_add3_u32 v21, v32, v21, s8
	v_add3_u32 v20, v33, v20, s8
	v_perm_b32 v45, v20, v21, s44
	v_lshlrev_b32_e32 v20, 3, v1
	v_lshlrev_b32_e32 v21, 11, v42
	v_pk_mul_f32 v[22:23], v[38:39], v[22:23] op_sel_hi:[0,1]
	v_or3_b32 v20, v21, v27, v20
	v_pk_mul_f32 v[32:33], v[38:39], v[34:35] op_sel_hi:[0,1]
	v_bfe_u32 v21, v23, 16, 1
	v_bfe_u32 v34, v22, 16, 1
	v_add3_u32 v22, v22, v34, s8
	v_add3_u32 v21, v23, v21, s8
	v_perm_b32 v22, v21, v22, s44
	v_bfe_u32 v21, v33, 16, 1
	v_bfe_u32 v23, v32, 16, 1
	v_add3_u32 v23, v32, v23, s8
	v_add3_u32 v21, v33, v21, s8
	v_perm_b32 v23, v21, v23, s44
	v_pk_mul_f32 v[28:29], v[38:39], v[28:29] op_sel_hi:[0,1]
	ds_write2st64_b64 v20, v[44:45], v[22:23] offset1:1
	v_pk_mul_f32 v[22:23], v[38:39], v[30:31] op_sel_hi:[0,1]
	v_bfe_u32 v21, v29, 16, 1
	v_bfe_u32 v30, v28, 16, 1
	v_add3_u32 v28, v28, v30, s8
	v_add3_u32 v21, v29, v21, s8
	v_perm_b32 v28, v21, v28, s44
	v_bfe_u32 v21, v23, 16, 1
	v_bfe_u32 v29, v22, 16, 1
	v_add3_u32 v22, v22, v29, s8
	v_add3_u32 v21, v23, v21, s8
	v_perm_b32 v29, v21, v22, s44
	v_pk_mul_f32 v[22:23], v[38:39], v[24:25] op_sel_hi:[0,1]
	v_bfe_u32 v21, v23, 16, 1
	v_bfe_u32 v24, v22, 16, 1
	v_pk_mul_f32 v[18:19], v[38:39], v[18:19] op_sel_hi:[0,1]
	v_add3_u32 v22, v22, v24, s8
	v_add3_u32 v21, v23, v21, s8
	v_perm_b32 v22, v21, v22, s44
	v_bfe_u32 v21, v19, 16, 1
	v_bfe_u32 v23, v18, 16, 1
	v_add3_u32 v18, v18, v23, s8
	v_add3_u32 v19, v19, v21, s8
	v_perm_b32 v23, v19, v18, s44
	v_cmp_gt_u32_e32 vcc, 2, v0
	ds_write2st64_b64 v20, v[28:29], v[22:23] offset0:2 offset1:3
	s_and_saveexec_b64 s[4:5], vcc
	s_cbranch_execz .LBB1245_15
; %bb.14:
	v_or_b32_e32 v18, s29, v0
	v_mov_b32_e32 v19, 0
	v_mov_b32_e32 v21, s7
	v_mad_u64_u32 v[22:23], s[10:11], s2, v21, v[18:19]
	v_mov_b32_e32 v18, s28
	s_load_dwordx4 s[12:15], s[0:1], 0x58
	s_mul_i32 s3, s3, s7
	v_mad_u64_u32 v[18:19], s[10:11], v22, s6, v[18:19]
	v_add_u32_e32 v21, s3, v23
	v_mov_b32_e32 v22, v19
	v_mad_u64_u32 v[22:23], s[10:11], v21, s6, v[22:23]
	v_mov_b32_e32 v19, v22
	v_lshlrev_b64 v[18:19], 2, v[18:19]
	s_waitcnt lgkmcnt(0)
	v_lshl_add_u64 v[22:23], s[14:15], 0, v[18:19]
	v_lshl_add_u64 v[18:19], s[12:13], 0, v[18:19]
	global_store_dword v[22:23], v36, off
	global_store_dword v[18:19], v37, off
.LBB1245_15:
	s_or_b64 exec, exec, s[4:5]
	s_waitcnt vmcnt(3)
	v_cvt_pk_f32_fp8_e32 v[18:19], v14
	v_cvt_pk_f32_fp8_sdwa v[22:23], v14 src0_sel:WORD_1
	s_mov_b32 s4, 0x7060302
	v_lshl_or_b32 v14, v1, 9, v27
	s_waitcnt lgkmcnt(0)
	s_barrier
	v_perm_b32 v18, v19, v18, s4
	v_perm_b32 v19, v23, v22, s4
	v_cvt_pk_f32_fp8_e32 v[28:29], v15
	ds_read_b128 v[22:25], v14
	v_cvt_pk_f32_fp8_sdwa v[36:37], v15 src0_sel:WORD_1
	s_load_dword s10, s[42:43], 0x0
	v_perm_b32 v38, v29, v28, s4
	ds_read_b128 v[28:31], v14 offset:16
	v_perm_b32 v39, v37, v36, s4
	s_waitcnt lgkmcnt(0)
	v_mfma_f32_16x16x16_bf16 v[32:35], v[18:19], v[22:23], 0
	v_cvt_pk_f32_fp8_e32 v[18:19], v16
	v_cvt_pk_f32_fp8_sdwa v[36:37], v16 src0_sel:WORD_1
	v_cmp_gt_u32_e32 vcc, 64, v0
	v_mfma_f32_16x16x16_bf16 v[22:25], v[38:39], v[24:25], v[32:35]
	v_perm_b32 v18, v19, v18, s4
	v_perm_b32 v19, v37, v36, s4
	s_waitcnt vmcnt(2)
	v_cvt_pk_f32_fp8_sdwa v[36:37], v10 src0_sel:WORD_1
	v_cvt_pk_f32_fp8_e32 v[32:33], v17
	v_cvt_pk_f32_fp8_sdwa v[16:17], v17 src0_sel:WORD_1
	v_cvt_pk_f32_fp8_e32 v[34:35], v10
	s_mov_b32 s3, 0
	v_perm_b32 v32, v33, v32, s4
	v_perm_b32 v33, v17, v16, s4
	v_mfma_f32_16x16x16_bf16 v[16:19], v[18:19], v[28:29], v[22:25]
	v_perm_b32 v34, v35, v34, s4
	v_perm_b32 v35, v37, v36, s4
	v_cvt_pk_f32_fp8_e32 v[28:29], v11
	ds_read_b128 v[22:25], v14 offset:2048
	v_cvt_pk_f32_fp8_sdwa v[10:11], v11 src0_sel:WORD_1
	v_mfma_f32_16x16x16_bf16 v[16:19], v[32:33], v[30:31], v[16:19]
	v_perm_b32 v32, v29, v28, s4
	ds_read_b128 v[28:31], v14 offset:2064
	v_perm_b32 v33, v11, v10, s4
	s_waitcnt lgkmcnt(1)
	v_mfma_f32_16x16x16_bf16 v[16:19], v[34:35], v[22:23], v[16:19]
	v_cvt_pk_f32_fp8_e32 v[10:11], v12
	v_cvt_pk_f32_fp8_sdwa v[22:23], v12 src0_sel:WORD_1
	v_mov_b32_e32 v27, 0
	v_mfma_f32_16x16x16_bf16 v[16:19], v[32:33], v[24:25], v[16:19]
	v_cvt_pk_f32_fp8_e32 v[24:25], v13
	v_perm_b32 v10, v11, v10, s4
	v_perm_b32 v11, v23, v22, s4
	v_cvt_pk_f32_fp8_sdwa v[12:13], v13 src0_sel:WORD_1
	v_perm_b32 v22, v25, v24, s4
	s_waitcnt vmcnt(1)
	v_cvt_pk_f32_fp8_e32 v[24:25], v6
	v_cvt_pk_f32_fp8_sdwa v[32:33], v6 src0_sel:WORD_1
	v_perm_b32 v23, v13, v12, s4
	s_waitcnt lgkmcnt(0)
	v_mfma_f32_16x16x16_bf16 v[10:13], v[10:11], v[28:29], v[16:19]
	v_perm_b32 v28, v25, v24, s4
	v_perm_b32 v29, v33, v32, s4
	v_cvt_pk_f32_fp8_e32 v[24:25], v7
	ds_read_b128 v[16:19], v14 offset:4096
	v_cvt_pk_f32_fp8_sdwa v[6:7], v7 src0_sel:WORD_1
	v_mfma_f32_16x16x16_bf16 v[10:13], v[22:23], v[30:31], v[10:13]
	v_perm_b32 v30, v25, v24, s4
	ds_read_b128 v[22:25], v14 offset:4112
	v_perm_b32 v31, v7, v6, s4
	s_waitcnt lgkmcnt(1)
	v_mfma_f32_16x16x16_bf16 v[10:13], v[28:29], v[16:17], v[10:13]
	v_cvt_pk_f32_fp8_e32 v[6:7], v8
	v_cvt_pk_f32_fp8_sdwa v[16:17], v8 src0_sel:WORD_1
	s_waitcnt vmcnt(0)
	v_cvt_pk_f32_fp8_sdwa v[28:29], v2 src0_sel:WORD_1
	v_mfma_f32_16x16x16_bf16 v[10:13], v[30:31], v[18:19], v[10:13]
	v_cvt_pk_f32_fp8_e32 v[18:19], v9
	v_perm_b32 v6, v7, v6, s4
	v_perm_b32 v7, v17, v16, s4
	v_cvt_pk_f32_fp8_sdwa v[8:9], v9 src0_sel:WORD_1
	v_perm_b32 v16, v19, v18, s4
	v_cvt_pk_f32_fp8_e32 v[18:19], v2
	v_perm_b32 v17, v9, v8, s4
	s_waitcnt lgkmcnt(0)
	v_mfma_f32_16x16x16_bf16 v[6:9], v[6:7], v[22:23], v[10:13]
	v_perm_b32 v18, v19, v18, s4
	v_perm_b32 v19, v29, v28, s4
	v_cvt_pk_f32_fp8_e32 v[22:23], v3
	ds_read_b128 v[10:13], v14 offset:6144
	v_cvt_pk_f32_fp8_sdwa v[2:3], v3 src0_sel:WORD_1
	v_mfma_f32_16x16x16_bf16 v[6:9], v[16:17], v[24:25], v[6:9]
	v_perm_b32 v22, v23, v22, s4
	ds_read_b128 v[14:17], v14 offset:6160
	v_perm_b32 v23, v3, v2, s4
	s_waitcnt lgkmcnt(1)
	v_mfma_f32_16x16x16_bf16 v[6:9], v[18:19], v[10:11], v[6:9]
	v_cvt_pk_f32_fp8_e32 v[2:3], v4
	v_cvt_pk_f32_fp8_sdwa v[10:11], v4 src0_sel:WORD_1
	s_waitcnt lgkmcnt(0)
	v_mfma_f32_16x16x16_bf16 v[6:9], v[22:23], v[12:13], v[6:9]
	v_perm_b32 v2, v3, v2, s4
	v_perm_b32 v3, v11, v10, s4
	v_cvt_pk_f32_fp8_e32 v[10:11], v5
	v_cvt_pk_f32_fp8_sdwa v[4:5], v5 src0_sel:WORD_1
	s_barrier
	v_perm_b32 v10, v11, v10, s4
	v_perm_b32 v11, v5, v4, s4
	v_mfma_f32_16x16x16_bf16 v[2:5], v[2:3], v[14:15], v[6:9]
	s_nop 0
	v_mfma_f32_16x16x16_bf16 v[2:5], v[10:11], v[16:17], v[2:5]
	s_nop 6
	v_pk_mul_f32 v[2:3], v[2:3], s[10:11] op_sel_hi:[1,0]
	v_pk_mul_f32 v[4:5], v[4:5], s[10:11] op_sel_hi:[1,0]
	v_bfe_u32 v6, v3, 16, 1
	v_bfe_u32 v7, v2, 16, 1
	v_add3_u32 v2, v2, v7, s8
	v_add3_u32 v3, v3, v6, s8
	v_perm_b32 v2, v3, v2, s4
	v_bfe_u32 v3, v5, 16, 1
	v_bfe_u32 v6, v4, 16, 1
	v_add3_u32 v4, v4, v6, s8
	v_add3_u32 v3, v5, v3, s8
	v_perm_b32 v3, v3, v4, s4
	v_cmp_gt_u32_e64 s[4:5], 32, v41
	s_and_b64 s[4:5], s[4:5], vcc
	s_and_b64 s[4:5], s[4:5], s[30:31]
	ds_write_b64 v20, v[2:3]
	s_waitcnt lgkmcnt(0)
	s_barrier
	s_and_saveexec_b64 s[8:9], s[4:5]
	s_cbranch_execz .LBB1245_17
; %bb.16:
	s_load_dwordx2 s[0:1], s[0:1], 0x68
	s_mul_i32 s2, s7, s2
	s_lshl_b32 s6, s6, 6
	s_mul_hi_u32 s5, s2, s6
	s_mul_i32 s4, s2, s6
	v_lshlrev_b32_e32 v0, 10, v0
	s_lshl_b64 s[4:5], s[4:5], 1
	v_and_b32_e32 v0, 0x1800, v0
	v_lshlrev_b32_e32 v2, 5, v1
	v_and_b32_e32 v3, 16, v40
	s_waitcnt lgkmcnt(0)
	s_add_u32 s4, s0, s4
	v_or3_b32 v0, v0, v2, v3
	s_addc_u32 s5, s1, s5
	s_lshl_b32 s2, s28, 6
	ds_read_b128 v[2:5], v0
	s_lshl_b64 s[0:1], s[2:3], 1
	s_add_u32 s0, s4, s0
	v_or_b32_e32 v0, s29, v1
	s_addc_u32 s1, s5, s1
	v_mad_u64_u32 v[0:1], s[2:3], s6, v0, 0
	v_lshl_add_u64 v[0:1], v[0:1], 1, s[0:1]
	v_lshl_add_u64 v[0:1], v[0:1], 0, v[26:27]
	s_waitcnt lgkmcnt(0)
	global_store_dwordx4 v[0:1], v[2:5], off
.LBB1245_17:
	s_endpgm
	.section	.rodata,"a",@progbits
	.p2align	6, 0x0
	.amdhsa_kernel _Z39paged_attention_ll4mi_QKV_mfma16_kernelI14__hip_bfloat16hLN4vllm18Fp8KVCacheDataTypeE1ES0_Li32ELi64ELi256ELb0ELi2EEvPKT_PKT0_S8_ifPKiSA_SA_iPKfiiiPfSD_PS3_PT2_iSC_SC_
		.amdhsa_group_segment_fixed_size 8192
		.amdhsa_private_segment_fixed_size 0
		.amdhsa_kernarg_size 400
		.amdhsa_user_sgpr_count 2
		.amdhsa_user_sgpr_dispatch_ptr 0
		.amdhsa_user_sgpr_queue_ptr 0
		.amdhsa_user_sgpr_kernarg_segment_ptr 1
		.amdhsa_user_sgpr_dispatch_id 0
		.amdhsa_user_sgpr_kernarg_preload_length 0
		.amdhsa_user_sgpr_kernarg_preload_offset 0
		.amdhsa_user_sgpr_private_segment_size 0
		.amdhsa_uses_dynamic_stack 0
		.amdhsa_enable_private_segment 0
		.amdhsa_system_sgpr_workgroup_id_x 1
		.amdhsa_system_sgpr_workgroup_id_y 1
		.amdhsa_system_sgpr_workgroup_id_z 1
		.amdhsa_system_sgpr_workgroup_info 0
		.amdhsa_system_vgpr_workitem_id 0
		.amdhsa_next_free_vgpr 54
		.amdhsa_next_free_sgpr 49
		.amdhsa_accum_offset 56
		.amdhsa_reserve_vcc 1
		.amdhsa_float_round_mode_32 0
		.amdhsa_float_round_mode_16_64 0
		.amdhsa_float_denorm_mode_32 3
		.amdhsa_float_denorm_mode_16_64 3
		.amdhsa_dx10_clamp 1
		.amdhsa_ieee_mode 1
		.amdhsa_fp16_overflow 0
		.amdhsa_tg_split 0
		.amdhsa_exception_fp_ieee_invalid_op 0
		.amdhsa_exception_fp_denorm_src 0
		.amdhsa_exception_fp_ieee_div_zero 0
		.amdhsa_exception_fp_ieee_overflow 0
		.amdhsa_exception_fp_ieee_underflow 0
		.amdhsa_exception_fp_ieee_inexact 0
		.amdhsa_exception_int_div_zero 0
	.end_amdhsa_kernel
	.section	.text._Z39paged_attention_ll4mi_QKV_mfma16_kernelI14__hip_bfloat16hLN4vllm18Fp8KVCacheDataTypeE1ES0_Li32ELi64ELi256ELb0ELi2EEvPKT_PKT0_S8_ifPKiSA_SA_iPKfiiiPfSD_PS3_PT2_iSC_SC_,"axG",@progbits,_Z39paged_attention_ll4mi_QKV_mfma16_kernelI14__hip_bfloat16hLN4vllm18Fp8KVCacheDataTypeE1ES0_Li32ELi64ELi256ELb0ELi2EEvPKT_PKT0_S8_ifPKiSA_SA_iPKfiiiPfSD_PS3_PT2_iSC_SC_,comdat
.Lfunc_end1245:
	.size	_Z39paged_attention_ll4mi_QKV_mfma16_kernelI14__hip_bfloat16hLN4vllm18Fp8KVCacheDataTypeE1ES0_Li32ELi64ELi256ELb0ELi2EEvPKT_PKT0_S8_ifPKiSA_SA_iPKfiiiPfSD_PS3_PT2_iSC_SC_, .Lfunc_end1245-_Z39paged_attention_ll4mi_QKV_mfma16_kernelI14__hip_bfloat16hLN4vllm18Fp8KVCacheDataTypeE1ES0_Li32ELi64ELi256ELb0ELi2EEvPKT_PKT0_S8_ifPKiSA_SA_iPKfiiiPfSD_PS3_PT2_iSC_SC_
                                        ; -- End function
	.section	.AMDGPU.csdata,"",@progbits
; Kernel info:
; codeLenInByte = 4852
; NumSgprs: 55
; NumVgprs: 54
; NumAgprs: 0
; TotalNumVgprs: 54
; ScratchSize: 0
; MemoryBound: 0
; FloatMode: 240
; IeeeMode: 1
; LDSByteSize: 8192 bytes/workgroup (compile time only)
; SGPRBlocks: 6
; VGPRBlocks: 6
; NumSGPRsForWavesPerEU: 55
; NumVGPRsForWavesPerEU: 54
; AccumOffset: 56
; Occupancy: 8
; WaveLimiterHint : 1
; COMPUTE_PGM_RSRC2:SCRATCH_EN: 0
; COMPUTE_PGM_RSRC2:USER_SGPR: 2
; COMPUTE_PGM_RSRC2:TRAP_HANDLER: 0
; COMPUTE_PGM_RSRC2:TGID_X_EN: 1
; COMPUTE_PGM_RSRC2:TGID_Y_EN: 1
; COMPUTE_PGM_RSRC2:TGID_Z_EN: 1
; COMPUTE_PGM_RSRC2:TIDIG_COMP_CNT: 0
; COMPUTE_PGM_RSRC3_GFX90A:ACCUM_OFFSET: 13
; COMPUTE_PGM_RSRC3_GFX90A:TG_SPLIT: 0
	.section	.text._Z39paged_attention_ll4mi_QKV_mfma16_kernelI14__hip_bfloat16hLN4vllm18Fp8KVCacheDataTypeE1ES0_Li32ELi64ELi256ELb0ELi3EEvPKT_PKT0_S8_ifPKiSA_SA_iPKfiiiPfSD_PS3_PT2_iSC_SC_,"axG",@progbits,_Z39paged_attention_ll4mi_QKV_mfma16_kernelI14__hip_bfloat16hLN4vllm18Fp8KVCacheDataTypeE1ES0_Li32ELi64ELi256ELb0ELi3EEvPKT_PKT0_S8_ifPKiSA_SA_iPKfiiiPfSD_PS3_PT2_iSC_SC_,comdat
	.protected	_Z39paged_attention_ll4mi_QKV_mfma16_kernelI14__hip_bfloat16hLN4vllm18Fp8KVCacheDataTypeE1ES0_Li32ELi64ELi256ELb0ELi3EEvPKT_PKT0_S8_ifPKiSA_SA_iPKfiiiPfSD_PS3_PT2_iSC_SC_ ; -- Begin function _Z39paged_attention_ll4mi_QKV_mfma16_kernelI14__hip_bfloat16hLN4vllm18Fp8KVCacheDataTypeE1ES0_Li32ELi64ELi256ELb0ELi3EEvPKT_PKT0_S8_ifPKiSA_SA_iPKfiiiPfSD_PS3_PT2_iSC_SC_
	.globl	_Z39paged_attention_ll4mi_QKV_mfma16_kernelI14__hip_bfloat16hLN4vllm18Fp8KVCacheDataTypeE1ES0_Li32ELi64ELi256ELb0ELi3EEvPKT_PKT0_S8_ifPKiSA_SA_iPKfiiiPfSD_PS3_PT2_iSC_SC_
	.p2align	8
	.type	_Z39paged_attention_ll4mi_QKV_mfma16_kernelI14__hip_bfloat16hLN4vllm18Fp8KVCacheDataTypeE1ES0_Li32ELi64ELi256ELb0ELi3EEvPKT_PKT0_S8_ifPKiSA_SA_iPKfiiiPfSD_PS3_PT2_iSC_SC_,@function
_Z39paged_attention_ll4mi_QKV_mfma16_kernelI14__hip_bfloat16hLN4vllm18Fp8KVCacheDataTypeE1ES0_Li32ELi64ELi256ELb0ELi3EEvPKT_PKT0_S8_ifPKiSA_SA_iPKfiiiPfSD_PS3_PT2_iSC_SC_: ; @_Z39paged_attention_ll4mi_QKV_mfma16_kernelI14__hip_bfloat16hLN4vllm18Fp8KVCacheDataTypeE1ES0_Li32ELi64ELi256ELb0ELi3EEvPKT_PKT0_S8_ifPKiSA_SA_iPKfiiiPfSD_PS3_PT2_iSC_SC_
; %bb.0:
	s_load_dwordx2 s[12:13], s[0:1], 0x30
	s_mov_b32 s28, s3
	s_mov_b64 s[6:7], 0
	s_waitcnt lgkmcnt(0)
	s_cmp_lg_u64 s[12:13], 0
	s_cselect_b64 s[14:15], -1, 0
	s_and_b64 vcc, exec, s[14:15]
	s_cbranch_vccz .LBB1246_7
; %bb.1:
	s_add_i32 s8, s2, 1
	s_mov_b32 s9, 0
	s_lshl_b64 s[10:11], s[8:9], 2
	s_add_u32 s10, s12, s10
	s_mov_b32 s3, s9
	s_addc_u32 s11, s13, s11
	s_lshl_b64 s[8:9], s[2:3], 2
	s_add_u32 s8, s12, s8
	s_addc_u32 s9, s13, s9
	s_load_dword s5, s[10:11], 0x0
	s_load_dword s16, s[8:9], 0x0
	s_waitcnt lgkmcnt(0)
	s_sub_i32 s5, s5, s16
	s_cmp_eq_u32 s5, 1
	s_cselect_b64 s[8:9], -1, 0
	s_andn2_b64 vcc, exec, s[6:7]
	s_cbranch_vccnz .LBB1246_3
.LBB1246_2:
	s_mov_b32 s3, 0
	s_mov_b64 s[8:9], -1
.LBB1246_3:
	s_andn2_b64 vcc, exec, s[8:9]
	s_cbranch_vccnz .LBB1246_17
; %bb.4:
	s_load_dwordx2 s[6:7], s[0:1], 0x28
	s_lshl_b64 s[16:17], s[2:3], 2
	s_waitcnt lgkmcnt(0)
	s_add_u32 s6, s6, s16
	s_addc_u32 s7, s7, s17
	s_load_dword s33, s[6:7], 0x0
	s_lshl_b32 s5, s28, 8
	s_waitcnt lgkmcnt(0)
	s_cmp_ge_i32 s5, s33
	s_cbranch_scc1 .LBB1246_17
; %bb.5:
	s_add_i32 s9, s33, 31
	s_load_dwordx2 s[6:7], s[0:1], 0x20
	s_load_dword s8, s[0:1], 0x38
	s_ashr_i32 s10, s9, 31
	v_and_b32_e32 v1, 0xcf, v0
	s_lshr_b32 s10, s10, 27
	v_add_u32_e32 v1, s5, v1
	s_add_i32 s9, s9, s10
	v_ashrrev_i32_e32 v2, 31, v1
	s_ashr_i32 s18, s9, 5
	v_lshrrev_b32_e32 v10, 27, v2
	s_add_i32 s18, s18, -1
	v_add_u32_e32 v2, v1, v10
	v_or_b32_e32 v4, 16, v1
	s_waitcnt lgkmcnt(0)
	s_mul_i32 s8, s2, s8
	s_mov_b32 s9, 0
	v_ashrrev_i32_e32 v2, 5, v2
	v_mov_b32_e32 v11, s18
	v_cmp_gt_i32_e32 vcc, s33, v1
	v_add_u32_e32 v5, v4, v10
	s_lshl_b64 s[8:9], s[8:9], 2
	v_cndmask_b32_e32 v2, v11, v2, vcc
	v_ashrrev_i32_e32 v5, 5, v5
	v_cmp_gt_i32_e32 vcc, s33, v4
	s_add_u32 s6, s6, s8
	s_addc_u32 s7, s7, s9
	v_cndmask_b32_e32 v4, v11, v5, vcc
	v_ashrrev_i32_e32 v5, 31, v4
	v_lshl_add_u64 v[6:7], v[4:5], 2, s[6:7]
	v_or_b32_e32 v4, 32, v1
	v_add_u32_e32 v5, v4, v10
	v_ashrrev_i32_e32 v5, 5, v5
	v_cmp_gt_i32_e32 vcc, s33, v4
	v_or_b32_e32 v1, 48, v1
	v_ashrrev_i32_e32 v3, 31, v2
	v_cndmask_b32_e32 v4, v11, v5, vcc
	v_ashrrev_i32_e32 v5, 31, v4
	v_lshl_add_u64 v[8:9], v[4:5], 2, s[6:7]
	v_add_u32_e32 v4, v1, v10
	v_ashrrev_i32_e32 v4, 5, v4
	v_cmp_gt_i32_e32 vcc, s33, v1
	v_lshl_add_u64 v[2:3], v[2:3], 2, s[6:7]
	s_load_dwordx4 s[8:11], s[0:1], 0x8
	v_cndmask_b32_e32 v4, v11, v4, vcc
	v_ashrrev_i32_e32 v5, 31, v4
	v_lshl_add_u64 v[14:15], v[4:5], 2, s[6:7]
	global_load_dword v4, v[2:3], off
	global_load_dword v12, v[6:7], off
	;; [unrolled: 1-line block ×4, first 2 shown]
	s_andn2_b64 vcc, exec, s[14:15]
	s_cbranch_vccnz .LBB1246_8
; %bb.6:
	s_add_u32 s12, s12, s16
	s_addc_u32 s13, s13, s17
	s_load_dword s14, s[12:13], 0x0
	s_branch .LBB1246_9
.LBB1246_7:
	s_mov_b64 s[8:9], 0
	s_branch .LBB1246_2
.LBB1246_8:
	s_mov_b32 s14, s2
.LBB1246_9:
	s_load_dwordx4 s[44:47], s[0:1], 0x48
	v_lshrrev_b32_e32 v29, 6, v0
	v_bfe_u32 v42, v0, 4, 2
	v_lshl_or_b32 v2, v29, 2, v42
	v_and_b32_e32 v28, 15, v0
	s_mul_i32 s48, s4, 3
	v_lshlrev_b32_e32 v3, 3, v28
	v_cmp_gt_u32_e32 vcc, 3, v2
	v_cmp_gt_u32_e64 s[30:31], 8, v28
	v_and_b32_e32 v44, 63, v0
	v_add_u32_e32 v1, s48, v42
	s_and_b64 s[16:17], s[30:31], vcc
	v_lshlrev_b32_e32 v26, 1, v3
	v_lshlrev_b32_e32 v43, 4, v0
	s_and_saveexec_b64 s[12:13], s[16:17]
	s_cbranch_execz .LBB1246_11
; %bb.10:
	s_load_dwordx2 s[16:17], s[0:1], 0x0
	s_waitcnt lgkmcnt(0)
	s_ashr_i32 s15, s44, 31
	s_mul_hi_u32 s19, s14, s44
	s_mul_i32 s15, s14, s15
	s_add_i32 s15, s19, s15
	s_mul_i32 s14, s14, s44
	s_lshl_b64 s[14:15], s[14:15], 1
	s_add_u32 s14, s16, s14
	v_lshlrev_b32_e32 v6, 6, v1
	s_addc_u32 s15, s17, s15
	v_ashrrev_i32_e32 v7, 31, v6
	v_lshl_add_u64 v[6:7], v[6:7], 1, s[14:15]
	v_mov_b32_e32 v27, 0
	v_lshl_add_u64 v[6:7], v[6:7], 0, v[26:27]
	global_load_dwordx4 v[6:9], v[6:7], off
	v_lshlrev_b32_e32 v5, 8, v28
	v_lshlrev_b32_e32 v2, 5, v2
	v_and_b32_e32 v3, 16, v43
	v_and_b32_e32 v5, 0xe00, v5
	v_or3_b32 v2, v5, v2, v3
	s_waitcnt vmcnt(0)
	ds_write_b128 v2, v[6:9]
.LBB1246_11:
	s_or_b64 exec, exec, s[12:13]
	s_waitcnt lgkmcnt(0)
	s_mul_i32 s4, s4, s46
	s_add_u32 s8, s8, s4
	s_addc_u32 s9, s9, 0
	v_mov_b32_e32 v31, 0
	v_mov_b64_e32 v[2:3], s[8:9]
	v_and_b32_e32 v14, 48, v0
	s_waitcnt vmcnt(3)
	v_mad_i64_i32 v[6:7], s[8:9], v4, s45, v[2:3]
	v_lshlrev_b32_e32 v4, 4, v28
	v_mov_b32_e32 v5, v31
	v_lshlrev_b32_e32 v30, 5, v14
	v_lshl_add_u64 v[6:7], v[6:7], 0, v[4:5]
	v_lshl_add_u64 v[6:7], v[6:7], 0, v[30:31]
	s_load_dword s29, s[0:1], 0x98
	s_load_dwordx4 s[40:43], s[0:1], 0x80
	s_waitcnt lgkmcnt(0)
	s_barrier
	global_load_dwordx4 v[6:9], v[6:7], off
	s_waitcnt vmcnt(3)
	v_mad_i64_i32 v[12:13], s[8:9], v12, s45, v[2:3]
	s_ashr_i32 s8, s5, 31
	v_or_b32_e32 v20, s5, v14
	s_lshr_b32 s12, s8, 27
	v_add_u32_e32 v14, s12, v20
	v_ashrrev_i32_e32 v14, 5, v14
	v_mov_b32_e32 v33, s18
	v_cmp_gt_i32_e32 vcc, s33, v20
	v_or_b32_e32 v18, 0x100, v4
	v_mov_b32_e32 v19, v31
	v_cndmask_b32_e32 v14, v33, v14, vcc
	v_ashrrev_i32_e32 v15, 31, v14
	v_lshl_add_u64 v[12:13], v[12:13], 0, v[18:19]
	v_lshl_add_u64 v[14:15], v[14:15], 2, s[6:7]
	v_lshl_add_u64 v[12:13], v[12:13], 0, v[30:31]
	global_load_dword v52, v[14:15], off
	v_mov_b32_e32 v21, 5
	global_load_dwordx4 v[14:17], v[12:13], off
	v_mul_lo_u16_e32 v12, 0x56, v28
	v_mov_b32_e32 v13, 3
	v_mul_lo_u16_sdwa v12, v12, v13 dst_sel:DWORD dst_unused:UNUSED_PAD src0_sel:BYTE_1 src1_sel:DWORD
	v_sub_u16_e32 v12, v28, v12
	v_or_b32_e32 v32, 64, v20
	v_or_b32_e32 v34, 0x80, v20
	;; [unrolled: 1-line block ×3, first 2 shown]
	v_lshlrev_b32_sdwa v20, v21, v12 dst_sel:DWORD dst_unused:UNUSED_PAD src0_sel:DWORD src1_sel:BYTE_0
	s_waitcnt vmcnt(4)
	v_mad_i64_i32 v[12:13], s[8:9], v11, s45, v[2:3]
	v_lshl_add_u64 v[4:5], v[12:13], 0, v[4:5]
	v_lshl_add_u64 v[4:5], v[4:5], 0, v[30:31]
	global_load_dwordx4 v[22:25], v[4:5], off
	v_lshl_add_u32 v4, v42, 9, v20
	s_waitcnt vmcnt(4)
	v_mad_i64_i32 v[20:21], s[8:9], v10, s45, v[2:3]
	v_add_u32_e32 v36, s12, v32
	v_add_u32_e32 v37, s12, v34
	v_lshl_add_u64 v[18:19], v[20:21], 0, v[18:19]
	v_ashrrev_i32_e32 v20, 5, v36
	v_cmp_gt_i32_e32 vcc, s33, v32
	v_ashrrev_i32_e32 v21, 5, v37
	v_lshl_add_u64 v[18:19], v[18:19], 0, v[30:31]
	v_cndmask_b32_e32 v32, v33, v20, vcc
	v_cmp_gt_i32_e32 vcc, s33, v34
	ds_read_b128 v[10:13], v4
	ds_read_b128 v[2:5], v4 offset:16
	v_cndmask_b32_e32 v34, v33, v21, vcc
	global_load_dwordx4 v[18:21], v[18:19], off
	v_add_u32_e32 v38, s12, v35
	s_add_u32 s8, s10, s4
	v_ashrrev_i32_e32 v36, 5, v38
	v_cmp_gt_i32_e32 vcc, s33, v35
	v_lshlrev_b32_e32 v27, 5, v28
	s_addc_u32 s9, s11, 0
	v_cndmask_b32_e32 v36, v33, v36, vcc
	v_and_b32_e32 v30, 16, v0
	v_ashrrev_i32_e32 v37, 31, v36
	v_lshl_add_u64 v[38:39], s[8:9], 0, v[30:31]
	v_lshl_or_b32 v30, v29, 9, v27
	v_lshl_add_u64 v[40:41], v[36:37], 2, s[6:7]
	v_lshl_add_u64 v[30:31], v[38:39], 0, v[30:31]
	s_mov_b32 s44, 0x7060302
	v_ashrrev_i32_e32 v33, 31, v32
	v_ashrrev_i32_e32 v35, 31, v34
	v_lshl_add_u64 v[32:33], v[32:33], 2, s[6:7]
	v_lshl_add_u64 v[34:35], v[34:35], 2, s[6:7]
	global_load_dword v45, v[32:33], off
	s_nop 0
	global_load_dword v34, v[34:35], off
	s_nop 0
	global_load_dword v35, v[40:41], off
	s_load_dword s13, s[0:1], 0x1c
	s_load_dword s4, s[40:41], 0x0
	s_mov_b32 s46, 0xff7fffff
	s_waitcnt vmcnt(7)
	v_cvt_pk_f32_fp8_e32 v[36:37], v6
	v_cvt_pk_f32_fp8_sdwa v[38:39], v6 src0_sel:WORD_1
	v_cvt_pk_f32_fp8_e32 v[46:47], v7
	v_cvt_pk_f32_fp8_sdwa v[6:7], v7 src0_sel:WORD_1
	v_perm_b32 v36, v37, v36, s44
	v_perm_b32 v37, v39, v38, s44
	v_cvt_pk_f32_fp8_e32 v[48:49], v8
	v_cvt_pk_f32_fp8_sdwa v[50:51], v8 src0_sel:WORD_1
	v_perm_b32 v46, v47, v46, s44
	v_perm_b32 v47, v7, v6, s44
	s_waitcnt lgkmcnt(0)
	v_mfma_f32_16x16x16_bf16 v[36:39], v[36:37], v[10:11], 0
	v_perm_b32 v32, v49, v48, s44
	v_perm_b32 v33, v51, v50, s44
	v_cvt_pk_f32_fp8_e32 v[40:41], v9
	v_cvt_pk_f32_fp8_sdwa v[8:9], v9 src0_sel:WORD_1
	v_mfma_f32_16x16x16_bf16 v[36:39], v[46:47], v[12:13], v[36:39]
	v_perm_b32 v40, v41, v40, s44
	v_perm_b32 v41, v9, v8, s44
	v_mfma_f32_16x16x16_bf16 v[36:39], v[32:33], v[2:3], v[36:39]
	s_waitcnt vmcnt(5)
	v_cvt_pk_f32_fp8_e32 v[8:9], v14
	v_cvt_pk_f32_fp8_sdwa v[32:33], v14 src0_sel:WORD_1
	v_cvt_pk_f32_fp8_sdwa v[50:51], v16 src0_sel:WORD_1
	v_mfma_f32_16x16x16_bf16 v[36:39], v[40:41], v[4:5], v[36:39]
	v_cvt_pk_f32_fp8_e32 v[40:41], v15
	v_perm_b32 v8, v9, v8, s44
	v_perm_b32 v9, v33, v32, s44
	v_cvt_pk_f32_fp8_sdwa v[14:15], v15 src0_sel:WORD_1
	v_perm_b32 v32, v41, v40, s44
	v_cvt_pk_f32_fp8_e32 v[40:41], v16
	v_mfma_f32_16x16x16_bf16 v[46:49], v[8:9], v[10:11], 0
	v_perm_b32 v33, v15, v14, s44
	v_perm_b32 v8, v41, v40, s44
	;; [unrolled: 1-line block ×3, first 2 shown]
	v_cvt_pk_f32_fp8_e32 v[40:41], v17
	v_cvt_pk_f32_fp8_sdwa v[50:51], v17 src0_sel:WORD_1
	v_mfma_f32_16x16x16_bf16 v[14:17], v[32:33], v[12:13], v[46:49]
	v_mad_i64_i32 v[6:7], s[6:7], v52, s45, v[30:31]
	v_perm_b32 v32, v41, v40, s44
	v_perm_b32 v33, v51, v50, s44
	v_mfma_f32_16x16x16_bf16 v[14:17], v[8:9], v[2:3], v[14:17]
	s_waitcnt vmcnt(4)
	v_cvt_pk_f32_fp8_e32 v[8:9], v22
	v_cvt_pk_f32_fp8_sdwa v[40:41], v22 src0_sel:WORD_1
	v_mov_b32_e32 v46, s13
	v_mfma_f32_16x16x16_bf16 v[14:17], v[32:33], v[4:5], v[14:17]
	v_cvt_pk_f32_fp8_e32 v[32:33], v23
	v_perm_b32 v8, v9, v8, s44
	v_perm_b32 v9, v41, v40, s44
	v_cvt_pk_f32_fp8_sdwa v[22:23], v23 src0_sel:WORD_1
	v_perm_b32 v32, v33, v32, s44
	v_cvt_pk_f32_fp8_e32 v[40:41], v24
	v_cvt_pk_f32_fp8_sdwa v[52:53], v24 src0_sel:WORD_1
	v_perm_b32 v33, v23, v22, s44
	v_mul_f32_e32 v50, s4, v46
	v_mfma_f32_16x16x16_bf16 v[46:49], v[8:9], v[10:11], 0
	v_perm_b32 v8, v41, v40, s44
	v_perm_b32 v9, v53, v52, s44
	v_cvt_pk_f32_fp8_e32 v[40:41], v25
	v_cvt_pk_f32_fp8_sdwa v[24:25], v25 src0_sel:WORD_1
	v_mfma_f32_16x16x16_bf16 v[46:49], v[32:33], v[12:13], v[46:49]
	v_pk_mul_f32 v[22:23], v[50:51], v[38:39] op_sel_hi:[0,1]
	v_perm_b32 v32, v41, v40, s44
	v_perm_b32 v33, v25, v24, s44
	v_mfma_f32_16x16x16_bf16 v[38:41], v[8:9], v[2:3], v[46:49]
	v_pk_mul_f32 v[8:9], v[50:51], v[36:37] op_sel_hi:[0,1]
	s_waitcnt vmcnt(3)
	v_cvt_pk_f32_fp8_e32 v[24:25], v18
	v_cvt_pk_f32_fp8_sdwa v[36:37], v18 src0_sel:WORD_1
	v_mfma_f32_16x16x16_bf16 v[46:49], v[32:33], v[4:5], v[38:41]
	v_cvt_pk_f32_fp8_e32 v[32:33], v19
	v_perm_b32 v24, v25, v24, s44
	v_perm_b32 v25, v37, v36, s44
	v_cvt_pk_f32_fp8_sdwa v[18:19], v19 src0_sel:WORD_1
	v_perm_b32 v32, v33, v32, s44
	v_cvt_pk_f32_fp8_e32 v[40:41], v20
	v_cvt_pk_f32_fp8_sdwa v[52:53], v20 src0_sel:WORD_1
	v_perm_b32 v33, v19, v18, s44
	v_mfma_f32_16x16x16_bf16 v[36:39], v[24:25], v[10:11], 0
	v_perm_b32 v18, v41, v40, s44
	v_perm_b32 v19, v53, v52, s44
	v_cvt_pk_f32_fp8_e32 v[24:25], v21
	v_cvt_pk_f32_fp8_sdwa v[20:21], v21 src0_sel:WORD_1
	v_mfma_f32_16x16x16_bf16 v[10:13], v[32:33], v[12:13], v[36:39]
	v_pk_mul_f32 v[40:41], v[50:51], v[14:15] op_sel_hi:[0,1]
	v_pk_mul_f32 v[32:33], v[50:51], v[48:49] op_sel_hi:[0,1]
	s_nop 0
	v_pk_mul_f32 v[36:37], v[50:51], v[16:17] op_sel_hi:[0,1]
	v_perm_b32 v16, v25, v24, s44
	v_perm_b32 v17, v21, v20, s44
	v_mfma_f32_16x16x16_bf16 v[10:13], v[18:19], v[2:3], v[10:13]
	v_pk_mul_f32 v[38:39], v[50:51], v[46:47] op_sel_hi:[0,1]
	v_mfma_f32_16x16x16_bf16 v[2:5], v[16:17], v[4:5], v[10:13]
	s_nop 6
	v_pk_mul_f32 v[24:25], v[50:51], v[2:3] op_sel_hi:[0,1]
	v_and_b32_e32 v2, 0xc0, v0
	v_add_u32_e32 v2, s5, v2
	v_lshl_or_b32 v2, v42, 2, v2
	v_pk_mul_f32 v[18:19], v[50:51], v[4:5] op_sel_hi:[0,1]
	v_or_b32_e32 v5, 1, v2
	v_mov_b32_e32 v3, 0xff7fffff
	v_cmp_gt_i32_e64 s[4:5], s33, v2
	v_cmp_gt_i32_e64 s[34:35], s33, v5
	v_or_b32_e32 v10, 3, v2
	v_cndmask_b32_e64 v4, v3, v8, s[4:5]
	v_cndmask_b32_e64 v5, v3, v9, s[34:35]
	v_max3_f32 v4, v4, s46, v5
	v_or_b32_e32 v5, 2, v2
	v_cmp_gt_i32_e64 s[36:37], s33, v5
	v_cmp_gt_i32_e64 s[38:39], s33, v10
	s_nop 0
	v_cndmask_b32_e64 v5, v3, v22, s[36:37]
	v_cndmask_b32_e64 v10, v3, v23, s[38:39]
	v_max3_f32 v4, v4, v5, v10
	v_or_b32_e32 v5, 16, v2
	v_or_b32_e32 v10, 17, v2
	v_cmp_gt_i32_e64 s[24:25], s33, v5
	v_cmp_gt_i32_e64 s[26:27], s33, v10
	s_nop 0
	v_cndmask_b32_e64 v5, v3, v40, s[24:25]
	v_cndmask_b32_e64 v10, v3, v41, s[26:27]
	v_max3_f32 v4, v4, v5, v10
	v_or_b32_e32 v5, 18, v2
	;; [unrolled: 8-line block ×6, first 2 shown]
	v_or_b32_e32 v2, 51, v2
	v_cmp_gt_i32_e32 vcc, s33, v5
	v_cmp_gt_i32_e64 s[6:7], s33, v2
	s_nop 0
	v_cndmask_b32_e32 v5, v3, v18, vcc
	v_cndmask_b32_e64 v2, v3, v19, s[6:7]
	v_max3_f32 v4, v4, v5, v2
	v_mbcnt_lo_u32_b32 v2, -1, 0
	v_mbcnt_hi_u32_b32 v5, -1, v2
	v_and_b32_e32 v2, 64, v5
	v_add_u32_e32 v20, 64, v2
	v_xor_b32_e32 v2, 32, v5
	v_cmp_lt_i32_e64 s[40:41], v2, v20
	s_nop 1
	v_cndmask_b32_e64 v2, v5, v2, s[40:41]
	v_lshlrev_b32_e32 v46, 2, v2
	ds_bpermute_b32 v21, v46, v4
	s_waitcnt vmcnt(2)
	v_mad_i64_i32 v[2:3], s[40:41], v45, s45, v[30:31]
	global_load_dwordx4 v[14:17], v[6:7], off
	global_load_dwordx4 v[10:13], v[2:3], off
	v_xor_b32_e32 v3, 16, v5
	v_cmp_lt_i32_e64 s[40:41], v3, v20
	s_waitcnt lgkmcnt(0)
	v_max_f32_e32 v2, v21, v21
	v_max_f32_e32 v2, v4, v2
	v_cndmask_b32_e64 v3, v5, v3, s[40:41]
	v_lshlrev_b32_e32 v47, 2, v3
	ds_bpermute_b32 v3, v47, v2
	s_waitcnt vmcnt(3)
	v_mad_i64_i32 v[20:21], s[40:41], v34, s45, v[30:31]
	s_waitcnt vmcnt(2)
	v_mad_i64_i32 v[30:31], s[40:41], v35, s45, v[30:31]
	s_waitcnt lgkmcnt(0)
	v_max_f32_e32 v3, v3, v3
	v_max_f32_e32 v45, v2, v3
	v_sub_f32_e32 v2, v8, v45
	v_mul_f32_e32 v2, 0x3fb8aa3b, v2
	v_exp_f32_e32 v34, v2
	v_sub_f32_e32 v2, v9, v45
	v_mul_f32_e32 v2, 0x3fb8aa3b, v2
	v_exp_f32_e32 v35, v2
	global_load_dwordx4 v[6:9], v[20:21], off
	global_load_dwordx4 v[2:5], v[30:31], off
	v_sub_f32_e32 v22, v22, v45
	v_mul_f32_e32 v22, 0x3fb8aa3b, v22
	v_sub_f32_e32 v23, v23, v45
	v_exp_f32_e32 v22, v22
	v_mul_f32_e32 v23, 0x3fb8aa3b, v23
	v_exp_f32_e32 v23, v23
	v_cndmask_b32_e64 v20, 0, v34, s[4:5]
	v_add_f32_e32 v30, 0, v20
	v_cndmask_b32_e64 v21, 0, v35, s[34:35]
	v_add_f32_e32 v30, v30, v21
	;; [unrolled: 2-line block ×3, first 2 shown]
	v_cndmask_b32_e64 v35, 0, v23, s[38:39]
	v_sub_f32_e32 v23, v40, v45
	v_sub_f32_e32 v30, v41, v45
	v_mul_f32_e32 v23, 0x3fb8aa3b, v23
	v_mul_f32_e32 v30, 0x3fb8aa3b, v30
	v_exp_f32_e32 v23, v23
	v_exp_f32_e32 v30, v30
	v_add_f32_e32 v31, v22, v35
	v_sub_f32_e32 v32, v32, v45
	v_cndmask_b32_e64 v22, 0, v23, s[24:25]
	v_cndmask_b32_e64 v23, 0, v30, s[26:27]
	v_sub_f32_e32 v30, v36, v45
	v_mul_f32_e32 v30, 0x3fb8aa3b, v30
	v_exp_f32_e32 v30, v30
	v_sub_f32_e32 v36, v37, v45
	v_add_f32_e32 v31, v31, v22
	v_mul_f32_e32 v36, 0x3fb8aa3b, v36
	v_exp_f32_e32 v37, v36
	v_add_f32_e32 v31, v31, v23
	v_cndmask_b32_e64 v36, 0, v30, s[20:21]
	v_add_f32_e32 v30, v31, v36
	v_sub_f32_e32 v31, v38, v45
	v_mul_f32_e32 v31, 0x3fb8aa3b, v31
	v_sub_f32_e32 v38, v39, v45
	v_exp_f32_e32 v31, v31
	v_mul_f32_e32 v38, 0x3fb8aa3b, v38
	v_exp_f32_e32 v38, v38
	v_mul_f32_e32 v32, 0x3fb8aa3b, v32
	v_sub_f32_e32 v33, v33, v45
	v_exp_f32_e32 v32, v32
	v_mul_f32_e32 v33, 0x3fb8aa3b, v33
	v_sub_f32_e32 v24, v24, v45
	v_cndmask_b32_e64 v37, 0, v37, s[22:23]
	v_exp_f32_e32 v33, v33
	v_mul_f32_e32 v24, 0x3fb8aa3b, v24
	v_sub_f32_e32 v25, v25, v45
	v_add_f32_e32 v39, v30, v37
	v_cndmask_b32_e64 v30, 0, v31, s[16:17]
	v_exp_f32_e32 v24, v24
	v_mul_f32_e32 v25, 0x3fb8aa3b, v25
	v_sub_f32_e32 v18, v18, v45
	v_add_f32_e32 v39, v39, v30
	;; [unrolled: 5-line block ×3, first 2 shown]
	v_cndmask_b32_e64 v32, 0, v32, s[12:13]
	v_exp_f32_e32 v18, v18
	v_mul_f32_e32 v19, 0x3fb8aa3b, v19
	v_add_f32_e32 v38, v38, v32
	v_cndmask_b32_e64 v33, 0, v33, s[14:15]
	v_exp_f32_e32 v19, v19
	v_add_f32_e32 v38, v38, v33
	v_cndmask_b32_e64 v24, 0, v24, s[8:9]
	v_add_f32_e32 v38, v38, v24
	v_cndmask_b32_e64 v25, 0, v25, s[10:11]
	v_add_f32_e32 v38, v38, v25
	v_cndmask_b32_e32 v18, 0, v18, vcc
	v_add_f32_e32 v38, v38, v18
	v_cndmask_b32_e64 v19, 0, v19, s[6:7]
	v_add_f32_e32 v38, v38, v19
	ds_bpermute_b32 v39, v46, v38
	v_cmp_gt_u32_e32 vcc, 16, v44
	s_waitcnt lgkmcnt(0)
	s_barrier
	v_add_f32_e32 v38, v38, v39
	ds_bpermute_b32 v40, v47, v38
	v_lshlrev_b32_e32 v39, 2, v28
	s_and_saveexec_b64 s[4:5], vcc
	s_cbranch_execz .LBB1246_13
; %bb.12:
	s_waitcnt lgkmcnt(0)
	v_add_f32_e32 v38, v38, v40
	v_lshl_or_b32 v40, v29, 6, v39
	ds_write2st64_b32 v40, v45, v38 offset1:1
.LBB1246_13:
	s_or_b64 exec, exec, s[4:5]
	s_load_dword s6, s[0:1], 0x94
	s_waitcnt lgkmcnt(0)
	s_barrier
	ds_read2_b32 v[40:41], v39 offset1:16
	ds_read2_b32 v[44:45], v39 offset0:32 offset1:48
	ds_read2_b32 v[46:47], v39 offset0:64 offset1:80
	s_movk_i32 s8, 0x7fff
	s_mul_i32 s7, s29, 3
	s_waitcnt lgkmcnt(2)
	v_max3_f32 v38, v40, s46, v41
	s_waitcnt lgkmcnt(1)
	v_max3_f32 v38, v38, v44, v45
	v_sub_f32_e32 v40, v40, v38
	v_mul_f32_e32 v40, 0x3fb8aa3b, v40
	v_exp_f32_e32 v48, v40
	v_sub_f32_e32 v40, v41, v38
	v_mul_f32_e32 v40, 0x3fb8aa3b, v40
	v_exp_f32_e32 v49, v40
	;; [unrolled: 3-line block ×3, first 2 shown]
	ds_read2_b32 v[40:41], v39 offset0:96 offset1:112
	v_sub_f32_e32 v39, v45, v38
	v_mul_f32_e32 v39, 0x3fb8aa3b, v39
	v_exp_f32_e32 v45, v39
	s_waitcnt lgkmcnt(1)
	v_fma_f32 v39, v48, v46, 0
	v_fmac_f32_e32 v39, v49, v47
	s_waitcnt lgkmcnt(0)
	v_fmac_f32_e32 v39, v44, v40
	v_fmac_f32_e32 v39, v45, v41
	v_add_f32_e32 v40, 0x358637bd, v39
	v_div_scale_f32 v41, s[4:5], v40, v40, 1.0
	v_rcp_f32_e32 v46, v41
	s_barrier
	v_fma_f32 v47, -v41, v46, 1.0
	v_fmac_f32_e32 v46, v47, v46
	v_div_scale_f32 v47, vcc, 1.0, v40, 1.0
	v_mul_f32_e32 v50, v47, v46
	v_fma_f32 v51, -v41, v50, v47
	v_fmac_f32_e32 v50, v51, v46
	v_fma_f32 v41, -v41, v50, v47
	v_div_fmas_f32 v41, v41, v46, v50
	v_cmp_eq_u32_e32 vcc, 1, v29
	v_div_fixup_f32 v40, v41, v40, 1.0
	s_nop 0
	v_cndmask_b32_e32 v41, v48, v49, vcc
	v_cmp_eq_u32_e32 vcc, 2, v29
	s_nop 1
	v_cndmask_b32_e32 v41, v41, v44, vcc
	v_cmp_eq_u32_e32 vcc, 3, v29
	s_nop 1
	v_cndmask_b32_e32 v41, v41, v45, vcc
	v_mul_f32_e32 v40, v41, v40
	v_pk_mul_f32 v[20:21], v[40:41], v[20:21] op_sel_hi:[0,1]
	v_pk_mul_f32 v[34:35], v[40:41], v[34:35] op_sel_hi:[0,1]
	v_bfe_u32 v41, v21, 16, 1
	v_bfe_u32 v44, v20, 16, 1
	v_add3_u32 v20, v20, v44, s8
	v_add3_u32 v21, v21, v41, s8
	v_perm_b32 v44, v21, v20, s44
	v_bfe_u32 v20, v35, 16, 1
	v_bfe_u32 v21, v34, 16, 1
	v_add3_u32 v21, v34, v21, s8
	v_add3_u32 v20, v35, v20, s8
	v_perm_b32 v45, v20, v21, s44
	v_lshlrev_b32_e32 v20, 3, v42
	v_lshlrev_b32_e32 v21, 11, v29
	v_pk_mul_f32 v[22:23], v[40:41], v[22:23] op_sel_hi:[0,1]
	v_or3_b32 v20, v21, v27, v20
	v_bfe_u32 v21, v23, 16, 1
	v_bfe_u32 v29, v22, 16, 1
	v_pk_mul_f32 v[34:35], v[40:41], v[36:37] op_sel_hi:[0,1]
	v_add3_u32 v22, v22, v29, s8
	v_add3_u32 v21, v23, v21, s8
	v_perm_b32 v22, v21, v22, s44
	v_bfe_u32 v21, v35, 16, 1
	v_bfe_u32 v23, v34, 16, 1
	v_add3_u32 v23, v34, v23, s8
	v_add3_u32 v21, v35, v21, s8
	v_pk_mul_f32 v[30:31], v[40:41], v[30:31] op_sel_hi:[0,1]
	v_perm_b32 v23, v21, v23, s44
	v_bfe_u32 v21, v31, 16, 1
	v_bfe_u32 v29, v30, 16, 1
	ds_write2st64_b64 v20, v[44:45], v[22:23] offset1:1
	v_pk_mul_f32 v[22:23], v[40:41], v[32:33] op_sel_hi:[0,1]
	v_add3_u32 v29, v30, v29, s8
	v_add3_u32 v21, v31, v21, s8
	v_perm_b32 v30, v21, v29, s44
	v_bfe_u32 v21, v23, 16, 1
	v_bfe_u32 v29, v22, 16, 1
	v_add3_u32 v22, v22, v29, s8
	v_add3_u32 v21, v23, v21, s8
	v_perm_b32 v31, v21, v22, s44
	v_pk_mul_f32 v[22:23], v[40:41], v[24:25] op_sel_hi:[0,1]
	v_bfe_u32 v21, v23, 16, 1
	v_bfe_u32 v24, v22, 16, 1
	v_pk_mul_f32 v[18:19], v[40:41], v[18:19] op_sel_hi:[0,1]
	v_add3_u32 v22, v22, v24, s8
	v_add3_u32 v21, v23, v21, s8
	v_perm_b32 v22, v21, v22, s44
	v_bfe_u32 v21, v19, 16, 1
	v_bfe_u32 v23, v18, 16, 1
	v_add3_u32 v18, v18, v23, s8
	v_add3_u32 v19, v19, v21, s8
	v_perm_b32 v23, v19, v18, s44
	v_cmp_gt_u32_e32 vcc, 3, v0
	ds_write2st64_b64 v20, v[30:31], v[22:23] offset0:2 offset1:3
	s_and_saveexec_b64 s[4:5], vcc
	s_cbranch_execz .LBB1246_15
; %bb.14:
	s_mov_b32 s49, 0
	v_mov_b32_e32 v29, 0
	v_lshl_add_u64 v[18:19], s[48:49], 0, v[28:29]
	v_mov_b32_e32 v21, s7
	v_mad_u64_u32 v[18:19], s[10:11], s2, v21, v[18:19]
	s_mul_i32 s3, s3, s7
	v_mov_b32_e32 v28, s28
	s_load_dwordx4 s[12:15], s[0:1], 0x58
	v_add_u32_e32 v21, s3, v19
	v_mad_u64_u32 v[18:19], s[10:11], v18, s6, v[28:29]
	v_mov_b32_e32 v22, v19
	v_mad_u64_u32 v[22:23], s[10:11], v21, s6, v[22:23]
	v_mov_b32_e32 v19, v22
	v_lshlrev_b64 v[18:19], 2, v[18:19]
	s_waitcnt lgkmcnt(0)
	v_lshl_add_u64 v[22:23], s[14:15], 0, v[18:19]
	v_lshl_add_u64 v[18:19], s[12:13], 0, v[18:19]
	global_store_dword v[22:23], v38, off
	global_store_dword v[18:19], v39, off
.LBB1246_15:
	s_or_b64 exec, exec, s[4:5]
	s_waitcnt vmcnt(3)
	v_cvt_pk_f32_fp8_e32 v[18:19], v14
	v_cvt_pk_f32_fp8_sdwa v[22:23], v14 src0_sel:WORD_1
	s_mov_b32 s4, 0x7060302
	v_lshl_or_b32 v14, v42, 9, v27
	s_waitcnt lgkmcnt(0)
	s_barrier
	v_perm_b32 v18, v19, v18, s4
	v_perm_b32 v19, v23, v22, s4
	v_cvt_pk_f32_fp8_e32 v[28:29], v15
	ds_read_b128 v[22:25], v14
	v_cvt_pk_f32_fp8_sdwa v[36:37], v15 src0_sel:WORD_1
	s_load_dword s10, s[42:43], 0x0
	v_perm_b32 v38, v29, v28, s4
	ds_read_b128 v[28:31], v14 offset:16
	v_perm_b32 v39, v37, v36, s4
	s_waitcnt lgkmcnt(0)
	v_mfma_f32_16x16x16_bf16 v[32:35], v[18:19], v[22:23], 0
	v_cvt_pk_f32_fp8_e32 v[18:19], v16
	v_cvt_pk_f32_fp8_sdwa v[36:37], v16 src0_sel:WORD_1
	v_cmp_gt_u32_e32 vcc, 64, v0
	v_mfma_f32_16x16x16_bf16 v[22:25], v[38:39], v[24:25], v[32:35]
	v_perm_b32 v18, v19, v18, s4
	v_perm_b32 v19, v37, v36, s4
	s_waitcnt vmcnt(2)
	v_cvt_pk_f32_fp8_sdwa v[36:37], v10 src0_sel:WORD_1
	v_cvt_pk_f32_fp8_e32 v[32:33], v17
	v_cvt_pk_f32_fp8_sdwa v[16:17], v17 src0_sel:WORD_1
	v_cvt_pk_f32_fp8_e32 v[34:35], v10
	s_mov_b32 s3, 0
	v_perm_b32 v32, v33, v32, s4
	v_perm_b32 v33, v17, v16, s4
	v_mfma_f32_16x16x16_bf16 v[16:19], v[18:19], v[28:29], v[22:25]
	v_perm_b32 v34, v35, v34, s4
	v_perm_b32 v35, v37, v36, s4
	v_cvt_pk_f32_fp8_e32 v[28:29], v11
	ds_read_b128 v[22:25], v14 offset:2048
	v_cvt_pk_f32_fp8_sdwa v[10:11], v11 src0_sel:WORD_1
	v_mfma_f32_16x16x16_bf16 v[16:19], v[32:33], v[30:31], v[16:19]
	v_perm_b32 v32, v29, v28, s4
	ds_read_b128 v[28:31], v14 offset:2064
	v_perm_b32 v33, v11, v10, s4
	s_waitcnt lgkmcnt(1)
	v_mfma_f32_16x16x16_bf16 v[16:19], v[34:35], v[22:23], v[16:19]
	v_cvt_pk_f32_fp8_e32 v[10:11], v12
	v_cvt_pk_f32_fp8_sdwa v[22:23], v12 src0_sel:WORD_1
	v_mov_b32_e32 v27, 0
	v_mfma_f32_16x16x16_bf16 v[16:19], v[32:33], v[24:25], v[16:19]
	v_cvt_pk_f32_fp8_e32 v[24:25], v13
	v_perm_b32 v10, v11, v10, s4
	v_perm_b32 v11, v23, v22, s4
	v_cvt_pk_f32_fp8_sdwa v[12:13], v13 src0_sel:WORD_1
	v_perm_b32 v22, v25, v24, s4
	s_waitcnt vmcnt(1)
	v_cvt_pk_f32_fp8_e32 v[24:25], v6
	v_cvt_pk_f32_fp8_sdwa v[32:33], v6 src0_sel:WORD_1
	v_perm_b32 v23, v13, v12, s4
	s_waitcnt lgkmcnt(0)
	v_mfma_f32_16x16x16_bf16 v[10:13], v[10:11], v[28:29], v[16:19]
	v_perm_b32 v28, v25, v24, s4
	v_perm_b32 v29, v33, v32, s4
	v_cvt_pk_f32_fp8_e32 v[24:25], v7
	ds_read_b128 v[16:19], v14 offset:4096
	v_cvt_pk_f32_fp8_sdwa v[6:7], v7 src0_sel:WORD_1
	v_mfma_f32_16x16x16_bf16 v[10:13], v[22:23], v[30:31], v[10:13]
	v_perm_b32 v30, v25, v24, s4
	ds_read_b128 v[22:25], v14 offset:4112
	v_perm_b32 v31, v7, v6, s4
	s_waitcnt lgkmcnt(1)
	v_mfma_f32_16x16x16_bf16 v[10:13], v[28:29], v[16:17], v[10:13]
	v_cvt_pk_f32_fp8_e32 v[6:7], v8
	v_cvt_pk_f32_fp8_sdwa v[16:17], v8 src0_sel:WORD_1
	s_waitcnt vmcnt(0)
	v_cvt_pk_f32_fp8_sdwa v[28:29], v2 src0_sel:WORD_1
	v_mfma_f32_16x16x16_bf16 v[10:13], v[30:31], v[18:19], v[10:13]
	v_cvt_pk_f32_fp8_e32 v[18:19], v9
	v_perm_b32 v6, v7, v6, s4
	v_perm_b32 v7, v17, v16, s4
	v_cvt_pk_f32_fp8_sdwa v[8:9], v9 src0_sel:WORD_1
	v_perm_b32 v16, v19, v18, s4
	v_cvt_pk_f32_fp8_e32 v[18:19], v2
	v_perm_b32 v17, v9, v8, s4
	s_waitcnt lgkmcnt(0)
	v_mfma_f32_16x16x16_bf16 v[6:9], v[6:7], v[22:23], v[10:13]
	v_perm_b32 v18, v19, v18, s4
	v_perm_b32 v19, v29, v28, s4
	v_cvt_pk_f32_fp8_e32 v[22:23], v3
	ds_read_b128 v[10:13], v14 offset:6144
	v_cvt_pk_f32_fp8_sdwa v[2:3], v3 src0_sel:WORD_1
	v_mfma_f32_16x16x16_bf16 v[6:9], v[16:17], v[24:25], v[6:9]
	v_perm_b32 v22, v23, v22, s4
	ds_read_b128 v[14:17], v14 offset:6160
	v_perm_b32 v23, v3, v2, s4
	s_waitcnt lgkmcnt(1)
	v_mfma_f32_16x16x16_bf16 v[6:9], v[18:19], v[10:11], v[6:9]
	v_cvt_pk_f32_fp8_e32 v[2:3], v4
	v_cvt_pk_f32_fp8_sdwa v[10:11], v4 src0_sel:WORD_1
	s_waitcnt lgkmcnt(0)
	v_mfma_f32_16x16x16_bf16 v[6:9], v[22:23], v[12:13], v[6:9]
	v_perm_b32 v2, v3, v2, s4
	v_perm_b32 v3, v11, v10, s4
	v_cvt_pk_f32_fp8_e32 v[10:11], v5
	v_cvt_pk_f32_fp8_sdwa v[4:5], v5 src0_sel:WORD_1
	s_barrier
	v_perm_b32 v10, v11, v10, s4
	v_perm_b32 v11, v5, v4, s4
	v_mfma_f32_16x16x16_bf16 v[2:5], v[2:3], v[14:15], v[6:9]
	s_nop 0
	v_mfma_f32_16x16x16_bf16 v[2:5], v[10:11], v[16:17], v[2:5]
	s_nop 6
	v_pk_mul_f32 v[2:3], v[2:3], s[10:11] op_sel_hi:[1,0]
	v_pk_mul_f32 v[4:5], v[4:5], s[10:11] op_sel_hi:[1,0]
	v_bfe_u32 v6, v3, 16, 1
	v_bfe_u32 v7, v2, 16, 1
	v_add3_u32 v2, v2, v7, s8
	v_add3_u32 v3, v3, v6, s8
	v_perm_b32 v2, v3, v2, s4
	v_bfe_u32 v3, v5, 16, 1
	v_bfe_u32 v6, v4, 16, 1
	v_add3_u32 v4, v4, v6, s8
	v_add3_u32 v3, v5, v3, s8
	v_perm_b32 v3, v3, v4, s4
	v_cmp_ne_u32_e64 s[4:5], 3, v42
	s_and_b64 s[4:5], s[4:5], vcc
	s_and_b64 s[4:5], s[4:5], s[30:31]
	ds_write_b64 v20, v[2:3]
	s_waitcnt lgkmcnt(0)
	s_barrier
	s_and_saveexec_b64 s[8:9], s[4:5]
	s_cbranch_execz .LBB1246_17
; %bb.16:
	s_load_dwordx2 s[0:1], s[0:1], 0x68
	s_mul_i32 s2, s7, s2
	s_lshl_b32 s6, s6, 6
	s_mul_hi_u32 s5, s2, s6
	s_mul_i32 s4, s2, s6
	v_lshlrev_b32_e32 v0, 10, v0
	s_lshl_b64 s[4:5], s[4:5], 1
	v_and_b32_e32 v0, 0x1800, v0
	v_lshlrev_b32_e32 v2, 5, v42
	v_and_b32_e32 v3, 16, v43
	s_waitcnt lgkmcnt(0)
	s_add_u32 s4, s0, s4
	v_or3_b32 v0, v0, v2, v3
	s_addc_u32 s5, s1, s5
	s_lshl_b32 s2, s28, 6
	ds_read_b128 v[2:5], v0
	s_lshl_b64 s[0:1], s[2:3], 1
	s_add_u32 s0, s4, s0
	s_addc_u32 s1, s5, s1
	v_mad_u64_u32 v[0:1], s[2:3], s6, v1, 0
	v_lshl_add_u64 v[0:1], v[0:1], 1, s[0:1]
	v_lshl_add_u64 v[0:1], v[0:1], 0, v[26:27]
	s_waitcnt lgkmcnt(0)
	global_store_dwordx4 v[0:1], v[2:5], off
.LBB1246_17:
	s_endpgm
	.section	.rodata,"a",@progbits
	.p2align	6, 0x0
	.amdhsa_kernel _Z39paged_attention_ll4mi_QKV_mfma16_kernelI14__hip_bfloat16hLN4vllm18Fp8KVCacheDataTypeE1ES0_Li32ELi64ELi256ELb0ELi3EEvPKT_PKT0_S8_ifPKiSA_SA_iPKfiiiPfSD_PS3_PT2_iSC_SC_
		.amdhsa_group_segment_fixed_size 8192
		.amdhsa_private_segment_fixed_size 0
		.amdhsa_kernarg_size 400
		.amdhsa_user_sgpr_count 2
		.amdhsa_user_sgpr_dispatch_ptr 0
		.amdhsa_user_sgpr_queue_ptr 0
		.amdhsa_user_sgpr_kernarg_segment_ptr 1
		.amdhsa_user_sgpr_dispatch_id 0
		.amdhsa_user_sgpr_kernarg_preload_length 0
		.amdhsa_user_sgpr_kernarg_preload_offset 0
		.amdhsa_user_sgpr_private_segment_size 0
		.amdhsa_uses_dynamic_stack 0
		.amdhsa_enable_private_segment 0
		.amdhsa_system_sgpr_workgroup_id_x 1
		.amdhsa_system_sgpr_workgroup_id_y 1
		.amdhsa_system_sgpr_workgroup_id_z 1
		.amdhsa_system_sgpr_workgroup_info 0
		.amdhsa_system_vgpr_workitem_id 0
		.amdhsa_next_free_vgpr 54
		.amdhsa_next_free_sgpr 50
		.amdhsa_accum_offset 56
		.amdhsa_reserve_vcc 1
		.amdhsa_float_round_mode_32 0
		.amdhsa_float_round_mode_16_64 0
		.amdhsa_float_denorm_mode_32 3
		.amdhsa_float_denorm_mode_16_64 3
		.amdhsa_dx10_clamp 1
		.amdhsa_ieee_mode 1
		.amdhsa_fp16_overflow 0
		.amdhsa_tg_split 0
		.amdhsa_exception_fp_ieee_invalid_op 0
		.amdhsa_exception_fp_denorm_src 0
		.amdhsa_exception_fp_ieee_div_zero 0
		.amdhsa_exception_fp_ieee_overflow 0
		.amdhsa_exception_fp_ieee_underflow 0
		.amdhsa_exception_fp_ieee_inexact 0
		.amdhsa_exception_int_div_zero 0
	.end_amdhsa_kernel
	.section	.text._Z39paged_attention_ll4mi_QKV_mfma16_kernelI14__hip_bfloat16hLN4vllm18Fp8KVCacheDataTypeE1ES0_Li32ELi64ELi256ELb0ELi3EEvPKT_PKT0_S8_ifPKiSA_SA_iPKfiiiPfSD_PS3_PT2_iSC_SC_,"axG",@progbits,_Z39paged_attention_ll4mi_QKV_mfma16_kernelI14__hip_bfloat16hLN4vllm18Fp8KVCacheDataTypeE1ES0_Li32ELi64ELi256ELb0ELi3EEvPKT_PKT0_S8_ifPKiSA_SA_iPKfiiiPfSD_PS3_PT2_iSC_SC_,comdat
.Lfunc_end1246:
	.size	_Z39paged_attention_ll4mi_QKV_mfma16_kernelI14__hip_bfloat16hLN4vllm18Fp8KVCacheDataTypeE1ES0_Li32ELi64ELi256ELb0ELi3EEvPKT_PKT0_S8_ifPKiSA_SA_iPKfiiiPfSD_PS3_PT2_iSC_SC_, .Lfunc_end1246-_Z39paged_attention_ll4mi_QKV_mfma16_kernelI14__hip_bfloat16hLN4vllm18Fp8KVCacheDataTypeE1ES0_Li32ELi64ELi256ELb0ELi3EEvPKT_PKT0_S8_ifPKiSA_SA_iPKfiiiPfSD_PS3_PT2_iSC_SC_
                                        ; -- End function
	.section	.AMDGPU.csdata,"",@progbits
; Kernel info:
; codeLenInByte = 4876
; NumSgprs: 56
; NumVgprs: 54
; NumAgprs: 0
; TotalNumVgprs: 54
; ScratchSize: 0
; MemoryBound: 0
; FloatMode: 240
; IeeeMode: 1
; LDSByteSize: 8192 bytes/workgroup (compile time only)
; SGPRBlocks: 6
; VGPRBlocks: 6
; NumSGPRsForWavesPerEU: 56
; NumVGPRsForWavesPerEU: 54
; AccumOffset: 56
; Occupancy: 8
; WaveLimiterHint : 1
; COMPUTE_PGM_RSRC2:SCRATCH_EN: 0
; COMPUTE_PGM_RSRC2:USER_SGPR: 2
; COMPUTE_PGM_RSRC2:TRAP_HANDLER: 0
; COMPUTE_PGM_RSRC2:TGID_X_EN: 1
; COMPUTE_PGM_RSRC2:TGID_Y_EN: 1
; COMPUTE_PGM_RSRC2:TGID_Z_EN: 1
; COMPUTE_PGM_RSRC2:TIDIG_COMP_CNT: 0
; COMPUTE_PGM_RSRC3_GFX90A:ACCUM_OFFSET: 13
; COMPUTE_PGM_RSRC3_GFX90A:TG_SPLIT: 0
	.section	.text._Z39paged_attention_ll4mi_QKV_mfma16_kernelI14__hip_bfloat16hLN4vllm18Fp8KVCacheDataTypeE1ES0_Li32ELi64ELi256ELb0ELi4EEvPKT_PKT0_S8_ifPKiSA_SA_iPKfiiiPfSD_PS3_PT2_iSC_SC_,"axG",@progbits,_Z39paged_attention_ll4mi_QKV_mfma16_kernelI14__hip_bfloat16hLN4vllm18Fp8KVCacheDataTypeE1ES0_Li32ELi64ELi256ELb0ELi4EEvPKT_PKT0_S8_ifPKiSA_SA_iPKfiiiPfSD_PS3_PT2_iSC_SC_,comdat
	.protected	_Z39paged_attention_ll4mi_QKV_mfma16_kernelI14__hip_bfloat16hLN4vllm18Fp8KVCacheDataTypeE1ES0_Li32ELi64ELi256ELb0ELi4EEvPKT_PKT0_S8_ifPKiSA_SA_iPKfiiiPfSD_PS3_PT2_iSC_SC_ ; -- Begin function _Z39paged_attention_ll4mi_QKV_mfma16_kernelI14__hip_bfloat16hLN4vllm18Fp8KVCacheDataTypeE1ES0_Li32ELi64ELi256ELb0ELi4EEvPKT_PKT0_S8_ifPKiSA_SA_iPKfiiiPfSD_PS3_PT2_iSC_SC_
	.globl	_Z39paged_attention_ll4mi_QKV_mfma16_kernelI14__hip_bfloat16hLN4vllm18Fp8KVCacheDataTypeE1ES0_Li32ELi64ELi256ELb0ELi4EEvPKT_PKT0_S8_ifPKiSA_SA_iPKfiiiPfSD_PS3_PT2_iSC_SC_
	.p2align	8
	.type	_Z39paged_attention_ll4mi_QKV_mfma16_kernelI14__hip_bfloat16hLN4vllm18Fp8KVCacheDataTypeE1ES0_Li32ELi64ELi256ELb0ELi4EEvPKT_PKT0_S8_ifPKiSA_SA_iPKfiiiPfSD_PS3_PT2_iSC_SC_,@function
_Z39paged_attention_ll4mi_QKV_mfma16_kernelI14__hip_bfloat16hLN4vllm18Fp8KVCacheDataTypeE1ES0_Li32ELi64ELi256ELb0ELi4EEvPKT_PKT0_S8_ifPKiSA_SA_iPKfiiiPfSD_PS3_PT2_iSC_SC_: ; @_Z39paged_attention_ll4mi_QKV_mfma16_kernelI14__hip_bfloat16hLN4vllm18Fp8KVCacheDataTypeE1ES0_Li32ELi64ELi256ELb0ELi4EEvPKT_PKT0_S8_ifPKiSA_SA_iPKfiiiPfSD_PS3_PT2_iSC_SC_
; %bb.0:
	s_load_dwordx2 s[6:7], s[0:1], 0x30
	s_mov_b32 s22, s3
	s_mov_b64 s[8:9], 0
	s_waitcnt lgkmcnt(0)
	s_cmp_lg_u64 s[6:7], 0
	s_cselect_b64 s[14:15], -1, 0
	s_and_b64 vcc, exec, s[14:15]
	s_cbranch_vccz .LBB1247_7
; %bb.1:
	s_add_i32 s10, s2, 1
	s_mov_b32 s11, 0
	s_lshl_b64 s[12:13], s[10:11], 2
	s_add_u32 s12, s6, s12
	s_mov_b32 s3, s11
	s_addc_u32 s13, s7, s13
	s_lshl_b64 s[10:11], s[2:3], 2
	s_add_u32 s10, s6, s10
	s_addc_u32 s11, s7, s11
	s_load_dword s5, s[12:13], 0x0
	s_load_dword s16, s[10:11], 0x0
	s_waitcnt lgkmcnt(0)
	s_sub_i32 s5, s5, s16
	s_cmp_eq_u32 s5, 1
	s_cselect_b64 s[10:11], -1, 0
	s_andn2_b64 vcc, exec, s[8:9]
	s_cbranch_vccnz .LBB1247_3
.LBB1247_2:
	s_mov_b32 s3, 0
	s_mov_b64 s[10:11], -1
.LBB1247_3:
	s_andn2_b64 vcc, exec, s[10:11]
	s_cbranch_vccnz .LBB1247_17
; %bb.4:
	s_load_dwordx2 s[8:9], s[0:1], 0x28
	s_lshl_b64 s[16:17], s[2:3], 2
	s_waitcnt lgkmcnt(0)
	s_add_u32 s8, s8, s16
	s_addc_u32 s9, s9, s17
	s_load_dword s5, s[8:9], 0x0
	s_lshl_b32 s18, s22, 8
	s_waitcnt lgkmcnt(0)
	s_cmp_ge_i32 s18, s5
	s_cbranch_scc1 .LBB1247_17
; %bb.5:
	s_load_dwordx2 s[8:9], s[0:1], 0x20
	s_load_dword s10, s[0:1], 0x38
	s_add_i32 s11, s5, 31
	s_ashr_i32 s12, s11, 31
	v_and_b32_e32 v1, 0xcf, v0
	s_lshr_b32 s12, s12, 27
	v_add_u32_e32 v1, s18, v1
	s_add_i32 s11, s11, s12
	v_ashrrev_i32_e32 v2, 31, v1
	s_ashr_i32 s19, s11, 5
	v_lshrrev_b32_e32 v4, 27, v2
	s_add_i32 s19, s19, -1
	s_waitcnt lgkmcnt(0)
	s_mul_i32 s10, s2, s10
	s_mov_b32 s11, 0
	v_add_u32_e32 v2, v1, v4
	s_lshl_b64 s[10:11], s[10:11], 2
	v_ashrrev_i32_e32 v2, 5, v2
	v_mov_b32_e32 v5, s19
	v_cmp_gt_i32_e32 vcc, s5, v1
	s_add_u32 s12, s8, s10
	s_addc_u32 s13, s9, s11
	v_cndmask_b32_e32 v2, v5, v2, vcc
	v_ashrrev_i32_e32 v3, 31, v2
	v_lshl_add_u64 v[6:7], v[2:3], 2, s[12:13]
	v_or_b32_e32 v2, 16, v1
	v_add_u32_e32 v3, v2, v4
	v_ashrrev_i32_e32 v3, 5, v3
	v_cmp_gt_i32_e32 vcc, s5, v2
	s_load_dwordx4 s[8:11], s[0:1], 0x8
	s_nop 0
	v_cndmask_b32_e32 v2, v5, v3, vcc
	v_ashrrev_i32_e32 v3, 31, v2
	v_lshl_add_u64 v[8:9], v[2:3], 2, s[12:13]
	v_or_b32_e32 v2, 32, v1
	v_add_u32_e32 v3, v2, v4
	v_ashrrev_i32_e32 v3, 5, v3
	v_cmp_gt_i32_e32 vcc, s5, v2
	v_or_b32_e32 v1, 48, v1
	s_nop 0
	v_cndmask_b32_e32 v2, v5, v3, vcc
	v_ashrrev_i32_e32 v3, 31, v2
	v_lshl_add_u64 v[10:11], v[2:3], 2, s[12:13]
	v_add_u32_e32 v2, v1, v4
	v_ashrrev_i32_e32 v2, 5, v2
	v_cmp_gt_i32_e32 vcc, s5, v1
	s_nop 1
	v_cndmask_b32_e32 v2, v5, v2, vcc
	v_ashrrev_i32_e32 v3, 31, v2
	v_lshl_add_u64 v[12:13], v[2:3], 2, s[12:13]
	global_load_dword v2, v[6:7], off
	global_load_dword v5, v[8:9], off
	;; [unrolled: 1-line block ×4, first 2 shown]
	s_andn2_b64 vcc, exec, s[14:15]
	s_cbranch_vccnz .LBB1247_8
; %bb.6:
	s_add_u32 s6, s6, s16
	s_addc_u32 s7, s7, s17
	s_load_dword s14, s[6:7], 0x0
	s_branch .LBB1247_9
.LBB1247_7:
	s_mov_b64 s[10:11], 0
	s_branch .LBB1247_2
.LBB1247_8:
	s_mov_b32 s14, s2
.LBB1247_9:
	s_load_dwordx4 s[44:47], s[0:1], 0x48
	v_and_b32_e32 v45, 15, v0
	v_bfe_u32 v42, v0, 4, 2
	s_lshl_b32 s23, s4, 2
	v_lshlrev_b32_e32 v3, 3, v45
	v_cmp_gt_u32_e32 vcc, 64, v0
	v_cmp_gt_u32_e64 s[6:7], 8, v45
	v_lshrrev_b32_e32 v43, 6, v0
	v_and_b32_e32 v44, 63, v0
	v_or_b32_e32 v1, s23, v42
	s_and_b64 s[48:49], vcc, s[6:7]
	v_lshlrev_b32_e32 v26, 1, v3
	v_lshlrev_b32_e32 v40, 5, v42
	;; [unrolled: 1-line block ×3, first 2 shown]
	s_and_saveexec_b64 s[6:7], s[48:49]
	s_cbranch_execz .LBB1247_11
; %bb.10:
	s_load_dwordx2 s[16:17], s[0:1], 0x0
	s_waitcnt lgkmcnt(0)
	s_ashr_i32 s15, s44, 31
	s_mul_hi_u32 s20, s14, s44
	s_mul_i32 s15, s14, s15
	s_add_i32 s15, s20, s15
	s_mul_i32 s14, s14, s44
	s_lshl_b64 s[14:15], s[14:15], 1
	s_add_u32 s14, s16, s14
	v_lshlrev_b32_e32 v6, 6, v1
	s_addc_u32 s15, s17, s15
	v_ashrrev_i32_e32 v7, 31, v6
	v_lshl_add_u64 v[6:7], v[6:7], 1, s[14:15]
	v_mov_b32_e32 v27, 0
	v_lshl_add_u64 v[6:7], v[6:7], 0, v[26:27]
	global_load_dwordx4 v[6:9], v[6:7], off
	v_lshlrev_b32_e32 v11, 8, v45
	v_lshl_or_b32 v3, v43, 7, v40
	v_and_b32_e32 v10, 16, v41
	v_and_b32_e32 v11, 0xe00, v11
	v_or3_b32 v3, v11, v3, v10
	s_waitcnt vmcnt(0)
	ds_write_b128 v3, v[6:9]
.LBB1247_11:
	s_or_b64 exec, exec, s[6:7]
	s_waitcnt lgkmcnt(0)
	s_mul_i32 s4, s4, s46
	s_add_u32 s6, s8, s4
	s_addc_u32 s7, s9, 0
	v_mov_b32_e32 v29, 0
	v_mov_b64_e32 v[18:19], s[6:7]
	v_and_b32_e32 v8, 48, v0
	s_waitcnt vmcnt(3)
	v_mad_i64_i32 v[6:7], s[6:7], v2, s45, v[18:19]
	v_lshlrev_b32_e32 v2, 4, v45
	v_mov_b32_e32 v3, v29
	v_lshlrev_b32_e32 v28, 5, v8
	v_lshl_add_u64 v[6:7], v[6:7], 0, v[2:3]
	v_lshl_add_u64 v[6:7], v[6:7], 0, v[28:29]
	s_load_dword s33, s[0:1], 0x98
	s_load_dwordx4 s[40:43], s[0:1], 0x80
	s_waitcnt lgkmcnt(0)
	s_barrier
	global_load_dwordx4 v[10:13], v[6:7], off
	s_waitcnt vmcnt(3)
	v_mad_i64_i32 v[6:7], s[6:7], v5, s45, v[18:19]
	v_or_b32_e32 v30, 0x100, v2
	v_mov_b32_e32 v31, v29
	v_lshl_add_u64 v[6:7], v[6:7], 0, v[30:31]
	v_lshl_add_u64 v[6:7], v[6:7], 0, v[28:29]
	global_load_dwordx4 v[14:17], v[6:7], off
	s_ashr_i32 s6, s18, 31
	v_or_b32_e32 v21, s18, v8
	s_lshr_b32 s8, s6, 27
	v_add_u32_e32 v5, s8, v21
	v_ashrrev_i32_e32 v5, 5, v5
	v_mov_b32_e32 v33, s19
	v_cmp_gt_i32_e32 vcc, s5, v21
	v_or_b32_e32 v34, 64, v21
	v_or_b32_e32 v35, 0x80, v21
	v_cndmask_b32_e32 v8, v33, v5, vcc
	v_and_b32_e32 v5, 3, v0
	v_lshlrev_b32_e32 v5, 5, v5
	v_lshl_or_b32 v32, v42, 9, v5
	s_waitcnt vmcnt(3)
	v_mad_i64_i32 v[4:5], s[6:7], v4, s45, v[18:19]
	v_lshl_add_u64 v[2:3], v[4:5], 0, v[2:3]
	v_lshl_add_u64 v[2:3], v[2:3], 0, v[28:29]
	global_load_dwordx4 v[22:25], v[2:3], off
	v_ashrrev_i32_e32 v9, 31, v8
	v_lshl_add_u64 v[8:9], v[8:9], 2, s[12:13]
	s_waitcnt vmcnt(3)
	v_mad_i64_i32 v[18:19], s[6:7], v20, s45, v[18:19]
	v_add_u32_e32 v20, s8, v34
	global_load_dword v49, v[8:9], off
	ds_read_b128 v[6:9], v32
	ds_read_b128 v[2:5], v32 offset:16
	v_add_u32_e32 v32, s8, v35
	v_lshl_add_u64 v[18:19], v[18:19], 0, v[30:31]
	v_ashrrev_i32_e32 v20, 5, v20
	v_cmp_gt_i32_e32 vcc, s5, v34
	v_or_b32_e32 v21, 0xc0, v21
	v_ashrrev_i32_e32 v31, 5, v32
	v_lshl_add_u64 v[18:19], v[18:19], 0, v[28:29]
	v_cndmask_b32_e32 v30, v33, v20, vcc
	v_cmp_gt_i32_e32 vcc, s5, v35
	v_add_u32_e32 v36, s8, v21
	v_ashrrev_i32_e32 v36, 5, v36
	v_cndmask_b32_e32 v32, v33, v31, vcc
	v_cmp_gt_i32_e32 vcc, s5, v21
	global_load_dwordx4 v[18:21], v[18:19], off
	v_ashrrev_i32_e32 v31, 31, v30
	v_cndmask_b32_e32 v34, v33, v36, vcc
	v_ashrrev_i32_e32 v33, 31, v32
	v_ashrrev_i32_e32 v35, 31, v34
	v_lshl_add_u64 v[30:31], v[30:31], 2, s[12:13]
	v_lshl_add_u64 v[32:33], v[32:33], 2, s[12:13]
	;; [unrolled: 1-line block ×3, first 2 shown]
	global_load_dword v48, v[30:31], off
	global_load_dword v46, v[32:33], off
	;; [unrolled: 1-line block ×3, first 2 shown]
	s_mov_b32 s44, 0x7060302
	s_add_u32 s6, s10, s4
	v_lshlrev_b32_e32 v27, 5, v45
	s_addc_u32 s7, s11, 0
	v_and_b32_e32 v28, 16, v0
	v_lshl_add_u64 v[36:37], s[6:7], 0, v[28:29]
	v_lshl_or_b32 v28, v43, 9, v27
	v_lshl_add_u64 v[28:29], v[36:37], 0, v[28:29]
	s_load_dword s9, s[0:1], 0x1c
	s_load_dword s4, s[40:41], 0x0
	s_mov_b32 s40, 0xff7fffff
	s_waitcnt vmcnt(7)
	v_cvt_pk_f32_fp8_e32 v[30:31], v10
	v_cvt_pk_f32_fp8_sdwa v[32:33], v10 src0_sel:WORD_1
	v_cvt_pk_f32_fp8_e32 v[34:35], v11
	v_cvt_pk_f32_fp8_sdwa v[10:11], v11 src0_sel:WORD_1
	v_perm_b32 v30, v31, v30, s44
	v_perm_b32 v31, v33, v32, s44
	v_cvt_pk_f32_fp8_e32 v[36:37], v12
	v_cvt_pk_f32_fp8_sdwa v[38:39], v12 src0_sel:WORD_1
	v_perm_b32 v34, v35, v34, s44
	v_perm_b32 v35, v11, v10, s44
	s_waitcnt lgkmcnt(0)
	v_mfma_f32_16x16x16_bf16 v[30:33], v[30:31], v[6:7], 0
	v_cvt_pk_f32_fp8_e32 v[50:51], v13
	v_cvt_pk_f32_fp8_sdwa v[12:13], v13 src0_sel:WORD_1
	v_perm_b32 v36, v37, v36, s44
	v_perm_b32 v37, v39, v38, s44
	v_mfma_f32_16x16x16_bf16 v[30:33], v[34:35], v[8:9], v[30:33]
	v_perm_b32 v34, v51, v50, s44
	v_perm_b32 v35, v13, v12, s44
	s_waitcnt vmcnt(6)
	v_cvt_pk_f32_fp8_e32 v[12:13], v14
	v_mfma_f32_16x16x16_bf16 v[30:33], v[36:37], v[2:3], v[30:33]
	v_cvt_pk_f32_fp8_sdwa v[36:37], v14 src0_sel:WORD_1
	v_cvt_pk_f32_fp8_sdwa v[38:39], v16 src0_sel:WORD_1
	v_perm_b32 v12, v13, v12, s44
	v_mfma_f32_16x16x16_bf16 v[30:33], v[34:35], v[4:5], v[30:33]
	v_cvt_pk_f32_fp8_e32 v[34:35], v15
	v_perm_b32 v13, v37, v36, s44
	v_cvt_pk_f32_fp8_sdwa v[14:15], v15 src0_sel:WORD_1
	v_cvt_pk_f32_fp8_e32 v[36:37], v16
	v_perm_b32 v34, v35, v34, s44
	s_waitcnt vmcnt(5)
	v_cvt_pk_f32_fp8_e32 v[50:51], v24
	v_perm_b32 v35, v15, v14, s44
	v_mfma_f32_16x16x16_bf16 v[12:15], v[12:13], v[6:7], 0
	v_perm_b32 v36, v37, v36, s44
	v_perm_b32 v37, v39, v38, s44
	v_cvt_pk_f32_fp8_e32 v[38:39], v17
	v_cvt_pk_f32_fp8_sdwa v[16:17], v17 src0_sel:WORD_1
	v_mfma_f32_16x16x16_bf16 v[12:15], v[34:35], v[8:9], v[12:15]
	v_cvt_pk_f32_fp8_sdwa v[52:53], v24 src0_sel:WORD_1
	v_perm_b32 v34, v39, v38, s44
	v_perm_b32 v35, v17, v16, s44
	v_mfma_f32_16x16x16_bf16 v[12:15], v[36:37], v[2:3], v[12:15]
	v_cvt_pk_f32_fp8_e32 v[16:17], v22
	v_cvt_pk_f32_fp8_sdwa v[36:37], v22 src0_sel:WORD_1
	s_waitcnt vmcnt(4)
	v_mad_i64_i32 v[10:11], s[6:7], v49, s45, v[28:29]
	v_mfma_f32_16x16x16_bf16 v[12:15], v[34:35], v[4:5], v[12:15]
	v_cvt_pk_f32_fp8_e32 v[34:35], v23
	v_perm_b32 v16, v17, v16, s44
	v_perm_b32 v17, v37, v36, s44
	v_cvt_pk_f32_fp8_sdwa v[22:23], v23 src0_sel:WORD_1
	v_perm_b32 v38, v35, v34, s44
	v_mfma_f32_16x16x16_bf16 v[34:37], v[16:17], v[6:7], 0
	v_perm_b32 v39, v23, v22, s44
	v_perm_b32 v16, v51, v50, s44
	;; [unrolled: 1-line block ×3, first 2 shown]
	v_cvt_pk_f32_fp8_e32 v[50:51], v25
	v_cvt_pk_f32_fp8_sdwa v[24:25], v25 src0_sel:WORD_1
	v_mfma_f32_16x16x16_bf16 v[34:37], v[38:39], v[8:9], v[34:37]
	v_mov_b32_e32 v49, s9
	v_mul_f32_e32 v54, s4, v49
	v_perm_b32 v39, v25, v24, s44
	v_mfma_f32_16x16x16_bf16 v[34:37], v[16:17], v[2:3], v[34:37]
	s_waitcnt vmcnt(3)
	v_cvt_pk_f32_fp8_e32 v[16:17], v18
	v_cvt_pk_f32_fp8_sdwa v[24:25], v18 src0_sel:WORD_1
	v_perm_b32 v38, v51, v50, s44
	v_pk_mul_f32 v[22:23], v[54:55], v[32:33] op_sel_hi:[0,1]
	v_pk_mul_f32 v[32:33], v[54:55], v[30:31] op_sel_hi:[0,1]
	v_cvt_pk_f32_fp8_e32 v[30:31], v19
	v_perm_b32 v16, v17, v16, s44
	v_perm_b32 v17, v25, v24, s44
	v_cvt_pk_f32_fp8_sdwa v[18:19], v19 src0_sel:WORD_1
	v_mfma_f32_16x16x16_bf16 v[50:53], v[38:39], v[4:5], v[34:37]
	v_perm_b32 v24, v31, v30, s44
	v_cvt_pk_f32_fp8_e32 v[30:31], v20
	v_perm_b32 v25, v19, v18, s44
	v_cvt_pk_f32_fp8_sdwa v[34:35], v20 src0_sel:WORD_1
	v_mfma_f32_16x16x16_bf16 v[16:19], v[16:17], v[6:7], 0
	v_perm_b32 v30, v31, v30, s44
	v_cvt_pk_f32_fp8_e32 v[36:37], v21
	v_perm_b32 v31, v35, v34, s44
	v_cvt_pk_f32_fp8_sdwa v[20:21], v21 src0_sel:WORD_1
	v_mfma_f32_16x16x16_bf16 v[6:9], v[24:25], v[8:9], v[16:19]
	v_pk_mul_f32 v[34:35], v[54:55], v[14:15] op_sel_hi:[0,1]
	v_perm_b32 v14, v37, v36, s44
	v_perm_b32 v15, v21, v20, s44
	v_mfma_f32_16x16x16_bf16 v[6:9], v[30:31], v[2:3], v[6:9]
	v_pk_mul_f32 v[38:39], v[54:55], v[12:13] op_sel_hi:[0,1]
	v_pk_mul_f32 v[36:37], v[54:55], v[50:51] op_sel_hi:[0,1]
	;; [unrolled: 1-line block ×3, first 2 shown]
	v_mfma_f32_16x16x16_bf16 v[2:5], v[14:15], v[4:5], v[6:9]
	s_nop 6
	v_pk_mul_f32 v[24:25], v[54:55], v[2:3] op_sel_hi:[0,1]
	v_and_b32_e32 v2, 0xc0, v0
	v_add_u32_e32 v2, s18, v2
	v_lshl_or_b32 v2, v42, 2, v2
	v_pk_mul_f32 v[18:19], v[54:55], v[4:5] op_sel_hi:[0,1]
	v_or_b32_e32 v5, 1, v2
	v_mov_b32_e32 v3, 0xff7fffff
	v_cmp_gt_i32_e64 s[24:25], s5, v2
	v_cmp_gt_i32_e64 s[26:27], s5, v5
	v_or_b32_e32 v6, 3, v2
	v_cndmask_b32_e64 v4, v3, v32, s[24:25]
	v_cndmask_b32_e64 v5, v3, v33, s[26:27]
	v_max3_f32 v4, v4, s40, v5
	v_or_b32_e32 v5, 2, v2
	v_cmp_gt_i32_e64 s[28:29], s5, v5
	v_cmp_gt_i32_e64 s[30:31], s5, v6
	s_nop 0
	v_cndmask_b32_e64 v5, v3, v22, s[28:29]
	v_cndmask_b32_e64 v6, v3, v23, s[30:31]
	v_max3_f32 v4, v4, v5, v6
	v_or_b32_e32 v5, 16, v2
	v_or_b32_e32 v6, 17, v2
	v_cmp_gt_i32_e64 s[34:35], s5, v5
	v_cmp_gt_i32_e64 s[36:37], s5, v6
	s_nop 0
	v_cndmask_b32_e64 v5, v3, v38, s[34:35]
	v_cndmask_b32_e64 v6, v3, v39, s[36:37]
	v_max3_f32 v4, v4, v5, v6
	v_or_b32_e32 v5, 18, v2
	;; [unrolled: 8-line block ×6, first 2 shown]
	v_or_b32_e32 v2, 51, v2
	v_cmp_gt_i32_e32 vcc, s5, v5
	v_cmp_gt_i32_e64 s[4:5], s5, v2
	s_nop 0
	v_cndmask_b32_e32 v5, v3, v18, vcc
	v_cndmask_b32_e64 v2, v3, v19, s[4:5]
	v_max3_f32 v4, v4, v5, v2
	v_mbcnt_lo_u32_b32 v2, -1, 0
	v_mbcnt_hi_u32_b32 v5, -1, v2
	v_and_b32_e32 v2, 64, v5
	v_add_u32_e32 v6, 64, v2
	v_xor_b32_e32 v2, 32, v5
	v_cmp_lt_i32_e64 s[38:39], v2, v6
	s_nop 1
	v_cndmask_b32_e64 v2, v5, v2, s[38:39]
	v_lshlrev_b32_e32 v49, 2, v2
	ds_bpermute_b32 v7, v49, v4
	s_waitcnt vmcnt(2)
	v_mad_i64_i32 v[2:3], s[38:39], v48, s45, v[28:29]
	global_load_dwordx4 v[14:17], v[10:11], off
	s_nop 0
	global_load_dwordx4 v[10:13], v[2:3], off
	s_waitcnt lgkmcnt(0)
	v_max_f32_e32 v2, v7, v7
	v_max_f32_e32 v7, v4, v2
	v_xor_b32_e32 v2, 16, v5
	v_cmp_lt_i32_e64 s[38:39], v2, v6
	s_nop 1
	v_cndmask_b32_e64 v2, v5, v2, s[38:39]
	v_lshlrev_b32_e32 v48, 2, v2
	ds_bpermute_b32 v6, v48, v7
	s_waitcnt vmcnt(3)
	v_mad_i64_i32 v[2:3], s[38:39], v46, s45, v[28:29]
	s_waitcnt vmcnt(2)
	v_mad_i64_i32 v[4:5], s[38:39], v47, s45, v[28:29]
	s_waitcnt lgkmcnt(0)
	v_max_f32_e32 v6, v6, v6
	v_max_f32_e32 v46, v7, v6
	v_sub_f32_e32 v6, v32, v46
	v_mul_f32_e32 v6, 0x3fb8aa3b, v6
	v_exp_f32_e32 v20, v6
	v_sub_f32_e32 v6, v33, v46
	v_mul_f32_e32 v6, 0x3fb8aa3b, v6
	v_exp_f32_e32 v21, v6
	global_load_dwordx4 v[6:9], v[2:3], off
	s_nop 0
	global_load_dwordx4 v[2:5], v[4:5], off
	v_sub_f32_e32 v22, v22, v46
	v_mul_f32_e32 v22, 0x3fb8aa3b, v22
	v_sub_f32_e32 v23, v23, v46
	v_exp_f32_e32 v22, v22
	v_mul_f32_e32 v23, 0x3fb8aa3b, v23
	v_exp_f32_e32 v23, v23
	v_cndmask_b32_e64 v20, 0, v20, s[24:25]
	v_add_f32_e32 v28, 0, v20
	v_cndmask_b32_e64 v21, 0, v21, s[26:27]
	v_add_f32_e32 v28, v28, v21
	;; [unrolled: 2-line block ×3, first 2 shown]
	v_cndmask_b32_e64 v33, 0, v23, s[30:31]
	v_sub_f32_e32 v23, v38, v46
	v_sub_f32_e32 v28, v39, v46
	v_mul_f32_e32 v23, 0x3fb8aa3b, v23
	v_mul_f32_e32 v28, 0x3fb8aa3b, v28
	v_exp_f32_e32 v23, v23
	v_exp_f32_e32 v28, v28
	v_add_f32_e32 v29, v22, v33
	v_sub_f32_e32 v30, v30, v46
	v_cndmask_b32_e64 v22, 0, v23, s[34:35]
	v_cndmask_b32_e64 v23, 0, v28, s[36:37]
	v_sub_f32_e32 v28, v34, v46
	v_mul_f32_e32 v28, 0x3fb8aa3b, v28
	v_exp_f32_e32 v28, v28
	v_sub_f32_e32 v34, v35, v46
	v_add_f32_e32 v29, v29, v22
	v_mul_f32_e32 v34, 0x3fb8aa3b, v34
	v_exp_f32_e32 v35, v34
	v_add_f32_e32 v29, v29, v23
	v_cndmask_b32_e64 v34, 0, v28, s[18:19]
	v_add_f32_e32 v28, v29, v34
	v_sub_f32_e32 v29, v36, v46
	v_mul_f32_e32 v29, 0x3fb8aa3b, v29
	v_sub_f32_e32 v36, v37, v46
	v_exp_f32_e32 v29, v29
	v_mul_f32_e32 v36, 0x3fb8aa3b, v36
	v_exp_f32_e32 v36, v36
	v_mul_f32_e32 v30, 0x3fb8aa3b, v30
	v_sub_f32_e32 v31, v31, v46
	v_exp_f32_e32 v30, v30
	v_mul_f32_e32 v31, 0x3fb8aa3b, v31
	v_sub_f32_e32 v24, v24, v46
	v_cndmask_b32_e64 v35, 0, v35, s[20:21]
	v_exp_f32_e32 v31, v31
	v_mul_f32_e32 v24, 0x3fb8aa3b, v24
	v_sub_f32_e32 v25, v25, v46
	v_add_f32_e32 v37, v28, v35
	v_cndmask_b32_e64 v28, 0, v29, s[14:15]
	v_exp_f32_e32 v24, v24
	v_mul_f32_e32 v25, 0x3fb8aa3b, v25
	v_sub_f32_e32 v18, v18, v46
	v_add_f32_e32 v37, v37, v28
	;; [unrolled: 5-line block ×3, first 2 shown]
	v_cndmask_b32_e64 v30, 0, v30, s[10:11]
	v_exp_f32_e32 v18, v18
	v_mul_f32_e32 v19, 0x3fb8aa3b, v19
	v_add_f32_e32 v36, v36, v30
	v_cndmask_b32_e64 v31, 0, v31, s[12:13]
	v_exp_f32_e32 v19, v19
	v_add_f32_e32 v36, v36, v31
	v_cndmask_b32_e64 v24, 0, v24, s[6:7]
	v_add_f32_e32 v36, v36, v24
	v_cndmask_b32_e64 v25, 0, v25, s[8:9]
	v_add_f32_e32 v36, v36, v25
	v_cndmask_b32_e32 v18, 0, v18, vcc
	v_add_f32_e32 v36, v36, v18
	v_cndmask_b32_e64 v19, 0, v19, s[4:5]
	v_add_f32_e32 v36, v36, v19
	ds_bpermute_b32 v37, v49, v36
	v_cmp_gt_u32_e32 vcc, 16, v44
	s_waitcnt lgkmcnt(0)
	s_barrier
	v_add_f32_e32 v36, v36, v37
	ds_bpermute_b32 v38, v48, v36
	v_lshlrev_b32_e32 v37, 2, v45
	s_and_saveexec_b64 s[4:5], vcc
	s_cbranch_execz .LBB1247_13
; %bb.12:
	s_waitcnt lgkmcnt(0)
	v_add_f32_e32 v36, v36, v38
	v_lshl_or_b32 v38, v43, 6, v37
	ds_write2st64_b32 v38, v46, v36 offset1:1
.LBB1247_13:
	s_or_b64 exec, exec, s[4:5]
	s_load_dword s6, s[0:1], 0x94
	s_waitcnt lgkmcnt(0)
	s_barrier
	ds_read2_b32 v[38:39], v37 offset1:16
	ds_read2_b32 v[44:45], v37 offset0:32 offset1:48
	ds_read2_b32 v[46:47], v37 offset0:64 offset1:80
	s_movk_i32 s8, 0x7fff
	s_lshl_b32 s7, s33, 2
	s_waitcnt lgkmcnt(2)
	v_max3_f32 v36, v38, s40, v39
	s_waitcnt lgkmcnt(1)
	v_max3_f32 v36, v36, v44, v45
	v_sub_f32_e32 v38, v38, v36
	v_mul_f32_e32 v38, 0x3fb8aa3b, v38
	v_exp_f32_e32 v48, v38
	v_sub_f32_e32 v38, v39, v36
	v_mul_f32_e32 v38, 0x3fb8aa3b, v38
	v_exp_f32_e32 v49, v38
	;; [unrolled: 3-line block ×3, first 2 shown]
	ds_read2_b32 v[38:39], v37 offset0:96 offset1:112
	v_sub_f32_e32 v37, v45, v36
	v_mul_f32_e32 v37, 0x3fb8aa3b, v37
	v_exp_f32_e32 v45, v37
	s_waitcnt lgkmcnt(1)
	v_fma_f32 v37, v48, v46, 0
	v_fmac_f32_e32 v37, v49, v47
	s_waitcnt lgkmcnt(0)
	v_fmac_f32_e32 v37, v44, v38
	v_fmac_f32_e32 v37, v45, v39
	v_add_f32_e32 v38, 0x358637bd, v37
	v_div_scale_f32 v39, s[4:5], v38, v38, 1.0
	v_rcp_f32_e32 v46, v39
	s_barrier
	v_fma_f32 v47, -v39, v46, 1.0
	v_fmac_f32_e32 v46, v47, v46
	v_div_scale_f32 v47, vcc, 1.0, v38, 1.0
	v_mul_f32_e32 v50, v47, v46
	v_fma_f32 v51, -v39, v50, v47
	v_fmac_f32_e32 v50, v51, v46
	v_fma_f32 v39, -v39, v50, v47
	v_div_fmas_f32 v39, v39, v46, v50
	v_cmp_eq_u32_e32 vcc, 1, v43
	v_div_fixup_f32 v38, v39, v38, 1.0
	s_nop 0
	v_cndmask_b32_e32 v39, v48, v49, vcc
	v_cmp_eq_u32_e32 vcc, 2, v43
	s_nop 1
	v_cndmask_b32_e32 v39, v39, v44, vcc
	v_cmp_eq_u32_e32 vcc, 3, v43
	s_nop 1
	v_cndmask_b32_e32 v39, v39, v45, vcc
	v_mul_f32_e32 v38, v39, v38
	v_pk_mul_f32 v[20:21], v[38:39], v[20:21] op_sel_hi:[0,1]
	v_pk_mul_f32 v[32:33], v[38:39], v[32:33] op_sel_hi:[0,1]
	v_bfe_u32 v39, v21, 16, 1
	v_bfe_u32 v44, v20, 16, 1
	v_add3_u32 v20, v20, v44, s8
	v_add3_u32 v21, v21, v39, s8
	v_perm_b32 v44, v21, v20, s44
	v_bfe_u32 v20, v33, 16, 1
	v_bfe_u32 v21, v32, 16, 1
	v_add3_u32 v21, v32, v21, s8
	v_add3_u32 v20, v33, v20, s8
	v_perm_b32 v45, v20, v21, s44
	v_lshlrev_b32_e32 v20, 3, v42
	v_lshlrev_b32_e32 v21, 11, v43
	v_pk_mul_f32 v[22:23], v[38:39], v[22:23] op_sel_hi:[0,1]
	v_or3_b32 v20, v21, v27, v20
	v_pk_mul_f32 v[32:33], v[38:39], v[34:35] op_sel_hi:[0,1]
	v_bfe_u32 v21, v23, 16, 1
	v_bfe_u32 v34, v22, 16, 1
	v_add3_u32 v22, v22, v34, s8
	v_add3_u32 v21, v23, v21, s8
	v_perm_b32 v22, v21, v22, s44
	v_bfe_u32 v21, v33, 16, 1
	v_bfe_u32 v23, v32, 16, 1
	v_add3_u32 v23, v32, v23, s8
	v_add3_u32 v21, v33, v21, s8
	v_perm_b32 v23, v21, v23, s44
	v_pk_mul_f32 v[28:29], v[38:39], v[28:29] op_sel_hi:[0,1]
	ds_write2st64_b64 v20, v[44:45], v[22:23] offset1:1
	v_pk_mul_f32 v[22:23], v[38:39], v[30:31] op_sel_hi:[0,1]
	v_bfe_u32 v21, v29, 16, 1
	v_bfe_u32 v30, v28, 16, 1
	v_add3_u32 v28, v28, v30, s8
	v_add3_u32 v21, v29, v21, s8
	v_perm_b32 v28, v21, v28, s44
	v_bfe_u32 v21, v23, 16, 1
	v_bfe_u32 v29, v22, 16, 1
	v_add3_u32 v22, v22, v29, s8
	v_add3_u32 v21, v23, v21, s8
	v_perm_b32 v29, v21, v22, s44
	v_pk_mul_f32 v[22:23], v[38:39], v[24:25] op_sel_hi:[0,1]
	v_bfe_u32 v21, v23, 16, 1
	v_bfe_u32 v24, v22, 16, 1
	v_pk_mul_f32 v[18:19], v[38:39], v[18:19] op_sel_hi:[0,1]
	v_add3_u32 v22, v22, v24, s8
	v_add3_u32 v21, v23, v21, s8
	v_perm_b32 v22, v21, v22, s44
	v_bfe_u32 v21, v19, 16, 1
	v_bfe_u32 v23, v18, 16, 1
	v_add3_u32 v18, v18, v23, s8
	v_add3_u32 v19, v19, v21, s8
	v_perm_b32 v23, v19, v18, s44
	v_cmp_gt_u32_e32 vcc, 4, v0
	ds_write2st64_b64 v20, v[28:29], v[22:23] offset0:2 offset1:3
	s_and_saveexec_b64 s[4:5], vcc
	s_cbranch_execz .LBB1247_15
; %bb.14:
	v_or_b32_e32 v18, s23, v0
	v_mov_b32_e32 v19, 0
	v_mov_b32_e32 v21, s7
	v_mad_u64_u32 v[22:23], s[10:11], s2, v21, v[18:19]
	v_mov_b32_e32 v18, s22
	s_load_dwordx4 s[12:15], s[0:1], 0x58
	s_mul_i32 s3, s3, s7
	v_mad_u64_u32 v[18:19], s[10:11], v22, s6, v[18:19]
	v_add_u32_e32 v21, s3, v23
	v_mov_b32_e32 v22, v19
	v_mad_u64_u32 v[22:23], s[10:11], v21, s6, v[22:23]
	v_mov_b32_e32 v19, v22
	v_lshlrev_b64 v[18:19], 2, v[18:19]
	s_waitcnt lgkmcnt(0)
	v_lshl_add_u64 v[22:23], s[14:15], 0, v[18:19]
	v_lshl_add_u64 v[18:19], s[12:13], 0, v[18:19]
	global_store_dword v[22:23], v36, off
	global_store_dword v[18:19], v37, off
.LBB1247_15:
	s_or_b64 exec, exec, s[4:5]
	s_waitcnt vmcnt(3)
	v_cvt_pk_f32_fp8_e32 v[18:19], v14
	v_cvt_pk_f32_fp8_sdwa v[22:23], v14 src0_sel:WORD_1
	s_mov_b32 s4, 0x7060302
	v_lshl_or_b32 v14, v42, 9, v27
	s_waitcnt lgkmcnt(0)
	s_barrier
	v_perm_b32 v18, v19, v18, s4
	v_perm_b32 v19, v23, v22, s4
	v_cvt_pk_f32_fp8_e32 v[28:29], v15
	ds_read_b128 v[22:25], v14
	v_cvt_pk_f32_fp8_sdwa v[36:37], v15 src0_sel:WORD_1
	s_load_dword s10, s[42:43], 0x0
	v_perm_b32 v38, v29, v28, s4
	ds_read_b128 v[28:31], v14 offset:16
	v_perm_b32 v39, v37, v36, s4
	s_waitcnt lgkmcnt(0)
	v_mfma_f32_16x16x16_bf16 v[32:35], v[18:19], v[22:23], 0
	v_cvt_pk_f32_fp8_e32 v[18:19], v16
	v_cvt_pk_f32_fp8_sdwa v[36:37], v16 src0_sel:WORD_1
	s_mov_b32 s3, 0
	v_mfma_f32_16x16x16_bf16 v[22:25], v[38:39], v[24:25], v[32:35]
	v_perm_b32 v18, v19, v18, s4
	v_perm_b32 v19, v37, v36, s4
	s_waitcnt vmcnt(2)
	v_cvt_pk_f32_fp8_sdwa v[36:37], v10 src0_sel:WORD_1
	v_cvt_pk_f32_fp8_e32 v[32:33], v17
	v_cvt_pk_f32_fp8_sdwa v[16:17], v17 src0_sel:WORD_1
	v_cvt_pk_f32_fp8_e32 v[34:35], v10
	v_mov_b32_e32 v27, 0
	v_perm_b32 v32, v33, v32, s4
	v_perm_b32 v33, v17, v16, s4
	v_mfma_f32_16x16x16_bf16 v[16:19], v[18:19], v[28:29], v[22:25]
	v_perm_b32 v34, v35, v34, s4
	v_perm_b32 v35, v37, v36, s4
	v_cvt_pk_f32_fp8_e32 v[28:29], v11
	ds_read_b128 v[22:25], v14 offset:2048
	v_cvt_pk_f32_fp8_sdwa v[10:11], v11 src0_sel:WORD_1
	v_mfma_f32_16x16x16_bf16 v[16:19], v[32:33], v[30:31], v[16:19]
	v_perm_b32 v32, v29, v28, s4
	ds_read_b128 v[28:31], v14 offset:2064
	v_perm_b32 v33, v11, v10, s4
	s_waitcnt lgkmcnt(1)
	v_mfma_f32_16x16x16_bf16 v[16:19], v[34:35], v[22:23], v[16:19]
	v_cvt_pk_f32_fp8_e32 v[10:11], v12
	v_cvt_pk_f32_fp8_sdwa v[22:23], v12 src0_sel:WORD_1
	v_perm_b32 v10, v11, v10, s4
	v_mfma_f32_16x16x16_bf16 v[16:19], v[32:33], v[24:25], v[16:19]
	v_cvt_pk_f32_fp8_e32 v[24:25], v13
	v_perm_b32 v11, v23, v22, s4
	v_cvt_pk_f32_fp8_sdwa v[12:13], v13 src0_sel:WORD_1
	s_waitcnt vmcnt(1)
	v_cvt_pk_f32_fp8_sdwa v[32:33], v6 src0_sel:WORD_1
	v_perm_b32 v22, v25, v24, s4
	v_cvt_pk_f32_fp8_e32 v[24:25], v6
	v_perm_b32 v23, v13, v12, s4
	s_waitcnt lgkmcnt(0)
	v_mfma_f32_16x16x16_bf16 v[10:13], v[10:11], v[28:29], v[16:19]
	v_perm_b32 v29, v33, v32, s4
	v_perm_b32 v28, v25, v24, s4
	v_cvt_pk_f32_fp8_e32 v[24:25], v7
	ds_read_b128 v[16:19], v14 offset:4096
	v_cvt_pk_f32_fp8_sdwa v[6:7], v7 src0_sel:WORD_1
	v_mfma_f32_16x16x16_bf16 v[10:13], v[22:23], v[30:31], v[10:13]
	v_perm_b32 v30, v25, v24, s4
	ds_read_b128 v[22:25], v14 offset:4112
	v_perm_b32 v31, v7, v6, s4
	s_waitcnt lgkmcnt(1)
	v_mfma_f32_16x16x16_bf16 v[10:13], v[28:29], v[16:17], v[10:13]
	v_cvt_pk_f32_fp8_e32 v[6:7], v8
	v_cvt_pk_f32_fp8_sdwa v[16:17], v8 src0_sel:WORD_1
	s_waitcnt vmcnt(0)
	v_cvt_pk_f32_fp8_sdwa v[28:29], v2 src0_sel:WORD_1
	v_mfma_f32_16x16x16_bf16 v[10:13], v[30:31], v[18:19], v[10:13]
	v_cvt_pk_f32_fp8_e32 v[18:19], v9
	v_perm_b32 v6, v7, v6, s4
	v_perm_b32 v7, v17, v16, s4
	v_cvt_pk_f32_fp8_sdwa v[8:9], v9 src0_sel:WORD_1
	v_perm_b32 v16, v19, v18, s4
	v_cvt_pk_f32_fp8_e32 v[18:19], v2
	v_perm_b32 v17, v9, v8, s4
	s_waitcnt lgkmcnt(0)
	v_mfma_f32_16x16x16_bf16 v[6:9], v[6:7], v[22:23], v[10:13]
	v_perm_b32 v18, v19, v18, s4
	v_perm_b32 v19, v29, v28, s4
	v_cvt_pk_f32_fp8_e32 v[22:23], v3
	ds_read_b128 v[10:13], v14 offset:6144
	v_cvt_pk_f32_fp8_sdwa v[2:3], v3 src0_sel:WORD_1
	v_mfma_f32_16x16x16_bf16 v[6:9], v[16:17], v[24:25], v[6:9]
	v_perm_b32 v22, v23, v22, s4
	ds_read_b128 v[14:17], v14 offset:6160
	v_perm_b32 v23, v3, v2, s4
	s_waitcnt lgkmcnt(1)
	v_mfma_f32_16x16x16_bf16 v[6:9], v[18:19], v[10:11], v[6:9]
	v_cvt_pk_f32_fp8_e32 v[2:3], v4
	v_cvt_pk_f32_fp8_sdwa v[10:11], v4 src0_sel:WORD_1
	s_waitcnt lgkmcnt(0)
	v_mfma_f32_16x16x16_bf16 v[6:9], v[22:23], v[12:13], v[6:9]
	v_perm_b32 v2, v3, v2, s4
	v_perm_b32 v3, v11, v10, s4
	v_cvt_pk_f32_fp8_e32 v[10:11], v5
	v_cvt_pk_f32_fp8_sdwa v[4:5], v5 src0_sel:WORD_1
	s_barrier
	v_perm_b32 v10, v11, v10, s4
	v_perm_b32 v11, v5, v4, s4
	v_mfma_f32_16x16x16_bf16 v[2:5], v[2:3], v[14:15], v[6:9]
	s_nop 0
	v_mfma_f32_16x16x16_bf16 v[2:5], v[10:11], v[16:17], v[2:5]
	s_nop 6
	v_pk_mul_f32 v[2:3], v[2:3], s[10:11] op_sel_hi:[1,0]
	v_pk_mul_f32 v[4:5], v[4:5], s[10:11] op_sel_hi:[1,0]
	v_bfe_u32 v6, v3, 16, 1
	v_bfe_u32 v7, v2, 16, 1
	v_add3_u32 v2, v2, v7, s8
	v_add3_u32 v3, v3, v6, s8
	v_perm_b32 v2, v3, v2, s4
	v_bfe_u32 v3, v5, 16, 1
	v_bfe_u32 v6, v4, 16, 1
	v_add3_u32 v4, v4, v6, s8
	v_add3_u32 v3, v5, v3, s8
	v_perm_b32 v3, v3, v4, s4
	ds_write_b64 v20, v[2:3]
	s_waitcnt lgkmcnt(0)
	s_barrier
	s_and_saveexec_b64 s[4:5], s[48:49]
	s_cbranch_execz .LBB1247_17
; %bb.16:
	s_load_dwordx2 s[0:1], s[0:1], 0x68
	s_lshl_b32 s6, s6, 6
	s_mul_i32 s2, s7, s2
	s_mul_hi_u32 s5, s2, s6
	s_mul_i32 s4, s2, s6
	v_lshlrev_b32_e32 v0, 10, v0
	s_lshl_b64 s[4:5], s[4:5], 1
	v_and_b32_e32 v0, 0x1800, v0
	v_and_b32_e32 v2, 16, v41
	s_waitcnt lgkmcnt(0)
	s_add_u32 s4, s0, s4
	v_or3_b32 v0, v0, v40, v2
	s_addc_u32 s5, s1, s5
	s_lshl_b32 s2, s22, 6
	ds_read_b128 v[2:5], v0
	s_lshl_b64 s[0:1], s[2:3], 1
	s_add_u32 s0, s4, s0
	s_addc_u32 s1, s5, s1
	v_mad_u64_u32 v[0:1], s[2:3], s6, v1, 0
	v_lshl_add_u64 v[0:1], v[0:1], 1, s[0:1]
	v_lshl_add_u64 v[0:1], v[0:1], 0, v[26:27]
	s_waitcnt lgkmcnt(0)
	global_store_dwordx4 v[0:1], v[2:5], off
.LBB1247_17:
	s_endpgm
	.section	.rodata,"a",@progbits
	.p2align	6, 0x0
	.amdhsa_kernel _Z39paged_attention_ll4mi_QKV_mfma16_kernelI14__hip_bfloat16hLN4vllm18Fp8KVCacheDataTypeE1ES0_Li32ELi64ELi256ELb0ELi4EEvPKT_PKT0_S8_ifPKiSA_SA_iPKfiiiPfSD_PS3_PT2_iSC_SC_
		.amdhsa_group_segment_fixed_size 8192
		.amdhsa_private_segment_fixed_size 0
		.amdhsa_kernarg_size 400
		.amdhsa_user_sgpr_count 2
		.amdhsa_user_sgpr_dispatch_ptr 0
		.amdhsa_user_sgpr_queue_ptr 0
		.amdhsa_user_sgpr_kernarg_segment_ptr 1
		.amdhsa_user_sgpr_dispatch_id 0
		.amdhsa_user_sgpr_kernarg_preload_length 0
		.amdhsa_user_sgpr_kernarg_preload_offset 0
		.amdhsa_user_sgpr_private_segment_size 0
		.amdhsa_uses_dynamic_stack 0
		.amdhsa_enable_private_segment 0
		.amdhsa_system_sgpr_workgroup_id_x 1
		.amdhsa_system_sgpr_workgroup_id_y 1
		.amdhsa_system_sgpr_workgroup_id_z 1
		.amdhsa_system_sgpr_workgroup_info 0
		.amdhsa_system_vgpr_workitem_id 0
		.amdhsa_next_free_vgpr 56
		.amdhsa_next_free_sgpr 50
		.amdhsa_accum_offset 56
		.amdhsa_reserve_vcc 1
		.amdhsa_float_round_mode_32 0
		.amdhsa_float_round_mode_16_64 0
		.amdhsa_float_denorm_mode_32 3
		.amdhsa_float_denorm_mode_16_64 3
		.amdhsa_dx10_clamp 1
		.amdhsa_ieee_mode 1
		.amdhsa_fp16_overflow 0
		.amdhsa_tg_split 0
		.amdhsa_exception_fp_ieee_invalid_op 0
		.amdhsa_exception_fp_denorm_src 0
		.amdhsa_exception_fp_ieee_div_zero 0
		.amdhsa_exception_fp_ieee_overflow 0
		.amdhsa_exception_fp_ieee_underflow 0
		.amdhsa_exception_fp_ieee_inexact 0
		.amdhsa_exception_int_div_zero 0
	.end_amdhsa_kernel
	.section	.text._Z39paged_attention_ll4mi_QKV_mfma16_kernelI14__hip_bfloat16hLN4vllm18Fp8KVCacheDataTypeE1ES0_Li32ELi64ELi256ELb0ELi4EEvPKT_PKT0_S8_ifPKiSA_SA_iPKfiiiPfSD_PS3_PT2_iSC_SC_,"axG",@progbits,_Z39paged_attention_ll4mi_QKV_mfma16_kernelI14__hip_bfloat16hLN4vllm18Fp8KVCacheDataTypeE1ES0_Li32ELi64ELi256ELb0ELi4EEvPKT_PKT0_S8_ifPKiSA_SA_iPKfiiiPfSD_PS3_PT2_iSC_SC_,comdat
.Lfunc_end1247:
	.size	_Z39paged_attention_ll4mi_QKV_mfma16_kernelI14__hip_bfloat16hLN4vllm18Fp8KVCacheDataTypeE1ES0_Li32ELi64ELi256ELb0ELi4EEvPKT_PKT0_S8_ifPKiSA_SA_iPKfiiiPfSD_PS3_PT2_iSC_SC_, .Lfunc_end1247-_Z39paged_attention_ll4mi_QKV_mfma16_kernelI14__hip_bfloat16hLN4vllm18Fp8KVCacheDataTypeE1ES0_Li32ELi64ELi256ELb0ELi4EEvPKT_PKT0_S8_ifPKiSA_SA_iPKfiiiPfSD_PS3_PT2_iSC_SC_
                                        ; -- End function
	.section	.AMDGPU.csdata,"",@progbits
; Kernel info:
; codeLenInByte = 4832
; NumSgprs: 56
; NumVgprs: 56
; NumAgprs: 0
; TotalNumVgprs: 56
; ScratchSize: 0
; MemoryBound: 0
; FloatMode: 240
; IeeeMode: 1
; LDSByteSize: 8192 bytes/workgroup (compile time only)
; SGPRBlocks: 6
; VGPRBlocks: 6
; NumSGPRsForWavesPerEU: 56
; NumVGPRsForWavesPerEU: 56
; AccumOffset: 56
; Occupancy: 8
; WaveLimiterHint : 1
; COMPUTE_PGM_RSRC2:SCRATCH_EN: 0
; COMPUTE_PGM_RSRC2:USER_SGPR: 2
; COMPUTE_PGM_RSRC2:TRAP_HANDLER: 0
; COMPUTE_PGM_RSRC2:TGID_X_EN: 1
; COMPUTE_PGM_RSRC2:TGID_Y_EN: 1
; COMPUTE_PGM_RSRC2:TGID_Z_EN: 1
; COMPUTE_PGM_RSRC2:TIDIG_COMP_CNT: 0
; COMPUTE_PGM_RSRC3_GFX90A:ACCUM_OFFSET: 13
; COMPUTE_PGM_RSRC3_GFX90A:TG_SPLIT: 0
	.section	.text._Z38paged_attention_ll4mi_QKV_mfma4_kernelI14__hip_bfloat16hLN4vllm18Fp8KVCacheDataTypeE1EhLi16ELi128ELi256ELb1ELi1EEvPKT_PKT0_S8_ifPKiSA_SA_iPKfiiiPfSD_PS3_PT2_iSC_SC_,"axG",@progbits,_Z38paged_attention_ll4mi_QKV_mfma4_kernelI14__hip_bfloat16hLN4vllm18Fp8KVCacheDataTypeE1EhLi16ELi128ELi256ELb1ELi1EEvPKT_PKT0_S8_ifPKiSA_SA_iPKfiiiPfSD_PS3_PT2_iSC_SC_,comdat
	.protected	_Z38paged_attention_ll4mi_QKV_mfma4_kernelI14__hip_bfloat16hLN4vllm18Fp8KVCacheDataTypeE1EhLi16ELi128ELi256ELb1ELi1EEvPKT_PKT0_S8_ifPKiSA_SA_iPKfiiiPfSD_PS3_PT2_iSC_SC_ ; -- Begin function _Z38paged_attention_ll4mi_QKV_mfma4_kernelI14__hip_bfloat16hLN4vllm18Fp8KVCacheDataTypeE1EhLi16ELi128ELi256ELb1ELi1EEvPKT_PKT0_S8_ifPKiSA_SA_iPKfiiiPfSD_PS3_PT2_iSC_SC_
	.globl	_Z38paged_attention_ll4mi_QKV_mfma4_kernelI14__hip_bfloat16hLN4vllm18Fp8KVCacheDataTypeE1EhLi16ELi128ELi256ELb1ELi1EEvPKT_PKT0_S8_ifPKiSA_SA_iPKfiiiPfSD_PS3_PT2_iSC_SC_
	.p2align	8
	.type	_Z38paged_attention_ll4mi_QKV_mfma4_kernelI14__hip_bfloat16hLN4vllm18Fp8KVCacheDataTypeE1EhLi16ELi128ELi256ELb1ELi1EEvPKT_PKT0_S8_ifPKiSA_SA_iPKfiiiPfSD_PS3_PT2_iSC_SC_,@function
_Z38paged_attention_ll4mi_QKV_mfma4_kernelI14__hip_bfloat16hLN4vllm18Fp8KVCacheDataTypeE1EhLi16ELi128ELi256ELb1ELi1EEvPKT_PKT0_S8_ifPKiSA_SA_iPKfiiiPfSD_PS3_PT2_iSC_SC_: ; @_Z38paged_attention_ll4mi_QKV_mfma4_kernelI14__hip_bfloat16hLN4vllm18Fp8KVCacheDataTypeE1EhLi16ELi128ELi256ELb1ELi1EEvPKT_PKT0_S8_ifPKiSA_SA_iPKfiiiPfSD_PS3_PT2_iSC_SC_
; %bb.0:
	s_load_dwordx2 s[8:9], s[0:1], 0x30
	s_mov_b32 s20, s3
	s_mov_b64 s[6:7], 0
	s_waitcnt lgkmcnt(0)
	s_cmp_lg_u64 s[8:9], 0
	s_cselect_b64 s[10:11], -1, 0
	s_and_b64 vcc, exec, s[10:11]
	s_cbranch_vccz .LBB1248_10
; %bb.1:
	s_add_i32 s12, s2, 1
	s_mov_b32 s13, 0
	s_lshl_b64 s[14:15], s[12:13], 2
	s_add_u32 s14, s8, s14
	s_mov_b32 s3, s13
	s_addc_u32 s15, s9, s15
	s_lshl_b64 s[12:13], s[2:3], 2
	s_add_u32 s12, s8, s12
	s_addc_u32 s13, s9, s13
	s_load_dword s5, s[14:15], 0x0
	s_load_dword s16, s[12:13], 0x0
	s_waitcnt lgkmcnt(0)
	s_sub_i32 s5, s5, s16
	s_cmp_eq_u32 s5, 1
	s_cselect_b64 s[12:13], -1, 0
	s_andn2_b64 vcc, exec, s[6:7]
	s_cbranch_vccnz .LBB1248_3
.LBB1248_2:
	s_mov_b32 s3, 0
	s_mov_b64 s[12:13], -1
.LBB1248_3:
	s_andn2_b64 vcc, exec, s[12:13]
	s_cbranch_vccnz .LBB1248_27
; %bb.4:
	s_load_dword s5, s[0:1], 0x9c
	s_load_dwordx2 s[6:7], s[0:1], 0x28
	s_add_u32 s24, s0, 0x90
	s_addc_u32 s25, s1, 0
	s_lshl_b64 s[28:29], s[2:3], 2
	s_waitcnt lgkmcnt(0)
	s_and_b32 s5, s5, 0xffff
	s_add_u32 s6, s6, s28
	s_addc_u32 s7, s7, s29
	s_load_dword s3, s[6:7], 0x0
	s_mul_i32 s5, s20, s5
	s_waitcnt lgkmcnt(0)
	s_cmp_ge_i32 s5, s3
	s_cbranch_scc1 .LBB1248_27
; %bb.5:
	v_and_b32_e32 v1, 0xc0, v0
	v_add_u32_e32 v4, s5, v1
	v_lshrrev_b32_e32 v42, 6, v0
	v_cmp_le_i32_e64 s[6:7], s3, v4
                                        ; implicit-def: $sgpr30
                                        ; implicit-def: $sgpr21
	s_and_saveexec_b64 s[12:13], s[6:7]
	s_xor_b64 s[12:13], exec, s[12:13]
	s_cbranch_execz .LBB1248_7
; %bb.6:
	v_mul_u32_u24_e32 v1, 20, v42
	v_or_b32_e32 v1, 0x1400, v1
	v_mov_b32_e32 v2, 0x1450
	v_mov_b32_e32 v3, 0xff7fffff
	v_mad_u32_u24 v2, v42, 20, v2
	ds_write2_b32 v1, v3, v3 offset1:1
	v_mov_b32_e32 v1, 0
	ds_write2_b32 v2, v1, v1 offset1:1
	v_mov_b32_e32 v2, 0x1408
	v_mov_b32_e32 v4, 0x1458
	s_mov_b32 s21, 0xff7fffff
	s_mov_b32 s30, 0
	v_mad_u32_u24 v2, v42, 20, v2
	v_mad_u32_u24 v4, v42, 20, v4
	ds_write2_b32 v2, v3, v3 offset1:1
	ds_write2_b32 v4, v1, v1 offset1:1
                                        ; implicit-def: $vgpr4
.LBB1248_7:
	s_or_saveexec_b64 s[26:27], s[12:13]
	s_load_dwordx2 s[22:23], s[0:1], 0x68
	s_load_dwordx4 s[16:19], s[0:1], 0x58
	s_load_dword s33, s[24:25], 0x4
	s_load_dwordx4 s[12:15], s[0:1], 0x80
	v_and_b32_e32 v1, 63, v0
	v_and_b32_e32 v43, 3, v0
	v_mov_b32_e32 v37, s30
	v_mov_b32_e32 v41, s21
	;; [unrolled: 1-line block ×5, first 2 shown]
                                        ; implicit-def: $vgpr18_vgpr19
                                        ; implicit-def: $vgpr22_vgpr23
                                        ; implicit-def: $vgpr26_vgpr27
                                        ; implicit-def: $vgpr30_vgpr31
                                        ; implicit-def: $vgpr2_vgpr3
                                        ; implicit-def: $vgpr6_vgpr7
                                        ; implicit-def: $vgpr10_vgpr11
                                        ; implicit-def: $vgpr14_vgpr15
	s_xor_b64 exec, exec, s[26:27]
	s_cbranch_execz .LBB1248_19
; %bb.8:
	s_load_dwordx2 s[30:31], s[0:1], 0x20
	s_load_dword s21, s[0:1], 0x38
	s_add_i32 s34, s3, 15
	s_ashr_i32 s35, s34, 31
	s_lshr_b32 s35, s35, 28
	v_add_u32_e32 v44, s5, v0
	s_add_i32 s34, s34, s35
	v_ashrrev_i32_e32 v2, 31, v44
	s_ashr_i32 s34, s34, 4
	v_lshrrev_b32_e32 v2, 28, v2
	s_add_i32 s36, s34, -1
	s_waitcnt lgkmcnt(0)
	s_mul_i32 s34, s2, s21
	s_mov_b32 s35, 0
	v_add_u32_e32 v2, v44, v2
	s_lshl_b64 s[34:35], s[34:35], 2
	v_ashrrev_i32_e32 v2, 4, v2
	v_mov_b32_e32 v3, s36
	v_cmp_gt_i32_e32 vcc, s3, v44
	s_add_u32 s30, s30, s34
	s_addc_u32 s31, s31, s35
	v_cndmask_b32_e32 v2, v3, v2, vcc
	v_ashrrev_i32_e32 v3, 31, v2
	v_lshl_add_u64 v[6:7], v[2:3], 2, s[30:31]
	v_ashrrev_i32_e32 v2, 31, v4
	v_lshrrev_b32_e32 v2, 28, v2
	v_add_u32_e32 v2, v4, v2
	v_ashrrev_i32_e32 v12, 4, v2
	v_min_i32_e32 v2, s36, v12
	v_ashrrev_i32_e32 v3, 31, v2
	v_lshl_add_u64 v[4:5], v[2:3], 2, s[30:31]
	v_add_u32_e32 v2, 1, v12
	v_min_i32_e32 v2, s36, v2
	v_ashrrev_i32_e32 v3, 31, v2
	v_lshl_add_u64 v[8:9], v[2:3], 2, s[30:31]
	v_add_u32_e32 v2, 2, v12
	;; [unrolled: 4-line block ×3, first 2 shown]
	v_min_i32_e32 v2, s36, v2
	v_ashrrev_i32_e32 v3, 31, v2
	v_lshl_add_u64 v[12:13], v[2:3], 2, s[30:31]
	global_load_dword v2, v[6:7], off
	global_load_dword v40, v[4:5], off
	;; [unrolled: 1-line block ×5, first 2 shown]
	s_load_dwordx2 s[34:35], s[0:1], 0x8
	s_andn2_b64 vcc, exec, s[10:11]
	s_cbranch_vccnz .LBB1248_11
; %bb.9:
	s_add_u32 s8, s8, s28
	s_addc_u32 s9, s9, s29
	s_load_dword s5, s[8:9], 0x0
	s_branch .LBB1248_12
.LBB1248_10:
	s_mov_b64 s[12:13], 0
	s_branch .LBB1248_2
.LBB1248_11:
	s_mov_b32 s5, s2
.LBB1248_12:
	s_load_dwordx2 s[28:29], s[0:1], 0x10
	s_load_dwordx4 s[8:11], s[0:1], 0x48
	v_cmp_eq_u32_e32 vcc, 0, v43
	s_mov_b32 s31, 0
	v_mov_b32_e32 v39, 0
	v_mov_b32_e32 v14, 0
	v_mov_b32_e32 v15, 0
	v_mov_b32_e32 v16, 0
	v_mov_b32_e32 v17, 0
	s_and_saveexec_b64 s[36:37], vcc
	s_cbranch_execz .LBB1248_14
; %bb.13:
	s_load_dwordx2 s[38:39], s[0:1], 0x0
	s_waitcnt lgkmcnt(0)
	s_ashr_i32 s11, s8, 31
	s_mul_hi_u32 s21, s5, s8
	s_mul_i32 s11, s5, s11
	s_add_i32 s41, s21, s11
	s_mul_i32 s40, s5, s8
	s_lshl_b64 s[40:41], s[40:41], 1
	s_add_u32 s5, s38, s40
	s_addc_u32 s8, s39, s41
	s_lshl_b32 s30, s4, 7
	s_lshl_b64 s[38:39], s[30:31], 1
	s_add_u32 s38, s5, s38
	s_addc_u32 s39, s8, s39
	v_lshlrev_b32_e32 v3, 2, v1
	global_load_dwordx4 v[14:17], v3, s[38:39]
.LBB1248_14:
	s_or_b64 exec, exec, s[36:37]
	s_waitcnt lgkmcnt(0)
	s_mul_i32 s8, s4, s10
	s_add_u32 s10, s8, s34
	s_addc_u32 s11, 0, s35
	v_mov_b64_e32 v[4:5], s[10:11]
	s_waitcnt vmcnt(4)
	v_mad_i64_i32 v[2:3], s[10:11], v2, s9, v[4:5]
	v_lshlrev_b32_e32 v4, 4, v0
	v_and_b32_e32 v38, 0xf0, v4
	v_lshl_add_u64 v[48:49], v[2:3], 0, v[38:39]
	global_load_dwordx4 v[22:25], v[48:49], off
	global_load_dwordx4 v[18:21], v[48:49], off offset:256
	global_load_dwordx4 v[2:5], v[48:49], off offset:512
	;; [unrolled: 1-line block ×7, first 2 shown]
	v_mov_b32_e32 v38, 0
	s_and_saveexec_b64 s[10:11], vcc
	s_cbranch_execz .LBB1248_16
; %bb.15:
	s_load_dwordx2 s[34:35], s[0:1], 0x40
	s_mov_b32 s5, s31
	s_lshl_b64 s[30:31], s[4:5], 2
	v_mov_b32_e32 v39, 1.0
	s_waitcnt lgkmcnt(0)
	s_add_u32 s30, s34, s30
	s_addc_u32 s31, s35, s31
	s_load_dword s5, s[30:31], 0x0
	s_waitcnt lgkmcnt(0)
	v_mov_b32_e32 v38, s5
.LBB1248_16:
	s_or_b64 exec, exec, s[10:11]
	s_waitcnt vmcnt(11)
	v_mul_hi_i32 v47, v40, s9
	v_ashrrev_i32_e32 v47, 31, v47
	v_lshrrev_b32_e32 v48, 29, v47
	s_waitcnt vmcnt(10)
	v_mul_hi_i32 v47, v46, s9
	v_mov_b32_e32 v49, 0
	v_ashrrev_i32_e32 v47, 31, v47
	s_add_u32 s10, s28, s8
	v_lshrrev_b32_e32 v50, 29, v47
	v_mov_b32_e32 v51, v49
	s_addc_u32 s11, s29, 0
	v_mad_i64_i32 v[46:47], s[28:29], v46, s9, v[50:51]
	s_waitcnt vmcnt(9)
	v_mul_hi_i32 v50, v45, s9
	v_ashrrev_i32_e32 v50, 31, v50
	v_lshrrev_b32_e32 v50, 29, v50
	v_mad_i64_i32 v[50:51], s[28:29], v45, s9, v[50:51]
	s_waitcnt vmcnt(8)
	v_mul_hi_i32 v45, v41, s9
	v_ashrrev_i32_e32 v45, 31, v45
	v_lshrrev_b32_e32 v52, 29, v45
	v_mov_b32_e32 v53, v49
	v_mad_i64_i32 v[52:53], s[28:29], v41, s9, v[52:53]
	v_mad_i64_i32 v[40:41], s[8:9], v40, s9, v[48:49]
	v_and_b32_e32 v40, -8, v40
	v_lshl_add_u64 v[40:41], s[10:11], 0, v[40:41]
	v_lshlrev_b32_e32 v48, 4, v1
	v_and_b32_e32 v46, -8, v46
	v_lshl_add_u64 v[54:55], v[40:41], 0, v[48:49]
	v_lshl_add_u64 v[40:41], s[10:11], 0, v[46:47]
	v_and_b32_e32 v50, -8, v50
	v_lshl_add_u64 v[46:47], v[40:41], 0, v[48:49]
	v_lshl_add_u64 v[40:41], s[10:11], 0, v[50:51]
	;; [unrolled: 3-line block ×3, first 2 shown]
	v_lshl_add_u64 v[40:41], v[40:41], 0, v[48:49]
	s_waitcnt vmcnt(7)
	v_cvt_pk_f32_fp8_e32 v[48:49], v22
	v_cvt_pk_f32_fp8_sdwa v[52:53], v22 src0_sel:WORD_1
	s_mov_b32 s5, 0x7060302
	s_load_dword s0, s[0:1], 0x1c
	v_perm_b32 v48, v49, v48, s5
	v_perm_b32 v49, v53, v52, s5
	s_waitcnt vmcnt(5)
	v_cvt_pk_f32_fp8_sdwa v[52:53], v5 src0_sel:WORD_1
	s_load_dword s1, s[12:13], 0x0
	v_mfma_f32_4x4x4_16b_bf16 a[0:3], v[14:15], v[48:49], 0 cbsz:4
	v_cvt_pk_f32_fp8_e32 v[48:49], v23
	v_cmp_eq_u32_e32 vcc, 1, v43
	v_perm_b32 v22, v49, v48, s5
	v_cvt_pk_f32_fp8_sdwa v[48:49], v23 src0_sel:WORD_1
	s_nop 0
	v_perm_b32 v23, v49, v48, s5
	s_nop 1
	v_mfma_f32_4x4x4_16b_bf16 a[0:3], v[16:17], v[22:23], a[0:3] cbsz:4
	v_cvt_pk_f32_fp8_e32 v[22:23], v24
	v_cvt_pk_f32_fp8_sdwa v[48:49], v24 src0_sel:WORD_1
	v_perm_b32 v22, v23, v22, s5
	v_perm_b32 v23, v49, v48, s5
	v_cvt_pk_f32_fp8_e32 v[48:49], v25
	v_cvt_pk_f32_fp8_sdwa v[24:25], v25 src0_sel:WORD_1
	v_mfma_f32_4x4x4_16b_bf16 a[0:3], v[14:15], v[22:23], a[0:3] cbsz:4 abid:1
	v_cvt_pk_f32_fp8_e32 v[22:23], v18
	v_perm_b32 v48, v49, v48, s5
	v_perm_b32 v49, v25, v24, s5
	v_cvt_pk_f32_fp8_sdwa v[24:25], v18 src0_sel:WORD_1
	v_perm_b32 v22, v23, v22, s5
	v_mfma_f32_4x4x4_16b_bf16 a[0:3], v[16:17], v[48:49], a[0:3] cbsz:4 abid:1
	v_cvt_pk_f32_fp8_e32 v[48:49], v19
	v_cvt_pk_f32_fp8_sdwa v[18:19], v19 src0_sel:WORD_1
	v_perm_b32 v23, v25, v24, s5
	v_perm_b32 v24, v49, v48, s5
	s_nop 0
	v_mfma_f32_4x4x4_16b_bf16 a[0:3], v[14:15], v[22:23], a[0:3] cbsz:4 abid:2
	v_perm_b32 v25, v19, v18, s5
	v_cvt_pk_f32_fp8_e32 v[18:19], v20
	v_cvt_pk_f32_fp8_sdwa v[22:23], v20 src0_sel:WORD_1
	v_mfma_f32_4x4x4_16b_bf16 a[0:3], v[16:17], v[24:25], a[0:3] cbsz:4 abid:2
	v_cvt_pk_f32_fp8_e32 v[24:25], v21
	v_cvt_pk_f32_fp8_sdwa v[20:21], v21 src0_sel:WORD_1
	v_perm_b32 v18, v19, v18, s5
	v_perm_b32 v19, v23, v22, s5
	;; [unrolled: 1-line block ×4, first 2 shown]
	v_mfma_f32_4x4x4_16b_bf16 a[0:3], v[14:15], v[18:19], a[0:3] cbsz:4 abid:3
	v_cvt_pk_f32_fp8_e32 v[18:19], v2
	v_cvt_pk_f32_fp8_sdwa v[20:21], v2 src0_sel:WORD_1
	v_mfma_f32_4x4x4_16b_bf16 a[0:3], v[16:17], v[22:23], a[0:3] cbsz:4 abid:3
	v_cvt_pk_f32_fp8_e32 v[22:23], v3
	v_cvt_pk_f32_fp8_sdwa v[24:25], v3 src0_sel:WORD_1
	v_perm_b32 v2, v19, v18, s5
	v_perm_b32 v3, v21, v20, s5
	;; [unrolled: 1-line block ×4, first 2 shown]
	v_mfma_f32_4x4x4_16b_bf16 a[0:3], v[14:15], v[2:3], a[0:3] cbsz:4 abid:4
	v_cvt_pk_f32_fp8_sdwa v[24:25], v4 src0_sel:WORD_1
	v_cvt_pk_f32_fp8_e32 v[48:49], v5
	v_mfma_f32_4x4x4_16b_bf16 a[0:3], v[16:17], v[22:23], a[0:3] cbsz:4 abid:4
	v_cvt_pk_f32_fp8_e32 v[22:23], v4
	global_load_dwordx4 v[18:21], v[54:55], off
	global_load_dwordx4 v[2:5], v[54:55], off offset:1024
	s_waitcnt vmcnt(5)
	v_cvt_pk_f32_fp8_sdwa v[54:55], v27 src0_sel:WORD_1
	v_perm_b32 v22, v23, v22, s5
	v_perm_b32 v23, v25, v24, s5
	;; [unrolled: 1-line block ×4, first 2 shown]
	v_mfma_f32_4x4x4_16b_bf16 a[0:3], v[14:15], v[22:23], a[0:3] cbsz:4 abid:5
	v_cvt_pk_f32_fp8_e32 v[22:23], v6
	v_cvt_pk_f32_fp8_e32 v[48:49], v7
	v_mfma_f32_4x4x4_16b_bf16 a[0:3], v[16:17], v[24:25], a[0:3] cbsz:4 abid:5
	v_cvt_pk_f32_fp8_sdwa v[24:25], v6 src0_sel:WORD_1
	v_cvt_pk_f32_fp8_sdwa v[6:7], v7 src0_sel:WORD_1
	v_perm_b32 v22, v23, v22, s5
	v_cvt_pk_f32_fp8_sdwa v[52:53], v26 src0_sel:WORD_1
	v_perm_b32 v23, v25, v24, s5
	v_perm_b32 v25, v7, v6, s5
	v_cvt_pk_f32_fp8_e32 v[6:7], v8
	v_mfma_f32_4x4x4_16b_bf16 a[0:3], v[14:15], v[22:23], a[0:3] cbsz:4 abid:6
	v_cvt_pk_f32_fp8_sdwa v[22:23], v8 src0_sel:WORD_1
	v_perm_b32 v24, v49, v48, s5
	v_cvt_pk_f32_fp8_e32 v[48:49], v9
	v_cvt_pk_f32_fp8_sdwa v[8:9], v9 src0_sel:WORD_1
	v_mfma_f32_4x4x4_16b_bf16 a[0:3], v[16:17], v[24:25], a[0:3] cbsz:4 abid:6
	v_perm_b32 v6, v7, v6, s5
	v_perm_b32 v7, v23, v22, s5
	;; [unrolled: 1-line block ×4, first 2 shown]
	v_mfma_f32_4x4x4_16b_bf16 a[0:3], v[14:15], v[6:7], a[0:3] cbsz:4 abid:7
	v_cvt_pk_f32_fp8_e32 v[6:7], v26
	global_load_dwordx4 v[22:25], v[46:47], off
	v_mfma_f32_4x4x4_16b_bf16 a[0:3], v[16:17], v[48:49], a[0:3] cbsz:4 abid:7
	v_cvt_pk_f32_fp8_e32 v[48:49], v27
	v_perm_b32 v26, v7, v6, s5
	global_load_dwordx4 v[6:9], v[46:47], off offset:1024
	v_perm_b32 v27, v53, v52, s5
	v_perm_b32 v46, v49, v48, s5
	;; [unrolled: 1-line block ×3, first 2 shown]
	v_mfma_f32_4x4x4_16b_bf16 a[0:3], v[14:15], v[26:27], a[0:3] cbsz:4 abid:8
	v_cvt_pk_f32_fp8_e32 v[26:27], v28
	v_cvt_pk_f32_fp8_e32 v[48:49], v29
	v_mfma_f32_4x4x4_16b_bf16 a[0:3], v[16:17], v[46:47], a[0:3] cbsz:4 abid:8
	v_cvt_pk_f32_fp8_sdwa v[46:47], v28 src0_sel:WORD_1
	v_cvt_pk_f32_fp8_sdwa v[28:29], v29 src0_sel:WORD_1
	v_perm_b32 v26, v27, v26, s5
	s_waitcnt vmcnt(6)
	v_cvt_pk_f32_fp8_e32 v[52:53], v13
	v_perm_b32 v27, v47, v46, s5
	v_perm_b32 v47, v29, v28, s5
	v_cvt_pk_f32_fp8_sdwa v[28:29], v10 src0_sel:WORD_1
	v_mfma_f32_4x4x4_16b_bf16 a[0:3], v[14:15], v[26:27], a[0:3] cbsz:4 abid:9
	v_cvt_pk_f32_fp8_e32 v[26:27], v10
	v_perm_b32 v46, v49, v48, s5
	v_perm_b32 v49, v29, v28, s5
	v_cvt_pk_f32_fp8_sdwa v[54:55], v13 src0_sel:WORD_1
	v_mfma_f32_4x4x4_16b_bf16 a[0:3], v[16:17], v[46:47], a[0:3] cbsz:4 abid:9
	v_cvt_pk_f32_fp8_e32 v[46:47], v11
	v_cvt_pk_f32_fp8_sdwa v[10:11], v11 src0_sel:WORD_1
	v_perm_b32 v48, v27, v26, s5
	global_load_dwordx4 v[26:29], v[50:51], off
	v_perm_b32 v46, v47, v46, s5
	v_mfma_f32_4x4x4_16b_bf16 a[0:3], v[14:15], v[48:49], a[0:3] cbsz:4 abid:10
	v_perm_b32 v47, v11, v10, s5
	v_cvt_pk_f32_fp8_e32 v[48:49], v12
	v_perm_b32 v48, v49, v48, s5
	v_mfma_f32_4x4x4_16b_bf16 a[0:3], v[16:17], v[46:47], a[0:3] cbsz:4 abid:10
	v_cvt_pk_f32_fp8_sdwa v[46:47], v12 src0_sel:WORD_1
	global_load_dwordx4 v[10:13], v[50:51], off offset:1024
	s_waitcnt vmcnt(7)
	v_cvt_pk_f32_fp8_e32 v[50:51], v35
	v_perm_b32 v49, v47, v46, s5
	v_perm_b32 v46, v53, v52, s5
	s_nop 0
	v_mfma_f32_4x4x4_16b_bf16 a[0:3], v[14:15], v[48:49], a[0:3] cbsz:4 abid:11
	v_perm_b32 v47, v55, v54, s5
	v_cvt_pk_f32_fp8_sdwa v[48:49], v34 src0_sel:WORD_1
	s_nop 0
	v_mfma_f32_4x4x4_16b_bf16 a[0:3], v[16:17], v[46:47], a[0:3] cbsz:4 abid:11
	v_cvt_pk_f32_fp8_e32 v[46:47], v34
	v_cvt_pk_f32_fp8_sdwa v[34:35], v35 src0_sel:WORD_1
	v_perm_b32 v46, v47, v46, s5
	v_perm_b32 v47, v49, v48, s5
	;; [unrolled: 1-line block ×3, first 2 shown]
	v_cvt_pk_f32_fp8_e32 v[34:35], v36
	v_mfma_f32_4x4x4_16b_bf16 a[0:3], v[14:15], v[46:47], a[0:3] cbsz:4 abid:12
	v_cvt_pk_f32_fp8_sdwa v[46:47], v36 src0_sel:WORD_1
	v_perm_b32 v48, v51, v50, s5
	v_perm_b32 v34, v35, v34, s5
	;; [unrolled: 1-line block ×3, first 2 shown]
	v_mfma_f32_4x4x4_16b_bf16 a[0:3], v[16:17], v[48:49], a[0:3] cbsz:4 abid:12
	v_cvt_pk_f32_fp8_e32 v[48:49], v37
	v_cvt_pk_f32_fp8_sdwa v[36:37], v37 src0_sel:WORD_1
	v_mfma_f32_4x4x4_16b_bf16 a[0:3], v[14:15], v[34:35], a[0:3] cbsz:4 abid:13
	s_waitcnt vmcnt(6)
	v_cvt_pk_f32_fp8_e32 v[34:35], v30
	v_perm_b32 v46, v49, v48, s5
	v_perm_b32 v47, v37, v36, s5
	v_cvt_pk_f32_fp8_sdwa v[36:37], v30 src0_sel:WORD_1
	v_perm_b32 v34, v35, v34, s5
	v_mfma_f32_4x4x4_16b_bf16 a[0:3], v[16:17], v[46:47], a[0:3] cbsz:4 abid:13
	v_cvt_pk_f32_fp8_e32 v[46:47], v31
	v_cvt_pk_f32_fp8_sdwa v[30:31], v31 src0_sel:WORD_1
	v_perm_b32 v35, v37, v36, s5
	v_perm_b32 v36, v47, v46, s5
	v_perm_b32 v37, v31, v30, s5
	v_mfma_f32_4x4x4_16b_bf16 a[0:3], v[14:15], v[34:35], a[0:3] cbsz:4 abid:14
	v_cvt_pk_f32_fp8_e32 v[30:31], v32
	v_cvt_pk_f32_fp8_sdwa v[34:35], v32 src0_sel:WORD_1
	v_mfma_f32_4x4x4_16b_bf16 a[0:3], v[16:17], v[36:37], a[0:3] cbsz:4 abid:14
	v_cvt_pk_f32_fp8_e32 v[36:37], v33
	v_cvt_pk_f32_fp8_sdwa v[32:33], v33 src0_sel:WORD_1
	v_perm_b32 v30, v31, v30, s5
	v_perm_b32 v31, v35, v34, s5
	;; [unrolled: 1-line block ×4, first 2 shown]
	v_mfma_f32_4x4x4_16b_bf16 a[0:3], v[14:15], v[30:31], a[0:3] cbsz:4 abid:15
	s_waitcnt lgkmcnt(0)
	v_mov_b32_e32 v14, s0
	v_mfma_f32_4x4x4_16b_bf16 a[0:3], v[16:17], v[34:35], a[0:3] cbsz:4 abid:15
	v_mul_f32_e32 v34, s1, v14
	s_nop 3
	v_accvgpr_read_b32 v15, a1
	v_accvgpr_read_b32 v14, a0
	v_pk_mul_f32 v[36:37], v[14:15], v[34:35] op_sel_hi:[1,0]
	global_load_dwordx4 v[30:33], v[40:41], off
	global_load_dwordx4 v[14:17], v[40:41], off offset:1024
	v_accvgpr_read_b32 v41, a3
	v_accvgpr_read_b32 v40, a2
	v_pk_mul_f32 v[34:35], v[40:41], v[34:35] op_sel_hi:[1,0]
	v_mfma_f32_4x4x1_16b_f32 a[0:3], v36, v39, 0
	v_cndmask_b32_e64 v36, 0, 1.0, vcc
	v_cmp_eq_u32_e32 vcc, 2, v43
	v_mov_b32_e32 v41, 0xff7fffff
	v_mfma_f32_4x4x1_16b_f32 a[0:3], v37, v36, a[0:3]
	v_cndmask_b32_e64 v36, 0, 1.0, vcc
	v_cmp_eq_u32_e32 vcc, 3, v43
	s_nop 0
	v_mfma_f32_4x4x1_16b_f32 a[0:3], v34, v36, a[0:3]
	v_cndmask_b32_e64 v34, 0, 1.0, vcc
	s_nop 1
	v_mfma_f32_4x4x1_16b_f32 a[0:3], v35, v34, a[0:3]
	v_and_b32_e32 v34, -4, v44
	v_subrev_u32_e32 v35, s3, v34
	v_add_u32_e32 v36, 1, v35
	v_cvt_f32_i32_e32 v36, v36
	v_add_u32_e32 v37, 2, v35
	v_cvt_f32_i32_e32 v37, v37
	v_accvgpr_read_b32 v39, a0
	v_fma_f32 v36, v38, v36, v39
	v_accvgpr_read_b32 v39, a1
	v_fma_f32 v37, v38, v37, v39
	v_add_u32_e32 v39, 3, v35
	v_cvt_f32_i32_e32 v39, v39
	v_add_u32_e32 v35, 4, v35
	v_cvt_f32_i32_e32 v35, v35
	v_accvgpr_read_b32 v40, a2
	v_fma_f32 v39, v38, v39, v40
	v_accvgpr_read_b32 v40, a3
	v_fmac_f32_e32 v40, v38, v35
	v_max_f32_e32 v38, 0xff7fffff, v36
	v_cmp_gt_i32_e32 vcc, s3, v34
	v_lshlrev_b32_e32 v35, 2, v0
	v_and_or_b32 v35, v35, 48, v43
	v_cndmask_b32_e32 v38, v41, v38, vcc
	v_or_b32_e32 v41, 1, v34
	v_max_f32_e32 v45, v38, v37
	v_cmp_gt_i32_e64 s[0:1], s3, v41
	v_or_b32_e32 v34, 2, v34
	v_cmp_gt_i32_e64 s[8:9], s3, v34
	v_cndmask_b32_e64 v38, v38, v45, s[0:1]
	v_max_f32_e32 v41, v38, v39
	v_cndmask_b32_e64 v34, v38, v41, s[8:9]
	v_or_b32_e32 v38, 3, v44
	v_max_f32_e32 v41, v34, v40
	v_cmp_gt_i32_e64 s[10:11], s3, v38
	v_lshlrev_b32_e32 v38, 2, v35
	s_nop 0
	v_cndmask_b32_e64 v34, v34, v41, s[10:11]
	;;#ASMSTART
	v_nop
 v_nop
 v_max_f32_dpp v34, v34, v34 row_ror:4
	;;#ASMEND
	s_nop 0
	;;#ASMSTART
	v_nop
 v_nop
 v_max_f32_dpp v34, v34, v34 row_ror:8
	;;#ASMEND
	ds_bpermute_b32 v34, v38, v34
	s_waitcnt lgkmcnt(0)
	;;#ASMSTART
	v_nop
 v_nop
 v_max_f32_dpp v34, v34, v34 row_ror:4
	;;#ASMEND
	s_nop 0
	;;#ASMSTART
	v_nop
 v_nop
 v_max_f32_dpp v41, v34, v34 row_ror:8
	;;#ASMEND
	s_nop 0
	v_sub_f32_e32 v34, v36, v41
	v_mul_f32_e32 v34, 0x3fb8aa3b, v34
	v_sub_f32_e32 v35, v37, v41
	v_exp_f32_e32 v34, v34
	v_mul_f32_e32 v35, 0x3fb8aa3b, v35
	v_sub_f32_e32 v37, v39, v41
	v_exp_f32_e32 v35, v35
	;; [unrolled: 3-line block ×3, first 2 shown]
	v_mul_f32_e32 v39, 0x3fb8aa3b, v39
	v_exp_f32_e32 v39, v39
	v_cndmask_b32_e32 v34, 0, v34, vcc
	v_add_f32_e32 v36, 0, v34
	v_cndmask_b32_e64 v35, 0, v35, s[0:1]
	v_add_f32_e32 v40, v36, v35
	v_cndmask_b32_e64 v36, 0, v37, s[8:9]
	;; [unrolled: 2-line block ×3, first 2 shown]
	v_add_f32_e32 v39, v40, v37
	;;#ASMSTART
	v_nop
 v_nop
 v_add_f32_dpp v39, v39, v39 row_ror:4
	;;#ASMEND
	v_cmp_gt_u32_e32 vcc, 4, v1
	;;#ASMSTART
	v_nop
 v_nop
 v_add_f32_dpp v39, v39, v39 row_ror:8
	;;#ASMEND
	ds_bpermute_b32 v38, v38, v39
	s_waitcnt lgkmcnt(0)
	;;#ASMSTART
	v_nop
 v_nop
 v_add_f32_dpp v38, v38, v38 row_ror:4
	;;#ASMEND
	s_nop 0
	;;#ASMSTART
	v_nop
 v_nop
 v_add_f32_dpp v38, v38, v38 row_ror:8
	;;#ASMEND
	s_and_saveexec_b64 s[0:1], vcc
	s_cbranch_execz .LBB1248_18
; %bb.17:
	v_mul_u32_u24_e32 v39, 20, v42
	v_lshl_add_u32 v39, v43, 2, v39
	v_add_u32_e32 v39, 0x1400, v39
	ds_write2_b32 v39, v41, v38 offset1:20
.LBB1248_18:
	s_or_b64 exec, exec, s[0:1]
.LBB1248_19:
	s_or_b64 exec, exec, s[26:27]
	s_waitcnt lgkmcnt(0)
	s_barrier
	s_load_dword s0, s[24:25], 0x8
	v_lshlrev_b32_e32 v38, 2, v43
	v_add_u32_e32 v40, 0x1400, v38
	ds_read2_b32 v[38:39], v40 offset1:5
	ds_read2_b32 v[46:47], v40 offset0:10 offset1:15
	s_mul_i32 s1, s33, s2
	s_waitcnt lgkmcnt(0)
	s_mul_i32 s0, s1, s0
	s_mov_b32 s1, 0xff7fffff
	v_max3_f32 v44, v38, s1, v39
	v_max3_f32 v44, v44, v46, v47
	v_sub_f32_e32 v38, v38, v44
	ds_read2_b32 v[48:49], v40 offset0:20 offset1:25
	v_mul_f32_e32 v38, 0x3fb8aa3b, v38
	v_sub_f32_e32 v39, v39, v44
	v_exp_f32_e32 v45, v38
	v_mul_f32_e32 v39, 0x3fb8aa3b, v39
	ds_read2_b32 v[50:51], v40 offset0:30 offset1:35
	v_sub_f32_e32 v40, v46, v44
	v_exp_f32_e32 v39, v39
	v_mul_f32_e32 v40, 0x3fb8aa3b, v40
	v_sub_f32_e32 v46, v47, v44
	v_exp_f32_e32 v40, v40
	v_mul_f32_e32 v46, 0x3fb8aa3b, v46
	v_exp_f32_e32 v46, v46
	s_waitcnt lgkmcnt(1)
	v_fma_f32 v45, v45, v48, 0
	v_fmac_f32_e32 v45, v39, v49
	s_waitcnt lgkmcnt(0)
	v_fmac_f32_e32 v45, v40, v50
	v_mov_b32_e32 v38, 0
	v_fmac_f32_e32 v45, v46, v51
	s_mov_b32 s1, 0
	v_cmp_eq_u32_e32 vcc, 0, v43
	s_and_saveexec_b64 s[2:3], vcc
	s_cbranch_execz .LBB1248_21
; %bb.20:
	s_lshl_b64 s[8:9], s[0:1], 2
	s_add_u32 s5, s16, s8
	s_mov_b32 s21, s1
	s_addc_u32 s12, s17, s9
	s_lshl_b64 s[10:11], s[20:21], 2
	s_add_u32 s5, s5, s10
	s_addc_u32 s12, s12, s11
	s_add_u32 s8, s18, s8
	s_addc_u32 s9, s19, s9
	;; [unrolled: 2-line block ×3, first 2 shown]
	s_mul_i32 s8, s33, s4
	s_mov_b32 s9, s1
	s_lshl_b64 s[8:9], s[8:9], 2
	s_add_u32 s10, s5, s8
	s_addc_u32 s11, s12, s9
	s_add_u32 s8, s13, s8
	s_addc_u32 s9, s16, s9
	global_store_dword v38, v44, s[8:9]
	global_store_dword v38, v45, s[10:11]
.LBB1248_21:
	s_or_b64 exec, exec, s[2:3]
	v_lshlrev_b32_e32 v40, 3, v42
                                        ; implicit-def: $sgpr1
	s_and_saveexec_b64 s[2:3], s[6:7]
	s_xor_b64 s[2:3], exec, s[2:3]
	s_cbranch_execz .LBB1248_23
; %bb.22:
	s_waitcnt vmcnt(6)
	v_mov_b32_e32 v2, 0
	v_mad_u32_u24 v4, v1, 40, v40
	s_mov_b32 s1, 0
	v_mov_b32_e32 v3, v2
	ds_write_b64 v4, v[2:3]
                                        ; implicit-def: $vgpr37
                                        ; implicit-def: $vgpr35
                                        ; implicit-def: $vgpr41
                                        ; implicit-def: $vgpr18_vgpr19
                                        ; implicit-def: $vgpr22_vgpr23
                                        ; implicit-def: $vgpr26_vgpr27
                                        ; implicit-def: $vgpr30_vgpr31
                                        ; implicit-def: $vgpr2_vgpr3
                                        ; implicit-def: $vgpr6_vgpr7
                                        ; implicit-def: $vgpr10_vgpr11
                                        ; implicit-def: $vgpr14_vgpr15
                                        ; implicit-def: $vgpr44
                                        ; implicit-def: $vgpr45
.LBB1248_23:
	s_or_saveexec_b64 s[2:3], s[2:3]
	v_mov_b32_e32 v38, s1
	v_mov_b32_e32 v39, s1
	s_xor_b64 exec, exec, s[2:3]
	s_cbranch_execz .LBB1248_25
; %bb.24:
	v_add_f32_e32 v38, 0x358637bd, v45
	v_div_scale_f32 v39, s[6:7], v38, v38, 1.0
	v_rcp_f32_e32 v42, v39
	v_sub_f32_e32 v41, v41, v44
	v_mul_f32_e32 v41, 0x3fb8aa3b, v41
	v_exp_f32_e32 v41, v41
	v_fma_f32 v43, -v39, v42, 1.0
	v_fmac_f32_e32 v42, v43, v42
	v_div_scale_f32 v43, vcc, 1.0, v38, 1.0
	v_mul_f32_e32 v44, v43, v42
	v_fma_f32 v45, -v39, v44, v43
	v_fmac_f32_e32 v44, v45, v42
	v_fma_f32 v39, -v39, v44, v43
	v_div_fmas_f32 v39, v39, v42, v44
	v_div_fixup_f32 v38, v39, v38, 1.0
	v_mul_f32_e32 v38, v41, v38
	v_pk_mul_f32 v[34:35], v[34:35], v[38:39] op_sel_hi:[1,0]
	v_pk_mul_f32 v[36:37], v[36:37], v[38:39] op_sel_hi:[1,0]
	v_bfe_u32 v38, v35, 16, 1
	v_bfe_u32 v39, v34, 16, 1
	s_movk_i32 s1, 0x7fff
	v_add3_u32 v34, v34, v39, s1
	v_add3_u32 v35, v35, v38, s1
	s_mov_b32 s5, 0x7060302
	v_perm_b32 v34, v35, v34, s5
	v_bfe_u32 v35, v37, 16, 1
	v_bfe_u32 v38, v36, 16, 1
	v_add3_u32 v36, v36, v38, s1
	v_add3_u32 v35, v37, v35, s1
	v_perm_b32 v35, v35, v36, s5
	s_waitcnt vmcnt(7)
	v_cvt_pk_f32_fp8_e32 v[36:37], v18
	v_cvt_pk_f32_fp8_sdwa v[38:39], v18 src0_sel:WORD_1
	v_cvt_pk_f32_fp8_e32 v[42:43], v19
	v_cvt_pk_f32_fp8_sdwa v[18:19], v19 src0_sel:WORD_1
	v_perm_b32 v36, v37, v36, s5
	v_perm_b32 v37, v39, v38, s5
	;; [unrolled: 1-line block ×4, first 2 shown]
	v_mfma_f32_4x4x4_16b_bf16 a[0:3], v[34:35], v[36:37], 0 cbsz:4
	v_cvt_pk_f32_fp8_e32 v[18:19], v20
	v_cvt_pk_f32_fp8_sdwa v[36:37], v20 src0_sel:WORD_1
	v_mfma_f32_4x4x4_16b_bf16 a[0:3], v[34:35], v[38:39], a[0:3] cbsz:4 abid:1
	v_cvt_pk_f32_fp8_e32 v[38:39], v21
	v_cvt_pk_f32_fp8_sdwa v[20:21], v21 src0_sel:WORD_1
	v_perm_b32 v18, v19, v18, s5
	v_perm_b32 v19, v37, v36, s5
	v_perm_b32 v36, v39, v38, s5
	v_perm_b32 v37, v21, v20, s5
	v_mfma_f32_4x4x4_16b_bf16 a[0:3], v[34:35], v[18:19], a[0:3] cbsz:4 abid:2
	s_waitcnt vmcnt(5)
	v_cvt_pk_f32_fp8_e32 v[18:19], v22
	v_cvt_pk_f32_fp8_sdwa v[20:21], v22 src0_sel:WORD_1
	v_mfma_f32_4x4x4_16b_bf16 a[0:3], v[34:35], v[36:37], a[0:3] cbsz:4 abid:3
	v_cvt_pk_f32_fp8_e32 v[36:37], v23
	v_cvt_pk_f32_fp8_sdwa v[22:23], v23 src0_sel:WORD_1
	v_perm_b32 v18, v19, v18, s5
	v_perm_b32 v19, v21, v20, s5
	;; [unrolled: 1-line block ×4, first 2 shown]
	v_mfma_f32_4x4x4_16b_bf16 a[0:3], v[34:35], v[18:19], a[0:3] cbsz:4 abid:4
	v_cvt_pk_f32_fp8_e32 v[18:19], v24
	v_cvt_pk_f32_fp8_e32 v[22:23], v25
	v_mfma_f32_4x4x4_16b_bf16 a[0:3], v[34:35], v[20:21], a[0:3] cbsz:4 abid:5
	v_cvt_pk_f32_fp8_sdwa v[20:21], v24 src0_sel:WORD_1
	v_cvt_pk_f32_fp8_sdwa v[24:25], v25 src0_sel:WORD_1
	v_perm_b32 v18, v19, v18, s5
	s_load_dword s6, s[14:15], 0x0
	v_perm_b32 v19, v21, v20, s5
	v_perm_b32 v20, v23, v22, s5
	;; [unrolled: 1-line block ×3, first 2 shown]
	v_mfma_f32_4x4x4_16b_bf16 a[0:3], v[34:35], v[18:19], a[0:3] cbsz:4 abid:6
	s_waitcnt vmcnt(3)
	v_cvt_pk_f32_fp8_e32 v[18:19], v26
	v_cvt_pk_f32_fp8_e32 v[22:23], v27
	v_mfma_f32_4x4x4_16b_bf16 a[0:3], v[34:35], v[20:21], a[0:3] cbsz:4 abid:7
	v_cvt_pk_f32_fp8_sdwa v[20:21], v26 src0_sel:WORD_1
	v_cvt_pk_f32_fp8_sdwa v[24:25], v27 src0_sel:WORD_1
	v_perm_b32 v18, v19, v18, s5
	v_perm_b32 v19, v21, v20, s5
	;; [unrolled: 1-line block ×3, first 2 shown]
	s_nop 0
	v_mfma_f32_4x4x4_16b_bf16 a[0:3], v[34:35], v[18:19], a[0:3] cbsz:4 abid:8
	v_perm_b32 v21, v25, v24, s5
	v_cvt_pk_f32_fp8_e32 v[18:19], v28
	v_cvt_pk_f32_fp8_e32 v[22:23], v29
	v_mfma_f32_4x4x4_16b_bf16 a[0:3], v[34:35], v[20:21], a[0:3] cbsz:4 abid:9
	v_cvt_pk_f32_fp8_sdwa v[20:21], v28 src0_sel:WORD_1
	v_cvt_pk_f32_fp8_sdwa v[24:25], v29 src0_sel:WORD_1
	v_perm_b32 v18, v19, v18, s5
	v_perm_b32 v19, v21, v20, s5
	;; [unrolled: 1-line block ×3, first 2 shown]
	s_nop 0
	v_mfma_f32_4x4x4_16b_bf16 a[0:3], v[34:35], v[18:19], a[0:3] cbsz:4 abid:10
	v_perm_b32 v21, v25, v24, s5
	s_waitcnt vmcnt(1)
	v_cvt_pk_f32_fp8_e32 v[18:19], v30
	v_cvt_pk_f32_fp8_e32 v[22:23], v31
	v_mfma_f32_4x4x4_16b_bf16 a[0:3], v[34:35], v[20:21], a[0:3] cbsz:4 abid:11
	v_cvt_pk_f32_fp8_sdwa v[20:21], v30 src0_sel:WORD_1
	v_cvt_pk_f32_fp8_sdwa v[24:25], v31 src0_sel:WORD_1
	v_perm_b32 v18, v19, v18, s5
	v_perm_b32 v19, v21, v20, s5
	;; [unrolled: 1-line block ×3, first 2 shown]
	s_nop 0
	v_mfma_f32_4x4x4_16b_bf16 a[0:3], v[34:35], v[18:19], a[0:3] cbsz:4 abid:12
	v_perm_b32 v21, v25, v24, s5
	v_cvt_pk_f32_fp8_e32 v[18:19], v32
	v_cvt_pk_f32_fp8_e32 v[22:23], v33
	v_mfma_f32_4x4x4_16b_bf16 a[0:3], v[34:35], v[20:21], a[0:3] cbsz:4 abid:13
	v_cvt_pk_f32_fp8_sdwa v[20:21], v32 src0_sel:WORD_1
	v_cvt_pk_f32_fp8_sdwa v[24:25], v33 src0_sel:WORD_1
	v_perm_b32 v18, v19, v18, s5
	v_perm_b32 v19, v21, v20, s5
	;; [unrolled: 1-line block ×3, first 2 shown]
	s_nop 0
	v_mfma_f32_4x4x4_16b_bf16 a[0:3], v[34:35], v[18:19], a[0:3] cbsz:4 abid:14
	v_perm_b32 v21, v25, v24, s5
	s_nop 1
	v_mfma_f32_4x4x4_16b_bf16 a[0:3], v[34:35], v[20:21], a[0:3] cbsz:4 abid:15
	s_nop 4
	v_accvgpr_read_b32 v21, a1
	v_accvgpr_read_b32 v20, a0
	s_waitcnt lgkmcnt(0)
	v_pk_mul_f32 v[20:21], v[20:21], s[6:7] op_sel_hi:[1,0]
	v_accvgpr_read_b32 v19, a3
	v_accvgpr_read_b32 v18, a2
	v_bfe_u32 v22, v21, 16, 1
	v_bfe_u32 v23, v20, 16, 1
	v_pk_mul_f32 v[18:19], v[18:19], s[6:7] op_sel_hi:[1,0]
	v_add3_u32 v20, v20, v23, s1
	v_add3_u32 v21, v21, v22, s1
	v_perm_b32 v20, v21, v20, s5
	v_bfe_u32 v21, v19, 16, 1
	v_bfe_u32 v22, v18, 16, 1
	v_add3_u32 v18, v18, v22, s1
	v_add3_u32 v19, v19, v21, s1
	v_perm_b32 v21, v19, v18, s5
	v_mad_u32_u24 v18, v1, 40, v40
	ds_write_b64 v18, v[20:21]
	v_cvt_pk_f32_fp8_e32 v[18:19], v2
	v_cvt_pk_f32_fp8_sdwa v[20:21], v2 src0_sel:WORD_1
	v_cvt_pk_f32_fp8_e32 v[22:23], v3
	v_cvt_pk_f32_fp8_sdwa v[2:3], v3 src0_sel:WORD_1
	v_perm_b32 v18, v19, v18, s5
	v_perm_b32 v19, v21, v20, s5
	;; [unrolled: 1-line block ×4, first 2 shown]
	v_mfma_f32_4x4x4_16b_bf16 a[0:3], v[34:35], v[18:19], 0 cbsz:4
	v_cvt_pk_f32_fp8_e32 v[2:3], v4
	v_cvt_pk_f32_fp8_sdwa v[18:19], v4 src0_sel:WORD_1
	v_mfma_f32_4x4x4_16b_bf16 a[0:3], v[34:35], v[20:21], a[0:3] cbsz:4 abid:1
	v_cvt_pk_f32_fp8_e32 v[20:21], v5
	v_cvt_pk_f32_fp8_sdwa v[4:5], v5 src0_sel:WORD_1
	v_perm_b32 v2, v3, v2, s5
	v_perm_b32 v3, v19, v18, s5
	;; [unrolled: 1-line block ×4, first 2 shown]
	v_mfma_f32_4x4x4_16b_bf16 a[0:3], v[34:35], v[2:3], a[0:3] cbsz:4 abid:2
	v_cvt_pk_f32_fp8_e32 v[2:3], v6
	v_cvt_pk_f32_fp8_sdwa v[4:5], v6 src0_sel:WORD_1
	v_mfma_f32_4x4x4_16b_bf16 a[0:3], v[34:35], v[18:19], a[0:3] cbsz:4 abid:3
	v_cvt_pk_f32_fp8_e32 v[18:19], v7
	v_cvt_pk_f32_fp8_sdwa v[6:7], v7 src0_sel:WORD_1
	v_perm_b32 v2, v3, v2, s5
	v_perm_b32 v3, v5, v4, s5
	;; [unrolled: 1-line block ×4, first 2 shown]
	v_mfma_f32_4x4x4_16b_bf16 a[0:3], v[34:35], v[2:3], a[0:3] cbsz:4 abid:4
	v_cvt_pk_f32_fp8_e32 v[2:3], v8
	v_cvt_pk_f32_fp8_e32 v[6:7], v9
	v_mfma_f32_4x4x4_16b_bf16 a[0:3], v[34:35], v[4:5], a[0:3] cbsz:4 abid:5
	v_cvt_pk_f32_fp8_sdwa v[4:5], v8 src0_sel:WORD_1
	v_cvt_pk_f32_fp8_sdwa v[8:9], v9 src0_sel:WORD_1
	v_perm_b32 v2, v3, v2, s5
	v_perm_b32 v3, v5, v4, s5
	v_perm_b32 v4, v7, v6, s5
	s_nop 0
	v_mfma_f32_4x4x4_16b_bf16 a[0:3], v[34:35], v[2:3], a[0:3] cbsz:4 abid:6
	v_perm_b32 v5, v9, v8, s5
	v_cvt_pk_f32_fp8_e32 v[2:3], v10
	v_cvt_pk_f32_fp8_e32 v[6:7], v11
	v_mfma_f32_4x4x4_16b_bf16 a[0:3], v[34:35], v[4:5], a[0:3] cbsz:4 abid:7
	v_cvt_pk_f32_fp8_sdwa v[4:5], v10 src0_sel:WORD_1
	v_cvt_pk_f32_fp8_sdwa v[8:9], v11 src0_sel:WORD_1
	v_perm_b32 v2, v3, v2, s5
	v_perm_b32 v3, v5, v4, s5
	v_perm_b32 v4, v7, v6, s5
	s_nop 0
	v_mfma_f32_4x4x4_16b_bf16 a[0:3], v[34:35], v[2:3], a[0:3] cbsz:4 abid:8
	v_perm_b32 v5, v9, v8, s5
	;; [unrolled: 11-line block ×3, first 2 shown]
	s_waitcnt vmcnt(0)
	v_cvt_pk_f32_fp8_e32 v[2:3], v14
	v_cvt_pk_f32_fp8_e32 v[6:7], v15
	v_mfma_f32_4x4x4_16b_bf16 a[0:3], v[34:35], v[4:5], a[0:3] cbsz:4 abid:11
	v_cvt_pk_f32_fp8_sdwa v[4:5], v14 src0_sel:WORD_1
	v_cvt_pk_f32_fp8_sdwa v[8:9], v15 src0_sel:WORD_1
	v_perm_b32 v2, v3, v2, s5
	v_perm_b32 v3, v5, v4, s5
	;; [unrolled: 1-line block ×3, first 2 shown]
	s_nop 0
	v_mfma_f32_4x4x4_16b_bf16 a[0:3], v[34:35], v[2:3], a[0:3] cbsz:4 abid:12
	v_perm_b32 v5, v9, v8, s5
	v_cvt_pk_f32_fp8_e32 v[2:3], v16
	v_cvt_pk_f32_fp8_e32 v[6:7], v17
	v_mfma_f32_4x4x4_16b_bf16 a[0:3], v[34:35], v[4:5], a[0:3] cbsz:4 abid:13
	v_cvt_pk_f32_fp8_sdwa v[4:5], v16 src0_sel:WORD_1
	v_cvt_pk_f32_fp8_sdwa v[8:9], v17 src0_sel:WORD_1
	v_perm_b32 v2, v3, v2, s5
	v_perm_b32 v3, v5, v4, s5
	;; [unrolled: 1-line block ×3, first 2 shown]
	s_nop 0
	v_mfma_f32_4x4x4_16b_bf16 a[0:3], v[34:35], v[2:3], a[0:3] cbsz:4 abid:14
	v_perm_b32 v5, v9, v8, s5
	s_nop 1
	v_mfma_f32_4x4x4_16b_bf16 a[0:3], v[34:35], v[4:5], a[0:3] cbsz:4 abid:15
	s_nop 4
	v_accvgpr_read_b32 v5, a1
	v_accvgpr_read_b32 v4, a0
	;; [unrolled: 1-line block ×4, first 2 shown]
	v_pk_mul_f32 v[4:5], v[4:5], s[6:7] op_sel_hi:[1,0]
	v_pk_mul_f32 v[2:3], v[2:3], s[6:7] op_sel_hi:[1,0]
	v_bfe_u32 v6, v5, 16, 1
	v_bfe_u32 v7, v4, 16, 1
	v_add3_u32 v4, v4, v7, s1
	v_add3_u32 v5, v5, v6, s1
	v_bfe_u32 v6, v3, 16, 1
	v_bfe_u32 v7, v2, 16, 1
	v_add3_u32 v2, v2, v7, s1
	v_add3_u32 v3, v3, v6, s1
	v_perm_b32 v39, v3, v2, s5
	v_perm_b32 v38, v5, v4, s5
.LBB1248_25:
	s_or_b64 exec, exec, s[2:3]
	s_waitcnt vmcnt(6)
	v_mad_u32_u24 v2, v1, 40, v40
	v_cmp_gt_u32_e32 vcc, 64, v0
	ds_write_b64 v2, v[38:39] offset:2560
	s_waitcnt lgkmcnt(0)
	s_barrier
	s_and_saveexec_b64 s[2:3], vcc
	s_cbranch_execz .LBB1248_27
; %bb.26:
	v_mov_b32_e32 v2, 0xa00
	v_mad_u32_u24 v2, v1, 40, v2
	ds_read2_b64 v[2:5], v2 offset1:1
	s_waitcnt lgkmcnt(0)
	v_mov_b32_e32 v3, 0xa10
	s_waitcnt vmcnt(2)
	v_mul_u32_u24_e32 v10, 40, v1
	v_mad_u32_u24 v1, v1, 40, v3
	ds_read2_b64 v[6:9], v1 offset1:1
	v_lshlrev_b32_e32 v1, 16, v2
	v_add_f32_e32 v1, 0, v1
	v_and_b32_e32 v1, 0xffff0000, v1
	v_lshlrev_b32_e32 v2, 16, v4
	v_add_f32_e32 v1, v1, v2
	v_and_b32_e32 v1, 0xffff0000, v1
	s_waitcnt lgkmcnt(0)
	v_lshlrev_b32_e32 v2, 16, v6
	v_add_f32_e32 v1, v1, v2
	v_and_b32_e32 v1, 0xffff0000, v1
	v_lshlrev_b32_e32 v2, 16, v8
	v_add_f32_e32 v11, v1, v2
	ds_read2_b64 v[2:5], v10 offset1:1
	ds_read2_b64 v[6:9], v10 offset0:2 offset1:3
	s_mov_b32 s1, 0
	s_lshl_b32 s0, s0, 7
	s_lshl_b64 s[2:3], s[0:1], 1
	s_waitcnt lgkmcnt(1)
	v_lshlrev_b32_e32 v2, 16, v2
	v_add_f32_e32 v2, 0, v2
	s_add_u32 s2, s22, s2
	v_and_b32_e32 v2, 0xffff0000, v2
	v_lshlrev_b32_e32 v3, 16, v4
	s_addc_u32 s3, s23, s3
	s_lshl_b32 s0, s20, 7
	v_add_f32_e32 v2, v2, v3
	s_lshl_b64 s[0:1], s[0:1], 1
	v_and_b32_e32 v2, 0xffff0000, v2
	s_waitcnt lgkmcnt(0)
	v_lshlrev_b32_e32 v3, 16, v6
	s_add_u32 s0, s2, s0
	s_mul_i32 s2, s4, s33
	v_add_f32_e32 v2, v2, v3
	s_addc_u32 s1, s3, s1
	v_lshl_or_b32 v0, s2, 7, v0
	v_mov_b32_e32 v1, 0
	v_and_b32_e32 v2, 0xffff0000, v2
	v_lshlrev_b32_e32 v3, 16, v8
	v_lshl_add_u64 v[0:1], v[0:1], 1, s[0:1]
	v_add_f32_e32 v2, v2, v3
	global_store_short_d16_hi v[0:1], v2, off
	global_store_short_d16_hi v[0:1], v11, off offset:128
.LBB1248_27:
	s_endpgm
	.section	.rodata,"a",@progbits
	.p2align	6, 0x0
	.amdhsa_kernel _Z38paged_attention_ll4mi_QKV_mfma4_kernelI14__hip_bfloat16hLN4vllm18Fp8KVCacheDataTypeE1EhLi16ELi128ELi256ELb1ELi1EEvPKT_PKT0_S8_ifPKiSA_SA_iPKfiiiPfSD_PS3_PT2_iSC_SC_
		.amdhsa_group_segment_fixed_size 5280
		.amdhsa_private_segment_fixed_size 0
		.amdhsa_kernarg_size 400
		.amdhsa_user_sgpr_count 2
		.amdhsa_user_sgpr_dispatch_ptr 0
		.amdhsa_user_sgpr_queue_ptr 0
		.amdhsa_user_sgpr_kernarg_segment_ptr 1
		.amdhsa_user_sgpr_dispatch_id 0
		.amdhsa_user_sgpr_kernarg_preload_length 0
		.amdhsa_user_sgpr_kernarg_preload_offset 0
		.amdhsa_user_sgpr_private_segment_size 0
		.amdhsa_uses_dynamic_stack 0
		.amdhsa_enable_private_segment 0
		.amdhsa_system_sgpr_workgroup_id_x 1
		.amdhsa_system_sgpr_workgroup_id_y 1
		.amdhsa_system_sgpr_workgroup_id_z 1
		.amdhsa_system_sgpr_workgroup_info 0
		.amdhsa_system_vgpr_workitem_id 0
		.amdhsa_next_free_vgpr 60
		.amdhsa_next_free_sgpr 42
		.amdhsa_accum_offset 56
		.amdhsa_reserve_vcc 1
		.amdhsa_float_round_mode_32 0
		.amdhsa_float_round_mode_16_64 0
		.amdhsa_float_denorm_mode_32 3
		.amdhsa_float_denorm_mode_16_64 3
		.amdhsa_dx10_clamp 1
		.amdhsa_ieee_mode 1
		.amdhsa_fp16_overflow 0
		.amdhsa_tg_split 0
		.amdhsa_exception_fp_ieee_invalid_op 0
		.amdhsa_exception_fp_denorm_src 0
		.amdhsa_exception_fp_ieee_div_zero 0
		.amdhsa_exception_fp_ieee_overflow 0
		.amdhsa_exception_fp_ieee_underflow 0
		.amdhsa_exception_fp_ieee_inexact 0
		.amdhsa_exception_int_div_zero 0
	.end_amdhsa_kernel
	.section	.text._Z38paged_attention_ll4mi_QKV_mfma4_kernelI14__hip_bfloat16hLN4vllm18Fp8KVCacheDataTypeE1EhLi16ELi128ELi256ELb1ELi1EEvPKT_PKT0_S8_ifPKiSA_SA_iPKfiiiPfSD_PS3_PT2_iSC_SC_,"axG",@progbits,_Z38paged_attention_ll4mi_QKV_mfma4_kernelI14__hip_bfloat16hLN4vllm18Fp8KVCacheDataTypeE1EhLi16ELi128ELi256ELb1ELi1EEvPKT_PKT0_S8_ifPKiSA_SA_iPKfiiiPfSD_PS3_PT2_iSC_SC_,comdat
.Lfunc_end1248:
	.size	_Z38paged_attention_ll4mi_QKV_mfma4_kernelI14__hip_bfloat16hLN4vllm18Fp8KVCacheDataTypeE1EhLi16ELi128ELi256ELb1ELi1EEvPKT_PKT0_S8_ifPKiSA_SA_iPKfiiiPfSD_PS3_PT2_iSC_SC_, .Lfunc_end1248-_Z38paged_attention_ll4mi_QKV_mfma4_kernelI14__hip_bfloat16hLN4vllm18Fp8KVCacheDataTypeE1EhLi16ELi128ELi256ELb1ELi1EEvPKT_PKT0_S8_ifPKiSA_SA_iPKfiiiPfSD_PS3_PT2_iSC_SC_
                                        ; -- End function
	.section	.AMDGPU.csdata,"",@progbits
; Kernel info:
; codeLenInByte = 5676
; NumSgprs: 48
; NumVgprs: 56
; NumAgprs: 4
; TotalNumVgprs: 60
; ScratchSize: 0
; MemoryBound: 0
; FloatMode: 240
; IeeeMode: 1
; LDSByteSize: 5280 bytes/workgroup (compile time only)
; SGPRBlocks: 5
; VGPRBlocks: 7
; NumSGPRsForWavesPerEU: 48
; NumVGPRsForWavesPerEU: 60
; AccumOffset: 56
; Occupancy: 8
; WaveLimiterHint : 1
; COMPUTE_PGM_RSRC2:SCRATCH_EN: 0
; COMPUTE_PGM_RSRC2:USER_SGPR: 2
; COMPUTE_PGM_RSRC2:TRAP_HANDLER: 0
; COMPUTE_PGM_RSRC2:TGID_X_EN: 1
; COMPUTE_PGM_RSRC2:TGID_Y_EN: 1
; COMPUTE_PGM_RSRC2:TGID_Z_EN: 1
; COMPUTE_PGM_RSRC2:TIDIG_COMP_CNT: 0
; COMPUTE_PGM_RSRC3_GFX90A:ACCUM_OFFSET: 13
; COMPUTE_PGM_RSRC3_GFX90A:TG_SPLIT: 0
	.section	.text._Z38paged_attention_ll4mi_QKV_mfma4_kernelI14__hip_bfloat16hLN4vllm18Fp8KVCacheDataTypeE1EhLi16ELi128ELi256ELb1ELi2EEvPKT_PKT0_S8_ifPKiSA_SA_iPKfiiiPfSD_PS3_PT2_iSC_SC_,"axG",@progbits,_Z38paged_attention_ll4mi_QKV_mfma4_kernelI14__hip_bfloat16hLN4vllm18Fp8KVCacheDataTypeE1EhLi16ELi128ELi256ELb1ELi2EEvPKT_PKT0_S8_ifPKiSA_SA_iPKfiiiPfSD_PS3_PT2_iSC_SC_,comdat
	.protected	_Z38paged_attention_ll4mi_QKV_mfma4_kernelI14__hip_bfloat16hLN4vllm18Fp8KVCacheDataTypeE1EhLi16ELi128ELi256ELb1ELi2EEvPKT_PKT0_S8_ifPKiSA_SA_iPKfiiiPfSD_PS3_PT2_iSC_SC_ ; -- Begin function _Z38paged_attention_ll4mi_QKV_mfma4_kernelI14__hip_bfloat16hLN4vllm18Fp8KVCacheDataTypeE1EhLi16ELi128ELi256ELb1ELi2EEvPKT_PKT0_S8_ifPKiSA_SA_iPKfiiiPfSD_PS3_PT2_iSC_SC_
	.globl	_Z38paged_attention_ll4mi_QKV_mfma4_kernelI14__hip_bfloat16hLN4vllm18Fp8KVCacheDataTypeE1EhLi16ELi128ELi256ELb1ELi2EEvPKT_PKT0_S8_ifPKiSA_SA_iPKfiiiPfSD_PS3_PT2_iSC_SC_
	.p2align	8
	.type	_Z38paged_attention_ll4mi_QKV_mfma4_kernelI14__hip_bfloat16hLN4vllm18Fp8KVCacheDataTypeE1EhLi16ELi128ELi256ELb1ELi2EEvPKT_PKT0_S8_ifPKiSA_SA_iPKfiiiPfSD_PS3_PT2_iSC_SC_,@function
_Z38paged_attention_ll4mi_QKV_mfma4_kernelI14__hip_bfloat16hLN4vllm18Fp8KVCacheDataTypeE1EhLi16ELi128ELi256ELb1ELi2EEvPKT_PKT0_S8_ifPKiSA_SA_iPKfiiiPfSD_PS3_PT2_iSC_SC_: ; @_Z38paged_attention_ll4mi_QKV_mfma4_kernelI14__hip_bfloat16hLN4vllm18Fp8KVCacheDataTypeE1EhLi16ELi128ELi256ELb1ELi2EEvPKT_PKT0_S8_ifPKiSA_SA_iPKfiiiPfSD_PS3_PT2_iSC_SC_
; %bb.0:
	s_load_dwordx2 s[16:17], s[0:1], 0x30
	s_mov_b32 s20, s3
	s_mov_b64 s[6:7], 0
	s_waitcnt lgkmcnt(0)
	s_cmp_lg_u64 s[16:17], 0
	s_cselect_b64 s[18:19], -1, 0
	s_and_b64 vcc, exec, s[18:19]
	s_cbranch_vccz .LBB1249_10
; %bb.1:
	s_add_i32 s8, s2, 1
	s_mov_b32 s9, 0
	s_lshl_b64 s[10:11], s[8:9], 2
	s_add_u32 s10, s16, s10
	s_mov_b32 s3, s9
	s_addc_u32 s11, s17, s11
	s_lshl_b64 s[8:9], s[2:3], 2
	s_add_u32 s8, s16, s8
	s_addc_u32 s9, s17, s9
	s_load_dword s5, s[10:11], 0x0
	s_load_dword s12, s[8:9], 0x0
	s_waitcnt lgkmcnt(0)
	s_sub_i32 s5, s5, s12
	s_cmp_eq_u32 s5, 1
	s_cselect_b64 s[8:9], -1, 0
	s_andn2_b64 vcc, exec, s[6:7]
	s_cbranch_vccnz .LBB1249_3
.LBB1249_2:
	s_mov_b32 s3, 0
	s_mov_b64 s[8:9], -1
.LBB1249_3:
	s_andn2_b64 vcc, exec, s[8:9]
	s_cbranch_vccnz .LBB1249_27
; %bb.4:
	s_load_dword s5, s[0:1], 0x9c
	s_load_dwordx2 s[6:7], s[0:1], 0x28
	s_add_u32 s24, s0, 0x90
	s_addc_u32 s25, s1, 0
	s_lshl_b64 s[28:29], s[2:3], 2
	s_waitcnt lgkmcnt(0)
	s_and_b32 s5, s5, 0xffff
	s_add_u32 s6, s6, s28
	s_addc_u32 s7, s7, s29
	s_load_dword s3, s[6:7], 0x0
	s_mul_i32 s5, s20, s5
	s_waitcnt lgkmcnt(0)
	s_cmp_ge_i32 s5, s3
	s_cbranch_scc1 .LBB1249_27
; %bb.5:
	v_and_b32_e32 v1, 0xc0, v0
	v_add_u32_e32 v4, s5, v1
	v_lshrrev_b32_e32 v44, 6, v0
	v_cmp_le_i32_e64 s[6:7], s3, v4
                                        ; implicit-def: $sgpr30
                                        ; implicit-def: $sgpr21
	s_and_saveexec_b64 s[8:9], s[6:7]
	s_xor_b64 s[8:9], exec, s[8:9]
	s_cbranch_execz .LBB1249_7
; %bb.6:
	v_mul_u32_u24_e32 v1, 20, v44
	v_or_b32_e32 v1, 0x1400, v1
	v_mov_b32_e32 v2, 0x1450
	v_mov_b32_e32 v3, 0xff7fffff
	v_mad_u32_u24 v2, v44, 20, v2
	ds_write2_b32 v1, v3, v3 offset1:1
	v_mov_b32_e32 v1, 0
	ds_write2_b32 v2, v1, v1 offset1:1
	v_mov_b32_e32 v2, 0x1408
	v_mov_b32_e32 v4, 0x1458
	s_mov_b32 s21, 0xff7fffff
	s_mov_b32 s30, 0
	v_mad_u32_u24 v2, v44, 20, v2
	v_mad_u32_u24 v4, v44, 20, v4
	ds_write2_b32 v2, v3, v3 offset1:1
	ds_write2_b32 v4, v1, v1 offset1:1
                                        ; implicit-def: $vgpr4
.LBB1249_7:
	s_or_saveexec_b64 s[26:27], s[8:9]
	s_load_dwordx2 s[22:23], s[0:1], 0x68
	s_load_dwordx4 s[12:15], s[0:1], 0x58
	s_load_dword s38, s[24:25], 0x4
	s_load_dwordx4 s[8:11], s[0:1], 0x80
	v_and_b32_e32 v1, 63, v0
	v_and_b32_e32 v45, 3, v0
	s_lshl_b32 s33, s4, 1
	v_mov_b32_e32 v37, s30
	v_mov_b32_e32 v41, s21
	;; [unrolled: 1-line block ×5, first 2 shown]
                                        ; implicit-def: $vgpr18_vgpr19
                                        ; implicit-def: $vgpr22_vgpr23
                                        ; implicit-def: $vgpr26_vgpr27
                                        ; implicit-def: $vgpr30_vgpr31
                                        ; implicit-def: $vgpr2_vgpr3
                                        ; implicit-def: $vgpr6_vgpr7
                                        ; implicit-def: $vgpr10_vgpr11
                                        ; implicit-def: $vgpr14_vgpr15
	s_xor_b64 exec, exec, s[26:27]
	s_cbranch_execz .LBB1249_19
; %bb.8:
	s_load_dwordx2 s[30:31], s[0:1], 0x20
	s_load_dword s21, s[0:1], 0x38
	s_add_i32 s34, s3, 15
	s_ashr_i32 s35, s34, 31
	s_lshr_b32 s35, s35, 28
	v_add_u32_e32 v46, s5, v0
	s_add_i32 s34, s34, s35
	v_ashrrev_i32_e32 v2, 31, v46
	s_ashr_i32 s34, s34, 4
	v_lshrrev_b32_e32 v2, 28, v2
	s_add_i32 s36, s34, -1
	s_waitcnt lgkmcnt(0)
	s_mul_i32 s34, s2, s21
	s_mov_b32 s35, 0
	v_add_u32_e32 v2, v46, v2
	s_lshl_b64 s[34:35], s[34:35], 2
	v_ashrrev_i32_e32 v2, 4, v2
	v_mov_b32_e32 v3, s36
	v_cmp_gt_i32_e32 vcc, s3, v46
	s_add_u32 s30, s30, s34
	s_addc_u32 s31, s31, s35
	v_cndmask_b32_e32 v2, v3, v2, vcc
	v_ashrrev_i32_e32 v3, 31, v2
	v_lshl_add_u64 v[6:7], v[2:3], 2, s[30:31]
	v_ashrrev_i32_e32 v2, 31, v4
	v_lshrrev_b32_e32 v2, 28, v2
	v_add_u32_e32 v2, v4, v2
	v_ashrrev_i32_e32 v12, 4, v2
	v_min_i32_e32 v2, s36, v12
	v_ashrrev_i32_e32 v3, 31, v2
	v_lshl_add_u64 v[4:5], v[2:3], 2, s[30:31]
	v_add_u32_e32 v2, 1, v12
	v_min_i32_e32 v2, s36, v2
	v_ashrrev_i32_e32 v3, 31, v2
	v_lshl_add_u64 v[8:9], v[2:3], 2, s[30:31]
	v_add_u32_e32 v2, 2, v12
	;; [unrolled: 4-line block ×3, first 2 shown]
	v_min_i32_e32 v2, s36, v2
	v_ashrrev_i32_e32 v3, 31, v2
	v_lshl_add_u64 v[12:13], v[2:3], 2, s[30:31]
	global_load_dword v2, v[6:7], off
	global_load_dword v43, v[4:5], off
	;; [unrolled: 1-line block ×5, first 2 shown]
	s_load_dwordx2 s[30:31], s[0:1], 0x8
	s_andn2_b64 vcc, exec, s[18:19]
	s_cbranch_vccnz .LBB1249_11
; %bb.9:
	s_add_u32 s16, s16, s28
	s_addc_u32 s17, s17, s29
	s_load_dword s5, s[16:17], 0x0
	s_branch .LBB1249_12
.LBB1249_10:
	s_mov_b64 s[8:9], 0
	s_branch .LBB1249_2
.LBB1249_11:
	s_mov_b32 s5, s2
.LBB1249_12:
	s_load_dwordx2 s[28:29], s[0:1], 0x10
	s_load_dwordx4 s[16:19], s[0:1], 0x48
	v_cmp_gt_u32_e32 vcc, 2, v45
	s_mov_b32 s37, 0
	v_mov_b32_e32 v27, 0
	v_mov_b32_e32 v34, 0
	;; [unrolled: 1-line block ×5, first 2 shown]
	s_and_saveexec_b64 s[34:35], vcc
	s_cbranch_execz .LBB1249_14
; %bb.13:
	s_load_dwordx2 s[40:41], s[0:1], 0x0
	s_waitcnt lgkmcnt(0)
	s_ashr_i32 s19, s16, 31
	s_mul_hi_u32 s21, s5, s16
	s_mul_i32 s19, s5, s19
	s_add_i32 s43, s21, s19
	s_mul_i32 s42, s5, s16
	s_lshl_b64 s[42:43], s[42:43], 1
	s_add_u32 s5, s40, s42
	s_addc_u32 s16, s41, s43
	s_lshl_b32 s36, s4, 8
	s_lshl_b64 s[36:37], s[36:37], 1
	v_lshlrev_b32_e32 v3, 2, v1
	s_add_u32 s36, s5, s36
	v_and_b32_e32 v3, 0xf0, v3
	s_addc_u32 s37, s16, s37
	v_lshl_or_b32 v3, v45, 8, v3
	global_load_dwordx4 v[34:37], v3, s[36:37]
.LBB1249_14:
	s_or_b64 exec, exec, s[34:35]
	s_waitcnt lgkmcnt(0)
	s_mul_i32 s16, s4, s18
	s_add_u32 s4, s16, s30
	s_addc_u32 s5, 0, s31
	v_mov_b64_e32 v[4:5], s[4:5]
	s_waitcnt vmcnt(4)
	v_mad_i64_i32 v[2:3], s[4:5], v2, s17, v[4:5]
	v_lshlrev_b32_e32 v4, 4, v0
	v_and_b32_e32 v26, 0xf0, v4
	v_lshl_add_u64 v[48:49], v[2:3], 0, v[26:27]
	global_load_dwordx4 v[18:21], v[48:49], off
	global_load_dwordx4 v[2:5], v[48:49], off offset:256
	global_load_dwordx4 v[22:25], v[48:49], off offset:512
	;; [unrolled: 1-line block ×7, first 2 shown]
	v_mov_b32_e32 v47, 0
	s_and_saveexec_b64 s[4:5], vcc
	s_cbranch_execz .LBB1249_16
; %bb.15:
	s_load_dwordx2 s[18:19], s[0:1], 0x40
	v_or_b32_e32 v48, s33, v45
	v_mov_b32_e32 v49, 0
	s_waitcnt lgkmcnt(0)
	v_lshl_add_u64 v[48:49], v[48:49], 2, s[18:19]
	global_load_dword v47, v[48:49], off
.LBB1249_16:
	s_or_b64 exec, exec, s[4:5]
	s_waitcnt vmcnt(11)
	v_mul_hi_i32 v26, v43, s17
	v_ashrrev_i32_e32 v26, 31, v26
	v_lshrrev_b32_e32 v48, 29, v26
	v_mov_b32_e32 v49, 0
	v_mad_i64_i32 v[50:51], s[18:19], v43, s17, v[48:49]
	s_waitcnt vmcnt(10)
	v_mul_hi_i32 v43, v42, s17
	v_ashrrev_i32_e32 v43, 31, v43
	v_lshrrev_b32_e32 v48, 29, v43
	s_add_u32 s4, s28, s16
	v_mad_i64_i32 v[42:43], s[18:19], v42, s17, v[48:49]
	s_addc_u32 s5, s29, 0
	v_and_b32_e32 v42, -8, v42
	v_lshlrev_b32_e32 v26, 4, v1
	v_lshl_add_u64 v[42:43], s[4:5], 0, v[42:43]
	v_lshl_add_u64 v[52:53], v[42:43], 0, v[26:27]
	s_waitcnt vmcnt(9)
	v_mul_hi_i32 v42, v29, s17
	v_ashrrev_i32_e32 v42, 31, v42
	v_lshrrev_b32_e32 v48, 29, v42
	v_mad_i64_i32 v[42:43], s[18:19], v29, s17, v[48:49]
	s_waitcnt vmcnt(8)
	v_mul_hi_i32 v29, v28, s17
	v_ashrrev_i32_e32 v29, 31, v29
	v_lshrrev_b32_e32 v48, 29, v29
	v_mad_i64_i32 v[28:29], s[16:17], v28, s17, v[48:49]
	v_and_b32_e32 v50, -8, v50
	v_and_b32_e32 v42, -8, v42
	;; [unrolled: 1-line block ×3, first 2 shown]
	v_lshl_add_u64 v[50:51], s[4:5], 0, v[50:51]
	v_lshl_add_u64 v[42:43], s[4:5], 0, v[42:43]
	;; [unrolled: 1-line block ×6, first 2 shown]
	s_waitcnt vmcnt(7)
	v_cvt_pk_f32_fp8_e32 v[26:27], v18
	v_cvt_pk_f32_fp8_sdwa v[28:29], v18 src0_sel:WORD_1
	s_mov_b32 s4, 0x7060302
	s_waitcnt vmcnt(5)
	v_cvt_pk_f32_fp8_e32 v[48:49], v23
	v_perm_b32 v26, v27, v26, s4
	v_perm_b32 v27, v29, v28, s4
	v_cvt_pk_f32_fp8_e32 v[28:29], v19
	v_cvt_pk_f32_fp8_sdwa v[18:19], v19 src0_sel:WORD_1
	v_mfma_f32_4x4x4_16b_bf16 a[0:3], v[34:35], v[26:27], 0 cbsz:4
	s_load_dword s0, s[0:1], 0x1c
	v_perm_b32 v26, v29, v28, s4
	v_perm_b32 v27, v19, v18, s4
	v_cvt_pk_f32_fp8_e32 v[18:19], v20
	v_cvt_pk_f32_fp8_e32 v[28:29], v21
	v_mfma_f32_4x4x4_16b_bf16 a[0:3], v[36:37], v[26:27], a[0:3] cbsz:4
	v_cvt_pk_f32_fp8_sdwa v[26:27], v20 src0_sel:WORD_1
	v_cvt_pk_f32_fp8_sdwa v[20:21], v21 src0_sel:WORD_1
	v_perm_b32 v18, v19, v18, s4
	s_load_dword s1, s[8:9], 0x0
	v_perm_b32 v19, v27, v26, s4
	v_perm_b32 v26, v29, v28, s4
	;; [unrolled: 1-line block ×3, first 2 shown]
	v_mfma_f32_4x4x4_16b_bf16 a[0:3], v[34:35], v[18:19], a[0:3] cbsz:4 abid:1
	v_cvt_pk_f32_fp8_e32 v[18:19], v2
	v_cvt_pk_f32_fp8_sdwa v[20:21], v2 src0_sel:WORD_1
	v_mfma_f32_4x4x4_16b_bf16 a[0:3], v[36:37], v[26:27], a[0:3] cbsz:4 abid:1
	v_cvt_pk_f32_fp8_e32 v[26:27], v3
	v_cvt_pk_f32_fp8_sdwa v[2:3], v3 src0_sel:WORD_1
	v_perm_b32 v18, v19, v18, s4
	v_perm_b32 v19, v21, v20, s4
	;; [unrolled: 1-line block ×4, first 2 shown]
	v_mfma_f32_4x4x4_16b_bf16 a[0:3], v[34:35], v[18:19], a[0:3] cbsz:4 abid:2
	v_cvt_pk_f32_fp8_e32 v[2:3], v4
	v_cvt_pk_f32_fp8_sdwa v[18:19], v4 src0_sel:WORD_1
	v_mfma_f32_4x4x4_16b_bf16 a[0:3], v[36:37], v[20:21], a[0:3] cbsz:4 abid:2
	v_cvt_pk_f32_fp8_e32 v[26:27], v5
	v_cvt_pk_f32_fp8_sdwa v[4:5], v5 src0_sel:WORD_1
	v_perm_b32 v2, v3, v2, s4
	v_perm_b32 v3, v19, v18, s4
	v_cvt_pk_f32_fp8_sdwa v[28:29], v22 src0_sel:WORD_1
	v_perm_b32 v26, v27, v26, s4
	v_mfma_f32_4x4x4_16b_bf16 a[0:3], v[34:35], v[2:3], a[0:3] cbsz:4 abid:3
	v_cvt_pk_f32_fp8_e32 v[2:3], v22
	v_perm_b32 v27, v5, v4, s4
	v_cvt_pk_f32_fp8_sdwa v[22:23], v23 src0_sel:WORD_1
	global_load_dwordx4 v[18:21], v[50:51], off
	v_mfma_f32_4x4x4_16b_bf16 a[0:3], v[36:37], v[26:27], a[0:3] cbsz:4 abid:3
	v_perm_b32 v26, v3, v2, s4
	global_load_dwordx4 v[2:5], v[50:51], off offset:1024
	v_perm_b32 v27, v29, v28, s4
	v_perm_b32 v28, v49, v48, s4
	;; [unrolled: 1-line block ×3, first 2 shown]
	v_mfma_f32_4x4x4_16b_bf16 a[0:3], v[34:35], v[26:27], a[0:3] cbsz:4 abid:4
	v_cvt_pk_f32_fp8_e32 v[22:23], v24
	v_cvt_pk_f32_fp8_sdwa v[26:27], v24 src0_sel:WORD_1
	v_mfma_f32_4x4x4_16b_bf16 a[0:3], v[36:37], v[28:29], a[0:3] cbsz:4 abid:4
	v_cvt_pk_f32_fp8_e32 v[28:29], v25
	v_cvt_pk_f32_fp8_sdwa v[24:25], v25 src0_sel:WORD_1
	v_perm_b32 v22, v23, v22, s4
	v_perm_b32 v23, v27, v26, s4
	;; [unrolled: 1-line block ×4, first 2 shown]
	v_mfma_f32_4x4x4_16b_bf16 a[0:3], v[34:35], v[22:23], a[0:3] cbsz:4 abid:5
	s_waitcnt vmcnt(6)
	v_cvt_pk_f32_fp8_e32 v[22:23], v6
	v_cvt_pk_f32_fp8_sdwa v[24:25], v6 src0_sel:WORD_1
	v_mfma_f32_4x4x4_16b_bf16 a[0:3], v[36:37], v[26:27], a[0:3] cbsz:4 abid:5
	v_cvt_pk_f32_fp8_e32 v[26:27], v7
	v_cvt_pk_f32_fp8_sdwa v[28:29], v7 src0_sel:WORD_1
	v_perm_b32 v6, v23, v22, s4
	v_perm_b32 v7, v25, v24, s4
	v_perm_b32 v26, v27, v26, s4
	v_perm_b32 v27, v29, v28, s4
	v_mfma_f32_4x4x4_16b_bf16 a[0:3], v[34:35], v[6:7], a[0:3] cbsz:4 abid:6
	v_cvt_pk_f32_fp8_sdwa v[28:29], v8 src0_sel:WORD_1
	v_cvt_pk_f32_fp8_e32 v[48:49], v9
	v_mfma_f32_4x4x4_16b_bf16 a[0:3], v[36:37], v[26:27], a[0:3] cbsz:4 abid:6
	v_cvt_pk_f32_fp8_e32 v[26:27], v8
	v_cvt_pk_f32_fp8_sdwa v[50:51], v9 src0_sel:WORD_1
	global_load_dwordx4 v[22:25], v[52:53], off
	global_load_dwordx4 v[6:9], v[52:53], off offset:1024
	v_perm_b32 v26, v27, v26, s4
	v_perm_b32 v27, v29, v28, s4
	;; [unrolled: 1-line block ×4, first 2 shown]
	v_mfma_f32_4x4x4_16b_bf16 a[0:3], v[34:35], v[26:27], a[0:3] cbsz:4 abid:7
	s_waitcnt vmcnt(7)
	v_cvt_pk_f32_fp8_e32 v[26:27], v10
	v_cvt_pk_f32_fp8_e32 v[48:49], v11
	v_mfma_f32_4x4x4_16b_bf16 a[0:3], v[36:37], v[28:29], a[0:3] cbsz:4 abid:7
	v_cvt_pk_f32_fp8_sdwa v[28:29], v10 src0_sel:WORD_1
	v_cvt_pk_f32_fp8_sdwa v[10:11], v11 src0_sel:WORD_1
	v_perm_b32 v26, v27, v26, s4
	s_waitcnt vmcnt(6)
	v_cvt_pk_f32_fp8_sdwa v[50:51], v30 src0_sel:WORD_1
	v_perm_b32 v27, v29, v28, s4
	v_perm_b32 v29, v11, v10, s4
	v_cvt_pk_f32_fp8_e32 v[10:11], v12
	v_mfma_f32_4x4x4_16b_bf16 a[0:3], v[34:35], v[26:27], a[0:3] cbsz:4 abid:8
	v_cvt_pk_f32_fp8_sdwa v[26:27], v12 src0_sel:WORD_1
	v_perm_b32 v28, v49, v48, s4
	v_cvt_pk_f32_fp8_e32 v[48:49], v13
	v_cvt_pk_f32_fp8_sdwa v[12:13], v13 src0_sel:WORD_1
	v_mfma_f32_4x4x4_16b_bf16 a[0:3], v[36:37], v[28:29], a[0:3] cbsz:4 abid:8
	v_perm_b32 v10, v11, v10, s4
	v_perm_b32 v11, v27, v26, s4
	;; [unrolled: 1-line block ×4, first 2 shown]
	v_mfma_f32_4x4x4_16b_bf16 a[0:3], v[34:35], v[10:11], a[0:3] cbsz:4 abid:9
	v_cvt_pk_f32_fp8_e32 v[10:11], v30
	v_cvt_pk_f32_fp8_e32 v[52:53], v31
	v_cvt_pk_f32_fp8_sdwa v[30:31], v31 src0_sel:WORD_1
	v_mfma_f32_4x4x4_16b_bf16 a[0:3], v[36:37], v[48:49], a[0:3] cbsz:4 abid:9
	v_perm_b32 v48, v11, v10, s4
	v_perm_b32 v49, v51, v50, s4
	;; [unrolled: 1-line block ×4, first 2 shown]
	v_mfma_f32_4x4x4_16b_bf16 a[0:3], v[34:35], v[48:49], a[0:3] cbsz:4 abid:10
	v_cvt_pk_f32_fp8_e32 v[30:31], v32
	v_cvt_pk_f32_fp8_sdwa v[48:49], v32 src0_sel:WORD_1
	v_mfma_f32_4x4x4_16b_bf16 a[0:3], v[36:37], v[50:51], a[0:3] cbsz:4 abid:10
	v_cvt_pk_f32_fp8_e32 v[50:51], v33
	v_cvt_pk_f32_fp8_sdwa v[32:33], v33 src0_sel:WORD_1
	v_perm_b32 v30, v31, v30, s4
	v_perm_b32 v31, v49, v48, s4
	;; [unrolled: 1-line block ×4, first 2 shown]
	v_mfma_f32_4x4x4_16b_bf16 a[0:3], v[34:35], v[30:31], a[0:3] cbsz:4 abid:11
	s_waitcnt vmcnt(5)
	v_cvt_pk_f32_fp8_e32 v[30:31], v14
	v_cvt_pk_f32_fp8_sdwa v[32:33], v14 src0_sel:WORD_1
	v_mfma_f32_4x4x4_16b_bf16 a[0:3], v[36:37], v[48:49], a[0:3] cbsz:4 abid:11
	v_cvt_pk_f32_fp8_e32 v[48:49], v15
	v_cvt_pk_f32_fp8_sdwa v[50:51], v15 src0_sel:WORD_1
	v_perm_b32 v14, v31, v30, s4
	v_perm_b32 v15, v33, v32, s4
	;; [unrolled: 1-line block ×4, first 2 shown]
	v_mfma_f32_4x4x4_16b_bf16 a[0:3], v[34:35], v[14:15], a[0:3] cbsz:4 abid:12
	global_load_dwordx4 v[26:29], v[54:55], off
	global_load_dwordx4 v[10:13], v[54:55], off offset:1024
	global_load_dwordx4 v[30:33], v[42:43], off
	v_mfma_f32_4x4x4_16b_bf16 a[0:3], v[36:37], v[48:49], a[0:3] cbsz:4 abid:12
	v_cvt_pk_f32_fp8_e32 v[48:49], v16
	v_cvt_pk_f32_fp8_sdwa v[50:51], v16 src0_sel:WORD_1
	v_cvt_pk_f32_fp8_e32 v[52:53], v17
	v_cvt_pk_f32_fp8_sdwa v[54:55], v17 src0_sel:WORD_1
	global_load_dwordx4 v[14:17], v[42:43], off offset:1024
	v_perm_b32 v42, v49, v48, s4
	v_perm_b32 v43, v51, v50, s4
	;; [unrolled: 1-line block ×4, first 2 shown]
	v_mfma_f32_4x4x4_16b_bf16 a[0:3], v[34:35], v[42:43], a[0:3] cbsz:4 abid:13
	s_waitcnt vmcnt(8)
	v_cvt_pk_f32_fp8_e32 v[42:43], v38
	v_cvt_pk_f32_fp8_e32 v[50:51], v39
	v_mfma_f32_4x4x4_16b_bf16 a[0:3], v[36:37], v[48:49], a[0:3] cbsz:4 abid:13
	v_cvt_pk_f32_fp8_sdwa v[48:49], v38 src0_sel:WORD_1
	v_perm_b32 v38, v43, v42, s4
	v_cvt_pk_f32_fp8_sdwa v[42:43], v39 src0_sel:WORD_1
	v_cmp_eq_u32_e32 vcc, 0, v45
	v_perm_b32 v39, v49, v48, s4
	v_perm_b32 v48, v51, v50, s4
	;; [unrolled: 1-line block ×3, first 2 shown]
	v_mfma_f32_4x4x4_16b_bf16 a[0:3], v[34:35], v[38:39], a[0:3] cbsz:4 abid:14
	v_cvt_pk_f32_fp8_e32 v[38:39], v40
	v_cvt_pk_f32_fp8_sdwa v[42:43], v40 src0_sel:WORD_1
	v_mfma_f32_4x4x4_16b_bf16 a[0:3], v[36:37], v[48:49], a[0:3] cbsz:4 abid:14
	v_cvt_pk_f32_fp8_e32 v[48:49], v41
	v_cvt_pk_f32_fp8_sdwa v[40:41], v41 src0_sel:WORD_1
	v_perm_b32 v38, v39, v38, s4
	v_perm_b32 v39, v43, v42, s4
	;; [unrolled: 1-line block ×4, first 2 shown]
	v_mfma_f32_4x4x4_16b_bf16 a[0:3], v[34:35], v[38:39], a[0:3] cbsz:4 abid:15
	s_waitcnt lgkmcnt(0)
	v_mov_b32_e32 v34, s0
	v_mov_b32_e32 v41, 0xff7fffff
	v_mfma_f32_4x4x4_16b_bf16 a[0:3], v[36:37], v[42:43], a[0:3] cbsz:4 abid:15
	v_mul_f32_e32 v36, s1, v34
	s_nop 3
	v_accvgpr_read_b32 v39, a1
	v_accvgpr_read_b32 v38, a0
	v_pk_mul_f32 v[38:39], v[38:39], v[36:37] op_sel_hi:[1,0]
	v_accvgpr_read_b32 v35, a3
	v_accvgpr_read_b32 v34, a2
	v_pk_mul_f32 v[34:35], v[34:35], v[36:37] op_sel_hi:[1,0]
	v_cndmask_b32_e64 v36, 0, 1.0, vcc
	v_cmp_eq_u32_e32 vcc, 1, v45
	s_nop 0
	v_mfma_f32_4x4x1_16b_f32 a[0:3], v38, v36, 0
	v_cndmask_b32_e64 v36, 0, 1.0, vcc
	v_cmp_eq_u32_e32 vcc, 2, v45
	s_nop 0
	v_mfma_f32_4x4x1_16b_f32 a[0:3], v39, v36, a[0:3]
	;; [unrolled: 4-line block ×3, first 2 shown]
	v_cndmask_b32_e64 v34, 0, 1.0, vcc
	s_nop 1
	v_mfma_f32_4x4x1_16b_f32 a[0:3], v35, v34, a[0:3]
	v_and_b32_e32 v34, -4, v46
	v_subrev_u32_e32 v35, s3, v34
	v_add_u32_e32 v36, 1, v35
	v_cvt_f32_i32_e32 v36, v36
	v_add_u32_e32 v37, 2, v35
	v_cvt_f32_i32_e32 v37, v37
	v_accvgpr_read_b32 v38, a0
	v_fma_f32 v36, v47, v36, v38
	v_accvgpr_read_b32 v38, a1
	v_fma_f32 v37, v47, v37, v38
	v_add_u32_e32 v38, 3, v35
	v_cvt_f32_i32_e32 v38, v38
	v_add_u32_e32 v35, 4, v35
	v_max_f32_e32 v40, 0xff7fffff, v36
	v_cmp_gt_i32_e32 vcc, s3, v34
	v_cvt_f32_i32_e32 v35, v35
	v_accvgpr_read_b32 v39, a2
	v_cndmask_b32_e32 v40, v41, v40, vcc
	v_or_b32_e32 v41, 1, v34
	v_max_f32_e32 v42, v40, v37
	v_cmp_gt_i32_e64 s[0:1], s3, v41
	v_fma_f32 v38, v47, v38, v39
	v_or_b32_e32 v34, 2, v34
	v_cndmask_b32_e64 v40, v40, v42, s[0:1]
	v_accvgpr_read_b32 v39, a3
	v_max_f32_e32 v41, v40, v38
	v_cmp_gt_i32_e64 s[4:5], s3, v34
	v_fmac_f32_e32 v39, v47, v35
	v_lshlrev_b32_e32 v35, 2, v0
	v_cndmask_b32_e64 v34, v40, v41, s[4:5]
	v_or_b32_e32 v40, 3, v46
	v_max_f32_e32 v41, v34, v39
	v_cmp_gt_i32_e64 s[8:9], s3, v40
	v_and_or_b32 v35, v35, 48, v45
	v_lshlrev_b32_e32 v40, 2, v35
	v_cndmask_b32_e64 v34, v34, v41, s[8:9]
	;;#ASMSTART
	v_nop
 v_nop
 v_max_f32_dpp v34, v34, v34 row_ror:4
	;;#ASMEND
	s_nop 0
	;;#ASMSTART
	v_nop
 v_nop
 v_max_f32_dpp v34, v34, v34 row_ror:8
	;;#ASMEND
	ds_bpermute_b32 v34, v40, v34
	s_waitcnt lgkmcnt(0)
	;;#ASMSTART
	v_nop
 v_nop
 v_max_f32_dpp v34, v34, v34 row_ror:4
	;;#ASMEND
	s_nop 0
	;;#ASMSTART
	v_nop
 v_nop
 v_max_f32_dpp v41, v34, v34 row_ror:8
	;;#ASMEND
	s_nop 0
	v_sub_f32_e32 v34, v36, v41
	v_mul_f32_e32 v34, 0x3fb8aa3b, v34
	v_sub_f32_e32 v35, v37, v41
	v_exp_f32_e32 v34, v34
	v_mul_f32_e32 v35, 0x3fb8aa3b, v35
	v_sub_f32_e32 v37, v38, v41
	v_exp_f32_e32 v35, v35
	;; [unrolled: 3-line block ×3, first 2 shown]
	v_mul_f32_e32 v38, 0x3fb8aa3b, v38
	v_exp_f32_e32 v38, v38
	v_cndmask_b32_e32 v34, 0, v34, vcc
	v_add_f32_e32 v36, 0, v34
	v_cndmask_b32_e64 v35, 0, v35, s[0:1]
	v_add_f32_e32 v39, v36, v35
	v_cndmask_b32_e64 v36, 0, v37, s[4:5]
	;; [unrolled: 2-line block ×3, first 2 shown]
	v_add_f32_e32 v38, v39, v37
	;;#ASMSTART
	v_nop
 v_nop
 v_add_f32_dpp v38, v38, v38 row_ror:4
	;;#ASMEND
	v_cmp_gt_u32_e32 vcc, 4, v1
	;;#ASMSTART
	v_nop
 v_nop
 v_add_f32_dpp v38, v38, v38 row_ror:8
	;;#ASMEND
	ds_bpermute_b32 v38, v40, v38
	s_waitcnt lgkmcnt(0)
	;;#ASMSTART
	v_nop
 v_nop
 v_add_f32_dpp v38, v38, v38 row_ror:4
	;;#ASMEND
	s_nop 0
	;;#ASMSTART
	v_nop
 v_nop
 v_add_f32_dpp v38, v38, v38 row_ror:8
	;;#ASMEND
	s_and_saveexec_b64 s[0:1], vcc
	s_cbranch_execz .LBB1249_18
; %bb.17:
	v_mul_u32_u24_e32 v39, 20, v44
	v_lshl_add_u32 v39, v45, 2, v39
	v_add_u32_e32 v39, 0x1400, v39
	ds_write2_b32 v39, v41, v38 offset1:20
.LBB1249_18:
	s_or_b64 exec, exec, s[0:1]
.LBB1249_19:
	s_or_b64 exec, exec, s[26:27]
	s_waitcnt lgkmcnt(0)
	s_barrier
	s_load_dword s0, s[24:25], 0x8
	v_lshlrev_b32_e32 v38, 2, v45
	v_add_u32_e32 v40, 0x1400, v38
	ds_read2_b32 v[38:39], v40 offset1:5
	ds_read2_b32 v[46:47], v40 offset0:10 offset1:15
	s_mul_i32 s1, s2, s38
	s_waitcnt lgkmcnt(0)
	s_mul_i32 s1, s1, s0
	s_lshl_b32 s0, s1, 1
	s_mov_b32 s1, 0xff7fffff
	v_max3_f32 v42, v38, s1, v39
	v_max3_f32 v42, v42, v46, v47
	v_sub_f32_e32 v38, v38, v42
	v_mul_f32_e32 v38, 0x3fb8aa3b, v38
	v_exp_f32_e32 v43, v38
	v_sub_f32_e32 v38, v39, v42
	ds_read2_b32 v[48:49], v40 offset0:20 offset1:25
	v_mul_f32_e32 v38, 0x3fb8aa3b, v38
	v_exp_f32_e32 v50, v38
	ds_read2_b32 v[38:39], v40 offset0:30 offset1:35
	v_sub_f32_e32 v40, v46, v42
	v_mul_f32_e32 v40, 0x3fb8aa3b, v40
	v_sub_f32_e32 v46, v47, v42
	v_exp_f32_e32 v40, v40
	v_mul_f32_e32 v46, 0x3fb8aa3b, v46
	v_exp_f32_e32 v46, v46
	s_waitcnt lgkmcnt(1)
	v_fma_f32 v43, v43, v48, 0
	v_fmac_f32_e32 v43, v50, v49
	s_waitcnt lgkmcnt(0)
	v_fmac_f32_e32 v43, v40, v38
	v_fmac_f32_e32 v43, v46, v39
	v_cmp_gt_u32_e32 vcc, 2, v45
	s_and_saveexec_b64 s[2:3], vcc
	s_cbranch_execz .LBB1249_21
; %bb.20:
	s_mov_b32 s1, 0
	s_lshl_b64 s[4:5], s[0:1], 2
	s_add_u32 s12, s12, s4
	s_mov_b32 s21, s1
	s_addc_u32 s13, s13, s5
	s_lshl_b64 s[8:9], s[20:21], 2
	s_add_u32 s12, s12, s8
	s_addc_u32 s13, s13, s9
	s_add_u32 s1, s14, s4
	s_addc_u32 s5, s15, s5
	v_or_b32_e32 v38, s33, v45
	s_add_u32 s4, s1, s8
	v_mul_lo_u32 v38, s38, v38
	v_mov_b32_e32 v39, 0
	s_addc_u32 s5, s5, s9
	v_lshlrev_b64 v[38:39], 2, v[38:39]
	v_lshl_add_u64 v[46:47], s[12:13], 0, v[38:39]
	v_lshl_add_u64 v[38:39], s[4:5], 0, v[38:39]
	global_store_dword v[38:39], v42, off
	global_store_dword v[46:47], v43, off
.LBB1249_21:
	s_or_b64 exec, exec, s[2:3]
	v_lshlrev_b32_e32 v40, 3, v44
                                        ; implicit-def: $sgpr1
	s_and_saveexec_b64 s[2:3], s[6:7]
	s_xor_b64 s[2:3], exec, s[2:3]
	s_cbranch_execz .LBB1249_23
; %bb.22:
	s_waitcnt vmcnt(6)
	v_mov_b32_e32 v2, 0
	v_mad_u32_u24 v4, v1, 40, v40
	s_mov_b32 s1, 0
	v_mov_b32_e32 v3, v2
	ds_write_b64 v4, v[2:3]
                                        ; implicit-def: $vgpr37
                                        ; implicit-def: $vgpr35
                                        ; implicit-def: $vgpr41
                                        ; implicit-def: $vgpr18_vgpr19
                                        ; implicit-def: $vgpr22_vgpr23
                                        ; implicit-def: $vgpr26_vgpr27
                                        ; implicit-def: $vgpr30_vgpr31
                                        ; implicit-def: $vgpr2_vgpr3
                                        ; implicit-def: $vgpr6_vgpr7
                                        ; implicit-def: $vgpr10_vgpr11
                                        ; implicit-def: $vgpr14_vgpr15
                                        ; implicit-def: $vgpr42
                                        ; implicit-def: $vgpr43
.LBB1249_23:
	s_or_saveexec_b64 s[2:3], s[2:3]
	v_mov_b32_e32 v38, s1
	v_mov_b32_e32 v39, s1
	s_xor_b64 exec, exec, s[2:3]
	s_cbranch_execz .LBB1249_25
; %bb.24:
	v_add_f32_e32 v38, 0x358637bd, v43
	v_div_scale_f32 v39, s[4:5], v38, v38, 1.0
	v_rcp_f32_e32 v43, v39
	v_sub_f32_e32 v41, v41, v42
	v_mul_f32_e32 v41, 0x3fb8aa3b, v41
	v_exp_f32_e32 v41, v41
	v_fma_f32 v42, -v39, v43, 1.0
	v_fmac_f32_e32 v43, v42, v43
	v_div_scale_f32 v42, vcc, 1.0, v38, 1.0
	v_mul_f32_e32 v44, v42, v43
	v_fma_f32 v45, -v39, v44, v42
	v_fmac_f32_e32 v44, v45, v43
	v_fma_f32 v39, -v39, v44, v42
	v_div_fmas_f32 v39, v39, v43, v44
	v_div_fixup_f32 v38, v39, v38, 1.0
	v_mul_f32_e32 v38, v41, v38
	v_pk_mul_f32 v[34:35], v[34:35], v[38:39] op_sel_hi:[1,0]
	v_pk_mul_f32 v[36:37], v[36:37], v[38:39] op_sel_hi:[1,0]
	v_bfe_u32 v38, v35, 16, 1
	v_bfe_u32 v39, v34, 16, 1
	s_movk_i32 s1, 0x7fff
	v_add3_u32 v34, v34, v39, s1
	v_add3_u32 v35, v35, v38, s1
	s_mov_b32 s5, 0x7060302
	v_perm_b32 v34, v35, v34, s5
	v_bfe_u32 v35, v37, 16, 1
	v_bfe_u32 v38, v36, 16, 1
	v_add3_u32 v36, v36, v38, s1
	v_add3_u32 v35, v37, v35, s1
	v_perm_b32 v35, v35, v36, s5
	s_waitcnt vmcnt(7)
	v_cvt_pk_f32_fp8_e32 v[36:37], v18
	v_cvt_pk_f32_fp8_sdwa v[38:39], v18 src0_sel:WORD_1
	v_cvt_pk_f32_fp8_e32 v[42:43], v19
	v_cvt_pk_f32_fp8_sdwa v[18:19], v19 src0_sel:WORD_1
	v_perm_b32 v36, v37, v36, s5
	v_perm_b32 v37, v39, v38, s5
	;; [unrolled: 1-line block ×4, first 2 shown]
	v_mfma_f32_4x4x4_16b_bf16 a[0:3], v[34:35], v[36:37], 0 cbsz:4
	v_cvt_pk_f32_fp8_e32 v[18:19], v20
	v_cvt_pk_f32_fp8_sdwa v[36:37], v20 src0_sel:WORD_1
	v_mfma_f32_4x4x4_16b_bf16 a[0:3], v[34:35], v[38:39], a[0:3] cbsz:4 abid:1
	v_cvt_pk_f32_fp8_e32 v[38:39], v21
	v_cvt_pk_f32_fp8_sdwa v[20:21], v21 src0_sel:WORD_1
	v_perm_b32 v18, v19, v18, s5
	v_perm_b32 v19, v37, v36, s5
	;; [unrolled: 1-line block ×4, first 2 shown]
	v_mfma_f32_4x4x4_16b_bf16 a[0:3], v[34:35], v[18:19], a[0:3] cbsz:4 abid:2
	s_waitcnt vmcnt(5)
	v_cvt_pk_f32_fp8_e32 v[18:19], v22
	v_cvt_pk_f32_fp8_sdwa v[20:21], v22 src0_sel:WORD_1
	v_mfma_f32_4x4x4_16b_bf16 a[0:3], v[34:35], v[36:37], a[0:3] cbsz:4 abid:3
	v_cvt_pk_f32_fp8_e32 v[36:37], v23
	v_cvt_pk_f32_fp8_sdwa v[22:23], v23 src0_sel:WORD_1
	v_perm_b32 v18, v19, v18, s5
	v_perm_b32 v19, v21, v20, s5
	v_perm_b32 v20, v37, v36, s5
	v_perm_b32 v21, v23, v22, s5
	v_mfma_f32_4x4x4_16b_bf16 a[0:3], v[34:35], v[18:19], a[0:3] cbsz:4 abid:4
	v_cvt_pk_f32_fp8_e32 v[18:19], v24
	v_cvt_pk_f32_fp8_e32 v[22:23], v25
	v_mfma_f32_4x4x4_16b_bf16 a[0:3], v[34:35], v[20:21], a[0:3] cbsz:4 abid:5
	v_cvt_pk_f32_fp8_sdwa v[20:21], v24 src0_sel:WORD_1
	v_cvt_pk_f32_fp8_sdwa v[24:25], v25 src0_sel:WORD_1
	v_perm_b32 v18, v19, v18, s5
	s_load_dword s4, s[10:11], 0x0
	v_perm_b32 v19, v21, v20, s5
	v_perm_b32 v20, v23, v22, s5
	;; [unrolled: 1-line block ×3, first 2 shown]
	v_mfma_f32_4x4x4_16b_bf16 a[0:3], v[34:35], v[18:19], a[0:3] cbsz:4 abid:6
	s_waitcnt vmcnt(3)
	v_cvt_pk_f32_fp8_e32 v[18:19], v26
	v_cvt_pk_f32_fp8_e32 v[22:23], v27
	v_mfma_f32_4x4x4_16b_bf16 a[0:3], v[34:35], v[20:21], a[0:3] cbsz:4 abid:7
	v_cvt_pk_f32_fp8_sdwa v[20:21], v26 src0_sel:WORD_1
	v_cvt_pk_f32_fp8_sdwa v[24:25], v27 src0_sel:WORD_1
	v_perm_b32 v18, v19, v18, s5
	v_perm_b32 v19, v21, v20, s5
	v_perm_b32 v20, v23, v22, s5
	s_nop 0
	v_mfma_f32_4x4x4_16b_bf16 a[0:3], v[34:35], v[18:19], a[0:3] cbsz:4 abid:8
	v_perm_b32 v21, v25, v24, s5
	v_cvt_pk_f32_fp8_e32 v[18:19], v28
	v_cvt_pk_f32_fp8_e32 v[22:23], v29
	v_mfma_f32_4x4x4_16b_bf16 a[0:3], v[34:35], v[20:21], a[0:3] cbsz:4 abid:9
	v_cvt_pk_f32_fp8_sdwa v[20:21], v28 src0_sel:WORD_1
	v_cvt_pk_f32_fp8_sdwa v[24:25], v29 src0_sel:WORD_1
	v_perm_b32 v18, v19, v18, s5
	v_perm_b32 v19, v21, v20, s5
	;; [unrolled: 1-line block ×3, first 2 shown]
	s_nop 0
	v_mfma_f32_4x4x4_16b_bf16 a[0:3], v[34:35], v[18:19], a[0:3] cbsz:4 abid:10
	v_perm_b32 v21, v25, v24, s5
	s_waitcnt vmcnt(1)
	v_cvt_pk_f32_fp8_e32 v[18:19], v30
	v_cvt_pk_f32_fp8_e32 v[22:23], v31
	v_mfma_f32_4x4x4_16b_bf16 a[0:3], v[34:35], v[20:21], a[0:3] cbsz:4 abid:11
	v_cvt_pk_f32_fp8_sdwa v[20:21], v30 src0_sel:WORD_1
	v_cvt_pk_f32_fp8_sdwa v[24:25], v31 src0_sel:WORD_1
	v_perm_b32 v18, v19, v18, s5
	v_perm_b32 v19, v21, v20, s5
	;; [unrolled: 1-line block ×3, first 2 shown]
	s_nop 0
	v_mfma_f32_4x4x4_16b_bf16 a[0:3], v[34:35], v[18:19], a[0:3] cbsz:4 abid:12
	v_perm_b32 v21, v25, v24, s5
	v_cvt_pk_f32_fp8_e32 v[18:19], v32
	v_cvt_pk_f32_fp8_e32 v[22:23], v33
	v_mfma_f32_4x4x4_16b_bf16 a[0:3], v[34:35], v[20:21], a[0:3] cbsz:4 abid:13
	v_cvt_pk_f32_fp8_sdwa v[20:21], v32 src0_sel:WORD_1
	v_cvt_pk_f32_fp8_sdwa v[24:25], v33 src0_sel:WORD_1
	v_perm_b32 v18, v19, v18, s5
	v_perm_b32 v19, v21, v20, s5
	;; [unrolled: 1-line block ×3, first 2 shown]
	s_nop 0
	v_mfma_f32_4x4x4_16b_bf16 a[0:3], v[34:35], v[18:19], a[0:3] cbsz:4 abid:14
	v_perm_b32 v21, v25, v24, s5
	s_nop 1
	v_mfma_f32_4x4x4_16b_bf16 a[0:3], v[34:35], v[20:21], a[0:3] cbsz:4 abid:15
	s_nop 4
	v_accvgpr_read_b32 v21, a1
	v_accvgpr_read_b32 v20, a0
	s_waitcnt lgkmcnt(0)
	v_pk_mul_f32 v[20:21], v[20:21], s[4:5] op_sel_hi:[1,0]
	v_accvgpr_read_b32 v19, a3
	v_accvgpr_read_b32 v18, a2
	v_bfe_u32 v22, v21, 16, 1
	v_bfe_u32 v23, v20, 16, 1
	v_pk_mul_f32 v[18:19], v[18:19], s[4:5] op_sel_hi:[1,0]
	v_add3_u32 v20, v20, v23, s1
	v_add3_u32 v21, v21, v22, s1
	v_perm_b32 v20, v21, v20, s5
	v_bfe_u32 v21, v19, 16, 1
	v_bfe_u32 v22, v18, 16, 1
	v_add3_u32 v18, v18, v22, s1
	v_add3_u32 v19, v19, v21, s1
	v_perm_b32 v21, v19, v18, s5
	v_mad_u32_u24 v18, v1, 40, v40
	ds_write_b64 v18, v[20:21]
	v_cvt_pk_f32_fp8_e32 v[18:19], v2
	v_cvt_pk_f32_fp8_sdwa v[20:21], v2 src0_sel:WORD_1
	v_cvt_pk_f32_fp8_e32 v[22:23], v3
	v_cvt_pk_f32_fp8_sdwa v[2:3], v3 src0_sel:WORD_1
	v_perm_b32 v18, v19, v18, s5
	v_perm_b32 v19, v21, v20, s5
	;; [unrolled: 1-line block ×4, first 2 shown]
	v_mfma_f32_4x4x4_16b_bf16 a[0:3], v[34:35], v[18:19], 0 cbsz:4
	v_cvt_pk_f32_fp8_e32 v[2:3], v4
	v_cvt_pk_f32_fp8_sdwa v[18:19], v4 src0_sel:WORD_1
	v_mfma_f32_4x4x4_16b_bf16 a[0:3], v[34:35], v[20:21], a[0:3] cbsz:4 abid:1
	v_cvt_pk_f32_fp8_e32 v[20:21], v5
	v_cvt_pk_f32_fp8_sdwa v[4:5], v5 src0_sel:WORD_1
	v_perm_b32 v2, v3, v2, s5
	v_perm_b32 v3, v19, v18, s5
	;; [unrolled: 1-line block ×4, first 2 shown]
	v_mfma_f32_4x4x4_16b_bf16 a[0:3], v[34:35], v[2:3], a[0:3] cbsz:4 abid:2
	v_cvt_pk_f32_fp8_e32 v[2:3], v6
	v_cvt_pk_f32_fp8_sdwa v[4:5], v6 src0_sel:WORD_1
	v_mfma_f32_4x4x4_16b_bf16 a[0:3], v[34:35], v[18:19], a[0:3] cbsz:4 abid:3
	v_cvt_pk_f32_fp8_e32 v[18:19], v7
	v_cvt_pk_f32_fp8_sdwa v[6:7], v7 src0_sel:WORD_1
	v_perm_b32 v2, v3, v2, s5
	v_perm_b32 v3, v5, v4, s5
	v_perm_b32 v4, v19, v18, s5
	v_perm_b32 v5, v7, v6, s5
	v_mfma_f32_4x4x4_16b_bf16 a[0:3], v[34:35], v[2:3], a[0:3] cbsz:4 abid:4
	v_cvt_pk_f32_fp8_e32 v[2:3], v8
	v_cvt_pk_f32_fp8_e32 v[6:7], v9
	v_mfma_f32_4x4x4_16b_bf16 a[0:3], v[34:35], v[4:5], a[0:3] cbsz:4 abid:5
	v_cvt_pk_f32_fp8_sdwa v[4:5], v8 src0_sel:WORD_1
	v_cvt_pk_f32_fp8_sdwa v[8:9], v9 src0_sel:WORD_1
	v_perm_b32 v2, v3, v2, s5
	v_perm_b32 v3, v5, v4, s5
	v_perm_b32 v4, v7, v6, s5
	s_nop 0
	v_mfma_f32_4x4x4_16b_bf16 a[0:3], v[34:35], v[2:3], a[0:3] cbsz:4 abid:6
	v_perm_b32 v5, v9, v8, s5
	v_cvt_pk_f32_fp8_e32 v[2:3], v10
	v_cvt_pk_f32_fp8_e32 v[6:7], v11
	v_mfma_f32_4x4x4_16b_bf16 a[0:3], v[34:35], v[4:5], a[0:3] cbsz:4 abid:7
	v_cvt_pk_f32_fp8_sdwa v[4:5], v10 src0_sel:WORD_1
	v_cvt_pk_f32_fp8_sdwa v[8:9], v11 src0_sel:WORD_1
	v_perm_b32 v2, v3, v2, s5
	v_perm_b32 v3, v5, v4, s5
	v_perm_b32 v4, v7, v6, s5
	s_nop 0
	v_mfma_f32_4x4x4_16b_bf16 a[0:3], v[34:35], v[2:3], a[0:3] cbsz:4 abid:8
	v_perm_b32 v5, v9, v8, s5
	;; [unrolled: 11-line block ×3, first 2 shown]
	s_waitcnt vmcnt(0)
	v_cvt_pk_f32_fp8_e32 v[2:3], v14
	v_cvt_pk_f32_fp8_e32 v[6:7], v15
	v_mfma_f32_4x4x4_16b_bf16 a[0:3], v[34:35], v[4:5], a[0:3] cbsz:4 abid:11
	v_cvt_pk_f32_fp8_sdwa v[4:5], v14 src0_sel:WORD_1
	v_cvt_pk_f32_fp8_sdwa v[8:9], v15 src0_sel:WORD_1
	v_perm_b32 v2, v3, v2, s5
	v_perm_b32 v3, v5, v4, s5
	v_perm_b32 v4, v7, v6, s5
	s_nop 0
	v_mfma_f32_4x4x4_16b_bf16 a[0:3], v[34:35], v[2:3], a[0:3] cbsz:4 abid:12
	v_perm_b32 v5, v9, v8, s5
	v_cvt_pk_f32_fp8_e32 v[2:3], v16
	v_cvt_pk_f32_fp8_e32 v[6:7], v17
	v_mfma_f32_4x4x4_16b_bf16 a[0:3], v[34:35], v[4:5], a[0:3] cbsz:4 abid:13
	v_cvt_pk_f32_fp8_sdwa v[4:5], v16 src0_sel:WORD_1
	v_cvt_pk_f32_fp8_sdwa v[8:9], v17 src0_sel:WORD_1
	v_perm_b32 v2, v3, v2, s5
	v_perm_b32 v3, v5, v4, s5
	v_perm_b32 v4, v7, v6, s5
	s_nop 0
	v_mfma_f32_4x4x4_16b_bf16 a[0:3], v[34:35], v[2:3], a[0:3] cbsz:4 abid:14
	v_perm_b32 v5, v9, v8, s5
	s_nop 1
	v_mfma_f32_4x4x4_16b_bf16 a[0:3], v[34:35], v[4:5], a[0:3] cbsz:4 abid:15
	s_nop 4
	v_accvgpr_read_b32 v5, a1
	v_accvgpr_read_b32 v4, a0
	;; [unrolled: 1-line block ×4, first 2 shown]
	v_pk_mul_f32 v[4:5], v[4:5], s[4:5] op_sel_hi:[1,0]
	v_pk_mul_f32 v[2:3], v[2:3], s[4:5] op_sel_hi:[1,0]
	v_bfe_u32 v6, v5, 16, 1
	v_bfe_u32 v7, v4, 16, 1
	v_add3_u32 v4, v4, v7, s1
	v_add3_u32 v5, v5, v6, s1
	v_bfe_u32 v6, v3, 16, 1
	v_bfe_u32 v7, v2, 16, 1
	v_add3_u32 v2, v2, v7, s1
	v_add3_u32 v3, v3, v6, s1
	v_perm_b32 v39, v3, v2, s5
	v_perm_b32 v38, v5, v4, s5
.LBB1249_25:
	s_or_b64 exec, exec, s[2:3]
	s_waitcnt vmcnt(6)
	v_mad_u32_u24 v2, v1, 40, v40
	v_cmp_gt_u32_e32 vcc, 64, v0
	ds_write_b64 v2, v[38:39] offset:2560
	s_waitcnt lgkmcnt(0)
	s_barrier
	s_and_saveexec_b64 s[2:3], vcc
	s_cbranch_execz .LBB1249_27
; %bb.26:
	s_waitcnt vmcnt(4)
	v_mul_u32_u24_e32 v6, 40, v1
	ds_read2_b64 v[2:5], v6 offset1:1
	ds_read2_b64 v[6:9], v6 offset0:2 offset1:3
	s_mov_b32 s1, 0
	s_lshl_b32 s0, s0, 7
	s_lshl_b64 s[2:3], s[0:1], 1
	s_waitcnt lgkmcnt(1)
	v_and_b32_e32 v3, 0xffff0000, v2
	v_add_f32_e32 v3, 0, v3
	v_and_b32_e32 v5, 0xffff0000, v4
	v_and_b32_e32 v3, 0xffff0000, v3
	v_add_f32_e32 v3, v3, v5
	s_waitcnt lgkmcnt(0)
	v_and_b32_e32 v7, 0xffff0000, v6
	v_and_b32_e32 v3, 0xffff0000, v3
	v_add_f32_e32 v3, v3, v7
	v_mov_b32_e32 v7, 0xa00
	v_mad_u32_u24 v7, v1, 40, v7
	s_waitcnt vmcnt(2)
	ds_read2_b64 v[10:13], v7 offset1:1
	v_and_b32_e32 v3, 0xffff0000, v3
	v_and_b32_e32 v5, 0xffff0000, v8
	v_add_f32_e32 v7, v3, v5
	v_mov_b32_e32 v3, 0xa10
	v_mad_u32_u24 v1, v1, 40, v3
	s_waitcnt vmcnt(0)
	ds_read2_b64 v[14:17], v1 offset1:1
	s_waitcnt lgkmcnt(1)
	v_lshlrev_b32_e32 v1, 16, v10
	v_add_f32_e32 v1, 0, v1
	v_and_b32_e32 v3, 0xffff0000, v10
	v_and_b32_e32 v1, 0xffff0000, v1
	v_add_f32_e32 v3, 0, v3
	v_lshlrev_b32_e32 v5, 16, v12
	v_and_b32_e32 v3, 0xffff0000, v3
	v_add_f32_e32 v1, v1, v5
	v_and_b32_e32 v5, 0xffff0000, v12
	v_and_b32_e32 v1, 0xffff0000, v1
	v_add_f32_e32 v3, v3, v5
	s_waitcnt lgkmcnt(0)
	v_lshlrev_b32_e32 v5, 16, v14
	v_and_b32_e32 v3, 0xffff0000, v3
	v_add_f32_e32 v1, v1, v5
	v_and_b32_e32 v5, 0xffff0000, v14
	v_and_b32_e32 v1, 0xffff0000, v1
	v_add_f32_e32 v3, v3, v5
	v_lshlrev_b32_e32 v5, 16, v16
	v_and_b32_e32 v3, 0xffff0000, v3
	v_add_f32_e32 v9, v1, v5
	v_and_b32_e32 v1, 0xffff0000, v16
	v_add_f32_e32 v10, v3, v1
	v_lshlrev_b32_e32 v1, 16, v2
	s_add_u32 s2, s22, s2
	v_add_f32_e32 v1, 0, v1
	s_addc_u32 s3, s23, s3
	s_lshl_b32 s0, s20, 7
	v_and_b32_e32 v1, 0xffff0000, v1
	v_lshlrev_b32_e32 v2, 16, v4
	s_lshl_b64 s[0:1], s[0:1], 1
	v_add_f32_e32 v1, v1, v2
	s_add_u32 s0, s2, s0
	v_and_b32_e32 v1, 0xffff0000, v1
	v_lshlrev_b32_e32 v2, 16, v6
	s_addc_u32 s1, s3, s1
	s_lshl_b32 s2, s38, 7
	v_add_f32_e32 v1, v1, v2
	v_and_b32_e32 v1, 0xffff0000, v1
	v_lshlrev_b32_e32 v2, 16, v8
	s_mul_i32 s3, s2, s33
	v_add_f32_e32 v1, v1, v2
	v_or_b32_e32 v2, s3, v0
	v_mov_b32_e32 v3, 0
	s_add_i32 s3, s3, s2
	v_lshl_add_u64 v[4:5], v[2:3], 1, s[0:1]
	v_or_b32_e32 v2, s3, v0
	global_store_short_d16_hi v[4:5], v1, off
	v_lshl_add_u64 v[0:1], v[2:3], 1, s[0:1]
	global_store_short_d16_hi v[0:1], v7, off
	global_store_short_d16_hi v[4:5], v9, off offset:128
	global_store_short_d16_hi v[0:1], v10, off offset:128
.LBB1249_27:
	s_endpgm
	.section	.rodata,"a",@progbits
	.p2align	6, 0x0
	.amdhsa_kernel _Z38paged_attention_ll4mi_QKV_mfma4_kernelI14__hip_bfloat16hLN4vllm18Fp8KVCacheDataTypeE1EhLi16ELi128ELi256ELb1ELi2EEvPKT_PKT0_S8_ifPKiSA_SA_iPKfiiiPfSD_PS3_PT2_iSC_SC_
		.amdhsa_group_segment_fixed_size 5280
		.amdhsa_private_segment_fixed_size 0
		.amdhsa_kernarg_size 400
		.amdhsa_user_sgpr_count 2
		.amdhsa_user_sgpr_dispatch_ptr 0
		.amdhsa_user_sgpr_queue_ptr 0
		.amdhsa_user_sgpr_kernarg_segment_ptr 1
		.amdhsa_user_sgpr_dispatch_id 0
		.amdhsa_user_sgpr_kernarg_preload_length 0
		.amdhsa_user_sgpr_kernarg_preload_offset 0
		.amdhsa_user_sgpr_private_segment_size 0
		.amdhsa_uses_dynamic_stack 0
		.amdhsa_enable_private_segment 0
		.amdhsa_system_sgpr_workgroup_id_x 1
		.amdhsa_system_sgpr_workgroup_id_y 1
		.amdhsa_system_sgpr_workgroup_id_z 1
		.amdhsa_system_sgpr_workgroup_info 0
		.amdhsa_system_vgpr_workitem_id 0
		.amdhsa_next_free_vgpr 60
		.amdhsa_next_free_sgpr 44
		.amdhsa_accum_offset 56
		.amdhsa_reserve_vcc 1
		.amdhsa_float_round_mode_32 0
		.amdhsa_float_round_mode_16_64 0
		.amdhsa_float_denorm_mode_32 3
		.amdhsa_float_denorm_mode_16_64 3
		.amdhsa_dx10_clamp 1
		.amdhsa_ieee_mode 1
		.amdhsa_fp16_overflow 0
		.amdhsa_tg_split 0
		.amdhsa_exception_fp_ieee_invalid_op 0
		.amdhsa_exception_fp_denorm_src 0
		.amdhsa_exception_fp_ieee_div_zero 0
		.amdhsa_exception_fp_ieee_overflow 0
		.amdhsa_exception_fp_ieee_underflow 0
		.amdhsa_exception_fp_ieee_inexact 0
		.amdhsa_exception_int_div_zero 0
	.end_amdhsa_kernel
	.section	.text._Z38paged_attention_ll4mi_QKV_mfma4_kernelI14__hip_bfloat16hLN4vllm18Fp8KVCacheDataTypeE1EhLi16ELi128ELi256ELb1ELi2EEvPKT_PKT0_S8_ifPKiSA_SA_iPKfiiiPfSD_PS3_PT2_iSC_SC_,"axG",@progbits,_Z38paged_attention_ll4mi_QKV_mfma4_kernelI14__hip_bfloat16hLN4vllm18Fp8KVCacheDataTypeE1EhLi16ELi128ELi256ELb1ELi2EEvPKT_PKT0_S8_ifPKiSA_SA_iPKfiiiPfSD_PS3_PT2_iSC_SC_,comdat
.Lfunc_end1249:
	.size	_Z38paged_attention_ll4mi_QKV_mfma4_kernelI14__hip_bfloat16hLN4vllm18Fp8KVCacheDataTypeE1EhLi16ELi128ELi256ELb1ELi2EEvPKT_PKT0_S8_ifPKiSA_SA_iPKfiiiPfSD_PS3_PT2_iSC_SC_, .Lfunc_end1249-_Z38paged_attention_ll4mi_QKV_mfma4_kernelI14__hip_bfloat16hLN4vllm18Fp8KVCacheDataTypeE1EhLi16ELi128ELi256ELb1ELi2EEvPKT_PKT0_S8_ifPKiSA_SA_iPKfiiiPfSD_PS3_PT2_iSC_SC_
                                        ; -- End function
	.section	.AMDGPU.csdata,"",@progbits
; Kernel info:
; codeLenInByte = 5872
; NumSgprs: 50
; NumVgprs: 56
; NumAgprs: 4
; TotalNumVgprs: 60
; ScratchSize: 0
; MemoryBound: 0
; FloatMode: 240
; IeeeMode: 1
; LDSByteSize: 5280 bytes/workgroup (compile time only)
; SGPRBlocks: 6
; VGPRBlocks: 7
; NumSGPRsForWavesPerEU: 50
; NumVGPRsForWavesPerEU: 60
; AccumOffset: 56
; Occupancy: 8
; WaveLimiterHint : 1
; COMPUTE_PGM_RSRC2:SCRATCH_EN: 0
; COMPUTE_PGM_RSRC2:USER_SGPR: 2
; COMPUTE_PGM_RSRC2:TRAP_HANDLER: 0
; COMPUTE_PGM_RSRC2:TGID_X_EN: 1
; COMPUTE_PGM_RSRC2:TGID_Y_EN: 1
; COMPUTE_PGM_RSRC2:TGID_Z_EN: 1
; COMPUTE_PGM_RSRC2:TIDIG_COMP_CNT: 0
; COMPUTE_PGM_RSRC3_GFX90A:ACCUM_OFFSET: 13
; COMPUTE_PGM_RSRC3_GFX90A:TG_SPLIT: 0
	.section	.text._Z38paged_attention_ll4mi_QKV_mfma4_kernelI14__hip_bfloat16hLN4vllm18Fp8KVCacheDataTypeE1EhLi16ELi128ELi256ELb1ELi3EEvPKT_PKT0_S8_ifPKiSA_SA_iPKfiiiPfSD_PS3_PT2_iSC_SC_,"axG",@progbits,_Z38paged_attention_ll4mi_QKV_mfma4_kernelI14__hip_bfloat16hLN4vllm18Fp8KVCacheDataTypeE1EhLi16ELi128ELi256ELb1ELi3EEvPKT_PKT0_S8_ifPKiSA_SA_iPKfiiiPfSD_PS3_PT2_iSC_SC_,comdat
	.protected	_Z38paged_attention_ll4mi_QKV_mfma4_kernelI14__hip_bfloat16hLN4vllm18Fp8KVCacheDataTypeE1EhLi16ELi128ELi256ELb1ELi3EEvPKT_PKT0_S8_ifPKiSA_SA_iPKfiiiPfSD_PS3_PT2_iSC_SC_ ; -- Begin function _Z38paged_attention_ll4mi_QKV_mfma4_kernelI14__hip_bfloat16hLN4vllm18Fp8KVCacheDataTypeE1EhLi16ELi128ELi256ELb1ELi3EEvPKT_PKT0_S8_ifPKiSA_SA_iPKfiiiPfSD_PS3_PT2_iSC_SC_
	.globl	_Z38paged_attention_ll4mi_QKV_mfma4_kernelI14__hip_bfloat16hLN4vllm18Fp8KVCacheDataTypeE1EhLi16ELi128ELi256ELb1ELi3EEvPKT_PKT0_S8_ifPKiSA_SA_iPKfiiiPfSD_PS3_PT2_iSC_SC_
	.p2align	8
	.type	_Z38paged_attention_ll4mi_QKV_mfma4_kernelI14__hip_bfloat16hLN4vllm18Fp8KVCacheDataTypeE1EhLi16ELi128ELi256ELb1ELi3EEvPKT_PKT0_S8_ifPKiSA_SA_iPKfiiiPfSD_PS3_PT2_iSC_SC_,@function
_Z38paged_attention_ll4mi_QKV_mfma4_kernelI14__hip_bfloat16hLN4vllm18Fp8KVCacheDataTypeE1EhLi16ELi128ELi256ELb1ELi3EEvPKT_PKT0_S8_ifPKiSA_SA_iPKfiiiPfSD_PS3_PT2_iSC_SC_: ; @_Z38paged_attention_ll4mi_QKV_mfma4_kernelI14__hip_bfloat16hLN4vllm18Fp8KVCacheDataTypeE1EhLi16ELi128ELi256ELb1ELi3EEvPKT_PKT0_S8_ifPKiSA_SA_iPKfiiiPfSD_PS3_PT2_iSC_SC_
; %bb.0:
	s_load_dwordx2 s[16:17], s[0:1], 0x30
	s_mov_b32 s20, s3
	s_mov_b64 s[6:7], 0
	s_waitcnt lgkmcnt(0)
	s_cmp_lg_u64 s[16:17], 0
	s_cselect_b64 s[18:19], -1, 0
	s_and_b64 vcc, exec, s[18:19]
	s_cbranch_vccz .LBB1250_10
; %bb.1:
	s_add_i32 s8, s2, 1
	s_mov_b32 s9, 0
	s_lshl_b64 s[10:11], s[8:9], 2
	s_add_u32 s10, s16, s10
	s_mov_b32 s3, s9
	s_addc_u32 s11, s17, s11
	s_lshl_b64 s[8:9], s[2:3], 2
	s_add_u32 s8, s16, s8
	s_addc_u32 s9, s17, s9
	s_load_dword s5, s[10:11], 0x0
	s_load_dword s12, s[8:9], 0x0
	s_waitcnt lgkmcnt(0)
	s_sub_i32 s5, s5, s12
	s_cmp_eq_u32 s5, 1
	s_cselect_b64 s[8:9], -1, 0
	s_andn2_b64 vcc, exec, s[6:7]
	s_cbranch_vccnz .LBB1250_3
.LBB1250_2:
	s_mov_b32 s3, 0
	s_mov_b64 s[8:9], -1
.LBB1250_3:
	s_andn2_b64 vcc, exec, s[8:9]
	s_cbranch_vccnz .LBB1250_27
; %bb.4:
	s_load_dword s5, s[0:1], 0x9c
	s_load_dwordx2 s[6:7], s[0:1], 0x28
	s_add_u32 s24, s0, 0x90
	s_addc_u32 s25, s1, 0
	s_lshl_b64 s[28:29], s[2:3], 2
	s_waitcnt lgkmcnt(0)
	s_and_b32 s5, s5, 0xffff
	s_add_u32 s6, s6, s28
	s_addc_u32 s7, s7, s29
	s_load_dword s3, s[6:7], 0x0
	s_mul_i32 s5, s20, s5
	s_waitcnt lgkmcnt(0)
	s_cmp_ge_i32 s5, s3
	s_cbranch_scc1 .LBB1250_27
; %bb.5:
	v_and_b32_e32 v1, 0xc0, v0
	v_add_u32_e32 v4, s5, v1
	v_lshrrev_b32_e32 v42, 6, v0
	v_cmp_le_i32_e64 s[6:7], s3, v4
                                        ; implicit-def: $sgpr30
                                        ; implicit-def: $sgpr21
	s_and_saveexec_b64 s[8:9], s[6:7]
	s_xor_b64 s[8:9], exec, s[8:9]
	s_cbranch_execz .LBB1250_7
; %bb.6:
	v_mul_u32_u24_e32 v1, 20, v42
	v_or_b32_e32 v1, 0x1400, v1
	v_mov_b32_e32 v2, 0x1450
	v_mov_b32_e32 v3, 0xff7fffff
	v_mad_u32_u24 v2, v42, 20, v2
	ds_write2_b32 v1, v3, v3 offset1:1
	v_mov_b32_e32 v1, 0
	ds_write2_b32 v2, v1, v1 offset1:1
	v_mov_b32_e32 v2, 0x1408
	v_mov_b32_e32 v4, 0x1458
	s_mov_b32 s21, 0xff7fffff
	s_mov_b32 s30, 0
	v_mad_u32_u24 v2, v42, 20, v2
	v_mad_u32_u24 v4, v42, 20, v4
	ds_write2_b32 v2, v3, v3 offset1:1
	ds_write2_b32 v4, v1, v1 offset1:1
                                        ; implicit-def: $vgpr4
.LBB1250_7:
	s_or_saveexec_b64 s[26:27], s[8:9]
	s_load_dwordx2 s[22:23], s[0:1], 0x68
	s_load_dwordx4 s[12:15], s[0:1], 0x58
	s_load_dword s38, s[24:25], 0x4
	s_load_dwordx4 s[8:11], s[0:1], 0x80
	v_and_b32_e32 v1, 63, v0
	v_and_b32_e32 v43, 3, v0
	s_mul_i32 s33, s4, 3
	v_mov_b32_e32 v37, s30
	v_mov_b32_e32 v41, s21
	v_mov_b32_e32 v36, s30
	v_mov_b32_e32 v35, s30
	v_mov_b32_e32 v34, s30
                                        ; implicit-def: $vgpr18_vgpr19
                                        ; implicit-def: $vgpr22_vgpr23
                                        ; implicit-def: $vgpr26_vgpr27
                                        ; implicit-def: $vgpr30_vgpr31
                                        ; implicit-def: $vgpr2_vgpr3
                                        ; implicit-def: $vgpr6_vgpr7
                                        ; implicit-def: $vgpr10_vgpr11
                                        ; implicit-def: $vgpr14_vgpr15
	s_xor_b64 exec, exec, s[26:27]
	s_cbranch_execz .LBB1250_19
; %bb.8:
	s_load_dwordx2 s[30:31], s[0:1], 0x20
	s_load_dword s21, s[0:1], 0x38
	s_add_i32 s34, s3, 15
	s_ashr_i32 s35, s34, 31
	s_lshr_b32 s35, s35, 28
	v_add_u32_e32 v44, s5, v0
	s_add_i32 s34, s34, s35
	v_ashrrev_i32_e32 v2, 31, v44
	s_ashr_i32 s34, s34, 4
	v_lshrrev_b32_e32 v2, 28, v2
	s_add_i32 s36, s34, -1
	s_waitcnt lgkmcnt(0)
	s_mul_i32 s34, s2, s21
	s_mov_b32 s35, 0
	v_add_u32_e32 v2, v44, v2
	s_lshl_b64 s[34:35], s[34:35], 2
	v_ashrrev_i32_e32 v2, 4, v2
	v_mov_b32_e32 v3, s36
	v_cmp_gt_i32_e32 vcc, s3, v44
	s_add_u32 s30, s30, s34
	s_addc_u32 s31, s31, s35
	v_cndmask_b32_e32 v2, v3, v2, vcc
	v_ashrrev_i32_e32 v3, 31, v2
	v_lshl_add_u64 v[6:7], v[2:3], 2, s[30:31]
	v_ashrrev_i32_e32 v2, 31, v4
	v_lshrrev_b32_e32 v2, 28, v2
	v_add_u32_e32 v2, v4, v2
	v_ashrrev_i32_e32 v12, 4, v2
	v_min_i32_e32 v2, s36, v12
	v_ashrrev_i32_e32 v3, 31, v2
	v_lshl_add_u64 v[4:5], v[2:3], 2, s[30:31]
	v_add_u32_e32 v2, 1, v12
	v_min_i32_e32 v2, s36, v2
	v_ashrrev_i32_e32 v3, 31, v2
	v_lshl_add_u64 v[8:9], v[2:3], 2, s[30:31]
	v_add_u32_e32 v2, 2, v12
	;; [unrolled: 4-line block ×3, first 2 shown]
	v_min_i32_e32 v2, s36, v2
	v_ashrrev_i32_e32 v3, 31, v2
	v_lshl_add_u64 v[12:13], v[2:3], 2, s[30:31]
	global_load_dword v2, v[6:7], off
	global_load_dword v48, v[4:5], off
	global_load_dword v47, v[8:9], off
	global_load_dword v46, v[10:11], off
	global_load_dword v45, v[12:13], off
	s_load_dwordx2 s[30:31], s[0:1], 0x8
	s_andn2_b64 vcc, exec, s[18:19]
	s_cbranch_vccnz .LBB1250_11
; %bb.9:
	s_add_u32 s16, s16, s28
	s_addc_u32 s17, s17, s29
	s_load_dword s5, s[16:17], 0x0
	s_branch .LBB1250_12
.LBB1250_10:
	s_mov_b64 s[8:9], 0
	s_branch .LBB1250_2
.LBB1250_11:
	s_mov_b32 s5, s2
.LBB1250_12:
	s_load_dwordx2 s[28:29], s[0:1], 0x10
	s_load_dwordx4 s[16:19], s[0:1], 0x48
	v_cmp_ne_u32_e32 vcc, 3, v43
	s_mov_b32 s37, 0
	v_mov_b32_e32 v41, 0
	v_mov_b32_e32 v14, 0
	;; [unrolled: 1-line block ×5, first 2 shown]
	s_and_saveexec_b64 s[34:35], vcc
	s_cbranch_execz .LBB1250_14
; %bb.13:
	s_load_dwordx2 s[40:41], s[0:1], 0x0
	s_waitcnt lgkmcnt(0)
	s_ashr_i32 s19, s16, 31
	s_mul_hi_u32 s21, s5, s16
	s_mul_i32 s19, s5, s19
	s_add_i32 s43, s21, s19
	s_mul_i32 s42, s5, s16
	s_lshl_b64 s[42:43], s[42:43], 1
	s_add_u32 s5, s40, s42
	s_mul_i32 s36, s4, 0x180
	s_addc_u32 s16, s41, s43
	s_lshl_b64 s[36:37], s[36:37], 1
	v_lshlrev_b32_e32 v3, 2, v1
	s_add_u32 s36, s5, s36
	v_and_b32_e32 v3, 0xf0, v3
	s_addc_u32 s37, s16, s37
	v_lshl_or_b32 v3, v43, 8, v3
	global_load_dwordx4 v[14:17], v3, s[36:37]
.LBB1250_14:
	s_or_b64 exec, exec, s[34:35]
	s_waitcnt lgkmcnt(0)
	s_mul_i32 s16, s4, s18
	s_add_u32 s4, s16, s30
	s_addc_u32 s5, 0, s31
	v_mov_b64_e32 v[4:5], s[4:5]
	s_waitcnt vmcnt(4)
	v_mad_i64_i32 v[2:3], s[4:5], v2, s17, v[4:5]
	v_lshlrev_b32_e32 v4, 4, v0
	v_and_b32_e32 v40, 0xf0, v4
	v_lshl_add_u64 v[38:39], v[2:3], 0, v[40:41]
	global_load_dwordx4 v[22:25], v[38:39], off
	global_load_dwordx4 v[18:21], v[38:39], off offset:256
	global_load_dwordx4 v[2:5], v[38:39], off offset:512
	;; [unrolled: 1-line block ×7, first 2 shown]
	v_mov_b32_e32 v39, 1.0
	v_mov_b32_e32 v38, 0
	s_and_saveexec_b64 s[4:5], vcc
	s_cbranch_execz .LBB1250_16
; %bb.15:
	s_load_dwordx2 s[18:19], s[0:1], 0x40
	v_add_u32_e32 v38, s33, v43
	v_mov_b32_e32 v39, 0
	s_waitcnt lgkmcnt(0)
	v_lshl_add_u64 v[50:51], v[38:39], 2, s[18:19]
	global_load_dword v38, v[50:51], off
.LBB1250_16:
	s_or_b64 exec, exec, s[4:5]
	s_waitcnt vmcnt(11)
	v_mul_hi_i32 v40, v48, s17
	v_ashrrev_i32_e32 v40, 31, v40
	v_lshrrev_b32_e32 v50, 29, v40
	s_waitcnt vmcnt(10)
	v_mul_hi_i32 v40, v47, s17
	v_mov_b32_e32 v51, 0
	v_ashrrev_i32_e32 v40, 31, v40
	v_mad_i64_i32 v[48:49], s[4:5], v48, s17, v[50:51]
	v_lshrrev_b32_e32 v50, 29, v40
	s_waitcnt vmcnt(9)
	v_mul_hi_i32 v40, v46, s17
	v_ashrrev_i32_e32 v40, 31, v40
	v_mad_i64_i32 v[52:53], s[4:5], v47, s17, v[50:51]
	v_lshrrev_b32_e32 v50, 29, v40
	s_waitcnt vmcnt(8)
	v_mul_hi_i32 v40, v45, s17
	v_ashrrev_i32_e32 v40, 31, v40
	v_mad_i64_i32 v[46:47], s[4:5], v46, s17, v[50:51]
	v_lshrrev_b32_e32 v50, 29, v40
	v_mad_i64_i32 v[50:51], s[4:5], v45, s17, v[50:51]
	s_add_u32 s4, s28, s16
	s_addc_u32 s5, s29, 0
	v_and_b32_e32 v48, -8, v48
	v_and_b32_e32 v52, -8, v52
	;; [unrolled: 1-line block ×4, first 2 shown]
	v_lshl_add_u64 v[48:49], s[4:5], 0, v[48:49]
	v_lshlrev_b32_e32 v40, 4, v1
	v_lshl_add_u64 v[52:53], s[4:5], 0, v[52:53]
	v_lshl_add_u64 v[46:47], s[4:5], 0, v[46:47]
	;; [unrolled: 1-line block ×7, first 2 shown]
	s_waitcnt vmcnt(7)
	v_cvt_pk_f32_fp8_e32 v[50:51], v22
	v_cvt_pk_f32_fp8_sdwa v[54:55], v22 src0_sel:WORD_1
	s_mov_b32 s4, 0x7060302
	s_load_dword s0, s[0:1], 0x1c
	v_perm_b32 v50, v51, v50, s4
	v_perm_b32 v51, v55, v54, s4
	s_waitcnt vmcnt(5)
	v_cvt_pk_f32_fp8_sdwa v[54:55], v5 src0_sel:WORD_1
	s_load_dword s1, s[8:9], 0x0
	v_mfma_f32_4x4x4_16b_bf16 a[0:3], v[14:15], v[50:51], 0 cbsz:4
	v_cvt_pk_f32_fp8_e32 v[50:51], v23
	v_cmp_eq_u32_e32 vcc, 0, v43
	v_perm_b32 v22, v51, v50, s4
	v_cvt_pk_f32_fp8_sdwa v[50:51], v23 src0_sel:WORD_1
	s_nop 0
	v_perm_b32 v23, v51, v50, s4
	s_nop 1
	v_mfma_f32_4x4x4_16b_bf16 a[0:3], v[16:17], v[22:23], a[0:3] cbsz:4
	v_cvt_pk_f32_fp8_e32 v[22:23], v24
	v_cvt_pk_f32_fp8_sdwa v[50:51], v24 src0_sel:WORD_1
	v_perm_b32 v22, v23, v22, s4
	v_perm_b32 v23, v51, v50, s4
	v_cvt_pk_f32_fp8_e32 v[50:51], v25
	v_cvt_pk_f32_fp8_sdwa v[24:25], v25 src0_sel:WORD_1
	v_mfma_f32_4x4x4_16b_bf16 a[0:3], v[14:15], v[22:23], a[0:3] cbsz:4 abid:1
	v_cvt_pk_f32_fp8_e32 v[22:23], v18
	v_perm_b32 v50, v51, v50, s4
	v_perm_b32 v51, v25, v24, s4
	v_cvt_pk_f32_fp8_sdwa v[24:25], v18 src0_sel:WORD_1
	v_perm_b32 v22, v23, v22, s4
	v_mfma_f32_4x4x4_16b_bf16 a[0:3], v[16:17], v[50:51], a[0:3] cbsz:4 abid:1
	v_cvt_pk_f32_fp8_e32 v[50:51], v19
	v_cvt_pk_f32_fp8_sdwa v[18:19], v19 src0_sel:WORD_1
	v_perm_b32 v23, v25, v24, s4
	v_perm_b32 v24, v51, v50, s4
	s_nop 0
	v_mfma_f32_4x4x4_16b_bf16 a[0:3], v[14:15], v[22:23], a[0:3] cbsz:4 abid:2
	v_perm_b32 v25, v19, v18, s4
	v_cvt_pk_f32_fp8_e32 v[18:19], v20
	v_cvt_pk_f32_fp8_sdwa v[22:23], v20 src0_sel:WORD_1
	v_mfma_f32_4x4x4_16b_bf16 a[0:3], v[16:17], v[24:25], a[0:3] cbsz:4 abid:2
	v_cvt_pk_f32_fp8_e32 v[24:25], v21
	v_cvt_pk_f32_fp8_sdwa v[20:21], v21 src0_sel:WORD_1
	v_perm_b32 v18, v19, v18, s4
	v_perm_b32 v19, v23, v22, s4
	;; [unrolled: 1-line block ×4, first 2 shown]
	v_mfma_f32_4x4x4_16b_bf16 a[0:3], v[14:15], v[18:19], a[0:3] cbsz:4 abid:3
	v_cvt_pk_f32_fp8_e32 v[18:19], v2
	v_cvt_pk_f32_fp8_sdwa v[20:21], v2 src0_sel:WORD_1
	v_mfma_f32_4x4x4_16b_bf16 a[0:3], v[16:17], v[22:23], a[0:3] cbsz:4 abid:3
	v_cvt_pk_f32_fp8_e32 v[22:23], v3
	v_cvt_pk_f32_fp8_sdwa v[24:25], v3 src0_sel:WORD_1
	v_perm_b32 v2, v19, v18, s4
	v_perm_b32 v3, v21, v20, s4
	v_perm_b32 v22, v23, v22, s4
	v_perm_b32 v23, v25, v24, s4
	v_mfma_f32_4x4x4_16b_bf16 a[0:3], v[14:15], v[2:3], a[0:3] cbsz:4 abid:4
	v_cvt_pk_f32_fp8_sdwa v[24:25], v4 src0_sel:WORD_1
	v_cvt_pk_f32_fp8_e32 v[50:51], v5
	v_mfma_f32_4x4x4_16b_bf16 a[0:3], v[16:17], v[22:23], a[0:3] cbsz:4 abid:4
	v_cvt_pk_f32_fp8_e32 v[22:23], v4
	global_load_dwordx4 v[18:21], v[48:49], off
	global_load_dwordx4 v[2:5], v[48:49], off offset:1024
	s_waitcnt vmcnt(6)
	v_cvt_pk_f32_fp8_e32 v[48:49], v7
	v_perm_b32 v22, v23, v22, s4
	v_perm_b32 v23, v25, v24, s4
	;; [unrolled: 1-line block ×4, first 2 shown]
	v_mfma_f32_4x4x4_16b_bf16 a[0:3], v[14:15], v[22:23], a[0:3] cbsz:4 abid:5
	v_cvt_pk_f32_fp8_e32 v[22:23], v6
	s_waitcnt vmcnt(5)
	v_cvt_pk_f32_fp8_sdwa v[50:51], v26 src0_sel:WORD_1
	v_mfma_f32_4x4x4_16b_bf16 a[0:3], v[16:17], v[24:25], a[0:3] cbsz:4 abid:5
	v_cvt_pk_f32_fp8_sdwa v[24:25], v6 src0_sel:WORD_1
	v_cvt_pk_f32_fp8_sdwa v[6:7], v7 src0_sel:WORD_1
	v_perm_b32 v22, v23, v22, s4
	v_cvt_pk_f32_fp8_e32 v[54:55], v27
	v_perm_b32 v23, v25, v24, s4
	v_perm_b32 v25, v7, v6, s4
	v_cvt_pk_f32_fp8_e32 v[6:7], v8
	v_mfma_f32_4x4x4_16b_bf16 a[0:3], v[14:15], v[22:23], a[0:3] cbsz:4 abid:6
	v_cvt_pk_f32_fp8_sdwa v[22:23], v8 src0_sel:WORD_1
	v_perm_b32 v24, v49, v48, s4
	v_cvt_pk_f32_fp8_e32 v[48:49], v9
	v_cvt_pk_f32_fp8_sdwa v[8:9], v9 src0_sel:WORD_1
	v_mfma_f32_4x4x4_16b_bf16 a[0:3], v[16:17], v[24:25], a[0:3] cbsz:4 abid:6
	v_perm_b32 v6, v7, v6, s4
	v_perm_b32 v7, v23, v22, s4
	;; [unrolled: 1-line block ×4, first 2 shown]
	v_mfma_f32_4x4x4_16b_bf16 a[0:3], v[14:15], v[6:7], a[0:3] cbsz:4 abid:7
	v_cvt_pk_f32_fp8_e32 v[6:7], v26
	v_cvt_pk_f32_fp8_sdwa v[26:27], v27 src0_sel:WORD_1
	v_mfma_f32_4x4x4_16b_bf16 a[0:3], v[16:17], v[48:49], a[0:3] cbsz:4 abid:7
	v_perm_b32 v49, v51, v50, s4
	v_perm_b32 v48, v7, v6, s4
	;; [unrolled: 1-line block ×4, first 2 shown]
	v_mfma_f32_4x4x4_16b_bf16 a[0:3], v[14:15], v[48:49], a[0:3] cbsz:4 abid:8
	v_cvt_pk_f32_fp8_e32 v[26:27], v28
	v_cvt_pk_f32_fp8_sdwa v[48:49], v28 src0_sel:WORD_1
	v_mfma_f32_4x4x4_16b_bf16 a[0:3], v[16:17], v[50:51], a[0:3] cbsz:4 abid:8
	v_cvt_pk_f32_fp8_e32 v[50:51], v29
	v_cvt_pk_f32_fp8_sdwa v[28:29], v29 src0_sel:WORD_1
	v_perm_b32 v26, v27, v26, s4
	v_perm_b32 v27, v49, v48, s4
	;; [unrolled: 1-line block ×4, first 2 shown]
	v_mfma_f32_4x4x4_16b_bf16 a[0:3], v[14:15], v[26:27], a[0:3] cbsz:4 abid:9
	s_waitcnt vmcnt(4)
	v_cvt_pk_f32_fp8_e32 v[26:27], v10
	v_cvt_pk_f32_fp8_sdwa v[28:29], v10 src0_sel:WORD_1
	v_mfma_f32_4x4x4_16b_bf16 a[0:3], v[16:17], v[48:49], a[0:3] cbsz:4 abid:9
	v_cvt_pk_f32_fp8_e32 v[48:49], v11
	v_cvt_pk_f32_fp8_sdwa v[50:51], v11 src0_sel:WORD_1
	v_perm_b32 v10, v27, v26, s4
	v_perm_b32 v11, v29, v28, s4
	v_perm_b32 v48, v49, v48, s4
	v_perm_b32 v49, v51, v50, s4
	v_mfma_f32_4x4x4_16b_bf16 a[0:3], v[14:15], v[10:11], a[0:3] cbsz:4 abid:10
	v_cvt_pk_f32_fp8_sdwa v[50:51], v12 src0_sel:WORD_1
	global_load_dwordx4 v[22:25], v[52:53], off
	global_load_dwordx4 v[6:9], v[52:53], off offset:1024
	v_mfma_f32_4x4x4_16b_bf16 a[0:3], v[16:17], v[48:49], a[0:3] cbsz:4 abid:10
	v_cvt_pk_f32_fp8_e32 v[48:49], v12
	v_cvt_pk_f32_fp8_e32 v[52:53], v13
	v_cvt_pk_f32_fp8_sdwa v[54:55], v13 src0_sel:WORD_1
	global_load_dwordx4 v[26:29], v[46:47], off
	global_load_dwordx4 v[10:13], v[46:47], off offset:1024
	v_perm_b32 v46, v49, v48, s4
	v_perm_b32 v47, v51, v50, s4
	v_perm_b32 v48, v53, v52, s4
	v_perm_b32 v49, v55, v54, s4
	v_mfma_f32_4x4x4_16b_bf16 a[0:3], v[14:15], v[46:47], a[0:3] cbsz:4 abid:11
	s_waitcnt vmcnt(7)
	v_cvt_pk_f32_fp8_e32 v[46:47], v34
	v_cvt_pk_f32_fp8_e32 v[50:51], v35
	v_mfma_f32_4x4x4_16b_bf16 a[0:3], v[16:17], v[48:49], a[0:3] cbsz:4 abid:11
	v_cvt_pk_f32_fp8_sdwa v[48:49], v34 src0_sel:WORD_1
	v_perm_b32 v34, v47, v46, s4
	v_cvt_pk_f32_fp8_sdwa v[46:47], v35 src0_sel:WORD_1
	v_perm_b32 v35, v49, v48, s4
	v_perm_b32 v48, v51, v50, s4
	s_nop 0
	v_mfma_f32_4x4x4_16b_bf16 a[0:3], v[14:15], v[34:35], a[0:3] cbsz:4 abid:12
	v_perm_b32 v49, v47, v46, s4
	v_cvt_pk_f32_fp8_e32 v[34:35], v36
	v_cvt_pk_f32_fp8_sdwa v[46:47], v36 src0_sel:WORD_1
	v_mfma_f32_4x4x4_16b_bf16 a[0:3], v[16:17], v[48:49], a[0:3] cbsz:4 abid:12
	v_cvt_pk_f32_fp8_e32 v[48:49], v37
	v_cvt_pk_f32_fp8_sdwa v[36:37], v37 src0_sel:WORD_1
	v_perm_b32 v34, v35, v34, s4
	v_perm_b32 v35, v47, v46, s4
	;; [unrolled: 1-line block ×4, first 2 shown]
	v_mfma_f32_4x4x4_16b_bf16 a[0:3], v[14:15], v[34:35], a[0:3] cbsz:4 abid:13
	s_waitcnt vmcnt(6)
	v_cvt_pk_f32_fp8_e32 v[34:35], v30
	v_cvt_pk_f32_fp8_sdwa v[36:37], v30 src0_sel:WORD_1
	v_mfma_f32_4x4x4_16b_bf16 a[0:3], v[16:17], v[46:47], a[0:3] cbsz:4 abid:13
	v_cvt_pk_f32_fp8_e32 v[46:47], v31
	v_perm_b32 v30, v35, v34, s4
	v_cvt_pk_f32_fp8_sdwa v[34:35], v31 src0_sel:WORD_1
	v_perm_b32 v31, v37, v36, s4
	v_perm_b32 v36, v47, v46, s4
	;; [unrolled: 1-line block ×3, first 2 shown]
	v_mfma_f32_4x4x4_16b_bf16 a[0:3], v[14:15], v[30:31], a[0:3] cbsz:4 abid:14
	v_cvt_pk_f32_fp8_e32 v[30:31], v32
	v_cvt_pk_f32_fp8_sdwa v[34:35], v32 src0_sel:WORD_1
	v_mfma_f32_4x4x4_16b_bf16 a[0:3], v[16:17], v[36:37], a[0:3] cbsz:4 abid:14
	v_cvt_pk_f32_fp8_e32 v[36:37], v33
	v_cvt_pk_f32_fp8_sdwa v[32:33], v33 src0_sel:WORD_1
	v_perm_b32 v30, v31, v30, s4
	v_perm_b32 v31, v35, v34, s4
	;; [unrolled: 1-line block ×4, first 2 shown]
	v_mfma_f32_4x4x4_16b_bf16 a[0:3], v[14:15], v[30:31], a[0:3] cbsz:4 abid:15
	s_waitcnt lgkmcnt(0)
	v_mov_b32_e32 v14, s0
	v_mfma_f32_4x4x4_16b_bf16 a[0:3], v[16:17], v[34:35], a[0:3] cbsz:4 abid:15
	v_mul_f32_e32 v16, s1, v14
	s_nop 3
	v_accvgpr_read_b32 v31, a1
	v_accvgpr_read_b32 v30, a0
	v_pk_mul_f32 v[30:31], v[30:31], v[16:17] op_sel_hi:[1,0]
	v_accvgpr_read_b32 v15, a3
	v_accvgpr_read_b32 v14, a2
	v_pk_mul_f32 v[34:35], v[14:15], v[16:17] op_sel_hi:[1,0]
	v_cndmask_b32_e64 v14, 0, 1.0, vcc
	v_cmp_eq_u32_e32 vcc, 1, v43
	s_nop 0
	v_mfma_f32_4x4x1_16b_f32 a[0:3], v30, v14, 0
	v_cndmask_b32_e64 v14, 0, 1.0, vcc
	v_cmp_eq_u32_e32 vcc, 2, v43
	s_nop 0
	v_mfma_f32_4x4x1_16b_f32 a[0:3], v31, v14, a[0:3]
	v_cndmask_b32_e64 v14, 0, 1.0, vcc
	s_nop 1
	v_mfma_f32_4x4x1_16b_f32 a[0:3], v34, v14, a[0:3]
	global_load_dwordx4 v[30:33], v[40:41], off
	global_load_dwordx4 v[14:17], v[40:41], off offset:1024
	v_and_b32_e32 v34, -4, v44
	v_mfma_f32_4x4x1_16b_f32 a[0:3], v35, v39, a[0:3]
	v_subrev_u32_e32 v35, s3, v34
	v_add_u32_e32 v36, 1, v35
	v_cvt_f32_i32_e32 v36, v36
	v_add_u32_e32 v37, 2, v35
	v_cvt_f32_i32_e32 v37, v37
	v_accvgpr_read_b32 v39, a0
	v_fma_f32 v36, v38, v36, v39
	v_accvgpr_read_b32 v39, a1
	v_fma_f32 v37, v38, v37, v39
	v_add_u32_e32 v39, 3, v35
	v_cvt_f32_i32_e32 v39, v39
	v_add_u32_e32 v35, 4, v35
	v_cvt_f32_i32_e32 v35, v35
	v_accvgpr_read_b32 v40, a2
	v_fma_f32 v39, v38, v39, v40
	v_accvgpr_read_b32 v40, a3
	v_fmac_f32_e32 v40, v38, v35
	v_max_f32_e32 v38, 0xff7fffff, v36
	v_mov_b32_e32 v41, 0xff7fffff
	v_cmp_gt_i32_e32 vcc, s3, v34
	v_lshlrev_b32_e32 v35, 2, v0
	v_and_or_b32 v35, v35, 48, v43
	v_cndmask_b32_e32 v38, v41, v38, vcc
	v_or_b32_e32 v41, 1, v34
	v_max_f32_e32 v45, v38, v37
	v_cmp_gt_i32_e64 s[0:1], s3, v41
	v_or_b32_e32 v34, 2, v34
	v_cmp_gt_i32_e64 s[4:5], s3, v34
	v_cndmask_b32_e64 v38, v38, v45, s[0:1]
	v_max_f32_e32 v41, v38, v39
	v_cndmask_b32_e64 v34, v38, v41, s[4:5]
	v_or_b32_e32 v38, 3, v44
	v_max_f32_e32 v41, v34, v40
	v_cmp_gt_i32_e64 s[8:9], s3, v38
	v_lshlrev_b32_e32 v38, 2, v35
	s_nop 0
	v_cndmask_b32_e64 v34, v34, v41, s[8:9]
	;;#ASMSTART
	v_nop
 v_nop
 v_max_f32_dpp v34, v34, v34 row_ror:4
	;;#ASMEND
	s_nop 0
	;;#ASMSTART
	v_nop
 v_nop
 v_max_f32_dpp v34, v34, v34 row_ror:8
	;;#ASMEND
	ds_bpermute_b32 v34, v38, v34
	s_waitcnt lgkmcnt(0)
	;;#ASMSTART
	v_nop
 v_nop
 v_max_f32_dpp v34, v34, v34 row_ror:4
	;;#ASMEND
	s_nop 0
	;;#ASMSTART
	v_nop
 v_nop
 v_max_f32_dpp v41, v34, v34 row_ror:8
	;;#ASMEND
	s_nop 0
	v_sub_f32_e32 v34, v36, v41
	v_mul_f32_e32 v34, 0x3fb8aa3b, v34
	v_sub_f32_e32 v35, v37, v41
	v_exp_f32_e32 v34, v34
	v_mul_f32_e32 v35, 0x3fb8aa3b, v35
	v_sub_f32_e32 v37, v39, v41
	v_exp_f32_e32 v35, v35
	;; [unrolled: 3-line block ×3, first 2 shown]
	v_mul_f32_e32 v39, 0x3fb8aa3b, v39
	v_exp_f32_e32 v39, v39
	v_cndmask_b32_e32 v34, 0, v34, vcc
	v_add_f32_e32 v36, 0, v34
	v_cndmask_b32_e64 v35, 0, v35, s[0:1]
	v_add_f32_e32 v40, v36, v35
	v_cndmask_b32_e64 v36, 0, v37, s[4:5]
	;; [unrolled: 2-line block ×3, first 2 shown]
	v_add_f32_e32 v39, v40, v37
	;;#ASMSTART
	v_nop
 v_nop
 v_add_f32_dpp v39, v39, v39 row_ror:4
	;;#ASMEND
	v_cmp_gt_u32_e32 vcc, 4, v1
	;;#ASMSTART
	v_nop
 v_nop
 v_add_f32_dpp v39, v39, v39 row_ror:8
	;;#ASMEND
	ds_bpermute_b32 v38, v38, v39
	s_waitcnt lgkmcnt(0)
	;;#ASMSTART
	v_nop
 v_nop
 v_add_f32_dpp v38, v38, v38 row_ror:4
	;;#ASMEND
	s_nop 0
	;;#ASMSTART
	v_nop
 v_nop
 v_add_f32_dpp v38, v38, v38 row_ror:8
	;;#ASMEND
	s_and_saveexec_b64 s[0:1], vcc
	s_cbranch_execz .LBB1250_18
; %bb.17:
	v_mul_u32_u24_e32 v39, 20, v42
	v_lshl_add_u32 v39, v43, 2, v39
	v_add_u32_e32 v39, 0x1400, v39
	ds_write2_b32 v39, v41, v38 offset1:20
.LBB1250_18:
	s_or_b64 exec, exec, s[0:1]
.LBB1250_19:
	s_or_b64 exec, exec, s[26:27]
	s_waitcnt lgkmcnt(0)
	s_barrier
	s_load_dword s0, s[24:25], 0x8
	v_lshlrev_b32_e32 v38, 2, v43
	v_add_u32_e32 v40, 0x1400, v38
	ds_read2_b32 v[38:39], v40 offset1:5
	ds_read2_b32 v[46:47], v40 offset0:10 offset1:15
	s_mul_i32 s1, s2, s38
	s_waitcnt lgkmcnt(0)
	s_mul_i32 s0, s1, s0
	s_mov_b32 s1, 0xff7fffff
	v_max3_f32 v44, v38, s1, v39
	v_max3_f32 v44, v44, v46, v47
	v_sub_f32_e32 v38, v38, v44
	v_mul_f32_e32 v38, 0x3fb8aa3b, v38
	v_exp_f32_e32 v45, v38
	v_sub_f32_e32 v38, v39, v44
	ds_read2_b32 v[48:49], v40 offset0:20 offset1:25
	v_mul_f32_e32 v38, 0x3fb8aa3b, v38
	v_exp_f32_e32 v50, v38
	ds_read2_b32 v[38:39], v40 offset0:30 offset1:35
	v_sub_f32_e32 v40, v46, v44
	v_mul_f32_e32 v40, 0x3fb8aa3b, v40
	v_sub_f32_e32 v46, v47, v44
	v_exp_f32_e32 v40, v40
	v_mul_f32_e32 v46, 0x3fb8aa3b, v46
	v_exp_f32_e32 v46, v46
	s_waitcnt lgkmcnt(1)
	v_fma_f32 v45, v45, v48, 0
	v_fmac_f32_e32 v45, v50, v49
	s_waitcnt lgkmcnt(0)
	v_fmac_f32_e32 v45, v40, v38
	s_mul_i32 s0, s0, 3
	v_fmac_f32_e32 v45, v46, v39
	v_cmp_ne_u32_e32 vcc, 3, v43
	s_and_saveexec_b64 s[2:3], vcc
	s_cbranch_execz .LBB1250_21
; %bb.20:
	s_mov_b32 s1, 0
	s_lshl_b64 s[4:5], s[0:1], 2
	s_add_u32 s12, s12, s4
	s_mov_b32 s21, s1
	s_addc_u32 s13, s13, s5
	s_lshl_b64 s[8:9], s[20:21], 2
	s_add_u32 s12, s12, s8
	s_addc_u32 s13, s13, s9
	s_add_u32 s1, s14, s4
	s_addc_u32 s5, s15, s5
	v_add_u32_e32 v38, s33, v43
	s_add_u32 s4, s1, s8
	v_mul_lo_u32 v38, s38, v38
	v_mov_b32_e32 v39, 0
	s_addc_u32 s5, s5, s9
	v_lshlrev_b64 v[38:39], 2, v[38:39]
	v_lshl_add_u64 v[46:47], s[12:13], 0, v[38:39]
	v_lshl_add_u64 v[38:39], s[4:5], 0, v[38:39]
	global_store_dword v[38:39], v44, off
	global_store_dword v[46:47], v45, off
.LBB1250_21:
	s_or_b64 exec, exec, s[2:3]
	v_lshlrev_b32_e32 v40, 3, v42
                                        ; implicit-def: $sgpr1
	s_and_saveexec_b64 s[2:3], s[6:7]
	s_xor_b64 s[2:3], exec, s[2:3]
	s_cbranch_execz .LBB1250_23
; %bb.22:
	s_waitcnt vmcnt(6)
	v_mov_b32_e32 v2, 0
	v_mad_u32_u24 v4, v1, 40, v40
	s_mov_b32 s1, 0
	v_mov_b32_e32 v3, v2
	ds_write_b64 v4, v[2:3]
                                        ; implicit-def: $vgpr37
                                        ; implicit-def: $vgpr35
                                        ; implicit-def: $vgpr41
                                        ; implicit-def: $vgpr18_vgpr19
                                        ; implicit-def: $vgpr22_vgpr23
                                        ; implicit-def: $vgpr26_vgpr27
                                        ; implicit-def: $vgpr30_vgpr31
                                        ; implicit-def: $vgpr2_vgpr3
                                        ; implicit-def: $vgpr6_vgpr7
                                        ; implicit-def: $vgpr10_vgpr11
                                        ; implicit-def: $vgpr14_vgpr15
                                        ; implicit-def: $vgpr44
                                        ; implicit-def: $vgpr45
.LBB1250_23:
	s_or_saveexec_b64 s[2:3], s[2:3]
	v_mov_b32_e32 v38, s1
	v_mov_b32_e32 v39, s1
	s_xor_b64 exec, exec, s[2:3]
	s_cbranch_execz .LBB1250_25
; %bb.24:
	v_add_f32_e32 v38, 0x358637bd, v45
	v_div_scale_f32 v39, s[4:5], v38, v38, 1.0
	v_rcp_f32_e32 v42, v39
	v_sub_f32_e32 v41, v41, v44
	v_mul_f32_e32 v41, 0x3fb8aa3b, v41
	v_exp_f32_e32 v41, v41
	v_fma_f32 v43, -v39, v42, 1.0
	v_fmac_f32_e32 v42, v43, v42
	v_div_scale_f32 v43, vcc, 1.0, v38, 1.0
	v_mul_f32_e32 v44, v43, v42
	v_fma_f32 v45, -v39, v44, v43
	v_fmac_f32_e32 v44, v45, v42
	v_fma_f32 v39, -v39, v44, v43
	v_div_fmas_f32 v39, v39, v42, v44
	v_div_fixup_f32 v38, v39, v38, 1.0
	v_mul_f32_e32 v38, v41, v38
	v_pk_mul_f32 v[34:35], v[34:35], v[38:39] op_sel_hi:[1,0]
	v_pk_mul_f32 v[36:37], v[36:37], v[38:39] op_sel_hi:[1,0]
	v_bfe_u32 v38, v35, 16, 1
	v_bfe_u32 v39, v34, 16, 1
	s_movk_i32 s1, 0x7fff
	v_add3_u32 v34, v34, v39, s1
	v_add3_u32 v35, v35, v38, s1
	s_mov_b32 s5, 0x7060302
	v_perm_b32 v34, v35, v34, s5
	v_bfe_u32 v35, v37, 16, 1
	v_bfe_u32 v38, v36, 16, 1
	v_add3_u32 v36, v36, v38, s1
	v_add3_u32 v35, v37, v35, s1
	v_perm_b32 v35, v35, v36, s5
	s_waitcnt vmcnt(7)
	v_cvt_pk_f32_fp8_e32 v[36:37], v18
	v_cvt_pk_f32_fp8_sdwa v[38:39], v18 src0_sel:WORD_1
	v_cvt_pk_f32_fp8_e32 v[42:43], v19
	v_cvt_pk_f32_fp8_sdwa v[18:19], v19 src0_sel:WORD_1
	v_perm_b32 v36, v37, v36, s5
	v_perm_b32 v37, v39, v38, s5
	;; [unrolled: 1-line block ×4, first 2 shown]
	v_mfma_f32_4x4x4_16b_bf16 a[0:3], v[34:35], v[36:37], 0 cbsz:4
	v_cvt_pk_f32_fp8_e32 v[18:19], v20
	v_cvt_pk_f32_fp8_sdwa v[36:37], v20 src0_sel:WORD_1
	v_mfma_f32_4x4x4_16b_bf16 a[0:3], v[34:35], v[38:39], a[0:3] cbsz:4 abid:1
	v_cvt_pk_f32_fp8_e32 v[38:39], v21
	v_cvt_pk_f32_fp8_sdwa v[20:21], v21 src0_sel:WORD_1
	v_perm_b32 v18, v19, v18, s5
	v_perm_b32 v19, v37, v36, s5
	;; [unrolled: 1-line block ×4, first 2 shown]
	v_mfma_f32_4x4x4_16b_bf16 a[0:3], v[34:35], v[18:19], a[0:3] cbsz:4 abid:2
	s_waitcnt vmcnt(5)
	v_cvt_pk_f32_fp8_e32 v[18:19], v22
	v_cvt_pk_f32_fp8_sdwa v[20:21], v22 src0_sel:WORD_1
	v_mfma_f32_4x4x4_16b_bf16 a[0:3], v[34:35], v[36:37], a[0:3] cbsz:4 abid:3
	v_cvt_pk_f32_fp8_e32 v[36:37], v23
	v_cvt_pk_f32_fp8_sdwa v[22:23], v23 src0_sel:WORD_1
	v_perm_b32 v18, v19, v18, s5
	v_perm_b32 v19, v21, v20, s5
	;; [unrolled: 1-line block ×4, first 2 shown]
	v_mfma_f32_4x4x4_16b_bf16 a[0:3], v[34:35], v[18:19], a[0:3] cbsz:4 abid:4
	v_cvt_pk_f32_fp8_e32 v[18:19], v24
	v_cvt_pk_f32_fp8_e32 v[22:23], v25
	v_mfma_f32_4x4x4_16b_bf16 a[0:3], v[34:35], v[20:21], a[0:3] cbsz:4 abid:5
	v_cvt_pk_f32_fp8_sdwa v[20:21], v24 src0_sel:WORD_1
	v_cvt_pk_f32_fp8_sdwa v[24:25], v25 src0_sel:WORD_1
	v_perm_b32 v18, v19, v18, s5
	s_load_dword s4, s[10:11], 0x0
	v_perm_b32 v19, v21, v20, s5
	v_perm_b32 v20, v23, v22, s5
	;; [unrolled: 1-line block ×3, first 2 shown]
	v_mfma_f32_4x4x4_16b_bf16 a[0:3], v[34:35], v[18:19], a[0:3] cbsz:4 abid:6
	s_waitcnt vmcnt(3)
	v_cvt_pk_f32_fp8_e32 v[18:19], v26
	v_cvt_pk_f32_fp8_e32 v[22:23], v27
	v_mfma_f32_4x4x4_16b_bf16 a[0:3], v[34:35], v[20:21], a[0:3] cbsz:4 abid:7
	v_cvt_pk_f32_fp8_sdwa v[20:21], v26 src0_sel:WORD_1
	v_cvt_pk_f32_fp8_sdwa v[24:25], v27 src0_sel:WORD_1
	v_perm_b32 v18, v19, v18, s5
	v_perm_b32 v19, v21, v20, s5
	;; [unrolled: 1-line block ×3, first 2 shown]
	s_nop 0
	v_mfma_f32_4x4x4_16b_bf16 a[0:3], v[34:35], v[18:19], a[0:3] cbsz:4 abid:8
	v_perm_b32 v21, v25, v24, s5
	v_cvt_pk_f32_fp8_e32 v[18:19], v28
	v_cvt_pk_f32_fp8_e32 v[22:23], v29
	v_mfma_f32_4x4x4_16b_bf16 a[0:3], v[34:35], v[20:21], a[0:3] cbsz:4 abid:9
	v_cvt_pk_f32_fp8_sdwa v[20:21], v28 src0_sel:WORD_1
	v_cvt_pk_f32_fp8_sdwa v[24:25], v29 src0_sel:WORD_1
	v_perm_b32 v18, v19, v18, s5
	v_perm_b32 v19, v21, v20, s5
	v_perm_b32 v20, v23, v22, s5
	s_nop 0
	v_mfma_f32_4x4x4_16b_bf16 a[0:3], v[34:35], v[18:19], a[0:3] cbsz:4 abid:10
	v_perm_b32 v21, v25, v24, s5
	s_waitcnt vmcnt(1)
	v_cvt_pk_f32_fp8_e32 v[18:19], v30
	v_cvt_pk_f32_fp8_e32 v[22:23], v31
	v_mfma_f32_4x4x4_16b_bf16 a[0:3], v[34:35], v[20:21], a[0:3] cbsz:4 abid:11
	v_cvt_pk_f32_fp8_sdwa v[20:21], v30 src0_sel:WORD_1
	v_cvt_pk_f32_fp8_sdwa v[24:25], v31 src0_sel:WORD_1
	v_perm_b32 v18, v19, v18, s5
	v_perm_b32 v19, v21, v20, s5
	;; [unrolled: 1-line block ×3, first 2 shown]
	s_nop 0
	v_mfma_f32_4x4x4_16b_bf16 a[0:3], v[34:35], v[18:19], a[0:3] cbsz:4 abid:12
	v_perm_b32 v21, v25, v24, s5
	v_cvt_pk_f32_fp8_e32 v[18:19], v32
	v_cvt_pk_f32_fp8_e32 v[22:23], v33
	v_mfma_f32_4x4x4_16b_bf16 a[0:3], v[34:35], v[20:21], a[0:3] cbsz:4 abid:13
	v_cvt_pk_f32_fp8_sdwa v[20:21], v32 src0_sel:WORD_1
	v_cvt_pk_f32_fp8_sdwa v[24:25], v33 src0_sel:WORD_1
	v_perm_b32 v18, v19, v18, s5
	v_perm_b32 v19, v21, v20, s5
	;; [unrolled: 1-line block ×3, first 2 shown]
	s_nop 0
	v_mfma_f32_4x4x4_16b_bf16 a[0:3], v[34:35], v[18:19], a[0:3] cbsz:4 abid:14
	v_perm_b32 v21, v25, v24, s5
	s_nop 1
	v_mfma_f32_4x4x4_16b_bf16 a[0:3], v[34:35], v[20:21], a[0:3] cbsz:4 abid:15
	s_nop 4
	v_accvgpr_read_b32 v21, a1
	v_accvgpr_read_b32 v20, a0
	s_waitcnt lgkmcnt(0)
	v_pk_mul_f32 v[20:21], v[20:21], s[4:5] op_sel_hi:[1,0]
	v_accvgpr_read_b32 v19, a3
	v_accvgpr_read_b32 v18, a2
	v_bfe_u32 v22, v21, 16, 1
	v_bfe_u32 v23, v20, 16, 1
	v_pk_mul_f32 v[18:19], v[18:19], s[4:5] op_sel_hi:[1,0]
	v_add3_u32 v20, v20, v23, s1
	v_add3_u32 v21, v21, v22, s1
	v_perm_b32 v20, v21, v20, s5
	v_bfe_u32 v21, v19, 16, 1
	v_bfe_u32 v22, v18, 16, 1
	v_add3_u32 v18, v18, v22, s1
	v_add3_u32 v19, v19, v21, s1
	v_perm_b32 v21, v19, v18, s5
	v_mad_u32_u24 v18, v1, 40, v40
	ds_write_b64 v18, v[20:21]
	v_cvt_pk_f32_fp8_e32 v[18:19], v2
	v_cvt_pk_f32_fp8_sdwa v[20:21], v2 src0_sel:WORD_1
	v_cvt_pk_f32_fp8_e32 v[22:23], v3
	v_cvt_pk_f32_fp8_sdwa v[2:3], v3 src0_sel:WORD_1
	v_perm_b32 v18, v19, v18, s5
	v_perm_b32 v19, v21, v20, s5
	;; [unrolled: 1-line block ×4, first 2 shown]
	v_mfma_f32_4x4x4_16b_bf16 a[0:3], v[34:35], v[18:19], 0 cbsz:4
	v_cvt_pk_f32_fp8_e32 v[2:3], v4
	v_cvt_pk_f32_fp8_sdwa v[18:19], v4 src0_sel:WORD_1
	v_mfma_f32_4x4x4_16b_bf16 a[0:3], v[34:35], v[20:21], a[0:3] cbsz:4 abid:1
	v_cvt_pk_f32_fp8_e32 v[20:21], v5
	v_cvt_pk_f32_fp8_sdwa v[4:5], v5 src0_sel:WORD_1
	v_perm_b32 v2, v3, v2, s5
	v_perm_b32 v3, v19, v18, s5
	;; [unrolled: 1-line block ×4, first 2 shown]
	v_mfma_f32_4x4x4_16b_bf16 a[0:3], v[34:35], v[2:3], a[0:3] cbsz:4 abid:2
	v_cvt_pk_f32_fp8_e32 v[2:3], v6
	v_cvt_pk_f32_fp8_sdwa v[4:5], v6 src0_sel:WORD_1
	v_mfma_f32_4x4x4_16b_bf16 a[0:3], v[34:35], v[18:19], a[0:3] cbsz:4 abid:3
	v_cvt_pk_f32_fp8_e32 v[18:19], v7
	v_cvt_pk_f32_fp8_sdwa v[6:7], v7 src0_sel:WORD_1
	v_perm_b32 v2, v3, v2, s5
	v_perm_b32 v3, v5, v4, s5
	;; [unrolled: 1-line block ×4, first 2 shown]
	v_mfma_f32_4x4x4_16b_bf16 a[0:3], v[34:35], v[2:3], a[0:3] cbsz:4 abid:4
	v_cvt_pk_f32_fp8_e32 v[2:3], v8
	v_cvt_pk_f32_fp8_e32 v[6:7], v9
	v_mfma_f32_4x4x4_16b_bf16 a[0:3], v[34:35], v[4:5], a[0:3] cbsz:4 abid:5
	v_cvt_pk_f32_fp8_sdwa v[4:5], v8 src0_sel:WORD_1
	v_cvt_pk_f32_fp8_sdwa v[8:9], v9 src0_sel:WORD_1
	v_perm_b32 v2, v3, v2, s5
	v_perm_b32 v3, v5, v4, s5
	v_perm_b32 v4, v7, v6, s5
	s_nop 0
	v_mfma_f32_4x4x4_16b_bf16 a[0:3], v[34:35], v[2:3], a[0:3] cbsz:4 abid:6
	v_perm_b32 v5, v9, v8, s5
	v_cvt_pk_f32_fp8_e32 v[2:3], v10
	v_cvt_pk_f32_fp8_e32 v[6:7], v11
	v_mfma_f32_4x4x4_16b_bf16 a[0:3], v[34:35], v[4:5], a[0:3] cbsz:4 abid:7
	v_cvt_pk_f32_fp8_sdwa v[4:5], v10 src0_sel:WORD_1
	v_cvt_pk_f32_fp8_sdwa v[8:9], v11 src0_sel:WORD_1
	v_perm_b32 v2, v3, v2, s5
	v_perm_b32 v3, v5, v4, s5
	v_perm_b32 v4, v7, v6, s5
	s_nop 0
	v_mfma_f32_4x4x4_16b_bf16 a[0:3], v[34:35], v[2:3], a[0:3] cbsz:4 abid:8
	v_perm_b32 v5, v9, v8, s5
	;; [unrolled: 11-line block ×3, first 2 shown]
	s_waitcnt vmcnt(0)
	v_cvt_pk_f32_fp8_e32 v[2:3], v14
	v_cvt_pk_f32_fp8_e32 v[6:7], v15
	v_mfma_f32_4x4x4_16b_bf16 a[0:3], v[34:35], v[4:5], a[0:3] cbsz:4 abid:11
	v_cvt_pk_f32_fp8_sdwa v[4:5], v14 src0_sel:WORD_1
	v_cvt_pk_f32_fp8_sdwa v[8:9], v15 src0_sel:WORD_1
	v_perm_b32 v2, v3, v2, s5
	v_perm_b32 v3, v5, v4, s5
	;; [unrolled: 1-line block ×3, first 2 shown]
	s_nop 0
	v_mfma_f32_4x4x4_16b_bf16 a[0:3], v[34:35], v[2:3], a[0:3] cbsz:4 abid:12
	v_perm_b32 v5, v9, v8, s5
	v_cvt_pk_f32_fp8_e32 v[2:3], v16
	v_cvt_pk_f32_fp8_e32 v[6:7], v17
	v_mfma_f32_4x4x4_16b_bf16 a[0:3], v[34:35], v[4:5], a[0:3] cbsz:4 abid:13
	v_cvt_pk_f32_fp8_sdwa v[4:5], v16 src0_sel:WORD_1
	v_cvt_pk_f32_fp8_sdwa v[8:9], v17 src0_sel:WORD_1
	v_perm_b32 v2, v3, v2, s5
	v_perm_b32 v3, v5, v4, s5
	;; [unrolled: 1-line block ×3, first 2 shown]
	s_nop 0
	v_mfma_f32_4x4x4_16b_bf16 a[0:3], v[34:35], v[2:3], a[0:3] cbsz:4 abid:14
	v_perm_b32 v5, v9, v8, s5
	s_nop 1
	v_mfma_f32_4x4x4_16b_bf16 a[0:3], v[34:35], v[4:5], a[0:3] cbsz:4 abid:15
	s_nop 4
	v_accvgpr_read_b32 v5, a1
	v_accvgpr_read_b32 v4, a0
	v_accvgpr_read_b32 v3, a3
	v_accvgpr_read_b32 v2, a2
	v_pk_mul_f32 v[4:5], v[4:5], s[4:5] op_sel_hi:[1,0]
	v_pk_mul_f32 v[2:3], v[2:3], s[4:5] op_sel_hi:[1,0]
	v_bfe_u32 v6, v5, 16, 1
	v_bfe_u32 v7, v4, 16, 1
	v_add3_u32 v4, v4, v7, s1
	v_add3_u32 v5, v5, v6, s1
	v_bfe_u32 v6, v3, 16, 1
	v_bfe_u32 v7, v2, 16, 1
	v_add3_u32 v2, v2, v7, s1
	v_add3_u32 v3, v3, v6, s1
	v_perm_b32 v39, v3, v2, s5
	v_perm_b32 v38, v5, v4, s5
.LBB1250_25:
	s_or_b64 exec, exec, s[2:3]
	s_waitcnt vmcnt(6)
	v_mad_u32_u24 v2, v1, 40, v40
	v_cmp_gt_u32_e32 vcc, 64, v0
	ds_write_b64 v2, v[38:39] offset:2560
	s_waitcnt lgkmcnt(0)
	s_barrier
	s_and_saveexec_b64 s[2:3], vcc
	s_cbranch_execz .LBB1250_27
; %bb.26:
	s_waitcnt vmcnt(4)
	v_mul_u32_u24_e32 v6, 40, v1
	ds_read2_b64 v[2:5], v6 offset1:1
	ds_read2_b64 v[6:9], v6 offset0:2 offset1:3
	s_mov_b32 s1, 0
	s_lshl_b32 s0, s0, 7
	s_lshl_b64 s[2:3], s[0:1], 1
	s_waitcnt vmcnt(2) lgkmcnt(1)
	v_and_b32_e32 v10, 0xffff0000, v2
	v_lshlrev_b32_e32 v3, 16, v3
	v_add_f32_e32 v10, 0, v10
	v_add_f32_e32 v3, 0, v3
	v_and_b32_e32 v10, 0xffff0000, v10
	v_and_b32_e32 v11, 0xffff0000, v4
	v_and_b32_e32 v3, 0xffff0000, v3
	v_add_f32_e32 v10, v10, v11
	v_lshlrev_b32_e32 v5, 16, v5
	v_and_b32_e32 v10, 0xffff0000, v10
	v_add_f32_e32 v3, v3, v5
	s_waitcnt lgkmcnt(0)
	v_and_b32_e32 v5, 0xffff0000, v6
	v_and_b32_e32 v3, 0xffff0000, v3
	v_add_f32_e32 v5, v10, v5
	v_lshlrev_b32_e32 v7, 16, v7
	v_and_b32_e32 v5, 0xffff0000, v5
	v_add_f32_e32 v3, v3, v7
	v_and_b32_e32 v7, 0xffff0000, v8
	v_add_f32_e32 v18, v5, v7
	v_mov_b32_e32 v7, 0xa00
	v_mad_u32_u24 v7, v1, 40, v7
	ds_read2_b64 v[10:13], v7 offset1:1
	v_and_b32_e32 v3, 0xffff0000, v3
	v_lshlrev_b32_e32 v5, 16, v9
	v_add_f32_e32 v9, v3, v5
	v_mov_b32_e32 v3, 0xa10
	v_mad_u32_u24 v1, v1, 40, v3
	s_waitcnt vmcnt(0)
	ds_read2_b64 v[14:17], v1 offset1:1
	s_waitcnt lgkmcnt(1)
	v_lshlrev_b32_e32 v1, 16, v10
	v_add_f32_e32 v1, 0, v1
	v_and_b32_e32 v3, 0xffff0000, v10
	v_and_b32_e32 v1, 0xffff0000, v1
	v_add_f32_e32 v3, 0, v3
	v_lshlrev_b32_e32 v5, 16, v11
	v_lshlrev_b32_e32 v7, 16, v12
	v_and_b32_e32 v3, 0xffff0000, v3
	v_add_f32_e32 v5, 0, v5
	v_add_f32_e32 v1, v1, v7
	v_and_b32_e32 v7, 0xffff0000, v12
	v_and_b32_e32 v5, 0xffff0000, v5
	v_add_f32_e32 v3, v3, v7
	v_lshlrev_b32_e32 v7, 16, v13
	v_and_b32_e32 v1, 0xffff0000, v1
	v_add_f32_e32 v5, v5, v7
	s_waitcnt lgkmcnt(0)
	v_lshlrev_b32_e32 v7, 16, v14
	v_and_b32_e32 v3, 0xffff0000, v3
	v_add_f32_e32 v1, v1, v7
	v_and_b32_e32 v7, 0xffff0000, v14
	v_and_b32_e32 v5, 0xffff0000, v5
	v_add_f32_e32 v3, v3, v7
	v_lshlrev_b32_e32 v7, 16, v15
	v_and_b32_e32 v1, 0xffff0000, v1
	v_add_f32_e32 v5, v5, v7
	v_lshlrev_b32_e32 v7, 16, v16
	v_and_b32_e32 v3, 0xffff0000, v3
	v_add_f32_e32 v10, v1, v7
	v_and_b32_e32 v1, 0xffff0000, v16
	v_and_b32_e32 v5, 0xffff0000, v5
	v_add_f32_e32 v11, v3, v1
	v_lshlrev_b32_e32 v1, 16, v17
	v_add_f32_e32 v12, v5, v1
	v_lshlrev_b32_e32 v1, 16, v2
	s_add_u32 s2, s22, s2
	v_add_f32_e32 v1, 0, v1
	s_addc_u32 s3, s23, s3
	s_lshl_b32 s0, s20, 7
	v_and_b32_e32 v1, 0xffff0000, v1
	v_lshlrev_b32_e32 v2, 16, v4
	s_lshl_b64 s[0:1], s[0:1], 1
	v_add_f32_e32 v1, v1, v2
	s_add_u32 s0, s2, s0
	v_and_b32_e32 v1, 0xffff0000, v1
	v_lshlrev_b32_e32 v2, 16, v6
	s_addc_u32 s1, s3, s1
	s_lshl_b32 s2, s38, 7
	v_add_f32_e32 v1, v1, v2
	v_and_b32_e32 v1, 0xffff0000, v1
	v_lshlrev_b32_e32 v2, 16, v8
	s_mul_i32 s3, s2, s33
	v_add_f32_e32 v1, v1, v2
	v_or_b32_e32 v2, s3, v0
	v_mov_b32_e32 v3, 0
	s_add_i32 s3, s3, s2
	v_lshl_add_u64 v[4:5], v[2:3], 1, s[0:1]
	v_or_b32_e32 v2, s3, v0
	s_add_i32 s3, s3, s2
	v_lshl_add_u64 v[6:7], v[2:3], 1, s[0:1]
	v_or_b32_e32 v2, s3, v0
	global_store_short_d16_hi v[4:5], v1, off
	v_lshl_add_u64 v[0:1], v[2:3], 1, s[0:1]
	global_store_short_d16_hi v[6:7], v18, off
	global_store_short_d16_hi v[0:1], v9, off
	global_store_short_d16_hi v[4:5], v10, off offset:128
	global_store_short_d16_hi v[6:7], v11, off offset:128
	;; [unrolled: 1-line block ×3, first 2 shown]
.LBB1250_27:
	s_endpgm
	.section	.rodata,"a",@progbits
	.p2align	6, 0x0
	.amdhsa_kernel _Z38paged_attention_ll4mi_QKV_mfma4_kernelI14__hip_bfloat16hLN4vllm18Fp8KVCacheDataTypeE1EhLi16ELi128ELi256ELb1ELi3EEvPKT_PKT0_S8_ifPKiSA_SA_iPKfiiiPfSD_PS3_PT2_iSC_SC_
		.amdhsa_group_segment_fixed_size 5280
		.amdhsa_private_segment_fixed_size 0
		.amdhsa_kernarg_size 400
		.amdhsa_user_sgpr_count 2
		.amdhsa_user_sgpr_dispatch_ptr 0
		.amdhsa_user_sgpr_queue_ptr 0
		.amdhsa_user_sgpr_kernarg_segment_ptr 1
		.amdhsa_user_sgpr_dispatch_id 0
		.amdhsa_user_sgpr_kernarg_preload_length 0
		.amdhsa_user_sgpr_kernarg_preload_offset 0
		.amdhsa_user_sgpr_private_segment_size 0
		.amdhsa_uses_dynamic_stack 0
		.amdhsa_enable_private_segment 0
		.amdhsa_system_sgpr_workgroup_id_x 1
		.amdhsa_system_sgpr_workgroup_id_y 1
		.amdhsa_system_sgpr_workgroup_id_z 1
		.amdhsa_system_sgpr_workgroup_info 0
		.amdhsa_system_vgpr_workitem_id 0
		.amdhsa_next_free_vgpr 60
		.amdhsa_next_free_sgpr 44
		.amdhsa_accum_offset 56
		.amdhsa_reserve_vcc 1
		.amdhsa_float_round_mode_32 0
		.amdhsa_float_round_mode_16_64 0
		.amdhsa_float_denorm_mode_32 3
		.amdhsa_float_denorm_mode_16_64 3
		.amdhsa_dx10_clamp 1
		.amdhsa_ieee_mode 1
		.amdhsa_fp16_overflow 0
		.amdhsa_tg_split 0
		.amdhsa_exception_fp_ieee_invalid_op 0
		.amdhsa_exception_fp_denorm_src 0
		.amdhsa_exception_fp_ieee_div_zero 0
		.amdhsa_exception_fp_ieee_overflow 0
		.amdhsa_exception_fp_ieee_underflow 0
		.amdhsa_exception_fp_ieee_inexact 0
		.amdhsa_exception_int_div_zero 0
	.end_amdhsa_kernel
	.section	.text._Z38paged_attention_ll4mi_QKV_mfma4_kernelI14__hip_bfloat16hLN4vllm18Fp8KVCacheDataTypeE1EhLi16ELi128ELi256ELb1ELi3EEvPKT_PKT0_S8_ifPKiSA_SA_iPKfiiiPfSD_PS3_PT2_iSC_SC_,"axG",@progbits,_Z38paged_attention_ll4mi_QKV_mfma4_kernelI14__hip_bfloat16hLN4vllm18Fp8KVCacheDataTypeE1EhLi16ELi128ELi256ELb1ELi3EEvPKT_PKT0_S8_ifPKiSA_SA_iPKfiiiPfSD_PS3_PT2_iSC_SC_,comdat
.Lfunc_end1250:
	.size	_Z38paged_attention_ll4mi_QKV_mfma4_kernelI14__hip_bfloat16hLN4vllm18Fp8KVCacheDataTypeE1EhLi16ELi128ELi256ELb1ELi3EEvPKT_PKT0_S8_ifPKiSA_SA_iPKfiiiPfSD_PS3_PT2_iSC_SC_, .Lfunc_end1250-_Z38paged_attention_ll4mi_QKV_mfma4_kernelI14__hip_bfloat16hLN4vllm18Fp8KVCacheDataTypeE1EhLi16ELi128ELi256ELb1ELi3EEvPKT_PKT0_S8_ifPKiSA_SA_iPKfiiiPfSD_PS3_PT2_iSC_SC_
                                        ; -- End function
	.section	.AMDGPU.csdata,"",@progbits
; Kernel info:
; codeLenInByte = 6024
; NumSgprs: 50
; NumVgprs: 56
; NumAgprs: 4
; TotalNumVgprs: 60
; ScratchSize: 0
; MemoryBound: 0
; FloatMode: 240
; IeeeMode: 1
; LDSByteSize: 5280 bytes/workgroup (compile time only)
; SGPRBlocks: 6
; VGPRBlocks: 7
; NumSGPRsForWavesPerEU: 50
; NumVGPRsForWavesPerEU: 60
; AccumOffset: 56
; Occupancy: 8
; WaveLimiterHint : 1
; COMPUTE_PGM_RSRC2:SCRATCH_EN: 0
; COMPUTE_PGM_RSRC2:USER_SGPR: 2
; COMPUTE_PGM_RSRC2:TRAP_HANDLER: 0
; COMPUTE_PGM_RSRC2:TGID_X_EN: 1
; COMPUTE_PGM_RSRC2:TGID_Y_EN: 1
; COMPUTE_PGM_RSRC2:TGID_Z_EN: 1
; COMPUTE_PGM_RSRC2:TIDIG_COMP_CNT: 0
; COMPUTE_PGM_RSRC3_GFX90A:ACCUM_OFFSET: 13
; COMPUTE_PGM_RSRC3_GFX90A:TG_SPLIT: 0
	.section	.text._Z38paged_attention_ll4mi_QKV_mfma4_kernelI14__hip_bfloat16hLN4vllm18Fp8KVCacheDataTypeE1EhLi16ELi128ELi256ELb1ELi4EEvPKT_PKT0_S8_ifPKiSA_SA_iPKfiiiPfSD_PS3_PT2_iSC_SC_,"axG",@progbits,_Z38paged_attention_ll4mi_QKV_mfma4_kernelI14__hip_bfloat16hLN4vllm18Fp8KVCacheDataTypeE1EhLi16ELi128ELi256ELb1ELi4EEvPKT_PKT0_S8_ifPKiSA_SA_iPKfiiiPfSD_PS3_PT2_iSC_SC_,comdat
	.protected	_Z38paged_attention_ll4mi_QKV_mfma4_kernelI14__hip_bfloat16hLN4vllm18Fp8KVCacheDataTypeE1EhLi16ELi128ELi256ELb1ELi4EEvPKT_PKT0_S8_ifPKiSA_SA_iPKfiiiPfSD_PS3_PT2_iSC_SC_ ; -- Begin function _Z38paged_attention_ll4mi_QKV_mfma4_kernelI14__hip_bfloat16hLN4vllm18Fp8KVCacheDataTypeE1EhLi16ELi128ELi256ELb1ELi4EEvPKT_PKT0_S8_ifPKiSA_SA_iPKfiiiPfSD_PS3_PT2_iSC_SC_
	.globl	_Z38paged_attention_ll4mi_QKV_mfma4_kernelI14__hip_bfloat16hLN4vllm18Fp8KVCacheDataTypeE1EhLi16ELi128ELi256ELb1ELi4EEvPKT_PKT0_S8_ifPKiSA_SA_iPKfiiiPfSD_PS3_PT2_iSC_SC_
	.p2align	8
	.type	_Z38paged_attention_ll4mi_QKV_mfma4_kernelI14__hip_bfloat16hLN4vllm18Fp8KVCacheDataTypeE1EhLi16ELi128ELi256ELb1ELi4EEvPKT_PKT0_S8_ifPKiSA_SA_iPKfiiiPfSD_PS3_PT2_iSC_SC_,@function
_Z38paged_attention_ll4mi_QKV_mfma4_kernelI14__hip_bfloat16hLN4vllm18Fp8KVCacheDataTypeE1EhLi16ELi128ELi256ELb1ELi4EEvPKT_PKT0_S8_ifPKiSA_SA_iPKfiiiPfSD_PS3_PT2_iSC_SC_: ; @_Z38paged_attention_ll4mi_QKV_mfma4_kernelI14__hip_bfloat16hLN4vllm18Fp8KVCacheDataTypeE1EhLi16ELi128ELi256ELb1ELi4EEvPKT_PKT0_S8_ifPKiSA_SA_iPKfiiiPfSD_PS3_PT2_iSC_SC_
; %bb.0:
	s_load_dwordx2 s[16:17], s[0:1], 0x30
	s_mov_b32 s24, s3
	s_mov_b64 s[6:7], 0
	s_waitcnt lgkmcnt(0)
	s_cmp_lg_u64 s[16:17], 0
	s_cselect_b64 s[18:19], -1, 0
	s_and_b64 vcc, exec, s[18:19]
	s_cbranch_vccz .LBB1251_20
; %bb.1:
	s_add_i32 s8, s2, 1
	s_mov_b32 s9, 0
	s_lshl_b64 s[10:11], s[8:9], 2
	s_add_u32 s10, s16, s10
	s_mov_b32 s3, s9
	s_addc_u32 s11, s17, s11
	s_lshl_b64 s[8:9], s[2:3], 2
	s_add_u32 s8, s16, s8
	s_addc_u32 s9, s17, s9
	s_load_dword s5, s[10:11], 0x0
	s_load_dword s12, s[8:9], 0x0
	s_mov_b64 s[34:35], s[2:3]
	s_waitcnt lgkmcnt(0)
	s_sub_i32 s5, s5, s12
	s_cmp_eq_u32 s5, 1
	s_cselect_b64 s[8:9], -1, 0
	s_andn2_b64 vcc, exec, s[6:7]
	s_cbranch_vccnz .LBB1251_3
.LBB1251_2:
	s_mov_b32 s3, 0
	s_mov_b64 s[8:9], -1
	s_mov_b64 s[34:35], s[2:3]
.LBB1251_3:
	s_andn2_b64 vcc, exec, s[8:9]
	s_cbranch_vccnz .LBB1251_19
; %bb.4:
	s_load_dword s3, s[0:1], 0x9c
	s_load_dwordx2 s[6:7], s[0:1], 0x28
	s_add_u32 s28, s0, 0x90
	s_addc_u32 s29, s1, 0
	s_lshl_b64 s[42:43], s[34:35], 2
	s_waitcnt lgkmcnt(0)
	s_and_b32 s5, s3, 0xffff
	s_add_u32 s6, s6, s42
	s_addc_u32 s7, s7, s43
	s_load_dword s3, s[6:7], 0x0
	s_mul_i32 s5, s24, s5
	s_waitcnt lgkmcnt(0)
	s_cmp_ge_i32 s5, s3
	s_cbranch_scc1 .LBB1251_19
; %bb.5:
	v_and_b32_e32 v1, 0xc0, v0
	v_and_b32_e32 v41, 3, v0
	s_lshl_b32 s33, s4, 2
	v_add_u32_e32 v4, s5, v1
	v_lshrrev_b32_e32 v40, 6, v0
	v_cmp_le_i32_e64 s[6:7], s3, v4
	v_or_b32_e32 v38, s33, v41
                                        ; implicit-def: $sgpr21
                                        ; implicit-def: $sgpr20
	s_and_saveexec_b64 s[8:9], s[6:7]
	s_xor_b64 s[8:9], exec, s[8:9]
	s_cbranch_execz .LBB1251_7
; %bb.6:
	v_mul_u32_u24_e32 v1, 20, v40
	v_or_b32_e32 v1, 0x1400, v1
	v_mov_b32_e32 v2, 0x1450
	v_mov_b32_e32 v3, 0xff7fffff
	v_mad_u32_u24 v2, v40, 20, v2
	ds_write2_b32 v1, v3, v3 offset1:1
	v_mov_b32_e32 v1, 0
	ds_write2_b32 v2, v1, v1 offset1:1
	v_mov_b32_e32 v2, 0x1408
	v_mov_b32_e32 v4, 0x1458
	s_mov_b32 s20, 0xff7fffff
	s_mov_b32 s21, 0
	v_mad_u32_u24 v2, v40, 20, v2
	v_mad_u32_u24 v4, v40, 20, v4
	v_or_b32_e32 v38, s33, v41
	ds_write2_b32 v2, v3, v3 offset1:1
	ds_write2_b32 v4, v1, v1 offset1:1
                                        ; implicit-def: $vgpr4
.LBB1251_7:
	s_or_saveexec_b64 s[30:31], s[8:9]
	s_load_dwordx2 s[26:27], s[0:1], 0x68
	s_load_dwordx4 s[12:15], s[0:1], 0x58
	s_load_dword s44, s[28:29], 0x4
	s_load_dwordx4 s[8:11], s[0:1], 0x80
	v_and_b32_e32 v1, 63, v0
	v_mov_b32_e32 v37, s21
	v_mov_b32_e32 v42, s20
	;; [unrolled: 1-line block ×5, first 2 shown]
                                        ; implicit-def: $vgpr22_vgpr23
                                        ; implicit-def: $vgpr18_vgpr19
                                        ; implicit-def: $vgpr26_vgpr27
                                        ; implicit-def: $vgpr30_vgpr31
                                        ; implicit-def: $vgpr6_vgpr7
                                        ; implicit-def: $vgpr2_vgpr3
                                        ; implicit-def: $vgpr10_vgpr11
                                        ; implicit-def: $vgpr14_vgpr15
	s_xor_b64 exec, exec, s[30:31]
	s_cbranch_execz .LBB1251_13
; %bb.8:
	s_load_dwordx2 s[20:21], s[0:1], 0x20
	s_load_dword s22, s[0:1], 0x38
	s_add_i32 s23, s3, 15
	s_ashr_i32 s25, s23, 31
	s_lshr_b32 s25, s25, 28
	v_add_u32_e32 v42, s5, v0
	s_add_i32 s23, s23, s25
	v_ashrrev_i32_e32 v2, 31, v42
	s_ashr_i32 s23, s23, 4
	v_lshrrev_b32_e32 v2, 28, v2
	s_add_i32 s25, s23, -1
	s_waitcnt lgkmcnt(0)
	s_mul_i32 s36, s2, s22
	s_mov_b32 s37, 0
	v_add_u32_e32 v2, v42, v2
	s_lshl_b64 s[22:23], s[36:37], 2
	v_ashrrev_i32_e32 v2, 4, v2
	v_mov_b32_e32 v3, s25
	v_cmp_gt_i32_e32 vcc, s3, v42
	s_add_u32 s20, s20, s22
	s_addc_u32 s21, s21, s23
	v_cndmask_b32_e32 v2, v3, v2, vcc
	v_ashrrev_i32_e32 v3, 31, v2
	v_lshl_add_u64 v[8:9], v[2:3], 2, s[20:21]
	v_ashrrev_i32_e32 v2, 31, v4
	v_lshrrev_b32_e32 v2, 28, v2
	v_add_u32_e32 v2, v4, v2
	v_ashrrev_i32_e32 v4, 4, v2
	v_min_i32_e32 v2, s25, v4
	v_ashrrev_i32_e32 v3, 31, v2
	v_lshl_add_u64 v[10:11], v[2:3], 2, s[20:21]
	v_add_u32_e32 v2, 1, v4
	v_min_i32_e32 v2, s25, v2
	v_ashrrev_i32_e32 v3, 31, v2
	v_lshl_add_u64 v[12:13], v[2:3], 2, s[20:21]
	v_add_u32_e32 v2, 2, v4
	;; [unrolled: 4-line block ×3, first 2 shown]
	v_min_i32_e32 v2, s25, v2
	v_ashrrev_i32_e32 v3, 31, v2
	v_lshl_add_u64 v[16:17], v[2:3], 2, s[20:21]
	global_load_dword v6, v[8:9], off
	global_load_dword v2, v[10:11], off
	;; [unrolled: 1-line block ×5, first 2 shown]
	s_load_dwordx2 s[40:41], s[0:1], 0x40
	s_load_dwordx4 s[20:23], s[0:1], 0x0
	s_load_dwordx2 s[38:39], s[0:1], 0x10
	s_andn2_b64 vcc, exec, s[18:19]
	s_cbranch_vccnz .LBB1251_10
; %bb.9:
	s_add_u32 s16, s16, s42
	s_addc_u32 s17, s17, s43
	s_load_dword s36, s[16:17], 0x0
	s_waitcnt lgkmcnt(0)
	s_mov_b64 s[34:35], s[36:37]
.LBB1251_10:
	s_load_dwordx4 s[16:19], s[0:1], 0x48
	s_load_dword s5, s[0:1], 0x1c
	v_lshlrev_b32_e32 v14, 2, v1
	v_mov_b32_e32 v19, 0
	v_and_b32_e32 v14, 0xf0, v14
	s_waitcnt lgkmcnt(0)
	s_ashr_i32 s1, s16, 31
	s_mul_hi_u32 s19, s34, s16
	s_mul_i32 s1, s34, s1
	s_mul_i32 s25, s35, s16
	s_add_i32 s1, s19, s1
	s_mul_i32 s0, s34, s16
	s_add_i32 s1, s1, s25
	s_lshl_b64 s[0:1], s[0:1], 1
	s_add_u32 s16, s20, s0
	s_addc_u32 s19, s21, s1
	s_lshl_b32 s36, s4, 9
	s_lshl_b64 s[0:1], s[36:37], 1
	s_add_u32 s0, s16, s0
	s_addc_u32 s1, s19, s1
	s_mul_i32 s4, s4, s18
	s_add_u32 s18, s4, s22
	s_addc_u32 s19, 0, s23
	v_mov_b64_e32 v[8:9], s[18:19]
	s_waitcnt vmcnt(4)
	v_mad_i64_i32 v[6:7], s[18:19], v6, s17, v[8:9]
	v_lshlrev_b32_e32 v8, 4, v0
	v_and_b32_e32 v18, 0xf0, v8
	v_lshl_add_u64 v[20:21], v[6:7], 0, v[18:19]
	v_lshl_or_b32 v14, v41, 8, v14
	global_load_dwordx4 v[6:9], v[20:21], off
	global_load_dwordx4 v[10:13], v[20:21], off offset:256
	global_load_dwordx4 v[44:47], v14, s[0:1]
	v_mov_b32_e32 v39, v19
	v_lshl_add_u64 v[14:15], v[38:39], 2, s[40:41]
	global_load_dword v39, v[14:15], off
	s_waitcnt vmcnt(7)
	v_mul_hi_i32 v14, v2, s17
	v_ashrrev_i32_e32 v32, 31, v14
	global_load_dwordx4 v[14:17], v[20:21], off offset:512
	s_waitcnt vmcnt(6)
	v_mul_hi_i32 v22, v4, s17
	s_waitcnt vmcnt(5)
	v_mul_hi_i32 v24, v5, s17
	v_ashrrev_i32_e32 v26, 31, v22
	v_ashrrev_i32_e32 v28, 31, v24
	v_lshrrev_b32_e32 v24, 29, v26
	v_lshrrev_b32_e32 v26, 29, v28
	global_load_dwordx4 v[28:31], v[20:21], off offset:768
	global_load_dwordx4 v[48:51], v[20:21], off offset:1024
	;; [unrolled: 1-line block ×5, first 2 shown]
	v_mul_hi_i32 v18, v3, s17
	v_ashrrev_i32_e32 v18, 31, v18
	v_mov_b32_e32 v23, v19
	v_mov_b32_e32 v25, v19
	;; [unrolled: 1-line block ×3, first 2 shown]
	v_lshrrev_b32_e32 v22, 29, v18
	v_mad_i64_i32 v[22:23], s[18:19], v3, s17, v[22:23]
	v_mad_i64_i32 v[24:25], s[18:19], v4, s17, v[24:25]
	;; [unrolled: 1-line block ×3, first 2 shown]
	v_lshrrev_b32_e32 v18, 29, v32
	s_add_u32 s18, s38, s4
	v_mad_i64_i32 v[2:3], s[16:17], v2, s17, v[18:19]
	v_and_b32_e32 v22, -8, v22
	v_and_b32_e32 v24, -8, v24
	;; [unrolled: 1-line block ×3, first 2 shown]
	s_addc_u32 s19, s39, 0
	v_and_b32_e32 v2, -8, v2
	v_lshl_add_u64 v[22:23], s[18:19], 0, v[22:23]
	v_lshl_add_u64 v[24:25], s[18:19], 0, v[24:25]
	;; [unrolled: 1-line block ×3, first 2 shown]
	v_lshlrev_b32_e32 v18, 4, v1
	v_lshl_add_u64 v[2:3], s[18:19], 0, v[2:3]
	v_lshl_add_u64 v[26:27], v[22:23], 0, v[18:19]
	;; [unrolled: 1-line block ×5, first 2 shown]
	s_mov_b32 s0, 0x7060302
	v_cmp_eq_u32_e32 vcc, 0, v41
	s_waitcnt vmcnt(9)
	v_cvt_pk_f32_fp8_e32 v[4:5], v6
	v_cvt_pk_f32_fp8_sdwa v[18:19], v6 src0_sel:WORD_1
	v_cvt_pk_f32_fp8_e32 v[20:21], v7
	v_cvt_pk_f32_fp8_sdwa v[62:63], v7 src0_sel:WORD_1
	v_cvt_pk_f32_fp8_e32 v[64:65], v8
	v_cvt_pk_f32_fp8_sdwa v[66:67], v8 src0_sel:WORD_1
	v_perm_b32 v4, v5, v4, s0
	v_perm_b32 v5, v19, v18, s0
	v_cvt_pk_f32_fp8_e32 v[68:69], v9
	v_cvt_pk_f32_fp8_sdwa v[70:71], v9 src0_sel:WORD_1
	s_waitcnt vmcnt(7)
	v_mfma_f32_4x4x4_16b_bf16 a[0:3], v[44:45], v[4:5], 0 cbsz:4
	global_load_dwordx4 v[22:25], v[2:3], off
	global_load_dwordx4 v[6:9], v[2:3], off offset:1024
	v_perm_b32 v2, v21, v20, s0
	v_perm_b32 v3, v63, v62, s0
	v_cvt_pk_f32_fp8_e32 v[72:73], v10
	v_cvt_pk_f32_fp8_sdwa v[74:75], v10 src0_sel:WORD_1
	v_mfma_f32_4x4x4_16b_bf16 a[0:3], v[46:47], v[2:3], a[0:3] cbsz:4
	v_perm_b32 v18, v65, v64, s0
	v_perm_b32 v19, v67, v66, s0
	v_cvt_pk_f32_fp8_e32 v[76:77], v11
	v_cvt_pk_f32_fp8_sdwa v[10:11], v11 src0_sel:WORD_1
	v_mfma_f32_4x4x4_16b_bf16 a[0:3], v[44:45], v[18:19], a[0:3] cbsz:4 abid:1
	v_perm_b32 v20, v69, v68, s0
	v_perm_b32 v21, v71, v70, s0
	v_cvt_pk_f32_fp8_e32 v[78:79], v12
	v_cvt_pk_f32_fp8_sdwa v[80:81], v12 src0_sel:WORD_1
	v_mfma_f32_4x4x4_16b_bf16 a[0:3], v[46:47], v[20:21], a[0:3] cbsz:4 abid:1
	;; [unrolled: 5-line block ×3, first 2 shown]
	v_perm_b32 v4, v77, v76, s0
	v_perm_b32 v5, v11, v10, s0
	v_perm_b32 v10, v79, v78, s0
	v_perm_b32 v11, v81, v80, s0
	v_mfma_f32_4x4x4_16b_bf16 a[0:3], v[46:47], v[4:5], a[0:3] cbsz:4 abid:2
	global_load_dwordx4 v[18:21], v[26:27], off
	global_load_dwordx4 v[2:5], v[26:27], off offset:1024
	v_mfma_f32_4x4x4_16b_bf16 a[0:3], v[44:45], v[10:11], a[0:3] cbsz:4 abid:3
	v_perm_b32 v26, v83, v82, s0
	v_perm_b32 v27, v13, v12, s0
	s_waitcnt vmcnt(9)
	v_cvt_pk_f32_fp8_e32 v[10:11], v14
	v_cvt_pk_f32_fp8_sdwa v[12:13], v14 src0_sel:WORD_1
	v_mfma_f32_4x4x4_16b_bf16 a[0:3], v[46:47], v[26:27], a[0:3] cbsz:4 abid:3
	v_cvt_pk_f32_fp8_e32 v[26:27], v15
	v_cvt_pk_f32_fp8_sdwa v[14:15], v15 src0_sel:WORD_1
	v_perm_b32 v10, v11, v10, s0
	v_perm_b32 v11, v13, v12, s0
	;; [unrolled: 1-line block ×4, first 2 shown]
	v_mfma_f32_4x4x4_16b_bf16 a[0:3], v[44:45], v[10:11], a[0:3] cbsz:4 abid:4
	v_cvt_pk_f32_fp8_e32 v[10:11], v16
	v_cvt_pk_f32_fp8_sdwa v[14:15], v16 src0_sel:WORD_1
	v_mfma_f32_4x4x4_16b_bf16 a[0:3], v[46:47], v[12:13], a[0:3] cbsz:4 abid:4
	v_cvt_pk_f32_fp8_e32 v[12:13], v17
	v_perm_b32 v10, v11, v10, s0
	v_perm_b32 v11, v15, v14, s0
	v_cvt_pk_f32_fp8_sdwa v[14:15], v17 src0_sel:WORD_1
	s_waitcnt vmcnt(8)
	v_cvt_pk_f32_fp8_sdwa v[16:17], v28 src0_sel:WORD_1
	v_mfma_f32_4x4x4_16b_bf16 a[0:3], v[44:45], v[10:11], a[0:3] cbsz:4 abid:5
	v_cvt_pk_f32_fp8_e32 v[10:11], v28
	v_perm_b32 v12, v13, v12, s0
	v_perm_b32 v13, v15, v14, s0
	v_perm_b32 v15, v17, v16, s0
	v_cvt_pk_f32_fp8_e32 v[16:17], v29
	v_cvt_pk_f32_fp8_sdwa v[62:63], v29 src0_sel:WORD_1
	v_mfma_f32_4x4x4_16b_bf16 a[0:3], v[46:47], v[12:13], a[0:3] cbsz:4 abid:5
	v_perm_b32 v14, v11, v10, s0
	v_perm_b32 v16, v17, v16, s0
	;; [unrolled: 1-line block ×3, first 2 shown]
	v_mfma_f32_4x4x4_16b_bf16 a[0:3], v[44:45], v[14:15], a[0:3] cbsz:4 abid:6
	v_cvt_pk_f32_fp8_e32 v[14:15], v30
	global_load_dwordx4 v[26:29], v[32:33], off
	global_load_dwordx4 v[10:13], v[32:33], off offset:1024
	v_mfma_f32_4x4x4_16b_bf16 a[0:3], v[46:47], v[16:17], a[0:3] cbsz:4 abid:6
	v_cvt_pk_f32_fp8_sdwa v[16:17], v30 src0_sel:WORD_1
	v_cvt_pk_f32_fp8_e32 v[32:33], v31
	v_cvt_pk_f32_fp8_sdwa v[30:31], v31 src0_sel:WORD_1
	v_perm_b32 v14, v15, v14, s0
	v_perm_b32 v15, v17, v16, s0
	;; [unrolled: 1-line block ×4, first 2 shown]
	v_mfma_f32_4x4x4_16b_bf16 a[0:3], v[44:45], v[14:15], a[0:3] cbsz:4 abid:7
	s_waitcnt vmcnt(9)
	v_cvt_pk_f32_fp8_e32 v[14:15], v48
	v_cvt_pk_f32_fp8_e32 v[30:31], v49
	v_mfma_f32_4x4x4_16b_bf16 a[0:3], v[46:47], v[16:17], a[0:3] cbsz:4 abid:7
	v_cvt_pk_f32_fp8_sdwa v[16:17], v48 src0_sel:WORD_1
	v_cvt_pk_f32_fp8_sdwa v[32:33], v49 src0_sel:WORD_1
	v_perm_b32 v14, v15, v14, s0
	v_cvt_pk_f32_fp8_e32 v[48:49], v50
	v_perm_b32 v15, v17, v16, s0
	v_cvt_pk_f32_fp8_sdwa v[62:63], v50 src0_sel:WORD_1
	v_cvt_pk_f32_fp8_e32 v[64:65], v51
	v_mfma_f32_4x4x4_16b_bf16 a[0:3], v[44:45], v[14:15], a[0:3] cbsz:4 abid:8
	v_cvt_pk_f32_fp8_sdwa v[50:51], v51 src0_sel:WORD_1
	v_perm_b32 v16, v31, v30, s0
	v_perm_b32 v17, v33, v32, s0
	;; [unrolled: 1-line block ×4, first 2 shown]
	v_mfma_f32_4x4x4_16b_bf16 a[0:3], v[46:47], v[16:17], a[0:3] cbsz:4 abid:8
	global_load_dwordx4 v[30:33], v[60:61], off
	global_load_dwordx4 v[14:17], v[60:61], off offset:1024
	v_perm_b32 v61, v51, v50, s0
	v_mfma_f32_4x4x4_16b_bf16 a[0:3], v[44:45], v[48:49], a[0:3] cbsz:4 abid:9
	s_waitcnt vmcnt(10)
	v_cvt_pk_f32_fp8_e32 v[48:49], v52
	v_cvt_pk_f32_fp8_sdwa v[50:51], v52 src0_sel:WORD_1
	v_perm_b32 v60, v65, v64, s0
	v_perm_b32 v48, v49, v48, s0
	s_nop 0
	v_mfma_f32_4x4x4_16b_bf16 a[0:3], v[46:47], v[60:61], a[0:3] cbsz:4 abid:9
	v_cvt_pk_f32_fp8_e32 v[60:61], v53
	v_cvt_pk_f32_fp8_sdwa v[52:53], v53 src0_sel:WORD_1
	v_perm_b32 v49, v51, v50, s0
	v_perm_b32 v50, v61, v60, s0
	s_nop 0
	v_mfma_f32_4x4x4_16b_bf16 a[0:3], v[44:45], v[48:49], a[0:3] cbsz:4 abid:10
	v_perm_b32 v51, v53, v52, s0
	v_cvt_pk_f32_fp8_e32 v[48:49], v54
	v_cvt_pk_f32_fp8_e32 v[52:53], v55
	v_mfma_f32_4x4x4_16b_bf16 a[0:3], v[46:47], v[50:51], a[0:3] cbsz:4 abid:10
	v_cvt_pk_f32_fp8_sdwa v[50:51], v54 src0_sel:WORD_1
	v_cvt_pk_f32_fp8_sdwa v[54:55], v55 src0_sel:WORD_1
	v_perm_b32 v48, v49, v48, s0
	v_perm_b32 v49, v51, v50, s0
	v_perm_b32 v50, v53, v52, s0
	s_nop 0
	v_mfma_f32_4x4x4_16b_bf16 a[0:3], v[44:45], v[48:49], a[0:3] cbsz:4 abid:11
	v_perm_b32 v51, v55, v54, s0
	s_waitcnt vmcnt(9)
	v_cvt_pk_f32_fp8_e32 v[48:49], v56
	v_cvt_pk_f32_fp8_e32 v[52:53], v57
	v_mfma_f32_4x4x4_16b_bf16 a[0:3], v[46:47], v[50:51], a[0:3] cbsz:4 abid:11
	v_cvt_pk_f32_fp8_sdwa v[50:51], v56 src0_sel:WORD_1
	v_cvt_pk_f32_fp8_sdwa v[54:55], v57 src0_sel:WORD_1
	v_perm_b32 v48, v49, v48, s0
	v_perm_b32 v49, v51, v50, s0
	;; [unrolled: 1-line block ×3, first 2 shown]
	s_nop 0
	v_mfma_f32_4x4x4_16b_bf16 a[0:3], v[44:45], v[48:49], a[0:3] cbsz:4 abid:12
	v_perm_b32 v51, v55, v54, s0
	v_cvt_pk_f32_fp8_e32 v[48:49], v58
	v_cvt_pk_f32_fp8_e32 v[52:53], v59
	v_mfma_f32_4x4x4_16b_bf16 a[0:3], v[46:47], v[50:51], a[0:3] cbsz:4 abid:12
	v_cvt_pk_f32_fp8_sdwa v[50:51], v58 src0_sel:WORD_1
	v_cvt_pk_f32_fp8_sdwa v[54:55], v59 src0_sel:WORD_1
	v_perm_b32 v48, v49, v48, s0
	v_perm_b32 v49, v51, v50, s0
	;; [unrolled: 1-line block ×3, first 2 shown]
	s_nop 0
	v_mfma_f32_4x4x4_16b_bf16 a[0:3], v[44:45], v[48:49], a[0:3] cbsz:4 abid:13
	s_waitcnt vmcnt(8)
	v_cvt_pk_f32_fp8_e32 v[48:49], v34
	v_perm_b32 v51, v55, v54, s0
	v_cvt_pk_f32_fp8_e32 v[52:53], v35
	s_nop 0
	v_mfma_f32_4x4x4_16b_bf16 a[0:3], v[46:47], v[50:51], a[0:3] cbsz:4 abid:13
	v_cvt_pk_f32_fp8_sdwa v[50:51], v34 src0_sel:WORD_1
	v_perm_b32 v34, v49, v48, s0
	v_cvt_pk_f32_fp8_sdwa v[48:49], v35 src0_sel:WORD_1
	v_perm_b32 v35, v51, v50, s0
	v_perm_b32 v50, v53, v52, s0
	s_nop 0
	v_mfma_f32_4x4x4_16b_bf16 a[0:3], v[44:45], v[34:35], a[0:3] cbsz:4 abid:14
	v_perm_b32 v51, v49, v48, s0
	v_cvt_pk_f32_fp8_e32 v[34:35], v36
	v_cvt_pk_f32_fp8_sdwa v[48:49], v36 src0_sel:WORD_1
	v_mfma_f32_4x4x4_16b_bf16 a[0:3], v[46:47], v[50:51], a[0:3] cbsz:4 abid:14
	v_cvt_pk_f32_fp8_e32 v[50:51], v37
	v_cvt_pk_f32_fp8_sdwa v[36:37], v37 src0_sel:WORD_1
	v_perm_b32 v34, v35, v34, s0
	v_perm_b32 v35, v49, v48, s0
	;; [unrolled: 1-line block ×4, first 2 shown]
	v_mfma_f32_4x4x4_16b_bf16 a[0:3], v[44:45], v[34:35], a[0:3] cbsz:4 abid:15
	s_load_dword s0, s[8:9], 0x0
	v_mov_b32_e32 v34, s5
	v_mfma_f32_4x4x4_16b_bf16 a[0:3], v[46:47], v[48:49], a[0:3] cbsz:4 abid:15
	s_waitcnt lgkmcnt(0)
	v_mul_f32_e32 v36, s0, v34
	s_nop 2
	v_accvgpr_read_b32 v45, a1
	v_accvgpr_read_b32 v44, a0
	v_pk_mul_f32 v[44:45], v[44:45], v[36:37] op_sel_hi:[1,0]
	v_accvgpr_read_b32 v35, a3
	v_accvgpr_read_b32 v34, a2
	v_pk_mul_f32 v[34:35], v[34:35], v[36:37] op_sel_hi:[1,0]
	v_cndmask_b32_e64 v36, 0, 1.0, vcc
	v_cmp_eq_u32_e32 vcc, 1, v41
	s_nop 0
	v_mfma_f32_4x4x1_16b_f32 a[0:3], v44, v36, 0
	v_cndmask_b32_e64 v36, 0, 1.0, vcc
	v_cmp_eq_u32_e32 vcc, 2, v41
	s_nop 0
	v_mfma_f32_4x4x1_16b_f32 a[0:3], v45, v36, a[0:3]
	v_cndmask_b32_e64 v36, 0, 1.0, vcc
	v_cmp_eq_u32_e32 vcc, 3, v41
	v_mov_b32_e32 v45, 0xff7fffff
	v_mfma_f32_4x4x1_16b_f32 a[0:3], v34, v36, a[0:3]
	v_cndmask_b32_e64 v34, 0, 1.0, vcc
	s_nop 1
	v_mfma_f32_4x4x1_16b_f32 a[0:3], v35, v34, a[0:3]
	v_and_b32_e32 v34, -4, v42
	v_subrev_u32_e32 v35, s3, v34
	v_add_u32_e32 v36, 1, v35
	v_cvt_f32_i32_e32 v36, v36
	v_add_u32_e32 v37, 2, v35
	v_cvt_f32_i32_e32 v37, v37
	v_accvgpr_read_b32 v43, a0
	v_fma_f32 v36, v39, v36, v43
	v_accvgpr_read_b32 v43, a1
	v_fma_f32 v37, v39, v37, v43
	v_add_u32_e32 v43, 3, v35
	v_cvt_f32_i32_e32 v43, v43
	v_add_u32_e32 v35, 4, v35
	v_cvt_f32_i32_e32 v35, v35
	v_accvgpr_read_b32 v44, a2
	v_fma_f32 v43, v39, v43, v44
	v_accvgpr_read_b32 v44, a3
	v_fmac_f32_e32 v44, v39, v35
	v_max_f32_e32 v39, 0xff7fffff, v36
	v_cmp_gt_i32_e32 vcc, s3, v34
	v_lshlrev_b32_e32 v35, 2, v0
	v_and_or_b32 v35, v35, 48, v41
	v_cndmask_b32_e32 v39, v45, v39, vcc
	v_or_b32_e32 v45, 1, v34
	v_max_f32_e32 v46, v39, v37
	v_cmp_gt_i32_e64 s[0:1], s3, v45
	v_or_b32_e32 v34, 2, v34
	v_cmp_gt_i32_e64 s[4:5], s3, v34
	v_cndmask_b32_e64 v39, v39, v46, s[0:1]
	v_max_f32_e32 v45, v39, v43
	v_cndmask_b32_e64 v34, v39, v45, s[4:5]
	v_or_b32_e32 v39, 3, v42
	v_max_f32_e32 v42, v34, v44
	v_cmp_gt_i32_e64 s[8:9], s3, v39
	v_lshlrev_b32_e32 v39, 2, v35
	s_nop 0
	v_cndmask_b32_e64 v34, v34, v42, s[8:9]
	;;#ASMSTART
	v_nop
 v_nop
 v_max_f32_dpp v34, v34, v34 row_ror:4
	;;#ASMEND
	s_nop 0
	;;#ASMSTART
	v_nop
 v_nop
 v_max_f32_dpp v34, v34, v34 row_ror:8
	;;#ASMEND
	ds_bpermute_b32 v34, v39, v34
	s_waitcnt lgkmcnt(0)
	;;#ASMSTART
	v_nop
 v_nop
 v_max_f32_dpp v34, v34, v34 row_ror:4
	;;#ASMEND
	s_nop 0
	;;#ASMSTART
	v_nop
 v_nop
 v_max_f32_dpp v42, v34, v34 row_ror:8
	;;#ASMEND
	s_nop 0
	v_sub_f32_e32 v34, v36, v42
	v_mul_f32_e32 v34, 0x3fb8aa3b, v34
	v_sub_f32_e32 v35, v37, v42
	v_exp_f32_e32 v34, v34
	v_mul_f32_e32 v35, 0x3fb8aa3b, v35
	v_sub_f32_e32 v37, v43, v42
	v_exp_f32_e32 v35, v35
	;; [unrolled: 3-line block ×3, first 2 shown]
	v_mul_f32_e32 v43, 0x3fb8aa3b, v43
	v_exp_f32_e32 v43, v43
	v_cndmask_b32_e32 v34, 0, v34, vcc
	v_add_f32_e32 v36, 0, v34
	v_cndmask_b32_e64 v35, 0, v35, s[0:1]
	v_add_f32_e32 v44, v36, v35
	v_cndmask_b32_e64 v36, 0, v37, s[4:5]
	;; [unrolled: 2-line block ×3, first 2 shown]
	v_add_f32_e32 v43, v44, v37
	;;#ASMSTART
	v_nop
 v_nop
 v_add_f32_dpp v43, v43, v43 row_ror:4
	;;#ASMEND
	v_cmp_gt_u32_e32 vcc, 4, v1
	;;#ASMSTART
	v_nop
 v_nop
 v_add_f32_dpp v43, v43, v43 row_ror:8
	;;#ASMEND
	ds_bpermute_b32 v39, v39, v43
	s_waitcnt lgkmcnt(0)
	;;#ASMSTART
	v_nop
 v_nop
 v_add_f32_dpp v39, v39, v39 row_ror:4
	;;#ASMEND
	s_nop 0
	;;#ASMSTART
	v_nop
 v_nop
 v_add_f32_dpp v39, v39, v39 row_ror:8
	;;#ASMEND
	s_and_saveexec_b64 s[0:1], vcc
	s_cbranch_execz .LBB1251_12
; %bb.11:
	v_mul_u32_u24_e32 v43, 20, v40
	v_lshl_add_u32 v43, v41, 2, v43
	v_add_u32_e32 v43, 0x1400, v43
	ds_write2_b32 v43, v42, v39 offset1:20
.LBB1251_12:
	s_or_b64 exec, exec, s[0:1]
.LBB1251_13:
	s_or_b64 exec, exec, s[30:31]
	v_lshlrev_b32_e32 v39, 2, v41
	v_add_u32_e32 v39, 0x1400, v39
	s_waitcnt lgkmcnt(0)
	s_barrier
	s_load_dword s0, s[28:29], 0x8
	ds_read2_b32 v[44:45], v39 offset1:5
	ds_read2_b32 v[46:47], v39 offset0:10 offset1:15
	s_mov_b32 s4, 0xff7fffff
	s_mul_i32 s1, s2, s44
	ds_read2_b32 v[48:49], v39 offset0:20 offset1:25
	s_waitcnt lgkmcnt(0)
	v_max3_f32 v41, v44, s4, v45
	s_mul_i32 s1, s1, s0
	v_max3_f32 v41, v41, v46, v47
	s_lshl_b32 s0, s1, 2
	s_mov_b32 s1, 0
	v_sub_f32_e32 v43, v44, v41
	v_sub_f32_e32 v44, v45, v41
	s_lshl_b64 s[2:3], s[0:1], 2
	v_mul_f32_e32 v43, 0x3fb8aa3b, v43
	v_mul_f32_e32 v44, 0x3fb8aa3b, v44
	s_add_u32 s8, s12, s2
	v_exp_f32_e32 v43, v43
	v_exp_f32_e32 v50, v44
	ds_read2_b32 v[44:45], v39 offset0:30 offset1:35
	v_sub_f32_e32 v39, v46, v41
	s_addc_u32 s9, s13, s3
	v_mul_f32_e32 v39, 0x3fb8aa3b, v39
	v_sub_f32_e32 v46, v47, v41
	s_mov_b32 s25, s1
	s_add_u32 s4, s14, s2
	v_exp_f32_e32 v39, v39
	v_mul_f32_e32 v46, 0x3fb8aa3b, v46
	s_addc_u32 s5, s15, s3
	s_lshl_b64 s[2:3], s[24:25], 2
	v_exp_f32_e32 v46, v46
	s_add_u32 s4, s4, s2
	v_fma_f32 v43, v43, v48, 0
	s_addc_u32 s5, s5, s3
	v_fmac_f32_e32 v43, v50, v49
	s_waitcnt lgkmcnt(0)
	v_fmac_f32_e32 v43, v39, v44
	s_add_u32 s2, s8, s2
	v_mul_lo_u32 v38, s44, v38
	v_mov_b32_e32 v39, 0
	v_fmac_f32_e32 v43, v46, v45
	s_addc_u32 s3, s9, s3
	v_lshlrev_b64 v[44:45], 2, v[38:39]
	v_lshl_add_u64 v[46:47], s[4:5], 0, v[44:45]
	v_lshl_add_u64 v[44:45], s[2:3], 0, v[44:45]
	v_lshlrev_b32_e32 v40, 3, v40
	global_store_dword v[46:47], v41, off
	global_store_dword v[44:45], v43, off
	s_and_saveexec_b64 s[2:3], s[6:7]
	s_xor_b64 s[2:3], exec, s[2:3]
	s_cbranch_execz .LBB1251_15
; %bb.14:
	s_waitcnt vmcnt(6)
	v_mad_u32_u24 v2, v1, 40, v40
	v_mov_b32_e32 v38, v39
	ds_write_b64 v2, v[38:39]
                                        ; implicit-def: $vgpr37
                                        ; implicit-def: $vgpr35
                                        ; implicit-def: $vgpr42
                                        ; implicit-def: $vgpr22_vgpr23
                                        ; implicit-def: $vgpr18_vgpr19
                                        ; implicit-def: $vgpr26_vgpr27
                                        ; implicit-def: $vgpr30_vgpr31
                                        ; implicit-def: $vgpr6_vgpr7
                                        ; implicit-def: $vgpr2_vgpr3
                                        ; implicit-def: $vgpr10_vgpr11
                                        ; implicit-def: $vgpr14_vgpr15
                                        ; implicit-def: $vgpr41
                                        ; implicit-def: $vgpr43
.LBB1251_15:
	s_or_saveexec_b64 s[2:3], s[2:3]
	v_mov_b32_e32 v38, s1
	v_mov_b32_e32 v39, s1
	s_xor_b64 exec, exec, s[2:3]
	s_cbranch_execz .LBB1251_17
; %bb.16:
	v_add_f32_e32 v38, 0x358637bd, v43
	v_div_scale_f32 v39, s[4:5], v38, v38, 1.0
	v_rcp_f32_e32 v43, v39
	v_sub_f32_e32 v41, v42, v41
	v_mul_f32_e32 v41, 0x3fb8aa3b, v41
	v_exp_f32_e32 v41, v41
	v_fma_f32 v42, -v39, v43, 1.0
	v_fmac_f32_e32 v43, v42, v43
	v_div_scale_f32 v42, vcc, 1.0, v38, 1.0
	v_mul_f32_e32 v44, v42, v43
	v_fma_f32 v45, -v39, v44, v42
	v_fmac_f32_e32 v44, v45, v43
	v_fma_f32 v39, -v39, v44, v42
	v_div_fmas_f32 v39, v39, v43, v44
	v_div_fixup_f32 v38, v39, v38, 1.0
	v_mul_f32_e32 v38, v41, v38
	v_pk_mul_f32 v[34:35], v[34:35], v[38:39] op_sel_hi:[1,0]
	v_pk_mul_f32 v[36:37], v[36:37], v[38:39] op_sel_hi:[1,0]
	v_bfe_u32 v38, v35, 16, 1
	v_bfe_u32 v39, v34, 16, 1
	s_movk_i32 s1, 0x7fff
	v_add3_u32 v34, v34, v39, s1
	v_add3_u32 v35, v35, v38, s1
	s_mov_b32 s5, 0x7060302
	v_perm_b32 v34, v35, v34, s5
	v_bfe_u32 v35, v37, 16, 1
	v_bfe_u32 v38, v36, 16, 1
	v_add3_u32 v36, v36, v38, s1
	v_add3_u32 v35, v37, v35, s1
	v_perm_b32 v35, v35, v36, s5
	s_waitcnt vmcnt(9)
	v_cvt_pk_f32_fp8_e32 v[36:37], v22
	v_cvt_pk_f32_fp8_sdwa v[38:39], v22 src0_sel:WORD_1
	v_cvt_pk_f32_fp8_e32 v[42:43], v23
	v_cvt_pk_f32_fp8_sdwa v[22:23], v23 src0_sel:WORD_1
	v_perm_b32 v36, v37, v36, s5
	v_perm_b32 v37, v39, v38, s5
	;; [unrolled: 1-line block ×4, first 2 shown]
	v_mfma_f32_4x4x4_16b_bf16 a[0:3], v[34:35], v[36:37], 0 cbsz:4
	v_cvt_pk_f32_fp8_e32 v[22:23], v24
	v_cvt_pk_f32_fp8_sdwa v[36:37], v24 src0_sel:WORD_1
	v_mfma_f32_4x4x4_16b_bf16 a[0:3], v[34:35], v[38:39], a[0:3] cbsz:4 abid:1
	v_cvt_pk_f32_fp8_e32 v[38:39], v25
	v_cvt_pk_f32_fp8_sdwa v[24:25], v25 src0_sel:WORD_1
	v_perm_b32 v22, v23, v22, s5
	v_perm_b32 v23, v37, v36, s5
	;; [unrolled: 1-line block ×4, first 2 shown]
	v_mfma_f32_4x4x4_16b_bf16 a[0:3], v[34:35], v[22:23], a[0:3] cbsz:4 abid:2
	s_waitcnt vmcnt(7)
	v_cvt_pk_f32_fp8_e32 v[22:23], v18
	v_cvt_pk_f32_fp8_sdwa v[24:25], v18 src0_sel:WORD_1
	v_mfma_f32_4x4x4_16b_bf16 a[0:3], v[34:35], v[36:37], a[0:3] cbsz:4 abid:3
	v_cvt_pk_f32_fp8_e32 v[36:37], v19
	v_cvt_pk_f32_fp8_sdwa v[18:19], v19 src0_sel:WORD_1
	v_perm_b32 v22, v23, v22, s5
	v_perm_b32 v23, v25, v24, s5
	;; [unrolled: 1-line block ×4, first 2 shown]
	v_mfma_f32_4x4x4_16b_bf16 a[0:3], v[34:35], v[22:23], a[0:3] cbsz:4 abid:4
	v_cvt_pk_f32_fp8_e32 v[18:19], v20
	v_cvt_pk_f32_fp8_sdwa v[22:23], v20 src0_sel:WORD_1
	v_mfma_f32_4x4x4_16b_bf16 a[0:3], v[34:35], v[24:25], a[0:3] cbsz:4 abid:5
	v_cvt_pk_f32_fp8_e32 v[24:25], v21
	v_cvt_pk_f32_fp8_sdwa v[20:21], v21 src0_sel:WORD_1
	v_perm_b32 v18, v19, v18, s5
	v_perm_b32 v19, v23, v22, s5
	;; [unrolled: 1-line block ×4, first 2 shown]
	v_mfma_f32_4x4x4_16b_bf16 a[0:3], v[34:35], v[18:19], a[0:3] cbsz:4 abid:6
	s_waitcnt vmcnt(5)
	v_cvt_pk_f32_fp8_e32 v[18:19], v26
	v_cvt_pk_f32_fp8_sdwa v[20:21], v26 src0_sel:WORD_1
	v_mfma_f32_4x4x4_16b_bf16 a[0:3], v[34:35], v[22:23], a[0:3] cbsz:4 abid:7
	v_cvt_pk_f32_fp8_e32 v[22:23], v27
	v_cvt_pk_f32_fp8_sdwa v[24:25], v27 src0_sel:WORD_1
	v_perm_b32 v18, v19, v18, s5
	v_perm_b32 v19, v21, v20, s5
	;; [unrolled: 1-line block ×4, first 2 shown]
	v_mfma_f32_4x4x4_16b_bf16 a[0:3], v[34:35], v[18:19], a[0:3] cbsz:4 abid:8
	v_cvt_pk_f32_fp8_e32 v[18:19], v28
	v_cvt_pk_f32_fp8_e32 v[22:23], v29
	v_mfma_f32_4x4x4_16b_bf16 a[0:3], v[34:35], v[20:21], a[0:3] cbsz:4 abid:9
	v_cvt_pk_f32_fp8_sdwa v[20:21], v28 src0_sel:WORD_1
	v_cvt_pk_f32_fp8_sdwa v[24:25], v29 src0_sel:WORD_1
	v_perm_b32 v18, v19, v18, s5
	s_load_dword s4, s[10:11], 0x0
	v_perm_b32 v19, v21, v20, s5
	v_perm_b32 v20, v23, v22, s5
	v_perm_b32 v21, v25, v24, s5
	v_mfma_f32_4x4x4_16b_bf16 a[0:3], v[34:35], v[18:19], a[0:3] cbsz:4 abid:10
	s_waitcnt vmcnt(3)
	v_cvt_pk_f32_fp8_e32 v[18:19], v30
	v_cvt_pk_f32_fp8_e32 v[22:23], v31
	v_mfma_f32_4x4x4_16b_bf16 a[0:3], v[34:35], v[20:21], a[0:3] cbsz:4 abid:11
	v_cvt_pk_f32_fp8_sdwa v[20:21], v30 src0_sel:WORD_1
	v_cvt_pk_f32_fp8_sdwa v[24:25], v31 src0_sel:WORD_1
	v_perm_b32 v18, v19, v18, s5
	v_perm_b32 v19, v21, v20, s5
	;; [unrolled: 1-line block ×3, first 2 shown]
	s_nop 0
	v_mfma_f32_4x4x4_16b_bf16 a[0:3], v[34:35], v[18:19], a[0:3] cbsz:4 abid:12
	v_perm_b32 v21, v25, v24, s5
	v_cvt_pk_f32_fp8_e32 v[18:19], v32
	v_cvt_pk_f32_fp8_e32 v[22:23], v33
	v_mfma_f32_4x4x4_16b_bf16 a[0:3], v[34:35], v[20:21], a[0:3] cbsz:4 abid:13
	v_cvt_pk_f32_fp8_sdwa v[20:21], v32 src0_sel:WORD_1
	v_cvt_pk_f32_fp8_sdwa v[24:25], v33 src0_sel:WORD_1
	v_perm_b32 v18, v19, v18, s5
	v_perm_b32 v19, v21, v20, s5
	;; [unrolled: 1-line block ×3, first 2 shown]
	s_nop 0
	v_mfma_f32_4x4x4_16b_bf16 a[0:3], v[34:35], v[18:19], a[0:3] cbsz:4 abid:14
	v_perm_b32 v21, v25, v24, s5
	s_nop 1
	v_mfma_f32_4x4x4_16b_bf16 a[0:3], v[34:35], v[20:21], a[0:3] cbsz:4 abid:15
	s_nop 4
	v_accvgpr_read_b32 v21, a1
	v_accvgpr_read_b32 v20, a0
	s_waitcnt lgkmcnt(0)
	v_pk_mul_f32 v[20:21], v[20:21], s[4:5] op_sel_hi:[1,0]
	v_accvgpr_read_b32 v19, a3
	v_accvgpr_read_b32 v18, a2
	v_bfe_u32 v22, v21, 16, 1
	v_bfe_u32 v23, v20, 16, 1
	v_pk_mul_f32 v[18:19], v[18:19], s[4:5] op_sel_hi:[1,0]
	v_add3_u32 v20, v20, v23, s1
	v_add3_u32 v21, v21, v22, s1
	v_perm_b32 v20, v21, v20, s5
	v_bfe_u32 v21, v19, 16, 1
	v_bfe_u32 v22, v18, 16, 1
	v_add3_u32 v18, v18, v22, s1
	v_add3_u32 v19, v19, v21, s1
	v_perm_b32 v21, v19, v18, s5
	v_mad_u32_u24 v18, v1, 40, v40
	ds_write_b64 v18, v[20:21]
	v_cvt_pk_f32_fp8_e32 v[18:19], v6
	v_cvt_pk_f32_fp8_sdwa v[20:21], v6 src0_sel:WORD_1
	v_cvt_pk_f32_fp8_e32 v[22:23], v7
	v_cvt_pk_f32_fp8_sdwa v[6:7], v7 src0_sel:WORD_1
	v_perm_b32 v18, v19, v18, s5
	v_perm_b32 v19, v21, v20, s5
	;; [unrolled: 1-line block ×4, first 2 shown]
	v_mfma_f32_4x4x4_16b_bf16 a[0:3], v[34:35], v[18:19], 0 cbsz:4
	v_cvt_pk_f32_fp8_e32 v[6:7], v8
	v_cvt_pk_f32_fp8_sdwa v[18:19], v8 src0_sel:WORD_1
	v_mfma_f32_4x4x4_16b_bf16 a[0:3], v[34:35], v[20:21], a[0:3] cbsz:4 abid:1
	v_cvt_pk_f32_fp8_e32 v[20:21], v9
	v_cvt_pk_f32_fp8_sdwa v[8:9], v9 src0_sel:WORD_1
	v_perm_b32 v6, v7, v6, s5
	v_perm_b32 v7, v19, v18, s5
	v_perm_b32 v18, v21, v20, s5
	v_perm_b32 v19, v9, v8, s5
	v_mfma_f32_4x4x4_16b_bf16 a[0:3], v[34:35], v[6:7], a[0:3] cbsz:4 abid:2
	v_cvt_pk_f32_fp8_e32 v[6:7], v2
	v_cvt_pk_f32_fp8_sdwa v[8:9], v2 src0_sel:WORD_1
	v_mfma_f32_4x4x4_16b_bf16 a[0:3], v[34:35], v[18:19], a[0:3] cbsz:4 abid:3
	v_cvt_pk_f32_fp8_e32 v[18:19], v3
	v_cvt_pk_f32_fp8_sdwa v[2:3], v3 src0_sel:WORD_1
	v_perm_b32 v6, v7, v6, s5
	v_perm_b32 v7, v9, v8, s5
	v_perm_b32 v8, v19, v18, s5
	v_perm_b32 v9, v3, v2, s5
	v_mfma_f32_4x4x4_16b_bf16 a[0:3], v[34:35], v[6:7], a[0:3] cbsz:4 abid:4
	;; [unrolled: 10-line block ×4, first 2 shown]
	v_cvt_pk_f32_fp8_e32 v[2:3], v12
	v_cvt_pk_f32_fp8_e32 v[6:7], v13
	v_mfma_f32_4x4x4_16b_bf16 a[0:3], v[34:35], v[4:5], a[0:3] cbsz:4 abid:9
	v_cvt_pk_f32_fp8_sdwa v[4:5], v12 src0_sel:WORD_1
	v_cvt_pk_f32_fp8_sdwa v[8:9], v13 src0_sel:WORD_1
	v_perm_b32 v2, v3, v2, s5
	v_perm_b32 v3, v5, v4, s5
	;; [unrolled: 1-line block ×3, first 2 shown]
	s_nop 0
	v_mfma_f32_4x4x4_16b_bf16 a[0:3], v[34:35], v[2:3], a[0:3] cbsz:4 abid:10
	v_perm_b32 v5, v9, v8, s5
	s_waitcnt vmcnt(2)
	v_cvt_pk_f32_fp8_e32 v[2:3], v14
	v_cvt_pk_f32_fp8_e32 v[6:7], v15
	v_mfma_f32_4x4x4_16b_bf16 a[0:3], v[34:35], v[4:5], a[0:3] cbsz:4 abid:11
	v_cvt_pk_f32_fp8_sdwa v[4:5], v14 src0_sel:WORD_1
	v_cvt_pk_f32_fp8_sdwa v[8:9], v15 src0_sel:WORD_1
	v_perm_b32 v2, v3, v2, s5
	v_perm_b32 v3, v5, v4, s5
	;; [unrolled: 1-line block ×3, first 2 shown]
	s_nop 0
	v_mfma_f32_4x4x4_16b_bf16 a[0:3], v[34:35], v[2:3], a[0:3] cbsz:4 abid:12
	v_perm_b32 v5, v9, v8, s5
	v_cvt_pk_f32_fp8_e32 v[2:3], v16
	v_cvt_pk_f32_fp8_e32 v[6:7], v17
	v_mfma_f32_4x4x4_16b_bf16 a[0:3], v[34:35], v[4:5], a[0:3] cbsz:4 abid:13
	v_cvt_pk_f32_fp8_sdwa v[4:5], v16 src0_sel:WORD_1
	v_cvt_pk_f32_fp8_sdwa v[8:9], v17 src0_sel:WORD_1
	v_perm_b32 v2, v3, v2, s5
	v_perm_b32 v3, v5, v4, s5
	;; [unrolled: 1-line block ×3, first 2 shown]
	s_nop 0
	v_mfma_f32_4x4x4_16b_bf16 a[0:3], v[34:35], v[2:3], a[0:3] cbsz:4 abid:14
	v_perm_b32 v5, v9, v8, s5
	s_nop 1
	v_mfma_f32_4x4x4_16b_bf16 a[0:3], v[34:35], v[4:5], a[0:3] cbsz:4 abid:15
	s_nop 4
	v_accvgpr_read_b32 v5, a1
	v_accvgpr_read_b32 v4, a0
	;; [unrolled: 1-line block ×4, first 2 shown]
	v_pk_mul_f32 v[4:5], v[4:5], s[4:5] op_sel_hi:[1,0]
	v_pk_mul_f32 v[2:3], v[2:3], s[4:5] op_sel_hi:[1,0]
	v_bfe_u32 v6, v5, 16, 1
	v_bfe_u32 v7, v4, 16, 1
	v_add3_u32 v4, v4, v7, s1
	v_add3_u32 v5, v5, v6, s1
	v_bfe_u32 v6, v3, 16, 1
	v_bfe_u32 v7, v2, 16, 1
	v_add3_u32 v2, v2, v7, s1
	v_add3_u32 v3, v3, v6, s1
	v_perm_b32 v39, v3, v2, s5
	v_perm_b32 v38, v5, v4, s5
.LBB1251_17:
	s_or_b64 exec, exec, s[2:3]
	s_waitcnt vmcnt(6)
	v_mad_u32_u24 v2, v1, 40, v40
	v_cmp_gt_u32_e32 vcc, 64, v0
	ds_write_b64 v2, v[38:39] offset:2560
	s_waitcnt lgkmcnt(0)
	s_barrier
	s_and_saveexec_b64 s[2:3], vcc
	s_cbranch_execz .LBB1251_19
; %bb.18:
	v_mul_u32_u24_e32 v6, 40, v1
	ds_read2_b64 v[2:5], v6 offset1:1
	ds_read2_b64 v[6:9], v6 offset0:2 offset1:3
	s_mov_b32 s1, 0
	s_lshl_b32 s0, s0, 7
	s_lshl_b64 s[2:3], s[0:1], 1
	s_waitcnt vmcnt(4) lgkmcnt(1)
	v_lshlrev_b32_e32 v10, 16, v2
	v_and_b32_e32 v2, 0xffff0000, v2
	v_add_f32_e32 v2, 0, v2
	v_lshlrev_b32_e32 v11, 16, v3
	v_and_b32_e32 v3, 0xffff0000, v3
	v_and_b32_e32 v2, 0xffff0000, v2
	v_add_f32_e32 v11, 0, v11
	v_add_f32_e32 v3, 0, v3
	v_lshlrev_b32_e32 v12, 16, v4
	v_and_b32_e32 v4, 0xffff0000, v4
	v_add_f32_e32 v10, 0, v10
	v_and_b32_e32 v11, 0xffff0000, v11
	v_and_b32_e32 v3, 0xffff0000, v3
	v_add_f32_e32 v2, v2, v4
	v_lshlrev_b32_e32 v4, 16, v5
	v_and_b32_e32 v5, 0xffff0000, v5
	v_and_b32_e32 v10, 0xffff0000, v10
	;; [unrolled: 1-line block ×3, first 2 shown]
	v_add_f32_e32 v4, v11, v4
	v_add_f32_e32 v3, v3, v5
	s_waitcnt lgkmcnt(0)
	v_lshlrev_b32_e32 v5, 16, v6
	v_and_b32_e32 v6, 0xffff0000, v6
	v_add_f32_e32 v10, v10, v12
	v_and_b32_e32 v4, 0xffff0000, v4
	v_add_f32_e32 v2, v2, v6
	v_lshlrev_b32_e32 v6, 16, v7
	v_and_b32_e32 v10, 0xffff0000, v10
	v_and_b32_e32 v3, 0xffff0000, v3
	v_add_f32_e32 v4, v4, v6
	v_and_b32_e32 v6, 0xffff0000, v7
	v_add_f32_e32 v5, v10, v5
	v_add_f32_e32 v3, v3, v6
	v_and_b32_e32 v5, 0xffff0000, v5
	v_and_b32_e32 v6, 0xffff0000, v3
	v_lshlrev_b32_e32 v3, 16, v8
	v_and_b32_e32 v2, 0xffff0000, v2
	v_add_f32_e32 v10, v5, v3
	v_and_b32_e32 v3, 0xffff0000, v8
	v_and_b32_e32 v4, 0xffff0000, v4
	v_add_f32_e32 v11, v2, v3
	v_lshlrev_b32_e32 v2, 16, v9
	v_add_f32_e32 v12, v4, v2
	v_mov_b32_e32 v2, 0xa00
	v_mad_u32_u24 v2, v1, 40, v2
	ds_read2_b64 v[2:5], v2 offset1:1
	v_and_b32_e32 v7, 0xffff0000, v9
	v_add_f32_e32 v13, v6, v7
	v_mov_b32_e32 v6, 0xa10
	v_mad_u32_u24 v1, v1, 40, v6
	ds_read2_b64 v[6:9], v1 offset1:1
	s_waitcnt lgkmcnt(1)
	v_lshlrev_b32_e32 v1, 16, v2
	v_and_b32_e32 v2, 0xffff0000, v2
	v_add_f32_e32 v1, 0, v1
	v_add_f32_e32 v2, 0, v2
	s_waitcnt vmcnt(2)
	v_lshlrev_b32_e32 v14, 16, v3
	v_and_b32_e32 v3, 0xffff0000, v3
	v_and_b32_e32 v1, 0xffff0000, v1
	;; [unrolled: 1-line block ×3, first 2 shown]
	v_add_f32_e32 v3, 0, v3
	v_lshlrev_b32_e32 v15, 16, v4
	v_and_b32_e32 v4, 0xffff0000, v4
	v_add_f32_e32 v14, 0, v14
	v_and_b32_e32 v3, 0xffff0000, v3
	v_add_f32_e32 v1, v1, v15
	v_add_f32_e32 v2, v2, v4
	v_lshlrev_b32_e32 v4, 16, v5
	v_and_b32_e32 v5, 0xffff0000, v5
	v_and_b32_e32 v14, 0xffff0000, v14
	;; [unrolled: 1-line block ×3, first 2 shown]
	v_add_f32_e32 v3, v3, v5
	s_waitcnt lgkmcnt(0)
	v_lshlrev_b32_e32 v5, 16, v6
	v_and_b32_e32 v2, 0xffff0000, v2
	v_add_f32_e32 v4, v14, v4
	v_add_f32_e32 v1, v1, v5
	v_and_b32_e32 v5, 0xffff0000, v6
	v_and_b32_e32 v4, 0xffff0000, v4
	v_add_f32_e32 v2, v2, v5
	v_lshlrev_b32_e32 v5, 16, v7
	s_add_u32 s2, s26, s2
	v_and_b32_e32 v3, 0xffff0000, v3
	v_add_f32_e32 v4, v4, v5
	v_and_b32_e32 v5, 0xffff0000, v7
	s_addc_u32 s3, s27, s3
	s_lshl_b32 s0, s24, 7
	v_and_b32_e32 v1, 0xffff0000, v1
	v_add_f32_e32 v3, v3, v5
	v_lshlrev_b32_e32 v5, 16, v8
	s_lshl_b64 s[0:1], s[0:1], 1
	v_and_b32_e32 v2, 0xffff0000, v2
	v_add_f32_e32 v14, v1, v5
	v_and_b32_e32 v1, 0xffff0000, v8
	s_add_u32 s0, s2, s0
	v_and_b32_e32 v4, 0xffff0000, v4
	v_add_f32_e32 v15, v2, v1
	v_lshlrev_b32_e32 v1, 16, v9
	s_addc_u32 s1, s3, s1
	s_lshl_b32 s2, s44, 7
	v_and_b32_e32 v3, 0xffff0000, v3
	v_add_f32_e32 v16, v4, v1
	v_and_b32_e32 v1, 0xffff0000, v9
	s_mul_i32 s3, s2, s33
	v_add_f32_e32 v17, v3, v1
	v_or_b32_e32 v2, s3, v0
	v_mov_b32_e32 v3, 0
	s_add_i32 s3, s3, s2
	v_lshl_add_u64 v[4:5], v[2:3], 1, s[0:1]
	v_or_b32_e32 v2, s3, v0
	s_add_i32 s3, s3, s2
	v_lshl_add_u64 v[6:7], v[2:3], 1, s[0:1]
	v_or_b32_e32 v2, s3, v0
	;; [unrolled: 3-line block ×3, first 2 shown]
	v_lshl_add_u64 v[0:1], v[2:3], 1, s[0:1]
	global_store_short_d16_hi v[4:5], v10, off
	global_store_short_d16_hi v[6:7], v11, off
	;; [unrolled: 1-line block ×4, first 2 shown]
	global_store_short_d16_hi v[4:5], v14, off offset:128
	global_store_short_d16_hi v[6:7], v15, off offset:128
	;; [unrolled: 1-line block ×4, first 2 shown]
.LBB1251_19:
	s_endpgm
.LBB1251_20:
	s_mov_b64 s[8:9], 0
                                        ; implicit-def: $sgpr34_sgpr35
	s_branch .LBB1251_2
	.section	.rodata,"a",@progbits
	.p2align	6, 0x0
	.amdhsa_kernel _Z38paged_attention_ll4mi_QKV_mfma4_kernelI14__hip_bfloat16hLN4vllm18Fp8KVCacheDataTypeE1EhLi16ELi128ELi256ELb1ELi4EEvPKT_PKT0_S8_ifPKiSA_SA_iPKfiiiPfSD_PS3_PT2_iSC_SC_
		.amdhsa_group_segment_fixed_size 5280
		.amdhsa_private_segment_fixed_size 0
		.amdhsa_kernarg_size 400
		.amdhsa_user_sgpr_count 2
		.amdhsa_user_sgpr_dispatch_ptr 0
		.amdhsa_user_sgpr_queue_ptr 0
		.amdhsa_user_sgpr_kernarg_segment_ptr 1
		.amdhsa_user_sgpr_dispatch_id 0
		.amdhsa_user_sgpr_kernarg_preload_length 0
		.amdhsa_user_sgpr_kernarg_preload_offset 0
		.amdhsa_user_sgpr_private_segment_size 0
		.amdhsa_uses_dynamic_stack 0
		.amdhsa_enable_private_segment 0
		.amdhsa_system_sgpr_workgroup_id_x 1
		.amdhsa_system_sgpr_workgroup_id_y 1
		.amdhsa_system_sgpr_workgroup_id_z 1
		.amdhsa_system_sgpr_workgroup_info 0
		.amdhsa_system_vgpr_workitem_id 0
		.amdhsa_next_free_vgpr 88
		.amdhsa_next_free_sgpr 45
		.amdhsa_accum_offset 84
		.amdhsa_reserve_vcc 1
		.amdhsa_float_round_mode_32 0
		.amdhsa_float_round_mode_16_64 0
		.amdhsa_float_denorm_mode_32 3
		.amdhsa_float_denorm_mode_16_64 3
		.amdhsa_dx10_clamp 1
		.amdhsa_ieee_mode 1
		.amdhsa_fp16_overflow 0
		.amdhsa_tg_split 0
		.amdhsa_exception_fp_ieee_invalid_op 0
		.amdhsa_exception_fp_denorm_src 0
		.amdhsa_exception_fp_ieee_div_zero 0
		.amdhsa_exception_fp_ieee_overflow 0
		.amdhsa_exception_fp_ieee_underflow 0
		.amdhsa_exception_fp_ieee_inexact 0
		.amdhsa_exception_int_div_zero 0
	.end_amdhsa_kernel
	.section	.text._Z38paged_attention_ll4mi_QKV_mfma4_kernelI14__hip_bfloat16hLN4vllm18Fp8KVCacheDataTypeE1EhLi16ELi128ELi256ELb1ELi4EEvPKT_PKT0_S8_ifPKiSA_SA_iPKfiiiPfSD_PS3_PT2_iSC_SC_,"axG",@progbits,_Z38paged_attention_ll4mi_QKV_mfma4_kernelI14__hip_bfloat16hLN4vllm18Fp8KVCacheDataTypeE1EhLi16ELi128ELi256ELb1ELi4EEvPKT_PKT0_S8_ifPKiSA_SA_iPKfiiiPfSD_PS3_PT2_iSC_SC_,comdat
.Lfunc_end1251:
	.size	_Z38paged_attention_ll4mi_QKV_mfma4_kernelI14__hip_bfloat16hLN4vllm18Fp8KVCacheDataTypeE1EhLi16ELi128ELi256ELb1ELi4EEvPKT_PKT0_S8_ifPKiSA_SA_iPKfiiiPfSD_PS3_PT2_iSC_SC_, .Lfunc_end1251-_Z38paged_attention_ll4mi_QKV_mfma4_kernelI14__hip_bfloat16hLN4vllm18Fp8KVCacheDataTypeE1EhLi16ELi128ELi256ELb1ELi4EEvPKT_PKT0_S8_ifPKiSA_SA_iPKfiiiPfSD_PS3_PT2_iSC_SC_
                                        ; -- End function
	.section	.AMDGPU.csdata,"",@progbits
; Kernel info:
; codeLenInByte = 6124
; NumSgprs: 51
; NumVgprs: 84
; NumAgprs: 4
; TotalNumVgprs: 88
; ScratchSize: 0
; MemoryBound: 0
; FloatMode: 240
; IeeeMode: 1
; LDSByteSize: 5280 bytes/workgroup (compile time only)
; SGPRBlocks: 6
; VGPRBlocks: 10
; NumSGPRsForWavesPerEU: 51
; NumVGPRsForWavesPerEU: 88
; AccumOffset: 84
; Occupancy: 5
; WaveLimiterHint : 1
; COMPUTE_PGM_RSRC2:SCRATCH_EN: 0
; COMPUTE_PGM_RSRC2:USER_SGPR: 2
; COMPUTE_PGM_RSRC2:TRAP_HANDLER: 0
; COMPUTE_PGM_RSRC2:TGID_X_EN: 1
; COMPUTE_PGM_RSRC2:TGID_Y_EN: 1
; COMPUTE_PGM_RSRC2:TGID_Z_EN: 1
; COMPUTE_PGM_RSRC2:TIDIG_COMP_CNT: 0
; COMPUTE_PGM_RSRC3_GFX90A:ACCUM_OFFSET: 20
; COMPUTE_PGM_RSRC3_GFX90A:TG_SPLIT: 0
	.section	.text._Z39paged_attention_ll4mi_QKV_mfma16_kernelI14__hip_bfloat16hLN4vllm18Fp8KVCacheDataTypeE1EhLi16ELi128ELi256ELb1ELi5EEvPKT_PKT0_S8_ifPKiSA_SA_iPKfiiiPfSD_PS3_PT2_iSC_SC_,"axG",@progbits,_Z39paged_attention_ll4mi_QKV_mfma16_kernelI14__hip_bfloat16hLN4vllm18Fp8KVCacheDataTypeE1EhLi16ELi128ELi256ELb1ELi5EEvPKT_PKT0_S8_ifPKiSA_SA_iPKfiiiPfSD_PS3_PT2_iSC_SC_,comdat
	.protected	_Z39paged_attention_ll4mi_QKV_mfma16_kernelI14__hip_bfloat16hLN4vllm18Fp8KVCacheDataTypeE1EhLi16ELi128ELi256ELb1ELi5EEvPKT_PKT0_S8_ifPKiSA_SA_iPKfiiiPfSD_PS3_PT2_iSC_SC_ ; -- Begin function _Z39paged_attention_ll4mi_QKV_mfma16_kernelI14__hip_bfloat16hLN4vllm18Fp8KVCacheDataTypeE1EhLi16ELi128ELi256ELb1ELi5EEvPKT_PKT0_S8_ifPKiSA_SA_iPKfiiiPfSD_PS3_PT2_iSC_SC_
	.globl	_Z39paged_attention_ll4mi_QKV_mfma16_kernelI14__hip_bfloat16hLN4vllm18Fp8KVCacheDataTypeE1EhLi16ELi128ELi256ELb1ELi5EEvPKT_PKT0_S8_ifPKiSA_SA_iPKfiiiPfSD_PS3_PT2_iSC_SC_
	.p2align	8
	.type	_Z39paged_attention_ll4mi_QKV_mfma16_kernelI14__hip_bfloat16hLN4vllm18Fp8KVCacheDataTypeE1EhLi16ELi128ELi256ELb1ELi5EEvPKT_PKT0_S8_ifPKiSA_SA_iPKfiiiPfSD_PS3_PT2_iSC_SC_,@function
_Z39paged_attention_ll4mi_QKV_mfma16_kernelI14__hip_bfloat16hLN4vllm18Fp8KVCacheDataTypeE1EhLi16ELi128ELi256ELb1ELi5EEvPKT_PKT0_S8_ifPKiSA_SA_iPKfiiiPfSD_PS3_PT2_iSC_SC_: ; @_Z39paged_attention_ll4mi_QKV_mfma16_kernelI14__hip_bfloat16hLN4vllm18Fp8KVCacheDataTypeE1EhLi16ELi128ELi256ELb1ELi5EEvPKT_PKT0_S8_ifPKiSA_SA_iPKfiiiPfSD_PS3_PT2_iSC_SC_
; %bb.0:
	s_load_dwordx2 s[10:11], s[0:1], 0x30
	s_mov_b32 s6, s3
	s_mov_b64 s[8:9], 0
	s_waitcnt lgkmcnt(0)
	s_cmp_lg_u64 s[10:11], 0
	s_cselect_b64 s[12:13], -1, 0
	s_and_b64 vcc, exec, s[12:13]
	s_cbranch_vccz .LBB1252_7
; %bb.1:
	s_add_i32 s14, s2, 1
	s_mov_b32 s15, 0
	s_lshl_b64 s[16:17], s[14:15], 2
	s_add_u32 s16, s10, s16
	s_mov_b32 s3, s15
	s_addc_u32 s17, s11, s17
	s_lshl_b64 s[14:15], s[2:3], 2
	s_add_u32 s14, s10, s14
	s_addc_u32 s15, s11, s15
	s_load_dword s5, s[16:17], 0x0
	s_load_dword s7, s[14:15], 0x0
	s_waitcnt lgkmcnt(0)
	s_sub_i32 s5, s5, s7
	s_cmp_eq_u32 s5, 1
	s_cselect_b64 s[14:15], -1, 0
	s_andn2_b64 vcc, exec, s[8:9]
	s_cbranch_vccnz .LBB1252_3
.LBB1252_2:
	s_mov_b32 s3, 0
	s_mov_b64 s[14:15], -1
.LBB1252_3:
	s_andn2_b64 vcc, exec, s[14:15]
	s_cbranch_vccnz .LBB1252_20
; %bb.4:
	s_load_dwordx2 s[8:9], s[0:1], 0x28
	s_lshl_b64 s[14:15], s[2:3], 2
	s_waitcnt lgkmcnt(0)
	s_add_u32 s8, s8, s14
	s_addc_u32 s9, s9, s15
	s_load_dword s7, s[8:9], 0x0
	s_lshl_b32 s18, s6, 8
	s_waitcnt lgkmcnt(0)
	s_cmp_ge_i32 s18, s7
	s_cbranch_scc1 .LBB1252_20
; %bb.5:
	s_load_dwordx2 s[8:9], s[0:1], 0x20
	s_load_dword s5, s[0:1], 0x38
	s_add_i32 s16, s7, 15
	s_ashr_i32 s17, s16, 31
	v_and_b32_e32 v1, 0xcf, v0
	s_lshr_b32 s17, s17, 28
	v_add_u32_e32 v1, s18, v1
	s_add_i32 s16, s16, s17
	v_ashrrev_i32_e32 v2, 31, v1
	s_ashr_i32 s19, s16, 4
	v_lshrrev_b32_e32 v4, 28, v2
	s_add_i32 s19, s19, -1
	s_waitcnt lgkmcnt(0)
	s_mul_i32 s16, s2, s5
	s_mov_b32 s17, 0
	v_add_u32_e32 v2, v1, v4
	s_lshl_b64 s[16:17], s[16:17], 2
	v_ashrrev_i32_e32 v2, 4, v2
	v_mov_b32_e32 v5, s19
	v_cmp_gt_i32_e32 vcc, s7, v1
	s_add_u32 s8, s8, s16
	s_addc_u32 s9, s9, s17
	v_cndmask_b32_e32 v2, v5, v2, vcc
	v_ashrrev_i32_e32 v3, 31, v2
	v_lshl_add_u64 v[6:7], v[2:3], 2, s[8:9]
	v_or_b32_e32 v2, 16, v1
	v_add_u32_e32 v3, v2, v4
	v_ashrrev_i32_e32 v3, 4, v3
	v_cmp_gt_i32_e32 vcc, s7, v2
	s_load_dwordx2 s[16:17], s[0:1], 0x8
	s_nop 0
	v_cndmask_b32_e32 v2, v5, v3, vcc
	v_ashrrev_i32_e32 v3, 31, v2
	v_lshl_add_u64 v[8:9], v[2:3], 2, s[8:9]
	v_or_b32_e32 v2, 32, v1
	v_add_u32_e32 v3, v2, v4
	v_ashrrev_i32_e32 v3, 4, v3
	v_cmp_gt_i32_e32 vcc, s7, v2
	v_or_b32_e32 v1, 48, v1
	s_nop 0
	v_cndmask_b32_e32 v2, v5, v3, vcc
	v_ashrrev_i32_e32 v3, 31, v2
	v_lshl_add_u64 v[12:13], v[2:3], 2, s[8:9]
	v_add_u32_e32 v2, v1, v4
	v_ashrrev_i32_e32 v2, 4, v2
	v_cmp_gt_i32_e32 vcc, s7, v1
	s_nop 1
	v_cndmask_b32_e32 v2, v5, v2, vcc
	v_ashrrev_i32_e32 v3, 31, v2
	v_lshl_add_u64 v[14:15], v[2:3], 2, s[8:9]
	global_load_dword v4, v[6:7], off
	global_load_dword v3, v[8:9], off
	;; [unrolled: 1-line block ×4, first 2 shown]
	s_andn2_b64 vcc, exec, s[12:13]
	s_cbranch_vccnz .LBB1252_8
; %bb.6:
	s_add_u32 s10, s10, s14
	s_addc_u32 s11, s11, s15
	s_load_dword s5, s[10:11], 0x0
	s_branch .LBB1252_9
.LBB1252_7:
	s_mov_b64 s[14:15], 0
	s_branch .LBB1252_2
.LBB1252_8:
	s_mov_b32 s5, s2
.LBB1252_9:
	s_load_dwordx2 s[10:11], s[0:1], 0x10
	s_load_dwordx4 s[44:47], s[0:1], 0x48
	v_lshrrev_b32_e32 v57, 6, v0
	v_bfe_u32 v60, v0, 4, 2
	v_and_b32_e32 v56, 15, v0
	v_lshl_or_b32 v5, v57, 2, v60
	v_lshlrev_b32_e32 v1, 3, v56
	s_mul_i32 s48, s4, 5
	v_cmp_gt_u32_e32 vcc, 5, v5
	v_lshlrev_b32_e32 v54, 1, v1
	v_lshlrev_b32_e32 v1, 4, v0
	s_and_saveexec_b64 s[12:13], vcc
	s_cbranch_execz .LBB1252_11
; %bb.10:
	s_load_dwordx2 s[14:15], s[0:1], 0x0
	s_waitcnt lgkmcnt(0)
	s_ashr_i32 s20, s44, 31
	s_mul_hi_u32 s21, s5, s44
	s_mul_i32 s20, s5, s20
	s_add_i32 s21, s21, s20
	s_mul_i32 s20, s5, s44
	s_lshl_b64 s[20:21], s[20:21], 1
	s_add_u32 s14, s14, s20
	v_add_lshl_u32 v6, v5, s48, 7
	s_addc_u32 s15, s15, s21
	v_ashrrev_i32_e32 v7, 31, v6
	v_lshl_add_u64 v[6:7], v[6:7], 1, s[14:15]
	v_mov_b32_e32 v55, 0
	v_lshl_add_u64 v[6:7], v[6:7], 0, v[54:55]
	global_load_dwordx4 v[6:9], v[6:7], off
	v_lshlrev_b32_e32 v12, 8, v0
	v_lshlrev_b32_e32 v11, 8, v56
	v_and_b32_e32 v12, 0x600, v12
	s_movk_i32 s5, 0x800
	v_and_or_b32 v11, v11, s5, v12
	v_lshlrev_b32_e32 v5, 5, v5
	v_and_b32_e32 v12, 16, v1
	v_or3_b32 v5, v11, v5, v12
	s_waitcnt vmcnt(0)
	ds_write_b128 v5, v[6:9]
.LBB1252_11:
	s_or_b64 exec, exec, s[12:13]
	s_waitcnt lgkmcnt(0)
	s_mul_i32 s12, s4, s46
	s_add_u32 s4, s16, s12
	s_addc_u32 s5, s17, 0
	v_and_b32_e32 v58, 0xf0, v1
	v_mov_b32_e32 v59, 0
	v_and_b32_e32 v34, 48, v0
	v_lshl_add_u64 v[12:13], s[4:5], 0, v[58:59]
	v_lshlrev_b32_e32 v58, 4, v34
	s_waitcnt vmcnt(3)
	v_mad_i64_i32 v[4:5], s[4:5], v4, s45, v[12:13]
	v_lshl_add_u64 v[4:5], v[4:5], 0, v[58:59]
	s_barrier
	global_load_dwordx4 v[50:53], v[4:5], off
	global_load_dwordx4 v[46:49], v[4:5], off offset:1024
	s_waitcnt vmcnt(4)
	v_mad_i64_i32 v[4:5], s[4:5], v3, s45, v[12:13]
	s_waitcnt vmcnt(3)
	v_mad_i64_i32 v[2:3], s[4:5], v2, s45, v[12:13]
	v_lshl_add_u64 v[4:5], v[4:5], 0, v[58:59]
	v_lshl_add_u64 v[14:15], v[2:3], 0, v[58:59]
	s_waitcnt vmcnt(2)
	v_mad_i64_i32 v[10:11], s[4:5], v10, s45, v[12:13]
	global_load_dwordx4 v[36:39], v[4:5], off
	global_load_dwordx4 v[6:9], v[4:5], off offset:1024
	s_nop 0
	global_load_dwordx4 v[2:5], v[14:15], off
	global_load_dwordx4 v[42:45], v[14:15], off offset:1024
	v_lshl_add_u64 v[14:15], v[10:11], 0, v[58:59]
	global_load_dwordx4 v[22:25], v[14:15], off
	global_load_dwordx4 v[10:13], v[14:15], off offset:1024
	v_mul_lo_u16_e32 v14, 52, v56
	v_mov_b32_e32 v15, 5
	v_mul_lo_u16_sdwa v14, v14, v15 dst_sel:DWORD dst_unused:UNUSED_PAD src0_sel:BYTE_1 src1_sel:DWORD
	v_sub_u16_e32 v14, v56, v14
	v_lshlrev_b32_sdwa v14, v15, v14 dst_sel:DWORD dst_unused:UNUSED_PAD src0_sel:DWORD src1_sel:BYTE_0
	v_lshl_add_u32 v14, v60, 9, v14
	ds_read_b128 v[30:33], v14
	ds_read_b128 v[26:29], v14 offset:16
	ds_read_b128 v[18:21], v14 offset:2048
	;; [unrolled: 1-line block ×3, first 2 shown]
	v_and_b32_e32 v55, 63, v0
	v_cmp_gt_u32_e32 vcc, 5, v56
	v_mov_b32_e32 v61, 0
	s_and_saveexec_b64 s[4:5], vcc
	s_cbranch_execz .LBB1252_13
; %bb.12:
	s_load_dwordx2 s[14:15], s[0:1], 0x40
	v_add_u32_e32 v40, s48, v56
	v_ashrrev_i32_e32 v41, 31, v40
	s_waitcnt lgkmcnt(0)
	v_lshl_add_u64 v[40:41], v[40:41], 2, s[14:15]
	global_load_dword v61, v[40:41], off
.LBB1252_13:
	s_or_b64 exec, exec, s[4:5]
	v_or_b32_e32 v58, s18, v34
	v_ashrrev_i32_e32 v34, 4, v58
	v_mov_b32_e32 v63, s19
	v_cmp_gt_i32_e32 vcc, s7, v58
	s_waitcnt vmcnt(7)
	v_cvt_pk_f32_fp8_e32 v[40:41], v50
	v_cvt_pk_f32_fp8_sdwa v[64:65], v50 src0_sel:WORD_1
	v_cndmask_b32_e32 v34, v63, v34, vcc
	v_ashrrev_i32_e32 v35, 31, v34
	v_lshl_add_u64 v[34:35], v[34:35], 2, s[8:9]
	global_load_dword v62, v[34:35], off
	v_or_b32_e32 v34, 64, v58
	v_ashrrev_i32_e32 v35, 4, v34
	v_cmp_gt_i32_e32 vcc, s7, v34
	v_or_b32_e32 v66, 0x80, v58
	v_ashrrev_i32_e32 v67, 4, v66
	v_cndmask_b32_e32 v34, v63, v35, vcc
	v_cmp_gt_i32_e32 vcc, s7, v66
	s_mov_b32 s33, 0x7060302
	v_perm_b32 v40, v41, v40, s33
	v_cndmask_b32_e32 v50, v63, v67, vcc
	v_perm_b32 v41, v65, v64, s33
	v_cvt_pk_f32_fp8_e32 v[64:65], v51
	v_cvt_pk_f32_fp8_sdwa v[66:67], v51 src0_sel:WORD_1
	v_ashrrev_i32_e32 v51, 31, v50
	v_lshl_add_u64 v[68:69], v[50:51], 2, s[8:9]
	v_perm_b32 v50, v65, v64, s33
	v_perm_b32 v51, v67, v66, s33
	s_waitcnt lgkmcnt(3)
	v_mfma_f32_16x16x16_bf16 v[64:67], v[40:41], v[30:31], 0
	v_cvt_pk_f32_fp8_e32 v[40:41], v52
	v_cvt_pk_f32_fp8_sdwa v[70:71], v52 src0_sel:WORD_1
	s_waitcnt vmcnt(7)
	v_cvt_pk_f32_fp8_e32 v[72:73], v46
	v_mfma_f32_16x16x16_bf16 v[64:67], v[50:51], v[32:33], v[64:67]
	v_cvt_pk_f32_fp8_e32 v[50:51], v53
	v_perm_b32 v40, v41, v40, s33
	v_perm_b32 v41, v71, v70, s33
	v_cvt_pk_f32_fp8_sdwa v[52:53], v53 src0_sel:WORD_1
	v_perm_b32 v70, v51, v50, s33
	v_cvt_pk_f32_fp8_sdwa v[74:75], v46 src0_sel:WORD_1
	v_ashrrev_i32_e32 v35, 31, v34
	v_perm_b32 v71, v53, v52, s33
	s_waitcnt lgkmcnt(2)
	v_mfma_f32_16x16x16_bf16 v[50:53], v[40:41], v[26:27], v[64:67]
	v_perm_b32 v40, v73, v72, s33
	v_perm_b32 v41, v75, v74, s33
	v_or_b32_e32 v58, 0xc0, v58
	v_cvt_pk_f32_fp8_e32 v[64:65], v47
	v_cvt_pk_f32_fp8_sdwa v[46:47], v47 src0_sel:WORD_1
	v_mfma_f32_16x16x16_bf16 v[50:53], v[70:71], v[28:29], v[50:53]
	v_lshl_add_u64 v[34:35], v[34:35], 2, s[8:9]
	v_perm_b32 v64, v65, v64, s33
	v_perm_b32 v65, v47, v46, s33
	s_waitcnt lgkmcnt(1)
	v_mfma_f32_16x16x16_bf16 v[50:53], v[40:41], v[18:19], v[50:53]
	v_ashrrev_i32_e32 v66, 4, v58
	v_cmp_gt_i32_e32 vcc, s7, v58
	v_cvt_pk_f32_fp8_e32 v[46:47], v48
	s_waitcnt vmcnt(6)
	v_cvt_pk_f32_fp8_sdwa v[70:71], v36 src0_sel:WORD_1
	v_cndmask_b32_e32 v40, v63, v66, vcc
	v_mfma_f32_16x16x16_bf16 v[64:67], v[64:65], v[20:21], v[50:53]
	v_ashrrev_i32_e32 v41, 31, v40
	v_lshl_add_u64 v[40:41], v[40:41], 2, s[8:9]
	v_perm_b32 v46, v47, v46, s33
	global_load_dword v53, v[34:35], off
	global_load_dword v63, v[40:41], off
	v_cvt_pk_f32_fp8_sdwa v[50:51], v48 src0_sel:WORD_1
	v_cvt_pk_f32_fp8_e32 v[34:35], v49
	v_cvt_pk_f32_fp8_sdwa v[48:49], v49 src0_sel:WORD_1
	s_add_u32 s46, s10, s12
	v_perm_b32 v47, v51, v50, s33
	v_perm_b32 v34, v35, v34, s33
	;; [unrolled: 1-line block ×3, first 2 shown]
	s_waitcnt lgkmcnt(0)
	v_mfma_f32_16x16x16_bf16 v[46:49], v[46:47], v[14:15], v[64:67]
	v_cvt_pk_f32_fp8_e32 v[50:51], v36
	s_nop 1
	global_load_dword v64, v[68:69], off
	v_cvt_pk_f32_fp8_e32 v[66:67], v37
	s_waitcnt vmcnt(8)
	v_cvt_pk_f32_fp8_e32 v[68:69], v6
	v_perm_b32 v50, v51, v50, s33
	v_perm_b32 v51, v71, v70, s33
	v_cvt_pk_f32_fp8_sdwa v[70:71], v37 src0_sel:WORD_1
	v_perm_b32 v40, v67, v66, s33
	v_mfma_f32_16x16x16_bf16 v[34:37], v[34:35], v[16:17], v[46:49]
	v_cvt_pk_f32_fp8_sdwa v[66:67], v38 src0_sel:WORD_1
	v_perm_b32 v41, v71, v70, s33
	v_cvt_pk_f32_fp8_sdwa v[70:71], v6 src0_sel:WORD_1
	v_mfma_f32_16x16x16_bf16 v[46:49], v[50:51], v[30:31], 0
	v_cvt_pk_f32_fp8_e32 v[50:51], v38
	v_lshl_or_b32 v52, v57, 4, v56
	s_waitcnt vmcnt(6)
	v_cvt_pk_f32_fp8_e32 v[72:73], v43
	v_mfma_f32_16x16x16_bf16 v[46:49], v[40:41], v[32:33], v[46:49]
	v_cvt_pk_f32_fp8_e32 v[40:41], v39
	v_perm_b32 v50, v51, v50, s33
	v_perm_b32 v51, v67, v66, s33
	v_cvt_pk_f32_fp8_sdwa v[38:39], v39 src0_sel:WORD_1
	v_perm_b32 v66, v41, v40, s33
	s_addc_u32 s47, s11, 0
	v_lshlrev_b32_e32 v58, 4, v52
	v_perm_b32 v67, v39, v38, s33
	v_mfma_f32_16x16x16_bf16 v[38:41], v[50:51], v[26:27], v[46:49]
	v_cvt_pk_f32_fp8_sdwa v[50:51], v2 src0_sel:WORD_1
	s_nop 1
	v_perm_b32 v46, v69, v68, s33
	v_perm_b32 v47, v71, v70, s33
	v_cvt_pk_f32_fp8_e32 v[48:49], v7
	v_cvt_pk_f32_fp8_sdwa v[6:7], v7 src0_sel:WORD_1
	v_mfma_f32_16x16x16_bf16 v[38:41], v[66:67], v[28:29], v[38:41]
	v_lshl_add_u64 v[70:71], s[46:47], 0, v[58:59]
	v_perm_b32 v48, v49, v48, s33
	v_perm_b32 v49, v7, v6, s33
	v_mfma_f32_16x16x16_bf16 v[38:41], v[46:47], v[18:19], v[38:41]
	v_cvt_pk_f32_fp8_e32 v[6:7], v8
	v_cvt_pk_f32_fp8_sdwa v[46:47], v8 src0_sel:WORD_1
	v_or_b32_e32 v58, 0x400, v58
	v_mfma_f32_16x16x16_bf16 v[38:41], v[48:49], v[20:21], v[38:41]
	v_cvt_pk_f32_fp8_e32 v[48:49], v9
	v_perm_b32 v6, v7, v6, s33
	v_perm_b32 v7, v47, v46, s33
	v_cvt_pk_f32_fp8_sdwa v[8:9], v9 src0_sel:WORD_1
	v_perm_b32 v46, v49, v48, s33
	v_cvt_pk_f32_fp8_e32 v[48:49], v2
	v_perm_b32 v47, v9, v8, s33
	v_mfma_f32_16x16x16_bf16 v[6:9], v[6:7], v[14:15], v[38:41]
	v_perm_b32 v48, v49, v48, s33
	v_perm_b32 v49, v51, v50, s33
	v_cvt_pk_f32_fp8_e32 v[50:51], v3
	v_cvt_pk_f32_fp8_sdwa v[2:3], v3 src0_sel:WORD_1
	v_mfma_f32_16x16x16_bf16 v[38:41], v[46:47], v[16:17], v[6:9]
	v_perm_b32 v46, v51, v50, s33
	v_perm_b32 v47, v3, v2, s33
	v_mfma_f32_16x16x16_bf16 v[6:9], v[48:49], v[30:31], 0
	v_cvt_pk_f32_fp8_e32 v[2:3], v4
	v_cvt_pk_f32_fp8_sdwa v[48:49], v4 src0_sel:WORD_1
	s_waitcnt vmcnt(3)
	v_mad_i64_i32 v[50:51], s[4:5], v62, s45, v[70:71]
	v_perm_b32 v2, v3, v2, s33
	v_perm_b32 v3, v49, v48, s33
	v_mfma_f32_16x16x16_bf16 v[6:9], v[46:47], v[32:33], v[6:9]
	v_cvt_pk_f32_fp8_e32 v[46:47], v5
	v_cvt_pk_f32_fp8_sdwa v[4:5], v5 src0_sel:WORD_1
	s_waitcnt vmcnt(2)
	v_mad_i64_i32 v[66:67], s[4:5], v53, s45, v[70:71]
	v_perm_b32 v46, v47, v46, s33
	v_perm_b32 v47, v5, v4, s33
	v_mfma_f32_16x16x16_bf16 v[2:5], v[2:3], v[26:27], v[6:9]
	s_nop 2
	v_cvt_pk_f32_fp8_e32 v[6:7], v42
	v_cvt_pk_f32_fp8_sdwa v[8:9], v42 src0_sel:WORD_1
	v_cvt_pk_f32_fp8_sdwa v[42:43], v43 src0_sel:WORD_1
	v_mfma_f32_16x16x16_bf16 v[46:49], v[46:47], v[28:29], v[2:5]
	v_perm_b32 v68, v7, v6, s33
	v_perm_b32 v69, v9, v8, s33
	global_load_dwordx4 v[6:9], v[50:51], off
	global_load_dwordx4 v[2:5], v[66:67], off
	v_perm_b32 v66, v73, v72, s33
	v_perm_b32 v67, v43, v42, s33
	v_mfma_f32_16x16x16_bf16 v[48:51], v[68:69], v[18:19], v[46:49]
	v_cvt_pk_f32_fp8_e32 v[42:43], v44
	v_cvt_pk_f32_fp8_sdwa v[72:73], v44 src0_sel:WORD_1
	s_waitcnt vmcnt(2)
	v_mad_i64_i32 v[46:47], s[4:5], v64, s45, v[70:71]
	v_mfma_f32_16x16x16_bf16 v[66:69], v[66:67], v[20:21], v[48:51]
	v_perm_b32 v42, v43, v42, s33
	v_perm_b32 v43, v73, v72, s33
	v_cvt_pk_f32_fp8_sdwa v[72:73], v22 src0_sel:WORD_1
	v_cvt_pk_f32_fp8_e32 v[50:51], v45
	v_cvt_pk_f32_fp8_sdwa v[44:45], v45 src0_sel:WORD_1
	v_mad_i64_i32 v[48:49], s[4:5], v63, s45, v[70:71]
	v_perm_b32 v50, v51, v50, s33
	v_perm_b32 v51, v45, v44, s33
	v_mfma_f32_16x16x16_bf16 v[42:45], v[42:43], v[14:15], v[66:69]
	v_cvt_pk_f32_fp8_e32 v[70:71], v22
	s_load_dword s4, s[0:1], 0x1c
	s_load_dwordx4 s[40:43], s[0:1], 0x80
	s_load_dword s44, s[0:1], 0x98
	s_waitcnt lgkmcnt(0)
	s_load_dword s5, s[40:41], 0x0
	v_mfma_f32_16x16x16_bf16 v[66:69], v[50:51], v[16:17], v[42:45]
	s_mov_b32 s40, 0xff7fffff
	s_nop 1
	v_cvt_pk_f32_fp8_e32 v[42:43], v23
	v_perm_b32 v44, v71, v70, s33
	v_perm_b32 v45, v73, v72, s33
	v_cvt_pk_f32_fp8_sdwa v[22:23], v23 src0_sel:WORD_1
	v_perm_b32 v50, v43, v42, s33
	v_cvt_pk_f32_fp8_e32 v[70:71], v24
	v_cvt_pk_f32_fp8_sdwa v[72:73], v24 src0_sel:WORD_1
	v_perm_b32 v51, v23, v22, s33
	v_mfma_f32_16x16x16_bf16 v[42:45], v[44:45], v[30:31], 0
	v_perm_b32 v30, v71, v70, s33
	v_perm_b32 v31, v73, v72, s33
	v_cvt_pk_f32_fp8_e32 v[70:71], v25
	v_cvt_pk_f32_fp8_sdwa v[72:73], v25 src0_sel:WORD_1
	v_mfma_f32_16x16x16_bf16 v[22:25], v[50:51], v[32:33], v[42:45]
	v_mov_b32_e32 v32, s4
	s_waitcnt lgkmcnt(0)
	v_mul_f32_e32 v50, s5, v32
	v_pk_mul_f32 v[32:33], v[50:51], v[34:35] op_sel_hi:[0,1]
	v_perm_b32 v42, v71, v70, s33
	v_perm_b32 v43, v73, v72, s33
	v_mfma_f32_16x16x16_bf16 v[22:25], v[30:31], v[26:27], v[22:25]
	v_pk_mul_f32 v[30:31], v[50:51], v[36:37] op_sel_hi:[0,1]
	v_cvt_pk_f32_fp8_e32 v[26:27], v11
	v_cvt_pk_f32_fp8_sdwa v[70:71], v12 src0_sel:WORD_1
	v_mfma_f32_16x16x16_bf16 v[34:37], v[42:43], v[28:29], v[22:25]
	v_pk_mul_f32 v[40:41], v[50:51], v[40:41] op_sel_hi:[0,1]
	v_perm_b32 v44, v27, v26, s33
	s_nop 0
	v_cvt_pk_f32_fp8_e32 v[22:23], v10
	v_cvt_pk_f32_fp8_sdwa v[24:25], v10 src0_sel:WORD_1
	v_cvt_pk_f32_fp8_sdwa v[10:11], v11 src0_sel:WORD_1
	v_perm_b32 v42, v23, v22, s33
	v_perm_b32 v43, v25, v24, s33
	;; [unrolled: 1-line block ×3, first 2 shown]
	v_cvt_pk_f32_fp8_e32 v[10:11], v12
	v_mfma_f32_16x16x16_bf16 v[34:37], v[42:43], v[18:19], v[34:37]
	global_load_dwordx4 v[26:29], v[46:47], off
	global_load_dwordx4 v[22:25], v[48:49], off
	v_perm_b32 v18, v11, v10, s33
	v_perm_b32 v19, v71, v70, s33
	v_cvt_pk_f32_fp8_e32 v[42:43], v13
	v_cvt_pk_f32_fp8_sdwa v[46:47], v13 src0_sel:WORD_1
	v_mfma_f32_16x16x16_bf16 v[10:13], v[44:45], v[20:21], v[34:37]
	v_pk_mul_f32 v[44:45], v[50:51], v[38:39] op_sel_hi:[0,1]
	v_perm_b32 v20, v43, v42, s33
	v_perm_b32 v21, v47, v46, s33
	v_mfma_f32_16x16x16_bf16 v[10:13], v[18:19], v[14:15], v[10:13]
	v_pk_mul_f32 v[38:39], v[50:51], v[68:69] op_sel_hi:[0,1]
	v_pk_mul_f32 v[42:43], v[50:51], v[66:67] op_sel_hi:[0,1]
	v_mfma_f32_16x16x16_bf16 v[10:13], v[20:21], v[16:17], v[10:13]
	s_nop 6
	v_pk_mul_f32 v[36:37], v[50:51], v[10:11] op_sel_hi:[0,1]
	v_and_b32_e32 v10, 0xc0, v0
	v_add_u32_e32 v10, s18, v10
	v_lshl_or_b32 v10, v60, 2, v10
	v_or_b32_e32 v11, 1, v10
	v_pk_mul_f32 v[34:35], v[50:51], v[12:13] op_sel_hi:[0,1]
	v_subrev_u32_e32 v12, s7, v11
	v_add_u32_e32 v14, 1, v12
	v_add_u32_e32 v15, 2, v12
	v_cvt_f32_i32_e32 v13, v12
	v_cvt_f32_i32_e32 v14, v14
	v_cvt_f32_i32_e32 v15, v15
	v_add_u32_e32 v16, 3, v12
	v_fma_f32 v18, v61, v13, v32
	v_fmac_f32_e32 v33, v61, v14
	v_fma_f32 v48, v61, v15, v30
	v_add_u32_e32 v13, 16, v12
	v_add_u32_e32 v14, 17, v12
	;; [unrolled: 1-line block ×3, first 2 shown]
	v_cvt_f32_i32_e32 v16, v16
	v_cvt_f32_i32_e32 v13, v13
	;; [unrolled: 1-line block ×4, first 2 shown]
	v_fmac_f32_e32 v31, v61, v16
	v_add_u32_e32 v16, 19, v12
	v_fma_f32 v44, v61, v13, v44
	v_fmac_f32_e32 v45, v61, v14
	v_fma_f32 v40, v61, v15, v40
	v_add_u32_e32 v13, 32, v12
	v_add_u32_e32 v14, 33, v12
	;; [unrolled: 1-line block ×3, first 2 shown]
	v_cvt_f32_i32_e32 v16, v16
	v_cvt_f32_i32_e32 v13, v13
	;; [unrolled: 1-line block ×4, first 2 shown]
	v_fmac_f32_e32 v41, v61, v16
	v_add_u32_e32 v16, 35, v12
	v_fma_f32 v42, v61, v13, v42
	v_fmac_f32_e32 v43, v61, v14
	v_fma_f32 v38, v61, v15, v38
	v_add_u32_e32 v13, 48, v12
	v_add_u32_e32 v14, 49, v12
	;; [unrolled: 1-line block ×4, first 2 shown]
	v_cvt_f32_i32_e32 v12, v12
	v_cvt_f32_i32_e32 v13, v13
	;; [unrolled: 1-line block ×3, first 2 shown]
	v_cmp_gt_i32_e64 s[8:9], s7, v10
	v_fmac_f32_e32 v35, v61, v12
	v_mov_b32_e32 v12, 0xff7fffff
	v_cmp_gt_i32_e64 s[10:11], s7, v11
	v_fma_f32 v36, v61, v13, v36
	v_cndmask_b32_e64 v13, v12, v18, s[8:9]
	v_cndmask_b32_e64 v11, v12, v33, s[10:11]
	v_fmac_f32_e32 v37, v61, v14
	v_max3_f32 v11, v13, s40, v11
	v_or_b32_e32 v13, 2, v10
	v_or_b32_e32 v14, 3, v10
	v_cmp_gt_i32_e64 s[12:13], s7, v13
	v_cmp_gt_i32_e64 s[14:15], s7, v14
	v_cvt_f32_i32_e32 v16, v16
	v_cndmask_b32_e64 v13, v12, v48, s[12:13]
	v_cndmask_b32_e64 v14, v12, v31, s[14:15]
	v_max3_f32 v11, v11, v13, v14
	v_or_b32_e32 v13, 16, v10
	v_or_b32_e32 v14, 17, v10
	v_cmp_gt_i32_e64 s[16:17], s7, v13
	v_cmp_gt_i32_e64 s[18:19], s7, v14
	v_fmac_f32_e32 v39, v61, v16
	v_cndmask_b32_e64 v13, v12, v44, s[16:17]
	v_cndmask_b32_e64 v14, v12, v45, s[18:19]
	v_max3_f32 v11, v11, v13, v14
	v_or_b32_e32 v13, 18, v10
	v_or_b32_e32 v14, 19, v10
	v_cmp_gt_i32_e64 s[20:21], s7, v13
	v_cmp_gt_i32_e64 s[22:23], s7, v14
	v_cvt_f32_i32_e32 v15, v15
	v_cndmask_b32_e64 v13, v12, v40, s[20:21]
	v_cndmask_b32_e64 v14, v12, v41, s[22:23]
	v_max3_f32 v11, v11, v13, v14
	v_or_b32_e32 v13, 32, v10
	v_or_b32_e32 v14, 33, v10
	v_cmp_gt_i32_e64 s[24:25], s7, v13
	v_cmp_gt_i32_e64 s[26:27], s7, v14
	v_fma_f32 v34, v61, v15, v34
	v_cndmask_b32_e64 v13, v12, v42, s[24:25]
	v_cndmask_b32_e64 v14, v12, v43, s[26:27]
	v_max3_f32 v11, v11, v13, v14
	v_or_b32_e32 v13, 34, v10
	v_or_b32_e32 v14, 35, v10
	v_cmp_gt_i32_e64 s[28:29], s7, v13
	v_cmp_gt_i32_e64 s[30:31], s7, v14
	s_nop 0
	v_cndmask_b32_e64 v13, v12, v38, s[28:29]
	v_cndmask_b32_e64 v14, v12, v39, s[30:31]
	v_max3_f32 v11, v11, v13, v14
	v_or_b32_e32 v13, 48, v10
	v_or_b32_e32 v14, 49, v10
	v_cmp_gt_i32_e64 s[34:35], s7, v13
	v_cmp_gt_i32_e64 s[36:37], s7, v14
	s_nop 0
	v_cndmask_b32_e64 v13, v12, v36, s[34:35]
	v_cndmask_b32_e64 v14, v12, v37, s[36:37]
	v_max3_f32 v11, v11, v13, v14
	v_or_b32_e32 v13, 50, v10
	v_or_b32_e32 v10, 51, v10
	v_cmp_gt_i32_e32 vcc, s7, v13
	v_cmp_gt_i32_e64 s[4:5], s7, v10
	s_nop 0
	v_cndmask_b32_e32 v13, v12, v34, vcc
	v_cndmask_b32_e64 v10, v12, v35, s[4:5]
	v_max3_f32 v14, v11, v13, v10
	v_mbcnt_lo_u32_b32 v10, -1, 0
	v_mbcnt_hi_u32_b32 v15, -1, v10
	v_and_b32_e32 v10, 64, v15
	v_add_u32_e32 v16, 64, v10
	v_xor_b32_e32 v10, 32, v15
	v_cmp_lt_i32_e64 s[38:39], v10, v16
	s_nop 1
	v_cndmask_b32_e64 v10, v15, v10, s[38:39]
	v_lshlrev_b32_e32 v51, 2, v10
	ds_bpermute_b32 v17, v51, v14
	v_lshl_add_u64 v[10:11], s[46:47], 0, v[58:59]
	v_mad_i64_i32 v[12:13], s[38:39], v62, s45, v[10:11]
	s_waitcnt lgkmcnt(0)
	v_max_f32_e32 v17, v17, v17
	v_max_f32_e32 v19, v14, v17
	v_xor_b32_e32 v14, 16, v15
	v_cmp_lt_i32_e64 s[38:39], v14, v16
	s_nop 1
	v_cndmask_b32_e64 v14, v15, v14, s[38:39]
	v_lshlrev_b32_e32 v58, 2, v14
	ds_bpermute_b32 v20, v58, v19
	v_mad_i64_i32 v[14:15], s[38:39], v53, s45, v[10:11]
	v_mad_i64_i32 v[16:17], s[38:39], v64, s45, v[10:11]
	s_waitcnt lgkmcnt(0)
	v_max_f32_e32 v20, v20, v20
	v_max_f32_e32 v50, v19, v20
	v_sub_f32_e32 v18, v18, v50
	v_sub_f32_e32 v19, v33, v50
	v_mul_f32_e32 v18, 0x3fb8aa3b, v18
	v_mul_f32_e32 v19, 0x3fb8aa3b, v19
	v_exp_f32_e32 v18, v18
	v_exp_f32_e32 v19, v19
	v_sub_f32_e32 v49, v31, v50
	v_mad_i64_i32 v[10:11], s[38:39], v63, s45, v[10:11]
	v_cndmask_b32_e64 v46, 0, v18, s[8:9]
	v_cndmask_b32_e64 v47, 0, v19, s[10:11]
	global_load_dwordx4 v[30:33], v[12:13], off
	global_load_dwordx4 v[18:21], v[14:15], off
	v_sub_f32_e32 v12, v48, v50
	v_mul_f32_e32 v12, 0x3fb8aa3b, v12
	v_exp_f32_e32 v48, v12
	global_load_dwordx4 v[14:17], v[16:17], off
	s_nop 0
	global_load_dwordx4 v[10:13], v[10:11], off
	v_sub_f32_e32 v40, v40, v50
	v_sub_f32_e32 v42, v42, v50
	v_mul_f32_e32 v40, 0x3fb8aa3b, v40
	v_mul_f32_e32 v42, 0x3fb8aa3b, v42
	v_exp_f32_e32 v40, v40
	v_exp_f32_e32 v53, v42
	v_mul_f32_e32 v49, 0x3fb8aa3b, v49
	v_sub_f32_e32 v44, v44, v50
	v_exp_f32_e32 v49, v49
	v_mul_f32_e32 v44, 0x3fb8aa3b, v44
	v_sub_f32_e32 v45, v45, v50
	v_sub_f32_e32 v42, v43, v50
	v_exp_f32_e32 v44, v44
	v_mul_f32_e32 v45, 0x3fb8aa3b, v45
	v_mul_f32_e32 v42, 0x3fb8aa3b, v42
	v_exp_f32_e32 v45, v45
	v_sub_f32_e32 v41, v41, v50
	v_exp_f32_e32 v59, v42
	v_cndmask_b32_e64 v42, 0, v40, s[20:21]
	v_cndmask_b32_e64 v40, 0, v53, s[24:25]
	v_add_f32_e32 v53, 0, v46
	v_cndmask_b32_e64 v48, 0, v48, s[12:13]
	v_mul_f32_e32 v41, 0x3fb8aa3b, v41
	v_add_f32_e32 v53, v53, v47
	v_cndmask_b32_e64 v49, 0, v49, s[14:15]
	v_exp_f32_e32 v41, v41
	v_add_f32_e32 v53, v53, v48
	v_cndmask_b32_e64 v44, 0, v44, s[16:17]
	v_sub_f32_e32 v38, v38, v50
	v_add_f32_e32 v53, v53, v49
	v_cndmask_b32_e64 v45, 0, v45, s[18:19]
	v_sub_f32_e32 v39, v39, v50
	v_mul_f32_e32 v38, 0x3fb8aa3b, v38
	v_add_f32_e32 v53, v53, v44
	v_exp_f32_e32 v38, v38
	v_mul_f32_e32 v39, 0x3fb8aa3b, v39
	v_sub_f32_e32 v36, v36, v50
	v_add_f32_e32 v53, v53, v45
	v_cndmask_b32_e64 v43, 0, v41, s[22:23]
	v_exp_f32_e32 v39, v39
	v_mul_f32_e32 v36, 0x3fb8aa3b, v36
	v_sub_f32_e32 v37, v37, v50
	v_add_f32_e32 v53, v53, v42
	v_exp_f32_e32 v36, v36
	v_mul_f32_e32 v37, 0x3fb8aa3b, v37
	v_add_f32_e32 v53, v53, v43
	v_sub_f32_e32 v34, v34, v50
	v_cndmask_b32_e64 v41, 0, v59, s[26:27]
	v_exp_f32_e32 v37, v37
	v_add_f32_e32 v53, v53, v40
	v_mul_f32_e32 v34, 0x3fb8aa3b, v34
	v_sub_f32_e32 v35, v35, v50
	v_cndmask_b32_e64 v38, 0, v38, s[28:29]
	v_add_f32_e32 v53, v53, v41
	v_exp_f32_e32 v34, v34
	v_mul_f32_e32 v35, 0x3fb8aa3b, v35
	v_cndmask_b32_e64 v39, 0, v39, s[30:31]
	v_add_f32_e32 v53, v53, v38
	v_exp_f32_e32 v35, v35
	v_cndmask_b32_e64 v36, 0, v36, s[34:35]
	v_add_f32_e32 v53, v53, v39
	v_cndmask_b32_e64 v37, 0, v37, s[36:37]
	v_add_f32_e32 v53, v53, v36
	v_add_f32_e32 v53, v53, v37
	v_cndmask_b32_e32 v34, 0, v34, vcc
	v_add_f32_e32 v53, v53, v34
	v_cndmask_b32_e64 v35, 0, v35, s[4:5]
	v_add_f32_e32 v53, v53, v35
	ds_bpermute_b32 v51, v51, v53
	v_cmp_gt_u32_e64 s[4:5], 16, v55
	s_waitcnt lgkmcnt(0)
	s_barrier
	v_add_f32_e32 v51, v53, v51
	ds_bpermute_b32 v53, v58, v51
	s_and_saveexec_b64 s[8:9], s[4:5]
	s_cbranch_execz .LBB1252_15
; %bb.14:
	s_waitcnt lgkmcnt(0)
	v_add_f32_e32 v51, v51, v53
	v_lshlrev_b32_e32 v52, 2, v52
	ds_write2st64_b32 v52, v50, v51 offset1:1
.LBB1252_15:
	s_or_b64 exec, exec, s[8:9]
	v_lshlrev_b32_e32 v51, 2, v56
	s_load_dword s7, s[0:1], 0x94
	s_waitcnt lgkmcnt(0)
	s_barrier
	ds_read2_b32 v[52:53], v51 offset1:16
	ds_read2_b32 v[58:59], v51 offset0:32 offset1:48
	ds_read2_b32 v[62:63], v51 offset0:64 offset1:80
	s_movk_i32 s11, 0x7fff
	s_mul_i32 s10, s44, 5
	s_waitcnt lgkmcnt(2)
	v_max3_f32 v50, v52, s40, v53
	s_waitcnt lgkmcnt(1)
	v_max3_f32 v50, v50, v58, v59
	v_sub_f32_e32 v52, v52, v50
	v_mul_f32_e32 v52, 0x3fb8aa3b, v52
	v_exp_f32_e32 v55, v52
	v_sub_f32_e32 v52, v53, v50
	v_mul_f32_e32 v52, 0x3fb8aa3b, v52
	v_exp_f32_e32 v61, v52
	;; [unrolled: 3-line block ×3, first 2 shown]
	ds_read2_b32 v[52:53], v51 offset0:96 offset1:112
	v_sub_f32_e32 v51, v59, v50
	v_mul_f32_e32 v51, 0x3fb8aa3b, v51
	v_exp_f32_e32 v59, v51
	s_waitcnt lgkmcnt(1)
	v_fma_f32 v51, v55, v62, 0
	v_fmac_f32_e32 v51, v61, v63
	s_waitcnt lgkmcnt(0)
	v_fmac_f32_e32 v51, v58, v52
	v_fmac_f32_e32 v51, v59, v53
	v_add_f32_e32 v52, 0x358637bd, v51
	v_div_scale_f32 v53, s[8:9], v52, v52, 1.0
	v_rcp_f32_e32 v62, v53
	s_barrier
	v_fma_f32 v63, -v53, v62, 1.0
	v_fmac_f32_e32 v62, v63, v62
	v_div_scale_f32 v63, vcc, 1.0, v52, 1.0
	v_mul_f32_e32 v64, v63, v62
	v_fma_f32 v65, -v53, v64, v63
	v_fmac_f32_e32 v64, v65, v62
	v_fma_f32 v53, -v53, v64, v63
	v_div_fmas_f32 v53, v53, v62, v64
	v_cmp_eq_u32_e32 vcc, 1, v57
	v_div_fixup_f32 v52, v53, v52, 1.0
	s_nop 0
	v_cndmask_b32_e32 v53, v55, v61, vcc
	v_cmp_eq_u32_e32 vcc, 2, v57
	s_nop 1
	v_cndmask_b32_e32 v53, v53, v58, vcc
	v_cmp_eq_u32_e32 vcc, 3, v57
	s_nop 1
	v_cndmask_b32_e32 v53, v53, v59, vcc
	v_mul_f32_e32 v52, v53, v52
	v_pk_mul_f32 v[46:47], v[52:53], v[46:47] op_sel_hi:[0,1]
	v_pk_mul_f32 v[48:49], v[52:53], v[48:49] op_sel_hi:[0,1]
	v_bfe_u32 v53, v47, 16, 1
	v_bfe_u32 v55, v46, 16, 1
	v_add3_u32 v46, v46, v55, s11
	v_add3_u32 v47, v47, v53, s11
	v_perm_b32 v58, v47, v46, s33
	v_bfe_u32 v46, v49, 16, 1
	v_bfe_u32 v47, v48, 16, 1
	v_add3_u32 v47, v48, v47, s11
	v_add3_u32 v46, v49, v46, s11
	v_perm_b32 v59, v46, v47, s33
	v_lshlrev_b32_e32 v47, 3, v60
	v_lshlrev_b32_e32 v46, 5, v56
	;; [unrolled: 1-line block ×3, first 2 shown]
	v_pk_mul_f32 v[44:45], v[52:53], v[44:45] op_sel_hi:[0,1]
	v_or3_b32 v55, v48, v46, v47
	v_bfe_u32 v47, v45, 16, 1
	v_bfe_u32 v48, v44, 16, 1
	v_pk_mul_f32 v[42:43], v[52:53], v[42:43] op_sel_hi:[0,1]
	v_add3_u32 v44, v44, v48, s11
	v_add3_u32 v45, v45, v47, s11
	v_perm_b32 v44, v45, v44, s33
	v_bfe_u32 v45, v43, 16, 1
	v_bfe_u32 v47, v42, 16, 1
	v_add3_u32 v42, v42, v47, s11
	v_add3_u32 v43, v43, v45, s11
	v_pk_mul_f32 v[40:41], v[52:53], v[40:41] op_sel_hi:[0,1]
	v_perm_b32 v45, v43, v42, s33
	v_bfe_u32 v42, v41, 16, 1
	v_bfe_u32 v43, v40, 16, 1
	v_pk_mul_f32 v[38:39], v[52:53], v[38:39] op_sel_hi:[0,1]
	v_add3_u32 v40, v40, v43, s11
	v_add3_u32 v41, v41, v42, s11
	v_perm_b32 v40, v41, v40, s33
	v_bfe_u32 v41, v39, 16, 1
	v_bfe_u32 v42, v38, 16, 1
	v_add3_u32 v38, v38, v42, s11
	v_add3_u32 v39, v39, v41, s11
	v_pk_mul_f32 v[36:37], v[52:53], v[36:37] op_sel_hi:[0,1]
	v_perm_b32 v41, v39, v38, s33
	v_bfe_u32 v38, v37, 16, 1
	v_bfe_u32 v39, v36, 16, 1
	v_pk_mul_f32 v[34:35], v[52:53], v[34:35] op_sel_hi:[0,1]
	v_add3_u32 v36, v36, v39, s11
	v_add3_u32 v37, v37, v38, s11
	v_perm_b32 v36, v37, v36, s33
	v_bfe_u32 v37, v35, 16, 1
	v_bfe_u32 v38, v34, 16, 1
	v_add3_u32 v34, v34, v38, s11
	v_add3_u32 v35, v35, v37, s11
	v_perm_b32 v37, v35, v34, s33
	v_cmp_gt_u32_e32 vcc, 5, v0
	ds_write2st64_b64 v55, v[58:59], v[44:45] offset1:1
	ds_write2st64_b64 v55, v[40:41], v[36:37] offset0:2 offset1:3
	s_and_saveexec_b64 s[8:9], vcc
	s_cbranch_execz .LBB1252_17
; %bb.16:
	s_mov_b32 s49, 0
	v_mov_b32_e32 v57, 0
	v_lshl_add_u64 v[34:35], s[48:49], 0, v[56:57]
	v_mov_b32_e32 v36, s10
	v_mad_u64_u32 v[34:35], s[16:17], s2, v36, v[34:35]
	s_mul_i32 s3, s3, s10
	v_mov_b32_e32 v36, s6
	v_mov_b32_e32 v37, v57
	s_load_dwordx4 s[12:15], s[0:1], 0x58
	v_add_u32_e32 v38, s3, v35
	v_mad_u64_u32 v[34:35], s[16:17], v34, s7, v[36:37]
	v_mov_b32_e32 v36, v35
	v_mad_u64_u32 v[36:37], s[16:17], v38, s7, v[36:37]
	v_mov_b32_e32 v35, v36
	v_lshlrev_b64 v[34:35], 2, v[34:35]
	s_waitcnt lgkmcnt(0)
	v_lshl_add_u64 v[36:37], s[14:15], 0, v[34:35]
	v_lshl_add_u64 v[34:35], s[12:13], 0, v[34:35]
	global_store_dword v[36:37], v50, off
	global_store_dword v[34:35], v51, off
.LBB1252_17:
	s_or_b64 exec, exec, s[8:9]
	s_waitcnt vmcnt(7)
	v_cvt_pk_f32_fp8_e32 v[34:35], v6
	v_cvt_pk_f32_fp8_sdwa v[36:37], v6 src0_sel:WORD_1
	v_lshl_or_b32 v50, v60, 9, v46
	s_mov_b32 s9, 0x7060302
	s_waitcnt lgkmcnt(0)
	s_barrier
	v_cvt_pk_f32_fp8_e32 v[38:39], v7
	v_perm_b32 v6, v35, v34, s9
	v_cvt_pk_f32_fp8_sdwa v[40:41], v7 src0_sel:WORD_1
	v_perm_b32 v7, v37, v36, s9
	ds_read_b128 v[34:37], v50
	v_perm_b32 v46, v39, v38, s9
	v_perm_b32 v47, v41, v40, s9
	ds_read_b128 v[38:41], v50 offset:16
	v_cvt_pk_f32_fp8_e32 v[48:49], v8
	v_cvt_pk_f32_fp8_sdwa v[52:53], v8 src0_sel:WORD_1
	s_waitcnt lgkmcnt(1)
	v_mfma_f32_16x16x16_bf16 v[42:45], v[6:7], v[34:35], 0
	s_waitcnt vmcnt(6)
	v_cvt_pk_f32_fp8_e32 v[58:59], v4
	v_perm_b32 v6, v49, v48, s9
	v_perm_b32 v7, v53, v52, s9
	v_cvt_pk_f32_fp8_e32 v[48:49], v9
	v_mfma_f32_16x16x16_bf16 v[42:45], v[46:47], v[36:37], v[42:45]
	v_cvt_pk_f32_fp8_sdwa v[46:47], v9 src0_sel:WORD_1
	v_cvt_pk_f32_fp8_sdwa v[62:63], v4 src0_sel:WORD_1
	v_perm_b32 v48, v49, v48, s9
	s_waitcnt lgkmcnt(0)
	v_mfma_f32_16x16x16_bf16 v[6:9], v[6:7], v[38:39], v[42:45]
	v_perm_b32 v49, v47, v46, s9
	s_waitcnt vmcnt(5)
	v_cvt_pk_f32_fp8_sdwa v[66:67], v28 src0_sel:WORD_1
	s_waitcnt vmcnt(4)
	v_cvt_pk_f32_fp8_sdwa v[68:69], v24 src0_sel:WORD_1
	v_cvt_pk_f32_fp8_e32 v[42:43], v2
	v_mfma_f32_16x16x16_bf16 v[46:49], v[48:49], v[40:41], v[6:9]
	s_load_dword s8, s[42:43], 0x0
	s_waitcnt vmcnt(3)
	v_cvt_pk_f32_fp8_sdwa v[70:71], v32 src0_sel:WORD_1
	v_cvt_pk_f32_fp8_sdwa v[6:7], v2 src0_sel:WORD_1
	v_cvt_pk_f32_fp8_e32 v[8:9], v3
	v_perm_b32 v2, v43, v42, s9
	v_cvt_pk_f32_fp8_sdwa v[42:43], v3 src0_sel:WORD_1
	v_perm_b32 v3, v7, v6, s9
	v_perm_b32 v52, v9, v8, s9
	ds_read_b128 v[6:9], v50 offset:2048
	v_perm_b32 v53, v43, v42, s9
	ds_read_b128 v[42:45], v50 offset:2064
	s_waitcnt lgkmcnt(0)
	v_mfma_f32_16x16x16_bf16 v[46:49], v[2:3], v[6:7], v[46:49]
	v_perm_b32 v2, v59, v58, s9
	v_perm_b32 v3, v63, v62, s9
	v_cvt_pk_f32_fp8_e32 v[58:59], v5
	v_mfma_f32_16x16x16_bf16 v[46:49], v[52:53], v[8:9], v[46:49]
	v_cvt_pk_f32_fp8_sdwa v[52:53], v5 src0_sel:WORD_1
	s_mov_b32 s3, 0
	v_perm_b32 v58, v59, v58, s9
	v_mfma_f32_16x16x16_bf16 v[2:5], v[2:3], v[42:43], v[46:49]
	v_perm_b32 v59, v53, v52, s9
	v_cmp_gt_u32_e32 vcc, 64, v0
	s_nop 0
	v_cvt_pk_f32_fp8_e32 v[46:47], v26
	v_mfma_f32_16x16x16_bf16 v[62:65], v[58:59], v[44:45], v[2:5]
	v_cvt_pk_f32_fp8_e32 v[58:59], v28
	s_nop 1
	v_cvt_pk_f32_fp8_sdwa v[2:3], v26 src0_sel:WORD_1
	v_cvt_pk_f32_fp8_e32 v[4:5], v27
	v_perm_b32 v26, v47, v46, s9
	v_cvt_pk_f32_fp8_sdwa v[46:47], v27 src0_sel:WORD_1
	v_perm_b32 v27, v3, v2, s9
	v_perm_b32 v52, v5, v4, s9
	ds_read_b128 v[2:5], v50 offset:4096
	v_perm_b32 v53, v47, v46, s9
	ds_read_b128 v[46:49], v50 offset:4112
	s_waitcnt lgkmcnt(1)
	v_mfma_f32_16x16x16_bf16 v[62:65], v[26:27], v[2:3], v[62:65]
	v_perm_b32 v26, v59, v58, s9
	v_perm_b32 v27, v67, v66, s9
	v_cvt_pk_f32_fp8_e32 v[58:59], v29
	v_mfma_f32_16x16x16_bf16 v[62:65], v[52:53], v[4:5], v[62:65]
	v_cvt_pk_f32_fp8_sdwa v[52:53], v29 src0_sel:WORD_1
	v_cvt_pk_f32_fp8_e32 v[66:67], v24
	v_perm_b32 v58, v59, v58, s9
	s_waitcnt lgkmcnt(0)
	v_mfma_f32_16x16x16_bf16 v[26:29], v[26:27], v[46:47], v[62:65]
	v_perm_b32 v59, v53, v52, s9
	v_cvt_pk_f32_fp8_e32 v[52:53], v22
	s_nop 0
	v_mfma_f32_16x16x16_bf16 v[62:65], v[58:59], v[48:49], v[26:29]
	s_nop 2
	v_cvt_pk_f32_fp8_sdwa v[26:27], v22 src0_sel:WORD_1
	v_cvt_pk_f32_fp8_e32 v[28:29], v23
	v_perm_b32 v22, v53, v52, s9
	v_cvt_pk_f32_fp8_sdwa v[52:53], v23 src0_sel:WORD_1
	v_perm_b32 v23, v27, v26, s9
	v_perm_b32 v58, v29, v28, s9
	ds_read_b128 v[26:29], v50 offset:6144
	v_perm_b32 v59, v53, v52, s9
	s_waitcnt lgkmcnt(0)
	v_mfma_f32_16x16x16_bf16 v[62:65], v[22:23], v[26:27], v[62:65]
	ds_read_b128 v[50:53], v50 offset:6160
	v_perm_b32 v22, v67, v66, s9
	v_perm_b32 v23, v69, v68, s9
	v_cvt_pk_f32_fp8_e32 v[66:67], v25
	v_mfma_f32_16x16x16_bf16 v[62:65], v[58:59], v[28:29], v[62:65]
	v_cvt_pk_f32_fp8_sdwa v[58:59], v25 src0_sel:WORD_1
	v_cvt_pk_f32_fp8_e32 v[68:69], v32
	v_perm_b32 v66, v67, v66, s9
	s_waitcnt lgkmcnt(0)
	v_mfma_f32_16x16x16_bf16 v[22:25], v[22:23], v[50:51], v[62:65]
	v_perm_b32 v67, v59, v58, s9
	v_cvt_pk_f32_fp8_sdwa v[58:59], v30 src0_sel:WORD_1
	s_nop 0
	v_mfma_f32_16x16x16_bf16 v[62:65], v[66:67], v[52:53], v[22:25]
	s_barrier
	s_nop 1
	v_cvt_pk_f32_fp8_e32 v[24:25], v30
	s_nop 2
	v_pk_mul_f32 v[66:67], v[62:63], s[8:9] op_sel_hi:[1,0]
	v_cvt_pk_f32_fp8_e32 v[62:63], v31
	v_perm_b32 v24, v25, v24, s9
	v_perm_b32 v25, v59, v58, s9
	v_cvt_pk_f32_fp8_sdwa v[30:31], v31 src0_sel:WORD_1
	v_perm_b32 v58, v63, v62, s9
	v_pk_mul_f32 v[22:23], v[64:65], s[8:9] op_sel_hi:[1,0]
	v_mfma_f32_16x16x16_bf16 v[62:65], v[24:25], v[34:35], 0
	v_perm_b32 v59, v31, v30, s9
	v_perm_b32 v24, v69, v68, s9
	;; [unrolled: 1-line block ×3, first 2 shown]
	v_cvt_pk_f32_fp8_e32 v[34:35], v33
	v_cvt_pk_f32_fp8_sdwa v[68:69], v33 src0_sel:WORD_1
	v_mfma_f32_16x16x16_bf16 v[30:33], v[58:59], v[36:37], v[62:65]
	s_waitcnt vmcnt(2)
	v_cvt_pk_f32_fp8_sdwa v[36:37], v18 src0_sel:WORD_1
	v_perm_b32 v34, v35, v34, s9
	v_perm_b32 v35, v69, v68, s9
	v_mfma_f32_16x16x16_bf16 v[30:33], v[24:25], v[38:39], v[30:33]
	v_cvt_pk_f32_fp8_e32 v[24:25], v18
	v_cvt_pk_f32_fp8_sdwa v[38:39], v20 src0_sel:WORD_1
	v_bfe_u32 v57, v67, 16, 1
	v_mfma_f32_16x16x16_bf16 v[30:33], v[34:35], v[40:41], v[30:33]
	v_cvt_pk_f32_fp8_e32 v[34:35], v19
	v_perm_b32 v24, v25, v24, s9
	v_perm_b32 v25, v37, v36, s9
	v_cvt_pk_f32_fp8_sdwa v[18:19], v19 src0_sel:WORD_1
	v_perm_b32 v34, v35, v34, s9
	v_cvt_pk_f32_fp8_e32 v[36:37], v20
	v_mfma_f32_16x16x16_bf16 v[30:33], v[24:25], v[6:7], v[30:33]
	v_perm_b32 v35, v19, v18, s9
	v_perm_b32 v18, v37, v36, s9
	;; [unrolled: 1-line block ×3, first 2 shown]
	v_cvt_pk_f32_fp8_e32 v[24:25], v21
	v_cvt_pk_f32_fp8_sdwa v[20:21], v21 src0_sel:WORD_1
	v_mfma_f32_16x16x16_bf16 v[6:9], v[34:35], v[8:9], v[30:33]
	v_bfe_u32 v58, v66, 16, 1
	v_perm_b32 v24, v25, v24, s9
	v_perm_b32 v25, v21, v20, s9
	v_mfma_f32_16x16x16_bf16 v[6:9], v[18:19], v[42:43], v[6:9]
	s_waitcnt vmcnt(1)
	v_cvt_pk_f32_fp8_e32 v[18:19], v14
	v_cvt_pk_f32_fp8_sdwa v[20:21], v14 src0_sel:WORD_1
	v_cvt_pk_f32_fp8_sdwa v[30:31], v16 src0_sel:WORD_1
	v_mfma_f32_16x16x16_bf16 v[6:9], v[24:25], v[44:45], v[6:9]
	v_cvt_pk_f32_fp8_e32 v[24:25], v15
	v_perm_b32 v18, v19, v18, s9
	v_perm_b32 v19, v21, v20, s9
	v_cvt_pk_f32_fp8_sdwa v[14:15], v15 src0_sel:WORD_1
	v_perm_b32 v20, v25, v24, s9
	v_cvt_pk_f32_fp8_e32 v[24:25], v16
	v_mfma_f32_16x16x16_bf16 v[6:9], v[18:19], v[2:3], v[6:9]
	v_perm_b32 v21, v15, v14, s9
	v_perm_b32 v14, v25, v24, s9
	;; [unrolled: 1-line block ×3, first 2 shown]
	v_cvt_pk_f32_fp8_e32 v[18:19], v17
	v_cvt_pk_f32_fp8_sdwa v[16:17], v17 src0_sel:WORD_1
	v_mfma_f32_16x16x16_bf16 v[2:5], v[20:21], v[4:5], v[6:9]
	v_add3_u32 v32, v66, v58, s11
	v_add3_u32 v33, v67, v57, s11
	s_nop 0
	v_perm_b32 v8, v19, v18, s9
	v_perm_b32 v9, v17, v16, s9
	v_mfma_f32_16x16x16_bf16 v[2:5], v[14:15], v[46:47], v[2:5]
	s_waitcnt vmcnt(0)
	v_cvt_pk_f32_fp8_e32 v[14:15], v10
	v_cvt_pk_f32_fp8_sdwa v[16:17], v10 src0_sel:WORD_1
	v_cvt_pk_f32_fp8_sdwa v[18:19], v12 src0_sel:WORD_1
	v_mfma_f32_16x16x16_bf16 v[2:5], v[8:9], v[48:49], v[2:5]
	v_cvt_pk_f32_fp8_e32 v[8:9], v11
	v_perm_b32 v14, v15, v14, s9
	v_perm_b32 v15, v17, v16, s9
	v_cvt_pk_f32_fp8_sdwa v[10:11], v11 src0_sel:WORD_1
	v_perm_b32 v8, v9, v8, s9
	v_cvt_pk_f32_fp8_e32 v[16:17], v12
	v_mfma_f32_16x16x16_bf16 v[2:5], v[14:15], v[26:27], v[2:5]
	v_perm_b32 v9, v11, v10, s9
	v_perm_b32 v10, v17, v16, s9
	;; [unrolled: 1-line block ×3, first 2 shown]
	v_cvt_pk_f32_fp8_e32 v[14:15], v13
	v_cvt_pk_f32_fp8_sdwa v[12:13], v13 src0_sel:WORD_1
	v_mfma_f32_16x16x16_bf16 v[2:5], v[8:9], v[28:29], v[2:5]
	v_bfe_u32 v7, v23, 16, 1
	v_perm_b32 v8, v15, v14, s9
	v_perm_b32 v9, v13, v12, s9
	v_mfma_f32_16x16x16_bf16 v[2:5], v[10:11], v[50:51], v[2:5]
	v_bfe_u32 v16, v22, 16, 1
	v_add3_u32 v10, v22, v16, s11
	v_add3_u32 v7, v23, v7, s11
	v_mfma_f32_16x16x16_bf16 v[2:5], v[8:9], v[52:53], v[2:5]
	v_perm_b32 v6, v33, v32, s9
	v_perm_b32 v7, v7, v10, s9
	s_nop 4
	v_pk_mul_f32 v[2:3], v[2:3], s[8:9] op_sel_hi:[1,0]
	v_pk_mul_f32 v[4:5], v[4:5], s[8:9] op_sel_hi:[1,0]
	v_bfe_u32 v8, v3, 16, 1
	v_bfe_u32 v9, v2, 16, 1
	v_add3_u32 v2, v2, v9, s11
	v_add3_u32 v3, v3, v8, s11
	v_perm_b32 v2, v3, v2, s9
	v_bfe_u32 v3, v5, 16, 1
	v_bfe_u32 v8, v4, 16, 1
	v_add3_u32 v4, v4, v8, s11
	v_add3_u32 v3, v5, v3, s11
	v_perm_b32 v3, v3, v4, s9
	ds_write2st64_b64 v55, v[6:7], v[2:3] offset1:1
	s_waitcnt lgkmcnt(0)
	s_barrier
	s_and_saveexec_b64 s[8:9], vcc
	s_cbranch_execz .LBB1252_20
; %bb.18:
	s_load_dwordx2 s[8:9], s[0:1], 0x68
	s_lshl_b32 s0, s7, 7
	s_mul_i32 s1, s10, s2
	v_lshlrev_b32_e32 v3, 6, v56
	s_mul_hi_u32 s11, s1, s0
	s_mul_i32 s10, s1, s0
	v_lshl_or_b32 v0, v0, 10, v3
	s_lshl_b64 s[10:11], s[10:11], 1
	v_lshlrev_b32_e32 v2, 5, v60
	v_and_b32_e32 v1, 16, v1
	v_and_b32_e32 v0, 0x1a00, v0
	s_waitcnt lgkmcnt(0)
	s_add_u32 s1, s8, s10
	v_or3_b32 v2, v0, v2, v1
	s_addc_u32 s7, s9, s11
	s_lshl_b32 s2, s6, 7
	s_lshl_b64 s[2:3], s[2:3], 1
	ds_read_b128 v[4:7], v2
	s_add_u32 s2, s1, s2
	s_addc_u32 s3, s7, s3
	v_mov_b32_e32 v55, 0
	v_add_u32_e32 v3, s48, v60
	v_lshl_add_u64 v[0:1], s[2:3], 0, v[54:55]
	v_mad_u64_u32 v[8:9], s[2:3], v3, s0, 0
	v_lshl_add_u64 v[8:9], v[8:9], 1, v[0:1]
	s_waitcnt lgkmcnt(0)
	global_store_dwordx4 v[8:9], v[4:7], off
	s_and_b64 exec, exec, s[4:5]
	s_cbranch_execz .LBB1252_20
; %bb.19:
	ds_read_b128 v[2:5], v2 offset:128
	v_add3_u32 v6, s48, v60, 4
	v_mad_u64_u32 v[6:7], s[0:1], v6, s0, 0
	v_lshl_add_u64 v[0:1], v[6:7], 1, v[0:1]
	s_waitcnt lgkmcnt(0)
	global_store_dwordx4 v[0:1], v[2:5], off
.LBB1252_20:
	s_endpgm
	.section	.rodata,"a",@progbits
	.p2align	6, 0x0
	.amdhsa_kernel _Z39paged_attention_ll4mi_QKV_mfma16_kernelI14__hip_bfloat16hLN4vllm18Fp8KVCacheDataTypeE1EhLi16ELi128ELi256ELb1ELi5EEvPKT_PKT0_S8_ifPKiSA_SA_iPKfiiiPfSD_PS3_PT2_iSC_SC_
		.amdhsa_group_segment_fixed_size 8192
		.amdhsa_private_segment_fixed_size 0
		.amdhsa_kernarg_size 400
		.amdhsa_user_sgpr_count 2
		.amdhsa_user_sgpr_dispatch_ptr 0
		.amdhsa_user_sgpr_queue_ptr 0
		.amdhsa_user_sgpr_kernarg_segment_ptr 1
		.amdhsa_user_sgpr_dispatch_id 0
		.amdhsa_user_sgpr_kernarg_preload_length 0
		.amdhsa_user_sgpr_kernarg_preload_offset 0
		.amdhsa_user_sgpr_private_segment_size 0
		.amdhsa_uses_dynamic_stack 0
		.amdhsa_enable_private_segment 0
		.amdhsa_system_sgpr_workgroup_id_x 1
		.amdhsa_system_sgpr_workgroup_id_y 1
		.amdhsa_system_sgpr_workgroup_id_z 1
		.amdhsa_system_sgpr_workgroup_info 0
		.amdhsa_system_vgpr_workitem_id 0
		.amdhsa_next_free_vgpr 76
		.amdhsa_next_free_sgpr 50
		.amdhsa_accum_offset 76
		.amdhsa_reserve_vcc 1
		.amdhsa_float_round_mode_32 0
		.amdhsa_float_round_mode_16_64 0
		.amdhsa_float_denorm_mode_32 3
		.amdhsa_float_denorm_mode_16_64 3
		.amdhsa_dx10_clamp 1
		.amdhsa_ieee_mode 1
		.amdhsa_fp16_overflow 0
		.amdhsa_tg_split 0
		.amdhsa_exception_fp_ieee_invalid_op 0
		.amdhsa_exception_fp_denorm_src 0
		.amdhsa_exception_fp_ieee_div_zero 0
		.amdhsa_exception_fp_ieee_overflow 0
		.amdhsa_exception_fp_ieee_underflow 0
		.amdhsa_exception_fp_ieee_inexact 0
		.amdhsa_exception_int_div_zero 0
	.end_amdhsa_kernel
	.section	.text._Z39paged_attention_ll4mi_QKV_mfma16_kernelI14__hip_bfloat16hLN4vllm18Fp8KVCacheDataTypeE1EhLi16ELi128ELi256ELb1ELi5EEvPKT_PKT0_S8_ifPKiSA_SA_iPKfiiiPfSD_PS3_PT2_iSC_SC_,"axG",@progbits,_Z39paged_attention_ll4mi_QKV_mfma16_kernelI14__hip_bfloat16hLN4vllm18Fp8KVCacheDataTypeE1EhLi16ELi128ELi256ELb1ELi5EEvPKT_PKT0_S8_ifPKiSA_SA_iPKfiiiPfSD_PS3_PT2_iSC_SC_,comdat
.Lfunc_end1252:
	.size	_Z39paged_attention_ll4mi_QKV_mfma16_kernelI14__hip_bfloat16hLN4vllm18Fp8KVCacheDataTypeE1EhLi16ELi128ELi256ELb1ELi5EEvPKT_PKT0_S8_ifPKiSA_SA_iPKfiiiPfSD_PS3_PT2_iSC_SC_, .Lfunc_end1252-_Z39paged_attention_ll4mi_QKV_mfma16_kernelI14__hip_bfloat16hLN4vllm18Fp8KVCacheDataTypeE1EhLi16ELi128ELi256ELb1ELi5EEvPKT_PKT0_S8_ifPKiSA_SA_iPKfiiiPfSD_PS3_PT2_iSC_SC_
                                        ; -- End function
	.section	.AMDGPU.csdata,"",@progbits
; Kernel info:
; codeLenInByte = 6596
; NumSgprs: 56
; NumVgprs: 76
; NumAgprs: 0
; TotalNumVgprs: 76
; ScratchSize: 0
; MemoryBound: 0
; FloatMode: 240
; IeeeMode: 1
; LDSByteSize: 8192 bytes/workgroup (compile time only)
; SGPRBlocks: 6
; VGPRBlocks: 9
; NumSGPRsForWavesPerEU: 56
; NumVGPRsForWavesPerEU: 76
; AccumOffset: 76
; Occupancy: 6
; WaveLimiterHint : 1
; COMPUTE_PGM_RSRC2:SCRATCH_EN: 0
; COMPUTE_PGM_RSRC2:USER_SGPR: 2
; COMPUTE_PGM_RSRC2:TRAP_HANDLER: 0
; COMPUTE_PGM_RSRC2:TGID_X_EN: 1
; COMPUTE_PGM_RSRC2:TGID_Y_EN: 1
; COMPUTE_PGM_RSRC2:TGID_Z_EN: 1
; COMPUTE_PGM_RSRC2:TIDIG_COMP_CNT: 0
; COMPUTE_PGM_RSRC3_GFX90A:ACCUM_OFFSET: 18
; COMPUTE_PGM_RSRC3_GFX90A:TG_SPLIT: 0
	.section	.text._Z39paged_attention_ll4mi_QKV_mfma16_kernelI14__hip_bfloat16hLN4vllm18Fp8KVCacheDataTypeE1EhLi16ELi128ELi256ELb1ELi6EEvPKT_PKT0_S8_ifPKiSA_SA_iPKfiiiPfSD_PS3_PT2_iSC_SC_,"axG",@progbits,_Z39paged_attention_ll4mi_QKV_mfma16_kernelI14__hip_bfloat16hLN4vllm18Fp8KVCacheDataTypeE1EhLi16ELi128ELi256ELb1ELi6EEvPKT_PKT0_S8_ifPKiSA_SA_iPKfiiiPfSD_PS3_PT2_iSC_SC_,comdat
	.protected	_Z39paged_attention_ll4mi_QKV_mfma16_kernelI14__hip_bfloat16hLN4vllm18Fp8KVCacheDataTypeE1EhLi16ELi128ELi256ELb1ELi6EEvPKT_PKT0_S8_ifPKiSA_SA_iPKfiiiPfSD_PS3_PT2_iSC_SC_ ; -- Begin function _Z39paged_attention_ll4mi_QKV_mfma16_kernelI14__hip_bfloat16hLN4vllm18Fp8KVCacheDataTypeE1EhLi16ELi128ELi256ELb1ELi6EEvPKT_PKT0_S8_ifPKiSA_SA_iPKfiiiPfSD_PS3_PT2_iSC_SC_
	.globl	_Z39paged_attention_ll4mi_QKV_mfma16_kernelI14__hip_bfloat16hLN4vllm18Fp8KVCacheDataTypeE1EhLi16ELi128ELi256ELb1ELi6EEvPKT_PKT0_S8_ifPKiSA_SA_iPKfiiiPfSD_PS3_PT2_iSC_SC_
	.p2align	8
	.type	_Z39paged_attention_ll4mi_QKV_mfma16_kernelI14__hip_bfloat16hLN4vllm18Fp8KVCacheDataTypeE1EhLi16ELi128ELi256ELb1ELi6EEvPKT_PKT0_S8_ifPKiSA_SA_iPKfiiiPfSD_PS3_PT2_iSC_SC_,@function
_Z39paged_attention_ll4mi_QKV_mfma16_kernelI14__hip_bfloat16hLN4vllm18Fp8KVCacheDataTypeE1EhLi16ELi128ELi256ELb1ELi6EEvPKT_PKT0_S8_ifPKiSA_SA_iPKfiiiPfSD_PS3_PT2_iSC_SC_: ; @_Z39paged_attention_ll4mi_QKV_mfma16_kernelI14__hip_bfloat16hLN4vllm18Fp8KVCacheDataTypeE1EhLi16ELi128ELi256ELb1ELi6EEvPKT_PKT0_S8_ifPKiSA_SA_iPKfiiiPfSD_PS3_PT2_iSC_SC_
; %bb.0:
	s_load_dwordx2 s[10:11], s[0:1], 0x30
	s_mov_b32 s6, s3
	s_mov_b64 s[8:9], 0
	s_waitcnt lgkmcnt(0)
	s_cmp_lg_u64 s[10:11], 0
	s_cselect_b64 s[12:13], -1, 0
	s_and_b64 vcc, exec, s[12:13]
	s_cbranch_vccz .LBB1253_7
; %bb.1:
	s_add_i32 s14, s2, 1
	s_mov_b32 s15, 0
	s_lshl_b64 s[16:17], s[14:15], 2
	s_add_u32 s16, s10, s16
	s_mov_b32 s3, s15
	s_addc_u32 s17, s11, s17
	s_lshl_b64 s[14:15], s[2:3], 2
	s_add_u32 s14, s10, s14
	s_addc_u32 s15, s11, s15
	s_load_dword s5, s[16:17], 0x0
	s_load_dword s7, s[14:15], 0x0
	s_waitcnt lgkmcnt(0)
	s_sub_i32 s5, s5, s7
	s_cmp_eq_u32 s5, 1
	s_cselect_b64 s[14:15], -1, 0
	s_andn2_b64 vcc, exec, s[8:9]
	s_cbranch_vccnz .LBB1253_3
.LBB1253_2:
	s_mov_b32 s3, 0
	s_mov_b64 s[14:15], -1
.LBB1253_3:
	s_andn2_b64 vcc, exec, s[14:15]
	s_cbranch_vccnz .LBB1253_20
; %bb.4:
	s_load_dwordx2 s[8:9], s[0:1], 0x28
	s_lshl_b64 s[16:17], s[2:3], 2
	s_waitcnt lgkmcnt(0)
	s_add_u32 s8, s8, s16
	s_addc_u32 s9, s9, s17
	s_load_dword s7, s[8:9], 0x0
	s_lshl_b32 s18, s6, 8
	s_waitcnt lgkmcnt(0)
	s_cmp_ge_i32 s18, s7
	s_cbranch_scc1 .LBB1253_20
; %bb.5:
	s_load_dwordx2 s[8:9], s[0:1], 0x20
	s_load_dword s5, s[0:1], 0x38
	s_add_i32 s14, s7, 15
	s_ashr_i32 s15, s14, 31
	v_and_b32_e32 v1, 0xcf, v0
	s_lshr_b32 s15, s15, 28
	v_add_u32_e32 v1, s18, v1
	s_add_i32 s14, s14, s15
	v_ashrrev_i32_e32 v2, 31, v1
	s_ashr_i32 s19, s14, 4
	v_lshrrev_b32_e32 v4, 28, v2
	s_add_i32 s19, s19, -1
	s_waitcnt lgkmcnt(0)
	s_mul_i32 s14, s2, s5
	s_mov_b32 s15, 0
	v_add_u32_e32 v2, v1, v4
	s_lshl_b64 s[14:15], s[14:15], 2
	v_ashrrev_i32_e32 v2, 4, v2
	v_mov_b32_e32 v5, s19
	v_cmp_gt_i32_e32 vcc, s7, v1
	s_add_u32 s8, s8, s14
	s_addc_u32 s9, s9, s15
	v_cndmask_b32_e32 v2, v5, v2, vcc
	v_ashrrev_i32_e32 v3, 31, v2
	v_lshl_add_u64 v[6:7], v[2:3], 2, s[8:9]
	v_or_b32_e32 v2, 16, v1
	v_add_u32_e32 v3, v2, v4
	v_ashrrev_i32_e32 v3, 4, v3
	v_cmp_gt_i32_e32 vcc, s7, v2
	s_load_dwordx2 s[14:15], s[0:1], 0x8
	s_nop 0
	v_cndmask_b32_e32 v2, v5, v3, vcc
	v_ashrrev_i32_e32 v3, 31, v2
	v_lshl_add_u64 v[8:9], v[2:3], 2, s[8:9]
	v_or_b32_e32 v2, 32, v1
	v_add_u32_e32 v3, v2, v4
	v_ashrrev_i32_e32 v3, 4, v3
	v_cmp_gt_i32_e32 vcc, s7, v2
	v_or_b32_e32 v1, 48, v1
	s_nop 0
	v_cndmask_b32_e32 v2, v5, v3, vcc
	v_ashrrev_i32_e32 v3, 31, v2
	v_lshl_add_u64 v[12:13], v[2:3], 2, s[8:9]
	v_add_u32_e32 v2, v1, v4
	v_ashrrev_i32_e32 v2, 4, v2
	v_cmp_gt_i32_e32 vcc, s7, v1
	s_nop 1
	v_cndmask_b32_e32 v2, v5, v2, vcc
	v_ashrrev_i32_e32 v3, 31, v2
	v_lshl_add_u64 v[14:15], v[2:3], 2, s[8:9]
	global_load_dword v4, v[6:7], off
	global_load_dword v3, v[8:9], off
	;; [unrolled: 1-line block ×4, first 2 shown]
	s_andn2_b64 vcc, exec, s[12:13]
	s_cbranch_vccnz .LBB1253_8
; %bb.6:
	s_add_u32 s10, s10, s16
	s_addc_u32 s11, s11, s17
	s_load_dword s5, s[10:11], 0x0
	s_branch .LBB1253_9
.LBB1253_7:
	s_mov_b64 s[14:15], 0
	s_branch .LBB1253_2
.LBB1253_8:
	s_mov_b32 s5, s2
.LBB1253_9:
	s_load_dwordx2 s[10:11], s[0:1], 0x10
	s_load_dwordx4 s[44:47], s[0:1], 0x48
	v_lshrrev_b32_e32 v57, 6, v0
	v_bfe_u32 v60, v0, 4, 2
	v_and_b32_e32 v56, 15, v0
	v_lshl_or_b32 v5, v57, 2, v60
	v_lshlrev_b32_e32 v1, 3, v56
	s_mul_i32 s48, s4, 6
	v_cmp_gt_u32_e32 vcc, 6, v5
	v_lshlrev_b32_e32 v54, 1, v1
	v_lshlrev_b32_e32 v1, 4, v0
	s_and_saveexec_b64 s[12:13], vcc
	s_cbranch_execz .LBB1253_11
; %bb.10:
	s_load_dwordx2 s[16:17], s[0:1], 0x0
	s_waitcnt lgkmcnt(0)
	s_ashr_i32 s20, s44, 31
	s_mul_hi_u32 s21, s5, s44
	s_mul_i32 s20, s5, s20
	s_add_i32 s21, s21, s20
	s_mul_i32 s20, s5, s44
	s_lshl_b64 s[20:21], s[20:21], 1
	s_add_u32 s16, s16, s20
	v_add_lshl_u32 v6, v5, s48, 7
	s_addc_u32 s17, s17, s21
	v_ashrrev_i32_e32 v7, 31, v6
	v_lshl_add_u64 v[6:7], v[6:7], 1, s[16:17]
	v_mov_b32_e32 v55, 0
	v_lshl_add_u64 v[6:7], v[6:7], 0, v[54:55]
	global_load_dwordx4 v[6:9], v[6:7], off
	v_lshlrev_b32_e32 v12, 8, v0
	v_lshlrev_b32_e32 v11, 8, v56
	v_and_b32_e32 v12, 0x600, v12
	s_movk_i32 s5, 0x800
	v_and_or_b32 v11, v11, s5, v12
	v_lshlrev_b32_e32 v5, 5, v5
	v_and_b32_e32 v12, 16, v1
	v_or3_b32 v5, v11, v5, v12
	s_waitcnt vmcnt(0)
	ds_write_b128 v5, v[6:9]
.LBB1253_11:
	s_or_b64 exec, exec, s[12:13]
	s_waitcnt lgkmcnt(0)
	s_mul_i32 s12, s4, s46
	s_add_u32 s4, s14, s12
	s_addc_u32 s5, s15, 0
	v_and_b32_e32 v58, 0xf0, v1
	v_mov_b32_e32 v59, 0
	v_and_b32_e32 v34, 48, v0
	v_lshl_add_u64 v[12:13], s[4:5], 0, v[58:59]
	v_lshlrev_b32_e32 v58, 4, v34
	s_waitcnt vmcnt(3)
	v_mad_i64_i32 v[4:5], s[4:5], v4, s45, v[12:13]
	v_lshl_add_u64 v[4:5], v[4:5], 0, v[58:59]
	s_barrier
	global_load_dwordx4 v[50:53], v[4:5], off
	global_load_dwordx4 v[46:49], v[4:5], off offset:1024
	s_waitcnt vmcnt(4)
	v_mad_i64_i32 v[4:5], s[4:5], v3, s45, v[12:13]
	s_waitcnt vmcnt(3)
	v_mad_i64_i32 v[2:3], s[4:5], v2, s45, v[12:13]
	v_lshl_add_u64 v[4:5], v[4:5], 0, v[58:59]
	v_lshl_add_u64 v[14:15], v[2:3], 0, v[58:59]
	s_waitcnt vmcnt(2)
	v_mad_i64_i32 v[10:11], s[4:5], v10, s45, v[12:13]
	global_load_dwordx4 v[36:39], v[4:5], off
	global_load_dwordx4 v[6:9], v[4:5], off offset:1024
	s_nop 0
	global_load_dwordx4 v[2:5], v[14:15], off
	global_load_dwordx4 v[42:45], v[14:15], off offset:1024
	v_lshl_add_u64 v[14:15], v[10:11], 0, v[58:59]
	global_load_dwordx4 v[22:25], v[14:15], off
	global_load_dwordx4 v[10:13], v[14:15], off offset:1024
	v_mul_lo_u16_e32 v14, 43, v56
	v_mov_b32_e32 v15, 6
	v_mul_lo_u16_sdwa v14, v14, v15 dst_sel:DWORD dst_unused:UNUSED_PAD src0_sel:BYTE_1 src1_sel:DWORD
	v_sub_u16_e32 v14, v56, v14
	v_mov_b32_e32 v15, 5
	v_lshlrev_b32_sdwa v14, v15, v14 dst_sel:DWORD dst_unused:UNUSED_PAD src0_sel:DWORD src1_sel:BYTE_0
	v_lshl_add_u32 v14, v60, 9, v14
	ds_read_b128 v[30:33], v14
	ds_read_b128 v[26:29], v14 offset:16
	ds_read_b128 v[18:21], v14 offset:2048
	;; [unrolled: 1-line block ×3, first 2 shown]
	v_and_b32_e32 v55, 63, v0
	v_cmp_gt_u32_e32 vcc, 6, v56
	v_mov_b32_e32 v61, 0
	s_and_saveexec_b64 s[4:5], vcc
	s_cbranch_execz .LBB1253_13
; %bb.12:
	s_load_dwordx2 s[14:15], s[0:1], 0x40
	v_add_u32_e32 v40, s48, v56
	v_ashrrev_i32_e32 v41, 31, v40
	s_waitcnt lgkmcnt(0)
	v_lshl_add_u64 v[40:41], v[40:41], 2, s[14:15]
	global_load_dword v61, v[40:41], off
.LBB1253_13:
	s_or_b64 exec, exec, s[4:5]
	v_or_b32_e32 v58, s18, v34
	v_ashrrev_i32_e32 v34, 4, v58
	v_mov_b32_e32 v63, s19
	v_cmp_gt_i32_e32 vcc, s7, v58
	s_waitcnt vmcnt(7)
	v_cvt_pk_f32_fp8_e32 v[40:41], v50
	v_cvt_pk_f32_fp8_sdwa v[64:65], v50 src0_sel:WORD_1
	v_cndmask_b32_e32 v34, v63, v34, vcc
	v_ashrrev_i32_e32 v35, 31, v34
	v_lshl_add_u64 v[34:35], v[34:35], 2, s[8:9]
	global_load_dword v62, v[34:35], off
	v_or_b32_e32 v34, 64, v58
	v_ashrrev_i32_e32 v35, 4, v34
	v_cmp_gt_i32_e32 vcc, s7, v34
	v_or_b32_e32 v66, 0x80, v58
	v_ashrrev_i32_e32 v67, 4, v66
	v_cndmask_b32_e32 v34, v63, v35, vcc
	v_cmp_gt_i32_e32 vcc, s7, v66
	s_mov_b32 s33, 0x7060302
	v_perm_b32 v40, v41, v40, s33
	v_cndmask_b32_e32 v50, v63, v67, vcc
	v_perm_b32 v41, v65, v64, s33
	v_cvt_pk_f32_fp8_e32 v[64:65], v51
	v_cvt_pk_f32_fp8_sdwa v[66:67], v51 src0_sel:WORD_1
	v_ashrrev_i32_e32 v51, 31, v50
	v_lshl_add_u64 v[68:69], v[50:51], 2, s[8:9]
	v_perm_b32 v50, v65, v64, s33
	v_perm_b32 v51, v67, v66, s33
	s_waitcnt lgkmcnt(3)
	v_mfma_f32_16x16x16_bf16 v[64:67], v[40:41], v[30:31], 0
	v_cvt_pk_f32_fp8_e32 v[40:41], v52
	v_cvt_pk_f32_fp8_sdwa v[70:71], v52 src0_sel:WORD_1
	s_waitcnt vmcnt(7)
	v_cvt_pk_f32_fp8_e32 v[72:73], v46
	v_mfma_f32_16x16x16_bf16 v[64:67], v[50:51], v[32:33], v[64:67]
	v_cvt_pk_f32_fp8_e32 v[50:51], v53
	v_perm_b32 v40, v41, v40, s33
	v_perm_b32 v41, v71, v70, s33
	v_cvt_pk_f32_fp8_sdwa v[52:53], v53 src0_sel:WORD_1
	v_perm_b32 v70, v51, v50, s33
	v_cvt_pk_f32_fp8_sdwa v[74:75], v46 src0_sel:WORD_1
	v_ashrrev_i32_e32 v35, 31, v34
	v_perm_b32 v71, v53, v52, s33
	s_waitcnt lgkmcnt(2)
	v_mfma_f32_16x16x16_bf16 v[50:53], v[40:41], v[26:27], v[64:67]
	v_perm_b32 v40, v73, v72, s33
	v_perm_b32 v41, v75, v74, s33
	v_or_b32_e32 v58, 0xc0, v58
	v_cvt_pk_f32_fp8_e32 v[64:65], v47
	v_cvt_pk_f32_fp8_sdwa v[46:47], v47 src0_sel:WORD_1
	v_mfma_f32_16x16x16_bf16 v[50:53], v[70:71], v[28:29], v[50:53]
	v_lshl_add_u64 v[34:35], v[34:35], 2, s[8:9]
	v_perm_b32 v64, v65, v64, s33
	v_perm_b32 v65, v47, v46, s33
	s_waitcnt lgkmcnt(1)
	v_mfma_f32_16x16x16_bf16 v[50:53], v[40:41], v[18:19], v[50:53]
	v_ashrrev_i32_e32 v66, 4, v58
	v_cmp_gt_i32_e32 vcc, s7, v58
	v_cvt_pk_f32_fp8_e32 v[46:47], v48
	s_waitcnt vmcnt(6)
	v_cvt_pk_f32_fp8_sdwa v[70:71], v36 src0_sel:WORD_1
	v_cndmask_b32_e32 v40, v63, v66, vcc
	v_mfma_f32_16x16x16_bf16 v[64:67], v[64:65], v[20:21], v[50:53]
	v_ashrrev_i32_e32 v41, 31, v40
	v_lshl_add_u64 v[40:41], v[40:41], 2, s[8:9]
	v_perm_b32 v46, v47, v46, s33
	global_load_dword v53, v[34:35], off
	global_load_dword v63, v[40:41], off
	v_cvt_pk_f32_fp8_sdwa v[50:51], v48 src0_sel:WORD_1
	v_cvt_pk_f32_fp8_e32 v[34:35], v49
	v_cvt_pk_f32_fp8_sdwa v[48:49], v49 src0_sel:WORD_1
	s_add_u32 s46, s10, s12
	v_perm_b32 v47, v51, v50, s33
	v_perm_b32 v34, v35, v34, s33
	;; [unrolled: 1-line block ×3, first 2 shown]
	s_waitcnt lgkmcnt(0)
	v_mfma_f32_16x16x16_bf16 v[46:49], v[46:47], v[14:15], v[64:67]
	v_cvt_pk_f32_fp8_e32 v[50:51], v36
	s_nop 1
	global_load_dword v64, v[68:69], off
	v_cvt_pk_f32_fp8_e32 v[66:67], v37
	s_waitcnt vmcnt(8)
	v_cvt_pk_f32_fp8_e32 v[68:69], v6
	v_perm_b32 v50, v51, v50, s33
	v_perm_b32 v51, v71, v70, s33
	v_cvt_pk_f32_fp8_sdwa v[70:71], v37 src0_sel:WORD_1
	v_perm_b32 v40, v67, v66, s33
	v_mfma_f32_16x16x16_bf16 v[34:37], v[34:35], v[16:17], v[46:49]
	v_cvt_pk_f32_fp8_sdwa v[66:67], v38 src0_sel:WORD_1
	v_perm_b32 v41, v71, v70, s33
	v_cvt_pk_f32_fp8_sdwa v[70:71], v6 src0_sel:WORD_1
	v_mfma_f32_16x16x16_bf16 v[46:49], v[50:51], v[30:31], 0
	v_cvt_pk_f32_fp8_e32 v[50:51], v38
	v_lshl_or_b32 v52, v57, 4, v56
	s_waitcnt vmcnt(6)
	v_cvt_pk_f32_fp8_e32 v[72:73], v43
	v_mfma_f32_16x16x16_bf16 v[46:49], v[40:41], v[32:33], v[46:49]
	v_cvt_pk_f32_fp8_e32 v[40:41], v39
	v_perm_b32 v50, v51, v50, s33
	v_perm_b32 v51, v67, v66, s33
	v_cvt_pk_f32_fp8_sdwa v[38:39], v39 src0_sel:WORD_1
	v_perm_b32 v66, v41, v40, s33
	s_addc_u32 s47, s11, 0
	v_lshlrev_b32_e32 v58, 4, v52
	v_perm_b32 v67, v39, v38, s33
	v_mfma_f32_16x16x16_bf16 v[38:41], v[50:51], v[26:27], v[46:49]
	v_cvt_pk_f32_fp8_sdwa v[50:51], v2 src0_sel:WORD_1
	s_nop 1
	v_perm_b32 v46, v69, v68, s33
	v_perm_b32 v47, v71, v70, s33
	v_cvt_pk_f32_fp8_e32 v[48:49], v7
	v_cvt_pk_f32_fp8_sdwa v[6:7], v7 src0_sel:WORD_1
	v_mfma_f32_16x16x16_bf16 v[38:41], v[66:67], v[28:29], v[38:41]
	v_lshl_add_u64 v[70:71], s[46:47], 0, v[58:59]
	v_perm_b32 v48, v49, v48, s33
	v_perm_b32 v49, v7, v6, s33
	v_mfma_f32_16x16x16_bf16 v[38:41], v[46:47], v[18:19], v[38:41]
	v_cvt_pk_f32_fp8_e32 v[6:7], v8
	v_cvt_pk_f32_fp8_sdwa v[46:47], v8 src0_sel:WORD_1
	v_or_b32_e32 v58, 0x400, v58
	v_mfma_f32_16x16x16_bf16 v[38:41], v[48:49], v[20:21], v[38:41]
	v_cvt_pk_f32_fp8_e32 v[48:49], v9
	v_perm_b32 v6, v7, v6, s33
	v_perm_b32 v7, v47, v46, s33
	v_cvt_pk_f32_fp8_sdwa v[8:9], v9 src0_sel:WORD_1
	v_perm_b32 v46, v49, v48, s33
	v_cvt_pk_f32_fp8_e32 v[48:49], v2
	v_perm_b32 v47, v9, v8, s33
	v_mfma_f32_16x16x16_bf16 v[6:9], v[6:7], v[14:15], v[38:41]
	v_perm_b32 v48, v49, v48, s33
	v_perm_b32 v49, v51, v50, s33
	v_cvt_pk_f32_fp8_e32 v[50:51], v3
	v_cvt_pk_f32_fp8_sdwa v[2:3], v3 src0_sel:WORD_1
	v_mfma_f32_16x16x16_bf16 v[38:41], v[46:47], v[16:17], v[6:9]
	v_perm_b32 v46, v51, v50, s33
	v_perm_b32 v47, v3, v2, s33
	v_mfma_f32_16x16x16_bf16 v[6:9], v[48:49], v[30:31], 0
	v_cvt_pk_f32_fp8_e32 v[2:3], v4
	v_cvt_pk_f32_fp8_sdwa v[48:49], v4 src0_sel:WORD_1
	s_waitcnt vmcnt(3)
	v_mad_i64_i32 v[50:51], s[4:5], v62, s45, v[70:71]
	v_perm_b32 v2, v3, v2, s33
	v_perm_b32 v3, v49, v48, s33
	v_mfma_f32_16x16x16_bf16 v[6:9], v[46:47], v[32:33], v[6:9]
	v_cvt_pk_f32_fp8_e32 v[46:47], v5
	v_cvt_pk_f32_fp8_sdwa v[4:5], v5 src0_sel:WORD_1
	s_waitcnt vmcnt(2)
	v_mad_i64_i32 v[66:67], s[4:5], v53, s45, v[70:71]
	v_perm_b32 v46, v47, v46, s33
	v_perm_b32 v47, v5, v4, s33
	v_mfma_f32_16x16x16_bf16 v[2:5], v[2:3], v[26:27], v[6:9]
	s_nop 2
	v_cvt_pk_f32_fp8_e32 v[6:7], v42
	v_cvt_pk_f32_fp8_sdwa v[8:9], v42 src0_sel:WORD_1
	v_cvt_pk_f32_fp8_sdwa v[42:43], v43 src0_sel:WORD_1
	v_mfma_f32_16x16x16_bf16 v[46:49], v[46:47], v[28:29], v[2:5]
	v_perm_b32 v68, v7, v6, s33
	v_perm_b32 v69, v9, v8, s33
	global_load_dwordx4 v[6:9], v[50:51], off
	global_load_dwordx4 v[2:5], v[66:67], off
	v_perm_b32 v66, v73, v72, s33
	v_perm_b32 v67, v43, v42, s33
	v_mfma_f32_16x16x16_bf16 v[48:51], v[68:69], v[18:19], v[46:49]
	v_cvt_pk_f32_fp8_e32 v[42:43], v44
	v_cvt_pk_f32_fp8_sdwa v[72:73], v44 src0_sel:WORD_1
	s_waitcnt vmcnt(2)
	v_mad_i64_i32 v[46:47], s[4:5], v64, s45, v[70:71]
	v_mfma_f32_16x16x16_bf16 v[66:69], v[66:67], v[20:21], v[48:51]
	v_perm_b32 v42, v43, v42, s33
	v_perm_b32 v43, v73, v72, s33
	v_cvt_pk_f32_fp8_sdwa v[72:73], v22 src0_sel:WORD_1
	v_cvt_pk_f32_fp8_e32 v[50:51], v45
	v_cvt_pk_f32_fp8_sdwa v[44:45], v45 src0_sel:WORD_1
	v_mad_i64_i32 v[48:49], s[4:5], v63, s45, v[70:71]
	v_perm_b32 v50, v51, v50, s33
	v_perm_b32 v51, v45, v44, s33
	v_mfma_f32_16x16x16_bf16 v[42:45], v[42:43], v[14:15], v[66:69]
	v_cvt_pk_f32_fp8_e32 v[70:71], v22
	s_load_dword s4, s[0:1], 0x1c
	s_load_dwordx4 s[40:43], s[0:1], 0x80
	s_load_dword s44, s[0:1], 0x98
	s_waitcnt lgkmcnt(0)
	s_load_dword s5, s[40:41], 0x0
	v_mfma_f32_16x16x16_bf16 v[66:69], v[50:51], v[16:17], v[42:45]
	s_mov_b32 s40, 0xff7fffff
	s_nop 1
	v_cvt_pk_f32_fp8_e32 v[42:43], v23
	v_perm_b32 v44, v71, v70, s33
	v_perm_b32 v45, v73, v72, s33
	v_cvt_pk_f32_fp8_sdwa v[22:23], v23 src0_sel:WORD_1
	v_perm_b32 v50, v43, v42, s33
	v_cvt_pk_f32_fp8_e32 v[70:71], v24
	v_cvt_pk_f32_fp8_sdwa v[72:73], v24 src0_sel:WORD_1
	v_perm_b32 v51, v23, v22, s33
	v_mfma_f32_16x16x16_bf16 v[42:45], v[44:45], v[30:31], 0
	v_perm_b32 v30, v71, v70, s33
	v_perm_b32 v31, v73, v72, s33
	v_cvt_pk_f32_fp8_e32 v[70:71], v25
	v_cvt_pk_f32_fp8_sdwa v[72:73], v25 src0_sel:WORD_1
	v_mfma_f32_16x16x16_bf16 v[22:25], v[50:51], v[32:33], v[42:45]
	v_mov_b32_e32 v32, s4
	s_waitcnt lgkmcnt(0)
	v_mul_f32_e32 v50, s5, v32
	v_pk_mul_f32 v[32:33], v[50:51], v[34:35] op_sel_hi:[0,1]
	v_perm_b32 v42, v71, v70, s33
	v_perm_b32 v43, v73, v72, s33
	v_mfma_f32_16x16x16_bf16 v[22:25], v[30:31], v[26:27], v[22:25]
	v_pk_mul_f32 v[30:31], v[50:51], v[36:37] op_sel_hi:[0,1]
	v_cvt_pk_f32_fp8_e32 v[26:27], v11
	v_cvt_pk_f32_fp8_sdwa v[70:71], v12 src0_sel:WORD_1
	v_mfma_f32_16x16x16_bf16 v[34:37], v[42:43], v[28:29], v[22:25]
	v_pk_mul_f32 v[40:41], v[50:51], v[40:41] op_sel_hi:[0,1]
	v_perm_b32 v44, v27, v26, s33
	s_nop 0
	v_cvt_pk_f32_fp8_e32 v[22:23], v10
	v_cvt_pk_f32_fp8_sdwa v[24:25], v10 src0_sel:WORD_1
	v_cvt_pk_f32_fp8_sdwa v[10:11], v11 src0_sel:WORD_1
	v_perm_b32 v42, v23, v22, s33
	v_perm_b32 v43, v25, v24, s33
	;; [unrolled: 1-line block ×3, first 2 shown]
	v_cvt_pk_f32_fp8_e32 v[10:11], v12
	v_mfma_f32_16x16x16_bf16 v[34:37], v[42:43], v[18:19], v[34:37]
	global_load_dwordx4 v[26:29], v[46:47], off
	global_load_dwordx4 v[22:25], v[48:49], off
	v_perm_b32 v18, v11, v10, s33
	v_perm_b32 v19, v71, v70, s33
	v_cvt_pk_f32_fp8_e32 v[42:43], v13
	v_cvt_pk_f32_fp8_sdwa v[46:47], v13 src0_sel:WORD_1
	v_mfma_f32_16x16x16_bf16 v[10:13], v[44:45], v[20:21], v[34:37]
	v_pk_mul_f32 v[44:45], v[50:51], v[38:39] op_sel_hi:[0,1]
	v_perm_b32 v20, v43, v42, s33
	v_perm_b32 v21, v47, v46, s33
	v_mfma_f32_16x16x16_bf16 v[10:13], v[18:19], v[14:15], v[10:13]
	v_pk_mul_f32 v[38:39], v[50:51], v[68:69] op_sel_hi:[0,1]
	v_pk_mul_f32 v[42:43], v[50:51], v[66:67] op_sel_hi:[0,1]
	v_mfma_f32_16x16x16_bf16 v[10:13], v[20:21], v[16:17], v[10:13]
	s_nop 6
	v_pk_mul_f32 v[36:37], v[50:51], v[10:11] op_sel_hi:[0,1]
	v_and_b32_e32 v10, 0xc0, v0
	v_add_u32_e32 v10, s18, v10
	v_lshl_or_b32 v10, v60, 2, v10
	v_or_b32_e32 v11, 1, v10
	v_pk_mul_f32 v[34:35], v[50:51], v[12:13] op_sel_hi:[0,1]
	v_subrev_u32_e32 v12, s7, v11
	v_add_u32_e32 v14, 1, v12
	v_add_u32_e32 v15, 2, v12
	v_cvt_f32_i32_e32 v13, v12
	v_cvt_f32_i32_e32 v14, v14
	;; [unrolled: 1-line block ×3, first 2 shown]
	v_add_u32_e32 v16, 3, v12
	v_fma_f32 v18, v61, v13, v32
	v_fmac_f32_e32 v33, v61, v14
	v_fma_f32 v48, v61, v15, v30
	v_add_u32_e32 v13, 16, v12
	v_add_u32_e32 v14, 17, v12
	;; [unrolled: 1-line block ×3, first 2 shown]
	v_cvt_f32_i32_e32 v16, v16
	v_cvt_f32_i32_e32 v13, v13
	;; [unrolled: 1-line block ×4, first 2 shown]
	v_fmac_f32_e32 v31, v61, v16
	v_add_u32_e32 v16, 19, v12
	v_fma_f32 v44, v61, v13, v44
	v_fmac_f32_e32 v45, v61, v14
	v_fma_f32 v40, v61, v15, v40
	v_add_u32_e32 v13, 32, v12
	v_add_u32_e32 v14, 33, v12
	;; [unrolled: 1-line block ×3, first 2 shown]
	v_cvt_f32_i32_e32 v16, v16
	v_cvt_f32_i32_e32 v13, v13
	;; [unrolled: 1-line block ×4, first 2 shown]
	v_fmac_f32_e32 v41, v61, v16
	v_add_u32_e32 v16, 35, v12
	v_fma_f32 v42, v61, v13, v42
	v_fmac_f32_e32 v43, v61, v14
	v_fma_f32 v38, v61, v15, v38
	v_add_u32_e32 v13, 48, v12
	v_add_u32_e32 v14, 49, v12
	;; [unrolled: 1-line block ×4, first 2 shown]
	v_cvt_f32_i32_e32 v12, v12
	v_cvt_f32_i32_e32 v13, v13
	;; [unrolled: 1-line block ×3, first 2 shown]
	v_cmp_gt_i32_e64 s[8:9], s7, v10
	v_fmac_f32_e32 v35, v61, v12
	v_mov_b32_e32 v12, 0xff7fffff
	v_cmp_gt_i32_e64 s[10:11], s7, v11
	v_fma_f32 v36, v61, v13, v36
	v_cndmask_b32_e64 v13, v12, v18, s[8:9]
	v_cndmask_b32_e64 v11, v12, v33, s[10:11]
	v_fmac_f32_e32 v37, v61, v14
	v_max3_f32 v11, v13, s40, v11
	v_or_b32_e32 v13, 2, v10
	v_or_b32_e32 v14, 3, v10
	v_cmp_gt_i32_e64 s[12:13], s7, v13
	v_cmp_gt_i32_e64 s[14:15], s7, v14
	v_cvt_f32_i32_e32 v16, v16
	v_cndmask_b32_e64 v13, v12, v48, s[12:13]
	v_cndmask_b32_e64 v14, v12, v31, s[14:15]
	v_max3_f32 v11, v11, v13, v14
	v_or_b32_e32 v13, 16, v10
	v_or_b32_e32 v14, 17, v10
	v_cmp_gt_i32_e64 s[16:17], s7, v13
	v_cmp_gt_i32_e64 s[18:19], s7, v14
	v_fmac_f32_e32 v39, v61, v16
	v_cndmask_b32_e64 v13, v12, v44, s[16:17]
	v_cndmask_b32_e64 v14, v12, v45, s[18:19]
	v_max3_f32 v11, v11, v13, v14
	v_or_b32_e32 v13, 18, v10
	v_or_b32_e32 v14, 19, v10
	v_cmp_gt_i32_e64 s[20:21], s7, v13
	v_cmp_gt_i32_e64 s[22:23], s7, v14
	v_cvt_f32_i32_e32 v15, v15
	v_cndmask_b32_e64 v13, v12, v40, s[20:21]
	v_cndmask_b32_e64 v14, v12, v41, s[22:23]
	v_max3_f32 v11, v11, v13, v14
	v_or_b32_e32 v13, 32, v10
	v_or_b32_e32 v14, 33, v10
	v_cmp_gt_i32_e64 s[24:25], s7, v13
	v_cmp_gt_i32_e64 s[26:27], s7, v14
	v_fma_f32 v34, v61, v15, v34
	v_cndmask_b32_e64 v13, v12, v42, s[24:25]
	v_cndmask_b32_e64 v14, v12, v43, s[26:27]
	v_max3_f32 v11, v11, v13, v14
	v_or_b32_e32 v13, 34, v10
	v_or_b32_e32 v14, 35, v10
	v_cmp_gt_i32_e64 s[28:29], s7, v13
	v_cmp_gt_i32_e64 s[30:31], s7, v14
	s_nop 0
	v_cndmask_b32_e64 v13, v12, v38, s[28:29]
	v_cndmask_b32_e64 v14, v12, v39, s[30:31]
	v_max3_f32 v11, v11, v13, v14
	v_or_b32_e32 v13, 48, v10
	v_or_b32_e32 v14, 49, v10
	v_cmp_gt_i32_e64 s[34:35], s7, v13
	v_cmp_gt_i32_e64 s[36:37], s7, v14
	s_nop 0
	v_cndmask_b32_e64 v13, v12, v36, s[34:35]
	v_cndmask_b32_e64 v14, v12, v37, s[36:37]
	v_max3_f32 v11, v11, v13, v14
	v_or_b32_e32 v13, 50, v10
	v_or_b32_e32 v10, 51, v10
	v_cmp_gt_i32_e32 vcc, s7, v13
	v_cmp_gt_i32_e64 s[4:5], s7, v10
	s_nop 0
	v_cndmask_b32_e32 v13, v12, v34, vcc
	v_cndmask_b32_e64 v10, v12, v35, s[4:5]
	v_max3_f32 v14, v11, v13, v10
	v_mbcnt_lo_u32_b32 v10, -1, 0
	v_mbcnt_hi_u32_b32 v15, -1, v10
	v_and_b32_e32 v10, 64, v15
	v_add_u32_e32 v16, 64, v10
	v_xor_b32_e32 v10, 32, v15
	v_cmp_lt_i32_e64 s[38:39], v10, v16
	s_nop 1
	v_cndmask_b32_e64 v10, v15, v10, s[38:39]
	v_lshlrev_b32_e32 v51, 2, v10
	ds_bpermute_b32 v17, v51, v14
	v_lshl_add_u64 v[10:11], s[46:47], 0, v[58:59]
	v_mad_i64_i32 v[12:13], s[38:39], v62, s45, v[10:11]
	s_waitcnt lgkmcnt(0)
	v_max_f32_e32 v17, v17, v17
	v_max_f32_e32 v19, v14, v17
	v_xor_b32_e32 v14, 16, v15
	v_cmp_lt_i32_e64 s[38:39], v14, v16
	s_nop 1
	v_cndmask_b32_e64 v14, v15, v14, s[38:39]
	v_lshlrev_b32_e32 v58, 2, v14
	ds_bpermute_b32 v20, v58, v19
	v_mad_i64_i32 v[14:15], s[38:39], v53, s45, v[10:11]
	v_mad_i64_i32 v[16:17], s[38:39], v64, s45, v[10:11]
	s_waitcnt lgkmcnt(0)
	v_max_f32_e32 v20, v20, v20
	v_max_f32_e32 v50, v19, v20
	v_sub_f32_e32 v18, v18, v50
	v_sub_f32_e32 v19, v33, v50
	v_mul_f32_e32 v18, 0x3fb8aa3b, v18
	v_mul_f32_e32 v19, 0x3fb8aa3b, v19
	v_exp_f32_e32 v18, v18
	v_exp_f32_e32 v19, v19
	v_sub_f32_e32 v49, v31, v50
	v_mad_i64_i32 v[10:11], s[38:39], v63, s45, v[10:11]
	v_cndmask_b32_e64 v46, 0, v18, s[8:9]
	v_cndmask_b32_e64 v47, 0, v19, s[10:11]
	global_load_dwordx4 v[30:33], v[12:13], off
	global_load_dwordx4 v[18:21], v[14:15], off
	v_sub_f32_e32 v12, v48, v50
	v_mul_f32_e32 v12, 0x3fb8aa3b, v12
	v_exp_f32_e32 v48, v12
	global_load_dwordx4 v[14:17], v[16:17], off
	s_nop 0
	global_load_dwordx4 v[10:13], v[10:11], off
	v_sub_f32_e32 v40, v40, v50
	v_sub_f32_e32 v42, v42, v50
	v_mul_f32_e32 v40, 0x3fb8aa3b, v40
	v_mul_f32_e32 v42, 0x3fb8aa3b, v42
	v_exp_f32_e32 v40, v40
	v_exp_f32_e32 v53, v42
	v_mul_f32_e32 v49, 0x3fb8aa3b, v49
	v_sub_f32_e32 v44, v44, v50
	v_exp_f32_e32 v49, v49
	v_mul_f32_e32 v44, 0x3fb8aa3b, v44
	v_sub_f32_e32 v45, v45, v50
	v_sub_f32_e32 v42, v43, v50
	v_exp_f32_e32 v44, v44
	v_mul_f32_e32 v45, 0x3fb8aa3b, v45
	v_mul_f32_e32 v42, 0x3fb8aa3b, v42
	v_exp_f32_e32 v45, v45
	v_sub_f32_e32 v41, v41, v50
	v_exp_f32_e32 v59, v42
	v_cndmask_b32_e64 v42, 0, v40, s[20:21]
	v_cndmask_b32_e64 v40, 0, v53, s[24:25]
	v_add_f32_e32 v53, 0, v46
	v_cndmask_b32_e64 v48, 0, v48, s[12:13]
	v_mul_f32_e32 v41, 0x3fb8aa3b, v41
	v_add_f32_e32 v53, v53, v47
	v_cndmask_b32_e64 v49, 0, v49, s[14:15]
	v_exp_f32_e32 v41, v41
	v_add_f32_e32 v53, v53, v48
	v_cndmask_b32_e64 v44, 0, v44, s[16:17]
	v_sub_f32_e32 v38, v38, v50
	v_add_f32_e32 v53, v53, v49
	v_cndmask_b32_e64 v45, 0, v45, s[18:19]
	v_sub_f32_e32 v39, v39, v50
	v_mul_f32_e32 v38, 0x3fb8aa3b, v38
	v_add_f32_e32 v53, v53, v44
	v_exp_f32_e32 v38, v38
	v_mul_f32_e32 v39, 0x3fb8aa3b, v39
	v_sub_f32_e32 v36, v36, v50
	v_add_f32_e32 v53, v53, v45
	v_cndmask_b32_e64 v43, 0, v41, s[22:23]
	v_exp_f32_e32 v39, v39
	v_mul_f32_e32 v36, 0x3fb8aa3b, v36
	v_sub_f32_e32 v37, v37, v50
	v_add_f32_e32 v53, v53, v42
	v_exp_f32_e32 v36, v36
	v_mul_f32_e32 v37, 0x3fb8aa3b, v37
	v_add_f32_e32 v53, v53, v43
	v_sub_f32_e32 v34, v34, v50
	v_cndmask_b32_e64 v41, 0, v59, s[26:27]
	v_exp_f32_e32 v37, v37
	v_add_f32_e32 v53, v53, v40
	v_mul_f32_e32 v34, 0x3fb8aa3b, v34
	v_sub_f32_e32 v35, v35, v50
	v_cndmask_b32_e64 v38, 0, v38, s[28:29]
	v_add_f32_e32 v53, v53, v41
	v_exp_f32_e32 v34, v34
	v_mul_f32_e32 v35, 0x3fb8aa3b, v35
	v_cndmask_b32_e64 v39, 0, v39, s[30:31]
	v_add_f32_e32 v53, v53, v38
	v_exp_f32_e32 v35, v35
	v_cndmask_b32_e64 v36, 0, v36, s[34:35]
	v_add_f32_e32 v53, v53, v39
	v_cndmask_b32_e64 v37, 0, v37, s[36:37]
	v_add_f32_e32 v53, v53, v36
	v_add_f32_e32 v53, v53, v37
	v_cndmask_b32_e32 v34, 0, v34, vcc
	v_add_f32_e32 v53, v53, v34
	v_cndmask_b32_e64 v35, 0, v35, s[4:5]
	v_add_f32_e32 v53, v53, v35
	ds_bpermute_b32 v51, v51, v53
	v_cmp_gt_u32_e32 vcc, 16, v55
	s_waitcnt lgkmcnt(0)
	s_barrier
	v_add_f32_e32 v51, v53, v51
	ds_bpermute_b32 v53, v58, v51
	s_and_saveexec_b64 s[4:5], vcc
	s_cbranch_execz .LBB1253_15
; %bb.14:
	s_waitcnt lgkmcnt(0)
	v_add_f32_e32 v51, v51, v53
	v_lshlrev_b32_e32 v52, 2, v52
	ds_write2st64_b32 v52, v50, v51 offset1:1
.LBB1253_15:
	s_or_b64 exec, exec, s[4:5]
	v_lshlrev_b32_e32 v51, 2, v56
	s_load_dword s7, s[0:1], 0x94
	s_waitcnt lgkmcnt(0)
	s_barrier
	ds_read2_b32 v[52:53], v51 offset1:16
	ds_read2_b32 v[58:59], v51 offset0:32 offset1:48
	ds_read2_b32 v[62:63], v51 offset0:64 offset1:80
	s_movk_i32 s9, 0x7fff
	s_mul_i32 s8, s44, 6
	s_waitcnt lgkmcnt(2)
	v_max3_f32 v50, v52, s40, v53
	s_waitcnt lgkmcnt(1)
	v_max3_f32 v50, v50, v58, v59
	v_sub_f32_e32 v52, v52, v50
	v_mul_f32_e32 v52, 0x3fb8aa3b, v52
	v_exp_f32_e32 v55, v52
	v_sub_f32_e32 v52, v53, v50
	v_mul_f32_e32 v52, 0x3fb8aa3b, v52
	v_exp_f32_e32 v61, v52
	;; [unrolled: 3-line block ×3, first 2 shown]
	ds_read2_b32 v[52:53], v51 offset0:96 offset1:112
	v_sub_f32_e32 v51, v59, v50
	v_mul_f32_e32 v51, 0x3fb8aa3b, v51
	v_exp_f32_e32 v59, v51
	s_waitcnt lgkmcnt(1)
	v_fma_f32 v51, v55, v62, 0
	v_fmac_f32_e32 v51, v61, v63
	s_waitcnt lgkmcnt(0)
	v_fmac_f32_e32 v51, v58, v52
	v_fmac_f32_e32 v51, v59, v53
	v_add_f32_e32 v52, 0x358637bd, v51
	v_div_scale_f32 v53, s[4:5], v52, v52, 1.0
	v_rcp_f32_e32 v62, v53
	s_barrier
	v_fma_f32 v63, -v53, v62, 1.0
	v_fmac_f32_e32 v62, v63, v62
	v_div_scale_f32 v63, vcc, 1.0, v52, 1.0
	v_mul_f32_e32 v64, v63, v62
	v_fma_f32 v65, -v53, v64, v63
	v_fmac_f32_e32 v64, v65, v62
	v_fma_f32 v53, -v53, v64, v63
	v_div_fmas_f32 v53, v53, v62, v64
	v_cmp_eq_u32_e32 vcc, 1, v57
	v_div_fixup_f32 v52, v53, v52, 1.0
	s_nop 0
	v_cndmask_b32_e32 v53, v55, v61, vcc
	v_cmp_eq_u32_e32 vcc, 2, v57
	s_nop 1
	v_cndmask_b32_e32 v53, v53, v58, vcc
	v_cmp_eq_u32_e32 vcc, 3, v57
	s_nop 1
	v_cndmask_b32_e32 v53, v53, v59, vcc
	v_mul_f32_e32 v52, v53, v52
	v_pk_mul_f32 v[46:47], v[52:53], v[46:47] op_sel_hi:[0,1]
	v_pk_mul_f32 v[48:49], v[52:53], v[48:49] op_sel_hi:[0,1]
	v_bfe_u32 v53, v47, 16, 1
	v_bfe_u32 v55, v46, 16, 1
	v_add3_u32 v46, v46, v55, s9
	v_add3_u32 v47, v47, v53, s9
	v_perm_b32 v58, v47, v46, s33
	v_bfe_u32 v46, v49, 16, 1
	v_bfe_u32 v47, v48, 16, 1
	v_add3_u32 v47, v48, v47, s9
	v_add3_u32 v46, v49, v46, s9
	v_perm_b32 v59, v46, v47, s33
	v_lshlrev_b32_e32 v47, 3, v60
	v_lshlrev_b32_e32 v46, 5, v56
	;; [unrolled: 1-line block ×3, first 2 shown]
	v_pk_mul_f32 v[44:45], v[52:53], v[44:45] op_sel_hi:[0,1]
	v_or3_b32 v55, v48, v46, v47
	v_bfe_u32 v47, v45, 16, 1
	v_bfe_u32 v48, v44, 16, 1
	v_pk_mul_f32 v[42:43], v[52:53], v[42:43] op_sel_hi:[0,1]
	v_add3_u32 v44, v44, v48, s9
	v_add3_u32 v45, v45, v47, s9
	v_perm_b32 v44, v45, v44, s33
	v_bfe_u32 v45, v43, 16, 1
	v_bfe_u32 v47, v42, 16, 1
	v_add3_u32 v42, v42, v47, s9
	v_add3_u32 v43, v43, v45, s9
	v_pk_mul_f32 v[40:41], v[52:53], v[40:41] op_sel_hi:[0,1]
	v_perm_b32 v45, v43, v42, s33
	v_bfe_u32 v42, v41, 16, 1
	v_bfe_u32 v43, v40, 16, 1
	v_pk_mul_f32 v[38:39], v[52:53], v[38:39] op_sel_hi:[0,1]
	v_add3_u32 v40, v40, v43, s9
	v_add3_u32 v41, v41, v42, s9
	v_perm_b32 v40, v41, v40, s33
	v_bfe_u32 v41, v39, 16, 1
	v_bfe_u32 v42, v38, 16, 1
	v_add3_u32 v38, v38, v42, s9
	v_add3_u32 v39, v39, v41, s9
	v_pk_mul_f32 v[36:37], v[52:53], v[36:37] op_sel_hi:[0,1]
	v_perm_b32 v41, v39, v38, s33
	v_bfe_u32 v38, v37, 16, 1
	v_bfe_u32 v39, v36, 16, 1
	v_pk_mul_f32 v[34:35], v[52:53], v[34:35] op_sel_hi:[0,1]
	v_add3_u32 v36, v36, v39, s9
	v_add3_u32 v37, v37, v38, s9
	v_perm_b32 v36, v37, v36, s33
	v_bfe_u32 v37, v35, 16, 1
	v_bfe_u32 v38, v34, 16, 1
	v_add3_u32 v34, v34, v38, s9
	v_add3_u32 v35, v35, v37, s9
	v_perm_b32 v37, v35, v34, s33
	v_cmp_gt_u32_e32 vcc, 6, v0
	ds_write2st64_b64 v55, v[58:59], v[44:45] offset1:1
	ds_write2st64_b64 v55, v[40:41], v[36:37] offset0:2 offset1:3
	s_and_saveexec_b64 s[4:5], vcc
	s_cbranch_execz .LBB1253_17
; %bb.16:
	s_mov_b32 s49, 0
	v_mov_b32_e32 v57, 0
	v_lshl_add_u64 v[34:35], s[48:49], 0, v[56:57]
	v_mov_b32_e32 v36, s8
	v_mad_u64_u32 v[34:35], s[10:11], s2, v36, v[34:35]
	s_mul_i32 s3, s3, s8
	v_mov_b32_e32 v36, s6
	v_mov_b32_e32 v37, v57
	s_load_dwordx4 s[12:15], s[0:1], 0x58
	v_add_u32_e32 v38, s3, v35
	v_mad_u64_u32 v[34:35], s[10:11], v34, s7, v[36:37]
	v_mov_b32_e32 v36, v35
	v_mad_u64_u32 v[36:37], s[10:11], v38, s7, v[36:37]
	v_mov_b32_e32 v35, v36
	v_lshlrev_b64 v[34:35], 2, v[34:35]
	s_waitcnt lgkmcnt(0)
	v_lshl_add_u64 v[36:37], s[14:15], 0, v[34:35]
	v_lshl_add_u64 v[34:35], s[12:13], 0, v[34:35]
	global_store_dword v[36:37], v50, off
	global_store_dword v[34:35], v51, off
.LBB1253_17:
	s_or_b64 exec, exec, s[4:5]
	s_waitcnt vmcnt(7)
	v_cvt_pk_f32_fp8_e32 v[34:35], v6
	v_cvt_pk_f32_fp8_sdwa v[36:37], v6 src0_sel:WORD_1
	v_lshl_or_b32 v50, v60, 9, v46
	s_mov_b32 s5, 0x7060302
	s_waitcnt lgkmcnt(0)
	s_barrier
	v_cvt_pk_f32_fp8_e32 v[38:39], v7
	v_perm_b32 v6, v35, v34, s5
	v_cvt_pk_f32_fp8_sdwa v[40:41], v7 src0_sel:WORD_1
	v_perm_b32 v7, v37, v36, s5
	ds_read_b128 v[34:37], v50
	v_perm_b32 v46, v39, v38, s5
	v_perm_b32 v47, v41, v40, s5
	ds_read_b128 v[38:41], v50 offset:16
	v_cvt_pk_f32_fp8_e32 v[48:49], v8
	v_cvt_pk_f32_fp8_sdwa v[52:53], v8 src0_sel:WORD_1
	s_waitcnt lgkmcnt(1)
	v_mfma_f32_16x16x16_bf16 v[42:45], v[6:7], v[34:35], 0
	s_waitcnt vmcnt(6)
	v_cvt_pk_f32_fp8_e32 v[58:59], v4
	v_perm_b32 v6, v49, v48, s5
	v_perm_b32 v7, v53, v52, s5
	v_cvt_pk_f32_fp8_e32 v[48:49], v9
	v_mfma_f32_16x16x16_bf16 v[42:45], v[46:47], v[36:37], v[42:45]
	v_cvt_pk_f32_fp8_sdwa v[46:47], v9 src0_sel:WORD_1
	v_cvt_pk_f32_fp8_sdwa v[62:63], v4 src0_sel:WORD_1
	v_perm_b32 v48, v49, v48, s5
	s_waitcnt lgkmcnt(0)
	v_mfma_f32_16x16x16_bf16 v[6:9], v[6:7], v[38:39], v[42:45]
	v_perm_b32 v49, v47, v46, s5
	s_waitcnt vmcnt(5)
	v_cvt_pk_f32_fp8_sdwa v[66:67], v28 src0_sel:WORD_1
	s_waitcnt vmcnt(4)
	v_cvt_pk_f32_fp8_sdwa v[68:69], v24 src0_sel:WORD_1
	v_cvt_pk_f32_fp8_e32 v[42:43], v2
	v_mfma_f32_16x16x16_bf16 v[46:49], v[48:49], v[40:41], v[6:9]
	s_load_dword s4, s[42:43], 0x0
	s_waitcnt vmcnt(3)
	v_cvt_pk_f32_fp8_sdwa v[70:71], v32 src0_sel:WORD_1
	v_cvt_pk_f32_fp8_sdwa v[6:7], v2 src0_sel:WORD_1
	v_cvt_pk_f32_fp8_e32 v[8:9], v3
	v_perm_b32 v2, v43, v42, s5
	v_cvt_pk_f32_fp8_sdwa v[42:43], v3 src0_sel:WORD_1
	v_perm_b32 v3, v7, v6, s5
	v_perm_b32 v52, v9, v8, s5
	ds_read_b128 v[6:9], v50 offset:2048
	v_perm_b32 v53, v43, v42, s5
	ds_read_b128 v[42:45], v50 offset:2064
	s_waitcnt lgkmcnt(0)
	v_mfma_f32_16x16x16_bf16 v[46:49], v[2:3], v[6:7], v[46:49]
	v_perm_b32 v2, v59, v58, s5
	v_perm_b32 v3, v63, v62, s5
	v_cvt_pk_f32_fp8_e32 v[58:59], v5
	v_mfma_f32_16x16x16_bf16 v[46:49], v[52:53], v[8:9], v[46:49]
	v_cvt_pk_f32_fp8_sdwa v[52:53], v5 src0_sel:WORD_1
	s_mov_b32 s3, 0
	v_perm_b32 v58, v59, v58, s5
	v_mfma_f32_16x16x16_bf16 v[2:5], v[2:3], v[42:43], v[46:49]
	v_perm_b32 v59, v53, v52, s5
	v_cmp_gt_u32_e32 vcc, 64, v0
	s_nop 0
	v_cvt_pk_f32_fp8_e32 v[46:47], v26
	v_mfma_f32_16x16x16_bf16 v[62:65], v[58:59], v[44:45], v[2:5]
	v_cvt_pk_f32_fp8_e32 v[58:59], v28
	s_nop 1
	v_cvt_pk_f32_fp8_sdwa v[2:3], v26 src0_sel:WORD_1
	v_cvt_pk_f32_fp8_e32 v[4:5], v27
	v_perm_b32 v26, v47, v46, s5
	v_cvt_pk_f32_fp8_sdwa v[46:47], v27 src0_sel:WORD_1
	v_perm_b32 v27, v3, v2, s5
	v_perm_b32 v52, v5, v4, s5
	ds_read_b128 v[2:5], v50 offset:4096
	v_perm_b32 v53, v47, v46, s5
	ds_read_b128 v[46:49], v50 offset:4112
	s_waitcnt lgkmcnt(1)
	v_mfma_f32_16x16x16_bf16 v[62:65], v[26:27], v[2:3], v[62:65]
	v_perm_b32 v26, v59, v58, s5
	v_perm_b32 v27, v67, v66, s5
	v_cvt_pk_f32_fp8_e32 v[58:59], v29
	v_mfma_f32_16x16x16_bf16 v[62:65], v[52:53], v[4:5], v[62:65]
	v_cvt_pk_f32_fp8_sdwa v[52:53], v29 src0_sel:WORD_1
	v_cvt_pk_f32_fp8_e32 v[66:67], v24
	v_perm_b32 v58, v59, v58, s5
	s_waitcnt lgkmcnt(0)
	v_mfma_f32_16x16x16_bf16 v[26:29], v[26:27], v[46:47], v[62:65]
	v_perm_b32 v59, v53, v52, s5
	v_cvt_pk_f32_fp8_e32 v[52:53], v22
	s_nop 0
	v_mfma_f32_16x16x16_bf16 v[62:65], v[58:59], v[48:49], v[26:29]
	s_nop 2
	v_cvt_pk_f32_fp8_sdwa v[26:27], v22 src0_sel:WORD_1
	v_cvt_pk_f32_fp8_e32 v[28:29], v23
	v_perm_b32 v22, v53, v52, s5
	v_cvt_pk_f32_fp8_sdwa v[52:53], v23 src0_sel:WORD_1
	v_perm_b32 v23, v27, v26, s5
	v_perm_b32 v58, v29, v28, s5
	ds_read_b128 v[26:29], v50 offset:6144
	v_perm_b32 v59, v53, v52, s5
	s_waitcnt lgkmcnt(0)
	v_mfma_f32_16x16x16_bf16 v[62:65], v[22:23], v[26:27], v[62:65]
	ds_read_b128 v[50:53], v50 offset:6160
	v_perm_b32 v22, v67, v66, s5
	v_perm_b32 v23, v69, v68, s5
	v_cvt_pk_f32_fp8_e32 v[66:67], v25
	v_mfma_f32_16x16x16_bf16 v[62:65], v[58:59], v[28:29], v[62:65]
	v_cvt_pk_f32_fp8_sdwa v[58:59], v25 src0_sel:WORD_1
	v_cvt_pk_f32_fp8_e32 v[68:69], v32
	v_perm_b32 v66, v67, v66, s5
	s_waitcnt lgkmcnt(0)
	v_mfma_f32_16x16x16_bf16 v[22:25], v[22:23], v[50:51], v[62:65]
	v_perm_b32 v67, v59, v58, s5
	v_cvt_pk_f32_fp8_sdwa v[58:59], v30 src0_sel:WORD_1
	s_nop 0
	v_mfma_f32_16x16x16_bf16 v[62:65], v[66:67], v[52:53], v[22:25]
	s_barrier
	s_nop 1
	v_cvt_pk_f32_fp8_e32 v[24:25], v30
	s_nop 2
	v_pk_mul_f32 v[66:67], v[62:63], s[4:5] op_sel_hi:[1,0]
	v_cvt_pk_f32_fp8_e32 v[62:63], v31
	v_perm_b32 v24, v25, v24, s5
	v_perm_b32 v25, v59, v58, s5
	v_cvt_pk_f32_fp8_sdwa v[30:31], v31 src0_sel:WORD_1
	v_perm_b32 v58, v63, v62, s5
	v_pk_mul_f32 v[22:23], v[64:65], s[4:5] op_sel_hi:[1,0]
	v_mfma_f32_16x16x16_bf16 v[62:65], v[24:25], v[34:35], 0
	v_perm_b32 v59, v31, v30, s5
	v_perm_b32 v24, v69, v68, s5
	;; [unrolled: 1-line block ×3, first 2 shown]
	v_cvt_pk_f32_fp8_e32 v[34:35], v33
	v_cvt_pk_f32_fp8_sdwa v[68:69], v33 src0_sel:WORD_1
	v_mfma_f32_16x16x16_bf16 v[30:33], v[58:59], v[36:37], v[62:65]
	s_waitcnt vmcnt(2)
	v_cvt_pk_f32_fp8_sdwa v[36:37], v18 src0_sel:WORD_1
	v_perm_b32 v34, v35, v34, s5
	v_perm_b32 v35, v69, v68, s5
	v_mfma_f32_16x16x16_bf16 v[30:33], v[24:25], v[38:39], v[30:33]
	v_cvt_pk_f32_fp8_e32 v[24:25], v18
	v_cvt_pk_f32_fp8_sdwa v[38:39], v20 src0_sel:WORD_1
	v_bfe_u32 v57, v67, 16, 1
	v_mfma_f32_16x16x16_bf16 v[30:33], v[34:35], v[40:41], v[30:33]
	v_cvt_pk_f32_fp8_e32 v[34:35], v19
	v_perm_b32 v24, v25, v24, s5
	v_perm_b32 v25, v37, v36, s5
	v_cvt_pk_f32_fp8_sdwa v[18:19], v19 src0_sel:WORD_1
	v_perm_b32 v34, v35, v34, s5
	v_cvt_pk_f32_fp8_e32 v[36:37], v20
	v_mfma_f32_16x16x16_bf16 v[30:33], v[24:25], v[6:7], v[30:33]
	v_perm_b32 v35, v19, v18, s5
	v_perm_b32 v18, v37, v36, s5
	;; [unrolled: 1-line block ×3, first 2 shown]
	v_cvt_pk_f32_fp8_e32 v[24:25], v21
	v_cvt_pk_f32_fp8_sdwa v[20:21], v21 src0_sel:WORD_1
	v_mfma_f32_16x16x16_bf16 v[6:9], v[34:35], v[8:9], v[30:33]
	v_bfe_u32 v58, v66, 16, 1
	v_perm_b32 v24, v25, v24, s5
	v_perm_b32 v25, v21, v20, s5
	v_mfma_f32_16x16x16_bf16 v[6:9], v[18:19], v[42:43], v[6:9]
	s_waitcnt vmcnt(1)
	v_cvt_pk_f32_fp8_e32 v[18:19], v14
	v_cvt_pk_f32_fp8_sdwa v[20:21], v14 src0_sel:WORD_1
	v_cvt_pk_f32_fp8_sdwa v[30:31], v16 src0_sel:WORD_1
	v_mfma_f32_16x16x16_bf16 v[6:9], v[24:25], v[44:45], v[6:9]
	v_cvt_pk_f32_fp8_e32 v[24:25], v15
	v_perm_b32 v18, v19, v18, s5
	v_perm_b32 v19, v21, v20, s5
	v_cvt_pk_f32_fp8_sdwa v[14:15], v15 src0_sel:WORD_1
	v_perm_b32 v20, v25, v24, s5
	v_cvt_pk_f32_fp8_e32 v[24:25], v16
	v_mfma_f32_16x16x16_bf16 v[6:9], v[18:19], v[2:3], v[6:9]
	v_perm_b32 v21, v15, v14, s5
	v_perm_b32 v14, v25, v24, s5
	;; [unrolled: 1-line block ×3, first 2 shown]
	v_cvt_pk_f32_fp8_e32 v[18:19], v17
	v_cvt_pk_f32_fp8_sdwa v[16:17], v17 src0_sel:WORD_1
	v_mfma_f32_16x16x16_bf16 v[2:5], v[20:21], v[4:5], v[6:9]
	v_add3_u32 v32, v66, v58, s9
	v_add3_u32 v33, v67, v57, s9
	s_nop 0
	v_perm_b32 v8, v19, v18, s5
	v_perm_b32 v9, v17, v16, s5
	v_mfma_f32_16x16x16_bf16 v[2:5], v[14:15], v[46:47], v[2:5]
	s_waitcnt vmcnt(0)
	v_cvt_pk_f32_fp8_e32 v[14:15], v10
	v_cvt_pk_f32_fp8_sdwa v[16:17], v10 src0_sel:WORD_1
	v_cvt_pk_f32_fp8_sdwa v[18:19], v12 src0_sel:WORD_1
	v_mfma_f32_16x16x16_bf16 v[2:5], v[8:9], v[48:49], v[2:5]
	v_cvt_pk_f32_fp8_e32 v[8:9], v11
	v_perm_b32 v14, v15, v14, s5
	v_perm_b32 v15, v17, v16, s5
	v_cvt_pk_f32_fp8_sdwa v[10:11], v11 src0_sel:WORD_1
	v_perm_b32 v8, v9, v8, s5
	v_cvt_pk_f32_fp8_e32 v[16:17], v12
	v_mfma_f32_16x16x16_bf16 v[2:5], v[14:15], v[26:27], v[2:5]
	v_perm_b32 v9, v11, v10, s5
	v_perm_b32 v10, v17, v16, s5
	;; [unrolled: 1-line block ×3, first 2 shown]
	v_cvt_pk_f32_fp8_e32 v[14:15], v13
	v_cvt_pk_f32_fp8_sdwa v[12:13], v13 src0_sel:WORD_1
	v_mfma_f32_16x16x16_bf16 v[2:5], v[8:9], v[28:29], v[2:5]
	v_bfe_u32 v7, v23, 16, 1
	v_perm_b32 v8, v15, v14, s5
	v_perm_b32 v9, v13, v12, s5
	v_mfma_f32_16x16x16_bf16 v[2:5], v[10:11], v[50:51], v[2:5]
	v_bfe_u32 v16, v22, 16, 1
	v_add3_u32 v10, v22, v16, s9
	v_add3_u32 v7, v23, v7, s9
	v_mfma_f32_16x16x16_bf16 v[2:5], v[8:9], v[52:53], v[2:5]
	v_perm_b32 v6, v33, v32, s5
	v_perm_b32 v7, v7, v10, s5
	s_nop 4
	v_pk_mul_f32 v[2:3], v[2:3], s[4:5] op_sel_hi:[1,0]
	v_pk_mul_f32 v[4:5], v[4:5], s[4:5] op_sel_hi:[1,0]
	v_bfe_u32 v8, v3, 16, 1
	v_bfe_u32 v9, v2, 16, 1
	v_add3_u32 v2, v2, v9, s9
	v_add3_u32 v3, v3, v8, s9
	v_perm_b32 v2, v3, v2, s5
	v_bfe_u32 v3, v5, 16, 1
	v_bfe_u32 v8, v4, 16, 1
	v_add3_u32 v4, v4, v8, s9
	v_add3_u32 v3, v5, v3, s9
	v_perm_b32 v3, v3, v4, s5
	ds_write2st64_b64 v55, v[6:7], v[2:3] offset1:1
	s_waitcnt lgkmcnt(0)
	s_barrier
	s_and_saveexec_b64 s[4:5], vcc
	s_cbranch_execz .LBB1253_20
; %bb.18:
	s_load_dwordx2 s[4:5], s[0:1], 0x68
	s_lshl_b32 s0, s7, 7
	s_mul_i32 s1, s8, s2
	v_lshlrev_b32_e32 v4, 6, v56
	s_mul_hi_u32 s9, s1, s0
	s_mul_i32 s8, s1, s0
	v_lshl_or_b32 v0, v0, 10, v4
	s_lshl_b64 s[8:9], s[8:9], 1
	v_lshlrev_b32_e32 v3, 5, v60
	v_and_b32_e32 v1, 16, v1
	v_and_b32_e32 v0, 0x1a00, v0
	s_waitcnt lgkmcnt(0)
	s_add_u32 s1, s4, s8
	v_or3_b32 v3, v0, v3, v1
	s_addc_u32 s4, s5, s9
	s_lshl_b32 s2, s6, 7
	s_lshl_b64 s[2:3], s[2:3], 1
	ds_read_b128 v[4:7], v3
	s_add_u32 s2, s1, s2
	s_addc_u32 s3, s4, s3
	v_mov_b32_e32 v55, 0
	v_add_u32_e32 v8, s48, v60
	v_or_b32_e32 v2, 4, v60
	v_lshl_add_u64 v[0:1], s[2:3], 0, v[54:55]
	v_mad_u64_u32 v[8:9], s[2:3], v8, s0, 0
	v_lshl_add_u64 v[8:9], v[8:9], 1, v[0:1]
	v_cmp_gt_u32_e32 vcc, 6, v2
	s_waitcnt lgkmcnt(0)
	global_store_dwordx4 v[8:9], v[4:7], off
	s_and_b64 exec, exec, vcc
	s_cbranch_execz .LBB1253_20
; %bb.19:
	ds_read_b128 v[4:7], v3 offset:128
	v_add_u32_e32 v2, s48, v2
	v_mad_u64_u32 v[2:3], s[0:1], v2, s0, 0
	v_lshl_add_u64 v[0:1], v[2:3], 1, v[0:1]
	s_waitcnt lgkmcnt(0)
	global_store_dwordx4 v[0:1], v[4:7], off
.LBB1253_20:
	s_endpgm
	.section	.rodata,"a",@progbits
	.p2align	6, 0x0
	.amdhsa_kernel _Z39paged_attention_ll4mi_QKV_mfma16_kernelI14__hip_bfloat16hLN4vllm18Fp8KVCacheDataTypeE1EhLi16ELi128ELi256ELb1ELi6EEvPKT_PKT0_S8_ifPKiSA_SA_iPKfiiiPfSD_PS3_PT2_iSC_SC_
		.amdhsa_group_segment_fixed_size 8192
		.amdhsa_private_segment_fixed_size 0
		.amdhsa_kernarg_size 400
		.amdhsa_user_sgpr_count 2
		.amdhsa_user_sgpr_dispatch_ptr 0
		.amdhsa_user_sgpr_queue_ptr 0
		.amdhsa_user_sgpr_kernarg_segment_ptr 1
		.amdhsa_user_sgpr_dispatch_id 0
		.amdhsa_user_sgpr_kernarg_preload_length 0
		.amdhsa_user_sgpr_kernarg_preload_offset 0
		.amdhsa_user_sgpr_private_segment_size 0
		.amdhsa_uses_dynamic_stack 0
		.amdhsa_enable_private_segment 0
		.amdhsa_system_sgpr_workgroup_id_x 1
		.amdhsa_system_sgpr_workgroup_id_y 1
		.amdhsa_system_sgpr_workgroup_id_z 1
		.amdhsa_system_sgpr_workgroup_info 0
		.amdhsa_system_vgpr_workitem_id 0
		.amdhsa_next_free_vgpr 76
		.amdhsa_next_free_sgpr 50
		.amdhsa_accum_offset 76
		.amdhsa_reserve_vcc 1
		.amdhsa_float_round_mode_32 0
		.amdhsa_float_round_mode_16_64 0
		.amdhsa_float_denorm_mode_32 3
		.amdhsa_float_denorm_mode_16_64 3
		.amdhsa_dx10_clamp 1
		.amdhsa_ieee_mode 1
		.amdhsa_fp16_overflow 0
		.amdhsa_tg_split 0
		.amdhsa_exception_fp_ieee_invalid_op 0
		.amdhsa_exception_fp_denorm_src 0
		.amdhsa_exception_fp_ieee_div_zero 0
		.amdhsa_exception_fp_ieee_overflow 0
		.amdhsa_exception_fp_ieee_underflow 0
		.amdhsa_exception_fp_ieee_inexact 0
		.amdhsa_exception_int_div_zero 0
	.end_amdhsa_kernel
	.section	.text._Z39paged_attention_ll4mi_QKV_mfma16_kernelI14__hip_bfloat16hLN4vllm18Fp8KVCacheDataTypeE1EhLi16ELi128ELi256ELb1ELi6EEvPKT_PKT0_S8_ifPKiSA_SA_iPKfiiiPfSD_PS3_PT2_iSC_SC_,"axG",@progbits,_Z39paged_attention_ll4mi_QKV_mfma16_kernelI14__hip_bfloat16hLN4vllm18Fp8KVCacheDataTypeE1EhLi16ELi128ELi256ELb1ELi6EEvPKT_PKT0_S8_ifPKiSA_SA_iPKfiiiPfSD_PS3_PT2_iSC_SC_,comdat
.Lfunc_end1253:
	.size	_Z39paged_attention_ll4mi_QKV_mfma16_kernelI14__hip_bfloat16hLN4vllm18Fp8KVCacheDataTypeE1EhLi16ELi128ELi256ELb1ELi6EEvPKT_PKT0_S8_ifPKiSA_SA_iPKfiiiPfSD_PS3_PT2_iSC_SC_, .Lfunc_end1253-_Z39paged_attention_ll4mi_QKV_mfma16_kernelI14__hip_bfloat16hLN4vllm18Fp8KVCacheDataTypeE1EhLi16ELi128ELi256ELb1ELi6EEvPKT_PKT0_S8_ifPKiSA_SA_iPKfiiiPfSD_PS3_PT2_iSC_SC_
                                        ; -- End function
	.section	.AMDGPU.csdata,"",@progbits
; Kernel info:
; codeLenInByte = 6600
; NumSgprs: 56
; NumVgprs: 76
; NumAgprs: 0
; TotalNumVgprs: 76
; ScratchSize: 0
; MemoryBound: 0
; FloatMode: 240
; IeeeMode: 1
; LDSByteSize: 8192 bytes/workgroup (compile time only)
; SGPRBlocks: 6
; VGPRBlocks: 9
; NumSGPRsForWavesPerEU: 56
; NumVGPRsForWavesPerEU: 76
; AccumOffset: 76
; Occupancy: 6
; WaveLimiterHint : 1
; COMPUTE_PGM_RSRC2:SCRATCH_EN: 0
; COMPUTE_PGM_RSRC2:USER_SGPR: 2
; COMPUTE_PGM_RSRC2:TRAP_HANDLER: 0
; COMPUTE_PGM_RSRC2:TGID_X_EN: 1
; COMPUTE_PGM_RSRC2:TGID_Y_EN: 1
; COMPUTE_PGM_RSRC2:TGID_Z_EN: 1
; COMPUTE_PGM_RSRC2:TIDIG_COMP_CNT: 0
; COMPUTE_PGM_RSRC3_GFX90A:ACCUM_OFFSET: 18
; COMPUTE_PGM_RSRC3_GFX90A:TG_SPLIT: 0
	.section	.text._Z39paged_attention_ll4mi_QKV_mfma16_kernelI14__hip_bfloat16hLN4vllm18Fp8KVCacheDataTypeE1EhLi16ELi128ELi256ELb1ELi7EEvPKT_PKT0_S8_ifPKiSA_SA_iPKfiiiPfSD_PS3_PT2_iSC_SC_,"axG",@progbits,_Z39paged_attention_ll4mi_QKV_mfma16_kernelI14__hip_bfloat16hLN4vllm18Fp8KVCacheDataTypeE1EhLi16ELi128ELi256ELb1ELi7EEvPKT_PKT0_S8_ifPKiSA_SA_iPKfiiiPfSD_PS3_PT2_iSC_SC_,comdat
	.protected	_Z39paged_attention_ll4mi_QKV_mfma16_kernelI14__hip_bfloat16hLN4vllm18Fp8KVCacheDataTypeE1EhLi16ELi128ELi256ELb1ELi7EEvPKT_PKT0_S8_ifPKiSA_SA_iPKfiiiPfSD_PS3_PT2_iSC_SC_ ; -- Begin function _Z39paged_attention_ll4mi_QKV_mfma16_kernelI14__hip_bfloat16hLN4vllm18Fp8KVCacheDataTypeE1EhLi16ELi128ELi256ELb1ELi7EEvPKT_PKT0_S8_ifPKiSA_SA_iPKfiiiPfSD_PS3_PT2_iSC_SC_
	.globl	_Z39paged_attention_ll4mi_QKV_mfma16_kernelI14__hip_bfloat16hLN4vllm18Fp8KVCacheDataTypeE1EhLi16ELi128ELi256ELb1ELi7EEvPKT_PKT0_S8_ifPKiSA_SA_iPKfiiiPfSD_PS3_PT2_iSC_SC_
	.p2align	8
	.type	_Z39paged_attention_ll4mi_QKV_mfma16_kernelI14__hip_bfloat16hLN4vllm18Fp8KVCacheDataTypeE1EhLi16ELi128ELi256ELb1ELi7EEvPKT_PKT0_S8_ifPKiSA_SA_iPKfiiiPfSD_PS3_PT2_iSC_SC_,@function
_Z39paged_attention_ll4mi_QKV_mfma16_kernelI14__hip_bfloat16hLN4vllm18Fp8KVCacheDataTypeE1EhLi16ELi128ELi256ELb1ELi7EEvPKT_PKT0_S8_ifPKiSA_SA_iPKfiiiPfSD_PS3_PT2_iSC_SC_: ; @_Z39paged_attention_ll4mi_QKV_mfma16_kernelI14__hip_bfloat16hLN4vllm18Fp8KVCacheDataTypeE1EhLi16ELi128ELi256ELb1ELi7EEvPKT_PKT0_S8_ifPKiSA_SA_iPKfiiiPfSD_PS3_PT2_iSC_SC_
; %bb.0:
	s_load_dwordx2 s[10:11], s[0:1], 0x30
	s_mov_b32 s6, s3
	s_mov_b64 s[8:9], 0
	s_waitcnt lgkmcnt(0)
	s_cmp_lg_u64 s[10:11], 0
	s_cselect_b64 s[12:13], -1, 0
	s_and_b64 vcc, exec, s[12:13]
	s_cbranch_vccz .LBB1254_7
; %bb.1:
	s_add_i32 s14, s2, 1
	s_mov_b32 s15, 0
	s_lshl_b64 s[16:17], s[14:15], 2
	s_add_u32 s16, s10, s16
	s_mov_b32 s3, s15
	s_addc_u32 s17, s11, s17
	s_lshl_b64 s[14:15], s[2:3], 2
	s_add_u32 s14, s10, s14
	s_addc_u32 s15, s11, s15
	s_load_dword s5, s[16:17], 0x0
	s_load_dword s7, s[14:15], 0x0
	s_waitcnt lgkmcnt(0)
	s_sub_i32 s5, s5, s7
	s_cmp_eq_u32 s5, 1
	s_cselect_b64 s[14:15], -1, 0
	s_andn2_b64 vcc, exec, s[8:9]
	s_cbranch_vccnz .LBB1254_3
.LBB1254_2:
	s_mov_b32 s3, 0
	s_mov_b64 s[14:15], -1
.LBB1254_3:
	s_andn2_b64 vcc, exec, s[14:15]
	s_cbranch_vccnz .LBB1254_20
; %bb.4:
	s_load_dwordx2 s[8:9], s[0:1], 0x28
	s_lshl_b64 s[16:17], s[2:3], 2
	s_waitcnt lgkmcnt(0)
	s_add_u32 s8, s8, s16
	s_addc_u32 s9, s9, s17
	s_load_dword s7, s[8:9], 0x0
	s_lshl_b32 s18, s6, 8
	s_waitcnt lgkmcnt(0)
	s_cmp_ge_i32 s18, s7
	s_cbranch_scc1 .LBB1254_20
; %bb.5:
	s_load_dwordx2 s[8:9], s[0:1], 0x20
	s_load_dword s5, s[0:1], 0x38
	s_add_i32 s14, s7, 15
	s_ashr_i32 s15, s14, 31
	v_and_b32_e32 v1, 0xcf, v0
	s_lshr_b32 s15, s15, 28
	v_add_u32_e32 v1, s18, v1
	s_add_i32 s14, s14, s15
	v_ashrrev_i32_e32 v2, 31, v1
	s_ashr_i32 s19, s14, 4
	v_lshrrev_b32_e32 v4, 28, v2
	s_add_i32 s19, s19, -1
	s_waitcnt lgkmcnt(0)
	s_mul_i32 s14, s2, s5
	s_mov_b32 s15, 0
	v_add_u32_e32 v2, v1, v4
	s_lshl_b64 s[14:15], s[14:15], 2
	v_ashrrev_i32_e32 v2, 4, v2
	v_mov_b32_e32 v5, s19
	v_cmp_gt_i32_e32 vcc, s7, v1
	s_add_u32 s8, s8, s14
	s_addc_u32 s9, s9, s15
	v_cndmask_b32_e32 v2, v5, v2, vcc
	v_ashrrev_i32_e32 v3, 31, v2
	v_lshl_add_u64 v[6:7], v[2:3], 2, s[8:9]
	v_or_b32_e32 v2, 16, v1
	v_add_u32_e32 v3, v2, v4
	v_ashrrev_i32_e32 v3, 4, v3
	v_cmp_gt_i32_e32 vcc, s7, v2
	s_load_dwordx2 s[14:15], s[0:1], 0x8
	s_nop 0
	v_cndmask_b32_e32 v2, v5, v3, vcc
	v_ashrrev_i32_e32 v3, 31, v2
	v_lshl_add_u64 v[8:9], v[2:3], 2, s[8:9]
	v_or_b32_e32 v2, 32, v1
	v_add_u32_e32 v3, v2, v4
	v_ashrrev_i32_e32 v3, 4, v3
	v_cmp_gt_i32_e32 vcc, s7, v2
	v_or_b32_e32 v1, 48, v1
	s_nop 0
	v_cndmask_b32_e32 v2, v5, v3, vcc
	v_ashrrev_i32_e32 v3, 31, v2
	v_lshl_add_u64 v[12:13], v[2:3], 2, s[8:9]
	v_add_u32_e32 v2, v1, v4
	v_ashrrev_i32_e32 v2, 4, v2
	v_cmp_gt_i32_e32 vcc, s7, v1
	s_nop 1
	v_cndmask_b32_e32 v2, v5, v2, vcc
	v_ashrrev_i32_e32 v3, 31, v2
	v_lshl_add_u64 v[14:15], v[2:3], 2, s[8:9]
	global_load_dword v4, v[6:7], off
	global_load_dword v3, v[8:9], off
	global_load_dword v2, v[12:13], off
	global_load_dword v10, v[14:15], off
	s_andn2_b64 vcc, exec, s[12:13]
	s_cbranch_vccnz .LBB1254_8
; %bb.6:
	s_add_u32 s10, s10, s16
	s_addc_u32 s11, s11, s17
	s_load_dword s5, s[10:11], 0x0
	s_branch .LBB1254_9
.LBB1254_7:
	s_mov_b64 s[14:15], 0
	s_branch .LBB1254_2
.LBB1254_8:
	s_mov_b32 s5, s2
.LBB1254_9:
	s_load_dwordx2 s[10:11], s[0:1], 0x10
	s_load_dwordx4 s[44:47], s[0:1], 0x48
	v_lshrrev_b32_e32 v57, 6, v0
	v_bfe_u32 v60, v0, 4, 2
	v_and_b32_e32 v56, 15, v0
	v_lshl_or_b32 v5, v57, 2, v60
	v_lshlrev_b32_e32 v1, 3, v56
	s_mul_i32 s48, s4, 7
	v_cmp_gt_u32_e32 vcc, 7, v5
	v_lshlrev_b32_e32 v54, 1, v1
	v_lshlrev_b32_e32 v1, 4, v0
	s_and_saveexec_b64 s[12:13], vcc
	s_cbranch_execz .LBB1254_11
; %bb.10:
	s_load_dwordx2 s[16:17], s[0:1], 0x0
	s_waitcnt lgkmcnt(0)
	s_ashr_i32 s20, s44, 31
	s_mul_hi_u32 s21, s5, s44
	s_mul_i32 s20, s5, s20
	s_add_i32 s21, s21, s20
	s_mul_i32 s20, s5, s44
	s_lshl_b64 s[20:21], s[20:21], 1
	s_add_u32 s16, s16, s20
	v_add_lshl_u32 v6, v5, s48, 7
	s_addc_u32 s17, s17, s21
	v_ashrrev_i32_e32 v7, 31, v6
	v_lshl_add_u64 v[6:7], v[6:7], 1, s[16:17]
	v_mov_b32_e32 v55, 0
	v_lshl_add_u64 v[6:7], v[6:7], 0, v[54:55]
	global_load_dwordx4 v[6:9], v[6:7], off
	v_lshlrev_b32_e32 v12, 8, v0
	v_lshlrev_b32_e32 v11, 8, v56
	v_and_b32_e32 v12, 0x600, v12
	s_movk_i32 s5, 0x800
	v_and_or_b32 v11, v11, s5, v12
	v_lshlrev_b32_e32 v5, 5, v5
	v_and_b32_e32 v12, 16, v1
	v_or3_b32 v5, v11, v5, v12
	s_waitcnt vmcnt(0)
	ds_write_b128 v5, v[6:9]
.LBB1254_11:
	s_or_b64 exec, exec, s[12:13]
	s_waitcnt lgkmcnt(0)
	s_mul_i32 s12, s4, s46
	s_add_u32 s4, s14, s12
	s_addc_u32 s5, s15, 0
	v_and_b32_e32 v58, 0xf0, v1
	v_mov_b32_e32 v59, 0
	v_and_b32_e32 v34, 48, v0
	v_lshl_add_u64 v[12:13], s[4:5], 0, v[58:59]
	v_lshlrev_b32_e32 v58, 4, v34
	s_waitcnt vmcnt(3)
	v_mad_i64_i32 v[4:5], s[4:5], v4, s45, v[12:13]
	v_lshl_add_u64 v[4:5], v[4:5], 0, v[58:59]
	s_barrier
	global_load_dwordx4 v[50:53], v[4:5], off
	global_load_dwordx4 v[46:49], v[4:5], off offset:1024
	s_waitcnt vmcnt(4)
	v_mad_i64_i32 v[4:5], s[4:5], v3, s45, v[12:13]
	s_waitcnt vmcnt(3)
	v_mad_i64_i32 v[2:3], s[4:5], v2, s45, v[12:13]
	v_lshl_add_u64 v[4:5], v[4:5], 0, v[58:59]
	v_lshl_add_u64 v[14:15], v[2:3], 0, v[58:59]
	s_waitcnt vmcnt(2)
	v_mad_i64_i32 v[10:11], s[4:5], v10, s45, v[12:13]
	global_load_dwordx4 v[36:39], v[4:5], off
	global_load_dwordx4 v[6:9], v[4:5], off offset:1024
	s_nop 0
	global_load_dwordx4 v[2:5], v[14:15], off
	global_load_dwordx4 v[42:45], v[14:15], off offset:1024
	v_lshl_add_u64 v[14:15], v[10:11], 0, v[58:59]
	global_load_dwordx4 v[22:25], v[14:15], off
	global_load_dwordx4 v[10:13], v[14:15], off offset:1024
	v_mul_lo_u16_e32 v14, 37, v56
	v_mov_b32_e32 v15, 7
	v_mul_lo_u16_sdwa v14, v14, v15 dst_sel:DWORD dst_unused:UNUSED_PAD src0_sel:BYTE_1 src1_sel:DWORD
	v_sub_u16_e32 v14, v56, v14
	v_mov_b32_e32 v15, 5
	v_lshlrev_b32_sdwa v14, v15, v14 dst_sel:DWORD dst_unused:UNUSED_PAD src0_sel:DWORD src1_sel:BYTE_0
	v_lshl_add_u32 v14, v60, 9, v14
	ds_read_b128 v[30:33], v14
	ds_read_b128 v[26:29], v14 offset:16
	ds_read_b128 v[18:21], v14 offset:2048
	ds_read_b128 v[14:17], v14 offset:2064
	v_and_b32_e32 v55, 63, v0
	v_cmp_gt_u32_e32 vcc, 7, v56
	v_mov_b32_e32 v61, 0
	s_and_saveexec_b64 s[4:5], vcc
	s_cbranch_execz .LBB1254_13
; %bb.12:
	s_load_dwordx2 s[14:15], s[0:1], 0x40
	v_add_u32_e32 v40, s48, v56
	v_ashrrev_i32_e32 v41, 31, v40
	s_waitcnt lgkmcnt(0)
	v_lshl_add_u64 v[40:41], v[40:41], 2, s[14:15]
	global_load_dword v61, v[40:41], off
.LBB1254_13:
	s_or_b64 exec, exec, s[4:5]
	v_or_b32_e32 v58, s18, v34
	v_ashrrev_i32_e32 v34, 4, v58
	v_mov_b32_e32 v63, s19
	v_cmp_gt_i32_e32 vcc, s7, v58
	s_waitcnt vmcnt(7)
	v_cvt_pk_f32_fp8_e32 v[40:41], v50
	v_cvt_pk_f32_fp8_sdwa v[64:65], v50 src0_sel:WORD_1
	v_cndmask_b32_e32 v34, v63, v34, vcc
	v_ashrrev_i32_e32 v35, 31, v34
	v_lshl_add_u64 v[34:35], v[34:35], 2, s[8:9]
	global_load_dword v62, v[34:35], off
	v_or_b32_e32 v34, 64, v58
	v_ashrrev_i32_e32 v35, 4, v34
	v_cmp_gt_i32_e32 vcc, s7, v34
	v_or_b32_e32 v66, 0x80, v58
	v_ashrrev_i32_e32 v67, 4, v66
	v_cndmask_b32_e32 v34, v63, v35, vcc
	v_cmp_gt_i32_e32 vcc, s7, v66
	s_mov_b32 s33, 0x7060302
	v_perm_b32 v40, v41, v40, s33
	v_cndmask_b32_e32 v50, v63, v67, vcc
	v_perm_b32 v41, v65, v64, s33
	v_cvt_pk_f32_fp8_e32 v[64:65], v51
	v_cvt_pk_f32_fp8_sdwa v[66:67], v51 src0_sel:WORD_1
	v_ashrrev_i32_e32 v51, 31, v50
	v_lshl_add_u64 v[68:69], v[50:51], 2, s[8:9]
	v_perm_b32 v50, v65, v64, s33
	v_perm_b32 v51, v67, v66, s33
	s_waitcnt lgkmcnt(3)
	v_mfma_f32_16x16x16_bf16 v[64:67], v[40:41], v[30:31], 0
	v_cvt_pk_f32_fp8_e32 v[40:41], v52
	v_cvt_pk_f32_fp8_sdwa v[70:71], v52 src0_sel:WORD_1
	s_waitcnt vmcnt(7)
	v_cvt_pk_f32_fp8_e32 v[72:73], v46
	v_mfma_f32_16x16x16_bf16 v[64:67], v[50:51], v[32:33], v[64:67]
	v_cvt_pk_f32_fp8_e32 v[50:51], v53
	v_perm_b32 v40, v41, v40, s33
	v_perm_b32 v41, v71, v70, s33
	v_cvt_pk_f32_fp8_sdwa v[52:53], v53 src0_sel:WORD_1
	v_perm_b32 v70, v51, v50, s33
	v_cvt_pk_f32_fp8_sdwa v[74:75], v46 src0_sel:WORD_1
	v_ashrrev_i32_e32 v35, 31, v34
	v_perm_b32 v71, v53, v52, s33
	s_waitcnt lgkmcnt(2)
	v_mfma_f32_16x16x16_bf16 v[50:53], v[40:41], v[26:27], v[64:67]
	v_perm_b32 v40, v73, v72, s33
	v_perm_b32 v41, v75, v74, s33
	v_or_b32_e32 v58, 0xc0, v58
	v_cvt_pk_f32_fp8_e32 v[64:65], v47
	v_cvt_pk_f32_fp8_sdwa v[46:47], v47 src0_sel:WORD_1
	v_mfma_f32_16x16x16_bf16 v[50:53], v[70:71], v[28:29], v[50:53]
	v_lshl_add_u64 v[34:35], v[34:35], 2, s[8:9]
	v_perm_b32 v64, v65, v64, s33
	v_perm_b32 v65, v47, v46, s33
	s_waitcnt lgkmcnt(1)
	v_mfma_f32_16x16x16_bf16 v[50:53], v[40:41], v[18:19], v[50:53]
	v_ashrrev_i32_e32 v66, 4, v58
	v_cmp_gt_i32_e32 vcc, s7, v58
	v_cvt_pk_f32_fp8_e32 v[46:47], v48
	s_waitcnt vmcnt(6)
	v_cvt_pk_f32_fp8_sdwa v[70:71], v36 src0_sel:WORD_1
	v_cndmask_b32_e32 v40, v63, v66, vcc
	v_mfma_f32_16x16x16_bf16 v[64:67], v[64:65], v[20:21], v[50:53]
	v_ashrrev_i32_e32 v41, 31, v40
	v_lshl_add_u64 v[40:41], v[40:41], 2, s[8:9]
	v_perm_b32 v46, v47, v46, s33
	global_load_dword v53, v[34:35], off
	global_load_dword v63, v[40:41], off
	v_cvt_pk_f32_fp8_sdwa v[50:51], v48 src0_sel:WORD_1
	v_cvt_pk_f32_fp8_e32 v[34:35], v49
	v_cvt_pk_f32_fp8_sdwa v[48:49], v49 src0_sel:WORD_1
	s_add_u32 s46, s10, s12
	v_perm_b32 v47, v51, v50, s33
	v_perm_b32 v34, v35, v34, s33
	v_perm_b32 v35, v49, v48, s33
	s_waitcnt lgkmcnt(0)
	v_mfma_f32_16x16x16_bf16 v[46:49], v[46:47], v[14:15], v[64:67]
	v_cvt_pk_f32_fp8_e32 v[50:51], v36
	s_nop 1
	global_load_dword v64, v[68:69], off
	v_cvt_pk_f32_fp8_e32 v[66:67], v37
	s_waitcnt vmcnt(8)
	v_cvt_pk_f32_fp8_e32 v[68:69], v6
	v_perm_b32 v50, v51, v50, s33
	v_perm_b32 v51, v71, v70, s33
	v_cvt_pk_f32_fp8_sdwa v[70:71], v37 src0_sel:WORD_1
	v_perm_b32 v40, v67, v66, s33
	v_mfma_f32_16x16x16_bf16 v[34:37], v[34:35], v[16:17], v[46:49]
	v_cvt_pk_f32_fp8_sdwa v[66:67], v38 src0_sel:WORD_1
	v_perm_b32 v41, v71, v70, s33
	v_cvt_pk_f32_fp8_sdwa v[70:71], v6 src0_sel:WORD_1
	v_mfma_f32_16x16x16_bf16 v[46:49], v[50:51], v[30:31], 0
	v_cvt_pk_f32_fp8_e32 v[50:51], v38
	v_lshl_or_b32 v52, v57, 4, v56
	s_waitcnt vmcnt(6)
	v_cvt_pk_f32_fp8_e32 v[72:73], v43
	v_mfma_f32_16x16x16_bf16 v[46:49], v[40:41], v[32:33], v[46:49]
	v_cvt_pk_f32_fp8_e32 v[40:41], v39
	v_perm_b32 v50, v51, v50, s33
	v_perm_b32 v51, v67, v66, s33
	v_cvt_pk_f32_fp8_sdwa v[38:39], v39 src0_sel:WORD_1
	v_perm_b32 v66, v41, v40, s33
	s_addc_u32 s47, s11, 0
	v_lshlrev_b32_e32 v58, 4, v52
	v_perm_b32 v67, v39, v38, s33
	v_mfma_f32_16x16x16_bf16 v[38:41], v[50:51], v[26:27], v[46:49]
	v_cvt_pk_f32_fp8_sdwa v[50:51], v2 src0_sel:WORD_1
	s_nop 1
	v_perm_b32 v46, v69, v68, s33
	v_perm_b32 v47, v71, v70, s33
	v_cvt_pk_f32_fp8_e32 v[48:49], v7
	v_cvt_pk_f32_fp8_sdwa v[6:7], v7 src0_sel:WORD_1
	v_mfma_f32_16x16x16_bf16 v[38:41], v[66:67], v[28:29], v[38:41]
	v_lshl_add_u64 v[70:71], s[46:47], 0, v[58:59]
	v_perm_b32 v48, v49, v48, s33
	v_perm_b32 v49, v7, v6, s33
	v_mfma_f32_16x16x16_bf16 v[38:41], v[46:47], v[18:19], v[38:41]
	v_cvt_pk_f32_fp8_e32 v[6:7], v8
	v_cvt_pk_f32_fp8_sdwa v[46:47], v8 src0_sel:WORD_1
	v_or_b32_e32 v58, 0x400, v58
	v_mfma_f32_16x16x16_bf16 v[38:41], v[48:49], v[20:21], v[38:41]
	v_cvt_pk_f32_fp8_e32 v[48:49], v9
	v_perm_b32 v6, v7, v6, s33
	v_perm_b32 v7, v47, v46, s33
	v_cvt_pk_f32_fp8_sdwa v[8:9], v9 src0_sel:WORD_1
	v_perm_b32 v46, v49, v48, s33
	v_cvt_pk_f32_fp8_e32 v[48:49], v2
	v_perm_b32 v47, v9, v8, s33
	v_mfma_f32_16x16x16_bf16 v[6:9], v[6:7], v[14:15], v[38:41]
	v_perm_b32 v48, v49, v48, s33
	v_perm_b32 v49, v51, v50, s33
	v_cvt_pk_f32_fp8_e32 v[50:51], v3
	v_cvt_pk_f32_fp8_sdwa v[2:3], v3 src0_sel:WORD_1
	v_mfma_f32_16x16x16_bf16 v[38:41], v[46:47], v[16:17], v[6:9]
	v_perm_b32 v46, v51, v50, s33
	v_perm_b32 v47, v3, v2, s33
	v_mfma_f32_16x16x16_bf16 v[6:9], v[48:49], v[30:31], 0
	v_cvt_pk_f32_fp8_e32 v[2:3], v4
	v_cvt_pk_f32_fp8_sdwa v[48:49], v4 src0_sel:WORD_1
	s_waitcnt vmcnt(3)
	v_mad_i64_i32 v[50:51], s[4:5], v62, s45, v[70:71]
	v_perm_b32 v2, v3, v2, s33
	v_perm_b32 v3, v49, v48, s33
	v_mfma_f32_16x16x16_bf16 v[6:9], v[46:47], v[32:33], v[6:9]
	v_cvt_pk_f32_fp8_e32 v[46:47], v5
	v_cvt_pk_f32_fp8_sdwa v[4:5], v5 src0_sel:WORD_1
	s_waitcnt vmcnt(2)
	v_mad_i64_i32 v[66:67], s[4:5], v53, s45, v[70:71]
	v_perm_b32 v46, v47, v46, s33
	v_perm_b32 v47, v5, v4, s33
	v_mfma_f32_16x16x16_bf16 v[2:5], v[2:3], v[26:27], v[6:9]
	s_nop 2
	v_cvt_pk_f32_fp8_e32 v[6:7], v42
	v_cvt_pk_f32_fp8_sdwa v[8:9], v42 src0_sel:WORD_1
	v_cvt_pk_f32_fp8_sdwa v[42:43], v43 src0_sel:WORD_1
	v_mfma_f32_16x16x16_bf16 v[46:49], v[46:47], v[28:29], v[2:5]
	v_perm_b32 v68, v7, v6, s33
	v_perm_b32 v69, v9, v8, s33
	global_load_dwordx4 v[6:9], v[50:51], off
	global_load_dwordx4 v[2:5], v[66:67], off
	v_perm_b32 v66, v73, v72, s33
	v_perm_b32 v67, v43, v42, s33
	v_mfma_f32_16x16x16_bf16 v[48:51], v[68:69], v[18:19], v[46:49]
	v_cvt_pk_f32_fp8_e32 v[42:43], v44
	v_cvt_pk_f32_fp8_sdwa v[72:73], v44 src0_sel:WORD_1
	s_waitcnt vmcnt(2)
	v_mad_i64_i32 v[46:47], s[4:5], v64, s45, v[70:71]
	v_mfma_f32_16x16x16_bf16 v[66:69], v[66:67], v[20:21], v[48:51]
	v_perm_b32 v42, v43, v42, s33
	v_perm_b32 v43, v73, v72, s33
	v_cvt_pk_f32_fp8_sdwa v[72:73], v22 src0_sel:WORD_1
	v_cvt_pk_f32_fp8_e32 v[50:51], v45
	v_cvt_pk_f32_fp8_sdwa v[44:45], v45 src0_sel:WORD_1
	v_mad_i64_i32 v[48:49], s[4:5], v63, s45, v[70:71]
	v_perm_b32 v50, v51, v50, s33
	v_perm_b32 v51, v45, v44, s33
	v_mfma_f32_16x16x16_bf16 v[42:45], v[42:43], v[14:15], v[66:69]
	v_cvt_pk_f32_fp8_e32 v[70:71], v22
	s_load_dword s4, s[0:1], 0x1c
	s_load_dwordx4 s[40:43], s[0:1], 0x80
	s_load_dword s44, s[0:1], 0x98
	s_waitcnt lgkmcnt(0)
	s_load_dword s5, s[40:41], 0x0
	v_mfma_f32_16x16x16_bf16 v[66:69], v[50:51], v[16:17], v[42:45]
	s_mov_b32 s40, 0xff7fffff
	s_nop 1
	v_cvt_pk_f32_fp8_e32 v[42:43], v23
	v_perm_b32 v44, v71, v70, s33
	v_perm_b32 v45, v73, v72, s33
	v_cvt_pk_f32_fp8_sdwa v[22:23], v23 src0_sel:WORD_1
	v_perm_b32 v50, v43, v42, s33
	v_cvt_pk_f32_fp8_e32 v[70:71], v24
	v_cvt_pk_f32_fp8_sdwa v[72:73], v24 src0_sel:WORD_1
	v_perm_b32 v51, v23, v22, s33
	v_mfma_f32_16x16x16_bf16 v[42:45], v[44:45], v[30:31], 0
	v_perm_b32 v30, v71, v70, s33
	v_perm_b32 v31, v73, v72, s33
	v_cvt_pk_f32_fp8_e32 v[70:71], v25
	v_cvt_pk_f32_fp8_sdwa v[72:73], v25 src0_sel:WORD_1
	v_mfma_f32_16x16x16_bf16 v[22:25], v[50:51], v[32:33], v[42:45]
	v_mov_b32_e32 v32, s4
	s_waitcnt lgkmcnt(0)
	v_mul_f32_e32 v50, s5, v32
	v_pk_mul_f32 v[32:33], v[50:51], v[34:35] op_sel_hi:[0,1]
	v_perm_b32 v42, v71, v70, s33
	v_perm_b32 v43, v73, v72, s33
	v_mfma_f32_16x16x16_bf16 v[22:25], v[30:31], v[26:27], v[22:25]
	v_pk_mul_f32 v[30:31], v[50:51], v[36:37] op_sel_hi:[0,1]
	v_cvt_pk_f32_fp8_e32 v[26:27], v11
	v_cvt_pk_f32_fp8_sdwa v[70:71], v12 src0_sel:WORD_1
	v_mfma_f32_16x16x16_bf16 v[34:37], v[42:43], v[28:29], v[22:25]
	v_pk_mul_f32 v[40:41], v[50:51], v[40:41] op_sel_hi:[0,1]
	v_perm_b32 v44, v27, v26, s33
	s_nop 0
	v_cvt_pk_f32_fp8_e32 v[22:23], v10
	v_cvt_pk_f32_fp8_sdwa v[24:25], v10 src0_sel:WORD_1
	v_cvt_pk_f32_fp8_sdwa v[10:11], v11 src0_sel:WORD_1
	v_perm_b32 v42, v23, v22, s33
	v_perm_b32 v43, v25, v24, s33
	;; [unrolled: 1-line block ×3, first 2 shown]
	v_cvt_pk_f32_fp8_e32 v[10:11], v12
	v_mfma_f32_16x16x16_bf16 v[34:37], v[42:43], v[18:19], v[34:37]
	global_load_dwordx4 v[26:29], v[46:47], off
	global_load_dwordx4 v[22:25], v[48:49], off
	v_perm_b32 v18, v11, v10, s33
	v_perm_b32 v19, v71, v70, s33
	v_cvt_pk_f32_fp8_e32 v[42:43], v13
	v_cvt_pk_f32_fp8_sdwa v[46:47], v13 src0_sel:WORD_1
	v_mfma_f32_16x16x16_bf16 v[10:13], v[44:45], v[20:21], v[34:37]
	v_pk_mul_f32 v[44:45], v[50:51], v[38:39] op_sel_hi:[0,1]
	v_perm_b32 v20, v43, v42, s33
	v_perm_b32 v21, v47, v46, s33
	v_mfma_f32_16x16x16_bf16 v[10:13], v[18:19], v[14:15], v[10:13]
	v_pk_mul_f32 v[38:39], v[50:51], v[68:69] op_sel_hi:[0,1]
	v_pk_mul_f32 v[42:43], v[50:51], v[66:67] op_sel_hi:[0,1]
	v_mfma_f32_16x16x16_bf16 v[10:13], v[20:21], v[16:17], v[10:13]
	s_nop 6
	v_pk_mul_f32 v[36:37], v[50:51], v[10:11] op_sel_hi:[0,1]
	v_and_b32_e32 v10, 0xc0, v0
	v_add_u32_e32 v10, s18, v10
	v_lshl_or_b32 v10, v60, 2, v10
	v_or_b32_e32 v11, 1, v10
	v_pk_mul_f32 v[34:35], v[50:51], v[12:13] op_sel_hi:[0,1]
	v_subrev_u32_e32 v12, s7, v11
	v_add_u32_e32 v14, 1, v12
	v_add_u32_e32 v15, 2, v12
	v_cvt_f32_i32_e32 v13, v12
	v_cvt_f32_i32_e32 v14, v14
	;; [unrolled: 1-line block ×3, first 2 shown]
	v_add_u32_e32 v16, 3, v12
	v_fma_f32 v18, v61, v13, v32
	v_fmac_f32_e32 v33, v61, v14
	v_fma_f32 v48, v61, v15, v30
	v_add_u32_e32 v13, 16, v12
	v_add_u32_e32 v14, 17, v12
	;; [unrolled: 1-line block ×3, first 2 shown]
	v_cvt_f32_i32_e32 v16, v16
	v_cvt_f32_i32_e32 v13, v13
	;; [unrolled: 1-line block ×4, first 2 shown]
	v_fmac_f32_e32 v31, v61, v16
	v_add_u32_e32 v16, 19, v12
	v_fma_f32 v44, v61, v13, v44
	v_fmac_f32_e32 v45, v61, v14
	v_fma_f32 v40, v61, v15, v40
	v_add_u32_e32 v13, 32, v12
	v_add_u32_e32 v14, 33, v12
	;; [unrolled: 1-line block ×3, first 2 shown]
	v_cvt_f32_i32_e32 v16, v16
	v_cvt_f32_i32_e32 v13, v13
	v_cvt_f32_i32_e32 v14, v14
	v_cvt_f32_i32_e32 v15, v15
	v_fmac_f32_e32 v41, v61, v16
	v_add_u32_e32 v16, 35, v12
	v_fma_f32 v42, v61, v13, v42
	v_fmac_f32_e32 v43, v61, v14
	v_fma_f32 v38, v61, v15, v38
	v_add_u32_e32 v13, 48, v12
	v_add_u32_e32 v14, 49, v12
	;; [unrolled: 1-line block ×4, first 2 shown]
	v_cvt_f32_i32_e32 v12, v12
	v_cvt_f32_i32_e32 v13, v13
	v_cvt_f32_i32_e32 v14, v14
	v_cmp_gt_i32_e64 s[8:9], s7, v10
	v_fmac_f32_e32 v35, v61, v12
	v_mov_b32_e32 v12, 0xff7fffff
	v_cmp_gt_i32_e64 s[10:11], s7, v11
	v_fma_f32 v36, v61, v13, v36
	v_cndmask_b32_e64 v13, v12, v18, s[8:9]
	v_cndmask_b32_e64 v11, v12, v33, s[10:11]
	v_fmac_f32_e32 v37, v61, v14
	v_max3_f32 v11, v13, s40, v11
	v_or_b32_e32 v13, 2, v10
	v_or_b32_e32 v14, 3, v10
	v_cmp_gt_i32_e64 s[12:13], s7, v13
	v_cmp_gt_i32_e64 s[14:15], s7, v14
	v_cvt_f32_i32_e32 v16, v16
	v_cndmask_b32_e64 v13, v12, v48, s[12:13]
	v_cndmask_b32_e64 v14, v12, v31, s[14:15]
	v_max3_f32 v11, v11, v13, v14
	v_or_b32_e32 v13, 16, v10
	v_or_b32_e32 v14, 17, v10
	v_cmp_gt_i32_e64 s[16:17], s7, v13
	v_cmp_gt_i32_e64 s[18:19], s7, v14
	v_fmac_f32_e32 v39, v61, v16
	v_cndmask_b32_e64 v13, v12, v44, s[16:17]
	v_cndmask_b32_e64 v14, v12, v45, s[18:19]
	v_max3_f32 v11, v11, v13, v14
	v_or_b32_e32 v13, 18, v10
	v_or_b32_e32 v14, 19, v10
	v_cmp_gt_i32_e64 s[20:21], s7, v13
	v_cmp_gt_i32_e64 s[22:23], s7, v14
	v_cvt_f32_i32_e32 v15, v15
	v_cndmask_b32_e64 v13, v12, v40, s[20:21]
	v_cndmask_b32_e64 v14, v12, v41, s[22:23]
	v_max3_f32 v11, v11, v13, v14
	v_or_b32_e32 v13, 32, v10
	v_or_b32_e32 v14, 33, v10
	v_cmp_gt_i32_e64 s[24:25], s7, v13
	v_cmp_gt_i32_e64 s[26:27], s7, v14
	v_fma_f32 v34, v61, v15, v34
	v_cndmask_b32_e64 v13, v12, v42, s[24:25]
	v_cndmask_b32_e64 v14, v12, v43, s[26:27]
	v_max3_f32 v11, v11, v13, v14
	v_or_b32_e32 v13, 34, v10
	v_or_b32_e32 v14, 35, v10
	v_cmp_gt_i32_e64 s[28:29], s7, v13
	v_cmp_gt_i32_e64 s[30:31], s7, v14
	s_nop 0
	v_cndmask_b32_e64 v13, v12, v38, s[28:29]
	v_cndmask_b32_e64 v14, v12, v39, s[30:31]
	v_max3_f32 v11, v11, v13, v14
	v_or_b32_e32 v13, 48, v10
	v_or_b32_e32 v14, 49, v10
	v_cmp_gt_i32_e64 s[34:35], s7, v13
	v_cmp_gt_i32_e64 s[36:37], s7, v14
	s_nop 0
	v_cndmask_b32_e64 v13, v12, v36, s[34:35]
	v_cndmask_b32_e64 v14, v12, v37, s[36:37]
	v_max3_f32 v11, v11, v13, v14
	v_or_b32_e32 v13, 50, v10
	v_or_b32_e32 v10, 51, v10
	v_cmp_gt_i32_e32 vcc, s7, v13
	v_cmp_gt_i32_e64 s[4:5], s7, v10
	s_nop 0
	v_cndmask_b32_e32 v13, v12, v34, vcc
	v_cndmask_b32_e64 v10, v12, v35, s[4:5]
	v_max3_f32 v14, v11, v13, v10
	v_mbcnt_lo_u32_b32 v10, -1, 0
	v_mbcnt_hi_u32_b32 v15, -1, v10
	v_and_b32_e32 v10, 64, v15
	v_add_u32_e32 v16, 64, v10
	v_xor_b32_e32 v10, 32, v15
	v_cmp_lt_i32_e64 s[38:39], v10, v16
	s_nop 1
	v_cndmask_b32_e64 v10, v15, v10, s[38:39]
	v_lshlrev_b32_e32 v51, 2, v10
	ds_bpermute_b32 v17, v51, v14
	v_lshl_add_u64 v[10:11], s[46:47], 0, v[58:59]
	v_mad_i64_i32 v[12:13], s[38:39], v62, s45, v[10:11]
	s_waitcnt lgkmcnt(0)
	v_max_f32_e32 v17, v17, v17
	v_max_f32_e32 v19, v14, v17
	v_xor_b32_e32 v14, 16, v15
	v_cmp_lt_i32_e64 s[38:39], v14, v16
	s_nop 1
	v_cndmask_b32_e64 v14, v15, v14, s[38:39]
	v_lshlrev_b32_e32 v58, 2, v14
	ds_bpermute_b32 v20, v58, v19
	v_mad_i64_i32 v[14:15], s[38:39], v53, s45, v[10:11]
	v_mad_i64_i32 v[16:17], s[38:39], v64, s45, v[10:11]
	s_waitcnt lgkmcnt(0)
	v_max_f32_e32 v20, v20, v20
	v_max_f32_e32 v50, v19, v20
	v_sub_f32_e32 v18, v18, v50
	v_sub_f32_e32 v19, v33, v50
	v_mul_f32_e32 v18, 0x3fb8aa3b, v18
	v_mul_f32_e32 v19, 0x3fb8aa3b, v19
	v_exp_f32_e32 v18, v18
	v_exp_f32_e32 v19, v19
	v_sub_f32_e32 v49, v31, v50
	v_mad_i64_i32 v[10:11], s[38:39], v63, s45, v[10:11]
	v_cndmask_b32_e64 v46, 0, v18, s[8:9]
	v_cndmask_b32_e64 v47, 0, v19, s[10:11]
	global_load_dwordx4 v[30:33], v[12:13], off
	global_load_dwordx4 v[18:21], v[14:15], off
	v_sub_f32_e32 v12, v48, v50
	v_mul_f32_e32 v12, 0x3fb8aa3b, v12
	v_exp_f32_e32 v48, v12
	global_load_dwordx4 v[14:17], v[16:17], off
	s_nop 0
	global_load_dwordx4 v[10:13], v[10:11], off
	v_sub_f32_e32 v40, v40, v50
	v_sub_f32_e32 v42, v42, v50
	v_mul_f32_e32 v40, 0x3fb8aa3b, v40
	v_mul_f32_e32 v42, 0x3fb8aa3b, v42
	v_exp_f32_e32 v40, v40
	v_exp_f32_e32 v53, v42
	v_mul_f32_e32 v49, 0x3fb8aa3b, v49
	v_sub_f32_e32 v44, v44, v50
	v_exp_f32_e32 v49, v49
	v_mul_f32_e32 v44, 0x3fb8aa3b, v44
	v_sub_f32_e32 v45, v45, v50
	v_sub_f32_e32 v42, v43, v50
	v_exp_f32_e32 v44, v44
	v_mul_f32_e32 v45, 0x3fb8aa3b, v45
	v_mul_f32_e32 v42, 0x3fb8aa3b, v42
	v_exp_f32_e32 v45, v45
	v_sub_f32_e32 v41, v41, v50
	v_exp_f32_e32 v59, v42
	v_cndmask_b32_e64 v42, 0, v40, s[20:21]
	v_cndmask_b32_e64 v40, 0, v53, s[24:25]
	v_add_f32_e32 v53, 0, v46
	v_cndmask_b32_e64 v48, 0, v48, s[12:13]
	v_mul_f32_e32 v41, 0x3fb8aa3b, v41
	v_add_f32_e32 v53, v53, v47
	v_cndmask_b32_e64 v49, 0, v49, s[14:15]
	v_exp_f32_e32 v41, v41
	v_add_f32_e32 v53, v53, v48
	v_cndmask_b32_e64 v44, 0, v44, s[16:17]
	v_sub_f32_e32 v38, v38, v50
	v_add_f32_e32 v53, v53, v49
	v_cndmask_b32_e64 v45, 0, v45, s[18:19]
	v_sub_f32_e32 v39, v39, v50
	v_mul_f32_e32 v38, 0x3fb8aa3b, v38
	v_add_f32_e32 v53, v53, v44
	v_exp_f32_e32 v38, v38
	v_mul_f32_e32 v39, 0x3fb8aa3b, v39
	v_sub_f32_e32 v36, v36, v50
	v_add_f32_e32 v53, v53, v45
	v_cndmask_b32_e64 v43, 0, v41, s[22:23]
	v_exp_f32_e32 v39, v39
	v_mul_f32_e32 v36, 0x3fb8aa3b, v36
	v_sub_f32_e32 v37, v37, v50
	v_add_f32_e32 v53, v53, v42
	v_exp_f32_e32 v36, v36
	v_mul_f32_e32 v37, 0x3fb8aa3b, v37
	v_add_f32_e32 v53, v53, v43
	v_sub_f32_e32 v34, v34, v50
	v_cndmask_b32_e64 v41, 0, v59, s[26:27]
	v_exp_f32_e32 v37, v37
	v_add_f32_e32 v53, v53, v40
	v_mul_f32_e32 v34, 0x3fb8aa3b, v34
	v_sub_f32_e32 v35, v35, v50
	v_cndmask_b32_e64 v38, 0, v38, s[28:29]
	v_add_f32_e32 v53, v53, v41
	v_exp_f32_e32 v34, v34
	v_mul_f32_e32 v35, 0x3fb8aa3b, v35
	v_cndmask_b32_e64 v39, 0, v39, s[30:31]
	v_add_f32_e32 v53, v53, v38
	v_exp_f32_e32 v35, v35
	v_cndmask_b32_e64 v36, 0, v36, s[34:35]
	v_add_f32_e32 v53, v53, v39
	v_cndmask_b32_e64 v37, 0, v37, s[36:37]
	v_add_f32_e32 v53, v53, v36
	v_add_f32_e32 v53, v53, v37
	v_cndmask_b32_e32 v34, 0, v34, vcc
	v_add_f32_e32 v53, v53, v34
	v_cndmask_b32_e64 v35, 0, v35, s[4:5]
	v_add_f32_e32 v53, v53, v35
	ds_bpermute_b32 v51, v51, v53
	v_cmp_gt_u32_e32 vcc, 16, v55
	s_waitcnt lgkmcnt(0)
	s_barrier
	v_add_f32_e32 v51, v53, v51
	ds_bpermute_b32 v53, v58, v51
	s_and_saveexec_b64 s[4:5], vcc
	s_cbranch_execz .LBB1254_15
; %bb.14:
	s_waitcnt lgkmcnt(0)
	v_add_f32_e32 v51, v51, v53
	v_lshlrev_b32_e32 v52, 2, v52
	ds_write2st64_b32 v52, v50, v51 offset1:1
.LBB1254_15:
	s_or_b64 exec, exec, s[4:5]
	v_lshlrev_b32_e32 v51, 2, v56
	s_load_dword s7, s[0:1], 0x94
	s_waitcnt lgkmcnt(0)
	s_barrier
	ds_read2_b32 v[52:53], v51 offset1:16
	ds_read2_b32 v[58:59], v51 offset0:32 offset1:48
	ds_read2_b32 v[62:63], v51 offset0:64 offset1:80
	s_movk_i32 s9, 0x7fff
	s_mul_i32 s8, s44, 7
	s_waitcnt lgkmcnt(2)
	v_max3_f32 v50, v52, s40, v53
	s_waitcnt lgkmcnt(1)
	v_max3_f32 v50, v50, v58, v59
	v_sub_f32_e32 v52, v52, v50
	v_mul_f32_e32 v52, 0x3fb8aa3b, v52
	v_exp_f32_e32 v55, v52
	v_sub_f32_e32 v52, v53, v50
	v_mul_f32_e32 v52, 0x3fb8aa3b, v52
	v_exp_f32_e32 v61, v52
	;; [unrolled: 3-line block ×3, first 2 shown]
	ds_read2_b32 v[52:53], v51 offset0:96 offset1:112
	v_sub_f32_e32 v51, v59, v50
	v_mul_f32_e32 v51, 0x3fb8aa3b, v51
	v_exp_f32_e32 v59, v51
	s_waitcnt lgkmcnt(1)
	v_fma_f32 v51, v55, v62, 0
	v_fmac_f32_e32 v51, v61, v63
	s_waitcnt lgkmcnt(0)
	v_fmac_f32_e32 v51, v58, v52
	v_fmac_f32_e32 v51, v59, v53
	v_add_f32_e32 v52, 0x358637bd, v51
	v_div_scale_f32 v53, s[4:5], v52, v52, 1.0
	v_rcp_f32_e32 v62, v53
	s_barrier
	v_fma_f32 v63, -v53, v62, 1.0
	v_fmac_f32_e32 v62, v63, v62
	v_div_scale_f32 v63, vcc, 1.0, v52, 1.0
	v_mul_f32_e32 v64, v63, v62
	v_fma_f32 v65, -v53, v64, v63
	v_fmac_f32_e32 v64, v65, v62
	v_fma_f32 v53, -v53, v64, v63
	v_div_fmas_f32 v53, v53, v62, v64
	v_cmp_eq_u32_e32 vcc, 1, v57
	v_div_fixup_f32 v52, v53, v52, 1.0
	s_nop 0
	v_cndmask_b32_e32 v53, v55, v61, vcc
	v_cmp_eq_u32_e32 vcc, 2, v57
	s_nop 1
	v_cndmask_b32_e32 v53, v53, v58, vcc
	v_cmp_eq_u32_e32 vcc, 3, v57
	s_nop 1
	v_cndmask_b32_e32 v53, v53, v59, vcc
	v_mul_f32_e32 v52, v53, v52
	v_pk_mul_f32 v[46:47], v[52:53], v[46:47] op_sel_hi:[0,1]
	v_pk_mul_f32 v[48:49], v[52:53], v[48:49] op_sel_hi:[0,1]
	v_bfe_u32 v53, v47, 16, 1
	v_bfe_u32 v55, v46, 16, 1
	v_add3_u32 v46, v46, v55, s9
	v_add3_u32 v47, v47, v53, s9
	v_perm_b32 v58, v47, v46, s33
	v_bfe_u32 v46, v49, 16, 1
	v_bfe_u32 v47, v48, 16, 1
	v_add3_u32 v47, v48, v47, s9
	v_add3_u32 v46, v49, v46, s9
	v_perm_b32 v59, v46, v47, s33
	v_lshlrev_b32_e32 v47, 3, v60
	v_lshlrev_b32_e32 v46, 5, v56
	v_lshlrev_b32_e32 v48, 11, v57
	v_pk_mul_f32 v[44:45], v[52:53], v[44:45] op_sel_hi:[0,1]
	v_or3_b32 v55, v48, v46, v47
	v_bfe_u32 v47, v45, 16, 1
	v_bfe_u32 v48, v44, 16, 1
	v_pk_mul_f32 v[42:43], v[52:53], v[42:43] op_sel_hi:[0,1]
	v_add3_u32 v44, v44, v48, s9
	v_add3_u32 v45, v45, v47, s9
	v_perm_b32 v44, v45, v44, s33
	v_bfe_u32 v45, v43, 16, 1
	v_bfe_u32 v47, v42, 16, 1
	v_add3_u32 v42, v42, v47, s9
	v_add3_u32 v43, v43, v45, s9
	v_pk_mul_f32 v[40:41], v[52:53], v[40:41] op_sel_hi:[0,1]
	v_perm_b32 v45, v43, v42, s33
	v_bfe_u32 v42, v41, 16, 1
	v_bfe_u32 v43, v40, 16, 1
	v_pk_mul_f32 v[38:39], v[52:53], v[38:39] op_sel_hi:[0,1]
	v_add3_u32 v40, v40, v43, s9
	v_add3_u32 v41, v41, v42, s9
	v_perm_b32 v40, v41, v40, s33
	v_bfe_u32 v41, v39, 16, 1
	v_bfe_u32 v42, v38, 16, 1
	v_add3_u32 v38, v38, v42, s9
	v_add3_u32 v39, v39, v41, s9
	v_pk_mul_f32 v[36:37], v[52:53], v[36:37] op_sel_hi:[0,1]
	v_perm_b32 v41, v39, v38, s33
	v_bfe_u32 v38, v37, 16, 1
	v_bfe_u32 v39, v36, 16, 1
	v_pk_mul_f32 v[34:35], v[52:53], v[34:35] op_sel_hi:[0,1]
	v_add3_u32 v36, v36, v39, s9
	v_add3_u32 v37, v37, v38, s9
	v_perm_b32 v36, v37, v36, s33
	v_bfe_u32 v37, v35, 16, 1
	v_bfe_u32 v38, v34, 16, 1
	v_add3_u32 v34, v34, v38, s9
	v_add3_u32 v35, v35, v37, s9
	v_perm_b32 v37, v35, v34, s33
	v_cmp_gt_u32_e32 vcc, 7, v0
	ds_write2st64_b64 v55, v[58:59], v[44:45] offset1:1
	ds_write2st64_b64 v55, v[40:41], v[36:37] offset0:2 offset1:3
	s_and_saveexec_b64 s[4:5], vcc
	s_cbranch_execz .LBB1254_17
; %bb.16:
	s_mov_b32 s49, 0
	v_mov_b32_e32 v57, 0
	v_lshl_add_u64 v[34:35], s[48:49], 0, v[56:57]
	v_mov_b32_e32 v36, s8
	v_mad_u64_u32 v[34:35], s[10:11], s2, v36, v[34:35]
	s_mul_i32 s3, s3, s8
	v_mov_b32_e32 v36, s6
	v_mov_b32_e32 v37, v57
	s_load_dwordx4 s[12:15], s[0:1], 0x58
	v_add_u32_e32 v38, s3, v35
	v_mad_u64_u32 v[34:35], s[10:11], v34, s7, v[36:37]
	v_mov_b32_e32 v36, v35
	v_mad_u64_u32 v[36:37], s[10:11], v38, s7, v[36:37]
	v_mov_b32_e32 v35, v36
	v_lshlrev_b64 v[34:35], 2, v[34:35]
	s_waitcnt lgkmcnt(0)
	v_lshl_add_u64 v[36:37], s[14:15], 0, v[34:35]
	v_lshl_add_u64 v[34:35], s[12:13], 0, v[34:35]
	global_store_dword v[36:37], v50, off
	global_store_dword v[34:35], v51, off
.LBB1254_17:
	s_or_b64 exec, exec, s[4:5]
	s_waitcnt vmcnt(7)
	v_cvt_pk_f32_fp8_e32 v[34:35], v6
	v_cvt_pk_f32_fp8_sdwa v[36:37], v6 src0_sel:WORD_1
	v_lshl_or_b32 v50, v60, 9, v46
	s_mov_b32 s5, 0x7060302
	s_waitcnt lgkmcnt(0)
	s_barrier
	v_cvt_pk_f32_fp8_e32 v[38:39], v7
	v_perm_b32 v6, v35, v34, s5
	v_cvt_pk_f32_fp8_sdwa v[40:41], v7 src0_sel:WORD_1
	v_perm_b32 v7, v37, v36, s5
	ds_read_b128 v[34:37], v50
	v_perm_b32 v46, v39, v38, s5
	v_perm_b32 v47, v41, v40, s5
	ds_read_b128 v[38:41], v50 offset:16
	v_cvt_pk_f32_fp8_e32 v[48:49], v8
	v_cvt_pk_f32_fp8_sdwa v[52:53], v8 src0_sel:WORD_1
	s_waitcnt lgkmcnt(1)
	v_mfma_f32_16x16x16_bf16 v[42:45], v[6:7], v[34:35], 0
	s_waitcnt vmcnt(6)
	v_cvt_pk_f32_fp8_e32 v[58:59], v4
	v_perm_b32 v6, v49, v48, s5
	v_perm_b32 v7, v53, v52, s5
	v_cvt_pk_f32_fp8_e32 v[48:49], v9
	v_mfma_f32_16x16x16_bf16 v[42:45], v[46:47], v[36:37], v[42:45]
	v_cvt_pk_f32_fp8_sdwa v[46:47], v9 src0_sel:WORD_1
	v_cvt_pk_f32_fp8_sdwa v[62:63], v4 src0_sel:WORD_1
	v_perm_b32 v48, v49, v48, s5
	s_waitcnt lgkmcnt(0)
	v_mfma_f32_16x16x16_bf16 v[6:9], v[6:7], v[38:39], v[42:45]
	v_perm_b32 v49, v47, v46, s5
	s_waitcnt vmcnt(5)
	v_cvt_pk_f32_fp8_sdwa v[66:67], v28 src0_sel:WORD_1
	s_waitcnt vmcnt(4)
	v_cvt_pk_f32_fp8_sdwa v[68:69], v24 src0_sel:WORD_1
	v_cvt_pk_f32_fp8_e32 v[42:43], v2
	v_mfma_f32_16x16x16_bf16 v[46:49], v[48:49], v[40:41], v[6:9]
	s_load_dword s4, s[42:43], 0x0
	s_waitcnt vmcnt(3)
	v_cvt_pk_f32_fp8_sdwa v[70:71], v32 src0_sel:WORD_1
	v_cvt_pk_f32_fp8_sdwa v[6:7], v2 src0_sel:WORD_1
	v_cvt_pk_f32_fp8_e32 v[8:9], v3
	v_perm_b32 v2, v43, v42, s5
	v_cvt_pk_f32_fp8_sdwa v[42:43], v3 src0_sel:WORD_1
	v_perm_b32 v3, v7, v6, s5
	v_perm_b32 v52, v9, v8, s5
	ds_read_b128 v[6:9], v50 offset:2048
	v_perm_b32 v53, v43, v42, s5
	ds_read_b128 v[42:45], v50 offset:2064
	s_waitcnt lgkmcnt(0)
	v_mfma_f32_16x16x16_bf16 v[46:49], v[2:3], v[6:7], v[46:49]
	v_perm_b32 v2, v59, v58, s5
	v_perm_b32 v3, v63, v62, s5
	v_cvt_pk_f32_fp8_e32 v[58:59], v5
	v_mfma_f32_16x16x16_bf16 v[46:49], v[52:53], v[8:9], v[46:49]
	v_cvt_pk_f32_fp8_sdwa v[52:53], v5 src0_sel:WORD_1
	s_mov_b32 s3, 0
	v_perm_b32 v58, v59, v58, s5
	v_mfma_f32_16x16x16_bf16 v[2:5], v[2:3], v[42:43], v[46:49]
	v_perm_b32 v59, v53, v52, s5
	v_cmp_gt_u32_e32 vcc, 64, v0
	s_nop 0
	v_cvt_pk_f32_fp8_e32 v[46:47], v26
	v_mfma_f32_16x16x16_bf16 v[62:65], v[58:59], v[44:45], v[2:5]
	v_cvt_pk_f32_fp8_e32 v[58:59], v28
	s_nop 1
	v_cvt_pk_f32_fp8_sdwa v[2:3], v26 src0_sel:WORD_1
	v_cvt_pk_f32_fp8_e32 v[4:5], v27
	v_perm_b32 v26, v47, v46, s5
	v_cvt_pk_f32_fp8_sdwa v[46:47], v27 src0_sel:WORD_1
	v_perm_b32 v27, v3, v2, s5
	v_perm_b32 v52, v5, v4, s5
	ds_read_b128 v[2:5], v50 offset:4096
	v_perm_b32 v53, v47, v46, s5
	ds_read_b128 v[46:49], v50 offset:4112
	s_waitcnt lgkmcnt(1)
	v_mfma_f32_16x16x16_bf16 v[62:65], v[26:27], v[2:3], v[62:65]
	v_perm_b32 v26, v59, v58, s5
	v_perm_b32 v27, v67, v66, s5
	v_cvt_pk_f32_fp8_e32 v[58:59], v29
	v_mfma_f32_16x16x16_bf16 v[62:65], v[52:53], v[4:5], v[62:65]
	v_cvt_pk_f32_fp8_sdwa v[52:53], v29 src0_sel:WORD_1
	v_cvt_pk_f32_fp8_e32 v[66:67], v24
	v_perm_b32 v58, v59, v58, s5
	s_waitcnt lgkmcnt(0)
	v_mfma_f32_16x16x16_bf16 v[26:29], v[26:27], v[46:47], v[62:65]
	v_perm_b32 v59, v53, v52, s5
	v_cvt_pk_f32_fp8_e32 v[52:53], v22
	s_nop 0
	v_mfma_f32_16x16x16_bf16 v[62:65], v[58:59], v[48:49], v[26:29]
	s_nop 2
	v_cvt_pk_f32_fp8_sdwa v[26:27], v22 src0_sel:WORD_1
	v_cvt_pk_f32_fp8_e32 v[28:29], v23
	v_perm_b32 v22, v53, v52, s5
	v_cvt_pk_f32_fp8_sdwa v[52:53], v23 src0_sel:WORD_1
	v_perm_b32 v23, v27, v26, s5
	v_perm_b32 v58, v29, v28, s5
	ds_read_b128 v[26:29], v50 offset:6144
	v_perm_b32 v59, v53, v52, s5
	s_waitcnt lgkmcnt(0)
	v_mfma_f32_16x16x16_bf16 v[62:65], v[22:23], v[26:27], v[62:65]
	ds_read_b128 v[50:53], v50 offset:6160
	v_perm_b32 v22, v67, v66, s5
	v_perm_b32 v23, v69, v68, s5
	v_cvt_pk_f32_fp8_e32 v[66:67], v25
	v_mfma_f32_16x16x16_bf16 v[62:65], v[58:59], v[28:29], v[62:65]
	v_cvt_pk_f32_fp8_sdwa v[58:59], v25 src0_sel:WORD_1
	v_cvt_pk_f32_fp8_e32 v[68:69], v32
	v_perm_b32 v66, v67, v66, s5
	s_waitcnt lgkmcnt(0)
	v_mfma_f32_16x16x16_bf16 v[22:25], v[22:23], v[50:51], v[62:65]
	v_perm_b32 v67, v59, v58, s5
	v_cvt_pk_f32_fp8_sdwa v[58:59], v30 src0_sel:WORD_1
	s_nop 0
	v_mfma_f32_16x16x16_bf16 v[62:65], v[66:67], v[52:53], v[22:25]
	s_barrier
	s_nop 1
	v_cvt_pk_f32_fp8_e32 v[24:25], v30
	s_nop 2
	v_pk_mul_f32 v[66:67], v[62:63], s[4:5] op_sel_hi:[1,0]
	v_cvt_pk_f32_fp8_e32 v[62:63], v31
	v_perm_b32 v24, v25, v24, s5
	v_perm_b32 v25, v59, v58, s5
	v_cvt_pk_f32_fp8_sdwa v[30:31], v31 src0_sel:WORD_1
	v_perm_b32 v58, v63, v62, s5
	v_pk_mul_f32 v[22:23], v[64:65], s[4:5] op_sel_hi:[1,0]
	v_mfma_f32_16x16x16_bf16 v[62:65], v[24:25], v[34:35], 0
	v_perm_b32 v59, v31, v30, s5
	v_perm_b32 v24, v69, v68, s5
	;; [unrolled: 1-line block ×3, first 2 shown]
	v_cvt_pk_f32_fp8_e32 v[34:35], v33
	v_cvt_pk_f32_fp8_sdwa v[68:69], v33 src0_sel:WORD_1
	v_mfma_f32_16x16x16_bf16 v[30:33], v[58:59], v[36:37], v[62:65]
	s_waitcnt vmcnt(2)
	v_cvt_pk_f32_fp8_sdwa v[36:37], v18 src0_sel:WORD_1
	v_perm_b32 v34, v35, v34, s5
	v_perm_b32 v35, v69, v68, s5
	v_mfma_f32_16x16x16_bf16 v[30:33], v[24:25], v[38:39], v[30:33]
	v_cvt_pk_f32_fp8_e32 v[24:25], v18
	v_cvt_pk_f32_fp8_sdwa v[38:39], v20 src0_sel:WORD_1
	v_bfe_u32 v57, v67, 16, 1
	v_mfma_f32_16x16x16_bf16 v[30:33], v[34:35], v[40:41], v[30:33]
	v_cvt_pk_f32_fp8_e32 v[34:35], v19
	v_perm_b32 v24, v25, v24, s5
	v_perm_b32 v25, v37, v36, s5
	v_cvt_pk_f32_fp8_sdwa v[18:19], v19 src0_sel:WORD_1
	v_perm_b32 v34, v35, v34, s5
	v_cvt_pk_f32_fp8_e32 v[36:37], v20
	v_mfma_f32_16x16x16_bf16 v[30:33], v[24:25], v[6:7], v[30:33]
	v_perm_b32 v35, v19, v18, s5
	v_perm_b32 v18, v37, v36, s5
	;; [unrolled: 1-line block ×3, first 2 shown]
	v_cvt_pk_f32_fp8_e32 v[24:25], v21
	v_cvt_pk_f32_fp8_sdwa v[20:21], v21 src0_sel:WORD_1
	v_mfma_f32_16x16x16_bf16 v[6:9], v[34:35], v[8:9], v[30:33]
	v_bfe_u32 v58, v66, 16, 1
	v_perm_b32 v24, v25, v24, s5
	v_perm_b32 v25, v21, v20, s5
	v_mfma_f32_16x16x16_bf16 v[6:9], v[18:19], v[42:43], v[6:9]
	s_waitcnt vmcnt(1)
	v_cvt_pk_f32_fp8_e32 v[18:19], v14
	v_cvt_pk_f32_fp8_sdwa v[20:21], v14 src0_sel:WORD_1
	v_cvt_pk_f32_fp8_sdwa v[30:31], v16 src0_sel:WORD_1
	v_mfma_f32_16x16x16_bf16 v[6:9], v[24:25], v[44:45], v[6:9]
	v_cvt_pk_f32_fp8_e32 v[24:25], v15
	v_perm_b32 v18, v19, v18, s5
	v_perm_b32 v19, v21, v20, s5
	v_cvt_pk_f32_fp8_sdwa v[14:15], v15 src0_sel:WORD_1
	v_perm_b32 v20, v25, v24, s5
	v_cvt_pk_f32_fp8_e32 v[24:25], v16
	v_mfma_f32_16x16x16_bf16 v[6:9], v[18:19], v[2:3], v[6:9]
	v_perm_b32 v21, v15, v14, s5
	v_perm_b32 v14, v25, v24, s5
	;; [unrolled: 1-line block ×3, first 2 shown]
	v_cvt_pk_f32_fp8_e32 v[18:19], v17
	v_cvt_pk_f32_fp8_sdwa v[16:17], v17 src0_sel:WORD_1
	v_mfma_f32_16x16x16_bf16 v[2:5], v[20:21], v[4:5], v[6:9]
	v_add3_u32 v32, v66, v58, s9
	v_add3_u32 v33, v67, v57, s9
	s_nop 0
	v_perm_b32 v8, v19, v18, s5
	v_perm_b32 v9, v17, v16, s5
	v_mfma_f32_16x16x16_bf16 v[2:5], v[14:15], v[46:47], v[2:5]
	s_waitcnt vmcnt(0)
	v_cvt_pk_f32_fp8_e32 v[14:15], v10
	v_cvt_pk_f32_fp8_sdwa v[16:17], v10 src0_sel:WORD_1
	v_cvt_pk_f32_fp8_sdwa v[18:19], v12 src0_sel:WORD_1
	v_mfma_f32_16x16x16_bf16 v[2:5], v[8:9], v[48:49], v[2:5]
	v_cvt_pk_f32_fp8_e32 v[8:9], v11
	v_perm_b32 v14, v15, v14, s5
	v_perm_b32 v15, v17, v16, s5
	v_cvt_pk_f32_fp8_sdwa v[10:11], v11 src0_sel:WORD_1
	v_perm_b32 v8, v9, v8, s5
	v_cvt_pk_f32_fp8_e32 v[16:17], v12
	v_mfma_f32_16x16x16_bf16 v[2:5], v[14:15], v[26:27], v[2:5]
	v_perm_b32 v9, v11, v10, s5
	v_perm_b32 v10, v17, v16, s5
	;; [unrolled: 1-line block ×3, first 2 shown]
	v_cvt_pk_f32_fp8_e32 v[14:15], v13
	v_cvt_pk_f32_fp8_sdwa v[12:13], v13 src0_sel:WORD_1
	v_mfma_f32_16x16x16_bf16 v[2:5], v[8:9], v[28:29], v[2:5]
	v_bfe_u32 v7, v23, 16, 1
	v_perm_b32 v8, v15, v14, s5
	v_perm_b32 v9, v13, v12, s5
	v_mfma_f32_16x16x16_bf16 v[2:5], v[10:11], v[50:51], v[2:5]
	v_bfe_u32 v16, v22, 16, 1
	v_add3_u32 v10, v22, v16, s9
	v_add3_u32 v7, v23, v7, s9
	v_mfma_f32_16x16x16_bf16 v[2:5], v[8:9], v[52:53], v[2:5]
	v_perm_b32 v6, v33, v32, s5
	v_perm_b32 v7, v7, v10, s5
	s_nop 4
	v_pk_mul_f32 v[2:3], v[2:3], s[4:5] op_sel_hi:[1,0]
	v_pk_mul_f32 v[4:5], v[4:5], s[4:5] op_sel_hi:[1,0]
	v_bfe_u32 v8, v3, 16, 1
	v_bfe_u32 v9, v2, 16, 1
	v_add3_u32 v2, v2, v9, s9
	v_add3_u32 v3, v3, v8, s9
	v_perm_b32 v2, v3, v2, s5
	v_bfe_u32 v3, v5, 16, 1
	v_bfe_u32 v8, v4, 16, 1
	v_add3_u32 v4, v4, v8, s9
	v_add3_u32 v3, v5, v3, s9
	v_perm_b32 v3, v3, v4, s5
	ds_write2st64_b64 v55, v[6:7], v[2:3] offset1:1
	s_waitcnt lgkmcnt(0)
	s_barrier
	s_and_saveexec_b64 s[4:5], vcc
	s_cbranch_execz .LBB1254_20
; %bb.18:
	s_load_dwordx2 s[4:5], s[0:1], 0x68
	s_lshl_b32 s0, s7, 7
	s_mul_i32 s1, s8, s2
	v_lshlrev_b32_e32 v3, 6, v56
	s_mul_hi_u32 s9, s1, s0
	s_mul_i32 s8, s1, s0
	v_lshl_or_b32 v0, v0, 10, v3
	s_lshl_b64 s[8:9], s[8:9], 1
	v_lshlrev_b32_e32 v2, 5, v60
	v_and_b32_e32 v1, 16, v1
	v_and_b32_e32 v0, 0x1a00, v0
	s_waitcnt lgkmcnt(0)
	s_add_u32 s1, s4, s8
	v_or3_b32 v2, v0, v2, v1
	s_addc_u32 s4, s5, s9
	s_lshl_b32 s2, s6, 7
	s_lshl_b64 s[2:3], s[2:3], 1
	ds_read_b128 v[4:7], v2
	s_add_u32 s2, s1, s2
	s_addc_u32 s3, s4, s3
	v_mov_b32_e32 v55, 0
	v_add_u32_e32 v3, s48, v60
	v_lshl_add_u64 v[0:1], s[2:3], 0, v[54:55]
	v_mad_u64_u32 v[8:9], s[2:3], v3, s0, 0
	v_lshl_add_u64 v[8:9], v[8:9], 1, v[0:1]
	v_cmp_ne_u32_e32 vcc, 3, v60
	s_waitcnt lgkmcnt(0)
	global_store_dwordx4 v[8:9], v[4:7], off
	s_and_b64 exec, exec, vcc
	s_cbranch_execz .LBB1254_20
; %bb.19:
	ds_read_b128 v[2:5], v2 offset:128
	v_add3_u32 v6, s48, v60, 4
	v_mad_u64_u32 v[6:7], s[0:1], v6, s0, 0
	v_lshl_add_u64 v[0:1], v[6:7], 1, v[0:1]
	s_waitcnt lgkmcnt(0)
	global_store_dwordx4 v[0:1], v[2:5], off
.LBB1254_20:
	s_endpgm
	.section	.rodata,"a",@progbits
	.p2align	6, 0x0
	.amdhsa_kernel _Z39paged_attention_ll4mi_QKV_mfma16_kernelI14__hip_bfloat16hLN4vllm18Fp8KVCacheDataTypeE1EhLi16ELi128ELi256ELb1ELi7EEvPKT_PKT0_S8_ifPKiSA_SA_iPKfiiiPfSD_PS3_PT2_iSC_SC_
		.amdhsa_group_segment_fixed_size 8192
		.amdhsa_private_segment_fixed_size 0
		.amdhsa_kernarg_size 400
		.amdhsa_user_sgpr_count 2
		.amdhsa_user_sgpr_dispatch_ptr 0
		.amdhsa_user_sgpr_queue_ptr 0
		.amdhsa_user_sgpr_kernarg_segment_ptr 1
		.amdhsa_user_sgpr_dispatch_id 0
		.amdhsa_user_sgpr_kernarg_preload_length 0
		.amdhsa_user_sgpr_kernarg_preload_offset 0
		.amdhsa_user_sgpr_private_segment_size 0
		.amdhsa_uses_dynamic_stack 0
		.amdhsa_enable_private_segment 0
		.amdhsa_system_sgpr_workgroup_id_x 1
		.amdhsa_system_sgpr_workgroup_id_y 1
		.amdhsa_system_sgpr_workgroup_id_z 1
		.amdhsa_system_sgpr_workgroup_info 0
		.amdhsa_system_vgpr_workitem_id 0
		.amdhsa_next_free_vgpr 76
		.amdhsa_next_free_sgpr 50
		.amdhsa_accum_offset 76
		.amdhsa_reserve_vcc 1
		.amdhsa_float_round_mode_32 0
		.amdhsa_float_round_mode_16_64 0
		.amdhsa_float_denorm_mode_32 3
		.amdhsa_float_denorm_mode_16_64 3
		.amdhsa_dx10_clamp 1
		.amdhsa_ieee_mode 1
		.amdhsa_fp16_overflow 0
		.amdhsa_tg_split 0
		.amdhsa_exception_fp_ieee_invalid_op 0
		.amdhsa_exception_fp_denorm_src 0
		.amdhsa_exception_fp_ieee_div_zero 0
		.amdhsa_exception_fp_ieee_overflow 0
		.amdhsa_exception_fp_ieee_underflow 0
		.amdhsa_exception_fp_ieee_inexact 0
		.amdhsa_exception_int_div_zero 0
	.end_amdhsa_kernel
	.section	.text._Z39paged_attention_ll4mi_QKV_mfma16_kernelI14__hip_bfloat16hLN4vllm18Fp8KVCacheDataTypeE1EhLi16ELi128ELi256ELb1ELi7EEvPKT_PKT0_S8_ifPKiSA_SA_iPKfiiiPfSD_PS3_PT2_iSC_SC_,"axG",@progbits,_Z39paged_attention_ll4mi_QKV_mfma16_kernelI14__hip_bfloat16hLN4vllm18Fp8KVCacheDataTypeE1EhLi16ELi128ELi256ELb1ELi7EEvPKT_PKT0_S8_ifPKiSA_SA_iPKfiiiPfSD_PS3_PT2_iSC_SC_,comdat
.Lfunc_end1254:
	.size	_Z39paged_attention_ll4mi_QKV_mfma16_kernelI14__hip_bfloat16hLN4vllm18Fp8KVCacheDataTypeE1EhLi16ELi128ELi256ELb1ELi7EEvPKT_PKT0_S8_ifPKiSA_SA_iPKfiiiPfSD_PS3_PT2_iSC_SC_, .Lfunc_end1254-_Z39paged_attention_ll4mi_QKV_mfma16_kernelI14__hip_bfloat16hLN4vllm18Fp8KVCacheDataTypeE1EhLi16ELi128ELi256ELb1ELi7EEvPKT_PKT0_S8_ifPKiSA_SA_iPKfiiiPfSD_PS3_PT2_iSC_SC_
                                        ; -- End function
	.section	.AMDGPU.csdata,"",@progbits
; Kernel info:
; codeLenInByte = 6600
; NumSgprs: 56
; NumVgprs: 76
; NumAgprs: 0
; TotalNumVgprs: 76
; ScratchSize: 0
; MemoryBound: 0
; FloatMode: 240
; IeeeMode: 1
; LDSByteSize: 8192 bytes/workgroup (compile time only)
; SGPRBlocks: 6
; VGPRBlocks: 9
; NumSGPRsForWavesPerEU: 56
; NumVGPRsForWavesPerEU: 76
; AccumOffset: 76
; Occupancy: 6
; WaveLimiterHint : 1
; COMPUTE_PGM_RSRC2:SCRATCH_EN: 0
; COMPUTE_PGM_RSRC2:USER_SGPR: 2
; COMPUTE_PGM_RSRC2:TRAP_HANDLER: 0
; COMPUTE_PGM_RSRC2:TGID_X_EN: 1
; COMPUTE_PGM_RSRC2:TGID_Y_EN: 1
; COMPUTE_PGM_RSRC2:TGID_Z_EN: 1
; COMPUTE_PGM_RSRC2:TIDIG_COMP_CNT: 0
; COMPUTE_PGM_RSRC3_GFX90A:ACCUM_OFFSET: 18
; COMPUTE_PGM_RSRC3_GFX90A:TG_SPLIT: 0
	.section	.text._Z39paged_attention_ll4mi_QKV_mfma16_kernelI14__hip_bfloat16hLN4vllm18Fp8KVCacheDataTypeE1EhLi16ELi128ELi256ELb1ELi8EEvPKT_PKT0_S8_ifPKiSA_SA_iPKfiiiPfSD_PS3_PT2_iSC_SC_,"axG",@progbits,_Z39paged_attention_ll4mi_QKV_mfma16_kernelI14__hip_bfloat16hLN4vllm18Fp8KVCacheDataTypeE1EhLi16ELi128ELi256ELb1ELi8EEvPKT_PKT0_S8_ifPKiSA_SA_iPKfiiiPfSD_PS3_PT2_iSC_SC_,comdat
	.protected	_Z39paged_attention_ll4mi_QKV_mfma16_kernelI14__hip_bfloat16hLN4vllm18Fp8KVCacheDataTypeE1EhLi16ELi128ELi256ELb1ELi8EEvPKT_PKT0_S8_ifPKiSA_SA_iPKfiiiPfSD_PS3_PT2_iSC_SC_ ; -- Begin function _Z39paged_attention_ll4mi_QKV_mfma16_kernelI14__hip_bfloat16hLN4vllm18Fp8KVCacheDataTypeE1EhLi16ELi128ELi256ELb1ELi8EEvPKT_PKT0_S8_ifPKiSA_SA_iPKfiiiPfSD_PS3_PT2_iSC_SC_
	.globl	_Z39paged_attention_ll4mi_QKV_mfma16_kernelI14__hip_bfloat16hLN4vllm18Fp8KVCacheDataTypeE1EhLi16ELi128ELi256ELb1ELi8EEvPKT_PKT0_S8_ifPKiSA_SA_iPKfiiiPfSD_PS3_PT2_iSC_SC_
	.p2align	8
	.type	_Z39paged_attention_ll4mi_QKV_mfma16_kernelI14__hip_bfloat16hLN4vllm18Fp8KVCacheDataTypeE1EhLi16ELi128ELi256ELb1ELi8EEvPKT_PKT0_S8_ifPKiSA_SA_iPKfiiiPfSD_PS3_PT2_iSC_SC_,@function
_Z39paged_attention_ll4mi_QKV_mfma16_kernelI14__hip_bfloat16hLN4vllm18Fp8KVCacheDataTypeE1EhLi16ELi128ELi256ELb1ELi8EEvPKT_PKT0_S8_ifPKiSA_SA_iPKfiiiPfSD_PS3_PT2_iSC_SC_: ; @_Z39paged_attention_ll4mi_QKV_mfma16_kernelI14__hip_bfloat16hLN4vllm18Fp8KVCacheDataTypeE1EhLi16ELi128ELi256ELb1ELi8EEvPKT_PKT0_S8_ifPKiSA_SA_iPKfiiiPfSD_PS3_PT2_iSC_SC_
; %bb.0:
	s_load_dwordx2 s[8:9], s[0:1], 0x30
	s_mov_b32 s10, s3
	s_mov_b64 s[6:7], 0
	s_waitcnt lgkmcnt(0)
	s_cmp_lg_u64 s[8:9], 0
	s_cselect_b64 s[12:13], -1, 0
	s_and_b64 vcc, exec, s[12:13]
	s_cbranch_vccz .LBB1255_7
; %bb.1:
	s_add_i32 s14, s2, 1
	s_mov_b32 s15, 0
	s_lshl_b64 s[16:17], s[14:15], 2
	s_add_u32 s16, s8, s16
	s_mov_b32 s3, s15
	s_addc_u32 s17, s9, s17
	s_lshl_b64 s[14:15], s[2:3], 2
	s_add_u32 s14, s8, s14
	s_addc_u32 s15, s9, s15
	s_load_dword s5, s[16:17], 0x0
	s_load_dword s11, s[14:15], 0x0
	s_waitcnt lgkmcnt(0)
	s_sub_i32 s5, s5, s11
	s_cmp_eq_u32 s5, 1
	s_cselect_b64 s[14:15], -1, 0
	s_andn2_b64 vcc, exec, s[6:7]
	s_cbranch_vccnz .LBB1255_3
.LBB1255_2:
	s_mov_b32 s3, 0
	s_mov_b64 s[14:15], -1
.LBB1255_3:
	s_andn2_b64 vcc, exec, s[14:15]
	s_cbranch_vccnz .LBB1255_19
; %bb.4:
	s_load_dwordx2 s[6:7], s[0:1], 0x28
	s_lshl_b64 s[14:15], s[2:3], 2
	s_waitcnt lgkmcnt(0)
	s_add_u32 s6, s6, s14
	s_addc_u32 s7, s7, s15
	s_load_dword s33, s[6:7], 0x0
	s_lshl_b32 s18, s10, 8
	s_waitcnt lgkmcnt(0)
	s_cmp_ge_i32 s18, s33
	s_cbranch_scc1 .LBB1255_19
; %bb.5:
	s_load_dwordx2 s[6:7], s[0:1], 0x20
	s_load_dword s5, s[0:1], 0x38
	s_add_i32 s11, s33, 15
	s_ashr_i32 s16, s11, 31
	v_and_b32_e32 v1, 0xcf, v0
	s_lshr_b32 s16, s16, 28
	v_add_u32_e32 v1, s18, v1
	s_add_i32 s11, s11, s16
	v_ashrrev_i32_e32 v2, 31, v1
	s_ashr_i32 s19, s11, 4
	v_lshrrev_b32_e32 v4, 28, v2
	s_add_i32 s19, s19, -1
	s_waitcnt lgkmcnt(0)
	s_mul_i32 s16, s2, s5
	s_mov_b32 s17, 0
	v_add_u32_e32 v2, v1, v4
	s_lshl_b64 s[16:17], s[16:17], 2
	v_ashrrev_i32_e32 v2, 4, v2
	v_mov_b32_e32 v5, s19
	v_cmp_gt_i32_e32 vcc, s33, v1
	s_add_u32 s6, s6, s16
	s_addc_u32 s7, s7, s17
	v_cndmask_b32_e32 v2, v5, v2, vcc
	v_ashrrev_i32_e32 v3, 31, v2
	v_lshl_add_u64 v[6:7], v[2:3], 2, s[6:7]
	v_or_b32_e32 v2, 16, v1
	v_add_u32_e32 v3, v2, v4
	v_ashrrev_i32_e32 v3, 4, v3
	v_cmp_gt_i32_e32 vcc, s33, v2
	s_load_dwordx2 s[16:17], s[0:1], 0x8
	s_nop 0
	v_cndmask_b32_e32 v2, v5, v3, vcc
	v_ashrrev_i32_e32 v3, 31, v2
	v_lshl_add_u64 v[8:9], v[2:3], 2, s[6:7]
	v_or_b32_e32 v2, 32, v1
	v_add_u32_e32 v3, v2, v4
	v_ashrrev_i32_e32 v3, 4, v3
	v_cmp_gt_i32_e32 vcc, s33, v2
	v_or_b32_e32 v1, 48, v1
	s_nop 0
	v_cndmask_b32_e32 v2, v5, v3, vcc
	v_ashrrev_i32_e32 v3, 31, v2
	v_lshl_add_u64 v[10:11], v[2:3], 2, s[6:7]
	v_add_u32_e32 v2, v1, v4
	v_ashrrev_i32_e32 v2, 4, v2
	v_cmp_gt_i32_e32 vcc, s33, v1
	s_nop 1
	v_cndmask_b32_e32 v2, v5, v2, vcc
	v_ashrrev_i32_e32 v3, 31, v2
	v_lshl_add_u64 v[12:13], v[2:3], 2, s[6:7]
	global_load_dword v4, v[6:7], off
	global_load_dword v3, v[8:9], off
	;; [unrolled: 1-line block ×4, first 2 shown]
	s_andn2_b64 vcc, exec, s[12:13]
	s_cbranch_vccnz .LBB1255_8
; %bb.6:
	s_add_u32 s8, s8, s14
	s_addc_u32 s9, s9, s15
	s_load_dword s5, s[8:9], 0x0
	s_branch .LBB1255_9
.LBB1255_7:
	s_mov_b64 s[14:15], 0
	s_branch .LBB1255_2
.LBB1255_8:
	s_mov_b32 s5, s2
.LBB1255_9:
	s_load_dwordx2 s[8:9], s[0:1], 0x10
	s_load_dwordx4 s[44:47], s[0:1], 0x48
	v_and_b32_e32 v60, 15, v0
	v_lshlrev_b32_e32 v5, 3, v60
	s_movk_i32 s12, 0x80
	v_lshrrev_b32_e32 v62, 6, v0
	v_bfe_u32 v1, v0, 4, 2
	s_lshl_b32 s11, s4, 3
	v_cmp_gt_u32_e32 vcc, s12, v0
	v_lshlrev_b32_e32 v54, 1, v5
	v_lshlrev_b32_e32 v61, 4, v0
	s_and_saveexec_b64 s[12:13], vcc
	s_cbranch_execz .LBB1255_11
; %bb.10:
	s_load_dwordx2 s[14:15], s[0:1], 0x0
	s_waitcnt lgkmcnt(0)
	s_ashr_i32 s20, s44, 31
	s_mul_hi_u32 s21, s5, s44
	s_mul_i32 s20, s5, s20
	s_add_i32 s21, s21, s20
	s_mul_i32 s20, s5, s44
	v_lshl_or_b32 v5, v62, 2, v1
	s_lshl_b64 s[20:21], s[20:21], 1
	s_add_u32 s14, s14, s20
	v_add_lshl_u32 v6, v5, s11, 7
	s_addc_u32 s15, s15, s21
	v_ashrrev_i32_e32 v7, 31, v6
	v_lshl_add_u64 v[6:7], v[6:7], 1, s[14:15]
	v_mov_b32_e32 v55, 0
	v_lshl_add_u64 v[6:7], v[6:7], 0, v[54:55]
	global_load_dwordx4 v[6:9], v[6:7], off
	v_lshlrev_b32_e32 v11, 8, v0
	v_lshlrev_b32_e32 v10, 8, v60
	v_and_b32_e32 v11, 0x600, v11
	s_movk_i32 s5, 0x800
	v_and_or_b32 v10, v10, s5, v11
	v_lshlrev_b32_e32 v5, 5, v5
	v_and_b32_e32 v11, 16, v61
	v_or3_b32 v5, v10, v5, v11
	s_waitcnt vmcnt(0)
	ds_write_b128 v5, v[6:9]
.LBB1255_11:
	s_or_b64 exec, exec, s[12:13]
	s_waitcnt lgkmcnt(0)
	s_mul_i32 s12, s4, s46
	s_add_u32 s4, s16, s12
	s_addc_u32 s5, s17, 0
	v_and_b32_e32 v56, 0xf0, v61
	v_mov_b32_e32 v57, 0
	v_and_b32_e32 v46, 48, v0
	v_lshl_add_u64 v[20:21], s[4:5], 0, v[56:57]
	v_lshlrev_b32_e32 v56, 4, v46
	s_waitcnt vmcnt(3)
	v_mad_i64_i32 v[4:5], s[4:5], v4, s45, v[20:21]
	v_lshl_add_u64 v[4:5], v[4:5], 0, v[56:57]
	s_barrier
	global_load_dwordx4 v[42:45], v[4:5], off
	global_load_dwordx4 v[14:17], v[4:5], off offset:1024
	s_waitcnt vmcnt(4)
	v_mad_i64_i32 v[4:5], s[4:5], v3, s45, v[20:21]
	s_waitcnt vmcnt(3)
	v_mad_i64_i32 v[2:3], s[4:5], v2, s45, v[20:21]
	s_waitcnt vmcnt(2)
	v_mad_i64_i32 v[18:19], s[4:5], v18, s45, v[20:21]
	v_lshl_add_u64 v[4:5], v[4:5], 0, v[56:57]
	v_lshl_add_u64 v[22:23], v[2:3], 0, v[56:57]
	;; [unrolled: 1-line block ×3, first 2 shown]
	global_load_dwordx4 v[10:13], v[4:5], off
	global_load_dwordx4 v[6:9], v[4:5], off offset:1024
	s_nop 0
	global_load_dwordx4 v[2:5], v[22:23], off
	global_load_dwordx4 v[50:53], v[22:23], off offset:1024
	global_load_dwordx4 v[34:37], v[18:19], off
	s_nop 0
	global_load_dwordx4 v[22:25], v[18:19], off offset:1024
	v_and_b32_e32 v18, 7, v0
	v_lshlrev_b32_e32 v18, 5, v18
	v_lshl_or_b32 v18, v1, 9, v18
	ds_read_b128 v[38:41], v18
	ds_read_b128 v[30:33], v18 offset:16
	ds_read_b128 v[26:29], v18 offset:2048
	;; [unrolled: 1-line block ×3, first 2 shown]
	v_and_b32_e32 v55, 63, v0
	v_cmp_gt_u32_e32 vcc, 8, v60
	v_mov_b32_e32 v63, 0
	s_and_saveexec_b64 s[4:5], vcc
	s_cbranch_execz .LBB1255_13
; %bb.12:
	s_load_dwordx2 s[14:15], s[0:1], 0x40
	v_or_b32_e32 v48, s11, v60
	v_ashrrev_i32_e32 v49, 31, v48
	s_waitcnt lgkmcnt(0)
	v_lshl_add_u64 v[48:49], v[48:49], 2, s[14:15]
	global_load_dword v63, v[48:49], off
.LBB1255_13:
	s_or_b64 exec, exec, s[4:5]
	s_waitcnt vmcnt(7)
	v_cvt_pk_f32_fp8_e32 v[58:59], v42
	v_cvt_pk_f32_fp8_sdwa v[66:67], v42 src0_sel:WORD_1
	s_mov_b32 s44, 0x7060302
	v_cvt_pk_f32_fp8_e32 v[68:69], v43
	v_perm_b32 v58, v59, v58, s44
	v_perm_b32 v59, v67, v66, s44
	v_cvt_pk_f32_fp8_sdwa v[42:43], v43 src0_sel:WORD_1
	v_perm_b32 v70, v69, v68, s44
	v_cvt_pk_f32_fp8_e32 v[72:73], v44
	v_cvt_pk_f32_fp8_sdwa v[74:75], v44 src0_sel:WORD_1
	v_perm_b32 v71, v43, v42, s44
	s_waitcnt lgkmcnt(3)
	v_mfma_f32_16x16x16_bf16 v[66:69], v[58:59], v[38:39], 0
	v_or_b32_e32 v56, s18, v46
	v_ashrrev_i32_e32 v46, 4, v56
	v_mov_b32_e32 v65, s19
	v_cmp_gt_i32_e32 vcc, s33, v56
	v_perm_b32 v58, v73, v72, s44
	v_perm_b32 v59, v75, v74, s44
	v_cvt_pk_f32_fp8_e32 v[72:73], v45
	v_cvt_pk_f32_fp8_sdwa v[74:75], v45 src0_sel:WORD_1
	v_cndmask_b32_e32 v46, v65, v46, vcc
	v_mfma_f32_16x16x16_bf16 v[42:45], v[70:71], v[40:41], v[66:69]
	v_ashrrev_i32_e32 v47, 31, v46
	v_lshl_add_u64 v[46:47], v[46:47], 2, s[6:7]
	global_load_dword v64, v[46:47], off
	v_or_b32_e32 v46, 64, v56
	v_perm_b32 v66, v73, v72, s44
	v_perm_b32 v67, v75, v74, s44
	v_ashrrev_i32_e32 v47, 4, v46
	v_cmp_gt_i32_e32 vcc, s33, v46
	s_waitcnt lgkmcnt(2)
	v_mfma_f32_16x16x16_bf16 v[42:45], v[58:59], v[30:31], v[42:45]
	s_waitcnt vmcnt(7)
	v_cvt_pk_f32_fp8_sdwa v[70:71], v14 src0_sel:WORD_1
	v_cndmask_b32_e32 v46, v65, v47, vcc
	v_ashrrev_i32_e32 v47, 31, v46
	v_lshl_add_u64 v[48:49], v[46:47], 2, s[6:7]
	v_or_b32_e32 v46, 0x80, v56
	v_mfma_f32_16x16x16_bf16 v[42:45], v[66:67], v[32:33], v[42:45]
	global_load_dword v66, v[48:49], off
	v_ashrrev_i32_e32 v47, 4, v46
	v_cmp_gt_i32_e32 vcc, s33, v46
	v_or_b32_e32 v56, 0xc0, v56
	v_ashrrev_i32_e32 v68, 4, v56
	v_cndmask_b32_e32 v46, v65, v47, vcc
	v_cmp_gt_i32_e32 vcc, s33, v56
	v_ashrrev_i32_e32 v47, 31, v46
	v_lshl_add_u64 v[46:47], v[46:47], 2, s[6:7]
	v_cndmask_b32_e32 v58, v65, v68, vcc
	v_cvt_pk_f32_fp8_e32 v[68:69], v14
	v_ashrrev_i32_e32 v59, 31, v58
	v_lshl_add_u64 v[58:59], v[58:59], 2, s[6:7]
	v_cvt_pk_f32_fp8_sdwa v[72:73], v16 src0_sel:WORD_1
	v_perm_b32 v68, v69, v68, s44
	v_perm_b32 v69, v71, v70, s44
	v_cvt_pk_f32_fp8_e32 v[70:71], v16
	v_cvt_pk_f32_fp8_sdwa v[74:75], v17 src0_sel:WORD_1
	s_waitcnt lgkmcnt(1)
	v_mfma_f32_16x16x16_bf16 v[42:45], v[68:69], v[26:27], v[42:45]
	global_load_dword v68, v[58:59], off
	global_load_dword v67, v[46:47], off
	v_cvt_pk_f32_fp8_e32 v[48:49], v15
	v_cvt_pk_f32_fp8_sdwa v[14:15], v15 src0_sel:WORD_1
	v_perm_b32 v70, v71, v70, s44
	v_perm_b32 v71, v73, v72, s44
	;; [unrolled: 1-line block ×4, first 2 shown]
	v_cvt_pk_f32_fp8_e32 v[72:73], v17
	s_waitcnt vmcnt(9)
	v_cvt_pk_f32_fp8_e32 v[46:47], v10
	v_mfma_f32_16x16x16_bf16 v[14:17], v[48:49], v[28:29], v[42:45]
	v_cvt_pk_f32_fp8_sdwa v[48:49], v10 src0_sel:WORD_1
	s_nop 1
	v_perm_b32 v42, v73, v72, s44
	v_perm_b32 v43, v75, v74, s44
	s_waitcnt lgkmcnt(0)
	v_mfma_f32_16x16x16_bf16 v[14:17], v[70:71], v[18:19], v[14:17]
	v_cvt_pk_f32_fp8_sdwa v[58:59], v12 src0_sel:WORD_1
	v_cvt_pk_f32_fp8_sdwa v[70:71], v13 src0_sel:WORD_1
	s_add_u32 s4, s8, s12
	v_mfma_f32_16x16x16_bf16 v[42:45], v[42:43], v[20:21], v[14:17]
	v_lshl_or_b32 v65, v62, 4, v60
	s_waitcnt vmcnt(7)
	v_cvt_pk_f32_fp8_e32 v[72:73], v5
	s_addc_u32 s5, s9, 0
	v_cvt_pk_f32_fp8_e32 v[14:15], v11
	v_perm_b32 v16, v47, v46, s44
	v_perm_b32 v17, v49, v48, s44
	v_cvt_pk_f32_fp8_sdwa v[10:11], v11 src0_sel:WORD_1
	v_perm_b32 v46, v15, v14, s44
	v_cvt_pk_f32_fp8_e32 v[48:49], v12
	v_mfma_f32_16x16x16_bf16 v[14:17], v[16:17], v[38:39], 0
	v_perm_b32 v47, v11, v10, s44
	v_perm_b32 v48, v49, v48, s44
	v_perm_b32 v49, v59, v58, s44
	v_cvt_pk_f32_fp8_e32 v[58:59], v13
	v_mfma_f32_16x16x16_bf16 v[10:13], v[46:47], v[40:41], v[14:17]
	v_cvt_pk_f32_fp8_sdwa v[46:47], v6 src0_sel:WORD_1
	v_lshlrev_b32_e32 v56, 4, v65
	s_nop 0
	v_perm_b32 v14, v59, v58, s44
	v_perm_b32 v15, v71, v70, s44
	v_mfma_f32_16x16x16_bf16 v[10:13], v[48:49], v[30:31], v[10:13]
	v_cvt_pk_f32_fp8_e32 v[16:17], v6
	v_cvt_pk_f32_fp8_sdwa v[48:49], v8 src0_sel:WORD_1
	v_lshl_add_u64 v[58:59], s[4:5], 0, v[56:57]
	v_mfma_f32_16x16x16_bf16 v[10:13], v[14:15], v[32:33], v[10:13]
	v_cvt_pk_f32_fp8_e32 v[14:15], v7
	v_perm_b32 v16, v17, v16, s44
	v_perm_b32 v17, v47, v46, s44
	v_cvt_pk_f32_fp8_sdwa v[6:7], v7 src0_sel:WORD_1
	v_perm_b32 v14, v15, v14, s44
	v_cvt_pk_f32_fp8_e32 v[46:47], v8
	v_mfma_f32_16x16x16_bf16 v[10:13], v[16:17], v[26:27], v[10:13]
	v_perm_b32 v15, v7, v6, s44
	v_perm_b32 v16, v47, v46, s44
	v_perm_b32 v17, v49, v48, s44
	v_cvt_pk_f32_fp8_e32 v[46:47], v9
	v_cvt_pk_f32_fp8_sdwa v[48:49], v9 src0_sel:WORD_1
	v_mfma_f32_16x16x16_bf16 v[6:9], v[14:15], v[28:29], v[10:13]
	v_cvt_pk_f32_fp8_sdwa v[14:15], v2 src0_sel:WORD_1
	s_waitcnt vmcnt(2)
	v_mad_i64_i32 v[70:71], s[6:7], v66, s45, v[58:59]
	v_perm_b32 v10, v47, v46, s44
	v_perm_b32 v11, v49, v48, s44
	v_mfma_f32_16x16x16_bf16 v[6:9], v[16:17], v[18:19], v[6:9]
	v_cvt_pk_f32_fp8_e32 v[12:13], v2
	v_cvt_pk_f32_fp8_sdwa v[78:79], v52 src0_sel:WORD_1
	v_or_b32_e32 v56, 0x400, v56
	v_mfma_f32_16x16x16_bf16 v[46:49], v[10:11], v[20:21], v[6:9]
	v_mad_i64_i32 v[10:11], s[6:7], v64, s45, v[58:59]
	s_waitcnt vmcnt(0)
	v_mad_i64_i32 v[74:75], s[6:7], v67, s45, v[58:59]
	v_perm_b32 v6, v13, v12, s44
	v_perm_b32 v7, v15, v14, s44
	v_cvt_pk_f32_fp8_e32 v[8:9], v3
	v_cvt_pk_f32_fp8_sdwa v[2:3], v3 src0_sel:WORD_1
	v_cvt_pk_f32_fp8_sdwa v[14:15], v4 src0_sel:WORD_1
	v_mad_i64_i32 v[58:59], s[6:7], v68, s45, v[58:59]
	v_perm_b32 v12, v9, v8, s44
	v_perm_b32 v13, v3, v2, s44
	v_cvt_pk_f32_fp8_e32 v[2:3], v4
	v_mfma_f32_16x16x16_bf16 v[6:9], v[6:7], v[38:39], 0
	v_cvt_pk_f32_fp8_sdwa v[4:5], v5 src0_sel:WORD_1
	v_perm_b32 v2, v3, v2, s44
	v_perm_b32 v3, v15, v14, s44
	v_mfma_f32_16x16x16_bf16 v[6:9], v[12:13], v[40:41], v[6:9]
	global_load_dwordx4 v[14:17], v[10:11], off
	s_nop 0
	global_load_dwordx4 v[10:13], v[70:71], off
	v_perm_b32 v70, v73, v72, s44
	v_perm_b32 v71, v5, v4, s44
	v_mfma_f32_16x16x16_bf16 v[2:5], v[2:3], v[30:31], v[6:9]
	s_nop 2
	v_cvt_pk_f32_fp8_e32 v[6:7], v50
	v_cvt_pk_f32_fp8_sdwa v[8:9], v50 src0_sel:WORD_1
	v_mfma_f32_16x16x16_bf16 v[2:5], v[70:71], v[32:33], v[2:5]
	v_perm_b32 v6, v7, v6, s44
	v_perm_b32 v7, v9, v8, s44
	v_cvt_pk_f32_fp8_e32 v[8:9], v51
	v_cvt_pk_f32_fp8_sdwa v[50:51], v51 src0_sel:WORD_1
	v_mfma_f32_16x16x16_bf16 v[70:73], v[6:7], v[26:27], v[2:5]
	v_perm_b32 v76, v9, v8, s44
	v_perm_b32 v77, v51, v50, s44
	v_cvt_pk_f32_fp8_e32 v[50:51], v52
	global_load_dwordx4 v[6:9], v[74:75], off
	global_load_dwordx4 v[2:5], v[58:59], off
	v_perm_b32 v75, v79, v78, s44
	v_cvt_pk_f32_fp8_e32 v[58:59], v53
	v_perm_b32 v74, v51, v50, s44
	v_cvt_pk_f32_fp8_sdwa v[78:79], v53 src0_sel:WORD_1
	v_mfma_f32_16x16x16_bf16 v[50:53], v[76:77], v[28:29], v[70:73]
	v_perm_b32 v58, v59, v58, s44
	v_cvt_pk_f32_fp8_sdwa v[76:77], v36 src0_sel:WORD_1
	v_perm_b32 v59, v79, v78, s44
	v_mfma_f32_16x16x16_bf16 v[50:53], v[74:75], v[18:19], v[50:53]
	v_cvt_pk_f32_fp8_e32 v[70:71], v34
	v_cvt_pk_f32_fp8_sdwa v[72:73], v34 src0_sel:WORD_1
	v_cvt_pk_f32_fp8_e32 v[74:75], v36
	v_mfma_f32_16x16x16_bf16 v[50:53], v[58:59], v[20:21], v[50:53]
	v_cvt_pk_f32_fp8_e32 v[58:59], v35
	v_perm_b32 v70, v71, v70, s44
	v_perm_b32 v71, v73, v72, s44
	v_cvt_pk_f32_fp8_sdwa v[34:35], v35 src0_sel:WORD_1
	v_perm_b32 v58, v59, v58, s44
	v_mfma_f32_16x16x16_bf16 v[70:73], v[70:71], v[38:39], 0
	v_perm_b32 v59, v35, v34, s44
	v_perm_b32 v38, v75, v74, s44
	;; [unrolled: 1-line block ×3, first 2 shown]
	v_cvt_pk_f32_fp8_e32 v[74:75], v37
	v_cvt_pk_f32_fp8_sdwa v[76:77], v37 src0_sel:WORD_1
	v_mfma_f32_16x16x16_bf16 v[34:37], v[58:59], v[40:41], v[70:73]
	s_load_dword s6, s[0:1], 0x1c
	s_load_dwordx4 s[40:43], s[0:1], 0x80
	v_perm_b32 v58, v75, v74, s44
	v_perm_b32 v59, v77, v76, s44
	v_mfma_f32_16x16x16_bf16 v[34:37], v[38:39], v[30:31], v[34:37]
	s_load_dword s46, s[0:1], 0x98
	s_waitcnt lgkmcnt(0)
	s_load_dword s7, s[40:41], 0x0
	v_cvt_pk_f32_fp8_sdwa v[38:39], v22 src0_sel:WORD_1
	v_mfma_f32_16x16x16_bf16 v[32:35], v[58:59], v[32:33], v[34:37]
	v_mov_b32_e32 v40, s6
	s_mov_b32 s40, 0xff7fffff
	s_waitcnt lgkmcnt(0)
	v_mul_f32_e32 v70, s7, v40
	v_cvt_pk_f32_fp8_e32 v[36:37], v22
	v_pk_mul_f32 v[30:31], v[70:71], v[42:43] op_sel_hi:[0,1]
	v_cvt_pk_f32_fp8_e32 v[42:43], v23
	v_cvt_pk_f32_fp8_sdwa v[22:23], v23 src0_sel:WORD_1
	v_perm_b32 v36, v37, v36, s44
	v_perm_b32 v37, v39, v38, s44
	v_pk_mul_f32 v[40:41], v[70:71], v[44:45] op_sel_hi:[0,1]
	v_perm_b32 v38, v43, v42, s44
	v_perm_b32 v39, v23, v22, s44
	v_cvt_pk_f32_fp8_e32 v[42:43], v24
	v_cvt_pk_f32_fp8_sdwa v[44:45], v24 src0_sel:WORD_1
	v_mfma_f32_16x16x16_bf16 v[32:35], v[36:37], v[26:27], v[32:35]
	v_lshl_add_u64 v[22:23], s[4:5], 0, v[56:57]
	v_perm_b32 v36, v43, v42, s44
	v_perm_b32 v37, v45, v44, s44
	v_cvt_pk_f32_fp8_e32 v[42:43], v25
	v_cvt_pk_f32_fp8_sdwa v[56:57], v25 src0_sel:WORD_1
	v_mfma_f32_16x16x16_bf16 v[24:27], v[38:39], v[28:29], v[32:35]
	v_pk_mul_f32 v[44:45], v[70:71], v[48:49] op_sel_hi:[0,1]
	v_perm_b32 v28, v43, v42, s44
	v_perm_b32 v29, v57, v56, s44
	v_mfma_f32_16x16x16_bf16 v[24:27], v[36:37], v[18:19], v[24:27]
	v_pk_mul_f32 v[42:43], v[70:71], v[50:51] op_sel_hi:[0,1]
	v_pk_mul_f32 v[46:47], v[70:71], v[46:47] op_sel_hi:[0,1]
	;; [unrolled: 1-line block ×3, first 2 shown]
	v_mfma_f32_16x16x16_bf16 v[18:21], v[28:29], v[20:21], v[24:27]
	s_nop 6
	v_pk_mul_f32 v[36:37], v[70:71], v[18:19] op_sel_hi:[0,1]
	v_and_b32_e32 v18, 0xc0, v0
	v_add_u32_e32 v18, s18, v18
	v_lshl_or_b32 v18, v1, 2, v18
	v_or_b32_e32 v19, 1, v18
	v_pk_mul_f32 v[34:35], v[70:71], v[20:21] op_sel_hi:[0,1]
	v_subrev_u32_e32 v20, s33, v19
	v_add_u32_e32 v24, 1, v20
	v_add_u32_e32 v25, 2, v20
	v_cvt_f32_i32_e32 v21, v20
	v_cvt_f32_i32_e32 v24, v24
	;; [unrolled: 1-line block ×3, first 2 shown]
	v_add_u32_e32 v26, 3, v20
	v_fma_f32 v50, v63, v21, v30
	v_fmac_f32_e32 v31, v63, v24
	v_fma_f32 v40, v63, v25, v40
	v_add_u32_e32 v21, 16, v20
	v_add_u32_e32 v24, 17, v20
	v_add_u32_e32 v25, 18, v20
	v_cvt_f32_i32_e32 v26, v26
	v_cvt_f32_i32_e32 v21, v21
	v_cvt_f32_i32_e32 v24, v24
	v_cvt_f32_i32_e32 v25, v25
	v_fmac_f32_e32 v41, v63, v26
	v_add_u32_e32 v26, 19, v20
	v_fma_f32 v52, v63, v21, v46
	v_fmac_f32_e32 v47, v63, v24
	v_fma_f32 v44, v63, v25, v44
	v_add_u32_e32 v21, 32, v20
	v_add_u32_e32 v24, 33, v20
	;; [unrolled: 1-line block ×3, first 2 shown]
	v_cvt_f32_i32_e32 v26, v26
	v_cvt_f32_i32_e32 v21, v21
	;; [unrolled: 1-line block ×4, first 2 shown]
	v_fmac_f32_e32 v45, v63, v26
	v_add_u32_e32 v26, 35, v20
	v_fma_f32 v42, v63, v21, v42
	v_fmac_f32_e32 v43, v63, v24
	v_fma_f32 v38, v63, v25, v38
	v_add_u32_e32 v21, 48, v20
	v_add_u32_e32 v24, 49, v20
	;; [unrolled: 1-line block ×4, first 2 shown]
	v_cvt_f32_i32_e32 v20, v20
	v_cvt_f32_i32_e32 v21, v21
	;; [unrolled: 1-line block ×3, first 2 shown]
	v_cmp_gt_i32_e64 s[12:13], s33, v18
	v_fmac_f32_e32 v35, v63, v20
	v_mov_b32_e32 v20, 0xff7fffff
	v_cmp_gt_i32_e64 s[14:15], s33, v19
	v_fma_f32 v36, v63, v21, v36
	v_cndmask_b32_e64 v21, v20, v50, s[12:13]
	v_cndmask_b32_e64 v19, v20, v31, s[14:15]
	v_fmac_f32_e32 v37, v63, v24
	v_max3_f32 v19, v21, s40, v19
	v_or_b32_e32 v21, 2, v18
	v_or_b32_e32 v24, 3, v18
	v_cmp_gt_i32_e64 s[16:17], s33, v21
	v_cmp_gt_i32_e64 s[18:19], s33, v24
	v_cvt_f32_i32_e32 v26, v26
	v_cndmask_b32_e64 v21, v20, v40, s[16:17]
	v_cndmask_b32_e64 v24, v20, v41, s[18:19]
	v_max3_f32 v19, v19, v21, v24
	v_or_b32_e32 v21, 16, v18
	v_or_b32_e32 v24, 17, v18
	v_cmp_gt_i32_e64 s[20:21], s33, v21
	v_cmp_gt_i32_e64 s[22:23], s33, v24
	v_fmac_f32_e32 v39, v63, v26
	v_cndmask_b32_e64 v21, v20, v52, s[20:21]
	v_cndmask_b32_e64 v24, v20, v47, s[22:23]
	v_max3_f32 v19, v19, v21, v24
	v_or_b32_e32 v21, 18, v18
	v_or_b32_e32 v24, 19, v18
	v_cmp_gt_i32_e64 s[24:25], s33, v21
	v_cmp_gt_i32_e64 s[26:27], s33, v24
	v_cvt_f32_i32_e32 v25, v25
	v_cndmask_b32_e64 v21, v20, v44, s[24:25]
	v_cndmask_b32_e64 v24, v20, v45, s[26:27]
	v_max3_f32 v19, v19, v21, v24
	v_or_b32_e32 v21, 32, v18
	v_or_b32_e32 v24, 33, v18
	v_cmp_gt_i32_e64 s[28:29], s33, v21
	v_cmp_gt_i32_e64 s[30:31], s33, v24
	v_fma_f32 v34, v63, v25, v34
	v_cndmask_b32_e64 v21, v20, v42, s[28:29]
	v_cndmask_b32_e64 v24, v20, v43, s[30:31]
	v_max3_f32 v19, v19, v21, v24
	v_or_b32_e32 v21, 34, v18
	v_or_b32_e32 v24, 35, v18
	v_cmp_gt_i32_e64 s[34:35], s33, v21
	v_cmp_gt_i32_e64 s[36:37], s33, v24
	s_nop 0
	v_cndmask_b32_e64 v21, v20, v38, s[34:35]
	v_cndmask_b32_e64 v24, v20, v39, s[36:37]
	v_max3_f32 v19, v19, v21, v24
	v_or_b32_e32 v21, 48, v18
	v_or_b32_e32 v24, 49, v18
	v_cmp_gt_i32_e64 s[6:7], s33, v21
	v_cmp_gt_i32_e64 s[8:9], s33, v24
	s_nop 0
	v_cndmask_b32_e64 v21, v20, v36, s[6:7]
	v_cndmask_b32_e64 v24, v20, v37, s[8:9]
	v_max3_f32 v19, v19, v21, v24
	v_or_b32_e32 v21, 50, v18
	v_or_b32_e32 v18, 51, v18
	v_cmp_gt_i32_e32 vcc, s33, v21
	v_cmp_gt_i32_e64 s[4:5], s33, v18
	s_nop 0
	v_cndmask_b32_e32 v21, v20, v34, vcc
	v_cndmask_b32_e64 v18, v20, v35, s[4:5]
	v_max3_f32 v24, v19, v21, v18
	v_mbcnt_lo_u32_b32 v18, -1, 0
	v_mbcnt_hi_u32_b32 v25, -1, v18
	v_and_b32_e32 v18, 64, v25
	v_add_u32_e32 v26, 64, v18
	v_xor_b32_e32 v18, 32, v25
	v_cmp_lt_i32_e64 s[38:39], v18, v26
	s_nop 1
	v_cndmask_b32_e64 v18, v25, v18, s[38:39]
	v_lshlrev_b32_e32 v53, 2, v18
	ds_bpermute_b32 v27, v53, v24
	v_mad_i64_i32 v[18:19], s[38:39], v64, s45, v[22:23]
	v_mad_i64_i32 v[20:21], s[38:39], v66, s45, v[22:23]
	s_waitcnt lgkmcnt(0)
	v_max_f32_e32 v27, v27, v27
	v_max_f32_e32 v27, v24, v27
	v_xor_b32_e32 v24, 16, v25
	v_cmp_lt_i32_e64 s[38:39], v24, v26
	s_nop 1
	v_cndmask_b32_e64 v24, v25, v24, s[38:39]
	v_lshlrev_b32_e32 v56, 2, v24
	ds_bpermute_b32 v26, v56, v27
	v_mad_i64_i32 v[24:25], s[38:39], v67, s45, v[22:23]
	v_mad_i64_i32 v[48:49], s[38:39], v68, s45, v[22:23]
	s_waitcnt lgkmcnt(0)
	v_max_f32_e32 v22, v26, v26
	v_max_f32_e32 v46, v27, v22
	v_sub_f32_e32 v22, v31, v46
	global_load_dwordx4 v[30:33], v[18:19], off
	global_load_dwordx4 v[26:29], v[20:21], off
	v_sub_f32_e32 v18, v50, v46
	v_mul_f32_e32 v18, 0x3fb8aa3b, v18
	v_exp_f32_e32 v50, v18
	v_mul_f32_e32 v18, 0x3fb8aa3b, v22
	v_exp_f32_e32 v51, v18
	v_sub_f32_e32 v18, v40, v46
	v_mul_f32_e32 v18, 0x3fb8aa3b, v18
	v_exp_f32_e32 v40, v18
	v_sub_f32_e32 v18, v41, v46
	v_mul_f32_e32 v18, 0x3fb8aa3b, v18
	v_exp_f32_e32 v41, v18
	global_load_dwordx4 v[22:25], v[24:25], off
	s_nop 0
	global_load_dwordx4 v[18:21], v[48:49], off
	v_sub_f32_e32 v42, v42, v46
	v_sub_f32_e32 v38, v38, v46
	v_mul_f32_e32 v42, 0x3fb8aa3b, v42
	v_mul_f32_e32 v38, 0x3fb8aa3b, v38
	v_cndmask_b32_e64 v49, 0, v51, s[14:15]
	v_cndmask_b32_e64 v51, 0, v41, s[18:19]
	v_sub_f32_e32 v41, v47, v46
	v_exp_f32_e32 v42, v42
	v_exp_f32_e32 v47, v38
	v_cndmask_b32_e64 v48, 0, v50, s[12:13]
	v_cndmask_b32_e64 v50, 0, v40, s[16:17]
	v_sub_f32_e32 v40, v52, v46
	v_mul_f32_e32 v40, 0x3fb8aa3b, v40
	v_sub_f32_e32 v38, v39, v46
	v_exp_f32_e32 v40, v40
	v_mul_f32_e32 v41, 0x3fb8aa3b, v41
	v_sub_f32_e32 v44, v44, v46
	v_mul_f32_e32 v38, 0x3fb8aa3b, v38
	v_exp_f32_e32 v41, v41
	v_mul_f32_e32 v44, 0x3fb8aa3b, v44
	v_sub_f32_e32 v45, v45, v46
	v_exp_f32_e32 v52, v38
	v_cndmask_b32_e64 v38, 0, v42, s[28:29]
	v_cndmask_b32_e64 v42, 0, v47, s[34:35]
	v_add_f32_e32 v47, 0, v48
	v_exp_f32_e32 v44, v44
	v_mul_f32_e32 v45, 0x3fb8aa3b, v45
	v_add_f32_e32 v47, v47, v49
	v_exp_f32_e32 v45, v45
	v_sub_f32_e32 v43, v43, v46
	v_add_f32_e32 v47, v47, v50
	v_cndmask_b32_e64 v40, 0, v40, s[20:21]
	v_mul_f32_e32 v43, 0x3fb8aa3b, v43
	v_add_f32_e32 v47, v47, v51
	v_cndmask_b32_e64 v41, 0, v41, s[22:23]
	v_exp_f32_e32 v43, v43
	v_add_f32_e32 v47, v47, v40
	v_cndmask_b32_e64 v44, 0, v44, s[24:25]
	v_add_f32_e32 v47, v47, v41
	v_sub_f32_e32 v36, v36, v46
	v_cndmask_b32_e64 v45, 0, v45, s[26:27]
	v_add_f32_e32 v47, v47, v44
	v_mul_f32_e32 v36, 0x3fb8aa3b, v36
	v_sub_f32_e32 v37, v37, v46
	v_add_f32_e32 v47, v47, v45
	v_exp_f32_e32 v36, v36
	v_mul_f32_e32 v37, 0x3fb8aa3b, v37
	v_sub_f32_e32 v34, v34, v46
	v_cndmask_b32_e64 v39, 0, v43, s[30:31]
	v_add_f32_e32 v47, v47, v38
	v_exp_f32_e32 v37, v37
	v_mul_f32_e32 v34, 0x3fb8aa3b, v34
	v_sub_f32_e32 v35, v35, v46
	v_add_f32_e32 v47, v47, v39
	v_exp_f32_e32 v34, v34
	v_mul_f32_e32 v35, 0x3fb8aa3b, v35
	v_cndmask_b32_e64 v43, 0, v52, s[36:37]
	v_add_f32_e32 v47, v47, v42
	v_exp_f32_e32 v35, v35
	v_add_f32_e32 v47, v47, v43
	v_cndmask_b32_e64 v36, 0, v36, s[6:7]
	v_add_f32_e32 v47, v47, v36
	v_cndmask_b32_e64 v37, 0, v37, s[8:9]
	v_add_f32_e32 v47, v47, v37
	v_cndmask_b32_e32 v34, 0, v34, vcc
	v_add_f32_e32 v47, v47, v34
	v_cndmask_b32_e64 v35, 0, v35, s[4:5]
	v_add_f32_e32 v47, v47, v35
	ds_bpermute_b32 v52, v53, v47
	v_cmp_gt_u32_e32 vcc, 16, v55
	s_waitcnt lgkmcnt(0)
	s_barrier
	v_add_f32_e32 v47, v47, v52
	ds_bpermute_b32 v52, v56, v47
	s_and_saveexec_b64 s[4:5], vcc
	s_cbranch_execz .LBB1255_15
; %bb.14:
	s_waitcnt lgkmcnt(0)
	v_add_f32_e32 v47, v47, v52
	v_lshlrev_b32_e32 v52, 2, v65
	ds_write2st64_b32 v52, v46, v47 offset1:1
.LBB1255_15:
	s_or_b64 exec, exec, s[4:5]
	v_lshlrev_b32_e32 v47, 2, v60
	s_load_dword s6, s[0:1], 0x94
	s_waitcnt lgkmcnt(0)
	s_barrier
	ds_read2_b32 v[52:53], v47 offset1:16
	ds_read2_b32 v[56:57], v47 offset0:32 offset1:48
	ds_read2_b32 v[58:59], v47 offset0:64 offset1:80
	s_movk_i32 s8, 0x7fff
	s_lshl_b32 s7, s46, 3
	s_waitcnt lgkmcnt(2)
	v_max3_f32 v46, v52, s40, v53
	s_waitcnt lgkmcnt(1)
	v_max3_f32 v46, v46, v56, v57
	v_sub_f32_e32 v52, v52, v46
	v_mul_f32_e32 v52, 0x3fb8aa3b, v52
	v_exp_f32_e32 v55, v52
	v_sub_f32_e32 v52, v53, v46
	v_mul_f32_e32 v52, 0x3fb8aa3b, v52
	v_exp_f32_e32 v63, v52
	;; [unrolled: 3-line block ×3, first 2 shown]
	ds_read2_b32 v[52:53], v47 offset0:96 offset1:112
	v_sub_f32_e32 v47, v57, v46
	v_mul_f32_e32 v47, 0x3fb8aa3b, v47
	v_exp_f32_e32 v57, v47
	s_waitcnt lgkmcnt(1)
	v_fma_f32 v47, v55, v58, 0
	v_fmac_f32_e32 v47, v63, v59
	s_waitcnt lgkmcnt(0)
	v_fmac_f32_e32 v47, v56, v52
	v_fmac_f32_e32 v47, v57, v53
	v_add_f32_e32 v52, 0x358637bd, v47
	v_div_scale_f32 v53, s[4:5], v52, v52, 1.0
	v_rcp_f32_e32 v58, v53
	s_barrier
	v_fma_f32 v59, -v53, v58, 1.0
	v_fmac_f32_e32 v58, v59, v58
	v_div_scale_f32 v59, vcc, 1.0, v52, 1.0
	v_mul_f32_e32 v64, v59, v58
	v_fma_f32 v65, -v53, v64, v59
	v_fmac_f32_e32 v64, v65, v58
	v_fma_f32 v53, -v53, v64, v59
	v_div_fmas_f32 v53, v53, v58, v64
	v_cmp_eq_u32_e32 vcc, 1, v62
	v_div_fixup_f32 v52, v53, v52, 1.0
	s_nop 0
	v_cndmask_b32_e32 v53, v55, v63, vcc
	v_cmp_eq_u32_e32 vcc, 2, v62
	s_nop 1
	v_cndmask_b32_e32 v53, v53, v56, vcc
	v_cmp_eq_u32_e32 vcc, 3, v62
	s_nop 1
	v_cndmask_b32_e32 v53, v53, v57, vcc
	v_mul_f32_e32 v52, v53, v52
	v_pk_mul_f32 v[48:49], v[52:53], v[48:49] op_sel_hi:[0,1]
	v_pk_mul_f32 v[50:51], v[52:53], v[50:51] op_sel_hi:[0,1]
	v_bfe_u32 v53, v49, 16, 1
	v_bfe_u32 v55, v48, 16, 1
	v_add3_u32 v48, v48, v55, s8
	v_add3_u32 v49, v49, v53, s8
	v_perm_b32 v56, v49, v48, s44
	v_bfe_u32 v48, v51, 16, 1
	v_bfe_u32 v49, v50, 16, 1
	v_add3_u32 v49, v50, v49, s8
	v_add3_u32 v48, v51, v48, s8
	v_perm_b32 v57, v48, v49, s44
	v_lshlrev_b32_e32 v49, 3, v1
	v_lshlrev_b32_e32 v48, 5, v60
	;; [unrolled: 1-line block ×3, first 2 shown]
	v_pk_mul_f32 v[40:41], v[52:53], v[40:41] op_sel_hi:[0,1]
	v_or3_b32 v55, v50, v48, v49
	v_bfe_u32 v49, v41, 16, 1
	v_bfe_u32 v50, v40, 16, 1
	v_pk_mul_f32 v[44:45], v[52:53], v[44:45] op_sel_hi:[0,1]
	v_add3_u32 v40, v40, v50, s8
	v_add3_u32 v41, v41, v49, s8
	v_perm_b32 v40, v41, v40, s44
	v_bfe_u32 v41, v45, 16, 1
	v_bfe_u32 v49, v44, 16, 1
	v_add3_u32 v44, v44, v49, s8
	v_add3_u32 v41, v45, v41, s8
	v_perm_b32 v41, v41, v44, s44
	v_pk_mul_f32 v[38:39], v[52:53], v[38:39] op_sel_hi:[0,1]
	ds_write2st64_b64 v55, v[56:57], v[40:41] offset1:1
	v_pk_mul_f32 v[40:41], v[52:53], v[42:43] op_sel_hi:[0,1]
	v_bfe_u32 v42, v39, 16, 1
	v_bfe_u32 v43, v38, 16, 1
	v_add3_u32 v38, v38, v43, s8
	v_add3_u32 v39, v39, v42, s8
	v_perm_b32 v38, v39, v38, s44
	v_bfe_u32 v39, v41, 16, 1
	v_bfe_u32 v42, v40, 16, 1
	v_add3_u32 v40, v40, v42, s8
	v_add3_u32 v39, v41, v39, s8
	v_pk_mul_f32 v[36:37], v[52:53], v[36:37] op_sel_hi:[0,1]
	v_perm_b32 v39, v39, v40, s44
	v_bfe_u32 v40, v37, 16, 1
	v_bfe_u32 v41, v36, 16, 1
	v_pk_mul_f32 v[34:35], v[52:53], v[34:35] op_sel_hi:[0,1]
	v_add3_u32 v36, v36, v41, s8
	v_add3_u32 v37, v37, v40, s8
	v_perm_b32 v36, v37, v36, s44
	v_bfe_u32 v37, v35, 16, 1
	v_bfe_u32 v40, v34, 16, 1
	v_add3_u32 v34, v34, v40, s8
	v_add3_u32 v35, v35, v37, s8
	v_perm_b32 v37, v35, v34, s44
	v_cmp_gt_u32_e32 vcc, 8, v0
	ds_write2st64_b64 v55, v[38:39], v[36:37] offset0:2 offset1:3
	s_and_saveexec_b64 s[4:5], vcc
	s_cbranch_execz .LBB1255_17
; %bb.16:
	v_or_b32_e32 v34, s11, v0
	v_mov_b32_e32 v35, 0
	v_mov_b32_e32 v36, s7
	v_mad_u64_u32 v[36:37], s[16:17], s2, v36, v[34:35]
	v_mov_b32_e32 v34, s10
	s_load_dwordx4 s[12:15], s[0:1], 0x58
	s_mul_i32 s3, s3, s7
	v_mad_u64_u32 v[34:35], s[16:17], v36, s6, v[34:35]
	v_add_u32_e32 v37, s3, v37
	v_mov_b32_e32 v36, v35
	v_mad_u64_u32 v[36:37], s[16:17], v37, s6, v[36:37]
	v_mov_b32_e32 v35, v36
	v_lshlrev_b64 v[34:35], 2, v[34:35]
	s_waitcnt lgkmcnt(0)
	v_lshl_add_u64 v[36:37], s[14:15], 0, v[34:35]
	v_lshl_add_u64 v[34:35], s[12:13], 0, v[34:35]
	global_store_dword v[36:37], v46, off
	global_store_dword v[34:35], v47, off
.LBB1255_17:
	s_or_b64 exec, exec, s[4:5]
	s_waitcnt vmcnt(7)
	v_cvt_pk_f32_fp8_e32 v[34:35], v14
	v_cvt_pk_f32_fp8_sdwa v[36:37], v14 src0_sel:WORD_1
	v_lshl_or_b32 v50, v1, 9, v48
	s_mov_b32 s5, 0x7060302
	s_waitcnt lgkmcnt(0)
	s_barrier
	v_cvt_pk_f32_fp8_e32 v[38:39], v15
	v_perm_b32 v14, v35, v34, s5
	v_cvt_pk_f32_fp8_sdwa v[40:41], v15 src0_sel:WORD_1
	v_perm_b32 v15, v37, v36, s5
	ds_read_b128 v[34:37], v50
	v_perm_b32 v46, v39, v38, s5
	v_perm_b32 v47, v41, v40, s5
	ds_read_b128 v[38:41], v50 offset:16
	v_cvt_pk_f32_fp8_e32 v[48:49], v16
	v_cvt_pk_f32_fp8_sdwa v[52:53], v16 src0_sel:WORD_1
	s_waitcnt lgkmcnt(1)
	v_mfma_f32_16x16x16_bf16 v[42:45], v[14:15], v[34:35], 0
	s_waitcnt vmcnt(6)
	v_cvt_pk_f32_fp8_e32 v[56:57], v12
	v_perm_b32 v14, v49, v48, s5
	v_perm_b32 v15, v53, v52, s5
	v_cvt_pk_f32_fp8_e32 v[48:49], v17
	v_mfma_f32_16x16x16_bf16 v[42:45], v[46:47], v[36:37], v[42:45]
	v_cvt_pk_f32_fp8_sdwa v[46:47], v17 src0_sel:WORD_1
	v_cvt_pk_f32_fp8_sdwa v[58:59], v12 src0_sel:WORD_1
	v_perm_b32 v48, v49, v48, s5
	s_waitcnt lgkmcnt(0)
	v_mfma_f32_16x16x16_bf16 v[14:17], v[14:15], v[38:39], v[42:45]
	v_perm_b32 v49, v47, v46, s5
	s_waitcnt vmcnt(5)
	v_cvt_pk_f32_fp8_e32 v[62:63], v8
	v_cvt_pk_f32_fp8_sdwa v[64:65], v8 src0_sel:WORD_1
	v_cvt_pk_f32_fp8_e32 v[42:43], v10
	v_mfma_f32_16x16x16_bf16 v[46:49], v[48:49], v[40:41], v[14:17]
	s_waitcnt vmcnt(4)
	v_cvt_pk_f32_fp8_sdwa v[66:67], v4 src0_sel:WORD_1
	s_load_dword s4, s[42:43], 0x0
	v_cvt_pk_f32_fp8_sdwa v[14:15], v10 src0_sel:WORD_1
	v_cvt_pk_f32_fp8_e32 v[16:17], v11
	v_perm_b32 v10, v43, v42, s5
	v_cvt_pk_f32_fp8_sdwa v[42:43], v11 src0_sel:WORD_1
	v_perm_b32 v11, v15, v14, s5
	v_perm_b32 v52, v17, v16, s5
	ds_read_b128 v[14:17], v50 offset:2048
	v_perm_b32 v53, v43, v42, s5
	ds_read_b128 v[42:45], v50 offset:2064
	s_waitcnt lgkmcnt(0)
	v_mfma_f32_16x16x16_bf16 v[46:49], v[10:11], v[14:15], v[46:49]
	v_perm_b32 v10, v57, v56, s5
	v_perm_b32 v11, v59, v58, s5
	v_cvt_pk_f32_fp8_e32 v[56:57], v13
	v_mfma_f32_16x16x16_bf16 v[46:49], v[52:53], v[16:17], v[46:49]
	v_cvt_pk_f32_fp8_sdwa v[52:53], v13 src0_sel:WORD_1
	s_waitcnt vmcnt(3)
	v_cvt_pk_f32_fp8_sdwa v[68:69], v32 src0_sel:WORD_1
	v_perm_b32 v56, v57, v56, s5
	v_mfma_f32_16x16x16_bf16 v[10:13], v[10:11], v[42:43], v[46:49]
	v_perm_b32 v57, v53, v52, s5
	s_mov_b32 s3, 0
	v_cmp_gt_u32_e32 vcc, 64, v0
	v_cvt_pk_f32_fp8_e32 v[46:47], v6
	v_mfma_f32_16x16x16_bf16 v[56:59], v[56:57], v[44:45], v[10:13]
	s_nop 2
	v_cvt_pk_f32_fp8_sdwa v[10:11], v6 src0_sel:WORD_1
	v_cvt_pk_f32_fp8_e32 v[12:13], v7
	v_perm_b32 v6, v47, v46, s5
	v_cvt_pk_f32_fp8_sdwa v[46:47], v7 src0_sel:WORD_1
	v_perm_b32 v7, v11, v10, s5
	v_perm_b32 v52, v13, v12, s5
	ds_read_b128 v[10:13], v50 offset:4096
	v_perm_b32 v53, v47, v46, s5
	ds_read_b128 v[46:49], v50 offset:4112
	s_waitcnt lgkmcnt(1)
	v_mfma_f32_16x16x16_bf16 v[56:59], v[6:7], v[10:11], v[56:59]
	v_perm_b32 v6, v63, v62, s5
	v_perm_b32 v7, v65, v64, s5
	v_cvt_pk_f32_fp8_e32 v[62:63], v9
	v_mfma_f32_16x16x16_bf16 v[56:59], v[52:53], v[12:13], v[56:59]
	v_cvt_pk_f32_fp8_sdwa v[52:53], v9 src0_sel:WORD_1
	v_cvt_pk_f32_fp8_e32 v[64:65], v4
	v_perm_b32 v62, v63, v62, s5
	s_waitcnt lgkmcnt(0)
	v_mfma_f32_16x16x16_bf16 v[6:9], v[6:7], v[46:47], v[56:59]
	v_perm_b32 v63, v53, v52, s5
	v_cvt_pk_f32_fp8_e32 v[52:53], v2
	s_nop 0
	v_mfma_f32_16x16x16_bf16 v[56:59], v[62:63], v[48:49], v[6:9]
	s_nop 2
	v_cvt_pk_f32_fp8_sdwa v[6:7], v2 src0_sel:WORD_1
	v_cvt_pk_f32_fp8_e32 v[8:9], v3
	v_perm_b32 v2, v53, v52, s5
	v_cvt_pk_f32_fp8_sdwa v[52:53], v3 src0_sel:WORD_1
	v_perm_b32 v3, v7, v6, s5
	v_perm_b32 v62, v9, v8, s5
	ds_read_b128 v[6:9], v50 offset:6144
	v_perm_b32 v63, v53, v52, s5
	s_waitcnt lgkmcnt(0)
	v_mfma_f32_16x16x16_bf16 v[56:59], v[2:3], v[6:7], v[56:59]
	ds_read_b128 v[50:53], v50 offset:6160
	v_perm_b32 v2, v65, v64, s5
	v_perm_b32 v3, v67, v66, s5
	v_cvt_pk_f32_fp8_e32 v[64:65], v5
	v_mfma_f32_16x16x16_bf16 v[56:59], v[62:63], v[8:9], v[56:59]
	v_cvt_pk_f32_fp8_sdwa v[62:63], v5 src0_sel:WORD_1
	v_cvt_pk_f32_fp8_e32 v[66:67], v32
	v_perm_b32 v64, v65, v64, s5
	s_waitcnt lgkmcnt(0)
	v_mfma_f32_16x16x16_bf16 v[2:5], v[2:3], v[50:51], v[56:59]
	v_perm_b32 v65, v63, v62, s5
	s_barrier
	s_nop 0
	v_mfma_f32_16x16x16_bf16 v[56:59], v[64:65], v[52:53], v[2:5]
	s_nop 2
	v_cvt_pk_f32_fp8_e32 v[4:5], v30
	v_perm_b32 v4, v5, v4, s5
	s_nop 1
	v_pk_mul_f32 v[2:3], v[58:59], s[4:5] op_sel_hi:[1,0]
	v_cvt_pk_f32_fp8_sdwa v[58:59], v30 src0_sel:WORD_1
	v_pk_mul_f32 v[62:63], v[56:57], s[4:5] op_sel_hi:[1,0]
	v_cvt_pk_f32_fp8_e32 v[56:57], v31
	v_cvt_pk_f32_fp8_sdwa v[30:31], v31 src0_sel:WORD_1
	v_perm_b32 v5, v59, v58, s5
	v_perm_b32 v64, v57, v56, s5
	;; [unrolled: 1-line block ×3, first 2 shown]
	v_mfma_f32_16x16x16_bf16 v[56:59], v[4:5], v[34:35], 0
	v_perm_b32 v4, v67, v66, s5
	v_perm_b32 v5, v69, v68, s5
	v_cvt_pk_f32_fp8_e32 v[34:35], v33
	v_cvt_pk_f32_fp8_sdwa v[66:67], v33 src0_sel:WORD_1
	v_mfma_f32_16x16x16_bf16 v[30:33], v[64:65], v[36:37], v[56:59]
	s_waitcnt vmcnt(2)
	v_cvt_pk_f32_fp8_sdwa v[36:37], v26 src0_sel:WORD_1
	v_perm_b32 v34, v35, v34, s5
	v_perm_b32 v35, v67, v66, s5
	v_mfma_f32_16x16x16_bf16 v[30:33], v[4:5], v[38:39], v[30:33]
	v_cvt_pk_f32_fp8_e32 v[4:5], v26
	v_cvt_pk_f32_fp8_sdwa v[38:39], v28 src0_sel:WORD_1
	v_bfe_u32 v56, v63, 16, 1
	v_mfma_f32_16x16x16_bf16 v[30:33], v[34:35], v[40:41], v[30:33]
	v_cvt_pk_f32_fp8_e32 v[34:35], v27
	v_perm_b32 v4, v5, v4, s5
	v_perm_b32 v5, v37, v36, s5
	v_cvt_pk_f32_fp8_sdwa v[26:27], v27 src0_sel:WORD_1
	v_perm_b32 v34, v35, v34, s5
	v_cvt_pk_f32_fp8_e32 v[36:37], v28
	v_mfma_f32_16x16x16_bf16 v[30:33], v[4:5], v[14:15], v[30:33]
	v_perm_b32 v35, v27, v26, s5
	v_perm_b32 v4, v37, v36, s5
	v_perm_b32 v5, v39, v38, s5
	v_cvt_pk_f32_fp8_e32 v[26:27], v29
	v_cvt_pk_f32_fp8_sdwa v[28:29], v29 src0_sel:WORD_1
	v_mfma_f32_16x16x16_bf16 v[14:17], v[34:35], v[16:17], v[30:33]
	v_bfe_u32 v57, v62, 16, 1
	v_perm_b32 v26, v27, v26, s5
	v_perm_b32 v27, v29, v28, s5
	v_mfma_f32_16x16x16_bf16 v[14:17], v[4:5], v[42:43], v[14:17]
	s_waitcnt vmcnt(1)
	v_cvt_pk_f32_fp8_e32 v[4:5], v22
	v_cvt_pk_f32_fp8_sdwa v[28:29], v22 src0_sel:WORD_1
	v_cvt_pk_f32_fp8_sdwa v[30:31], v24 src0_sel:WORD_1
	v_mfma_f32_16x16x16_bf16 v[14:17], v[26:27], v[44:45], v[14:17]
	v_cvt_pk_f32_fp8_e32 v[26:27], v23
	v_perm_b32 v4, v5, v4, s5
	v_perm_b32 v5, v29, v28, s5
	v_cvt_pk_f32_fp8_sdwa v[22:23], v23 src0_sel:WORD_1
	v_perm_b32 v26, v27, v26, s5
	v_cvt_pk_f32_fp8_e32 v[28:29], v24
	v_mfma_f32_16x16x16_bf16 v[14:17], v[4:5], v[10:11], v[14:17]
	v_perm_b32 v27, v23, v22, s5
	v_perm_b32 v4, v29, v28, s5
	;; [unrolled: 1-line block ×3, first 2 shown]
	v_cvt_pk_f32_fp8_e32 v[22:23], v25
	v_cvt_pk_f32_fp8_sdwa v[24:25], v25 src0_sel:WORD_1
	v_mfma_f32_16x16x16_bf16 v[10:13], v[26:27], v[12:13], v[14:17]
	v_add3_u32 v32, v62, v57, s8
	v_add3_u32 v33, v63, v56, s8
	s_nop 0
	v_perm_b32 v16, v23, v22, s5
	v_perm_b32 v17, v25, v24, s5
	v_mfma_f32_16x16x16_bf16 v[10:13], v[4:5], v[46:47], v[10:13]
	s_waitcnt vmcnt(0)
	v_cvt_pk_f32_fp8_e32 v[4:5], v18
	v_cvt_pk_f32_fp8_sdwa v[22:23], v18 src0_sel:WORD_1
	v_cvt_pk_f32_fp8_sdwa v[24:25], v20 src0_sel:WORD_1
	v_mfma_f32_16x16x16_bf16 v[10:13], v[16:17], v[48:49], v[10:13]
	v_cvt_pk_f32_fp8_e32 v[16:17], v19
	v_perm_b32 v4, v5, v4, s5
	v_perm_b32 v5, v23, v22, s5
	v_cvt_pk_f32_fp8_sdwa v[18:19], v19 src0_sel:WORD_1
	v_perm_b32 v16, v17, v16, s5
	v_cvt_pk_f32_fp8_e32 v[22:23], v20
	v_mfma_f32_16x16x16_bf16 v[4:7], v[4:5], v[6:7], v[10:13]
	v_perm_b32 v17, v19, v18, s5
	v_cvt_pk_f32_fp8_sdwa v[18:19], v21 src0_sel:WORD_1
	s_nop 0
	v_perm_b32 v10, v23, v22, s5
	v_perm_b32 v11, v25, v24, s5
	v_cvt_pk_f32_fp8_e32 v[12:13], v21
	v_mfma_f32_16x16x16_bf16 v[4:7], v[16:17], v[8:9], v[4:7]
	v_perm_b32 v9, v19, v18, s5
	v_bfe_u32 v15, v3, 16, 1
	v_perm_b32 v8, v13, v12, s5
	v_mfma_f32_16x16x16_bf16 v[4:7], v[10:11], v[50:51], v[4:7]
	v_bfe_u32 v16, v2, 16, 1
	v_add3_u32 v2, v2, v16, s8
	v_add3_u32 v3, v3, v15, s8
	v_perm_b32 v15, v3, v2, s5
	v_mfma_f32_16x16x16_bf16 v[2:5], v[8:9], v[52:53], v[4:7]
	v_perm_b32 v14, v33, v32, s5
	s_nop 5
	v_pk_mul_f32 v[2:3], v[2:3], s[4:5] op_sel_hi:[1,0]
	v_pk_mul_f32 v[4:5], v[4:5], s[4:5] op_sel_hi:[1,0]
	v_bfe_u32 v6, v3, 16, 1
	v_bfe_u32 v7, v2, 16, 1
	v_add3_u32 v2, v2, v7, s8
	v_add3_u32 v3, v3, v6, s8
	v_perm_b32 v2, v3, v2, s5
	v_bfe_u32 v3, v5, 16, 1
	v_bfe_u32 v6, v4, 16, 1
	v_add3_u32 v4, v4, v6, s8
	v_add3_u32 v3, v5, v3, s8
	v_perm_b32 v3, v3, v4, s5
	ds_write2st64_b64 v55, v[14:15], v[2:3] offset1:1
	s_waitcnt lgkmcnt(0)
	s_barrier
	s_and_saveexec_b64 s[4:5], vcc
	s_cbranch_execz .LBB1255_19
; %bb.18:
	s_load_dwordx2 s[0:1], s[0:1], 0x68
	s_lshl_b32 s6, s6, 7
	s_mul_i32 s2, s7, s2
	s_mul_hi_u32 s5, s2, s6
	s_mul_i32 s4, s2, s6
	v_lshlrev_b32_e32 v4, 6, v60
	s_lshl_b64 s[4:5], s[4:5], 1
	v_lshl_or_b32 v0, v0, 10, v4
	s_waitcnt lgkmcnt(0)
	s_add_u32 s4, s0, s4
	v_lshlrev_b32_e32 v2, 5, v1
	v_and_b32_e32 v3, 16, v61
	v_and_b32_e32 v0, 0x1a00, v0
	s_addc_u32 s5, s1, s5
	s_lshl_b32 s2, s10, 7
	v_or3_b32 v0, v0, v2, v3
	s_lshl_b64 s[0:1], s[2:3], 1
	ds_read_b128 v[2:5], v0
	ds_read_b128 v[6:9], v0 offset:128
	s_add_u32 s0, s4, s0
	s_addc_u32 s1, s5, s1
	v_mov_b32_e32 v55, 0
	v_or_b32_e32 v12, s11, v1
	v_lshl_add_u64 v[10:11], s[0:1], 0, v[54:55]
	v_mad_u64_u32 v[0:1], s[0:1], v12, s6, 0
	v_lshl_add_u64 v[0:1], v[0:1], 1, v[10:11]
	s_waitcnt lgkmcnt(1)
	global_store_dwordx4 v[0:1], v[2:5], off
	v_or_b32_e32 v0, 4, v12
	v_mad_u64_u32 v[0:1], s[0:1], v0, s6, 0
	v_lshl_add_u64 v[0:1], v[0:1], 1, v[10:11]
	s_waitcnt lgkmcnt(0)
	global_store_dwordx4 v[0:1], v[6:9], off
.LBB1255_19:
	s_endpgm
	.section	.rodata,"a",@progbits
	.p2align	6, 0x0
	.amdhsa_kernel _Z39paged_attention_ll4mi_QKV_mfma16_kernelI14__hip_bfloat16hLN4vllm18Fp8KVCacheDataTypeE1EhLi16ELi128ELi256ELb1ELi8EEvPKT_PKT0_S8_ifPKiSA_SA_iPKfiiiPfSD_PS3_PT2_iSC_SC_
		.amdhsa_group_segment_fixed_size 8192
		.amdhsa_private_segment_fixed_size 0
		.amdhsa_kernarg_size 400
		.amdhsa_user_sgpr_count 2
		.amdhsa_user_sgpr_dispatch_ptr 0
		.amdhsa_user_sgpr_queue_ptr 0
		.amdhsa_user_sgpr_kernarg_segment_ptr 1
		.amdhsa_user_sgpr_dispatch_id 0
		.amdhsa_user_sgpr_kernarg_preload_length 0
		.amdhsa_user_sgpr_kernarg_preload_offset 0
		.amdhsa_user_sgpr_private_segment_size 0
		.amdhsa_uses_dynamic_stack 0
		.amdhsa_enable_private_segment 0
		.amdhsa_system_sgpr_workgroup_id_x 1
		.amdhsa_system_sgpr_workgroup_id_y 1
		.amdhsa_system_sgpr_workgroup_id_z 1
		.amdhsa_system_sgpr_workgroup_info 0
		.amdhsa_system_vgpr_workitem_id 0
		.amdhsa_next_free_vgpr 80
		.amdhsa_next_free_sgpr 48
		.amdhsa_accum_offset 80
		.amdhsa_reserve_vcc 1
		.amdhsa_float_round_mode_32 0
		.amdhsa_float_round_mode_16_64 0
		.amdhsa_float_denorm_mode_32 3
		.amdhsa_float_denorm_mode_16_64 3
		.amdhsa_dx10_clamp 1
		.amdhsa_ieee_mode 1
		.amdhsa_fp16_overflow 0
		.amdhsa_tg_split 0
		.amdhsa_exception_fp_ieee_invalid_op 0
		.amdhsa_exception_fp_denorm_src 0
		.amdhsa_exception_fp_ieee_div_zero 0
		.amdhsa_exception_fp_ieee_overflow 0
		.amdhsa_exception_fp_ieee_underflow 0
		.amdhsa_exception_fp_ieee_inexact 0
		.amdhsa_exception_int_div_zero 0
	.end_amdhsa_kernel
	.section	.text._Z39paged_attention_ll4mi_QKV_mfma16_kernelI14__hip_bfloat16hLN4vllm18Fp8KVCacheDataTypeE1EhLi16ELi128ELi256ELb1ELi8EEvPKT_PKT0_S8_ifPKiSA_SA_iPKfiiiPfSD_PS3_PT2_iSC_SC_,"axG",@progbits,_Z39paged_attention_ll4mi_QKV_mfma16_kernelI14__hip_bfloat16hLN4vllm18Fp8KVCacheDataTypeE1EhLi16ELi128ELi256ELb1ELi8EEvPKT_PKT0_S8_ifPKiSA_SA_iPKfiiiPfSD_PS3_PT2_iSC_SC_,comdat
.Lfunc_end1255:
	.size	_Z39paged_attention_ll4mi_QKV_mfma16_kernelI14__hip_bfloat16hLN4vllm18Fp8KVCacheDataTypeE1EhLi16ELi128ELi256ELb1ELi8EEvPKT_PKT0_S8_ifPKiSA_SA_iPKfiiiPfSD_PS3_PT2_iSC_SC_, .Lfunc_end1255-_Z39paged_attention_ll4mi_QKV_mfma16_kernelI14__hip_bfloat16hLN4vllm18Fp8KVCacheDataTypeE1EhLi16ELi128ELi256ELb1ELi8EEvPKT_PKT0_S8_ifPKiSA_SA_iPKfiiiPfSD_PS3_PT2_iSC_SC_
                                        ; -- End function
	.section	.AMDGPU.csdata,"",@progbits
; Kernel info:
; codeLenInByte = 6544
; NumSgprs: 54
; NumVgprs: 80
; NumAgprs: 0
; TotalNumVgprs: 80
; ScratchSize: 0
; MemoryBound: 0
; FloatMode: 240
; IeeeMode: 1
; LDSByteSize: 8192 bytes/workgroup (compile time only)
; SGPRBlocks: 6
; VGPRBlocks: 9
; NumSGPRsForWavesPerEU: 54
; NumVGPRsForWavesPerEU: 80
; AccumOffset: 80
; Occupancy: 6
; WaveLimiterHint : 1
; COMPUTE_PGM_RSRC2:SCRATCH_EN: 0
; COMPUTE_PGM_RSRC2:USER_SGPR: 2
; COMPUTE_PGM_RSRC2:TRAP_HANDLER: 0
; COMPUTE_PGM_RSRC2:TGID_X_EN: 1
; COMPUTE_PGM_RSRC2:TGID_Y_EN: 1
; COMPUTE_PGM_RSRC2:TGID_Z_EN: 1
; COMPUTE_PGM_RSRC2:TIDIG_COMP_CNT: 0
; COMPUTE_PGM_RSRC3_GFX90A:ACCUM_OFFSET: 19
; COMPUTE_PGM_RSRC3_GFX90A:TG_SPLIT: 0
	.section	.text._Z39paged_attention_ll4mi_QKV_mfma16_kernelI14__hip_bfloat16hLN4vllm18Fp8KVCacheDataTypeE1EhLi16ELi128ELi256ELb1ELi9EEvPKT_PKT0_S8_ifPKiSA_SA_iPKfiiiPfSD_PS3_PT2_iSC_SC_,"axG",@progbits,_Z39paged_attention_ll4mi_QKV_mfma16_kernelI14__hip_bfloat16hLN4vllm18Fp8KVCacheDataTypeE1EhLi16ELi128ELi256ELb1ELi9EEvPKT_PKT0_S8_ifPKiSA_SA_iPKfiiiPfSD_PS3_PT2_iSC_SC_,comdat
	.protected	_Z39paged_attention_ll4mi_QKV_mfma16_kernelI14__hip_bfloat16hLN4vllm18Fp8KVCacheDataTypeE1EhLi16ELi128ELi256ELb1ELi9EEvPKT_PKT0_S8_ifPKiSA_SA_iPKfiiiPfSD_PS3_PT2_iSC_SC_ ; -- Begin function _Z39paged_attention_ll4mi_QKV_mfma16_kernelI14__hip_bfloat16hLN4vllm18Fp8KVCacheDataTypeE1EhLi16ELi128ELi256ELb1ELi9EEvPKT_PKT0_S8_ifPKiSA_SA_iPKfiiiPfSD_PS3_PT2_iSC_SC_
	.globl	_Z39paged_attention_ll4mi_QKV_mfma16_kernelI14__hip_bfloat16hLN4vllm18Fp8KVCacheDataTypeE1EhLi16ELi128ELi256ELb1ELi9EEvPKT_PKT0_S8_ifPKiSA_SA_iPKfiiiPfSD_PS3_PT2_iSC_SC_
	.p2align	8
	.type	_Z39paged_attention_ll4mi_QKV_mfma16_kernelI14__hip_bfloat16hLN4vllm18Fp8KVCacheDataTypeE1EhLi16ELi128ELi256ELb1ELi9EEvPKT_PKT0_S8_ifPKiSA_SA_iPKfiiiPfSD_PS3_PT2_iSC_SC_,@function
_Z39paged_attention_ll4mi_QKV_mfma16_kernelI14__hip_bfloat16hLN4vllm18Fp8KVCacheDataTypeE1EhLi16ELi128ELi256ELb1ELi9EEvPKT_PKT0_S8_ifPKiSA_SA_iPKfiiiPfSD_PS3_PT2_iSC_SC_: ; @_Z39paged_attention_ll4mi_QKV_mfma16_kernelI14__hip_bfloat16hLN4vllm18Fp8KVCacheDataTypeE1EhLi16ELi128ELi256ELb1ELi9EEvPKT_PKT0_S8_ifPKiSA_SA_iPKfiiiPfSD_PS3_PT2_iSC_SC_
; %bb.0:
	s_load_dwordx2 s[10:11], s[0:1], 0x30
	s_mov_b32 s6, s3
	s_mov_b64 s[8:9], 0
	s_waitcnt lgkmcnt(0)
	s_cmp_lg_u64 s[10:11], 0
	s_cselect_b64 s[12:13], -1, 0
	s_and_b64 vcc, exec, s[12:13]
	s_cbranch_vccz .LBB1256_7
; %bb.1:
	s_add_i32 s14, s2, 1
	s_mov_b32 s15, 0
	s_lshl_b64 s[16:17], s[14:15], 2
	s_add_u32 s16, s10, s16
	s_mov_b32 s3, s15
	s_addc_u32 s17, s11, s17
	s_lshl_b64 s[14:15], s[2:3], 2
	s_add_u32 s14, s10, s14
	s_addc_u32 s15, s11, s15
	s_load_dword s5, s[16:17], 0x0
	s_load_dword s7, s[14:15], 0x0
	s_waitcnt lgkmcnt(0)
	s_sub_i32 s5, s5, s7
	s_cmp_eq_u32 s5, 1
	s_cselect_b64 s[14:15], -1, 0
	s_andn2_b64 vcc, exec, s[8:9]
	s_cbranch_vccnz .LBB1256_3
.LBB1256_2:
	s_mov_b32 s3, 0
	s_mov_b64 s[14:15], -1
.LBB1256_3:
	s_andn2_b64 vcc, exec, s[14:15]
	s_cbranch_vccnz .LBB1256_20
; %bb.4:
	s_load_dwordx2 s[8:9], s[0:1], 0x28
	s_lshl_b64 s[14:15], s[2:3], 2
	s_waitcnt lgkmcnt(0)
	s_add_u32 s8, s8, s14
	s_addc_u32 s9, s9, s15
	s_load_dword s7, s[8:9], 0x0
	s_lshl_b32 s18, s6, 8
	s_waitcnt lgkmcnt(0)
	s_cmp_ge_i32 s18, s7
	s_cbranch_scc1 .LBB1256_20
; %bb.5:
	s_load_dwordx2 s[8:9], s[0:1], 0x20
	s_load_dword s5, s[0:1], 0x38
	s_add_i32 s16, s7, 15
	s_ashr_i32 s17, s16, 31
	v_and_b32_e32 v1, 0xcf, v0
	s_lshr_b32 s17, s17, 28
	v_add_u32_e32 v1, s18, v1
	s_add_i32 s16, s16, s17
	v_ashrrev_i32_e32 v2, 31, v1
	s_ashr_i32 s19, s16, 4
	v_lshrrev_b32_e32 v4, 28, v2
	s_add_i32 s19, s19, -1
	s_waitcnt lgkmcnt(0)
	s_mul_i32 s16, s2, s5
	s_mov_b32 s17, 0
	v_add_u32_e32 v2, v1, v4
	s_lshl_b64 s[16:17], s[16:17], 2
	v_ashrrev_i32_e32 v2, 4, v2
	v_mov_b32_e32 v5, s19
	v_cmp_gt_i32_e32 vcc, s7, v1
	s_add_u32 s8, s8, s16
	s_addc_u32 s9, s9, s17
	v_cndmask_b32_e32 v2, v5, v2, vcc
	v_ashrrev_i32_e32 v3, 31, v2
	v_lshl_add_u64 v[6:7], v[2:3], 2, s[8:9]
	v_or_b32_e32 v2, 16, v1
	v_add_u32_e32 v3, v2, v4
	v_ashrrev_i32_e32 v3, 4, v3
	v_cmp_gt_i32_e32 vcc, s7, v2
	s_load_dwordx2 s[16:17], s[0:1], 0x8
	s_nop 0
	v_cndmask_b32_e32 v2, v5, v3, vcc
	v_ashrrev_i32_e32 v3, 31, v2
	v_lshl_add_u64 v[8:9], v[2:3], 2, s[8:9]
	v_or_b32_e32 v2, 32, v1
	v_add_u32_e32 v3, v2, v4
	v_ashrrev_i32_e32 v3, 4, v3
	v_cmp_gt_i32_e32 vcc, s7, v2
	v_or_b32_e32 v1, 48, v1
	s_nop 0
	v_cndmask_b32_e32 v2, v5, v3, vcc
	v_ashrrev_i32_e32 v3, 31, v2
	v_lshl_add_u64 v[12:13], v[2:3], 2, s[8:9]
	v_add_u32_e32 v2, v1, v4
	v_ashrrev_i32_e32 v2, 4, v2
	v_cmp_gt_i32_e32 vcc, s7, v1
	s_nop 1
	v_cndmask_b32_e32 v2, v5, v2, vcc
	v_ashrrev_i32_e32 v3, 31, v2
	v_lshl_add_u64 v[14:15], v[2:3], 2, s[8:9]
	global_load_dword v4, v[6:7], off
	global_load_dword v3, v[8:9], off
	;; [unrolled: 1-line block ×4, first 2 shown]
	s_andn2_b64 vcc, exec, s[12:13]
	s_cbranch_vccnz .LBB1256_8
; %bb.6:
	s_add_u32 s10, s10, s14
	s_addc_u32 s11, s11, s15
	s_load_dword s5, s[10:11], 0x0
	s_branch .LBB1256_9
.LBB1256_7:
	s_mov_b64 s[14:15], 0
	s_branch .LBB1256_2
.LBB1256_8:
	s_mov_b32 s5, s2
.LBB1256_9:
	s_load_dwordx2 s[10:11], s[0:1], 0x10
	s_load_dwordx4 s[44:47], s[0:1], 0x48
	v_lshrrev_b32_e32 v57, 6, v0
	v_bfe_u32 v60, v0, 4, 2
	v_and_b32_e32 v56, 15, v0
	v_lshl_or_b32 v5, v57, 2, v60
	v_lshlrev_b32_e32 v1, 3, v56
	s_mul_i32 s48, s4, 9
	v_cmp_gt_u32_e32 vcc, 9, v5
	v_lshlrev_b32_e32 v54, 1, v1
	v_lshlrev_b32_e32 v1, 4, v0
	s_and_saveexec_b64 s[12:13], vcc
	s_cbranch_execz .LBB1256_11
; %bb.10:
	s_load_dwordx2 s[14:15], s[0:1], 0x0
	s_waitcnt lgkmcnt(0)
	s_ashr_i32 s20, s44, 31
	s_mul_hi_u32 s21, s5, s44
	s_mul_i32 s20, s5, s20
	s_add_i32 s21, s21, s20
	s_mul_i32 s20, s5, s44
	s_lshl_b64 s[20:21], s[20:21], 1
	s_add_u32 s14, s14, s20
	v_add_lshl_u32 v6, v5, s48, 7
	s_addc_u32 s15, s15, s21
	v_ashrrev_i32_e32 v7, 31, v6
	v_lshl_add_u64 v[6:7], v[6:7], 1, s[14:15]
	v_mov_b32_e32 v55, 0
	v_lshl_add_u64 v[6:7], v[6:7], 0, v[54:55]
	global_load_dwordx4 v[6:9], v[6:7], off
	v_lshlrev_b32_e32 v12, 8, v0
	v_lshlrev_b32_e32 v11, 8, v56
	v_and_b32_e32 v12, 0x600, v12
	s_movk_i32 s5, 0x800
	v_and_or_b32 v11, v11, s5, v12
	v_lshlrev_b32_e32 v5, 5, v5
	v_and_b32_e32 v12, 16, v1
	v_or3_b32 v5, v11, v5, v12
	s_waitcnt vmcnt(0)
	ds_write_b128 v5, v[6:9]
.LBB1256_11:
	s_or_b64 exec, exec, s[12:13]
	s_waitcnt lgkmcnt(0)
	s_mul_i32 s12, s4, s46
	s_add_u32 s4, s16, s12
	s_addc_u32 s5, s17, 0
	v_and_b32_e32 v58, 0xf0, v1
	v_mov_b32_e32 v59, 0
	v_and_b32_e32 v34, 48, v0
	v_lshl_add_u64 v[12:13], s[4:5], 0, v[58:59]
	v_lshlrev_b32_e32 v58, 4, v34
	s_waitcnt vmcnt(3)
	v_mad_i64_i32 v[4:5], s[4:5], v4, s45, v[12:13]
	v_lshl_add_u64 v[4:5], v[4:5], 0, v[58:59]
	s_barrier
	global_load_dwordx4 v[50:53], v[4:5], off
	global_load_dwordx4 v[46:49], v[4:5], off offset:1024
	s_waitcnt vmcnt(4)
	v_mad_i64_i32 v[4:5], s[4:5], v3, s45, v[12:13]
	s_waitcnt vmcnt(3)
	v_mad_i64_i32 v[2:3], s[4:5], v2, s45, v[12:13]
	v_lshl_add_u64 v[4:5], v[4:5], 0, v[58:59]
	v_lshl_add_u64 v[14:15], v[2:3], 0, v[58:59]
	s_waitcnt vmcnt(2)
	v_mad_i64_i32 v[10:11], s[4:5], v10, s45, v[12:13]
	global_load_dwordx4 v[36:39], v[4:5], off
	global_load_dwordx4 v[6:9], v[4:5], off offset:1024
	s_nop 0
	global_load_dwordx4 v[2:5], v[14:15], off
	global_load_dwordx4 v[42:45], v[14:15], off offset:1024
	v_lshl_add_u64 v[14:15], v[10:11], 0, v[58:59]
	global_load_dwordx4 v[26:29], v[14:15], off
	global_load_dwordx4 v[10:13], v[14:15], off offset:1024
	v_add_u32_e32 v14, -9, v56
	v_cmp_gt_u32_e32 vcc, 9, v56
	v_and_b32_e32 v55, 63, v0
	v_mov_b32_e32 v61, 0
	v_cndmask_b32_e32 v14, v14, v56, vcc
	v_lshlrev_b32_e32 v14, 5, v14
	v_lshl_add_u32 v14, v60, 9, v14
	ds_read_b128 v[30:33], v14
	ds_read_b128 v[22:25], v14 offset:16
	ds_read_b128 v[18:21], v14 offset:2048
	;; [unrolled: 1-line block ×3, first 2 shown]
	s_and_saveexec_b64 s[4:5], vcc
	s_cbranch_execz .LBB1256_13
; %bb.12:
	s_load_dwordx2 s[14:15], s[0:1], 0x40
	v_add_u32_e32 v40, s48, v56
	v_ashrrev_i32_e32 v41, 31, v40
	s_waitcnt lgkmcnt(0)
	v_lshl_add_u64 v[40:41], v[40:41], 2, s[14:15]
	global_load_dword v61, v[40:41], off
.LBB1256_13:
	s_or_b64 exec, exec, s[4:5]
	v_or_b32_e32 v58, s18, v34
	v_ashrrev_i32_e32 v34, 4, v58
	v_mov_b32_e32 v63, s19
	v_cmp_gt_i32_e32 vcc, s7, v58
	s_waitcnt vmcnt(7)
	v_cvt_pk_f32_fp8_e32 v[40:41], v50
	v_cvt_pk_f32_fp8_sdwa v[64:65], v50 src0_sel:WORD_1
	v_cndmask_b32_e32 v34, v63, v34, vcc
	v_ashrrev_i32_e32 v35, 31, v34
	v_lshl_add_u64 v[34:35], v[34:35], 2, s[8:9]
	global_load_dword v62, v[34:35], off
	v_or_b32_e32 v34, 64, v58
	v_ashrrev_i32_e32 v35, 4, v34
	v_cmp_gt_i32_e32 vcc, s7, v34
	v_or_b32_e32 v66, 0x80, v58
	v_ashrrev_i32_e32 v67, 4, v66
	v_cndmask_b32_e32 v34, v63, v35, vcc
	v_cmp_gt_i32_e32 vcc, s7, v66
	s_mov_b32 s33, 0x7060302
	v_perm_b32 v40, v41, v40, s33
	v_cndmask_b32_e32 v50, v63, v67, vcc
	v_perm_b32 v41, v65, v64, s33
	v_cvt_pk_f32_fp8_e32 v[64:65], v51
	v_cvt_pk_f32_fp8_sdwa v[66:67], v51 src0_sel:WORD_1
	v_ashrrev_i32_e32 v51, 31, v50
	v_lshl_add_u64 v[68:69], v[50:51], 2, s[8:9]
	v_perm_b32 v50, v65, v64, s33
	v_perm_b32 v51, v67, v66, s33
	s_waitcnt lgkmcnt(3)
	v_mfma_f32_16x16x16_bf16 v[64:67], v[40:41], v[30:31], 0
	v_cvt_pk_f32_fp8_e32 v[40:41], v52
	v_cvt_pk_f32_fp8_sdwa v[70:71], v52 src0_sel:WORD_1
	s_waitcnt vmcnt(7)
	v_cvt_pk_f32_fp8_e32 v[72:73], v46
	v_mfma_f32_16x16x16_bf16 v[64:67], v[50:51], v[32:33], v[64:67]
	v_cvt_pk_f32_fp8_e32 v[50:51], v53
	v_perm_b32 v40, v41, v40, s33
	v_perm_b32 v41, v71, v70, s33
	v_cvt_pk_f32_fp8_sdwa v[52:53], v53 src0_sel:WORD_1
	v_perm_b32 v70, v51, v50, s33
	v_cvt_pk_f32_fp8_sdwa v[74:75], v46 src0_sel:WORD_1
	v_ashrrev_i32_e32 v35, 31, v34
	v_perm_b32 v71, v53, v52, s33
	s_waitcnt lgkmcnt(2)
	v_mfma_f32_16x16x16_bf16 v[50:53], v[40:41], v[22:23], v[64:67]
	v_perm_b32 v40, v73, v72, s33
	v_perm_b32 v41, v75, v74, s33
	v_or_b32_e32 v58, 0xc0, v58
	v_cvt_pk_f32_fp8_e32 v[64:65], v47
	v_cvt_pk_f32_fp8_sdwa v[46:47], v47 src0_sel:WORD_1
	v_mfma_f32_16x16x16_bf16 v[50:53], v[70:71], v[24:25], v[50:53]
	v_lshl_add_u64 v[34:35], v[34:35], 2, s[8:9]
	v_perm_b32 v64, v65, v64, s33
	v_perm_b32 v65, v47, v46, s33
	s_waitcnt lgkmcnt(1)
	v_mfma_f32_16x16x16_bf16 v[50:53], v[40:41], v[18:19], v[50:53]
	v_ashrrev_i32_e32 v66, 4, v58
	v_cmp_gt_i32_e32 vcc, s7, v58
	v_cvt_pk_f32_fp8_e32 v[46:47], v48
	s_waitcnt vmcnt(6)
	v_cvt_pk_f32_fp8_sdwa v[70:71], v36 src0_sel:WORD_1
	v_cndmask_b32_e32 v40, v63, v66, vcc
	v_mfma_f32_16x16x16_bf16 v[64:67], v[64:65], v[20:21], v[50:53]
	v_ashrrev_i32_e32 v41, 31, v40
	v_lshl_add_u64 v[40:41], v[40:41], 2, s[8:9]
	v_perm_b32 v46, v47, v46, s33
	global_load_dword v53, v[34:35], off
	global_load_dword v63, v[40:41], off
	v_cvt_pk_f32_fp8_sdwa v[50:51], v48 src0_sel:WORD_1
	v_cvt_pk_f32_fp8_e32 v[34:35], v49
	v_cvt_pk_f32_fp8_sdwa v[48:49], v49 src0_sel:WORD_1
	s_add_u32 s46, s10, s12
	v_perm_b32 v47, v51, v50, s33
	v_perm_b32 v34, v35, v34, s33
	;; [unrolled: 1-line block ×3, first 2 shown]
	s_waitcnt lgkmcnt(0)
	v_mfma_f32_16x16x16_bf16 v[46:49], v[46:47], v[14:15], v[64:67]
	v_cvt_pk_f32_fp8_e32 v[50:51], v36
	s_nop 1
	global_load_dword v64, v[68:69], off
	v_cvt_pk_f32_fp8_e32 v[66:67], v37
	s_waitcnt vmcnt(8)
	v_cvt_pk_f32_fp8_e32 v[68:69], v6
	v_perm_b32 v50, v51, v50, s33
	v_perm_b32 v51, v71, v70, s33
	v_cvt_pk_f32_fp8_sdwa v[70:71], v37 src0_sel:WORD_1
	v_perm_b32 v40, v67, v66, s33
	v_mfma_f32_16x16x16_bf16 v[34:37], v[34:35], v[16:17], v[46:49]
	v_cvt_pk_f32_fp8_sdwa v[66:67], v38 src0_sel:WORD_1
	v_perm_b32 v41, v71, v70, s33
	v_cvt_pk_f32_fp8_sdwa v[70:71], v6 src0_sel:WORD_1
	v_mfma_f32_16x16x16_bf16 v[46:49], v[50:51], v[30:31], 0
	v_cvt_pk_f32_fp8_e32 v[50:51], v38
	v_lshl_or_b32 v52, v57, 4, v56
	s_waitcnt vmcnt(6)
	v_cvt_pk_f32_fp8_e32 v[72:73], v43
	v_mfma_f32_16x16x16_bf16 v[46:49], v[40:41], v[32:33], v[46:49]
	v_cvt_pk_f32_fp8_e32 v[40:41], v39
	v_perm_b32 v50, v51, v50, s33
	v_perm_b32 v51, v67, v66, s33
	v_cvt_pk_f32_fp8_sdwa v[38:39], v39 src0_sel:WORD_1
	v_perm_b32 v66, v41, v40, s33
	s_addc_u32 s47, s11, 0
	v_lshlrev_b32_e32 v58, 4, v52
	v_perm_b32 v67, v39, v38, s33
	v_mfma_f32_16x16x16_bf16 v[38:41], v[50:51], v[22:23], v[46:49]
	v_cvt_pk_f32_fp8_sdwa v[50:51], v2 src0_sel:WORD_1
	s_nop 1
	v_perm_b32 v46, v69, v68, s33
	v_perm_b32 v47, v71, v70, s33
	v_cvt_pk_f32_fp8_e32 v[48:49], v7
	v_cvt_pk_f32_fp8_sdwa v[6:7], v7 src0_sel:WORD_1
	v_mfma_f32_16x16x16_bf16 v[38:41], v[66:67], v[24:25], v[38:41]
	v_lshl_add_u64 v[70:71], s[46:47], 0, v[58:59]
	v_perm_b32 v48, v49, v48, s33
	v_perm_b32 v49, v7, v6, s33
	v_mfma_f32_16x16x16_bf16 v[38:41], v[46:47], v[18:19], v[38:41]
	v_cvt_pk_f32_fp8_e32 v[6:7], v8
	v_cvt_pk_f32_fp8_sdwa v[46:47], v8 src0_sel:WORD_1
	v_or_b32_e32 v58, 0x400, v58
	v_mfma_f32_16x16x16_bf16 v[38:41], v[48:49], v[20:21], v[38:41]
	v_cvt_pk_f32_fp8_e32 v[48:49], v9
	v_perm_b32 v6, v7, v6, s33
	v_perm_b32 v7, v47, v46, s33
	v_cvt_pk_f32_fp8_sdwa v[8:9], v9 src0_sel:WORD_1
	v_perm_b32 v46, v49, v48, s33
	v_cvt_pk_f32_fp8_e32 v[48:49], v2
	v_perm_b32 v47, v9, v8, s33
	v_mfma_f32_16x16x16_bf16 v[6:9], v[6:7], v[14:15], v[38:41]
	v_perm_b32 v48, v49, v48, s33
	v_perm_b32 v49, v51, v50, s33
	v_cvt_pk_f32_fp8_e32 v[50:51], v3
	v_cvt_pk_f32_fp8_sdwa v[2:3], v3 src0_sel:WORD_1
	v_mfma_f32_16x16x16_bf16 v[38:41], v[46:47], v[16:17], v[6:9]
	v_perm_b32 v46, v51, v50, s33
	v_perm_b32 v47, v3, v2, s33
	v_mfma_f32_16x16x16_bf16 v[6:9], v[48:49], v[30:31], 0
	v_cvt_pk_f32_fp8_e32 v[2:3], v4
	v_cvt_pk_f32_fp8_sdwa v[48:49], v4 src0_sel:WORD_1
	s_waitcnt vmcnt(3)
	v_mad_i64_i32 v[50:51], s[4:5], v62, s45, v[70:71]
	v_perm_b32 v2, v3, v2, s33
	v_perm_b32 v3, v49, v48, s33
	v_mfma_f32_16x16x16_bf16 v[6:9], v[46:47], v[32:33], v[6:9]
	v_cvt_pk_f32_fp8_e32 v[46:47], v5
	v_cvt_pk_f32_fp8_sdwa v[4:5], v5 src0_sel:WORD_1
	s_waitcnt vmcnt(2)
	v_mad_i64_i32 v[66:67], s[4:5], v53, s45, v[70:71]
	v_perm_b32 v46, v47, v46, s33
	v_perm_b32 v47, v5, v4, s33
	v_mfma_f32_16x16x16_bf16 v[2:5], v[2:3], v[22:23], v[6:9]
	s_nop 2
	v_cvt_pk_f32_fp8_e32 v[6:7], v42
	v_cvt_pk_f32_fp8_sdwa v[8:9], v42 src0_sel:WORD_1
	v_cvt_pk_f32_fp8_sdwa v[42:43], v43 src0_sel:WORD_1
	v_mfma_f32_16x16x16_bf16 v[46:49], v[46:47], v[24:25], v[2:5]
	v_perm_b32 v68, v7, v6, s33
	v_perm_b32 v69, v9, v8, s33
	global_load_dwordx4 v[6:9], v[50:51], off
	global_load_dwordx4 v[2:5], v[66:67], off
	v_perm_b32 v66, v73, v72, s33
	v_perm_b32 v67, v43, v42, s33
	v_mfma_f32_16x16x16_bf16 v[48:51], v[68:69], v[18:19], v[46:49]
	v_cvt_pk_f32_fp8_e32 v[42:43], v44
	v_cvt_pk_f32_fp8_sdwa v[72:73], v44 src0_sel:WORD_1
	s_waitcnt vmcnt(2)
	v_mad_i64_i32 v[46:47], s[4:5], v64, s45, v[70:71]
	v_mfma_f32_16x16x16_bf16 v[66:69], v[66:67], v[20:21], v[48:51]
	v_perm_b32 v42, v43, v42, s33
	v_perm_b32 v43, v73, v72, s33
	v_cvt_pk_f32_fp8_sdwa v[72:73], v26 src0_sel:WORD_1
	v_cvt_pk_f32_fp8_e32 v[50:51], v45
	v_cvt_pk_f32_fp8_sdwa v[44:45], v45 src0_sel:WORD_1
	v_mad_i64_i32 v[48:49], s[4:5], v63, s45, v[70:71]
	v_perm_b32 v50, v51, v50, s33
	v_perm_b32 v51, v45, v44, s33
	v_mfma_f32_16x16x16_bf16 v[42:45], v[42:43], v[14:15], v[66:69]
	v_cvt_pk_f32_fp8_e32 v[70:71], v26
	s_load_dword s4, s[0:1], 0x1c
	s_load_dwordx4 s[40:43], s[0:1], 0x80
	s_load_dword s44, s[0:1], 0x98
	s_waitcnt lgkmcnt(0)
	s_load_dword s5, s[40:41], 0x0
	v_mfma_f32_16x16x16_bf16 v[66:69], v[50:51], v[16:17], v[42:45]
	s_mov_b32 s40, 0xff7fffff
	s_nop 1
	v_cvt_pk_f32_fp8_e32 v[42:43], v27
	v_perm_b32 v44, v71, v70, s33
	v_perm_b32 v45, v73, v72, s33
	v_cvt_pk_f32_fp8_sdwa v[26:27], v27 src0_sel:WORD_1
	v_perm_b32 v50, v43, v42, s33
	v_cvt_pk_f32_fp8_e32 v[70:71], v28
	v_cvt_pk_f32_fp8_sdwa v[72:73], v28 src0_sel:WORD_1
	v_perm_b32 v51, v27, v26, s33
	v_mfma_f32_16x16x16_bf16 v[42:45], v[44:45], v[30:31], 0
	v_perm_b32 v30, v71, v70, s33
	v_perm_b32 v31, v73, v72, s33
	v_cvt_pk_f32_fp8_e32 v[70:71], v29
	v_cvt_pk_f32_fp8_sdwa v[72:73], v29 src0_sel:WORD_1
	v_mfma_f32_16x16x16_bf16 v[26:29], v[50:51], v[32:33], v[42:45]
	v_mov_b32_e32 v32, s4
	s_waitcnt lgkmcnt(0)
	v_mul_f32_e32 v50, s5, v32
	v_pk_mul_f32 v[32:33], v[50:51], v[34:35] op_sel_hi:[0,1]
	v_perm_b32 v42, v71, v70, s33
	v_perm_b32 v43, v73, v72, s33
	v_mfma_f32_16x16x16_bf16 v[26:29], v[30:31], v[22:23], v[26:29]
	v_pk_mul_f32 v[30:31], v[50:51], v[36:37] op_sel_hi:[0,1]
	v_cvt_pk_f32_fp8_e32 v[22:23], v10
	v_cvt_pk_f32_fp8_sdwa v[70:71], v12 src0_sel:WORD_1
	v_mfma_f32_16x16x16_bf16 v[34:37], v[42:43], v[24:25], v[26:29]
	v_cvt_pk_f32_fp8_sdwa v[24:25], v10 src0_sel:WORD_1
	v_perm_b32 v42, v23, v22, s33
	v_pk_mul_f32 v[40:41], v[50:51], v[40:41] op_sel_hi:[0,1]
	v_cvt_pk_f32_fp8_e32 v[26:27], v11
	v_cvt_pk_f32_fp8_sdwa v[10:11], v11 src0_sel:WORD_1
	v_perm_b32 v43, v25, v24, s33
	v_perm_b32 v44, v27, v26, s33
	;; [unrolled: 1-line block ×3, first 2 shown]
	v_cvt_pk_f32_fp8_e32 v[10:11], v12
	v_mfma_f32_16x16x16_bf16 v[34:37], v[42:43], v[18:19], v[34:37]
	global_load_dwordx4 v[26:29], v[46:47], off
	global_load_dwordx4 v[22:25], v[48:49], off
	v_perm_b32 v19, v71, v70, s33
	v_perm_b32 v18, v11, v10, s33
	v_cvt_pk_f32_fp8_e32 v[42:43], v13
	v_cvt_pk_f32_fp8_sdwa v[46:47], v13 src0_sel:WORD_1
	v_mfma_f32_16x16x16_bf16 v[10:13], v[44:45], v[20:21], v[34:37]
	v_pk_mul_f32 v[44:45], v[50:51], v[38:39] op_sel_hi:[0,1]
	v_perm_b32 v20, v43, v42, s33
	v_perm_b32 v21, v47, v46, s33
	v_mfma_f32_16x16x16_bf16 v[10:13], v[18:19], v[14:15], v[10:13]
	v_pk_mul_f32 v[38:39], v[50:51], v[68:69] op_sel_hi:[0,1]
	v_pk_mul_f32 v[42:43], v[50:51], v[66:67] op_sel_hi:[0,1]
	v_mfma_f32_16x16x16_bf16 v[10:13], v[20:21], v[16:17], v[10:13]
	s_nop 6
	v_pk_mul_f32 v[36:37], v[50:51], v[10:11] op_sel_hi:[0,1]
	v_and_b32_e32 v10, 0xc0, v0
	v_add_u32_e32 v10, s18, v10
	v_lshl_or_b32 v10, v60, 2, v10
	v_or_b32_e32 v11, 1, v10
	v_pk_mul_f32 v[34:35], v[50:51], v[12:13] op_sel_hi:[0,1]
	v_subrev_u32_e32 v12, s7, v11
	v_add_u32_e32 v14, 1, v12
	v_add_u32_e32 v15, 2, v12
	v_cvt_f32_i32_e32 v13, v12
	v_cvt_f32_i32_e32 v14, v14
	;; [unrolled: 1-line block ×3, first 2 shown]
	v_add_u32_e32 v16, 3, v12
	v_fma_f32 v18, v61, v13, v32
	v_fmac_f32_e32 v33, v61, v14
	v_fma_f32 v48, v61, v15, v30
	v_add_u32_e32 v13, 16, v12
	v_add_u32_e32 v14, 17, v12
	;; [unrolled: 1-line block ×3, first 2 shown]
	v_cvt_f32_i32_e32 v16, v16
	v_cvt_f32_i32_e32 v13, v13
	;; [unrolled: 1-line block ×4, first 2 shown]
	v_fmac_f32_e32 v31, v61, v16
	v_add_u32_e32 v16, 19, v12
	v_fma_f32 v44, v61, v13, v44
	v_fmac_f32_e32 v45, v61, v14
	v_fma_f32 v40, v61, v15, v40
	v_add_u32_e32 v13, 32, v12
	v_add_u32_e32 v14, 33, v12
	;; [unrolled: 1-line block ×3, first 2 shown]
	v_cvt_f32_i32_e32 v16, v16
	v_cvt_f32_i32_e32 v13, v13
	;; [unrolled: 1-line block ×4, first 2 shown]
	v_fmac_f32_e32 v41, v61, v16
	v_add_u32_e32 v16, 35, v12
	v_fma_f32 v42, v61, v13, v42
	v_fmac_f32_e32 v43, v61, v14
	v_fma_f32 v38, v61, v15, v38
	v_add_u32_e32 v13, 48, v12
	v_add_u32_e32 v14, 49, v12
	;; [unrolled: 1-line block ×4, first 2 shown]
	v_cvt_f32_i32_e32 v12, v12
	v_cvt_f32_i32_e32 v13, v13
	;; [unrolled: 1-line block ×3, first 2 shown]
	v_cmp_gt_i32_e64 s[8:9], s7, v10
	v_fmac_f32_e32 v35, v61, v12
	v_mov_b32_e32 v12, 0xff7fffff
	v_cmp_gt_i32_e64 s[10:11], s7, v11
	v_fma_f32 v36, v61, v13, v36
	v_cndmask_b32_e64 v13, v12, v18, s[8:9]
	v_cndmask_b32_e64 v11, v12, v33, s[10:11]
	v_fmac_f32_e32 v37, v61, v14
	v_max3_f32 v11, v13, s40, v11
	v_or_b32_e32 v13, 2, v10
	v_or_b32_e32 v14, 3, v10
	v_cmp_gt_i32_e64 s[12:13], s7, v13
	v_cmp_gt_i32_e64 s[14:15], s7, v14
	v_cvt_f32_i32_e32 v16, v16
	v_cndmask_b32_e64 v13, v12, v48, s[12:13]
	v_cndmask_b32_e64 v14, v12, v31, s[14:15]
	v_max3_f32 v11, v11, v13, v14
	v_or_b32_e32 v13, 16, v10
	v_or_b32_e32 v14, 17, v10
	v_cmp_gt_i32_e64 s[16:17], s7, v13
	v_cmp_gt_i32_e64 s[18:19], s7, v14
	v_fmac_f32_e32 v39, v61, v16
	v_cndmask_b32_e64 v13, v12, v44, s[16:17]
	v_cndmask_b32_e64 v14, v12, v45, s[18:19]
	v_max3_f32 v11, v11, v13, v14
	v_or_b32_e32 v13, 18, v10
	v_or_b32_e32 v14, 19, v10
	v_cmp_gt_i32_e64 s[20:21], s7, v13
	v_cmp_gt_i32_e64 s[22:23], s7, v14
	v_cvt_f32_i32_e32 v15, v15
	v_cndmask_b32_e64 v13, v12, v40, s[20:21]
	v_cndmask_b32_e64 v14, v12, v41, s[22:23]
	v_max3_f32 v11, v11, v13, v14
	v_or_b32_e32 v13, 32, v10
	v_or_b32_e32 v14, 33, v10
	v_cmp_gt_i32_e64 s[24:25], s7, v13
	v_cmp_gt_i32_e64 s[26:27], s7, v14
	v_fma_f32 v34, v61, v15, v34
	v_cndmask_b32_e64 v13, v12, v42, s[24:25]
	v_cndmask_b32_e64 v14, v12, v43, s[26:27]
	v_max3_f32 v11, v11, v13, v14
	v_or_b32_e32 v13, 34, v10
	v_or_b32_e32 v14, 35, v10
	v_cmp_gt_i32_e64 s[28:29], s7, v13
	v_cmp_gt_i32_e64 s[30:31], s7, v14
	s_nop 0
	v_cndmask_b32_e64 v13, v12, v38, s[28:29]
	v_cndmask_b32_e64 v14, v12, v39, s[30:31]
	v_max3_f32 v11, v11, v13, v14
	v_or_b32_e32 v13, 48, v10
	v_or_b32_e32 v14, 49, v10
	v_cmp_gt_i32_e64 s[34:35], s7, v13
	v_cmp_gt_i32_e64 s[36:37], s7, v14
	s_nop 0
	v_cndmask_b32_e64 v13, v12, v36, s[34:35]
	v_cndmask_b32_e64 v14, v12, v37, s[36:37]
	v_max3_f32 v11, v11, v13, v14
	v_or_b32_e32 v13, 50, v10
	v_or_b32_e32 v10, 51, v10
	v_cmp_gt_i32_e32 vcc, s7, v13
	v_cmp_gt_i32_e64 s[4:5], s7, v10
	s_nop 0
	v_cndmask_b32_e32 v13, v12, v34, vcc
	v_cndmask_b32_e64 v10, v12, v35, s[4:5]
	v_max3_f32 v14, v11, v13, v10
	v_mbcnt_lo_u32_b32 v10, -1, 0
	v_mbcnt_hi_u32_b32 v15, -1, v10
	v_and_b32_e32 v10, 64, v15
	v_add_u32_e32 v16, 64, v10
	v_xor_b32_e32 v10, 32, v15
	v_cmp_lt_i32_e64 s[38:39], v10, v16
	s_nop 1
	v_cndmask_b32_e64 v10, v15, v10, s[38:39]
	v_lshlrev_b32_e32 v51, 2, v10
	ds_bpermute_b32 v17, v51, v14
	v_lshl_add_u64 v[10:11], s[46:47], 0, v[58:59]
	v_mad_i64_i32 v[12:13], s[38:39], v62, s45, v[10:11]
	s_waitcnt lgkmcnt(0)
	v_max_f32_e32 v17, v17, v17
	v_max_f32_e32 v19, v14, v17
	v_xor_b32_e32 v14, 16, v15
	v_cmp_lt_i32_e64 s[38:39], v14, v16
	s_nop 1
	v_cndmask_b32_e64 v14, v15, v14, s[38:39]
	v_lshlrev_b32_e32 v58, 2, v14
	ds_bpermute_b32 v20, v58, v19
	v_mad_i64_i32 v[14:15], s[38:39], v53, s45, v[10:11]
	v_mad_i64_i32 v[16:17], s[38:39], v64, s45, v[10:11]
	s_waitcnt lgkmcnt(0)
	v_max_f32_e32 v20, v20, v20
	v_max_f32_e32 v50, v19, v20
	v_sub_f32_e32 v18, v18, v50
	v_sub_f32_e32 v19, v33, v50
	v_mul_f32_e32 v18, 0x3fb8aa3b, v18
	v_mul_f32_e32 v19, 0x3fb8aa3b, v19
	v_exp_f32_e32 v18, v18
	v_exp_f32_e32 v19, v19
	v_sub_f32_e32 v49, v31, v50
	v_mad_i64_i32 v[10:11], s[38:39], v63, s45, v[10:11]
	v_cndmask_b32_e64 v46, 0, v18, s[8:9]
	v_cndmask_b32_e64 v47, 0, v19, s[10:11]
	global_load_dwordx4 v[30:33], v[12:13], off
	global_load_dwordx4 v[18:21], v[14:15], off
	v_sub_f32_e32 v12, v48, v50
	v_mul_f32_e32 v12, 0x3fb8aa3b, v12
	v_exp_f32_e32 v48, v12
	global_load_dwordx4 v[14:17], v[16:17], off
	s_nop 0
	global_load_dwordx4 v[10:13], v[10:11], off
	v_sub_f32_e32 v40, v40, v50
	v_sub_f32_e32 v42, v42, v50
	v_mul_f32_e32 v40, 0x3fb8aa3b, v40
	v_mul_f32_e32 v42, 0x3fb8aa3b, v42
	v_exp_f32_e32 v40, v40
	v_exp_f32_e32 v53, v42
	v_mul_f32_e32 v49, 0x3fb8aa3b, v49
	v_sub_f32_e32 v44, v44, v50
	v_exp_f32_e32 v49, v49
	v_mul_f32_e32 v44, 0x3fb8aa3b, v44
	v_sub_f32_e32 v45, v45, v50
	v_sub_f32_e32 v42, v43, v50
	v_exp_f32_e32 v44, v44
	v_mul_f32_e32 v45, 0x3fb8aa3b, v45
	v_mul_f32_e32 v42, 0x3fb8aa3b, v42
	v_exp_f32_e32 v45, v45
	v_sub_f32_e32 v41, v41, v50
	v_exp_f32_e32 v59, v42
	v_cndmask_b32_e64 v42, 0, v40, s[20:21]
	v_cndmask_b32_e64 v40, 0, v53, s[24:25]
	v_add_f32_e32 v53, 0, v46
	v_cndmask_b32_e64 v48, 0, v48, s[12:13]
	v_mul_f32_e32 v41, 0x3fb8aa3b, v41
	v_add_f32_e32 v53, v53, v47
	v_cndmask_b32_e64 v49, 0, v49, s[14:15]
	v_exp_f32_e32 v41, v41
	v_add_f32_e32 v53, v53, v48
	v_cndmask_b32_e64 v44, 0, v44, s[16:17]
	v_sub_f32_e32 v38, v38, v50
	v_add_f32_e32 v53, v53, v49
	v_cndmask_b32_e64 v45, 0, v45, s[18:19]
	v_sub_f32_e32 v39, v39, v50
	v_mul_f32_e32 v38, 0x3fb8aa3b, v38
	v_add_f32_e32 v53, v53, v44
	v_exp_f32_e32 v38, v38
	v_mul_f32_e32 v39, 0x3fb8aa3b, v39
	v_sub_f32_e32 v36, v36, v50
	v_add_f32_e32 v53, v53, v45
	v_cndmask_b32_e64 v43, 0, v41, s[22:23]
	v_exp_f32_e32 v39, v39
	v_mul_f32_e32 v36, 0x3fb8aa3b, v36
	v_sub_f32_e32 v37, v37, v50
	v_add_f32_e32 v53, v53, v42
	v_exp_f32_e32 v36, v36
	v_mul_f32_e32 v37, 0x3fb8aa3b, v37
	v_add_f32_e32 v53, v53, v43
	v_sub_f32_e32 v34, v34, v50
	v_cndmask_b32_e64 v41, 0, v59, s[26:27]
	v_exp_f32_e32 v37, v37
	v_add_f32_e32 v53, v53, v40
	v_mul_f32_e32 v34, 0x3fb8aa3b, v34
	v_sub_f32_e32 v35, v35, v50
	v_cndmask_b32_e64 v38, 0, v38, s[28:29]
	v_add_f32_e32 v53, v53, v41
	v_exp_f32_e32 v34, v34
	v_mul_f32_e32 v35, 0x3fb8aa3b, v35
	v_cndmask_b32_e64 v39, 0, v39, s[30:31]
	v_add_f32_e32 v53, v53, v38
	v_exp_f32_e32 v35, v35
	v_cndmask_b32_e64 v36, 0, v36, s[34:35]
	v_add_f32_e32 v53, v53, v39
	v_cndmask_b32_e64 v37, 0, v37, s[36:37]
	v_add_f32_e32 v53, v53, v36
	v_add_f32_e32 v53, v53, v37
	v_cndmask_b32_e32 v34, 0, v34, vcc
	v_add_f32_e32 v53, v53, v34
	v_cndmask_b32_e64 v35, 0, v35, s[4:5]
	v_add_f32_e32 v53, v53, v35
	ds_bpermute_b32 v51, v51, v53
	v_cmp_gt_u32_e64 s[4:5], 16, v55
	s_waitcnt lgkmcnt(0)
	s_barrier
	v_add_f32_e32 v51, v53, v51
	ds_bpermute_b32 v53, v58, v51
	s_and_saveexec_b64 s[8:9], s[4:5]
	s_cbranch_execz .LBB1256_15
; %bb.14:
	s_waitcnt lgkmcnt(0)
	v_add_f32_e32 v51, v51, v53
	v_lshlrev_b32_e32 v52, 2, v52
	ds_write2st64_b32 v52, v50, v51 offset1:1
.LBB1256_15:
	s_or_b64 exec, exec, s[8:9]
	v_lshlrev_b32_e32 v51, 2, v56
	s_load_dword s7, s[0:1], 0x94
	s_waitcnt lgkmcnt(0)
	s_barrier
	ds_read2_b32 v[52:53], v51 offset1:16
	ds_read2_b32 v[58:59], v51 offset0:32 offset1:48
	ds_read2_b32 v[62:63], v51 offset0:64 offset1:80
	s_movk_i32 s11, 0x7fff
	s_mul_i32 s10, s44, 9
	s_waitcnt lgkmcnt(2)
	v_max3_f32 v50, v52, s40, v53
	s_waitcnt lgkmcnt(1)
	v_max3_f32 v50, v50, v58, v59
	v_sub_f32_e32 v52, v52, v50
	v_mul_f32_e32 v52, 0x3fb8aa3b, v52
	v_exp_f32_e32 v55, v52
	v_sub_f32_e32 v52, v53, v50
	v_mul_f32_e32 v52, 0x3fb8aa3b, v52
	v_exp_f32_e32 v61, v52
	;; [unrolled: 3-line block ×3, first 2 shown]
	ds_read2_b32 v[52:53], v51 offset0:96 offset1:112
	v_sub_f32_e32 v51, v59, v50
	v_mul_f32_e32 v51, 0x3fb8aa3b, v51
	v_exp_f32_e32 v59, v51
	s_waitcnt lgkmcnt(1)
	v_fma_f32 v51, v55, v62, 0
	v_fmac_f32_e32 v51, v61, v63
	s_waitcnt lgkmcnt(0)
	v_fmac_f32_e32 v51, v58, v52
	v_fmac_f32_e32 v51, v59, v53
	v_add_f32_e32 v52, 0x358637bd, v51
	v_div_scale_f32 v53, s[8:9], v52, v52, 1.0
	v_rcp_f32_e32 v62, v53
	s_barrier
	v_fma_f32 v63, -v53, v62, 1.0
	v_fmac_f32_e32 v62, v63, v62
	v_div_scale_f32 v63, vcc, 1.0, v52, 1.0
	v_mul_f32_e32 v64, v63, v62
	v_fma_f32 v65, -v53, v64, v63
	v_fmac_f32_e32 v64, v65, v62
	v_fma_f32 v53, -v53, v64, v63
	v_div_fmas_f32 v53, v53, v62, v64
	v_cmp_eq_u32_e32 vcc, 1, v57
	v_div_fixup_f32 v52, v53, v52, 1.0
	s_nop 0
	v_cndmask_b32_e32 v53, v55, v61, vcc
	v_cmp_eq_u32_e32 vcc, 2, v57
	s_nop 1
	v_cndmask_b32_e32 v53, v53, v58, vcc
	v_cmp_eq_u32_e32 vcc, 3, v57
	s_nop 1
	v_cndmask_b32_e32 v53, v53, v59, vcc
	v_mul_f32_e32 v52, v53, v52
	v_pk_mul_f32 v[46:47], v[52:53], v[46:47] op_sel_hi:[0,1]
	v_pk_mul_f32 v[48:49], v[52:53], v[48:49] op_sel_hi:[0,1]
	v_bfe_u32 v53, v47, 16, 1
	v_bfe_u32 v55, v46, 16, 1
	v_add3_u32 v46, v46, v55, s11
	v_add3_u32 v47, v47, v53, s11
	v_perm_b32 v58, v47, v46, s33
	v_bfe_u32 v46, v49, 16, 1
	v_bfe_u32 v47, v48, 16, 1
	v_add3_u32 v47, v48, v47, s11
	v_add3_u32 v46, v49, v46, s11
	v_perm_b32 v59, v46, v47, s33
	v_lshlrev_b32_e32 v47, 3, v60
	v_lshlrev_b32_e32 v46, 5, v56
	;; [unrolled: 1-line block ×3, first 2 shown]
	v_pk_mul_f32 v[44:45], v[52:53], v[44:45] op_sel_hi:[0,1]
	v_or3_b32 v55, v48, v46, v47
	v_bfe_u32 v47, v45, 16, 1
	v_bfe_u32 v48, v44, 16, 1
	v_pk_mul_f32 v[42:43], v[52:53], v[42:43] op_sel_hi:[0,1]
	v_add3_u32 v44, v44, v48, s11
	v_add3_u32 v45, v45, v47, s11
	v_perm_b32 v44, v45, v44, s33
	v_bfe_u32 v45, v43, 16, 1
	v_bfe_u32 v47, v42, 16, 1
	v_add3_u32 v42, v42, v47, s11
	v_add3_u32 v43, v43, v45, s11
	v_pk_mul_f32 v[40:41], v[52:53], v[40:41] op_sel_hi:[0,1]
	v_perm_b32 v45, v43, v42, s33
	v_bfe_u32 v42, v41, 16, 1
	v_bfe_u32 v43, v40, 16, 1
	v_pk_mul_f32 v[38:39], v[52:53], v[38:39] op_sel_hi:[0,1]
	v_add3_u32 v40, v40, v43, s11
	v_add3_u32 v41, v41, v42, s11
	v_perm_b32 v40, v41, v40, s33
	v_bfe_u32 v41, v39, 16, 1
	v_bfe_u32 v42, v38, 16, 1
	v_add3_u32 v38, v38, v42, s11
	v_add3_u32 v39, v39, v41, s11
	v_pk_mul_f32 v[36:37], v[52:53], v[36:37] op_sel_hi:[0,1]
	v_perm_b32 v41, v39, v38, s33
	v_bfe_u32 v38, v37, 16, 1
	v_bfe_u32 v39, v36, 16, 1
	v_pk_mul_f32 v[34:35], v[52:53], v[34:35] op_sel_hi:[0,1]
	v_add3_u32 v36, v36, v39, s11
	v_add3_u32 v37, v37, v38, s11
	v_perm_b32 v36, v37, v36, s33
	v_bfe_u32 v37, v35, 16, 1
	v_bfe_u32 v38, v34, 16, 1
	v_add3_u32 v34, v34, v38, s11
	v_add3_u32 v35, v35, v37, s11
	v_perm_b32 v37, v35, v34, s33
	v_cmp_gt_u32_e32 vcc, 9, v0
	ds_write2st64_b64 v55, v[58:59], v[44:45] offset1:1
	ds_write2st64_b64 v55, v[40:41], v[36:37] offset0:2 offset1:3
	s_and_saveexec_b64 s[8:9], vcc
	s_cbranch_execz .LBB1256_17
; %bb.16:
	s_mov_b32 s49, 0
	v_mov_b32_e32 v57, 0
	v_lshl_add_u64 v[34:35], s[48:49], 0, v[56:57]
	v_mov_b32_e32 v36, s10
	v_mad_u64_u32 v[34:35], s[16:17], s2, v36, v[34:35]
	s_mul_i32 s3, s3, s10
	v_mov_b32_e32 v36, s6
	v_mov_b32_e32 v37, v57
	s_load_dwordx4 s[12:15], s[0:1], 0x58
	v_add_u32_e32 v38, s3, v35
	v_mad_u64_u32 v[34:35], s[16:17], v34, s7, v[36:37]
	v_mov_b32_e32 v36, v35
	v_mad_u64_u32 v[36:37], s[16:17], v38, s7, v[36:37]
	v_mov_b32_e32 v35, v36
	v_lshlrev_b64 v[34:35], 2, v[34:35]
	s_waitcnt lgkmcnt(0)
	v_lshl_add_u64 v[36:37], s[14:15], 0, v[34:35]
	v_lshl_add_u64 v[34:35], s[12:13], 0, v[34:35]
	global_store_dword v[36:37], v50, off
	global_store_dword v[34:35], v51, off
.LBB1256_17:
	s_or_b64 exec, exec, s[8:9]
	s_waitcnt vmcnt(7)
	v_cvt_pk_f32_fp8_e32 v[34:35], v6
	v_cvt_pk_f32_fp8_sdwa v[36:37], v6 src0_sel:WORD_1
	v_lshl_or_b32 v50, v60, 9, v46
	s_mov_b32 s9, 0x7060302
	s_waitcnt lgkmcnt(0)
	s_barrier
	v_cvt_pk_f32_fp8_e32 v[38:39], v7
	v_perm_b32 v6, v35, v34, s9
	v_cvt_pk_f32_fp8_sdwa v[40:41], v7 src0_sel:WORD_1
	v_perm_b32 v7, v37, v36, s9
	ds_read_b128 v[34:37], v50
	v_perm_b32 v46, v39, v38, s9
	v_perm_b32 v47, v41, v40, s9
	ds_read_b128 v[38:41], v50 offset:16
	v_cvt_pk_f32_fp8_e32 v[48:49], v8
	v_cvt_pk_f32_fp8_sdwa v[52:53], v8 src0_sel:WORD_1
	s_waitcnt lgkmcnt(1)
	v_mfma_f32_16x16x16_bf16 v[42:45], v[6:7], v[34:35], 0
	s_waitcnt vmcnt(6)
	v_cvt_pk_f32_fp8_e32 v[58:59], v4
	v_perm_b32 v6, v49, v48, s9
	v_perm_b32 v7, v53, v52, s9
	v_cvt_pk_f32_fp8_e32 v[48:49], v9
	v_mfma_f32_16x16x16_bf16 v[42:45], v[46:47], v[36:37], v[42:45]
	v_cvt_pk_f32_fp8_sdwa v[46:47], v9 src0_sel:WORD_1
	v_cvt_pk_f32_fp8_sdwa v[62:63], v4 src0_sel:WORD_1
	v_perm_b32 v48, v49, v48, s9
	s_waitcnt lgkmcnt(0)
	v_mfma_f32_16x16x16_bf16 v[6:9], v[6:7], v[38:39], v[42:45]
	v_perm_b32 v49, v47, v46, s9
	s_waitcnt vmcnt(5)
	v_cvt_pk_f32_fp8_sdwa v[66:67], v28 src0_sel:WORD_1
	s_waitcnt vmcnt(4)
	v_cvt_pk_f32_fp8_sdwa v[68:69], v24 src0_sel:WORD_1
	v_cvt_pk_f32_fp8_e32 v[42:43], v2
	v_mfma_f32_16x16x16_bf16 v[46:49], v[48:49], v[40:41], v[6:9]
	s_load_dword s8, s[42:43], 0x0
	s_waitcnt vmcnt(3)
	v_cvt_pk_f32_fp8_sdwa v[70:71], v32 src0_sel:WORD_1
	v_cvt_pk_f32_fp8_sdwa v[6:7], v2 src0_sel:WORD_1
	v_cvt_pk_f32_fp8_e32 v[8:9], v3
	v_perm_b32 v2, v43, v42, s9
	v_cvt_pk_f32_fp8_sdwa v[42:43], v3 src0_sel:WORD_1
	v_perm_b32 v3, v7, v6, s9
	v_perm_b32 v52, v9, v8, s9
	ds_read_b128 v[6:9], v50 offset:2048
	v_perm_b32 v53, v43, v42, s9
	ds_read_b128 v[42:45], v50 offset:2064
	s_waitcnt lgkmcnt(0)
	v_mfma_f32_16x16x16_bf16 v[46:49], v[2:3], v[6:7], v[46:49]
	v_perm_b32 v2, v59, v58, s9
	v_perm_b32 v3, v63, v62, s9
	v_cvt_pk_f32_fp8_e32 v[58:59], v5
	v_mfma_f32_16x16x16_bf16 v[46:49], v[52:53], v[8:9], v[46:49]
	v_cvt_pk_f32_fp8_sdwa v[52:53], v5 src0_sel:WORD_1
	s_mov_b32 s3, 0
	v_perm_b32 v58, v59, v58, s9
	v_mfma_f32_16x16x16_bf16 v[2:5], v[2:3], v[42:43], v[46:49]
	v_perm_b32 v59, v53, v52, s9
	v_cmp_gt_u32_e32 vcc, 64, v0
	s_nop 0
	v_cvt_pk_f32_fp8_e32 v[46:47], v26
	v_mfma_f32_16x16x16_bf16 v[62:65], v[58:59], v[44:45], v[2:5]
	v_cvt_pk_f32_fp8_e32 v[58:59], v28
	s_nop 1
	v_cvt_pk_f32_fp8_sdwa v[2:3], v26 src0_sel:WORD_1
	v_cvt_pk_f32_fp8_e32 v[4:5], v27
	v_perm_b32 v26, v47, v46, s9
	v_cvt_pk_f32_fp8_sdwa v[46:47], v27 src0_sel:WORD_1
	v_perm_b32 v27, v3, v2, s9
	v_perm_b32 v52, v5, v4, s9
	ds_read_b128 v[2:5], v50 offset:4096
	v_perm_b32 v53, v47, v46, s9
	ds_read_b128 v[46:49], v50 offset:4112
	s_waitcnt lgkmcnt(1)
	v_mfma_f32_16x16x16_bf16 v[62:65], v[26:27], v[2:3], v[62:65]
	v_perm_b32 v26, v59, v58, s9
	v_perm_b32 v27, v67, v66, s9
	v_cvt_pk_f32_fp8_e32 v[58:59], v29
	v_mfma_f32_16x16x16_bf16 v[62:65], v[52:53], v[4:5], v[62:65]
	v_cvt_pk_f32_fp8_sdwa v[52:53], v29 src0_sel:WORD_1
	v_cvt_pk_f32_fp8_e32 v[66:67], v24
	v_perm_b32 v58, v59, v58, s9
	s_waitcnt lgkmcnt(0)
	v_mfma_f32_16x16x16_bf16 v[26:29], v[26:27], v[46:47], v[62:65]
	v_perm_b32 v59, v53, v52, s9
	v_cvt_pk_f32_fp8_e32 v[52:53], v22
	s_nop 0
	v_mfma_f32_16x16x16_bf16 v[62:65], v[58:59], v[48:49], v[26:29]
	s_nop 2
	v_cvt_pk_f32_fp8_sdwa v[26:27], v22 src0_sel:WORD_1
	v_cvt_pk_f32_fp8_e32 v[28:29], v23
	v_perm_b32 v22, v53, v52, s9
	v_cvt_pk_f32_fp8_sdwa v[52:53], v23 src0_sel:WORD_1
	v_perm_b32 v23, v27, v26, s9
	v_perm_b32 v58, v29, v28, s9
	ds_read_b128 v[26:29], v50 offset:6144
	v_perm_b32 v59, v53, v52, s9
	s_waitcnt lgkmcnt(0)
	v_mfma_f32_16x16x16_bf16 v[62:65], v[22:23], v[26:27], v[62:65]
	ds_read_b128 v[50:53], v50 offset:6160
	v_perm_b32 v22, v67, v66, s9
	v_perm_b32 v23, v69, v68, s9
	v_cvt_pk_f32_fp8_e32 v[66:67], v25
	v_mfma_f32_16x16x16_bf16 v[62:65], v[58:59], v[28:29], v[62:65]
	v_cvt_pk_f32_fp8_sdwa v[58:59], v25 src0_sel:WORD_1
	v_cvt_pk_f32_fp8_e32 v[68:69], v32
	v_perm_b32 v66, v67, v66, s9
	s_waitcnt lgkmcnt(0)
	v_mfma_f32_16x16x16_bf16 v[22:25], v[22:23], v[50:51], v[62:65]
	v_perm_b32 v67, v59, v58, s9
	v_cvt_pk_f32_fp8_sdwa v[58:59], v30 src0_sel:WORD_1
	s_nop 0
	v_mfma_f32_16x16x16_bf16 v[62:65], v[66:67], v[52:53], v[22:25]
	s_barrier
	s_nop 1
	v_cvt_pk_f32_fp8_e32 v[24:25], v30
	s_nop 2
	v_pk_mul_f32 v[66:67], v[62:63], s[8:9] op_sel_hi:[1,0]
	v_cvt_pk_f32_fp8_e32 v[62:63], v31
	v_perm_b32 v24, v25, v24, s9
	v_perm_b32 v25, v59, v58, s9
	v_cvt_pk_f32_fp8_sdwa v[30:31], v31 src0_sel:WORD_1
	v_perm_b32 v58, v63, v62, s9
	v_pk_mul_f32 v[22:23], v[64:65], s[8:9] op_sel_hi:[1,0]
	v_mfma_f32_16x16x16_bf16 v[62:65], v[24:25], v[34:35], 0
	v_perm_b32 v59, v31, v30, s9
	v_perm_b32 v24, v69, v68, s9
	;; [unrolled: 1-line block ×3, first 2 shown]
	v_cvt_pk_f32_fp8_e32 v[34:35], v33
	v_cvt_pk_f32_fp8_sdwa v[68:69], v33 src0_sel:WORD_1
	v_mfma_f32_16x16x16_bf16 v[30:33], v[58:59], v[36:37], v[62:65]
	s_waitcnt vmcnt(2)
	v_cvt_pk_f32_fp8_sdwa v[36:37], v18 src0_sel:WORD_1
	v_perm_b32 v34, v35, v34, s9
	v_perm_b32 v35, v69, v68, s9
	v_mfma_f32_16x16x16_bf16 v[30:33], v[24:25], v[38:39], v[30:33]
	v_cvt_pk_f32_fp8_e32 v[24:25], v18
	v_cvt_pk_f32_fp8_sdwa v[38:39], v20 src0_sel:WORD_1
	v_bfe_u32 v57, v67, 16, 1
	v_mfma_f32_16x16x16_bf16 v[30:33], v[34:35], v[40:41], v[30:33]
	v_cvt_pk_f32_fp8_e32 v[34:35], v19
	v_perm_b32 v24, v25, v24, s9
	v_perm_b32 v25, v37, v36, s9
	v_cvt_pk_f32_fp8_sdwa v[18:19], v19 src0_sel:WORD_1
	v_perm_b32 v34, v35, v34, s9
	v_cvt_pk_f32_fp8_e32 v[36:37], v20
	v_mfma_f32_16x16x16_bf16 v[30:33], v[24:25], v[6:7], v[30:33]
	v_perm_b32 v35, v19, v18, s9
	v_perm_b32 v18, v37, v36, s9
	;; [unrolled: 1-line block ×3, first 2 shown]
	v_cvt_pk_f32_fp8_e32 v[24:25], v21
	v_cvt_pk_f32_fp8_sdwa v[20:21], v21 src0_sel:WORD_1
	v_mfma_f32_16x16x16_bf16 v[6:9], v[34:35], v[8:9], v[30:33]
	v_bfe_u32 v58, v66, 16, 1
	v_perm_b32 v24, v25, v24, s9
	v_perm_b32 v25, v21, v20, s9
	v_mfma_f32_16x16x16_bf16 v[6:9], v[18:19], v[42:43], v[6:9]
	s_waitcnt vmcnt(1)
	v_cvt_pk_f32_fp8_e32 v[18:19], v14
	v_cvt_pk_f32_fp8_sdwa v[20:21], v14 src0_sel:WORD_1
	v_cvt_pk_f32_fp8_sdwa v[30:31], v16 src0_sel:WORD_1
	v_mfma_f32_16x16x16_bf16 v[6:9], v[24:25], v[44:45], v[6:9]
	v_cvt_pk_f32_fp8_e32 v[24:25], v15
	v_perm_b32 v18, v19, v18, s9
	v_perm_b32 v19, v21, v20, s9
	v_cvt_pk_f32_fp8_sdwa v[14:15], v15 src0_sel:WORD_1
	v_perm_b32 v20, v25, v24, s9
	v_cvt_pk_f32_fp8_e32 v[24:25], v16
	v_mfma_f32_16x16x16_bf16 v[6:9], v[18:19], v[2:3], v[6:9]
	v_perm_b32 v21, v15, v14, s9
	v_perm_b32 v14, v25, v24, s9
	;; [unrolled: 1-line block ×3, first 2 shown]
	v_cvt_pk_f32_fp8_e32 v[18:19], v17
	v_cvt_pk_f32_fp8_sdwa v[16:17], v17 src0_sel:WORD_1
	v_mfma_f32_16x16x16_bf16 v[2:5], v[20:21], v[4:5], v[6:9]
	v_add3_u32 v32, v66, v58, s11
	v_add3_u32 v33, v67, v57, s11
	s_nop 0
	v_perm_b32 v8, v19, v18, s9
	v_perm_b32 v9, v17, v16, s9
	v_mfma_f32_16x16x16_bf16 v[2:5], v[14:15], v[46:47], v[2:5]
	s_waitcnt vmcnt(0)
	v_cvt_pk_f32_fp8_e32 v[14:15], v10
	v_cvt_pk_f32_fp8_sdwa v[16:17], v10 src0_sel:WORD_1
	v_cvt_pk_f32_fp8_sdwa v[18:19], v12 src0_sel:WORD_1
	v_mfma_f32_16x16x16_bf16 v[2:5], v[8:9], v[48:49], v[2:5]
	v_cvt_pk_f32_fp8_e32 v[8:9], v11
	v_perm_b32 v14, v15, v14, s9
	v_perm_b32 v15, v17, v16, s9
	v_cvt_pk_f32_fp8_sdwa v[10:11], v11 src0_sel:WORD_1
	v_perm_b32 v8, v9, v8, s9
	v_cvt_pk_f32_fp8_e32 v[16:17], v12
	v_mfma_f32_16x16x16_bf16 v[2:5], v[14:15], v[26:27], v[2:5]
	v_perm_b32 v9, v11, v10, s9
	v_perm_b32 v10, v17, v16, s9
	;; [unrolled: 1-line block ×3, first 2 shown]
	v_cvt_pk_f32_fp8_e32 v[14:15], v13
	v_cvt_pk_f32_fp8_sdwa v[12:13], v13 src0_sel:WORD_1
	v_mfma_f32_16x16x16_bf16 v[2:5], v[8:9], v[28:29], v[2:5]
	v_bfe_u32 v7, v23, 16, 1
	v_perm_b32 v8, v15, v14, s9
	v_perm_b32 v9, v13, v12, s9
	v_mfma_f32_16x16x16_bf16 v[2:5], v[10:11], v[50:51], v[2:5]
	v_bfe_u32 v16, v22, 16, 1
	v_add3_u32 v10, v22, v16, s11
	v_add3_u32 v7, v23, v7, s11
	v_mfma_f32_16x16x16_bf16 v[2:5], v[8:9], v[52:53], v[2:5]
	v_perm_b32 v6, v33, v32, s9
	v_perm_b32 v7, v7, v10, s9
	s_nop 4
	v_pk_mul_f32 v[2:3], v[2:3], s[8:9] op_sel_hi:[1,0]
	v_pk_mul_f32 v[4:5], v[4:5], s[8:9] op_sel_hi:[1,0]
	v_bfe_u32 v8, v3, 16, 1
	v_bfe_u32 v9, v2, 16, 1
	v_add3_u32 v2, v2, v9, s11
	v_add3_u32 v3, v3, v8, s11
	v_perm_b32 v2, v3, v2, s9
	v_bfe_u32 v3, v5, 16, 1
	v_bfe_u32 v8, v4, 16, 1
	v_add3_u32 v4, v4, v8, s11
	v_add3_u32 v3, v5, v3, s11
	v_perm_b32 v3, v3, v4, s9
	ds_write2st64_b64 v55, v[6:7], v[2:3] offset1:1
	s_waitcnt lgkmcnt(0)
	s_barrier
	s_and_saveexec_b64 s[8:9], vcc
	s_cbranch_execz .LBB1256_20
; %bb.18:
	s_load_dwordx2 s[8:9], s[0:1], 0x68
	s_lshl_b32 s0, s7, 7
	s_mul_i32 s1, s10, s2
	v_lshlrev_b32_e32 v3, 6, v56
	s_mul_hi_u32 s11, s1, s0
	s_mul_i32 s10, s1, s0
	v_lshl_or_b32 v0, v0, 10, v3
	s_lshl_b64 s[10:11], s[10:11], 1
	v_lshlrev_b32_e32 v2, 5, v60
	v_and_b32_e32 v1, 16, v1
	v_and_b32_e32 v0, 0x1a00, v0
	s_waitcnt lgkmcnt(0)
	s_add_u32 s1, s8, s10
	v_or3_b32 v2, v0, v2, v1
	s_addc_u32 s7, s9, s11
	s_lshl_b32 s2, s6, 7
	s_lshl_b64 s[2:3], s[2:3], 1
	ds_read_b128 v[4:7], v2 offset:128
	ds_read_b128 v[8:11], v2
	s_add_u32 s2, s1, s2
	s_addc_u32 s3, s7, s3
	v_mov_b32_e32 v55, 0
	v_add_u32_e32 v3, s48, v60
	v_lshl_add_u64 v[0:1], s[2:3], 0, v[54:55]
	v_mad_u64_u32 v[12:13], s[2:3], v3, s0, 0
	v_lshl_add_u64 v[12:13], v[12:13], 1, v[0:1]
	v_add_u32_e32 v3, 4, v3
	s_waitcnt lgkmcnt(0)
	global_store_dwordx4 v[12:13], v[8:11], off
	s_nop 1
	v_mad_u64_u32 v[8:9], s[2:3], v3, s0, 0
	v_lshl_add_u64 v[8:9], v[8:9], 1, v[0:1]
	global_store_dwordx4 v[8:9], v[4:7], off
	s_and_b64 exec, exec, s[4:5]
	s_cbranch_execz .LBB1256_20
; %bb.19:
	ds_read_b128 v[2:5], v2 offset:256
	v_add3_u32 v6, s48, v60, 8
	v_mad_u64_u32 v[6:7], s[0:1], v6, s0, 0
	v_lshl_add_u64 v[0:1], v[6:7], 1, v[0:1]
	s_waitcnt lgkmcnt(0)
	global_store_dwordx4 v[0:1], v[2:5], off
.LBB1256_20:
	s_endpgm
	.section	.rodata,"a",@progbits
	.p2align	6, 0x0
	.amdhsa_kernel _Z39paged_attention_ll4mi_QKV_mfma16_kernelI14__hip_bfloat16hLN4vllm18Fp8KVCacheDataTypeE1EhLi16ELi128ELi256ELb1ELi9EEvPKT_PKT0_S8_ifPKiSA_SA_iPKfiiiPfSD_PS3_PT2_iSC_SC_
		.amdhsa_group_segment_fixed_size 8192
		.amdhsa_private_segment_fixed_size 0
		.amdhsa_kernarg_size 400
		.amdhsa_user_sgpr_count 2
		.amdhsa_user_sgpr_dispatch_ptr 0
		.amdhsa_user_sgpr_queue_ptr 0
		.amdhsa_user_sgpr_kernarg_segment_ptr 1
		.amdhsa_user_sgpr_dispatch_id 0
		.amdhsa_user_sgpr_kernarg_preload_length 0
		.amdhsa_user_sgpr_kernarg_preload_offset 0
		.amdhsa_user_sgpr_private_segment_size 0
		.amdhsa_uses_dynamic_stack 0
		.amdhsa_enable_private_segment 0
		.amdhsa_system_sgpr_workgroup_id_x 1
		.amdhsa_system_sgpr_workgroup_id_y 1
		.amdhsa_system_sgpr_workgroup_id_z 1
		.amdhsa_system_sgpr_workgroup_info 0
		.amdhsa_system_vgpr_workitem_id 0
		.amdhsa_next_free_vgpr 76
		.amdhsa_next_free_sgpr 50
		.amdhsa_accum_offset 76
		.amdhsa_reserve_vcc 1
		.amdhsa_float_round_mode_32 0
		.amdhsa_float_round_mode_16_64 0
		.amdhsa_float_denorm_mode_32 3
		.amdhsa_float_denorm_mode_16_64 3
		.amdhsa_dx10_clamp 1
		.amdhsa_ieee_mode 1
		.amdhsa_fp16_overflow 0
		.amdhsa_tg_split 0
		.amdhsa_exception_fp_ieee_invalid_op 0
		.amdhsa_exception_fp_denorm_src 0
		.amdhsa_exception_fp_ieee_div_zero 0
		.amdhsa_exception_fp_ieee_overflow 0
		.amdhsa_exception_fp_ieee_underflow 0
		.amdhsa_exception_fp_ieee_inexact 0
		.amdhsa_exception_int_div_zero 0
	.end_amdhsa_kernel
	.section	.text._Z39paged_attention_ll4mi_QKV_mfma16_kernelI14__hip_bfloat16hLN4vllm18Fp8KVCacheDataTypeE1EhLi16ELi128ELi256ELb1ELi9EEvPKT_PKT0_S8_ifPKiSA_SA_iPKfiiiPfSD_PS3_PT2_iSC_SC_,"axG",@progbits,_Z39paged_attention_ll4mi_QKV_mfma16_kernelI14__hip_bfloat16hLN4vllm18Fp8KVCacheDataTypeE1EhLi16ELi128ELi256ELb1ELi9EEvPKT_PKT0_S8_ifPKiSA_SA_iPKfiiiPfSD_PS3_PT2_iSC_SC_,comdat
.Lfunc_end1256:
	.size	_Z39paged_attention_ll4mi_QKV_mfma16_kernelI14__hip_bfloat16hLN4vllm18Fp8KVCacheDataTypeE1EhLi16ELi128ELi256ELb1ELi9EEvPKT_PKT0_S8_ifPKiSA_SA_iPKfiiiPfSD_PS3_PT2_iSC_SC_, .Lfunc_end1256-_Z39paged_attention_ll4mi_QKV_mfma16_kernelI14__hip_bfloat16hLN4vllm18Fp8KVCacheDataTypeE1EhLi16ELi128ELi256ELb1ELi9EEvPKT_PKT0_S8_ifPKiSA_SA_iPKfiiiPfSD_PS3_PT2_iSC_SC_
                                        ; -- End function
	.section	.AMDGPU.csdata,"",@progbits
; Kernel info:
; codeLenInByte = 6616
; NumSgprs: 56
; NumVgprs: 76
; NumAgprs: 0
; TotalNumVgprs: 76
; ScratchSize: 0
; MemoryBound: 0
; FloatMode: 240
; IeeeMode: 1
; LDSByteSize: 8192 bytes/workgroup (compile time only)
; SGPRBlocks: 6
; VGPRBlocks: 9
; NumSGPRsForWavesPerEU: 56
; NumVGPRsForWavesPerEU: 76
; AccumOffset: 76
; Occupancy: 6
; WaveLimiterHint : 1
; COMPUTE_PGM_RSRC2:SCRATCH_EN: 0
; COMPUTE_PGM_RSRC2:USER_SGPR: 2
; COMPUTE_PGM_RSRC2:TRAP_HANDLER: 0
; COMPUTE_PGM_RSRC2:TGID_X_EN: 1
; COMPUTE_PGM_RSRC2:TGID_Y_EN: 1
; COMPUTE_PGM_RSRC2:TGID_Z_EN: 1
; COMPUTE_PGM_RSRC2:TIDIG_COMP_CNT: 0
; COMPUTE_PGM_RSRC3_GFX90A:ACCUM_OFFSET: 18
; COMPUTE_PGM_RSRC3_GFX90A:TG_SPLIT: 0
	.section	.text._Z39paged_attention_ll4mi_QKV_mfma16_kernelI14__hip_bfloat16hLN4vllm18Fp8KVCacheDataTypeE1EhLi16ELi128ELi256ELb1ELi10EEvPKT_PKT0_S8_ifPKiSA_SA_iPKfiiiPfSD_PS3_PT2_iSC_SC_,"axG",@progbits,_Z39paged_attention_ll4mi_QKV_mfma16_kernelI14__hip_bfloat16hLN4vllm18Fp8KVCacheDataTypeE1EhLi16ELi128ELi256ELb1ELi10EEvPKT_PKT0_S8_ifPKiSA_SA_iPKfiiiPfSD_PS3_PT2_iSC_SC_,comdat
	.protected	_Z39paged_attention_ll4mi_QKV_mfma16_kernelI14__hip_bfloat16hLN4vllm18Fp8KVCacheDataTypeE1EhLi16ELi128ELi256ELb1ELi10EEvPKT_PKT0_S8_ifPKiSA_SA_iPKfiiiPfSD_PS3_PT2_iSC_SC_ ; -- Begin function _Z39paged_attention_ll4mi_QKV_mfma16_kernelI14__hip_bfloat16hLN4vllm18Fp8KVCacheDataTypeE1EhLi16ELi128ELi256ELb1ELi10EEvPKT_PKT0_S8_ifPKiSA_SA_iPKfiiiPfSD_PS3_PT2_iSC_SC_
	.globl	_Z39paged_attention_ll4mi_QKV_mfma16_kernelI14__hip_bfloat16hLN4vllm18Fp8KVCacheDataTypeE1EhLi16ELi128ELi256ELb1ELi10EEvPKT_PKT0_S8_ifPKiSA_SA_iPKfiiiPfSD_PS3_PT2_iSC_SC_
	.p2align	8
	.type	_Z39paged_attention_ll4mi_QKV_mfma16_kernelI14__hip_bfloat16hLN4vllm18Fp8KVCacheDataTypeE1EhLi16ELi128ELi256ELb1ELi10EEvPKT_PKT0_S8_ifPKiSA_SA_iPKfiiiPfSD_PS3_PT2_iSC_SC_,@function
_Z39paged_attention_ll4mi_QKV_mfma16_kernelI14__hip_bfloat16hLN4vllm18Fp8KVCacheDataTypeE1EhLi16ELi128ELi256ELb1ELi10EEvPKT_PKT0_S8_ifPKiSA_SA_iPKfiiiPfSD_PS3_PT2_iSC_SC_: ; @_Z39paged_attention_ll4mi_QKV_mfma16_kernelI14__hip_bfloat16hLN4vllm18Fp8KVCacheDataTypeE1EhLi16ELi128ELi256ELb1ELi10EEvPKT_PKT0_S8_ifPKiSA_SA_iPKfiiiPfSD_PS3_PT2_iSC_SC_
; %bb.0:
	s_load_dwordx2 s[10:11], s[0:1], 0x30
	s_mov_b32 s6, s3
	s_mov_b64 s[8:9], 0
	s_waitcnt lgkmcnt(0)
	s_cmp_lg_u64 s[10:11], 0
	s_cselect_b64 s[12:13], -1, 0
	s_and_b64 vcc, exec, s[12:13]
	s_cbranch_vccz .LBB1257_7
; %bb.1:
	s_add_i32 s14, s2, 1
	s_mov_b32 s15, 0
	s_lshl_b64 s[16:17], s[14:15], 2
	s_add_u32 s16, s10, s16
	s_mov_b32 s3, s15
	s_addc_u32 s17, s11, s17
	s_lshl_b64 s[14:15], s[2:3], 2
	s_add_u32 s14, s10, s14
	s_addc_u32 s15, s11, s15
	s_load_dword s5, s[16:17], 0x0
	s_load_dword s7, s[14:15], 0x0
	s_waitcnt lgkmcnt(0)
	s_sub_i32 s5, s5, s7
	s_cmp_eq_u32 s5, 1
	s_cselect_b64 s[14:15], -1, 0
	s_andn2_b64 vcc, exec, s[8:9]
	s_cbranch_vccnz .LBB1257_3
.LBB1257_2:
	s_mov_b32 s3, 0
	s_mov_b64 s[14:15], -1
.LBB1257_3:
	s_andn2_b64 vcc, exec, s[14:15]
	s_cbranch_vccnz .LBB1257_20
; %bb.4:
	s_load_dwordx2 s[8:9], s[0:1], 0x28
	s_lshl_b64 s[14:15], s[2:3], 2
	s_waitcnt lgkmcnt(0)
	s_add_u32 s8, s8, s14
	s_addc_u32 s9, s9, s15
	s_load_dword s7, s[8:9], 0x0
	s_lshl_b32 s18, s6, 8
	s_waitcnt lgkmcnt(0)
	s_cmp_ge_i32 s18, s7
	s_cbranch_scc1 .LBB1257_20
; %bb.5:
	s_load_dwordx2 s[8:9], s[0:1], 0x20
	s_load_dword s5, s[0:1], 0x38
	s_add_i32 s16, s7, 15
	s_ashr_i32 s17, s16, 31
	v_and_b32_e32 v1, 0xcf, v0
	s_lshr_b32 s17, s17, 28
	v_add_u32_e32 v1, s18, v1
	s_add_i32 s16, s16, s17
	v_ashrrev_i32_e32 v2, 31, v1
	s_ashr_i32 s19, s16, 4
	v_lshrrev_b32_e32 v4, 28, v2
	s_add_i32 s19, s19, -1
	s_waitcnt lgkmcnt(0)
	s_mul_i32 s16, s2, s5
	s_mov_b32 s17, 0
	v_add_u32_e32 v2, v1, v4
	s_lshl_b64 s[16:17], s[16:17], 2
	v_ashrrev_i32_e32 v2, 4, v2
	v_mov_b32_e32 v5, s19
	v_cmp_gt_i32_e32 vcc, s7, v1
	s_add_u32 s8, s8, s16
	s_addc_u32 s9, s9, s17
	v_cndmask_b32_e32 v2, v5, v2, vcc
	v_ashrrev_i32_e32 v3, 31, v2
	v_lshl_add_u64 v[6:7], v[2:3], 2, s[8:9]
	v_or_b32_e32 v2, 16, v1
	v_add_u32_e32 v3, v2, v4
	v_ashrrev_i32_e32 v3, 4, v3
	v_cmp_gt_i32_e32 vcc, s7, v2
	s_load_dwordx2 s[16:17], s[0:1], 0x8
	s_nop 0
	v_cndmask_b32_e32 v2, v5, v3, vcc
	v_ashrrev_i32_e32 v3, 31, v2
	v_lshl_add_u64 v[8:9], v[2:3], 2, s[8:9]
	v_or_b32_e32 v2, 32, v1
	v_add_u32_e32 v3, v2, v4
	v_ashrrev_i32_e32 v3, 4, v3
	v_cmp_gt_i32_e32 vcc, s7, v2
	v_or_b32_e32 v1, 48, v1
	s_nop 0
	v_cndmask_b32_e32 v2, v5, v3, vcc
	v_ashrrev_i32_e32 v3, 31, v2
	v_lshl_add_u64 v[12:13], v[2:3], 2, s[8:9]
	v_add_u32_e32 v2, v1, v4
	v_ashrrev_i32_e32 v2, 4, v2
	v_cmp_gt_i32_e32 vcc, s7, v1
	s_nop 1
	v_cndmask_b32_e32 v2, v5, v2, vcc
	v_ashrrev_i32_e32 v3, 31, v2
	v_lshl_add_u64 v[14:15], v[2:3], 2, s[8:9]
	global_load_dword v4, v[6:7], off
	global_load_dword v3, v[8:9], off
	;; [unrolled: 1-line block ×4, first 2 shown]
	s_andn2_b64 vcc, exec, s[12:13]
	s_cbranch_vccnz .LBB1257_8
; %bb.6:
	s_add_u32 s10, s10, s14
	s_addc_u32 s11, s11, s15
	s_load_dword s5, s[10:11], 0x0
	s_branch .LBB1257_9
.LBB1257_7:
	s_mov_b64 s[14:15], 0
	s_branch .LBB1257_2
.LBB1257_8:
	s_mov_b32 s5, s2
.LBB1257_9:
	s_load_dwordx2 s[10:11], s[0:1], 0x10
	s_load_dwordx4 s[44:47], s[0:1], 0x48
	v_lshrrev_b32_e32 v57, 6, v0
	v_bfe_u32 v60, v0, 4, 2
	v_and_b32_e32 v56, 15, v0
	v_lshl_or_b32 v5, v57, 2, v60
	v_lshlrev_b32_e32 v1, 3, v56
	s_mul_i32 s48, s4, 10
	v_cmp_gt_u32_e32 vcc, 10, v5
	v_lshlrev_b32_e32 v54, 1, v1
	v_lshlrev_b32_e32 v1, 4, v0
	s_and_saveexec_b64 s[12:13], vcc
	s_cbranch_execz .LBB1257_11
; %bb.10:
	s_load_dwordx2 s[14:15], s[0:1], 0x0
	s_waitcnt lgkmcnt(0)
	s_ashr_i32 s20, s44, 31
	s_mul_hi_u32 s21, s5, s44
	s_mul_i32 s20, s5, s20
	s_add_i32 s21, s21, s20
	s_mul_i32 s20, s5, s44
	s_lshl_b64 s[20:21], s[20:21], 1
	s_add_u32 s14, s14, s20
	v_add_lshl_u32 v6, v5, s48, 7
	s_addc_u32 s15, s15, s21
	v_ashrrev_i32_e32 v7, 31, v6
	v_lshl_add_u64 v[6:7], v[6:7], 1, s[14:15]
	v_mov_b32_e32 v55, 0
	v_lshl_add_u64 v[6:7], v[6:7], 0, v[54:55]
	global_load_dwordx4 v[6:9], v[6:7], off
	v_lshlrev_b32_e32 v12, 8, v0
	v_lshlrev_b32_e32 v11, 8, v56
	v_and_b32_e32 v12, 0x600, v12
	s_movk_i32 s5, 0x800
	v_and_or_b32 v11, v11, s5, v12
	v_lshlrev_b32_e32 v5, 5, v5
	v_and_b32_e32 v12, 16, v1
	v_or3_b32 v5, v11, v5, v12
	s_waitcnt vmcnt(0)
	ds_write_b128 v5, v[6:9]
.LBB1257_11:
	s_or_b64 exec, exec, s[12:13]
	s_waitcnt lgkmcnt(0)
	s_mul_i32 s12, s4, s46
	s_add_u32 s4, s16, s12
	s_addc_u32 s5, s17, 0
	v_and_b32_e32 v58, 0xf0, v1
	v_mov_b32_e32 v59, 0
	v_and_b32_e32 v34, 48, v0
	v_lshl_add_u64 v[12:13], s[4:5], 0, v[58:59]
	v_lshlrev_b32_e32 v58, 4, v34
	s_waitcnt vmcnt(3)
	v_mad_i64_i32 v[4:5], s[4:5], v4, s45, v[12:13]
	v_lshl_add_u64 v[4:5], v[4:5], 0, v[58:59]
	s_barrier
	global_load_dwordx4 v[50:53], v[4:5], off
	global_load_dwordx4 v[46:49], v[4:5], off offset:1024
	s_waitcnt vmcnt(4)
	v_mad_i64_i32 v[4:5], s[4:5], v3, s45, v[12:13]
	s_waitcnt vmcnt(3)
	v_mad_i64_i32 v[2:3], s[4:5], v2, s45, v[12:13]
	v_lshl_add_u64 v[4:5], v[4:5], 0, v[58:59]
	v_lshl_add_u64 v[14:15], v[2:3], 0, v[58:59]
	s_waitcnt vmcnt(2)
	v_mad_i64_i32 v[10:11], s[4:5], v10, s45, v[12:13]
	global_load_dwordx4 v[36:39], v[4:5], off
	global_load_dwordx4 v[6:9], v[4:5], off offset:1024
	s_nop 0
	global_load_dwordx4 v[2:5], v[14:15], off
	global_load_dwordx4 v[42:45], v[14:15], off offset:1024
	v_lshl_add_u64 v[14:15], v[10:11], 0, v[58:59]
	global_load_dwordx4 v[26:29], v[14:15], off
	global_load_dwordx4 v[10:13], v[14:15], off offset:1024
	v_add_u32_e32 v14, -10, v56
	v_cmp_gt_u32_e32 vcc, 10, v56
	v_and_b32_e32 v55, 63, v0
	v_mov_b32_e32 v61, 0
	v_cndmask_b32_e32 v14, v14, v56, vcc
	v_lshlrev_b32_e32 v14, 5, v14
	v_lshl_add_u32 v14, v60, 9, v14
	ds_read_b128 v[30:33], v14
	ds_read_b128 v[22:25], v14 offset:16
	ds_read_b128 v[18:21], v14 offset:2048
	;; [unrolled: 1-line block ×3, first 2 shown]
	s_and_saveexec_b64 s[4:5], vcc
	s_cbranch_execz .LBB1257_13
; %bb.12:
	s_load_dwordx2 s[14:15], s[0:1], 0x40
	v_add_u32_e32 v40, s48, v56
	v_ashrrev_i32_e32 v41, 31, v40
	s_waitcnt lgkmcnt(0)
	v_lshl_add_u64 v[40:41], v[40:41], 2, s[14:15]
	global_load_dword v61, v[40:41], off
.LBB1257_13:
	s_or_b64 exec, exec, s[4:5]
	v_or_b32_e32 v58, s18, v34
	v_ashrrev_i32_e32 v34, 4, v58
	v_mov_b32_e32 v63, s19
	v_cmp_gt_i32_e32 vcc, s7, v58
	s_waitcnt vmcnt(7)
	v_cvt_pk_f32_fp8_e32 v[40:41], v50
	v_cvt_pk_f32_fp8_sdwa v[64:65], v50 src0_sel:WORD_1
	v_cndmask_b32_e32 v34, v63, v34, vcc
	v_ashrrev_i32_e32 v35, 31, v34
	v_lshl_add_u64 v[34:35], v[34:35], 2, s[8:9]
	global_load_dword v62, v[34:35], off
	v_or_b32_e32 v34, 64, v58
	v_ashrrev_i32_e32 v35, 4, v34
	v_cmp_gt_i32_e32 vcc, s7, v34
	v_or_b32_e32 v66, 0x80, v58
	v_ashrrev_i32_e32 v67, 4, v66
	v_cndmask_b32_e32 v34, v63, v35, vcc
	v_cmp_gt_i32_e32 vcc, s7, v66
	s_mov_b32 s33, 0x7060302
	v_perm_b32 v40, v41, v40, s33
	v_cndmask_b32_e32 v50, v63, v67, vcc
	v_perm_b32 v41, v65, v64, s33
	v_cvt_pk_f32_fp8_e32 v[64:65], v51
	v_cvt_pk_f32_fp8_sdwa v[66:67], v51 src0_sel:WORD_1
	v_ashrrev_i32_e32 v51, 31, v50
	v_lshl_add_u64 v[68:69], v[50:51], 2, s[8:9]
	v_perm_b32 v50, v65, v64, s33
	v_perm_b32 v51, v67, v66, s33
	s_waitcnt lgkmcnt(3)
	v_mfma_f32_16x16x16_bf16 v[64:67], v[40:41], v[30:31], 0
	v_cvt_pk_f32_fp8_e32 v[40:41], v52
	v_cvt_pk_f32_fp8_sdwa v[70:71], v52 src0_sel:WORD_1
	s_waitcnt vmcnt(7)
	v_cvt_pk_f32_fp8_e32 v[72:73], v46
	v_mfma_f32_16x16x16_bf16 v[64:67], v[50:51], v[32:33], v[64:67]
	v_cvt_pk_f32_fp8_e32 v[50:51], v53
	v_perm_b32 v40, v41, v40, s33
	v_perm_b32 v41, v71, v70, s33
	v_cvt_pk_f32_fp8_sdwa v[52:53], v53 src0_sel:WORD_1
	v_perm_b32 v70, v51, v50, s33
	v_cvt_pk_f32_fp8_sdwa v[74:75], v46 src0_sel:WORD_1
	v_ashrrev_i32_e32 v35, 31, v34
	v_perm_b32 v71, v53, v52, s33
	s_waitcnt lgkmcnt(2)
	v_mfma_f32_16x16x16_bf16 v[50:53], v[40:41], v[22:23], v[64:67]
	v_perm_b32 v40, v73, v72, s33
	v_perm_b32 v41, v75, v74, s33
	v_or_b32_e32 v58, 0xc0, v58
	v_cvt_pk_f32_fp8_e32 v[64:65], v47
	v_cvt_pk_f32_fp8_sdwa v[46:47], v47 src0_sel:WORD_1
	v_mfma_f32_16x16x16_bf16 v[50:53], v[70:71], v[24:25], v[50:53]
	v_lshl_add_u64 v[34:35], v[34:35], 2, s[8:9]
	v_perm_b32 v64, v65, v64, s33
	v_perm_b32 v65, v47, v46, s33
	s_waitcnt lgkmcnt(1)
	v_mfma_f32_16x16x16_bf16 v[50:53], v[40:41], v[18:19], v[50:53]
	v_ashrrev_i32_e32 v66, 4, v58
	v_cmp_gt_i32_e32 vcc, s7, v58
	v_cvt_pk_f32_fp8_e32 v[46:47], v48
	s_waitcnt vmcnt(6)
	v_cvt_pk_f32_fp8_sdwa v[70:71], v36 src0_sel:WORD_1
	v_cndmask_b32_e32 v40, v63, v66, vcc
	v_mfma_f32_16x16x16_bf16 v[64:67], v[64:65], v[20:21], v[50:53]
	v_ashrrev_i32_e32 v41, 31, v40
	v_lshl_add_u64 v[40:41], v[40:41], 2, s[8:9]
	v_perm_b32 v46, v47, v46, s33
	global_load_dword v53, v[34:35], off
	global_load_dword v63, v[40:41], off
	v_cvt_pk_f32_fp8_sdwa v[50:51], v48 src0_sel:WORD_1
	v_cvt_pk_f32_fp8_e32 v[34:35], v49
	v_cvt_pk_f32_fp8_sdwa v[48:49], v49 src0_sel:WORD_1
	s_add_u32 s46, s10, s12
	v_perm_b32 v47, v51, v50, s33
	v_perm_b32 v34, v35, v34, s33
	;; [unrolled: 1-line block ×3, first 2 shown]
	s_waitcnt lgkmcnt(0)
	v_mfma_f32_16x16x16_bf16 v[46:49], v[46:47], v[14:15], v[64:67]
	v_cvt_pk_f32_fp8_e32 v[50:51], v36
	s_nop 1
	global_load_dword v64, v[68:69], off
	v_cvt_pk_f32_fp8_e32 v[66:67], v37
	s_waitcnt vmcnt(8)
	v_cvt_pk_f32_fp8_e32 v[68:69], v6
	v_perm_b32 v50, v51, v50, s33
	v_perm_b32 v51, v71, v70, s33
	v_cvt_pk_f32_fp8_sdwa v[70:71], v37 src0_sel:WORD_1
	v_perm_b32 v40, v67, v66, s33
	v_mfma_f32_16x16x16_bf16 v[34:37], v[34:35], v[16:17], v[46:49]
	v_cvt_pk_f32_fp8_sdwa v[66:67], v38 src0_sel:WORD_1
	v_perm_b32 v41, v71, v70, s33
	v_cvt_pk_f32_fp8_sdwa v[70:71], v6 src0_sel:WORD_1
	v_mfma_f32_16x16x16_bf16 v[46:49], v[50:51], v[30:31], 0
	v_cvt_pk_f32_fp8_e32 v[50:51], v38
	v_lshl_or_b32 v52, v57, 4, v56
	s_waitcnt vmcnt(6)
	v_cvt_pk_f32_fp8_e32 v[72:73], v43
	v_mfma_f32_16x16x16_bf16 v[46:49], v[40:41], v[32:33], v[46:49]
	v_cvt_pk_f32_fp8_e32 v[40:41], v39
	v_perm_b32 v50, v51, v50, s33
	v_perm_b32 v51, v67, v66, s33
	v_cvt_pk_f32_fp8_sdwa v[38:39], v39 src0_sel:WORD_1
	v_perm_b32 v66, v41, v40, s33
	s_addc_u32 s47, s11, 0
	v_lshlrev_b32_e32 v58, 4, v52
	v_perm_b32 v67, v39, v38, s33
	v_mfma_f32_16x16x16_bf16 v[38:41], v[50:51], v[22:23], v[46:49]
	v_cvt_pk_f32_fp8_sdwa v[50:51], v2 src0_sel:WORD_1
	s_nop 1
	v_perm_b32 v46, v69, v68, s33
	v_perm_b32 v47, v71, v70, s33
	v_cvt_pk_f32_fp8_e32 v[48:49], v7
	v_cvt_pk_f32_fp8_sdwa v[6:7], v7 src0_sel:WORD_1
	v_mfma_f32_16x16x16_bf16 v[38:41], v[66:67], v[24:25], v[38:41]
	v_lshl_add_u64 v[70:71], s[46:47], 0, v[58:59]
	v_perm_b32 v48, v49, v48, s33
	v_perm_b32 v49, v7, v6, s33
	v_mfma_f32_16x16x16_bf16 v[38:41], v[46:47], v[18:19], v[38:41]
	v_cvt_pk_f32_fp8_e32 v[6:7], v8
	v_cvt_pk_f32_fp8_sdwa v[46:47], v8 src0_sel:WORD_1
	v_or_b32_e32 v58, 0x400, v58
	v_mfma_f32_16x16x16_bf16 v[38:41], v[48:49], v[20:21], v[38:41]
	v_cvt_pk_f32_fp8_e32 v[48:49], v9
	v_perm_b32 v6, v7, v6, s33
	v_perm_b32 v7, v47, v46, s33
	v_cvt_pk_f32_fp8_sdwa v[8:9], v9 src0_sel:WORD_1
	v_perm_b32 v46, v49, v48, s33
	v_cvt_pk_f32_fp8_e32 v[48:49], v2
	v_perm_b32 v47, v9, v8, s33
	v_mfma_f32_16x16x16_bf16 v[6:9], v[6:7], v[14:15], v[38:41]
	v_perm_b32 v48, v49, v48, s33
	v_perm_b32 v49, v51, v50, s33
	v_cvt_pk_f32_fp8_e32 v[50:51], v3
	v_cvt_pk_f32_fp8_sdwa v[2:3], v3 src0_sel:WORD_1
	v_mfma_f32_16x16x16_bf16 v[38:41], v[46:47], v[16:17], v[6:9]
	v_perm_b32 v46, v51, v50, s33
	v_perm_b32 v47, v3, v2, s33
	v_mfma_f32_16x16x16_bf16 v[6:9], v[48:49], v[30:31], 0
	v_cvt_pk_f32_fp8_e32 v[2:3], v4
	v_cvt_pk_f32_fp8_sdwa v[48:49], v4 src0_sel:WORD_1
	s_waitcnt vmcnt(3)
	v_mad_i64_i32 v[50:51], s[4:5], v62, s45, v[70:71]
	v_perm_b32 v2, v3, v2, s33
	v_perm_b32 v3, v49, v48, s33
	v_mfma_f32_16x16x16_bf16 v[6:9], v[46:47], v[32:33], v[6:9]
	v_cvt_pk_f32_fp8_e32 v[46:47], v5
	v_cvt_pk_f32_fp8_sdwa v[4:5], v5 src0_sel:WORD_1
	s_waitcnt vmcnt(2)
	v_mad_i64_i32 v[66:67], s[4:5], v53, s45, v[70:71]
	v_perm_b32 v46, v47, v46, s33
	v_perm_b32 v47, v5, v4, s33
	v_mfma_f32_16x16x16_bf16 v[2:5], v[2:3], v[22:23], v[6:9]
	s_nop 2
	v_cvt_pk_f32_fp8_e32 v[6:7], v42
	v_cvt_pk_f32_fp8_sdwa v[8:9], v42 src0_sel:WORD_1
	v_cvt_pk_f32_fp8_sdwa v[42:43], v43 src0_sel:WORD_1
	v_mfma_f32_16x16x16_bf16 v[46:49], v[46:47], v[24:25], v[2:5]
	v_perm_b32 v68, v7, v6, s33
	v_perm_b32 v69, v9, v8, s33
	global_load_dwordx4 v[6:9], v[50:51], off
	global_load_dwordx4 v[2:5], v[66:67], off
	v_perm_b32 v66, v73, v72, s33
	v_perm_b32 v67, v43, v42, s33
	v_mfma_f32_16x16x16_bf16 v[48:51], v[68:69], v[18:19], v[46:49]
	v_cvt_pk_f32_fp8_e32 v[42:43], v44
	v_cvt_pk_f32_fp8_sdwa v[72:73], v44 src0_sel:WORD_1
	s_waitcnt vmcnt(2)
	v_mad_i64_i32 v[46:47], s[4:5], v64, s45, v[70:71]
	v_mfma_f32_16x16x16_bf16 v[66:69], v[66:67], v[20:21], v[48:51]
	v_perm_b32 v42, v43, v42, s33
	v_perm_b32 v43, v73, v72, s33
	v_cvt_pk_f32_fp8_sdwa v[72:73], v26 src0_sel:WORD_1
	v_cvt_pk_f32_fp8_e32 v[50:51], v45
	v_cvt_pk_f32_fp8_sdwa v[44:45], v45 src0_sel:WORD_1
	v_mad_i64_i32 v[48:49], s[4:5], v63, s45, v[70:71]
	v_perm_b32 v50, v51, v50, s33
	v_perm_b32 v51, v45, v44, s33
	v_mfma_f32_16x16x16_bf16 v[42:45], v[42:43], v[14:15], v[66:69]
	v_cvt_pk_f32_fp8_e32 v[70:71], v26
	s_load_dword s4, s[0:1], 0x1c
	s_load_dwordx4 s[40:43], s[0:1], 0x80
	s_load_dword s44, s[0:1], 0x98
	s_waitcnt lgkmcnt(0)
	s_load_dword s5, s[40:41], 0x0
	v_mfma_f32_16x16x16_bf16 v[66:69], v[50:51], v[16:17], v[42:45]
	s_mov_b32 s40, 0xff7fffff
	s_nop 1
	v_cvt_pk_f32_fp8_e32 v[42:43], v27
	v_perm_b32 v44, v71, v70, s33
	v_perm_b32 v45, v73, v72, s33
	v_cvt_pk_f32_fp8_sdwa v[26:27], v27 src0_sel:WORD_1
	v_perm_b32 v50, v43, v42, s33
	v_cvt_pk_f32_fp8_e32 v[70:71], v28
	v_cvt_pk_f32_fp8_sdwa v[72:73], v28 src0_sel:WORD_1
	v_perm_b32 v51, v27, v26, s33
	v_mfma_f32_16x16x16_bf16 v[42:45], v[44:45], v[30:31], 0
	v_perm_b32 v30, v71, v70, s33
	v_perm_b32 v31, v73, v72, s33
	v_cvt_pk_f32_fp8_e32 v[70:71], v29
	v_cvt_pk_f32_fp8_sdwa v[72:73], v29 src0_sel:WORD_1
	v_mfma_f32_16x16x16_bf16 v[26:29], v[50:51], v[32:33], v[42:45]
	v_mov_b32_e32 v32, s4
	s_waitcnt lgkmcnt(0)
	v_mul_f32_e32 v50, s5, v32
	v_pk_mul_f32 v[32:33], v[50:51], v[34:35] op_sel_hi:[0,1]
	v_perm_b32 v42, v71, v70, s33
	v_perm_b32 v43, v73, v72, s33
	v_mfma_f32_16x16x16_bf16 v[26:29], v[30:31], v[22:23], v[26:29]
	v_pk_mul_f32 v[30:31], v[50:51], v[36:37] op_sel_hi:[0,1]
	v_cvt_pk_f32_fp8_e32 v[22:23], v10
	v_cvt_pk_f32_fp8_sdwa v[70:71], v12 src0_sel:WORD_1
	v_mfma_f32_16x16x16_bf16 v[34:37], v[42:43], v[24:25], v[26:29]
	v_cvt_pk_f32_fp8_sdwa v[24:25], v10 src0_sel:WORD_1
	v_perm_b32 v42, v23, v22, s33
	v_pk_mul_f32 v[40:41], v[50:51], v[40:41] op_sel_hi:[0,1]
	v_cvt_pk_f32_fp8_e32 v[26:27], v11
	v_cvt_pk_f32_fp8_sdwa v[10:11], v11 src0_sel:WORD_1
	v_perm_b32 v43, v25, v24, s33
	v_perm_b32 v44, v27, v26, s33
	v_perm_b32 v45, v11, v10, s33
	v_cvt_pk_f32_fp8_e32 v[10:11], v12
	v_mfma_f32_16x16x16_bf16 v[34:37], v[42:43], v[18:19], v[34:37]
	global_load_dwordx4 v[26:29], v[46:47], off
	global_load_dwordx4 v[22:25], v[48:49], off
	v_perm_b32 v19, v71, v70, s33
	v_perm_b32 v18, v11, v10, s33
	v_cvt_pk_f32_fp8_e32 v[42:43], v13
	v_cvt_pk_f32_fp8_sdwa v[46:47], v13 src0_sel:WORD_1
	v_mfma_f32_16x16x16_bf16 v[10:13], v[44:45], v[20:21], v[34:37]
	v_pk_mul_f32 v[44:45], v[50:51], v[38:39] op_sel_hi:[0,1]
	v_perm_b32 v20, v43, v42, s33
	v_perm_b32 v21, v47, v46, s33
	v_mfma_f32_16x16x16_bf16 v[10:13], v[18:19], v[14:15], v[10:13]
	v_pk_mul_f32 v[38:39], v[50:51], v[68:69] op_sel_hi:[0,1]
	v_pk_mul_f32 v[42:43], v[50:51], v[66:67] op_sel_hi:[0,1]
	v_mfma_f32_16x16x16_bf16 v[10:13], v[20:21], v[16:17], v[10:13]
	s_nop 6
	v_pk_mul_f32 v[36:37], v[50:51], v[10:11] op_sel_hi:[0,1]
	v_and_b32_e32 v10, 0xc0, v0
	v_add_u32_e32 v10, s18, v10
	v_lshl_or_b32 v10, v60, 2, v10
	v_or_b32_e32 v11, 1, v10
	v_pk_mul_f32 v[34:35], v[50:51], v[12:13] op_sel_hi:[0,1]
	v_subrev_u32_e32 v12, s7, v11
	v_add_u32_e32 v14, 1, v12
	v_add_u32_e32 v15, 2, v12
	v_cvt_f32_i32_e32 v13, v12
	v_cvt_f32_i32_e32 v14, v14
	;; [unrolled: 1-line block ×3, first 2 shown]
	v_add_u32_e32 v16, 3, v12
	v_fma_f32 v18, v61, v13, v32
	v_fmac_f32_e32 v33, v61, v14
	v_fma_f32 v48, v61, v15, v30
	v_add_u32_e32 v13, 16, v12
	v_add_u32_e32 v14, 17, v12
	v_add_u32_e32 v15, 18, v12
	v_cvt_f32_i32_e32 v16, v16
	v_cvt_f32_i32_e32 v13, v13
	;; [unrolled: 1-line block ×4, first 2 shown]
	v_fmac_f32_e32 v31, v61, v16
	v_add_u32_e32 v16, 19, v12
	v_fma_f32 v44, v61, v13, v44
	v_fmac_f32_e32 v45, v61, v14
	v_fma_f32 v40, v61, v15, v40
	v_add_u32_e32 v13, 32, v12
	v_add_u32_e32 v14, 33, v12
	v_add_u32_e32 v15, 34, v12
	v_cvt_f32_i32_e32 v16, v16
	v_cvt_f32_i32_e32 v13, v13
	;; [unrolled: 1-line block ×4, first 2 shown]
	v_fmac_f32_e32 v41, v61, v16
	v_add_u32_e32 v16, 35, v12
	v_fma_f32 v42, v61, v13, v42
	v_fmac_f32_e32 v43, v61, v14
	v_fma_f32 v38, v61, v15, v38
	v_add_u32_e32 v13, 48, v12
	v_add_u32_e32 v14, 49, v12
	v_add_u32_e32 v15, 50, v12
	v_add_u32_e32 v12, 51, v12
	v_cvt_f32_i32_e32 v12, v12
	v_cvt_f32_i32_e32 v13, v13
	;; [unrolled: 1-line block ×3, first 2 shown]
	v_cmp_gt_i32_e64 s[8:9], s7, v10
	v_fmac_f32_e32 v35, v61, v12
	v_mov_b32_e32 v12, 0xff7fffff
	v_cmp_gt_i32_e64 s[10:11], s7, v11
	v_fma_f32 v36, v61, v13, v36
	v_cndmask_b32_e64 v13, v12, v18, s[8:9]
	v_cndmask_b32_e64 v11, v12, v33, s[10:11]
	v_fmac_f32_e32 v37, v61, v14
	v_max3_f32 v11, v13, s40, v11
	v_or_b32_e32 v13, 2, v10
	v_or_b32_e32 v14, 3, v10
	v_cmp_gt_i32_e64 s[12:13], s7, v13
	v_cmp_gt_i32_e64 s[14:15], s7, v14
	v_cvt_f32_i32_e32 v16, v16
	v_cndmask_b32_e64 v13, v12, v48, s[12:13]
	v_cndmask_b32_e64 v14, v12, v31, s[14:15]
	v_max3_f32 v11, v11, v13, v14
	v_or_b32_e32 v13, 16, v10
	v_or_b32_e32 v14, 17, v10
	v_cmp_gt_i32_e64 s[16:17], s7, v13
	v_cmp_gt_i32_e64 s[18:19], s7, v14
	v_fmac_f32_e32 v39, v61, v16
	v_cndmask_b32_e64 v13, v12, v44, s[16:17]
	v_cndmask_b32_e64 v14, v12, v45, s[18:19]
	v_max3_f32 v11, v11, v13, v14
	v_or_b32_e32 v13, 18, v10
	v_or_b32_e32 v14, 19, v10
	v_cmp_gt_i32_e64 s[20:21], s7, v13
	v_cmp_gt_i32_e64 s[22:23], s7, v14
	v_cvt_f32_i32_e32 v15, v15
	v_cndmask_b32_e64 v13, v12, v40, s[20:21]
	v_cndmask_b32_e64 v14, v12, v41, s[22:23]
	v_max3_f32 v11, v11, v13, v14
	v_or_b32_e32 v13, 32, v10
	v_or_b32_e32 v14, 33, v10
	v_cmp_gt_i32_e64 s[24:25], s7, v13
	v_cmp_gt_i32_e64 s[26:27], s7, v14
	v_fma_f32 v34, v61, v15, v34
	v_cndmask_b32_e64 v13, v12, v42, s[24:25]
	v_cndmask_b32_e64 v14, v12, v43, s[26:27]
	v_max3_f32 v11, v11, v13, v14
	v_or_b32_e32 v13, 34, v10
	v_or_b32_e32 v14, 35, v10
	v_cmp_gt_i32_e64 s[28:29], s7, v13
	v_cmp_gt_i32_e64 s[30:31], s7, v14
	s_nop 0
	v_cndmask_b32_e64 v13, v12, v38, s[28:29]
	v_cndmask_b32_e64 v14, v12, v39, s[30:31]
	v_max3_f32 v11, v11, v13, v14
	v_or_b32_e32 v13, 48, v10
	v_or_b32_e32 v14, 49, v10
	v_cmp_gt_i32_e64 s[34:35], s7, v13
	v_cmp_gt_i32_e64 s[36:37], s7, v14
	s_nop 0
	v_cndmask_b32_e64 v13, v12, v36, s[34:35]
	v_cndmask_b32_e64 v14, v12, v37, s[36:37]
	v_max3_f32 v11, v11, v13, v14
	v_or_b32_e32 v13, 50, v10
	v_or_b32_e32 v10, 51, v10
	v_cmp_gt_i32_e32 vcc, s7, v13
	v_cmp_gt_i32_e64 s[4:5], s7, v10
	s_nop 0
	v_cndmask_b32_e32 v13, v12, v34, vcc
	v_cndmask_b32_e64 v10, v12, v35, s[4:5]
	v_max3_f32 v14, v11, v13, v10
	v_mbcnt_lo_u32_b32 v10, -1, 0
	v_mbcnt_hi_u32_b32 v15, -1, v10
	v_and_b32_e32 v10, 64, v15
	v_add_u32_e32 v16, 64, v10
	v_xor_b32_e32 v10, 32, v15
	v_cmp_lt_i32_e64 s[38:39], v10, v16
	s_nop 1
	v_cndmask_b32_e64 v10, v15, v10, s[38:39]
	v_lshlrev_b32_e32 v51, 2, v10
	ds_bpermute_b32 v17, v51, v14
	v_lshl_add_u64 v[10:11], s[46:47], 0, v[58:59]
	v_mad_i64_i32 v[12:13], s[38:39], v62, s45, v[10:11]
	s_waitcnt lgkmcnt(0)
	v_max_f32_e32 v17, v17, v17
	v_max_f32_e32 v19, v14, v17
	v_xor_b32_e32 v14, 16, v15
	v_cmp_lt_i32_e64 s[38:39], v14, v16
	s_nop 1
	v_cndmask_b32_e64 v14, v15, v14, s[38:39]
	v_lshlrev_b32_e32 v58, 2, v14
	ds_bpermute_b32 v20, v58, v19
	v_mad_i64_i32 v[14:15], s[38:39], v53, s45, v[10:11]
	v_mad_i64_i32 v[16:17], s[38:39], v64, s45, v[10:11]
	s_waitcnt lgkmcnt(0)
	v_max_f32_e32 v20, v20, v20
	v_max_f32_e32 v50, v19, v20
	v_sub_f32_e32 v18, v18, v50
	v_sub_f32_e32 v19, v33, v50
	v_mul_f32_e32 v18, 0x3fb8aa3b, v18
	v_mul_f32_e32 v19, 0x3fb8aa3b, v19
	v_exp_f32_e32 v18, v18
	v_exp_f32_e32 v19, v19
	v_sub_f32_e32 v49, v31, v50
	v_mad_i64_i32 v[10:11], s[38:39], v63, s45, v[10:11]
	v_cndmask_b32_e64 v46, 0, v18, s[8:9]
	v_cndmask_b32_e64 v47, 0, v19, s[10:11]
	global_load_dwordx4 v[30:33], v[12:13], off
	global_load_dwordx4 v[18:21], v[14:15], off
	v_sub_f32_e32 v12, v48, v50
	v_mul_f32_e32 v12, 0x3fb8aa3b, v12
	v_exp_f32_e32 v48, v12
	global_load_dwordx4 v[14:17], v[16:17], off
	s_nop 0
	global_load_dwordx4 v[10:13], v[10:11], off
	v_sub_f32_e32 v40, v40, v50
	v_sub_f32_e32 v42, v42, v50
	v_mul_f32_e32 v40, 0x3fb8aa3b, v40
	v_mul_f32_e32 v42, 0x3fb8aa3b, v42
	v_exp_f32_e32 v40, v40
	v_exp_f32_e32 v53, v42
	v_mul_f32_e32 v49, 0x3fb8aa3b, v49
	v_sub_f32_e32 v44, v44, v50
	v_exp_f32_e32 v49, v49
	v_mul_f32_e32 v44, 0x3fb8aa3b, v44
	v_sub_f32_e32 v45, v45, v50
	v_sub_f32_e32 v42, v43, v50
	v_exp_f32_e32 v44, v44
	v_mul_f32_e32 v45, 0x3fb8aa3b, v45
	v_mul_f32_e32 v42, 0x3fb8aa3b, v42
	v_exp_f32_e32 v45, v45
	v_sub_f32_e32 v41, v41, v50
	v_exp_f32_e32 v59, v42
	v_cndmask_b32_e64 v42, 0, v40, s[20:21]
	v_cndmask_b32_e64 v40, 0, v53, s[24:25]
	v_add_f32_e32 v53, 0, v46
	v_cndmask_b32_e64 v48, 0, v48, s[12:13]
	v_mul_f32_e32 v41, 0x3fb8aa3b, v41
	v_add_f32_e32 v53, v53, v47
	v_cndmask_b32_e64 v49, 0, v49, s[14:15]
	v_exp_f32_e32 v41, v41
	v_add_f32_e32 v53, v53, v48
	v_cndmask_b32_e64 v44, 0, v44, s[16:17]
	v_sub_f32_e32 v38, v38, v50
	v_add_f32_e32 v53, v53, v49
	v_cndmask_b32_e64 v45, 0, v45, s[18:19]
	v_sub_f32_e32 v39, v39, v50
	v_mul_f32_e32 v38, 0x3fb8aa3b, v38
	v_add_f32_e32 v53, v53, v44
	v_exp_f32_e32 v38, v38
	v_mul_f32_e32 v39, 0x3fb8aa3b, v39
	v_sub_f32_e32 v36, v36, v50
	v_add_f32_e32 v53, v53, v45
	v_cndmask_b32_e64 v43, 0, v41, s[22:23]
	v_exp_f32_e32 v39, v39
	v_mul_f32_e32 v36, 0x3fb8aa3b, v36
	v_sub_f32_e32 v37, v37, v50
	v_add_f32_e32 v53, v53, v42
	v_exp_f32_e32 v36, v36
	v_mul_f32_e32 v37, 0x3fb8aa3b, v37
	v_add_f32_e32 v53, v53, v43
	v_sub_f32_e32 v34, v34, v50
	v_cndmask_b32_e64 v41, 0, v59, s[26:27]
	v_exp_f32_e32 v37, v37
	v_add_f32_e32 v53, v53, v40
	v_mul_f32_e32 v34, 0x3fb8aa3b, v34
	v_sub_f32_e32 v35, v35, v50
	v_cndmask_b32_e64 v38, 0, v38, s[28:29]
	v_add_f32_e32 v53, v53, v41
	v_exp_f32_e32 v34, v34
	v_mul_f32_e32 v35, 0x3fb8aa3b, v35
	v_cndmask_b32_e64 v39, 0, v39, s[30:31]
	v_add_f32_e32 v53, v53, v38
	v_exp_f32_e32 v35, v35
	v_cndmask_b32_e64 v36, 0, v36, s[34:35]
	v_add_f32_e32 v53, v53, v39
	v_cndmask_b32_e64 v37, 0, v37, s[36:37]
	v_add_f32_e32 v53, v53, v36
	v_add_f32_e32 v53, v53, v37
	v_cndmask_b32_e32 v34, 0, v34, vcc
	v_add_f32_e32 v53, v53, v34
	v_cndmask_b32_e64 v35, 0, v35, s[4:5]
	v_add_f32_e32 v53, v53, v35
	ds_bpermute_b32 v51, v51, v53
	v_cmp_gt_u32_e32 vcc, 16, v55
	s_waitcnt lgkmcnt(0)
	s_barrier
	v_add_f32_e32 v51, v53, v51
	ds_bpermute_b32 v53, v58, v51
	s_and_saveexec_b64 s[4:5], vcc
	s_cbranch_execz .LBB1257_15
; %bb.14:
	s_waitcnt lgkmcnt(0)
	v_add_f32_e32 v51, v51, v53
	v_lshlrev_b32_e32 v52, 2, v52
	ds_write2st64_b32 v52, v50, v51 offset1:1
.LBB1257_15:
	s_or_b64 exec, exec, s[4:5]
	v_lshlrev_b32_e32 v51, 2, v56
	s_load_dword s7, s[0:1], 0x94
	s_waitcnt lgkmcnt(0)
	s_barrier
	ds_read2_b32 v[52:53], v51 offset1:16
	ds_read2_b32 v[58:59], v51 offset0:32 offset1:48
	ds_read2_b32 v[62:63], v51 offset0:64 offset1:80
	s_movk_i32 s9, 0x7fff
	s_mul_i32 s8, s44, 10
	s_waitcnt lgkmcnt(2)
	v_max3_f32 v50, v52, s40, v53
	s_waitcnt lgkmcnt(1)
	v_max3_f32 v50, v50, v58, v59
	v_sub_f32_e32 v52, v52, v50
	v_mul_f32_e32 v52, 0x3fb8aa3b, v52
	v_exp_f32_e32 v55, v52
	v_sub_f32_e32 v52, v53, v50
	v_mul_f32_e32 v52, 0x3fb8aa3b, v52
	v_exp_f32_e32 v61, v52
	;; [unrolled: 3-line block ×3, first 2 shown]
	ds_read2_b32 v[52:53], v51 offset0:96 offset1:112
	v_sub_f32_e32 v51, v59, v50
	v_mul_f32_e32 v51, 0x3fb8aa3b, v51
	v_exp_f32_e32 v59, v51
	s_waitcnt lgkmcnt(1)
	v_fma_f32 v51, v55, v62, 0
	v_fmac_f32_e32 v51, v61, v63
	s_waitcnt lgkmcnt(0)
	v_fmac_f32_e32 v51, v58, v52
	v_fmac_f32_e32 v51, v59, v53
	v_add_f32_e32 v52, 0x358637bd, v51
	v_div_scale_f32 v53, s[4:5], v52, v52, 1.0
	v_rcp_f32_e32 v62, v53
	s_barrier
	v_fma_f32 v63, -v53, v62, 1.0
	v_fmac_f32_e32 v62, v63, v62
	v_div_scale_f32 v63, vcc, 1.0, v52, 1.0
	v_mul_f32_e32 v64, v63, v62
	v_fma_f32 v65, -v53, v64, v63
	v_fmac_f32_e32 v64, v65, v62
	v_fma_f32 v53, -v53, v64, v63
	v_div_fmas_f32 v53, v53, v62, v64
	v_cmp_eq_u32_e32 vcc, 1, v57
	v_div_fixup_f32 v52, v53, v52, 1.0
	s_nop 0
	v_cndmask_b32_e32 v53, v55, v61, vcc
	v_cmp_eq_u32_e32 vcc, 2, v57
	s_nop 1
	v_cndmask_b32_e32 v53, v53, v58, vcc
	v_cmp_eq_u32_e32 vcc, 3, v57
	s_nop 1
	v_cndmask_b32_e32 v53, v53, v59, vcc
	v_mul_f32_e32 v52, v53, v52
	v_pk_mul_f32 v[46:47], v[52:53], v[46:47] op_sel_hi:[0,1]
	v_pk_mul_f32 v[48:49], v[52:53], v[48:49] op_sel_hi:[0,1]
	v_bfe_u32 v53, v47, 16, 1
	v_bfe_u32 v55, v46, 16, 1
	v_add3_u32 v46, v46, v55, s9
	v_add3_u32 v47, v47, v53, s9
	v_perm_b32 v58, v47, v46, s33
	v_bfe_u32 v46, v49, 16, 1
	v_bfe_u32 v47, v48, 16, 1
	v_add3_u32 v47, v48, v47, s9
	v_add3_u32 v46, v49, v46, s9
	v_perm_b32 v59, v46, v47, s33
	v_lshlrev_b32_e32 v47, 3, v60
	v_lshlrev_b32_e32 v46, 5, v56
	;; [unrolled: 1-line block ×3, first 2 shown]
	v_pk_mul_f32 v[44:45], v[52:53], v[44:45] op_sel_hi:[0,1]
	v_or3_b32 v55, v48, v46, v47
	v_bfe_u32 v47, v45, 16, 1
	v_bfe_u32 v48, v44, 16, 1
	v_pk_mul_f32 v[42:43], v[52:53], v[42:43] op_sel_hi:[0,1]
	v_add3_u32 v44, v44, v48, s9
	v_add3_u32 v45, v45, v47, s9
	v_perm_b32 v44, v45, v44, s33
	v_bfe_u32 v45, v43, 16, 1
	v_bfe_u32 v47, v42, 16, 1
	v_add3_u32 v42, v42, v47, s9
	v_add3_u32 v43, v43, v45, s9
	v_pk_mul_f32 v[40:41], v[52:53], v[40:41] op_sel_hi:[0,1]
	v_perm_b32 v45, v43, v42, s33
	v_bfe_u32 v42, v41, 16, 1
	v_bfe_u32 v43, v40, 16, 1
	v_pk_mul_f32 v[38:39], v[52:53], v[38:39] op_sel_hi:[0,1]
	v_add3_u32 v40, v40, v43, s9
	v_add3_u32 v41, v41, v42, s9
	v_perm_b32 v40, v41, v40, s33
	v_bfe_u32 v41, v39, 16, 1
	v_bfe_u32 v42, v38, 16, 1
	v_add3_u32 v38, v38, v42, s9
	v_add3_u32 v39, v39, v41, s9
	v_pk_mul_f32 v[36:37], v[52:53], v[36:37] op_sel_hi:[0,1]
	v_perm_b32 v41, v39, v38, s33
	v_bfe_u32 v38, v37, 16, 1
	v_bfe_u32 v39, v36, 16, 1
	v_pk_mul_f32 v[34:35], v[52:53], v[34:35] op_sel_hi:[0,1]
	v_add3_u32 v36, v36, v39, s9
	v_add3_u32 v37, v37, v38, s9
	v_perm_b32 v36, v37, v36, s33
	v_bfe_u32 v37, v35, 16, 1
	v_bfe_u32 v38, v34, 16, 1
	v_add3_u32 v34, v34, v38, s9
	v_add3_u32 v35, v35, v37, s9
	v_perm_b32 v37, v35, v34, s33
	v_cmp_gt_u32_e32 vcc, 10, v0
	ds_write2st64_b64 v55, v[58:59], v[44:45] offset1:1
	ds_write2st64_b64 v55, v[40:41], v[36:37] offset0:2 offset1:3
	s_and_saveexec_b64 s[4:5], vcc
	s_cbranch_execz .LBB1257_17
; %bb.16:
	s_mov_b32 s49, 0
	v_mov_b32_e32 v57, 0
	v_lshl_add_u64 v[34:35], s[48:49], 0, v[56:57]
	v_mov_b32_e32 v36, s8
	v_mad_u64_u32 v[34:35], s[10:11], s2, v36, v[34:35]
	s_mul_i32 s3, s3, s8
	v_mov_b32_e32 v36, s6
	v_mov_b32_e32 v37, v57
	s_load_dwordx4 s[12:15], s[0:1], 0x58
	v_add_u32_e32 v38, s3, v35
	v_mad_u64_u32 v[34:35], s[10:11], v34, s7, v[36:37]
	v_mov_b32_e32 v36, v35
	v_mad_u64_u32 v[36:37], s[10:11], v38, s7, v[36:37]
	v_mov_b32_e32 v35, v36
	v_lshlrev_b64 v[34:35], 2, v[34:35]
	s_waitcnt lgkmcnt(0)
	v_lshl_add_u64 v[36:37], s[14:15], 0, v[34:35]
	v_lshl_add_u64 v[34:35], s[12:13], 0, v[34:35]
	global_store_dword v[36:37], v50, off
	global_store_dword v[34:35], v51, off
.LBB1257_17:
	s_or_b64 exec, exec, s[4:5]
	s_waitcnt vmcnt(7)
	v_cvt_pk_f32_fp8_e32 v[34:35], v6
	v_cvt_pk_f32_fp8_sdwa v[36:37], v6 src0_sel:WORD_1
	v_lshl_or_b32 v50, v60, 9, v46
	s_mov_b32 s5, 0x7060302
	s_waitcnt lgkmcnt(0)
	s_barrier
	v_cvt_pk_f32_fp8_e32 v[38:39], v7
	v_perm_b32 v6, v35, v34, s5
	v_cvt_pk_f32_fp8_sdwa v[40:41], v7 src0_sel:WORD_1
	v_perm_b32 v7, v37, v36, s5
	ds_read_b128 v[34:37], v50
	v_perm_b32 v46, v39, v38, s5
	v_perm_b32 v47, v41, v40, s5
	ds_read_b128 v[38:41], v50 offset:16
	v_cvt_pk_f32_fp8_e32 v[48:49], v8
	v_cvt_pk_f32_fp8_sdwa v[52:53], v8 src0_sel:WORD_1
	s_waitcnt lgkmcnt(1)
	v_mfma_f32_16x16x16_bf16 v[42:45], v[6:7], v[34:35], 0
	s_waitcnt vmcnt(6)
	v_cvt_pk_f32_fp8_e32 v[58:59], v4
	v_perm_b32 v6, v49, v48, s5
	v_perm_b32 v7, v53, v52, s5
	v_cvt_pk_f32_fp8_e32 v[48:49], v9
	v_mfma_f32_16x16x16_bf16 v[42:45], v[46:47], v[36:37], v[42:45]
	v_cvt_pk_f32_fp8_sdwa v[46:47], v9 src0_sel:WORD_1
	v_cvt_pk_f32_fp8_sdwa v[62:63], v4 src0_sel:WORD_1
	v_perm_b32 v48, v49, v48, s5
	s_waitcnt lgkmcnt(0)
	v_mfma_f32_16x16x16_bf16 v[6:9], v[6:7], v[38:39], v[42:45]
	v_perm_b32 v49, v47, v46, s5
	s_waitcnt vmcnt(5)
	v_cvt_pk_f32_fp8_sdwa v[66:67], v28 src0_sel:WORD_1
	s_waitcnt vmcnt(4)
	v_cvt_pk_f32_fp8_sdwa v[68:69], v24 src0_sel:WORD_1
	v_cvt_pk_f32_fp8_e32 v[42:43], v2
	v_mfma_f32_16x16x16_bf16 v[46:49], v[48:49], v[40:41], v[6:9]
	s_load_dword s4, s[42:43], 0x0
	s_waitcnt vmcnt(3)
	v_cvt_pk_f32_fp8_sdwa v[70:71], v32 src0_sel:WORD_1
	v_cvt_pk_f32_fp8_sdwa v[6:7], v2 src0_sel:WORD_1
	v_cvt_pk_f32_fp8_e32 v[8:9], v3
	v_perm_b32 v2, v43, v42, s5
	v_cvt_pk_f32_fp8_sdwa v[42:43], v3 src0_sel:WORD_1
	v_perm_b32 v3, v7, v6, s5
	v_perm_b32 v52, v9, v8, s5
	ds_read_b128 v[6:9], v50 offset:2048
	v_perm_b32 v53, v43, v42, s5
	ds_read_b128 v[42:45], v50 offset:2064
	s_waitcnt lgkmcnt(0)
	v_mfma_f32_16x16x16_bf16 v[46:49], v[2:3], v[6:7], v[46:49]
	v_perm_b32 v2, v59, v58, s5
	v_perm_b32 v3, v63, v62, s5
	v_cvt_pk_f32_fp8_e32 v[58:59], v5
	v_mfma_f32_16x16x16_bf16 v[46:49], v[52:53], v[8:9], v[46:49]
	v_cvt_pk_f32_fp8_sdwa v[52:53], v5 src0_sel:WORD_1
	s_mov_b32 s3, 0
	v_perm_b32 v58, v59, v58, s5
	v_mfma_f32_16x16x16_bf16 v[2:5], v[2:3], v[42:43], v[46:49]
	v_perm_b32 v59, v53, v52, s5
	v_cmp_gt_u32_e32 vcc, 64, v0
	s_nop 0
	v_cvt_pk_f32_fp8_e32 v[46:47], v26
	v_mfma_f32_16x16x16_bf16 v[62:65], v[58:59], v[44:45], v[2:5]
	v_cvt_pk_f32_fp8_e32 v[58:59], v28
	s_nop 1
	v_cvt_pk_f32_fp8_sdwa v[2:3], v26 src0_sel:WORD_1
	v_cvt_pk_f32_fp8_e32 v[4:5], v27
	v_perm_b32 v26, v47, v46, s5
	v_cvt_pk_f32_fp8_sdwa v[46:47], v27 src0_sel:WORD_1
	v_perm_b32 v27, v3, v2, s5
	v_perm_b32 v52, v5, v4, s5
	ds_read_b128 v[2:5], v50 offset:4096
	v_perm_b32 v53, v47, v46, s5
	ds_read_b128 v[46:49], v50 offset:4112
	s_waitcnt lgkmcnt(1)
	v_mfma_f32_16x16x16_bf16 v[62:65], v[26:27], v[2:3], v[62:65]
	v_perm_b32 v26, v59, v58, s5
	v_perm_b32 v27, v67, v66, s5
	v_cvt_pk_f32_fp8_e32 v[58:59], v29
	v_mfma_f32_16x16x16_bf16 v[62:65], v[52:53], v[4:5], v[62:65]
	v_cvt_pk_f32_fp8_sdwa v[52:53], v29 src0_sel:WORD_1
	v_cvt_pk_f32_fp8_e32 v[66:67], v24
	v_perm_b32 v58, v59, v58, s5
	s_waitcnt lgkmcnt(0)
	v_mfma_f32_16x16x16_bf16 v[26:29], v[26:27], v[46:47], v[62:65]
	v_perm_b32 v59, v53, v52, s5
	v_cvt_pk_f32_fp8_e32 v[52:53], v22
	s_nop 0
	v_mfma_f32_16x16x16_bf16 v[62:65], v[58:59], v[48:49], v[26:29]
	s_nop 2
	v_cvt_pk_f32_fp8_sdwa v[26:27], v22 src0_sel:WORD_1
	v_cvt_pk_f32_fp8_e32 v[28:29], v23
	v_perm_b32 v22, v53, v52, s5
	v_cvt_pk_f32_fp8_sdwa v[52:53], v23 src0_sel:WORD_1
	v_perm_b32 v23, v27, v26, s5
	v_perm_b32 v58, v29, v28, s5
	ds_read_b128 v[26:29], v50 offset:6144
	v_perm_b32 v59, v53, v52, s5
	s_waitcnt lgkmcnt(0)
	v_mfma_f32_16x16x16_bf16 v[62:65], v[22:23], v[26:27], v[62:65]
	ds_read_b128 v[50:53], v50 offset:6160
	v_perm_b32 v22, v67, v66, s5
	v_perm_b32 v23, v69, v68, s5
	v_cvt_pk_f32_fp8_e32 v[66:67], v25
	v_mfma_f32_16x16x16_bf16 v[62:65], v[58:59], v[28:29], v[62:65]
	v_cvt_pk_f32_fp8_sdwa v[58:59], v25 src0_sel:WORD_1
	v_cvt_pk_f32_fp8_e32 v[68:69], v32
	v_perm_b32 v66, v67, v66, s5
	s_waitcnt lgkmcnt(0)
	v_mfma_f32_16x16x16_bf16 v[22:25], v[22:23], v[50:51], v[62:65]
	v_perm_b32 v67, v59, v58, s5
	v_cvt_pk_f32_fp8_sdwa v[58:59], v30 src0_sel:WORD_1
	s_nop 0
	v_mfma_f32_16x16x16_bf16 v[62:65], v[66:67], v[52:53], v[22:25]
	s_barrier
	s_nop 1
	v_cvt_pk_f32_fp8_e32 v[24:25], v30
	s_nop 2
	v_pk_mul_f32 v[66:67], v[62:63], s[4:5] op_sel_hi:[1,0]
	v_cvt_pk_f32_fp8_e32 v[62:63], v31
	v_perm_b32 v24, v25, v24, s5
	v_perm_b32 v25, v59, v58, s5
	v_cvt_pk_f32_fp8_sdwa v[30:31], v31 src0_sel:WORD_1
	v_perm_b32 v58, v63, v62, s5
	v_pk_mul_f32 v[22:23], v[64:65], s[4:5] op_sel_hi:[1,0]
	v_mfma_f32_16x16x16_bf16 v[62:65], v[24:25], v[34:35], 0
	v_perm_b32 v59, v31, v30, s5
	v_perm_b32 v24, v69, v68, s5
	;; [unrolled: 1-line block ×3, first 2 shown]
	v_cvt_pk_f32_fp8_e32 v[34:35], v33
	v_cvt_pk_f32_fp8_sdwa v[68:69], v33 src0_sel:WORD_1
	v_mfma_f32_16x16x16_bf16 v[30:33], v[58:59], v[36:37], v[62:65]
	s_waitcnt vmcnt(2)
	v_cvt_pk_f32_fp8_sdwa v[36:37], v18 src0_sel:WORD_1
	v_perm_b32 v34, v35, v34, s5
	v_perm_b32 v35, v69, v68, s5
	v_mfma_f32_16x16x16_bf16 v[30:33], v[24:25], v[38:39], v[30:33]
	v_cvt_pk_f32_fp8_e32 v[24:25], v18
	v_cvt_pk_f32_fp8_sdwa v[38:39], v20 src0_sel:WORD_1
	v_bfe_u32 v57, v67, 16, 1
	v_mfma_f32_16x16x16_bf16 v[30:33], v[34:35], v[40:41], v[30:33]
	v_cvt_pk_f32_fp8_e32 v[34:35], v19
	v_perm_b32 v24, v25, v24, s5
	v_perm_b32 v25, v37, v36, s5
	v_cvt_pk_f32_fp8_sdwa v[18:19], v19 src0_sel:WORD_1
	v_perm_b32 v34, v35, v34, s5
	v_cvt_pk_f32_fp8_e32 v[36:37], v20
	v_mfma_f32_16x16x16_bf16 v[30:33], v[24:25], v[6:7], v[30:33]
	v_perm_b32 v35, v19, v18, s5
	v_perm_b32 v18, v37, v36, s5
	;; [unrolled: 1-line block ×3, first 2 shown]
	v_cvt_pk_f32_fp8_e32 v[24:25], v21
	v_cvt_pk_f32_fp8_sdwa v[20:21], v21 src0_sel:WORD_1
	v_mfma_f32_16x16x16_bf16 v[6:9], v[34:35], v[8:9], v[30:33]
	v_bfe_u32 v58, v66, 16, 1
	v_perm_b32 v24, v25, v24, s5
	v_perm_b32 v25, v21, v20, s5
	v_mfma_f32_16x16x16_bf16 v[6:9], v[18:19], v[42:43], v[6:9]
	s_waitcnt vmcnt(1)
	v_cvt_pk_f32_fp8_e32 v[18:19], v14
	v_cvt_pk_f32_fp8_sdwa v[20:21], v14 src0_sel:WORD_1
	v_cvt_pk_f32_fp8_sdwa v[30:31], v16 src0_sel:WORD_1
	v_mfma_f32_16x16x16_bf16 v[6:9], v[24:25], v[44:45], v[6:9]
	v_cvt_pk_f32_fp8_e32 v[24:25], v15
	v_perm_b32 v18, v19, v18, s5
	v_perm_b32 v19, v21, v20, s5
	v_cvt_pk_f32_fp8_sdwa v[14:15], v15 src0_sel:WORD_1
	v_perm_b32 v20, v25, v24, s5
	v_cvt_pk_f32_fp8_e32 v[24:25], v16
	v_mfma_f32_16x16x16_bf16 v[6:9], v[18:19], v[2:3], v[6:9]
	v_perm_b32 v21, v15, v14, s5
	v_perm_b32 v14, v25, v24, s5
	;; [unrolled: 1-line block ×3, first 2 shown]
	v_cvt_pk_f32_fp8_e32 v[18:19], v17
	v_cvt_pk_f32_fp8_sdwa v[16:17], v17 src0_sel:WORD_1
	v_mfma_f32_16x16x16_bf16 v[2:5], v[20:21], v[4:5], v[6:9]
	v_add3_u32 v32, v66, v58, s9
	v_add3_u32 v33, v67, v57, s9
	s_nop 0
	v_perm_b32 v8, v19, v18, s5
	v_perm_b32 v9, v17, v16, s5
	v_mfma_f32_16x16x16_bf16 v[2:5], v[14:15], v[46:47], v[2:5]
	s_waitcnt vmcnt(0)
	v_cvt_pk_f32_fp8_e32 v[14:15], v10
	v_cvt_pk_f32_fp8_sdwa v[16:17], v10 src0_sel:WORD_1
	v_cvt_pk_f32_fp8_sdwa v[18:19], v12 src0_sel:WORD_1
	v_mfma_f32_16x16x16_bf16 v[2:5], v[8:9], v[48:49], v[2:5]
	v_cvt_pk_f32_fp8_e32 v[8:9], v11
	v_perm_b32 v14, v15, v14, s5
	v_perm_b32 v15, v17, v16, s5
	v_cvt_pk_f32_fp8_sdwa v[10:11], v11 src0_sel:WORD_1
	v_perm_b32 v8, v9, v8, s5
	v_cvt_pk_f32_fp8_e32 v[16:17], v12
	v_mfma_f32_16x16x16_bf16 v[2:5], v[14:15], v[26:27], v[2:5]
	v_perm_b32 v9, v11, v10, s5
	v_perm_b32 v10, v17, v16, s5
	;; [unrolled: 1-line block ×3, first 2 shown]
	v_cvt_pk_f32_fp8_e32 v[14:15], v13
	v_cvt_pk_f32_fp8_sdwa v[12:13], v13 src0_sel:WORD_1
	v_mfma_f32_16x16x16_bf16 v[2:5], v[8:9], v[28:29], v[2:5]
	v_bfe_u32 v7, v23, 16, 1
	v_perm_b32 v8, v15, v14, s5
	v_perm_b32 v9, v13, v12, s5
	v_mfma_f32_16x16x16_bf16 v[2:5], v[10:11], v[50:51], v[2:5]
	v_bfe_u32 v16, v22, 16, 1
	v_add3_u32 v10, v22, v16, s9
	v_add3_u32 v7, v23, v7, s9
	v_mfma_f32_16x16x16_bf16 v[2:5], v[8:9], v[52:53], v[2:5]
	v_perm_b32 v6, v33, v32, s5
	v_perm_b32 v7, v7, v10, s5
	s_nop 4
	v_pk_mul_f32 v[2:3], v[2:3], s[4:5] op_sel_hi:[1,0]
	v_pk_mul_f32 v[4:5], v[4:5], s[4:5] op_sel_hi:[1,0]
	v_bfe_u32 v8, v3, 16, 1
	v_bfe_u32 v9, v2, 16, 1
	v_add3_u32 v2, v2, v9, s9
	v_add3_u32 v3, v3, v8, s9
	v_perm_b32 v2, v3, v2, s5
	v_bfe_u32 v3, v5, 16, 1
	v_bfe_u32 v8, v4, 16, 1
	v_add3_u32 v4, v4, v8, s9
	v_add3_u32 v3, v5, v3, s9
	v_perm_b32 v3, v3, v4, s5
	ds_write2st64_b64 v55, v[6:7], v[2:3] offset1:1
	s_waitcnt lgkmcnt(0)
	s_barrier
	s_and_saveexec_b64 s[4:5], vcc
	s_cbranch_execz .LBB1257_20
; %bb.18:
	s_load_dwordx2 s[4:5], s[0:1], 0x68
	s_lshl_b32 s0, s7, 7
	s_mul_i32 s1, s8, s2
	v_lshlrev_b32_e32 v3, 6, v56
	s_mul_hi_u32 s9, s1, s0
	s_mul_i32 s8, s1, s0
	v_lshl_or_b32 v0, v0, 10, v3
	s_lshl_b64 s[8:9], s[8:9], 1
	v_lshlrev_b32_e32 v2, 5, v60
	v_and_b32_e32 v1, 16, v1
	v_and_b32_e32 v0, 0x1a00, v0
	s_waitcnt lgkmcnt(0)
	s_add_u32 s1, s4, s8
	v_or3_b32 v2, v0, v2, v1
	s_addc_u32 s4, s5, s9
	s_lshl_b32 s2, s6, 7
	s_lshl_b64 s[2:3], s[2:3], 1
	ds_read_b128 v[4:7], v2 offset:128
	ds_read_b128 v[8:11], v2
	s_add_u32 s2, s1, s2
	s_addc_u32 s3, s4, s3
	v_mov_b32_e32 v55, 0
	v_add_u32_e32 v14, s48, v60
	v_lshl_add_u64 v[0:1], s[2:3], 0, v[54:55]
	v_mad_u64_u32 v[12:13], s[2:3], v14, s0, 0
	v_lshl_add_u64 v[12:13], v[12:13], 1, v[0:1]
	s_waitcnt lgkmcnt(0)
	global_store_dwordx4 v[12:13], v[8:11], off
	v_or_b32_e32 v3, 8, v60
	v_cmp_gt_u32_e32 vcc, 10, v3
	v_add_u32_e32 v8, 4, v14
	v_mad_u64_u32 v[8:9], s[2:3], v8, s0, 0
	v_lshl_add_u64 v[8:9], v[8:9], 1, v[0:1]
	global_store_dwordx4 v[8:9], v[4:7], off
	s_and_b64 exec, exec, vcc
	s_cbranch_execz .LBB1257_20
; %bb.19:
	ds_read_b128 v[4:7], v2 offset:256
	v_add_u32_e32 v2, s48, v3
	v_mad_u64_u32 v[2:3], s[0:1], v2, s0, 0
	v_lshl_add_u64 v[0:1], v[2:3], 1, v[0:1]
	s_waitcnt lgkmcnt(0)
	global_store_dwordx4 v[0:1], v[4:7], off
.LBB1257_20:
	s_endpgm
	.section	.rodata,"a",@progbits
	.p2align	6, 0x0
	.amdhsa_kernel _Z39paged_attention_ll4mi_QKV_mfma16_kernelI14__hip_bfloat16hLN4vllm18Fp8KVCacheDataTypeE1EhLi16ELi128ELi256ELb1ELi10EEvPKT_PKT0_S8_ifPKiSA_SA_iPKfiiiPfSD_PS3_PT2_iSC_SC_
		.amdhsa_group_segment_fixed_size 8192
		.amdhsa_private_segment_fixed_size 0
		.amdhsa_kernarg_size 400
		.amdhsa_user_sgpr_count 2
		.amdhsa_user_sgpr_dispatch_ptr 0
		.amdhsa_user_sgpr_queue_ptr 0
		.amdhsa_user_sgpr_kernarg_segment_ptr 1
		.amdhsa_user_sgpr_dispatch_id 0
		.amdhsa_user_sgpr_kernarg_preload_length 0
		.amdhsa_user_sgpr_kernarg_preload_offset 0
		.amdhsa_user_sgpr_private_segment_size 0
		.amdhsa_uses_dynamic_stack 0
		.amdhsa_enable_private_segment 0
		.amdhsa_system_sgpr_workgroup_id_x 1
		.amdhsa_system_sgpr_workgroup_id_y 1
		.amdhsa_system_sgpr_workgroup_id_z 1
		.amdhsa_system_sgpr_workgroup_info 0
		.amdhsa_system_vgpr_workitem_id 0
		.amdhsa_next_free_vgpr 76
		.amdhsa_next_free_sgpr 50
		.amdhsa_accum_offset 76
		.amdhsa_reserve_vcc 1
		.amdhsa_float_round_mode_32 0
		.amdhsa_float_round_mode_16_64 0
		.amdhsa_float_denorm_mode_32 3
		.amdhsa_float_denorm_mode_16_64 3
		.amdhsa_dx10_clamp 1
		.amdhsa_ieee_mode 1
		.amdhsa_fp16_overflow 0
		.amdhsa_tg_split 0
		.amdhsa_exception_fp_ieee_invalid_op 0
		.amdhsa_exception_fp_denorm_src 0
		.amdhsa_exception_fp_ieee_div_zero 0
		.amdhsa_exception_fp_ieee_overflow 0
		.amdhsa_exception_fp_ieee_underflow 0
		.amdhsa_exception_fp_ieee_inexact 0
		.amdhsa_exception_int_div_zero 0
	.end_amdhsa_kernel
	.section	.text._Z39paged_attention_ll4mi_QKV_mfma16_kernelI14__hip_bfloat16hLN4vllm18Fp8KVCacheDataTypeE1EhLi16ELi128ELi256ELb1ELi10EEvPKT_PKT0_S8_ifPKiSA_SA_iPKfiiiPfSD_PS3_PT2_iSC_SC_,"axG",@progbits,_Z39paged_attention_ll4mi_QKV_mfma16_kernelI14__hip_bfloat16hLN4vllm18Fp8KVCacheDataTypeE1EhLi16ELi128ELi256ELb1ELi10EEvPKT_PKT0_S8_ifPKiSA_SA_iPKfiiiPfSD_PS3_PT2_iSC_SC_,comdat
.Lfunc_end1257:
	.size	_Z39paged_attention_ll4mi_QKV_mfma16_kernelI14__hip_bfloat16hLN4vllm18Fp8KVCacheDataTypeE1EhLi16ELi128ELi256ELb1ELi10EEvPKT_PKT0_S8_ifPKiSA_SA_iPKfiiiPfSD_PS3_PT2_iSC_SC_, .Lfunc_end1257-_Z39paged_attention_ll4mi_QKV_mfma16_kernelI14__hip_bfloat16hLN4vllm18Fp8KVCacheDataTypeE1EhLi16ELi128ELi256ELb1ELi10EEvPKT_PKT0_S8_ifPKiSA_SA_iPKfiiiPfSD_PS3_PT2_iSC_SC_
                                        ; -- End function
	.section	.AMDGPU.csdata,"",@progbits
; Kernel info:
; codeLenInByte = 6612
; NumSgprs: 56
; NumVgprs: 76
; NumAgprs: 0
; TotalNumVgprs: 76
; ScratchSize: 0
; MemoryBound: 0
; FloatMode: 240
; IeeeMode: 1
; LDSByteSize: 8192 bytes/workgroup (compile time only)
; SGPRBlocks: 6
; VGPRBlocks: 9
; NumSGPRsForWavesPerEU: 56
; NumVGPRsForWavesPerEU: 76
; AccumOffset: 76
; Occupancy: 6
; WaveLimiterHint : 1
; COMPUTE_PGM_RSRC2:SCRATCH_EN: 0
; COMPUTE_PGM_RSRC2:USER_SGPR: 2
; COMPUTE_PGM_RSRC2:TRAP_HANDLER: 0
; COMPUTE_PGM_RSRC2:TGID_X_EN: 1
; COMPUTE_PGM_RSRC2:TGID_Y_EN: 1
; COMPUTE_PGM_RSRC2:TGID_Z_EN: 1
; COMPUTE_PGM_RSRC2:TIDIG_COMP_CNT: 0
; COMPUTE_PGM_RSRC3_GFX90A:ACCUM_OFFSET: 18
; COMPUTE_PGM_RSRC3_GFX90A:TG_SPLIT: 0
	.section	.text._Z39paged_attention_ll4mi_QKV_mfma16_kernelI14__hip_bfloat16hLN4vllm18Fp8KVCacheDataTypeE1EhLi16ELi128ELi256ELb1ELi11EEvPKT_PKT0_S8_ifPKiSA_SA_iPKfiiiPfSD_PS3_PT2_iSC_SC_,"axG",@progbits,_Z39paged_attention_ll4mi_QKV_mfma16_kernelI14__hip_bfloat16hLN4vllm18Fp8KVCacheDataTypeE1EhLi16ELi128ELi256ELb1ELi11EEvPKT_PKT0_S8_ifPKiSA_SA_iPKfiiiPfSD_PS3_PT2_iSC_SC_,comdat
	.protected	_Z39paged_attention_ll4mi_QKV_mfma16_kernelI14__hip_bfloat16hLN4vllm18Fp8KVCacheDataTypeE1EhLi16ELi128ELi256ELb1ELi11EEvPKT_PKT0_S8_ifPKiSA_SA_iPKfiiiPfSD_PS3_PT2_iSC_SC_ ; -- Begin function _Z39paged_attention_ll4mi_QKV_mfma16_kernelI14__hip_bfloat16hLN4vllm18Fp8KVCacheDataTypeE1EhLi16ELi128ELi256ELb1ELi11EEvPKT_PKT0_S8_ifPKiSA_SA_iPKfiiiPfSD_PS3_PT2_iSC_SC_
	.globl	_Z39paged_attention_ll4mi_QKV_mfma16_kernelI14__hip_bfloat16hLN4vllm18Fp8KVCacheDataTypeE1EhLi16ELi128ELi256ELb1ELi11EEvPKT_PKT0_S8_ifPKiSA_SA_iPKfiiiPfSD_PS3_PT2_iSC_SC_
	.p2align	8
	.type	_Z39paged_attention_ll4mi_QKV_mfma16_kernelI14__hip_bfloat16hLN4vllm18Fp8KVCacheDataTypeE1EhLi16ELi128ELi256ELb1ELi11EEvPKT_PKT0_S8_ifPKiSA_SA_iPKfiiiPfSD_PS3_PT2_iSC_SC_,@function
_Z39paged_attention_ll4mi_QKV_mfma16_kernelI14__hip_bfloat16hLN4vllm18Fp8KVCacheDataTypeE1EhLi16ELi128ELi256ELb1ELi11EEvPKT_PKT0_S8_ifPKiSA_SA_iPKfiiiPfSD_PS3_PT2_iSC_SC_: ; @_Z39paged_attention_ll4mi_QKV_mfma16_kernelI14__hip_bfloat16hLN4vllm18Fp8KVCacheDataTypeE1EhLi16ELi128ELi256ELb1ELi11EEvPKT_PKT0_S8_ifPKiSA_SA_iPKfiiiPfSD_PS3_PT2_iSC_SC_
; %bb.0:
	s_load_dwordx2 s[10:11], s[0:1], 0x30
	s_mov_b32 s6, s3
	s_mov_b64 s[8:9], 0
	s_waitcnt lgkmcnt(0)
	s_cmp_lg_u64 s[10:11], 0
	s_cselect_b64 s[12:13], -1, 0
	s_and_b64 vcc, exec, s[12:13]
	s_cbranch_vccz .LBB1258_7
; %bb.1:
	s_add_i32 s14, s2, 1
	s_mov_b32 s15, 0
	s_lshl_b64 s[16:17], s[14:15], 2
	s_add_u32 s16, s10, s16
	s_mov_b32 s3, s15
	s_addc_u32 s17, s11, s17
	s_lshl_b64 s[14:15], s[2:3], 2
	s_add_u32 s14, s10, s14
	s_addc_u32 s15, s11, s15
	s_load_dword s5, s[16:17], 0x0
	s_load_dword s7, s[14:15], 0x0
	s_waitcnt lgkmcnt(0)
	s_sub_i32 s5, s5, s7
	s_cmp_eq_u32 s5, 1
	s_cselect_b64 s[14:15], -1, 0
	s_andn2_b64 vcc, exec, s[8:9]
	s_cbranch_vccnz .LBB1258_3
.LBB1258_2:
	s_mov_b32 s3, 0
	s_mov_b64 s[14:15], -1
.LBB1258_3:
	s_andn2_b64 vcc, exec, s[14:15]
	s_cbranch_vccnz .LBB1258_20
; %bb.4:
	s_load_dwordx2 s[8:9], s[0:1], 0x28
	s_lshl_b64 s[14:15], s[2:3], 2
	s_waitcnt lgkmcnt(0)
	s_add_u32 s8, s8, s14
	s_addc_u32 s9, s9, s15
	s_load_dword s7, s[8:9], 0x0
	s_lshl_b32 s18, s6, 8
	s_waitcnt lgkmcnt(0)
	s_cmp_ge_i32 s18, s7
	s_cbranch_scc1 .LBB1258_20
; %bb.5:
	s_load_dwordx2 s[8:9], s[0:1], 0x20
	s_load_dword s5, s[0:1], 0x38
	s_add_i32 s16, s7, 15
	s_ashr_i32 s17, s16, 31
	v_and_b32_e32 v1, 0xcf, v0
	s_lshr_b32 s17, s17, 28
	v_add_u32_e32 v1, s18, v1
	s_add_i32 s16, s16, s17
	v_ashrrev_i32_e32 v2, 31, v1
	s_ashr_i32 s19, s16, 4
	v_lshrrev_b32_e32 v4, 28, v2
	s_add_i32 s19, s19, -1
	s_waitcnt lgkmcnt(0)
	s_mul_i32 s16, s2, s5
	s_mov_b32 s17, 0
	v_add_u32_e32 v2, v1, v4
	s_lshl_b64 s[16:17], s[16:17], 2
	v_ashrrev_i32_e32 v2, 4, v2
	v_mov_b32_e32 v5, s19
	v_cmp_gt_i32_e32 vcc, s7, v1
	s_add_u32 s8, s8, s16
	s_addc_u32 s9, s9, s17
	v_cndmask_b32_e32 v2, v5, v2, vcc
	v_ashrrev_i32_e32 v3, 31, v2
	v_lshl_add_u64 v[6:7], v[2:3], 2, s[8:9]
	v_or_b32_e32 v2, 16, v1
	v_add_u32_e32 v3, v2, v4
	v_ashrrev_i32_e32 v3, 4, v3
	v_cmp_gt_i32_e32 vcc, s7, v2
	s_load_dwordx2 s[16:17], s[0:1], 0x8
	s_nop 0
	v_cndmask_b32_e32 v2, v5, v3, vcc
	v_ashrrev_i32_e32 v3, 31, v2
	v_lshl_add_u64 v[8:9], v[2:3], 2, s[8:9]
	v_or_b32_e32 v2, 32, v1
	v_add_u32_e32 v3, v2, v4
	v_ashrrev_i32_e32 v3, 4, v3
	v_cmp_gt_i32_e32 vcc, s7, v2
	v_or_b32_e32 v1, 48, v1
	s_nop 0
	v_cndmask_b32_e32 v2, v5, v3, vcc
	v_ashrrev_i32_e32 v3, 31, v2
	v_lshl_add_u64 v[12:13], v[2:3], 2, s[8:9]
	v_add_u32_e32 v2, v1, v4
	v_ashrrev_i32_e32 v2, 4, v2
	v_cmp_gt_i32_e32 vcc, s7, v1
	s_nop 1
	v_cndmask_b32_e32 v2, v5, v2, vcc
	v_ashrrev_i32_e32 v3, 31, v2
	v_lshl_add_u64 v[14:15], v[2:3], 2, s[8:9]
	global_load_dword v4, v[6:7], off
	global_load_dword v3, v[8:9], off
	global_load_dword v2, v[12:13], off
	global_load_dword v10, v[14:15], off
	s_andn2_b64 vcc, exec, s[12:13]
	s_cbranch_vccnz .LBB1258_8
; %bb.6:
	s_add_u32 s10, s10, s14
	s_addc_u32 s11, s11, s15
	s_load_dword s5, s[10:11], 0x0
	s_branch .LBB1258_9
.LBB1258_7:
	s_mov_b64 s[14:15], 0
	s_branch .LBB1258_2
.LBB1258_8:
	s_mov_b32 s5, s2
.LBB1258_9:
	s_load_dwordx2 s[10:11], s[0:1], 0x10
	s_load_dwordx4 s[44:47], s[0:1], 0x48
	v_lshrrev_b32_e32 v57, 6, v0
	v_bfe_u32 v60, v0, 4, 2
	v_and_b32_e32 v56, 15, v0
	v_lshl_or_b32 v5, v57, 2, v60
	v_lshlrev_b32_e32 v1, 3, v56
	s_mul_i32 s48, s4, 11
	v_cmp_gt_u32_e32 vcc, 11, v5
	v_lshlrev_b32_e32 v54, 1, v1
	v_lshlrev_b32_e32 v1, 4, v0
	s_and_saveexec_b64 s[12:13], vcc
	s_cbranch_execz .LBB1258_11
; %bb.10:
	s_load_dwordx2 s[14:15], s[0:1], 0x0
	s_waitcnt lgkmcnt(0)
	s_ashr_i32 s20, s44, 31
	s_mul_hi_u32 s21, s5, s44
	s_mul_i32 s20, s5, s20
	s_add_i32 s21, s21, s20
	s_mul_i32 s20, s5, s44
	s_lshl_b64 s[20:21], s[20:21], 1
	s_add_u32 s14, s14, s20
	v_add_lshl_u32 v6, v5, s48, 7
	s_addc_u32 s15, s15, s21
	v_ashrrev_i32_e32 v7, 31, v6
	v_lshl_add_u64 v[6:7], v[6:7], 1, s[14:15]
	v_mov_b32_e32 v55, 0
	v_lshl_add_u64 v[6:7], v[6:7], 0, v[54:55]
	global_load_dwordx4 v[6:9], v[6:7], off
	v_lshlrev_b32_e32 v12, 8, v0
	v_lshlrev_b32_e32 v11, 8, v56
	v_and_b32_e32 v12, 0x600, v12
	s_movk_i32 s5, 0x800
	v_and_or_b32 v11, v11, s5, v12
	v_lshlrev_b32_e32 v5, 5, v5
	v_and_b32_e32 v12, 16, v1
	v_or3_b32 v5, v11, v5, v12
	s_waitcnt vmcnt(0)
	ds_write_b128 v5, v[6:9]
.LBB1258_11:
	s_or_b64 exec, exec, s[12:13]
	s_waitcnt lgkmcnt(0)
	s_mul_i32 s12, s4, s46
	s_add_u32 s4, s16, s12
	s_addc_u32 s5, s17, 0
	v_and_b32_e32 v58, 0xf0, v1
	v_mov_b32_e32 v59, 0
	v_and_b32_e32 v34, 48, v0
	v_lshl_add_u64 v[12:13], s[4:5], 0, v[58:59]
	v_lshlrev_b32_e32 v58, 4, v34
	s_waitcnt vmcnt(3)
	v_mad_i64_i32 v[4:5], s[4:5], v4, s45, v[12:13]
	v_lshl_add_u64 v[4:5], v[4:5], 0, v[58:59]
	s_barrier
	global_load_dwordx4 v[50:53], v[4:5], off
	global_load_dwordx4 v[46:49], v[4:5], off offset:1024
	s_waitcnt vmcnt(4)
	v_mad_i64_i32 v[4:5], s[4:5], v3, s45, v[12:13]
	s_waitcnt vmcnt(3)
	v_mad_i64_i32 v[2:3], s[4:5], v2, s45, v[12:13]
	v_lshl_add_u64 v[4:5], v[4:5], 0, v[58:59]
	v_lshl_add_u64 v[14:15], v[2:3], 0, v[58:59]
	s_waitcnt vmcnt(2)
	v_mad_i64_i32 v[10:11], s[4:5], v10, s45, v[12:13]
	global_load_dwordx4 v[36:39], v[4:5], off
	global_load_dwordx4 v[6:9], v[4:5], off offset:1024
	s_nop 0
	global_load_dwordx4 v[2:5], v[14:15], off
	global_load_dwordx4 v[42:45], v[14:15], off offset:1024
	v_lshl_add_u64 v[14:15], v[10:11], 0, v[58:59]
	global_load_dwordx4 v[26:29], v[14:15], off
	global_load_dwordx4 v[10:13], v[14:15], off offset:1024
	v_add_u32_e32 v14, -11, v56
	v_cmp_gt_u32_e32 vcc, 11, v56
	v_and_b32_e32 v55, 63, v0
	v_mov_b32_e32 v61, 0
	v_cndmask_b32_e32 v14, v14, v56, vcc
	v_lshlrev_b32_e32 v14, 5, v14
	v_lshl_add_u32 v14, v60, 9, v14
	ds_read_b128 v[30:33], v14
	ds_read_b128 v[22:25], v14 offset:16
	ds_read_b128 v[18:21], v14 offset:2048
	;; [unrolled: 1-line block ×3, first 2 shown]
	s_and_saveexec_b64 s[4:5], vcc
	s_cbranch_execz .LBB1258_13
; %bb.12:
	s_load_dwordx2 s[14:15], s[0:1], 0x40
	v_add_u32_e32 v40, s48, v56
	v_ashrrev_i32_e32 v41, 31, v40
	s_waitcnt lgkmcnt(0)
	v_lshl_add_u64 v[40:41], v[40:41], 2, s[14:15]
	global_load_dword v61, v[40:41], off
.LBB1258_13:
	s_or_b64 exec, exec, s[4:5]
	v_or_b32_e32 v58, s18, v34
	v_ashrrev_i32_e32 v34, 4, v58
	v_mov_b32_e32 v63, s19
	v_cmp_gt_i32_e32 vcc, s7, v58
	s_waitcnt vmcnt(7)
	v_cvt_pk_f32_fp8_e32 v[40:41], v50
	v_cvt_pk_f32_fp8_sdwa v[64:65], v50 src0_sel:WORD_1
	v_cndmask_b32_e32 v34, v63, v34, vcc
	v_ashrrev_i32_e32 v35, 31, v34
	v_lshl_add_u64 v[34:35], v[34:35], 2, s[8:9]
	global_load_dword v62, v[34:35], off
	v_or_b32_e32 v34, 64, v58
	v_ashrrev_i32_e32 v35, 4, v34
	v_cmp_gt_i32_e32 vcc, s7, v34
	v_or_b32_e32 v66, 0x80, v58
	v_ashrrev_i32_e32 v67, 4, v66
	v_cndmask_b32_e32 v34, v63, v35, vcc
	v_cmp_gt_i32_e32 vcc, s7, v66
	s_mov_b32 s33, 0x7060302
	v_perm_b32 v40, v41, v40, s33
	v_cndmask_b32_e32 v50, v63, v67, vcc
	v_perm_b32 v41, v65, v64, s33
	v_cvt_pk_f32_fp8_e32 v[64:65], v51
	v_cvt_pk_f32_fp8_sdwa v[66:67], v51 src0_sel:WORD_1
	v_ashrrev_i32_e32 v51, 31, v50
	v_lshl_add_u64 v[68:69], v[50:51], 2, s[8:9]
	v_perm_b32 v50, v65, v64, s33
	v_perm_b32 v51, v67, v66, s33
	s_waitcnt lgkmcnt(3)
	v_mfma_f32_16x16x16_bf16 v[64:67], v[40:41], v[30:31], 0
	v_cvt_pk_f32_fp8_e32 v[40:41], v52
	v_cvt_pk_f32_fp8_sdwa v[70:71], v52 src0_sel:WORD_1
	s_waitcnt vmcnt(7)
	v_cvt_pk_f32_fp8_e32 v[72:73], v46
	v_mfma_f32_16x16x16_bf16 v[64:67], v[50:51], v[32:33], v[64:67]
	v_cvt_pk_f32_fp8_e32 v[50:51], v53
	v_perm_b32 v40, v41, v40, s33
	v_perm_b32 v41, v71, v70, s33
	v_cvt_pk_f32_fp8_sdwa v[52:53], v53 src0_sel:WORD_1
	v_perm_b32 v70, v51, v50, s33
	v_cvt_pk_f32_fp8_sdwa v[74:75], v46 src0_sel:WORD_1
	v_ashrrev_i32_e32 v35, 31, v34
	v_perm_b32 v71, v53, v52, s33
	s_waitcnt lgkmcnt(2)
	v_mfma_f32_16x16x16_bf16 v[50:53], v[40:41], v[22:23], v[64:67]
	v_perm_b32 v40, v73, v72, s33
	v_perm_b32 v41, v75, v74, s33
	v_or_b32_e32 v58, 0xc0, v58
	v_cvt_pk_f32_fp8_e32 v[64:65], v47
	v_cvt_pk_f32_fp8_sdwa v[46:47], v47 src0_sel:WORD_1
	v_mfma_f32_16x16x16_bf16 v[50:53], v[70:71], v[24:25], v[50:53]
	v_lshl_add_u64 v[34:35], v[34:35], 2, s[8:9]
	v_perm_b32 v64, v65, v64, s33
	v_perm_b32 v65, v47, v46, s33
	s_waitcnt lgkmcnt(1)
	v_mfma_f32_16x16x16_bf16 v[50:53], v[40:41], v[18:19], v[50:53]
	v_ashrrev_i32_e32 v66, 4, v58
	v_cmp_gt_i32_e32 vcc, s7, v58
	v_cvt_pk_f32_fp8_e32 v[46:47], v48
	s_waitcnt vmcnt(6)
	v_cvt_pk_f32_fp8_sdwa v[70:71], v36 src0_sel:WORD_1
	v_cndmask_b32_e32 v40, v63, v66, vcc
	v_mfma_f32_16x16x16_bf16 v[64:67], v[64:65], v[20:21], v[50:53]
	v_ashrrev_i32_e32 v41, 31, v40
	v_lshl_add_u64 v[40:41], v[40:41], 2, s[8:9]
	v_perm_b32 v46, v47, v46, s33
	global_load_dword v53, v[34:35], off
	global_load_dword v63, v[40:41], off
	v_cvt_pk_f32_fp8_sdwa v[50:51], v48 src0_sel:WORD_1
	v_cvt_pk_f32_fp8_e32 v[34:35], v49
	v_cvt_pk_f32_fp8_sdwa v[48:49], v49 src0_sel:WORD_1
	s_add_u32 s46, s10, s12
	v_perm_b32 v47, v51, v50, s33
	v_perm_b32 v34, v35, v34, s33
	;; [unrolled: 1-line block ×3, first 2 shown]
	s_waitcnt lgkmcnt(0)
	v_mfma_f32_16x16x16_bf16 v[46:49], v[46:47], v[14:15], v[64:67]
	v_cvt_pk_f32_fp8_e32 v[50:51], v36
	s_nop 1
	global_load_dword v64, v[68:69], off
	v_cvt_pk_f32_fp8_e32 v[66:67], v37
	s_waitcnt vmcnt(8)
	v_cvt_pk_f32_fp8_e32 v[68:69], v6
	v_perm_b32 v50, v51, v50, s33
	v_perm_b32 v51, v71, v70, s33
	v_cvt_pk_f32_fp8_sdwa v[70:71], v37 src0_sel:WORD_1
	v_perm_b32 v40, v67, v66, s33
	v_mfma_f32_16x16x16_bf16 v[34:37], v[34:35], v[16:17], v[46:49]
	v_cvt_pk_f32_fp8_sdwa v[66:67], v38 src0_sel:WORD_1
	v_perm_b32 v41, v71, v70, s33
	v_cvt_pk_f32_fp8_sdwa v[70:71], v6 src0_sel:WORD_1
	v_mfma_f32_16x16x16_bf16 v[46:49], v[50:51], v[30:31], 0
	v_cvt_pk_f32_fp8_e32 v[50:51], v38
	v_lshl_or_b32 v52, v57, 4, v56
	s_waitcnt vmcnt(6)
	v_cvt_pk_f32_fp8_e32 v[72:73], v43
	v_mfma_f32_16x16x16_bf16 v[46:49], v[40:41], v[32:33], v[46:49]
	v_cvt_pk_f32_fp8_e32 v[40:41], v39
	v_perm_b32 v50, v51, v50, s33
	v_perm_b32 v51, v67, v66, s33
	v_cvt_pk_f32_fp8_sdwa v[38:39], v39 src0_sel:WORD_1
	v_perm_b32 v66, v41, v40, s33
	s_addc_u32 s47, s11, 0
	v_lshlrev_b32_e32 v58, 4, v52
	v_perm_b32 v67, v39, v38, s33
	v_mfma_f32_16x16x16_bf16 v[38:41], v[50:51], v[22:23], v[46:49]
	v_cvt_pk_f32_fp8_sdwa v[50:51], v2 src0_sel:WORD_1
	s_nop 1
	v_perm_b32 v46, v69, v68, s33
	v_perm_b32 v47, v71, v70, s33
	v_cvt_pk_f32_fp8_e32 v[48:49], v7
	v_cvt_pk_f32_fp8_sdwa v[6:7], v7 src0_sel:WORD_1
	v_mfma_f32_16x16x16_bf16 v[38:41], v[66:67], v[24:25], v[38:41]
	v_lshl_add_u64 v[70:71], s[46:47], 0, v[58:59]
	v_perm_b32 v48, v49, v48, s33
	v_perm_b32 v49, v7, v6, s33
	v_mfma_f32_16x16x16_bf16 v[38:41], v[46:47], v[18:19], v[38:41]
	v_cvt_pk_f32_fp8_e32 v[6:7], v8
	v_cvt_pk_f32_fp8_sdwa v[46:47], v8 src0_sel:WORD_1
	v_or_b32_e32 v58, 0x400, v58
	v_mfma_f32_16x16x16_bf16 v[38:41], v[48:49], v[20:21], v[38:41]
	v_cvt_pk_f32_fp8_e32 v[48:49], v9
	v_perm_b32 v6, v7, v6, s33
	v_perm_b32 v7, v47, v46, s33
	v_cvt_pk_f32_fp8_sdwa v[8:9], v9 src0_sel:WORD_1
	v_perm_b32 v46, v49, v48, s33
	v_cvt_pk_f32_fp8_e32 v[48:49], v2
	v_perm_b32 v47, v9, v8, s33
	v_mfma_f32_16x16x16_bf16 v[6:9], v[6:7], v[14:15], v[38:41]
	v_perm_b32 v48, v49, v48, s33
	v_perm_b32 v49, v51, v50, s33
	v_cvt_pk_f32_fp8_e32 v[50:51], v3
	v_cvt_pk_f32_fp8_sdwa v[2:3], v3 src0_sel:WORD_1
	v_mfma_f32_16x16x16_bf16 v[38:41], v[46:47], v[16:17], v[6:9]
	v_perm_b32 v46, v51, v50, s33
	v_perm_b32 v47, v3, v2, s33
	v_mfma_f32_16x16x16_bf16 v[6:9], v[48:49], v[30:31], 0
	v_cvt_pk_f32_fp8_e32 v[2:3], v4
	v_cvt_pk_f32_fp8_sdwa v[48:49], v4 src0_sel:WORD_1
	s_waitcnt vmcnt(3)
	v_mad_i64_i32 v[50:51], s[4:5], v62, s45, v[70:71]
	v_perm_b32 v2, v3, v2, s33
	v_perm_b32 v3, v49, v48, s33
	v_mfma_f32_16x16x16_bf16 v[6:9], v[46:47], v[32:33], v[6:9]
	v_cvt_pk_f32_fp8_e32 v[46:47], v5
	v_cvt_pk_f32_fp8_sdwa v[4:5], v5 src0_sel:WORD_1
	s_waitcnt vmcnt(2)
	v_mad_i64_i32 v[66:67], s[4:5], v53, s45, v[70:71]
	v_perm_b32 v46, v47, v46, s33
	v_perm_b32 v47, v5, v4, s33
	v_mfma_f32_16x16x16_bf16 v[2:5], v[2:3], v[22:23], v[6:9]
	s_nop 2
	v_cvt_pk_f32_fp8_e32 v[6:7], v42
	v_cvt_pk_f32_fp8_sdwa v[8:9], v42 src0_sel:WORD_1
	v_cvt_pk_f32_fp8_sdwa v[42:43], v43 src0_sel:WORD_1
	v_mfma_f32_16x16x16_bf16 v[46:49], v[46:47], v[24:25], v[2:5]
	v_perm_b32 v68, v7, v6, s33
	v_perm_b32 v69, v9, v8, s33
	global_load_dwordx4 v[6:9], v[50:51], off
	global_load_dwordx4 v[2:5], v[66:67], off
	v_perm_b32 v66, v73, v72, s33
	v_perm_b32 v67, v43, v42, s33
	v_mfma_f32_16x16x16_bf16 v[48:51], v[68:69], v[18:19], v[46:49]
	v_cvt_pk_f32_fp8_e32 v[42:43], v44
	v_cvt_pk_f32_fp8_sdwa v[72:73], v44 src0_sel:WORD_1
	s_waitcnt vmcnt(2)
	v_mad_i64_i32 v[46:47], s[4:5], v64, s45, v[70:71]
	v_mfma_f32_16x16x16_bf16 v[66:69], v[66:67], v[20:21], v[48:51]
	v_perm_b32 v42, v43, v42, s33
	v_perm_b32 v43, v73, v72, s33
	v_cvt_pk_f32_fp8_sdwa v[72:73], v26 src0_sel:WORD_1
	v_cvt_pk_f32_fp8_e32 v[50:51], v45
	v_cvt_pk_f32_fp8_sdwa v[44:45], v45 src0_sel:WORD_1
	v_mad_i64_i32 v[48:49], s[4:5], v63, s45, v[70:71]
	v_perm_b32 v50, v51, v50, s33
	v_perm_b32 v51, v45, v44, s33
	v_mfma_f32_16x16x16_bf16 v[42:45], v[42:43], v[14:15], v[66:69]
	v_cvt_pk_f32_fp8_e32 v[70:71], v26
	s_load_dword s4, s[0:1], 0x1c
	s_load_dwordx4 s[40:43], s[0:1], 0x80
	s_load_dword s44, s[0:1], 0x98
	s_waitcnt lgkmcnt(0)
	s_load_dword s5, s[40:41], 0x0
	v_mfma_f32_16x16x16_bf16 v[66:69], v[50:51], v[16:17], v[42:45]
	s_mov_b32 s40, 0xff7fffff
	s_nop 1
	v_cvt_pk_f32_fp8_e32 v[42:43], v27
	v_perm_b32 v44, v71, v70, s33
	v_perm_b32 v45, v73, v72, s33
	v_cvt_pk_f32_fp8_sdwa v[26:27], v27 src0_sel:WORD_1
	v_perm_b32 v50, v43, v42, s33
	v_cvt_pk_f32_fp8_e32 v[70:71], v28
	v_cvt_pk_f32_fp8_sdwa v[72:73], v28 src0_sel:WORD_1
	v_perm_b32 v51, v27, v26, s33
	v_mfma_f32_16x16x16_bf16 v[42:45], v[44:45], v[30:31], 0
	v_perm_b32 v30, v71, v70, s33
	v_perm_b32 v31, v73, v72, s33
	v_cvt_pk_f32_fp8_e32 v[70:71], v29
	v_cvt_pk_f32_fp8_sdwa v[72:73], v29 src0_sel:WORD_1
	v_mfma_f32_16x16x16_bf16 v[26:29], v[50:51], v[32:33], v[42:45]
	v_mov_b32_e32 v32, s4
	s_waitcnt lgkmcnt(0)
	v_mul_f32_e32 v50, s5, v32
	v_pk_mul_f32 v[32:33], v[50:51], v[34:35] op_sel_hi:[0,1]
	v_perm_b32 v42, v71, v70, s33
	v_perm_b32 v43, v73, v72, s33
	v_mfma_f32_16x16x16_bf16 v[26:29], v[30:31], v[22:23], v[26:29]
	v_pk_mul_f32 v[30:31], v[50:51], v[36:37] op_sel_hi:[0,1]
	v_cvt_pk_f32_fp8_e32 v[22:23], v10
	v_cvt_pk_f32_fp8_sdwa v[70:71], v12 src0_sel:WORD_1
	v_mfma_f32_16x16x16_bf16 v[34:37], v[42:43], v[24:25], v[26:29]
	v_cvt_pk_f32_fp8_sdwa v[24:25], v10 src0_sel:WORD_1
	v_perm_b32 v42, v23, v22, s33
	v_pk_mul_f32 v[40:41], v[50:51], v[40:41] op_sel_hi:[0,1]
	v_cvt_pk_f32_fp8_e32 v[26:27], v11
	v_cvt_pk_f32_fp8_sdwa v[10:11], v11 src0_sel:WORD_1
	v_perm_b32 v43, v25, v24, s33
	v_perm_b32 v44, v27, v26, s33
	;; [unrolled: 1-line block ×3, first 2 shown]
	v_cvt_pk_f32_fp8_e32 v[10:11], v12
	v_mfma_f32_16x16x16_bf16 v[34:37], v[42:43], v[18:19], v[34:37]
	global_load_dwordx4 v[26:29], v[46:47], off
	global_load_dwordx4 v[22:25], v[48:49], off
	v_perm_b32 v19, v71, v70, s33
	v_perm_b32 v18, v11, v10, s33
	v_cvt_pk_f32_fp8_e32 v[42:43], v13
	v_cvt_pk_f32_fp8_sdwa v[46:47], v13 src0_sel:WORD_1
	v_mfma_f32_16x16x16_bf16 v[10:13], v[44:45], v[20:21], v[34:37]
	v_pk_mul_f32 v[44:45], v[50:51], v[38:39] op_sel_hi:[0,1]
	v_perm_b32 v20, v43, v42, s33
	v_perm_b32 v21, v47, v46, s33
	v_mfma_f32_16x16x16_bf16 v[10:13], v[18:19], v[14:15], v[10:13]
	v_pk_mul_f32 v[38:39], v[50:51], v[68:69] op_sel_hi:[0,1]
	v_pk_mul_f32 v[42:43], v[50:51], v[66:67] op_sel_hi:[0,1]
	v_mfma_f32_16x16x16_bf16 v[10:13], v[20:21], v[16:17], v[10:13]
	s_nop 6
	v_pk_mul_f32 v[36:37], v[50:51], v[10:11] op_sel_hi:[0,1]
	v_and_b32_e32 v10, 0xc0, v0
	v_add_u32_e32 v10, s18, v10
	v_lshl_or_b32 v10, v60, 2, v10
	v_or_b32_e32 v11, 1, v10
	v_pk_mul_f32 v[34:35], v[50:51], v[12:13] op_sel_hi:[0,1]
	v_subrev_u32_e32 v12, s7, v11
	v_add_u32_e32 v14, 1, v12
	v_add_u32_e32 v15, 2, v12
	v_cvt_f32_i32_e32 v13, v12
	v_cvt_f32_i32_e32 v14, v14
	v_cvt_f32_i32_e32 v15, v15
	v_add_u32_e32 v16, 3, v12
	v_fma_f32 v18, v61, v13, v32
	v_fmac_f32_e32 v33, v61, v14
	v_fma_f32 v48, v61, v15, v30
	v_add_u32_e32 v13, 16, v12
	v_add_u32_e32 v14, 17, v12
	;; [unrolled: 1-line block ×3, first 2 shown]
	v_cvt_f32_i32_e32 v16, v16
	v_cvt_f32_i32_e32 v13, v13
	;; [unrolled: 1-line block ×4, first 2 shown]
	v_fmac_f32_e32 v31, v61, v16
	v_add_u32_e32 v16, 19, v12
	v_fma_f32 v44, v61, v13, v44
	v_fmac_f32_e32 v45, v61, v14
	v_fma_f32 v40, v61, v15, v40
	v_add_u32_e32 v13, 32, v12
	v_add_u32_e32 v14, 33, v12
	;; [unrolled: 1-line block ×3, first 2 shown]
	v_cvt_f32_i32_e32 v16, v16
	v_cvt_f32_i32_e32 v13, v13
	;; [unrolled: 1-line block ×4, first 2 shown]
	v_fmac_f32_e32 v41, v61, v16
	v_add_u32_e32 v16, 35, v12
	v_fma_f32 v42, v61, v13, v42
	v_fmac_f32_e32 v43, v61, v14
	v_fma_f32 v38, v61, v15, v38
	v_add_u32_e32 v13, 48, v12
	v_add_u32_e32 v14, 49, v12
	;; [unrolled: 1-line block ×4, first 2 shown]
	v_cvt_f32_i32_e32 v12, v12
	v_cvt_f32_i32_e32 v13, v13
	;; [unrolled: 1-line block ×3, first 2 shown]
	v_cmp_gt_i32_e64 s[8:9], s7, v10
	v_fmac_f32_e32 v35, v61, v12
	v_mov_b32_e32 v12, 0xff7fffff
	v_cmp_gt_i32_e64 s[10:11], s7, v11
	v_fma_f32 v36, v61, v13, v36
	v_cndmask_b32_e64 v13, v12, v18, s[8:9]
	v_cndmask_b32_e64 v11, v12, v33, s[10:11]
	v_fmac_f32_e32 v37, v61, v14
	v_max3_f32 v11, v13, s40, v11
	v_or_b32_e32 v13, 2, v10
	v_or_b32_e32 v14, 3, v10
	v_cmp_gt_i32_e64 s[12:13], s7, v13
	v_cmp_gt_i32_e64 s[14:15], s7, v14
	v_cvt_f32_i32_e32 v16, v16
	v_cndmask_b32_e64 v13, v12, v48, s[12:13]
	v_cndmask_b32_e64 v14, v12, v31, s[14:15]
	v_max3_f32 v11, v11, v13, v14
	v_or_b32_e32 v13, 16, v10
	v_or_b32_e32 v14, 17, v10
	v_cmp_gt_i32_e64 s[16:17], s7, v13
	v_cmp_gt_i32_e64 s[18:19], s7, v14
	v_fmac_f32_e32 v39, v61, v16
	v_cndmask_b32_e64 v13, v12, v44, s[16:17]
	v_cndmask_b32_e64 v14, v12, v45, s[18:19]
	v_max3_f32 v11, v11, v13, v14
	v_or_b32_e32 v13, 18, v10
	v_or_b32_e32 v14, 19, v10
	v_cmp_gt_i32_e64 s[20:21], s7, v13
	v_cmp_gt_i32_e64 s[22:23], s7, v14
	v_cvt_f32_i32_e32 v15, v15
	v_cndmask_b32_e64 v13, v12, v40, s[20:21]
	v_cndmask_b32_e64 v14, v12, v41, s[22:23]
	v_max3_f32 v11, v11, v13, v14
	v_or_b32_e32 v13, 32, v10
	v_or_b32_e32 v14, 33, v10
	v_cmp_gt_i32_e64 s[24:25], s7, v13
	v_cmp_gt_i32_e64 s[26:27], s7, v14
	v_fma_f32 v34, v61, v15, v34
	v_cndmask_b32_e64 v13, v12, v42, s[24:25]
	v_cndmask_b32_e64 v14, v12, v43, s[26:27]
	v_max3_f32 v11, v11, v13, v14
	v_or_b32_e32 v13, 34, v10
	v_or_b32_e32 v14, 35, v10
	v_cmp_gt_i32_e64 s[28:29], s7, v13
	v_cmp_gt_i32_e64 s[30:31], s7, v14
	s_nop 0
	v_cndmask_b32_e64 v13, v12, v38, s[28:29]
	v_cndmask_b32_e64 v14, v12, v39, s[30:31]
	v_max3_f32 v11, v11, v13, v14
	v_or_b32_e32 v13, 48, v10
	v_or_b32_e32 v14, 49, v10
	v_cmp_gt_i32_e64 s[34:35], s7, v13
	v_cmp_gt_i32_e64 s[36:37], s7, v14
	s_nop 0
	v_cndmask_b32_e64 v13, v12, v36, s[34:35]
	v_cndmask_b32_e64 v14, v12, v37, s[36:37]
	v_max3_f32 v11, v11, v13, v14
	v_or_b32_e32 v13, 50, v10
	v_or_b32_e32 v10, 51, v10
	v_cmp_gt_i32_e32 vcc, s7, v13
	v_cmp_gt_i32_e64 s[4:5], s7, v10
	s_nop 0
	v_cndmask_b32_e32 v13, v12, v34, vcc
	v_cndmask_b32_e64 v10, v12, v35, s[4:5]
	v_max3_f32 v14, v11, v13, v10
	v_mbcnt_lo_u32_b32 v10, -1, 0
	v_mbcnt_hi_u32_b32 v15, -1, v10
	v_and_b32_e32 v10, 64, v15
	v_add_u32_e32 v16, 64, v10
	v_xor_b32_e32 v10, 32, v15
	v_cmp_lt_i32_e64 s[38:39], v10, v16
	s_nop 1
	v_cndmask_b32_e64 v10, v15, v10, s[38:39]
	v_lshlrev_b32_e32 v51, 2, v10
	ds_bpermute_b32 v17, v51, v14
	v_lshl_add_u64 v[10:11], s[46:47], 0, v[58:59]
	v_mad_i64_i32 v[12:13], s[38:39], v62, s45, v[10:11]
	s_waitcnt lgkmcnt(0)
	v_max_f32_e32 v17, v17, v17
	v_max_f32_e32 v19, v14, v17
	v_xor_b32_e32 v14, 16, v15
	v_cmp_lt_i32_e64 s[38:39], v14, v16
	s_nop 1
	v_cndmask_b32_e64 v14, v15, v14, s[38:39]
	v_lshlrev_b32_e32 v58, 2, v14
	ds_bpermute_b32 v20, v58, v19
	v_mad_i64_i32 v[14:15], s[38:39], v53, s45, v[10:11]
	v_mad_i64_i32 v[16:17], s[38:39], v64, s45, v[10:11]
	s_waitcnt lgkmcnt(0)
	v_max_f32_e32 v20, v20, v20
	v_max_f32_e32 v50, v19, v20
	v_sub_f32_e32 v18, v18, v50
	v_sub_f32_e32 v19, v33, v50
	v_mul_f32_e32 v18, 0x3fb8aa3b, v18
	v_mul_f32_e32 v19, 0x3fb8aa3b, v19
	v_exp_f32_e32 v18, v18
	v_exp_f32_e32 v19, v19
	v_sub_f32_e32 v49, v31, v50
	v_mad_i64_i32 v[10:11], s[38:39], v63, s45, v[10:11]
	v_cndmask_b32_e64 v46, 0, v18, s[8:9]
	v_cndmask_b32_e64 v47, 0, v19, s[10:11]
	global_load_dwordx4 v[30:33], v[12:13], off
	global_load_dwordx4 v[18:21], v[14:15], off
	v_sub_f32_e32 v12, v48, v50
	v_mul_f32_e32 v12, 0x3fb8aa3b, v12
	v_exp_f32_e32 v48, v12
	global_load_dwordx4 v[14:17], v[16:17], off
	s_nop 0
	global_load_dwordx4 v[10:13], v[10:11], off
	v_sub_f32_e32 v40, v40, v50
	v_sub_f32_e32 v42, v42, v50
	v_mul_f32_e32 v40, 0x3fb8aa3b, v40
	v_mul_f32_e32 v42, 0x3fb8aa3b, v42
	v_exp_f32_e32 v40, v40
	v_exp_f32_e32 v53, v42
	v_mul_f32_e32 v49, 0x3fb8aa3b, v49
	v_sub_f32_e32 v44, v44, v50
	v_exp_f32_e32 v49, v49
	v_mul_f32_e32 v44, 0x3fb8aa3b, v44
	v_sub_f32_e32 v45, v45, v50
	v_sub_f32_e32 v42, v43, v50
	v_exp_f32_e32 v44, v44
	v_mul_f32_e32 v45, 0x3fb8aa3b, v45
	v_mul_f32_e32 v42, 0x3fb8aa3b, v42
	v_exp_f32_e32 v45, v45
	v_sub_f32_e32 v41, v41, v50
	v_exp_f32_e32 v59, v42
	v_cndmask_b32_e64 v42, 0, v40, s[20:21]
	v_cndmask_b32_e64 v40, 0, v53, s[24:25]
	v_add_f32_e32 v53, 0, v46
	v_cndmask_b32_e64 v48, 0, v48, s[12:13]
	v_mul_f32_e32 v41, 0x3fb8aa3b, v41
	v_add_f32_e32 v53, v53, v47
	v_cndmask_b32_e64 v49, 0, v49, s[14:15]
	v_exp_f32_e32 v41, v41
	v_add_f32_e32 v53, v53, v48
	v_cndmask_b32_e64 v44, 0, v44, s[16:17]
	v_sub_f32_e32 v38, v38, v50
	v_add_f32_e32 v53, v53, v49
	v_cndmask_b32_e64 v45, 0, v45, s[18:19]
	v_sub_f32_e32 v39, v39, v50
	v_mul_f32_e32 v38, 0x3fb8aa3b, v38
	v_add_f32_e32 v53, v53, v44
	v_exp_f32_e32 v38, v38
	v_mul_f32_e32 v39, 0x3fb8aa3b, v39
	v_sub_f32_e32 v36, v36, v50
	v_add_f32_e32 v53, v53, v45
	v_cndmask_b32_e64 v43, 0, v41, s[22:23]
	v_exp_f32_e32 v39, v39
	v_mul_f32_e32 v36, 0x3fb8aa3b, v36
	v_sub_f32_e32 v37, v37, v50
	v_add_f32_e32 v53, v53, v42
	v_exp_f32_e32 v36, v36
	v_mul_f32_e32 v37, 0x3fb8aa3b, v37
	v_add_f32_e32 v53, v53, v43
	v_sub_f32_e32 v34, v34, v50
	v_cndmask_b32_e64 v41, 0, v59, s[26:27]
	v_exp_f32_e32 v37, v37
	v_add_f32_e32 v53, v53, v40
	v_mul_f32_e32 v34, 0x3fb8aa3b, v34
	v_sub_f32_e32 v35, v35, v50
	v_cndmask_b32_e64 v38, 0, v38, s[28:29]
	v_add_f32_e32 v53, v53, v41
	v_exp_f32_e32 v34, v34
	v_mul_f32_e32 v35, 0x3fb8aa3b, v35
	v_cndmask_b32_e64 v39, 0, v39, s[30:31]
	v_add_f32_e32 v53, v53, v38
	v_exp_f32_e32 v35, v35
	v_cndmask_b32_e64 v36, 0, v36, s[34:35]
	v_add_f32_e32 v53, v53, v39
	v_cndmask_b32_e64 v37, 0, v37, s[36:37]
	v_add_f32_e32 v53, v53, v36
	v_add_f32_e32 v53, v53, v37
	v_cndmask_b32_e32 v34, 0, v34, vcc
	v_add_f32_e32 v53, v53, v34
	v_cndmask_b32_e64 v35, 0, v35, s[4:5]
	v_add_f32_e32 v53, v53, v35
	ds_bpermute_b32 v51, v51, v53
	v_cmp_gt_u32_e32 vcc, 16, v55
	s_waitcnt lgkmcnt(0)
	s_barrier
	v_add_f32_e32 v51, v53, v51
	ds_bpermute_b32 v53, v58, v51
	s_and_saveexec_b64 s[4:5], vcc
	s_cbranch_execz .LBB1258_15
; %bb.14:
	s_waitcnt lgkmcnt(0)
	v_add_f32_e32 v51, v51, v53
	v_lshlrev_b32_e32 v52, 2, v52
	ds_write2st64_b32 v52, v50, v51 offset1:1
.LBB1258_15:
	s_or_b64 exec, exec, s[4:5]
	v_lshlrev_b32_e32 v51, 2, v56
	s_load_dword s7, s[0:1], 0x94
	s_waitcnt lgkmcnt(0)
	s_barrier
	ds_read2_b32 v[52:53], v51 offset1:16
	ds_read2_b32 v[58:59], v51 offset0:32 offset1:48
	ds_read2_b32 v[62:63], v51 offset0:64 offset1:80
	s_movk_i32 s9, 0x7fff
	s_mul_i32 s8, s44, 11
	s_waitcnt lgkmcnt(2)
	v_max3_f32 v50, v52, s40, v53
	s_waitcnt lgkmcnt(1)
	v_max3_f32 v50, v50, v58, v59
	v_sub_f32_e32 v52, v52, v50
	v_mul_f32_e32 v52, 0x3fb8aa3b, v52
	v_exp_f32_e32 v55, v52
	v_sub_f32_e32 v52, v53, v50
	v_mul_f32_e32 v52, 0x3fb8aa3b, v52
	v_exp_f32_e32 v61, v52
	;; [unrolled: 3-line block ×3, first 2 shown]
	ds_read2_b32 v[52:53], v51 offset0:96 offset1:112
	v_sub_f32_e32 v51, v59, v50
	v_mul_f32_e32 v51, 0x3fb8aa3b, v51
	v_exp_f32_e32 v59, v51
	s_waitcnt lgkmcnt(1)
	v_fma_f32 v51, v55, v62, 0
	v_fmac_f32_e32 v51, v61, v63
	s_waitcnt lgkmcnt(0)
	v_fmac_f32_e32 v51, v58, v52
	v_fmac_f32_e32 v51, v59, v53
	v_add_f32_e32 v52, 0x358637bd, v51
	v_div_scale_f32 v53, s[4:5], v52, v52, 1.0
	v_rcp_f32_e32 v62, v53
	s_barrier
	v_fma_f32 v63, -v53, v62, 1.0
	v_fmac_f32_e32 v62, v63, v62
	v_div_scale_f32 v63, vcc, 1.0, v52, 1.0
	v_mul_f32_e32 v64, v63, v62
	v_fma_f32 v65, -v53, v64, v63
	v_fmac_f32_e32 v64, v65, v62
	v_fma_f32 v53, -v53, v64, v63
	v_div_fmas_f32 v53, v53, v62, v64
	v_cmp_eq_u32_e32 vcc, 1, v57
	v_div_fixup_f32 v52, v53, v52, 1.0
	s_nop 0
	v_cndmask_b32_e32 v53, v55, v61, vcc
	v_cmp_eq_u32_e32 vcc, 2, v57
	s_nop 1
	v_cndmask_b32_e32 v53, v53, v58, vcc
	v_cmp_eq_u32_e32 vcc, 3, v57
	s_nop 1
	v_cndmask_b32_e32 v53, v53, v59, vcc
	v_mul_f32_e32 v52, v53, v52
	v_pk_mul_f32 v[46:47], v[52:53], v[46:47] op_sel_hi:[0,1]
	v_pk_mul_f32 v[48:49], v[52:53], v[48:49] op_sel_hi:[0,1]
	v_bfe_u32 v53, v47, 16, 1
	v_bfe_u32 v55, v46, 16, 1
	v_add3_u32 v46, v46, v55, s9
	v_add3_u32 v47, v47, v53, s9
	v_perm_b32 v58, v47, v46, s33
	v_bfe_u32 v46, v49, 16, 1
	v_bfe_u32 v47, v48, 16, 1
	v_add3_u32 v47, v48, v47, s9
	v_add3_u32 v46, v49, v46, s9
	v_perm_b32 v59, v46, v47, s33
	v_lshlrev_b32_e32 v47, 3, v60
	v_lshlrev_b32_e32 v46, 5, v56
	;; [unrolled: 1-line block ×3, first 2 shown]
	v_pk_mul_f32 v[44:45], v[52:53], v[44:45] op_sel_hi:[0,1]
	v_or3_b32 v55, v48, v46, v47
	v_bfe_u32 v47, v45, 16, 1
	v_bfe_u32 v48, v44, 16, 1
	v_pk_mul_f32 v[42:43], v[52:53], v[42:43] op_sel_hi:[0,1]
	v_add3_u32 v44, v44, v48, s9
	v_add3_u32 v45, v45, v47, s9
	v_perm_b32 v44, v45, v44, s33
	v_bfe_u32 v45, v43, 16, 1
	v_bfe_u32 v47, v42, 16, 1
	v_add3_u32 v42, v42, v47, s9
	v_add3_u32 v43, v43, v45, s9
	v_pk_mul_f32 v[40:41], v[52:53], v[40:41] op_sel_hi:[0,1]
	v_perm_b32 v45, v43, v42, s33
	v_bfe_u32 v42, v41, 16, 1
	v_bfe_u32 v43, v40, 16, 1
	v_pk_mul_f32 v[38:39], v[52:53], v[38:39] op_sel_hi:[0,1]
	v_add3_u32 v40, v40, v43, s9
	v_add3_u32 v41, v41, v42, s9
	v_perm_b32 v40, v41, v40, s33
	v_bfe_u32 v41, v39, 16, 1
	v_bfe_u32 v42, v38, 16, 1
	v_add3_u32 v38, v38, v42, s9
	v_add3_u32 v39, v39, v41, s9
	v_pk_mul_f32 v[36:37], v[52:53], v[36:37] op_sel_hi:[0,1]
	v_perm_b32 v41, v39, v38, s33
	v_bfe_u32 v38, v37, 16, 1
	v_bfe_u32 v39, v36, 16, 1
	v_pk_mul_f32 v[34:35], v[52:53], v[34:35] op_sel_hi:[0,1]
	v_add3_u32 v36, v36, v39, s9
	v_add3_u32 v37, v37, v38, s9
	v_perm_b32 v36, v37, v36, s33
	v_bfe_u32 v37, v35, 16, 1
	v_bfe_u32 v38, v34, 16, 1
	v_add3_u32 v34, v34, v38, s9
	v_add3_u32 v35, v35, v37, s9
	v_perm_b32 v37, v35, v34, s33
	v_cmp_gt_u32_e32 vcc, 11, v0
	ds_write2st64_b64 v55, v[58:59], v[44:45] offset1:1
	ds_write2st64_b64 v55, v[40:41], v[36:37] offset0:2 offset1:3
	s_and_saveexec_b64 s[4:5], vcc
	s_cbranch_execz .LBB1258_17
; %bb.16:
	s_mov_b32 s49, 0
	v_mov_b32_e32 v57, 0
	v_lshl_add_u64 v[34:35], s[48:49], 0, v[56:57]
	v_mov_b32_e32 v36, s8
	v_mad_u64_u32 v[34:35], s[10:11], s2, v36, v[34:35]
	s_mul_i32 s3, s3, s8
	v_mov_b32_e32 v36, s6
	v_mov_b32_e32 v37, v57
	s_load_dwordx4 s[12:15], s[0:1], 0x58
	v_add_u32_e32 v38, s3, v35
	v_mad_u64_u32 v[34:35], s[10:11], v34, s7, v[36:37]
	v_mov_b32_e32 v36, v35
	v_mad_u64_u32 v[36:37], s[10:11], v38, s7, v[36:37]
	v_mov_b32_e32 v35, v36
	v_lshlrev_b64 v[34:35], 2, v[34:35]
	s_waitcnt lgkmcnt(0)
	v_lshl_add_u64 v[36:37], s[14:15], 0, v[34:35]
	v_lshl_add_u64 v[34:35], s[12:13], 0, v[34:35]
	global_store_dword v[36:37], v50, off
	global_store_dword v[34:35], v51, off
.LBB1258_17:
	s_or_b64 exec, exec, s[4:5]
	s_waitcnt vmcnt(7)
	v_cvt_pk_f32_fp8_e32 v[34:35], v6
	v_cvt_pk_f32_fp8_sdwa v[36:37], v6 src0_sel:WORD_1
	v_lshl_or_b32 v50, v60, 9, v46
	s_mov_b32 s5, 0x7060302
	s_waitcnt lgkmcnt(0)
	s_barrier
	v_cvt_pk_f32_fp8_e32 v[38:39], v7
	v_perm_b32 v6, v35, v34, s5
	v_cvt_pk_f32_fp8_sdwa v[40:41], v7 src0_sel:WORD_1
	v_perm_b32 v7, v37, v36, s5
	ds_read_b128 v[34:37], v50
	v_perm_b32 v46, v39, v38, s5
	v_perm_b32 v47, v41, v40, s5
	ds_read_b128 v[38:41], v50 offset:16
	v_cvt_pk_f32_fp8_e32 v[48:49], v8
	v_cvt_pk_f32_fp8_sdwa v[52:53], v8 src0_sel:WORD_1
	s_waitcnt lgkmcnt(1)
	v_mfma_f32_16x16x16_bf16 v[42:45], v[6:7], v[34:35], 0
	s_waitcnt vmcnt(6)
	v_cvt_pk_f32_fp8_e32 v[58:59], v4
	v_perm_b32 v6, v49, v48, s5
	v_perm_b32 v7, v53, v52, s5
	v_cvt_pk_f32_fp8_e32 v[48:49], v9
	v_mfma_f32_16x16x16_bf16 v[42:45], v[46:47], v[36:37], v[42:45]
	v_cvt_pk_f32_fp8_sdwa v[46:47], v9 src0_sel:WORD_1
	v_cvt_pk_f32_fp8_sdwa v[62:63], v4 src0_sel:WORD_1
	v_perm_b32 v48, v49, v48, s5
	s_waitcnt lgkmcnt(0)
	v_mfma_f32_16x16x16_bf16 v[6:9], v[6:7], v[38:39], v[42:45]
	v_perm_b32 v49, v47, v46, s5
	s_waitcnt vmcnt(5)
	v_cvt_pk_f32_fp8_sdwa v[66:67], v28 src0_sel:WORD_1
	s_waitcnt vmcnt(4)
	v_cvt_pk_f32_fp8_sdwa v[68:69], v24 src0_sel:WORD_1
	v_cvt_pk_f32_fp8_e32 v[42:43], v2
	v_mfma_f32_16x16x16_bf16 v[46:49], v[48:49], v[40:41], v[6:9]
	s_load_dword s4, s[42:43], 0x0
	s_waitcnt vmcnt(3)
	v_cvt_pk_f32_fp8_sdwa v[70:71], v32 src0_sel:WORD_1
	v_cvt_pk_f32_fp8_sdwa v[6:7], v2 src0_sel:WORD_1
	v_cvt_pk_f32_fp8_e32 v[8:9], v3
	v_perm_b32 v2, v43, v42, s5
	v_cvt_pk_f32_fp8_sdwa v[42:43], v3 src0_sel:WORD_1
	v_perm_b32 v3, v7, v6, s5
	v_perm_b32 v52, v9, v8, s5
	ds_read_b128 v[6:9], v50 offset:2048
	v_perm_b32 v53, v43, v42, s5
	ds_read_b128 v[42:45], v50 offset:2064
	s_waitcnt lgkmcnt(0)
	v_mfma_f32_16x16x16_bf16 v[46:49], v[2:3], v[6:7], v[46:49]
	v_perm_b32 v2, v59, v58, s5
	v_perm_b32 v3, v63, v62, s5
	v_cvt_pk_f32_fp8_e32 v[58:59], v5
	v_mfma_f32_16x16x16_bf16 v[46:49], v[52:53], v[8:9], v[46:49]
	v_cvt_pk_f32_fp8_sdwa v[52:53], v5 src0_sel:WORD_1
	s_mov_b32 s3, 0
	v_perm_b32 v58, v59, v58, s5
	v_mfma_f32_16x16x16_bf16 v[2:5], v[2:3], v[42:43], v[46:49]
	v_perm_b32 v59, v53, v52, s5
	v_cmp_gt_u32_e32 vcc, 64, v0
	s_nop 0
	v_cvt_pk_f32_fp8_e32 v[46:47], v26
	v_mfma_f32_16x16x16_bf16 v[62:65], v[58:59], v[44:45], v[2:5]
	v_cvt_pk_f32_fp8_e32 v[58:59], v28
	s_nop 1
	v_cvt_pk_f32_fp8_sdwa v[2:3], v26 src0_sel:WORD_1
	v_cvt_pk_f32_fp8_e32 v[4:5], v27
	v_perm_b32 v26, v47, v46, s5
	v_cvt_pk_f32_fp8_sdwa v[46:47], v27 src0_sel:WORD_1
	v_perm_b32 v27, v3, v2, s5
	v_perm_b32 v52, v5, v4, s5
	ds_read_b128 v[2:5], v50 offset:4096
	v_perm_b32 v53, v47, v46, s5
	ds_read_b128 v[46:49], v50 offset:4112
	s_waitcnt lgkmcnt(1)
	v_mfma_f32_16x16x16_bf16 v[62:65], v[26:27], v[2:3], v[62:65]
	v_perm_b32 v26, v59, v58, s5
	v_perm_b32 v27, v67, v66, s5
	v_cvt_pk_f32_fp8_e32 v[58:59], v29
	v_mfma_f32_16x16x16_bf16 v[62:65], v[52:53], v[4:5], v[62:65]
	v_cvt_pk_f32_fp8_sdwa v[52:53], v29 src0_sel:WORD_1
	v_cvt_pk_f32_fp8_e32 v[66:67], v24
	v_perm_b32 v58, v59, v58, s5
	s_waitcnt lgkmcnt(0)
	v_mfma_f32_16x16x16_bf16 v[26:29], v[26:27], v[46:47], v[62:65]
	v_perm_b32 v59, v53, v52, s5
	v_cvt_pk_f32_fp8_e32 v[52:53], v22
	s_nop 0
	v_mfma_f32_16x16x16_bf16 v[62:65], v[58:59], v[48:49], v[26:29]
	s_nop 2
	v_cvt_pk_f32_fp8_sdwa v[26:27], v22 src0_sel:WORD_1
	v_cvt_pk_f32_fp8_e32 v[28:29], v23
	v_perm_b32 v22, v53, v52, s5
	v_cvt_pk_f32_fp8_sdwa v[52:53], v23 src0_sel:WORD_1
	v_perm_b32 v23, v27, v26, s5
	v_perm_b32 v58, v29, v28, s5
	ds_read_b128 v[26:29], v50 offset:6144
	v_perm_b32 v59, v53, v52, s5
	s_waitcnt lgkmcnt(0)
	v_mfma_f32_16x16x16_bf16 v[62:65], v[22:23], v[26:27], v[62:65]
	ds_read_b128 v[50:53], v50 offset:6160
	v_perm_b32 v22, v67, v66, s5
	v_perm_b32 v23, v69, v68, s5
	v_cvt_pk_f32_fp8_e32 v[66:67], v25
	v_mfma_f32_16x16x16_bf16 v[62:65], v[58:59], v[28:29], v[62:65]
	v_cvt_pk_f32_fp8_sdwa v[58:59], v25 src0_sel:WORD_1
	v_cvt_pk_f32_fp8_e32 v[68:69], v32
	v_perm_b32 v66, v67, v66, s5
	s_waitcnt lgkmcnt(0)
	v_mfma_f32_16x16x16_bf16 v[22:25], v[22:23], v[50:51], v[62:65]
	v_perm_b32 v67, v59, v58, s5
	v_cvt_pk_f32_fp8_sdwa v[58:59], v30 src0_sel:WORD_1
	s_nop 0
	v_mfma_f32_16x16x16_bf16 v[62:65], v[66:67], v[52:53], v[22:25]
	s_barrier
	s_nop 1
	v_cvt_pk_f32_fp8_e32 v[24:25], v30
	s_nop 2
	v_pk_mul_f32 v[66:67], v[62:63], s[4:5] op_sel_hi:[1,0]
	v_cvt_pk_f32_fp8_e32 v[62:63], v31
	v_perm_b32 v24, v25, v24, s5
	v_perm_b32 v25, v59, v58, s5
	v_cvt_pk_f32_fp8_sdwa v[30:31], v31 src0_sel:WORD_1
	v_perm_b32 v58, v63, v62, s5
	v_pk_mul_f32 v[22:23], v[64:65], s[4:5] op_sel_hi:[1,0]
	v_mfma_f32_16x16x16_bf16 v[62:65], v[24:25], v[34:35], 0
	v_perm_b32 v59, v31, v30, s5
	v_perm_b32 v24, v69, v68, s5
	;; [unrolled: 1-line block ×3, first 2 shown]
	v_cvt_pk_f32_fp8_e32 v[34:35], v33
	v_cvt_pk_f32_fp8_sdwa v[68:69], v33 src0_sel:WORD_1
	v_mfma_f32_16x16x16_bf16 v[30:33], v[58:59], v[36:37], v[62:65]
	s_waitcnt vmcnt(2)
	v_cvt_pk_f32_fp8_sdwa v[36:37], v18 src0_sel:WORD_1
	v_perm_b32 v34, v35, v34, s5
	v_perm_b32 v35, v69, v68, s5
	v_mfma_f32_16x16x16_bf16 v[30:33], v[24:25], v[38:39], v[30:33]
	v_cvt_pk_f32_fp8_e32 v[24:25], v18
	v_cvt_pk_f32_fp8_sdwa v[38:39], v20 src0_sel:WORD_1
	v_bfe_u32 v57, v67, 16, 1
	v_mfma_f32_16x16x16_bf16 v[30:33], v[34:35], v[40:41], v[30:33]
	v_cvt_pk_f32_fp8_e32 v[34:35], v19
	v_perm_b32 v24, v25, v24, s5
	v_perm_b32 v25, v37, v36, s5
	v_cvt_pk_f32_fp8_sdwa v[18:19], v19 src0_sel:WORD_1
	v_perm_b32 v34, v35, v34, s5
	v_cvt_pk_f32_fp8_e32 v[36:37], v20
	v_mfma_f32_16x16x16_bf16 v[30:33], v[24:25], v[6:7], v[30:33]
	v_perm_b32 v35, v19, v18, s5
	v_perm_b32 v18, v37, v36, s5
	;; [unrolled: 1-line block ×3, first 2 shown]
	v_cvt_pk_f32_fp8_e32 v[24:25], v21
	v_cvt_pk_f32_fp8_sdwa v[20:21], v21 src0_sel:WORD_1
	v_mfma_f32_16x16x16_bf16 v[6:9], v[34:35], v[8:9], v[30:33]
	v_bfe_u32 v58, v66, 16, 1
	v_perm_b32 v24, v25, v24, s5
	v_perm_b32 v25, v21, v20, s5
	v_mfma_f32_16x16x16_bf16 v[6:9], v[18:19], v[42:43], v[6:9]
	s_waitcnt vmcnt(1)
	v_cvt_pk_f32_fp8_e32 v[18:19], v14
	v_cvt_pk_f32_fp8_sdwa v[20:21], v14 src0_sel:WORD_1
	v_cvt_pk_f32_fp8_sdwa v[30:31], v16 src0_sel:WORD_1
	v_mfma_f32_16x16x16_bf16 v[6:9], v[24:25], v[44:45], v[6:9]
	v_cvt_pk_f32_fp8_e32 v[24:25], v15
	v_perm_b32 v18, v19, v18, s5
	v_perm_b32 v19, v21, v20, s5
	v_cvt_pk_f32_fp8_sdwa v[14:15], v15 src0_sel:WORD_1
	v_perm_b32 v20, v25, v24, s5
	v_cvt_pk_f32_fp8_e32 v[24:25], v16
	v_mfma_f32_16x16x16_bf16 v[6:9], v[18:19], v[2:3], v[6:9]
	v_perm_b32 v21, v15, v14, s5
	v_perm_b32 v14, v25, v24, s5
	;; [unrolled: 1-line block ×3, first 2 shown]
	v_cvt_pk_f32_fp8_e32 v[18:19], v17
	v_cvt_pk_f32_fp8_sdwa v[16:17], v17 src0_sel:WORD_1
	v_mfma_f32_16x16x16_bf16 v[2:5], v[20:21], v[4:5], v[6:9]
	v_add3_u32 v32, v66, v58, s9
	v_add3_u32 v33, v67, v57, s9
	s_nop 0
	v_perm_b32 v8, v19, v18, s5
	v_perm_b32 v9, v17, v16, s5
	v_mfma_f32_16x16x16_bf16 v[2:5], v[14:15], v[46:47], v[2:5]
	s_waitcnt vmcnt(0)
	v_cvt_pk_f32_fp8_e32 v[14:15], v10
	v_cvt_pk_f32_fp8_sdwa v[16:17], v10 src0_sel:WORD_1
	v_cvt_pk_f32_fp8_sdwa v[18:19], v12 src0_sel:WORD_1
	v_mfma_f32_16x16x16_bf16 v[2:5], v[8:9], v[48:49], v[2:5]
	v_cvt_pk_f32_fp8_e32 v[8:9], v11
	v_perm_b32 v14, v15, v14, s5
	v_perm_b32 v15, v17, v16, s5
	v_cvt_pk_f32_fp8_sdwa v[10:11], v11 src0_sel:WORD_1
	v_perm_b32 v8, v9, v8, s5
	v_cvt_pk_f32_fp8_e32 v[16:17], v12
	v_mfma_f32_16x16x16_bf16 v[2:5], v[14:15], v[26:27], v[2:5]
	v_perm_b32 v9, v11, v10, s5
	v_perm_b32 v10, v17, v16, s5
	;; [unrolled: 1-line block ×3, first 2 shown]
	v_cvt_pk_f32_fp8_e32 v[14:15], v13
	v_cvt_pk_f32_fp8_sdwa v[12:13], v13 src0_sel:WORD_1
	v_mfma_f32_16x16x16_bf16 v[2:5], v[8:9], v[28:29], v[2:5]
	v_bfe_u32 v7, v23, 16, 1
	v_perm_b32 v8, v15, v14, s5
	v_perm_b32 v9, v13, v12, s5
	v_mfma_f32_16x16x16_bf16 v[2:5], v[10:11], v[50:51], v[2:5]
	v_bfe_u32 v16, v22, 16, 1
	v_add3_u32 v10, v22, v16, s9
	v_add3_u32 v7, v23, v7, s9
	v_mfma_f32_16x16x16_bf16 v[2:5], v[8:9], v[52:53], v[2:5]
	v_perm_b32 v6, v33, v32, s5
	v_perm_b32 v7, v7, v10, s5
	s_nop 4
	v_pk_mul_f32 v[2:3], v[2:3], s[4:5] op_sel_hi:[1,0]
	v_pk_mul_f32 v[4:5], v[4:5], s[4:5] op_sel_hi:[1,0]
	v_bfe_u32 v8, v3, 16, 1
	v_bfe_u32 v9, v2, 16, 1
	v_add3_u32 v2, v2, v9, s9
	v_add3_u32 v3, v3, v8, s9
	v_perm_b32 v2, v3, v2, s5
	v_bfe_u32 v3, v5, 16, 1
	v_bfe_u32 v8, v4, 16, 1
	v_add3_u32 v4, v4, v8, s9
	v_add3_u32 v3, v5, v3, s9
	v_perm_b32 v3, v3, v4, s5
	ds_write2st64_b64 v55, v[6:7], v[2:3] offset1:1
	s_waitcnt lgkmcnt(0)
	s_barrier
	s_and_saveexec_b64 s[4:5], vcc
	s_cbranch_execz .LBB1258_20
; %bb.18:
	s_load_dwordx2 s[4:5], s[0:1], 0x68
	s_lshl_b32 s0, s7, 7
	s_mul_i32 s1, s8, s2
	v_lshlrev_b32_e32 v3, 6, v56
	s_mul_hi_u32 s9, s1, s0
	s_mul_i32 s8, s1, s0
	v_lshl_or_b32 v0, v0, 10, v3
	s_lshl_b64 s[8:9], s[8:9], 1
	v_lshlrev_b32_e32 v2, 5, v60
	v_and_b32_e32 v1, 16, v1
	v_and_b32_e32 v0, 0x1a00, v0
	s_waitcnt lgkmcnt(0)
	s_add_u32 s1, s4, s8
	v_or3_b32 v2, v0, v2, v1
	s_addc_u32 s4, s5, s9
	s_lshl_b32 s2, s6, 7
	s_lshl_b64 s[2:3], s[2:3], 1
	ds_read_b128 v[4:7], v2 offset:128
	ds_read_b128 v[8:11], v2
	s_add_u32 s2, s1, s2
	s_addc_u32 s3, s4, s3
	v_mov_b32_e32 v55, 0
	v_add_u32_e32 v3, s48, v60
	v_lshl_add_u64 v[0:1], s[2:3], 0, v[54:55]
	v_mad_u64_u32 v[12:13], s[2:3], v3, s0, 0
	v_lshl_add_u64 v[12:13], v[12:13], 1, v[0:1]
	v_add_u32_e32 v3, 4, v3
	s_waitcnt lgkmcnt(0)
	global_store_dwordx4 v[12:13], v[8:11], off
	v_cmp_ne_u32_e32 vcc, 3, v60
	s_nop 0
	v_mad_u64_u32 v[8:9], s[2:3], v3, s0, 0
	v_lshl_add_u64 v[8:9], v[8:9], 1, v[0:1]
	global_store_dwordx4 v[8:9], v[4:7], off
	s_and_b64 exec, exec, vcc
	s_cbranch_execz .LBB1258_20
; %bb.19:
	ds_read_b128 v[2:5], v2 offset:256
	v_add3_u32 v6, s48, v60, 8
	v_mad_u64_u32 v[6:7], s[0:1], v6, s0, 0
	v_lshl_add_u64 v[0:1], v[6:7], 1, v[0:1]
	s_waitcnt lgkmcnt(0)
	global_store_dwordx4 v[0:1], v[2:5], off
.LBB1258_20:
	s_endpgm
	.section	.rodata,"a",@progbits
	.p2align	6, 0x0
	.amdhsa_kernel _Z39paged_attention_ll4mi_QKV_mfma16_kernelI14__hip_bfloat16hLN4vllm18Fp8KVCacheDataTypeE1EhLi16ELi128ELi256ELb1ELi11EEvPKT_PKT0_S8_ifPKiSA_SA_iPKfiiiPfSD_PS3_PT2_iSC_SC_
		.amdhsa_group_segment_fixed_size 8192
		.amdhsa_private_segment_fixed_size 0
		.amdhsa_kernarg_size 400
		.amdhsa_user_sgpr_count 2
		.amdhsa_user_sgpr_dispatch_ptr 0
		.amdhsa_user_sgpr_queue_ptr 0
		.amdhsa_user_sgpr_kernarg_segment_ptr 1
		.amdhsa_user_sgpr_dispatch_id 0
		.amdhsa_user_sgpr_kernarg_preload_length 0
		.amdhsa_user_sgpr_kernarg_preload_offset 0
		.amdhsa_user_sgpr_private_segment_size 0
		.amdhsa_uses_dynamic_stack 0
		.amdhsa_enable_private_segment 0
		.amdhsa_system_sgpr_workgroup_id_x 1
		.amdhsa_system_sgpr_workgroup_id_y 1
		.amdhsa_system_sgpr_workgroup_id_z 1
		.amdhsa_system_sgpr_workgroup_info 0
		.amdhsa_system_vgpr_workitem_id 0
		.amdhsa_next_free_vgpr 76
		.amdhsa_next_free_sgpr 50
		.amdhsa_accum_offset 76
		.amdhsa_reserve_vcc 1
		.amdhsa_float_round_mode_32 0
		.amdhsa_float_round_mode_16_64 0
		.amdhsa_float_denorm_mode_32 3
		.amdhsa_float_denorm_mode_16_64 3
		.amdhsa_dx10_clamp 1
		.amdhsa_ieee_mode 1
		.amdhsa_fp16_overflow 0
		.amdhsa_tg_split 0
		.amdhsa_exception_fp_ieee_invalid_op 0
		.amdhsa_exception_fp_denorm_src 0
		.amdhsa_exception_fp_ieee_div_zero 0
		.amdhsa_exception_fp_ieee_overflow 0
		.amdhsa_exception_fp_ieee_underflow 0
		.amdhsa_exception_fp_ieee_inexact 0
		.amdhsa_exception_int_div_zero 0
	.end_amdhsa_kernel
	.section	.text._Z39paged_attention_ll4mi_QKV_mfma16_kernelI14__hip_bfloat16hLN4vllm18Fp8KVCacheDataTypeE1EhLi16ELi128ELi256ELb1ELi11EEvPKT_PKT0_S8_ifPKiSA_SA_iPKfiiiPfSD_PS3_PT2_iSC_SC_,"axG",@progbits,_Z39paged_attention_ll4mi_QKV_mfma16_kernelI14__hip_bfloat16hLN4vllm18Fp8KVCacheDataTypeE1EhLi16ELi128ELi256ELb1ELi11EEvPKT_PKT0_S8_ifPKiSA_SA_iPKfiiiPfSD_PS3_PT2_iSC_SC_,comdat
.Lfunc_end1258:
	.size	_Z39paged_attention_ll4mi_QKV_mfma16_kernelI14__hip_bfloat16hLN4vllm18Fp8KVCacheDataTypeE1EhLi16ELi128ELi256ELb1ELi11EEvPKT_PKT0_S8_ifPKiSA_SA_iPKfiiiPfSD_PS3_PT2_iSC_SC_, .Lfunc_end1258-_Z39paged_attention_ll4mi_QKV_mfma16_kernelI14__hip_bfloat16hLN4vllm18Fp8KVCacheDataTypeE1EhLi16ELi128ELi256ELb1ELi11EEvPKT_PKT0_S8_ifPKiSA_SA_iPKfiiiPfSD_PS3_PT2_iSC_SC_
                                        ; -- End function
	.section	.AMDGPU.csdata,"",@progbits
; Kernel info:
; codeLenInByte = 6616
; NumSgprs: 56
; NumVgprs: 76
; NumAgprs: 0
; TotalNumVgprs: 76
; ScratchSize: 0
; MemoryBound: 0
; FloatMode: 240
; IeeeMode: 1
; LDSByteSize: 8192 bytes/workgroup (compile time only)
; SGPRBlocks: 6
; VGPRBlocks: 9
; NumSGPRsForWavesPerEU: 56
; NumVGPRsForWavesPerEU: 76
; AccumOffset: 76
; Occupancy: 6
; WaveLimiterHint : 1
; COMPUTE_PGM_RSRC2:SCRATCH_EN: 0
; COMPUTE_PGM_RSRC2:USER_SGPR: 2
; COMPUTE_PGM_RSRC2:TRAP_HANDLER: 0
; COMPUTE_PGM_RSRC2:TGID_X_EN: 1
; COMPUTE_PGM_RSRC2:TGID_Y_EN: 1
; COMPUTE_PGM_RSRC2:TGID_Z_EN: 1
; COMPUTE_PGM_RSRC2:TIDIG_COMP_CNT: 0
; COMPUTE_PGM_RSRC3_GFX90A:ACCUM_OFFSET: 18
; COMPUTE_PGM_RSRC3_GFX90A:TG_SPLIT: 0
	.section	.text._Z39paged_attention_ll4mi_QKV_mfma16_kernelI14__hip_bfloat16hLN4vllm18Fp8KVCacheDataTypeE1EhLi16ELi128ELi256ELb1ELi12EEvPKT_PKT0_S8_ifPKiSA_SA_iPKfiiiPfSD_PS3_PT2_iSC_SC_,"axG",@progbits,_Z39paged_attention_ll4mi_QKV_mfma16_kernelI14__hip_bfloat16hLN4vllm18Fp8KVCacheDataTypeE1EhLi16ELi128ELi256ELb1ELi12EEvPKT_PKT0_S8_ifPKiSA_SA_iPKfiiiPfSD_PS3_PT2_iSC_SC_,comdat
	.protected	_Z39paged_attention_ll4mi_QKV_mfma16_kernelI14__hip_bfloat16hLN4vllm18Fp8KVCacheDataTypeE1EhLi16ELi128ELi256ELb1ELi12EEvPKT_PKT0_S8_ifPKiSA_SA_iPKfiiiPfSD_PS3_PT2_iSC_SC_ ; -- Begin function _Z39paged_attention_ll4mi_QKV_mfma16_kernelI14__hip_bfloat16hLN4vllm18Fp8KVCacheDataTypeE1EhLi16ELi128ELi256ELb1ELi12EEvPKT_PKT0_S8_ifPKiSA_SA_iPKfiiiPfSD_PS3_PT2_iSC_SC_
	.globl	_Z39paged_attention_ll4mi_QKV_mfma16_kernelI14__hip_bfloat16hLN4vllm18Fp8KVCacheDataTypeE1EhLi16ELi128ELi256ELb1ELi12EEvPKT_PKT0_S8_ifPKiSA_SA_iPKfiiiPfSD_PS3_PT2_iSC_SC_
	.p2align	8
	.type	_Z39paged_attention_ll4mi_QKV_mfma16_kernelI14__hip_bfloat16hLN4vllm18Fp8KVCacheDataTypeE1EhLi16ELi128ELi256ELb1ELi12EEvPKT_PKT0_S8_ifPKiSA_SA_iPKfiiiPfSD_PS3_PT2_iSC_SC_,@function
_Z39paged_attention_ll4mi_QKV_mfma16_kernelI14__hip_bfloat16hLN4vllm18Fp8KVCacheDataTypeE1EhLi16ELi128ELi256ELb1ELi12EEvPKT_PKT0_S8_ifPKiSA_SA_iPKfiiiPfSD_PS3_PT2_iSC_SC_: ; @_Z39paged_attention_ll4mi_QKV_mfma16_kernelI14__hip_bfloat16hLN4vllm18Fp8KVCacheDataTypeE1EhLi16ELi128ELi256ELb1ELi12EEvPKT_PKT0_S8_ifPKiSA_SA_iPKfiiiPfSD_PS3_PT2_iSC_SC_
; %bb.0:
	s_load_dwordx2 s[10:11], s[0:1], 0x30
	s_mov_b32 s6, s3
	s_mov_b64 s[8:9], 0
	s_waitcnt lgkmcnt(0)
	s_cmp_lg_u64 s[10:11], 0
	s_cselect_b64 s[12:13], -1, 0
	s_and_b64 vcc, exec, s[12:13]
	s_cbranch_vccz .LBB1259_7
; %bb.1:
	s_add_i32 s14, s2, 1
	s_mov_b32 s15, 0
	s_lshl_b64 s[16:17], s[14:15], 2
	s_add_u32 s16, s10, s16
	s_mov_b32 s3, s15
	s_addc_u32 s17, s11, s17
	s_lshl_b64 s[14:15], s[2:3], 2
	s_add_u32 s14, s10, s14
	s_addc_u32 s15, s11, s15
	s_load_dword s5, s[16:17], 0x0
	s_load_dword s7, s[14:15], 0x0
	s_waitcnt lgkmcnt(0)
	s_sub_i32 s5, s5, s7
	s_cmp_eq_u32 s5, 1
	s_cselect_b64 s[14:15], -1, 0
	s_andn2_b64 vcc, exec, s[8:9]
	s_cbranch_vccnz .LBB1259_3
.LBB1259_2:
	s_mov_b32 s3, 0
	s_mov_b64 s[14:15], -1
.LBB1259_3:
	s_andn2_b64 vcc, exec, s[14:15]
	s_cbranch_vccnz .LBB1259_19
; %bb.4:
	s_load_dwordx2 s[8:9], s[0:1], 0x28
	s_lshl_b64 s[14:15], s[2:3], 2
	s_waitcnt lgkmcnt(0)
	s_add_u32 s8, s8, s14
	s_addc_u32 s9, s9, s15
	s_load_dword s7, s[8:9], 0x0
	s_lshl_b32 s18, s6, 8
	s_waitcnt lgkmcnt(0)
	s_cmp_ge_i32 s18, s7
	s_cbranch_scc1 .LBB1259_19
; %bb.5:
	s_load_dwordx2 s[8:9], s[0:1], 0x20
	s_load_dword s5, s[0:1], 0x38
	s_add_i32 s16, s7, 15
	s_ashr_i32 s17, s16, 31
	v_and_b32_e32 v1, 0xcf, v0
	s_lshr_b32 s17, s17, 28
	v_add_u32_e32 v1, s18, v1
	s_add_i32 s16, s16, s17
	v_ashrrev_i32_e32 v2, 31, v1
	s_ashr_i32 s19, s16, 4
	v_lshrrev_b32_e32 v4, 28, v2
	s_add_i32 s19, s19, -1
	s_waitcnt lgkmcnt(0)
	s_mul_i32 s16, s2, s5
	s_mov_b32 s17, 0
	v_add_u32_e32 v2, v1, v4
	s_lshl_b64 s[16:17], s[16:17], 2
	v_ashrrev_i32_e32 v2, 4, v2
	v_mov_b32_e32 v5, s19
	v_cmp_gt_i32_e32 vcc, s7, v1
	s_add_u32 s8, s8, s16
	s_addc_u32 s9, s9, s17
	v_cndmask_b32_e32 v2, v5, v2, vcc
	v_ashrrev_i32_e32 v3, 31, v2
	v_lshl_add_u64 v[6:7], v[2:3], 2, s[8:9]
	v_or_b32_e32 v2, 16, v1
	v_add_u32_e32 v3, v2, v4
	v_ashrrev_i32_e32 v3, 4, v3
	v_cmp_gt_i32_e32 vcc, s7, v2
	s_load_dwordx2 s[16:17], s[0:1], 0x8
	s_nop 0
	v_cndmask_b32_e32 v2, v5, v3, vcc
	v_ashrrev_i32_e32 v3, 31, v2
	v_lshl_add_u64 v[8:9], v[2:3], 2, s[8:9]
	v_or_b32_e32 v2, 32, v1
	v_add_u32_e32 v3, v2, v4
	v_ashrrev_i32_e32 v3, 4, v3
	v_cmp_gt_i32_e32 vcc, s7, v2
	v_or_b32_e32 v1, 48, v1
	s_nop 0
	v_cndmask_b32_e32 v2, v5, v3, vcc
	v_ashrrev_i32_e32 v3, 31, v2
	v_lshl_add_u64 v[12:13], v[2:3], 2, s[8:9]
	v_add_u32_e32 v2, v1, v4
	v_ashrrev_i32_e32 v2, 4, v2
	v_cmp_gt_i32_e32 vcc, s7, v1
	s_nop 1
	v_cndmask_b32_e32 v2, v5, v2, vcc
	v_ashrrev_i32_e32 v3, 31, v2
	v_lshl_add_u64 v[14:15], v[2:3], 2, s[8:9]
	global_load_dword v4, v[6:7], off
	global_load_dword v3, v[8:9], off
	;; [unrolled: 1-line block ×4, first 2 shown]
	s_andn2_b64 vcc, exec, s[12:13]
	s_cbranch_vccnz .LBB1259_8
; %bb.6:
	s_add_u32 s10, s10, s14
	s_addc_u32 s11, s11, s15
	s_load_dword s5, s[10:11], 0x0
	s_branch .LBB1259_9
.LBB1259_7:
	s_mov_b64 s[14:15], 0
	s_branch .LBB1259_2
.LBB1259_8:
	s_mov_b32 s5, s2
.LBB1259_9:
	s_load_dwordx2 s[10:11], s[0:1], 0x10
	s_load_dwordx4 s[44:47], s[0:1], 0x48
	v_and_b32_e32 v56, 15, v0
	v_lshlrev_b32_e32 v5, 3, v56
	s_movk_i32 s12, 0xc0
	v_lshrrev_b32_e32 v57, 6, v0
	v_bfe_u32 v1, v0, 4, 2
	s_mul_i32 s48, s4, 12
	v_cmp_gt_u32_e32 vcc, s12, v0
	v_lshlrev_b32_e32 v54, 1, v5
	v_lshlrev_b32_e32 v60, 4, v0
	s_and_saveexec_b64 s[12:13], vcc
	s_cbranch_execz .LBB1259_11
; %bb.10:
	s_load_dwordx2 s[14:15], s[0:1], 0x0
	s_waitcnt lgkmcnt(0)
	s_ashr_i32 s20, s44, 31
	s_mul_hi_u32 s21, s5, s44
	s_mul_i32 s20, s5, s20
	s_add_i32 s21, s21, s20
	s_mul_i32 s20, s5, s44
	v_lshl_or_b32 v5, v57, 2, v1
	s_lshl_b64 s[20:21], s[20:21], 1
	s_add_u32 s14, s14, s20
	v_add_lshl_u32 v6, v5, s48, 7
	s_addc_u32 s15, s15, s21
	v_ashrrev_i32_e32 v7, 31, v6
	v_lshl_add_u64 v[6:7], v[6:7], 1, s[14:15]
	v_mov_b32_e32 v55, 0
	v_lshl_add_u64 v[6:7], v[6:7], 0, v[54:55]
	global_load_dwordx4 v[6:9], v[6:7], off
	v_lshlrev_b32_e32 v12, 8, v0
	v_lshlrev_b32_e32 v11, 8, v56
	v_and_b32_e32 v12, 0x600, v12
	s_movk_i32 s5, 0x800
	v_and_or_b32 v11, v11, s5, v12
	v_lshlrev_b32_e32 v5, 5, v5
	v_and_b32_e32 v12, 16, v60
	v_or3_b32 v5, v11, v5, v12
	s_waitcnt vmcnt(0)
	ds_write_b128 v5, v[6:9]
.LBB1259_11:
	s_or_b64 exec, exec, s[12:13]
	s_waitcnt lgkmcnt(0)
	s_mul_i32 s12, s4, s46
	s_add_u32 s4, s16, s12
	s_addc_u32 s5, s17, 0
	v_and_b32_e32 v58, 0xf0, v60
	v_mov_b32_e32 v59, 0
	v_and_b32_e32 v34, 48, v0
	v_lshl_add_u64 v[12:13], s[4:5], 0, v[58:59]
	v_lshlrev_b32_e32 v58, 4, v34
	s_waitcnt vmcnt(3)
	v_mad_i64_i32 v[4:5], s[4:5], v4, s45, v[12:13]
	v_lshl_add_u64 v[4:5], v[4:5], 0, v[58:59]
	s_barrier
	global_load_dwordx4 v[50:53], v[4:5], off
	global_load_dwordx4 v[46:49], v[4:5], off offset:1024
	s_waitcnt vmcnt(4)
	v_mad_i64_i32 v[4:5], s[4:5], v3, s45, v[12:13]
	s_waitcnt vmcnt(3)
	v_mad_i64_i32 v[2:3], s[4:5], v2, s45, v[12:13]
	v_lshl_add_u64 v[4:5], v[4:5], 0, v[58:59]
	v_lshl_add_u64 v[14:15], v[2:3], 0, v[58:59]
	s_waitcnt vmcnt(2)
	v_mad_i64_i32 v[10:11], s[4:5], v10, s45, v[12:13]
	global_load_dwordx4 v[36:39], v[4:5], off
	global_load_dwordx4 v[6:9], v[4:5], off offset:1024
	s_nop 0
	global_load_dwordx4 v[2:5], v[14:15], off
	global_load_dwordx4 v[42:45], v[14:15], off offset:1024
	v_lshl_add_u64 v[14:15], v[10:11], 0, v[58:59]
	global_load_dwordx4 v[26:29], v[14:15], off
	global_load_dwordx4 v[10:13], v[14:15], off offset:1024
	v_add_u32_e32 v14, -12, v56
	v_cmp_gt_u32_e32 vcc, 12, v56
	v_and_b32_e32 v55, 63, v0
	v_mov_b32_e32 v61, 0
	v_cndmask_b32_e32 v14, v14, v56, vcc
	v_lshlrev_b32_e32 v14, 5, v14
	v_lshl_add_u32 v14, v1, 9, v14
	ds_read_b128 v[30:33], v14
	ds_read_b128 v[22:25], v14 offset:16
	ds_read_b128 v[18:21], v14 offset:2048
	;; [unrolled: 1-line block ×3, first 2 shown]
	s_and_saveexec_b64 s[4:5], vcc
	s_cbranch_execz .LBB1259_13
; %bb.12:
	s_load_dwordx2 s[14:15], s[0:1], 0x40
	v_add_u32_e32 v40, s48, v56
	v_ashrrev_i32_e32 v41, 31, v40
	s_waitcnt lgkmcnt(0)
	v_lshl_add_u64 v[40:41], v[40:41], 2, s[14:15]
	global_load_dword v61, v[40:41], off
.LBB1259_13:
	s_or_b64 exec, exec, s[4:5]
	v_or_b32_e32 v58, s18, v34
	v_ashrrev_i32_e32 v34, 4, v58
	v_mov_b32_e32 v63, s19
	v_cmp_gt_i32_e32 vcc, s7, v58
	s_waitcnt vmcnt(7)
	v_cvt_pk_f32_fp8_e32 v[40:41], v50
	v_cvt_pk_f32_fp8_sdwa v[64:65], v50 src0_sel:WORD_1
	v_cndmask_b32_e32 v34, v63, v34, vcc
	v_ashrrev_i32_e32 v35, 31, v34
	v_lshl_add_u64 v[34:35], v[34:35], 2, s[8:9]
	global_load_dword v62, v[34:35], off
	v_or_b32_e32 v34, 64, v58
	v_ashrrev_i32_e32 v35, 4, v34
	v_cmp_gt_i32_e32 vcc, s7, v34
	v_or_b32_e32 v66, 0x80, v58
	v_ashrrev_i32_e32 v67, 4, v66
	v_cndmask_b32_e32 v34, v63, v35, vcc
	v_cmp_gt_i32_e32 vcc, s7, v66
	s_mov_b32 s33, 0x7060302
	v_perm_b32 v40, v41, v40, s33
	v_cndmask_b32_e32 v50, v63, v67, vcc
	v_perm_b32 v41, v65, v64, s33
	v_cvt_pk_f32_fp8_e32 v[64:65], v51
	v_cvt_pk_f32_fp8_sdwa v[66:67], v51 src0_sel:WORD_1
	v_ashrrev_i32_e32 v51, 31, v50
	v_lshl_add_u64 v[68:69], v[50:51], 2, s[8:9]
	v_perm_b32 v50, v65, v64, s33
	v_perm_b32 v51, v67, v66, s33
	s_waitcnt lgkmcnt(3)
	v_mfma_f32_16x16x16_bf16 v[64:67], v[40:41], v[30:31], 0
	v_cvt_pk_f32_fp8_e32 v[40:41], v52
	v_cvt_pk_f32_fp8_sdwa v[70:71], v52 src0_sel:WORD_1
	s_waitcnt vmcnt(7)
	v_cvt_pk_f32_fp8_e32 v[72:73], v46
	v_mfma_f32_16x16x16_bf16 v[64:67], v[50:51], v[32:33], v[64:67]
	v_cvt_pk_f32_fp8_e32 v[50:51], v53
	v_perm_b32 v40, v41, v40, s33
	v_perm_b32 v41, v71, v70, s33
	v_cvt_pk_f32_fp8_sdwa v[52:53], v53 src0_sel:WORD_1
	v_perm_b32 v70, v51, v50, s33
	v_cvt_pk_f32_fp8_sdwa v[74:75], v46 src0_sel:WORD_1
	v_ashrrev_i32_e32 v35, 31, v34
	v_perm_b32 v71, v53, v52, s33
	s_waitcnt lgkmcnt(2)
	v_mfma_f32_16x16x16_bf16 v[50:53], v[40:41], v[22:23], v[64:67]
	v_perm_b32 v40, v73, v72, s33
	v_perm_b32 v41, v75, v74, s33
	v_or_b32_e32 v58, 0xc0, v58
	v_cvt_pk_f32_fp8_e32 v[64:65], v47
	v_cvt_pk_f32_fp8_sdwa v[46:47], v47 src0_sel:WORD_1
	v_mfma_f32_16x16x16_bf16 v[50:53], v[70:71], v[24:25], v[50:53]
	v_lshl_add_u64 v[34:35], v[34:35], 2, s[8:9]
	v_perm_b32 v64, v65, v64, s33
	v_perm_b32 v65, v47, v46, s33
	s_waitcnt lgkmcnt(1)
	v_mfma_f32_16x16x16_bf16 v[50:53], v[40:41], v[18:19], v[50:53]
	v_ashrrev_i32_e32 v66, 4, v58
	v_cmp_gt_i32_e32 vcc, s7, v58
	v_cvt_pk_f32_fp8_e32 v[46:47], v48
	s_waitcnt vmcnt(6)
	v_cvt_pk_f32_fp8_sdwa v[70:71], v36 src0_sel:WORD_1
	v_cndmask_b32_e32 v40, v63, v66, vcc
	v_mfma_f32_16x16x16_bf16 v[64:67], v[64:65], v[20:21], v[50:53]
	v_ashrrev_i32_e32 v41, 31, v40
	v_lshl_add_u64 v[40:41], v[40:41], 2, s[8:9]
	v_perm_b32 v46, v47, v46, s33
	global_load_dword v53, v[34:35], off
	global_load_dword v63, v[40:41], off
	v_cvt_pk_f32_fp8_sdwa v[50:51], v48 src0_sel:WORD_1
	v_cvt_pk_f32_fp8_e32 v[34:35], v49
	v_cvt_pk_f32_fp8_sdwa v[48:49], v49 src0_sel:WORD_1
	s_add_u32 s46, s10, s12
	v_perm_b32 v47, v51, v50, s33
	v_perm_b32 v34, v35, v34, s33
	;; [unrolled: 1-line block ×3, first 2 shown]
	s_waitcnt lgkmcnt(0)
	v_mfma_f32_16x16x16_bf16 v[46:49], v[46:47], v[14:15], v[64:67]
	v_cvt_pk_f32_fp8_e32 v[50:51], v36
	s_nop 1
	global_load_dword v64, v[68:69], off
	v_cvt_pk_f32_fp8_e32 v[66:67], v37
	s_waitcnt vmcnt(8)
	v_cvt_pk_f32_fp8_e32 v[68:69], v6
	v_perm_b32 v50, v51, v50, s33
	v_perm_b32 v51, v71, v70, s33
	v_cvt_pk_f32_fp8_sdwa v[70:71], v37 src0_sel:WORD_1
	v_perm_b32 v40, v67, v66, s33
	v_mfma_f32_16x16x16_bf16 v[34:37], v[34:35], v[16:17], v[46:49]
	v_cvt_pk_f32_fp8_sdwa v[66:67], v38 src0_sel:WORD_1
	v_perm_b32 v41, v71, v70, s33
	v_cvt_pk_f32_fp8_sdwa v[70:71], v6 src0_sel:WORD_1
	v_mfma_f32_16x16x16_bf16 v[46:49], v[50:51], v[30:31], 0
	v_cvt_pk_f32_fp8_e32 v[50:51], v38
	v_lshl_or_b32 v52, v57, 4, v56
	s_waitcnt vmcnt(6)
	v_cvt_pk_f32_fp8_e32 v[72:73], v43
	v_mfma_f32_16x16x16_bf16 v[46:49], v[40:41], v[32:33], v[46:49]
	v_cvt_pk_f32_fp8_e32 v[40:41], v39
	v_perm_b32 v50, v51, v50, s33
	v_perm_b32 v51, v67, v66, s33
	v_cvt_pk_f32_fp8_sdwa v[38:39], v39 src0_sel:WORD_1
	v_perm_b32 v66, v41, v40, s33
	s_addc_u32 s47, s11, 0
	v_lshlrev_b32_e32 v58, 4, v52
	v_perm_b32 v67, v39, v38, s33
	v_mfma_f32_16x16x16_bf16 v[38:41], v[50:51], v[22:23], v[46:49]
	v_cvt_pk_f32_fp8_sdwa v[50:51], v2 src0_sel:WORD_1
	s_nop 1
	v_perm_b32 v46, v69, v68, s33
	v_perm_b32 v47, v71, v70, s33
	v_cvt_pk_f32_fp8_e32 v[48:49], v7
	v_cvt_pk_f32_fp8_sdwa v[6:7], v7 src0_sel:WORD_1
	v_mfma_f32_16x16x16_bf16 v[38:41], v[66:67], v[24:25], v[38:41]
	v_lshl_add_u64 v[70:71], s[46:47], 0, v[58:59]
	v_perm_b32 v48, v49, v48, s33
	v_perm_b32 v49, v7, v6, s33
	v_mfma_f32_16x16x16_bf16 v[38:41], v[46:47], v[18:19], v[38:41]
	v_cvt_pk_f32_fp8_e32 v[6:7], v8
	v_cvt_pk_f32_fp8_sdwa v[46:47], v8 src0_sel:WORD_1
	v_or_b32_e32 v58, 0x400, v58
	v_mfma_f32_16x16x16_bf16 v[38:41], v[48:49], v[20:21], v[38:41]
	v_cvt_pk_f32_fp8_e32 v[48:49], v9
	v_perm_b32 v6, v7, v6, s33
	v_perm_b32 v7, v47, v46, s33
	v_cvt_pk_f32_fp8_sdwa v[8:9], v9 src0_sel:WORD_1
	v_perm_b32 v46, v49, v48, s33
	v_cvt_pk_f32_fp8_e32 v[48:49], v2
	v_perm_b32 v47, v9, v8, s33
	v_mfma_f32_16x16x16_bf16 v[6:9], v[6:7], v[14:15], v[38:41]
	v_perm_b32 v48, v49, v48, s33
	v_perm_b32 v49, v51, v50, s33
	v_cvt_pk_f32_fp8_e32 v[50:51], v3
	v_cvt_pk_f32_fp8_sdwa v[2:3], v3 src0_sel:WORD_1
	v_mfma_f32_16x16x16_bf16 v[38:41], v[46:47], v[16:17], v[6:9]
	v_perm_b32 v46, v51, v50, s33
	v_perm_b32 v47, v3, v2, s33
	v_mfma_f32_16x16x16_bf16 v[6:9], v[48:49], v[30:31], 0
	v_cvt_pk_f32_fp8_e32 v[2:3], v4
	v_cvt_pk_f32_fp8_sdwa v[48:49], v4 src0_sel:WORD_1
	s_waitcnt vmcnt(3)
	v_mad_i64_i32 v[50:51], s[4:5], v62, s45, v[70:71]
	v_perm_b32 v2, v3, v2, s33
	v_perm_b32 v3, v49, v48, s33
	v_mfma_f32_16x16x16_bf16 v[6:9], v[46:47], v[32:33], v[6:9]
	v_cvt_pk_f32_fp8_e32 v[46:47], v5
	v_cvt_pk_f32_fp8_sdwa v[4:5], v5 src0_sel:WORD_1
	s_waitcnt vmcnt(2)
	v_mad_i64_i32 v[66:67], s[4:5], v53, s45, v[70:71]
	v_perm_b32 v46, v47, v46, s33
	v_perm_b32 v47, v5, v4, s33
	v_mfma_f32_16x16x16_bf16 v[2:5], v[2:3], v[22:23], v[6:9]
	s_nop 2
	v_cvt_pk_f32_fp8_e32 v[6:7], v42
	v_cvt_pk_f32_fp8_sdwa v[8:9], v42 src0_sel:WORD_1
	v_cvt_pk_f32_fp8_sdwa v[42:43], v43 src0_sel:WORD_1
	v_mfma_f32_16x16x16_bf16 v[46:49], v[46:47], v[24:25], v[2:5]
	v_perm_b32 v68, v7, v6, s33
	v_perm_b32 v69, v9, v8, s33
	global_load_dwordx4 v[6:9], v[50:51], off
	global_load_dwordx4 v[2:5], v[66:67], off
	v_perm_b32 v66, v73, v72, s33
	v_perm_b32 v67, v43, v42, s33
	v_mfma_f32_16x16x16_bf16 v[48:51], v[68:69], v[18:19], v[46:49]
	v_cvt_pk_f32_fp8_e32 v[42:43], v44
	v_cvt_pk_f32_fp8_sdwa v[72:73], v44 src0_sel:WORD_1
	s_waitcnt vmcnt(2)
	v_mad_i64_i32 v[46:47], s[4:5], v64, s45, v[70:71]
	v_mfma_f32_16x16x16_bf16 v[66:69], v[66:67], v[20:21], v[48:51]
	v_perm_b32 v42, v43, v42, s33
	v_perm_b32 v43, v73, v72, s33
	v_cvt_pk_f32_fp8_sdwa v[72:73], v26 src0_sel:WORD_1
	v_cvt_pk_f32_fp8_e32 v[50:51], v45
	v_cvt_pk_f32_fp8_sdwa v[44:45], v45 src0_sel:WORD_1
	v_mad_i64_i32 v[48:49], s[4:5], v63, s45, v[70:71]
	v_perm_b32 v50, v51, v50, s33
	v_perm_b32 v51, v45, v44, s33
	v_mfma_f32_16x16x16_bf16 v[42:45], v[42:43], v[14:15], v[66:69]
	v_cvt_pk_f32_fp8_e32 v[70:71], v26
	s_load_dword s4, s[0:1], 0x1c
	s_load_dwordx4 s[40:43], s[0:1], 0x80
	s_load_dword s44, s[0:1], 0x98
	s_waitcnt lgkmcnt(0)
	s_load_dword s5, s[40:41], 0x0
	v_mfma_f32_16x16x16_bf16 v[66:69], v[50:51], v[16:17], v[42:45]
	s_mov_b32 s40, 0xff7fffff
	s_nop 1
	v_cvt_pk_f32_fp8_e32 v[42:43], v27
	v_perm_b32 v44, v71, v70, s33
	v_perm_b32 v45, v73, v72, s33
	v_cvt_pk_f32_fp8_sdwa v[26:27], v27 src0_sel:WORD_1
	v_perm_b32 v50, v43, v42, s33
	v_cvt_pk_f32_fp8_e32 v[70:71], v28
	v_cvt_pk_f32_fp8_sdwa v[72:73], v28 src0_sel:WORD_1
	v_perm_b32 v51, v27, v26, s33
	v_mfma_f32_16x16x16_bf16 v[42:45], v[44:45], v[30:31], 0
	v_perm_b32 v30, v71, v70, s33
	v_perm_b32 v31, v73, v72, s33
	v_cvt_pk_f32_fp8_e32 v[70:71], v29
	v_cvt_pk_f32_fp8_sdwa v[72:73], v29 src0_sel:WORD_1
	v_mfma_f32_16x16x16_bf16 v[26:29], v[50:51], v[32:33], v[42:45]
	v_mov_b32_e32 v32, s4
	s_waitcnt lgkmcnt(0)
	v_mul_f32_e32 v50, s5, v32
	v_pk_mul_f32 v[32:33], v[50:51], v[34:35] op_sel_hi:[0,1]
	v_perm_b32 v42, v71, v70, s33
	v_perm_b32 v43, v73, v72, s33
	v_mfma_f32_16x16x16_bf16 v[26:29], v[30:31], v[22:23], v[26:29]
	v_pk_mul_f32 v[30:31], v[50:51], v[36:37] op_sel_hi:[0,1]
	v_cvt_pk_f32_fp8_e32 v[22:23], v10
	v_cvt_pk_f32_fp8_sdwa v[70:71], v12 src0_sel:WORD_1
	v_mfma_f32_16x16x16_bf16 v[34:37], v[42:43], v[24:25], v[26:29]
	v_cvt_pk_f32_fp8_sdwa v[24:25], v10 src0_sel:WORD_1
	v_perm_b32 v42, v23, v22, s33
	v_pk_mul_f32 v[40:41], v[50:51], v[40:41] op_sel_hi:[0,1]
	v_cvt_pk_f32_fp8_e32 v[26:27], v11
	v_cvt_pk_f32_fp8_sdwa v[10:11], v11 src0_sel:WORD_1
	v_perm_b32 v43, v25, v24, s33
	v_perm_b32 v44, v27, v26, s33
	v_perm_b32 v45, v11, v10, s33
	v_cvt_pk_f32_fp8_e32 v[10:11], v12
	v_mfma_f32_16x16x16_bf16 v[34:37], v[42:43], v[18:19], v[34:37]
	global_load_dwordx4 v[26:29], v[46:47], off
	global_load_dwordx4 v[22:25], v[48:49], off
	v_perm_b32 v19, v71, v70, s33
	v_perm_b32 v18, v11, v10, s33
	v_cvt_pk_f32_fp8_e32 v[42:43], v13
	v_cvt_pk_f32_fp8_sdwa v[46:47], v13 src0_sel:WORD_1
	v_mfma_f32_16x16x16_bf16 v[10:13], v[44:45], v[20:21], v[34:37]
	v_pk_mul_f32 v[44:45], v[50:51], v[38:39] op_sel_hi:[0,1]
	v_perm_b32 v20, v43, v42, s33
	v_perm_b32 v21, v47, v46, s33
	v_mfma_f32_16x16x16_bf16 v[10:13], v[18:19], v[14:15], v[10:13]
	v_pk_mul_f32 v[38:39], v[50:51], v[68:69] op_sel_hi:[0,1]
	v_pk_mul_f32 v[42:43], v[50:51], v[66:67] op_sel_hi:[0,1]
	v_mfma_f32_16x16x16_bf16 v[10:13], v[20:21], v[16:17], v[10:13]
	s_nop 6
	v_pk_mul_f32 v[36:37], v[50:51], v[10:11] op_sel_hi:[0,1]
	v_and_b32_e32 v10, 0xc0, v0
	v_add_u32_e32 v10, s18, v10
	v_lshl_or_b32 v10, v1, 2, v10
	v_or_b32_e32 v11, 1, v10
	v_pk_mul_f32 v[34:35], v[50:51], v[12:13] op_sel_hi:[0,1]
	v_subrev_u32_e32 v12, s7, v11
	v_add_u32_e32 v14, 1, v12
	v_add_u32_e32 v15, 2, v12
	v_cvt_f32_i32_e32 v13, v12
	v_cvt_f32_i32_e32 v14, v14
	;; [unrolled: 1-line block ×3, first 2 shown]
	v_add_u32_e32 v16, 3, v12
	v_fma_f32 v18, v61, v13, v32
	v_fmac_f32_e32 v33, v61, v14
	v_fma_f32 v48, v61, v15, v30
	v_add_u32_e32 v13, 16, v12
	v_add_u32_e32 v14, 17, v12
	;; [unrolled: 1-line block ×3, first 2 shown]
	v_cvt_f32_i32_e32 v16, v16
	v_cvt_f32_i32_e32 v13, v13
	;; [unrolled: 1-line block ×4, first 2 shown]
	v_fmac_f32_e32 v31, v61, v16
	v_add_u32_e32 v16, 19, v12
	v_fma_f32 v44, v61, v13, v44
	v_fmac_f32_e32 v45, v61, v14
	v_fma_f32 v40, v61, v15, v40
	v_add_u32_e32 v13, 32, v12
	v_add_u32_e32 v14, 33, v12
	;; [unrolled: 1-line block ×3, first 2 shown]
	v_cvt_f32_i32_e32 v16, v16
	v_cvt_f32_i32_e32 v13, v13
	v_cvt_f32_i32_e32 v14, v14
	v_cvt_f32_i32_e32 v15, v15
	v_fmac_f32_e32 v41, v61, v16
	v_add_u32_e32 v16, 35, v12
	v_fma_f32 v42, v61, v13, v42
	v_fmac_f32_e32 v43, v61, v14
	v_fma_f32 v38, v61, v15, v38
	v_add_u32_e32 v13, 48, v12
	v_add_u32_e32 v14, 49, v12
	;; [unrolled: 1-line block ×4, first 2 shown]
	v_cvt_f32_i32_e32 v12, v12
	v_cvt_f32_i32_e32 v13, v13
	;; [unrolled: 1-line block ×3, first 2 shown]
	v_cmp_gt_i32_e64 s[8:9], s7, v10
	v_fmac_f32_e32 v35, v61, v12
	v_mov_b32_e32 v12, 0xff7fffff
	v_cmp_gt_i32_e64 s[10:11], s7, v11
	v_fma_f32 v36, v61, v13, v36
	v_cndmask_b32_e64 v13, v12, v18, s[8:9]
	v_cndmask_b32_e64 v11, v12, v33, s[10:11]
	v_fmac_f32_e32 v37, v61, v14
	v_max3_f32 v11, v13, s40, v11
	v_or_b32_e32 v13, 2, v10
	v_or_b32_e32 v14, 3, v10
	v_cmp_gt_i32_e64 s[12:13], s7, v13
	v_cmp_gt_i32_e64 s[14:15], s7, v14
	v_cvt_f32_i32_e32 v16, v16
	v_cndmask_b32_e64 v13, v12, v48, s[12:13]
	v_cndmask_b32_e64 v14, v12, v31, s[14:15]
	v_max3_f32 v11, v11, v13, v14
	v_or_b32_e32 v13, 16, v10
	v_or_b32_e32 v14, 17, v10
	v_cmp_gt_i32_e64 s[16:17], s7, v13
	v_cmp_gt_i32_e64 s[18:19], s7, v14
	v_fmac_f32_e32 v39, v61, v16
	v_cndmask_b32_e64 v13, v12, v44, s[16:17]
	v_cndmask_b32_e64 v14, v12, v45, s[18:19]
	v_max3_f32 v11, v11, v13, v14
	v_or_b32_e32 v13, 18, v10
	v_or_b32_e32 v14, 19, v10
	v_cmp_gt_i32_e64 s[20:21], s7, v13
	v_cmp_gt_i32_e64 s[22:23], s7, v14
	v_cvt_f32_i32_e32 v15, v15
	v_cndmask_b32_e64 v13, v12, v40, s[20:21]
	v_cndmask_b32_e64 v14, v12, v41, s[22:23]
	v_max3_f32 v11, v11, v13, v14
	v_or_b32_e32 v13, 32, v10
	v_or_b32_e32 v14, 33, v10
	v_cmp_gt_i32_e64 s[24:25], s7, v13
	v_cmp_gt_i32_e64 s[26:27], s7, v14
	v_fma_f32 v34, v61, v15, v34
	v_cndmask_b32_e64 v13, v12, v42, s[24:25]
	v_cndmask_b32_e64 v14, v12, v43, s[26:27]
	v_max3_f32 v11, v11, v13, v14
	v_or_b32_e32 v13, 34, v10
	v_or_b32_e32 v14, 35, v10
	v_cmp_gt_i32_e64 s[28:29], s7, v13
	v_cmp_gt_i32_e64 s[30:31], s7, v14
	s_nop 0
	v_cndmask_b32_e64 v13, v12, v38, s[28:29]
	v_cndmask_b32_e64 v14, v12, v39, s[30:31]
	v_max3_f32 v11, v11, v13, v14
	v_or_b32_e32 v13, 48, v10
	v_or_b32_e32 v14, 49, v10
	v_cmp_gt_i32_e64 s[34:35], s7, v13
	v_cmp_gt_i32_e64 s[36:37], s7, v14
	s_nop 0
	v_cndmask_b32_e64 v13, v12, v36, s[34:35]
	v_cndmask_b32_e64 v14, v12, v37, s[36:37]
	v_max3_f32 v11, v11, v13, v14
	v_or_b32_e32 v13, 50, v10
	v_or_b32_e32 v10, 51, v10
	v_cmp_gt_i32_e32 vcc, s7, v13
	v_cmp_gt_i32_e64 s[4:5], s7, v10
	s_nop 0
	v_cndmask_b32_e32 v13, v12, v34, vcc
	v_cndmask_b32_e64 v10, v12, v35, s[4:5]
	v_max3_f32 v14, v11, v13, v10
	v_mbcnt_lo_u32_b32 v10, -1, 0
	v_mbcnt_hi_u32_b32 v15, -1, v10
	v_and_b32_e32 v10, 64, v15
	v_add_u32_e32 v16, 64, v10
	v_xor_b32_e32 v10, 32, v15
	v_cmp_lt_i32_e64 s[38:39], v10, v16
	s_nop 1
	v_cndmask_b32_e64 v10, v15, v10, s[38:39]
	v_lshlrev_b32_e32 v51, 2, v10
	ds_bpermute_b32 v17, v51, v14
	v_lshl_add_u64 v[10:11], s[46:47], 0, v[58:59]
	v_mad_i64_i32 v[12:13], s[38:39], v62, s45, v[10:11]
	s_waitcnt lgkmcnt(0)
	v_max_f32_e32 v17, v17, v17
	v_max_f32_e32 v19, v14, v17
	v_xor_b32_e32 v14, 16, v15
	v_cmp_lt_i32_e64 s[38:39], v14, v16
	s_nop 1
	v_cndmask_b32_e64 v14, v15, v14, s[38:39]
	v_lshlrev_b32_e32 v58, 2, v14
	ds_bpermute_b32 v20, v58, v19
	v_mad_i64_i32 v[14:15], s[38:39], v53, s45, v[10:11]
	v_mad_i64_i32 v[16:17], s[38:39], v64, s45, v[10:11]
	s_waitcnt lgkmcnt(0)
	v_max_f32_e32 v20, v20, v20
	v_max_f32_e32 v50, v19, v20
	v_sub_f32_e32 v18, v18, v50
	v_sub_f32_e32 v19, v33, v50
	v_mul_f32_e32 v18, 0x3fb8aa3b, v18
	v_mul_f32_e32 v19, 0x3fb8aa3b, v19
	v_exp_f32_e32 v18, v18
	v_exp_f32_e32 v19, v19
	v_sub_f32_e32 v49, v31, v50
	v_mad_i64_i32 v[10:11], s[38:39], v63, s45, v[10:11]
	v_cndmask_b32_e64 v46, 0, v18, s[8:9]
	v_cndmask_b32_e64 v47, 0, v19, s[10:11]
	global_load_dwordx4 v[30:33], v[12:13], off
	global_load_dwordx4 v[18:21], v[14:15], off
	v_sub_f32_e32 v12, v48, v50
	v_mul_f32_e32 v12, 0x3fb8aa3b, v12
	v_exp_f32_e32 v48, v12
	global_load_dwordx4 v[14:17], v[16:17], off
	s_nop 0
	global_load_dwordx4 v[10:13], v[10:11], off
	v_sub_f32_e32 v40, v40, v50
	v_sub_f32_e32 v42, v42, v50
	v_mul_f32_e32 v40, 0x3fb8aa3b, v40
	v_mul_f32_e32 v42, 0x3fb8aa3b, v42
	v_exp_f32_e32 v40, v40
	v_exp_f32_e32 v53, v42
	v_mul_f32_e32 v49, 0x3fb8aa3b, v49
	v_sub_f32_e32 v44, v44, v50
	v_exp_f32_e32 v49, v49
	v_mul_f32_e32 v44, 0x3fb8aa3b, v44
	v_sub_f32_e32 v45, v45, v50
	v_sub_f32_e32 v42, v43, v50
	v_exp_f32_e32 v44, v44
	v_mul_f32_e32 v45, 0x3fb8aa3b, v45
	v_mul_f32_e32 v42, 0x3fb8aa3b, v42
	v_exp_f32_e32 v45, v45
	v_sub_f32_e32 v41, v41, v50
	v_exp_f32_e32 v59, v42
	v_cndmask_b32_e64 v42, 0, v40, s[20:21]
	v_cndmask_b32_e64 v40, 0, v53, s[24:25]
	v_add_f32_e32 v53, 0, v46
	v_cndmask_b32_e64 v48, 0, v48, s[12:13]
	v_mul_f32_e32 v41, 0x3fb8aa3b, v41
	v_add_f32_e32 v53, v53, v47
	v_cndmask_b32_e64 v49, 0, v49, s[14:15]
	v_exp_f32_e32 v41, v41
	v_add_f32_e32 v53, v53, v48
	v_cndmask_b32_e64 v44, 0, v44, s[16:17]
	v_sub_f32_e32 v38, v38, v50
	v_add_f32_e32 v53, v53, v49
	v_cndmask_b32_e64 v45, 0, v45, s[18:19]
	v_sub_f32_e32 v39, v39, v50
	v_mul_f32_e32 v38, 0x3fb8aa3b, v38
	v_add_f32_e32 v53, v53, v44
	v_exp_f32_e32 v38, v38
	v_mul_f32_e32 v39, 0x3fb8aa3b, v39
	v_sub_f32_e32 v36, v36, v50
	v_add_f32_e32 v53, v53, v45
	v_cndmask_b32_e64 v43, 0, v41, s[22:23]
	v_exp_f32_e32 v39, v39
	v_mul_f32_e32 v36, 0x3fb8aa3b, v36
	v_sub_f32_e32 v37, v37, v50
	v_add_f32_e32 v53, v53, v42
	v_exp_f32_e32 v36, v36
	v_mul_f32_e32 v37, 0x3fb8aa3b, v37
	v_add_f32_e32 v53, v53, v43
	v_sub_f32_e32 v34, v34, v50
	v_cndmask_b32_e64 v41, 0, v59, s[26:27]
	v_exp_f32_e32 v37, v37
	v_add_f32_e32 v53, v53, v40
	v_mul_f32_e32 v34, 0x3fb8aa3b, v34
	v_sub_f32_e32 v35, v35, v50
	v_cndmask_b32_e64 v38, 0, v38, s[28:29]
	v_add_f32_e32 v53, v53, v41
	v_exp_f32_e32 v34, v34
	v_mul_f32_e32 v35, 0x3fb8aa3b, v35
	v_cndmask_b32_e64 v39, 0, v39, s[30:31]
	v_add_f32_e32 v53, v53, v38
	v_exp_f32_e32 v35, v35
	v_cndmask_b32_e64 v36, 0, v36, s[34:35]
	v_add_f32_e32 v53, v53, v39
	v_cndmask_b32_e64 v37, 0, v37, s[36:37]
	v_add_f32_e32 v53, v53, v36
	v_add_f32_e32 v53, v53, v37
	v_cndmask_b32_e32 v34, 0, v34, vcc
	v_add_f32_e32 v53, v53, v34
	v_cndmask_b32_e64 v35, 0, v35, s[4:5]
	v_add_f32_e32 v53, v53, v35
	ds_bpermute_b32 v51, v51, v53
	v_cmp_gt_u32_e32 vcc, 16, v55
	s_waitcnt lgkmcnt(0)
	s_barrier
	v_add_f32_e32 v51, v53, v51
	ds_bpermute_b32 v53, v58, v51
	s_and_saveexec_b64 s[4:5], vcc
	s_cbranch_execz .LBB1259_15
; %bb.14:
	s_waitcnt lgkmcnt(0)
	v_add_f32_e32 v51, v51, v53
	v_lshlrev_b32_e32 v52, 2, v52
	ds_write2st64_b32 v52, v50, v51 offset1:1
.LBB1259_15:
	s_or_b64 exec, exec, s[4:5]
	v_lshlrev_b32_e32 v51, 2, v56
	s_load_dword s7, s[0:1], 0x94
	s_waitcnt lgkmcnt(0)
	s_barrier
	ds_read2_b32 v[52:53], v51 offset1:16
	ds_read2_b32 v[58:59], v51 offset0:32 offset1:48
	ds_read2_b32 v[62:63], v51 offset0:64 offset1:80
	s_movk_i32 s9, 0x7fff
	s_mul_i32 s8, s44, 12
	s_waitcnt lgkmcnt(2)
	v_max3_f32 v50, v52, s40, v53
	s_waitcnt lgkmcnt(1)
	v_max3_f32 v50, v50, v58, v59
	v_sub_f32_e32 v52, v52, v50
	v_mul_f32_e32 v52, 0x3fb8aa3b, v52
	v_exp_f32_e32 v55, v52
	v_sub_f32_e32 v52, v53, v50
	v_mul_f32_e32 v52, 0x3fb8aa3b, v52
	v_exp_f32_e32 v61, v52
	;; [unrolled: 3-line block ×3, first 2 shown]
	ds_read2_b32 v[52:53], v51 offset0:96 offset1:112
	v_sub_f32_e32 v51, v59, v50
	v_mul_f32_e32 v51, 0x3fb8aa3b, v51
	v_exp_f32_e32 v59, v51
	s_waitcnt lgkmcnt(1)
	v_fma_f32 v51, v55, v62, 0
	v_fmac_f32_e32 v51, v61, v63
	s_waitcnt lgkmcnt(0)
	v_fmac_f32_e32 v51, v58, v52
	v_fmac_f32_e32 v51, v59, v53
	v_add_f32_e32 v52, 0x358637bd, v51
	v_div_scale_f32 v53, s[4:5], v52, v52, 1.0
	v_rcp_f32_e32 v62, v53
	s_barrier
	v_fma_f32 v63, -v53, v62, 1.0
	v_fmac_f32_e32 v62, v63, v62
	v_div_scale_f32 v63, vcc, 1.0, v52, 1.0
	v_mul_f32_e32 v64, v63, v62
	v_fma_f32 v65, -v53, v64, v63
	v_fmac_f32_e32 v64, v65, v62
	v_fma_f32 v53, -v53, v64, v63
	v_div_fmas_f32 v53, v53, v62, v64
	v_cmp_eq_u32_e32 vcc, 1, v57
	v_div_fixup_f32 v52, v53, v52, 1.0
	s_nop 0
	v_cndmask_b32_e32 v53, v55, v61, vcc
	v_cmp_eq_u32_e32 vcc, 2, v57
	s_nop 1
	v_cndmask_b32_e32 v53, v53, v58, vcc
	v_cmp_eq_u32_e32 vcc, 3, v57
	s_nop 1
	v_cndmask_b32_e32 v53, v53, v59, vcc
	v_mul_f32_e32 v52, v53, v52
	v_pk_mul_f32 v[46:47], v[52:53], v[46:47] op_sel_hi:[0,1]
	v_pk_mul_f32 v[48:49], v[52:53], v[48:49] op_sel_hi:[0,1]
	v_bfe_u32 v53, v47, 16, 1
	v_bfe_u32 v55, v46, 16, 1
	v_add3_u32 v46, v46, v55, s9
	v_add3_u32 v47, v47, v53, s9
	v_perm_b32 v58, v47, v46, s33
	v_bfe_u32 v46, v49, 16, 1
	v_bfe_u32 v47, v48, 16, 1
	v_add3_u32 v47, v48, v47, s9
	v_add3_u32 v46, v49, v46, s9
	v_perm_b32 v59, v46, v47, s33
	v_lshlrev_b32_e32 v47, 3, v1
	v_lshlrev_b32_e32 v46, 5, v56
	;; [unrolled: 1-line block ×3, first 2 shown]
	v_pk_mul_f32 v[44:45], v[52:53], v[44:45] op_sel_hi:[0,1]
	v_or3_b32 v55, v48, v46, v47
	v_bfe_u32 v47, v45, 16, 1
	v_bfe_u32 v48, v44, 16, 1
	v_pk_mul_f32 v[42:43], v[52:53], v[42:43] op_sel_hi:[0,1]
	v_add3_u32 v44, v44, v48, s9
	v_add3_u32 v45, v45, v47, s9
	v_perm_b32 v44, v45, v44, s33
	v_bfe_u32 v45, v43, 16, 1
	v_bfe_u32 v47, v42, 16, 1
	v_add3_u32 v42, v42, v47, s9
	v_add3_u32 v43, v43, v45, s9
	v_pk_mul_f32 v[40:41], v[52:53], v[40:41] op_sel_hi:[0,1]
	v_perm_b32 v45, v43, v42, s33
	v_bfe_u32 v42, v41, 16, 1
	v_bfe_u32 v43, v40, 16, 1
	v_pk_mul_f32 v[38:39], v[52:53], v[38:39] op_sel_hi:[0,1]
	v_add3_u32 v40, v40, v43, s9
	v_add3_u32 v41, v41, v42, s9
	v_perm_b32 v40, v41, v40, s33
	v_bfe_u32 v41, v39, 16, 1
	v_bfe_u32 v42, v38, 16, 1
	v_add3_u32 v38, v38, v42, s9
	v_add3_u32 v39, v39, v41, s9
	v_pk_mul_f32 v[36:37], v[52:53], v[36:37] op_sel_hi:[0,1]
	v_perm_b32 v41, v39, v38, s33
	v_bfe_u32 v38, v37, 16, 1
	v_bfe_u32 v39, v36, 16, 1
	v_pk_mul_f32 v[34:35], v[52:53], v[34:35] op_sel_hi:[0,1]
	v_add3_u32 v36, v36, v39, s9
	v_add3_u32 v37, v37, v38, s9
	v_perm_b32 v36, v37, v36, s33
	v_bfe_u32 v37, v35, 16, 1
	v_bfe_u32 v38, v34, 16, 1
	v_add3_u32 v34, v34, v38, s9
	v_add3_u32 v35, v35, v37, s9
	v_perm_b32 v37, v35, v34, s33
	v_cmp_gt_u32_e32 vcc, 12, v0
	ds_write2st64_b64 v55, v[58:59], v[44:45] offset1:1
	ds_write2st64_b64 v55, v[40:41], v[36:37] offset0:2 offset1:3
	s_and_saveexec_b64 s[4:5], vcc
	s_cbranch_execz .LBB1259_17
; %bb.16:
	s_mov_b32 s49, 0
	v_mov_b32_e32 v57, 0
	v_lshl_add_u64 v[34:35], s[48:49], 0, v[56:57]
	v_mov_b32_e32 v36, s8
	v_mad_u64_u32 v[34:35], s[10:11], s2, v36, v[34:35]
	s_mul_i32 s3, s3, s8
	v_mov_b32_e32 v36, s6
	v_mov_b32_e32 v37, v57
	s_load_dwordx4 s[12:15], s[0:1], 0x58
	v_add_u32_e32 v38, s3, v35
	v_mad_u64_u32 v[34:35], s[10:11], v34, s7, v[36:37]
	v_mov_b32_e32 v36, v35
	v_mad_u64_u32 v[36:37], s[10:11], v38, s7, v[36:37]
	v_mov_b32_e32 v35, v36
	v_lshlrev_b64 v[34:35], 2, v[34:35]
	s_waitcnt lgkmcnt(0)
	v_lshl_add_u64 v[36:37], s[14:15], 0, v[34:35]
	v_lshl_add_u64 v[34:35], s[12:13], 0, v[34:35]
	global_store_dword v[36:37], v50, off
	global_store_dword v[34:35], v51, off
.LBB1259_17:
	s_or_b64 exec, exec, s[4:5]
	s_waitcnt vmcnt(7)
	v_cvt_pk_f32_fp8_e32 v[34:35], v6
	v_cvt_pk_f32_fp8_sdwa v[36:37], v6 src0_sel:WORD_1
	v_lshl_or_b32 v50, v1, 9, v46
	s_mov_b32 s5, 0x7060302
	s_waitcnt lgkmcnt(0)
	s_barrier
	v_cvt_pk_f32_fp8_e32 v[38:39], v7
	v_perm_b32 v6, v35, v34, s5
	v_cvt_pk_f32_fp8_sdwa v[40:41], v7 src0_sel:WORD_1
	v_perm_b32 v7, v37, v36, s5
	ds_read_b128 v[34:37], v50
	v_perm_b32 v46, v39, v38, s5
	v_perm_b32 v47, v41, v40, s5
	ds_read_b128 v[38:41], v50 offset:16
	v_cvt_pk_f32_fp8_e32 v[48:49], v8
	v_cvt_pk_f32_fp8_sdwa v[52:53], v8 src0_sel:WORD_1
	s_waitcnt lgkmcnt(1)
	v_mfma_f32_16x16x16_bf16 v[42:45], v[6:7], v[34:35], 0
	s_waitcnt vmcnt(6)
	v_cvt_pk_f32_fp8_e32 v[58:59], v4
	v_perm_b32 v6, v49, v48, s5
	v_perm_b32 v7, v53, v52, s5
	v_cvt_pk_f32_fp8_e32 v[48:49], v9
	v_mfma_f32_16x16x16_bf16 v[42:45], v[46:47], v[36:37], v[42:45]
	v_cvt_pk_f32_fp8_sdwa v[46:47], v9 src0_sel:WORD_1
	v_cvt_pk_f32_fp8_sdwa v[62:63], v4 src0_sel:WORD_1
	v_perm_b32 v48, v49, v48, s5
	s_waitcnt lgkmcnt(0)
	v_mfma_f32_16x16x16_bf16 v[6:9], v[6:7], v[38:39], v[42:45]
	v_perm_b32 v49, v47, v46, s5
	s_waitcnt vmcnt(5)
	v_cvt_pk_f32_fp8_sdwa v[66:67], v28 src0_sel:WORD_1
	s_waitcnt vmcnt(4)
	v_cvt_pk_f32_fp8_sdwa v[68:69], v24 src0_sel:WORD_1
	v_cvt_pk_f32_fp8_e32 v[42:43], v2
	v_mfma_f32_16x16x16_bf16 v[46:49], v[48:49], v[40:41], v[6:9]
	s_load_dword s4, s[42:43], 0x0
	s_waitcnt vmcnt(3)
	v_cvt_pk_f32_fp8_sdwa v[70:71], v32 src0_sel:WORD_1
	v_cvt_pk_f32_fp8_sdwa v[6:7], v2 src0_sel:WORD_1
	v_cvt_pk_f32_fp8_e32 v[8:9], v3
	v_perm_b32 v2, v43, v42, s5
	v_cvt_pk_f32_fp8_sdwa v[42:43], v3 src0_sel:WORD_1
	v_perm_b32 v3, v7, v6, s5
	v_perm_b32 v52, v9, v8, s5
	ds_read_b128 v[6:9], v50 offset:2048
	v_perm_b32 v53, v43, v42, s5
	ds_read_b128 v[42:45], v50 offset:2064
	s_waitcnt lgkmcnt(0)
	v_mfma_f32_16x16x16_bf16 v[46:49], v[2:3], v[6:7], v[46:49]
	v_perm_b32 v2, v59, v58, s5
	v_perm_b32 v3, v63, v62, s5
	v_cvt_pk_f32_fp8_e32 v[58:59], v5
	v_mfma_f32_16x16x16_bf16 v[46:49], v[52:53], v[8:9], v[46:49]
	v_cvt_pk_f32_fp8_sdwa v[52:53], v5 src0_sel:WORD_1
	s_mov_b32 s3, 0
	v_perm_b32 v58, v59, v58, s5
	v_mfma_f32_16x16x16_bf16 v[2:5], v[2:3], v[42:43], v[46:49]
	v_perm_b32 v59, v53, v52, s5
	v_cmp_gt_u32_e32 vcc, 64, v0
	s_nop 0
	v_cvt_pk_f32_fp8_e32 v[46:47], v26
	v_mfma_f32_16x16x16_bf16 v[62:65], v[58:59], v[44:45], v[2:5]
	v_cvt_pk_f32_fp8_e32 v[58:59], v28
	s_nop 1
	v_cvt_pk_f32_fp8_sdwa v[2:3], v26 src0_sel:WORD_1
	v_cvt_pk_f32_fp8_e32 v[4:5], v27
	v_perm_b32 v26, v47, v46, s5
	v_cvt_pk_f32_fp8_sdwa v[46:47], v27 src0_sel:WORD_1
	v_perm_b32 v27, v3, v2, s5
	v_perm_b32 v52, v5, v4, s5
	ds_read_b128 v[2:5], v50 offset:4096
	v_perm_b32 v53, v47, v46, s5
	ds_read_b128 v[46:49], v50 offset:4112
	s_waitcnt lgkmcnt(1)
	v_mfma_f32_16x16x16_bf16 v[62:65], v[26:27], v[2:3], v[62:65]
	v_perm_b32 v26, v59, v58, s5
	v_perm_b32 v27, v67, v66, s5
	v_cvt_pk_f32_fp8_e32 v[58:59], v29
	v_mfma_f32_16x16x16_bf16 v[62:65], v[52:53], v[4:5], v[62:65]
	v_cvt_pk_f32_fp8_sdwa v[52:53], v29 src0_sel:WORD_1
	v_cvt_pk_f32_fp8_e32 v[66:67], v24
	v_perm_b32 v58, v59, v58, s5
	s_waitcnt lgkmcnt(0)
	v_mfma_f32_16x16x16_bf16 v[26:29], v[26:27], v[46:47], v[62:65]
	v_perm_b32 v59, v53, v52, s5
	v_cvt_pk_f32_fp8_e32 v[52:53], v22
	s_nop 0
	v_mfma_f32_16x16x16_bf16 v[62:65], v[58:59], v[48:49], v[26:29]
	s_nop 2
	v_cvt_pk_f32_fp8_sdwa v[26:27], v22 src0_sel:WORD_1
	v_cvt_pk_f32_fp8_e32 v[28:29], v23
	v_perm_b32 v22, v53, v52, s5
	v_cvt_pk_f32_fp8_sdwa v[52:53], v23 src0_sel:WORD_1
	v_perm_b32 v23, v27, v26, s5
	v_perm_b32 v58, v29, v28, s5
	ds_read_b128 v[26:29], v50 offset:6144
	v_perm_b32 v59, v53, v52, s5
	s_waitcnt lgkmcnt(0)
	v_mfma_f32_16x16x16_bf16 v[62:65], v[22:23], v[26:27], v[62:65]
	ds_read_b128 v[50:53], v50 offset:6160
	v_perm_b32 v22, v67, v66, s5
	v_perm_b32 v23, v69, v68, s5
	v_cvt_pk_f32_fp8_e32 v[66:67], v25
	v_mfma_f32_16x16x16_bf16 v[62:65], v[58:59], v[28:29], v[62:65]
	v_cvt_pk_f32_fp8_sdwa v[58:59], v25 src0_sel:WORD_1
	v_cvt_pk_f32_fp8_e32 v[68:69], v32
	v_perm_b32 v66, v67, v66, s5
	s_waitcnt lgkmcnt(0)
	v_mfma_f32_16x16x16_bf16 v[22:25], v[22:23], v[50:51], v[62:65]
	v_perm_b32 v67, v59, v58, s5
	v_cvt_pk_f32_fp8_sdwa v[58:59], v30 src0_sel:WORD_1
	s_nop 0
	v_mfma_f32_16x16x16_bf16 v[62:65], v[66:67], v[52:53], v[22:25]
	s_barrier
	s_nop 1
	v_cvt_pk_f32_fp8_e32 v[24:25], v30
	s_nop 2
	v_pk_mul_f32 v[66:67], v[62:63], s[4:5] op_sel_hi:[1,0]
	v_cvt_pk_f32_fp8_e32 v[62:63], v31
	v_perm_b32 v24, v25, v24, s5
	v_perm_b32 v25, v59, v58, s5
	v_cvt_pk_f32_fp8_sdwa v[30:31], v31 src0_sel:WORD_1
	v_perm_b32 v58, v63, v62, s5
	v_pk_mul_f32 v[22:23], v[64:65], s[4:5] op_sel_hi:[1,0]
	v_mfma_f32_16x16x16_bf16 v[62:65], v[24:25], v[34:35], 0
	v_perm_b32 v59, v31, v30, s5
	v_perm_b32 v24, v69, v68, s5
	;; [unrolled: 1-line block ×3, first 2 shown]
	v_cvt_pk_f32_fp8_e32 v[34:35], v33
	v_cvt_pk_f32_fp8_sdwa v[68:69], v33 src0_sel:WORD_1
	v_mfma_f32_16x16x16_bf16 v[30:33], v[58:59], v[36:37], v[62:65]
	s_waitcnt vmcnt(2)
	v_cvt_pk_f32_fp8_sdwa v[36:37], v18 src0_sel:WORD_1
	v_perm_b32 v34, v35, v34, s5
	v_perm_b32 v35, v69, v68, s5
	v_mfma_f32_16x16x16_bf16 v[30:33], v[24:25], v[38:39], v[30:33]
	v_cvt_pk_f32_fp8_e32 v[24:25], v18
	v_cvt_pk_f32_fp8_sdwa v[38:39], v20 src0_sel:WORD_1
	v_bfe_u32 v57, v67, 16, 1
	v_mfma_f32_16x16x16_bf16 v[30:33], v[34:35], v[40:41], v[30:33]
	v_cvt_pk_f32_fp8_e32 v[34:35], v19
	v_perm_b32 v24, v25, v24, s5
	v_perm_b32 v25, v37, v36, s5
	v_cvt_pk_f32_fp8_sdwa v[18:19], v19 src0_sel:WORD_1
	v_perm_b32 v34, v35, v34, s5
	v_cvt_pk_f32_fp8_e32 v[36:37], v20
	v_mfma_f32_16x16x16_bf16 v[30:33], v[24:25], v[6:7], v[30:33]
	v_perm_b32 v35, v19, v18, s5
	v_perm_b32 v18, v37, v36, s5
	;; [unrolled: 1-line block ×3, first 2 shown]
	v_cvt_pk_f32_fp8_e32 v[24:25], v21
	v_cvt_pk_f32_fp8_sdwa v[20:21], v21 src0_sel:WORD_1
	v_mfma_f32_16x16x16_bf16 v[6:9], v[34:35], v[8:9], v[30:33]
	v_bfe_u32 v58, v66, 16, 1
	v_perm_b32 v24, v25, v24, s5
	v_perm_b32 v25, v21, v20, s5
	v_mfma_f32_16x16x16_bf16 v[6:9], v[18:19], v[42:43], v[6:9]
	s_waitcnt vmcnt(1)
	v_cvt_pk_f32_fp8_e32 v[18:19], v14
	v_cvt_pk_f32_fp8_sdwa v[20:21], v14 src0_sel:WORD_1
	v_cvt_pk_f32_fp8_sdwa v[30:31], v16 src0_sel:WORD_1
	v_mfma_f32_16x16x16_bf16 v[6:9], v[24:25], v[44:45], v[6:9]
	v_cvt_pk_f32_fp8_e32 v[24:25], v15
	v_perm_b32 v18, v19, v18, s5
	v_perm_b32 v19, v21, v20, s5
	v_cvt_pk_f32_fp8_sdwa v[14:15], v15 src0_sel:WORD_1
	v_perm_b32 v20, v25, v24, s5
	v_cvt_pk_f32_fp8_e32 v[24:25], v16
	v_mfma_f32_16x16x16_bf16 v[6:9], v[18:19], v[2:3], v[6:9]
	v_perm_b32 v21, v15, v14, s5
	v_perm_b32 v14, v25, v24, s5
	;; [unrolled: 1-line block ×3, first 2 shown]
	v_cvt_pk_f32_fp8_e32 v[18:19], v17
	v_cvt_pk_f32_fp8_sdwa v[16:17], v17 src0_sel:WORD_1
	v_mfma_f32_16x16x16_bf16 v[2:5], v[20:21], v[4:5], v[6:9]
	v_add3_u32 v32, v66, v58, s9
	v_add3_u32 v33, v67, v57, s9
	s_nop 0
	v_perm_b32 v8, v19, v18, s5
	v_perm_b32 v9, v17, v16, s5
	v_mfma_f32_16x16x16_bf16 v[2:5], v[14:15], v[46:47], v[2:5]
	s_waitcnt vmcnt(0)
	v_cvt_pk_f32_fp8_e32 v[14:15], v10
	v_cvt_pk_f32_fp8_sdwa v[16:17], v10 src0_sel:WORD_1
	v_cvt_pk_f32_fp8_sdwa v[18:19], v12 src0_sel:WORD_1
	v_mfma_f32_16x16x16_bf16 v[2:5], v[8:9], v[48:49], v[2:5]
	v_cvt_pk_f32_fp8_e32 v[8:9], v11
	v_perm_b32 v14, v15, v14, s5
	v_perm_b32 v15, v17, v16, s5
	v_cvt_pk_f32_fp8_sdwa v[10:11], v11 src0_sel:WORD_1
	v_perm_b32 v8, v9, v8, s5
	v_cvt_pk_f32_fp8_e32 v[16:17], v12
	v_mfma_f32_16x16x16_bf16 v[2:5], v[14:15], v[26:27], v[2:5]
	v_perm_b32 v9, v11, v10, s5
	v_perm_b32 v10, v17, v16, s5
	;; [unrolled: 1-line block ×3, first 2 shown]
	v_cvt_pk_f32_fp8_e32 v[14:15], v13
	v_cvt_pk_f32_fp8_sdwa v[12:13], v13 src0_sel:WORD_1
	v_mfma_f32_16x16x16_bf16 v[2:5], v[8:9], v[28:29], v[2:5]
	v_bfe_u32 v7, v23, 16, 1
	v_perm_b32 v8, v15, v14, s5
	v_perm_b32 v9, v13, v12, s5
	v_mfma_f32_16x16x16_bf16 v[2:5], v[10:11], v[50:51], v[2:5]
	v_bfe_u32 v16, v22, 16, 1
	v_add3_u32 v10, v22, v16, s9
	v_add3_u32 v7, v23, v7, s9
	v_mfma_f32_16x16x16_bf16 v[2:5], v[8:9], v[52:53], v[2:5]
	v_perm_b32 v6, v33, v32, s5
	v_perm_b32 v7, v7, v10, s5
	s_nop 4
	v_pk_mul_f32 v[2:3], v[2:3], s[4:5] op_sel_hi:[1,0]
	v_pk_mul_f32 v[4:5], v[4:5], s[4:5] op_sel_hi:[1,0]
	v_bfe_u32 v8, v3, 16, 1
	v_bfe_u32 v9, v2, 16, 1
	v_add3_u32 v2, v2, v9, s9
	v_add3_u32 v3, v3, v8, s9
	v_perm_b32 v2, v3, v2, s5
	v_bfe_u32 v3, v5, 16, 1
	v_bfe_u32 v8, v4, 16, 1
	v_add3_u32 v4, v4, v8, s9
	v_add3_u32 v3, v5, v3, s9
	v_perm_b32 v3, v3, v4, s5
	ds_write2st64_b64 v55, v[6:7], v[2:3] offset1:1
	s_waitcnt lgkmcnt(0)
	s_barrier
	s_and_saveexec_b64 s[4:5], vcc
	s_cbranch_execz .LBB1259_19
; %bb.18:
	s_load_dwordx2 s[0:1], s[0:1], 0x68
	s_lshl_b32 s7, s7, 7
	s_mul_i32 s2, s8, s2
	s_mul_hi_u32 s5, s2, s7
	s_mul_i32 s4, s2, s7
	s_lshl_b64 s[4:5], s[4:5], 1
	v_lshlrev_b32_e32 v4, 6, v56
	s_waitcnt lgkmcnt(0)
	s_add_u32 s4, s0, s4
	v_lshl_or_b32 v0, v0, 10, v4
	s_addc_u32 s5, s1, s5
	s_lshl_b32 s2, s6, 7
	v_lshlrev_b32_e32 v2, 5, v1
	v_and_b32_e32 v3, 16, v60
	v_and_b32_e32 v0, 0x1a00, v0
	s_lshl_b64 s[0:1], s[2:3], 1
	v_or3_b32 v0, v0, v2, v3
	s_add_u32 s0, s4, s0
	ds_read_b128 v[2:5], v0
	ds_read_b128 v[6:9], v0 offset:128
	ds_read_b128 v[10:13], v0 offset:256
	s_addc_u32 s1, s5, s1
	v_or_b32_e32 v16, s48, v1
	v_mov_b32_e32 v55, 0
	v_lshl_add_u64 v[0:1], s[0:1], 0, v[54:55]
	v_mad_u64_u32 v[14:15], s[0:1], v16, s7, 0
	v_lshl_add_u64 v[14:15], v[14:15], 1, v[0:1]
	s_waitcnt lgkmcnt(2)
	global_store_dwordx4 v[14:15], v[2:5], off
	s_nop 1
	v_add_u32_e32 v2, 4, v16
	v_mad_u64_u32 v[2:3], s[0:1], v2, s7, 0
	v_lshl_add_u64 v[2:3], v[2:3], 1, v[0:1]
	s_waitcnt lgkmcnt(1)
	global_store_dwordx4 v[2:3], v[6:9], off
	v_add_u32_e32 v2, 8, v16
	v_mad_u64_u32 v[2:3], s[0:1], v2, s7, 0
	v_lshl_add_u64 v[0:1], v[2:3], 1, v[0:1]
	s_waitcnt lgkmcnt(0)
	global_store_dwordx4 v[0:1], v[10:13], off
.LBB1259_19:
	s_endpgm
	.section	.rodata,"a",@progbits
	.p2align	6, 0x0
	.amdhsa_kernel _Z39paged_attention_ll4mi_QKV_mfma16_kernelI14__hip_bfloat16hLN4vllm18Fp8KVCacheDataTypeE1EhLi16ELi128ELi256ELb1ELi12EEvPKT_PKT0_S8_ifPKiSA_SA_iPKfiiiPfSD_PS3_PT2_iSC_SC_
		.amdhsa_group_segment_fixed_size 8192
		.amdhsa_private_segment_fixed_size 0
		.amdhsa_kernarg_size 400
		.amdhsa_user_sgpr_count 2
		.amdhsa_user_sgpr_dispatch_ptr 0
		.amdhsa_user_sgpr_queue_ptr 0
		.amdhsa_user_sgpr_kernarg_segment_ptr 1
		.amdhsa_user_sgpr_dispatch_id 0
		.amdhsa_user_sgpr_kernarg_preload_length 0
		.amdhsa_user_sgpr_kernarg_preload_offset 0
		.amdhsa_user_sgpr_private_segment_size 0
		.amdhsa_uses_dynamic_stack 0
		.amdhsa_enable_private_segment 0
		.amdhsa_system_sgpr_workgroup_id_x 1
		.amdhsa_system_sgpr_workgroup_id_y 1
		.amdhsa_system_sgpr_workgroup_id_z 1
		.amdhsa_system_sgpr_workgroup_info 0
		.amdhsa_system_vgpr_workitem_id 0
		.amdhsa_next_free_vgpr 76
		.amdhsa_next_free_sgpr 50
		.amdhsa_accum_offset 76
		.amdhsa_reserve_vcc 1
		.amdhsa_float_round_mode_32 0
		.amdhsa_float_round_mode_16_64 0
		.amdhsa_float_denorm_mode_32 3
		.amdhsa_float_denorm_mode_16_64 3
		.amdhsa_dx10_clamp 1
		.amdhsa_ieee_mode 1
		.amdhsa_fp16_overflow 0
		.amdhsa_tg_split 0
		.amdhsa_exception_fp_ieee_invalid_op 0
		.amdhsa_exception_fp_denorm_src 0
		.amdhsa_exception_fp_ieee_div_zero 0
		.amdhsa_exception_fp_ieee_overflow 0
		.amdhsa_exception_fp_ieee_underflow 0
		.amdhsa_exception_fp_ieee_inexact 0
		.amdhsa_exception_int_div_zero 0
	.end_amdhsa_kernel
	.section	.text._Z39paged_attention_ll4mi_QKV_mfma16_kernelI14__hip_bfloat16hLN4vllm18Fp8KVCacheDataTypeE1EhLi16ELi128ELi256ELb1ELi12EEvPKT_PKT0_S8_ifPKiSA_SA_iPKfiiiPfSD_PS3_PT2_iSC_SC_,"axG",@progbits,_Z39paged_attention_ll4mi_QKV_mfma16_kernelI14__hip_bfloat16hLN4vllm18Fp8KVCacheDataTypeE1EhLi16ELi128ELi256ELb1ELi12EEvPKT_PKT0_S8_ifPKiSA_SA_iPKfiiiPfSD_PS3_PT2_iSC_SC_,comdat
.Lfunc_end1259:
	.size	_Z39paged_attention_ll4mi_QKV_mfma16_kernelI14__hip_bfloat16hLN4vllm18Fp8KVCacheDataTypeE1EhLi16ELi128ELi256ELb1ELi12EEvPKT_PKT0_S8_ifPKiSA_SA_iPKfiiiPfSD_PS3_PT2_iSC_SC_, .Lfunc_end1259-_Z39paged_attention_ll4mi_QKV_mfma16_kernelI14__hip_bfloat16hLN4vllm18Fp8KVCacheDataTypeE1EhLi16ELi128ELi256ELb1ELi12EEvPKT_PKT0_S8_ifPKiSA_SA_iPKfiiiPfSD_PS3_PT2_iSC_SC_
                                        ; -- End function
	.section	.AMDGPU.csdata,"",@progbits
; Kernel info:
; codeLenInByte = 6608
; NumSgprs: 56
; NumVgprs: 76
; NumAgprs: 0
; TotalNumVgprs: 76
; ScratchSize: 0
; MemoryBound: 0
; FloatMode: 240
; IeeeMode: 1
; LDSByteSize: 8192 bytes/workgroup (compile time only)
; SGPRBlocks: 6
; VGPRBlocks: 9
; NumSGPRsForWavesPerEU: 56
; NumVGPRsForWavesPerEU: 76
; AccumOffset: 76
; Occupancy: 6
; WaveLimiterHint : 1
; COMPUTE_PGM_RSRC2:SCRATCH_EN: 0
; COMPUTE_PGM_RSRC2:USER_SGPR: 2
; COMPUTE_PGM_RSRC2:TRAP_HANDLER: 0
; COMPUTE_PGM_RSRC2:TGID_X_EN: 1
; COMPUTE_PGM_RSRC2:TGID_Y_EN: 1
; COMPUTE_PGM_RSRC2:TGID_Z_EN: 1
; COMPUTE_PGM_RSRC2:TIDIG_COMP_CNT: 0
; COMPUTE_PGM_RSRC3_GFX90A:ACCUM_OFFSET: 18
; COMPUTE_PGM_RSRC3_GFX90A:TG_SPLIT: 0
	.section	.text._Z39paged_attention_ll4mi_QKV_mfma16_kernelI14__hip_bfloat16hLN4vllm18Fp8KVCacheDataTypeE1EhLi16ELi128ELi256ELb1ELi13EEvPKT_PKT0_S8_ifPKiSA_SA_iPKfiiiPfSD_PS3_PT2_iSC_SC_,"axG",@progbits,_Z39paged_attention_ll4mi_QKV_mfma16_kernelI14__hip_bfloat16hLN4vllm18Fp8KVCacheDataTypeE1EhLi16ELi128ELi256ELb1ELi13EEvPKT_PKT0_S8_ifPKiSA_SA_iPKfiiiPfSD_PS3_PT2_iSC_SC_,comdat
	.protected	_Z39paged_attention_ll4mi_QKV_mfma16_kernelI14__hip_bfloat16hLN4vllm18Fp8KVCacheDataTypeE1EhLi16ELi128ELi256ELb1ELi13EEvPKT_PKT0_S8_ifPKiSA_SA_iPKfiiiPfSD_PS3_PT2_iSC_SC_ ; -- Begin function _Z39paged_attention_ll4mi_QKV_mfma16_kernelI14__hip_bfloat16hLN4vllm18Fp8KVCacheDataTypeE1EhLi16ELi128ELi256ELb1ELi13EEvPKT_PKT0_S8_ifPKiSA_SA_iPKfiiiPfSD_PS3_PT2_iSC_SC_
	.globl	_Z39paged_attention_ll4mi_QKV_mfma16_kernelI14__hip_bfloat16hLN4vllm18Fp8KVCacheDataTypeE1EhLi16ELi128ELi256ELb1ELi13EEvPKT_PKT0_S8_ifPKiSA_SA_iPKfiiiPfSD_PS3_PT2_iSC_SC_
	.p2align	8
	.type	_Z39paged_attention_ll4mi_QKV_mfma16_kernelI14__hip_bfloat16hLN4vllm18Fp8KVCacheDataTypeE1EhLi16ELi128ELi256ELb1ELi13EEvPKT_PKT0_S8_ifPKiSA_SA_iPKfiiiPfSD_PS3_PT2_iSC_SC_,@function
_Z39paged_attention_ll4mi_QKV_mfma16_kernelI14__hip_bfloat16hLN4vllm18Fp8KVCacheDataTypeE1EhLi16ELi128ELi256ELb1ELi13EEvPKT_PKT0_S8_ifPKiSA_SA_iPKfiiiPfSD_PS3_PT2_iSC_SC_: ; @_Z39paged_attention_ll4mi_QKV_mfma16_kernelI14__hip_bfloat16hLN4vllm18Fp8KVCacheDataTypeE1EhLi16ELi128ELi256ELb1ELi13EEvPKT_PKT0_S8_ifPKiSA_SA_iPKfiiiPfSD_PS3_PT2_iSC_SC_
; %bb.0:
	s_load_dwordx2 s[10:11], s[0:1], 0x30
	s_mov_b32 s6, s3
	s_mov_b64 s[8:9], 0
	s_waitcnt lgkmcnt(0)
	s_cmp_lg_u64 s[10:11], 0
	s_cselect_b64 s[12:13], -1, 0
	s_and_b64 vcc, exec, s[12:13]
	s_cbranch_vccz .LBB1260_7
; %bb.1:
	s_add_i32 s14, s2, 1
	s_mov_b32 s15, 0
	s_lshl_b64 s[16:17], s[14:15], 2
	s_add_u32 s16, s10, s16
	s_mov_b32 s3, s15
	s_addc_u32 s17, s11, s17
	s_lshl_b64 s[14:15], s[2:3], 2
	s_add_u32 s14, s10, s14
	s_addc_u32 s15, s11, s15
	s_load_dword s5, s[16:17], 0x0
	s_load_dword s7, s[14:15], 0x0
	s_waitcnt lgkmcnt(0)
	s_sub_i32 s5, s5, s7
	s_cmp_eq_u32 s5, 1
	s_cselect_b64 s[14:15], -1, 0
	s_andn2_b64 vcc, exec, s[8:9]
	s_cbranch_vccnz .LBB1260_3
.LBB1260_2:
	s_mov_b32 s3, 0
	s_mov_b64 s[14:15], -1
.LBB1260_3:
	s_andn2_b64 vcc, exec, s[14:15]
	s_cbranch_vccnz .LBB1260_20
; %bb.4:
	s_load_dwordx2 s[8:9], s[0:1], 0x28
	s_lshl_b64 s[14:15], s[2:3], 2
	s_waitcnt lgkmcnt(0)
	s_add_u32 s8, s8, s14
	s_addc_u32 s9, s9, s15
	s_load_dword s7, s[8:9], 0x0
	s_lshl_b32 s18, s6, 8
	s_waitcnt lgkmcnt(0)
	s_cmp_ge_i32 s18, s7
	s_cbranch_scc1 .LBB1260_20
; %bb.5:
	s_load_dwordx2 s[8:9], s[0:1], 0x20
	s_load_dword s5, s[0:1], 0x38
	s_add_i32 s16, s7, 15
	s_ashr_i32 s17, s16, 31
	v_and_b32_e32 v1, 0xcf, v0
	s_lshr_b32 s17, s17, 28
	v_add_u32_e32 v1, s18, v1
	s_add_i32 s16, s16, s17
	v_ashrrev_i32_e32 v2, 31, v1
	s_ashr_i32 s19, s16, 4
	v_lshrrev_b32_e32 v4, 28, v2
	s_add_i32 s19, s19, -1
	s_waitcnt lgkmcnt(0)
	s_mul_i32 s16, s2, s5
	s_mov_b32 s17, 0
	v_add_u32_e32 v2, v1, v4
	s_lshl_b64 s[16:17], s[16:17], 2
	v_ashrrev_i32_e32 v2, 4, v2
	v_mov_b32_e32 v5, s19
	v_cmp_gt_i32_e32 vcc, s7, v1
	s_add_u32 s8, s8, s16
	s_addc_u32 s9, s9, s17
	v_cndmask_b32_e32 v2, v5, v2, vcc
	v_ashrrev_i32_e32 v3, 31, v2
	v_lshl_add_u64 v[6:7], v[2:3], 2, s[8:9]
	v_or_b32_e32 v2, 16, v1
	v_add_u32_e32 v3, v2, v4
	v_ashrrev_i32_e32 v3, 4, v3
	v_cmp_gt_i32_e32 vcc, s7, v2
	s_load_dwordx2 s[16:17], s[0:1], 0x8
	s_nop 0
	v_cndmask_b32_e32 v2, v5, v3, vcc
	v_ashrrev_i32_e32 v3, 31, v2
	v_lshl_add_u64 v[8:9], v[2:3], 2, s[8:9]
	v_or_b32_e32 v2, 32, v1
	v_add_u32_e32 v3, v2, v4
	v_ashrrev_i32_e32 v3, 4, v3
	v_cmp_gt_i32_e32 vcc, s7, v2
	v_or_b32_e32 v1, 48, v1
	s_nop 0
	v_cndmask_b32_e32 v2, v5, v3, vcc
	v_ashrrev_i32_e32 v3, 31, v2
	v_lshl_add_u64 v[12:13], v[2:3], 2, s[8:9]
	v_add_u32_e32 v2, v1, v4
	v_ashrrev_i32_e32 v2, 4, v2
	v_cmp_gt_i32_e32 vcc, s7, v1
	s_nop 1
	v_cndmask_b32_e32 v2, v5, v2, vcc
	v_ashrrev_i32_e32 v3, 31, v2
	v_lshl_add_u64 v[14:15], v[2:3], 2, s[8:9]
	global_load_dword v4, v[6:7], off
	global_load_dword v3, v[8:9], off
	;; [unrolled: 1-line block ×4, first 2 shown]
	s_andn2_b64 vcc, exec, s[12:13]
	s_cbranch_vccnz .LBB1260_8
; %bb.6:
	s_add_u32 s10, s10, s14
	s_addc_u32 s11, s11, s15
	s_load_dword s5, s[10:11], 0x0
	s_branch .LBB1260_9
.LBB1260_7:
	s_mov_b64 s[14:15], 0
	s_branch .LBB1260_2
.LBB1260_8:
	s_mov_b32 s5, s2
.LBB1260_9:
	s_load_dwordx2 s[10:11], s[0:1], 0x10
	s_load_dwordx4 s[44:47], s[0:1], 0x48
	v_lshrrev_b32_e32 v57, 6, v0
	v_bfe_u32 v60, v0, 4, 2
	v_and_b32_e32 v56, 15, v0
	v_lshl_or_b32 v5, v57, 2, v60
	v_lshlrev_b32_e32 v1, 3, v56
	s_mul_i32 s48, s4, 13
	v_cmp_gt_u32_e32 vcc, 13, v5
	v_lshlrev_b32_e32 v54, 1, v1
	v_lshlrev_b32_e32 v1, 4, v0
	s_and_saveexec_b64 s[12:13], vcc
	s_cbranch_execz .LBB1260_11
; %bb.10:
	s_load_dwordx2 s[14:15], s[0:1], 0x0
	s_waitcnt lgkmcnt(0)
	s_ashr_i32 s20, s44, 31
	s_mul_hi_u32 s21, s5, s44
	s_mul_i32 s20, s5, s20
	s_add_i32 s21, s21, s20
	s_mul_i32 s20, s5, s44
	s_lshl_b64 s[20:21], s[20:21], 1
	s_add_u32 s14, s14, s20
	v_add_lshl_u32 v6, v5, s48, 7
	s_addc_u32 s15, s15, s21
	v_ashrrev_i32_e32 v7, 31, v6
	v_lshl_add_u64 v[6:7], v[6:7], 1, s[14:15]
	v_mov_b32_e32 v55, 0
	v_lshl_add_u64 v[6:7], v[6:7], 0, v[54:55]
	global_load_dwordx4 v[6:9], v[6:7], off
	v_lshlrev_b32_e32 v12, 8, v0
	v_lshlrev_b32_e32 v11, 8, v56
	v_and_b32_e32 v12, 0x600, v12
	s_movk_i32 s5, 0x800
	v_and_or_b32 v11, v11, s5, v12
	v_lshlrev_b32_e32 v5, 5, v5
	v_and_b32_e32 v12, 16, v1
	v_or3_b32 v5, v11, v5, v12
	s_waitcnt vmcnt(0)
	ds_write_b128 v5, v[6:9]
.LBB1260_11:
	s_or_b64 exec, exec, s[12:13]
	s_waitcnt lgkmcnt(0)
	s_mul_i32 s12, s4, s46
	s_add_u32 s4, s16, s12
	s_addc_u32 s5, s17, 0
	v_and_b32_e32 v58, 0xf0, v1
	v_mov_b32_e32 v59, 0
	v_and_b32_e32 v34, 48, v0
	v_lshl_add_u64 v[12:13], s[4:5], 0, v[58:59]
	v_lshlrev_b32_e32 v58, 4, v34
	s_waitcnt vmcnt(3)
	v_mad_i64_i32 v[4:5], s[4:5], v4, s45, v[12:13]
	v_lshl_add_u64 v[4:5], v[4:5], 0, v[58:59]
	s_barrier
	global_load_dwordx4 v[50:53], v[4:5], off
	global_load_dwordx4 v[46:49], v[4:5], off offset:1024
	s_waitcnt vmcnt(4)
	v_mad_i64_i32 v[4:5], s[4:5], v3, s45, v[12:13]
	s_waitcnt vmcnt(3)
	v_mad_i64_i32 v[2:3], s[4:5], v2, s45, v[12:13]
	v_lshl_add_u64 v[4:5], v[4:5], 0, v[58:59]
	v_lshl_add_u64 v[14:15], v[2:3], 0, v[58:59]
	s_waitcnt vmcnt(2)
	v_mad_i64_i32 v[10:11], s[4:5], v10, s45, v[12:13]
	global_load_dwordx4 v[36:39], v[4:5], off
	global_load_dwordx4 v[6:9], v[4:5], off offset:1024
	s_nop 0
	global_load_dwordx4 v[2:5], v[14:15], off
	global_load_dwordx4 v[42:45], v[14:15], off offset:1024
	v_lshl_add_u64 v[14:15], v[10:11], 0, v[58:59]
	global_load_dwordx4 v[26:29], v[14:15], off
	global_load_dwordx4 v[10:13], v[14:15], off offset:1024
	v_add_u32_e32 v14, -13, v56
	v_cmp_gt_u32_e32 vcc, 13, v56
	v_and_b32_e32 v55, 63, v0
	v_mov_b32_e32 v61, 0
	v_cndmask_b32_e32 v14, v14, v56, vcc
	v_lshlrev_b32_e32 v14, 5, v14
	v_lshl_add_u32 v14, v60, 9, v14
	ds_read_b128 v[30:33], v14
	ds_read_b128 v[22:25], v14 offset:16
	ds_read_b128 v[18:21], v14 offset:2048
	;; [unrolled: 1-line block ×3, first 2 shown]
	s_and_saveexec_b64 s[4:5], vcc
	s_cbranch_execz .LBB1260_13
; %bb.12:
	s_load_dwordx2 s[14:15], s[0:1], 0x40
	v_add_u32_e32 v40, s48, v56
	v_ashrrev_i32_e32 v41, 31, v40
	s_waitcnt lgkmcnt(0)
	v_lshl_add_u64 v[40:41], v[40:41], 2, s[14:15]
	global_load_dword v61, v[40:41], off
.LBB1260_13:
	s_or_b64 exec, exec, s[4:5]
	v_or_b32_e32 v58, s18, v34
	v_ashrrev_i32_e32 v34, 4, v58
	v_mov_b32_e32 v63, s19
	v_cmp_gt_i32_e32 vcc, s7, v58
	s_waitcnt vmcnt(7)
	v_cvt_pk_f32_fp8_e32 v[40:41], v50
	v_cvt_pk_f32_fp8_sdwa v[64:65], v50 src0_sel:WORD_1
	v_cndmask_b32_e32 v34, v63, v34, vcc
	v_ashrrev_i32_e32 v35, 31, v34
	v_lshl_add_u64 v[34:35], v[34:35], 2, s[8:9]
	global_load_dword v62, v[34:35], off
	v_or_b32_e32 v34, 64, v58
	v_ashrrev_i32_e32 v35, 4, v34
	v_cmp_gt_i32_e32 vcc, s7, v34
	v_or_b32_e32 v66, 0x80, v58
	v_ashrrev_i32_e32 v67, 4, v66
	v_cndmask_b32_e32 v34, v63, v35, vcc
	v_cmp_gt_i32_e32 vcc, s7, v66
	s_mov_b32 s33, 0x7060302
	v_perm_b32 v40, v41, v40, s33
	v_cndmask_b32_e32 v50, v63, v67, vcc
	v_perm_b32 v41, v65, v64, s33
	v_cvt_pk_f32_fp8_e32 v[64:65], v51
	v_cvt_pk_f32_fp8_sdwa v[66:67], v51 src0_sel:WORD_1
	v_ashrrev_i32_e32 v51, 31, v50
	v_lshl_add_u64 v[68:69], v[50:51], 2, s[8:9]
	v_perm_b32 v50, v65, v64, s33
	v_perm_b32 v51, v67, v66, s33
	s_waitcnt lgkmcnt(3)
	v_mfma_f32_16x16x16_bf16 v[64:67], v[40:41], v[30:31], 0
	v_cvt_pk_f32_fp8_e32 v[40:41], v52
	v_cvt_pk_f32_fp8_sdwa v[70:71], v52 src0_sel:WORD_1
	s_waitcnt vmcnt(7)
	v_cvt_pk_f32_fp8_e32 v[72:73], v46
	v_mfma_f32_16x16x16_bf16 v[64:67], v[50:51], v[32:33], v[64:67]
	v_cvt_pk_f32_fp8_e32 v[50:51], v53
	v_perm_b32 v40, v41, v40, s33
	v_perm_b32 v41, v71, v70, s33
	v_cvt_pk_f32_fp8_sdwa v[52:53], v53 src0_sel:WORD_1
	v_perm_b32 v70, v51, v50, s33
	v_cvt_pk_f32_fp8_sdwa v[74:75], v46 src0_sel:WORD_1
	v_ashrrev_i32_e32 v35, 31, v34
	v_perm_b32 v71, v53, v52, s33
	s_waitcnt lgkmcnt(2)
	v_mfma_f32_16x16x16_bf16 v[50:53], v[40:41], v[22:23], v[64:67]
	v_perm_b32 v40, v73, v72, s33
	v_perm_b32 v41, v75, v74, s33
	v_or_b32_e32 v58, 0xc0, v58
	v_cvt_pk_f32_fp8_e32 v[64:65], v47
	v_cvt_pk_f32_fp8_sdwa v[46:47], v47 src0_sel:WORD_1
	v_mfma_f32_16x16x16_bf16 v[50:53], v[70:71], v[24:25], v[50:53]
	v_lshl_add_u64 v[34:35], v[34:35], 2, s[8:9]
	v_perm_b32 v64, v65, v64, s33
	v_perm_b32 v65, v47, v46, s33
	s_waitcnt lgkmcnt(1)
	v_mfma_f32_16x16x16_bf16 v[50:53], v[40:41], v[18:19], v[50:53]
	v_ashrrev_i32_e32 v66, 4, v58
	v_cmp_gt_i32_e32 vcc, s7, v58
	v_cvt_pk_f32_fp8_e32 v[46:47], v48
	s_waitcnt vmcnt(6)
	v_cvt_pk_f32_fp8_sdwa v[70:71], v36 src0_sel:WORD_1
	v_cndmask_b32_e32 v40, v63, v66, vcc
	v_mfma_f32_16x16x16_bf16 v[64:67], v[64:65], v[20:21], v[50:53]
	v_ashrrev_i32_e32 v41, 31, v40
	v_lshl_add_u64 v[40:41], v[40:41], 2, s[8:9]
	v_perm_b32 v46, v47, v46, s33
	global_load_dword v53, v[34:35], off
	global_load_dword v63, v[40:41], off
	v_cvt_pk_f32_fp8_sdwa v[50:51], v48 src0_sel:WORD_1
	v_cvt_pk_f32_fp8_e32 v[34:35], v49
	v_cvt_pk_f32_fp8_sdwa v[48:49], v49 src0_sel:WORD_1
	s_add_u32 s46, s10, s12
	v_perm_b32 v47, v51, v50, s33
	v_perm_b32 v34, v35, v34, s33
	;; [unrolled: 1-line block ×3, first 2 shown]
	s_waitcnt lgkmcnt(0)
	v_mfma_f32_16x16x16_bf16 v[46:49], v[46:47], v[14:15], v[64:67]
	v_cvt_pk_f32_fp8_e32 v[50:51], v36
	s_nop 1
	global_load_dword v64, v[68:69], off
	v_cvt_pk_f32_fp8_e32 v[66:67], v37
	s_waitcnt vmcnt(8)
	v_cvt_pk_f32_fp8_e32 v[68:69], v6
	v_perm_b32 v50, v51, v50, s33
	v_perm_b32 v51, v71, v70, s33
	v_cvt_pk_f32_fp8_sdwa v[70:71], v37 src0_sel:WORD_1
	v_perm_b32 v40, v67, v66, s33
	v_mfma_f32_16x16x16_bf16 v[34:37], v[34:35], v[16:17], v[46:49]
	v_cvt_pk_f32_fp8_sdwa v[66:67], v38 src0_sel:WORD_1
	v_perm_b32 v41, v71, v70, s33
	v_cvt_pk_f32_fp8_sdwa v[70:71], v6 src0_sel:WORD_1
	v_mfma_f32_16x16x16_bf16 v[46:49], v[50:51], v[30:31], 0
	v_cvt_pk_f32_fp8_e32 v[50:51], v38
	v_lshl_or_b32 v52, v57, 4, v56
	s_waitcnt vmcnt(6)
	v_cvt_pk_f32_fp8_e32 v[72:73], v43
	v_mfma_f32_16x16x16_bf16 v[46:49], v[40:41], v[32:33], v[46:49]
	v_cvt_pk_f32_fp8_e32 v[40:41], v39
	v_perm_b32 v50, v51, v50, s33
	v_perm_b32 v51, v67, v66, s33
	v_cvt_pk_f32_fp8_sdwa v[38:39], v39 src0_sel:WORD_1
	v_perm_b32 v66, v41, v40, s33
	s_addc_u32 s47, s11, 0
	v_lshlrev_b32_e32 v58, 4, v52
	v_perm_b32 v67, v39, v38, s33
	v_mfma_f32_16x16x16_bf16 v[38:41], v[50:51], v[22:23], v[46:49]
	v_cvt_pk_f32_fp8_sdwa v[50:51], v2 src0_sel:WORD_1
	s_nop 1
	v_perm_b32 v46, v69, v68, s33
	v_perm_b32 v47, v71, v70, s33
	v_cvt_pk_f32_fp8_e32 v[48:49], v7
	v_cvt_pk_f32_fp8_sdwa v[6:7], v7 src0_sel:WORD_1
	v_mfma_f32_16x16x16_bf16 v[38:41], v[66:67], v[24:25], v[38:41]
	v_lshl_add_u64 v[70:71], s[46:47], 0, v[58:59]
	v_perm_b32 v48, v49, v48, s33
	v_perm_b32 v49, v7, v6, s33
	v_mfma_f32_16x16x16_bf16 v[38:41], v[46:47], v[18:19], v[38:41]
	v_cvt_pk_f32_fp8_e32 v[6:7], v8
	v_cvt_pk_f32_fp8_sdwa v[46:47], v8 src0_sel:WORD_1
	v_or_b32_e32 v58, 0x400, v58
	v_mfma_f32_16x16x16_bf16 v[38:41], v[48:49], v[20:21], v[38:41]
	v_cvt_pk_f32_fp8_e32 v[48:49], v9
	v_perm_b32 v6, v7, v6, s33
	v_perm_b32 v7, v47, v46, s33
	v_cvt_pk_f32_fp8_sdwa v[8:9], v9 src0_sel:WORD_1
	v_perm_b32 v46, v49, v48, s33
	v_cvt_pk_f32_fp8_e32 v[48:49], v2
	v_perm_b32 v47, v9, v8, s33
	v_mfma_f32_16x16x16_bf16 v[6:9], v[6:7], v[14:15], v[38:41]
	v_perm_b32 v48, v49, v48, s33
	v_perm_b32 v49, v51, v50, s33
	v_cvt_pk_f32_fp8_e32 v[50:51], v3
	v_cvt_pk_f32_fp8_sdwa v[2:3], v3 src0_sel:WORD_1
	v_mfma_f32_16x16x16_bf16 v[38:41], v[46:47], v[16:17], v[6:9]
	v_perm_b32 v46, v51, v50, s33
	v_perm_b32 v47, v3, v2, s33
	v_mfma_f32_16x16x16_bf16 v[6:9], v[48:49], v[30:31], 0
	v_cvt_pk_f32_fp8_e32 v[2:3], v4
	v_cvt_pk_f32_fp8_sdwa v[48:49], v4 src0_sel:WORD_1
	s_waitcnt vmcnt(3)
	v_mad_i64_i32 v[50:51], s[4:5], v62, s45, v[70:71]
	v_perm_b32 v2, v3, v2, s33
	v_perm_b32 v3, v49, v48, s33
	v_mfma_f32_16x16x16_bf16 v[6:9], v[46:47], v[32:33], v[6:9]
	v_cvt_pk_f32_fp8_e32 v[46:47], v5
	v_cvt_pk_f32_fp8_sdwa v[4:5], v5 src0_sel:WORD_1
	s_waitcnt vmcnt(2)
	v_mad_i64_i32 v[66:67], s[4:5], v53, s45, v[70:71]
	v_perm_b32 v46, v47, v46, s33
	v_perm_b32 v47, v5, v4, s33
	v_mfma_f32_16x16x16_bf16 v[2:5], v[2:3], v[22:23], v[6:9]
	s_nop 2
	v_cvt_pk_f32_fp8_e32 v[6:7], v42
	v_cvt_pk_f32_fp8_sdwa v[8:9], v42 src0_sel:WORD_1
	v_cvt_pk_f32_fp8_sdwa v[42:43], v43 src0_sel:WORD_1
	v_mfma_f32_16x16x16_bf16 v[46:49], v[46:47], v[24:25], v[2:5]
	v_perm_b32 v68, v7, v6, s33
	v_perm_b32 v69, v9, v8, s33
	global_load_dwordx4 v[6:9], v[50:51], off
	global_load_dwordx4 v[2:5], v[66:67], off
	v_perm_b32 v66, v73, v72, s33
	v_perm_b32 v67, v43, v42, s33
	v_mfma_f32_16x16x16_bf16 v[48:51], v[68:69], v[18:19], v[46:49]
	v_cvt_pk_f32_fp8_e32 v[42:43], v44
	v_cvt_pk_f32_fp8_sdwa v[72:73], v44 src0_sel:WORD_1
	s_waitcnt vmcnt(2)
	v_mad_i64_i32 v[46:47], s[4:5], v64, s45, v[70:71]
	v_mfma_f32_16x16x16_bf16 v[66:69], v[66:67], v[20:21], v[48:51]
	v_perm_b32 v42, v43, v42, s33
	v_perm_b32 v43, v73, v72, s33
	v_cvt_pk_f32_fp8_sdwa v[72:73], v26 src0_sel:WORD_1
	v_cvt_pk_f32_fp8_e32 v[50:51], v45
	v_cvt_pk_f32_fp8_sdwa v[44:45], v45 src0_sel:WORD_1
	v_mad_i64_i32 v[48:49], s[4:5], v63, s45, v[70:71]
	v_perm_b32 v50, v51, v50, s33
	v_perm_b32 v51, v45, v44, s33
	v_mfma_f32_16x16x16_bf16 v[42:45], v[42:43], v[14:15], v[66:69]
	v_cvt_pk_f32_fp8_e32 v[70:71], v26
	s_load_dword s4, s[0:1], 0x1c
	s_load_dwordx4 s[40:43], s[0:1], 0x80
	s_load_dword s44, s[0:1], 0x98
	s_waitcnt lgkmcnt(0)
	s_load_dword s5, s[40:41], 0x0
	v_mfma_f32_16x16x16_bf16 v[66:69], v[50:51], v[16:17], v[42:45]
	s_mov_b32 s40, 0xff7fffff
	s_nop 1
	v_cvt_pk_f32_fp8_e32 v[42:43], v27
	v_perm_b32 v44, v71, v70, s33
	v_perm_b32 v45, v73, v72, s33
	v_cvt_pk_f32_fp8_sdwa v[26:27], v27 src0_sel:WORD_1
	v_perm_b32 v50, v43, v42, s33
	v_cvt_pk_f32_fp8_e32 v[70:71], v28
	v_cvt_pk_f32_fp8_sdwa v[72:73], v28 src0_sel:WORD_1
	v_perm_b32 v51, v27, v26, s33
	v_mfma_f32_16x16x16_bf16 v[42:45], v[44:45], v[30:31], 0
	v_perm_b32 v30, v71, v70, s33
	v_perm_b32 v31, v73, v72, s33
	v_cvt_pk_f32_fp8_e32 v[70:71], v29
	v_cvt_pk_f32_fp8_sdwa v[72:73], v29 src0_sel:WORD_1
	v_mfma_f32_16x16x16_bf16 v[26:29], v[50:51], v[32:33], v[42:45]
	v_mov_b32_e32 v32, s4
	s_waitcnt lgkmcnt(0)
	v_mul_f32_e32 v50, s5, v32
	v_pk_mul_f32 v[32:33], v[50:51], v[34:35] op_sel_hi:[0,1]
	v_perm_b32 v42, v71, v70, s33
	v_perm_b32 v43, v73, v72, s33
	v_mfma_f32_16x16x16_bf16 v[26:29], v[30:31], v[22:23], v[26:29]
	v_pk_mul_f32 v[30:31], v[50:51], v[36:37] op_sel_hi:[0,1]
	v_cvt_pk_f32_fp8_e32 v[22:23], v10
	v_cvt_pk_f32_fp8_sdwa v[70:71], v12 src0_sel:WORD_1
	v_mfma_f32_16x16x16_bf16 v[34:37], v[42:43], v[24:25], v[26:29]
	v_cvt_pk_f32_fp8_sdwa v[24:25], v10 src0_sel:WORD_1
	v_perm_b32 v42, v23, v22, s33
	v_pk_mul_f32 v[40:41], v[50:51], v[40:41] op_sel_hi:[0,1]
	v_cvt_pk_f32_fp8_e32 v[26:27], v11
	v_cvt_pk_f32_fp8_sdwa v[10:11], v11 src0_sel:WORD_1
	v_perm_b32 v43, v25, v24, s33
	v_perm_b32 v44, v27, v26, s33
	;; [unrolled: 1-line block ×3, first 2 shown]
	v_cvt_pk_f32_fp8_e32 v[10:11], v12
	v_mfma_f32_16x16x16_bf16 v[34:37], v[42:43], v[18:19], v[34:37]
	global_load_dwordx4 v[26:29], v[46:47], off
	global_load_dwordx4 v[22:25], v[48:49], off
	v_perm_b32 v19, v71, v70, s33
	v_perm_b32 v18, v11, v10, s33
	v_cvt_pk_f32_fp8_e32 v[42:43], v13
	v_cvt_pk_f32_fp8_sdwa v[46:47], v13 src0_sel:WORD_1
	v_mfma_f32_16x16x16_bf16 v[10:13], v[44:45], v[20:21], v[34:37]
	v_pk_mul_f32 v[44:45], v[50:51], v[38:39] op_sel_hi:[0,1]
	v_perm_b32 v20, v43, v42, s33
	v_perm_b32 v21, v47, v46, s33
	v_mfma_f32_16x16x16_bf16 v[10:13], v[18:19], v[14:15], v[10:13]
	v_pk_mul_f32 v[38:39], v[50:51], v[68:69] op_sel_hi:[0,1]
	v_pk_mul_f32 v[42:43], v[50:51], v[66:67] op_sel_hi:[0,1]
	v_mfma_f32_16x16x16_bf16 v[10:13], v[20:21], v[16:17], v[10:13]
	s_nop 6
	v_pk_mul_f32 v[36:37], v[50:51], v[10:11] op_sel_hi:[0,1]
	v_and_b32_e32 v10, 0xc0, v0
	v_add_u32_e32 v10, s18, v10
	v_lshl_or_b32 v10, v60, 2, v10
	v_or_b32_e32 v11, 1, v10
	v_pk_mul_f32 v[34:35], v[50:51], v[12:13] op_sel_hi:[0,1]
	v_subrev_u32_e32 v12, s7, v11
	v_add_u32_e32 v14, 1, v12
	v_add_u32_e32 v15, 2, v12
	v_cvt_f32_i32_e32 v13, v12
	v_cvt_f32_i32_e32 v14, v14
	;; [unrolled: 1-line block ×3, first 2 shown]
	v_add_u32_e32 v16, 3, v12
	v_fma_f32 v18, v61, v13, v32
	v_fmac_f32_e32 v33, v61, v14
	v_fma_f32 v48, v61, v15, v30
	v_add_u32_e32 v13, 16, v12
	v_add_u32_e32 v14, 17, v12
	;; [unrolled: 1-line block ×3, first 2 shown]
	v_cvt_f32_i32_e32 v16, v16
	v_cvt_f32_i32_e32 v13, v13
	;; [unrolled: 1-line block ×4, first 2 shown]
	v_fmac_f32_e32 v31, v61, v16
	v_add_u32_e32 v16, 19, v12
	v_fma_f32 v44, v61, v13, v44
	v_fmac_f32_e32 v45, v61, v14
	v_fma_f32 v40, v61, v15, v40
	v_add_u32_e32 v13, 32, v12
	v_add_u32_e32 v14, 33, v12
	;; [unrolled: 1-line block ×3, first 2 shown]
	v_cvt_f32_i32_e32 v16, v16
	v_cvt_f32_i32_e32 v13, v13
	;; [unrolled: 1-line block ×4, first 2 shown]
	v_fmac_f32_e32 v41, v61, v16
	v_add_u32_e32 v16, 35, v12
	v_fma_f32 v42, v61, v13, v42
	v_fmac_f32_e32 v43, v61, v14
	v_fma_f32 v38, v61, v15, v38
	v_add_u32_e32 v13, 48, v12
	v_add_u32_e32 v14, 49, v12
	;; [unrolled: 1-line block ×4, first 2 shown]
	v_cvt_f32_i32_e32 v12, v12
	v_cvt_f32_i32_e32 v13, v13
	;; [unrolled: 1-line block ×3, first 2 shown]
	v_cmp_gt_i32_e64 s[8:9], s7, v10
	v_fmac_f32_e32 v35, v61, v12
	v_mov_b32_e32 v12, 0xff7fffff
	v_cmp_gt_i32_e64 s[10:11], s7, v11
	v_fma_f32 v36, v61, v13, v36
	v_cndmask_b32_e64 v13, v12, v18, s[8:9]
	v_cndmask_b32_e64 v11, v12, v33, s[10:11]
	v_fmac_f32_e32 v37, v61, v14
	v_max3_f32 v11, v13, s40, v11
	v_or_b32_e32 v13, 2, v10
	v_or_b32_e32 v14, 3, v10
	v_cmp_gt_i32_e64 s[12:13], s7, v13
	v_cmp_gt_i32_e64 s[14:15], s7, v14
	v_cvt_f32_i32_e32 v16, v16
	v_cndmask_b32_e64 v13, v12, v48, s[12:13]
	v_cndmask_b32_e64 v14, v12, v31, s[14:15]
	v_max3_f32 v11, v11, v13, v14
	v_or_b32_e32 v13, 16, v10
	v_or_b32_e32 v14, 17, v10
	v_cmp_gt_i32_e64 s[16:17], s7, v13
	v_cmp_gt_i32_e64 s[18:19], s7, v14
	v_fmac_f32_e32 v39, v61, v16
	v_cndmask_b32_e64 v13, v12, v44, s[16:17]
	v_cndmask_b32_e64 v14, v12, v45, s[18:19]
	v_max3_f32 v11, v11, v13, v14
	v_or_b32_e32 v13, 18, v10
	v_or_b32_e32 v14, 19, v10
	v_cmp_gt_i32_e64 s[20:21], s7, v13
	v_cmp_gt_i32_e64 s[22:23], s7, v14
	v_cvt_f32_i32_e32 v15, v15
	v_cndmask_b32_e64 v13, v12, v40, s[20:21]
	v_cndmask_b32_e64 v14, v12, v41, s[22:23]
	v_max3_f32 v11, v11, v13, v14
	v_or_b32_e32 v13, 32, v10
	v_or_b32_e32 v14, 33, v10
	v_cmp_gt_i32_e64 s[24:25], s7, v13
	v_cmp_gt_i32_e64 s[26:27], s7, v14
	v_fma_f32 v34, v61, v15, v34
	v_cndmask_b32_e64 v13, v12, v42, s[24:25]
	v_cndmask_b32_e64 v14, v12, v43, s[26:27]
	v_max3_f32 v11, v11, v13, v14
	v_or_b32_e32 v13, 34, v10
	v_or_b32_e32 v14, 35, v10
	v_cmp_gt_i32_e64 s[28:29], s7, v13
	v_cmp_gt_i32_e64 s[30:31], s7, v14
	s_nop 0
	v_cndmask_b32_e64 v13, v12, v38, s[28:29]
	v_cndmask_b32_e64 v14, v12, v39, s[30:31]
	v_max3_f32 v11, v11, v13, v14
	v_or_b32_e32 v13, 48, v10
	v_or_b32_e32 v14, 49, v10
	v_cmp_gt_i32_e64 s[34:35], s7, v13
	v_cmp_gt_i32_e64 s[36:37], s7, v14
	s_nop 0
	v_cndmask_b32_e64 v13, v12, v36, s[34:35]
	v_cndmask_b32_e64 v14, v12, v37, s[36:37]
	v_max3_f32 v11, v11, v13, v14
	v_or_b32_e32 v13, 50, v10
	v_or_b32_e32 v10, 51, v10
	v_cmp_gt_i32_e32 vcc, s7, v13
	v_cmp_gt_i32_e64 s[4:5], s7, v10
	s_nop 0
	v_cndmask_b32_e32 v13, v12, v34, vcc
	v_cndmask_b32_e64 v10, v12, v35, s[4:5]
	v_max3_f32 v14, v11, v13, v10
	v_mbcnt_lo_u32_b32 v10, -1, 0
	v_mbcnt_hi_u32_b32 v15, -1, v10
	v_and_b32_e32 v10, 64, v15
	v_add_u32_e32 v16, 64, v10
	v_xor_b32_e32 v10, 32, v15
	v_cmp_lt_i32_e64 s[38:39], v10, v16
	s_nop 1
	v_cndmask_b32_e64 v10, v15, v10, s[38:39]
	v_lshlrev_b32_e32 v51, 2, v10
	ds_bpermute_b32 v17, v51, v14
	v_lshl_add_u64 v[10:11], s[46:47], 0, v[58:59]
	v_mad_i64_i32 v[12:13], s[38:39], v62, s45, v[10:11]
	s_waitcnt lgkmcnt(0)
	v_max_f32_e32 v17, v17, v17
	v_max_f32_e32 v19, v14, v17
	v_xor_b32_e32 v14, 16, v15
	v_cmp_lt_i32_e64 s[38:39], v14, v16
	s_nop 1
	v_cndmask_b32_e64 v14, v15, v14, s[38:39]
	v_lshlrev_b32_e32 v58, 2, v14
	ds_bpermute_b32 v20, v58, v19
	v_mad_i64_i32 v[14:15], s[38:39], v53, s45, v[10:11]
	v_mad_i64_i32 v[16:17], s[38:39], v64, s45, v[10:11]
	s_waitcnt lgkmcnt(0)
	v_max_f32_e32 v20, v20, v20
	v_max_f32_e32 v50, v19, v20
	v_sub_f32_e32 v18, v18, v50
	v_sub_f32_e32 v19, v33, v50
	v_mul_f32_e32 v18, 0x3fb8aa3b, v18
	v_mul_f32_e32 v19, 0x3fb8aa3b, v19
	v_exp_f32_e32 v18, v18
	v_exp_f32_e32 v19, v19
	v_sub_f32_e32 v49, v31, v50
	v_mad_i64_i32 v[10:11], s[38:39], v63, s45, v[10:11]
	v_cndmask_b32_e64 v46, 0, v18, s[8:9]
	v_cndmask_b32_e64 v47, 0, v19, s[10:11]
	global_load_dwordx4 v[30:33], v[12:13], off
	global_load_dwordx4 v[18:21], v[14:15], off
	v_sub_f32_e32 v12, v48, v50
	v_mul_f32_e32 v12, 0x3fb8aa3b, v12
	v_exp_f32_e32 v48, v12
	global_load_dwordx4 v[14:17], v[16:17], off
	s_nop 0
	global_load_dwordx4 v[10:13], v[10:11], off
	v_sub_f32_e32 v40, v40, v50
	v_sub_f32_e32 v42, v42, v50
	v_mul_f32_e32 v40, 0x3fb8aa3b, v40
	v_mul_f32_e32 v42, 0x3fb8aa3b, v42
	v_exp_f32_e32 v40, v40
	v_exp_f32_e32 v53, v42
	v_mul_f32_e32 v49, 0x3fb8aa3b, v49
	v_sub_f32_e32 v44, v44, v50
	v_exp_f32_e32 v49, v49
	v_mul_f32_e32 v44, 0x3fb8aa3b, v44
	v_sub_f32_e32 v45, v45, v50
	v_sub_f32_e32 v42, v43, v50
	v_exp_f32_e32 v44, v44
	v_mul_f32_e32 v45, 0x3fb8aa3b, v45
	v_mul_f32_e32 v42, 0x3fb8aa3b, v42
	v_exp_f32_e32 v45, v45
	v_sub_f32_e32 v41, v41, v50
	v_exp_f32_e32 v59, v42
	v_cndmask_b32_e64 v42, 0, v40, s[20:21]
	v_cndmask_b32_e64 v40, 0, v53, s[24:25]
	v_add_f32_e32 v53, 0, v46
	v_cndmask_b32_e64 v48, 0, v48, s[12:13]
	v_mul_f32_e32 v41, 0x3fb8aa3b, v41
	v_add_f32_e32 v53, v53, v47
	v_cndmask_b32_e64 v49, 0, v49, s[14:15]
	v_exp_f32_e32 v41, v41
	v_add_f32_e32 v53, v53, v48
	v_cndmask_b32_e64 v44, 0, v44, s[16:17]
	v_sub_f32_e32 v38, v38, v50
	v_add_f32_e32 v53, v53, v49
	v_cndmask_b32_e64 v45, 0, v45, s[18:19]
	v_sub_f32_e32 v39, v39, v50
	v_mul_f32_e32 v38, 0x3fb8aa3b, v38
	v_add_f32_e32 v53, v53, v44
	v_exp_f32_e32 v38, v38
	v_mul_f32_e32 v39, 0x3fb8aa3b, v39
	v_sub_f32_e32 v36, v36, v50
	v_add_f32_e32 v53, v53, v45
	v_cndmask_b32_e64 v43, 0, v41, s[22:23]
	v_exp_f32_e32 v39, v39
	v_mul_f32_e32 v36, 0x3fb8aa3b, v36
	v_sub_f32_e32 v37, v37, v50
	v_add_f32_e32 v53, v53, v42
	v_exp_f32_e32 v36, v36
	v_mul_f32_e32 v37, 0x3fb8aa3b, v37
	v_add_f32_e32 v53, v53, v43
	v_sub_f32_e32 v34, v34, v50
	v_cndmask_b32_e64 v41, 0, v59, s[26:27]
	v_exp_f32_e32 v37, v37
	v_add_f32_e32 v53, v53, v40
	v_mul_f32_e32 v34, 0x3fb8aa3b, v34
	v_sub_f32_e32 v35, v35, v50
	v_cndmask_b32_e64 v38, 0, v38, s[28:29]
	v_add_f32_e32 v53, v53, v41
	v_exp_f32_e32 v34, v34
	v_mul_f32_e32 v35, 0x3fb8aa3b, v35
	v_cndmask_b32_e64 v39, 0, v39, s[30:31]
	v_add_f32_e32 v53, v53, v38
	v_exp_f32_e32 v35, v35
	v_cndmask_b32_e64 v36, 0, v36, s[34:35]
	v_add_f32_e32 v53, v53, v39
	v_cndmask_b32_e64 v37, 0, v37, s[36:37]
	v_add_f32_e32 v53, v53, v36
	v_add_f32_e32 v53, v53, v37
	v_cndmask_b32_e32 v34, 0, v34, vcc
	v_add_f32_e32 v53, v53, v34
	v_cndmask_b32_e64 v35, 0, v35, s[4:5]
	v_add_f32_e32 v53, v53, v35
	ds_bpermute_b32 v51, v51, v53
	v_cmp_gt_u32_e64 s[4:5], 16, v55
	s_waitcnt lgkmcnt(0)
	s_barrier
	v_add_f32_e32 v51, v53, v51
	ds_bpermute_b32 v53, v58, v51
	s_and_saveexec_b64 s[8:9], s[4:5]
	s_cbranch_execz .LBB1260_15
; %bb.14:
	s_waitcnt lgkmcnt(0)
	v_add_f32_e32 v51, v51, v53
	v_lshlrev_b32_e32 v52, 2, v52
	ds_write2st64_b32 v52, v50, v51 offset1:1
.LBB1260_15:
	s_or_b64 exec, exec, s[8:9]
	v_lshlrev_b32_e32 v51, 2, v56
	s_load_dword s7, s[0:1], 0x94
	s_waitcnt lgkmcnt(0)
	s_barrier
	ds_read2_b32 v[52:53], v51 offset1:16
	ds_read2_b32 v[58:59], v51 offset0:32 offset1:48
	ds_read2_b32 v[62:63], v51 offset0:64 offset1:80
	s_movk_i32 s11, 0x7fff
	s_mul_i32 s10, s44, 13
	s_waitcnt lgkmcnt(2)
	v_max3_f32 v50, v52, s40, v53
	s_waitcnt lgkmcnt(1)
	v_max3_f32 v50, v50, v58, v59
	v_sub_f32_e32 v52, v52, v50
	v_mul_f32_e32 v52, 0x3fb8aa3b, v52
	v_exp_f32_e32 v55, v52
	v_sub_f32_e32 v52, v53, v50
	v_mul_f32_e32 v52, 0x3fb8aa3b, v52
	v_exp_f32_e32 v61, v52
	;; [unrolled: 3-line block ×3, first 2 shown]
	ds_read2_b32 v[52:53], v51 offset0:96 offset1:112
	v_sub_f32_e32 v51, v59, v50
	v_mul_f32_e32 v51, 0x3fb8aa3b, v51
	v_exp_f32_e32 v59, v51
	s_waitcnt lgkmcnt(1)
	v_fma_f32 v51, v55, v62, 0
	v_fmac_f32_e32 v51, v61, v63
	s_waitcnt lgkmcnt(0)
	v_fmac_f32_e32 v51, v58, v52
	v_fmac_f32_e32 v51, v59, v53
	v_add_f32_e32 v52, 0x358637bd, v51
	v_div_scale_f32 v53, s[8:9], v52, v52, 1.0
	v_rcp_f32_e32 v62, v53
	s_barrier
	v_fma_f32 v63, -v53, v62, 1.0
	v_fmac_f32_e32 v62, v63, v62
	v_div_scale_f32 v63, vcc, 1.0, v52, 1.0
	v_mul_f32_e32 v64, v63, v62
	v_fma_f32 v65, -v53, v64, v63
	v_fmac_f32_e32 v64, v65, v62
	v_fma_f32 v53, -v53, v64, v63
	v_div_fmas_f32 v53, v53, v62, v64
	v_cmp_eq_u32_e32 vcc, 1, v57
	v_div_fixup_f32 v52, v53, v52, 1.0
	s_nop 0
	v_cndmask_b32_e32 v53, v55, v61, vcc
	v_cmp_eq_u32_e32 vcc, 2, v57
	s_nop 1
	v_cndmask_b32_e32 v53, v53, v58, vcc
	v_cmp_eq_u32_e32 vcc, 3, v57
	s_nop 1
	v_cndmask_b32_e32 v53, v53, v59, vcc
	v_mul_f32_e32 v52, v53, v52
	v_pk_mul_f32 v[46:47], v[52:53], v[46:47] op_sel_hi:[0,1]
	v_pk_mul_f32 v[48:49], v[52:53], v[48:49] op_sel_hi:[0,1]
	v_bfe_u32 v53, v47, 16, 1
	v_bfe_u32 v55, v46, 16, 1
	v_add3_u32 v46, v46, v55, s11
	v_add3_u32 v47, v47, v53, s11
	v_perm_b32 v58, v47, v46, s33
	v_bfe_u32 v46, v49, 16, 1
	v_bfe_u32 v47, v48, 16, 1
	v_add3_u32 v47, v48, v47, s11
	v_add3_u32 v46, v49, v46, s11
	v_perm_b32 v59, v46, v47, s33
	v_lshlrev_b32_e32 v47, 3, v60
	v_lshlrev_b32_e32 v46, 5, v56
	;; [unrolled: 1-line block ×3, first 2 shown]
	v_pk_mul_f32 v[44:45], v[52:53], v[44:45] op_sel_hi:[0,1]
	v_or3_b32 v55, v48, v46, v47
	v_bfe_u32 v47, v45, 16, 1
	v_bfe_u32 v48, v44, 16, 1
	v_pk_mul_f32 v[42:43], v[52:53], v[42:43] op_sel_hi:[0,1]
	v_add3_u32 v44, v44, v48, s11
	v_add3_u32 v45, v45, v47, s11
	v_perm_b32 v44, v45, v44, s33
	v_bfe_u32 v45, v43, 16, 1
	v_bfe_u32 v47, v42, 16, 1
	v_add3_u32 v42, v42, v47, s11
	v_add3_u32 v43, v43, v45, s11
	v_pk_mul_f32 v[40:41], v[52:53], v[40:41] op_sel_hi:[0,1]
	v_perm_b32 v45, v43, v42, s33
	v_bfe_u32 v42, v41, 16, 1
	v_bfe_u32 v43, v40, 16, 1
	v_pk_mul_f32 v[38:39], v[52:53], v[38:39] op_sel_hi:[0,1]
	v_add3_u32 v40, v40, v43, s11
	v_add3_u32 v41, v41, v42, s11
	v_perm_b32 v40, v41, v40, s33
	v_bfe_u32 v41, v39, 16, 1
	v_bfe_u32 v42, v38, 16, 1
	v_add3_u32 v38, v38, v42, s11
	v_add3_u32 v39, v39, v41, s11
	v_pk_mul_f32 v[36:37], v[52:53], v[36:37] op_sel_hi:[0,1]
	v_perm_b32 v41, v39, v38, s33
	v_bfe_u32 v38, v37, 16, 1
	v_bfe_u32 v39, v36, 16, 1
	v_pk_mul_f32 v[34:35], v[52:53], v[34:35] op_sel_hi:[0,1]
	v_add3_u32 v36, v36, v39, s11
	v_add3_u32 v37, v37, v38, s11
	v_perm_b32 v36, v37, v36, s33
	v_bfe_u32 v37, v35, 16, 1
	v_bfe_u32 v38, v34, 16, 1
	v_add3_u32 v34, v34, v38, s11
	v_add3_u32 v35, v35, v37, s11
	v_perm_b32 v37, v35, v34, s33
	v_cmp_gt_u32_e32 vcc, 13, v0
	ds_write2st64_b64 v55, v[58:59], v[44:45] offset1:1
	ds_write2st64_b64 v55, v[40:41], v[36:37] offset0:2 offset1:3
	s_and_saveexec_b64 s[8:9], vcc
	s_cbranch_execz .LBB1260_17
; %bb.16:
	s_mov_b32 s49, 0
	v_mov_b32_e32 v57, 0
	v_lshl_add_u64 v[34:35], s[48:49], 0, v[56:57]
	v_mov_b32_e32 v36, s10
	v_mad_u64_u32 v[34:35], s[16:17], s2, v36, v[34:35]
	s_mul_i32 s3, s3, s10
	v_mov_b32_e32 v36, s6
	v_mov_b32_e32 v37, v57
	s_load_dwordx4 s[12:15], s[0:1], 0x58
	v_add_u32_e32 v38, s3, v35
	v_mad_u64_u32 v[34:35], s[16:17], v34, s7, v[36:37]
	v_mov_b32_e32 v36, v35
	v_mad_u64_u32 v[36:37], s[16:17], v38, s7, v[36:37]
	v_mov_b32_e32 v35, v36
	v_lshlrev_b64 v[34:35], 2, v[34:35]
	s_waitcnt lgkmcnt(0)
	v_lshl_add_u64 v[36:37], s[14:15], 0, v[34:35]
	v_lshl_add_u64 v[34:35], s[12:13], 0, v[34:35]
	global_store_dword v[36:37], v50, off
	global_store_dword v[34:35], v51, off
.LBB1260_17:
	s_or_b64 exec, exec, s[8:9]
	s_waitcnt vmcnt(7)
	v_cvt_pk_f32_fp8_e32 v[34:35], v6
	v_cvt_pk_f32_fp8_sdwa v[36:37], v6 src0_sel:WORD_1
	v_lshl_or_b32 v50, v60, 9, v46
	s_mov_b32 s9, 0x7060302
	s_waitcnt lgkmcnt(0)
	s_barrier
	v_cvt_pk_f32_fp8_e32 v[38:39], v7
	v_perm_b32 v6, v35, v34, s9
	v_cvt_pk_f32_fp8_sdwa v[40:41], v7 src0_sel:WORD_1
	v_perm_b32 v7, v37, v36, s9
	ds_read_b128 v[34:37], v50
	v_perm_b32 v46, v39, v38, s9
	v_perm_b32 v47, v41, v40, s9
	ds_read_b128 v[38:41], v50 offset:16
	v_cvt_pk_f32_fp8_e32 v[48:49], v8
	v_cvt_pk_f32_fp8_sdwa v[52:53], v8 src0_sel:WORD_1
	s_waitcnt lgkmcnt(1)
	v_mfma_f32_16x16x16_bf16 v[42:45], v[6:7], v[34:35], 0
	s_waitcnt vmcnt(6)
	v_cvt_pk_f32_fp8_e32 v[58:59], v4
	v_perm_b32 v6, v49, v48, s9
	v_perm_b32 v7, v53, v52, s9
	v_cvt_pk_f32_fp8_e32 v[48:49], v9
	v_mfma_f32_16x16x16_bf16 v[42:45], v[46:47], v[36:37], v[42:45]
	v_cvt_pk_f32_fp8_sdwa v[46:47], v9 src0_sel:WORD_1
	v_cvt_pk_f32_fp8_sdwa v[62:63], v4 src0_sel:WORD_1
	v_perm_b32 v48, v49, v48, s9
	s_waitcnt lgkmcnt(0)
	v_mfma_f32_16x16x16_bf16 v[6:9], v[6:7], v[38:39], v[42:45]
	v_perm_b32 v49, v47, v46, s9
	s_waitcnt vmcnt(5)
	v_cvt_pk_f32_fp8_sdwa v[66:67], v28 src0_sel:WORD_1
	s_waitcnt vmcnt(4)
	v_cvt_pk_f32_fp8_sdwa v[68:69], v24 src0_sel:WORD_1
	v_cvt_pk_f32_fp8_e32 v[42:43], v2
	v_mfma_f32_16x16x16_bf16 v[46:49], v[48:49], v[40:41], v[6:9]
	s_load_dword s8, s[42:43], 0x0
	s_waitcnt vmcnt(3)
	v_cvt_pk_f32_fp8_sdwa v[70:71], v32 src0_sel:WORD_1
	v_cvt_pk_f32_fp8_sdwa v[6:7], v2 src0_sel:WORD_1
	v_cvt_pk_f32_fp8_e32 v[8:9], v3
	v_perm_b32 v2, v43, v42, s9
	v_cvt_pk_f32_fp8_sdwa v[42:43], v3 src0_sel:WORD_1
	v_perm_b32 v3, v7, v6, s9
	v_perm_b32 v52, v9, v8, s9
	ds_read_b128 v[6:9], v50 offset:2048
	v_perm_b32 v53, v43, v42, s9
	ds_read_b128 v[42:45], v50 offset:2064
	s_waitcnt lgkmcnt(0)
	v_mfma_f32_16x16x16_bf16 v[46:49], v[2:3], v[6:7], v[46:49]
	v_perm_b32 v2, v59, v58, s9
	v_perm_b32 v3, v63, v62, s9
	v_cvt_pk_f32_fp8_e32 v[58:59], v5
	v_mfma_f32_16x16x16_bf16 v[46:49], v[52:53], v[8:9], v[46:49]
	v_cvt_pk_f32_fp8_sdwa v[52:53], v5 src0_sel:WORD_1
	s_mov_b32 s3, 0
	v_perm_b32 v58, v59, v58, s9
	v_mfma_f32_16x16x16_bf16 v[2:5], v[2:3], v[42:43], v[46:49]
	v_perm_b32 v59, v53, v52, s9
	v_cmp_gt_u32_e32 vcc, 64, v0
	s_nop 0
	v_cvt_pk_f32_fp8_e32 v[46:47], v26
	v_mfma_f32_16x16x16_bf16 v[62:65], v[58:59], v[44:45], v[2:5]
	v_cvt_pk_f32_fp8_e32 v[58:59], v28
	s_nop 1
	v_cvt_pk_f32_fp8_sdwa v[2:3], v26 src0_sel:WORD_1
	v_cvt_pk_f32_fp8_e32 v[4:5], v27
	v_perm_b32 v26, v47, v46, s9
	v_cvt_pk_f32_fp8_sdwa v[46:47], v27 src0_sel:WORD_1
	v_perm_b32 v27, v3, v2, s9
	v_perm_b32 v52, v5, v4, s9
	ds_read_b128 v[2:5], v50 offset:4096
	v_perm_b32 v53, v47, v46, s9
	ds_read_b128 v[46:49], v50 offset:4112
	s_waitcnt lgkmcnt(1)
	v_mfma_f32_16x16x16_bf16 v[62:65], v[26:27], v[2:3], v[62:65]
	v_perm_b32 v26, v59, v58, s9
	v_perm_b32 v27, v67, v66, s9
	v_cvt_pk_f32_fp8_e32 v[58:59], v29
	v_mfma_f32_16x16x16_bf16 v[62:65], v[52:53], v[4:5], v[62:65]
	v_cvt_pk_f32_fp8_sdwa v[52:53], v29 src0_sel:WORD_1
	v_cvt_pk_f32_fp8_e32 v[66:67], v24
	v_perm_b32 v58, v59, v58, s9
	s_waitcnt lgkmcnt(0)
	v_mfma_f32_16x16x16_bf16 v[26:29], v[26:27], v[46:47], v[62:65]
	v_perm_b32 v59, v53, v52, s9
	v_cvt_pk_f32_fp8_e32 v[52:53], v22
	s_nop 0
	v_mfma_f32_16x16x16_bf16 v[62:65], v[58:59], v[48:49], v[26:29]
	s_nop 2
	v_cvt_pk_f32_fp8_sdwa v[26:27], v22 src0_sel:WORD_1
	v_cvt_pk_f32_fp8_e32 v[28:29], v23
	v_perm_b32 v22, v53, v52, s9
	v_cvt_pk_f32_fp8_sdwa v[52:53], v23 src0_sel:WORD_1
	v_perm_b32 v23, v27, v26, s9
	v_perm_b32 v58, v29, v28, s9
	ds_read_b128 v[26:29], v50 offset:6144
	v_perm_b32 v59, v53, v52, s9
	s_waitcnt lgkmcnt(0)
	v_mfma_f32_16x16x16_bf16 v[62:65], v[22:23], v[26:27], v[62:65]
	ds_read_b128 v[50:53], v50 offset:6160
	v_perm_b32 v22, v67, v66, s9
	v_perm_b32 v23, v69, v68, s9
	v_cvt_pk_f32_fp8_e32 v[66:67], v25
	v_mfma_f32_16x16x16_bf16 v[62:65], v[58:59], v[28:29], v[62:65]
	v_cvt_pk_f32_fp8_sdwa v[58:59], v25 src0_sel:WORD_1
	v_cvt_pk_f32_fp8_e32 v[68:69], v32
	v_perm_b32 v66, v67, v66, s9
	s_waitcnt lgkmcnt(0)
	v_mfma_f32_16x16x16_bf16 v[22:25], v[22:23], v[50:51], v[62:65]
	v_perm_b32 v67, v59, v58, s9
	v_cvt_pk_f32_fp8_sdwa v[58:59], v30 src0_sel:WORD_1
	s_nop 0
	v_mfma_f32_16x16x16_bf16 v[62:65], v[66:67], v[52:53], v[22:25]
	s_barrier
	s_nop 1
	v_cvt_pk_f32_fp8_e32 v[24:25], v30
	s_nop 2
	v_pk_mul_f32 v[66:67], v[62:63], s[8:9] op_sel_hi:[1,0]
	v_cvt_pk_f32_fp8_e32 v[62:63], v31
	v_perm_b32 v24, v25, v24, s9
	v_perm_b32 v25, v59, v58, s9
	v_cvt_pk_f32_fp8_sdwa v[30:31], v31 src0_sel:WORD_1
	v_perm_b32 v58, v63, v62, s9
	v_pk_mul_f32 v[22:23], v[64:65], s[8:9] op_sel_hi:[1,0]
	v_mfma_f32_16x16x16_bf16 v[62:65], v[24:25], v[34:35], 0
	v_perm_b32 v59, v31, v30, s9
	v_perm_b32 v24, v69, v68, s9
	v_perm_b32 v25, v71, v70, s9
	v_cvt_pk_f32_fp8_e32 v[34:35], v33
	v_cvt_pk_f32_fp8_sdwa v[68:69], v33 src0_sel:WORD_1
	v_mfma_f32_16x16x16_bf16 v[30:33], v[58:59], v[36:37], v[62:65]
	s_waitcnt vmcnt(2)
	v_cvt_pk_f32_fp8_sdwa v[36:37], v18 src0_sel:WORD_1
	v_perm_b32 v34, v35, v34, s9
	v_perm_b32 v35, v69, v68, s9
	v_mfma_f32_16x16x16_bf16 v[30:33], v[24:25], v[38:39], v[30:33]
	v_cvt_pk_f32_fp8_e32 v[24:25], v18
	v_cvt_pk_f32_fp8_sdwa v[38:39], v20 src0_sel:WORD_1
	v_bfe_u32 v57, v67, 16, 1
	v_mfma_f32_16x16x16_bf16 v[30:33], v[34:35], v[40:41], v[30:33]
	v_cvt_pk_f32_fp8_e32 v[34:35], v19
	v_perm_b32 v24, v25, v24, s9
	v_perm_b32 v25, v37, v36, s9
	v_cvt_pk_f32_fp8_sdwa v[18:19], v19 src0_sel:WORD_1
	v_perm_b32 v34, v35, v34, s9
	v_cvt_pk_f32_fp8_e32 v[36:37], v20
	v_mfma_f32_16x16x16_bf16 v[30:33], v[24:25], v[6:7], v[30:33]
	v_perm_b32 v35, v19, v18, s9
	v_perm_b32 v18, v37, v36, s9
	;; [unrolled: 1-line block ×3, first 2 shown]
	v_cvt_pk_f32_fp8_e32 v[24:25], v21
	v_cvt_pk_f32_fp8_sdwa v[20:21], v21 src0_sel:WORD_1
	v_mfma_f32_16x16x16_bf16 v[6:9], v[34:35], v[8:9], v[30:33]
	v_bfe_u32 v58, v66, 16, 1
	v_perm_b32 v24, v25, v24, s9
	v_perm_b32 v25, v21, v20, s9
	v_mfma_f32_16x16x16_bf16 v[6:9], v[18:19], v[42:43], v[6:9]
	s_waitcnt vmcnt(1)
	v_cvt_pk_f32_fp8_e32 v[18:19], v14
	v_cvt_pk_f32_fp8_sdwa v[20:21], v14 src0_sel:WORD_1
	v_cvt_pk_f32_fp8_sdwa v[30:31], v16 src0_sel:WORD_1
	v_mfma_f32_16x16x16_bf16 v[6:9], v[24:25], v[44:45], v[6:9]
	v_cvt_pk_f32_fp8_e32 v[24:25], v15
	v_perm_b32 v18, v19, v18, s9
	v_perm_b32 v19, v21, v20, s9
	v_cvt_pk_f32_fp8_sdwa v[14:15], v15 src0_sel:WORD_1
	v_perm_b32 v20, v25, v24, s9
	v_cvt_pk_f32_fp8_e32 v[24:25], v16
	v_mfma_f32_16x16x16_bf16 v[6:9], v[18:19], v[2:3], v[6:9]
	v_perm_b32 v21, v15, v14, s9
	v_perm_b32 v14, v25, v24, s9
	;; [unrolled: 1-line block ×3, first 2 shown]
	v_cvt_pk_f32_fp8_e32 v[18:19], v17
	v_cvt_pk_f32_fp8_sdwa v[16:17], v17 src0_sel:WORD_1
	v_mfma_f32_16x16x16_bf16 v[2:5], v[20:21], v[4:5], v[6:9]
	v_add3_u32 v32, v66, v58, s11
	v_add3_u32 v33, v67, v57, s11
	s_nop 0
	v_perm_b32 v8, v19, v18, s9
	v_perm_b32 v9, v17, v16, s9
	v_mfma_f32_16x16x16_bf16 v[2:5], v[14:15], v[46:47], v[2:5]
	s_waitcnt vmcnt(0)
	v_cvt_pk_f32_fp8_e32 v[14:15], v10
	v_cvt_pk_f32_fp8_sdwa v[16:17], v10 src0_sel:WORD_1
	v_cvt_pk_f32_fp8_sdwa v[18:19], v12 src0_sel:WORD_1
	v_mfma_f32_16x16x16_bf16 v[2:5], v[8:9], v[48:49], v[2:5]
	v_cvt_pk_f32_fp8_e32 v[8:9], v11
	v_perm_b32 v14, v15, v14, s9
	v_perm_b32 v15, v17, v16, s9
	v_cvt_pk_f32_fp8_sdwa v[10:11], v11 src0_sel:WORD_1
	v_perm_b32 v8, v9, v8, s9
	v_cvt_pk_f32_fp8_e32 v[16:17], v12
	v_mfma_f32_16x16x16_bf16 v[2:5], v[14:15], v[26:27], v[2:5]
	v_perm_b32 v9, v11, v10, s9
	v_perm_b32 v10, v17, v16, s9
	;; [unrolled: 1-line block ×3, first 2 shown]
	v_cvt_pk_f32_fp8_e32 v[14:15], v13
	v_cvt_pk_f32_fp8_sdwa v[12:13], v13 src0_sel:WORD_1
	v_mfma_f32_16x16x16_bf16 v[2:5], v[8:9], v[28:29], v[2:5]
	v_bfe_u32 v7, v23, 16, 1
	v_perm_b32 v8, v15, v14, s9
	v_perm_b32 v9, v13, v12, s9
	v_mfma_f32_16x16x16_bf16 v[2:5], v[10:11], v[50:51], v[2:5]
	v_bfe_u32 v16, v22, 16, 1
	v_add3_u32 v10, v22, v16, s11
	v_add3_u32 v7, v23, v7, s11
	v_mfma_f32_16x16x16_bf16 v[2:5], v[8:9], v[52:53], v[2:5]
	v_perm_b32 v6, v33, v32, s9
	v_perm_b32 v7, v7, v10, s9
	s_nop 4
	v_pk_mul_f32 v[2:3], v[2:3], s[8:9] op_sel_hi:[1,0]
	v_pk_mul_f32 v[4:5], v[4:5], s[8:9] op_sel_hi:[1,0]
	v_bfe_u32 v8, v3, 16, 1
	v_bfe_u32 v9, v2, 16, 1
	v_add3_u32 v2, v2, v9, s11
	v_add3_u32 v3, v3, v8, s11
	v_perm_b32 v2, v3, v2, s9
	v_bfe_u32 v3, v5, 16, 1
	v_bfe_u32 v8, v4, 16, 1
	v_add3_u32 v4, v4, v8, s11
	v_add3_u32 v3, v5, v3, s11
	v_perm_b32 v3, v3, v4, s9
	ds_write2st64_b64 v55, v[6:7], v[2:3] offset1:1
	s_waitcnt lgkmcnt(0)
	s_barrier
	s_and_saveexec_b64 s[8:9], vcc
	s_cbranch_execz .LBB1260_20
; %bb.18:
	s_load_dwordx2 s[8:9], s[0:1], 0x68
	s_lshl_b32 s0, s7, 7
	s_mul_i32 s1, s10, s2
	v_lshlrev_b32_e32 v3, 6, v56
	s_mul_hi_u32 s11, s1, s0
	s_mul_i32 s10, s1, s0
	v_lshl_or_b32 v0, v0, 10, v3
	s_lshl_b64 s[10:11], s[10:11], 1
	v_lshlrev_b32_e32 v2, 5, v60
	v_and_b32_e32 v1, 16, v1
	v_and_b32_e32 v0, 0x1a00, v0
	s_waitcnt lgkmcnt(0)
	s_add_u32 s1, s8, s10
	v_or3_b32 v2, v0, v2, v1
	s_addc_u32 s7, s9, s11
	s_lshl_b32 s2, s6, 7
	ds_read_b128 v[4:7], v2 offset:256
	s_lshl_b64 s[2:3], s[2:3], 1
	ds_read_b128 v[8:11], v2 offset:128
	ds_read_b128 v[12:15], v2
	s_add_u32 s2, s1, s2
	s_addc_u32 s3, s7, s3
	v_mov_b32_e32 v55, 0
	v_add_u32_e32 v3, s48, v60
	v_lshl_add_u64 v[0:1], s[2:3], 0, v[54:55]
	v_mad_u64_u32 v[16:17], s[2:3], v3, s0, 0
	v_lshl_add_u64 v[16:17], v[16:17], 1, v[0:1]
	s_waitcnt lgkmcnt(0)
	global_store_dwordx4 v[16:17], v[12:15], off
	s_nop 1
	v_add_u32_e32 v12, 4, v3
	v_mad_u64_u32 v[12:13], s[2:3], v12, s0, 0
	v_lshl_add_u64 v[12:13], v[12:13], 1, v[0:1]
	v_add_u32_e32 v3, 8, v3
	global_store_dwordx4 v[12:13], v[8:11], off
	s_nop 1
	v_mad_u64_u32 v[8:9], s[2:3], v3, s0, 0
	v_lshl_add_u64 v[8:9], v[8:9], 1, v[0:1]
	global_store_dwordx4 v[8:9], v[4:7], off
	s_and_b64 exec, exec, s[4:5]
	s_cbranch_execz .LBB1260_20
; %bb.19:
	ds_read_b128 v[2:5], v2 offset:384
	v_add3_u32 v6, s48, v60, 12
	v_mad_u64_u32 v[6:7], s[0:1], v6, s0, 0
	v_lshl_add_u64 v[0:1], v[6:7], 1, v[0:1]
	s_waitcnt lgkmcnt(0)
	global_store_dwordx4 v[0:1], v[2:5], off
.LBB1260_20:
	s_endpgm
	.section	.rodata,"a",@progbits
	.p2align	6, 0x0
	.amdhsa_kernel _Z39paged_attention_ll4mi_QKV_mfma16_kernelI14__hip_bfloat16hLN4vllm18Fp8KVCacheDataTypeE1EhLi16ELi128ELi256ELb1ELi13EEvPKT_PKT0_S8_ifPKiSA_SA_iPKfiiiPfSD_PS3_PT2_iSC_SC_
		.amdhsa_group_segment_fixed_size 8192
		.amdhsa_private_segment_fixed_size 0
		.amdhsa_kernarg_size 400
		.amdhsa_user_sgpr_count 2
		.amdhsa_user_sgpr_dispatch_ptr 0
		.amdhsa_user_sgpr_queue_ptr 0
		.amdhsa_user_sgpr_kernarg_segment_ptr 1
		.amdhsa_user_sgpr_dispatch_id 0
		.amdhsa_user_sgpr_kernarg_preload_length 0
		.amdhsa_user_sgpr_kernarg_preload_offset 0
		.amdhsa_user_sgpr_private_segment_size 0
		.amdhsa_uses_dynamic_stack 0
		.amdhsa_enable_private_segment 0
		.amdhsa_system_sgpr_workgroup_id_x 1
		.amdhsa_system_sgpr_workgroup_id_y 1
		.amdhsa_system_sgpr_workgroup_id_z 1
		.amdhsa_system_sgpr_workgroup_info 0
		.amdhsa_system_vgpr_workitem_id 0
		.amdhsa_next_free_vgpr 76
		.amdhsa_next_free_sgpr 50
		.amdhsa_accum_offset 76
		.amdhsa_reserve_vcc 1
		.amdhsa_float_round_mode_32 0
		.amdhsa_float_round_mode_16_64 0
		.amdhsa_float_denorm_mode_32 3
		.amdhsa_float_denorm_mode_16_64 3
		.amdhsa_dx10_clamp 1
		.amdhsa_ieee_mode 1
		.amdhsa_fp16_overflow 0
		.amdhsa_tg_split 0
		.amdhsa_exception_fp_ieee_invalid_op 0
		.amdhsa_exception_fp_denorm_src 0
		.amdhsa_exception_fp_ieee_div_zero 0
		.amdhsa_exception_fp_ieee_overflow 0
		.amdhsa_exception_fp_ieee_underflow 0
		.amdhsa_exception_fp_ieee_inexact 0
		.amdhsa_exception_int_div_zero 0
	.end_amdhsa_kernel
	.section	.text._Z39paged_attention_ll4mi_QKV_mfma16_kernelI14__hip_bfloat16hLN4vllm18Fp8KVCacheDataTypeE1EhLi16ELi128ELi256ELb1ELi13EEvPKT_PKT0_S8_ifPKiSA_SA_iPKfiiiPfSD_PS3_PT2_iSC_SC_,"axG",@progbits,_Z39paged_attention_ll4mi_QKV_mfma16_kernelI14__hip_bfloat16hLN4vllm18Fp8KVCacheDataTypeE1EhLi16ELi128ELi256ELb1ELi13EEvPKT_PKT0_S8_ifPKiSA_SA_iPKfiiiPfSD_PS3_PT2_iSC_SC_,comdat
.Lfunc_end1260:
	.size	_Z39paged_attention_ll4mi_QKV_mfma16_kernelI14__hip_bfloat16hLN4vllm18Fp8KVCacheDataTypeE1EhLi16ELi128ELi256ELb1ELi13EEvPKT_PKT0_S8_ifPKiSA_SA_iPKfiiiPfSD_PS3_PT2_iSC_SC_, .Lfunc_end1260-_Z39paged_attention_ll4mi_QKV_mfma16_kernelI14__hip_bfloat16hLN4vllm18Fp8KVCacheDataTypeE1EhLi16ELi128ELi256ELb1ELi13EEvPKT_PKT0_S8_ifPKiSA_SA_iPKfiiiPfSD_PS3_PT2_iSC_SC_
                                        ; -- End function
	.section	.AMDGPU.csdata,"",@progbits
; Kernel info:
; codeLenInByte = 6656
; NumSgprs: 56
; NumVgprs: 76
; NumAgprs: 0
; TotalNumVgprs: 76
; ScratchSize: 0
; MemoryBound: 0
; FloatMode: 240
; IeeeMode: 1
; LDSByteSize: 8192 bytes/workgroup (compile time only)
; SGPRBlocks: 6
; VGPRBlocks: 9
; NumSGPRsForWavesPerEU: 56
; NumVGPRsForWavesPerEU: 76
; AccumOffset: 76
; Occupancy: 6
; WaveLimiterHint : 1
; COMPUTE_PGM_RSRC2:SCRATCH_EN: 0
; COMPUTE_PGM_RSRC2:USER_SGPR: 2
; COMPUTE_PGM_RSRC2:TRAP_HANDLER: 0
; COMPUTE_PGM_RSRC2:TGID_X_EN: 1
; COMPUTE_PGM_RSRC2:TGID_Y_EN: 1
; COMPUTE_PGM_RSRC2:TGID_Z_EN: 1
; COMPUTE_PGM_RSRC2:TIDIG_COMP_CNT: 0
; COMPUTE_PGM_RSRC3_GFX90A:ACCUM_OFFSET: 18
; COMPUTE_PGM_RSRC3_GFX90A:TG_SPLIT: 0
	.section	.text._Z39paged_attention_ll4mi_QKV_mfma16_kernelI14__hip_bfloat16hLN4vllm18Fp8KVCacheDataTypeE1EhLi16ELi128ELi256ELb1ELi14EEvPKT_PKT0_S8_ifPKiSA_SA_iPKfiiiPfSD_PS3_PT2_iSC_SC_,"axG",@progbits,_Z39paged_attention_ll4mi_QKV_mfma16_kernelI14__hip_bfloat16hLN4vllm18Fp8KVCacheDataTypeE1EhLi16ELi128ELi256ELb1ELi14EEvPKT_PKT0_S8_ifPKiSA_SA_iPKfiiiPfSD_PS3_PT2_iSC_SC_,comdat
	.protected	_Z39paged_attention_ll4mi_QKV_mfma16_kernelI14__hip_bfloat16hLN4vllm18Fp8KVCacheDataTypeE1EhLi16ELi128ELi256ELb1ELi14EEvPKT_PKT0_S8_ifPKiSA_SA_iPKfiiiPfSD_PS3_PT2_iSC_SC_ ; -- Begin function _Z39paged_attention_ll4mi_QKV_mfma16_kernelI14__hip_bfloat16hLN4vllm18Fp8KVCacheDataTypeE1EhLi16ELi128ELi256ELb1ELi14EEvPKT_PKT0_S8_ifPKiSA_SA_iPKfiiiPfSD_PS3_PT2_iSC_SC_
	.globl	_Z39paged_attention_ll4mi_QKV_mfma16_kernelI14__hip_bfloat16hLN4vllm18Fp8KVCacheDataTypeE1EhLi16ELi128ELi256ELb1ELi14EEvPKT_PKT0_S8_ifPKiSA_SA_iPKfiiiPfSD_PS3_PT2_iSC_SC_
	.p2align	8
	.type	_Z39paged_attention_ll4mi_QKV_mfma16_kernelI14__hip_bfloat16hLN4vllm18Fp8KVCacheDataTypeE1EhLi16ELi128ELi256ELb1ELi14EEvPKT_PKT0_S8_ifPKiSA_SA_iPKfiiiPfSD_PS3_PT2_iSC_SC_,@function
_Z39paged_attention_ll4mi_QKV_mfma16_kernelI14__hip_bfloat16hLN4vllm18Fp8KVCacheDataTypeE1EhLi16ELi128ELi256ELb1ELi14EEvPKT_PKT0_S8_ifPKiSA_SA_iPKfiiiPfSD_PS3_PT2_iSC_SC_: ; @_Z39paged_attention_ll4mi_QKV_mfma16_kernelI14__hip_bfloat16hLN4vllm18Fp8KVCacheDataTypeE1EhLi16ELi128ELi256ELb1ELi14EEvPKT_PKT0_S8_ifPKiSA_SA_iPKfiiiPfSD_PS3_PT2_iSC_SC_
; %bb.0:
	s_load_dwordx2 s[10:11], s[0:1], 0x30
	s_mov_b32 s6, s3
	s_mov_b64 s[8:9], 0
	s_waitcnt lgkmcnt(0)
	s_cmp_lg_u64 s[10:11], 0
	s_cselect_b64 s[12:13], -1, 0
	s_and_b64 vcc, exec, s[12:13]
	s_cbranch_vccz .LBB1261_7
; %bb.1:
	s_add_i32 s14, s2, 1
	s_mov_b32 s15, 0
	s_lshl_b64 s[16:17], s[14:15], 2
	s_add_u32 s16, s10, s16
	s_mov_b32 s3, s15
	s_addc_u32 s17, s11, s17
	s_lshl_b64 s[14:15], s[2:3], 2
	s_add_u32 s14, s10, s14
	s_addc_u32 s15, s11, s15
	s_load_dword s5, s[16:17], 0x0
	s_load_dword s7, s[14:15], 0x0
	s_waitcnt lgkmcnt(0)
	s_sub_i32 s5, s5, s7
	s_cmp_eq_u32 s5, 1
	s_cselect_b64 s[14:15], -1, 0
	s_andn2_b64 vcc, exec, s[8:9]
	s_cbranch_vccnz .LBB1261_3
.LBB1261_2:
	s_mov_b32 s3, 0
	s_mov_b64 s[14:15], -1
.LBB1261_3:
	s_andn2_b64 vcc, exec, s[14:15]
	s_cbranch_vccnz .LBB1261_20
; %bb.4:
	s_load_dwordx2 s[8:9], s[0:1], 0x28
	s_lshl_b64 s[14:15], s[2:3], 2
	s_waitcnt lgkmcnt(0)
	s_add_u32 s8, s8, s14
	s_addc_u32 s9, s9, s15
	s_load_dword s7, s[8:9], 0x0
	s_lshl_b32 s18, s6, 8
	s_waitcnt lgkmcnt(0)
	s_cmp_ge_i32 s18, s7
	s_cbranch_scc1 .LBB1261_20
; %bb.5:
	s_load_dwordx2 s[8:9], s[0:1], 0x20
	s_load_dword s5, s[0:1], 0x38
	s_add_i32 s16, s7, 15
	s_ashr_i32 s17, s16, 31
	v_and_b32_e32 v1, 0xcf, v0
	s_lshr_b32 s17, s17, 28
	v_add_u32_e32 v1, s18, v1
	s_add_i32 s16, s16, s17
	v_ashrrev_i32_e32 v2, 31, v1
	s_ashr_i32 s19, s16, 4
	v_lshrrev_b32_e32 v4, 28, v2
	s_add_i32 s19, s19, -1
	s_waitcnt lgkmcnt(0)
	s_mul_i32 s16, s2, s5
	s_mov_b32 s17, 0
	v_add_u32_e32 v2, v1, v4
	s_lshl_b64 s[16:17], s[16:17], 2
	v_ashrrev_i32_e32 v2, 4, v2
	v_mov_b32_e32 v5, s19
	v_cmp_gt_i32_e32 vcc, s7, v1
	s_add_u32 s8, s8, s16
	s_addc_u32 s9, s9, s17
	v_cndmask_b32_e32 v2, v5, v2, vcc
	v_ashrrev_i32_e32 v3, 31, v2
	v_lshl_add_u64 v[6:7], v[2:3], 2, s[8:9]
	v_or_b32_e32 v2, 16, v1
	v_add_u32_e32 v3, v2, v4
	v_ashrrev_i32_e32 v3, 4, v3
	v_cmp_gt_i32_e32 vcc, s7, v2
	s_load_dwordx2 s[16:17], s[0:1], 0x8
	s_nop 0
	v_cndmask_b32_e32 v2, v5, v3, vcc
	v_ashrrev_i32_e32 v3, 31, v2
	v_lshl_add_u64 v[8:9], v[2:3], 2, s[8:9]
	v_or_b32_e32 v2, 32, v1
	v_add_u32_e32 v3, v2, v4
	v_ashrrev_i32_e32 v3, 4, v3
	v_cmp_gt_i32_e32 vcc, s7, v2
	v_or_b32_e32 v1, 48, v1
	s_nop 0
	v_cndmask_b32_e32 v2, v5, v3, vcc
	v_ashrrev_i32_e32 v3, 31, v2
	v_lshl_add_u64 v[12:13], v[2:3], 2, s[8:9]
	v_add_u32_e32 v2, v1, v4
	v_ashrrev_i32_e32 v2, 4, v2
	v_cmp_gt_i32_e32 vcc, s7, v1
	s_nop 1
	v_cndmask_b32_e32 v2, v5, v2, vcc
	v_ashrrev_i32_e32 v3, 31, v2
	v_lshl_add_u64 v[14:15], v[2:3], 2, s[8:9]
	global_load_dword v4, v[6:7], off
	global_load_dword v3, v[8:9], off
	;; [unrolled: 1-line block ×4, first 2 shown]
	s_andn2_b64 vcc, exec, s[12:13]
	s_cbranch_vccnz .LBB1261_8
; %bb.6:
	s_add_u32 s10, s10, s14
	s_addc_u32 s11, s11, s15
	s_load_dword s5, s[10:11], 0x0
	s_branch .LBB1261_9
.LBB1261_7:
	s_mov_b64 s[14:15], 0
	s_branch .LBB1261_2
.LBB1261_8:
	s_mov_b32 s5, s2
.LBB1261_9:
	s_load_dwordx2 s[10:11], s[0:1], 0x10
	s_load_dwordx4 s[44:47], s[0:1], 0x48
	v_lshrrev_b32_e32 v57, 6, v0
	v_bfe_u32 v60, v0, 4, 2
	v_and_b32_e32 v56, 15, v0
	v_lshl_or_b32 v5, v57, 2, v60
	v_lshlrev_b32_e32 v1, 3, v56
	s_mul_i32 s48, s4, 14
	v_cmp_gt_u32_e32 vcc, 14, v5
	v_lshlrev_b32_e32 v54, 1, v1
	v_lshlrev_b32_e32 v1, 4, v0
	s_and_saveexec_b64 s[12:13], vcc
	s_cbranch_execz .LBB1261_11
; %bb.10:
	s_load_dwordx2 s[14:15], s[0:1], 0x0
	s_waitcnt lgkmcnt(0)
	s_ashr_i32 s20, s44, 31
	s_mul_hi_u32 s21, s5, s44
	s_mul_i32 s20, s5, s20
	s_add_i32 s21, s21, s20
	s_mul_i32 s20, s5, s44
	s_lshl_b64 s[20:21], s[20:21], 1
	s_add_u32 s14, s14, s20
	v_add_lshl_u32 v6, v5, s48, 7
	s_addc_u32 s15, s15, s21
	v_ashrrev_i32_e32 v7, 31, v6
	v_lshl_add_u64 v[6:7], v[6:7], 1, s[14:15]
	v_mov_b32_e32 v55, 0
	v_lshl_add_u64 v[6:7], v[6:7], 0, v[54:55]
	global_load_dwordx4 v[6:9], v[6:7], off
	v_lshlrev_b32_e32 v12, 8, v0
	v_lshlrev_b32_e32 v11, 8, v56
	v_and_b32_e32 v12, 0x600, v12
	s_movk_i32 s5, 0x800
	v_and_or_b32 v11, v11, s5, v12
	v_lshlrev_b32_e32 v5, 5, v5
	v_and_b32_e32 v12, 16, v1
	v_or3_b32 v5, v11, v5, v12
	s_waitcnt vmcnt(0)
	ds_write_b128 v5, v[6:9]
.LBB1261_11:
	s_or_b64 exec, exec, s[12:13]
	s_waitcnt lgkmcnt(0)
	s_mul_i32 s12, s4, s46
	s_add_u32 s4, s16, s12
	s_addc_u32 s5, s17, 0
	v_and_b32_e32 v58, 0xf0, v1
	v_mov_b32_e32 v59, 0
	v_and_b32_e32 v34, 48, v0
	v_lshl_add_u64 v[12:13], s[4:5], 0, v[58:59]
	v_lshlrev_b32_e32 v58, 4, v34
	s_waitcnt vmcnt(3)
	v_mad_i64_i32 v[4:5], s[4:5], v4, s45, v[12:13]
	v_lshl_add_u64 v[4:5], v[4:5], 0, v[58:59]
	s_barrier
	global_load_dwordx4 v[50:53], v[4:5], off
	global_load_dwordx4 v[46:49], v[4:5], off offset:1024
	s_waitcnt vmcnt(4)
	v_mad_i64_i32 v[4:5], s[4:5], v3, s45, v[12:13]
	s_waitcnt vmcnt(3)
	v_mad_i64_i32 v[2:3], s[4:5], v2, s45, v[12:13]
	v_lshl_add_u64 v[4:5], v[4:5], 0, v[58:59]
	v_lshl_add_u64 v[14:15], v[2:3], 0, v[58:59]
	s_waitcnt vmcnt(2)
	v_mad_i64_i32 v[10:11], s[4:5], v10, s45, v[12:13]
	global_load_dwordx4 v[36:39], v[4:5], off
	global_load_dwordx4 v[6:9], v[4:5], off offset:1024
	s_nop 0
	global_load_dwordx4 v[2:5], v[14:15], off
	global_load_dwordx4 v[42:45], v[14:15], off offset:1024
	v_lshl_add_u64 v[14:15], v[10:11], 0, v[58:59]
	global_load_dwordx4 v[26:29], v[14:15], off
	global_load_dwordx4 v[10:13], v[14:15], off offset:1024
	v_add_u32_e32 v14, -14, v56
	v_cmp_gt_u32_e32 vcc, 14, v56
	v_and_b32_e32 v55, 63, v0
	v_mov_b32_e32 v61, 0
	v_cndmask_b32_e32 v14, v14, v56, vcc
	v_lshlrev_b32_e32 v14, 5, v14
	v_lshl_add_u32 v14, v60, 9, v14
	ds_read_b128 v[30:33], v14
	ds_read_b128 v[22:25], v14 offset:16
	ds_read_b128 v[18:21], v14 offset:2048
	;; [unrolled: 1-line block ×3, first 2 shown]
	s_and_saveexec_b64 s[4:5], vcc
	s_cbranch_execz .LBB1261_13
; %bb.12:
	s_load_dwordx2 s[14:15], s[0:1], 0x40
	v_add_u32_e32 v40, s48, v56
	v_ashrrev_i32_e32 v41, 31, v40
	s_waitcnt lgkmcnt(0)
	v_lshl_add_u64 v[40:41], v[40:41], 2, s[14:15]
	global_load_dword v61, v[40:41], off
.LBB1261_13:
	s_or_b64 exec, exec, s[4:5]
	v_or_b32_e32 v58, s18, v34
	v_ashrrev_i32_e32 v34, 4, v58
	v_mov_b32_e32 v63, s19
	v_cmp_gt_i32_e32 vcc, s7, v58
	s_waitcnt vmcnt(7)
	v_cvt_pk_f32_fp8_e32 v[40:41], v50
	v_cvt_pk_f32_fp8_sdwa v[64:65], v50 src0_sel:WORD_1
	v_cndmask_b32_e32 v34, v63, v34, vcc
	v_ashrrev_i32_e32 v35, 31, v34
	v_lshl_add_u64 v[34:35], v[34:35], 2, s[8:9]
	global_load_dword v62, v[34:35], off
	v_or_b32_e32 v34, 64, v58
	v_ashrrev_i32_e32 v35, 4, v34
	v_cmp_gt_i32_e32 vcc, s7, v34
	v_or_b32_e32 v66, 0x80, v58
	v_ashrrev_i32_e32 v67, 4, v66
	v_cndmask_b32_e32 v34, v63, v35, vcc
	v_cmp_gt_i32_e32 vcc, s7, v66
	s_mov_b32 s33, 0x7060302
	v_perm_b32 v40, v41, v40, s33
	v_cndmask_b32_e32 v50, v63, v67, vcc
	v_perm_b32 v41, v65, v64, s33
	v_cvt_pk_f32_fp8_e32 v[64:65], v51
	v_cvt_pk_f32_fp8_sdwa v[66:67], v51 src0_sel:WORD_1
	v_ashrrev_i32_e32 v51, 31, v50
	v_lshl_add_u64 v[68:69], v[50:51], 2, s[8:9]
	v_perm_b32 v50, v65, v64, s33
	v_perm_b32 v51, v67, v66, s33
	s_waitcnt lgkmcnt(3)
	v_mfma_f32_16x16x16_bf16 v[64:67], v[40:41], v[30:31], 0
	v_cvt_pk_f32_fp8_e32 v[40:41], v52
	v_cvt_pk_f32_fp8_sdwa v[70:71], v52 src0_sel:WORD_1
	s_waitcnt vmcnt(7)
	v_cvt_pk_f32_fp8_e32 v[72:73], v46
	v_mfma_f32_16x16x16_bf16 v[64:67], v[50:51], v[32:33], v[64:67]
	v_cvt_pk_f32_fp8_e32 v[50:51], v53
	v_perm_b32 v40, v41, v40, s33
	v_perm_b32 v41, v71, v70, s33
	v_cvt_pk_f32_fp8_sdwa v[52:53], v53 src0_sel:WORD_1
	v_perm_b32 v70, v51, v50, s33
	v_cvt_pk_f32_fp8_sdwa v[74:75], v46 src0_sel:WORD_1
	v_ashrrev_i32_e32 v35, 31, v34
	v_perm_b32 v71, v53, v52, s33
	s_waitcnt lgkmcnt(2)
	v_mfma_f32_16x16x16_bf16 v[50:53], v[40:41], v[22:23], v[64:67]
	v_perm_b32 v40, v73, v72, s33
	v_perm_b32 v41, v75, v74, s33
	v_or_b32_e32 v58, 0xc0, v58
	v_cvt_pk_f32_fp8_e32 v[64:65], v47
	v_cvt_pk_f32_fp8_sdwa v[46:47], v47 src0_sel:WORD_1
	v_mfma_f32_16x16x16_bf16 v[50:53], v[70:71], v[24:25], v[50:53]
	v_lshl_add_u64 v[34:35], v[34:35], 2, s[8:9]
	v_perm_b32 v64, v65, v64, s33
	v_perm_b32 v65, v47, v46, s33
	s_waitcnt lgkmcnt(1)
	v_mfma_f32_16x16x16_bf16 v[50:53], v[40:41], v[18:19], v[50:53]
	v_ashrrev_i32_e32 v66, 4, v58
	v_cmp_gt_i32_e32 vcc, s7, v58
	v_cvt_pk_f32_fp8_e32 v[46:47], v48
	s_waitcnt vmcnt(6)
	v_cvt_pk_f32_fp8_sdwa v[70:71], v36 src0_sel:WORD_1
	v_cndmask_b32_e32 v40, v63, v66, vcc
	v_mfma_f32_16x16x16_bf16 v[64:67], v[64:65], v[20:21], v[50:53]
	v_ashrrev_i32_e32 v41, 31, v40
	v_lshl_add_u64 v[40:41], v[40:41], 2, s[8:9]
	v_perm_b32 v46, v47, v46, s33
	global_load_dword v53, v[34:35], off
	global_load_dword v63, v[40:41], off
	v_cvt_pk_f32_fp8_sdwa v[50:51], v48 src0_sel:WORD_1
	v_cvt_pk_f32_fp8_e32 v[34:35], v49
	v_cvt_pk_f32_fp8_sdwa v[48:49], v49 src0_sel:WORD_1
	s_add_u32 s46, s10, s12
	v_perm_b32 v47, v51, v50, s33
	v_perm_b32 v34, v35, v34, s33
	;; [unrolled: 1-line block ×3, first 2 shown]
	s_waitcnt lgkmcnt(0)
	v_mfma_f32_16x16x16_bf16 v[46:49], v[46:47], v[14:15], v[64:67]
	v_cvt_pk_f32_fp8_e32 v[50:51], v36
	s_nop 1
	global_load_dword v64, v[68:69], off
	v_cvt_pk_f32_fp8_e32 v[66:67], v37
	s_waitcnt vmcnt(8)
	v_cvt_pk_f32_fp8_e32 v[68:69], v6
	v_perm_b32 v50, v51, v50, s33
	v_perm_b32 v51, v71, v70, s33
	v_cvt_pk_f32_fp8_sdwa v[70:71], v37 src0_sel:WORD_1
	v_perm_b32 v40, v67, v66, s33
	v_mfma_f32_16x16x16_bf16 v[34:37], v[34:35], v[16:17], v[46:49]
	v_cvt_pk_f32_fp8_sdwa v[66:67], v38 src0_sel:WORD_1
	v_perm_b32 v41, v71, v70, s33
	v_cvt_pk_f32_fp8_sdwa v[70:71], v6 src0_sel:WORD_1
	v_mfma_f32_16x16x16_bf16 v[46:49], v[50:51], v[30:31], 0
	v_cvt_pk_f32_fp8_e32 v[50:51], v38
	v_lshl_or_b32 v52, v57, 4, v56
	s_waitcnt vmcnt(6)
	v_cvt_pk_f32_fp8_e32 v[72:73], v43
	v_mfma_f32_16x16x16_bf16 v[46:49], v[40:41], v[32:33], v[46:49]
	v_cvt_pk_f32_fp8_e32 v[40:41], v39
	v_perm_b32 v50, v51, v50, s33
	v_perm_b32 v51, v67, v66, s33
	v_cvt_pk_f32_fp8_sdwa v[38:39], v39 src0_sel:WORD_1
	v_perm_b32 v66, v41, v40, s33
	s_addc_u32 s47, s11, 0
	v_lshlrev_b32_e32 v58, 4, v52
	v_perm_b32 v67, v39, v38, s33
	v_mfma_f32_16x16x16_bf16 v[38:41], v[50:51], v[22:23], v[46:49]
	v_cvt_pk_f32_fp8_sdwa v[50:51], v2 src0_sel:WORD_1
	s_nop 1
	v_perm_b32 v46, v69, v68, s33
	v_perm_b32 v47, v71, v70, s33
	v_cvt_pk_f32_fp8_e32 v[48:49], v7
	v_cvt_pk_f32_fp8_sdwa v[6:7], v7 src0_sel:WORD_1
	v_mfma_f32_16x16x16_bf16 v[38:41], v[66:67], v[24:25], v[38:41]
	v_lshl_add_u64 v[70:71], s[46:47], 0, v[58:59]
	v_perm_b32 v48, v49, v48, s33
	v_perm_b32 v49, v7, v6, s33
	v_mfma_f32_16x16x16_bf16 v[38:41], v[46:47], v[18:19], v[38:41]
	v_cvt_pk_f32_fp8_e32 v[6:7], v8
	v_cvt_pk_f32_fp8_sdwa v[46:47], v8 src0_sel:WORD_1
	v_or_b32_e32 v58, 0x400, v58
	v_mfma_f32_16x16x16_bf16 v[38:41], v[48:49], v[20:21], v[38:41]
	v_cvt_pk_f32_fp8_e32 v[48:49], v9
	v_perm_b32 v6, v7, v6, s33
	v_perm_b32 v7, v47, v46, s33
	v_cvt_pk_f32_fp8_sdwa v[8:9], v9 src0_sel:WORD_1
	v_perm_b32 v46, v49, v48, s33
	v_cvt_pk_f32_fp8_e32 v[48:49], v2
	v_perm_b32 v47, v9, v8, s33
	v_mfma_f32_16x16x16_bf16 v[6:9], v[6:7], v[14:15], v[38:41]
	v_perm_b32 v48, v49, v48, s33
	v_perm_b32 v49, v51, v50, s33
	v_cvt_pk_f32_fp8_e32 v[50:51], v3
	v_cvt_pk_f32_fp8_sdwa v[2:3], v3 src0_sel:WORD_1
	v_mfma_f32_16x16x16_bf16 v[38:41], v[46:47], v[16:17], v[6:9]
	v_perm_b32 v46, v51, v50, s33
	v_perm_b32 v47, v3, v2, s33
	v_mfma_f32_16x16x16_bf16 v[6:9], v[48:49], v[30:31], 0
	v_cvt_pk_f32_fp8_e32 v[2:3], v4
	v_cvt_pk_f32_fp8_sdwa v[48:49], v4 src0_sel:WORD_1
	s_waitcnt vmcnt(3)
	v_mad_i64_i32 v[50:51], s[4:5], v62, s45, v[70:71]
	v_perm_b32 v2, v3, v2, s33
	v_perm_b32 v3, v49, v48, s33
	v_mfma_f32_16x16x16_bf16 v[6:9], v[46:47], v[32:33], v[6:9]
	v_cvt_pk_f32_fp8_e32 v[46:47], v5
	v_cvt_pk_f32_fp8_sdwa v[4:5], v5 src0_sel:WORD_1
	s_waitcnt vmcnt(2)
	v_mad_i64_i32 v[66:67], s[4:5], v53, s45, v[70:71]
	v_perm_b32 v46, v47, v46, s33
	v_perm_b32 v47, v5, v4, s33
	v_mfma_f32_16x16x16_bf16 v[2:5], v[2:3], v[22:23], v[6:9]
	s_nop 2
	v_cvt_pk_f32_fp8_e32 v[6:7], v42
	v_cvt_pk_f32_fp8_sdwa v[8:9], v42 src0_sel:WORD_1
	v_cvt_pk_f32_fp8_sdwa v[42:43], v43 src0_sel:WORD_1
	v_mfma_f32_16x16x16_bf16 v[46:49], v[46:47], v[24:25], v[2:5]
	v_perm_b32 v68, v7, v6, s33
	v_perm_b32 v69, v9, v8, s33
	global_load_dwordx4 v[6:9], v[50:51], off
	global_load_dwordx4 v[2:5], v[66:67], off
	v_perm_b32 v66, v73, v72, s33
	v_perm_b32 v67, v43, v42, s33
	v_mfma_f32_16x16x16_bf16 v[48:51], v[68:69], v[18:19], v[46:49]
	v_cvt_pk_f32_fp8_e32 v[42:43], v44
	v_cvt_pk_f32_fp8_sdwa v[72:73], v44 src0_sel:WORD_1
	s_waitcnt vmcnt(2)
	v_mad_i64_i32 v[46:47], s[4:5], v64, s45, v[70:71]
	v_mfma_f32_16x16x16_bf16 v[66:69], v[66:67], v[20:21], v[48:51]
	v_perm_b32 v42, v43, v42, s33
	v_perm_b32 v43, v73, v72, s33
	v_cvt_pk_f32_fp8_sdwa v[72:73], v26 src0_sel:WORD_1
	v_cvt_pk_f32_fp8_e32 v[50:51], v45
	v_cvt_pk_f32_fp8_sdwa v[44:45], v45 src0_sel:WORD_1
	v_mad_i64_i32 v[48:49], s[4:5], v63, s45, v[70:71]
	v_perm_b32 v50, v51, v50, s33
	v_perm_b32 v51, v45, v44, s33
	v_mfma_f32_16x16x16_bf16 v[42:45], v[42:43], v[14:15], v[66:69]
	v_cvt_pk_f32_fp8_e32 v[70:71], v26
	s_load_dword s4, s[0:1], 0x1c
	s_load_dwordx4 s[40:43], s[0:1], 0x80
	s_load_dword s44, s[0:1], 0x98
	s_waitcnt lgkmcnt(0)
	s_load_dword s5, s[40:41], 0x0
	v_mfma_f32_16x16x16_bf16 v[66:69], v[50:51], v[16:17], v[42:45]
	s_mov_b32 s40, 0xff7fffff
	s_nop 1
	v_cvt_pk_f32_fp8_e32 v[42:43], v27
	v_perm_b32 v44, v71, v70, s33
	v_perm_b32 v45, v73, v72, s33
	v_cvt_pk_f32_fp8_sdwa v[26:27], v27 src0_sel:WORD_1
	v_perm_b32 v50, v43, v42, s33
	v_cvt_pk_f32_fp8_e32 v[70:71], v28
	v_cvt_pk_f32_fp8_sdwa v[72:73], v28 src0_sel:WORD_1
	v_perm_b32 v51, v27, v26, s33
	v_mfma_f32_16x16x16_bf16 v[42:45], v[44:45], v[30:31], 0
	v_perm_b32 v30, v71, v70, s33
	v_perm_b32 v31, v73, v72, s33
	v_cvt_pk_f32_fp8_e32 v[70:71], v29
	v_cvt_pk_f32_fp8_sdwa v[72:73], v29 src0_sel:WORD_1
	v_mfma_f32_16x16x16_bf16 v[26:29], v[50:51], v[32:33], v[42:45]
	v_mov_b32_e32 v32, s4
	s_waitcnt lgkmcnt(0)
	v_mul_f32_e32 v50, s5, v32
	v_pk_mul_f32 v[32:33], v[50:51], v[34:35] op_sel_hi:[0,1]
	v_perm_b32 v42, v71, v70, s33
	v_perm_b32 v43, v73, v72, s33
	v_mfma_f32_16x16x16_bf16 v[26:29], v[30:31], v[22:23], v[26:29]
	v_pk_mul_f32 v[30:31], v[50:51], v[36:37] op_sel_hi:[0,1]
	v_cvt_pk_f32_fp8_e32 v[22:23], v10
	v_cvt_pk_f32_fp8_sdwa v[70:71], v12 src0_sel:WORD_1
	v_mfma_f32_16x16x16_bf16 v[34:37], v[42:43], v[24:25], v[26:29]
	v_cvt_pk_f32_fp8_sdwa v[24:25], v10 src0_sel:WORD_1
	v_perm_b32 v42, v23, v22, s33
	v_pk_mul_f32 v[40:41], v[50:51], v[40:41] op_sel_hi:[0,1]
	v_cvt_pk_f32_fp8_e32 v[26:27], v11
	v_cvt_pk_f32_fp8_sdwa v[10:11], v11 src0_sel:WORD_1
	v_perm_b32 v43, v25, v24, s33
	v_perm_b32 v44, v27, v26, s33
	;; [unrolled: 1-line block ×3, first 2 shown]
	v_cvt_pk_f32_fp8_e32 v[10:11], v12
	v_mfma_f32_16x16x16_bf16 v[34:37], v[42:43], v[18:19], v[34:37]
	global_load_dwordx4 v[26:29], v[46:47], off
	global_load_dwordx4 v[22:25], v[48:49], off
	v_perm_b32 v19, v71, v70, s33
	v_perm_b32 v18, v11, v10, s33
	v_cvt_pk_f32_fp8_e32 v[42:43], v13
	v_cvt_pk_f32_fp8_sdwa v[46:47], v13 src0_sel:WORD_1
	v_mfma_f32_16x16x16_bf16 v[10:13], v[44:45], v[20:21], v[34:37]
	v_pk_mul_f32 v[44:45], v[50:51], v[38:39] op_sel_hi:[0,1]
	v_perm_b32 v20, v43, v42, s33
	v_perm_b32 v21, v47, v46, s33
	v_mfma_f32_16x16x16_bf16 v[10:13], v[18:19], v[14:15], v[10:13]
	v_pk_mul_f32 v[38:39], v[50:51], v[68:69] op_sel_hi:[0,1]
	v_pk_mul_f32 v[42:43], v[50:51], v[66:67] op_sel_hi:[0,1]
	v_mfma_f32_16x16x16_bf16 v[10:13], v[20:21], v[16:17], v[10:13]
	s_nop 6
	v_pk_mul_f32 v[36:37], v[50:51], v[10:11] op_sel_hi:[0,1]
	v_and_b32_e32 v10, 0xc0, v0
	v_add_u32_e32 v10, s18, v10
	v_lshl_or_b32 v10, v60, 2, v10
	v_or_b32_e32 v11, 1, v10
	v_pk_mul_f32 v[34:35], v[50:51], v[12:13] op_sel_hi:[0,1]
	v_subrev_u32_e32 v12, s7, v11
	v_add_u32_e32 v14, 1, v12
	v_add_u32_e32 v15, 2, v12
	v_cvt_f32_i32_e32 v13, v12
	v_cvt_f32_i32_e32 v14, v14
	;; [unrolled: 1-line block ×3, first 2 shown]
	v_add_u32_e32 v16, 3, v12
	v_fma_f32 v18, v61, v13, v32
	v_fmac_f32_e32 v33, v61, v14
	v_fma_f32 v48, v61, v15, v30
	v_add_u32_e32 v13, 16, v12
	v_add_u32_e32 v14, 17, v12
	;; [unrolled: 1-line block ×3, first 2 shown]
	v_cvt_f32_i32_e32 v16, v16
	v_cvt_f32_i32_e32 v13, v13
	;; [unrolled: 1-line block ×4, first 2 shown]
	v_fmac_f32_e32 v31, v61, v16
	v_add_u32_e32 v16, 19, v12
	v_fma_f32 v44, v61, v13, v44
	v_fmac_f32_e32 v45, v61, v14
	v_fma_f32 v40, v61, v15, v40
	v_add_u32_e32 v13, 32, v12
	v_add_u32_e32 v14, 33, v12
	;; [unrolled: 1-line block ×3, first 2 shown]
	v_cvt_f32_i32_e32 v16, v16
	v_cvt_f32_i32_e32 v13, v13
	;; [unrolled: 1-line block ×4, first 2 shown]
	v_fmac_f32_e32 v41, v61, v16
	v_add_u32_e32 v16, 35, v12
	v_fma_f32 v42, v61, v13, v42
	v_fmac_f32_e32 v43, v61, v14
	v_fma_f32 v38, v61, v15, v38
	v_add_u32_e32 v13, 48, v12
	v_add_u32_e32 v14, 49, v12
	v_add_u32_e32 v15, 50, v12
	v_add_u32_e32 v12, 51, v12
	v_cvt_f32_i32_e32 v12, v12
	v_cvt_f32_i32_e32 v13, v13
	;; [unrolled: 1-line block ×3, first 2 shown]
	v_cmp_gt_i32_e64 s[8:9], s7, v10
	v_fmac_f32_e32 v35, v61, v12
	v_mov_b32_e32 v12, 0xff7fffff
	v_cmp_gt_i32_e64 s[10:11], s7, v11
	v_fma_f32 v36, v61, v13, v36
	v_cndmask_b32_e64 v13, v12, v18, s[8:9]
	v_cndmask_b32_e64 v11, v12, v33, s[10:11]
	v_fmac_f32_e32 v37, v61, v14
	v_max3_f32 v11, v13, s40, v11
	v_or_b32_e32 v13, 2, v10
	v_or_b32_e32 v14, 3, v10
	v_cmp_gt_i32_e64 s[12:13], s7, v13
	v_cmp_gt_i32_e64 s[14:15], s7, v14
	v_cvt_f32_i32_e32 v16, v16
	v_cndmask_b32_e64 v13, v12, v48, s[12:13]
	v_cndmask_b32_e64 v14, v12, v31, s[14:15]
	v_max3_f32 v11, v11, v13, v14
	v_or_b32_e32 v13, 16, v10
	v_or_b32_e32 v14, 17, v10
	v_cmp_gt_i32_e64 s[16:17], s7, v13
	v_cmp_gt_i32_e64 s[18:19], s7, v14
	v_fmac_f32_e32 v39, v61, v16
	v_cndmask_b32_e64 v13, v12, v44, s[16:17]
	v_cndmask_b32_e64 v14, v12, v45, s[18:19]
	v_max3_f32 v11, v11, v13, v14
	v_or_b32_e32 v13, 18, v10
	v_or_b32_e32 v14, 19, v10
	v_cmp_gt_i32_e64 s[20:21], s7, v13
	v_cmp_gt_i32_e64 s[22:23], s7, v14
	v_cvt_f32_i32_e32 v15, v15
	v_cndmask_b32_e64 v13, v12, v40, s[20:21]
	v_cndmask_b32_e64 v14, v12, v41, s[22:23]
	v_max3_f32 v11, v11, v13, v14
	v_or_b32_e32 v13, 32, v10
	v_or_b32_e32 v14, 33, v10
	v_cmp_gt_i32_e64 s[24:25], s7, v13
	v_cmp_gt_i32_e64 s[26:27], s7, v14
	v_fma_f32 v34, v61, v15, v34
	v_cndmask_b32_e64 v13, v12, v42, s[24:25]
	v_cndmask_b32_e64 v14, v12, v43, s[26:27]
	v_max3_f32 v11, v11, v13, v14
	v_or_b32_e32 v13, 34, v10
	v_or_b32_e32 v14, 35, v10
	v_cmp_gt_i32_e64 s[28:29], s7, v13
	v_cmp_gt_i32_e64 s[30:31], s7, v14
	s_nop 0
	v_cndmask_b32_e64 v13, v12, v38, s[28:29]
	v_cndmask_b32_e64 v14, v12, v39, s[30:31]
	v_max3_f32 v11, v11, v13, v14
	v_or_b32_e32 v13, 48, v10
	v_or_b32_e32 v14, 49, v10
	v_cmp_gt_i32_e64 s[34:35], s7, v13
	v_cmp_gt_i32_e64 s[36:37], s7, v14
	s_nop 0
	v_cndmask_b32_e64 v13, v12, v36, s[34:35]
	v_cndmask_b32_e64 v14, v12, v37, s[36:37]
	v_max3_f32 v11, v11, v13, v14
	v_or_b32_e32 v13, 50, v10
	v_or_b32_e32 v10, 51, v10
	v_cmp_gt_i32_e32 vcc, s7, v13
	v_cmp_gt_i32_e64 s[4:5], s7, v10
	s_nop 0
	v_cndmask_b32_e32 v13, v12, v34, vcc
	v_cndmask_b32_e64 v10, v12, v35, s[4:5]
	v_max3_f32 v14, v11, v13, v10
	v_mbcnt_lo_u32_b32 v10, -1, 0
	v_mbcnt_hi_u32_b32 v15, -1, v10
	v_and_b32_e32 v10, 64, v15
	v_add_u32_e32 v16, 64, v10
	v_xor_b32_e32 v10, 32, v15
	v_cmp_lt_i32_e64 s[38:39], v10, v16
	s_nop 1
	v_cndmask_b32_e64 v10, v15, v10, s[38:39]
	v_lshlrev_b32_e32 v51, 2, v10
	ds_bpermute_b32 v17, v51, v14
	v_lshl_add_u64 v[10:11], s[46:47], 0, v[58:59]
	v_mad_i64_i32 v[12:13], s[38:39], v62, s45, v[10:11]
	s_waitcnt lgkmcnt(0)
	v_max_f32_e32 v17, v17, v17
	v_max_f32_e32 v19, v14, v17
	v_xor_b32_e32 v14, 16, v15
	v_cmp_lt_i32_e64 s[38:39], v14, v16
	s_nop 1
	v_cndmask_b32_e64 v14, v15, v14, s[38:39]
	v_lshlrev_b32_e32 v58, 2, v14
	ds_bpermute_b32 v20, v58, v19
	v_mad_i64_i32 v[14:15], s[38:39], v53, s45, v[10:11]
	v_mad_i64_i32 v[16:17], s[38:39], v64, s45, v[10:11]
	s_waitcnt lgkmcnt(0)
	v_max_f32_e32 v20, v20, v20
	v_max_f32_e32 v50, v19, v20
	v_sub_f32_e32 v18, v18, v50
	v_sub_f32_e32 v19, v33, v50
	v_mul_f32_e32 v18, 0x3fb8aa3b, v18
	v_mul_f32_e32 v19, 0x3fb8aa3b, v19
	v_exp_f32_e32 v18, v18
	v_exp_f32_e32 v19, v19
	v_sub_f32_e32 v49, v31, v50
	v_mad_i64_i32 v[10:11], s[38:39], v63, s45, v[10:11]
	v_cndmask_b32_e64 v46, 0, v18, s[8:9]
	v_cndmask_b32_e64 v47, 0, v19, s[10:11]
	global_load_dwordx4 v[30:33], v[12:13], off
	global_load_dwordx4 v[18:21], v[14:15], off
	v_sub_f32_e32 v12, v48, v50
	v_mul_f32_e32 v12, 0x3fb8aa3b, v12
	v_exp_f32_e32 v48, v12
	global_load_dwordx4 v[14:17], v[16:17], off
	s_nop 0
	global_load_dwordx4 v[10:13], v[10:11], off
	v_sub_f32_e32 v40, v40, v50
	v_sub_f32_e32 v42, v42, v50
	v_mul_f32_e32 v40, 0x3fb8aa3b, v40
	v_mul_f32_e32 v42, 0x3fb8aa3b, v42
	v_exp_f32_e32 v40, v40
	v_exp_f32_e32 v53, v42
	v_mul_f32_e32 v49, 0x3fb8aa3b, v49
	v_sub_f32_e32 v44, v44, v50
	v_exp_f32_e32 v49, v49
	v_mul_f32_e32 v44, 0x3fb8aa3b, v44
	v_sub_f32_e32 v45, v45, v50
	v_sub_f32_e32 v42, v43, v50
	v_exp_f32_e32 v44, v44
	v_mul_f32_e32 v45, 0x3fb8aa3b, v45
	v_mul_f32_e32 v42, 0x3fb8aa3b, v42
	v_exp_f32_e32 v45, v45
	v_sub_f32_e32 v41, v41, v50
	v_exp_f32_e32 v59, v42
	v_cndmask_b32_e64 v42, 0, v40, s[20:21]
	v_cndmask_b32_e64 v40, 0, v53, s[24:25]
	v_add_f32_e32 v53, 0, v46
	v_cndmask_b32_e64 v48, 0, v48, s[12:13]
	v_mul_f32_e32 v41, 0x3fb8aa3b, v41
	v_add_f32_e32 v53, v53, v47
	v_cndmask_b32_e64 v49, 0, v49, s[14:15]
	v_exp_f32_e32 v41, v41
	v_add_f32_e32 v53, v53, v48
	v_cndmask_b32_e64 v44, 0, v44, s[16:17]
	v_sub_f32_e32 v38, v38, v50
	v_add_f32_e32 v53, v53, v49
	v_cndmask_b32_e64 v45, 0, v45, s[18:19]
	v_sub_f32_e32 v39, v39, v50
	v_mul_f32_e32 v38, 0x3fb8aa3b, v38
	v_add_f32_e32 v53, v53, v44
	v_exp_f32_e32 v38, v38
	v_mul_f32_e32 v39, 0x3fb8aa3b, v39
	v_sub_f32_e32 v36, v36, v50
	v_add_f32_e32 v53, v53, v45
	v_cndmask_b32_e64 v43, 0, v41, s[22:23]
	v_exp_f32_e32 v39, v39
	v_mul_f32_e32 v36, 0x3fb8aa3b, v36
	v_sub_f32_e32 v37, v37, v50
	v_add_f32_e32 v53, v53, v42
	v_exp_f32_e32 v36, v36
	v_mul_f32_e32 v37, 0x3fb8aa3b, v37
	v_add_f32_e32 v53, v53, v43
	v_sub_f32_e32 v34, v34, v50
	v_cndmask_b32_e64 v41, 0, v59, s[26:27]
	v_exp_f32_e32 v37, v37
	v_add_f32_e32 v53, v53, v40
	v_mul_f32_e32 v34, 0x3fb8aa3b, v34
	v_sub_f32_e32 v35, v35, v50
	v_cndmask_b32_e64 v38, 0, v38, s[28:29]
	v_add_f32_e32 v53, v53, v41
	v_exp_f32_e32 v34, v34
	v_mul_f32_e32 v35, 0x3fb8aa3b, v35
	v_cndmask_b32_e64 v39, 0, v39, s[30:31]
	v_add_f32_e32 v53, v53, v38
	v_exp_f32_e32 v35, v35
	v_cndmask_b32_e64 v36, 0, v36, s[34:35]
	v_add_f32_e32 v53, v53, v39
	v_cndmask_b32_e64 v37, 0, v37, s[36:37]
	v_add_f32_e32 v53, v53, v36
	v_add_f32_e32 v53, v53, v37
	v_cndmask_b32_e32 v34, 0, v34, vcc
	v_add_f32_e32 v53, v53, v34
	v_cndmask_b32_e64 v35, 0, v35, s[4:5]
	v_add_f32_e32 v53, v53, v35
	ds_bpermute_b32 v51, v51, v53
	v_cmp_gt_u32_e32 vcc, 16, v55
	s_waitcnt lgkmcnt(0)
	s_barrier
	v_add_f32_e32 v51, v53, v51
	ds_bpermute_b32 v53, v58, v51
	s_and_saveexec_b64 s[4:5], vcc
	s_cbranch_execz .LBB1261_15
; %bb.14:
	s_waitcnt lgkmcnt(0)
	v_add_f32_e32 v51, v51, v53
	v_lshlrev_b32_e32 v52, 2, v52
	ds_write2st64_b32 v52, v50, v51 offset1:1
.LBB1261_15:
	s_or_b64 exec, exec, s[4:5]
	v_lshlrev_b32_e32 v51, 2, v56
	s_load_dword s7, s[0:1], 0x94
	s_waitcnt lgkmcnt(0)
	s_barrier
	ds_read2_b32 v[52:53], v51 offset1:16
	ds_read2_b32 v[58:59], v51 offset0:32 offset1:48
	ds_read2_b32 v[62:63], v51 offset0:64 offset1:80
	s_movk_i32 s9, 0x7fff
	s_mul_i32 s8, s44, 14
	s_waitcnt lgkmcnt(2)
	v_max3_f32 v50, v52, s40, v53
	s_waitcnt lgkmcnt(1)
	v_max3_f32 v50, v50, v58, v59
	v_sub_f32_e32 v52, v52, v50
	v_mul_f32_e32 v52, 0x3fb8aa3b, v52
	v_exp_f32_e32 v55, v52
	v_sub_f32_e32 v52, v53, v50
	v_mul_f32_e32 v52, 0x3fb8aa3b, v52
	v_exp_f32_e32 v61, v52
	;; [unrolled: 3-line block ×3, first 2 shown]
	ds_read2_b32 v[52:53], v51 offset0:96 offset1:112
	v_sub_f32_e32 v51, v59, v50
	v_mul_f32_e32 v51, 0x3fb8aa3b, v51
	v_exp_f32_e32 v59, v51
	s_waitcnt lgkmcnt(1)
	v_fma_f32 v51, v55, v62, 0
	v_fmac_f32_e32 v51, v61, v63
	s_waitcnt lgkmcnt(0)
	v_fmac_f32_e32 v51, v58, v52
	v_fmac_f32_e32 v51, v59, v53
	v_add_f32_e32 v52, 0x358637bd, v51
	v_div_scale_f32 v53, s[4:5], v52, v52, 1.0
	v_rcp_f32_e32 v62, v53
	s_barrier
	v_fma_f32 v63, -v53, v62, 1.0
	v_fmac_f32_e32 v62, v63, v62
	v_div_scale_f32 v63, vcc, 1.0, v52, 1.0
	v_mul_f32_e32 v64, v63, v62
	v_fma_f32 v65, -v53, v64, v63
	v_fmac_f32_e32 v64, v65, v62
	v_fma_f32 v53, -v53, v64, v63
	v_div_fmas_f32 v53, v53, v62, v64
	v_cmp_eq_u32_e32 vcc, 1, v57
	v_div_fixup_f32 v52, v53, v52, 1.0
	s_nop 0
	v_cndmask_b32_e32 v53, v55, v61, vcc
	v_cmp_eq_u32_e32 vcc, 2, v57
	s_nop 1
	v_cndmask_b32_e32 v53, v53, v58, vcc
	v_cmp_eq_u32_e32 vcc, 3, v57
	s_nop 1
	v_cndmask_b32_e32 v53, v53, v59, vcc
	v_mul_f32_e32 v52, v53, v52
	v_pk_mul_f32 v[46:47], v[52:53], v[46:47] op_sel_hi:[0,1]
	v_pk_mul_f32 v[48:49], v[52:53], v[48:49] op_sel_hi:[0,1]
	v_bfe_u32 v53, v47, 16, 1
	v_bfe_u32 v55, v46, 16, 1
	v_add3_u32 v46, v46, v55, s9
	v_add3_u32 v47, v47, v53, s9
	v_perm_b32 v58, v47, v46, s33
	v_bfe_u32 v46, v49, 16, 1
	v_bfe_u32 v47, v48, 16, 1
	v_add3_u32 v47, v48, v47, s9
	v_add3_u32 v46, v49, v46, s9
	v_perm_b32 v59, v46, v47, s33
	v_lshlrev_b32_e32 v47, 3, v60
	v_lshlrev_b32_e32 v46, 5, v56
	;; [unrolled: 1-line block ×3, first 2 shown]
	v_pk_mul_f32 v[44:45], v[52:53], v[44:45] op_sel_hi:[0,1]
	v_or3_b32 v55, v48, v46, v47
	v_bfe_u32 v47, v45, 16, 1
	v_bfe_u32 v48, v44, 16, 1
	v_pk_mul_f32 v[42:43], v[52:53], v[42:43] op_sel_hi:[0,1]
	v_add3_u32 v44, v44, v48, s9
	v_add3_u32 v45, v45, v47, s9
	v_perm_b32 v44, v45, v44, s33
	v_bfe_u32 v45, v43, 16, 1
	v_bfe_u32 v47, v42, 16, 1
	v_add3_u32 v42, v42, v47, s9
	v_add3_u32 v43, v43, v45, s9
	v_pk_mul_f32 v[40:41], v[52:53], v[40:41] op_sel_hi:[0,1]
	v_perm_b32 v45, v43, v42, s33
	v_bfe_u32 v42, v41, 16, 1
	v_bfe_u32 v43, v40, 16, 1
	v_pk_mul_f32 v[38:39], v[52:53], v[38:39] op_sel_hi:[0,1]
	v_add3_u32 v40, v40, v43, s9
	v_add3_u32 v41, v41, v42, s9
	v_perm_b32 v40, v41, v40, s33
	v_bfe_u32 v41, v39, 16, 1
	v_bfe_u32 v42, v38, 16, 1
	v_add3_u32 v38, v38, v42, s9
	v_add3_u32 v39, v39, v41, s9
	v_pk_mul_f32 v[36:37], v[52:53], v[36:37] op_sel_hi:[0,1]
	v_perm_b32 v41, v39, v38, s33
	v_bfe_u32 v38, v37, 16, 1
	v_bfe_u32 v39, v36, 16, 1
	v_pk_mul_f32 v[34:35], v[52:53], v[34:35] op_sel_hi:[0,1]
	v_add3_u32 v36, v36, v39, s9
	v_add3_u32 v37, v37, v38, s9
	v_perm_b32 v36, v37, v36, s33
	v_bfe_u32 v37, v35, 16, 1
	v_bfe_u32 v38, v34, 16, 1
	v_add3_u32 v34, v34, v38, s9
	v_add3_u32 v35, v35, v37, s9
	v_perm_b32 v37, v35, v34, s33
	v_cmp_gt_u32_e32 vcc, 14, v0
	ds_write2st64_b64 v55, v[58:59], v[44:45] offset1:1
	ds_write2st64_b64 v55, v[40:41], v[36:37] offset0:2 offset1:3
	s_and_saveexec_b64 s[4:5], vcc
	s_cbranch_execz .LBB1261_17
; %bb.16:
	s_mov_b32 s49, 0
	v_mov_b32_e32 v57, 0
	v_lshl_add_u64 v[34:35], s[48:49], 0, v[56:57]
	v_mov_b32_e32 v36, s8
	v_mad_u64_u32 v[34:35], s[10:11], s2, v36, v[34:35]
	s_mul_i32 s3, s3, s8
	v_mov_b32_e32 v36, s6
	v_mov_b32_e32 v37, v57
	s_load_dwordx4 s[12:15], s[0:1], 0x58
	v_add_u32_e32 v38, s3, v35
	v_mad_u64_u32 v[34:35], s[10:11], v34, s7, v[36:37]
	v_mov_b32_e32 v36, v35
	v_mad_u64_u32 v[36:37], s[10:11], v38, s7, v[36:37]
	v_mov_b32_e32 v35, v36
	v_lshlrev_b64 v[34:35], 2, v[34:35]
	s_waitcnt lgkmcnt(0)
	v_lshl_add_u64 v[36:37], s[14:15], 0, v[34:35]
	v_lshl_add_u64 v[34:35], s[12:13], 0, v[34:35]
	global_store_dword v[36:37], v50, off
	global_store_dword v[34:35], v51, off
.LBB1261_17:
	s_or_b64 exec, exec, s[4:5]
	s_waitcnt vmcnt(7)
	v_cvt_pk_f32_fp8_e32 v[34:35], v6
	v_cvt_pk_f32_fp8_sdwa v[36:37], v6 src0_sel:WORD_1
	v_lshl_or_b32 v50, v60, 9, v46
	s_mov_b32 s5, 0x7060302
	s_waitcnt lgkmcnt(0)
	s_barrier
	v_cvt_pk_f32_fp8_e32 v[38:39], v7
	v_perm_b32 v6, v35, v34, s5
	v_cvt_pk_f32_fp8_sdwa v[40:41], v7 src0_sel:WORD_1
	v_perm_b32 v7, v37, v36, s5
	ds_read_b128 v[34:37], v50
	v_perm_b32 v46, v39, v38, s5
	v_perm_b32 v47, v41, v40, s5
	ds_read_b128 v[38:41], v50 offset:16
	v_cvt_pk_f32_fp8_e32 v[48:49], v8
	v_cvt_pk_f32_fp8_sdwa v[52:53], v8 src0_sel:WORD_1
	s_waitcnt lgkmcnt(1)
	v_mfma_f32_16x16x16_bf16 v[42:45], v[6:7], v[34:35], 0
	s_waitcnt vmcnt(6)
	v_cvt_pk_f32_fp8_e32 v[58:59], v4
	v_perm_b32 v6, v49, v48, s5
	v_perm_b32 v7, v53, v52, s5
	v_cvt_pk_f32_fp8_e32 v[48:49], v9
	v_mfma_f32_16x16x16_bf16 v[42:45], v[46:47], v[36:37], v[42:45]
	v_cvt_pk_f32_fp8_sdwa v[46:47], v9 src0_sel:WORD_1
	v_cvt_pk_f32_fp8_sdwa v[62:63], v4 src0_sel:WORD_1
	v_perm_b32 v48, v49, v48, s5
	s_waitcnt lgkmcnt(0)
	v_mfma_f32_16x16x16_bf16 v[6:9], v[6:7], v[38:39], v[42:45]
	v_perm_b32 v49, v47, v46, s5
	s_waitcnt vmcnt(5)
	v_cvt_pk_f32_fp8_sdwa v[66:67], v28 src0_sel:WORD_1
	s_waitcnt vmcnt(4)
	v_cvt_pk_f32_fp8_sdwa v[68:69], v24 src0_sel:WORD_1
	v_cvt_pk_f32_fp8_e32 v[42:43], v2
	v_mfma_f32_16x16x16_bf16 v[46:49], v[48:49], v[40:41], v[6:9]
	s_load_dword s4, s[42:43], 0x0
	s_waitcnt vmcnt(3)
	v_cvt_pk_f32_fp8_sdwa v[70:71], v32 src0_sel:WORD_1
	v_cvt_pk_f32_fp8_sdwa v[6:7], v2 src0_sel:WORD_1
	v_cvt_pk_f32_fp8_e32 v[8:9], v3
	v_perm_b32 v2, v43, v42, s5
	v_cvt_pk_f32_fp8_sdwa v[42:43], v3 src0_sel:WORD_1
	v_perm_b32 v3, v7, v6, s5
	v_perm_b32 v52, v9, v8, s5
	ds_read_b128 v[6:9], v50 offset:2048
	v_perm_b32 v53, v43, v42, s5
	ds_read_b128 v[42:45], v50 offset:2064
	s_waitcnt lgkmcnt(0)
	v_mfma_f32_16x16x16_bf16 v[46:49], v[2:3], v[6:7], v[46:49]
	v_perm_b32 v2, v59, v58, s5
	v_perm_b32 v3, v63, v62, s5
	v_cvt_pk_f32_fp8_e32 v[58:59], v5
	v_mfma_f32_16x16x16_bf16 v[46:49], v[52:53], v[8:9], v[46:49]
	v_cvt_pk_f32_fp8_sdwa v[52:53], v5 src0_sel:WORD_1
	s_mov_b32 s3, 0
	v_perm_b32 v58, v59, v58, s5
	v_mfma_f32_16x16x16_bf16 v[2:5], v[2:3], v[42:43], v[46:49]
	v_perm_b32 v59, v53, v52, s5
	v_cmp_gt_u32_e32 vcc, 64, v0
	s_nop 0
	v_cvt_pk_f32_fp8_e32 v[46:47], v26
	v_mfma_f32_16x16x16_bf16 v[62:65], v[58:59], v[44:45], v[2:5]
	v_cvt_pk_f32_fp8_e32 v[58:59], v28
	s_nop 1
	v_cvt_pk_f32_fp8_sdwa v[2:3], v26 src0_sel:WORD_1
	v_cvt_pk_f32_fp8_e32 v[4:5], v27
	v_perm_b32 v26, v47, v46, s5
	v_cvt_pk_f32_fp8_sdwa v[46:47], v27 src0_sel:WORD_1
	v_perm_b32 v27, v3, v2, s5
	v_perm_b32 v52, v5, v4, s5
	ds_read_b128 v[2:5], v50 offset:4096
	v_perm_b32 v53, v47, v46, s5
	ds_read_b128 v[46:49], v50 offset:4112
	s_waitcnt lgkmcnt(1)
	v_mfma_f32_16x16x16_bf16 v[62:65], v[26:27], v[2:3], v[62:65]
	v_perm_b32 v26, v59, v58, s5
	v_perm_b32 v27, v67, v66, s5
	v_cvt_pk_f32_fp8_e32 v[58:59], v29
	v_mfma_f32_16x16x16_bf16 v[62:65], v[52:53], v[4:5], v[62:65]
	v_cvt_pk_f32_fp8_sdwa v[52:53], v29 src0_sel:WORD_1
	v_cvt_pk_f32_fp8_e32 v[66:67], v24
	v_perm_b32 v58, v59, v58, s5
	s_waitcnt lgkmcnt(0)
	v_mfma_f32_16x16x16_bf16 v[26:29], v[26:27], v[46:47], v[62:65]
	v_perm_b32 v59, v53, v52, s5
	v_cvt_pk_f32_fp8_e32 v[52:53], v22
	s_nop 0
	v_mfma_f32_16x16x16_bf16 v[62:65], v[58:59], v[48:49], v[26:29]
	s_nop 2
	v_cvt_pk_f32_fp8_sdwa v[26:27], v22 src0_sel:WORD_1
	v_cvt_pk_f32_fp8_e32 v[28:29], v23
	v_perm_b32 v22, v53, v52, s5
	v_cvt_pk_f32_fp8_sdwa v[52:53], v23 src0_sel:WORD_1
	v_perm_b32 v23, v27, v26, s5
	v_perm_b32 v58, v29, v28, s5
	ds_read_b128 v[26:29], v50 offset:6144
	v_perm_b32 v59, v53, v52, s5
	s_waitcnt lgkmcnt(0)
	v_mfma_f32_16x16x16_bf16 v[62:65], v[22:23], v[26:27], v[62:65]
	ds_read_b128 v[50:53], v50 offset:6160
	v_perm_b32 v22, v67, v66, s5
	v_perm_b32 v23, v69, v68, s5
	v_cvt_pk_f32_fp8_e32 v[66:67], v25
	v_mfma_f32_16x16x16_bf16 v[62:65], v[58:59], v[28:29], v[62:65]
	v_cvt_pk_f32_fp8_sdwa v[58:59], v25 src0_sel:WORD_1
	v_cvt_pk_f32_fp8_e32 v[68:69], v32
	v_perm_b32 v66, v67, v66, s5
	s_waitcnt lgkmcnt(0)
	v_mfma_f32_16x16x16_bf16 v[22:25], v[22:23], v[50:51], v[62:65]
	v_perm_b32 v67, v59, v58, s5
	v_cvt_pk_f32_fp8_sdwa v[58:59], v30 src0_sel:WORD_1
	s_nop 0
	v_mfma_f32_16x16x16_bf16 v[62:65], v[66:67], v[52:53], v[22:25]
	s_barrier
	s_nop 1
	v_cvt_pk_f32_fp8_e32 v[24:25], v30
	s_nop 2
	v_pk_mul_f32 v[66:67], v[62:63], s[4:5] op_sel_hi:[1,0]
	v_cvt_pk_f32_fp8_e32 v[62:63], v31
	v_perm_b32 v24, v25, v24, s5
	v_perm_b32 v25, v59, v58, s5
	v_cvt_pk_f32_fp8_sdwa v[30:31], v31 src0_sel:WORD_1
	v_perm_b32 v58, v63, v62, s5
	v_pk_mul_f32 v[22:23], v[64:65], s[4:5] op_sel_hi:[1,0]
	v_mfma_f32_16x16x16_bf16 v[62:65], v[24:25], v[34:35], 0
	v_perm_b32 v59, v31, v30, s5
	v_perm_b32 v24, v69, v68, s5
	;; [unrolled: 1-line block ×3, first 2 shown]
	v_cvt_pk_f32_fp8_e32 v[34:35], v33
	v_cvt_pk_f32_fp8_sdwa v[68:69], v33 src0_sel:WORD_1
	v_mfma_f32_16x16x16_bf16 v[30:33], v[58:59], v[36:37], v[62:65]
	s_waitcnt vmcnt(2)
	v_cvt_pk_f32_fp8_sdwa v[36:37], v18 src0_sel:WORD_1
	v_perm_b32 v34, v35, v34, s5
	v_perm_b32 v35, v69, v68, s5
	v_mfma_f32_16x16x16_bf16 v[30:33], v[24:25], v[38:39], v[30:33]
	v_cvt_pk_f32_fp8_e32 v[24:25], v18
	v_cvt_pk_f32_fp8_sdwa v[38:39], v20 src0_sel:WORD_1
	v_bfe_u32 v57, v67, 16, 1
	v_mfma_f32_16x16x16_bf16 v[30:33], v[34:35], v[40:41], v[30:33]
	v_cvt_pk_f32_fp8_e32 v[34:35], v19
	v_perm_b32 v24, v25, v24, s5
	v_perm_b32 v25, v37, v36, s5
	v_cvt_pk_f32_fp8_sdwa v[18:19], v19 src0_sel:WORD_1
	v_perm_b32 v34, v35, v34, s5
	v_cvt_pk_f32_fp8_e32 v[36:37], v20
	v_mfma_f32_16x16x16_bf16 v[30:33], v[24:25], v[6:7], v[30:33]
	v_perm_b32 v35, v19, v18, s5
	v_perm_b32 v18, v37, v36, s5
	;; [unrolled: 1-line block ×3, first 2 shown]
	v_cvt_pk_f32_fp8_e32 v[24:25], v21
	v_cvt_pk_f32_fp8_sdwa v[20:21], v21 src0_sel:WORD_1
	v_mfma_f32_16x16x16_bf16 v[6:9], v[34:35], v[8:9], v[30:33]
	v_bfe_u32 v58, v66, 16, 1
	v_perm_b32 v24, v25, v24, s5
	v_perm_b32 v25, v21, v20, s5
	v_mfma_f32_16x16x16_bf16 v[6:9], v[18:19], v[42:43], v[6:9]
	s_waitcnt vmcnt(1)
	v_cvt_pk_f32_fp8_e32 v[18:19], v14
	v_cvt_pk_f32_fp8_sdwa v[20:21], v14 src0_sel:WORD_1
	v_cvt_pk_f32_fp8_sdwa v[30:31], v16 src0_sel:WORD_1
	v_mfma_f32_16x16x16_bf16 v[6:9], v[24:25], v[44:45], v[6:9]
	v_cvt_pk_f32_fp8_e32 v[24:25], v15
	v_perm_b32 v18, v19, v18, s5
	v_perm_b32 v19, v21, v20, s5
	v_cvt_pk_f32_fp8_sdwa v[14:15], v15 src0_sel:WORD_1
	v_perm_b32 v20, v25, v24, s5
	v_cvt_pk_f32_fp8_e32 v[24:25], v16
	v_mfma_f32_16x16x16_bf16 v[6:9], v[18:19], v[2:3], v[6:9]
	v_perm_b32 v21, v15, v14, s5
	v_perm_b32 v14, v25, v24, s5
	;; [unrolled: 1-line block ×3, first 2 shown]
	v_cvt_pk_f32_fp8_e32 v[18:19], v17
	v_cvt_pk_f32_fp8_sdwa v[16:17], v17 src0_sel:WORD_1
	v_mfma_f32_16x16x16_bf16 v[2:5], v[20:21], v[4:5], v[6:9]
	v_add3_u32 v32, v66, v58, s9
	v_add3_u32 v33, v67, v57, s9
	s_nop 0
	v_perm_b32 v8, v19, v18, s5
	v_perm_b32 v9, v17, v16, s5
	v_mfma_f32_16x16x16_bf16 v[2:5], v[14:15], v[46:47], v[2:5]
	s_waitcnt vmcnt(0)
	v_cvt_pk_f32_fp8_e32 v[14:15], v10
	v_cvt_pk_f32_fp8_sdwa v[16:17], v10 src0_sel:WORD_1
	v_cvt_pk_f32_fp8_sdwa v[18:19], v12 src0_sel:WORD_1
	v_mfma_f32_16x16x16_bf16 v[2:5], v[8:9], v[48:49], v[2:5]
	v_cvt_pk_f32_fp8_e32 v[8:9], v11
	v_perm_b32 v14, v15, v14, s5
	v_perm_b32 v15, v17, v16, s5
	v_cvt_pk_f32_fp8_sdwa v[10:11], v11 src0_sel:WORD_1
	v_perm_b32 v8, v9, v8, s5
	v_cvt_pk_f32_fp8_e32 v[16:17], v12
	v_mfma_f32_16x16x16_bf16 v[2:5], v[14:15], v[26:27], v[2:5]
	v_perm_b32 v9, v11, v10, s5
	v_perm_b32 v10, v17, v16, s5
	;; [unrolled: 1-line block ×3, first 2 shown]
	v_cvt_pk_f32_fp8_e32 v[14:15], v13
	v_cvt_pk_f32_fp8_sdwa v[12:13], v13 src0_sel:WORD_1
	v_mfma_f32_16x16x16_bf16 v[2:5], v[8:9], v[28:29], v[2:5]
	v_bfe_u32 v7, v23, 16, 1
	v_perm_b32 v8, v15, v14, s5
	v_perm_b32 v9, v13, v12, s5
	v_mfma_f32_16x16x16_bf16 v[2:5], v[10:11], v[50:51], v[2:5]
	v_bfe_u32 v16, v22, 16, 1
	v_add3_u32 v10, v22, v16, s9
	v_add3_u32 v7, v23, v7, s9
	v_mfma_f32_16x16x16_bf16 v[2:5], v[8:9], v[52:53], v[2:5]
	v_perm_b32 v6, v33, v32, s5
	v_perm_b32 v7, v7, v10, s5
	s_nop 4
	v_pk_mul_f32 v[2:3], v[2:3], s[4:5] op_sel_hi:[1,0]
	v_pk_mul_f32 v[4:5], v[4:5], s[4:5] op_sel_hi:[1,0]
	v_bfe_u32 v8, v3, 16, 1
	v_bfe_u32 v9, v2, 16, 1
	v_add3_u32 v2, v2, v9, s9
	v_add3_u32 v3, v3, v8, s9
	v_perm_b32 v2, v3, v2, s5
	v_bfe_u32 v3, v5, 16, 1
	v_bfe_u32 v8, v4, 16, 1
	v_add3_u32 v4, v4, v8, s9
	v_add3_u32 v3, v5, v3, s9
	v_perm_b32 v3, v3, v4, s5
	ds_write2st64_b64 v55, v[6:7], v[2:3] offset1:1
	s_waitcnt lgkmcnt(0)
	s_barrier
	s_and_saveexec_b64 s[4:5], vcc
	s_cbranch_execz .LBB1261_20
; %bb.18:
	s_load_dwordx2 s[4:5], s[0:1], 0x68
	s_lshl_b32 s0, s7, 7
	s_mul_i32 s1, s8, s2
	v_lshlrev_b32_e32 v3, 6, v56
	s_mul_hi_u32 s9, s1, s0
	s_mul_i32 s8, s1, s0
	v_lshl_or_b32 v0, v0, 10, v3
	s_lshl_b64 s[8:9], s[8:9], 1
	v_lshlrev_b32_e32 v2, 5, v60
	v_and_b32_e32 v1, 16, v1
	v_and_b32_e32 v0, 0x1a00, v0
	s_waitcnt lgkmcnt(0)
	s_add_u32 s1, s4, s8
	v_or3_b32 v2, v0, v2, v1
	s_addc_u32 s4, s5, s9
	s_lshl_b32 s2, s6, 7
	ds_read_b128 v[4:7], v2 offset:256
	s_lshl_b64 s[2:3], s[2:3], 1
	ds_read_b128 v[8:11], v2 offset:128
	ds_read_b128 v[12:15], v2
	s_add_u32 s2, s1, s2
	s_addc_u32 s3, s4, s3
	v_mov_b32_e32 v55, 0
	v_add_u32_e32 v18, s48, v60
	v_lshl_add_u64 v[0:1], s[2:3], 0, v[54:55]
	v_mad_u64_u32 v[16:17], s[2:3], v18, s0, 0
	v_lshl_add_u64 v[16:17], v[16:17], 1, v[0:1]
	s_waitcnt lgkmcnt(0)
	global_store_dwordx4 v[16:17], v[12:15], off
	v_or_b32_e32 v3, 12, v60
	v_cmp_gt_u32_e32 vcc, 14, v3
	v_add_u32_e32 v12, 4, v18
	v_mad_u64_u32 v[12:13], s[2:3], v12, s0, 0
	v_lshl_add_u64 v[12:13], v[12:13], 1, v[0:1]
	global_store_dwordx4 v[12:13], v[8:11], off
	s_nop 1
	v_add_u32_e32 v8, 8, v18
	v_mad_u64_u32 v[8:9], s[2:3], v8, s0, 0
	v_lshl_add_u64 v[8:9], v[8:9], 1, v[0:1]
	global_store_dwordx4 v[8:9], v[4:7], off
	s_and_b64 exec, exec, vcc
	s_cbranch_execz .LBB1261_20
; %bb.19:
	ds_read_b128 v[4:7], v2 offset:384
	v_add_u32_e32 v2, s48, v3
	v_mad_u64_u32 v[2:3], s[0:1], v2, s0, 0
	v_lshl_add_u64 v[0:1], v[2:3], 1, v[0:1]
	s_waitcnt lgkmcnt(0)
	global_store_dwordx4 v[0:1], v[4:7], off
.LBB1261_20:
	s_endpgm
	.section	.rodata,"a",@progbits
	.p2align	6, 0x0
	.amdhsa_kernel _Z39paged_attention_ll4mi_QKV_mfma16_kernelI14__hip_bfloat16hLN4vllm18Fp8KVCacheDataTypeE1EhLi16ELi128ELi256ELb1ELi14EEvPKT_PKT0_S8_ifPKiSA_SA_iPKfiiiPfSD_PS3_PT2_iSC_SC_
		.amdhsa_group_segment_fixed_size 8192
		.amdhsa_private_segment_fixed_size 0
		.amdhsa_kernarg_size 400
		.amdhsa_user_sgpr_count 2
		.amdhsa_user_sgpr_dispatch_ptr 0
		.amdhsa_user_sgpr_queue_ptr 0
		.amdhsa_user_sgpr_kernarg_segment_ptr 1
		.amdhsa_user_sgpr_dispatch_id 0
		.amdhsa_user_sgpr_kernarg_preload_length 0
		.amdhsa_user_sgpr_kernarg_preload_offset 0
		.amdhsa_user_sgpr_private_segment_size 0
		.amdhsa_uses_dynamic_stack 0
		.amdhsa_enable_private_segment 0
		.amdhsa_system_sgpr_workgroup_id_x 1
		.amdhsa_system_sgpr_workgroup_id_y 1
		.amdhsa_system_sgpr_workgroup_id_z 1
		.amdhsa_system_sgpr_workgroup_info 0
		.amdhsa_system_vgpr_workitem_id 0
		.amdhsa_next_free_vgpr 76
		.amdhsa_next_free_sgpr 50
		.amdhsa_accum_offset 76
		.amdhsa_reserve_vcc 1
		.amdhsa_float_round_mode_32 0
		.amdhsa_float_round_mode_16_64 0
		.amdhsa_float_denorm_mode_32 3
		.amdhsa_float_denorm_mode_16_64 3
		.amdhsa_dx10_clamp 1
		.amdhsa_ieee_mode 1
		.amdhsa_fp16_overflow 0
		.amdhsa_tg_split 0
		.amdhsa_exception_fp_ieee_invalid_op 0
		.amdhsa_exception_fp_denorm_src 0
		.amdhsa_exception_fp_ieee_div_zero 0
		.amdhsa_exception_fp_ieee_overflow 0
		.amdhsa_exception_fp_ieee_underflow 0
		.amdhsa_exception_fp_ieee_inexact 0
		.amdhsa_exception_int_div_zero 0
	.end_amdhsa_kernel
	.section	.text._Z39paged_attention_ll4mi_QKV_mfma16_kernelI14__hip_bfloat16hLN4vllm18Fp8KVCacheDataTypeE1EhLi16ELi128ELi256ELb1ELi14EEvPKT_PKT0_S8_ifPKiSA_SA_iPKfiiiPfSD_PS3_PT2_iSC_SC_,"axG",@progbits,_Z39paged_attention_ll4mi_QKV_mfma16_kernelI14__hip_bfloat16hLN4vllm18Fp8KVCacheDataTypeE1EhLi16ELi128ELi256ELb1ELi14EEvPKT_PKT0_S8_ifPKiSA_SA_iPKfiiiPfSD_PS3_PT2_iSC_SC_,comdat
.Lfunc_end1261:
	.size	_Z39paged_attention_ll4mi_QKV_mfma16_kernelI14__hip_bfloat16hLN4vllm18Fp8KVCacheDataTypeE1EhLi16ELi128ELi256ELb1ELi14EEvPKT_PKT0_S8_ifPKiSA_SA_iPKfiiiPfSD_PS3_PT2_iSC_SC_, .Lfunc_end1261-_Z39paged_attention_ll4mi_QKV_mfma16_kernelI14__hip_bfloat16hLN4vllm18Fp8KVCacheDataTypeE1EhLi16ELi128ELi256ELb1ELi14EEvPKT_PKT0_S8_ifPKiSA_SA_iPKfiiiPfSD_PS3_PT2_iSC_SC_
                                        ; -- End function
	.section	.AMDGPU.csdata,"",@progbits
; Kernel info:
; codeLenInByte = 6652
; NumSgprs: 56
; NumVgprs: 76
; NumAgprs: 0
; TotalNumVgprs: 76
; ScratchSize: 0
; MemoryBound: 0
; FloatMode: 240
; IeeeMode: 1
; LDSByteSize: 8192 bytes/workgroup (compile time only)
; SGPRBlocks: 6
; VGPRBlocks: 9
; NumSGPRsForWavesPerEU: 56
; NumVGPRsForWavesPerEU: 76
; AccumOffset: 76
; Occupancy: 6
; WaveLimiterHint : 1
; COMPUTE_PGM_RSRC2:SCRATCH_EN: 0
; COMPUTE_PGM_RSRC2:USER_SGPR: 2
; COMPUTE_PGM_RSRC2:TRAP_HANDLER: 0
; COMPUTE_PGM_RSRC2:TGID_X_EN: 1
; COMPUTE_PGM_RSRC2:TGID_Y_EN: 1
; COMPUTE_PGM_RSRC2:TGID_Z_EN: 1
; COMPUTE_PGM_RSRC2:TIDIG_COMP_CNT: 0
; COMPUTE_PGM_RSRC3_GFX90A:ACCUM_OFFSET: 18
; COMPUTE_PGM_RSRC3_GFX90A:TG_SPLIT: 0
	.section	.text._Z39paged_attention_ll4mi_QKV_mfma16_kernelI14__hip_bfloat16hLN4vllm18Fp8KVCacheDataTypeE1EhLi16ELi128ELi256ELb1ELi15EEvPKT_PKT0_S8_ifPKiSA_SA_iPKfiiiPfSD_PS3_PT2_iSC_SC_,"axG",@progbits,_Z39paged_attention_ll4mi_QKV_mfma16_kernelI14__hip_bfloat16hLN4vllm18Fp8KVCacheDataTypeE1EhLi16ELi128ELi256ELb1ELi15EEvPKT_PKT0_S8_ifPKiSA_SA_iPKfiiiPfSD_PS3_PT2_iSC_SC_,comdat
	.protected	_Z39paged_attention_ll4mi_QKV_mfma16_kernelI14__hip_bfloat16hLN4vllm18Fp8KVCacheDataTypeE1EhLi16ELi128ELi256ELb1ELi15EEvPKT_PKT0_S8_ifPKiSA_SA_iPKfiiiPfSD_PS3_PT2_iSC_SC_ ; -- Begin function _Z39paged_attention_ll4mi_QKV_mfma16_kernelI14__hip_bfloat16hLN4vllm18Fp8KVCacheDataTypeE1EhLi16ELi128ELi256ELb1ELi15EEvPKT_PKT0_S8_ifPKiSA_SA_iPKfiiiPfSD_PS3_PT2_iSC_SC_
	.globl	_Z39paged_attention_ll4mi_QKV_mfma16_kernelI14__hip_bfloat16hLN4vllm18Fp8KVCacheDataTypeE1EhLi16ELi128ELi256ELb1ELi15EEvPKT_PKT0_S8_ifPKiSA_SA_iPKfiiiPfSD_PS3_PT2_iSC_SC_
	.p2align	8
	.type	_Z39paged_attention_ll4mi_QKV_mfma16_kernelI14__hip_bfloat16hLN4vllm18Fp8KVCacheDataTypeE1EhLi16ELi128ELi256ELb1ELi15EEvPKT_PKT0_S8_ifPKiSA_SA_iPKfiiiPfSD_PS3_PT2_iSC_SC_,@function
_Z39paged_attention_ll4mi_QKV_mfma16_kernelI14__hip_bfloat16hLN4vllm18Fp8KVCacheDataTypeE1EhLi16ELi128ELi256ELb1ELi15EEvPKT_PKT0_S8_ifPKiSA_SA_iPKfiiiPfSD_PS3_PT2_iSC_SC_: ; @_Z39paged_attention_ll4mi_QKV_mfma16_kernelI14__hip_bfloat16hLN4vllm18Fp8KVCacheDataTypeE1EhLi16ELi128ELi256ELb1ELi15EEvPKT_PKT0_S8_ifPKiSA_SA_iPKfiiiPfSD_PS3_PT2_iSC_SC_
; %bb.0:
	s_load_dwordx2 s[10:11], s[0:1], 0x30
	s_mov_b32 s6, s3
	s_mov_b64 s[8:9], 0
	s_waitcnt lgkmcnt(0)
	s_cmp_lg_u64 s[10:11], 0
	s_cselect_b64 s[12:13], -1, 0
	s_and_b64 vcc, exec, s[12:13]
	s_cbranch_vccz .LBB1262_7
; %bb.1:
	s_add_i32 s14, s2, 1
	s_mov_b32 s15, 0
	s_lshl_b64 s[16:17], s[14:15], 2
	s_add_u32 s16, s10, s16
	s_mov_b32 s3, s15
	s_addc_u32 s17, s11, s17
	s_lshl_b64 s[14:15], s[2:3], 2
	s_add_u32 s14, s10, s14
	s_addc_u32 s15, s11, s15
	s_load_dword s5, s[16:17], 0x0
	s_load_dword s7, s[14:15], 0x0
	s_waitcnt lgkmcnt(0)
	s_sub_i32 s5, s5, s7
	s_cmp_eq_u32 s5, 1
	s_cselect_b64 s[14:15], -1, 0
	s_andn2_b64 vcc, exec, s[8:9]
	s_cbranch_vccnz .LBB1262_3
.LBB1262_2:
	s_mov_b32 s3, 0
	s_mov_b64 s[14:15], -1
.LBB1262_3:
	s_andn2_b64 vcc, exec, s[14:15]
	s_cbranch_vccnz .LBB1262_20
; %bb.4:
	s_load_dwordx2 s[8:9], s[0:1], 0x28
	s_lshl_b64 s[14:15], s[2:3], 2
	s_waitcnt lgkmcnt(0)
	s_add_u32 s8, s8, s14
	s_addc_u32 s9, s9, s15
	s_load_dword s7, s[8:9], 0x0
	s_lshl_b32 s18, s6, 8
	s_waitcnt lgkmcnt(0)
	s_cmp_ge_i32 s18, s7
	s_cbranch_scc1 .LBB1262_20
; %bb.5:
	s_load_dwordx2 s[8:9], s[0:1], 0x20
	s_load_dword s5, s[0:1], 0x38
	s_add_i32 s16, s7, 15
	s_ashr_i32 s17, s16, 31
	v_and_b32_e32 v1, 0xcf, v0
	s_lshr_b32 s17, s17, 28
	v_add_u32_e32 v1, s18, v1
	s_add_i32 s16, s16, s17
	v_ashrrev_i32_e32 v2, 31, v1
	s_ashr_i32 s19, s16, 4
	v_lshrrev_b32_e32 v4, 28, v2
	s_add_i32 s19, s19, -1
	s_waitcnt lgkmcnt(0)
	s_mul_i32 s16, s2, s5
	s_mov_b32 s17, 0
	v_add_u32_e32 v2, v1, v4
	s_lshl_b64 s[16:17], s[16:17], 2
	v_ashrrev_i32_e32 v2, 4, v2
	v_mov_b32_e32 v5, s19
	v_cmp_gt_i32_e32 vcc, s7, v1
	s_add_u32 s8, s8, s16
	s_addc_u32 s9, s9, s17
	v_cndmask_b32_e32 v2, v5, v2, vcc
	v_ashrrev_i32_e32 v3, 31, v2
	v_lshl_add_u64 v[6:7], v[2:3], 2, s[8:9]
	v_or_b32_e32 v2, 16, v1
	v_add_u32_e32 v3, v2, v4
	v_ashrrev_i32_e32 v3, 4, v3
	v_cmp_gt_i32_e32 vcc, s7, v2
	s_load_dwordx2 s[16:17], s[0:1], 0x8
	s_nop 0
	v_cndmask_b32_e32 v2, v5, v3, vcc
	v_ashrrev_i32_e32 v3, 31, v2
	v_lshl_add_u64 v[8:9], v[2:3], 2, s[8:9]
	v_or_b32_e32 v2, 32, v1
	v_add_u32_e32 v3, v2, v4
	v_ashrrev_i32_e32 v3, 4, v3
	v_cmp_gt_i32_e32 vcc, s7, v2
	v_or_b32_e32 v1, 48, v1
	s_nop 0
	v_cndmask_b32_e32 v2, v5, v3, vcc
	v_ashrrev_i32_e32 v3, 31, v2
	v_lshl_add_u64 v[12:13], v[2:3], 2, s[8:9]
	v_add_u32_e32 v2, v1, v4
	v_ashrrev_i32_e32 v2, 4, v2
	v_cmp_gt_i32_e32 vcc, s7, v1
	s_nop 1
	v_cndmask_b32_e32 v2, v5, v2, vcc
	v_ashrrev_i32_e32 v3, 31, v2
	v_lshl_add_u64 v[14:15], v[2:3], 2, s[8:9]
	global_load_dword v4, v[6:7], off
	global_load_dword v3, v[8:9], off
	;; [unrolled: 1-line block ×4, first 2 shown]
	s_andn2_b64 vcc, exec, s[12:13]
	s_cbranch_vccnz .LBB1262_8
; %bb.6:
	s_add_u32 s10, s10, s14
	s_addc_u32 s11, s11, s15
	s_load_dword s5, s[10:11], 0x0
	s_branch .LBB1262_9
.LBB1262_7:
	s_mov_b64 s[14:15], 0
	s_branch .LBB1262_2
.LBB1262_8:
	s_mov_b32 s5, s2
.LBB1262_9:
	s_load_dwordx2 s[10:11], s[0:1], 0x10
	s_load_dwordx4 s[44:47], s[0:1], 0x48
	v_lshrrev_b32_e32 v57, 6, v0
	v_bfe_u32 v60, v0, 4, 2
	v_and_b32_e32 v56, 15, v0
	v_lshl_or_b32 v5, v57, 2, v60
	v_lshlrev_b32_e32 v1, 3, v56
	s_mul_i32 s48, s4, 15
	v_cmp_gt_u32_e32 vcc, 15, v5
	v_lshlrev_b32_e32 v54, 1, v1
	v_lshlrev_b32_e32 v1, 4, v0
	s_and_saveexec_b64 s[12:13], vcc
	s_cbranch_execz .LBB1262_11
; %bb.10:
	s_load_dwordx2 s[14:15], s[0:1], 0x0
	s_waitcnt lgkmcnt(0)
	s_ashr_i32 s20, s44, 31
	s_mul_hi_u32 s21, s5, s44
	s_mul_i32 s20, s5, s20
	s_add_i32 s21, s21, s20
	s_mul_i32 s20, s5, s44
	s_lshl_b64 s[20:21], s[20:21], 1
	s_add_u32 s14, s14, s20
	v_add_lshl_u32 v6, v5, s48, 7
	s_addc_u32 s15, s15, s21
	v_ashrrev_i32_e32 v7, 31, v6
	v_lshl_add_u64 v[6:7], v[6:7], 1, s[14:15]
	v_mov_b32_e32 v55, 0
	v_lshl_add_u64 v[6:7], v[6:7], 0, v[54:55]
	global_load_dwordx4 v[6:9], v[6:7], off
	v_lshlrev_b32_e32 v12, 8, v0
	v_lshlrev_b32_e32 v11, 8, v56
	v_and_b32_e32 v12, 0x600, v12
	s_movk_i32 s5, 0x800
	v_and_or_b32 v11, v11, s5, v12
	v_lshlrev_b32_e32 v5, 5, v5
	v_and_b32_e32 v12, 16, v1
	v_or3_b32 v5, v11, v5, v12
	s_waitcnt vmcnt(0)
	ds_write_b128 v5, v[6:9]
.LBB1262_11:
	s_or_b64 exec, exec, s[12:13]
	s_waitcnt lgkmcnt(0)
	s_mul_i32 s12, s4, s46
	s_add_u32 s4, s16, s12
	v_mov_b32_e32 v59, 0
	s_addc_u32 s5, s17, 0
	v_and_b32_e32 v58, 0xf0, v1
	v_and_b32_e32 v34, 48, v0
	v_lshl_add_u64 v[12:13], s[4:5], 0, v[58:59]
	v_lshlrev_b32_e32 v58, 4, v34
	s_waitcnt vmcnt(3)
	v_mad_i64_i32 v[4:5], s[4:5], v4, s45, v[12:13]
	v_lshl_add_u64 v[4:5], v[4:5], 0, v[58:59]
	s_barrier
	global_load_dwordx4 v[50:53], v[4:5], off
	global_load_dwordx4 v[46:49], v[4:5], off offset:1024
	s_waitcnt vmcnt(4)
	v_mad_i64_i32 v[4:5], s[4:5], v3, s45, v[12:13]
	s_waitcnt vmcnt(3)
	v_mad_i64_i32 v[2:3], s[4:5], v2, s45, v[12:13]
	;; [unrolled: 2-line block ×3, first 2 shown]
	v_lshl_add_u64 v[4:5], v[4:5], 0, v[58:59]
	v_lshl_add_u64 v[14:15], v[2:3], 0, v[58:59]
	;; [unrolled: 1-line block ×3, first 2 shown]
	global_load_dwordx4 v[36:39], v[4:5], off
	global_load_dwordx4 v[6:9], v[4:5], off offset:1024
	s_nop 0
	global_load_dwordx4 v[2:5], v[14:15], off
	global_load_dwordx4 v[42:45], v[14:15], off offset:1024
	global_load_dwordx4 v[26:29], v[10:11], off
	s_nop 0
	global_load_dwordx4 v[14:17], v[10:11], off offset:1024
	v_cmp_ne_u32_e32 vcc, 15, v56
	v_and_b32_e32 v55, 63, v0
	v_mov_b32_e32 v61, 0
	v_cndmask_b32_e32 v10, 0, v56, vcc
	v_lshlrev_b32_e32 v10, 5, v10
	v_lshl_or_b32 v10, v60, 9, v10
	ds_read_b128 v[30:33], v10
	ds_read_b128 v[22:25], v10 offset:16
	ds_read_b128 v[18:21], v10 offset:2048
	;; [unrolled: 1-line block ×3, first 2 shown]
	s_and_saveexec_b64 s[4:5], vcc
	s_cbranch_execz .LBB1262_13
; %bb.12:
	s_load_dwordx2 s[14:15], s[0:1], 0x40
	v_add_u32_e32 v40, s48, v56
	v_ashrrev_i32_e32 v41, 31, v40
	s_waitcnt lgkmcnt(0)
	v_lshl_add_u64 v[40:41], v[40:41], 2, s[14:15]
	global_load_dword v61, v[40:41], off
.LBB1262_13:
	s_or_b64 exec, exec, s[4:5]
	v_or_b32_e32 v58, s18, v34
	v_ashrrev_i32_e32 v34, 4, v58
	v_mov_b32_e32 v63, s19
	v_cmp_gt_i32_e32 vcc, s7, v58
	s_waitcnt vmcnt(7)
	v_cvt_pk_f32_fp8_e32 v[40:41], v50
	v_cvt_pk_f32_fp8_sdwa v[64:65], v50 src0_sel:WORD_1
	v_cndmask_b32_e32 v34, v63, v34, vcc
	v_ashrrev_i32_e32 v35, 31, v34
	v_lshl_add_u64 v[34:35], v[34:35], 2, s[8:9]
	global_load_dword v62, v[34:35], off
	v_or_b32_e32 v34, 64, v58
	v_ashrrev_i32_e32 v35, 4, v34
	v_cmp_gt_i32_e32 vcc, s7, v34
	v_or_b32_e32 v66, 0x80, v58
	v_ashrrev_i32_e32 v67, 4, v66
	v_cndmask_b32_e32 v34, v63, v35, vcc
	v_cmp_gt_i32_e32 vcc, s7, v66
	s_mov_b32 s33, 0x7060302
	v_perm_b32 v40, v41, v40, s33
	v_cndmask_b32_e32 v50, v63, v67, vcc
	v_perm_b32 v41, v65, v64, s33
	v_cvt_pk_f32_fp8_e32 v[64:65], v51
	v_cvt_pk_f32_fp8_sdwa v[66:67], v51 src0_sel:WORD_1
	v_ashrrev_i32_e32 v51, 31, v50
	v_lshl_add_u64 v[68:69], v[50:51], 2, s[8:9]
	v_perm_b32 v50, v65, v64, s33
	v_perm_b32 v51, v67, v66, s33
	s_waitcnt lgkmcnt(3)
	v_mfma_f32_16x16x16_bf16 v[64:67], v[40:41], v[30:31], 0
	v_cvt_pk_f32_fp8_e32 v[40:41], v52
	v_cvt_pk_f32_fp8_sdwa v[70:71], v52 src0_sel:WORD_1
	s_waitcnt vmcnt(7)
	v_cvt_pk_f32_fp8_e32 v[72:73], v46
	v_mfma_f32_16x16x16_bf16 v[64:67], v[50:51], v[32:33], v[64:67]
	v_cvt_pk_f32_fp8_e32 v[50:51], v53
	v_perm_b32 v40, v41, v40, s33
	v_perm_b32 v41, v71, v70, s33
	v_cvt_pk_f32_fp8_sdwa v[52:53], v53 src0_sel:WORD_1
	v_perm_b32 v70, v51, v50, s33
	v_cvt_pk_f32_fp8_sdwa v[74:75], v46 src0_sel:WORD_1
	v_ashrrev_i32_e32 v35, 31, v34
	v_perm_b32 v71, v53, v52, s33
	s_waitcnt lgkmcnt(2)
	v_mfma_f32_16x16x16_bf16 v[50:53], v[40:41], v[22:23], v[64:67]
	v_perm_b32 v40, v73, v72, s33
	v_perm_b32 v41, v75, v74, s33
	v_or_b32_e32 v58, 0xc0, v58
	v_cvt_pk_f32_fp8_e32 v[64:65], v47
	v_cvt_pk_f32_fp8_sdwa v[46:47], v47 src0_sel:WORD_1
	v_mfma_f32_16x16x16_bf16 v[50:53], v[70:71], v[24:25], v[50:53]
	v_lshl_add_u64 v[34:35], v[34:35], 2, s[8:9]
	v_perm_b32 v64, v65, v64, s33
	v_perm_b32 v65, v47, v46, s33
	s_waitcnt lgkmcnt(1)
	v_mfma_f32_16x16x16_bf16 v[50:53], v[40:41], v[18:19], v[50:53]
	v_ashrrev_i32_e32 v66, 4, v58
	v_cmp_gt_i32_e32 vcc, s7, v58
	v_cvt_pk_f32_fp8_e32 v[46:47], v48
	s_waitcnt vmcnt(6)
	v_cvt_pk_f32_fp8_sdwa v[70:71], v36 src0_sel:WORD_1
	v_cndmask_b32_e32 v40, v63, v66, vcc
	v_mfma_f32_16x16x16_bf16 v[64:67], v[64:65], v[20:21], v[50:53]
	v_ashrrev_i32_e32 v41, 31, v40
	v_lshl_add_u64 v[40:41], v[40:41], 2, s[8:9]
	v_perm_b32 v46, v47, v46, s33
	global_load_dword v53, v[34:35], off
	global_load_dword v63, v[40:41], off
	v_cvt_pk_f32_fp8_sdwa v[50:51], v48 src0_sel:WORD_1
	v_cvt_pk_f32_fp8_e32 v[34:35], v49
	v_cvt_pk_f32_fp8_sdwa v[48:49], v49 src0_sel:WORD_1
	s_add_u32 s46, s10, s12
	v_perm_b32 v47, v51, v50, s33
	v_perm_b32 v34, v35, v34, s33
	;; [unrolled: 1-line block ×3, first 2 shown]
	s_waitcnt lgkmcnt(0)
	v_mfma_f32_16x16x16_bf16 v[46:49], v[46:47], v[10:11], v[64:67]
	v_cvt_pk_f32_fp8_e32 v[50:51], v36
	s_nop 1
	global_load_dword v64, v[68:69], off
	v_cvt_pk_f32_fp8_e32 v[66:67], v37
	s_waitcnt vmcnt(8)
	v_cvt_pk_f32_fp8_e32 v[68:69], v6
	v_perm_b32 v50, v51, v50, s33
	v_perm_b32 v51, v71, v70, s33
	v_cvt_pk_f32_fp8_sdwa v[70:71], v37 src0_sel:WORD_1
	v_perm_b32 v40, v67, v66, s33
	v_mfma_f32_16x16x16_bf16 v[34:37], v[34:35], v[12:13], v[46:49]
	v_cvt_pk_f32_fp8_sdwa v[66:67], v38 src0_sel:WORD_1
	v_perm_b32 v41, v71, v70, s33
	v_cvt_pk_f32_fp8_sdwa v[70:71], v6 src0_sel:WORD_1
	v_mfma_f32_16x16x16_bf16 v[46:49], v[50:51], v[30:31], 0
	v_cvt_pk_f32_fp8_e32 v[50:51], v38
	v_lshl_or_b32 v52, v57, 4, v56
	s_waitcnt vmcnt(6)
	v_cvt_pk_f32_fp8_e32 v[72:73], v43
	v_mfma_f32_16x16x16_bf16 v[46:49], v[40:41], v[32:33], v[46:49]
	v_cvt_pk_f32_fp8_e32 v[40:41], v39
	v_perm_b32 v50, v51, v50, s33
	v_perm_b32 v51, v67, v66, s33
	v_cvt_pk_f32_fp8_sdwa v[38:39], v39 src0_sel:WORD_1
	v_perm_b32 v66, v41, v40, s33
	s_addc_u32 s47, s11, 0
	v_lshlrev_b32_e32 v58, 4, v52
	v_perm_b32 v67, v39, v38, s33
	v_mfma_f32_16x16x16_bf16 v[38:41], v[50:51], v[22:23], v[46:49]
	v_cvt_pk_f32_fp8_sdwa v[50:51], v2 src0_sel:WORD_1
	s_nop 1
	v_perm_b32 v46, v69, v68, s33
	v_perm_b32 v47, v71, v70, s33
	v_cvt_pk_f32_fp8_e32 v[48:49], v7
	v_cvt_pk_f32_fp8_sdwa v[6:7], v7 src0_sel:WORD_1
	v_mfma_f32_16x16x16_bf16 v[38:41], v[66:67], v[24:25], v[38:41]
	v_lshl_add_u64 v[70:71], s[46:47], 0, v[58:59]
	v_perm_b32 v48, v49, v48, s33
	v_perm_b32 v49, v7, v6, s33
	v_mfma_f32_16x16x16_bf16 v[38:41], v[46:47], v[18:19], v[38:41]
	v_cvt_pk_f32_fp8_e32 v[6:7], v8
	v_cvt_pk_f32_fp8_sdwa v[46:47], v8 src0_sel:WORD_1
	v_or_b32_e32 v58, 0x400, v58
	v_mfma_f32_16x16x16_bf16 v[38:41], v[48:49], v[20:21], v[38:41]
	v_cvt_pk_f32_fp8_e32 v[48:49], v9
	v_perm_b32 v6, v7, v6, s33
	v_perm_b32 v7, v47, v46, s33
	v_cvt_pk_f32_fp8_sdwa v[8:9], v9 src0_sel:WORD_1
	v_perm_b32 v46, v49, v48, s33
	v_cvt_pk_f32_fp8_e32 v[48:49], v2
	v_perm_b32 v47, v9, v8, s33
	v_mfma_f32_16x16x16_bf16 v[6:9], v[6:7], v[10:11], v[38:41]
	v_perm_b32 v48, v49, v48, s33
	v_perm_b32 v49, v51, v50, s33
	v_cvt_pk_f32_fp8_e32 v[50:51], v3
	v_cvt_pk_f32_fp8_sdwa v[2:3], v3 src0_sel:WORD_1
	v_mfma_f32_16x16x16_bf16 v[38:41], v[46:47], v[12:13], v[6:9]
	v_perm_b32 v46, v51, v50, s33
	v_perm_b32 v47, v3, v2, s33
	v_mfma_f32_16x16x16_bf16 v[6:9], v[48:49], v[30:31], 0
	v_cvt_pk_f32_fp8_e32 v[2:3], v4
	v_cvt_pk_f32_fp8_sdwa v[48:49], v4 src0_sel:WORD_1
	s_waitcnt vmcnt(3)
	v_mad_i64_i32 v[50:51], s[4:5], v62, s45, v[70:71]
	v_perm_b32 v2, v3, v2, s33
	v_perm_b32 v3, v49, v48, s33
	v_mfma_f32_16x16x16_bf16 v[6:9], v[46:47], v[32:33], v[6:9]
	v_cvt_pk_f32_fp8_e32 v[46:47], v5
	v_cvt_pk_f32_fp8_sdwa v[4:5], v5 src0_sel:WORD_1
	s_waitcnt vmcnt(2)
	v_mad_i64_i32 v[66:67], s[4:5], v53, s45, v[70:71]
	v_perm_b32 v46, v47, v46, s33
	v_perm_b32 v47, v5, v4, s33
	v_mfma_f32_16x16x16_bf16 v[2:5], v[2:3], v[22:23], v[6:9]
	s_nop 2
	v_cvt_pk_f32_fp8_e32 v[6:7], v42
	v_cvt_pk_f32_fp8_sdwa v[8:9], v42 src0_sel:WORD_1
	v_cvt_pk_f32_fp8_sdwa v[42:43], v43 src0_sel:WORD_1
	v_mfma_f32_16x16x16_bf16 v[46:49], v[46:47], v[24:25], v[2:5]
	v_perm_b32 v68, v7, v6, s33
	v_perm_b32 v69, v9, v8, s33
	global_load_dwordx4 v[6:9], v[50:51], off
	global_load_dwordx4 v[2:5], v[66:67], off
	v_perm_b32 v66, v73, v72, s33
	v_perm_b32 v67, v43, v42, s33
	v_mfma_f32_16x16x16_bf16 v[48:51], v[68:69], v[18:19], v[46:49]
	v_cvt_pk_f32_fp8_e32 v[42:43], v44
	v_cvt_pk_f32_fp8_sdwa v[72:73], v44 src0_sel:WORD_1
	s_waitcnt vmcnt(2)
	v_mad_i64_i32 v[46:47], s[4:5], v64, s45, v[70:71]
	v_mfma_f32_16x16x16_bf16 v[66:69], v[66:67], v[20:21], v[48:51]
	v_perm_b32 v42, v43, v42, s33
	v_perm_b32 v43, v73, v72, s33
	v_cvt_pk_f32_fp8_sdwa v[72:73], v26 src0_sel:WORD_1
	v_cvt_pk_f32_fp8_e32 v[50:51], v45
	v_cvt_pk_f32_fp8_sdwa v[44:45], v45 src0_sel:WORD_1
	v_mad_i64_i32 v[48:49], s[4:5], v63, s45, v[70:71]
	v_perm_b32 v50, v51, v50, s33
	v_perm_b32 v51, v45, v44, s33
	v_mfma_f32_16x16x16_bf16 v[42:45], v[42:43], v[10:11], v[66:69]
	v_cvt_pk_f32_fp8_e32 v[70:71], v26
	s_load_dword s4, s[0:1], 0x1c
	s_load_dwordx4 s[40:43], s[0:1], 0x80
	s_load_dword s44, s[0:1], 0x98
	s_waitcnt lgkmcnt(0)
	s_load_dword s5, s[40:41], 0x0
	v_mfma_f32_16x16x16_bf16 v[66:69], v[50:51], v[12:13], v[42:45]
	s_mov_b32 s40, 0xff7fffff
	s_nop 1
	v_cvt_pk_f32_fp8_e32 v[42:43], v27
	v_perm_b32 v44, v71, v70, s33
	v_perm_b32 v45, v73, v72, s33
	v_cvt_pk_f32_fp8_sdwa v[26:27], v27 src0_sel:WORD_1
	v_perm_b32 v50, v43, v42, s33
	v_cvt_pk_f32_fp8_e32 v[70:71], v28
	v_cvt_pk_f32_fp8_sdwa v[72:73], v28 src0_sel:WORD_1
	v_perm_b32 v51, v27, v26, s33
	v_mfma_f32_16x16x16_bf16 v[42:45], v[44:45], v[30:31], 0
	v_perm_b32 v30, v71, v70, s33
	v_perm_b32 v31, v73, v72, s33
	v_cvt_pk_f32_fp8_e32 v[70:71], v29
	v_cvt_pk_f32_fp8_sdwa v[72:73], v29 src0_sel:WORD_1
	v_mfma_f32_16x16x16_bf16 v[26:29], v[50:51], v[32:33], v[42:45]
	v_mov_b32_e32 v32, s4
	s_waitcnt lgkmcnt(0)
	v_mul_f32_e32 v50, s5, v32
	v_pk_mul_f32 v[32:33], v[50:51], v[34:35] op_sel_hi:[0,1]
	v_perm_b32 v42, v71, v70, s33
	v_perm_b32 v43, v73, v72, s33
	v_mfma_f32_16x16x16_bf16 v[26:29], v[30:31], v[22:23], v[26:29]
	v_pk_mul_f32 v[30:31], v[50:51], v[36:37] op_sel_hi:[0,1]
	v_cvt_pk_f32_fp8_e32 v[22:23], v14
	v_cvt_pk_f32_fp8_sdwa v[70:71], v16 src0_sel:WORD_1
	v_mfma_f32_16x16x16_bf16 v[34:37], v[42:43], v[24:25], v[26:29]
	v_cvt_pk_f32_fp8_sdwa v[24:25], v14 src0_sel:WORD_1
	v_perm_b32 v42, v23, v22, s33
	v_pk_mul_f32 v[40:41], v[50:51], v[40:41] op_sel_hi:[0,1]
	v_cvt_pk_f32_fp8_e32 v[26:27], v15
	v_cvt_pk_f32_fp8_sdwa v[14:15], v15 src0_sel:WORD_1
	v_perm_b32 v43, v25, v24, s33
	v_perm_b32 v44, v27, v26, s33
	;; [unrolled: 1-line block ×3, first 2 shown]
	v_cvt_pk_f32_fp8_e32 v[14:15], v16
	v_mfma_f32_16x16x16_bf16 v[34:37], v[42:43], v[18:19], v[34:37]
	global_load_dwordx4 v[26:29], v[46:47], off
	global_load_dwordx4 v[22:25], v[48:49], off
	v_perm_b32 v19, v71, v70, s33
	v_perm_b32 v18, v15, v14, s33
	v_cvt_pk_f32_fp8_e32 v[42:43], v17
	v_cvt_pk_f32_fp8_sdwa v[46:47], v17 src0_sel:WORD_1
	v_mfma_f32_16x16x16_bf16 v[14:17], v[44:45], v[20:21], v[34:37]
	v_pk_mul_f32 v[44:45], v[50:51], v[38:39] op_sel_hi:[0,1]
	v_perm_b32 v20, v43, v42, s33
	v_perm_b32 v21, v47, v46, s33
	v_mfma_f32_16x16x16_bf16 v[14:17], v[18:19], v[10:11], v[14:17]
	v_pk_mul_f32 v[38:39], v[50:51], v[68:69] op_sel_hi:[0,1]
	v_pk_mul_f32 v[42:43], v[50:51], v[66:67] op_sel_hi:[0,1]
	v_mfma_f32_16x16x16_bf16 v[10:13], v[20:21], v[12:13], v[14:17]
	s_nop 6
	v_pk_mul_f32 v[36:37], v[50:51], v[10:11] op_sel_hi:[0,1]
	v_and_b32_e32 v10, 0xc0, v0
	v_add_u32_e32 v10, s18, v10
	v_lshl_or_b32 v10, v60, 2, v10
	v_or_b32_e32 v11, 1, v10
	v_pk_mul_f32 v[34:35], v[50:51], v[12:13] op_sel_hi:[0,1]
	v_subrev_u32_e32 v12, s7, v11
	v_add_u32_e32 v14, 1, v12
	v_add_u32_e32 v15, 2, v12
	v_cvt_f32_i32_e32 v13, v12
	v_cvt_f32_i32_e32 v14, v14
	;; [unrolled: 1-line block ×3, first 2 shown]
	v_add_u32_e32 v16, 3, v12
	v_fma_f32 v18, v61, v13, v32
	v_fmac_f32_e32 v33, v61, v14
	v_fma_f32 v48, v61, v15, v30
	v_add_u32_e32 v13, 16, v12
	v_add_u32_e32 v14, 17, v12
	;; [unrolled: 1-line block ×3, first 2 shown]
	v_cvt_f32_i32_e32 v16, v16
	v_cvt_f32_i32_e32 v13, v13
	;; [unrolled: 1-line block ×4, first 2 shown]
	v_fmac_f32_e32 v31, v61, v16
	v_add_u32_e32 v16, 19, v12
	v_fma_f32 v44, v61, v13, v44
	v_fmac_f32_e32 v45, v61, v14
	v_fma_f32 v40, v61, v15, v40
	v_add_u32_e32 v13, 32, v12
	v_add_u32_e32 v14, 33, v12
	;; [unrolled: 1-line block ×3, first 2 shown]
	v_cvt_f32_i32_e32 v16, v16
	v_cvt_f32_i32_e32 v13, v13
	;; [unrolled: 1-line block ×4, first 2 shown]
	v_fmac_f32_e32 v41, v61, v16
	v_add_u32_e32 v16, 35, v12
	v_fma_f32 v42, v61, v13, v42
	v_fmac_f32_e32 v43, v61, v14
	v_fma_f32 v38, v61, v15, v38
	v_add_u32_e32 v13, 48, v12
	v_add_u32_e32 v14, 49, v12
	;; [unrolled: 1-line block ×4, first 2 shown]
	v_cvt_f32_i32_e32 v12, v12
	v_cvt_f32_i32_e32 v13, v13
	;; [unrolled: 1-line block ×3, first 2 shown]
	v_cmp_gt_i32_e64 s[8:9], s7, v10
	v_fmac_f32_e32 v35, v61, v12
	v_mov_b32_e32 v12, 0xff7fffff
	v_cmp_gt_i32_e64 s[10:11], s7, v11
	v_fma_f32 v36, v61, v13, v36
	v_cndmask_b32_e64 v13, v12, v18, s[8:9]
	v_cndmask_b32_e64 v11, v12, v33, s[10:11]
	v_fmac_f32_e32 v37, v61, v14
	v_max3_f32 v11, v13, s40, v11
	v_or_b32_e32 v13, 2, v10
	v_or_b32_e32 v14, 3, v10
	v_cmp_gt_i32_e64 s[12:13], s7, v13
	v_cmp_gt_i32_e64 s[14:15], s7, v14
	v_cvt_f32_i32_e32 v16, v16
	v_cndmask_b32_e64 v13, v12, v48, s[12:13]
	v_cndmask_b32_e64 v14, v12, v31, s[14:15]
	v_max3_f32 v11, v11, v13, v14
	v_or_b32_e32 v13, 16, v10
	v_or_b32_e32 v14, 17, v10
	v_cmp_gt_i32_e64 s[16:17], s7, v13
	v_cmp_gt_i32_e64 s[18:19], s7, v14
	v_fmac_f32_e32 v39, v61, v16
	v_cndmask_b32_e64 v13, v12, v44, s[16:17]
	v_cndmask_b32_e64 v14, v12, v45, s[18:19]
	v_max3_f32 v11, v11, v13, v14
	v_or_b32_e32 v13, 18, v10
	v_or_b32_e32 v14, 19, v10
	v_cmp_gt_i32_e64 s[20:21], s7, v13
	v_cmp_gt_i32_e64 s[22:23], s7, v14
	v_cvt_f32_i32_e32 v15, v15
	v_cndmask_b32_e64 v13, v12, v40, s[20:21]
	v_cndmask_b32_e64 v14, v12, v41, s[22:23]
	v_max3_f32 v11, v11, v13, v14
	v_or_b32_e32 v13, 32, v10
	v_or_b32_e32 v14, 33, v10
	v_cmp_gt_i32_e64 s[24:25], s7, v13
	v_cmp_gt_i32_e64 s[26:27], s7, v14
	v_fma_f32 v34, v61, v15, v34
	v_cndmask_b32_e64 v13, v12, v42, s[24:25]
	v_cndmask_b32_e64 v14, v12, v43, s[26:27]
	v_max3_f32 v11, v11, v13, v14
	v_or_b32_e32 v13, 34, v10
	v_or_b32_e32 v14, 35, v10
	v_cmp_gt_i32_e64 s[28:29], s7, v13
	v_cmp_gt_i32_e64 s[30:31], s7, v14
	s_nop 0
	v_cndmask_b32_e64 v13, v12, v38, s[28:29]
	v_cndmask_b32_e64 v14, v12, v39, s[30:31]
	v_max3_f32 v11, v11, v13, v14
	v_or_b32_e32 v13, 48, v10
	v_or_b32_e32 v14, 49, v10
	v_cmp_gt_i32_e64 s[34:35], s7, v13
	v_cmp_gt_i32_e64 s[36:37], s7, v14
	s_nop 0
	v_cndmask_b32_e64 v13, v12, v36, s[34:35]
	v_cndmask_b32_e64 v14, v12, v37, s[36:37]
	v_max3_f32 v11, v11, v13, v14
	v_or_b32_e32 v13, 50, v10
	v_or_b32_e32 v10, 51, v10
	v_cmp_gt_i32_e32 vcc, s7, v13
	v_cmp_gt_i32_e64 s[4:5], s7, v10
	s_nop 0
	v_cndmask_b32_e32 v13, v12, v34, vcc
	v_cndmask_b32_e64 v10, v12, v35, s[4:5]
	v_max3_f32 v14, v11, v13, v10
	v_mbcnt_lo_u32_b32 v10, -1, 0
	v_mbcnt_hi_u32_b32 v15, -1, v10
	v_and_b32_e32 v10, 64, v15
	v_add_u32_e32 v16, 64, v10
	v_xor_b32_e32 v10, 32, v15
	v_cmp_lt_i32_e64 s[38:39], v10, v16
	s_nop 1
	v_cndmask_b32_e64 v10, v15, v10, s[38:39]
	v_lshlrev_b32_e32 v51, 2, v10
	ds_bpermute_b32 v17, v51, v14
	v_lshl_add_u64 v[10:11], s[46:47], 0, v[58:59]
	v_mad_i64_i32 v[12:13], s[38:39], v62, s45, v[10:11]
	s_waitcnt lgkmcnt(0)
	v_max_f32_e32 v17, v17, v17
	v_max_f32_e32 v19, v14, v17
	v_xor_b32_e32 v14, 16, v15
	v_cmp_lt_i32_e64 s[38:39], v14, v16
	s_nop 1
	v_cndmask_b32_e64 v14, v15, v14, s[38:39]
	v_lshlrev_b32_e32 v58, 2, v14
	ds_bpermute_b32 v20, v58, v19
	v_mad_i64_i32 v[14:15], s[38:39], v53, s45, v[10:11]
	v_mad_i64_i32 v[16:17], s[38:39], v64, s45, v[10:11]
	s_waitcnt lgkmcnt(0)
	v_max_f32_e32 v20, v20, v20
	v_max_f32_e32 v50, v19, v20
	v_sub_f32_e32 v18, v18, v50
	v_sub_f32_e32 v19, v33, v50
	v_mul_f32_e32 v18, 0x3fb8aa3b, v18
	v_mul_f32_e32 v19, 0x3fb8aa3b, v19
	v_exp_f32_e32 v18, v18
	v_exp_f32_e32 v19, v19
	v_sub_f32_e32 v49, v31, v50
	v_mad_i64_i32 v[10:11], s[38:39], v63, s45, v[10:11]
	v_cndmask_b32_e64 v46, 0, v18, s[8:9]
	v_cndmask_b32_e64 v47, 0, v19, s[10:11]
	global_load_dwordx4 v[30:33], v[12:13], off
	global_load_dwordx4 v[18:21], v[14:15], off
	v_sub_f32_e32 v12, v48, v50
	v_mul_f32_e32 v12, 0x3fb8aa3b, v12
	v_exp_f32_e32 v48, v12
	global_load_dwordx4 v[14:17], v[16:17], off
	s_nop 0
	global_load_dwordx4 v[10:13], v[10:11], off
	v_sub_f32_e32 v40, v40, v50
	v_sub_f32_e32 v42, v42, v50
	v_mul_f32_e32 v40, 0x3fb8aa3b, v40
	v_mul_f32_e32 v42, 0x3fb8aa3b, v42
	v_exp_f32_e32 v40, v40
	v_exp_f32_e32 v53, v42
	v_mul_f32_e32 v49, 0x3fb8aa3b, v49
	v_sub_f32_e32 v44, v44, v50
	v_exp_f32_e32 v49, v49
	v_mul_f32_e32 v44, 0x3fb8aa3b, v44
	v_sub_f32_e32 v45, v45, v50
	v_sub_f32_e32 v42, v43, v50
	v_exp_f32_e32 v44, v44
	v_mul_f32_e32 v45, 0x3fb8aa3b, v45
	v_mul_f32_e32 v42, 0x3fb8aa3b, v42
	v_exp_f32_e32 v45, v45
	v_sub_f32_e32 v41, v41, v50
	v_exp_f32_e32 v59, v42
	v_cndmask_b32_e64 v42, 0, v40, s[20:21]
	v_cndmask_b32_e64 v40, 0, v53, s[24:25]
	v_add_f32_e32 v53, 0, v46
	v_cndmask_b32_e64 v48, 0, v48, s[12:13]
	v_mul_f32_e32 v41, 0x3fb8aa3b, v41
	v_add_f32_e32 v53, v53, v47
	v_cndmask_b32_e64 v49, 0, v49, s[14:15]
	v_exp_f32_e32 v41, v41
	v_add_f32_e32 v53, v53, v48
	v_cndmask_b32_e64 v44, 0, v44, s[16:17]
	v_sub_f32_e32 v38, v38, v50
	v_add_f32_e32 v53, v53, v49
	v_cndmask_b32_e64 v45, 0, v45, s[18:19]
	v_sub_f32_e32 v39, v39, v50
	v_mul_f32_e32 v38, 0x3fb8aa3b, v38
	v_add_f32_e32 v53, v53, v44
	v_exp_f32_e32 v38, v38
	v_mul_f32_e32 v39, 0x3fb8aa3b, v39
	v_sub_f32_e32 v36, v36, v50
	v_add_f32_e32 v53, v53, v45
	v_cndmask_b32_e64 v43, 0, v41, s[22:23]
	v_exp_f32_e32 v39, v39
	v_mul_f32_e32 v36, 0x3fb8aa3b, v36
	v_sub_f32_e32 v37, v37, v50
	v_add_f32_e32 v53, v53, v42
	v_exp_f32_e32 v36, v36
	v_mul_f32_e32 v37, 0x3fb8aa3b, v37
	v_add_f32_e32 v53, v53, v43
	v_sub_f32_e32 v34, v34, v50
	v_cndmask_b32_e64 v41, 0, v59, s[26:27]
	v_exp_f32_e32 v37, v37
	v_add_f32_e32 v53, v53, v40
	v_mul_f32_e32 v34, 0x3fb8aa3b, v34
	v_sub_f32_e32 v35, v35, v50
	v_cndmask_b32_e64 v38, 0, v38, s[28:29]
	v_add_f32_e32 v53, v53, v41
	v_exp_f32_e32 v34, v34
	v_mul_f32_e32 v35, 0x3fb8aa3b, v35
	v_cndmask_b32_e64 v39, 0, v39, s[30:31]
	v_add_f32_e32 v53, v53, v38
	v_exp_f32_e32 v35, v35
	v_cndmask_b32_e64 v36, 0, v36, s[34:35]
	v_add_f32_e32 v53, v53, v39
	v_cndmask_b32_e64 v37, 0, v37, s[36:37]
	v_add_f32_e32 v53, v53, v36
	v_add_f32_e32 v53, v53, v37
	v_cndmask_b32_e32 v34, 0, v34, vcc
	v_add_f32_e32 v53, v53, v34
	v_cndmask_b32_e64 v35, 0, v35, s[4:5]
	v_add_f32_e32 v53, v53, v35
	ds_bpermute_b32 v51, v51, v53
	v_cmp_gt_u32_e32 vcc, 16, v55
	s_waitcnt lgkmcnt(0)
	s_barrier
	v_add_f32_e32 v51, v53, v51
	ds_bpermute_b32 v53, v58, v51
	s_and_saveexec_b64 s[4:5], vcc
	s_cbranch_execz .LBB1262_15
; %bb.14:
	s_waitcnt lgkmcnt(0)
	v_add_f32_e32 v51, v51, v53
	v_lshlrev_b32_e32 v52, 2, v52
	ds_write2st64_b32 v52, v50, v51 offset1:1
.LBB1262_15:
	s_or_b64 exec, exec, s[4:5]
	v_lshlrev_b32_e32 v51, 2, v56
	s_load_dword s7, s[0:1], 0x94
	s_waitcnt lgkmcnt(0)
	s_barrier
	ds_read2_b32 v[52:53], v51 offset1:16
	ds_read2_b32 v[58:59], v51 offset0:32 offset1:48
	ds_read2_b32 v[62:63], v51 offset0:64 offset1:80
	s_movk_i32 s9, 0x7fff
	s_mul_i32 s8, s44, 15
	s_waitcnt lgkmcnt(2)
	v_max3_f32 v50, v52, s40, v53
	s_waitcnt lgkmcnt(1)
	v_max3_f32 v50, v50, v58, v59
	v_sub_f32_e32 v52, v52, v50
	v_mul_f32_e32 v52, 0x3fb8aa3b, v52
	v_exp_f32_e32 v55, v52
	v_sub_f32_e32 v52, v53, v50
	v_mul_f32_e32 v52, 0x3fb8aa3b, v52
	v_exp_f32_e32 v61, v52
	;; [unrolled: 3-line block ×3, first 2 shown]
	ds_read2_b32 v[52:53], v51 offset0:96 offset1:112
	v_sub_f32_e32 v51, v59, v50
	v_mul_f32_e32 v51, 0x3fb8aa3b, v51
	v_exp_f32_e32 v59, v51
	s_waitcnt lgkmcnt(1)
	v_fma_f32 v51, v55, v62, 0
	v_fmac_f32_e32 v51, v61, v63
	s_waitcnt lgkmcnt(0)
	v_fmac_f32_e32 v51, v58, v52
	v_fmac_f32_e32 v51, v59, v53
	v_add_f32_e32 v52, 0x358637bd, v51
	v_div_scale_f32 v53, s[4:5], v52, v52, 1.0
	v_rcp_f32_e32 v62, v53
	s_barrier
	v_fma_f32 v63, -v53, v62, 1.0
	v_fmac_f32_e32 v62, v63, v62
	v_div_scale_f32 v63, vcc, 1.0, v52, 1.0
	v_mul_f32_e32 v64, v63, v62
	v_fma_f32 v65, -v53, v64, v63
	v_fmac_f32_e32 v64, v65, v62
	v_fma_f32 v53, -v53, v64, v63
	v_div_fmas_f32 v53, v53, v62, v64
	v_cmp_eq_u32_e32 vcc, 1, v57
	v_div_fixup_f32 v52, v53, v52, 1.0
	s_nop 0
	v_cndmask_b32_e32 v53, v55, v61, vcc
	v_cmp_eq_u32_e32 vcc, 2, v57
	s_nop 1
	v_cndmask_b32_e32 v53, v53, v58, vcc
	v_cmp_eq_u32_e32 vcc, 3, v57
	s_nop 1
	v_cndmask_b32_e32 v53, v53, v59, vcc
	v_mul_f32_e32 v52, v53, v52
	v_pk_mul_f32 v[46:47], v[52:53], v[46:47] op_sel_hi:[0,1]
	v_pk_mul_f32 v[48:49], v[52:53], v[48:49] op_sel_hi:[0,1]
	v_bfe_u32 v53, v47, 16, 1
	v_bfe_u32 v55, v46, 16, 1
	v_add3_u32 v46, v46, v55, s9
	v_add3_u32 v47, v47, v53, s9
	v_perm_b32 v58, v47, v46, s33
	v_bfe_u32 v46, v49, 16, 1
	v_bfe_u32 v47, v48, 16, 1
	v_add3_u32 v47, v48, v47, s9
	v_add3_u32 v46, v49, v46, s9
	v_perm_b32 v59, v46, v47, s33
	v_lshlrev_b32_e32 v47, 3, v60
	v_lshlrev_b32_e32 v46, 5, v56
	;; [unrolled: 1-line block ×3, first 2 shown]
	v_pk_mul_f32 v[44:45], v[52:53], v[44:45] op_sel_hi:[0,1]
	v_or3_b32 v55, v48, v46, v47
	v_bfe_u32 v47, v45, 16, 1
	v_bfe_u32 v48, v44, 16, 1
	v_pk_mul_f32 v[42:43], v[52:53], v[42:43] op_sel_hi:[0,1]
	v_add3_u32 v44, v44, v48, s9
	v_add3_u32 v45, v45, v47, s9
	v_perm_b32 v44, v45, v44, s33
	v_bfe_u32 v45, v43, 16, 1
	v_bfe_u32 v47, v42, 16, 1
	v_add3_u32 v42, v42, v47, s9
	v_add3_u32 v43, v43, v45, s9
	v_pk_mul_f32 v[40:41], v[52:53], v[40:41] op_sel_hi:[0,1]
	v_perm_b32 v45, v43, v42, s33
	v_bfe_u32 v42, v41, 16, 1
	v_bfe_u32 v43, v40, 16, 1
	v_pk_mul_f32 v[38:39], v[52:53], v[38:39] op_sel_hi:[0,1]
	v_add3_u32 v40, v40, v43, s9
	v_add3_u32 v41, v41, v42, s9
	v_perm_b32 v40, v41, v40, s33
	v_bfe_u32 v41, v39, 16, 1
	v_bfe_u32 v42, v38, 16, 1
	v_add3_u32 v38, v38, v42, s9
	v_add3_u32 v39, v39, v41, s9
	v_pk_mul_f32 v[36:37], v[52:53], v[36:37] op_sel_hi:[0,1]
	v_perm_b32 v41, v39, v38, s33
	v_bfe_u32 v38, v37, 16, 1
	v_bfe_u32 v39, v36, 16, 1
	v_pk_mul_f32 v[34:35], v[52:53], v[34:35] op_sel_hi:[0,1]
	v_add3_u32 v36, v36, v39, s9
	v_add3_u32 v37, v37, v38, s9
	v_perm_b32 v36, v37, v36, s33
	v_bfe_u32 v37, v35, 16, 1
	v_bfe_u32 v38, v34, 16, 1
	v_add3_u32 v34, v34, v38, s9
	v_add3_u32 v35, v35, v37, s9
	v_perm_b32 v37, v35, v34, s33
	v_cmp_gt_u32_e32 vcc, 15, v0
	ds_write2st64_b64 v55, v[58:59], v[44:45] offset1:1
	ds_write2st64_b64 v55, v[40:41], v[36:37] offset0:2 offset1:3
	s_and_saveexec_b64 s[4:5], vcc
	s_cbranch_execz .LBB1262_17
; %bb.16:
	s_mov_b32 s49, 0
	v_mov_b32_e32 v57, 0
	v_lshl_add_u64 v[34:35], s[48:49], 0, v[56:57]
	v_mov_b32_e32 v36, s8
	v_mad_u64_u32 v[34:35], s[10:11], s2, v36, v[34:35]
	s_mul_i32 s3, s3, s8
	v_mov_b32_e32 v36, s6
	v_mov_b32_e32 v37, v57
	s_load_dwordx4 s[12:15], s[0:1], 0x58
	v_add_u32_e32 v38, s3, v35
	v_mad_u64_u32 v[34:35], s[10:11], v34, s7, v[36:37]
	v_mov_b32_e32 v36, v35
	v_mad_u64_u32 v[36:37], s[10:11], v38, s7, v[36:37]
	v_mov_b32_e32 v35, v36
	v_lshlrev_b64 v[34:35], 2, v[34:35]
	s_waitcnt lgkmcnt(0)
	v_lshl_add_u64 v[36:37], s[14:15], 0, v[34:35]
	v_lshl_add_u64 v[34:35], s[12:13], 0, v[34:35]
	global_store_dword v[36:37], v50, off
	global_store_dword v[34:35], v51, off
.LBB1262_17:
	s_or_b64 exec, exec, s[4:5]
	s_waitcnt vmcnt(7)
	v_cvt_pk_f32_fp8_e32 v[34:35], v6
	v_cvt_pk_f32_fp8_sdwa v[36:37], v6 src0_sel:WORD_1
	v_lshl_or_b32 v50, v60, 9, v46
	s_mov_b32 s5, 0x7060302
	s_waitcnt lgkmcnt(0)
	s_barrier
	v_cvt_pk_f32_fp8_e32 v[38:39], v7
	v_perm_b32 v6, v35, v34, s5
	v_cvt_pk_f32_fp8_sdwa v[40:41], v7 src0_sel:WORD_1
	v_perm_b32 v7, v37, v36, s5
	ds_read_b128 v[34:37], v50
	v_perm_b32 v46, v39, v38, s5
	v_perm_b32 v47, v41, v40, s5
	ds_read_b128 v[38:41], v50 offset:16
	v_cvt_pk_f32_fp8_e32 v[48:49], v8
	v_cvt_pk_f32_fp8_sdwa v[52:53], v8 src0_sel:WORD_1
	s_waitcnt lgkmcnt(1)
	v_mfma_f32_16x16x16_bf16 v[42:45], v[6:7], v[34:35], 0
	s_waitcnt vmcnt(6)
	v_cvt_pk_f32_fp8_e32 v[58:59], v4
	v_perm_b32 v6, v49, v48, s5
	v_perm_b32 v7, v53, v52, s5
	v_cvt_pk_f32_fp8_e32 v[48:49], v9
	v_mfma_f32_16x16x16_bf16 v[42:45], v[46:47], v[36:37], v[42:45]
	v_cvt_pk_f32_fp8_sdwa v[46:47], v9 src0_sel:WORD_1
	v_cvt_pk_f32_fp8_sdwa v[62:63], v4 src0_sel:WORD_1
	v_perm_b32 v48, v49, v48, s5
	s_waitcnt lgkmcnt(0)
	v_mfma_f32_16x16x16_bf16 v[6:9], v[6:7], v[38:39], v[42:45]
	v_perm_b32 v49, v47, v46, s5
	s_waitcnt vmcnt(5)
	v_cvt_pk_f32_fp8_sdwa v[66:67], v28 src0_sel:WORD_1
	s_waitcnt vmcnt(4)
	v_cvt_pk_f32_fp8_sdwa v[68:69], v24 src0_sel:WORD_1
	v_cvt_pk_f32_fp8_e32 v[42:43], v2
	v_mfma_f32_16x16x16_bf16 v[46:49], v[48:49], v[40:41], v[6:9]
	s_load_dword s4, s[42:43], 0x0
	s_waitcnt vmcnt(3)
	v_cvt_pk_f32_fp8_sdwa v[70:71], v32 src0_sel:WORD_1
	v_cvt_pk_f32_fp8_sdwa v[6:7], v2 src0_sel:WORD_1
	v_cvt_pk_f32_fp8_e32 v[8:9], v3
	v_perm_b32 v2, v43, v42, s5
	v_cvt_pk_f32_fp8_sdwa v[42:43], v3 src0_sel:WORD_1
	v_perm_b32 v3, v7, v6, s5
	v_perm_b32 v52, v9, v8, s5
	ds_read_b128 v[6:9], v50 offset:2048
	v_perm_b32 v53, v43, v42, s5
	ds_read_b128 v[42:45], v50 offset:2064
	s_waitcnt lgkmcnt(0)
	v_mfma_f32_16x16x16_bf16 v[46:49], v[2:3], v[6:7], v[46:49]
	v_perm_b32 v2, v59, v58, s5
	v_perm_b32 v3, v63, v62, s5
	v_cvt_pk_f32_fp8_e32 v[58:59], v5
	v_mfma_f32_16x16x16_bf16 v[46:49], v[52:53], v[8:9], v[46:49]
	v_cvt_pk_f32_fp8_sdwa v[52:53], v5 src0_sel:WORD_1
	s_mov_b32 s3, 0
	v_perm_b32 v58, v59, v58, s5
	v_mfma_f32_16x16x16_bf16 v[2:5], v[2:3], v[42:43], v[46:49]
	v_perm_b32 v59, v53, v52, s5
	v_cmp_gt_u32_e32 vcc, 64, v0
	s_nop 0
	v_cvt_pk_f32_fp8_e32 v[46:47], v26
	v_mfma_f32_16x16x16_bf16 v[62:65], v[58:59], v[44:45], v[2:5]
	v_cvt_pk_f32_fp8_e32 v[58:59], v28
	s_nop 1
	v_cvt_pk_f32_fp8_sdwa v[2:3], v26 src0_sel:WORD_1
	v_cvt_pk_f32_fp8_e32 v[4:5], v27
	v_perm_b32 v26, v47, v46, s5
	v_cvt_pk_f32_fp8_sdwa v[46:47], v27 src0_sel:WORD_1
	v_perm_b32 v27, v3, v2, s5
	v_perm_b32 v52, v5, v4, s5
	ds_read_b128 v[2:5], v50 offset:4096
	v_perm_b32 v53, v47, v46, s5
	ds_read_b128 v[46:49], v50 offset:4112
	s_waitcnt lgkmcnt(1)
	v_mfma_f32_16x16x16_bf16 v[62:65], v[26:27], v[2:3], v[62:65]
	v_perm_b32 v26, v59, v58, s5
	v_perm_b32 v27, v67, v66, s5
	v_cvt_pk_f32_fp8_e32 v[58:59], v29
	v_mfma_f32_16x16x16_bf16 v[62:65], v[52:53], v[4:5], v[62:65]
	v_cvt_pk_f32_fp8_sdwa v[52:53], v29 src0_sel:WORD_1
	v_cvt_pk_f32_fp8_e32 v[66:67], v24
	v_perm_b32 v58, v59, v58, s5
	s_waitcnt lgkmcnt(0)
	v_mfma_f32_16x16x16_bf16 v[26:29], v[26:27], v[46:47], v[62:65]
	v_perm_b32 v59, v53, v52, s5
	v_cvt_pk_f32_fp8_e32 v[52:53], v22
	s_nop 0
	v_mfma_f32_16x16x16_bf16 v[62:65], v[58:59], v[48:49], v[26:29]
	s_nop 2
	v_cvt_pk_f32_fp8_sdwa v[26:27], v22 src0_sel:WORD_1
	v_cvt_pk_f32_fp8_e32 v[28:29], v23
	v_perm_b32 v22, v53, v52, s5
	v_cvt_pk_f32_fp8_sdwa v[52:53], v23 src0_sel:WORD_1
	v_perm_b32 v23, v27, v26, s5
	v_perm_b32 v58, v29, v28, s5
	ds_read_b128 v[26:29], v50 offset:6144
	v_perm_b32 v59, v53, v52, s5
	s_waitcnt lgkmcnt(0)
	v_mfma_f32_16x16x16_bf16 v[62:65], v[22:23], v[26:27], v[62:65]
	ds_read_b128 v[50:53], v50 offset:6160
	v_perm_b32 v22, v67, v66, s5
	v_perm_b32 v23, v69, v68, s5
	v_cvt_pk_f32_fp8_e32 v[66:67], v25
	v_mfma_f32_16x16x16_bf16 v[62:65], v[58:59], v[28:29], v[62:65]
	v_cvt_pk_f32_fp8_sdwa v[58:59], v25 src0_sel:WORD_1
	v_cvt_pk_f32_fp8_e32 v[68:69], v32
	v_perm_b32 v66, v67, v66, s5
	s_waitcnt lgkmcnt(0)
	v_mfma_f32_16x16x16_bf16 v[22:25], v[22:23], v[50:51], v[62:65]
	v_perm_b32 v67, v59, v58, s5
	v_cvt_pk_f32_fp8_sdwa v[58:59], v30 src0_sel:WORD_1
	s_nop 0
	v_mfma_f32_16x16x16_bf16 v[62:65], v[66:67], v[52:53], v[22:25]
	s_barrier
	s_nop 1
	v_cvt_pk_f32_fp8_e32 v[24:25], v30
	s_nop 2
	v_pk_mul_f32 v[66:67], v[62:63], s[4:5] op_sel_hi:[1,0]
	v_cvt_pk_f32_fp8_e32 v[62:63], v31
	v_perm_b32 v24, v25, v24, s5
	v_perm_b32 v25, v59, v58, s5
	v_cvt_pk_f32_fp8_sdwa v[30:31], v31 src0_sel:WORD_1
	v_perm_b32 v58, v63, v62, s5
	v_pk_mul_f32 v[22:23], v[64:65], s[4:5] op_sel_hi:[1,0]
	v_mfma_f32_16x16x16_bf16 v[62:65], v[24:25], v[34:35], 0
	v_perm_b32 v59, v31, v30, s5
	v_perm_b32 v24, v69, v68, s5
	;; [unrolled: 1-line block ×3, first 2 shown]
	v_cvt_pk_f32_fp8_e32 v[34:35], v33
	v_cvt_pk_f32_fp8_sdwa v[68:69], v33 src0_sel:WORD_1
	v_mfma_f32_16x16x16_bf16 v[30:33], v[58:59], v[36:37], v[62:65]
	s_waitcnt vmcnt(2)
	v_cvt_pk_f32_fp8_sdwa v[36:37], v18 src0_sel:WORD_1
	v_perm_b32 v34, v35, v34, s5
	v_perm_b32 v35, v69, v68, s5
	v_mfma_f32_16x16x16_bf16 v[30:33], v[24:25], v[38:39], v[30:33]
	v_cvt_pk_f32_fp8_e32 v[24:25], v18
	v_cvt_pk_f32_fp8_sdwa v[38:39], v20 src0_sel:WORD_1
	v_bfe_u32 v57, v67, 16, 1
	v_mfma_f32_16x16x16_bf16 v[30:33], v[34:35], v[40:41], v[30:33]
	v_cvt_pk_f32_fp8_e32 v[34:35], v19
	v_perm_b32 v24, v25, v24, s5
	v_perm_b32 v25, v37, v36, s5
	v_cvt_pk_f32_fp8_sdwa v[18:19], v19 src0_sel:WORD_1
	v_perm_b32 v34, v35, v34, s5
	v_cvt_pk_f32_fp8_e32 v[36:37], v20
	v_mfma_f32_16x16x16_bf16 v[30:33], v[24:25], v[6:7], v[30:33]
	v_perm_b32 v35, v19, v18, s5
	v_perm_b32 v18, v37, v36, s5
	;; [unrolled: 1-line block ×3, first 2 shown]
	v_cvt_pk_f32_fp8_e32 v[24:25], v21
	v_cvt_pk_f32_fp8_sdwa v[20:21], v21 src0_sel:WORD_1
	v_mfma_f32_16x16x16_bf16 v[6:9], v[34:35], v[8:9], v[30:33]
	v_bfe_u32 v58, v66, 16, 1
	v_perm_b32 v24, v25, v24, s5
	v_perm_b32 v25, v21, v20, s5
	v_mfma_f32_16x16x16_bf16 v[6:9], v[18:19], v[42:43], v[6:9]
	s_waitcnt vmcnt(1)
	v_cvt_pk_f32_fp8_e32 v[18:19], v14
	v_cvt_pk_f32_fp8_sdwa v[20:21], v14 src0_sel:WORD_1
	v_cvt_pk_f32_fp8_sdwa v[30:31], v16 src0_sel:WORD_1
	v_mfma_f32_16x16x16_bf16 v[6:9], v[24:25], v[44:45], v[6:9]
	v_cvt_pk_f32_fp8_e32 v[24:25], v15
	v_perm_b32 v18, v19, v18, s5
	v_perm_b32 v19, v21, v20, s5
	v_cvt_pk_f32_fp8_sdwa v[14:15], v15 src0_sel:WORD_1
	v_perm_b32 v20, v25, v24, s5
	v_cvt_pk_f32_fp8_e32 v[24:25], v16
	v_mfma_f32_16x16x16_bf16 v[6:9], v[18:19], v[2:3], v[6:9]
	v_perm_b32 v21, v15, v14, s5
	v_perm_b32 v14, v25, v24, s5
	;; [unrolled: 1-line block ×3, first 2 shown]
	v_cvt_pk_f32_fp8_e32 v[18:19], v17
	v_cvt_pk_f32_fp8_sdwa v[16:17], v17 src0_sel:WORD_1
	v_mfma_f32_16x16x16_bf16 v[2:5], v[20:21], v[4:5], v[6:9]
	v_add3_u32 v32, v66, v58, s9
	v_add3_u32 v33, v67, v57, s9
	s_nop 0
	v_perm_b32 v8, v19, v18, s5
	v_perm_b32 v9, v17, v16, s5
	v_mfma_f32_16x16x16_bf16 v[2:5], v[14:15], v[46:47], v[2:5]
	s_waitcnt vmcnt(0)
	v_cvt_pk_f32_fp8_e32 v[14:15], v10
	v_cvt_pk_f32_fp8_sdwa v[16:17], v10 src0_sel:WORD_1
	v_cvt_pk_f32_fp8_sdwa v[18:19], v12 src0_sel:WORD_1
	v_mfma_f32_16x16x16_bf16 v[2:5], v[8:9], v[48:49], v[2:5]
	v_cvt_pk_f32_fp8_e32 v[8:9], v11
	v_perm_b32 v14, v15, v14, s5
	v_perm_b32 v15, v17, v16, s5
	v_cvt_pk_f32_fp8_sdwa v[10:11], v11 src0_sel:WORD_1
	v_perm_b32 v8, v9, v8, s5
	v_cvt_pk_f32_fp8_e32 v[16:17], v12
	v_mfma_f32_16x16x16_bf16 v[2:5], v[14:15], v[26:27], v[2:5]
	v_perm_b32 v9, v11, v10, s5
	v_perm_b32 v10, v17, v16, s5
	;; [unrolled: 1-line block ×3, first 2 shown]
	v_cvt_pk_f32_fp8_e32 v[14:15], v13
	v_cvt_pk_f32_fp8_sdwa v[12:13], v13 src0_sel:WORD_1
	v_mfma_f32_16x16x16_bf16 v[2:5], v[8:9], v[28:29], v[2:5]
	v_bfe_u32 v7, v23, 16, 1
	v_perm_b32 v8, v15, v14, s5
	v_perm_b32 v9, v13, v12, s5
	v_mfma_f32_16x16x16_bf16 v[2:5], v[10:11], v[50:51], v[2:5]
	v_bfe_u32 v16, v22, 16, 1
	v_add3_u32 v10, v22, v16, s9
	v_add3_u32 v7, v23, v7, s9
	v_mfma_f32_16x16x16_bf16 v[2:5], v[8:9], v[52:53], v[2:5]
	v_perm_b32 v6, v33, v32, s5
	v_perm_b32 v7, v7, v10, s5
	s_nop 4
	v_pk_mul_f32 v[2:3], v[2:3], s[4:5] op_sel_hi:[1,0]
	v_pk_mul_f32 v[4:5], v[4:5], s[4:5] op_sel_hi:[1,0]
	v_bfe_u32 v8, v3, 16, 1
	v_bfe_u32 v9, v2, 16, 1
	v_add3_u32 v2, v2, v9, s9
	v_add3_u32 v3, v3, v8, s9
	v_perm_b32 v2, v3, v2, s5
	v_bfe_u32 v3, v5, 16, 1
	v_bfe_u32 v8, v4, 16, 1
	v_add3_u32 v4, v4, v8, s9
	v_add3_u32 v3, v5, v3, s9
	v_perm_b32 v3, v3, v4, s5
	ds_write2st64_b64 v55, v[6:7], v[2:3] offset1:1
	s_waitcnt lgkmcnt(0)
	s_barrier
	s_and_saveexec_b64 s[4:5], vcc
	s_cbranch_execz .LBB1262_20
; %bb.18:
	s_load_dwordx2 s[4:5], s[0:1], 0x68
	s_lshl_b32 s0, s7, 7
	s_mul_i32 s1, s8, s2
	v_lshlrev_b32_e32 v3, 6, v56
	s_mul_hi_u32 s9, s1, s0
	s_mul_i32 s8, s1, s0
	v_lshl_or_b32 v0, v0, 10, v3
	s_lshl_b64 s[8:9], s[8:9], 1
	v_lshlrev_b32_e32 v2, 5, v60
	v_and_b32_e32 v1, 16, v1
	v_and_b32_e32 v0, 0x1a00, v0
	s_waitcnt lgkmcnt(0)
	s_add_u32 s1, s4, s8
	v_or3_b32 v2, v0, v2, v1
	s_addc_u32 s4, s5, s9
	s_lshl_b32 s2, s6, 7
	ds_read_b128 v[4:7], v2 offset:256
	s_lshl_b64 s[2:3], s[2:3], 1
	ds_read_b128 v[8:11], v2 offset:128
	ds_read_b128 v[12:15], v2
	s_add_u32 s2, s1, s2
	s_addc_u32 s3, s4, s3
	v_mov_b32_e32 v55, 0
	v_add_u32_e32 v3, s48, v60
	v_lshl_add_u64 v[0:1], s[2:3], 0, v[54:55]
	v_mad_u64_u32 v[16:17], s[2:3], v3, s0, 0
	v_lshl_add_u64 v[16:17], v[16:17], 1, v[0:1]
	s_waitcnt lgkmcnt(0)
	global_store_dwordx4 v[16:17], v[12:15], off
	v_cmp_ne_u32_e32 vcc, 3, v60
	s_nop 0
	v_add_u32_e32 v12, 4, v3
	v_mad_u64_u32 v[12:13], s[2:3], v12, s0, 0
	v_lshl_add_u64 v[12:13], v[12:13], 1, v[0:1]
	v_add_u32_e32 v3, 8, v3
	global_store_dwordx4 v[12:13], v[8:11], off
	s_nop 1
	v_mad_u64_u32 v[8:9], s[2:3], v3, s0, 0
	v_lshl_add_u64 v[8:9], v[8:9], 1, v[0:1]
	global_store_dwordx4 v[8:9], v[4:7], off
	s_and_b64 exec, exec, vcc
	s_cbranch_execz .LBB1262_20
; %bb.19:
	ds_read_b128 v[2:5], v2 offset:384
	v_add3_u32 v6, s48, v60, 12
	v_mad_u64_u32 v[6:7], s[0:1], v6, s0, 0
	v_lshl_add_u64 v[0:1], v[6:7], 1, v[0:1]
	s_waitcnt lgkmcnt(0)
	global_store_dwordx4 v[0:1], v[2:5], off
.LBB1262_20:
	s_endpgm
	.section	.rodata,"a",@progbits
	.p2align	6, 0x0
	.amdhsa_kernel _Z39paged_attention_ll4mi_QKV_mfma16_kernelI14__hip_bfloat16hLN4vllm18Fp8KVCacheDataTypeE1EhLi16ELi128ELi256ELb1ELi15EEvPKT_PKT0_S8_ifPKiSA_SA_iPKfiiiPfSD_PS3_PT2_iSC_SC_
		.amdhsa_group_segment_fixed_size 8192
		.amdhsa_private_segment_fixed_size 0
		.amdhsa_kernarg_size 400
		.amdhsa_user_sgpr_count 2
		.amdhsa_user_sgpr_dispatch_ptr 0
		.amdhsa_user_sgpr_queue_ptr 0
		.amdhsa_user_sgpr_kernarg_segment_ptr 1
		.amdhsa_user_sgpr_dispatch_id 0
		.amdhsa_user_sgpr_kernarg_preload_length 0
		.amdhsa_user_sgpr_kernarg_preload_offset 0
		.amdhsa_user_sgpr_private_segment_size 0
		.amdhsa_uses_dynamic_stack 0
		.amdhsa_enable_private_segment 0
		.amdhsa_system_sgpr_workgroup_id_x 1
		.amdhsa_system_sgpr_workgroup_id_y 1
		.amdhsa_system_sgpr_workgroup_id_z 1
		.amdhsa_system_sgpr_workgroup_info 0
		.amdhsa_system_vgpr_workitem_id 0
		.amdhsa_next_free_vgpr 76
		.amdhsa_next_free_sgpr 50
		.amdhsa_accum_offset 76
		.amdhsa_reserve_vcc 1
		.amdhsa_float_round_mode_32 0
		.amdhsa_float_round_mode_16_64 0
		.amdhsa_float_denorm_mode_32 3
		.amdhsa_float_denorm_mode_16_64 3
		.amdhsa_dx10_clamp 1
		.amdhsa_ieee_mode 1
		.amdhsa_fp16_overflow 0
		.amdhsa_tg_split 0
		.amdhsa_exception_fp_ieee_invalid_op 0
		.amdhsa_exception_fp_denorm_src 0
		.amdhsa_exception_fp_ieee_div_zero 0
		.amdhsa_exception_fp_ieee_overflow 0
		.amdhsa_exception_fp_ieee_underflow 0
		.amdhsa_exception_fp_ieee_inexact 0
		.amdhsa_exception_int_div_zero 0
	.end_amdhsa_kernel
	.section	.text._Z39paged_attention_ll4mi_QKV_mfma16_kernelI14__hip_bfloat16hLN4vllm18Fp8KVCacheDataTypeE1EhLi16ELi128ELi256ELb1ELi15EEvPKT_PKT0_S8_ifPKiSA_SA_iPKfiiiPfSD_PS3_PT2_iSC_SC_,"axG",@progbits,_Z39paged_attention_ll4mi_QKV_mfma16_kernelI14__hip_bfloat16hLN4vllm18Fp8KVCacheDataTypeE1EhLi16ELi128ELi256ELb1ELi15EEvPKT_PKT0_S8_ifPKiSA_SA_iPKfiiiPfSD_PS3_PT2_iSC_SC_,comdat
.Lfunc_end1262:
	.size	_Z39paged_attention_ll4mi_QKV_mfma16_kernelI14__hip_bfloat16hLN4vllm18Fp8KVCacheDataTypeE1EhLi16ELi128ELi256ELb1ELi15EEvPKT_PKT0_S8_ifPKiSA_SA_iPKfiiiPfSD_PS3_PT2_iSC_SC_, .Lfunc_end1262-_Z39paged_attention_ll4mi_QKV_mfma16_kernelI14__hip_bfloat16hLN4vllm18Fp8KVCacheDataTypeE1EhLi16ELi128ELi256ELb1ELi15EEvPKT_PKT0_S8_ifPKiSA_SA_iPKfiiiPfSD_PS3_PT2_iSC_SC_
                                        ; -- End function
	.section	.AMDGPU.csdata,"",@progbits
; Kernel info:
; codeLenInByte = 6656
; NumSgprs: 56
; NumVgprs: 76
; NumAgprs: 0
; TotalNumVgprs: 76
; ScratchSize: 0
; MemoryBound: 0
; FloatMode: 240
; IeeeMode: 1
; LDSByteSize: 8192 bytes/workgroup (compile time only)
; SGPRBlocks: 6
; VGPRBlocks: 9
; NumSGPRsForWavesPerEU: 56
; NumVGPRsForWavesPerEU: 76
; AccumOffset: 76
; Occupancy: 6
; WaveLimiterHint : 1
; COMPUTE_PGM_RSRC2:SCRATCH_EN: 0
; COMPUTE_PGM_RSRC2:USER_SGPR: 2
; COMPUTE_PGM_RSRC2:TRAP_HANDLER: 0
; COMPUTE_PGM_RSRC2:TGID_X_EN: 1
; COMPUTE_PGM_RSRC2:TGID_Y_EN: 1
; COMPUTE_PGM_RSRC2:TGID_Z_EN: 1
; COMPUTE_PGM_RSRC2:TIDIG_COMP_CNT: 0
; COMPUTE_PGM_RSRC3_GFX90A:ACCUM_OFFSET: 18
; COMPUTE_PGM_RSRC3_GFX90A:TG_SPLIT: 0
	.section	.text._Z39paged_attention_ll4mi_QKV_mfma16_kernelI14__hip_bfloat16hLN4vllm18Fp8KVCacheDataTypeE1EhLi16ELi128ELi256ELb1ELi16EEvPKT_PKT0_S8_ifPKiSA_SA_iPKfiiiPfSD_PS3_PT2_iSC_SC_,"axG",@progbits,_Z39paged_attention_ll4mi_QKV_mfma16_kernelI14__hip_bfloat16hLN4vllm18Fp8KVCacheDataTypeE1EhLi16ELi128ELi256ELb1ELi16EEvPKT_PKT0_S8_ifPKiSA_SA_iPKfiiiPfSD_PS3_PT2_iSC_SC_,comdat
	.protected	_Z39paged_attention_ll4mi_QKV_mfma16_kernelI14__hip_bfloat16hLN4vllm18Fp8KVCacheDataTypeE1EhLi16ELi128ELi256ELb1ELi16EEvPKT_PKT0_S8_ifPKiSA_SA_iPKfiiiPfSD_PS3_PT2_iSC_SC_ ; -- Begin function _Z39paged_attention_ll4mi_QKV_mfma16_kernelI14__hip_bfloat16hLN4vllm18Fp8KVCacheDataTypeE1EhLi16ELi128ELi256ELb1ELi16EEvPKT_PKT0_S8_ifPKiSA_SA_iPKfiiiPfSD_PS3_PT2_iSC_SC_
	.globl	_Z39paged_attention_ll4mi_QKV_mfma16_kernelI14__hip_bfloat16hLN4vllm18Fp8KVCacheDataTypeE1EhLi16ELi128ELi256ELb1ELi16EEvPKT_PKT0_S8_ifPKiSA_SA_iPKfiiiPfSD_PS3_PT2_iSC_SC_
	.p2align	8
	.type	_Z39paged_attention_ll4mi_QKV_mfma16_kernelI14__hip_bfloat16hLN4vllm18Fp8KVCacheDataTypeE1EhLi16ELi128ELi256ELb1ELi16EEvPKT_PKT0_S8_ifPKiSA_SA_iPKfiiiPfSD_PS3_PT2_iSC_SC_,@function
_Z39paged_attention_ll4mi_QKV_mfma16_kernelI14__hip_bfloat16hLN4vllm18Fp8KVCacheDataTypeE1EhLi16ELi128ELi256ELb1ELi16EEvPKT_PKT0_S8_ifPKiSA_SA_iPKfiiiPfSD_PS3_PT2_iSC_SC_: ; @_Z39paged_attention_ll4mi_QKV_mfma16_kernelI14__hip_bfloat16hLN4vllm18Fp8KVCacheDataTypeE1EhLi16ELi128ELi256ELb1ELi16EEvPKT_PKT0_S8_ifPKiSA_SA_iPKfiiiPfSD_PS3_PT2_iSC_SC_
; %bb.0:
	s_load_dwordx2 s[14:15], s[0:1], 0x30
	s_mov_b32 s30, s3
	s_mov_b64 s[6:7], 0
	s_waitcnt lgkmcnt(0)
	s_cmp_lg_u64 s[14:15], 0
	s_cselect_b64 s[16:17], -1, 0
	s_and_b64 vcc, exec, s[16:17]
	s_cbranch_vccz .LBB1263_7
; %bb.1:
	s_add_i32 s8, s2, 1
	s_mov_b32 s9, 0
	s_lshl_b64 s[10:11], s[8:9], 2
	s_add_u32 s10, s14, s10
	s_mov_b32 s3, s9
	s_addc_u32 s11, s15, s11
	s_lshl_b64 s[8:9], s[2:3], 2
	s_add_u32 s8, s14, s8
	s_addc_u32 s9, s15, s9
	s_load_dword s5, s[10:11], 0x0
	s_load_dword s12, s[8:9], 0x0
	s_waitcnt lgkmcnt(0)
	s_sub_i32 s5, s5, s12
	s_cmp_eq_u32 s5, 1
	s_cselect_b64 s[8:9], -1, 0
	s_andn2_b64 vcc, exec, s[6:7]
	s_cbranch_vccnz .LBB1263_3
.LBB1263_2:
	s_mov_b32 s3, 0
	s_mov_b64 s[8:9], -1
.LBB1263_3:
	s_andn2_b64 vcc, exec, s[8:9]
	s_cbranch_vccnz .LBB1263_17
; %bb.4:
	s_load_dwordx2 s[6:7], s[0:1], 0x28
	s_lshl_b64 s[18:19], s[2:3], 2
	s_waitcnt lgkmcnt(0)
	s_add_u32 s6, s6, s18
	s_addc_u32 s7, s7, s19
	s_load_dword s5, s[6:7], 0x0
	s_lshl_b32 s20, s30, 8
	s_waitcnt lgkmcnt(0)
	s_cmp_ge_i32 s20, s5
	s_cbranch_scc1 .LBB1263_17
; %bb.5:
	s_load_dwordx2 s[6:7], s[0:1], 0x20
	s_load_dword s8, s[0:1], 0x38
	s_add_i32 s9, s5, 15
	s_ashr_i32 s10, s9, 31
	v_and_b32_e32 v1, 0xcf, v0
	s_lshr_b32 s10, s10, 28
	v_add_u32_e32 v1, s20, v1
	s_add_i32 s9, s9, s10
	v_ashrrev_i32_e32 v2, 31, v1
	s_ashr_i32 s21, s9, 4
	v_lshrrev_b32_e32 v10, 28, v2
	s_add_i32 s21, s21, -1
	s_waitcnt lgkmcnt(0)
	s_mul_i32 s8, s2, s8
	s_mov_b32 s9, 0
	v_add_u32_e32 v2, v1, v10
	s_lshl_b64 s[8:9], s[8:9], 2
	v_ashrrev_i32_e32 v2, 4, v2
	v_mov_b32_e32 v11, s21
	v_cmp_gt_i32_e32 vcc, s5, v1
	s_add_u32 s6, s6, s8
	s_addc_u32 s7, s7, s9
	v_cndmask_b32_e32 v2, v11, v2, vcc
	v_ashrrev_i32_e32 v3, 31, v2
	v_lshl_add_u64 v[4:5], v[2:3], 2, s[6:7]
	v_or_b32_e32 v2, 16, v1
	v_add_u32_e32 v3, v2, v10
	v_ashrrev_i32_e32 v3, 4, v3
	v_cmp_gt_i32_e32 vcc, s5, v2
	s_nop 1
	v_cndmask_b32_e32 v2, v11, v3, vcc
	v_ashrrev_i32_e32 v3, 31, v2
	v_lshl_add_u64 v[6:7], v[2:3], 2, s[6:7]
	v_or_b32_e32 v2, 32, v1
	v_add_u32_e32 v3, v2, v10
	v_ashrrev_i32_e32 v3, 4, v3
	v_cmp_gt_i32_e32 vcc, s5, v2
	v_or_b32_e32 v1, 48, v1
	s_nop 0
	v_cndmask_b32_e32 v2, v11, v3, vcc
	v_ashrrev_i32_e32 v3, 31, v2
	v_lshl_add_u64 v[8:9], v[2:3], 2, s[6:7]
	v_add_u32_e32 v2, v1, v10
	v_ashrrev_i32_e32 v2, 4, v2
	v_cmp_gt_i32_e32 vcc, s5, v1
	s_nop 1
	v_cndmask_b32_e32 v2, v11, v2, vcc
	v_ashrrev_i32_e32 v3, 31, v2
	v_lshl_add_u64 v[10:11], v[2:3], 2, s[6:7]
	global_load_dword v3, v[4:5], off
	global_load_dword v2, v[6:7], off
	global_load_dword v34, v[8:9], off
	global_load_dword v35, v[10:11], off
	s_load_dwordx2 s[12:13], s[0:1], 0x40
	s_load_dwordx4 s[8:11], s[0:1], 0x8
	s_andn2_b64 vcc, exec, s[16:17]
	s_cbranch_vccnz .LBB1263_8
; %bb.6:
	s_add_u32 s14, s14, s18
	s_addc_u32 s15, s15, s19
	s_load_dword s16, s[14:15], 0x0
	s_branch .LBB1263_9
.LBB1263_7:
	s_mov_b64 s[8:9], 0
	s_branch .LBB1263_2
.LBB1263_8:
	s_mov_b32 s16, s2
.LBB1263_9:
	s_load_dwordx4 s[44:47], s[0:1], 0x48
	v_and_b32_e32 v56, 15, v0
	v_lshlrev_b32_e32 v4, 3, v56
	s_movk_i32 s14, 0x100
	v_lshrrev_b32_e32 v58, 6, v0
	v_and_b32_e32 v59, 63, v0
	v_bfe_u32 v1, v0, 4, 2
	s_lshl_b32 s31, s4, 4
	v_cmp_gt_u32_e32 vcc, s14, v0
	v_lshlrev_b32_e32 v54, 1, v4
	v_lshlrev_b32_e32 v57, 4, v0
	s_and_saveexec_b64 s[14:15], vcc
	s_cbranch_execz .LBB1263_11
; %bb.10:
	s_load_dwordx2 s[18:19], s[0:1], 0x0
	s_waitcnt lgkmcnt(0)
	s_ashr_i32 s17, s44, 31
	s_mul_hi_u32 s22, s16, s44
	s_mul_i32 s17, s16, s17
	s_add_i32 s17, s22, s17
	s_mul_i32 s16, s16, s44
	v_lshl_or_b32 v8, v58, 2, v1
	s_lshl_b64 s[16:17], s[16:17], 1
	s_add_u32 s16, s18, s16
	v_add_lshl_u32 v4, v8, s31, 7
	s_addc_u32 s17, s19, s17
	v_ashrrev_i32_e32 v5, 31, v4
	v_lshl_add_u64 v[4:5], v[4:5], 1, s[16:17]
	v_mov_b32_e32 v55, 0
	v_lshl_add_u64 v[4:5], v[4:5], 0, v[54:55]
	global_load_dwordx4 v[4:7], v[4:5], off
	v_lshlrev_b32_e32 v10, 8, v0
	v_lshlrev_b32_e32 v9, 8, v56
	v_and_b32_e32 v10, 0x600, v10
	s_movk_i32 s16, 0x800
	v_and_or_b32 v9, v9, s16, v10
	v_lshlrev_b32_e32 v8, 5, v8
	v_and_b32_e32 v10, 16, v57
	v_or3_b32 v8, v9, v8, v10
	s_waitcnt vmcnt(0)
	ds_write_b128 v8, v[4:7]
.LBB1263_11:
	s_or_b64 exec, exec, s[14:15]
	s_waitcnt lgkmcnt(0)
	s_mul_i32 s14, s4, s46
	s_add_u32 s8, s8, s14
	s_addc_u32 s9, s9, 0
	v_and_b32_e32 v52, 0xf0, v57
	v_mov_b32_e32 v53, 0
	v_and_b32_e32 v6, 48, v0
	v_lshl_add_u64 v[30:31], s[8:9], 0, v[52:53]
	v_lshlrev_b32_e32 v52, 4, v6
	s_waitcnt vmcnt(3)
	v_mad_i64_i32 v[4:5], s[8:9], v3, s45, v[30:31]
	v_lshl_add_u64 v[4:5], v[4:5], 0, v[52:53]
	s_load_dword s33, s[0:1], 0x98
	s_load_dwordx4 s[40:43], s[0:1], 0x80
	s_waitcnt lgkmcnt(0)
	s_barrier
	global_load_dwordx4 v[26:29], v[4:5], off
	global_load_dwordx4 v[22:25], v[4:5], off offset:1024
	s_waitcnt vmcnt(4)
	v_mad_i64_i32 v[2:3], s[8:9], v2, s45, v[30:31]
	v_lshl_add_u64 v[32:33], v[2:3], 0, v[52:53]
	global_load_dwordx4 v[18:21], v[32:33], off
	v_or_b32_e32 v50, s31, v56
	v_lshlrev_b32_e32 v60, 5, v56
	v_ashrrev_i32_e32 v51, 31, v50
	v_or_b32_e32 v37, s20, v6
	v_mov_b32_e32 v36, s21
	v_lshl_or_b32 v55, v1, 9, v60
	v_lshl_add_u64 v[38:39], v[50:51], 2, s[12:13]
	v_ashrrev_i32_e32 v40, 4, v37
	v_cmp_gt_i32_e32 vcc, s5, v37
	ds_read_b128 v[14:17], v55
	ds_read_b128 v[10:13], v55 offset:16
	ds_read_b128 v[6:9], v55 offset:2048
	;; [unrolled: 1-line block ×3, first 2 shown]
	global_load_dword v63, v[38:39], off
	v_cndmask_b32_e32 v42, v36, v40, vcc
	global_load_dwordx4 v[38:41], v[32:33], off offset:1024
	v_or_b32_e32 v46, 64, v37
	v_or_b32_e32 v47, 0x80, v37
	v_ashrrev_i32_e32 v49, 4, v46
	v_cmp_gt_i32_e32 vcc, s5, v46
	v_or_b32_e32 v48, 0xc0, v37
	v_ashrrev_i32_e32 v51, 4, v47
	s_waitcnt vmcnt(6)
	v_mad_i64_i32 v[44:45], s[8:9], v34, s45, v[30:31]
	s_waitcnt vmcnt(5)
	v_mad_i64_i32 v[30:31], s[8:9], v35, s45, v[30:31]
	v_cndmask_b32_e32 v32, v36, v49, vcc
	v_cmp_gt_i32_e32 vcc, s5, v47
	v_ashrrev_i32_e32 v37, 4, v48
	v_ashrrev_i32_e32 v43, 31, v42
	v_cndmask_b32_e32 v64, v36, v51, vcc
	v_cmp_gt_i32_e32 vcc, s5, v48
	v_lshl_add_u64 v[34:35], v[44:45], 0, v[52:53]
	v_ashrrev_i32_e32 v33, 31, v32
	v_lshl_add_u64 v[30:31], v[30:31], 0, v[52:53]
	v_cndmask_b32_e32 v70, v36, v37, vcc
	v_lshl_add_u64 v[72:73], v[42:43], 2, s[6:7]
	v_lshl_add_u64 v[74:75], v[32:33], 2, s[6:7]
	global_load_dwordx4 v[46:49], v[34:35], off
	global_load_dwordx4 v[42:45], v[34:35], off offset:1024
	s_nop 0
	global_load_dwordx4 v[34:37], v[30:31], off
	s_nop 0
	global_load_dwordx4 v[30:33], v[30:31], off offset:1024
	v_ashrrev_i32_e32 v65, 31, v64
	v_lshl_add_u64 v[76:77], v[64:65], 2, s[6:7]
	s_mov_b32 s44, 0x7060302
	v_ashrrev_i32_e32 v71, 31, v70
	s_add_u32 s46, s10, s14
	v_lshl_or_b32 v51, v58, 4, v56
	s_addc_u32 s47, s11, 0
	v_lshlrev_b32_e32 v52, 4, v51
	s_load_dword s4, s[0:1], 0x1c
	s_waitcnt vmcnt(8)
	v_cvt_pk_f32_fp8_e32 v[64:65], v26
	v_cvt_pk_f32_fp8_sdwa v[66:67], v26 src0_sel:WORD_1
	v_cvt_pk_f32_fp8_e32 v[68:69], v27
	v_cvt_pk_f32_fp8_sdwa v[78:79], v27 src0_sel:WORD_1
	v_perm_b32 v64, v65, v64, s44
	v_perm_b32 v65, v67, v66, s44
	v_cvt_pk_f32_fp8_e32 v[80:81], v28
	v_cvt_pk_f32_fp8_sdwa v[82:83], v28 src0_sel:WORD_1
	v_cvt_pk_f32_fp8_e32 v[84:85], v29
	v_cvt_pk_f32_fp8_sdwa v[86:87], v29 src0_sel:WORD_1
	s_waitcnt vmcnt(6)
	v_cvt_pk_f32_fp8_e32 v[26:27], v18
	v_cvt_pk_f32_fp8_sdwa v[28:29], v18 src0_sel:WORD_1
	v_cvt_pk_f32_fp8_e32 v[88:89], v22
	v_cvt_pk_f32_fp8_sdwa v[90:91], v22 src0_sel:WORD_1
	v_perm_b32 v66, v27, v26, s44
	v_perm_b32 v67, v29, v28, s44
	s_waitcnt lgkmcnt(0)
	v_mfma_f32_16x16x16_bf16 v[26:29], v[64:65], v[14:15], 0
	v_perm_b32 v64, v69, v68, s44
	v_perm_b32 v65, v79, v78, s44
	;; [unrolled: 1-line block ×4, first 2 shown]
	v_mfma_f32_16x16x16_bf16 v[26:29], v[64:65], v[16:17], v[26:29]
	global_load_dword v64, v[72:73], off
	v_perm_b32 v82, v85, v84, s44
	v_perm_b32 v83, v87, v86, s44
	v_mfma_f32_16x16x16_bf16 v[26:29], v[78:79], v[10:11], v[26:29]
	v_cvt_pk_f32_fp8_e32 v[92:93], v23
	v_cvt_pk_f32_fp8_sdwa v[22:23], v23 src0_sel:WORD_1
	v_perm_b32 v84, v89, v88, s44
	v_perm_b32 v85, v91, v90, s44
	v_mfma_f32_16x16x16_bf16 v[26:29], v[82:83], v[12:13], v[26:29]
	v_cvt_pk_f32_fp8_e32 v[80:81], v24
	v_cvt_pk_f32_fp8_sdwa v[72:73], v24 src0_sel:WORD_1
	v_perm_b32 v86, v93, v92, s44
	v_perm_b32 v87, v23, v22, s44
	v_cvt_pk_f32_fp8_e32 v[78:79], v25
	v_cvt_pk_f32_fp8_sdwa v[82:83], v25 src0_sel:WORD_1
	v_mfma_f32_16x16x16_bf16 v[22:25], v[84:85], v[6:7], v[26:29]
	s_nop 2
	v_cvt_pk_f32_fp8_e32 v[26:27], v19
	v_perm_b32 v28, v81, v80, s44
	v_perm_b32 v29, v73, v72, s44
	v_cvt_pk_f32_fp8_sdwa v[18:19], v19 src0_sel:WORD_1
	v_mfma_f32_16x16x16_bf16 v[22:25], v[86:87], v[8:9], v[22:25]
	v_perm_b32 v26, v27, v26, s44
	v_perm_b32 v72, v79, v78, s44
	;; [unrolled: 1-line block ×3, first 2 shown]
	v_mfma_f32_16x16x16_bf16 v[66:69], v[66:67], v[14:15], 0
	v_cvt_pk_f32_fp8_e32 v[18:19], v20
	v_perm_b32 v73, v83, v82, s44
	v_perm_b32 v18, v19, v18, s44
	v_mfma_f32_16x16x16_bf16 v[22:25], v[28:29], v[2:3], v[22:25]
	v_lshl_add_u64 v[28:29], v[70:71], 2, s[6:7]
	v_cvt_pk_f32_fp8_sdwa v[70:71], v20 src0_sel:WORD_1
	global_load_dword v65, v[74:75], off
	global_load_dword v61, v[76:77], off
	;; [unrolled: 1-line block ×3, first 2 shown]
	v_mfma_f32_16x16x16_bf16 v[26:29], v[26:27], v[16:17], v[66:69]
	v_perm_b32 v19, v71, v70, s44
	s_waitcnt vmcnt(8)
	v_cvt_pk_f32_fp8_sdwa v[70:71], v38 src0_sel:WORD_1
	v_cvt_pk_f32_fp8_e32 v[66:67], v21
	v_cvt_pk_f32_fp8_sdwa v[20:21], v21 src0_sel:WORD_1
	v_cvt_pk_f32_fp8_e32 v[68:69], v38
	v_mfma_f32_16x16x16_bf16 v[22:25], v[72:73], v[4:5], v[22:25]
	v_perm_b32 v66, v67, v66, s44
	v_perm_b32 v67, v21, v20, s44
	v_mfma_f32_16x16x16_bf16 v[18:21], v[18:19], v[10:11], v[26:29]
	s_nop 2
	v_perm_b32 v26, v69, v68, s44
	v_perm_b32 v27, v71, v70, s44
	v_cvt_pk_f32_fp8_e32 v[28:29], v39
	v_cvt_pk_f32_fp8_sdwa v[38:39], v39 src0_sel:WORD_1
	v_mfma_f32_16x16x16_bf16 v[18:21], v[66:67], v[12:13], v[18:21]
	s_waitcnt vmcnt(7)
	v_cvt_pk_f32_fp8_sdwa v[66:67], v46 src0_sel:WORD_1
	v_perm_b32 v28, v29, v28, s44
	v_perm_b32 v29, v39, v38, s44
	v_mfma_f32_16x16x16_bf16 v[18:21], v[26:27], v[6:7], v[18:21]
	v_cvt_pk_f32_fp8_e32 v[26:27], v40
	v_cvt_pk_f32_fp8_sdwa v[38:39], v40 src0_sel:WORD_1
	v_cvt_pk_f32_fp8_sdwa v[68:69], v48 src0_sel:WORD_1
	v_mfma_f32_16x16x16_bf16 v[18:21], v[28:29], v[8:9], v[18:21]
	v_perm_b32 v26, v27, v26, s44
	v_perm_b32 v27, v39, v38, s44
	v_cvt_pk_f32_fp8_e32 v[28:29], v41
	v_cvt_pk_f32_fp8_sdwa v[38:39], v41 src0_sel:WORD_1
	v_cvt_pk_f32_fp8_e32 v[40:41], v46
	v_mfma_f32_16x16x16_bf16 v[18:21], v[26:27], v[2:3], v[18:21]
	v_perm_b32 v28, v29, v28, s44
	v_perm_b32 v29, v39, v38, s44
	;; [unrolled: 1-line block ×4, first 2 shown]
	v_cvt_pk_f32_fp8_e32 v[38:39], v47
	v_cvt_pk_f32_fp8_sdwa v[40:41], v47 src0_sel:WORD_1
	v_mfma_f32_16x16x16_bf16 v[18:21], v[28:29], v[4:5], v[18:21]
	v_cvt_pk_f32_fp8_e32 v[66:67], v48
	v_perm_b32 v38, v39, v38, s44
	v_perm_b32 v39, v41, v40, s44
	v_mfma_f32_16x16x16_bf16 v[26:29], v[26:27], v[14:15], 0
	v_lshl_add_u64 v[46:47], s[46:47], 0, v[52:53]
	v_or_b32_e32 v52, 0x400, v52
	v_mfma_f32_16x16x16_bf16 v[38:41], v[38:39], v[16:17], v[26:29]
	s_nop 3
	v_perm_b32 v28, v67, v66, s44
	v_perm_b32 v29, v69, v68, s44
	v_cvt_pk_f32_fp8_e32 v[66:67], v49
	v_cvt_pk_f32_fp8_sdwa v[48:49], v49 src0_sel:WORD_1
	v_mfma_f32_16x16x16_bf16 v[38:41], v[28:29], v[10:11], v[38:41]
	v_perm_b32 v66, v67, v66, s44
	v_perm_b32 v67, v49, v48, s44
	s_waitcnt vmcnt(6)
	v_cvt_pk_f32_fp8_e32 v[28:29], v42
	v_cvt_pk_f32_fp8_sdwa v[48:49], v42 src0_sel:WORD_1
	v_mfma_f32_16x16x16_bf16 v[38:41], v[66:67], v[12:13], v[38:41]
	v_cvt_pk_f32_fp8_e32 v[66:67], v43
	v_perm_b32 v28, v29, v28, s44
	v_perm_b32 v29, v49, v48, s44
	v_cvt_pk_f32_fp8_sdwa v[42:43], v43 src0_sel:WORD_1
	v_perm_b32 v48, v67, v66, s44
	v_cvt_pk_f32_fp8_e32 v[66:67], v44
	v_cvt_pk_f32_fp8_sdwa v[68:69], v44 src0_sel:WORD_1
	v_perm_b32 v49, v43, v42, s44
	v_mfma_f32_16x16x16_bf16 v[38:41], v[28:29], v[6:7], v[38:41]
	s_waitcnt vmcnt(3)
	v_mad_i64_i32 v[26:27], s[6:7], v64, s45, v[46:47]
	s_load_dword s6, s[40:41], 0x0
	v_perm_b32 v28, v67, v66, s44
	v_perm_b32 v29, v69, v68, s44
	v_cvt_pk_f32_fp8_e32 v[42:43], v45
	v_cvt_pk_f32_fp8_sdwa v[44:45], v45 src0_sel:WORD_1
	v_mfma_f32_16x16x16_bf16 v[38:41], v[48:49], v[8:9], v[38:41]
	v_mov_b32_e32 v48, s4
	v_perm_b32 v42, v43, v42, s44
	v_perm_b32 v43, v45, v44, s44
	v_mfma_f32_16x16x16_bf16 v[38:41], v[28:29], v[2:3], v[38:41]
	s_waitcnt lgkmcnt(0)
	v_mul_f32_e32 v28, s6, v48
	v_cvt_pk_f32_fp8_e32 v[44:45], v34
	v_cvt_pk_f32_fp8_sdwa v[48:49], v34 src0_sel:WORD_1
	v_mfma_f32_16x16x16_bf16 v[66:69], v[42:43], v[4:5], v[38:41]
	s_mov_b32 s40, 0xff7fffff
	s_nop 1
	v_cvt_pk_f32_fp8_e32 v[38:39], v35
	v_perm_b32 v40, v45, v44, s44
	v_perm_b32 v41, v49, v48, s44
	v_cvt_pk_f32_fp8_sdwa v[34:35], v35 src0_sel:WORD_1
	v_perm_b32 v42, v39, v38, s44
	v_cvt_pk_f32_fp8_e32 v[44:45], v36
	v_cvt_pk_f32_fp8_sdwa v[48:49], v36 src0_sel:WORD_1
	v_perm_b32 v43, v35, v34, s44
	v_mfma_f32_16x16x16_bf16 v[38:41], v[40:41], v[14:15], 0
	v_perm_b32 v34, v45, v44, s44
	v_perm_b32 v35, v49, v48, s44
	v_cvt_pk_f32_fp8_e32 v[44:45], v37
	v_cvt_pk_f32_fp8_sdwa v[36:37], v37 src0_sel:WORD_1
	v_mfma_f32_16x16x16_bf16 v[14:17], v[42:43], v[16:17], v[38:41]
	v_pk_mul_f32 v[48:49], v[28:29], v[24:25] op_sel_hi:[0,1]
	v_perm_b32 v24, v45, v44, s44
	v_perm_b32 v25, v37, v36, s44
	v_mfma_f32_16x16x16_bf16 v[14:17], v[34:35], v[10:11], v[14:17]
	v_pk_mul_f32 v[10:11], v[28:29], v[22:23] op_sel_hi:[0,1]
	v_cvt_pk_f32_fp8_e32 v[22:23], v30
	v_cvt_pk_f32_fp8_sdwa v[34:35], v30 src0_sel:WORD_1
	v_mfma_f32_16x16x16_bf16 v[12:15], v[24:25], v[12:13], v[14:17]
	v_cvt_pk_f32_fp8_sdwa v[24:25], v31 src0_sel:WORD_1
	v_perm_b32 v22, v23, v22, s44
	v_perm_b32 v23, v35, v34, s44
	v_cvt_pk_f32_fp8_e32 v[16:17], v31
	v_cvt_pk_f32_fp8_e32 v[30:31], v32
	v_cvt_pk_f32_fp8_sdwa v[34:35], v32 src0_sel:WORD_1
	v_mfma_f32_16x16x16_bf16 v[12:15], v[22:23], v[6:7], v[12:15]
	v_perm_b32 v16, v17, v16, s44
	v_perm_b32 v17, v25, v24, s44
	;; [unrolled: 1-line block ×4, first 2 shown]
	v_cvt_pk_f32_fp8_e32 v[24:25], v33
	v_cvt_pk_f32_fp8_sdwa v[30:31], v33 src0_sel:WORD_1
	v_mfma_f32_16x16x16_bf16 v[6:9], v[16:17], v[8:9], v[12:15]
	v_pk_mul_f32 v[40:41], v[28:29], v[20:21] op_sel_hi:[0,1]
	v_pk_mul_f32 v[44:45], v[28:29], v[18:19] op_sel_hi:[0,1]
	;; [unrolled: 1-line block ×3, first 2 shown]
	v_perm_b32 v12, v25, v24, s44
	v_perm_b32 v13, v31, v30, s44
	v_mfma_f32_16x16x16_bf16 v[6:9], v[22:23], v[2:3], v[6:9]
	v_pk_mul_f32 v[42:43], v[28:29], v[66:67] op_sel_hi:[0,1]
	v_mfma_f32_16x16x16_bf16 v[2:5], v[12:13], v[4:5], v[6:9]
	s_nop 6
	v_pk_mul_f32 v[36:37], v[28:29], v[2:3] op_sel_hi:[0,1]
	v_and_b32_e32 v2, 0xc0, v0
	v_add_u32_e32 v2, s20, v2
	v_lshl_or_b32 v2, v1, 2, v2
	v_or_b32_e32 v3, 1, v2
	v_pk_mul_f32 v[34:35], v[28:29], v[4:5] op_sel_hi:[0,1]
	v_subrev_u32_e32 v4, s5, v3
	v_add_u32_e32 v6, 1, v4
	v_add_u32_e32 v7, 2, v4
	v_cvt_f32_i32_e32 v5, v4
	v_cvt_f32_i32_e32 v6, v6
	;; [unrolled: 1-line block ×3, first 2 shown]
	v_add_u32_e32 v8, 3, v4
	v_fma_f32 v9, v63, v5, v10
	v_fmac_f32_e32 v11, v63, v6
	v_fma_f32 v10, v63, v7, v48
	v_add_u32_e32 v5, 16, v4
	v_add_u32_e32 v6, 17, v4
	;; [unrolled: 1-line block ×3, first 2 shown]
	v_cvt_f32_i32_e32 v8, v8
	v_cvt_f32_i32_e32 v5, v5
	;; [unrolled: 1-line block ×4, first 2 shown]
	v_fmac_f32_e32 v49, v63, v8
	v_add_u32_e32 v8, 19, v4
	v_fma_f32 v44, v63, v5, v44
	v_fmac_f32_e32 v45, v63, v6
	v_fma_f32 v40, v63, v7, v40
	v_add_u32_e32 v5, 32, v4
	v_add_u32_e32 v6, 33, v4
	;; [unrolled: 1-line block ×3, first 2 shown]
	v_cvt_f32_i32_e32 v8, v8
	v_cvt_f32_i32_e32 v5, v5
	;; [unrolled: 1-line block ×4, first 2 shown]
	v_fmac_f32_e32 v41, v63, v8
	v_add_u32_e32 v8, 35, v4
	v_fma_f32 v42, v63, v5, v42
	v_fmac_f32_e32 v43, v63, v6
	v_fma_f32 v38, v63, v7, v38
	v_add_u32_e32 v5, 48, v4
	v_add_u32_e32 v6, 49, v4
	;; [unrolled: 1-line block ×4, first 2 shown]
	v_cvt_f32_i32_e32 v4, v4
	v_cvt_f32_i32_e32 v5, v5
	;; [unrolled: 1-line block ×3, first 2 shown]
	v_cmp_gt_i32_e64 s[34:35], s5, v2
	v_fmac_f32_e32 v35, v63, v4
	v_mov_b32_e32 v4, 0xff7fffff
	v_cmp_gt_i32_e64 s[36:37], s5, v3
	v_fma_f32 v36, v63, v5, v36
	v_cndmask_b32_e64 v5, v4, v9, s[34:35]
	v_cndmask_b32_e64 v3, v4, v11, s[36:37]
	v_fmac_f32_e32 v37, v63, v6
	v_max3_f32 v3, v5, s40, v3
	v_or_b32_e32 v5, 2, v2
	v_or_b32_e32 v6, 3, v2
	v_cmp_gt_i32_e64 s[12:13], s5, v5
	v_cmp_gt_i32_e64 s[18:19], s5, v6
	v_cvt_f32_i32_e32 v8, v8
	v_cndmask_b32_e64 v5, v4, v10, s[12:13]
	v_cndmask_b32_e64 v6, v4, v49, s[18:19]
	v_max3_f32 v3, v3, v5, v6
	v_or_b32_e32 v5, 16, v2
	v_or_b32_e32 v6, 17, v2
	v_cmp_gt_i32_e64 s[24:25], s5, v5
	v_cmp_gt_i32_e64 s[28:29], s5, v6
	v_fmac_f32_e32 v39, v63, v8
	v_cndmask_b32_e64 v5, v4, v44, s[24:25]
	v_cndmask_b32_e64 v6, v4, v45, s[28:29]
	v_max3_f32 v3, v3, v5, v6
	v_or_b32_e32 v5, 18, v2
	v_or_b32_e32 v6, 19, v2
	v_cmp_gt_i32_e64 s[8:9], s5, v5
	v_cmp_gt_i32_e64 s[14:15], s5, v6
	v_cvt_f32_i32_e32 v7, v7
	v_cndmask_b32_e64 v5, v4, v40, s[8:9]
	v_cndmask_b32_e64 v6, v4, v41, s[14:15]
	v_max3_f32 v3, v3, v5, v6
	v_or_b32_e32 v5, 32, v2
	v_or_b32_e32 v6, 33, v2
	v_cmp_gt_i32_e64 s[20:21], s5, v5
	v_cmp_gt_i32_e64 s[26:27], s5, v6
	v_fma_f32 v34, v63, v7, v34
	v_cndmask_b32_e64 v5, v4, v42, s[20:21]
	v_cndmask_b32_e64 v6, v4, v43, s[26:27]
	v_max3_f32 v3, v3, v5, v6
	v_or_b32_e32 v5, 34, v2
	v_or_b32_e32 v6, 35, v2
	v_cmp_gt_i32_e64 s[6:7], s5, v5
	v_cmp_gt_i32_e64 s[10:11], s5, v6
	s_nop 0
	v_cndmask_b32_e64 v5, v4, v38, s[6:7]
	v_cndmask_b32_e64 v6, v4, v39, s[10:11]
	v_max3_f32 v3, v3, v5, v6
	v_or_b32_e32 v5, 48, v2
	v_or_b32_e32 v6, 49, v2
	v_cmp_gt_i32_e64 s[16:17], s5, v5
	v_cmp_gt_i32_e64 s[22:23], s5, v6
	s_nop 0
	v_cndmask_b32_e64 v5, v4, v36, s[16:17]
	v_cndmask_b32_e64 v6, v4, v37, s[22:23]
	v_max3_f32 v3, v3, v5, v6
	v_or_b32_e32 v5, 50, v2
	v_or_b32_e32 v2, 51, v2
	v_cmp_gt_i32_e32 vcc, s5, v5
	v_cmp_gt_i32_e64 s[4:5], s5, v2
	s_nop 0
	v_cndmask_b32_e32 v5, v4, v34, vcc
	v_cndmask_b32_e64 v2, v4, v35, s[4:5]
	v_max3_f32 v4, v3, v5, v2
	v_mbcnt_lo_u32_b32 v2, -1, 0
	v_mbcnt_hi_u32_b32 v5, -1, v2
	v_and_b32_e32 v2, 64, v5
	v_add_u32_e32 v6, 64, v2
	v_xor_b32_e32 v2, 32, v5
	v_cmp_lt_i32_e64 s[38:39], v2, v6
	s_nop 1
	v_cndmask_b32_e64 v2, v5, v2, s[38:39]
	v_lshlrev_b32_e32 v66, 2, v2
	ds_bpermute_b32 v7, v66, v4
	s_waitcnt vmcnt(2)
	v_mad_i64_i32 v[2:3], s[38:39], v65, s45, v[46:47]
	global_load_dwordx4 v[30:33], v[26:27], off
	s_nop 0
	global_load_dwordx4 v[26:29], v[2:3], off
	s_waitcnt lgkmcnt(0)
	v_max_f32_e32 v2, v7, v7
	v_max_f32_e32 v7, v4, v2
	v_xor_b32_e32 v2, 16, v5
	v_cmp_lt_i32_e64 s[38:39], v2, v6
	s_nop 1
	v_cndmask_b32_e64 v2, v5, v2, s[38:39]
	v_lshlrev_b32_e32 v67, 2, v2
	ds_bpermute_b32 v6, v67, v7
	s_waitcnt vmcnt(3)
	v_mad_i64_i32 v[2:3], s[38:39], v61, s45, v[46:47]
	s_waitcnt vmcnt(2)
	v_mad_i64_i32 v[4:5], s[38:39], v62, s45, v[46:47]
	s_waitcnt lgkmcnt(0)
	v_max_f32_e32 v6, v6, v6
	v_max_f32_e32 v63, v7, v6
	global_load_dwordx4 v[22:25], v[2:3], off
	global_load_dwordx4 v[14:17], v[4:5], off
	v_sub_f32_e32 v2, v9, v63
	v_mul_f32_e32 v2, 0x3fb8aa3b, v2
	v_exp_f32_e32 v4, v2
	v_sub_f32_e32 v2, v11, v63
	v_mul_f32_e32 v2, 0x3fb8aa3b, v2
	v_exp_f32_e32 v5, v2
	v_lshl_add_u64 v[2:3], s[46:47], 0, v[52:53]
	v_sub_f32_e32 v8, v10, v63
	v_cndmask_b32_e64 v46, 0, v4, s[34:35]
	v_cndmask_b32_e64 v47, 0, v5, s[36:37]
	v_mad_i64_i32 v[4:5], s[34:35], v64, s45, v[2:3]
	v_mad_i64_i32 v[6:7], s[34:35], v65, s45, v[2:3]
	v_mul_f32_e32 v8, 0x3fb8aa3b, v8
	v_sub_f32_e32 v48, v49, v63
	v_exp_f32_e32 v49, v8
	global_load_dwordx4 v[18:21], v[4:5], off
	s_nop 0
	global_load_dwordx4 v[6:9], v[6:7], off
	v_mad_i64_i32 v[4:5], s[34:35], v61, s45, v[2:3]
	v_mad_i64_i32 v[2:3], s[34:35], v62, s45, v[2:3]
	global_load_dwordx4 v[10:13], v[4:5], off
	s_nop 0
	global_load_dwordx4 v[2:5], v[2:3], off
	v_mul_f32_e32 v48, 0x3fb8aa3b, v48
	v_exp_f32_e32 v52, v48
	v_sub_f32_e32 v40, v40, v63
	v_sub_f32_e32 v42, v42, v63
	v_mul_f32_e32 v40, 0x3fb8aa3b, v40
	v_mul_f32_e32 v42, 0x3fb8aa3b, v42
	v_cndmask_b32_e64 v48, 0, v49, s[12:13]
	v_cndmask_b32_e64 v49, 0, v52, s[18:19]
	v_exp_f32_e32 v40, v40
	v_exp_f32_e32 v52, v42
	v_sub_f32_e32 v44, v44, v63
	v_mul_f32_e32 v44, 0x3fb8aa3b, v44
	v_sub_f32_e32 v45, v45, v63
	v_sub_f32_e32 v42, v43, v63
	v_exp_f32_e32 v44, v44
	v_mul_f32_e32 v45, 0x3fb8aa3b, v45
	v_mul_f32_e32 v42, 0x3fb8aa3b, v42
	v_exp_f32_e32 v45, v45
	v_sub_f32_e32 v41, v41, v63
	v_exp_f32_e32 v53, v42
	v_cndmask_b32_e64 v42, 0, v40, s[8:9]
	v_cndmask_b32_e64 v40, 0, v52, s[20:21]
	v_add_f32_e32 v52, 0, v46
	v_mul_f32_e32 v41, 0x3fb8aa3b, v41
	v_add_f32_e32 v52, v52, v47
	v_exp_f32_e32 v41, v41
	v_add_f32_e32 v52, v52, v48
	v_cndmask_b32_e64 v44, 0, v44, s[24:25]
	v_sub_f32_e32 v38, v38, v63
	v_add_f32_e32 v52, v52, v49
	v_cndmask_b32_e64 v45, 0, v45, s[28:29]
	v_sub_f32_e32 v39, v39, v63
	v_mul_f32_e32 v38, 0x3fb8aa3b, v38
	v_add_f32_e32 v52, v52, v44
	v_exp_f32_e32 v38, v38
	v_mul_f32_e32 v39, 0x3fb8aa3b, v39
	v_sub_f32_e32 v36, v36, v63
	v_add_f32_e32 v52, v52, v45
	v_cndmask_b32_e64 v43, 0, v41, s[14:15]
	v_exp_f32_e32 v39, v39
	v_mul_f32_e32 v36, 0x3fb8aa3b, v36
	v_sub_f32_e32 v37, v37, v63
	v_add_f32_e32 v52, v52, v42
	v_exp_f32_e32 v36, v36
	v_mul_f32_e32 v37, 0x3fb8aa3b, v37
	v_add_f32_e32 v52, v52, v43
	v_sub_f32_e32 v34, v34, v63
	v_cndmask_b32_e64 v41, 0, v53, s[26:27]
	v_exp_f32_e32 v37, v37
	v_add_f32_e32 v52, v52, v40
	v_mul_f32_e32 v34, 0x3fb8aa3b, v34
	v_sub_f32_e32 v35, v35, v63
	v_cndmask_b32_e64 v38, 0, v38, s[6:7]
	v_add_f32_e32 v52, v52, v41
	v_exp_f32_e32 v34, v34
	v_mul_f32_e32 v35, 0x3fb8aa3b, v35
	v_cndmask_b32_e64 v39, 0, v39, s[10:11]
	v_add_f32_e32 v52, v52, v38
	v_exp_f32_e32 v35, v35
	v_cndmask_b32_e64 v36, 0, v36, s[16:17]
	v_add_f32_e32 v52, v52, v39
	v_cndmask_b32_e64 v37, 0, v37, s[22:23]
	v_add_f32_e32 v52, v52, v36
	v_add_f32_e32 v52, v52, v37
	v_cndmask_b32_e32 v34, 0, v34, vcc
	v_add_f32_e32 v52, v52, v34
	v_cndmask_b32_e64 v35, 0, v35, s[4:5]
	v_add_f32_e32 v52, v52, v35
	ds_bpermute_b32 v53, v66, v52
	v_cmp_gt_u32_e32 vcc, 16, v59
	s_waitcnt lgkmcnt(0)
	s_barrier
	v_add_f32_e32 v52, v52, v53
	ds_bpermute_b32 v53, v67, v52
	s_and_saveexec_b64 s[4:5], vcc
	s_cbranch_execz .LBB1263_13
; %bb.12:
	s_waitcnt lgkmcnt(0)
	v_add_f32_e32 v52, v52, v53
	v_lshlrev_b32_e32 v51, 2, v51
	ds_write2st64_b32 v51, v63, v52 offset1:1
.LBB1263_13:
	s_or_b64 exec, exec, s[4:5]
	v_lshlrev_b32_e32 v51, 2, v56
	s_load_dword s6, s[0:1], 0x94
	s_waitcnt lgkmcnt(0)
	s_barrier
	ds_read2_b32 v[62:63], v51 offset1:16
	ds_read2_b32 v[64:65], v51 offset0:32 offset1:48
	ds_read2_b32 v[66:67], v51 offset0:64 offset1:80
	s_movk_i32 s8, 0x7fff
	s_lshl_b32 s7, s33, 4
	s_waitcnt lgkmcnt(2)
	v_max3_f32 v52, v62, s40, v63
	s_waitcnt lgkmcnt(1)
	v_max3_f32 v52, v52, v64, v65
	v_sub_f32_e32 v53, v62, v52
	v_mul_f32_e32 v53, 0x3fb8aa3b, v53
	v_exp_f32_e32 v59, v53
	v_sub_f32_e32 v53, v63, v52
	v_mul_f32_e32 v53, 0x3fb8aa3b, v53
	v_exp_f32_e32 v61, v53
	v_sub_f32_e32 v53, v64, v52
	v_mul_f32_e32 v53, 0x3fb8aa3b, v53
	ds_read2_b32 v[62:63], v51 offset0:96 offset1:112
	v_sub_f32_e32 v51, v65, v52
	v_exp_f32_e32 v64, v53
	v_mul_f32_e32 v51, 0x3fb8aa3b, v51
	v_exp_f32_e32 v51, v51
	s_waitcnt lgkmcnt(1)
	v_fma_f32 v53, v59, v66, 0
	v_fmac_f32_e32 v53, v61, v67
	s_waitcnt lgkmcnt(0)
	v_fmac_f32_e32 v53, v64, v62
	v_fmac_f32_e32 v53, v51, v63
	v_add_f32_e32 v62, 0x358637bd, v53
	v_div_scale_f32 v63, s[4:5], v62, v62, 1.0
	v_rcp_f32_e32 v65, v63
	s_barrier
	v_fma_f32 v66, -v63, v65, 1.0
	v_fmac_f32_e32 v65, v66, v65
	v_div_scale_f32 v66, vcc, 1.0, v62, 1.0
	v_mul_f32_e32 v67, v66, v65
	v_fma_f32 v68, -v63, v67, v66
	v_fmac_f32_e32 v67, v68, v65
	v_fma_f32 v63, -v63, v67, v66
	v_div_fmas_f32 v63, v63, v65, v67
	v_cmp_eq_u32_e32 vcc, 1, v58
	v_div_fixup_f32 v62, v63, v62, 1.0
	s_nop 0
	v_cndmask_b32_e32 v59, v59, v61, vcc
	v_cmp_eq_u32_e32 vcc, 2, v58
	s_nop 1
	v_cndmask_b32_e32 v59, v59, v64, vcc
	v_cmp_eq_u32_e32 vcc, 3, v58
	s_nop 1
	v_cndmask_b32_e32 v51, v59, v51, vcc
	v_mul_f32_e32 v62, v51, v62
	v_pk_mul_f32 v[46:47], v[62:63], v[46:47] op_sel_hi:[0,1]
	v_bfe_u32 v51, v47, 16, 1
	v_bfe_u32 v59, v46, 16, 1
	v_pk_mul_f32 v[48:49], v[62:63], v[48:49] op_sel_hi:[0,1]
	v_add3_u32 v46, v46, v59, s8
	v_add3_u32 v47, v47, v51, s8
	v_perm_b32 v46, v47, v46, s44
	v_bfe_u32 v47, v49, 16, 1
	v_bfe_u32 v51, v48, 16, 1
	v_add3_u32 v48, v48, v51, s8
	v_add3_u32 v47, v49, v47, s8
	v_perm_b32 v47, v47, v48, s44
	v_lshlrev_b32_e32 v48, 3, v1
	v_lshlrev_b32_e32 v49, 11, v58
	v_pk_mul_f32 v[44:45], v[62:63], v[44:45] op_sel_hi:[0,1]
	v_or3_b32 v58, v49, v60, v48
	v_bfe_u32 v48, v45, 16, 1
	v_bfe_u32 v49, v44, 16, 1
	v_pk_mul_f32 v[42:43], v[62:63], v[42:43] op_sel_hi:[0,1]
	v_add3_u32 v44, v44, v49, s8
	v_add3_u32 v45, v45, v48, s8
	v_perm_b32 v44, v45, v44, s44
	v_bfe_u32 v45, v43, 16, 1
	v_bfe_u32 v48, v42, 16, 1
	v_add3_u32 v42, v42, v48, s8
	v_add3_u32 v43, v43, v45, s8
	v_pk_mul_f32 v[40:41], v[62:63], v[40:41] op_sel_hi:[0,1]
	v_perm_b32 v45, v43, v42, s44
	v_bfe_u32 v42, v41, 16, 1
	v_bfe_u32 v43, v40, 16, 1
	v_pk_mul_f32 v[38:39], v[62:63], v[38:39] op_sel_hi:[0,1]
	v_add3_u32 v40, v40, v43, s8
	v_add3_u32 v41, v41, v42, s8
	v_perm_b32 v40, v41, v40, s44
	v_bfe_u32 v41, v39, 16, 1
	v_bfe_u32 v42, v38, 16, 1
	v_add3_u32 v38, v38, v42, s8
	v_add3_u32 v39, v39, v41, s8
	v_pk_mul_f32 v[36:37], v[62:63], v[36:37] op_sel_hi:[0,1]
	v_perm_b32 v41, v39, v38, s44
	v_bfe_u32 v38, v37, 16, 1
	v_bfe_u32 v39, v36, 16, 1
	v_pk_mul_f32 v[34:35], v[62:63], v[34:35] op_sel_hi:[0,1]
	v_add3_u32 v36, v36, v39, s8
	v_add3_u32 v37, v37, v38, s8
	v_perm_b32 v36, v37, v36, s44
	v_bfe_u32 v37, v35, 16, 1
	v_bfe_u32 v38, v34, 16, 1
	v_add3_u32 v34, v34, v38, s8
	v_add3_u32 v35, v35, v37, s8
	v_perm_b32 v37, v35, v34, s44
	v_cmp_gt_u32_e32 vcc, 16, v0
	ds_write2st64_b64 v58, v[46:47], v[44:45] offset1:1
	ds_write2st64_b64 v58, v[40:41], v[36:37] offset0:2 offset1:3
	s_and_saveexec_b64 s[4:5], vcc
	s_cbranch_execz .LBB1263_15
; %bb.14:
	v_mov_b32_e32 v51, 0
	v_mov_b32_e32 v34, s7
	s_mul_i32 s3, s3, s7
	v_mad_u64_u32 v[34:35], s[10:11], s2, v34, v[50:51]
	v_mov_b32_e32 v50, s30
	s_load_dwordx4 s[12:15], s[0:1], 0x58
	v_add_u32_e32 v37, s3, v35
	v_mad_u64_u32 v[34:35], s[10:11], v34, s6, v[50:51]
	v_mov_b32_e32 v36, v35
	v_mad_u64_u32 v[36:37], s[10:11], v37, s6, v[36:37]
	v_mov_b32_e32 v35, v36
	v_lshlrev_b64 v[34:35], 2, v[34:35]
	s_waitcnt lgkmcnt(0)
	v_lshl_add_u64 v[36:37], s[14:15], 0, v[34:35]
	v_lshl_add_u64 v[34:35], s[12:13], 0, v[34:35]
	global_store_dword v[36:37], v52, off
	global_store_dword v[34:35], v53, off
.LBB1263_15:
	s_or_b64 exec, exec, s[4:5]
	s_waitcnt vmcnt(7)
	v_cvt_pk_f32_fp8_e32 v[34:35], v30
	v_cvt_pk_f32_fp8_sdwa v[36:37], v30 src0_sel:WORD_1
	s_mov_b32 s5, 0x7060302
	s_waitcnt lgkmcnt(0)
	s_barrier
	v_cvt_pk_f32_fp8_e32 v[38:39], v31
	v_perm_b32 v30, v35, v34, s5
	v_cvt_pk_f32_fp8_sdwa v[40:41], v31 src0_sel:WORD_1
	v_perm_b32 v31, v37, v36, s5
	ds_read_b128 v[34:37], v55
	v_perm_b32 v46, v39, v38, s5
	v_perm_b32 v47, v41, v40, s5
	ds_read_b128 v[38:41], v55 offset:16
	v_cvt_pk_f32_fp8_e32 v[48:49], v32
	v_cvt_pk_f32_fp8_sdwa v[50:51], v32 src0_sel:WORD_1
	s_waitcnt lgkmcnt(1)
	v_mfma_f32_16x16x16_bf16 v[42:45], v[30:31], v[34:35], 0
	s_waitcnt vmcnt(6)
	v_cvt_pk_f32_fp8_e32 v[52:53], v28
	v_perm_b32 v30, v49, v48, s5
	v_perm_b32 v31, v51, v50, s5
	v_cvt_pk_f32_fp8_e32 v[48:49], v33
	v_mfma_f32_16x16x16_bf16 v[42:45], v[46:47], v[36:37], v[42:45]
	v_cvt_pk_f32_fp8_sdwa v[46:47], v33 src0_sel:WORD_1
	v_cvt_pk_f32_fp8_sdwa v[60:61], v28 src0_sel:WORD_1
	v_perm_b32 v48, v49, v48, s5
	s_waitcnt lgkmcnt(0)
	v_mfma_f32_16x16x16_bf16 v[30:33], v[30:31], v[38:39], v[42:45]
	v_perm_b32 v49, v47, v46, s5
	s_waitcnt vmcnt(5)
	v_cvt_pk_f32_fp8_e32 v[62:63], v24
	v_cvt_pk_f32_fp8_sdwa v[64:65], v24 src0_sel:WORD_1
	v_cvt_pk_f32_fp8_e32 v[42:43], v26
	v_mfma_f32_16x16x16_bf16 v[46:49], v[48:49], v[40:41], v[30:33]
	s_waitcnt vmcnt(4)
	v_cvt_pk_f32_fp8_e32 v[66:67], v16
	v_cvt_pk_f32_fp8_sdwa v[68:69], v16 src0_sel:WORD_1
	v_cvt_pk_f32_fp8_sdwa v[30:31], v26 src0_sel:WORD_1
	v_cvt_pk_f32_fp8_e32 v[32:33], v27
	v_perm_b32 v26, v43, v42, s5
	v_cvt_pk_f32_fp8_sdwa v[42:43], v27 src0_sel:WORD_1
	v_perm_b32 v27, v31, v30, s5
	v_perm_b32 v50, v33, v32, s5
	ds_read_b128 v[30:33], v55 offset:2048
	v_perm_b32 v51, v43, v42, s5
	ds_read_b128 v[42:45], v55 offset:2064
	s_waitcnt lgkmcnt(1)
	v_mfma_f32_16x16x16_bf16 v[46:49], v[26:27], v[30:31], v[46:49]
	v_perm_b32 v26, v53, v52, s5
	v_perm_b32 v27, v61, v60, s5
	v_cvt_pk_f32_fp8_e32 v[52:53], v29
	v_mfma_f32_16x16x16_bf16 v[46:49], v[50:51], v[32:33], v[46:49]
	v_cvt_pk_f32_fp8_sdwa v[50:51], v29 src0_sel:WORD_1
	s_load_dword s4, s[42:43], 0x0
	v_perm_b32 v52, v53, v52, s5
	s_waitcnt lgkmcnt(0)
	v_mfma_f32_16x16x16_bf16 v[26:29], v[26:27], v[42:43], v[46:49]
	v_perm_b32 v53, v51, v50, s5
	s_mov_b32 s3, 0
	v_cmp_gt_u32_e32 vcc, 64, v0
	v_cvt_pk_f32_fp8_e32 v[46:47], v22
	v_mfma_f32_16x16x16_bf16 v[50:53], v[52:53], v[44:45], v[26:29]
	s_nop 2
	v_cvt_pk_f32_fp8_sdwa v[26:27], v22 src0_sel:WORD_1
	v_cvt_pk_f32_fp8_e32 v[28:29], v23
	v_perm_b32 v22, v47, v46, s5
	v_cvt_pk_f32_fp8_sdwa v[46:47], v23 src0_sel:WORD_1
	v_perm_b32 v23, v27, v26, s5
	v_perm_b32 v60, v29, v28, s5
	ds_read_b128 v[26:29], v55 offset:4096
	v_perm_b32 v61, v47, v46, s5
	ds_read_b128 v[46:49], v55 offset:4112
	s_waitcnt lgkmcnt(1)
	v_mfma_f32_16x16x16_bf16 v[50:53], v[22:23], v[26:27], v[50:53]
	v_perm_b32 v22, v63, v62, s5
	v_perm_b32 v23, v65, v64, s5
	v_cvt_pk_f32_fp8_e32 v[62:63], v25
	v_mfma_f32_16x16x16_bf16 v[50:53], v[60:61], v[28:29], v[50:53]
	v_cvt_pk_f32_fp8_sdwa v[60:61], v25 src0_sel:WORD_1
	v_perm_b32 v62, v63, v62, s5
	s_waitcnt lgkmcnt(0)
	v_mfma_f32_16x16x16_bf16 v[22:25], v[22:23], v[46:47], v[50:53]
	v_perm_b32 v63, v61, v60, s5
	s_nop 1
	v_cvt_pk_f32_fp8_e32 v[50:51], v14
	v_mfma_f32_16x16x16_bf16 v[60:63], v[62:63], v[48:49], v[22:25]
	s_nop 2
	v_cvt_pk_f32_fp8_sdwa v[22:23], v14 src0_sel:WORD_1
	v_cvt_pk_f32_fp8_e32 v[24:25], v15
	v_perm_b32 v14, v51, v50, s5
	v_cvt_pk_f32_fp8_sdwa v[50:51], v15 src0_sel:WORD_1
	v_perm_b32 v15, v23, v22, s5
	v_perm_b32 v64, v25, v24, s5
	ds_read_b128 v[22:25], v55 offset:6144
	v_perm_b32 v65, v51, v50, s5
	ds_read_b128 v[50:53], v55 offset:6160
	s_waitcnt lgkmcnt(1)
	v_mfma_f32_16x16x16_bf16 v[60:63], v[14:15], v[22:23], v[60:63]
	v_perm_b32 v14, v67, v66, s5
	v_perm_b32 v15, v69, v68, s5
	v_cvt_pk_f32_fp8_e32 v[66:67], v17
	v_mfma_f32_16x16x16_bf16 v[60:63], v[64:65], v[24:25], v[60:63]
	v_cvt_pk_f32_fp8_sdwa v[64:65], v17 src0_sel:WORD_1
	s_waitcnt lgkmcnt(0)
	v_perm_b32 v66, v67, v66, s5
	v_mfma_f32_16x16x16_bf16 v[14:17], v[14:15], v[50:51], v[60:63]
	v_perm_b32 v67, v65, v64, s5
	s_waitcnt vmcnt(3)
	v_cvt_pk_f32_fp8_e32 v[64:65], v19
	s_barrier
	v_mfma_f32_16x16x16_bf16 v[60:63], v[66:67], v[52:53], v[14:17]
	v_cvt_pk_f32_fp8_sdwa v[66:67], v20 src0_sel:WORD_1
	s_nop 1
	v_cvt_pk_f32_fp8_e32 v[16:17], v18
	s_nop 2
	v_pk_mul_f32 v[14:15], v[62:63], s[4:5] op_sel_hi:[1,0]
	v_cvt_pk_f32_fp8_sdwa v[62:63], v18 src0_sel:WORD_1
	v_perm_b32 v16, v17, v16, s5
	v_cvt_pk_f32_fp8_sdwa v[18:19], v19 src0_sel:WORD_1
	v_pk_mul_f32 v[60:61], v[60:61], s[4:5] op_sel_hi:[1,0]
	v_perm_b32 v17, v63, v62, s5
	v_perm_b32 v62, v65, v64, s5
	v_cvt_pk_f32_fp8_e32 v[64:65], v20
	v_perm_b32 v63, v19, v18, s5
	v_mfma_f32_16x16x16_bf16 v[16:19], v[16:17], v[34:35], 0
	v_perm_b32 v34, v65, v64, s5
	v_perm_b32 v35, v67, v66, s5
	v_cvt_pk_f32_fp8_e32 v[64:65], v21
	v_cvt_pk_f32_fp8_sdwa v[20:21], v21 src0_sel:WORD_1
	v_mfma_f32_16x16x16_bf16 v[16:19], v[62:63], v[36:37], v[16:19]
	v_bfe_u32 v55, v61, 16, 1
	v_perm_b32 v36, v65, v64, s5
	v_perm_b32 v37, v21, v20, s5
	v_mfma_f32_16x16x16_bf16 v[16:19], v[34:35], v[38:39], v[16:19]
	s_waitcnt vmcnt(2)
	v_cvt_pk_f32_fp8_e32 v[20:21], v6
	v_cvt_pk_f32_fp8_sdwa v[34:35], v6 src0_sel:WORD_1
	v_cvt_pk_f32_fp8_sdwa v[38:39], v8 src0_sel:WORD_1
	v_mfma_f32_16x16x16_bf16 v[16:19], v[36:37], v[40:41], v[16:19]
	v_cvt_pk_f32_fp8_e32 v[36:37], v7
	v_perm_b32 v20, v21, v20, s5
	v_perm_b32 v21, v35, v34, s5
	v_cvt_pk_f32_fp8_sdwa v[6:7], v7 src0_sel:WORD_1
	v_perm_b32 v34, v37, v36, s5
	v_cvt_pk_f32_fp8_e32 v[36:37], v8
	v_mfma_f32_16x16x16_bf16 v[16:19], v[20:21], v[30:31], v[16:19]
	v_perm_b32 v35, v7, v6, s5
	v_perm_b32 v20, v37, v36, s5
	;; [unrolled: 1-line block ×3, first 2 shown]
	v_cvt_pk_f32_fp8_e32 v[30:31], v9
	v_cvt_pk_f32_fp8_sdwa v[36:37], v9 src0_sel:WORD_1
	v_mfma_f32_16x16x16_bf16 v[6:9], v[34:35], v[32:33], v[16:19]
	v_bfe_u32 v59, v60, 16, 1
	v_add3_u32 v32, v60, v59, s8
	v_add3_u32 v33, v61, v55, s8
	v_perm_b32 v16, v31, v30, s5
	v_perm_b32 v17, v37, v36, s5
	v_mfma_f32_16x16x16_bf16 v[6:9], v[20:21], v[42:43], v[6:9]
	s_waitcnt vmcnt(1)
	v_cvt_pk_f32_fp8_e32 v[18:19], v10
	v_cvt_pk_f32_fp8_sdwa v[20:21], v10 src0_sel:WORD_1
	v_cvt_pk_f32_fp8_sdwa v[30:31], v12 src0_sel:WORD_1
	v_mfma_f32_16x16x16_bf16 v[6:9], v[16:17], v[44:45], v[6:9]
	v_cvt_pk_f32_fp8_e32 v[16:17], v11
	v_perm_b32 v18, v19, v18, s5
	v_perm_b32 v19, v21, v20, s5
	v_cvt_pk_f32_fp8_sdwa v[10:11], v11 src0_sel:WORD_1
	v_perm_b32 v16, v17, v16, s5
	v_cvt_pk_f32_fp8_e32 v[20:21], v12
	v_mfma_f32_16x16x16_bf16 v[6:9], v[18:19], v[26:27], v[6:9]
	v_perm_b32 v17, v11, v10, s5
	v_perm_b32 v10, v21, v20, s5
	;; [unrolled: 1-line block ×3, first 2 shown]
	v_cvt_pk_f32_fp8_e32 v[18:19], v13
	v_cvt_pk_f32_fp8_sdwa v[12:13], v13 src0_sel:WORD_1
	v_mfma_f32_16x16x16_bf16 v[6:9], v[16:17], v[28:29], v[6:9]
	s_waitcnt vmcnt(0)
	v_cvt_pk_f32_fp8_sdwa v[20:21], v4 src0_sel:WORD_1
	v_perm_b32 v18, v19, v18, s5
	v_perm_b32 v19, v13, v12, s5
	v_mfma_f32_16x16x16_bf16 v[6:9], v[10:11], v[46:47], v[6:9]
	v_cvt_pk_f32_fp8_e32 v[10:11], v2
	v_cvt_pk_f32_fp8_sdwa v[12:13], v2 src0_sel:WORD_1
	v_bfe_u32 v17, v15, 16, 1
	v_mfma_f32_16x16x16_bf16 v[6:9], v[18:19], v[48:49], v[6:9]
	v_cvt_pk_f32_fp8_e32 v[18:19], v3
	v_perm_b32 v10, v11, v10, s5
	v_perm_b32 v11, v13, v12, s5
	v_cvt_pk_f32_fp8_sdwa v[2:3], v3 src0_sel:WORD_1
	v_perm_b32 v12, v19, v18, s5
	v_cvt_pk_f32_fp8_e32 v[18:19], v4
	v_mfma_f32_16x16x16_bf16 v[6:9], v[10:11], v[22:23], v[6:9]
	v_perm_b32 v13, v3, v2, s5
	v_perm_b32 v10, v19, v18, s5
	;; [unrolled: 1-line block ×3, first 2 shown]
	v_cvt_pk_f32_fp8_e32 v[18:19], v5
	v_cvt_pk_f32_fp8_sdwa v[20:21], v5 src0_sel:WORD_1
	v_mfma_f32_16x16x16_bf16 v[2:5], v[12:13], v[24:25], v[6:9]
	v_perm_b32 v16, v33, v32, s5
	s_nop 1
	v_perm_b32 v6, v19, v18, s5
	v_perm_b32 v7, v21, v20, s5
	v_mfma_f32_16x16x16_bf16 v[2:5], v[10:11], v[50:51], v[2:5]
	v_bfe_u32 v8, v14, 16, 1
	v_add3_u32 v8, v14, v8, s8
	v_add3_u32 v9, v15, v17, s8
	v_mfma_f32_16x16x16_bf16 v[2:5], v[6:7], v[52:53], v[2:5]
	v_perm_b32 v17, v9, v8, s5
	s_nop 5
	v_pk_mul_f32 v[2:3], v[2:3], s[4:5] op_sel_hi:[1,0]
	v_pk_mul_f32 v[4:5], v[4:5], s[4:5] op_sel_hi:[1,0]
	v_bfe_u32 v6, v3, 16, 1
	v_bfe_u32 v7, v2, 16, 1
	v_add3_u32 v2, v2, v7, s8
	v_add3_u32 v3, v3, v6, s8
	v_perm_b32 v2, v3, v2, s5
	v_bfe_u32 v3, v5, 16, 1
	v_bfe_u32 v6, v4, 16, 1
	v_add3_u32 v4, v4, v6, s8
	v_add3_u32 v3, v5, v3, s8
	v_perm_b32 v3, v3, v4, s5
	ds_write2st64_b64 v58, v[16:17], v[2:3] offset1:1
	s_waitcnt lgkmcnt(0)
	s_barrier
	s_and_saveexec_b64 s[4:5], vcc
	s_cbranch_execz .LBB1263_17
; %bb.16:
	s_load_dwordx2 s[0:1], s[0:1], 0x68
	s_lshl_b32 s6, s6, 7
	s_mul_i32 s2, s7, s2
	s_mul_hi_u32 s5, s2, s6
	s_mul_i32 s4, s2, s6
	s_lshl_b64 s[4:5], s[4:5], 1
	s_waitcnt lgkmcnt(0)
	s_add_u32 s4, s0, s4
	v_lshlrev_b32_e32 v4, 6, v56
	s_addc_u32 s5, s1, s5
	s_lshl_b32 s2, s30, 7
	v_lshl_or_b32 v0, v0, 10, v4
	s_lshl_b64 s[0:1], s[2:3], 1
	v_lshlrev_b32_e32 v2, 5, v1
	v_and_b32_e32 v3, 16, v57
	v_and_b32_e32 v0, 0x1a00, v0
	s_add_u32 s0, s4, s0
	v_or3_b32 v0, v0, v2, v3
	s_addc_u32 s1, s5, s1
	v_mov_b32_e32 v55, 0
	v_or_b32_e32 v20, s31, v1
	ds_read_b128 v[2:5], v0
	ds_read_b128 v[6:9], v0 offset:128
	ds_read_b128 v[10:13], v0 offset:256
	;; [unrolled: 1-line block ×3, first 2 shown]
	v_lshl_add_u64 v[18:19], s[0:1], 0, v[54:55]
	v_mad_u64_u32 v[0:1], s[0:1], v20, s6, 0
	v_lshl_add_u64 v[0:1], v[0:1], 1, v[18:19]
	s_waitcnt lgkmcnt(3)
	global_store_dwordx4 v[0:1], v[2:5], off
	v_or_b32_e32 v0, 4, v20
	v_mad_u64_u32 v[0:1], s[0:1], v0, s6, 0
	v_lshl_add_u64 v[0:1], v[0:1], 1, v[18:19]
	s_waitcnt lgkmcnt(2)
	global_store_dwordx4 v[0:1], v[6:9], off
	v_or_b32_e32 v0, 8, v20
	;; [unrolled: 5-line block ×3, first 2 shown]
	v_mad_u64_u32 v[0:1], s[0:1], v0, s6, 0
	v_lshl_add_u64 v[0:1], v[0:1], 1, v[18:19]
	s_waitcnt lgkmcnt(0)
	global_store_dwordx4 v[0:1], v[14:17], off
.LBB1263_17:
	s_endpgm
	.section	.rodata,"a",@progbits
	.p2align	6, 0x0
	.amdhsa_kernel _Z39paged_attention_ll4mi_QKV_mfma16_kernelI14__hip_bfloat16hLN4vllm18Fp8KVCacheDataTypeE1EhLi16ELi128ELi256ELb1ELi16EEvPKT_PKT0_S8_ifPKiSA_SA_iPKfiiiPfSD_PS3_PT2_iSC_SC_
		.amdhsa_group_segment_fixed_size 8192
		.amdhsa_private_segment_fixed_size 0
		.amdhsa_kernarg_size 400
		.amdhsa_user_sgpr_count 2
		.amdhsa_user_sgpr_dispatch_ptr 0
		.amdhsa_user_sgpr_queue_ptr 0
		.amdhsa_user_sgpr_kernarg_segment_ptr 1
		.amdhsa_user_sgpr_dispatch_id 0
		.amdhsa_user_sgpr_kernarg_preload_length 0
		.amdhsa_user_sgpr_kernarg_preload_offset 0
		.amdhsa_user_sgpr_private_segment_size 0
		.amdhsa_uses_dynamic_stack 0
		.amdhsa_enable_private_segment 0
		.amdhsa_system_sgpr_workgroup_id_x 1
		.amdhsa_system_sgpr_workgroup_id_y 1
		.amdhsa_system_sgpr_workgroup_id_z 1
		.amdhsa_system_sgpr_workgroup_info 0
		.amdhsa_system_vgpr_workitem_id 0
		.amdhsa_next_free_vgpr 94
		.amdhsa_next_free_sgpr 48
		.amdhsa_accum_offset 96
		.amdhsa_reserve_vcc 1
		.amdhsa_float_round_mode_32 0
		.amdhsa_float_round_mode_16_64 0
		.amdhsa_float_denorm_mode_32 3
		.amdhsa_float_denorm_mode_16_64 3
		.amdhsa_dx10_clamp 1
		.amdhsa_ieee_mode 1
		.amdhsa_fp16_overflow 0
		.amdhsa_tg_split 0
		.amdhsa_exception_fp_ieee_invalid_op 0
		.amdhsa_exception_fp_denorm_src 0
		.amdhsa_exception_fp_ieee_div_zero 0
		.amdhsa_exception_fp_ieee_overflow 0
		.amdhsa_exception_fp_ieee_underflow 0
		.amdhsa_exception_fp_ieee_inexact 0
		.amdhsa_exception_int_div_zero 0
	.end_amdhsa_kernel
	.section	.text._Z39paged_attention_ll4mi_QKV_mfma16_kernelI14__hip_bfloat16hLN4vllm18Fp8KVCacheDataTypeE1EhLi16ELi128ELi256ELb1ELi16EEvPKT_PKT0_S8_ifPKiSA_SA_iPKfiiiPfSD_PS3_PT2_iSC_SC_,"axG",@progbits,_Z39paged_attention_ll4mi_QKV_mfma16_kernelI14__hip_bfloat16hLN4vllm18Fp8KVCacheDataTypeE1EhLi16ELi128ELi256ELb1ELi16EEvPKT_PKT0_S8_ifPKiSA_SA_iPKfiiiPfSD_PS3_PT2_iSC_SC_,comdat
.Lfunc_end1263:
	.size	_Z39paged_attention_ll4mi_QKV_mfma16_kernelI14__hip_bfloat16hLN4vllm18Fp8KVCacheDataTypeE1EhLi16ELi128ELi256ELb1ELi16EEvPKT_PKT0_S8_ifPKiSA_SA_iPKfiiiPfSD_PS3_PT2_iSC_SC_, .Lfunc_end1263-_Z39paged_attention_ll4mi_QKV_mfma16_kernelI14__hip_bfloat16hLN4vllm18Fp8KVCacheDataTypeE1EhLi16ELi128ELi256ELb1ELi16EEvPKT_PKT0_S8_ifPKiSA_SA_iPKfiiiPfSD_PS3_PT2_iSC_SC_
                                        ; -- End function
	.section	.AMDGPU.csdata,"",@progbits
; Kernel info:
; codeLenInByte = 6576
; NumSgprs: 54
; NumVgprs: 94
; NumAgprs: 0
; TotalNumVgprs: 94
; ScratchSize: 0
; MemoryBound: 0
; FloatMode: 240
; IeeeMode: 1
; LDSByteSize: 8192 bytes/workgroup (compile time only)
; SGPRBlocks: 6
; VGPRBlocks: 11
; NumSGPRsForWavesPerEU: 54
; NumVGPRsForWavesPerEU: 94
; AccumOffset: 96
; Occupancy: 5
; WaveLimiterHint : 1
; COMPUTE_PGM_RSRC2:SCRATCH_EN: 0
; COMPUTE_PGM_RSRC2:USER_SGPR: 2
; COMPUTE_PGM_RSRC2:TRAP_HANDLER: 0
; COMPUTE_PGM_RSRC2:TGID_X_EN: 1
; COMPUTE_PGM_RSRC2:TGID_Y_EN: 1
; COMPUTE_PGM_RSRC2:TGID_Z_EN: 1
; COMPUTE_PGM_RSRC2:TIDIG_COMP_CNT: 0
; COMPUTE_PGM_RSRC3_GFX90A:ACCUM_OFFSET: 23
; COMPUTE_PGM_RSRC3_GFX90A:TG_SPLIT: 0
	.section	.text._Z39paged_attention_ll4mi_QKV_mfma16_kernelI14__hip_bfloat16hLN4vllm18Fp8KVCacheDataTypeE1EhLi16ELi128ELi256ELb1ELi1EEvPKT_PKT0_S8_ifPKiSA_SA_iPKfiiiPfSD_PS3_PT2_iSC_SC_,"axG",@progbits,_Z39paged_attention_ll4mi_QKV_mfma16_kernelI14__hip_bfloat16hLN4vllm18Fp8KVCacheDataTypeE1EhLi16ELi128ELi256ELb1ELi1EEvPKT_PKT0_S8_ifPKiSA_SA_iPKfiiiPfSD_PS3_PT2_iSC_SC_,comdat
	.protected	_Z39paged_attention_ll4mi_QKV_mfma16_kernelI14__hip_bfloat16hLN4vllm18Fp8KVCacheDataTypeE1EhLi16ELi128ELi256ELb1ELi1EEvPKT_PKT0_S8_ifPKiSA_SA_iPKfiiiPfSD_PS3_PT2_iSC_SC_ ; -- Begin function _Z39paged_attention_ll4mi_QKV_mfma16_kernelI14__hip_bfloat16hLN4vllm18Fp8KVCacheDataTypeE1EhLi16ELi128ELi256ELb1ELi1EEvPKT_PKT0_S8_ifPKiSA_SA_iPKfiiiPfSD_PS3_PT2_iSC_SC_
	.globl	_Z39paged_attention_ll4mi_QKV_mfma16_kernelI14__hip_bfloat16hLN4vllm18Fp8KVCacheDataTypeE1EhLi16ELi128ELi256ELb1ELi1EEvPKT_PKT0_S8_ifPKiSA_SA_iPKfiiiPfSD_PS3_PT2_iSC_SC_
	.p2align	8
	.type	_Z39paged_attention_ll4mi_QKV_mfma16_kernelI14__hip_bfloat16hLN4vllm18Fp8KVCacheDataTypeE1EhLi16ELi128ELi256ELb1ELi1EEvPKT_PKT0_S8_ifPKiSA_SA_iPKfiiiPfSD_PS3_PT2_iSC_SC_,@function
_Z39paged_attention_ll4mi_QKV_mfma16_kernelI14__hip_bfloat16hLN4vllm18Fp8KVCacheDataTypeE1EhLi16ELi128ELi256ELb1ELi1EEvPKT_PKT0_S8_ifPKiSA_SA_iPKfiiiPfSD_PS3_PT2_iSC_SC_: ; @_Z39paged_attention_ll4mi_QKV_mfma16_kernelI14__hip_bfloat16hLN4vllm18Fp8KVCacheDataTypeE1EhLi16ELi128ELi256ELb1ELi1EEvPKT_PKT0_S8_ifPKiSA_SA_iPKfiiiPfSD_PS3_PT2_iSC_SC_
; %bb.0:
	s_load_dwordx2 s[8:9], s[0:1], 0x30
	s_mov_b32 s33, s3
	s_mov_b64 s[6:7], 0
	s_waitcnt lgkmcnt(0)
	s_cmp_lg_u64 s[8:9], 0
	s_cselect_b64 s[10:11], -1, 0
	s_and_b64 vcc, exec, s[10:11]
	s_cbranch_vccz .LBB1264_7
; %bb.1:
	s_add_i32 s12, s2, 1
	s_mov_b32 s13, 0
	s_lshl_b64 s[14:15], s[12:13], 2
	s_add_u32 s14, s8, s14
	s_mov_b32 s3, s13
	s_addc_u32 s15, s9, s15
	s_lshl_b64 s[12:13], s[2:3], 2
	s_add_u32 s12, s8, s12
	s_addc_u32 s13, s9, s13
	s_load_dword s5, s[14:15], 0x0
	s_load_dword s16, s[12:13], 0x0
	s_waitcnt lgkmcnt(0)
	s_sub_i32 s5, s5, s16
	s_cmp_eq_u32 s5, 1
	s_cselect_b64 s[12:13], -1, 0
	s_andn2_b64 vcc, exec, s[6:7]
	s_cbranch_vccnz .LBB1264_3
.LBB1264_2:
	s_mov_b32 s3, 0
	s_mov_b64 s[12:13], -1
.LBB1264_3:
	s_andn2_b64 vcc, exec, s[12:13]
	s_cbranch_vccnz .LBB1264_19
; %bb.4:
	s_load_dwordx2 s[6:7], s[0:1], 0x28
	s_lshl_b64 s[12:13], s[2:3], 2
	s_waitcnt lgkmcnt(0)
	s_add_u32 s6, s6, s12
	s_addc_u32 s7, s7, s13
	s_load_dword s38, s[6:7], 0x0
	s_lshl_b32 s16, s33, 8
	s_waitcnt lgkmcnt(0)
	s_cmp_ge_i32 s16, s38
	s_cbranch_scc1 .LBB1264_19
; %bb.5:
	s_load_dwordx2 s[6:7], s[0:1], 0x20
	s_load_dword s5, s[0:1], 0x38
	s_add_i32 s14, s38, 15
	s_ashr_i32 s15, s14, 31
	v_and_b32_e32 v1, 0xcf, v0
	s_lshr_b32 s15, s15, 28
	v_add_u32_e32 v1, s16, v1
	s_add_i32 s14, s14, s15
	v_ashrrev_i32_e32 v2, 31, v1
	s_ashr_i32 s17, s14, 4
	v_lshrrev_b32_e32 v4, 28, v2
	s_add_i32 s17, s17, -1
	s_waitcnt lgkmcnt(0)
	s_mul_i32 s14, s2, s5
	s_mov_b32 s15, 0
	v_add_u32_e32 v2, v1, v4
	s_lshl_b64 s[14:15], s[14:15], 2
	v_ashrrev_i32_e32 v2, 4, v2
	v_mov_b32_e32 v5, s17
	v_cmp_gt_i32_e32 vcc, s38, v1
	s_add_u32 s6, s6, s14
	s_addc_u32 s7, s7, s15
	v_cndmask_b32_e32 v2, v5, v2, vcc
	v_ashrrev_i32_e32 v3, 31, v2
	v_lshl_add_u64 v[6:7], v[2:3], 2, s[6:7]
	v_or_b32_e32 v2, 16, v1
	v_add_u32_e32 v3, v2, v4
	v_ashrrev_i32_e32 v3, 4, v3
	v_cmp_gt_i32_e32 vcc, s38, v2
	s_load_dwordx2 s[14:15], s[0:1], 0x8
	s_nop 0
	v_cndmask_b32_e32 v2, v5, v3, vcc
	v_ashrrev_i32_e32 v3, 31, v2
	v_lshl_add_u64 v[8:9], v[2:3], 2, s[6:7]
	v_or_b32_e32 v2, 32, v1
	v_add_u32_e32 v3, v2, v4
	v_ashrrev_i32_e32 v3, 4, v3
	v_cmp_gt_i32_e32 vcc, s38, v2
	v_or_b32_e32 v1, 48, v1
	s_nop 0
	v_cndmask_b32_e32 v2, v5, v3, vcc
	v_ashrrev_i32_e32 v3, 31, v2
	v_lshl_add_u64 v[10:11], v[2:3], 2, s[6:7]
	v_add_u32_e32 v2, v1, v4
	v_ashrrev_i32_e32 v2, 4, v2
	v_cmp_gt_i32_e32 vcc, s38, v1
	s_nop 1
	v_cndmask_b32_e32 v2, v5, v2, vcc
	v_ashrrev_i32_e32 v3, 31, v2
	v_lshl_add_u64 v[12:13], v[2:3], 2, s[6:7]
	global_load_dword v4, v[6:7], off
	global_load_dword v3, v[8:9], off
	;; [unrolled: 1-line block ×4, first 2 shown]
	s_andn2_b64 vcc, exec, s[10:11]
	s_cbranch_vccnz .LBB1264_8
; %bb.6:
	s_add_u32 s8, s8, s12
	s_addc_u32 s9, s9, s13
	s_load_dword s5, s[8:9], 0x0
	s_branch .LBB1264_9
.LBB1264_7:
	s_mov_b64 s[12:13], 0
	s_branch .LBB1264_2
.LBB1264_8:
	s_mov_b32 s5, s2
.LBB1264_9:
	s_load_dwordx2 s[8:9], s[0:1], 0x10
	s_load_dwordx4 s[44:47], s[0:1], 0x48
	v_lshrrev_b32_e32 v59, 6, v0
	v_bfe_u32 v56, v0, 4, 2
	v_and_b32_e32 v57, 15, v0
	v_lshl_or_b32 v1, v59, 2, v56
	v_lshlrev_b32_e32 v5, 3, v57
	v_cmp_eq_u32_e32 vcc, 0, v1
	v_lshlrev_b32_e32 v1, 1, v5
	v_lshlrev_b32_e32 v58, 4, v0
	s_and_saveexec_b64 s[10:11], vcc
	s_cbranch_execz .LBB1264_11
; %bb.10:
	s_load_dwordx2 s[12:13], s[0:1], 0x0
	s_waitcnt lgkmcnt(0)
	s_ashr_i32 s18, s44, 31
	s_mul_hi_u32 s19, s5, s44
	s_mul_i32 s18, s5, s18
	s_add_i32 s19, s19, s18
	s_mul_i32 s18, s5, s44
	s_lshl_b64 s[18:19], s[18:19], 1
	s_add_u32 s5, s12, s18
	s_addc_u32 s18, s13, s19
	s_lshl_b32 s12, s4, 7
	s_ashr_i32 s13, s12, 31
	s_lshl_b64 s[12:13], s[12:13], 1
	s_add_u32 s12, s5, s12
	s_addc_u32 s13, s18, s13
	global_load_dwordx4 v[6:9], v1, s[12:13]
	v_lshlrev_b32_e32 v5, 8, v0
	v_lshlrev_b32_e32 v10, 8, v57
	v_and_b32_e32 v5, 0x600, v5
	v_and_b32_e32 v10, 0x800, v10
	;; [unrolled: 1-line block ×3, first 2 shown]
	v_or3_b32 v5, v10, v5, v11
	s_waitcnt vmcnt(0)
	ds_write_b128 v5, v[6:9]
.LBB1264_11:
	s_or_b64 exec, exec, s[10:11]
	s_waitcnt lgkmcnt(0)
	s_mul_i32 s12, s4, s46
	s_add_u32 s10, s14, s12
	s_addc_u32 s11, s15, 0
	v_and_b32_e32 v54, 0xf0, v58
	v_mov_b32_e32 v55, 0
	v_and_b32_e32 v50, 48, v0
	v_lshl_add_u64 v[16:17], s[10:11], 0, v[54:55]
	v_lshlrev_b32_e32 v54, 4, v50
	s_waitcnt vmcnt(3)
	v_mad_i64_i32 v[4:5], s[10:11], v4, s45, v[16:17]
	v_lshl_add_u64 v[4:5], v[4:5], 0, v[54:55]
	s_barrier
	global_load_dwordx4 v[46:49], v[4:5], off
	global_load_dwordx4 v[18:21], v[4:5], off offset:1024
	s_waitcnt vmcnt(4)
	v_mad_i64_i32 v[4:5], s[10:11], v3, s45, v[16:17]
	s_waitcnt vmcnt(3)
	v_mad_i64_i32 v[2:3], s[10:11], v2, s45, v[16:17]
	s_waitcnt vmcnt(2)
	v_mad_i64_i32 v[14:15], s[10:11], v14, s45, v[16:17]
	v_lshl_add_u64 v[4:5], v[4:5], 0, v[54:55]
	v_lshl_add_u64 v[22:23], v[2:3], 0, v[54:55]
	;; [unrolled: 1-line block ×3, first 2 shown]
	global_load_dwordx4 v[10:13], v[4:5], off
	global_load_dwordx4 v[6:9], v[4:5], off offset:1024
	s_nop 0
	global_load_dwordx4 v[2:5], v[22:23], off
	global_load_dwordx4 v[42:45], v[22:23], off offset:1024
	global_load_dwordx4 v[34:37], v[14:15], off
	s_nop 0
	global_load_dwordx4 v[22:25], v[14:15], off offset:1024
	v_lshlrev_b32_e32 v14, 9, v56
	ds_read_b128 v[38:41], v14
	ds_read_b128 v[30:33], v14 offset:16
	ds_read_b128 v[26:29], v14 offset:2048
	;; [unrolled: 1-line block ×3, first 2 shown]
	v_and_b32_e32 v60, 63, v0
	v_cmp_eq_u32_e32 vcc, 0, v57
	v_mov_b32_e32 v61, 0
	s_and_saveexec_b64 s[10:11], vcc
	s_cbranch_execz .LBB1264_13
; %bb.12:
	s_load_dwordx2 s[14:15], s[0:1], 0x40
	s_ashr_i32 s5, s4, 31
	s_lshl_b64 s[18:19], s[4:5], 2
	s_waitcnt lgkmcnt(0)
	s_add_u32 s14, s14, s18
	s_addc_u32 s15, s15, s19
	s_load_dword s5, s[14:15], 0x0
	s_waitcnt lgkmcnt(0)
	v_mov_b32_e32 v61, s5
.LBB1264_13:
	s_or_b64 exec, exec, s[10:11]
	s_waitcnt vmcnt(7)
	v_cvt_pk_f32_fp8_e32 v[64:65], v46
	v_cvt_pk_f32_fp8_sdwa v[66:67], v46 src0_sel:WORD_1
	s_mov_b32 s5, 0x7060302
	v_cvt_pk_f32_fp8_e32 v[68:69], v47
	v_perm_b32 v64, v65, v64, s5
	v_perm_b32 v65, v67, v66, s5
	v_cvt_pk_f32_fp8_sdwa v[46:47], v47 src0_sel:WORD_1
	v_perm_b32 v68, v69, v68, s5
	v_cvt_pk_f32_fp8_e32 v[70:71], v48
	v_cvt_pk_f32_fp8_sdwa v[72:73], v48 src0_sel:WORD_1
	v_perm_b32 v69, v47, v46, s5
	s_waitcnt lgkmcnt(3)
	v_mfma_f32_16x16x16_bf16 v[64:67], v[64:65], v[38:39], 0
	v_or_b32_e32 v54, s16, v50
	v_ashrrev_i32_e32 v50, 4, v54
	v_mov_b32_e32 v63, s17
	v_cmp_gt_i32_e32 vcc, s38, v54
	v_perm_b32 v70, v71, v70, s5
	v_perm_b32 v71, v73, v72, s5
	v_cvt_pk_f32_fp8_e32 v[72:73], v49
	v_cvt_pk_f32_fp8_sdwa v[74:75], v49 src0_sel:WORD_1
	v_cndmask_b32_e32 v50, v63, v50, vcc
	v_mfma_f32_16x16x16_bf16 v[46:49], v[68:69], v[40:41], v[64:67]
	v_ashrrev_i32_e32 v51, 31, v50
	v_lshl_add_u64 v[50:51], v[50:51], 2, s[6:7]
	s_load_dword s10, s[0:1], 0x1c
	s_load_dwordx4 s[40:43], s[0:1], 0x80
	global_load_dword v62, v[50:51], off
	v_or_b32_e32 v50, 64, v54
	v_perm_b32 v64, v73, v72, s5
	v_perm_b32 v65, v75, v74, s5
	v_ashrrev_i32_e32 v51, 4, v50
	v_cmp_gt_i32_e32 vcc, s38, v50
	s_waitcnt lgkmcnt(0)
	v_mfma_f32_16x16x16_bf16 v[46:49], v[70:71], v[30:31], v[46:49]
	s_waitcnt vmcnt(7)
	v_cvt_pk_f32_fp8_e32 v[68:69], v18
	v_cndmask_b32_e32 v50, v63, v51, vcc
	v_ashrrev_i32_e32 v51, 31, v50
	v_lshl_add_u64 v[52:53], v[50:51], 2, s[6:7]
	v_mfma_f32_16x16x16_bf16 v[46:49], v[64:65], v[32:33], v[46:49]
	global_load_dword v64, v[52:53], off
	v_or_b32_e32 v50, 0x80, v54
	v_ashrrev_i32_e32 v51, 4, v50
	v_cmp_gt_i32_e32 vcc, s38, v50
	v_or_b32_e32 v54, 0xc0, v54
	v_ashrrev_i32_e32 v66, 4, v54
	v_cndmask_b32_e32 v50, v63, v51, vcc
	v_cmp_gt_i32_e32 vcc, s38, v54
	v_ashrrev_i32_e32 v51, 31, v50
	v_lshl_add_u64 v[50:51], v[50:51], 2, s[6:7]
	v_cndmask_b32_e32 v66, v63, v66, vcc
	v_ashrrev_i32_e32 v67, 31, v66
	v_lshl_add_u64 v[66:67], v[66:67], 2, s[6:7]
	global_load_dword v66, v[66:67], off
	v_cvt_pk_f32_fp8_sdwa v[70:71], v18 src0_sel:WORD_1
	global_load_dword v65, v[50:51], off
	v_cvt_pk_f32_fp8_e32 v[52:53], v19
	v_perm_b32 v68, v69, v68, s5
	v_perm_b32 v69, v71, v70, s5
	v_cvt_pk_f32_fp8_sdwa v[18:19], v19 src0_sel:WORD_1
	v_perm_b32 v52, v53, v52, s5
	v_cvt_pk_f32_fp8_e32 v[70:71], v20
	v_cvt_pk_f32_fp8_sdwa v[72:73], v20 src0_sel:WORD_1
	v_perm_b32 v53, v19, v18, s5
	v_mfma_f32_16x16x16_bf16 v[46:49], v[68:69], v[26:27], v[46:49]
	v_perm_b32 v68, v71, v70, s5
	v_perm_b32 v69, v73, v72, s5
	v_cvt_pk_f32_fp8_e32 v[70:71], v21
	v_cvt_pk_f32_fp8_sdwa v[72:73], v21 src0_sel:WORD_1
	v_mfma_f32_16x16x16_bf16 v[18:21], v[52:53], v[28:29], v[46:49]
	s_waitcnt vmcnt(9)
	v_cvt_pk_f32_fp8_e32 v[50:51], v10
	v_cvt_pk_f32_fp8_sdwa v[52:53], v10 src0_sel:WORD_1
	s_add_u32 s6, s8, s12
	v_perm_b32 v46, v71, v70, s5
	v_perm_b32 v47, v73, v72, s5
	v_mfma_f32_16x16x16_bf16 v[18:21], v[68:69], v[14:15], v[18:21]
	v_cvt_pk_f32_fp8_sdwa v[68:69], v12 src0_sel:WORD_1
	v_cvt_pk_f32_fp8_sdwa v[70:71], v13 src0_sel:WORD_1
	v_lshl_or_b32 v63, v59, 4, v57
	v_mfma_f32_16x16x16_bf16 v[46:49], v[46:47], v[16:17], v[18:21]
	s_waitcnt vmcnt(7)
	v_cvt_pk_f32_fp8_e32 v[72:73], v5
	s_addc_u32 s7, s9, 0
	v_lshlrev_b32_e32 v54, 4, v63
	v_cvt_pk_f32_fp8_e32 v[18:19], v11
	v_perm_b32 v20, v51, v50, s5
	v_perm_b32 v21, v53, v52, s5
	v_cvt_pk_f32_fp8_sdwa v[10:11], v11 src0_sel:WORD_1
	v_perm_b32 v50, v19, v18, s5
	v_cvt_pk_f32_fp8_e32 v[52:53], v12
	v_mfma_f32_16x16x16_bf16 v[18:21], v[20:21], v[38:39], 0
	v_perm_b32 v51, v11, v10, s5
	v_perm_b32 v52, v53, v52, s5
	;; [unrolled: 1-line block ×3, first 2 shown]
	v_cvt_pk_f32_fp8_e32 v[68:69], v13
	v_mfma_f32_16x16x16_bf16 v[10:13], v[50:51], v[40:41], v[18:21]
	v_cvt_pk_f32_fp8_sdwa v[50:51], v6 src0_sel:WORD_1
	s_waitcnt vmcnt(6)
	v_cvt_pk_f32_fp8_sdwa v[78:79], v44 src0_sel:WORD_1
	v_perm_b32 v18, v69, v68, s5
	v_perm_b32 v19, v71, v70, s5
	v_mfma_f32_16x16x16_bf16 v[10:13], v[52:53], v[30:31], v[10:13]
	v_cvt_pk_f32_fp8_e32 v[20:21], v6
	v_cvt_pk_f32_fp8_sdwa v[52:53], v8 src0_sel:WORD_1
	v_lshl_add_u64 v[68:69], s[6:7], 0, v[54:55]
	v_mfma_f32_16x16x16_bf16 v[10:13], v[18:19], v[32:33], v[10:13]
	v_cvt_pk_f32_fp8_e32 v[18:19], v7
	v_perm_b32 v20, v21, v20, s5
	v_perm_b32 v21, v51, v50, s5
	v_cvt_pk_f32_fp8_sdwa v[6:7], v7 src0_sel:WORD_1
	v_perm_b32 v18, v19, v18, s5
	v_cvt_pk_f32_fp8_e32 v[50:51], v8
	v_mfma_f32_16x16x16_bf16 v[10:13], v[20:21], v[26:27], v[10:13]
	v_perm_b32 v19, v7, v6, s5
	v_perm_b32 v20, v51, v50, s5
	;; [unrolled: 1-line block ×3, first 2 shown]
	v_cvt_pk_f32_fp8_e32 v[50:51], v9
	v_cvt_pk_f32_fp8_sdwa v[52:53], v9 src0_sel:WORD_1
	v_mfma_f32_16x16x16_bf16 v[6:9], v[18:19], v[28:29], v[10:13]
	v_cvt_pk_f32_fp8_sdwa v[18:19], v2 src0_sel:WORD_1
	s_waitcnt vmcnt(2)
	v_mad_i64_i32 v[70:71], s[8:9], v64, s45, v[68:69]
	v_perm_b32 v10, v51, v50, s5
	v_perm_b32 v11, v53, v52, s5
	v_mfma_f32_16x16x16_bf16 v[6:9], v[20:21], v[14:15], v[6:9]
	v_cvt_pk_f32_fp8_e32 v[12:13], v2
	v_or_b32_e32 v54, 0x400, v54
	s_waitcnt vmcnt(1)
	v_mad_i64_i32 v[74:75], s[8:9], v66, s45, v[68:69]
	v_mfma_f32_16x16x16_bf16 v[50:53], v[10:11], v[16:17], v[6:9]
	v_mad_i64_i32 v[10:11], s[8:9], v62, s45, v[68:69]
	s_nop 1
	v_perm_b32 v6, v13, v12, s5
	v_perm_b32 v7, v19, v18, s5
	v_cvt_pk_f32_fp8_e32 v[8:9], v3
	v_cvt_pk_f32_fp8_sdwa v[2:3], v3 src0_sel:WORD_1
	v_cvt_pk_f32_fp8_sdwa v[18:19], v4 src0_sel:WORD_1
	v_perm_b32 v12, v9, v8, s5
	v_perm_b32 v13, v3, v2, s5
	v_cvt_pk_f32_fp8_e32 v[2:3], v4
	v_mfma_f32_16x16x16_bf16 v[6:9], v[6:7], v[38:39], 0
	v_cvt_pk_f32_fp8_sdwa v[4:5], v5 src0_sel:WORD_1
	v_perm_b32 v2, v3, v2, s5
	v_perm_b32 v3, v19, v18, s5
	v_mfma_f32_16x16x16_bf16 v[6:9], v[12:13], v[40:41], v[6:9]
	global_load_dwordx4 v[18:21], v[10:11], off
	s_nop 0
	global_load_dwordx4 v[10:13], v[70:71], off
	v_perm_b32 v70, v73, v72, s5
	v_perm_b32 v71, v5, v4, s5
	v_mfma_f32_16x16x16_bf16 v[2:5], v[2:3], v[30:31], v[6:9]
	s_waitcnt vmcnt(2)
	v_mad_i64_i32 v[72:73], s[8:9], v65, s45, v[68:69]
	s_nop 0
	v_cvt_pk_f32_fp8_e32 v[6:7], v42
	v_cvt_pk_f32_fp8_sdwa v[8:9], v42 src0_sel:WORD_1
	v_mfma_f32_16x16x16_bf16 v[2:5], v[70:71], v[32:33], v[2:5]
	v_perm_b32 v6, v7, v6, s5
	v_perm_b32 v7, v9, v8, s5
	v_cvt_pk_f32_fp8_e32 v[8:9], v43
	v_cvt_pk_f32_fp8_sdwa v[42:43], v43 src0_sel:WORD_1
	v_mfma_f32_16x16x16_bf16 v[68:71], v[6:7], v[26:27], v[2:5]
	v_perm_b32 v76, v9, v8, s5
	v_perm_b32 v77, v43, v42, s5
	v_cvt_pk_f32_fp8_e32 v[42:43], v44
	global_load_dwordx4 v[6:9], v[72:73], off
	global_load_dwordx4 v[2:5], v[74:75], off
	v_perm_b32 v73, v79, v78, s5
	v_cvt_pk_f32_fp8_e32 v[74:75], v45
	v_perm_b32 v72, v43, v42, s5
	v_cvt_pk_f32_fp8_sdwa v[78:79], v45 src0_sel:WORD_1
	v_mfma_f32_16x16x16_bf16 v[42:45], v[76:77], v[28:29], v[68:71]
	v_cvt_pk_f32_fp8_sdwa v[76:77], v36 src0_sel:WORD_1
	s_load_dword s8, s[40:41], 0x0
	s_mov_b32 s40, 0xff7fffff
	v_perm_b32 v68, v75, v74, s5
	v_perm_b32 v69, v79, v78, s5
	v_mfma_f32_16x16x16_bf16 v[42:45], v[72:73], v[14:15], v[42:45]
	v_cvt_pk_f32_fp8_e32 v[72:73], v34
	v_cvt_pk_f32_fp8_sdwa v[74:75], v34 src0_sel:WORD_1
	v_mfma_f32_16x16x16_bf16 v[68:71], v[68:69], v[16:17], v[42:45]
	s_nop 3
	v_cvt_pk_f32_fp8_e32 v[42:43], v35
	v_perm_b32 v44, v73, v72, s5
	v_perm_b32 v45, v75, v74, s5
	v_cvt_pk_f32_fp8_sdwa v[34:35], v35 src0_sel:WORD_1
	v_perm_b32 v72, v43, v42, s5
	v_cvt_pk_f32_fp8_e32 v[74:75], v36
	v_mfma_f32_16x16x16_bf16 v[42:45], v[44:45], v[38:39], 0
	v_perm_b32 v73, v35, v34, s5
	v_perm_b32 v38, v75, v74, s5
	v_perm_b32 v39, v77, v76, s5
	v_cvt_pk_f32_fp8_e32 v[74:75], v37
	v_cvt_pk_f32_fp8_sdwa v[76:77], v37 src0_sel:WORD_1
	v_mfma_f32_16x16x16_bf16 v[34:37], v[72:73], v[40:41], v[42:45]
	v_perm_b32 v40, v75, v74, s5
	v_perm_b32 v41, v77, v76, s5
	v_mfma_f32_16x16x16_bf16 v[34:37], v[38:39], v[30:31], v[34:37]
	v_cvt_pk_f32_fp8_sdwa v[38:39], v22 src0_sel:WORD_1
	v_mov_b32_e32 v42, s10
	s_waitcnt lgkmcnt(0)
	v_mul_f32_e32 v72, s8, v42
	v_mfma_f32_16x16x16_bf16 v[32:35], v[40:41], v[32:33], v[34:37]
	v_cvt_pk_f32_fp8_e32 v[40:41], v23
	v_cvt_pk_f32_fp8_sdwa v[42:43], v24 src0_sel:WORD_1
	v_cvt_pk_f32_fp8_sdwa v[44:45], v25 src0_sel:WORD_1
	v_cvt_pk_f32_fp8_e32 v[36:37], v22
	v_cvt_pk_f32_fp8_sdwa v[22:23], v23 src0_sel:WORD_1
	v_pk_mul_f32 v[48:49], v[72:73], v[48:49] op_sel_hi:[0,1]
	v_pk_mul_f32 v[30:31], v[72:73], v[46:47] op_sel_hi:[0,1]
	v_perm_b32 v36, v37, v36, s5
	v_perm_b32 v37, v39, v38, s5
	;; [unrolled: 1-line block ×4, first 2 shown]
	v_cvt_pk_f32_fp8_e32 v[40:41], v24
	v_mfma_f32_16x16x16_bf16 v[32:35], v[36:37], v[26:27], v[32:35]
	v_perm_b32 v37, v43, v42, s5
	v_perm_b32 v36, v41, v40, s5
	v_cvt_pk_f32_fp8_e32 v[42:43], v25
	v_mfma_f32_16x16x16_bf16 v[24:27], v[38:39], v[28:29], v[32:35]
	v_perm_b32 v29, v45, v44, s5
	v_pk_mul_f32 v[40:41], v[72:73], v[52:53] op_sel_hi:[0,1]
	v_perm_b32 v28, v43, v42, s5
	v_mfma_f32_16x16x16_bf16 v[24:27], v[36:37], v[14:15], v[24:27]
	v_pk_mul_f32 v[44:45], v[72:73], v[50:51] op_sel_hi:[0,1]
	v_pk_mul_f32 v[38:39], v[72:73], v[70:71] op_sel_hi:[0,1]
	;; [unrolled: 1-line block ×3, first 2 shown]
	v_mfma_f32_16x16x16_bf16 v[14:17], v[28:29], v[16:17], v[24:27]
	v_lshl_add_u64 v[22:23], s[6:7], 0, v[54:55]
	s_nop 5
	v_pk_mul_f32 v[36:37], v[72:73], v[14:15] op_sel_hi:[0,1]
	v_and_b32_e32 v14, 0xc0, v0
	v_add_u32_e32 v14, s16, v14
	v_lshl_or_b32 v14, v56, 2, v14
	v_or_b32_e32 v15, 1, v14
	v_pk_mul_f32 v[34:35], v[72:73], v[16:17] op_sel_hi:[0,1]
	v_subrev_u32_e32 v16, s38, v15
	v_add_u32_e32 v24, 1, v16
	v_add_u32_e32 v25, 2, v16
	v_cvt_f32_i32_e32 v17, v16
	v_cvt_f32_i32_e32 v24, v24
	;; [unrolled: 1-line block ×3, first 2 shown]
	v_add_u32_e32 v26, 3, v16
	v_fma_f32 v28, v61, v17, v30
	v_fmac_f32_e32 v31, v61, v24
	v_fma_f32 v29, v61, v25, v48
	v_add_u32_e32 v17, 16, v16
	v_add_u32_e32 v24, 17, v16
	;; [unrolled: 1-line block ×3, first 2 shown]
	v_cvt_f32_i32_e32 v26, v26
	v_cvt_f32_i32_e32 v17, v17
	;; [unrolled: 1-line block ×4, first 2 shown]
	v_fmac_f32_e32 v49, v61, v26
	v_add_u32_e32 v26, 19, v16
	v_fma_f32 v44, v61, v17, v44
	v_fmac_f32_e32 v45, v61, v24
	v_fma_f32 v40, v61, v25, v40
	v_add_u32_e32 v17, 32, v16
	v_add_u32_e32 v24, 33, v16
	;; [unrolled: 1-line block ×3, first 2 shown]
	v_cvt_f32_i32_e32 v26, v26
	v_cvt_f32_i32_e32 v17, v17
	;; [unrolled: 1-line block ×4, first 2 shown]
	v_fmac_f32_e32 v41, v61, v26
	v_add_u32_e32 v26, 35, v16
	v_fma_f32 v42, v61, v17, v42
	v_fmac_f32_e32 v43, v61, v24
	v_fma_f32 v38, v61, v25, v38
	v_add_u32_e32 v17, 48, v16
	v_add_u32_e32 v24, 49, v16
	;; [unrolled: 1-line block ×4, first 2 shown]
	v_cvt_f32_i32_e32 v16, v16
	v_cvt_f32_i32_e32 v17, v17
	v_cvt_f32_i32_e32 v24, v24
	v_cmp_gt_i32_e64 s[36:37], s38, v14
	v_fmac_f32_e32 v35, v61, v16
	v_mov_b32_e32 v16, 0xff7fffff
	v_cmp_gt_i32_e64 s[24:25], s38, v15
	v_fma_f32 v36, v61, v17, v36
	v_cndmask_b32_e64 v17, v16, v28, s[36:37]
	v_cndmask_b32_e64 v15, v16, v31, s[24:25]
	v_fmac_f32_e32 v37, v61, v24
	v_max3_f32 v15, v17, s40, v15
	v_or_b32_e32 v17, 2, v14
	v_or_b32_e32 v24, 3, v14
	v_cmp_gt_i32_e64 s[28:29], s38, v17
	v_cmp_gt_i32_e64 s[34:35], s38, v24
	v_cvt_f32_i32_e32 v26, v26
	v_cndmask_b32_e64 v17, v16, v29, s[28:29]
	v_cndmask_b32_e64 v24, v16, v49, s[34:35]
	v_max3_f32 v15, v15, v17, v24
	v_or_b32_e32 v17, 16, v14
	v_or_b32_e32 v24, 17, v14
	v_cmp_gt_i32_e64 s[18:19], s38, v17
	v_cmp_gt_i32_e64 s[22:23], s38, v24
	v_fmac_f32_e32 v39, v61, v26
	v_cndmask_b32_e64 v17, v16, v44, s[18:19]
	v_cndmask_b32_e64 v24, v16, v45, s[22:23]
	v_max3_f32 v15, v15, v17, v24
	v_or_b32_e32 v17, 18, v14
	v_or_b32_e32 v24, 19, v14
	v_cmp_gt_i32_e64 s[26:27], s38, v17
	v_cmp_gt_i32_e64 s[30:31], s38, v24
	v_cvt_f32_i32_e32 v25, v25
	v_cndmask_b32_e64 v17, v16, v40, s[26:27]
	v_cndmask_b32_e64 v24, v16, v41, s[30:31]
	v_max3_f32 v15, v15, v17, v24
	v_or_b32_e32 v17, 32, v14
	v_or_b32_e32 v24, 33, v14
	v_cmp_gt_i32_e64 s[12:13], s38, v17
	v_cmp_gt_i32_e64 s[14:15], s38, v24
	v_fma_f32 v34, v61, v25, v34
	v_cndmask_b32_e64 v17, v16, v42, s[12:13]
	v_cndmask_b32_e64 v24, v16, v43, s[14:15]
	v_max3_f32 v15, v15, v17, v24
	v_or_b32_e32 v17, 34, v14
	v_or_b32_e32 v24, 35, v14
	v_cmp_gt_i32_e64 s[16:17], s38, v17
	v_cmp_gt_i32_e64 s[20:21], s38, v24
	s_nop 0
	v_cndmask_b32_e64 v17, v16, v38, s[16:17]
	v_cndmask_b32_e64 v24, v16, v39, s[20:21]
	v_max3_f32 v15, v15, v17, v24
	v_or_b32_e32 v17, 48, v14
	v_or_b32_e32 v24, 49, v14
	v_cmp_gt_i32_e64 s[8:9], s38, v17
	v_cmp_gt_i32_e64 s[10:11], s38, v24
	s_nop 0
	v_cndmask_b32_e64 v17, v16, v36, s[8:9]
	v_cndmask_b32_e64 v24, v16, v37, s[10:11]
	v_max3_f32 v15, v15, v17, v24
	v_or_b32_e32 v17, 50, v14
	v_or_b32_e32 v14, 51, v14
	v_cmp_gt_i32_e32 vcc, s38, v17
	v_cmp_gt_i32_e64 s[6:7], s38, v14
	s_nop 0
	v_cndmask_b32_e32 v17, v16, v34, vcc
	v_cndmask_b32_e64 v14, v16, v35, s[6:7]
	v_max3_f32 v24, v15, v17, v14
	v_mbcnt_lo_u32_b32 v14, -1, 0
	v_mbcnt_hi_u32_b32 v25, -1, v14
	v_and_b32_e32 v14, 64, v25
	v_add_u32_e32 v26, 64, v14
	v_xor_b32_e32 v14, 32, v25
	v_cmp_lt_i32_e64 s[38:39], v14, v26
	s_nop 1
	v_cndmask_b32_e64 v14, v25, v14, s[38:39]
	v_lshlrev_b32_e32 v51, 2, v14
	ds_bpermute_b32 v27, v51, v24
	v_mad_i64_i32 v[14:15], s[38:39], v62, s45, v[22:23]
	v_mad_i64_i32 v[16:17], s[38:39], v64, s45, v[22:23]
	s_waitcnt lgkmcnt(0)
	v_max_f32_e32 v27, v27, v27
	v_max_f32_e32 v24, v24, v27
	v_xor_b32_e32 v27, 16, v25
	v_cmp_lt_i32_e64 s[38:39], v27, v26
	s_nop 1
	v_cndmask_b32_e64 v25, v25, v27, s[38:39]
	v_lshlrev_b32_e32 v54, 2, v25
	ds_bpermute_b32 v25, v54, v24
	v_mad_i64_i32 v[26:27], s[38:39], v65, s45, v[22:23]
	v_mad_i64_i32 v[52:53], s[38:39], v66, s45, v[22:23]
	s_waitcnt lgkmcnt(0)
	v_max_f32_e32 v22, v25, v25
	v_max_f32_e32 v50, v24, v22
	v_sub_f32_e32 v46, v31, v50
	global_load_dwordx4 v[30:33], v[14:15], off
	global_load_dwordx4 v[22:25], v[16:17], off
	v_sub_f32_e32 v14, v28, v50
	v_mul_f32_e32 v14, 0x3fb8aa3b, v14
	v_mul_f32_e32 v15, 0x3fb8aa3b, v46
	v_exp_f32_e32 v14, v14
	v_exp_f32_e32 v47, v15
	v_sub_f32_e32 v15, v29, v50
	v_mul_f32_e32 v15, 0x3fb8aa3b, v15
	v_exp_f32_e32 v48, v15
	v_sub_f32_e32 v15, v49, v50
	v_mul_f32_e32 v15, 0x3fb8aa3b, v15
	v_exp_f32_e32 v49, v15
	v_cndmask_b32_e64 v46, 0, v14, s[36:37]
	global_load_dwordx4 v[26:29], v[26:27], off
	s_nop 0
	global_load_dwordx4 v[14:17], v[52:53], off
	v_sub_f32_e32 v44, v44, v50
	v_sub_f32_e32 v40, v40, v50
	v_mul_f32_e32 v44, 0x3fb8aa3b, v44
	v_mul_f32_e32 v40, 0x3fb8aa3b, v40
	v_exp_f32_e32 v44, v44
	v_exp_f32_e32 v52, v40
	v_sub_f32_e32 v45, v45, v50
	v_sub_f32_e32 v40, v41, v50
	;; [unrolled: 1-line block ×4, first 2 shown]
	v_mul_f32_e32 v45, 0x3fb8aa3b, v45
	v_mul_f32_e32 v40, 0x3fb8aa3b, v40
	;; [unrolled: 1-line block ×4, first 2 shown]
	v_exp_f32_e32 v45, v45
	v_exp_f32_e32 v53, v40
	v_cndmask_b32_e64 v40, 0, v44, s[18:19]
	v_cndmask_b32_e64 v44, 0, v52, s[26:27]
	v_exp_f32_e32 v42, v42
	v_exp_f32_e32 v52, v38
	v_sub_f32_e32 v38, v39, v50
	v_mul_f32_e32 v38, 0x3fb8aa3b, v38
	v_cndmask_b32_e64 v47, 0, v47, s[24:25]
	v_cndmask_b32_e64 v41, 0, v45, s[22:23]
	;; [unrolled: 1-line block ×3, first 2 shown]
	v_exp_f32_e32 v53, v38
	v_cndmask_b32_e64 v38, 0, v42, s[12:13]
	v_cndmask_b32_e64 v42, 0, v52, s[16:17]
	v_add_f32_e32 v52, 0, v46
	v_cndmask_b32_e64 v48, 0, v48, s[28:29]
	v_add_f32_e32 v52, v52, v47
	v_cndmask_b32_e64 v49, 0, v49, s[34:35]
	v_sub_f32_e32 v43, v43, v50
	v_add_f32_e32 v52, v52, v48
	v_mul_f32_e32 v43, 0x3fb8aa3b, v43
	v_add_f32_e32 v52, v52, v49
	v_exp_f32_e32 v43, v43
	v_add_f32_e32 v52, v52, v40
	v_add_f32_e32 v52, v52, v41
	v_sub_f32_e32 v36, v36, v50
	v_add_f32_e32 v52, v52, v44
	v_mul_f32_e32 v36, 0x3fb8aa3b, v36
	v_sub_f32_e32 v37, v37, v50
	v_add_f32_e32 v52, v52, v45
	v_exp_f32_e32 v36, v36
	v_mul_f32_e32 v37, 0x3fb8aa3b, v37
	v_sub_f32_e32 v34, v34, v50
	v_cndmask_b32_e64 v39, 0, v43, s[14:15]
	v_add_f32_e32 v52, v52, v38
	v_exp_f32_e32 v37, v37
	v_mul_f32_e32 v34, 0x3fb8aa3b, v34
	v_sub_f32_e32 v35, v35, v50
	v_add_f32_e32 v52, v52, v39
	v_exp_f32_e32 v34, v34
	v_mul_f32_e32 v35, 0x3fb8aa3b, v35
	v_cndmask_b32_e64 v43, 0, v53, s[20:21]
	v_add_f32_e32 v52, v52, v42
	v_exp_f32_e32 v35, v35
	v_add_f32_e32 v52, v52, v43
	v_cndmask_b32_e64 v36, 0, v36, s[8:9]
	v_add_f32_e32 v52, v52, v36
	v_cndmask_b32_e64 v37, 0, v37, s[10:11]
	v_add_f32_e32 v52, v52, v37
	v_cndmask_b32_e32 v34, 0, v34, vcc
	v_add_f32_e32 v52, v52, v34
	v_cndmask_b32_e64 v35, 0, v35, s[6:7]
	v_add_f32_e32 v52, v52, v35
	ds_bpermute_b32 v51, v51, v52
	v_cmp_lt_u32_e64 s[6:7], 15, v60
	v_cmp_gt_u32_e32 vcc, 16, v60
	s_waitcnt lgkmcnt(0)
	s_barrier
	v_add_f32_e32 v51, v52, v51
	ds_bpermute_b32 v52, v54, v51
	s_waitcnt lgkmcnt(0)
	s_and_saveexec_b64 s[8:9], vcc
	s_cbranch_execz .LBB1264_15
; %bb.14:
	v_add_f32_e32 v51, v51, v52
	v_lshlrev_b32_e32 v52, 2, v63
	ds_write2st64_b32 v52, v50, v51 offset1:1
.LBB1264_15:
	s_or_b64 exec, exec, s[8:9]
	v_lshlrev_b32_e32 v51, 2, v57
	s_load_dwordx2 s[8:9], s[0:1], 0x94
	s_waitcnt lgkmcnt(0)
	s_barrier
	ds_read2_b32 v[52:53], v51 offset1:16
	ds_read2_b32 v[54:55], v51 offset0:32 offset1:48
	ds_read2_b32 v[60:61], v51 offset0:64 offset1:80
	s_movk_i32 s12, 0x7fff
	s_waitcnt lgkmcnt(2)
	v_max3_f32 v50, v52, s40, v53
	s_waitcnt lgkmcnt(1)
	v_max3_f32 v50, v50, v54, v55
	v_sub_f32_e32 v52, v52, v50
	v_mul_f32_e32 v52, 0x3fb8aa3b, v52
	v_exp_f32_e32 v62, v52
	v_sub_f32_e32 v52, v53, v50
	v_mul_f32_e32 v52, 0x3fb8aa3b, v52
	v_exp_f32_e32 v63, v52
	;; [unrolled: 3-line block ×3, first 2 shown]
	ds_read2_b32 v[52:53], v51 offset0:96 offset1:112
	v_sub_f32_e32 v51, v55, v50
	v_mul_f32_e32 v51, 0x3fb8aa3b, v51
	v_exp_f32_e32 v55, v51
	s_waitcnt lgkmcnt(1)
	v_fma_f32 v51, v62, v60, 0
	v_fmac_f32_e32 v51, v63, v61
	s_waitcnt lgkmcnt(0)
	v_fmac_f32_e32 v51, v54, v52
	v_fmac_f32_e32 v51, v55, v53
	v_add_f32_e32 v53, 0x358637bd, v51
	v_div_scale_f32 v60, s[10:11], v53, v53, 1.0
	v_rcp_f32_e32 v61, v60
	s_barrier
	v_fma_f32 v64, -v60, v61, 1.0
	v_fmac_f32_e32 v61, v64, v61
	v_div_scale_f32 v64, vcc, 1.0, v53, 1.0
	v_mul_f32_e32 v65, v64, v61
	v_fma_f32 v66, -v60, v65, v64
	v_fmac_f32_e32 v65, v66, v61
	v_fma_f32 v60, -v60, v65, v64
	v_div_fmas_f32 v60, v60, v61, v65
	v_cmp_eq_u32_e32 vcc, 1, v59
	v_div_fixup_f32 v53, v60, v53, 1.0
	v_mov_b32_e32 v52, 0
	v_cndmask_b32_e32 v60, v62, v63, vcc
	v_cmp_eq_u32_e32 vcc, 2, v59
	s_nop 1
	v_cndmask_b32_e32 v54, v60, v54, vcc
	v_cmp_eq_u32_e32 vcc, 3, v59
	s_nop 1
	v_cndmask_b32_e32 v54, v54, v55, vcc
	v_mul_f32_e32 v60, v54, v53
	v_pk_mul_f32 v[46:47], v[60:61], v[46:47] op_sel_hi:[0,1]
	v_bfe_u32 v53, v47, 16, 1
	v_bfe_u32 v54, v46, 16, 1
	v_pk_mul_f32 v[48:49], v[60:61], v[48:49] op_sel_hi:[0,1]
	v_add3_u32 v46, v46, v54, s12
	v_add3_u32 v47, v47, v53, s12
	v_perm_b32 v62, v47, v46, s5
	v_bfe_u32 v46, v49, 16, 1
	v_bfe_u32 v47, v48, 16, 1
	v_add3_u32 v47, v48, v47, s12
	v_add3_u32 v46, v49, v46, s12
	v_perm_b32 v63, v46, v47, s5
	v_lshlrev_b32_e32 v47, 3, v56
	v_lshlrev_b32_e32 v46, 5, v57
	;; [unrolled: 1-line block ×3, first 2 shown]
	v_pk_mul_f32 v[40:41], v[60:61], v[40:41] op_sel_hi:[0,1]
	v_or3_b32 v54, v48, v46, v47
	v_bfe_u32 v47, v41, 16, 1
	v_bfe_u32 v48, v40, 16, 1
	v_pk_mul_f32 v[44:45], v[60:61], v[44:45] op_sel_hi:[0,1]
	v_add3_u32 v40, v40, v48, s12
	v_add3_u32 v41, v41, v47, s12
	v_perm_b32 v40, v41, v40, s5
	v_bfe_u32 v41, v45, 16, 1
	v_bfe_u32 v47, v44, 16, 1
	v_add3_u32 v44, v44, v47, s12
	v_add3_u32 v41, v45, v41, s12
	v_perm_b32 v41, v41, v44, s5
	v_pk_mul_f32 v[38:39], v[60:61], v[38:39] op_sel_hi:[0,1]
	ds_write2st64_b64 v54, v[62:63], v[40:41] offset1:1
	v_pk_mul_f32 v[40:41], v[60:61], v[42:43] op_sel_hi:[0,1]
	v_bfe_u32 v42, v39, 16, 1
	v_bfe_u32 v43, v38, 16, 1
	v_add3_u32 v38, v38, v43, s12
	v_add3_u32 v39, v39, v42, s12
	v_perm_b32 v38, v39, v38, s5
	v_bfe_u32 v39, v41, 16, 1
	v_bfe_u32 v42, v40, 16, 1
	v_add3_u32 v40, v40, v42, s12
	v_add3_u32 v39, v41, v39, s12
	v_pk_mul_f32 v[36:37], v[60:61], v[36:37] op_sel_hi:[0,1]
	v_perm_b32 v39, v39, v40, s5
	v_bfe_u32 v40, v37, 16, 1
	v_bfe_u32 v41, v36, 16, 1
	v_pk_mul_f32 v[34:35], v[60:61], v[34:35] op_sel_hi:[0,1]
	v_add3_u32 v36, v36, v41, s12
	v_add3_u32 v37, v37, v40, s12
	v_perm_b32 v36, v37, v36, s5
	v_bfe_u32 v37, v35, 16, 1
	v_bfe_u32 v40, v34, 16, 1
	v_add3_u32 v34, v34, v40, s12
	v_add3_u32 v35, v35, v37, s12
	v_perm_b32 v37, v35, v34, s5
	v_cmp_eq_u32_e32 vcc, 0, v0
	ds_write2st64_b64 v54, v[38:39], v[36:37] offset0:2 offset1:3
	s_and_saveexec_b64 s[10:11], vcc
	s_cbranch_execz .LBB1264_17
; %bb.16:
	s_mul_i32 s3, s3, s9
	s_mul_hi_u32 s5, s2, s9
	s_add_i32 s5, s5, s3
	s_mul_i32 s3, s2, s9
	s_add_u32 s3, s3, s4
	s_addc_u32 s5, s5, 0
	s_load_dwordx4 s[16:19], s[0:1], 0x58
	s_mul_i32 s5, s5, s8
	s_mul_hi_u32 s13, s3, s8
	s_add_i32 s13, s13, s5
	s_mul_i32 s3, s3, s8
	s_add_u32 s14, s3, s33
	s_addc_u32 s15, s13, 0
	s_lshl_b64 s[14:15], s[14:15], 2
	s_waitcnt lgkmcnt(0)
	s_add_u32 s18, s18, s14
	s_addc_u32 s19, s19, s15
	s_add_u32 s14, s16, s14
	s_addc_u32 s15, s17, s15
	global_store_dword v52, v50, s[18:19]
	global_store_dword v52, v51, s[14:15]
.LBB1264_17:
	s_or_b64 exec, exec, s[10:11]
	s_waitcnt vmcnt(7)
	v_cvt_pk_f32_fp8_e32 v[34:35], v18
	v_cvt_pk_f32_fp8_sdwa v[36:37], v18 src0_sel:WORD_1
	v_lshl_or_b32 v50, v56, 9, v46
	s_mov_b32 s5, 0x7060302
	s_waitcnt lgkmcnt(0)
	s_barrier
	v_cvt_pk_f32_fp8_e32 v[38:39], v19
	v_perm_b32 v18, v35, v34, s5
	v_cvt_pk_f32_fp8_sdwa v[40:41], v19 src0_sel:WORD_1
	v_perm_b32 v19, v37, v36, s5
	ds_read_b128 v[34:37], v50
	v_perm_b32 v46, v39, v38, s5
	v_perm_b32 v47, v41, v40, s5
	ds_read_b128 v[38:41], v50 offset:16
	v_cvt_pk_f32_fp8_e32 v[48:49], v20
	v_cvt_pk_f32_fp8_sdwa v[52:53], v20 src0_sel:WORD_1
	s_waitcnt lgkmcnt(1)
	v_mfma_f32_16x16x16_bf16 v[42:45], v[18:19], v[34:35], 0
	s_waitcnt vmcnt(6)
	v_cvt_pk_f32_fp8_e32 v[60:61], v12
	v_perm_b32 v18, v49, v48, s5
	v_perm_b32 v19, v53, v52, s5
	v_cvt_pk_f32_fp8_e32 v[48:49], v21
	v_mfma_f32_16x16x16_bf16 v[42:45], v[46:47], v[36:37], v[42:45]
	v_cvt_pk_f32_fp8_sdwa v[46:47], v21 src0_sel:WORD_1
	v_cvt_pk_f32_fp8_sdwa v[62:63], v12 src0_sel:WORD_1
	v_perm_b32 v48, v49, v48, s5
	s_waitcnt lgkmcnt(0)
	v_mfma_f32_16x16x16_bf16 v[18:21], v[18:19], v[38:39], v[42:45]
	v_perm_b32 v49, v47, v46, s5
	s_waitcnt vmcnt(5)
	v_cvt_pk_f32_fp8_e32 v[64:65], v8
	v_cvt_pk_f32_fp8_sdwa v[66:67], v8 src0_sel:WORD_1
	v_cvt_pk_f32_fp8_e32 v[42:43], v10
	v_mfma_f32_16x16x16_bf16 v[46:49], v[48:49], v[40:41], v[18:21]
	s_waitcnt vmcnt(4)
	v_cvt_pk_f32_fp8_sdwa v[68:69], v4 src0_sel:WORD_1
	s_load_dword s10, s[42:43], 0x0
	v_cvt_pk_f32_fp8_sdwa v[18:19], v10 src0_sel:WORD_1
	v_cvt_pk_f32_fp8_e32 v[20:21], v11
	v_perm_b32 v10, v43, v42, s5
	v_cvt_pk_f32_fp8_sdwa v[42:43], v11 src0_sel:WORD_1
	v_perm_b32 v11, v19, v18, s5
	v_perm_b32 v52, v21, v20, s5
	ds_read_b128 v[18:21], v50 offset:2048
	v_perm_b32 v53, v43, v42, s5
	ds_read_b128 v[42:45], v50 offset:2064
	s_waitcnt lgkmcnt(0)
	v_mfma_f32_16x16x16_bf16 v[46:49], v[10:11], v[18:19], v[46:49]
	v_perm_b32 v10, v61, v60, s5
	v_perm_b32 v11, v63, v62, s5
	v_cvt_pk_f32_fp8_e32 v[60:61], v13
	v_mfma_f32_16x16x16_bf16 v[46:49], v[52:53], v[20:21], v[46:49]
	v_cvt_pk_f32_fp8_sdwa v[52:53], v13 src0_sel:WORD_1
	s_waitcnt vmcnt(3)
	v_cvt_pk_f32_fp8_sdwa v[70:71], v32 src0_sel:WORD_1
	v_perm_b32 v60, v61, v60, s5
	v_mfma_f32_16x16x16_bf16 v[10:13], v[10:11], v[42:43], v[46:49]
	v_perm_b32 v61, v53, v52, s5
	v_cmp_gt_u32_e32 vcc, 64, v0
	s_xor_b64 s[6:7], s[6:7], -1
	v_cvt_pk_f32_fp8_e32 v[46:47], v6
	v_mfma_f32_16x16x16_bf16 v[60:63], v[60:61], v[44:45], v[10:13]
	s_mov_b32 s3, 0
	s_and_b64 s[6:7], vcc, s[6:7]
	s_nop 0
	v_cvt_pk_f32_fp8_sdwa v[10:11], v6 src0_sel:WORD_1
	v_cvt_pk_f32_fp8_e32 v[12:13], v7
	v_perm_b32 v6, v47, v46, s5
	v_cvt_pk_f32_fp8_sdwa v[46:47], v7 src0_sel:WORD_1
	v_perm_b32 v7, v11, v10, s5
	v_perm_b32 v52, v13, v12, s5
	ds_read_b128 v[10:13], v50 offset:4096
	v_perm_b32 v53, v47, v46, s5
	ds_read_b128 v[46:49], v50 offset:4112
	s_waitcnt lgkmcnt(1)
	v_mfma_f32_16x16x16_bf16 v[60:63], v[6:7], v[10:11], v[60:63]
	v_perm_b32 v6, v65, v64, s5
	v_perm_b32 v7, v67, v66, s5
	v_cvt_pk_f32_fp8_e32 v[64:65], v9
	v_mfma_f32_16x16x16_bf16 v[60:63], v[52:53], v[12:13], v[60:63]
	v_cvt_pk_f32_fp8_sdwa v[52:53], v9 src0_sel:WORD_1
	v_cvt_pk_f32_fp8_e32 v[66:67], v4
	v_perm_b32 v64, v65, v64, s5
	s_waitcnt lgkmcnt(0)
	v_mfma_f32_16x16x16_bf16 v[6:9], v[6:7], v[46:47], v[60:63]
	v_perm_b32 v65, v53, v52, s5
	v_cvt_pk_f32_fp8_e32 v[52:53], v2
	s_nop 0
	v_mfma_f32_16x16x16_bf16 v[60:63], v[64:65], v[48:49], v[6:9]
	s_nop 2
	v_cvt_pk_f32_fp8_sdwa v[6:7], v2 src0_sel:WORD_1
	v_cvt_pk_f32_fp8_e32 v[8:9], v3
	v_perm_b32 v2, v53, v52, s5
	v_cvt_pk_f32_fp8_sdwa v[52:53], v3 src0_sel:WORD_1
	v_perm_b32 v3, v7, v6, s5
	v_perm_b32 v64, v9, v8, s5
	ds_read_b128 v[6:9], v50 offset:6144
	v_perm_b32 v65, v53, v52, s5
	s_waitcnt lgkmcnt(0)
	v_mfma_f32_16x16x16_bf16 v[60:63], v[2:3], v[6:7], v[60:63]
	ds_read_b128 v[50:53], v50 offset:6160
	v_perm_b32 v2, v67, v66, s5
	v_perm_b32 v3, v69, v68, s5
	v_cvt_pk_f32_fp8_e32 v[66:67], v5
	v_mfma_f32_16x16x16_bf16 v[60:63], v[64:65], v[8:9], v[60:63]
	v_cvt_pk_f32_fp8_sdwa v[64:65], v5 src0_sel:WORD_1
	v_cvt_pk_f32_fp8_e32 v[68:69], v32
	v_perm_b32 v66, v67, v66, s5
	s_waitcnt lgkmcnt(0)
	v_mfma_f32_16x16x16_bf16 v[2:5], v[2:3], v[50:51], v[60:63]
	v_perm_b32 v67, v65, v64, s5
	s_barrier
	s_nop 0
	v_mfma_f32_16x16x16_bf16 v[60:63], v[66:67], v[52:53], v[2:5]
	s_nop 2
	v_cvt_pk_f32_fp8_e32 v[4:5], v30
	v_perm_b32 v4, v5, v4, s5
	s_nop 1
	v_pk_mul_f32 v[2:3], v[62:63], s[10:11] op_sel_hi:[1,0]
	v_cvt_pk_f32_fp8_sdwa v[62:63], v30 src0_sel:WORD_1
	v_pk_mul_f32 v[64:65], v[60:61], s[10:11] op_sel_hi:[1,0]
	v_cvt_pk_f32_fp8_e32 v[60:61], v31
	v_cvt_pk_f32_fp8_sdwa v[30:31], v31 src0_sel:WORD_1
	v_perm_b32 v5, v63, v62, s5
	v_bfe_u32 v55, v65, 16, 1
	v_perm_b32 v66, v61, v60, s5
	v_perm_b32 v67, v31, v30, s5
	v_mfma_f32_16x16x16_bf16 v[60:63], v[4:5], v[34:35], 0
	v_perm_b32 v4, v69, v68, s5
	v_perm_b32 v5, v71, v70, s5
	v_cvt_pk_f32_fp8_e32 v[34:35], v33
	v_cvt_pk_f32_fp8_sdwa v[68:69], v33 src0_sel:WORD_1
	v_mfma_f32_16x16x16_bf16 v[30:33], v[66:67], v[36:37], v[60:63]
	s_waitcnt vmcnt(2)
	v_cvt_pk_f32_fp8_sdwa v[36:37], v22 src0_sel:WORD_1
	v_perm_b32 v34, v35, v34, s5
	v_perm_b32 v35, v69, v68, s5
	v_mfma_f32_16x16x16_bf16 v[30:33], v[4:5], v[38:39], v[30:33]
	v_cvt_pk_f32_fp8_e32 v[4:5], v22
	v_cvt_pk_f32_fp8_sdwa v[38:39], v24 src0_sel:WORD_1
	v_bfe_u32 v59, v64, 16, 1
	v_mfma_f32_16x16x16_bf16 v[30:33], v[34:35], v[40:41], v[30:33]
	v_cvt_pk_f32_fp8_e32 v[34:35], v23
	v_perm_b32 v4, v5, v4, s5
	v_perm_b32 v5, v37, v36, s5
	v_cvt_pk_f32_fp8_sdwa v[22:23], v23 src0_sel:WORD_1
	v_perm_b32 v34, v35, v34, s5
	v_cvt_pk_f32_fp8_e32 v[36:37], v24
	v_mfma_f32_16x16x16_bf16 v[30:33], v[4:5], v[18:19], v[30:33]
	v_perm_b32 v35, v23, v22, s5
	v_perm_b32 v4, v37, v36, s5
	;; [unrolled: 1-line block ×3, first 2 shown]
	v_cvt_pk_f32_fp8_e32 v[22:23], v25
	v_cvt_pk_f32_fp8_sdwa v[24:25], v25 src0_sel:WORD_1
	v_mfma_f32_16x16x16_bf16 v[18:21], v[34:35], v[20:21], v[30:33]
	v_perm_b32 v22, v23, v22, s5
	v_perm_b32 v23, v25, v24, s5
	v_mfma_f32_16x16x16_bf16 v[18:21], v[4:5], v[42:43], v[18:21]
	s_waitcnt vmcnt(1)
	v_cvt_pk_f32_fp8_e32 v[4:5], v26
	v_cvt_pk_f32_fp8_sdwa v[24:25], v26 src0_sel:WORD_1
	v_cvt_pk_f32_fp8_sdwa v[30:31], v28 src0_sel:WORD_1
	v_mfma_f32_16x16x16_bf16 v[18:21], v[22:23], v[44:45], v[18:21]
	v_cvt_pk_f32_fp8_e32 v[22:23], v27
	v_perm_b32 v4, v5, v4, s5
	v_perm_b32 v5, v25, v24, s5
	v_cvt_pk_f32_fp8_sdwa v[24:25], v27 src0_sel:WORD_1
	v_perm_b32 v22, v23, v22, s5
	v_cvt_pk_f32_fp8_e32 v[26:27], v28
	v_mfma_f32_16x16x16_bf16 v[18:21], v[4:5], v[10:11], v[18:21]
	v_perm_b32 v23, v25, v24, s5
	v_perm_b32 v4, v27, v26, s5
	;; [unrolled: 1-line block ×3, first 2 shown]
	v_cvt_pk_f32_fp8_e32 v[24:25], v29
	v_cvt_pk_f32_fp8_sdwa v[26:27], v29 src0_sel:WORD_1
	v_mfma_f32_16x16x16_bf16 v[10:13], v[22:23], v[12:13], v[18:21]
	s_waitcnt vmcnt(0)
	v_cvt_pk_f32_fp8_sdwa v[22:23], v14 src0_sel:WORD_1
	v_add3_u32 v32, v64, v59, s12
	v_add3_u32 v33, v65, v55, s12
	v_perm_b32 v20, v25, v24, s5
	v_perm_b32 v21, v27, v26, s5
	v_mfma_f32_16x16x16_bf16 v[10:13], v[4:5], v[46:47], v[10:13]
	v_cvt_pk_f32_fp8_e32 v[4:5], v14
	v_cvt_pk_f32_fp8_sdwa v[24:25], v16 src0_sel:WORD_1
	v_bfe_u32 v19, v3, 16, 1
	v_mfma_f32_16x16x16_bf16 v[10:13], v[20:21], v[48:49], v[10:13]
	v_cvt_pk_f32_fp8_e32 v[20:21], v15
	v_perm_b32 v4, v5, v4, s5
	v_perm_b32 v5, v23, v22, s5
	v_cvt_pk_f32_fp8_sdwa v[14:15], v15 src0_sel:WORD_1
	v_perm_b32 v20, v21, v20, s5
	v_cvt_pk_f32_fp8_e32 v[22:23], v16
	v_mfma_f32_16x16x16_bf16 v[4:7], v[4:5], v[6:7], v[10:13]
	v_perm_b32 v21, v15, v14, s5
	v_cvt_pk_f32_fp8_sdwa v[14:15], v17 src0_sel:WORD_1
	s_nop 0
	v_perm_b32 v10, v23, v22, s5
	v_perm_b32 v11, v25, v24, s5
	v_cvt_pk_f32_fp8_e32 v[12:13], v17
	v_mfma_f32_16x16x16_bf16 v[4:7], v[20:21], v[8:9], v[4:7]
	v_perm_b32 v9, v15, v14, s5
	v_bfe_u32 v16, v2, 16, 1
	v_perm_b32 v8, v13, v12, s5
	v_mfma_f32_16x16x16_bf16 v[4:7], v[10:11], v[50:51], v[4:7]
	v_add3_u32 v2, v2, v16, s12
	v_add3_u32 v3, v3, v19, s12
	v_perm_b32 v19, v3, v2, s5
	v_mfma_f32_16x16x16_bf16 v[2:5], v[8:9], v[52:53], v[4:7]
	v_perm_b32 v18, v33, v32, s5
	s_nop 5
	v_pk_mul_f32 v[2:3], v[2:3], s[10:11] op_sel_hi:[1,0]
	v_pk_mul_f32 v[4:5], v[4:5], s[10:11] op_sel_hi:[1,0]
	v_bfe_u32 v6, v3, 16, 1
	v_bfe_u32 v7, v2, 16, 1
	v_add3_u32 v2, v2, v7, s12
	v_add3_u32 v3, v3, v6, s12
	v_perm_b32 v2, v3, v2, s5
	v_bfe_u32 v3, v5, 16, 1
	v_bfe_u32 v6, v4, 16, 1
	v_add3_u32 v4, v4, v6, s12
	v_add3_u32 v3, v5, v3, s12
	v_perm_b32 v3, v3, v4, s5
	ds_write2st64_b64 v54, v[18:19], v[2:3] offset1:1
	s_waitcnt lgkmcnt(0)
	s_barrier
	s_and_saveexec_b64 s[10:11], s[6:7]
	s_cbranch_execz .LBB1264_19
; %bb.18:
	s_load_dwordx2 s[0:1], s[0:1], 0x68
	s_mul_i32 s2, s9, s2
	s_lshl_b32 s5, s8, 7
	s_mul_hi_u32 s7, s2, s5
	s_mul_i32 s6, s2, s5
	v_lshlrev_b32_e32 v4, 6, v57
	s_lshl_b64 s[6:7], s[6:7], 1
	v_lshl_or_b32 v0, v0, 10, v4
	s_waitcnt lgkmcnt(0)
	s_add_u32 s6, s0, s6
	v_lshlrev_b32_e32 v2, 5, v56
	v_and_b32_e32 v3, 16, v58
	v_and_b32_e32 v0, 0x1a00, v0
	s_addc_u32 s7, s1, s7
	s_lshl_b32 s2, s33, 7
	v_or3_b32 v0, v0, v2, v3
	s_lshl_b64 s[0:1], s[2:3], 1
	ds_read_b128 v[2:5], v0
	s_add_u32 s2, s6, s0
	s_addc_u32 s3, s7, s1
	s_mul_hi_u32 s1, s5, s4
	s_mul_i32 s0, s5, s4
	s_lshl_b64 s[0:1], s[0:1], 1
	s_add_u32 s0, s2, s0
	s_addc_u32 s1, s3, s1
	s_waitcnt lgkmcnt(0)
	global_store_dwordx4 v1, v[2:5], s[0:1]
.LBB1264_19:
	s_endpgm
	.section	.rodata,"a",@progbits
	.p2align	6, 0x0
	.amdhsa_kernel _Z39paged_attention_ll4mi_QKV_mfma16_kernelI14__hip_bfloat16hLN4vllm18Fp8KVCacheDataTypeE1EhLi16ELi128ELi256ELb1ELi1EEvPKT_PKT0_S8_ifPKiSA_SA_iPKfiiiPfSD_PS3_PT2_iSC_SC_
		.amdhsa_group_segment_fixed_size 8192
		.amdhsa_private_segment_fixed_size 0
		.amdhsa_kernarg_size 400
		.amdhsa_user_sgpr_count 2
		.amdhsa_user_sgpr_dispatch_ptr 0
		.amdhsa_user_sgpr_queue_ptr 0
		.amdhsa_user_sgpr_kernarg_segment_ptr 1
		.amdhsa_user_sgpr_dispatch_id 0
		.amdhsa_user_sgpr_kernarg_preload_length 0
		.amdhsa_user_sgpr_kernarg_preload_offset 0
		.amdhsa_user_sgpr_private_segment_size 0
		.amdhsa_uses_dynamic_stack 0
		.amdhsa_enable_private_segment 0
		.amdhsa_system_sgpr_workgroup_id_x 1
		.amdhsa_system_sgpr_workgroup_id_y 1
		.amdhsa_system_sgpr_workgroup_id_z 1
		.amdhsa_system_sgpr_workgroup_info 0
		.amdhsa_system_vgpr_workitem_id 0
		.amdhsa_next_free_vgpr 80
		.amdhsa_next_free_sgpr 48
		.amdhsa_accum_offset 80
		.amdhsa_reserve_vcc 1
		.amdhsa_float_round_mode_32 0
		.amdhsa_float_round_mode_16_64 0
		.amdhsa_float_denorm_mode_32 3
		.amdhsa_float_denorm_mode_16_64 3
		.amdhsa_dx10_clamp 1
		.amdhsa_ieee_mode 1
		.amdhsa_fp16_overflow 0
		.amdhsa_tg_split 0
		.amdhsa_exception_fp_ieee_invalid_op 0
		.amdhsa_exception_fp_denorm_src 0
		.amdhsa_exception_fp_ieee_div_zero 0
		.amdhsa_exception_fp_ieee_overflow 0
		.amdhsa_exception_fp_ieee_underflow 0
		.amdhsa_exception_fp_ieee_inexact 0
		.amdhsa_exception_int_div_zero 0
	.end_amdhsa_kernel
	.section	.text._Z39paged_attention_ll4mi_QKV_mfma16_kernelI14__hip_bfloat16hLN4vllm18Fp8KVCacheDataTypeE1EhLi16ELi128ELi256ELb1ELi1EEvPKT_PKT0_S8_ifPKiSA_SA_iPKfiiiPfSD_PS3_PT2_iSC_SC_,"axG",@progbits,_Z39paged_attention_ll4mi_QKV_mfma16_kernelI14__hip_bfloat16hLN4vllm18Fp8KVCacheDataTypeE1EhLi16ELi128ELi256ELb1ELi1EEvPKT_PKT0_S8_ifPKiSA_SA_iPKfiiiPfSD_PS3_PT2_iSC_SC_,comdat
.Lfunc_end1264:
	.size	_Z39paged_attention_ll4mi_QKV_mfma16_kernelI14__hip_bfloat16hLN4vllm18Fp8KVCacheDataTypeE1EhLi16ELi128ELi256ELb1ELi1EEvPKT_PKT0_S8_ifPKiSA_SA_iPKfiiiPfSD_PS3_PT2_iSC_SC_, .Lfunc_end1264-_Z39paged_attention_ll4mi_QKV_mfma16_kernelI14__hip_bfloat16hLN4vllm18Fp8KVCacheDataTypeE1EhLi16ELi128ELi256ELb1ELi1EEvPKT_PKT0_S8_ifPKiSA_SA_iPKfiiiPfSD_PS3_PT2_iSC_SC_
                                        ; -- End function
	.section	.AMDGPU.csdata,"",@progbits
; Kernel info:
; codeLenInByte = 6444
; NumSgprs: 54
; NumVgprs: 80
; NumAgprs: 0
; TotalNumVgprs: 80
; ScratchSize: 0
; MemoryBound: 0
; FloatMode: 240
; IeeeMode: 1
; LDSByteSize: 8192 bytes/workgroup (compile time only)
; SGPRBlocks: 6
; VGPRBlocks: 9
; NumSGPRsForWavesPerEU: 54
; NumVGPRsForWavesPerEU: 80
; AccumOffset: 80
; Occupancy: 6
; WaveLimiterHint : 1
; COMPUTE_PGM_RSRC2:SCRATCH_EN: 0
; COMPUTE_PGM_RSRC2:USER_SGPR: 2
; COMPUTE_PGM_RSRC2:TRAP_HANDLER: 0
; COMPUTE_PGM_RSRC2:TGID_X_EN: 1
; COMPUTE_PGM_RSRC2:TGID_Y_EN: 1
; COMPUTE_PGM_RSRC2:TGID_Z_EN: 1
; COMPUTE_PGM_RSRC2:TIDIG_COMP_CNT: 0
; COMPUTE_PGM_RSRC3_GFX90A:ACCUM_OFFSET: 19
; COMPUTE_PGM_RSRC3_GFX90A:TG_SPLIT: 0
	.section	.text._Z39paged_attention_ll4mi_QKV_mfma16_kernelI14__hip_bfloat16hLN4vllm18Fp8KVCacheDataTypeE1EhLi16ELi128ELi256ELb1ELi2EEvPKT_PKT0_S8_ifPKiSA_SA_iPKfiiiPfSD_PS3_PT2_iSC_SC_,"axG",@progbits,_Z39paged_attention_ll4mi_QKV_mfma16_kernelI14__hip_bfloat16hLN4vllm18Fp8KVCacheDataTypeE1EhLi16ELi128ELi256ELb1ELi2EEvPKT_PKT0_S8_ifPKiSA_SA_iPKfiiiPfSD_PS3_PT2_iSC_SC_,comdat
	.protected	_Z39paged_attention_ll4mi_QKV_mfma16_kernelI14__hip_bfloat16hLN4vllm18Fp8KVCacheDataTypeE1EhLi16ELi128ELi256ELb1ELi2EEvPKT_PKT0_S8_ifPKiSA_SA_iPKfiiiPfSD_PS3_PT2_iSC_SC_ ; -- Begin function _Z39paged_attention_ll4mi_QKV_mfma16_kernelI14__hip_bfloat16hLN4vllm18Fp8KVCacheDataTypeE1EhLi16ELi128ELi256ELb1ELi2EEvPKT_PKT0_S8_ifPKiSA_SA_iPKfiiiPfSD_PS3_PT2_iSC_SC_
	.globl	_Z39paged_attention_ll4mi_QKV_mfma16_kernelI14__hip_bfloat16hLN4vllm18Fp8KVCacheDataTypeE1EhLi16ELi128ELi256ELb1ELi2EEvPKT_PKT0_S8_ifPKiSA_SA_iPKfiiiPfSD_PS3_PT2_iSC_SC_
	.p2align	8
	.type	_Z39paged_attention_ll4mi_QKV_mfma16_kernelI14__hip_bfloat16hLN4vllm18Fp8KVCacheDataTypeE1EhLi16ELi128ELi256ELb1ELi2EEvPKT_PKT0_S8_ifPKiSA_SA_iPKfiiiPfSD_PS3_PT2_iSC_SC_,@function
_Z39paged_attention_ll4mi_QKV_mfma16_kernelI14__hip_bfloat16hLN4vllm18Fp8KVCacheDataTypeE1EhLi16ELi128ELi256ELb1ELi2EEvPKT_PKT0_S8_ifPKiSA_SA_iPKfiiiPfSD_PS3_PT2_iSC_SC_: ; @_Z39paged_attention_ll4mi_QKV_mfma16_kernelI14__hip_bfloat16hLN4vllm18Fp8KVCacheDataTypeE1EhLi16ELi128ELi256ELb1ELi2EEvPKT_PKT0_S8_ifPKiSA_SA_iPKfiiiPfSD_PS3_PT2_iSC_SC_
; %bb.0:
	s_load_dwordx2 s[8:9], s[0:1], 0x30
	s_mov_b32 s10, s3
	s_mov_b64 s[6:7], 0
	s_waitcnt lgkmcnt(0)
	s_cmp_lg_u64 s[8:9], 0
	s_cselect_b64 s[12:13], -1, 0
	s_and_b64 vcc, exec, s[12:13]
	s_cbranch_vccz .LBB1265_7
; %bb.1:
	s_add_i32 s14, s2, 1
	s_mov_b32 s15, 0
	s_lshl_b64 s[16:17], s[14:15], 2
	s_add_u32 s16, s8, s16
	s_mov_b32 s3, s15
	s_addc_u32 s17, s9, s17
	s_lshl_b64 s[14:15], s[2:3], 2
	s_add_u32 s14, s8, s14
	s_addc_u32 s15, s9, s15
	s_load_dword s5, s[16:17], 0x0
	s_load_dword s11, s[14:15], 0x0
	s_waitcnt lgkmcnt(0)
	s_sub_i32 s5, s5, s11
	s_cmp_eq_u32 s5, 1
	s_cselect_b64 s[14:15], -1, 0
	s_andn2_b64 vcc, exec, s[6:7]
	s_cbranch_vccnz .LBB1265_3
.LBB1265_2:
	s_mov_b32 s3, 0
	s_mov_b64 s[14:15], -1
.LBB1265_3:
	s_andn2_b64 vcc, exec, s[14:15]
	s_cbranch_vccnz .LBB1265_19
; %bb.4:
	s_load_dwordx2 s[6:7], s[0:1], 0x28
	s_lshl_b64 s[14:15], s[2:3], 2
	s_waitcnt lgkmcnt(0)
	s_add_u32 s6, s6, s14
	s_addc_u32 s7, s7, s15
	s_load_dword s33, s[6:7], 0x0
	s_lshl_b32 s18, s10, 8
	s_waitcnt lgkmcnt(0)
	s_cmp_ge_i32 s18, s33
	s_cbranch_scc1 .LBB1265_19
; %bb.5:
	s_load_dwordx2 s[6:7], s[0:1], 0x20
	s_load_dword s5, s[0:1], 0x38
	s_add_i32 s11, s33, 15
	s_ashr_i32 s16, s11, 31
	v_and_b32_e32 v1, 0xcf, v0
	s_lshr_b32 s16, s16, 28
	v_add_u32_e32 v1, s18, v1
	s_add_i32 s11, s11, s16
	v_ashrrev_i32_e32 v2, 31, v1
	s_ashr_i32 s19, s11, 4
	v_lshrrev_b32_e32 v4, 28, v2
	s_add_i32 s19, s19, -1
	s_waitcnt lgkmcnt(0)
	s_mul_i32 s16, s2, s5
	s_mov_b32 s17, 0
	v_add_u32_e32 v2, v1, v4
	s_lshl_b64 s[16:17], s[16:17], 2
	v_ashrrev_i32_e32 v2, 4, v2
	v_mov_b32_e32 v5, s19
	v_cmp_gt_i32_e32 vcc, s33, v1
	s_add_u32 s6, s6, s16
	s_addc_u32 s7, s7, s17
	v_cndmask_b32_e32 v2, v5, v2, vcc
	v_ashrrev_i32_e32 v3, 31, v2
	v_lshl_add_u64 v[6:7], v[2:3], 2, s[6:7]
	v_or_b32_e32 v2, 16, v1
	v_add_u32_e32 v3, v2, v4
	v_ashrrev_i32_e32 v3, 4, v3
	v_cmp_gt_i32_e32 vcc, s33, v2
	s_load_dwordx2 s[16:17], s[0:1], 0x8
	s_nop 0
	v_cndmask_b32_e32 v2, v5, v3, vcc
	v_ashrrev_i32_e32 v3, 31, v2
	v_lshl_add_u64 v[8:9], v[2:3], 2, s[6:7]
	v_or_b32_e32 v2, 32, v1
	v_add_u32_e32 v3, v2, v4
	v_ashrrev_i32_e32 v3, 4, v3
	v_cmp_gt_i32_e32 vcc, s33, v2
	v_or_b32_e32 v1, 48, v1
	s_nop 0
	v_cndmask_b32_e32 v2, v5, v3, vcc
	v_ashrrev_i32_e32 v3, 31, v2
	v_lshl_add_u64 v[10:11], v[2:3], 2, s[6:7]
	v_add_u32_e32 v2, v1, v4
	v_ashrrev_i32_e32 v2, 4, v2
	v_cmp_gt_i32_e32 vcc, s33, v1
	s_nop 1
	v_cndmask_b32_e32 v2, v5, v2, vcc
	v_ashrrev_i32_e32 v3, 31, v2
	v_lshl_add_u64 v[12:13], v[2:3], 2, s[6:7]
	global_load_dword v4, v[6:7], off
	global_load_dword v3, v[8:9], off
	;; [unrolled: 1-line block ×4, first 2 shown]
	s_andn2_b64 vcc, exec, s[12:13]
	s_cbranch_vccnz .LBB1265_8
; %bb.6:
	s_add_u32 s8, s8, s14
	s_addc_u32 s9, s9, s15
	s_load_dword s5, s[8:9], 0x0
	s_branch .LBB1265_9
.LBB1265_7:
	s_mov_b64 s[14:15], 0
	s_branch .LBB1265_2
.LBB1265_8:
	s_mov_b32 s5, s2
.LBB1265_9:
	s_load_dwordx2 s[8:9], s[0:1], 0x10
	s_load_dwordx4 s[44:47], s[0:1], 0x48
	v_lshrrev_b32_e32 v62, 6, v0
	v_bfe_u32 v1, v0, 4, 2
	v_and_b32_e32 v60, 15, v0
	v_lshl_or_b32 v5, v62, 2, v1
	v_lshlrev_b32_e32 v6, 3, v60
	s_lshl_b32 s11, s4, 1
	v_cmp_gt_u32_e32 vcc, 2, v5
	v_lshlrev_b32_e32 v54, 1, v6
	v_lshlrev_b32_e32 v61, 4, v0
	s_and_saveexec_b64 s[12:13], vcc
	s_cbranch_execz .LBB1265_11
; %bb.10:
	s_load_dwordx2 s[14:15], s[0:1], 0x0
	s_waitcnt lgkmcnt(0)
	s_ashr_i32 s20, s44, 31
	s_mul_hi_u32 s21, s5, s44
	s_mul_i32 s20, s5, s20
	s_add_i32 s21, s21, s20
	s_mul_i32 s20, s5, s44
	s_lshl_b64 s[20:21], s[20:21], 1
	s_add_u32 s14, s14, s20
	v_add_lshl_u32 v6, v1, s11, 7
	s_addc_u32 s15, s15, s21
	v_ashrrev_i32_e32 v7, 31, v6
	v_lshl_add_u64 v[6:7], v[6:7], 1, s[14:15]
	v_mov_b32_e32 v55, 0
	v_lshl_add_u64 v[6:7], v[6:7], 0, v[54:55]
	global_load_dwordx4 v[6:9], v[6:7], off
	v_lshlrev_b32_e32 v11, 8, v0
	v_lshlrev_b32_e32 v10, 8, v60
	v_and_b32_e32 v11, 0x600, v11
	s_movk_i32 s5, 0x800
	v_and_or_b32 v10, v10, s5, v11
	v_lshlrev_b32_e32 v5, 5, v5
	v_and_b32_e32 v11, 16, v61
	v_or3_b32 v5, v10, v5, v11
	s_waitcnt vmcnt(0)
	ds_write_b128 v5, v[6:9]
.LBB1265_11:
	s_or_b64 exec, exec, s[12:13]
	s_waitcnt lgkmcnt(0)
	s_mul_i32 s12, s4, s46
	s_add_u32 s4, s16, s12
	s_addc_u32 s5, s17, 0
	v_and_b32_e32 v56, 0xf0, v61
	v_mov_b32_e32 v57, 0
	v_and_b32_e32 v46, 48, v0
	v_lshl_add_u64 v[20:21], s[4:5], 0, v[56:57]
	v_lshlrev_b32_e32 v56, 4, v46
	s_waitcnt vmcnt(3)
	v_mad_i64_i32 v[4:5], s[4:5], v4, s45, v[20:21]
	v_lshl_add_u64 v[4:5], v[4:5], 0, v[56:57]
	s_barrier
	global_load_dwordx4 v[42:45], v[4:5], off
	global_load_dwordx4 v[14:17], v[4:5], off offset:1024
	s_waitcnt vmcnt(4)
	v_mad_i64_i32 v[4:5], s[4:5], v3, s45, v[20:21]
	s_waitcnt vmcnt(3)
	v_mad_i64_i32 v[2:3], s[4:5], v2, s45, v[20:21]
	;; [unrolled: 2-line block ×3, first 2 shown]
	v_lshl_add_u64 v[4:5], v[4:5], 0, v[56:57]
	v_lshl_add_u64 v[22:23], v[2:3], 0, v[56:57]
	;; [unrolled: 1-line block ×3, first 2 shown]
	global_load_dwordx4 v[10:13], v[4:5], off
	global_load_dwordx4 v[6:9], v[4:5], off offset:1024
	s_nop 0
	global_load_dwordx4 v[2:5], v[22:23], off
	global_load_dwordx4 v[50:53], v[22:23], off offset:1024
	global_load_dwordx4 v[34:37], v[18:19], off
	s_nop 0
	global_load_dwordx4 v[22:25], v[18:19], off offset:1024
	v_and_b32_e32 v18, 1, v0
	v_lshlrev_b32_e32 v18, 5, v18
	v_lshl_or_b32 v18, v1, 9, v18
	ds_read_b128 v[38:41], v18
	ds_read_b128 v[30:33], v18 offset:16
	ds_read_b128 v[26:29], v18 offset:2048
	;; [unrolled: 1-line block ×3, first 2 shown]
	v_and_b32_e32 v55, 63, v0
	v_cmp_gt_u32_e32 vcc, 2, v60
	v_mov_b32_e32 v63, 0
	s_and_saveexec_b64 s[4:5], vcc
	s_cbranch_execz .LBB1265_13
; %bb.12:
	s_load_dwordx2 s[14:15], s[0:1], 0x40
	v_or_b32_e32 v48, s11, v60
	v_ashrrev_i32_e32 v49, 31, v48
	s_waitcnt lgkmcnt(0)
	v_lshl_add_u64 v[48:49], v[48:49], 2, s[14:15]
	global_load_dword v63, v[48:49], off
.LBB1265_13:
	s_or_b64 exec, exec, s[4:5]
	s_waitcnt vmcnt(7)
	v_cvt_pk_f32_fp8_e32 v[58:59], v42
	v_cvt_pk_f32_fp8_sdwa v[66:67], v42 src0_sel:WORD_1
	s_mov_b32 s44, 0x7060302
	v_cvt_pk_f32_fp8_e32 v[68:69], v43
	v_perm_b32 v58, v59, v58, s44
	v_perm_b32 v59, v67, v66, s44
	v_cvt_pk_f32_fp8_sdwa v[42:43], v43 src0_sel:WORD_1
	v_perm_b32 v70, v69, v68, s44
	v_cvt_pk_f32_fp8_e32 v[72:73], v44
	v_cvt_pk_f32_fp8_sdwa v[74:75], v44 src0_sel:WORD_1
	v_perm_b32 v71, v43, v42, s44
	s_waitcnt lgkmcnt(3)
	v_mfma_f32_16x16x16_bf16 v[66:69], v[58:59], v[38:39], 0
	v_or_b32_e32 v56, s18, v46
	v_ashrrev_i32_e32 v46, 4, v56
	v_mov_b32_e32 v65, s19
	v_cmp_gt_i32_e32 vcc, s33, v56
	v_perm_b32 v58, v73, v72, s44
	v_perm_b32 v59, v75, v74, s44
	v_cvt_pk_f32_fp8_e32 v[72:73], v45
	v_cvt_pk_f32_fp8_sdwa v[74:75], v45 src0_sel:WORD_1
	v_cndmask_b32_e32 v46, v65, v46, vcc
	v_mfma_f32_16x16x16_bf16 v[42:45], v[70:71], v[40:41], v[66:69]
	v_ashrrev_i32_e32 v47, 31, v46
	v_lshl_add_u64 v[46:47], v[46:47], 2, s[6:7]
	global_load_dword v64, v[46:47], off
	v_or_b32_e32 v46, 64, v56
	v_perm_b32 v66, v73, v72, s44
	v_perm_b32 v67, v75, v74, s44
	v_ashrrev_i32_e32 v47, 4, v46
	v_cmp_gt_i32_e32 vcc, s33, v46
	s_waitcnt lgkmcnt(2)
	v_mfma_f32_16x16x16_bf16 v[42:45], v[58:59], v[30:31], v[42:45]
	s_waitcnt vmcnt(7)
	v_cvt_pk_f32_fp8_sdwa v[70:71], v14 src0_sel:WORD_1
	v_cndmask_b32_e32 v46, v65, v47, vcc
	v_ashrrev_i32_e32 v47, 31, v46
	v_lshl_add_u64 v[48:49], v[46:47], 2, s[6:7]
	v_or_b32_e32 v46, 0x80, v56
	v_mfma_f32_16x16x16_bf16 v[42:45], v[66:67], v[32:33], v[42:45]
	global_load_dword v66, v[48:49], off
	v_ashrrev_i32_e32 v47, 4, v46
	v_cmp_gt_i32_e32 vcc, s33, v46
	v_or_b32_e32 v56, 0xc0, v56
	v_ashrrev_i32_e32 v68, 4, v56
	v_cndmask_b32_e32 v46, v65, v47, vcc
	v_cmp_gt_i32_e32 vcc, s33, v56
	v_ashrrev_i32_e32 v47, 31, v46
	v_lshl_add_u64 v[46:47], v[46:47], 2, s[6:7]
	v_cndmask_b32_e32 v58, v65, v68, vcc
	v_cvt_pk_f32_fp8_e32 v[68:69], v14
	v_ashrrev_i32_e32 v59, 31, v58
	v_lshl_add_u64 v[58:59], v[58:59], 2, s[6:7]
	v_cvt_pk_f32_fp8_sdwa v[72:73], v16 src0_sel:WORD_1
	v_perm_b32 v68, v69, v68, s44
	v_perm_b32 v69, v71, v70, s44
	v_cvt_pk_f32_fp8_e32 v[70:71], v16
	v_cvt_pk_f32_fp8_sdwa v[74:75], v17 src0_sel:WORD_1
	s_waitcnt lgkmcnt(1)
	v_mfma_f32_16x16x16_bf16 v[42:45], v[68:69], v[26:27], v[42:45]
	global_load_dword v68, v[58:59], off
	global_load_dword v67, v[46:47], off
	v_cvt_pk_f32_fp8_e32 v[48:49], v15
	v_cvt_pk_f32_fp8_sdwa v[14:15], v15 src0_sel:WORD_1
	v_perm_b32 v70, v71, v70, s44
	v_perm_b32 v71, v73, v72, s44
	;; [unrolled: 1-line block ×4, first 2 shown]
	v_cvt_pk_f32_fp8_e32 v[72:73], v17
	s_waitcnt vmcnt(9)
	v_cvt_pk_f32_fp8_e32 v[46:47], v10
	v_mfma_f32_16x16x16_bf16 v[14:17], v[48:49], v[28:29], v[42:45]
	v_cvt_pk_f32_fp8_sdwa v[48:49], v10 src0_sel:WORD_1
	s_nop 1
	v_perm_b32 v42, v73, v72, s44
	v_perm_b32 v43, v75, v74, s44
	s_waitcnt lgkmcnt(0)
	v_mfma_f32_16x16x16_bf16 v[14:17], v[70:71], v[18:19], v[14:17]
	v_cvt_pk_f32_fp8_sdwa v[58:59], v12 src0_sel:WORD_1
	v_cvt_pk_f32_fp8_sdwa v[70:71], v13 src0_sel:WORD_1
	s_add_u32 s4, s8, s12
	v_mfma_f32_16x16x16_bf16 v[42:45], v[42:43], v[20:21], v[14:17]
	v_lshl_or_b32 v65, v62, 4, v60
	s_waitcnt vmcnt(7)
	v_cvt_pk_f32_fp8_e32 v[72:73], v5
	s_addc_u32 s5, s9, 0
	v_cvt_pk_f32_fp8_e32 v[14:15], v11
	v_perm_b32 v16, v47, v46, s44
	v_perm_b32 v17, v49, v48, s44
	v_cvt_pk_f32_fp8_sdwa v[10:11], v11 src0_sel:WORD_1
	v_perm_b32 v46, v15, v14, s44
	v_cvt_pk_f32_fp8_e32 v[48:49], v12
	v_mfma_f32_16x16x16_bf16 v[14:17], v[16:17], v[38:39], 0
	v_perm_b32 v47, v11, v10, s44
	v_perm_b32 v48, v49, v48, s44
	;; [unrolled: 1-line block ×3, first 2 shown]
	v_cvt_pk_f32_fp8_e32 v[58:59], v13
	v_mfma_f32_16x16x16_bf16 v[10:13], v[46:47], v[40:41], v[14:17]
	v_cvt_pk_f32_fp8_sdwa v[46:47], v6 src0_sel:WORD_1
	v_lshlrev_b32_e32 v56, 4, v65
	s_nop 0
	v_perm_b32 v14, v59, v58, s44
	v_perm_b32 v15, v71, v70, s44
	v_mfma_f32_16x16x16_bf16 v[10:13], v[48:49], v[30:31], v[10:13]
	v_cvt_pk_f32_fp8_e32 v[16:17], v6
	v_cvt_pk_f32_fp8_sdwa v[48:49], v8 src0_sel:WORD_1
	v_lshl_add_u64 v[58:59], s[4:5], 0, v[56:57]
	v_mfma_f32_16x16x16_bf16 v[10:13], v[14:15], v[32:33], v[10:13]
	v_cvt_pk_f32_fp8_e32 v[14:15], v7
	v_perm_b32 v16, v17, v16, s44
	v_perm_b32 v17, v47, v46, s44
	v_cvt_pk_f32_fp8_sdwa v[6:7], v7 src0_sel:WORD_1
	v_perm_b32 v14, v15, v14, s44
	v_cvt_pk_f32_fp8_e32 v[46:47], v8
	v_mfma_f32_16x16x16_bf16 v[10:13], v[16:17], v[26:27], v[10:13]
	v_perm_b32 v15, v7, v6, s44
	v_perm_b32 v16, v47, v46, s44
	;; [unrolled: 1-line block ×3, first 2 shown]
	v_cvt_pk_f32_fp8_e32 v[46:47], v9
	v_cvt_pk_f32_fp8_sdwa v[48:49], v9 src0_sel:WORD_1
	v_mfma_f32_16x16x16_bf16 v[6:9], v[14:15], v[28:29], v[10:13]
	v_cvt_pk_f32_fp8_sdwa v[14:15], v2 src0_sel:WORD_1
	s_waitcnt vmcnt(2)
	v_mad_i64_i32 v[70:71], s[6:7], v66, s45, v[58:59]
	v_perm_b32 v10, v47, v46, s44
	v_perm_b32 v11, v49, v48, s44
	v_mfma_f32_16x16x16_bf16 v[6:9], v[16:17], v[18:19], v[6:9]
	v_cvt_pk_f32_fp8_e32 v[12:13], v2
	v_cvt_pk_f32_fp8_sdwa v[78:79], v52 src0_sel:WORD_1
	v_or_b32_e32 v56, 0x400, v56
	v_mfma_f32_16x16x16_bf16 v[46:49], v[10:11], v[20:21], v[6:9]
	v_mad_i64_i32 v[10:11], s[6:7], v64, s45, v[58:59]
	s_waitcnt vmcnt(0)
	v_mad_i64_i32 v[74:75], s[6:7], v67, s45, v[58:59]
	v_perm_b32 v6, v13, v12, s44
	v_perm_b32 v7, v15, v14, s44
	v_cvt_pk_f32_fp8_e32 v[8:9], v3
	v_cvt_pk_f32_fp8_sdwa v[2:3], v3 src0_sel:WORD_1
	v_cvt_pk_f32_fp8_sdwa v[14:15], v4 src0_sel:WORD_1
	v_mad_i64_i32 v[58:59], s[6:7], v68, s45, v[58:59]
	v_perm_b32 v12, v9, v8, s44
	v_perm_b32 v13, v3, v2, s44
	v_cvt_pk_f32_fp8_e32 v[2:3], v4
	v_mfma_f32_16x16x16_bf16 v[6:9], v[6:7], v[38:39], 0
	v_cvt_pk_f32_fp8_sdwa v[4:5], v5 src0_sel:WORD_1
	v_perm_b32 v2, v3, v2, s44
	v_perm_b32 v3, v15, v14, s44
	v_mfma_f32_16x16x16_bf16 v[6:9], v[12:13], v[40:41], v[6:9]
	global_load_dwordx4 v[14:17], v[10:11], off
	s_nop 0
	global_load_dwordx4 v[10:13], v[70:71], off
	v_perm_b32 v70, v73, v72, s44
	v_perm_b32 v71, v5, v4, s44
	v_mfma_f32_16x16x16_bf16 v[2:5], v[2:3], v[30:31], v[6:9]
	s_nop 2
	v_cvt_pk_f32_fp8_e32 v[6:7], v50
	v_cvt_pk_f32_fp8_sdwa v[8:9], v50 src0_sel:WORD_1
	v_mfma_f32_16x16x16_bf16 v[2:5], v[70:71], v[32:33], v[2:5]
	v_perm_b32 v6, v7, v6, s44
	v_perm_b32 v7, v9, v8, s44
	v_cvt_pk_f32_fp8_e32 v[8:9], v51
	v_cvt_pk_f32_fp8_sdwa v[50:51], v51 src0_sel:WORD_1
	v_mfma_f32_16x16x16_bf16 v[70:73], v[6:7], v[26:27], v[2:5]
	v_perm_b32 v76, v9, v8, s44
	v_perm_b32 v77, v51, v50, s44
	v_cvt_pk_f32_fp8_e32 v[50:51], v52
	global_load_dwordx4 v[6:9], v[74:75], off
	global_load_dwordx4 v[2:5], v[58:59], off
	v_perm_b32 v75, v79, v78, s44
	v_cvt_pk_f32_fp8_e32 v[58:59], v53
	v_perm_b32 v74, v51, v50, s44
	v_cvt_pk_f32_fp8_sdwa v[78:79], v53 src0_sel:WORD_1
	v_mfma_f32_16x16x16_bf16 v[50:53], v[76:77], v[28:29], v[70:73]
	v_perm_b32 v58, v59, v58, s44
	v_cvt_pk_f32_fp8_sdwa v[76:77], v36 src0_sel:WORD_1
	v_perm_b32 v59, v79, v78, s44
	v_mfma_f32_16x16x16_bf16 v[50:53], v[74:75], v[18:19], v[50:53]
	v_cvt_pk_f32_fp8_e32 v[70:71], v34
	v_cvt_pk_f32_fp8_sdwa v[72:73], v34 src0_sel:WORD_1
	v_cvt_pk_f32_fp8_e32 v[74:75], v36
	v_mfma_f32_16x16x16_bf16 v[50:53], v[58:59], v[20:21], v[50:53]
	v_cvt_pk_f32_fp8_e32 v[58:59], v35
	v_perm_b32 v70, v71, v70, s44
	v_perm_b32 v71, v73, v72, s44
	v_cvt_pk_f32_fp8_sdwa v[34:35], v35 src0_sel:WORD_1
	v_perm_b32 v58, v59, v58, s44
	v_mfma_f32_16x16x16_bf16 v[70:73], v[70:71], v[38:39], 0
	v_perm_b32 v59, v35, v34, s44
	v_perm_b32 v38, v75, v74, s44
	;; [unrolled: 1-line block ×3, first 2 shown]
	v_cvt_pk_f32_fp8_e32 v[74:75], v37
	v_cvt_pk_f32_fp8_sdwa v[76:77], v37 src0_sel:WORD_1
	v_mfma_f32_16x16x16_bf16 v[34:37], v[58:59], v[40:41], v[70:73]
	s_load_dword s6, s[0:1], 0x1c
	s_load_dwordx4 s[40:43], s[0:1], 0x80
	v_perm_b32 v58, v75, v74, s44
	v_perm_b32 v59, v77, v76, s44
	v_mfma_f32_16x16x16_bf16 v[34:37], v[38:39], v[30:31], v[34:37]
	s_load_dword s46, s[0:1], 0x98
	s_waitcnt lgkmcnt(0)
	s_load_dword s7, s[40:41], 0x0
	v_cvt_pk_f32_fp8_sdwa v[38:39], v22 src0_sel:WORD_1
	v_mfma_f32_16x16x16_bf16 v[32:35], v[58:59], v[32:33], v[34:37]
	v_mov_b32_e32 v40, s6
	s_mov_b32 s40, 0xff7fffff
	s_waitcnt lgkmcnt(0)
	v_mul_f32_e32 v70, s7, v40
	v_cvt_pk_f32_fp8_e32 v[36:37], v22
	v_pk_mul_f32 v[30:31], v[70:71], v[42:43] op_sel_hi:[0,1]
	v_cvt_pk_f32_fp8_e32 v[42:43], v23
	v_cvt_pk_f32_fp8_sdwa v[22:23], v23 src0_sel:WORD_1
	v_perm_b32 v36, v37, v36, s44
	v_perm_b32 v37, v39, v38, s44
	v_pk_mul_f32 v[40:41], v[70:71], v[44:45] op_sel_hi:[0,1]
	v_perm_b32 v38, v43, v42, s44
	v_perm_b32 v39, v23, v22, s44
	v_cvt_pk_f32_fp8_e32 v[42:43], v24
	v_cvt_pk_f32_fp8_sdwa v[44:45], v24 src0_sel:WORD_1
	v_mfma_f32_16x16x16_bf16 v[32:35], v[36:37], v[26:27], v[32:35]
	v_lshl_add_u64 v[22:23], s[4:5], 0, v[56:57]
	v_perm_b32 v36, v43, v42, s44
	v_perm_b32 v37, v45, v44, s44
	v_cvt_pk_f32_fp8_e32 v[42:43], v25
	v_cvt_pk_f32_fp8_sdwa v[56:57], v25 src0_sel:WORD_1
	v_mfma_f32_16x16x16_bf16 v[24:27], v[38:39], v[28:29], v[32:35]
	v_pk_mul_f32 v[44:45], v[70:71], v[48:49] op_sel_hi:[0,1]
	v_perm_b32 v28, v43, v42, s44
	v_perm_b32 v29, v57, v56, s44
	v_mfma_f32_16x16x16_bf16 v[24:27], v[36:37], v[18:19], v[24:27]
	v_pk_mul_f32 v[42:43], v[70:71], v[50:51] op_sel_hi:[0,1]
	v_pk_mul_f32 v[46:47], v[70:71], v[46:47] op_sel_hi:[0,1]
	;; [unrolled: 1-line block ×3, first 2 shown]
	v_mfma_f32_16x16x16_bf16 v[18:21], v[28:29], v[20:21], v[24:27]
	s_nop 6
	v_pk_mul_f32 v[36:37], v[70:71], v[18:19] op_sel_hi:[0,1]
	v_and_b32_e32 v18, 0xc0, v0
	v_add_u32_e32 v18, s18, v18
	v_lshl_or_b32 v18, v1, 2, v18
	v_or_b32_e32 v19, 1, v18
	v_pk_mul_f32 v[34:35], v[70:71], v[20:21] op_sel_hi:[0,1]
	v_subrev_u32_e32 v20, s33, v19
	v_add_u32_e32 v24, 1, v20
	v_add_u32_e32 v25, 2, v20
	v_cvt_f32_i32_e32 v21, v20
	v_cvt_f32_i32_e32 v24, v24
	;; [unrolled: 1-line block ×3, first 2 shown]
	v_add_u32_e32 v26, 3, v20
	v_fma_f32 v50, v63, v21, v30
	v_fmac_f32_e32 v31, v63, v24
	v_fma_f32 v40, v63, v25, v40
	v_add_u32_e32 v21, 16, v20
	v_add_u32_e32 v24, 17, v20
	v_add_u32_e32 v25, 18, v20
	v_cvt_f32_i32_e32 v26, v26
	v_cvt_f32_i32_e32 v21, v21
	;; [unrolled: 1-line block ×4, first 2 shown]
	v_fmac_f32_e32 v41, v63, v26
	v_add_u32_e32 v26, 19, v20
	v_fma_f32 v52, v63, v21, v46
	v_fmac_f32_e32 v47, v63, v24
	v_fma_f32 v44, v63, v25, v44
	v_add_u32_e32 v21, 32, v20
	v_add_u32_e32 v24, 33, v20
	;; [unrolled: 1-line block ×3, first 2 shown]
	v_cvt_f32_i32_e32 v26, v26
	v_cvt_f32_i32_e32 v21, v21
	;; [unrolled: 1-line block ×4, first 2 shown]
	v_fmac_f32_e32 v45, v63, v26
	v_add_u32_e32 v26, 35, v20
	v_fma_f32 v42, v63, v21, v42
	v_fmac_f32_e32 v43, v63, v24
	v_fma_f32 v38, v63, v25, v38
	v_add_u32_e32 v21, 48, v20
	v_add_u32_e32 v24, 49, v20
	;; [unrolled: 1-line block ×4, first 2 shown]
	v_cvt_f32_i32_e32 v20, v20
	v_cvt_f32_i32_e32 v21, v21
	;; [unrolled: 1-line block ×3, first 2 shown]
	v_cmp_gt_i32_e64 s[12:13], s33, v18
	v_fmac_f32_e32 v35, v63, v20
	v_mov_b32_e32 v20, 0xff7fffff
	v_cmp_gt_i32_e64 s[14:15], s33, v19
	v_fma_f32 v36, v63, v21, v36
	v_cndmask_b32_e64 v21, v20, v50, s[12:13]
	v_cndmask_b32_e64 v19, v20, v31, s[14:15]
	v_fmac_f32_e32 v37, v63, v24
	v_max3_f32 v19, v21, s40, v19
	v_or_b32_e32 v21, 2, v18
	v_or_b32_e32 v24, 3, v18
	v_cmp_gt_i32_e64 s[16:17], s33, v21
	v_cmp_gt_i32_e64 s[18:19], s33, v24
	v_cvt_f32_i32_e32 v26, v26
	v_cndmask_b32_e64 v21, v20, v40, s[16:17]
	v_cndmask_b32_e64 v24, v20, v41, s[18:19]
	v_max3_f32 v19, v19, v21, v24
	v_or_b32_e32 v21, 16, v18
	v_or_b32_e32 v24, 17, v18
	v_cmp_gt_i32_e64 s[20:21], s33, v21
	v_cmp_gt_i32_e64 s[22:23], s33, v24
	v_fmac_f32_e32 v39, v63, v26
	v_cndmask_b32_e64 v21, v20, v52, s[20:21]
	v_cndmask_b32_e64 v24, v20, v47, s[22:23]
	v_max3_f32 v19, v19, v21, v24
	v_or_b32_e32 v21, 18, v18
	v_or_b32_e32 v24, 19, v18
	v_cmp_gt_i32_e64 s[24:25], s33, v21
	v_cmp_gt_i32_e64 s[26:27], s33, v24
	v_cvt_f32_i32_e32 v25, v25
	v_cndmask_b32_e64 v21, v20, v44, s[24:25]
	v_cndmask_b32_e64 v24, v20, v45, s[26:27]
	v_max3_f32 v19, v19, v21, v24
	v_or_b32_e32 v21, 32, v18
	v_or_b32_e32 v24, 33, v18
	v_cmp_gt_i32_e64 s[28:29], s33, v21
	v_cmp_gt_i32_e64 s[30:31], s33, v24
	v_fma_f32 v34, v63, v25, v34
	v_cndmask_b32_e64 v21, v20, v42, s[28:29]
	v_cndmask_b32_e64 v24, v20, v43, s[30:31]
	v_max3_f32 v19, v19, v21, v24
	v_or_b32_e32 v21, 34, v18
	v_or_b32_e32 v24, 35, v18
	v_cmp_gt_i32_e64 s[34:35], s33, v21
	v_cmp_gt_i32_e64 s[36:37], s33, v24
	s_nop 0
	v_cndmask_b32_e64 v21, v20, v38, s[34:35]
	v_cndmask_b32_e64 v24, v20, v39, s[36:37]
	v_max3_f32 v19, v19, v21, v24
	v_or_b32_e32 v21, 48, v18
	v_or_b32_e32 v24, 49, v18
	v_cmp_gt_i32_e64 s[6:7], s33, v21
	v_cmp_gt_i32_e64 s[8:9], s33, v24
	s_nop 0
	v_cndmask_b32_e64 v21, v20, v36, s[6:7]
	v_cndmask_b32_e64 v24, v20, v37, s[8:9]
	v_max3_f32 v19, v19, v21, v24
	v_or_b32_e32 v21, 50, v18
	v_or_b32_e32 v18, 51, v18
	v_cmp_gt_i32_e32 vcc, s33, v21
	v_cmp_gt_i32_e64 s[4:5], s33, v18
	s_nop 0
	v_cndmask_b32_e32 v21, v20, v34, vcc
	v_cndmask_b32_e64 v18, v20, v35, s[4:5]
	v_max3_f32 v24, v19, v21, v18
	v_mbcnt_lo_u32_b32 v18, -1, 0
	v_mbcnt_hi_u32_b32 v25, -1, v18
	v_and_b32_e32 v18, 64, v25
	v_add_u32_e32 v26, 64, v18
	v_xor_b32_e32 v18, 32, v25
	v_cmp_lt_i32_e64 s[38:39], v18, v26
	s_nop 1
	v_cndmask_b32_e64 v18, v25, v18, s[38:39]
	v_lshlrev_b32_e32 v53, 2, v18
	ds_bpermute_b32 v27, v53, v24
	v_mad_i64_i32 v[18:19], s[38:39], v64, s45, v[22:23]
	v_mad_i64_i32 v[20:21], s[38:39], v66, s45, v[22:23]
	s_waitcnt lgkmcnt(0)
	v_max_f32_e32 v27, v27, v27
	v_max_f32_e32 v27, v24, v27
	v_xor_b32_e32 v24, 16, v25
	v_cmp_lt_i32_e64 s[38:39], v24, v26
	s_nop 1
	v_cndmask_b32_e64 v24, v25, v24, s[38:39]
	v_lshlrev_b32_e32 v56, 2, v24
	ds_bpermute_b32 v26, v56, v27
	v_mad_i64_i32 v[24:25], s[38:39], v67, s45, v[22:23]
	v_mad_i64_i32 v[48:49], s[38:39], v68, s45, v[22:23]
	s_waitcnt lgkmcnt(0)
	v_max_f32_e32 v22, v26, v26
	v_max_f32_e32 v46, v27, v22
	v_sub_f32_e32 v22, v31, v46
	global_load_dwordx4 v[30:33], v[18:19], off
	global_load_dwordx4 v[26:29], v[20:21], off
	v_sub_f32_e32 v18, v50, v46
	v_mul_f32_e32 v18, 0x3fb8aa3b, v18
	v_exp_f32_e32 v50, v18
	v_mul_f32_e32 v18, 0x3fb8aa3b, v22
	v_exp_f32_e32 v51, v18
	v_sub_f32_e32 v18, v40, v46
	v_mul_f32_e32 v18, 0x3fb8aa3b, v18
	v_exp_f32_e32 v40, v18
	v_sub_f32_e32 v18, v41, v46
	v_mul_f32_e32 v18, 0x3fb8aa3b, v18
	v_exp_f32_e32 v41, v18
	global_load_dwordx4 v[22:25], v[24:25], off
	s_nop 0
	global_load_dwordx4 v[18:21], v[48:49], off
	v_sub_f32_e32 v42, v42, v46
	v_sub_f32_e32 v38, v38, v46
	v_mul_f32_e32 v42, 0x3fb8aa3b, v42
	v_mul_f32_e32 v38, 0x3fb8aa3b, v38
	v_cndmask_b32_e64 v49, 0, v51, s[14:15]
	v_cndmask_b32_e64 v51, 0, v41, s[18:19]
	v_sub_f32_e32 v41, v47, v46
	v_exp_f32_e32 v42, v42
	v_exp_f32_e32 v47, v38
	v_cndmask_b32_e64 v48, 0, v50, s[12:13]
	v_cndmask_b32_e64 v50, 0, v40, s[16:17]
	v_sub_f32_e32 v40, v52, v46
	v_mul_f32_e32 v40, 0x3fb8aa3b, v40
	v_sub_f32_e32 v38, v39, v46
	v_exp_f32_e32 v40, v40
	v_mul_f32_e32 v41, 0x3fb8aa3b, v41
	v_sub_f32_e32 v44, v44, v46
	v_mul_f32_e32 v38, 0x3fb8aa3b, v38
	v_exp_f32_e32 v41, v41
	v_mul_f32_e32 v44, 0x3fb8aa3b, v44
	v_sub_f32_e32 v45, v45, v46
	v_exp_f32_e32 v52, v38
	v_cndmask_b32_e64 v38, 0, v42, s[28:29]
	v_cndmask_b32_e64 v42, 0, v47, s[34:35]
	v_add_f32_e32 v47, 0, v48
	v_exp_f32_e32 v44, v44
	v_mul_f32_e32 v45, 0x3fb8aa3b, v45
	v_add_f32_e32 v47, v47, v49
	v_exp_f32_e32 v45, v45
	v_sub_f32_e32 v43, v43, v46
	v_add_f32_e32 v47, v47, v50
	v_cndmask_b32_e64 v40, 0, v40, s[20:21]
	v_mul_f32_e32 v43, 0x3fb8aa3b, v43
	v_add_f32_e32 v47, v47, v51
	v_cndmask_b32_e64 v41, 0, v41, s[22:23]
	v_exp_f32_e32 v43, v43
	v_add_f32_e32 v47, v47, v40
	v_cndmask_b32_e64 v44, 0, v44, s[24:25]
	v_add_f32_e32 v47, v47, v41
	v_sub_f32_e32 v36, v36, v46
	v_cndmask_b32_e64 v45, 0, v45, s[26:27]
	v_add_f32_e32 v47, v47, v44
	v_mul_f32_e32 v36, 0x3fb8aa3b, v36
	v_sub_f32_e32 v37, v37, v46
	v_add_f32_e32 v47, v47, v45
	v_exp_f32_e32 v36, v36
	v_mul_f32_e32 v37, 0x3fb8aa3b, v37
	v_sub_f32_e32 v34, v34, v46
	v_cndmask_b32_e64 v39, 0, v43, s[30:31]
	v_add_f32_e32 v47, v47, v38
	v_exp_f32_e32 v37, v37
	v_mul_f32_e32 v34, 0x3fb8aa3b, v34
	v_sub_f32_e32 v35, v35, v46
	v_add_f32_e32 v47, v47, v39
	v_exp_f32_e32 v34, v34
	v_mul_f32_e32 v35, 0x3fb8aa3b, v35
	v_cndmask_b32_e64 v43, 0, v52, s[36:37]
	v_add_f32_e32 v47, v47, v42
	v_exp_f32_e32 v35, v35
	v_add_f32_e32 v47, v47, v43
	v_cndmask_b32_e64 v36, 0, v36, s[6:7]
	v_add_f32_e32 v47, v47, v36
	v_cndmask_b32_e64 v37, 0, v37, s[8:9]
	v_add_f32_e32 v47, v47, v37
	v_cndmask_b32_e32 v34, 0, v34, vcc
	v_add_f32_e32 v47, v47, v34
	v_cndmask_b32_e64 v35, 0, v35, s[4:5]
	v_add_f32_e32 v47, v47, v35
	ds_bpermute_b32 v52, v53, v47
	v_cmp_gt_u32_e32 vcc, 16, v55
	s_waitcnt lgkmcnt(0)
	s_barrier
	v_add_f32_e32 v47, v47, v52
	ds_bpermute_b32 v52, v56, v47
	s_and_saveexec_b64 s[4:5], vcc
	s_cbranch_execz .LBB1265_15
; %bb.14:
	s_waitcnt lgkmcnt(0)
	v_add_f32_e32 v47, v47, v52
	v_lshlrev_b32_e32 v52, 2, v65
	ds_write2st64_b32 v52, v46, v47 offset1:1
.LBB1265_15:
	s_or_b64 exec, exec, s[4:5]
	v_lshlrev_b32_e32 v47, 2, v60
	s_load_dword s6, s[0:1], 0x94
	s_waitcnt lgkmcnt(0)
	s_barrier
	ds_read2_b32 v[52:53], v47 offset1:16
	ds_read2_b32 v[56:57], v47 offset0:32 offset1:48
	ds_read2_b32 v[58:59], v47 offset0:64 offset1:80
	s_movk_i32 s8, 0x7fff
	s_lshl_b32 s7, s46, 1
	s_waitcnt lgkmcnt(2)
	v_max3_f32 v46, v52, s40, v53
	s_waitcnt lgkmcnt(1)
	v_max3_f32 v46, v46, v56, v57
	v_sub_f32_e32 v52, v52, v46
	v_mul_f32_e32 v52, 0x3fb8aa3b, v52
	v_exp_f32_e32 v63, v52
	v_sub_f32_e32 v52, v53, v46
	v_mul_f32_e32 v52, 0x3fb8aa3b, v52
	v_exp_f32_e32 v64, v52
	;; [unrolled: 3-line block ×3, first 2 shown]
	ds_read2_b32 v[52:53], v47 offset0:96 offset1:112
	v_sub_f32_e32 v47, v57, v46
	v_mul_f32_e32 v47, 0x3fb8aa3b, v47
	v_exp_f32_e32 v57, v47
	s_waitcnt lgkmcnt(1)
	v_fma_f32 v47, v63, v58, 0
	v_fmac_f32_e32 v47, v64, v59
	s_waitcnt lgkmcnt(0)
	v_fmac_f32_e32 v47, v56, v52
	v_fmac_f32_e32 v47, v57, v53
	v_add_f32_e32 v52, 0x358637bd, v47
	v_div_scale_f32 v53, s[4:5], v52, v52, 1.0
	v_rcp_f32_e32 v58, v53
	s_barrier
	v_fma_f32 v59, -v53, v58, 1.0
	v_fmac_f32_e32 v58, v59, v58
	v_div_scale_f32 v59, vcc, 1.0, v52, 1.0
	v_mul_f32_e32 v65, v59, v58
	v_fma_f32 v66, -v53, v65, v59
	v_fmac_f32_e32 v65, v66, v58
	v_fma_f32 v53, -v53, v65, v59
	v_div_fmas_f32 v53, v53, v58, v65
	v_cmp_eq_u32_e32 vcc, 1, v62
	v_div_fixup_f32 v52, v53, v52, 1.0
	s_nop 0
	v_cndmask_b32_e32 v53, v63, v64, vcc
	v_cmp_eq_u32_e32 vcc, 2, v62
	s_nop 1
	v_cndmask_b32_e32 v53, v53, v56, vcc
	v_cmp_eq_u32_e32 vcc, 3, v62
	s_nop 1
	v_cndmask_b32_e32 v53, v53, v57, vcc
	v_mul_f32_e32 v52, v53, v52
	v_pk_mul_f32 v[48:49], v[52:53], v[48:49] op_sel_hi:[0,1]
	v_pk_mul_f32 v[50:51], v[52:53], v[50:51] op_sel_hi:[0,1]
	v_bfe_u32 v53, v49, 16, 1
	v_bfe_u32 v56, v48, 16, 1
	v_add3_u32 v48, v48, v56, s8
	v_add3_u32 v49, v49, v53, s8
	v_perm_b32 v58, v49, v48, s44
	v_bfe_u32 v48, v51, 16, 1
	v_bfe_u32 v49, v50, 16, 1
	v_add3_u32 v49, v50, v49, s8
	v_add3_u32 v48, v51, v48, s8
	v_perm_b32 v59, v48, v49, s44
	v_lshlrev_b32_e32 v49, 3, v1
	v_lshlrev_b32_e32 v48, 5, v60
	;; [unrolled: 1-line block ×3, first 2 shown]
	v_pk_mul_f32 v[40:41], v[52:53], v[40:41] op_sel_hi:[0,1]
	v_or3_b32 v56, v50, v48, v49
	v_bfe_u32 v49, v41, 16, 1
	v_bfe_u32 v50, v40, 16, 1
	v_pk_mul_f32 v[44:45], v[52:53], v[44:45] op_sel_hi:[0,1]
	v_add3_u32 v40, v40, v50, s8
	v_add3_u32 v41, v41, v49, s8
	v_perm_b32 v40, v41, v40, s44
	v_bfe_u32 v41, v45, 16, 1
	v_bfe_u32 v49, v44, 16, 1
	v_add3_u32 v44, v44, v49, s8
	v_add3_u32 v41, v45, v41, s8
	v_perm_b32 v41, v41, v44, s44
	v_pk_mul_f32 v[38:39], v[52:53], v[38:39] op_sel_hi:[0,1]
	ds_write2st64_b64 v56, v[58:59], v[40:41] offset1:1
	v_pk_mul_f32 v[40:41], v[52:53], v[42:43] op_sel_hi:[0,1]
	v_bfe_u32 v42, v39, 16, 1
	v_bfe_u32 v43, v38, 16, 1
	v_add3_u32 v38, v38, v43, s8
	v_add3_u32 v39, v39, v42, s8
	v_perm_b32 v38, v39, v38, s44
	v_bfe_u32 v39, v41, 16, 1
	v_bfe_u32 v42, v40, 16, 1
	v_add3_u32 v40, v40, v42, s8
	v_add3_u32 v39, v41, v39, s8
	v_pk_mul_f32 v[36:37], v[52:53], v[36:37] op_sel_hi:[0,1]
	v_perm_b32 v39, v39, v40, s44
	v_bfe_u32 v40, v37, 16, 1
	v_bfe_u32 v41, v36, 16, 1
	v_pk_mul_f32 v[34:35], v[52:53], v[34:35] op_sel_hi:[0,1]
	v_add3_u32 v36, v36, v41, s8
	v_add3_u32 v37, v37, v40, s8
	v_perm_b32 v36, v37, v36, s44
	v_bfe_u32 v37, v35, 16, 1
	v_bfe_u32 v40, v34, 16, 1
	v_add3_u32 v34, v34, v40, s8
	v_add3_u32 v35, v35, v37, s8
	v_perm_b32 v37, v35, v34, s44
	v_cmp_gt_u32_e32 vcc, 2, v0
	ds_write2st64_b64 v56, v[38:39], v[36:37] offset0:2 offset1:3
	s_and_saveexec_b64 s[4:5], vcc
	s_cbranch_execz .LBB1265_17
; %bb.16:
	v_or_b32_e32 v34, s11, v0
	v_mov_b32_e32 v35, 0
	v_mov_b32_e32 v36, s7
	v_mad_u64_u32 v[36:37], s[16:17], s2, v36, v[34:35]
	v_mov_b32_e32 v34, s10
	s_load_dwordx4 s[12:15], s[0:1], 0x58
	s_mul_i32 s3, s3, s7
	v_mad_u64_u32 v[34:35], s[16:17], v36, s6, v[34:35]
	v_add_u32_e32 v37, s3, v37
	v_mov_b32_e32 v36, v35
	v_mad_u64_u32 v[36:37], s[16:17], v37, s6, v[36:37]
	v_mov_b32_e32 v35, v36
	v_lshlrev_b64 v[34:35], 2, v[34:35]
	s_waitcnt lgkmcnt(0)
	v_lshl_add_u64 v[36:37], s[14:15], 0, v[34:35]
	v_lshl_add_u64 v[34:35], s[12:13], 0, v[34:35]
	global_store_dword v[36:37], v46, off
	global_store_dword v[34:35], v47, off
.LBB1265_17:
	s_or_b64 exec, exec, s[4:5]
	s_waitcnt vmcnt(7)
	v_cvt_pk_f32_fp8_e32 v[34:35], v14
	v_cvt_pk_f32_fp8_sdwa v[36:37], v14 src0_sel:WORD_1
	v_lshl_or_b32 v50, v1, 9, v48
	s_mov_b32 s5, 0x7060302
	s_waitcnt lgkmcnt(0)
	s_barrier
	v_cvt_pk_f32_fp8_e32 v[38:39], v15
	v_perm_b32 v14, v35, v34, s5
	v_cvt_pk_f32_fp8_sdwa v[40:41], v15 src0_sel:WORD_1
	v_perm_b32 v15, v37, v36, s5
	ds_read_b128 v[34:37], v50
	v_perm_b32 v46, v39, v38, s5
	v_perm_b32 v47, v41, v40, s5
	ds_read_b128 v[38:41], v50 offset:16
	v_cvt_pk_f32_fp8_e32 v[48:49], v16
	v_cvt_pk_f32_fp8_sdwa v[52:53], v16 src0_sel:WORD_1
	s_waitcnt lgkmcnt(1)
	v_mfma_f32_16x16x16_bf16 v[42:45], v[14:15], v[34:35], 0
	s_waitcnt vmcnt(6)
	v_cvt_pk_f32_fp8_e32 v[58:59], v12
	v_perm_b32 v14, v49, v48, s5
	v_perm_b32 v15, v53, v52, s5
	v_cvt_pk_f32_fp8_e32 v[48:49], v17
	v_mfma_f32_16x16x16_bf16 v[42:45], v[46:47], v[36:37], v[42:45]
	v_cvt_pk_f32_fp8_sdwa v[46:47], v17 src0_sel:WORD_1
	v_cvt_pk_f32_fp8_sdwa v[62:63], v12 src0_sel:WORD_1
	v_perm_b32 v48, v49, v48, s5
	s_waitcnt lgkmcnt(0)
	v_mfma_f32_16x16x16_bf16 v[14:17], v[14:15], v[38:39], v[42:45]
	v_perm_b32 v49, v47, v46, s5
	s_waitcnt vmcnt(5)
	v_cvt_pk_f32_fp8_sdwa v[66:67], v8 src0_sel:WORD_1
	s_waitcnt vmcnt(4)
	v_cvt_pk_f32_fp8_sdwa v[68:69], v4 src0_sel:WORD_1
	v_cvt_pk_f32_fp8_e32 v[42:43], v10
	v_mfma_f32_16x16x16_bf16 v[46:49], v[48:49], v[40:41], v[14:17]
	s_load_dword s4, s[42:43], 0x0
	s_waitcnt vmcnt(3)
	v_cvt_pk_f32_fp8_sdwa v[70:71], v32 src0_sel:WORD_1
	v_cvt_pk_f32_fp8_sdwa v[14:15], v10 src0_sel:WORD_1
	v_cvt_pk_f32_fp8_e32 v[16:17], v11
	v_perm_b32 v10, v43, v42, s5
	v_cvt_pk_f32_fp8_sdwa v[42:43], v11 src0_sel:WORD_1
	v_perm_b32 v11, v15, v14, s5
	v_perm_b32 v52, v17, v16, s5
	ds_read_b128 v[14:17], v50 offset:2048
	v_perm_b32 v53, v43, v42, s5
	ds_read_b128 v[42:45], v50 offset:2064
	s_waitcnt lgkmcnt(0)
	v_mfma_f32_16x16x16_bf16 v[46:49], v[10:11], v[14:15], v[46:49]
	v_perm_b32 v10, v59, v58, s5
	v_perm_b32 v11, v63, v62, s5
	v_cvt_pk_f32_fp8_e32 v[58:59], v13
	v_mfma_f32_16x16x16_bf16 v[46:49], v[52:53], v[16:17], v[46:49]
	v_cvt_pk_f32_fp8_sdwa v[52:53], v13 src0_sel:WORD_1
	v_cmp_gt_u32_e32 vcc, 64, v0
	v_perm_b32 v58, v59, v58, s5
	v_mfma_f32_16x16x16_bf16 v[10:13], v[10:11], v[42:43], v[46:49]
	v_perm_b32 v59, v53, v52, s5
	s_mov_b32 s3, 0
	s_nop 0
	v_cvt_pk_f32_fp8_e32 v[46:47], v6
	v_mfma_f32_16x16x16_bf16 v[62:65], v[58:59], v[44:45], v[10:13]
	v_cvt_pk_f32_fp8_e32 v[58:59], v8
	s_nop 1
	v_cvt_pk_f32_fp8_sdwa v[10:11], v6 src0_sel:WORD_1
	v_cvt_pk_f32_fp8_e32 v[12:13], v7
	v_perm_b32 v6, v47, v46, s5
	v_cvt_pk_f32_fp8_sdwa v[46:47], v7 src0_sel:WORD_1
	v_perm_b32 v7, v11, v10, s5
	v_perm_b32 v52, v13, v12, s5
	ds_read_b128 v[10:13], v50 offset:4096
	v_perm_b32 v53, v47, v46, s5
	ds_read_b128 v[46:49], v50 offset:4112
	s_waitcnt lgkmcnt(1)
	v_mfma_f32_16x16x16_bf16 v[62:65], v[6:7], v[10:11], v[62:65]
	v_perm_b32 v6, v59, v58, s5
	v_perm_b32 v7, v67, v66, s5
	v_cvt_pk_f32_fp8_e32 v[58:59], v9
	v_mfma_f32_16x16x16_bf16 v[62:65], v[52:53], v[12:13], v[62:65]
	v_cvt_pk_f32_fp8_sdwa v[52:53], v9 src0_sel:WORD_1
	v_cvt_pk_f32_fp8_e32 v[66:67], v4
	v_perm_b32 v58, v59, v58, s5
	s_waitcnt lgkmcnt(0)
	v_mfma_f32_16x16x16_bf16 v[6:9], v[6:7], v[46:47], v[62:65]
	v_perm_b32 v59, v53, v52, s5
	v_cvt_pk_f32_fp8_e32 v[52:53], v2
	s_nop 0
	v_mfma_f32_16x16x16_bf16 v[62:65], v[58:59], v[48:49], v[6:9]
	s_nop 2
	v_cvt_pk_f32_fp8_sdwa v[6:7], v2 src0_sel:WORD_1
	v_cvt_pk_f32_fp8_e32 v[8:9], v3
	v_perm_b32 v2, v53, v52, s5
	v_cvt_pk_f32_fp8_sdwa v[52:53], v3 src0_sel:WORD_1
	v_perm_b32 v3, v7, v6, s5
	v_perm_b32 v58, v9, v8, s5
	ds_read_b128 v[6:9], v50 offset:6144
	v_perm_b32 v59, v53, v52, s5
	s_waitcnt lgkmcnt(0)
	v_mfma_f32_16x16x16_bf16 v[62:65], v[2:3], v[6:7], v[62:65]
	ds_read_b128 v[50:53], v50 offset:6160
	v_perm_b32 v2, v67, v66, s5
	v_perm_b32 v3, v69, v68, s5
	v_cvt_pk_f32_fp8_e32 v[66:67], v5
	v_mfma_f32_16x16x16_bf16 v[62:65], v[58:59], v[8:9], v[62:65]
	v_cvt_pk_f32_fp8_sdwa v[58:59], v5 src0_sel:WORD_1
	v_cvt_pk_f32_fp8_e32 v[68:69], v32
	v_perm_b32 v66, v67, v66, s5
	s_waitcnt lgkmcnt(0)
	v_mfma_f32_16x16x16_bf16 v[2:5], v[2:3], v[50:51], v[62:65]
	v_perm_b32 v67, v59, v58, s5
	v_cvt_pk_f32_fp8_sdwa v[58:59], v30 src0_sel:WORD_1
	s_nop 0
	v_mfma_f32_16x16x16_bf16 v[62:65], v[66:67], v[52:53], v[2:5]
	s_barrier
	s_nop 1
	v_cvt_pk_f32_fp8_e32 v[4:5], v30
	s_nop 2
	v_pk_mul_f32 v[66:67], v[62:63], s[4:5] op_sel_hi:[1,0]
	v_cvt_pk_f32_fp8_e32 v[62:63], v31
	v_perm_b32 v4, v5, v4, s5
	v_perm_b32 v5, v59, v58, s5
	v_cvt_pk_f32_fp8_sdwa v[30:31], v31 src0_sel:WORD_1
	v_perm_b32 v58, v63, v62, s5
	v_pk_mul_f32 v[2:3], v[64:65], s[4:5] op_sel_hi:[1,0]
	v_mfma_f32_16x16x16_bf16 v[62:65], v[4:5], v[34:35], 0
	v_perm_b32 v59, v31, v30, s5
	v_perm_b32 v4, v69, v68, s5
	;; [unrolled: 1-line block ×3, first 2 shown]
	v_cvt_pk_f32_fp8_e32 v[34:35], v33
	v_cvt_pk_f32_fp8_sdwa v[68:69], v33 src0_sel:WORD_1
	v_mfma_f32_16x16x16_bf16 v[30:33], v[58:59], v[36:37], v[62:65]
	s_waitcnt vmcnt(2)
	v_cvt_pk_f32_fp8_sdwa v[36:37], v26 src0_sel:WORD_1
	v_perm_b32 v34, v35, v34, s5
	v_perm_b32 v35, v69, v68, s5
	v_mfma_f32_16x16x16_bf16 v[30:33], v[4:5], v[38:39], v[30:33]
	v_cvt_pk_f32_fp8_e32 v[4:5], v26
	v_cvt_pk_f32_fp8_sdwa v[38:39], v28 src0_sel:WORD_1
	v_bfe_u32 v57, v67, 16, 1
	v_mfma_f32_16x16x16_bf16 v[30:33], v[34:35], v[40:41], v[30:33]
	v_cvt_pk_f32_fp8_e32 v[34:35], v27
	v_perm_b32 v4, v5, v4, s5
	v_perm_b32 v5, v37, v36, s5
	v_cvt_pk_f32_fp8_sdwa v[26:27], v27 src0_sel:WORD_1
	v_perm_b32 v34, v35, v34, s5
	v_cvt_pk_f32_fp8_e32 v[36:37], v28
	v_mfma_f32_16x16x16_bf16 v[30:33], v[4:5], v[14:15], v[30:33]
	v_perm_b32 v35, v27, v26, s5
	v_perm_b32 v4, v37, v36, s5
	;; [unrolled: 1-line block ×3, first 2 shown]
	v_cvt_pk_f32_fp8_e32 v[26:27], v29
	v_cvt_pk_f32_fp8_sdwa v[28:29], v29 src0_sel:WORD_1
	v_mfma_f32_16x16x16_bf16 v[14:17], v[34:35], v[16:17], v[30:33]
	v_bfe_u32 v58, v66, 16, 1
	v_perm_b32 v26, v27, v26, s5
	v_perm_b32 v27, v29, v28, s5
	v_mfma_f32_16x16x16_bf16 v[14:17], v[4:5], v[42:43], v[14:17]
	s_waitcnt vmcnt(1)
	v_cvt_pk_f32_fp8_e32 v[4:5], v22
	v_cvt_pk_f32_fp8_sdwa v[28:29], v22 src0_sel:WORD_1
	v_cvt_pk_f32_fp8_sdwa v[30:31], v24 src0_sel:WORD_1
	v_mfma_f32_16x16x16_bf16 v[14:17], v[26:27], v[44:45], v[14:17]
	v_cvt_pk_f32_fp8_e32 v[26:27], v23
	v_perm_b32 v4, v5, v4, s5
	v_perm_b32 v5, v29, v28, s5
	v_cvt_pk_f32_fp8_sdwa v[22:23], v23 src0_sel:WORD_1
	v_perm_b32 v26, v27, v26, s5
	v_cvt_pk_f32_fp8_e32 v[28:29], v24
	v_mfma_f32_16x16x16_bf16 v[14:17], v[4:5], v[10:11], v[14:17]
	v_perm_b32 v27, v23, v22, s5
	v_perm_b32 v4, v29, v28, s5
	;; [unrolled: 1-line block ×3, first 2 shown]
	v_cvt_pk_f32_fp8_e32 v[22:23], v25
	v_cvt_pk_f32_fp8_sdwa v[24:25], v25 src0_sel:WORD_1
	v_mfma_f32_16x16x16_bf16 v[10:13], v[26:27], v[12:13], v[14:17]
	v_add3_u32 v32, v66, v58, s8
	v_add3_u32 v33, v67, v57, s8
	s_nop 0
	v_perm_b32 v16, v23, v22, s5
	v_perm_b32 v17, v25, v24, s5
	v_mfma_f32_16x16x16_bf16 v[10:13], v[4:5], v[46:47], v[10:13]
	s_waitcnt vmcnt(0)
	v_cvt_pk_f32_fp8_e32 v[4:5], v18
	v_cvt_pk_f32_fp8_sdwa v[22:23], v18 src0_sel:WORD_1
	v_cvt_pk_f32_fp8_sdwa v[24:25], v20 src0_sel:WORD_1
	v_mfma_f32_16x16x16_bf16 v[10:13], v[16:17], v[48:49], v[10:13]
	v_cvt_pk_f32_fp8_e32 v[16:17], v19
	v_perm_b32 v4, v5, v4, s5
	v_perm_b32 v5, v23, v22, s5
	v_cvt_pk_f32_fp8_sdwa v[18:19], v19 src0_sel:WORD_1
	v_perm_b32 v16, v17, v16, s5
	v_cvt_pk_f32_fp8_e32 v[22:23], v20
	v_mfma_f32_16x16x16_bf16 v[4:7], v[4:5], v[6:7], v[10:13]
	v_perm_b32 v17, v19, v18, s5
	v_cvt_pk_f32_fp8_sdwa v[18:19], v21 src0_sel:WORD_1
	s_nop 0
	v_perm_b32 v10, v23, v22, s5
	v_perm_b32 v11, v25, v24, s5
	v_cvt_pk_f32_fp8_e32 v[12:13], v21
	v_mfma_f32_16x16x16_bf16 v[4:7], v[16:17], v[8:9], v[4:7]
	v_perm_b32 v9, v19, v18, s5
	v_bfe_u32 v15, v3, 16, 1
	v_perm_b32 v8, v13, v12, s5
	v_mfma_f32_16x16x16_bf16 v[4:7], v[10:11], v[50:51], v[4:7]
	v_bfe_u32 v16, v2, 16, 1
	v_add3_u32 v2, v2, v16, s8
	v_add3_u32 v3, v3, v15, s8
	v_perm_b32 v15, v3, v2, s5
	v_mfma_f32_16x16x16_bf16 v[2:5], v[8:9], v[52:53], v[4:7]
	v_perm_b32 v14, v33, v32, s5
	s_nop 5
	v_pk_mul_f32 v[2:3], v[2:3], s[4:5] op_sel_hi:[1,0]
	v_pk_mul_f32 v[4:5], v[4:5], s[4:5] op_sel_hi:[1,0]
	v_bfe_u32 v6, v3, 16, 1
	v_bfe_u32 v7, v2, 16, 1
	v_add3_u32 v2, v2, v7, s8
	v_add3_u32 v3, v3, v6, s8
	v_perm_b32 v2, v3, v2, s5
	v_bfe_u32 v3, v5, 16, 1
	v_bfe_u32 v6, v4, 16, 1
	v_add3_u32 v4, v4, v6, s8
	v_add3_u32 v3, v5, v3, s8
	v_perm_b32 v3, v3, v4, s5
	v_cmp_gt_u32_e64 s[4:5], 32, v55
	s_and_b64 s[4:5], vcc, s[4:5]
	ds_write2st64_b64 v56, v[14:15], v[2:3] offset1:1
	s_waitcnt lgkmcnt(0)
	s_barrier
	s_and_saveexec_b64 s[8:9], s[4:5]
	s_cbranch_execz .LBB1265_19
; %bb.18:
	s_load_dwordx2 s[0:1], s[0:1], 0x68
	s_mul_i32 s2, s7, s2
	s_lshl_b32 s6, s6, 7
	v_lshlrev_b32_e32 v4, 6, v60
	s_mul_hi_u32 s5, s2, s6
	s_mul_i32 s4, s2, s6
	v_lshl_or_b32 v0, v0, 10, v4
	s_lshl_b64 s[4:5], s[4:5], 1
	v_lshlrev_b32_e32 v2, 5, v1
	v_and_b32_e32 v3, 16, v61
	v_and_b32_e32 v0, 0x1a00, v0
	s_waitcnt lgkmcnt(0)
	s_add_u32 s4, s0, s4
	v_or3_b32 v0, v0, v2, v3
	s_addc_u32 s5, s1, s5
	s_lshl_b32 s2, s10, 7
	ds_read_b128 v[2:5], v0
	s_lshl_b64 s[0:1], s[2:3], 1
	s_add_u32 s0, s4, s0
	v_or_b32_e32 v0, s11, v1
	s_addc_u32 s1, s5, s1
	v_mad_u64_u32 v[0:1], s[2:3], s6, v0, 0
	v_lshl_add_u64 v[0:1], v[0:1], 1, s[0:1]
	v_mov_b32_e32 v55, 0
	v_lshl_add_u64 v[0:1], v[0:1], 0, v[54:55]
	s_waitcnt lgkmcnt(0)
	global_store_dwordx4 v[0:1], v[2:5], off
.LBB1265_19:
	s_endpgm
	.section	.rodata,"a",@progbits
	.p2align	6, 0x0
	.amdhsa_kernel _Z39paged_attention_ll4mi_QKV_mfma16_kernelI14__hip_bfloat16hLN4vllm18Fp8KVCacheDataTypeE1EhLi16ELi128ELi256ELb1ELi2EEvPKT_PKT0_S8_ifPKiSA_SA_iPKfiiiPfSD_PS3_PT2_iSC_SC_
		.amdhsa_group_segment_fixed_size 8192
		.amdhsa_private_segment_fixed_size 0
		.amdhsa_kernarg_size 400
		.amdhsa_user_sgpr_count 2
		.amdhsa_user_sgpr_dispatch_ptr 0
		.amdhsa_user_sgpr_queue_ptr 0
		.amdhsa_user_sgpr_kernarg_segment_ptr 1
		.amdhsa_user_sgpr_dispatch_id 0
		.amdhsa_user_sgpr_kernarg_preload_length 0
		.amdhsa_user_sgpr_kernarg_preload_offset 0
		.amdhsa_user_sgpr_private_segment_size 0
		.amdhsa_uses_dynamic_stack 0
		.amdhsa_enable_private_segment 0
		.amdhsa_system_sgpr_workgroup_id_x 1
		.amdhsa_system_sgpr_workgroup_id_y 1
		.amdhsa_system_sgpr_workgroup_id_z 1
		.amdhsa_system_sgpr_workgroup_info 0
		.amdhsa_system_vgpr_workitem_id 0
		.amdhsa_next_free_vgpr 80
		.amdhsa_next_free_sgpr 48
		.amdhsa_accum_offset 80
		.amdhsa_reserve_vcc 1
		.amdhsa_float_round_mode_32 0
		.amdhsa_float_round_mode_16_64 0
		.amdhsa_float_denorm_mode_32 3
		.amdhsa_float_denorm_mode_16_64 3
		.amdhsa_dx10_clamp 1
		.amdhsa_ieee_mode 1
		.amdhsa_fp16_overflow 0
		.amdhsa_tg_split 0
		.amdhsa_exception_fp_ieee_invalid_op 0
		.amdhsa_exception_fp_denorm_src 0
		.amdhsa_exception_fp_ieee_div_zero 0
		.amdhsa_exception_fp_ieee_overflow 0
		.amdhsa_exception_fp_ieee_underflow 0
		.amdhsa_exception_fp_ieee_inexact 0
		.amdhsa_exception_int_div_zero 0
	.end_amdhsa_kernel
	.section	.text._Z39paged_attention_ll4mi_QKV_mfma16_kernelI14__hip_bfloat16hLN4vllm18Fp8KVCacheDataTypeE1EhLi16ELi128ELi256ELb1ELi2EEvPKT_PKT0_S8_ifPKiSA_SA_iPKfiiiPfSD_PS3_PT2_iSC_SC_,"axG",@progbits,_Z39paged_attention_ll4mi_QKV_mfma16_kernelI14__hip_bfloat16hLN4vllm18Fp8KVCacheDataTypeE1EhLi16ELi128ELi256ELb1ELi2EEvPKT_PKT0_S8_ifPKiSA_SA_iPKfiiiPfSD_PS3_PT2_iSC_SC_,comdat
.Lfunc_end1265:
	.size	_Z39paged_attention_ll4mi_QKV_mfma16_kernelI14__hip_bfloat16hLN4vllm18Fp8KVCacheDataTypeE1EhLi16ELi128ELi256ELb1ELi2EEvPKT_PKT0_S8_ifPKiSA_SA_iPKfiiiPfSD_PS3_PT2_iSC_SC_, .Lfunc_end1265-_Z39paged_attention_ll4mi_QKV_mfma16_kernelI14__hip_bfloat16hLN4vllm18Fp8KVCacheDataTypeE1EhLi16ELi128ELi256ELb1ELi2EEvPKT_PKT0_S8_ifPKiSA_SA_iPKfiiiPfSD_PS3_PT2_iSC_SC_
                                        ; -- End function
	.section	.AMDGPU.csdata,"",@progbits
; Kernel info:
; codeLenInByte = 6516
; NumSgprs: 54
; NumVgprs: 80
; NumAgprs: 0
; TotalNumVgprs: 80
; ScratchSize: 0
; MemoryBound: 0
; FloatMode: 240
; IeeeMode: 1
; LDSByteSize: 8192 bytes/workgroup (compile time only)
; SGPRBlocks: 6
; VGPRBlocks: 9
; NumSGPRsForWavesPerEU: 54
; NumVGPRsForWavesPerEU: 80
; AccumOffset: 80
; Occupancy: 6
; WaveLimiterHint : 1
; COMPUTE_PGM_RSRC2:SCRATCH_EN: 0
; COMPUTE_PGM_RSRC2:USER_SGPR: 2
; COMPUTE_PGM_RSRC2:TRAP_HANDLER: 0
; COMPUTE_PGM_RSRC2:TGID_X_EN: 1
; COMPUTE_PGM_RSRC2:TGID_Y_EN: 1
; COMPUTE_PGM_RSRC2:TGID_Z_EN: 1
; COMPUTE_PGM_RSRC2:TIDIG_COMP_CNT: 0
; COMPUTE_PGM_RSRC3_GFX90A:ACCUM_OFFSET: 19
; COMPUTE_PGM_RSRC3_GFX90A:TG_SPLIT: 0
	.section	.text._Z39paged_attention_ll4mi_QKV_mfma16_kernelI14__hip_bfloat16hLN4vllm18Fp8KVCacheDataTypeE1EhLi16ELi128ELi256ELb1ELi3EEvPKT_PKT0_S8_ifPKiSA_SA_iPKfiiiPfSD_PS3_PT2_iSC_SC_,"axG",@progbits,_Z39paged_attention_ll4mi_QKV_mfma16_kernelI14__hip_bfloat16hLN4vllm18Fp8KVCacheDataTypeE1EhLi16ELi128ELi256ELb1ELi3EEvPKT_PKT0_S8_ifPKiSA_SA_iPKfiiiPfSD_PS3_PT2_iSC_SC_,comdat
	.protected	_Z39paged_attention_ll4mi_QKV_mfma16_kernelI14__hip_bfloat16hLN4vllm18Fp8KVCacheDataTypeE1EhLi16ELi128ELi256ELb1ELi3EEvPKT_PKT0_S8_ifPKiSA_SA_iPKfiiiPfSD_PS3_PT2_iSC_SC_ ; -- Begin function _Z39paged_attention_ll4mi_QKV_mfma16_kernelI14__hip_bfloat16hLN4vllm18Fp8KVCacheDataTypeE1EhLi16ELi128ELi256ELb1ELi3EEvPKT_PKT0_S8_ifPKiSA_SA_iPKfiiiPfSD_PS3_PT2_iSC_SC_
	.globl	_Z39paged_attention_ll4mi_QKV_mfma16_kernelI14__hip_bfloat16hLN4vllm18Fp8KVCacheDataTypeE1EhLi16ELi128ELi256ELb1ELi3EEvPKT_PKT0_S8_ifPKiSA_SA_iPKfiiiPfSD_PS3_PT2_iSC_SC_
	.p2align	8
	.type	_Z39paged_attention_ll4mi_QKV_mfma16_kernelI14__hip_bfloat16hLN4vllm18Fp8KVCacheDataTypeE1EhLi16ELi128ELi256ELb1ELi3EEvPKT_PKT0_S8_ifPKiSA_SA_iPKfiiiPfSD_PS3_PT2_iSC_SC_,@function
_Z39paged_attention_ll4mi_QKV_mfma16_kernelI14__hip_bfloat16hLN4vllm18Fp8KVCacheDataTypeE1EhLi16ELi128ELi256ELb1ELi3EEvPKT_PKT0_S8_ifPKiSA_SA_iPKfiiiPfSD_PS3_PT2_iSC_SC_: ; @_Z39paged_attention_ll4mi_QKV_mfma16_kernelI14__hip_bfloat16hLN4vllm18Fp8KVCacheDataTypeE1EhLi16ELi128ELi256ELb1ELi3EEvPKT_PKT0_S8_ifPKiSA_SA_iPKfiiiPfSD_PS3_PT2_iSC_SC_
; %bb.0:
	s_load_dwordx2 s[10:11], s[0:1], 0x30
	s_mov_b32 s6, s3
	s_mov_b64 s[8:9], 0
	s_waitcnt lgkmcnt(0)
	s_cmp_lg_u64 s[10:11], 0
	s_cselect_b64 s[12:13], -1, 0
	s_and_b64 vcc, exec, s[12:13]
	s_cbranch_vccz .LBB1266_7
; %bb.1:
	s_add_i32 s14, s2, 1
	s_mov_b32 s15, 0
	s_lshl_b64 s[16:17], s[14:15], 2
	s_add_u32 s16, s10, s16
	s_mov_b32 s3, s15
	s_addc_u32 s17, s11, s17
	s_lshl_b64 s[14:15], s[2:3], 2
	s_add_u32 s14, s10, s14
	s_addc_u32 s15, s11, s15
	s_load_dword s5, s[16:17], 0x0
	s_load_dword s7, s[14:15], 0x0
	s_waitcnt lgkmcnt(0)
	s_sub_i32 s5, s5, s7
	s_cmp_eq_u32 s5, 1
	s_cselect_b64 s[14:15], -1, 0
	s_andn2_b64 vcc, exec, s[8:9]
	s_cbranch_vccnz .LBB1266_3
.LBB1266_2:
	s_mov_b32 s3, 0
	s_mov_b64 s[14:15], -1
.LBB1266_3:
	s_andn2_b64 vcc, exec, s[14:15]
	s_cbranch_vccnz .LBB1266_19
; %bb.4:
	s_load_dwordx2 s[8:9], s[0:1], 0x28
	s_lshl_b64 s[16:17], s[2:3], 2
	s_waitcnt lgkmcnt(0)
	s_add_u32 s8, s8, s16
	s_addc_u32 s9, s9, s17
	s_load_dword s7, s[8:9], 0x0
	s_lshl_b32 s18, s6, 8
	s_waitcnt lgkmcnt(0)
	s_cmp_ge_i32 s18, s7
	s_cbranch_scc1 .LBB1266_19
; %bb.5:
	s_load_dwordx2 s[8:9], s[0:1], 0x20
	s_load_dword s5, s[0:1], 0x38
	s_add_i32 s14, s7, 15
	s_ashr_i32 s15, s14, 31
	v_and_b32_e32 v1, 0xcf, v0
	s_lshr_b32 s15, s15, 28
	v_add_u32_e32 v1, s18, v1
	s_add_i32 s14, s14, s15
	v_ashrrev_i32_e32 v2, 31, v1
	s_ashr_i32 s19, s14, 4
	v_lshrrev_b32_e32 v4, 28, v2
	s_add_i32 s19, s19, -1
	s_waitcnt lgkmcnt(0)
	s_mul_i32 s14, s2, s5
	s_mov_b32 s15, 0
	v_add_u32_e32 v2, v1, v4
	s_lshl_b64 s[14:15], s[14:15], 2
	v_ashrrev_i32_e32 v2, 4, v2
	v_mov_b32_e32 v5, s19
	v_cmp_gt_i32_e32 vcc, s7, v1
	s_add_u32 s8, s8, s14
	s_addc_u32 s9, s9, s15
	v_cndmask_b32_e32 v2, v5, v2, vcc
	v_ashrrev_i32_e32 v3, 31, v2
	v_lshl_add_u64 v[6:7], v[2:3], 2, s[8:9]
	v_or_b32_e32 v2, 16, v1
	v_add_u32_e32 v3, v2, v4
	v_ashrrev_i32_e32 v3, 4, v3
	v_cmp_gt_i32_e32 vcc, s7, v2
	s_load_dwordx2 s[14:15], s[0:1], 0x8
	s_nop 0
	v_cndmask_b32_e32 v2, v5, v3, vcc
	v_ashrrev_i32_e32 v3, 31, v2
	v_lshl_add_u64 v[8:9], v[2:3], 2, s[8:9]
	v_or_b32_e32 v2, 32, v1
	v_add_u32_e32 v3, v2, v4
	v_ashrrev_i32_e32 v3, 4, v3
	v_cmp_gt_i32_e32 vcc, s7, v2
	v_or_b32_e32 v1, 48, v1
	s_nop 0
	v_cndmask_b32_e32 v2, v5, v3, vcc
	v_ashrrev_i32_e32 v3, 31, v2
	v_lshl_add_u64 v[12:13], v[2:3], 2, s[8:9]
	v_add_u32_e32 v2, v1, v4
	v_ashrrev_i32_e32 v2, 4, v2
	v_cmp_gt_i32_e32 vcc, s7, v1
	s_nop 1
	v_cndmask_b32_e32 v2, v5, v2, vcc
	v_ashrrev_i32_e32 v3, 31, v2
	v_lshl_add_u64 v[14:15], v[2:3], 2, s[8:9]
	global_load_dword v4, v[6:7], off
	global_load_dword v3, v[8:9], off
	;; [unrolled: 1-line block ×4, first 2 shown]
	s_andn2_b64 vcc, exec, s[12:13]
	s_cbranch_vccnz .LBB1266_8
; %bb.6:
	s_add_u32 s10, s10, s16
	s_addc_u32 s11, s11, s17
	s_load_dword s5, s[10:11], 0x0
	s_branch .LBB1266_9
.LBB1266_7:
	s_mov_b64 s[14:15], 0
	s_branch .LBB1266_2
.LBB1266_8:
	s_mov_b32 s5, s2
.LBB1266_9:
	s_load_dwordx2 s[10:11], s[0:1], 0x10
	s_load_dwordx4 s[44:47], s[0:1], 0x48
	v_lshrrev_b32_e32 v57, 6, v0
	v_bfe_u32 v60, v0, 4, 2
	v_and_b32_e32 v56, 15, v0
	s_mul_i32 s48, s4, 3
	v_lshl_or_b32 v5, v57, 2, v60
	v_lshlrev_b32_e32 v6, 3, v56
	v_add_u32_e32 v1, s48, v60
	v_cmp_gt_u32_e32 vcc, 3, v5
	v_lshlrev_b32_e32 v54, 1, v6
	v_lshlrev_b32_e32 v61, 4, v0
	s_and_saveexec_b64 s[12:13], vcc
	s_cbranch_execz .LBB1266_11
; %bb.10:
	s_load_dwordx2 s[16:17], s[0:1], 0x0
	s_waitcnt lgkmcnt(0)
	s_ashr_i32 s20, s44, 31
	s_mul_hi_u32 s21, s5, s44
	s_mul_i32 s20, s5, s20
	s_add_i32 s21, s21, s20
	s_mul_i32 s20, s5, s44
	s_lshl_b64 s[20:21], s[20:21], 1
	s_add_u32 s16, s16, s20
	v_lshlrev_b32_e32 v6, 7, v1
	s_addc_u32 s17, s17, s21
	v_ashrrev_i32_e32 v7, 31, v6
	v_lshl_add_u64 v[6:7], v[6:7], 1, s[16:17]
	v_mov_b32_e32 v55, 0
	v_lshl_add_u64 v[6:7], v[6:7], 0, v[54:55]
	global_load_dwordx4 v[6:9], v[6:7], off
	v_lshlrev_b32_e32 v12, 8, v0
	v_lshlrev_b32_e32 v11, 8, v56
	v_and_b32_e32 v12, 0x600, v12
	s_movk_i32 s5, 0x800
	v_and_or_b32 v11, v11, s5, v12
	v_lshlrev_b32_e32 v5, 5, v5
	v_and_b32_e32 v12, 16, v61
	v_or3_b32 v5, v11, v5, v12
	s_waitcnt vmcnt(0)
	ds_write_b128 v5, v[6:9]
.LBB1266_11:
	s_or_b64 exec, exec, s[12:13]
	s_waitcnt lgkmcnt(0)
	s_mul_i32 s12, s4, s46
	s_add_u32 s4, s14, s12
	s_addc_u32 s5, s15, 0
	v_and_b32_e32 v58, 0xf0, v61
	v_mov_b32_e32 v59, 0
	v_and_b32_e32 v34, 48, v0
	v_lshl_add_u64 v[12:13], s[4:5], 0, v[58:59]
	v_lshlrev_b32_e32 v58, 4, v34
	s_waitcnt vmcnt(3)
	v_mad_i64_i32 v[4:5], s[4:5], v4, s45, v[12:13]
	v_lshl_add_u64 v[4:5], v[4:5], 0, v[58:59]
	s_barrier
	global_load_dwordx4 v[50:53], v[4:5], off
	global_load_dwordx4 v[46:49], v[4:5], off offset:1024
	s_waitcnt vmcnt(4)
	v_mad_i64_i32 v[4:5], s[4:5], v3, s45, v[12:13]
	s_waitcnt vmcnt(3)
	v_mad_i64_i32 v[2:3], s[4:5], v2, s45, v[12:13]
	v_lshl_add_u64 v[4:5], v[4:5], 0, v[58:59]
	v_lshl_add_u64 v[14:15], v[2:3], 0, v[58:59]
	s_waitcnt vmcnt(2)
	v_mad_i64_i32 v[10:11], s[4:5], v10, s45, v[12:13]
	global_load_dwordx4 v[36:39], v[4:5], off
	global_load_dwordx4 v[6:9], v[4:5], off offset:1024
	s_nop 0
	global_load_dwordx4 v[2:5], v[14:15], off
	global_load_dwordx4 v[42:45], v[14:15], off offset:1024
	v_lshl_add_u64 v[14:15], v[10:11], 0, v[58:59]
	global_load_dwordx4 v[22:25], v[14:15], off
	global_load_dwordx4 v[10:13], v[14:15], off offset:1024
	v_mul_lo_u16_e32 v14, 0x56, v56
	v_mov_b32_e32 v15, 3
	v_mul_lo_u16_sdwa v14, v14, v15 dst_sel:DWORD dst_unused:UNUSED_PAD src0_sel:BYTE_1 src1_sel:DWORD
	v_sub_u16_e32 v14, v56, v14
	v_mov_b32_e32 v15, 5
	v_lshlrev_b32_sdwa v14, v15, v14 dst_sel:DWORD dst_unused:UNUSED_PAD src0_sel:DWORD src1_sel:BYTE_0
	v_lshl_add_u32 v14, v60, 9, v14
	ds_read_b128 v[30:33], v14
	ds_read_b128 v[26:29], v14 offset:16
	ds_read_b128 v[18:21], v14 offset:2048
	;; [unrolled: 1-line block ×3, first 2 shown]
	v_and_b32_e32 v55, 63, v0
	v_cmp_gt_u32_e32 vcc, 3, v56
	v_mov_b32_e32 v62, 0
	s_and_saveexec_b64 s[4:5], vcc
	s_cbranch_execz .LBB1266_13
; %bb.12:
	s_load_dwordx2 s[14:15], s[0:1], 0x40
	v_add_u32_e32 v40, s48, v56
	v_ashrrev_i32_e32 v41, 31, v40
	s_waitcnt lgkmcnt(0)
	v_lshl_add_u64 v[40:41], v[40:41], 2, s[14:15]
	global_load_dword v62, v[40:41], off
.LBB1266_13:
	s_or_b64 exec, exec, s[4:5]
	v_or_b32_e32 v58, s18, v34
	v_ashrrev_i32_e32 v34, 4, v58
	v_mov_b32_e32 v76, s19
	v_cmp_gt_i32_e32 vcc, s7, v58
	s_waitcnt vmcnt(7)
	v_cvt_pk_f32_fp8_e32 v[40:41], v50
	v_cvt_pk_f32_fp8_sdwa v[64:65], v50 src0_sel:WORD_1
	v_cndmask_b32_e32 v34, v76, v34, vcc
	v_ashrrev_i32_e32 v35, 31, v34
	v_lshl_add_u64 v[34:35], v[34:35], 2, s[8:9]
	global_load_dword v63, v[34:35], off
	v_or_b32_e32 v34, 64, v58
	v_ashrrev_i32_e32 v35, 4, v34
	v_cmp_gt_i32_e32 vcc, s7, v34
	v_or_b32_e32 v66, 0x80, v58
	v_ashrrev_i32_e32 v67, 4, v66
	v_cndmask_b32_e32 v34, v76, v35, vcc
	v_cmp_gt_i32_e32 vcc, s7, v66
	s_mov_b32 s33, 0x7060302
	v_perm_b32 v40, v41, v40, s33
	v_cndmask_b32_e32 v50, v76, v67, vcc
	v_perm_b32 v41, v65, v64, s33
	v_cvt_pk_f32_fp8_e32 v[64:65], v51
	v_cvt_pk_f32_fp8_sdwa v[66:67], v51 src0_sel:WORD_1
	v_ashrrev_i32_e32 v51, 31, v50
	v_lshl_add_u64 v[68:69], v[50:51], 2, s[8:9]
	v_perm_b32 v50, v65, v64, s33
	v_perm_b32 v51, v67, v66, s33
	s_waitcnt lgkmcnt(3)
	v_mfma_f32_16x16x16_bf16 v[64:67], v[40:41], v[30:31], 0
	v_cvt_pk_f32_fp8_e32 v[40:41], v52
	v_cvt_pk_f32_fp8_sdwa v[70:71], v52 src0_sel:WORD_1
	s_waitcnt vmcnt(7)
	v_cvt_pk_f32_fp8_e32 v[72:73], v46
	v_mfma_f32_16x16x16_bf16 v[64:67], v[50:51], v[32:33], v[64:67]
	v_cvt_pk_f32_fp8_e32 v[50:51], v53
	v_perm_b32 v40, v41, v40, s33
	v_perm_b32 v41, v71, v70, s33
	v_cvt_pk_f32_fp8_sdwa v[52:53], v53 src0_sel:WORD_1
	v_perm_b32 v70, v51, v50, s33
	v_cvt_pk_f32_fp8_sdwa v[74:75], v46 src0_sel:WORD_1
	v_ashrrev_i32_e32 v35, 31, v34
	v_perm_b32 v71, v53, v52, s33
	s_waitcnt lgkmcnt(2)
	v_mfma_f32_16x16x16_bf16 v[50:53], v[40:41], v[26:27], v[64:67]
	v_perm_b32 v40, v73, v72, s33
	v_perm_b32 v41, v75, v74, s33
	v_or_b32_e32 v58, 0xc0, v58
	v_cvt_pk_f32_fp8_e32 v[64:65], v47
	v_cvt_pk_f32_fp8_sdwa v[46:47], v47 src0_sel:WORD_1
	v_mfma_f32_16x16x16_bf16 v[50:53], v[70:71], v[28:29], v[50:53]
	v_lshl_add_u64 v[34:35], v[34:35], 2, s[8:9]
	v_perm_b32 v64, v65, v64, s33
	v_perm_b32 v65, v47, v46, s33
	s_waitcnt lgkmcnt(1)
	v_mfma_f32_16x16x16_bf16 v[50:53], v[40:41], v[18:19], v[50:53]
	v_ashrrev_i32_e32 v66, 4, v58
	v_cmp_gt_i32_e32 vcc, s7, v58
	v_cvt_pk_f32_fp8_e32 v[46:47], v48
	s_waitcnt vmcnt(6)
	v_cvt_pk_f32_fp8_sdwa v[70:71], v36 src0_sel:WORD_1
	v_cndmask_b32_e32 v40, v76, v66, vcc
	v_mfma_f32_16x16x16_bf16 v[64:67], v[64:65], v[20:21], v[50:53]
	v_perm_b32 v46, v47, v46, s33
	v_ashrrev_i32_e32 v41, 31, v40
	v_lshl_add_u64 v[40:41], v[40:41], 2, s[8:9]
	global_load_dword v53, v[34:35], off
	v_cvt_pk_f32_fp8_sdwa v[50:51], v48 src0_sel:WORD_1
	v_cvt_pk_f32_fp8_e32 v[34:35], v49
	v_cvt_pk_f32_fp8_sdwa v[48:49], v49 src0_sel:WORD_1
	s_add_u32 s46, s10, s12
	v_perm_b32 v47, v51, v50, s33
	v_perm_b32 v34, v35, v34, s33
	;; [unrolled: 1-line block ×3, first 2 shown]
	s_waitcnt lgkmcnt(0)
	v_mfma_f32_16x16x16_bf16 v[46:49], v[46:47], v[14:15], v[64:67]
	v_cvt_pk_f32_fp8_e32 v[50:51], v36
	s_nop 1
	global_load_dword v65, v[68:69], off
	global_load_dword v64, v[40:41], off
	v_cvt_pk_f32_fp8_e32 v[66:67], v37
	v_perm_b32 v50, v51, v50, s33
	v_perm_b32 v51, v71, v70, s33
	v_cvt_pk_f32_fp8_sdwa v[70:71], v37 src0_sel:WORD_1
	v_perm_b32 v40, v67, v66, s33
	v_mfma_f32_16x16x16_bf16 v[34:37], v[34:35], v[16:17], v[46:49]
	v_cvt_pk_f32_fp8_sdwa v[66:67], v38 src0_sel:WORD_1
	v_perm_b32 v41, v71, v70, s33
	s_waitcnt vmcnt(8)
	v_cvt_pk_f32_fp8_e32 v[68:69], v6
	v_mfma_f32_16x16x16_bf16 v[46:49], v[50:51], v[30:31], 0
	v_cvt_pk_f32_fp8_e32 v[50:51], v38
	v_cvt_pk_f32_fp8_sdwa v[70:71], v6 src0_sel:WORD_1
	v_lshl_or_b32 v52, v57, 4, v56
	v_mfma_f32_16x16x16_bf16 v[46:49], v[40:41], v[32:33], v[46:49]
	v_cvt_pk_f32_fp8_e32 v[40:41], v39
	v_perm_b32 v50, v51, v50, s33
	v_perm_b32 v51, v67, v66, s33
	v_cvt_pk_f32_fp8_sdwa v[38:39], v39 src0_sel:WORD_1
	v_perm_b32 v66, v41, v40, s33
	s_waitcnt vmcnt(6)
	v_cvt_pk_f32_fp8_e32 v[72:73], v43
	s_addc_u32 s47, s11, 0
	v_perm_b32 v67, v39, v38, s33
	v_mfma_f32_16x16x16_bf16 v[38:41], v[50:51], v[26:27], v[46:49]
	v_cvt_pk_f32_fp8_sdwa v[50:51], v2 src0_sel:WORD_1
	v_lshlrev_b32_e32 v58, 4, v52
	s_nop 0
	v_perm_b32 v46, v69, v68, s33
	v_perm_b32 v47, v71, v70, s33
	v_cvt_pk_f32_fp8_e32 v[48:49], v7
	v_cvt_pk_f32_fp8_sdwa v[6:7], v7 src0_sel:WORD_1
	v_mfma_f32_16x16x16_bf16 v[38:41], v[66:67], v[28:29], v[38:41]
	v_lshl_add_u64 v[70:71], s[46:47], 0, v[58:59]
	v_perm_b32 v48, v49, v48, s33
	v_perm_b32 v49, v7, v6, s33
	v_mfma_f32_16x16x16_bf16 v[38:41], v[46:47], v[18:19], v[38:41]
	v_cvt_pk_f32_fp8_e32 v[6:7], v8
	v_cvt_pk_f32_fp8_sdwa v[46:47], v8 src0_sel:WORD_1
	v_or_b32_e32 v58, 0x400, v58
	v_mfma_f32_16x16x16_bf16 v[38:41], v[48:49], v[20:21], v[38:41]
	v_cvt_pk_f32_fp8_e32 v[48:49], v9
	v_perm_b32 v6, v7, v6, s33
	v_perm_b32 v7, v47, v46, s33
	v_cvt_pk_f32_fp8_sdwa v[8:9], v9 src0_sel:WORD_1
	v_perm_b32 v46, v49, v48, s33
	v_cvt_pk_f32_fp8_e32 v[48:49], v2
	v_perm_b32 v47, v9, v8, s33
	v_mfma_f32_16x16x16_bf16 v[6:9], v[6:7], v[14:15], v[38:41]
	v_perm_b32 v48, v49, v48, s33
	v_perm_b32 v49, v51, v50, s33
	v_cvt_pk_f32_fp8_e32 v[50:51], v3
	v_cvt_pk_f32_fp8_sdwa v[2:3], v3 src0_sel:WORD_1
	v_mfma_f32_16x16x16_bf16 v[38:41], v[46:47], v[16:17], v[6:9]
	v_perm_b32 v46, v51, v50, s33
	v_perm_b32 v47, v3, v2, s33
	v_mfma_f32_16x16x16_bf16 v[6:9], v[48:49], v[30:31], 0
	v_cvt_pk_f32_fp8_e32 v[2:3], v4
	v_cvt_pk_f32_fp8_sdwa v[48:49], v4 src0_sel:WORD_1
	s_waitcnt vmcnt(3)
	v_mad_i64_i32 v[50:51], s[4:5], v63, s45, v[70:71]
	v_perm_b32 v2, v3, v2, s33
	v_perm_b32 v3, v49, v48, s33
	v_mfma_f32_16x16x16_bf16 v[6:9], v[46:47], v[32:33], v[6:9]
	v_cvt_pk_f32_fp8_e32 v[46:47], v5
	v_cvt_pk_f32_fp8_sdwa v[4:5], v5 src0_sel:WORD_1
	s_waitcnt vmcnt(2)
	v_mad_i64_i32 v[66:67], s[4:5], v53, s45, v[70:71]
	v_perm_b32 v46, v47, v46, s33
	v_perm_b32 v47, v5, v4, s33
	v_mfma_f32_16x16x16_bf16 v[2:5], v[2:3], v[26:27], v[6:9]
	s_nop 2
	v_cvt_pk_f32_fp8_e32 v[6:7], v42
	v_cvt_pk_f32_fp8_sdwa v[8:9], v42 src0_sel:WORD_1
	v_cvt_pk_f32_fp8_sdwa v[42:43], v43 src0_sel:WORD_1
	v_mfma_f32_16x16x16_bf16 v[46:49], v[46:47], v[28:29], v[2:5]
	v_perm_b32 v68, v7, v6, s33
	v_perm_b32 v69, v9, v8, s33
	global_load_dwordx4 v[6:9], v[50:51], off
	global_load_dwordx4 v[2:5], v[66:67], off
	v_perm_b32 v66, v73, v72, s33
	v_perm_b32 v67, v43, v42, s33
	v_mfma_f32_16x16x16_bf16 v[48:51], v[68:69], v[18:19], v[46:49]
	v_cvt_pk_f32_fp8_e32 v[42:43], v44
	v_cvt_pk_f32_fp8_sdwa v[72:73], v44 src0_sel:WORD_1
	s_waitcnt vmcnt(3)
	v_mad_i64_i32 v[46:47], s[4:5], v65, s45, v[70:71]
	v_mfma_f32_16x16x16_bf16 v[66:69], v[66:67], v[20:21], v[48:51]
	v_perm_b32 v42, v43, v42, s33
	v_perm_b32 v43, v73, v72, s33
	v_cvt_pk_f32_fp8_sdwa v[72:73], v22 src0_sel:WORD_1
	v_cvt_pk_f32_fp8_e32 v[50:51], v45
	v_cvt_pk_f32_fp8_sdwa v[44:45], v45 src0_sel:WORD_1
	s_waitcnt vmcnt(2)
	v_mad_i64_i32 v[48:49], s[4:5], v64, s45, v[70:71]
	v_perm_b32 v50, v51, v50, s33
	v_perm_b32 v51, v45, v44, s33
	v_mfma_f32_16x16x16_bf16 v[42:45], v[42:43], v[14:15], v[66:69]
	v_cvt_pk_f32_fp8_e32 v[70:71], v22
	s_load_dword s4, s[0:1], 0x1c
	s_load_dwordx4 s[40:43], s[0:1], 0x80
	s_load_dword s44, s[0:1], 0x98
	s_waitcnt lgkmcnt(0)
	s_load_dword s5, s[40:41], 0x0
	v_mfma_f32_16x16x16_bf16 v[66:69], v[50:51], v[16:17], v[42:45]
	s_mov_b32 s40, 0xff7fffff
	s_nop 1
	v_cvt_pk_f32_fp8_e32 v[42:43], v23
	v_perm_b32 v44, v71, v70, s33
	v_perm_b32 v45, v73, v72, s33
	v_cvt_pk_f32_fp8_sdwa v[22:23], v23 src0_sel:WORD_1
	v_perm_b32 v50, v43, v42, s33
	v_cvt_pk_f32_fp8_e32 v[70:71], v24
	v_cvt_pk_f32_fp8_sdwa v[72:73], v24 src0_sel:WORD_1
	v_perm_b32 v51, v23, v22, s33
	v_mfma_f32_16x16x16_bf16 v[42:45], v[44:45], v[30:31], 0
	v_perm_b32 v30, v71, v70, s33
	v_perm_b32 v31, v73, v72, s33
	v_cvt_pk_f32_fp8_e32 v[70:71], v25
	v_cvt_pk_f32_fp8_sdwa v[72:73], v25 src0_sel:WORD_1
	v_mfma_f32_16x16x16_bf16 v[22:25], v[50:51], v[32:33], v[42:45]
	v_mov_b32_e32 v32, s4
	s_waitcnt lgkmcnt(0)
	v_mul_f32_e32 v50, s5, v32
	v_pk_mul_f32 v[32:33], v[50:51], v[34:35] op_sel_hi:[0,1]
	v_perm_b32 v42, v71, v70, s33
	v_perm_b32 v43, v73, v72, s33
	v_mfma_f32_16x16x16_bf16 v[22:25], v[30:31], v[26:27], v[22:25]
	v_pk_mul_f32 v[30:31], v[50:51], v[36:37] op_sel_hi:[0,1]
	v_cvt_pk_f32_fp8_e32 v[26:27], v11
	v_cvt_pk_f32_fp8_sdwa v[70:71], v12 src0_sel:WORD_1
	v_mfma_f32_16x16x16_bf16 v[34:37], v[42:43], v[28:29], v[22:25]
	v_pk_mul_f32 v[40:41], v[50:51], v[40:41] op_sel_hi:[0,1]
	v_perm_b32 v44, v27, v26, s33
	s_nop 0
	v_cvt_pk_f32_fp8_e32 v[22:23], v10
	v_cvt_pk_f32_fp8_sdwa v[24:25], v10 src0_sel:WORD_1
	v_cvt_pk_f32_fp8_sdwa v[10:11], v11 src0_sel:WORD_1
	v_perm_b32 v42, v23, v22, s33
	v_perm_b32 v43, v25, v24, s33
	;; [unrolled: 1-line block ×3, first 2 shown]
	v_cvt_pk_f32_fp8_e32 v[10:11], v12
	v_mfma_f32_16x16x16_bf16 v[34:37], v[42:43], v[18:19], v[34:37]
	global_load_dwordx4 v[26:29], v[46:47], off
	global_load_dwordx4 v[22:25], v[48:49], off
	v_perm_b32 v18, v11, v10, s33
	v_perm_b32 v19, v71, v70, s33
	v_cvt_pk_f32_fp8_e32 v[42:43], v13
	v_cvt_pk_f32_fp8_sdwa v[46:47], v13 src0_sel:WORD_1
	v_mfma_f32_16x16x16_bf16 v[10:13], v[44:45], v[20:21], v[34:37]
	v_pk_mul_f32 v[44:45], v[50:51], v[38:39] op_sel_hi:[0,1]
	v_perm_b32 v20, v43, v42, s33
	v_perm_b32 v21, v47, v46, s33
	v_mfma_f32_16x16x16_bf16 v[10:13], v[18:19], v[14:15], v[10:13]
	v_pk_mul_f32 v[38:39], v[50:51], v[68:69] op_sel_hi:[0,1]
	v_pk_mul_f32 v[42:43], v[50:51], v[66:67] op_sel_hi:[0,1]
	v_mfma_f32_16x16x16_bf16 v[10:13], v[20:21], v[16:17], v[10:13]
	s_nop 6
	v_pk_mul_f32 v[36:37], v[50:51], v[10:11] op_sel_hi:[0,1]
	v_and_b32_e32 v10, 0xc0, v0
	v_add_u32_e32 v10, s18, v10
	v_lshl_or_b32 v10, v60, 2, v10
	v_or_b32_e32 v11, 1, v10
	v_pk_mul_f32 v[34:35], v[50:51], v[12:13] op_sel_hi:[0,1]
	v_subrev_u32_e32 v12, s7, v11
	v_add_u32_e32 v14, 1, v12
	v_add_u32_e32 v15, 2, v12
	v_cvt_f32_i32_e32 v13, v12
	v_cvt_f32_i32_e32 v14, v14
	;; [unrolled: 1-line block ×3, first 2 shown]
	v_add_u32_e32 v16, 3, v12
	v_fma_f32 v18, v62, v13, v32
	v_fmac_f32_e32 v33, v62, v14
	v_fma_f32 v48, v62, v15, v30
	v_add_u32_e32 v13, 16, v12
	v_add_u32_e32 v14, 17, v12
	;; [unrolled: 1-line block ×3, first 2 shown]
	v_cvt_f32_i32_e32 v16, v16
	v_cvt_f32_i32_e32 v13, v13
	;; [unrolled: 1-line block ×4, first 2 shown]
	v_fmac_f32_e32 v31, v62, v16
	v_add_u32_e32 v16, 19, v12
	v_fma_f32 v44, v62, v13, v44
	v_fmac_f32_e32 v45, v62, v14
	v_fma_f32 v40, v62, v15, v40
	v_add_u32_e32 v13, 32, v12
	v_add_u32_e32 v14, 33, v12
	;; [unrolled: 1-line block ×3, first 2 shown]
	v_cvt_f32_i32_e32 v16, v16
	v_cvt_f32_i32_e32 v13, v13
	v_cvt_f32_i32_e32 v14, v14
	v_cvt_f32_i32_e32 v15, v15
	v_fmac_f32_e32 v41, v62, v16
	v_add_u32_e32 v16, 35, v12
	v_fma_f32 v42, v62, v13, v42
	v_fmac_f32_e32 v43, v62, v14
	v_fma_f32 v38, v62, v15, v38
	v_add_u32_e32 v13, 48, v12
	v_add_u32_e32 v14, 49, v12
	;; [unrolled: 1-line block ×4, first 2 shown]
	v_cvt_f32_i32_e32 v12, v12
	v_cvt_f32_i32_e32 v13, v13
	;; [unrolled: 1-line block ×3, first 2 shown]
	v_cmp_gt_i32_e64 s[8:9], s7, v10
	v_fmac_f32_e32 v35, v62, v12
	v_mov_b32_e32 v12, 0xff7fffff
	v_cmp_gt_i32_e64 s[10:11], s7, v11
	v_fma_f32 v36, v62, v13, v36
	v_cndmask_b32_e64 v13, v12, v18, s[8:9]
	v_cndmask_b32_e64 v11, v12, v33, s[10:11]
	v_fmac_f32_e32 v37, v62, v14
	v_max3_f32 v11, v13, s40, v11
	v_or_b32_e32 v13, 2, v10
	v_or_b32_e32 v14, 3, v10
	v_cmp_gt_i32_e64 s[12:13], s7, v13
	v_cmp_gt_i32_e64 s[14:15], s7, v14
	v_cvt_f32_i32_e32 v16, v16
	v_cndmask_b32_e64 v13, v12, v48, s[12:13]
	v_cndmask_b32_e64 v14, v12, v31, s[14:15]
	v_max3_f32 v11, v11, v13, v14
	v_or_b32_e32 v13, 16, v10
	v_or_b32_e32 v14, 17, v10
	v_cmp_gt_i32_e64 s[16:17], s7, v13
	v_cmp_gt_i32_e64 s[18:19], s7, v14
	v_fmac_f32_e32 v39, v62, v16
	v_cndmask_b32_e64 v13, v12, v44, s[16:17]
	v_cndmask_b32_e64 v14, v12, v45, s[18:19]
	v_max3_f32 v11, v11, v13, v14
	v_or_b32_e32 v13, 18, v10
	v_or_b32_e32 v14, 19, v10
	v_cmp_gt_i32_e64 s[20:21], s7, v13
	v_cmp_gt_i32_e64 s[22:23], s7, v14
	v_cvt_f32_i32_e32 v15, v15
	v_cndmask_b32_e64 v13, v12, v40, s[20:21]
	v_cndmask_b32_e64 v14, v12, v41, s[22:23]
	v_max3_f32 v11, v11, v13, v14
	v_or_b32_e32 v13, 32, v10
	v_or_b32_e32 v14, 33, v10
	v_cmp_gt_i32_e64 s[24:25], s7, v13
	v_cmp_gt_i32_e64 s[26:27], s7, v14
	v_fma_f32 v34, v62, v15, v34
	v_cndmask_b32_e64 v13, v12, v42, s[24:25]
	v_cndmask_b32_e64 v14, v12, v43, s[26:27]
	v_max3_f32 v11, v11, v13, v14
	v_or_b32_e32 v13, 34, v10
	v_or_b32_e32 v14, 35, v10
	v_cmp_gt_i32_e64 s[28:29], s7, v13
	v_cmp_gt_i32_e64 s[30:31], s7, v14
	s_nop 0
	v_cndmask_b32_e64 v13, v12, v38, s[28:29]
	v_cndmask_b32_e64 v14, v12, v39, s[30:31]
	v_max3_f32 v11, v11, v13, v14
	v_or_b32_e32 v13, 48, v10
	v_or_b32_e32 v14, 49, v10
	v_cmp_gt_i32_e64 s[34:35], s7, v13
	v_cmp_gt_i32_e64 s[36:37], s7, v14
	s_nop 0
	v_cndmask_b32_e64 v13, v12, v36, s[34:35]
	v_cndmask_b32_e64 v14, v12, v37, s[36:37]
	v_max3_f32 v11, v11, v13, v14
	v_or_b32_e32 v13, 50, v10
	v_or_b32_e32 v10, 51, v10
	v_cmp_gt_i32_e32 vcc, s7, v13
	v_cmp_gt_i32_e64 s[4:5], s7, v10
	s_nop 0
	v_cndmask_b32_e32 v13, v12, v34, vcc
	v_cndmask_b32_e64 v10, v12, v35, s[4:5]
	v_max3_f32 v14, v11, v13, v10
	v_mbcnt_lo_u32_b32 v10, -1, 0
	v_mbcnt_hi_u32_b32 v15, -1, v10
	v_and_b32_e32 v10, 64, v15
	v_add_u32_e32 v16, 64, v10
	v_xor_b32_e32 v10, 32, v15
	v_cmp_lt_i32_e64 s[38:39], v10, v16
	s_nop 1
	v_cndmask_b32_e64 v10, v15, v10, s[38:39]
	v_lshlrev_b32_e32 v51, 2, v10
	ds_bpermute_b32 v17, v51, v14
	v_lshl_add_u64 v[10:11], s[46:47], 0, v[58:59]
	v_mad_i64_i32 v[12:13], s[38:39], v63, s45, v[10:11]
	s_waitcnt lgkmcnt(0)
	v_max_f32_e32 v17, v17, v17
	v_max_f32_e32 v19, v14, v17
	v_xor_b32_e32 v14, 16, v15
	v_cmp_lt_i32_e64 s[38:39], v14, v16
	s_nop 1
	v_cndmask_b32_e64 v14, v15, v14, s[38:39]
	v_lshlrev_b32_e32 v58, 2, v14
	ds_bpermute_b32 v20, v58, v19
	v_mad_i64_i32 v[14:15], s[38:39], v53, s45, v[10:11]
	v_mad_i64_i32 v[16:17], s[38:39], v65, s45, v[10:11]
	s_waitcnt lgkmcnt(0)
	v_max_f32_e32 v20, v20, v20
	v_max_f32_e32 v50, v19, v20
	v_sub_f32_e32 v18, v18, v50
	v_sub_f32_e32 v19, v33, v50
	v_mul_f32_e32 v18, 0x3fb8aa3b, v18
	v_mul_f32_e32 v19, 0x3fb8aa3b, v19
	v_exp_f32_e32 v18, v18
	v_exp_f32_e32 v19, v19
	v_sub_f32_e32 v49, v31, v50
	v_mad_i64_i32 v[10:11], s[38:39], v64, s45, v[10:11]
	v_cndmask_b32_e64 v46, 0, v18, s[8:9]
	v_cndmask_b32_e64 v47, 0, v19, s[10:11]
	global_load_dwordx4 v[30:33], v[12:13], off
	global_load_dwordx4 v[18:21], v[14:15], off
	v_sub_f32_e32 v12, v48, v50
	v_mul_f32_e32 v12, 0x3fb8aa3b, v12
	v_exp_f32_e32 v48, v12
	global_load_dwordx4 v[14:17], v[16:17], off
	s_nop 0
	global_load_dwordx4 v[10:13], v[10:11], off
	v_sub_f32_e32 v40, v40, v50
	v_sub_f32_e32 v42, v42, v50
	v_mul_f32_e32 v40, 0x3fb8aa3b, v40
	v_mul_f32_e32 v42, 0x3fb8aa3b, v42
	v_exp_f32_e32 v40, v40
	v_exp_f32_e32 v53, v42
	v_mul_f32_e32 v49, 0x3fb8aa3b, v49
	v_sub_f32_e32 v44, v44, v50
	v_exp_f32_e32 v49, v49
	v_mul_f32_e32 v44, 0x3fb8aa3b, v44
	v_sub_f32_e32 v45, v45, v50
	v_sub_f32_e32 v42, v43, v50
	v_exp_f32_e32 v44, v44
	v_mul_f32_e32 v45, 0x3fb8aa3b, v45
	v_mul_f32_e32 v42, 0x3fb8aa3b, v42
	v_exp_f32_e32 v45, v45
	v_sub_f32_e32 v41, v41, v50
	v_exp_f32_e32 v59, v42
	v_cndmask_b32_e64 v42, 0, v40, s[20:21]
	v_cndmask_b32_e64 v40, 0, v53, s[24:25]
	v_add_f32_e32 v53, 0, v46
	v_cndmask_b32_e64 v48, 0, v48, s[12:13]
	v_mul_f32_e32 v41, 0x3fb8aa3b, v41
	v_add_f32_e32 v53, v53, v47
	v_cndmask_b32_e64 v49, 0, v49, s[14:15]
	v_exp_f32_e32 v41, v41
	v_add_f32_e32 v53, v53, v48
	v_cndmask_b32_e64 v44, 0, v44, s[16:17]
	v_sub_f32_e32 v38, v38, v50
	v_add_f32_e32 v53, v53, v49
	v_cndmask_b32_e64 v45, 0, v45, s[18:19]
	v_sub_f32_e32 v39, v39, v50
	v_mul_f32_e32 v38, 0x3fb8aa3b, v38
	v_add_f32_e32 v53, v53, v44
	v_exp_f32_e32 v38, v38
	v_mul_f32_e32 v39, 0x3fb8aa3b, v39
	v_sub_f32_e32 v36, v36, v50
	v_add_f32_e32 v53, v53, v45
	v_cndmask_b32_e64 v43, 0, v41, s[22:23]
	v_exp_f32_e32 v39, v39
	v_mul_f32_e32 v36, 0x3fb8aa3b, v36
	v_sub_f32_e32 v37, v37, v50
	v_add_f32_e32 v53, v53, v42
	v_exp_f32_e32 v36, v36
	v_mul_f32_e32 v37, 0x3fb8aa3b, v37
	v_add_f32_e32 v53, v53, v43
	v_sub_f32_e32 v34, v34, v50
	v_cndmask_b32_e64 v41, 0, v59, s[26:27]
	v_exp_f32_e32 v37, v37
	v_add_f32_e32 v53, v53, v40
	v_mul_f32_e32 v34, 0x3fb8aa3b, v34
	v_sub_f32_e32 v35, v35, v50
	v_cndmask_b32_e64 v38, 0, v38, s[28:29]
	v_add_f32_e32 v53, v53, v41
	v_exp_f32_e32 v34, v34
	v_mul_f32_e32 v35, 0x3fb8aa3b, v35
	v_cndmask_b32_e64 v39, 0, v39, s[30:31]
	v_add_f32_e32 v53, v53, v38
	v_exp_f32_e32 v35, v35
	v_cndmask_b32_e64 v36, 0, v36, s[34:35]
	v_add_f32_e32 v53, v53, v39
	v_cndmask_b32_e64 v37, 0, v37, s[36:37]
	v_add_f32_e32 v53, v53, v36
	v_add_f32_e32 v53, v53, v37
	v_cndmask_b32_e32 v34, 0, v34, vcc
	v_add_f32_e32 v53, v53, v34
	v_cndmask_b32_e64 v35, 0, v35, s[4:5]
	v_add_f32_e32 v53, v53, v35
	ds_bpermute_b32 v51, v51, v53
	v_cmp_gt_u32_e32 vcc, 16, v55
	s_waitcnt lgkmcnt(0)
	s_barrier
	v_add_f32_e32 v51, v53, v51
	ds_bpermute_b32 v53, v58, v51
	s_and_saveexec_b64 s[4:5], vcc
	s_cbranch_execz .LBB1266_15
; %bb.14:
	s_waitcnt lgkmcnt(0)
	v_add_f32_e32 v51, v51, v53
	v_lshlrev_b32_e32 v52, 2, v52
	ds_write2st64_b32 v52, v50, v51 offset1:1
.LBB1266_15:
	s_or_b64 exec, exec, s[4:5]
	v_lshlrev_b32_e32 v51, 2, v56
	s_load_dword s7, s[0:1], 0x94
	s_waitcnt lgkmcnt(0)
	s_barrier
	ds_read2_b32 v[52:53], v51 offset1:16
	ds_read2_b32 v[58:59], v51 offset0:32 offset1:48
	ds_read2_b32 v[62:63], v51 offset0:64 offset1:80
	s_movk_i32 s9, 0x7fff
	s_mul_i32 s8, s44, 3
	s_waitcnt lgkmcnt(2)
	v_max3_f32 v50, v52, s40, v53
	s_waitcnt lgkmcnt(1)
	v_max3_f32 v50, v50, v58, v59
	v_sub_f32_e32 v52, v52, v50
	v_mul_f32_e32 v52, 0x3fb8aa3b, v52
	v_exp_f32_e32 v55, v52
	v_sub_f32_e32 v52, v53, v50
	v_mul_f32_e32 v52, 0x3fb8aa3b, v52
	v_exp_f32_e32 v64, v52
	;; [unrolled: 3-line block ×3, first 2 shown]
	ds_read2_b32 v[52:53], v51 offset0:96 offset1:112
	v_sub_f32_e32 v51, v59, v50
	v_mul_f32_e32 v51, 0x3fb8aa3b, v51
	v_exp_f32_e32 v59, v51
	s_waitcnt lgkmcnt(1)
	v_fma_f32 v51, v55, v62, 0
	v_fmac_f32_e32 v51, v64, v63
	s_waitcnt lgkmcnt(0)
	v_fmac_f32_e32 v51, v58, v52
	v_fmac_f32_e32 v51, v59, v53
	v_add_f32_e32 v52, 0x358637bd, v51
	v_div_scale_f32 v53, s[4:5], v52, v52, 1.0
	v_rcp_f32_e32 v62, v53
	s_barrier
	v_fma_f32 v63, -v53, v62, 1.0
	v_fmac_f32_e32 v62, v63, v62
	v_div_scale_f32 v63, vcc, 1.0, v52, 1.0
	v_mul_f32_e32 v65, v63, v62
	v_fma_f32 v66, -v53, v65, v63
	v_fmac_f32_e32 v65, v66, v62
	v_fma_f32 v53, -v53, v65, v63
	v_div_fmas_f32 v53, v53, v62, v65
	v_cmp_eq_u32_e32 vcc, 1, v57
	v_div_fixup_f32 v52, v53, v52, 1.0
	s_nop 0
	v_cndmask_b32_e32 v53, v55, v64, vcc
	v_cmp_eq_u32_e32 vcc, 2, v57
	s_nop 1
	v_cndmask_b32_e32 v53, v53, v58, vcc
	v_cmp_eq_u32_e32 vcc, 3, v57
	s_nop 1
	v_cndmask_b32_e32 v53, v53, v59, vcc
	v_mul_f32_e32 v52, v53, v52
	v_pk_mul_f32 v[46:47], v[52:53], v[46:47] op_sel_hi:[0,1]
	v_pk_mul_f32 v[48:49], v[52:53], v[48:49] op_sel_hi:[0,1]
	v_bfe_u32 v53, v47, 16, 1
	v_bfe_u32 v55, v46, 16, 1
	v_add3_u32 v46, v46, v55, s9
	v_add3_u32 v47, v47, v53, s9
	v_perm_b32 v58, v47, v46, s33
	v_bfe_u32 v46, v49, 16, 1
	v_bfe_u32 v47, v48, 16, 1
	v_add3_u32 v47, v48, v47, s9
	v_add3_u32 v46, v49, v46, s9
	v_perm_b32 v59, v46, v47, s33
	v_lshlrev_b32_e32 v47, 3, v60
	v_lshlrev_b32_e32 v46, 5, v56
	;; [unrolled: 1-line block ×3, first 2 shown]
	v_pk_mul_f32 v[44:45], v[52:53], v[44:45] op_sel_hi:[0,1]
	v_or3_b32 v55, v48, v46, v47
	v_bfe_u32 v47, v45, 16, 1
	v_bfe_u32 v48, v44, 16, 1
	v_pk_mul_f32 v[42:43], v[52:53], v[42:43] op_sel_hi:[0,1]
	v_add3_u32 v44, v44, v48, s9
	v_add3_u32 v45, v45, v47, s9
	v_perm_b32 v44, v45, v44, s33
	v_bfe_u32 v45, v43, 16, 1
	v_bfe_u32 v47, v42, 16, 1
	v_add3_u32 v42, v42, v47, s9
	v_add3_u32 v43, v43, v45, s9
	v_pk_mul_f32 v[40:41], v[52:53], v[40:41] op_sel_hi:[0,1]
	v_perm_b32 v45, v43, v42, s33
	v_bfe_u32 v42, v41, 16, 1
	v_bfe_u32 v43, v40, 16, 1
	v_pk_mul_f32 v[38:39], v[52:53], v[38:39] op_sel_hi:[0,1]
	v_add3_u32 v40, v40, v43, s9
	v_add3_u32 v41, v41, v42, s9
	v_perm_b32 v40, v41, v40, s33
	v_bfe_u32 v41, v39, 16, 1
	v_bfe_u32 v42, v38, 16, 1
	v_add3_u32 v38, v38, v42, s9
	v_add3_u32 v39, v39, v41, s9
	v_pk_mul_f32 v[36:37], v[52:53], v[36:37] op_sel_hi:[0,1]
	v_perm_b32 v41, v39, v38, s33
	v_bfe_u32 v38, v37, 16, 1
	v_bfe_u32 v39, v36, 16, 1
	v_pk_mul_f32 v[34:35], v[52:53], v[34:35] op_sel_hi:[0,1]
	v_add3_u32 v36, v36, v39, s9
	v_add3_u32 v37, v37, v38, s9
	v_perm_b32 v36, v37, v36, s33
	v_bfe_u32 v37, v35, 16, 1
	v_bfe_u32 v38, v34, 16, 1
	v_add3_u32 v34, v34, v38, s9
	v_add3_u32 v35, v35, v37, s9
	v_perm_b32 v37, v35, v34, s33
	v_cmp_gt_u32_e32 vcc, 3, v0
	ds_write2st64_b64 v55, v[58:59], v[44:45] offset1:1
	ds_write2st64_b64 v55, v[40:41], v[36:37] offset0:2 offset1:3
	s_and_saveexec_b64 s[4:5], vcc
	s_cbranch_execz .LBB1266_17
; %bb.16:
	s_mov_b32 s49, 0
	v_mov_b32_e32 v57, 0
	v_lshl_add_u64 v[34:35], s[48:49], 0, v[56:57]
	v_mov_b32_e32 v36, s8
	v_mad_u64_u32 v[34:35], s[10:11], s2, v36, v[34:35]
	s_mul_i32 s3, s3, s8
	v_mov_b32_e32 v36, s6
	v_mov_b32_e32 v37, v57
	s_load_dwordx4 s[12:15], s[0:1], 0x58
	v_add_u32_e32 v38, s3, v35
	v_mad_u64_u32 v[34:35], s[10:11], v34, s7, v[36:37]
	v_mov_b32_e32 v36, v35
	v_mad_u64_u32 v[36:37], s[10:11], v38, s7, v[36:37]
	v_mov_b32_e32 v35, v36
	v_lshlrev_b64 v[34:35], 2, v[34:35]
	s_waitcnt lgkmcnt(0)
	v_lshl_add_u64 v[36:37], s[14:15], 0, v[34:35]
	v_lshl_add_u64 v[34:35], s[12:13], 0, v[34:35]
	global_store_dword v[36:37], v50, off
	global_store_dword v[34:35], v51, off
.LBB1266_17:
	s_or_b64 exec, exec, s[4:5]
	s_waitcnt vmcnt(7)
	v_cvt_pk_f32_fp8_e32 v[34:35], v6
	v_cvt_pk_f32_fp8_sdwa v[36:37], v6 src0_sel:WORD_1
	v_lshl_or_b32 v50, v60, 9, v46
	s_mov_b32 s5, 0x7060302
	s_waitcnt lgkmcnt(0)
	s_barrier
	v_cvt_pk_f32_fp8_e32 v[38:39], v7
	v_perm_b32 v6, v35, v34, s5
	v_cvt_pk_f32_fp8_sdwa v[40:41], v7 src0_sel:WORD_1
	v_perm_b32 v7, v37, v36, s5
	ds_read_b128 v[34:37], v50
	v_perm_b32 v46, v39, v38, s5
	v_perm_b32 v47, v41, v40, s5
	ds_read_b128 v[38:41], v50 offset:16
	v_cvt_pk_f32_fp8_e32 v[48:49], v8
	v_cvt_pk_f32_fp8_sdwa v[52:53], v8 src0_sel:WORD_1
	s_waitcnt lgkmcnt(1)
	v_mfma_f32_16x16x16_bf16 v[42:45], v[6:7], v[34:35], 0
	s_waitcnt vmcnt(6)
	v_cvt_pk_f32_fp8_e32 v[58:59], v4
	v_perm_b32 v6, v49, v48, s5
	v_perm_b32 v7, v53, v52, s5
	v_cvt_pk_f32_fp8_e32 v[48:49], v9
	v_mfma_f32_16x16x16_bf16 v[42:45], v[46:47], v[36:37], v[42:45]
	v_cvt_pk_f32_fp8_sdwa v[46:47], v9 src0_sel:WORD_1
	v_cvt_pk_f32_fp8_sdwa v[62:63], v4 src0_sel:WORD_1
	v_perm_b32 v48, v49, v48, s5
	s_waitcnt lgkmcnt(0)
	v_mfma_f32_16x16x16_bf16 v[6:9], v[6:7], v[38:39], v[42:45]
	v_perm_b32 v49, v47, v46, s5
	s_waitcnt vmcnt(5)
	v_cvt_pk_f32_fp8_sdwa v[66:67], v28 src0_sel:WORD_1
	s_waitcnt vmcnt(4)
	v_cvt_pk_f32_fp8_sdwa v[68:69], v24 src0_sel:WORD_1
	v_cvt_pk_f32_fp8_e32 v[42:43], v2
	v_mfma_f32_16x16x16_bf16 v[46:49], v[48:49], v[40:41], v[6:9]
	s_load_dword s4, s[42:43], 0x0
	s_waitcnt vmcnt(3)
	v_cvt_pk_f32_fp8_sdwa v[70:71], v32 src0_sel:WORD_1
	v_cvt_pk_f32_fp8_sdwa v[6:7], v2 src0_sel:WORD_1
	v_cvt_pk_f32_fp8_e32 v[8:9], v3
	v_perm_b32 v2, v43, v42, s5
	v_cvt_pk_f32_fp8_sdwa v[42:43], v3 src0_sel:WORD_1
	v_perm_b32 v3, v7, v6, s5
	v_perm_b32 v52, v9, v8, s5
	ds_read_b128 v[6:9], v50 offset:2048
	v_perm_b32 v53, v43, v42, s5
	ds_read_b128 v[42:45], v50 offset:2064
	s_waitcnt lgkmcnt(0)
	v_mfma_f32_16x16x16_bf16 v[46:49], v[2:3], v[6:7], v[46:49]
	v_perm_b32 v2, v59, v58, s5
	v_perm_b32 v3, v63, v62, s5
	v_cvt_pk_f32_fp8_e32 v[58:59], v5
	v_mfma_f32_16x16x16_bf16 v[46:49], v[52:53], v[8:9], v[46:49]
	v_cvt_pk_f32_fp8_sdwa v[52:53], v5 src0_sel:WORD_1
	v_cmp_gt_u32_e32 vcc, 64, v0
	v_perm_b32 v58, v59, v58, s5
	v_mfma_f32_16x16x16_bf16 v[2:5], v[2:3], v[42:43], v[46:49]
	v_perm_b32 v59, v53, v52, s5
	s_mov_b32 s3, 0
	s_nop 0
	v_cvt_pk_f32_fp8_e32 v[46:47], v26
	v_mfma_f32_16x16x16_bf16 v[62:65], v[58:59], v[44:45], v[2:5]
	v_cvt_pk_f32_fp8_e32 v[58:59], v28
	s_nop 1
	v_cvt_pk_f32_fp8_sdwa v[2:3], v26 src0_sel:WORD_1
	v_cvt_pk_f32_fp8_e32 v[4:5], v27
	v_perm_b32 v26, v47, v46, s5
	v_cvt_pk_f32_fp8_sdwa v[46:47], v27 src0_sel:WORD_1
	v_perm_b32 v27, v3, v2, s5
	v_perm_b32 v52, v5, v4, s5
	ds_read_b128 v[2:5], v50 offset:4096
	v_perm_b32 v53, v47, v46, s5
	ds_read_b128 v[46:49], v50 offset:4112
	s_waitcnt lgkmcnt(1)
	v_mfma_f32_16x16x16_bf16 v[62:65], v[26:27], v[2:3], v[62:65]
	v_perm_b32 v26, v59, v58, s5
	v_perm_b32 v27, v67, v66, s5
	v_cvt_pk_f32_fp8_e32 v[58:59], v29
	v_mfma_f32_16x16x16_bf16 v[62:65], v[52:53], v[4:5], v[62:65]
	v_cvt_pk_f32_fp8_sdwa v[52:53], v29 src0_sel:WORD_1
	v_cvt_pk_f32_fp8_e32 v[66:67], v24
	v_perm_b32 v58, v59, v58, s5
	s_waitcnt lgkmcnt(0)
	v_mfma_f32_16x16x16_bf16 v[26:29], v[26:27], v[46:47], v[62:65]
	v_perm_b32 v59, v53, v52, s5
	v_cvt_pk_f32_fp8_e32 v[52:53], v22
	s_nop 0
	v_mfma_f32_16x16x16_bf16 v[62:65], v[58:59], v[48:49], v[26:29]
	s_nop 2
	v_cvt_pk_f32_fp8_sdwa v[26:27], v22 src0_sel:WORD_1
	v_cvt_pk_f32_fp8_e32 v[28:29], v23
	v_perm_b32 v22, v53, v52, s5
	v_cvt_pk_f32_fp8_sdwa v[52:53], v23 src0_sel:WORD_1
	v_perm_b32 v23, v27, v26, s5
	v_perm_b32 v58, v29, v28, s5
	ds_read_b128 v[26:29], v50 offset:6144
	v_perm_b32 v59, v53, v52, s5
	s_waitcnt lgkmcnt(0)
	v_mfma_f32_16x16x16_bf16 v[62:65], v[22:23], v[26:27], v[62:65]
	ds_read_b128 v[50:53], v50 offset:6160
	v_perm_b32 v22, v67, v66, s5
	v_perm_b32 v23, v69, v68, s5
	v_cvt_pk_f32_fp8_e32 v[66:67], v25
	v_mfma_f32_16x16x16_bf16 v[62:65], v[58:59], v[28:29], v[62:65]
	v_cvt_pk_f32_fp8_sdwa v[58:59], v25 src0_sel:WORD_1
	v_cvt_pk_f32_fp8_e32 v[68:69], v32
	v_perm_b32 v66, v67, v66, s5
	s_waitcnt lgkmcnt(0)
	v_mfma_f32_16x16x16_bf16 v[22:25], v[22:23], v[50:51], v[62:65]
	v_perm_b32 v67, v59, v58, s5
	v_cvt_pk_f32_fp8_sdwa v[58:59], v30 src0_sel:WORD_1
	s_nop 0
	v_mfma_f32_16x16x16_bf16 v[62:65], v[66:67], v[52:53], v[22:25]
	s_barrier
	s_nop 1
	v_cvt_pk_f32_fp8_e32 v[24:25], v30
	s_nop 2
	v_pk_mul_f32 v[66:67], v[62:63], s[4:5] op_sel_hi:[1,0]
	v_cvt_pk_f32_fp8_e32 v[62:63], v31
	v_perm_b32 v24, v25, v24, s5
	v_perm_b32 v25, v59, v58, s5
	v_cvt_pk_f32_fp8_sdwa v[30:31], v31 src0_sel:WORD_1
	v_perm_b32 v58, v63, v62, s5
	v_pk_mul_f32 v[22:23], v[64:65], s[4:5] op_sel_hi:[1,0]
	v_mfma_f32_16x16x16_bf16 v[62:65], v[24:25], v[34:35], 0
	v_perm_b32 v59, v31, v30, s5
	v_perm_b32 v24, v69, v68, s5
	;; [unrolled: 1-line block ×3, first 2 shown]
	v_cvt_pk_f32_fp8_e32 v[34:35], v33
	v_cvt_pk_f32_fp8_sdwa v[68:69], v33 src0_sel:WORD_1
	v_mfma_f32_16x16x16_bf16 v[30:33], v[58:59], v[36:37], v[62:65]
	s_waitcnt vmcnt(2)
	v_cvt_pk_f32_fp8_sdwa v[36:37], v18 src0_sel:WORD_1
	v_perm_b32 v34, v35, v34, s5
	v_perm_b32 v35, v69, v68, s5
	v_mfma_f32_16x16x16_bf16 v[30:33], v[24:25], v[38:39], v[30:33]
	v_cvt_pk_f32_fp8_e32 v[24:25], v18
	v_cvt_pk_f32_fp8_sdwa v[38:39], v20 src0_sel:WORD_1
	v_bfe_u32 v57, v67, 16, 1
	v_mfma_f32_16x16x16_bf16 v[30:33], v[34:35], v[40:41], v[30:33]
	v_cvt_pk_f32_fp8_e32 v[34:35], v19
	v_perm_b32 v24, v25, v24, s5
	v_perm_b32 v25, v37, v36, s5
	v_cvt_pk_f32_fp8_sdwa v[18:19], v19 src0_sel:WORD_1
	v_perm_b32 v34, v35, v34, s5
	v_cvt_pk_f32_fp8_e32 v[36:37], v20
	v_mfma_f32_16x16x16_bf16 v[30:33], v[24:25], v[6:7], v[30:33]
	v_perm_b32 v35, v19, v18, s5
	v_perm_b32 v18, v37, v36, s5
	;; [unrolled: 1-line block ×3, first 2 shown]
	v_cvt_pk_f32_fp8_e32 v[24:25], v21
	v_cvt_pk_f32_fp8_sdwa v[20:21], v21 src0_sel:WORD_1
	v_mfma_f32_16x16x16_bf16 v[6:9], v[34:35], v[8:9], v[30:33]
	v_bfe_u32 v58, v66, 16, 1
	v_perm_b32 v24, v25, v24, s5
	v_perm_b32 v25, v21, v20, s5
	v_mfma_f32_16x16x16_bf16 v[6:9], v[18:19], v[42:43], v[6:9]
	s_waitcnt vmcnt(1)
	v_cvt_pk_f32_fp8_e32 v[18:19], v14
	v_cvt_pk_f32_fp8_sdwa v[20:21], v14 src0_sel:WORD_1
	v_cvt_pk_f32_fp8_sdwa v[30:31], v16 src0_sel:WORD_1
	v_mfma_f32_16x16x16_bf16 v[6:9], v[24:25], v[44:45], v[6:9]
	v_cvt_pk_f32_fp8_e32 v[24:25], v15
	v_perm_b32 v18, v19, v18, s5
	v_perm_b32 v19, v21, v20, s5
	v_cvt_pk_f32_fp8_sdwa v[14:15], v15 src0_sel:WORD_1
	v_perm_b32 v20, v25, v24, s5
	v_cvt_pk_f32_fp8_e32 v[24:25], v16
	v_mfma_f32_16x16x16_bf16 v[6:9], v[18:19], v[2:3], v[6:9]
	v_perm_b32 v21, v15, v14, s5
	v_perm_b32 v14, v25, v24, s5
	;; [unrolled: 1-line block ×3, first 2 shown]
	v_cvt_pk_f32_fp8_e32 v[18:19], v17
	v_cvt_pk_f32_fp8_sdwa v[16:17], v17 src0_sel:WORD_1
	v_mfma_f32_16x16x16_bf16 v[2:5], v[20:21], v[4:5], v[6:9]
	v_add3_u32 v32, v66, v58, s9
	v_add3_u32 v33, v67, v57, s9
	s_nop 0
	v_perm_b32 v8, v19, v18, s5
	v_perm_b32 v9, v17, v16, s5
	v_mfma_f32_16x16x16_bf16 v[2:5], v[14:15], v[46:47], v[2:5]
	s_waitcnt vmcnt(0)
	v_cvt_pk_f32_fp8_e32 v[14:15], v10
	v_cvt_pk_f32_fp8_sdwa v[16:17], v10 src0_sel:WORD_1
	v_cvt_pk_f32_fp8_sdwa v[18:19], v12 src0_sel:WORD_1
	v_mfma_f32_16x16x16_bf16 v[2:5], v[8:9], v[48:49], v[2:5]
	v_cvt_pk_f32_fp8_e32 v[8:9], v11
	v_perm_b32 v14, v15, v14, s5
	v_perm_b32 v15, v17, v16, s5
	v_cvt_pk_f32_fp8_sdwa v[10:11], v11 src0_sel:WORD_1
	v_perm_b32 v8, v9, v8, s5
	v_cvt_pk_f32_fp8_e32 v[16:17], v12
	v_mfma_f32_16x16x16_bf16 v[2:5], v[14:15], v[26:27], v[2:5]
	v_perm_b32 v9, v11, v10, s5
	v_perm_b32 v10, v17, v16, s5
	;; [unrolled: 1-line block ×3, first 2 shown]
	v_cvt_pk_f32_fp8_e32 v[14:15], v13
	v_cvt_pk_f32_fp8_sdwa v[12:13], v13 src0_sel:WORD_1
	v_mfma_f32_16x16x16_bf16 v[2:5], v[8:9], v[28:29], v[2:5]
	v_bfe_u32 v7, v23, 16, 1
	v_perm_b32 v8, v15, v14, s5
	v_perm_b32 v9, v13, v12, s5
	v_mfma_f32_16x16x16_bf16 v[2:5], v[10:11], v[50:51], v[2:5]
	v_bfe_u32 v16, v22, 16, 1
	v_add3_u32 v10, v22, v16, s9
	v_add3_u32 v7, v23, v7, s9
	v_mfma_f32_16x16x16_bf16 v[2:5], v[8:9], v[52:53], v[2:5]
	v_perm_b32 v6, v33, v32, s5
	v_perm_b32 v7, v7, v10, s5
	s_nop 4
	v_pk_mul_f32 v[2:3], v[2:3], s[4:5] op_sel_hi:[1,0]
	v_pk_mul_f32 v[4:5], v[4:5], s[4:5] op_sel_hi:[1,0]
	v_bfe_u32 v8, v3, 16, 1
	v_bfe_u32 v9, v2, 16, 1
	v_add3_u32 v2, v2, v9, s9
	v_add3_u32 v3, v3, v8, s9
	v_perm_b32 v2, v3, v2, s5
	v_bfe_u32 v3, v5, 16, 1
	v_bfe_u32 v8, v4, 16, 1
	v_add3_u32 v4, v4, v8, s9
	v_add3_u32 v3, v5, v3, s9
	v_perm_b32 v3, v3, v4, s5
	v_cmp_ne_u32_e64 s[4:5], 3, v60
	s_and_b64 s[4:5], vcc, s[4:5]
	ds_write2st64_b64 v55, v[6:7], v[2:3] offset1:1
	s_waitcnt lgkmcnt(0)
	s_barrier
	s_and_saveexec_b64 s[10:11], s[4:5]
	s_cbranch_execz .LBB1266_19
; %bb.18:
	s_load_dwordx2 s[0:1], s[0:1], 0x68
	s_mul_i32 s2, s8, s2
	s_lshl_b32 s7, s7, 7
	v_lshlrev_b32_e32 v4, 6, v56
	s_mul_hi_u32 s5, s2, s7
	s_mul_i32 s4, s2, s7
	v_lshl_or_b32 v0, v0, 10, v4
	s_lshl_b64 s[4:5], s[4:5], 1
	v_lshlrev_b32_e32 v2, 5, v60
	v_and_b32_e32 v3, 16, v61
	v_and_b32_e32 v0, 0x1a00, v0
	s_waitcnt lgkmcnt(0)
	s_add_u32 s4, s0, s4
	v_or3_b32 v0, v0, v2, v3
	s_addc_u32 s5, s1, s5
	s_lshl_b32 s2, s6, 7
	ds_read_b128 v[2:5], v0
	s_lshl_b64 s[0:1], s[2:3], 1
	s_add_u32 s0, s4, s0
	s_addc_u32 s1, s5, s1
	v_mad_u64_u32 v[0:1], s[2:3], s7, v1, 0
	v_lshl_add_u64 v[0:1], v[0:1], 1, s[0:1]
	v_mov_b32_e32 v55, 0
	v_lshl_add_u64 v[0:1], v[0:1], 0, v[54:55]
	s_waitcnt lgkmcnt(0)
	global_store_dwordx4 v[0:1], v[2:5], off
.LBB1266_19:
	s_endpgm
	.section	.rodata,"a",@progbits
	.p2align	6, 0x0
	.amdhsa_kernel _Z39paged_attention_ll4mi_QKV_mfma16_kernelI14__hip_bfloat16hLN4vllm18Fp8KVCacheDataTypeE1EhLi16ELi128ELi256ELb1ELi3EEvPKT_PKT0_S8_ifPKiSA_SA_iPKfiiiPfSD_PS3_PT2_iSC_SC_
		.amdhsa_group_segment_fixed_size 8192
		.amdhsa_private_segment_fixed_size 0
		.amdhsa_kernarg_size 400
		.amdhsa_user_sgpr_count 2
		.amdhsa_user_sgpr_dispatch_ptr 0
		.amdhsa_user_sgpr_queue_ptr 0
		.amdhsa_user_sgpr_kernarg_segment_ptr 1
		.amdhsa_user_sgpr_dispatch_id 0
		.amdhsa_user_sgpr_kernarg_preload_length 0
		.amdhsa_user_sgpr_kernarg_preload_offset 0
		.amdhsa_user_sgpr_private_segment_size 0
		.amdhsa_uses_dynamic_stack 0
		.amdhsa_enable_private_segment 0
		.amdhsa_system_sgpr_workgroup_id_x 1
		.amdhsa_system_sgpr_workgroup_id_y 1
		.amdhsa_system_sgpr_workgroup_id_z 1
		.amdhsa_system_sgpr_workgroup_info 0
		.amdhsa_system_vgpr_workitem_id 0
		.amdhsa_next_free_vgpr 77
		.amdhsa_next_free_sgpr 50
		.amdhsa_accum_offset 80
		.amdhsa_reserve_vcc 1
		.amdhsa_float_round_mode_32 0
		.amdhsa_float_round_mode_16_64 0
		.amdhsa_float_denorm_mode_32 3
		.amdhsa_float_denorm_mode_16_64 3
		.amdhsa_dx10_clamp 1
		.amdhsa_ieee_mode 1
		.amdhsa_fp16_overflow 0
		.amdhsa_tg_split 0
		.amdhsa_exception_fp_ieee_invalid_op 0
		.amdhsa_exception_fp_denorm_src 0
		.amdhsa_exception_fp_ieee_div_zero 0
		.amdhsa_exception_fp_ieee_overflow 0
		.amdhsa_exception_fp_ieee_underflow 0
		.amdhsa_exception_fp_ieee_inexact 0
		.amdhsa_exception_int_div_zero 0
	.end_amdhsa_kernel
	.section	.text._Z39paged_attention_ll4mi_QKV_mfma16_kernelI14__hip_bfloat16hLN4vllm18Fp8KVCacheDataTypeE1EhLi16ELi128ELi256ELb1ELi3EEvPKT_PKT0_S8_ifPKiSA_SA_iPKfiiiPfSD_PS3_PT2_iSC_SC_,"axG",@progbits,_Z39paged_attention_ll4mi_QKV_mfma16_kernelI14__hip_bfloat16hLN4vllm18Fp8KVCacheDataTypeE1EhLi16ELi128ELi256ELb1ELi3EEvPKT_PKT0_S8_ifPKiSA_SA_iPKfiiiPfSD_PS3_PT2_iSC_SC_,comdat
.Lfunc_end1266:
	.size	_Z39paged_attention_ll4mi_QKV_mfma16_kernelI14__hip_bfloat16hLN4vllm18Fp8KVCacheDataTypeE1EhLi16ELi128ELi256ELb1ELi3EEvPKT_PKT0_S8_ifPKiSA_SA_iPKfiiiPfSD_PS3_PT2_iSC_SC_, .Lfunc_end1266-_Z39paged_attention_ll4mi_QKV_mfma16_kernelI14__hip_bfloat16hLN4vllm18Fp8KVCacheDataTypeE1EhLi16ELi128ELi256ELb1ELi3EEvPKT_PKT0_S8_ifPKiSA_SA_iPKfiiiPfSD_PS3_PT2_iSC_SC_
                                        ; -- End function
	.section	.AMDGPU.csdata,"",@progbits
; Kernel info:
; codeLenInByte = 6560
; NumSgprs: 56
; NumVgprs: 77
; NumAgprs: 0
; TotalNumVgprs: 77
; ScratchSize: 0
; MemoryBound: 0
; FloatMode: 240
; IeeeMode: 1
; LDSByteSize: 8192 bytes/workgroup (compile time only)
; SGPRBlocks: 6
; VGPRBlocks: 9
; NumSGPRsForWavesPerEU: 56
; NumVGPRsForWavesPerEU: 77
; AccumOffset: 80
; Occupancy: 6
; WaveLimiterHint : 1
; COMPUTE_PGM_RSRC2:SCRATCH_EN: 0
; COMPUTE_PGM_RSRC2:USER_SGPR: 2
; COMPUTE_PGM_RSRC2:TRAP_HANDLER: 0
; COMPUTE_PGM_RSRC2:TGID_X_EN: 1
; COMPUTE_PGM_RSRC2:TGID_Y_EN: 1
; COMPUTE_PGM_RSRC2:TGID_Z_EN: 1
; COMPUTE_PGM_RSRC2:TIDIG_COMP_CNT: 0
; COMPUTE_PGM_RSRC3_GFX90A:ACCUM_OFFSET: 19
; COMPUTE_PGM_RSRC3_GFX90A:TG_SPLIT: 0
	.section	.text._Z39paged_attention_ll4mi_QKV_mfma16_kernelI14__hip_bfloat16hLN4vllm18Fp8KVCacheDataTypeE1EhLi16ELi128ELi256ELb1ELi4EEvPKT_PKT0_S8_ifPKiSA_SA_iPKfiiiPfSD_PS3_PT2_iSC_SC_,"axG",@progbits,_Z39paged_attention_ll4mi_QKV_mfma16_kernelI14__hip_bfloat16hLN4vllm18Fp8KVCacheDataTypeE1EhLi16ELi128ELi256ELb1ELi4EEvPKT_PKT0_S8_ifPKiSA_SA_iPKfiiiPfSD_PS3_PT2_iSC_SC_,comdat
	.protected	_Z39paged_attention_ll4mi_QKV_mfma16_kernelI14__hip_bfloat16hLN4vllm18Fp8KVCacheDataTypeE1EhLi16ELi128ELi256ELb1ELi4EEvPKT_PKT0_S8_ifPKiSA_SA_iPKfiiiPfSD_PS3_PT2_iSC_SC_ ; -- Begin function _Z39paged_attention_ll4mi_QKV_mfma16_kernelI14__hip_bfloat16hLN4vllm18Fp8KVCacheDataTypeE1EhLi16ELi128ELi256ELb1ELi4EEvPKT_PKT0_S8_ifPKiSA_SA_iPKfiiiPfSD_PS3_PT2_iSC_SC_
	.globl	_Z39paged_attention_ll4mi_QKV_mfma16_kernelI14__hip_bfloat16hLN4vllm18Fp8KVCacheDataTypeE1EhLi16ELi128ELi256ELb1ELi4EEvPKT_PKT0_S8_ifPKiSA_SA_iPKfiiiPfSD_PS3_PT2_iSC_SC_
	.p2align	8
	.type	_Z39paged_attention_ll4mi_QKV_mfma16_kernelI14__hip_bfloat16hLN4vllm18Fp8KVCacheDataTypeE1EhLi16ELi128ELi256ELb1ELi4EEvPKT_PKT0_S8_ifPKiSA_SA_iPKfiiiPfSD_PS3_PT2_iSC_SC_,@function
_Z39paged_attention_ll4mi_QKV_mfma16_kernelI14__hip_bfloat16hLN4vllm18Fp8KVCacheDataTypeE1EhLi16ELi128ELi256ELb1ELi4EEvPKT_PKT0_S8_ifPKiSA_SA_iPKfiiiPfSD_PS3_PT2_iSC_SC_: ; @_Z39paged_attention_ll4mi_QKV_mfma16_kernelI14__hip_bfloat16hLN4vllm18Fp8KVCacheDataTypeE1EhLi16ELi128ELi256ELb1ELi4EEvPKT_PKT0_S8_ifPKiSA_SA_iPKfiiiPfSD_PS3_PT2_iSC_SC_
; %bb.0:
	s_load_dwordx2 s[8:9], s[0:1], 0x30
	s_mov_b32 s12, s3
	s_mov_b64 s[6:7], 0
	s_waitcnt lgkmcnt(0)
	s_cmp_lg_u64 s[8:9], 0
	s_cselect_b64 s[10:11], -1, 0
	s_and_b64 vcc, exec, s[10:11]
	s_cbranch_vccz .LBB1267_7
; %bb.1:
	s_add_i32 s14, s2, 1
	s_mov_b32 s15, 0
	s_lshl_b64 s[16:17], s[14:15], 2
	s_add_u32 s16, s8, s16
	s_mov_b32 s3, s15
	s_addc_u32 s17, s9, s17
	s_lshl_b64 s[14:15], s[2:3], 2
	s_add_u32 s14, s8, s14
	s_addc_u32 s15, s9, s15
	s_load_dword s5, s[16:17], 0x0
	s_load_dword s13, s[14:15], 0x0
	s_waitcnt lgkmcnt(0)
	s_sub_i32 s5, s5, s13
	s_cmp_eq_u32 s5, 1
	s_cselect_b64 s[14:15], -1, 0
	s_andn2_b64 vcc, exec, s[6:7]
	s_cbranch_vccnz .LBB1267_3
.LBB1267_2:
	s_mov_b32 s3, 0
	s_mov_b64 s[14:15], -1
.LBB1267_3:
	s_andn2_b64 vcc, exec, s[14:15]
	s_cbranch_vccnz .LBB1267_19
; %bb.4:
	s_load_dwordx2 s[6:7], s[0:1], 0x28
	s_lshl_b64 s[14:15], s[2:3], 2
	s_waitcnt lgkmcnt(0)
	s_add_u32 s6, s6, s14
	s_addc_u32 s7, s7, s15
	s_load_dword s33, s[6:7], 0x0
	s_lshl_b32 s18, s12, 8
	s_waitcnt lgkmcnt(0)
	s_cmp_ge_i32 s18, s33
	s_cbranch_scc1 .LBB1267_19
; %bb.5:
	s_load_dwordx2 s[6:7], s[0:1], 0x20
	s_load_dword s5, s[0:1], 0x38
	s_add_i32 s13, s33, 15
	s_ashr_i32 s16, s13, 31
	v_and_b32_e32 v1, 0xcf, v0
	s_lshr_b32 s16, s16, 28
	v_add_u32_e32 v1, s18, v1
	s_add_i32 s13, s13, s16
	v_ashrrev_i32_e32 v2, 31, v1
	s_ashr_i32 s19, s13, 4
	v_lshrrev_b32_e32 v4, 28, v2
	s_add_i32 s19, s19, -1
	s_waitcnt lgkmcnt(0)
	s_mul_i32 s16, s2, s5
	s_mov_b32 s17, 0
	v_add_u32_e32 v2, v1, v4
	s_lshl_b64 s[16:17], s[16:17], 2
	v_ashrrev_i32_e32 v2, 4, v2
	v_mov_b32_e32 v5, s19
	v_cmp_gt_i32_e32 vcc, s33, v1
	s_add_u32 s6, s6, s16
	s_addc_u32 s7, s7, s17
	v_cndmask_b32_e32 v2, v5, v2, vcc
	v_ashrrev_i32_e32 v3, 31, v2
	v_lshl_add_u64 v[6:7], v[2:3], 2, s[6:7]
	v_or_b32_e32 v2, 16, v1
	v_add_u32_e32 v3, v2, v4
	v_ashrrev_i32_e32 v3, 4, v3
	v_cmp_gt_i32_e32 vcc, s33, v2
	s_load_dwordx2 s[16:17], s[0:1], 0x8
	s_nop 0
	v_cndmask_b32_e32 v2, v5, v3, vcc
	v_ashrrev_i32_e32 v3, 31, v2
	v_lshl_add_u64 v[8:9], v[2:3], 2, s[6:7]
	v_or_b32_e32 v2, 32, v1
	v_add_u32_e32 v3, v2, v4
	v_ashrrev_i32_e32 v3, 4, v3
	v_cmp_gt_i32_e32 vcc, s33, v2
	v_or_b32_e32 v1, 48, v1
	s_nop 0
	v_cndmask_b32_e32 v2, v5, v3, vcc
	v_ashrrev_i32_e32 v3, 31, v2
	v_lshl_add_u64 v[10:11], v[2:3], 2, s[6:7]
	v_add_u32_e32 v2, v1, v4
	v_ashrrev_i32_e32 v2, 4, v2
	v_cmp_gt_i32_e32 vcc, s33, v1
	s_nop 1
	v_cndmask_b32_e32 v2, v5, v2, vcc
	v_ashrrev_i32_e32 v3, 31, v2
	v_lshl_add_u64 v[12:13], v[2:3], 2, s[6:7]
	global_load_dword v4, v[6:7], off
	global_load_dword v3, v[8:9], off
	;; [unrolled: 1-line block ×4, first 2 shown]
	s_andn2_b64 vcc, exec, s[10:11]
	s_cbranch_vccnz .LBB1267_8
; %bb.6:
	s_add_u32 s8, s8, s14
	s_addc_u32 s9, s9, s15
	s_load_dword s5, s[8:9], 0x0
	s_branch .LBB1267_9
.LBB1267_7:
	s_mov_b64 s[14:15], 0
	s_branch .LBB1267_2
.LBB1267_8:
	s_mov_b32 s5, s2
.LBB1267_9:
	s_load_dwordx2 s[8:9], s[0:1], 0x10
	s_load_dwordx4 s[44:47], s[0:1], 0x48
	v_and_b32_e32 v60, 15, v0
	v_bfe_u32 v63, v0, 4, 2
	s_lshl_b32 s13, s4, 2
	v_lshlrev_b32_e32 v5, 3, v60
	v_lshrrev_b32_e32 v64, 6, v0
	v_or_b32_e32 v1, s13, v63
	v_cmp_gt_u32_e64 s[14:15], 64, v0
	v_lshlrev_b32_e32 v54, 1, v5
	v_lshlrev_b32_e32 v61, 5, v63
	;; [unrolled: 1-line block ×3, first 2 shown]
	s_and_saveexec_b64 s[10:11], s[14:15]
	s_cbranch_execz .LBB1267_11
; %bb.10:
	s_load_dwordx2 s[20:21], s[0:1], 0x0
	s_waitcnt lgkmcnt(0)
	s_ashr_i32 s22, s44, 31
	s_mul_hi_u32 s23, s5, s44
	s_mul_i32 s22, s5, s22
	s_add_i32 s23, s23, s22
	s_mul_i32 s22, s5, s44
	s_lshl_b64 s[22:23], s[22:23], 1
	s_add_u32 s20, s20, s22
	v_lshlrev_b32_e32 v6, 7, v1
	s_addc_u32 s21, s21, s23
	v_ashrrev_i32_e32 v7, 31, v6
	v_lshl_add_u64 v[6:7], v[6:7], 1, s[20:21]
	v_mov_b32_e32 v55, 0
	v_lshl_add_u64 v[6:7], v[6:7], 0, v[54:55]
	global_load_dwordx4 v[6:9], v[6:7], off
	v_lshlrev_b32_e32 v10, 8, v0
	v_lshlrev_b32_e32 v5, 8, v60
	v_and_b32_e32 v10, 0x600, v10
	s_movk_i32 s5, 0x800
	v_and_or_b32 v5, v5, s5, v10
	v_lshl_or_b32 v10, v64, 7, v61
	v_and_b32_e32 v11, 16, v62
	v_or3_b32 v5, v5, v10, v11
	s_waitcnt vmcnt(0)
	ds_write_b128 v5, v[6:9]
.LBB1267_11:
	s_or_b64 exec, exec, s[10:11]
	s_waitcnt lgkmcnt(0)
	s_mul_i32 s10, s4, s46
	s_add_u32 s4, s16, s10
	s_addc_u32 s5, s17, 0
	v_and_b32_e32 v56, 0xf0, v62
	v_mov_b32_e32 v57, 0
	v_and_b32_e32 v46, 48, v0
	v_lshl_add_u64 v[20:21], s[4:5], 0, v[56:57]
	v_lshlrev_b32_e32 v56, 4, v46
	s_waitcnt vmcnt(3)
	v_mad_i64_i32 v[4:5], s[4:5], v4, s45, v[20:21]
	v_lshl_add_u64 v[4:5], v[4:5], 0, v[56:57]
	s_barrier
	global_load_dwordx4 v[42:45], v[4:5], off
	global_load_dwordx4 v[14:17], v[4:5], off offset:1024
	s_waitcnt vmcnt(4)
	v_mad_i64_i32 v[4:5], s[4:5], v3, s45, v[20:21]
	s_waitcnt vmcnt(3)
	v_mad_i64_i32 v[2:3], s[4:5], v2, s45, v[20:21]
	;; [unrolled: 2-line block ×3, first 2 shown]
	v_lshl_add_u64 v[4:5], v[4:5], 0, v[56:57]
	v_lshl_add_u64 v[22:23], v[2:3], 0, v[56:57]
	;; [unrolled: 1-line block ×3, first 2 shown]
	global_load_dwordx4 v[10:13], v[4:5], off
	global_load_dwordx4 v[6:9], v[4:5], off offset:1024
	s_nop 0
	global_load_dwordx4 v[2:5], v[22:23], off
	global_load_dwordx4 v[50:53], v[22:23], off offset:1024
	global_load_dwordx4 v[34:37], v[18:19], off
	s_nop 0
	global_load_dwordx4 v[22:25], v[18:19], off offset:1024
	v_and_b32_e32 v18, 3, v0
	v_lshlrev_b32_e32 v18, 5, v18
	v_lshl_or_b32 v18, v63, 9, v18
	ds_read_b128 v[38:41], v18
	ds_read_b128 v[30:33], v18 offset:16
	ds_read_b128 v[26:29], v18 offset:2048
	ds_read_b128 v[18:21], v18 offset:2064
	v_and_b32_e32 v55, 63, v0
	v_cmp_gt_u32_e32 vcc, 4, v60
	v_mov_b32_e32 v65, 0
	s_and_saveexec_b64 s[4:5], vcc
	s_cbranch_execz .LBB1267_13
; %bb.12:
	s_load_dwordx2 s[16:17], s[0:1], 0x40
	v_or_b32_e32 v48, s13, v60
	v_ashrrev_i32_e32 v49, 31, v48
	s_waitcnt lgkmcnt(0)
	v_lshl_add_u64 v[48:49], v[48:49], 2, s[16:17]
	global_load_dword v65, v[48:49], off
.LBB1267_13:
	s_or_b64 exec, exec, s[4:5]
	s_waitcnt vmcnt(7)
	v_cvt_pk_f32_fp8_e32 v[58:59], v42
	v_cvt_pk_f32_fp8_sdwa v[68:69], v42 src0_sel:WORD_1
	s_mov_b32 s44, 0x7060302
	v_cvt_pk_f32_fp8_e32 v[70:71], v43
	v_perm_b32 v58, v59, v58, s44
	v_perm_b32 v59, v69, v68, s44
	v_cvt_pk_f32_fp8_sdwa v[42:43], v43 src0_sel:WORD_1
	v_perm_b32 v72, v71, v70, s44
	v_cvt_pk_f32_fp8_e32 v[74:75], v44
	v_cvt_pk_f32_fp8_sdwa v[76:77], v44 src0_sel:WORD_1
	v_perm_b32 v73, v43, v42, s44
	s_waitcnt lgkmcnt(3)
	v_mfma_f32_16x16x16_bf16 v[68:71], v[58:59], v[38:39], 0
	v_or_b32_e32 v56, s18, v46
	v_ashrrev_i32_e32 v46, 4, v56
	v_mov_b32_e32 v67, s19
	v_cmp_gt_i32_e32 vcc, s33, v56
	v_perm_b32 v58, v75, v74, s44
	v_perm_b32 v59, v77, v76, s44
	v_cvt_pk_f32_fp8_e32 v[74:75], v45
	v_cvt_pk_f32_fp8_sdwa v[76:77], v45 src0_sel:WORD_1
	v_cndmask_b32_e32 v46, v67, v46, vcc
	v_mfma_f32_16x16x16_bf16 v[42:45], v[72:73], v[40:41], v[68:71]
	v_ashrrev_i32_e32 v47, 31, v46
	v_lshl_add_u64 v[46:47], v[46:47], 2, s[6:7]
	global_load_dword v66, v[46:47], off
	v_or_b32_e32 v46, 64, v56
	v_perm_b32 v68, v75, v74, s44
	v_perm_b32 v69, v77, v76, s44
	v_ashrrev_i32_e32 v47, 4, v46
	v_cmp_gt_i32_e32 vcc, s33, v46
	s_waitcnt lgkmcnt(2)
	v_mfma_f32_16x16x16_bf16 v[42:45], v[58:59], v[30:31], v[42:45]
	s_waitcnt vmcnt(7)
	v_cvt_pk_f32_fp8_sdwa v[72:73], v14 src0_sel:WORD_1
	v_cndmask_b32_e32 v46, v67, v47, vcc
	v_ashrrev_i32_e32 v47, 31, v46
	v_lshl_add_u64 v[48:49], v[46:47], 2, s[6:7]
	v_or_b32_e32 v46, 0x80, v56
	v_mfma_f32_16x16x16_bf16 v[42:45], v[68:69], v[32:33], v[42:45]
	global_load_dword v68, v[48:49], off
	v_ashrrev_i32_e32 v47, 4, v46
	v_cmp_gt_i32_e32 vcc, s33, v46
	v_or_b32_e32 v56, 0xc0, v56
	v_ashrrev_i32_e32 v70, 4, v56
	v_cndmask_b32_e32 v46, v67, v47, vcc
	v_cmp_gt_i32_e32 vcc, s33, v56
	v_ashrrev_i32_e32 v47, 31, v46
	v_lshl_add_u64 v[46:47], v[46:47], 2, s[6:7]
	v_cndmask_b32_e32 v58, v67, v70, vcc
	v_cvt_pk_f32_fp8_e32 v[70:71], v14
	v_ashrrev_i32_e32 v59, 31, v58
	v_lshl_add_u64 v[58:59], v[58:59], 2, s[6:7]
	v_cvt_pk_f32_fp8_sdwa v[74:75], v16 src0_sel:WORD_1
	v_perm_b32 v70, v71, v70, s44
	v_perm_b32 v71, v73, v72, s44
	v_cvt_pk_f32_fp8_e32 v[72:73], v16
	v_cvt_pk_f32_fp8_sdwa v[76:77], v17 src0_sel:WORD_1
	s_waitcnt lgkmcnt(1)
	v_mfma_f32_16x16x16_bf16 v[42:45], v[70:71], v[26:27], v[42:45]
	global_load_dword v70, v[58:59], off
	global_load_dword v69, v[46:47], off
	v_cvt_pk_f32_fp8_e32 v[48:49], v15
	v_cvt_pk_f32_fp8_sdwa v[14:15], v15 src0_sel:WORD_1
	v_perm_b32 v72, v73, v72, s44
	v_perm_b32 v73, v75, v74, s44
	v_perm_b32 v48, v49, v48, s44
	v_perm_b32 v49, v15, v14, s44
	v_cvt_pk_f32_fp8_e32 v[74:75], v17
	s_waitcnt vmcnt(9)
	v_cvt_pk_f32_fp8_e32 v[46:47], v10
	v_mfma_f32_16x16x16_bf16 v[14:17], v[48:49], v[28:29], v[42:45]
	v_cvt_pk_f32_fp8_sdwa v[48:49], v10 src0_sel:WORD_1
	s_nop 1
	v_perm_b32 v42, v75, v74, s44
	v_perm_b32 v43, v77, v76, s44
	s_waitcnt lgkmcnt(0)
	v_mfma_f32_16x16x16_bf16 v[14:17], v[72:73], v[18:19], v[14:17]
	v_cvt_pk_f32_fp8_sdwa v[58:59], v12 src0_sel:WORD_1
	v_cvt_pk_f32_fp8_sdwa v[72:73], v13 src0_sel:WORD_1
	s_add_u32 s4, s8, s10
	v_mfma_f32_16x16x16_bf16 v[42:45], v[42:43], v[20:21], v[14:17]
	v_lshl_or_b32 v67, v64, 4, v60
	s_waitcnt vmcnt(7)
	v_cvt_pk_f32_fp8_e32 v[74:75], v5
	s_addc_u32 s5, s9, 0
	v_cvt_pk_f32_fp8_e32 v[14:15], v11
	v_perm_b32 v16, v47, v46, s44
	v_perm_b32 v17, v49, v48, s44
	v_cvt_pk_f32_fp8_sdwa v[10:11], v11 src0_sel:WORD_1
	v_perm_b32 v46, v15, v14, s44
	v_cvt_pk_f32_fp8_e32 v[48:49], v12
	v_mfma_f32_16x16x16_bf16 v[14:17], v[16:17], v[38:39], 0
	v_perm_b32 v47, v11, v10, s44
	v_perm_b32 v48, v49, v48, s44
	;; [unrolled: 1-line block ×3, first 2 shown]
	v_cvt_pk_f32_fp8_e32 v[58:59], v13
	v_mfma_f32_16x16x16_bf16 v[10:13], v[46:47], v[40:41], v[14:17]
	v_cvt_pk_f32_fp8_sdwa v[46:47], v6 src0_sel:WORD_1
	v_lshlrev_b32_e32 v56, 4, v67
	s_nop 0
	v_perm_b32 v14, v59, v58, s44
	v_perm_b32 v15, v73, v72, s44
	v_mfma_f32_16x16x16_bf16 v[10:13], v[48:49], v[30:31], v[10:13]
	v_cvt_pk_f32_fp8_e32 v[16:17], v6
	v_cvt_pk_f32_fp8_sdwa v[48:49], v8 src0_sel:WORD_1
	v_lshl_add_u64 v[58:59], s[4:5], 0, v[56:57]
	v_mfma_f32_16x16x16_bf16 v[10:13], v[14:15], v[32:33], v[10:13]
	v_cvt_pk_f32_fp8_e32 v[14:15], v7
	v_perm_b32 v16, v17, v16, s44
	v_perm_b32 v17, v47, v46, s44
	v_cvt_pk_f32_fp8_sdwa v[6:7], v7 src0_sel:WORD_1
	v_perm_b32 v14, v15, v14, s44
	v_cvt_pk_f32_fp8_e32 v[46:47], v8
	v_mfma_f32_16x16x16_bf16 v[10:13], v[16:17], v[26:27], v[10:13]
	v_perm_b32 v15, v7, v6, s44
	v_perm_b32 v16, v47, v46, s44
	;; [unrolled: 1-line block ×3, first 2 shown]
	v_cvt_pk_f32_fp8_e32 v[46:47], v9
	v_cvt_pk_f32_fp8_sdwa v[48:49], v9 src0_sel:WORD_1
	v_mfma_f32_16x16x16_bf16 v[6:9], v[14:15], v[28:29], v[10:13]
	v_cvt_pk_f32_fp8_sdwa v[14:15], v2 src0_sel:WORD_1
	s_waitcnt vmcnt(2)
	v_mad_i64_i32 v[72:73], s[6:7], v68, s45, v[58:59]
	v_perm_b32 v10, v47, v46, s44
	v_perm_b32 v11, v49, v48, s44
	v_mfma_f32_16x16x16_bf16 v[6:9], v[16:17], v[18:19], v[6:9]
	v_cvt_pk_f32_fp8_e32 v[12:13], v2
	v_cvt_pk_f32_fp8_sdwa v[80:81], v52 src0_sel:WORD_1
	v_or_b32_e32 v56, 0x400, v56
	v_mfma_f32_16x16x16_bf16 v[46:49], v[10:11], v[20:21], v[6:9]
	v_mad_i64_i32 v[10:11], s[6:7], v66, s45, v[58:59]
	s_mov_b32 s47, 0xff7fffff
	s_nop 0
	v_perm_b32 v6, v13, v12, s44
	v_perm_b32 v7, v15, v14, s44
	v_cvt_pk_f32_fp8_e32 v[8:9], v3
	v_cvt_pk_f32_fp8_sdwa v[2:3], v3 src0_sel:WORD_1
	v_cvt_pk_f32_fp8_sdwa v[14:15], v4 src0_sel:WORD_1
	v_perm_b32 v12, v9, v8, s44
	v_perm_b32 v13, v3, v2, s44
	v_cvt_pk_f32_fp8_e32 v[2:3], v4
	v_mfma_f32_16x16x16_bf16 v[6:9], v[6:7], v[38:39], 0
	v_cvt_pk_f32_fp8_sdwa v[4:5], v5 src0_sel:WORD_1
	s_waitcnt vmcnt(0)
	v_mad_i64_i32 v[76:77], s[6:7], v69, s45, v[58:59]
	v_perm_b32 v2, v3, v2, s44
	v_perm_b32 v3, v15, v14, s44
	v_mfma_f32_16x16x16_bf16 v[6:9], v[12:13], v[40:41], v[6:9]
	global_load_dwordx4 v[14:17], v[10:11], off
	s_nop 0
	global_load_dwordx4 v[10:13], v[72:73], off
	v_perm_b32 v72, v75, v74, s44
	v_perm_b32 v73, v5, v4, s44
	v_mfma_f32_16x16x16_bf16 v[2:5], v[2:3], v[30:31], v[6:9]
	v_mad_i64_i32 v[58:59], s[6:7], v70, s45, v[58:59]
	s_nop 1
	v_cvt_pk_f32_fp8_e32 v[6:7], v50
	v_cvt_pk_f32_fp8_sdwa v[8:9], v50 src0_sel:WORD_1
	v_mfma_f32_16x16x16_bf16 v[2:5], v[72:73], v[32:33], v[2:5]
	v_perm_b32 v6, v7, v6, s44
	v_perm_b32 v7, v9, v8, s44
	v_cvt_pk_f32_fp8_e32 v[8:9], v51
	v_cvt_pk_f32_fp8_sdwa v[50:51], v51 src0_sel:WORD_1
	v_mfma_f32_16x16x16_bf16 v[72:75], v[6:7], v[26:27], v[2:5]
	v_perm_b32 v78, v9, v8, s44
	v_perm_b32 v79, v51, v50, s44
	v_cvt_pk_f32_fp8_e32 v[50:51], v52
	global_load_dwordx4 v[6:9], v[76:77], off
	global_load_dwordx4 v[2:5], v[58:59], off
	v_perm_b32 v77, v81, v80, s44
	v_cvt_pk_f32_fp8_e32 v[58:59], v53
	v_perm_b32 v76, v51, v50, s44
	v_cvt_pk_f32_fp8_sdwa v[80:81], v53 src0_sel:WORD_1
	v_mfma_f32_16x16x16_bf16 v[50:53], v[78:79], v[28:29], v[72:75]
	v_perm_b32 v58, v59, v58, s44
	v_cvt_pk_f32_fp8_sdwa v[78:79], v36 src0_sel:WORD_1
	v_perm_b32 v59, v81, v80, s44
	v_mfma_f32_16x16x16_bf16 v[50:53], v[76:77], v[18:19], v[50:53]
	v_cvt_pk_f32_fp8_e32 v[72:73], v34
	v_cvt_pk_f32_fp8_sdwa v[74:75], v34 src0_sel:WORD_1
	v_cvt_pk_f32_fp8_e32 v[76:77], v36
	v_mfma_f32_16x16x16_bf16 v[50:53], v[58:59], v[20:21], v[50:53]
	v_cvt_pk_f32_fp8_e32 v[58:59], v35
	v_perm_b32 v72, v73, v72, s44
	v_perm_b32 v73, v75, v74, s44
	v_cvt_pk_f32_fp8_sdwa v[34:35], v35 src0_sel:WORD_1
	v_perm_b32 v58, v59, v58, s44
	v_mfma_f32_16x16x16_bf16 v[72:75], v[72:73], v[38:39], 0
	v_perm_b32 v59, v35, v34, s44
	v_perm_b32 v38, v77, v76, s44
	;; [unrolled: 1-line block ×3, first 2 shown]
	v_cvt_pk_f32_fp8_e32 v[76:77], v37
	v_cvt_pk_f32_fp8_sdwa v[78:79], v37 src0_sel:WORD_1
	v_mfma_f32_16x16x16_bf16 v[34:37], v[58:59], v[40:41], v[72:75]
	s_load_dword s6, s[0:1], 0x1c
	s_load_dwordx4 s[40:43], s[0:1], 0x80
	v_perm_b32 v58, v77, v76, s44
	v_perm_b32 v59, v79, v78, s44
	v_mfma_f32_16x16x16_bf16 v[34:37], v[38:39], v[30:31], v[34:37]
	s_load_dword s46, s[0:1], 0x98
	s_waitcnt lgkmcnt(0)
	s_load_dword s7, s[40:41], 0x0
	v_cvt_pk_f32_fp8_sdwa v[38:39], v22 src0_sel:WORD_1
	v_mfma_f32_16x16x16_bf16 v[32:35], v[58:59], v[32:33], v[34:37]
	v_mov_b32_e32 v40, s6
	s_waitcnt lgkmcnt(0)
	v_mul_f32_e32 v72, s7, v40
	v_cvt_pk_f32_fp8_e32 v[36:37], v22
	v_pk_mul_f32 v[30:31], v[72:73], v[42:43] op_sel_hi:[0,1]
	v_cvt_pk_f32_fp8_e32 v[42:43], v23
	v_cvt_pk_f32_fp8_sdwa v[22:23], v23 src0_sel:WORD_1
	v_perm_b32 v36, v37, v36, s44
	v_perm_b32 v37, v39, v38, s44
	v_pk_mul_f32 v[40:41], v[72:73], v[44:45] op_sel_hi:[0,1]
	v_perm_b32 v38, v43, v42, s44
	v_perm_b32 v39, v23, v22, s44
	v_cvt_pk_f32_fp8_e32 v[42:43], v24
	v_cvt_pk_f32_fp8_sdwa v[44:45], v24 src0_sel:WORD_1
	v_mfma_f32_16x16x16_bf16 v[32:35], v[36:37], v[26:27], v[32:35]
	v_lshl_add_u64 v[22:23], s[4:5], 0, v[56:57]
	v_perm_b32 v36, v43, v42, s44
	v_perm_b32 v37, v45, v44, s44
	v_cvt_pk_f32_fp8_e32 v[42:43], v25
	v_cvt_pk_f32_fp8_sdwa v[56:57], v25 src0_sel:WORD_1
	v_mfma_f32_16x16x16_bf16 v[24:27], v[38:39], v[28:29], v[32:35]
	v_pk_mul_f32 v[44:45], v[72:73], v[48:49] op_sel_hi:[0,1]
	v_perm_b32 v28, v43, v42, s44
	v_perm_b32 v29, v57, v56, s44
	v_mfma_f32_16x16x16_bf16 v[24:27], v[36:37], v[18:19], v[24:27]
	v_pk_mul_f32 v[42:43], v[72:73], v[50:51] op_sel_hi:[0,1]
	v_pk_mul_f32 v[46:47], v[72:73], v[46:47] op_sel_hi:[0,1]
	;; [unrolled: 1-line block ×3, first 2 shown]
	v_mfma_f32_16x16x16_bf16 v[18:21], v[28:29], v[20:21], v[24:27]
	s_nop 6
	v_pk_mul_f32 v[36:37], v[72:73], v[18:19] op_sel_hi:[0,1]
	v_and_b32_e32 v18, 0xc0, v0
	v_add_u32_e32 v18, s18, v18
	v_lshl_or_b32 v18, v63, 2, v18
	v_or_b32_e32 v19, 1, v18
	v_pk_mul_f32 v[34:35], v[72:73], v[20:21] op_sel_hi:[0,1]
	v_subrev_u32_e32 v20, s33, v19
	v_add_u32_e32 v24, 1, v20
	v_add_u32_e32 v25, 2, v20
	v_cvt_f32_i32_e32 v21, v20
	v_cvt_f32_i32_e32 v24, v24
	;; [unrolled: 1-line block ×3, first 2 shown]
	v_add_u32_e32 v26, 3, v20
	v_fma_f32 v50, v65, v21, v30
	v_fmac_f32_e32 v31, v65, v24
	v_fma_f32 v40, v65, v25, v40
	v_add_u32_e32 v21, 16, v20
	v_add_u32_e32 v24, 17, v20
	;; [unrolled: 1-line block ×3, first 2 shown]
	v_cvt_f32_i32_e32 v26, v26
	v_cvt_f32_i32_e32 v21, v21
	;; [unrolled: 1-line block ×4, first 2 shown]
	v_fmac_f32_e32 v41, v65, v26
	v_add_u32_e32 v26, 19, v20
	v_fma_f32 v52, v65, v21, v46
	v_fmac_f32_e32 v47, v65, v24
	v_fma_f32 v44, v65, v25, v44
	v_add_u32_e32 v21, 32, v20
	v_add_u32_e32 v24, 33, v20
	;; [unrolled: 1-line block ×3, first 2 shown]
	v_cvt_f32_i32_e32 v26, v26
	v_cvt_f32_i32_e32 v21, v21
	;; [unrolled: 1-line block ×4, first 2 shown]
	v_fmac_f32_e32 v45, v65, v26
	v_add_u32_e32 v26, 35, v20
	v_fma_f32 v42, v65, v21, v42
	v_fmac_f32_e32 v43, v65, v24
	v_fma_f32 v38, v65, v25, v38
	v_add_u32_e32 v21, 48, v20
	v_add_u32_e32 v24, 49, v20
	;; [unrolled: 1-line block ×4, first 2 shown]
	v_cvt_f32_i32_e32 v20, v20
	v_cvt_f32_i32_e32 v21, v21
	;; [unrolled: 1-line block ×3, first 2 shown]
	v_cmp_gt_i32_e64 s[4:5], s33, v18
	v_fmac_f32_e32 v35, v65, v20
	v_mov_b32_e32 v20, 0xff7fffff
	v_cmp_gt_i32_e64 s[16:17], s33, v19
	v_fma_f32 v36, v65, v21, v36
	v_cndmask_b32_e64 v21, v20, v50, s[4:5]
	v_cndmask_b32_e64 v19, v20, v31, s[16:17]
	v_fmac_f32_e32 v37, v65, v24
	v_max3_f32 v19, v21, s47, v19
	v_or_b32_e32 v21, 2, v18
	v_or_b32_e32 v24, 3, v18
	v_cmp_gt_i32_e64 s[18:19], s33, v21
	v_cmp_gt_i32_e64 s[20:21], s33, v24
	v_cvt_f32_i32_e32 v26, v26
	v_cndmask_b32_e64 v21, v20, v40, s[18:19]
	v_cndmask_b32_e64 v24, v20, v41, s[20:21]
	v_max3_f32 v19, v19, v21, v24
	v_or_b32_e32 v21, 16, v18
	v_or_b32_e32 v24, 17, v18
	v_cmp_gt_i32_e64 s[22:23], s33, v21
	v_cmp_gt_i32_e64 s[24:25], s33, v24
	v_fmac_f32_e32 v39, v65, v26
	v_cndmask_b32_e64 v21, v20, v52, s[22:23]
	v_cndmask_b32_e64 v24, v20, v47, s[24:25]
	v_max3_f32 v19, v19, v21, v24
	v_or_b32_e32 v21, 18, v18
	v_or_b32_e32 v24, 19, v18
	v_cmp_gt_i32_e64 s[26:27], s33, v21
	v_cmp_gt_i32_e64 s[28:29], s33, v24
	v_cvt_f32_i32_e32 v25, v25
	v_cndmask_b32_e64 v21, v20, v44, s[26:27]
	v_cndmask_b32_e64 v24, v20, v45, s[28:29]
	v_max3_f32 v19, v19, v21, v24
	v_or_b32_e32 v21, 32, v18
	v_or_b32_e32 v24, 33, v18
	v_cmp_gt_i32_e64 s[30:31], s33, v21
	v_cmp_gt_i32_e64 s[34:35], s33, v24
	v_fma_f32 v34, v65, v25, v34
	v_cndmask_b32_e64 v21, v20, v42, s[30:31]
	v_cndmask_b32_e64 v24, v20, v43, s[34:35]
	v_max3_f32 v19, v19, v21, v24
	v_or_b32_e32 v21, 34, v18
	v_or_b32_e32 v24, 35, v18
	v_cmp_gt_i32_e64 s[36:37], s33, v21
	v_cmp_gt_i32_e64 s[38:39], s33, v24
	s_nop 0
	v_cndmask_b32_e64 v21, v20, v38, s[36:37]
	v_cndmask_b32_e64 v24, v20, v39, s[38:39]
	v_max3_f32 v19, v19, v21, v24
	v_or_b32_e32 v21, 48, v18
	v_or_b32_e32 v24, 49, v18
	v_cmp_gt_i32_e64 s[8:9], s33, v21
	v_cmp_gt_i32_e64 s[10:11], s33, v24
	s_nop 0
	v_cndmask_b32_e64 v21, v20, v36, s[8:9]
	v_cndmask_b32_e64 v24, v20, v37, s[10:11]
	v_max3_f32 v19, v19, v21, v24
	v_or_b32_e32 v21, 50, v18
	v_or_b32_e32 v18, 51, v18
	v_cmp_gt_i32_e32 vcc, s33, v21
	v_cmp_gt_i32_e64 s[6:7], s33, v18
	s_nop 0
	v_cndmask_b32_e32 v21, v20, v34, vcc
	v_cndmask_b32_e64 v18, v20, v35, s[6:7]
	v_max3_f32 v24, v19, v21, v18
	v_mbcnt_lo_u32_b32 v18, -1, 0
	v_mbcnt_hi_u32_b32 v25, -1, v18
	v_and_b32_e32 v18, 64, v25
	v_add_u32_e32 v26, 64, v18
	v_xor_b32_e32 v18, 32, v25
	v_cmp_lt_i32_e64 s[40:41], v18, v26
	s_nop 1
	v_cndmask_b32_e64 v18, v25, v18, s[40:41]
	v_lshlrev_b32_e32 v53, 2, v18
	ds_bpermute_b32 v27, v53, v24
	v_mad_i64_i32 v[18:19], s[40:41], v66, s45, v[22:23]
	v_mad_i64_i32 v[20:21], s[40:41], v68, s45, v[22:23]
	s_waitcnt lgkmcnt(0)
	v_max_f32_e32 v27, v27, v27
	v_max_f32_e32 v27, v24, v27
	v_xor_b32_e32 v24, 16, v25
	v_cmp_lt_i32_e64 s[40:41], v24, v26
	s_nop 1
	v_cndmask_b32_e64 v24, v25, v24, s[40:41]
	v_lshlrev_b32_e32 v56, 2, v24
	ds_bpermute_b32 v26, v56, v27
	v_mad_i64_i32 v[24:25], s[40:41], v69, s45, v[22:23]
	v_mad_i64_i32 v[48:49], s[40:41], v70, s45, v[22:23]
	s_waitcnt lgkmcnt(0)
	v_max_f32_e32 v22, v26, v26
	v_max_f32_e32 v46, v27, v22
	v_sub_f32_e32 v22, v31, v46
	global_load_dwordx4 v[30:33], v[18:19], off
	global_load_dwordx4 v[26:29], v[20:21], off
	v_sub_f32_e32 v18, v50, v46
	v_mul_f32_e32 v18, 0x3fb8aa3b, v18
	v_exp_f32_e32 v50, v18
	v_mul_f32_e32 v18, 0x3fb8aa3b, v22
	v_exp_f32_e32 v51, v18
	v_sub_f32_e32 v18, v40, v46
	v_mul_f32_e32 v18, 0x3fb8aa3b, v18
	v_exp_f32_e32 v40, v18
	v_sub_f32_e32 v18, v41, v46
	v_mul_f32_e32 v18, 0x3fb8aa3b, v18
	v_exp_f32_e32 v41, v18
	global_load_dwordx4 v[22:25], v[24:25], off
	s_nop 0
	global_load_dwordx4 v[18:21], v[48:49], off
	v_sub_f32_e32 v42, v42, v46
	v_sub_f32_e32 v38, v38, v46
	v_mul_f32_e32 v42, 0x3fb8aa3b, v42
	v_mul_f32_e32 v38, 0x3fb8aa3b, v38
	v_cndmask_b32_e64 v49, 0, v51, s[16:17]
	v_cndmask_b32_e64 v51, 0, v41, s[20:21]
	v_sub_f32_e32 v41, v47, v46
	v_exp_f32_e32 v42, v42
	v_exp_f32_e32 v47, v38
	v_cndmask_b32_e64 v48, 0, v50, s[4:5]
	v_cndmask_b32_e64 v50, 0, v40, s[18:19]
	v_sub_f32_e32 v40, v52, v46
	v_mul_f32_e32 v40, 0x3fb8aa3b, v40
	v_sub_f32_e32 v38, v39, v46
	v_exp_f32_e32 v40, v40
	v_mul_f32_e32 v41, 0x3fb8aa3b, v41
	v_sub_f32_e32 v44, v44, v46
	v_mul_f32_e32 v38, 0x3fb8aa3b, v38
	v_exp_f32_e32 v41, v41
	v_mul_f32_e32 v44, 0x3fb8aa3b, v44
	v_sub_f32_e32 v45, v45, v46
	v_exp_f32_e32 v52, v38
	v_cndmask_b32_e64 v38, 0, v42, s[30:31]
	v_cndmask_b32_e64 v42, 0, v47, s[36:37]
	v_add_f32_e32 v47, 0, v48
	v_exp_f32_e32 v44, v44
	v_mul_f32_e32 v45, 0x3fb8aa3b, v45
	v_add_f32_e32 v47, v47, v49
	v_exp_f32_e32 v45, v45
	v_sub_f32_e32 v43, v43, v46
	v_add_f32_e32 v47, v47, v50
	v_cndmask_b32_e64 v40, 0, v40, s[22:23]
	v_mul_f32_e32 v43, 0x3fb8aa3b, v43
	v_add_f32_e32 v47, v47, v51
	v_cndmask_b32_e64 v41, 0, v41, s[24:25]
	v_exp_f32_e32 v43, v43
	v_add_f32_e32 v47, v47, v40
	v_cndmask_b32_e64 v44, 0, v44, s[26:27]
	v_add_f32_e32 v47, v47, v41
	v_sub_f32_e32 v36, v36, v46
	v_cndmask_b32_e64 v45, 0, v45, s[28:29]
	v_add_f32_e32 v47, v47, v44
	v_mul_f32_e32 v36, 0x3fb8aa3b, v36
	v_sub_f32_e32 v37, v37, v46
	v_add_f32_e32 v47, v47, v45
	v_exp_f32_e32 v36, v36
	v_mul_f32_e32 v37, 0x3fb8aa3b, v37
	v_sub_f32_e32 v34, v34, v46
	v_cndmask_b32_e64 v39, 0, v43, s[34:35]
	v_add_f32_e32 v47, v47, v38
	v_exp_f32_e32 v37, v37
	v_mul_f32_e32 v34, 0x3fb8aa3b, v34
	v_sub_f32_e32 v35, v35, v46
	v_add_f32_e32 v47, v47, v39
	v_exp_f32_e32 v34, v34
	v_mul_f32_e32 v35, 0x3fb8aa3b, v35
	v_cndmask_b32_e64 v43, 0, v52, s[38:39]
	v_add_f32_e32 v47, v47, v42
	v_exp_f32_e32 v35, v35
	v_add_f32_e32 v47, v47, v43
	v_cndmask_b32_e64 v36, 0, v36, s[8:9]
	v_add_f32_e32 v47, v47, v36
	v_cndmask_b32_e64 v37, 0, v37, s[10:11]
	v_add_f32_e32 v47, v47, v37
	v_cndmask_b32_e32 v34, 0, v34, vcc
	v_add_f32_e32 v47, v47, v34
	v_cndmask_b32_e64 v35, 0, v35, s[6:7]
	v_add_f32_e32 v47, v47, v35
	ds_bpermute_b32 v52, v53, v47
	v_cmp_gt_u32_e32 vcc, 16, v55
	s_waitcnt lgkmcnt(0)
	s_barrier
	v_add_f32_e32 v47, v47, v52
	ds_bpermute_b32 v52, v56, v47
	s_and_saveexec_b64 s[4:5], vcc
	s_cbranch_execz .LBB1267_15
; %bb.14:
	s_waitcnt lgkmcnt(0)
	v_add_f32_e32 v47, v47, v52
	v_lshlrev_b32_e32 v52, 2, v67
	ds_write2st64_b32 v52, v46, v47 offset1:1
.LBB1267_15:
	s_or_b64 exec, exec, s[4:5]
	v_lshlrev_b32_e32 v47, 2, v60
	s_load_dword s6, s[0:1], 0x94
	s_waitcnt lgkmcnt(0)
	s_barrier
	ds_read2_b32 v[52:53], v47 offset1:16
	ds_read2_b32 v[56:57], v47 offset0:32 offset1:48
	ds_read2_b32 v[58:59], v47 offset0:64 offset1:80
	s_movk_i32 s8, 0x7fff
	s_lshl_b32 s7, s46, 2
	s_waitcnt lgkmcnt(2)
	v_max3_f32 v46, v52, s47, v53
	s_waitcnt lgkmcnt(1)
	v_max3_f32 v46, v46, v56, v57
	v_sub_f32_e32 v52, v52, v46
	v_mul_f32_e32 v52, 0x3fb8aa3b, v52
	v_exp_f32_e32 v55, v52
	v_sub_f32_e32 v52, v53, v46
	v_mul_f32_e32 v52, 0x3fb8aa3b, v52
	v_exp_f32_e32 v65, v52
	;; [unrolled: 3-line block ×3, first 2 shown]
	ds_read2_b32 v[52:53], v47 offset0:96 offset1:112
	v_sub_f32_e32 v47, v57, v46
	v_mul_f32_e32 v47, 0x3fb8aa3b, v47
	v_exp_f32_e32 v57, v47
	s_waitcnt lgkmcnt(1)
	v_fma_f32 v47, v55, v58, 0
	v_fmac_f32_e32 v47, v65, v59
	s_waitcnt lgkmcnt(0)
	v_fmac_f32_e32 v47, v56, v52
	v_fmac_f32_e32 v47, v57, v53
	v_add_f32_e32 v52, 0x358637bd, v47
	v_div_scale_f32 v53, s[4:5], v52, v52, 1.0
	v_rcp_f32_e32 v58, v53
	s_barrier
	v_fma_f32 v59, -v53, v58, 1.0
	v_fmac_f32_e32 v58, v59, v58
	v_div_scale_f32 v59, vcc, 1.0, v52, 1.0
	v_mul_f32_e32 v66, v59, v58
	v_fma_f32 v67, -v53, v66, v59
	v_fmac_f32_e32 v66, v67, v58
	v_fma_f32 v53, -v53, v66, v59
	v_div_fmas_f32 v53, v53, v58, v66
	v_cmp_eq_u32_e32 vcc, 1, v64
	v_div_fixup_f32 v52, v53, v52, 1.0
	s_nop 0
	v_cndmask_b32_e32 v53, v55, v65, vcc
	v_cmp_eq_u32_e32 vcc, 2, v64
	s_nop 1
	v_cndmask_b32_e32 v53, v53, v56, vcc
	v_cmp_eq_u32_e32 vcc, 3, v64
	s_nop 1
	v_cndmask_b32_e32 v53, v53, v57, vcc
	v_mul_f32_e32 v52, v53, v52
	v_pk_mul_f32 v[48:49], v[52:53], v[48:49] op_sel_hi:[0,1]
	v_pk_mul_f32 v[50:51], v[52:53], v[50:51] op_sel_hi:[0,1]
	v_bfe_u32 v53, v49, 16, 1
	v_bfe_u32 v55, v48, 16, 1
	v_add3_u32 v48, v48, v55, s8
	v_add3_u32 v49, v49, v53, s8
	v_perm_b32 v56, v49, v48, s44
	v_bfe_u32 v48, v51, 16, 1
	v_bfe_u32 v49, v50, 16, 1
	v_add3_u32 v49, v50, v49, s8
	v_add3_u32 v48, v51, v48, s8
	v_perm_b32 v57, v48, v49, s44
	v_lshlrev_b32_e32 v49, 3, v63
	v_lshlrev_b32_e32 v48, 5, v60
	;; [unrolled: 1-line block ×3, first 2 shown]
	v_pk_mul_f32 v[40:41], v[52:53], v[40:41] op_sel_hi:[0,1]
	v_or3_b32 v55, v50, v48, v49
	v_bfe_u32 v49, v41, 16, 1
	v_bfe_u32 v50, v40, 16, 1
	v_pk_mul_f32 v[44:45], v[52:53], v[44:45] op_sel_hi:[0,1]
	v_add3_u32 v40, v40, v50, s8
	v_add3_u32 v41, v41, v49, s8
	v_perm_b32 v40, v41, v40, s44
	v_bfe_u32 v41, v45, 16, 1
	v_bfe_u32 v49, v44, 16, 1
	v_add3_u32 v44, v44, v49, s8
	v_add3_u32 v41, v45, v41, s8
	v_perm_b32 v41, v41, v44, s44
	v_pk_mul_f32 v[38:39], v[52:53], v[38:39] op_sel_hi:[0,1]
	ds_write2st64_b64 v55, v[56:57], v[40:41] offset1:1
	v_pk_mul_f32 v[40:41], v[52:53], v[42:43] op_sel_hi:[0,1]
	v_bfe_u32 v42, v39, 16, 1
	v_bfe_u32 v43, v38, 16, 1
	v_add3_u32 v38, v38, v43, s8
	v_add3_u32 v39, v39, v42, s8
	v_perm_b32 v38, v39, v38, s44
	v_bfe_u32 v39, v41, 16, 1
	v_bfe_u32 v42, v40, 16, 1
	v_add3_u32 v40, v40, v42, s8
	v_add3_u32 v39, v41, v39, s8
	v_pk_mul_f32 v[36:37], v[52:53], v[36:37] op_sel_hi:[0,1]
	v_perm_b32 v39, v39, v40, s44
	v_bfe_u32 v40, v37, 16, 1
	v_bfe_u32 v41, v36, 16, 1
	v_pk_mul_f32 v[34:35], v[52:53], v[34:35] op_sel_hi:[0,1]
	v_add3_u32 v36, v36, v41, s8
	v_add3_u32 v37, v37, v40, s8
	v_perm_b32 v36, v37, v36, s44
	v_bfe_u32 v37, v35, 16, 1
	v_bfe_u32 v40, v34, 16, 1
	v_add3_u32 v34, v34, v40, s8
	v_add3_u32 v35, v35, v37, s8
	v_perm_b32 v37, v35, v34, s44
	v_cmp_gt_u32_e32 vcc, 4, v0
	ds_write2st64_b64 v55, v[38:39], v[36:37] offset0:2 offset1:3
	s_and_saveexec_b64 s[4:5], vcc
	s_cbranch_execz .LBB1267_17
; %bb.16:
	v_or_b32_e32 v34, s13, v0
	v_mov_b32_e32 v35, 0
	v_mov_b32_e32 v36, s7
	v_mad_u64_u32 v[36:37], s[10:11], s2, v36, v[34:35]
	v_mov_b32_e32 v34, s12
	s_load_dwordx4 s[16:19], s[0:1], 0x58
	s_mul_i32 s3, s3, s7
	v_mad_u64_u32 v[34:35], s[10:11], v36, s6, v[34:35]
	v_add_u32_e32 v37, s3, v37
	v_mov_b32_e32 v36, v35
	v_mad_u64_u32 v[36:37], s[10:11], v37, s6, v[36:37]
	v_mov_b32_e32 v35, v36
	v_lshlrev_b64 v[34:35], 2, v[34:35]
	s_waitcnt lgkmcnt(0)
	v_lshl_add_u64 v[36:37], s[18:19], 0, v[34:35]
	v_lshl_add_u64 v[34:35], s[16:17], 0, v[34:35]
	global_store_dword v[36:37], v46, off
	global_store_dword v[34:35], v47, off
.LBB1267_17:
	s_or_b64 exec, exec, s[4:5]
	s_waitcnt vmcnt(7)
	v_cvt_pk_f32_fp8_e32 v[34:35], v14
	v_cvt_pk_f32_fp8_sdwa v[36:37], v14 src0_sel:WORD_1
	v_lshl_or_b32 v50, v63, 9, v48
	s_mov_b32 s5, 0x7060302
	s_waitcnt lgkmcnt(0)
	s_barrier
	v_cvt_pk_f32_fp8_e32 v[38:39], v15
	v_perm_b32 v14, v35, v34, s5
	v_cvt_pk_f32_fp8_sdwa v[40:41], v15 src0_sel:WORD_1
	v_perm_b32 v15, v37, v36, s5
	ds_read_b128 v[34:37], v50
	v_perm_b32 v46, v39, v38, s5
	v_perm_b32 v47, v41, v40, s5
	ds_read_b128 v[38:41], v50 offset:16
	v_cvt_pk_f32_fp8_e32 v[48:49], v16
	v_cvt_pk_f32_fp8_sdwa v[52:53], v16 src0_sel:WORD_1
	s_waitcnt lgkmcnt(1)
	v_mfma_f32_16x16x16_bf16 v[42:45], v[14:15], v[34:35], 0
	s_waitcnt vmcnt(6)
	v_cvt_pk_f32_fp8_e32 v[56:57], v12
	v_perm_b32 v14, v49, v48, s5
	v_perm_b32 v15, v53, v52, s5
	v_cvt_pk_f32_fp8_e32 v[48:49], v17
	v_mfma_f32_16x16x16_bf16 v[42:45], v[46:47], v[36:37], v[42:45]
	v_cvt_pk_f32_fp8_sdwa v[46:47], v17 src0_sel:WORD_1
	v_cvt_pk_f32_fp8_sdwa v[58:59], v12 src0_sel:WORD_1
	v_perm_b32 v48, v49, v48, s5
	s_waitcnt lgkmcnt(0)
	v_mfma_f32_16x16x16_bf16 v[14:17], v[14:15], v[38:39], v[42:45]
	v_perm_b32 v49, v47, v46, s5
	s_waitcnt vmcnt(5)
	v_cvt_pk_f32_fp8_e32 v[64:65], v8
	v_cvt_pk_f32_fp8_sdwa v[66:67], v8 src0_sel:WORD_1
	v_cvt_pk_f32_fp8_e32 v[42:43], v10
	v_mfma_f32_16x16x16_bf16 v[46:49], v[48:49], v[40:41], v[14:17]
	s_waitcnt vmcnt(4)
	v_cvt_pk_f32_fp8_sdwa v[68:69], v4 src0_sel:WORD_1
	s_load_dword s4, s[42:43], 0x0
	v_cvt_pk_f32_fp8_sdwa v[14:15], v10 src0_sel:WORD_1
	v_cvt_pk_f32_fp8_e32 v[16:17], v11
	v_perm_b32 v10, v43, v42, s5
	v_cvt_pk_f32_fp8_sdwa v[42:43], v11 src0_sel:WORD_1
	v_perm_b32 v11, v15, v14, s5
	v_perm_b32 v52, v17, v16, s5
	ds_read_b128 v[14:17], v50 offset:2048
	v_perm_b32 v53, v43, v42, s5
	ds_read_b128 v[42:45], v50 offset:2064
	s_waitcnt lgkmcnt(0)
	v_mfma_f32_16x16x16_bf16 v[46:49], v[10:11], v[14:15], v[46:49]
	v_perm_b32 v10, v57, v56, s5
	v_perm_b32 v11, v59, v58, s5
	v_cvt_pk_f32_fp8_e32 v[56:57], v13
	v_mfma_f32_16x16x16_bf16 v[46:49], v[52:53], v[16:17], v[46:49]
	v_cvt_pk_f32_fp8_sdwa v[52:53], v13 src0_sel:WORD_1
	s_waitcnt vmcnt(3)
	v_cvt_pk_f32_fp8_sdwa v[70:71], v32 src0_sel:WORD_1
	v_perm_b32 v56, v57, v56, s5
	v_mfma_f32_16x16x16_bf16 v[10:13], v[10:11], v[42:43], v[46:49]
	v_perm_b32 v57, v53, v52, s5
	s_mov_b32 s3, 0
	s_nop 0
	v_cvt_pk_f32_fp8_e32 v[46:47], v6
	v_mfma_f32_16x16x16_bf16 v[56:59], v[56:57], v[44:45], v[10:13]
	s_nop 2
	v_cvt_pk_f32_fp8_sdwa v[10:11], v6 src0_sel:WORD_1
	v_cvt_pk_f32_fp8_e32 v[12:13], v7
	v_perm_b32 v6, v47, v46, s5
	v_cvt_pk_f32_fp8_sdwa v[46:47], v7 src0_sel:WORD_1
	v_perm_b32 v7, v11, v10, s5
	v_perm_b32 v52, v13, v12, s5
	ds_read_b128 v[10:13], v50 offset:4096
	v_perm_b32 v53, v47, v46, s5
	ds_read_b128 v[46:49], v50 offset:4112
	s_waitcnt lgkmcnt(1)
	v_mfma_f32_16x16x16_bf16 v[56:59], v[6:7], v[10:11], v[56:59]
	v_perm_b32 v6, v65, v64, s5
	v_perm_b32 v7, v67, v66, s5
	v_cvt_pk_f32_fp8_e32 v[64:65], v9
	v_mfma_f32_16x16x16_bf16 v[56:59], v[52:53], v[12:13], v[56:59]
	v_cvt_pk_f32_fp8_sdwa v[52:53], v9 src0_sel:WORD_1
	v_cvt_pk_f32_fp8_e32 v[66:67], v4
	v_perm_b32 v64, v65, v64, s5
	s_waitcnt lgkmcnt(0)
	v_mfma_f32_16x16x16_bf16 v[6:9], v[6:7], v[46:47], v[56:59]
	v_perm_b32 v65, v53, v52, s5
	v_cvt_pk_f32_fp8_e32 v[52:53], v2
	s_nop 0
	v_mfma_f32_16x16x16_bf16 v[56:59], v[64:65], v[48:49], v[6:9]
	s_nop 2
	v_cvt_pk_f32_fp8_sdwa v[6:7], v2 src0_sel:WORD_1
	v_cvt_pk_f32_fp8_e32 v[8:9], v3
	v_perm_b32 v2, v53, v52, s5
	v_cvt_pk_f32_fp8_sdwa v[52:53], v3 src0_sel:WORD_1
	v_perm_b32 v3, v7, v6, s5
	v_perm_b32 v64, v9, v8, s5
	ds_read_b128 v[6:9], v50 offset:6144
	v_perm_b32 v65, v53, v52, s5
	s_waitcnt lgkmcnt(0)
	v_mfma_f32_16x16x16_bf16 v[56:59], v[2:3], v[6:7], v[56:59]
	ds_read_b128 v[50:53], v50 offset:6160
	v_perm_b32 v2, v67, v66, s5
	v_perm_b32 v3, v69, v68, s5
	v_cvt_pk_f32_fp8_e32 v[66:67], v5
	v_mfma_f32_16x16x16_bf16 v[56:59], v[64:65], v[8:9], v[56:59]
	v_cvt_pk_f32_fp8_sdwa v[64:65], v5 src0_sel:WORD_1
	v_cvt_pk_f32_fp8_e32 v[68:69], v32
	v_perm_b32 v66, v67, v66, s5
	s_waitcnt lgkmcnt(0)
	v_mfma_f32_16x16x16_bf16 v[2:5], v[2:3], v[50:51], v[56:59]
	v_perm_b32 v67, v65, v64, s5
	s_barrier
	s_nop 0
	v_mfma_f32_16x16x16_bf16 v[56:59], v[66:67], v[52:53], v[2:5]
	s_nop 2
	v_cvt_pk_f32_fp8_e32 v[4:5], v30
	v_perm_b32 v4, v5, v4, s5
	s_nop 1
	v_pk_mul_f32 v[2:3], v[58:59], s[4:5] op_sel_hi:[1,0]
	v_cvt_pk_f32_fp8_sdwa v[58:59], v30 src0_sel:WORD_1
	v_pk_mul_f32 v[64:65], v[56:57], s[4:5] op_sel_hi:[1,0]
	v_cvt_pk_f32_fp8_e32 v[56:57], v31
	v_cvt_pk_f32_fp8_sdwa v[30:31], v31 src0_sel:WORD_1
	v_perm_b32 v5, v59, v58, s5
	v_perm_b32 v66, v57, v56, s5
	;; [unrolled: 1-line block ×3, first 2 shown]
	v_mfma_f32_16x16x16_bf16 v[56:59], v[4:5], v[34:35], 0
	v_perm_b32 v4, v69, v68, s5
	v_perm_b32 v5, v71, v70, s5
	v_cvt_pk_f32_fp8_e32 v[34:35], v33
	v_cvt_pk_f32_fp8_sdwa v[68:69], v33 src0_sel:WORD_1
	v_mfma_f32_16x16x16_bf16 v[30:33], v[66:67], v[36:37], v[56:59]
	s_waitcnt vmcnt(2)
	v_cvt_pk_f32_fp8_sdwa v[36:37], v26 src0_sel:WORD_1
	v_perm_b32 v34, v35, v34, s5
	v_perm_b32 v35, v69, v68, s5
	v_mfma_f32_16x16x16_bf16 v[30:33], v[4:5], v[38:39], v[30:33]
	v_cvt_pk_f32_fp8_e32 v[4:5], v26
	v_cvt_pk_f32_fp8_sdwa v[38:39], v28 src0_sel:WORD_1
	v_bfe_u32 v56, v65, 16, 1
	v_mfma_f32_16x16x16_bf16 v[30:33], v[34:35], v[40:41], v[30:33]
	v_cvt_pk_f32_fp8_e32 v[34:35], v27
	v_perm_b32 v4, v5, v4, s5
	v_perm_b32 v5, v37, v36, s5
	v_cvt_pk_f32_fp8_sdwa v[26:27], v27 src0_sel:WORD_1
	v_perm_b32 v34, v35, v34, s5
	v_cvt_pk_f32_fp8_e32 v[36:37], v28
	v_mfma_f32_16x16x16_bf16 v[30:33], v[4:5], v[14:15], v[30:33]
	v_perm_b32 v35, v27, v26, s5
	v_perm_b32 v4, v37, v36, s5
	v_perm_b32 v5, v39, v38, s5
	v_cvt_pk_f32_fp8_e32 v[26:27], v29
	v_cvt_pk_f32_fp8_sdwa v[28:29], v29 src0_sel:WORD_1
	v_mfma_f32_16x16x16_bf16 v[14:17], v[34:35], v[16:17], v[30:33]
	v_bfe_u32 v57, v64, 16, 1
	v_perm_b32 v26, v27, v26, s5
	v_perm_b32 v27, v29, v28, s5
	v_mfma_f32_16x16x16_bf16 v[14:17], v[4:5], v[42:43], v[14:17]
	s_waitcnt vmcnt(1)
	v_cvt_pk_f32_fp8_e32 v[4:5], v22
	v_cvt_pk_f32_fp8_sdwa v[28:29], v22 src0_sel:WORD_1
	v_cvt_pk_f32_fp8_sdwa v[30:31], v24 src0_sel:WORD_1
	v_mfma_f32_16x16x16_bf16 v[14:17], v[26:27], v[44:45], v[14:17]
	v_cvt_pk_f32_fp8_e32 v[26:27], v23
	v_perm_b32 v4, v5, v4, s5
	v_perm_b32 v5, v29, v28, s5
	v_cvt_pk_f32_fp8_sdwa v[22:23], v23 src0_sel:WORD_1
	v_perm_b32 v26, v27, v26, s5
	v_cvt_pk_f32_fp8_e32 v[28:29], v24
	v_mfma_f32_16x16x16_bf16 v[14:17], v[4:5], v[10:11], v[14:17]
	v_perm_b32 v27, v23, v22, s5
	v_perm_b32 v4, v29, v28, s5
	;; [unrolled: 1-line block ×3, first 2 shown]
	v_cvt_pk_f32_fp8_e32 v[22:23], v25
	v_cvt_pk_f32_fp8_sdwa v[24:25], v25 src0_sel:WORD_1
	v_mfma_f32_16x16x16_bf16 v[10:13], v[26:27], v[12:13], v[14:17]
	v_add3_u32 v32, v64, v57, s8
	v_add3_u32 v33, v65, v56, s8
	s_nop 0
	v_perm_b32 v16, v23, v22, s5
	v_perm_b32 v17, v25, v24, s5
	v_mfma_f32_16x16x16_bf16 v[10:13], v[4:5], v[46:47], v[10:13]
	s_waitcnt vmcnt(0)
	v_cvt_pk_f32_fp8_e32 v[4:5], v18
	v_cvt_pk_f32_fp8_sdwa v[22:23], v18 src0_sel:WORD_1
	v_cvt_pk_f32_fp8_sdwa v[24:25], v20 src0_sel:WORD_1
	v_mfma_f32_16x16x16_bf16 v[10:13], v[16:17], v[48:49], v[10:13]
	v_cvt_pk_f32_fp8_e32 v[16:17], v19
	v_perm_b32 v4, v5, v4, s5
	v_perm_b32 v5, v23, v22, s5
	v_cvt_pk_f32_fp8_sdwa v[18:19], v19 src0_sel:WORD_1
	v_perm_b32 v16, v17, v16, s5
	v_cvt_pk_f32_fp8_e32 v[22:23], v20
	v_mfma_f32_16x16x16_bf16 v[4:7], v[4:5], v[6:7], v[10:13]
	v_perm_b32 v17, v19, v18, s5
	v_cvt_pk_f32_fp8_sdwa v[18:19], v21 src0_sel:WORD_1
	s_nop 0
	v_perm_b32 v10, v23, v22, s5
	v_perm_b32 v11, v25, v24, s5
	v_cvt_pk_f32_fp8_e32 v[12:13], v21
	v_mfma_f32_16x16x16_bf16 v[4:7], v[16:17], v[8:9], v[4:7]
	v_perm_b32 v9, v19, v18, s5
	v_bfe_u32 v15, v3, 16, 1
	v_perm_b32 v8, v13, v12, s5
	v_mfma_f32_16x16x16_bf16 v[4:7], v[10:11], v[50:51], v[4:7]
	v_bfe_u32 v16, v2, 16, 1
	v_add3_u32 v2, v2, v16, s8
	v_add3_u32 v3, v3, v15, s8
	v_perm_b32 v15, v3, v2, s5
	v_mfma_f32_16x16x16_bf16 v[2:5], v[8:9], v[52:53], v[4:7]
	v_perm_b32 v14, v33, v32, s5
	s_nop 5
	v_pk_mul_f32 v[2:3], v[2:3], s[4:5] op_sel_hi:[1,0]
	v_pk_mul_f32 v[4:5], v[4:5], s[4:5] op_sel_hi:[1,0]
	v_bfe_u32 v6, v3, 16, 1
	v_bfe_u32 v7, v2, 16, 1
	v_add3_u32 v2, v2, v7, s8
	v_add3_u32 v3, v3, v6, s8
	v_perm_b32 v2, v3, v2, s5
	v_bfe_u32 v3, v5, 16, 1
	v_bfe_u32 v6, v4, 16, 1
	v_add3_u32 v4, v4, v6, s8
	v_add3_u32 v3, v5, v3, s8
	v_perm_b32 v3, v3, v4, s5
	ds_write2st64_b64 v55, v[14:15], v[2:3] offset1:1
	s_waitcnt lgkmcnt(0)
	s_barrier
	s_and_saveexec_b64 s[4:5], s[14:15]
	s_cbranch_execz .LBB1267_19
; %bb.18:
	s_load_dwordx2 s[0:1], s[0:1], 0x68
	s_lshl_b32 s6, s6, 7
	s_mul_i32 s2, s7, s2
	v_lshlrev_b32_e32 v3, 6, v60
	s_mul_hi_u32 s5, s2, s6
	s_mul_i32 s4, s2, s6
	v_lshl_or_b32 v0, v0, 10, v3
	s_lshl_b64 s[4:5], s[4:5], 1
	v_and_b32_e32 v2, 16, v62
	v_and_b32_e32 v0, 0x1a00, v0
	s_waitcnt lgkmcnt(0)
	s_add_u32 s4, s0, s4
	v_or3_b32 v0, v0, v61, v2
	s_addc_u32 s5, s1, s5
	s_lshl_b32 s2, s12, 7
	ds_read_b128 v[2:5], v0
	s_lshl_b64 s[0:1], s[2:3], 1
	s_add_u32 s0, s4, s0
	s_addc_u32 s1, s5, s1
	v_mad_u64_u32 v[0:1], s[2:3], s6, v1, 0
	v_lshl_add_u64 v[0:1], v[0:1], 1, s[0:1]
	v_mov_b32_e32 v55, 0
	v_lshl_add_u64 v[0:1], v[0:1], 0, v[54:55]
	s_waitcnt lgkmcnt(0)
	global_store_dwordx4 v[0:1], v[2:5], off
.LBB1267_19:
	s_endpgm
	.section	.rodata,"a",@progbits
	.p2align	6, 0x0
	.amdhsa_kernel _Z39paged_attention_ll4mi_QKV_mfma16_kernelI14__hip_bfloat16hLN4vllm18Fp8KVCacheDataTypeE1EhLi16ELi128ELi256ELb1ELi4EEvPKT_PKT0_S8_ifPKiSA_SA_iPKfiiiPfSD_PS3_PT2_iSC_SC_
		.amdhsa_group_segment_fixed_size 8192
		.amdhsa_private_segment_fixed_size 0
		.amdhsa_kernarg_size 400
		.amdhsa_user_sgpr_count 2
		.amdhsa_user_sgpr_dispatch_ptr 0
		.amdhsa_user_sgpr_queue_ptr 0
		.amdhsa_user_sgpr_kernarg_segment_ptr 1
		.amdhsa_user_sgpr_dispatch_id 0
		.amdhsa_user_sgpr_kernarg_preload_length 0
		.amdhsa_user_sgpr_kernarg_preload_offset 0
		.amdhsa_user_sgpr_private_segment_size 0
		.amdhsa_uses_dynamic_stack 0
		.amdhsa_enable_private_segment 0
		.amdhsa_system_sgpr_workgroup_id_x 1
		.amdhsa_system_sgpr_workgroup_id_y 1
		.amdhsa_system_sgpr_workgroup_id_z 1
		.amdhsa_system_sgpr_workgroup_info 0
		.amdhsa_system_vgpr_workitem_id 0
		.amdhsa_next_free_vgpr 82
		.amdhsa_next_free_sgpr 48
		.amdhsa_accum_offset 84
		.amdhsa_reserve_vcc 1
		.amdhsa_float_round_mode_32 0
		.amdhsa_float_round_mode_16_64 0
		.amdhsa_float_denorm_mode_32 3
		.amdhsa_float_denorm_mode_16_64 3
		.amdhsa_dx10_clamp 1
		.amdhsa_ieee_mode 1
		.amdhsa_fp16_overflow 0
		.amdhsa_tg_split 0
		.amdhsa_exception_fp_ieee_invalid_op 0
		.amdhsa_exception_fp_denorm_src 0
		.amdhsa_exception_fp_ieee_div_zero 0
		.amdhsa_exception_fp_ieee_overflow 0
		.amdhsa_exception_fp_ieee_underflow 0
		.amdhsa_exception_fp_ieee_inexact 0
		.amdhsa_exception_int_div_zero 0
	.end_amdhsa_kernel
	.section	.text._Z39paged_attention_ll4mi_QKV_mfma16_kernelI14__hip_bfloat16hLN4vllm18Fp8KVCacheDataTypeE1EhLi16ELi128ELi256ELb1ELi4EEvPKT_PKT0_S8_ifPKiSA_SA_iPKfiiiPfSD_PS3_PT2_iSC_SC_,"axG",@progbits,_Z39paged_attention_ll4mi_QKV_mfma16_kernelI14__hip_bfloat16hLN4vllm18Fp8KVCacheDataTypeE1EhLi16ELi128ELi256ELb1ELi4EEvPKT_PKT0_S8_ifPKiSA_SA_iPKfiiiPfSD_PS3_PT2_iSC_SC_,comdat
.Lfunc_end1267:
	.size	_Z39paged_attention_ll4mi_QKV_mfma16_kernelI14__hip_bfloat16hLN4vllm18Fp8KVCacheDataTypeE1EhLi16ELi128ELi256ELb1ELi4EEvPKT_PKT0_S8_ifPKiSA_SA_iPKfiiiPfSD_PS3_PT2_iSC_SC_, .Lfunc_end1267-_Z39paged_attention_ll4mi_QKV_mfma16_kernelI14__hip_bfloat16hLN4vllm18Fp8KVCacheDataTypeE1EhLi16ELi128ELi256ELb1ELi4EEvPKT_PKT0_S8_ifPKiSA_SA_iPKfiiiPfSD_PS3_PT2_iSC_SC_
                                        ; -- End function
	.section	.AMDGPU.csdata,"",@progbits
; Kernel info:
; codeLenInByte = 6500
; NumSgprs: 54
; NumVgprs: 82
; NumAgprs: 0
; TotalNumVgprs: 82
; ScratchSize: 0
; MemoryBound: 0
; FloatMode: 240
; IeeeMode: 1
; LDSByteSize: 8192 bytes/workgroup (compile time only)
; SGPRBlocks: 6
; VGPRBlocks: 10
; NumSGPRsForWavesPerEU: 54
; NumVGPRsForWavesPerEU: 82
; AccumOffset: 84
; Occupancy: 5
; WaveLimiterHint : 1
; COMPUTE_PGM_RSRC2:SCRATCH_EN: 0
; COMPUTE_PGM_RSRC2:USER_SGPR: 2
; COMPUTE_PGM_RSRC2:TRAP_HANDLER: 0
; COMPUTE_PGM_RSRC2:TGID_X_EN: 1
; COMPUTE_PGM_RSRC2:TGID_Y_EN: 1
; COMPUTE_PGM_RSRC2:TGID_Z_EN: 1
; COMPUTE_PGM_RSRC2:TIDIG_COMP_CNT: 0
; COMPUTE_PGM_RSRC3_GFX90A:ACCUM_OFFSET: 20
; COMPUTE_PGM_RSRC3_GFX90A:TG_SPLIT: 0
	.section	.text._Z38paged_attention_ll4mi_QKV_mfma4_kernelI14__hip_bfloat16hLN4vllm18Fp8KVCacheDataTypeE1EhLi16ELi128ELi256ELb0ELi1EEvPKT_PKT0_S8_ifPKiSA_SA_iPKfiiiPfSD_PS3_PT2_iSC_SC_,"axG",@progbits,_Z38paged_attention_ll4mi_QKV_mfma4_kernelI14__hip_bfloat16hLN4vllm18Fp8KVCacheDataTypeE1EhLi16ELi128ELi256ELb0ELi1EEvPKT_PKT0_S8_ifPKiSA_SA_iPKfiiiPfSD_PS3_PT2_iSC_SC_,comdat
	.protected	_Z38paged_attention_ll4mi_QKV_mfma4_kernelI14__hip_bfloat16hLN4vllm18Fp8KVCacheDataTypeE1EhLi16ELi128ELi256ELb0ELi1EEvPKT_PKT0_S8_ifPKiSA_SA_iPKfiiiPfSD_PS3_PT2_iSC_SC_ ; -- Begin function _Z38paged_attention_ll4mi_QKV_mfma4_kernelI14__hip_bfloat16hLN4vllm18Fp8KVCacheDataTypeE1EhLi16ELi128ELi256ELb0ELi1EEvPKT_PKT0_S8_ifPKiSA_SA_iPKfiiiPfSD_PS3_PT2_iSC_SC_
	.globl	_Z38paged_attention_ll4mi_QKV_mfma4_kernelI14__hip_bfloat16hLN4vllm18Fp8KVCacheDataTypeE1EhLi16ELi128ELi256ELb0ELi1EEvPKT_PKT0_S8_ifPKiSA_SA_iPKfiiiPfSD_PS3_PT2_iSC_SC_
	.p2align	8
	.type	_Z38paged_attention_ll4mi_QKV_mfma4_kernelI14__hip_bfloat16hLN4vllm18Fp8KVCacheDataTypeE1EhLi16ELi128ELi256ELb0ELi1EEvPKT_PKT0_S8_ifPKiSA_SA_iPKfiiiPfSD_PS3_PT2_iSC_SC_,@function
_Z38paged_attention_ll4mi_QKV_mfma4_kernelI14__hip_bfloat16hLN4vllm18Fp8KVCacheDataTypeE1EhLi16ELi128ELi256ELb0ELi1EEvPKT_PKT0_S8_ifPKiSA_SA_iPKfiiiPfSD_PS3_PT2_iSC_SC_: ; @_Z38paged_attention_ll4mi_QKV_mfma4_kernelI14__hip_bfloat16hLN4vllm18Fp8KVCacheDataTypeE1EhLi16ELi128ELi256ELb0ELi1EEvPKT_PKT0_S8_ifPKiSA_SA_iPKfiiiPfSD_PS3_PT2_iSC_SC_
; %bb.0:
	s_load_dwordx2 s[20:21], s[0:1], 0x30
	s_mov_b32 s24, s3
	s_mov_b64 s[6:7], 0
	s_waitcnt lgkmcnt(0)
	s_cmp_lg_u64 s[20:21], 0
	s_cselect_b64 s[22:23], -1, 0
	s_and_b64 vcc, exec, s[22:23]
	s_cbranch_vccz .LBB1268_10
; %bb.1:
	s_add_i32 s8, s2, 1
	s_mov_b32 s9, 0
	s_lshl_b64 s[10:11], s[8:9], 2
	s_add_u32 s10, s20, s10
	s_mov_b32 s3, s9
	s_addc_u32 s11, s21, s11
	s_lshl_b64 s[8:9], s[2:3], 2
	s_add_u32 s8, s20, s8
	s_addc_u32 s9, s21, s9
	s_load_dword s5, s[10:11], 0x0
	s_load_dword s12, s[8:9], 0x0
	s_waitcnt lgkmcnt(0)
	s_sub_i32 s5, s5, s12
	s_cmp_eq_u32 s5, 1
	s_cselect_b64 s[8:9], -1, 0
	s_andn2_b64 vcc, exec, s[6:7]
	s_cbranch_vccnz .LBB1268_3
.LBB1268_2:
	s_mov_b32 s3, 0
	s_mov_b64 s[8:9], -1
.LBB1268_3:
	s_andn2_b64 vcc, exec, s[8:9]
	s_cbranch_vccnz .LBB1268_25
; %bb.4:
	s_load_dword s5, s[0:1], 0x9c
	s_load_dwordx2 s[6:7], s[0:1], 0x28
	s_add_u32 s28, s0, 0x90
	s_addc_u32 s29, s1, 0
	s_lshl_b64 s[34:35], s[2:3], 2
	s_waitcnt lgkmcnt(0)
	s_and_b32 s5, s5, 0xffff
	s_add_u32 s6, s6, s34
	s_addc_u32 s7, s7, s35
	s_load_dword s3, s[6:7], 0x0
	s_mul_i32 s10, s24, s5
	s_waitcnt lgkmcnt(0)
	s_cmp_ge_i32 s10, s3
	s_cbranch_scc1 .LBB1268_25
; %bb.5:
	v_and_b32_e32 v1, 0xc0, v0
	v_add_u32_e32 v4, s10, v1
	v_lshrrev_b32_e32 v38, 6, v0
	v_cmp_le_i32_e64 s[6:7], s3, v4
                                        ; implicit-def: $sgpr25
                                        ; implicit-def: $sgpr11
	s_and_saveexec_b64 s[8:9], s[6:7]
	s_xor_b64 s[8:9], exec, s[8:9]
	s_cbranch_execz .LBB1268_7
; %bb.6:
	v_mul_u32_u24_e32 v1, 20, v38
	v_or_b32_e32 v1, 0x1400, v1
	v_mov_b32_e32 v2, 0x1450
	v_mov_b32_e32 v3, 0xff7fffff
	v_mad_u32_u24 v2, v38, 20, v2
	ds_write2_b32 v1, v3, v3 offset1:1
	v_mov_b32_e32 v1, 0
	ds_write2_b32 v2, v1, v1 offset1:1
	v_mov_b32_e32 v2, 0x1408
	v_mov_b32_e32 v4, 0x1458
	s_mov_b32 s11, 0xff7fffff
	s_mov_b32 s25, 0
	v_mad_u32_u24 v2, v38, 20, v2
	v_mad_u32_u24 v4, v38, 20, v4
	ds_write2_b32 v2, v3, v3 offset1:1
	ds_write2_b32 v4, v1, v1 offset1:1
                                        ; implicit-def: $vgpr4
.LBB1268_7:
	s_or_saveexec_b64 s[30:31], s[8:9]
	s_load_dwordx2 s[26:27], s[0:1], 0x68
	s_load_dwordx4 s[16:19], s[0:1], 0x58
	s_load_dword s5, s[28:29], 0x4
	s_load_dwordx4 s[12:15], s[0:1], 0x80
	v_and_b32_e32 v1, 63, v0
	v_and_b32_e32 v39, 3, v0
	v_mov_b32_e32 v37, s25
	v_mov_b32_e32 v41, s11
	;; [unrolled: 1-line block ×5, first 2 shown]
                                        ; implicit-def: $vgpr18_vgpr19
                                        ; implicit-def: $vgpr22_vgpr23
                                        ; implicit-def: $vgpr26_vgpr27
                                        ; implicit-def: $vgpr30_vgpr31
                                        ; implicit-def: $vgpr2_vgpr3
                                        ; implicit-def: $vgpr6_vgpr7
                                        ; implicit-def: $vgpr10_vgpr11
                                        ; implicit-def: $vgpr14_vgpr15
	s_xor_b64 exec, exec, s[30:31]
	s_cbranch_execz .LBB1268_17
; %bb.8:
	s_load_dwordx2 s[8:9], s[0:1], 0x20
	s_load_dword s11, s[0:1], 0x38
	s_add_i32 s25, s3, 15
	s_ashr_i32 s33, s25, 31
	s_lshr_b32 s33, s33, 28
	v_add_u32_e32 v36, s10, v0
	s_add_i32 s25, s25, s33
	v_ashrrev_i32_e32 v2, 31, v36
	s_ashr_i32 s25, s25, 4
	v_lshrrev_b32_e32 v2, 28, v2
	s_add_i32 s25, s25, -1
	s_waitcnt lgkmcnt(0)
	s_mul_i32 s36, s2, s11
	s_mov_b32 s37, 0
	v_add_u32_e32 v2, v36, v2
	s_lshl_b64 s[36:37], s[36:37], 2
	v_ashrrev_i32_e32 v2, 4, v2
	v_mov_b32_e32 v3, s25
	v_cmp_gt_i32_e32 vcc, s3, v36
	s_add_u32 s8, s8, s36
	s_addc_u32 s9, s9, s37
	v_cndmask_b32_e32 v2, v3, v2, vcc
	v_ashrrev_i32_e32 v3, 31, v2
	v_lshl_add_u64 v[10:11], v[2:3], 2, s[8:9]
	v_ashrrev_i32_e32 v2, 31, v4
	v_lshrrev_b32_e32 v2, 28, v2
	v_add_u32_e32 v2, v4, v2
	v_ashrrev_i32_e32 v6, 4, v2
	v_min_i32_e32 v2, s25, v6
	v_ashrrev_i32_e32 v3, 31, v2
	v_lshl_add_u64 v[4:5], v[2:3], 2, s[8:9]
	v_add_u32_e32 v2, 1, v6
	v_min_i32_e32 v2, s25, v2
	v_ashrrev_i32_e32 v3, 31, v2
	v_lshl_add_u64 v[12:13], v[2:3], 2, s[8:9]
	v_add_u32_e32 v2, 2, v6
	;; [unrolled: 4-line block ×3, first 2 shown]
	v_min_i32_e32 v2, s25, v2
	v_ashrrev_i32_e32 v3, 31, v2
	v_lshl_add_u64 v[16:17], v[2:3], 2, s[8:9]
	global_load_dword v2, v[10:11], off
	global_load_dword v6, v[4:5], off
	;; [unrolled: 1-line block ×5, first 2 shown]
	s_load_dwordx4 s[8:11], s[0:1], 0x8
	s_andn2_b64 vcc, exec, s[22:23]
	s_cbranch_vccnz .LBB1268_11
; %bb.9:
	s_add_u32 s20, s20, s34
	s_addc_u32 s21, s21, s35
	s_load_dword s25, s[20:21], 0x0
	s_branch .LBB1268_12
.LBB1268_10:
	s_mov_b64 s[8:9], 0
	s_branch .LBB1268_2
.LBB1268_11:
	s_mov_b32 s25, s2
.LBB1268_12:
	s_load_dwordx4 s[20:23], s[0:1], 0x48
	v_cmp_eq_u32_e32 vcc, 0, v39
	s_mov_b32 s37, 0
	v_mov_b32_e32 v37, 0
	v_mov_b32_e32 v3, 0
	;; [unrolled: 1-line block ×6, first 2 shown]
	s_and_saveexec_b64 s[34:35], vcc
	s_cbranch_execz .LBB1268_14
; %bb.13:
	s_load_dwordx2 s[38:39], s[0:1], 0x0
	s_waitcnt lgkmcnt(0)
	s_ashr_i32 s23, s20, 31
	s_mul_hi_u32 s33, s25, s20
	s_mul_i32 s23, s25, s23
	s_add_i32 s41, s33, s23
	s_mul_i32 s40, s25, s20
	s_lshl_b64 s[40:41], s[40:41], 1
	s_add_u32 s20, s38, s40
	s_addc_u32 s23, s39, s41
	s_lshl_b32 s36, s4, 7
	s_lshl_b64 s[36:37], s[36:37], 1
	s_add_u32 s36, s20, s36
	s_addc_u32 s37, s23, s37
	v_lshlrev_b32_e32 v4, 2, v1
	global_load_dwordx4 v[14:17], v4, s[36:37]
	v_mov_b32_e32 v37, 1.0
.LBB1268_14:
	s_or_b64 exec, exec, s[34:35]
	s_waitcnt lgkmcnt(0)
	s_mul_i32 s20, s4, s22
	s_add_u32 s8, s20, s8
	s_addc_u32 s9, 0, s9
	v_mov_b64_e32 v[4:5], s[8:9]
	s_waitcnt vmcnt(4)
	v_mad_i64_i32 v[4:5], s[8:9], v2, s21, v[4:5]
	v_lshlrev_b32_e32 v2, 4, v0
	v_and_b32_e32 v2, 0xf0, v2
	v_lshl_add_u64 v[4:5], v[4:5], 0, v[2:3]
	global_load_dwordx4 v[10:13], v[4:5], off
	global_load_dwordx4 v[18:21], v[4:5], off offset:256
	s_waitcnt vmcnt(5)
	v_mul_hi_i32 v2, v6, s21
	s_waitcnt vmcnt(4)
	v_mul_hi_i32 v22, v7, s21
	;; [unrolled: 2-line block ×4, first 2 shown]
	v_ashrrev_i32_e32 v2, 31, v2
	v_ashrrev_i32_e32 v22, 31, v22
	;; [unrolled: 1-line block ×4, first 2 shown]
	v_mov_b32_e32 v23, v3
	v_mov_b32_e32 v25, v3
	;; [unrolled: 1-line block ×3, first 2 shown]
	v_lshrrev_b32_e32 v22, 29, v22
	v_lshrrev_b32_e32 v24, 29, v24
	;; [unrolled: 1-line block ×4, first 2 shown]
	s_add_u32 s10, s10, s20
	v_mad_i64_i32 v[22:23], s[22:23], v7, s21, v[22:23]
	v_mad_i64_i32 v[24:25], s[22:23], v8, s21, v[24:25]
	;; [unrolled: 1-line block ×4, first 2 shown]
	s_addc_u32 s11, s11, 0
	v_and_b32_e32 v22, -8, v22
	v_and_b32_e32 v24, -8, v24
	;; [unrolled: 1-line block ×4, first 2 shown]
	v_lshl_add_u64 v[22:23], s[10:11], 0, v[22:23]
	v_lshl_add_u64 v[24:25], s[10:11], 0, v[24:25]
	;; [unrolled: 1-line block ×3, first 2 shown]
	v_lshlrev_b32_e32 v2, 4, v1
	v_lshl_add_u64 v[6:7], s[10:11], 0, v[6:7]
	v_lshl_add_u64 v[48:49], v[22:23], 0, v[2:3]
	;; [unrolled: 1-line block ×5, first 2 shown]
	s_mov_b32 s8, 0x7060302
	s_load_dword s0, s[0:1], 0x1c
	v_cmp_eq_u32_e32 vcc, 1, v39
	s_load_dword s1, s[12:13], 0x0
	s_waitcnt vmcnt(1)
	v_cvt_pk_f32_fp8_e32 v[6:7], v10
	v_cvt_pk_f32_fp8_sdwa v[8:9], v10 src0_sel:WORD_1
	v_cvt_pk_f32_fp8_e32 v[22:23], v11
	v_cvt_pk_f32_fp8_sdwa v[10:11], v11 src0_sel:WORD_1
	v_perm_b32 v54, v7, v6, s8
	v_perm_b32 v55, v9, v8, s8
	global_load_dwordx4 v[6:9], v[4:5], off offset:512
	v_cvt_pk_f32_fp8_e32 v[24:25], v12
	v_cvt_pk_f32_fp8_sdwa v[26:27], v12 src0_sel:WORD_1
	v_cvt_pk_f32_fp8_e32 v[28:29], v13
	v_cvt_pk_f32_fp8_sdwa v[30:31], v13 src0_sel:WORD_1
	v_perm_b32 v22, v23, v22, s8
	v_perm_b32 v23, v11, v10, s8
	global_load_dwordx4 v[10:13], v[4:5], off offset:768
	v_perm_b32 v24, v25, v24, s8
	v_perm_b32 v25, v27, v26, s8
	;; [unrolled: 1-line block ×3, first 2 shown]
	global_load_dwordx4 v[26:29], v[4:5], off offset:1024
	s_waitcnt vmcnt(3)
	v_cvt_pk_f32_fp8_e32 v[32:33], v18
	v_perm_b32 v57, v31, v30, s8
	v_cvt_pk_f32_fp8_sdwa v[40:41], v18 src0_sel:WORD_1
	v_cvt_pk_f32_fp8_e32 v[42:43], v19
	v_perm_b32 v58, v33, v32, s8
	global_load_dwordx4 v[30:33], v[4:5], off offset:1280
	v_perm_b32 v59, v41, v40, s8
	v_perm_b32 v60, v43, v42, s8
	global_load_dwordx4 v[40:43], v[4:5], off offset:1536
	v_cvt_pk_f32_fp8_e32 v[44:45], v20
	v_cvt_pk_f32_fp8_sdwa v[46:47], v20 src0_sel:WORD_1
	v_mfma_f32_4x4x4_16b_bf16 a[0:3], v[14:15], v[54:55], 0 cbsz:4
	v_cvt_pk_f32_fp8_sdwa v[18:19], v19 src0_sel:WORD_1
	v_perm_b32 v62, v45, v44, s8
	v_perm_b32 v63, v47, v46, s8
	global_load_dwordx4 v[44:47], v[4:5], off offset:1792
	v_mfma_f32_4x4x4_16b_bf16 a[0:3], v[16:17], v[22:23], a[0:3] cbsz:4
	v_cvt_pk_f32_fp8_e32 v[52:53], v21
	v_cvt_pk_f32_fp8_sdwa v[20:21], v21 src0_sel:WORD_1
	v_mfma_f32_4x4x4_16b_bf16 a[0:3], v[14:15], v[24:25], a[0:3] cbsz:4 abid:1
	v_perm_b32 v61, v19, v18, s8
	v_perm_b32 v52, v53, v52, s8
	v_mfma_f32_4x4x4_16b_bf16 a[0:3], v[16:17], v[56:57], a[0:3] cbsz:4 abid:1
	v_perm_b32 v53, v21, v20, s8
	s_waitcnt vmcnt(5)
	v_cvt_pk_f32_fp8_e32 v[18:19], v6
	v_mfma_f32_4x4x4_16b_bf16 a[0:3], v[14:15], v[58:59], a[0:3] cbsz:4 abid:2
	v_cvt_pk_f32_fp8_sdwa v[20:21], v6 src0_sel:WORD_1
	v_cvt_pk_f32_fp8_e32 v[24:25], v7
	v_mfma_f32_4x4x4_16b_bf16 a[0:3], v[16:17], v[60:61], a[0:3] cbsz:4 abid:2
	v_cvt_pk_f32_fp8_sdwa v[6:7], v7 src0_sel:WORD_1
	v_perm_b32 v22, v19, v18, s8
	v_mfma_f32_4x4x4_16b_bf16 a[0:3], v[14:15], v[62:63], a[0:3] cbsz:4 abid:3
	v_perm_b32 v23, v21, v20, s8
	v_perm_b32 v24, v25, v24, s8
	v_mfma_f32_4x4x4_16b_bf16 a[0:3], v[16:17], v[52:53], a[0:3] cbsz:4 abid:3
	v_perm_b32 v25, v7, v6, s8
	v_cvt_pk_f32_fp8_sdwa v[6:7], v8 src0_sel:WORD_1
	v_mfma_f32_4x4x4_16b_bf16 a[0:3], v[14:15], v[22:23], a[0:3] cbsz:4 abid:4
	v_cvt_pk_f32_fp8_e32 v[22:23], v8
	s_waitcnt vmcnt(4)
	v_cvt_pk_f32_fp8_e32 v[52:53], v11
	v_mfma_f32_4x4x4_16b_bf16 a[0:3], v[16:17], v[24:25], a[0:3] cbsz:4 abid:4
	v_cvt_pk_f32_fp8_e32 v[24:25], v9
	v_cvt_pk_f32_fp8_sdwa v[8:9], v9 src0_sel:WORD_1
	v_perm_b32 v22, v23, v22, s8
	v_perm_b32 v23, v7, v6, s8
	;; [unrolled: 1-line block ×4, first 2 shown]
	v_mfma_f32_4x4x4_16b_bf16 a[0:3], v[14:15], v[22:23], a[0:3] cbsz:4 abid:5
	v_cvt_pk_f32_fp8_e32 v[8:9], v10
	v_cvt_pk_f32_fp8_e32 v[54:55], v13
	v_mfma_f32_4x4x4_16b_bf16 a[0:3], v[16:17], v[6:7], a[0:3] cbsz:4 abid:5
	v_cvt_pk_f32_fp8_sdwa v[6:7], v10 src0_sel:WORD_1
	v_cvt_pk_f32_fp8_sdwa v[10:11], v11 src0_sel:WORD_1
	v_perm_b32 v8, v9, v8, s8
	global_load_dwordx4 v[18:21], v[2:3], off
	v_perm_b32 v9, v7, v6, s8
	v_perm_b32 v6, v53, v52, s8
	;; [unrolled: 1-line block ×3, first 2 shown]
	v_cvt_pk_f32_fp8_e32 v[10:11], v12
	v_cvt_pk_f32_fp8_sdwa v[52:53], v12 src0_sel:WORD_1
	v_mfma_f32_4x4x4_16b_bf16 a[0:3], v[14:15], v[8:9], a[0:3] cbsz:4 abid:6
	v_cvt_pk_f32_fp8_sdwa v[12:13], v13 src0_sel:WORD_1
	v_perm_b32 v10, v11, v10, s8
	v_mfma_f32_4x4x4_16b_bf16 a[0:3], v[16:17], v[6:7], a[0:3] cbsz:4 abid:6
	v_perm_b32 v11, v53, v52, s8
	global_load_dwordx4 v[2:5], v[2:3], off offset:1024
	s_waitcnt vmcnt(5)
	v_cvt_pk_f32_fp8_sdwa v[52:53], v29 src0_sel:WORD_1
	global_load_dwordx4 v[22:25], v[48:49], off
	global_load_dwordx4 v[6:9], v[48:49], off offset:1024
	v_mfma_f32_4x4x4_16b_bf16 a[0:3], v[14:15], v[10:11], a[0:3] cbsz:4 abid:7
	v_perm_b32 v49, v13, v12, s8
	v_cvt_pk_f32_fp8_e32 v[10:11], v26
	v_cvt_pk_f32_fp8_sdwa v[12:13], v26 src0_sel:WORD_1
	v_perm_b32 v48, v55, v54, s8
	v_perm_b32 v10, v11, v10, s8
	s_nop 0
	v_mfma_f32_4x4x4_16b_bf16 a[0:3], v[16:17], v[48:49], a[0:3] cbsz:4 abid:7
	v_cvt_pk_f32_fp8_e32 v[48:49], v27
	v_cvt_pk_f32_fp8_sdwa v[26:27], v27 src0_sel:WORD_1
	v_perm_b32 v11, v13, v12, s8
	v_perm_b32 v12, v49, v48, s8
	s_nop 0
	v_mfma_f32_4x4x4_16b_bf16 a[0:3], v[14:15], v[10:11], a[0:3] cbsz:4 abid:8
	v_perm_b32 v13, v27, v26, s8
	v_cvt_pk_f32_fp8_e32 v[10:11], v28
	v_cvt_pk_f32_fp8_e32 v[48:49], v29
	v_mfma_f32_4x4x4_16b_bf16 a[0:3], v[16:17], v[12:13], a[0:3] cbsz:4 abid:8
	v_cvt_pk_f32_fp8_sdwa v[12:13], v28 src0_sel:WORD_1
	v_perm_b32 v10, v11, v10, s8
	global_load_dwordx4 v[26:29], v[50:51], off
	v_perm_b32 v11, v13, v12, s8
	v_perm_b32 v12, v49, v48, s8
	s_nop 0
	v_mfma_f32_4x4x4_16b_bf16 a[0:3], v[14:15], v[10:11], a[0:3] cbsz:4 abid:9
	v_perm_b32 v13, v53, v52, s8
	s_waitcnt vmcnt(7)
	v_cvt_pk_f32_fp8_e32 v[10:11], v30
	v_cvt_pk_f32_fp8_e32 v[48:49], v31
	v_mfma_f32_4x4x4_16b_bf16 a[0:3], v[16:17], v[12:13], a[0:3] cbsz:4 abid:9
	v_cvt_pk_f32_fp8_sdwa v[12:13], v30 src0_sel:WORD_1
	v_cvt_pk_f32_fp8_sdwa v[30:31], v31 src0_sel:WORD_1
	v_perm_b32 v52, v11, v10, s8
	v_perm_b32 v48, v49, v48, s8
	v_perm_b32 v53, v13, v12, s8
	global_load_dwordx4 v[10:13], v[50:51], off offset:1024
	v_perm_b32 v49, v31, v30, s8
	v_mfma_f32_4x4x4_16b_bf16 a[0:3], v[14:15], v[52:53], a[0:3] cbsz:4 abid:10
	v_cvt_pk_f32_fp8_e32 v[30:31], v32
	v_cvt_pk_f32_fp8_e32 v[50:51], v33
	v_mfma_f32_4x4x4_16b_bf16 a[0:3], v[16:17], v[48:49], a[0:3] cbsz:4 abid:10
	v_cvt_pk_f32_fp8_sdwa v[48:49], v32 src0_sel:WORD_1
	v_cvt_pk_f32_fp8_sdwa v[32:33], v33 src0_sel:WORD_1
	v_perm_b32 v30, v31, v30, s8
	v_perm_b32 v31, v49, v48, s8
	;; [unrolled: 1-line block ×3, first 2 shown]
	s_nop 0
	v_mfma_f32_4x4x4_16b_bf16 a[0:3], v[14:15], v[30:31], a[0:3] cbsz:4 abid:11
	s_waitcnt vmcnt(7)
	v_cvt_pk_f32_fp8_e32 v[30:31], v40
	v_cvt_pk_f32_fp8_sdwa v[32:33], v40 src0_sel:WORD_1
	v_perm_b32 v48, v51, v50, s8
	v_perm_b32 v30, v31, v30, s8
	s_nop 0
	v_mfma_f32_4x4x4_16b_bf16 a[0:3], v[16:17], v[48:49], a[0:3] cbsz:4 abid:11
	v_cvt_pk_f32_fp8_e32 v[48:49], v41
	v_cvt_pk_f32_fp8_sdwa v[40:41], v41 src0_sel:WORD_1
	v_perm_b32 v31, v33, v32, s8
	v_perm_b32 v32, v49, v48, s8
	s_nop 0
	v_mfma_f32_4x4x4_16b_bf16 a[0:3], v[14:15], v[30:31], a[0:3] cbsz:4 abid:12
	v_perm_b32 v33, v41, v40, s8
	v_cvt_pk_f32_fp8_e32 v[30:31], v42
	v_cvt_pk_f32_fp8_e32 v[40:41], v43
	v_mfma_f32_4x4x4_16b_bf16 a[0:3], v[16:17], v[32:33], a[0:3] cbsz:4 abid:12
	v_cvt_pk_f32_fp8_sdwa v[32:33], v42 src0_sel:WORD_1
	v_cvt_pk_f32_fp8_sdwa v[42:43], v43 src0_sel:WORD_1
	v_perm_b32 v30, v31, v30, s8
	v_perm_b32 v31, v33, v32, s8
	;; [unrolled: 1-line block ×3, first 2 shown]
	s_nop 0
	v_mfma_f32_4x4x4_16b_bf16 a[0:3], v[14:15], v[30:31], a[0:3] cbsz:4 abid:13
	v_perm_b32 v33, v43, v42, s8
	s_waitcnt vmcnt(6)
	v_cvt_pk_f32_fp8_e32 v[30:31], v44
	v_cvt_pk_f32_fp8_e32 v[40:41], v45
	v_mfma_f32_4x4x4_16b_bf16 a[0:3], v[16:17], v[32:33], a[0:3] cbsz:4 abid:13
	v_cvt_pk_f32_fp8_sdwa v[32:33], v44 src0_sel:WORD_1
	v_cvt_pk_f32_fp8_sdwa v[42:43], v45 src0_sel:WORD_1
	v_perm_b32 v30, v31, v30, s8
	v_perm_b32 v31, v33, v32, s8
	;; [unrolled: 1-line block ×3, first 2 shown]
	s_nop 0
	v_mfma_f32_4x4x4_16b_bf16 a[0:3], v[14:15], v[30:31], a[0:3] cbsz:4 abid:14
	v_cvt_pk_f32_fp8_e32 v[30:31], v46
	v_cvt_pk_f32_fp8_sdwa v[40:41], v46 src0_sel:WORD_1
	v_perm_b32 v33, v43, v42, s8
	v_perm_b32 v30, v31, v30, s8
	s_nop 0
	v_mfma_f32_4x4x4_16b_bf16 a[0:3], v[16:17], v[32:33], a[0:3] cbsz:4 abid:14
	v_cvt_pk_f32_fp8_e32 v[32:33], v47
	v_perm_b32 v31, v41, v40, s8
	v_cvt_pk_f32_fp8_sdwa v[40:41], v47 src0_sel:WORD_1
	v_perm_b32 v32, v33, v32, s8
	v_mfma_f32_4x4x4_16b_bf16 a[0:3], v[14:15], v[30:31], a[0:3] cbsz:4 abid:15
	v_perm_b32 v33, v41, v40, s8
	s_waitcnt lgkmcnt(0)
	v_mov_b32_e32 v14, s0
	v_mul_f32_e32 v40, s1, v14
	v_mfma_f32_4x4x4_16b_bf16 a[0:3], v[16:17], v[32:33], a[0:3] cbsz:4 abid:15
	s_nop 4
	v_accvgpr_read_b32 v15, a1
	v_accvgpr_read_b32 v14, a0
	v_pk_mul_f32 v[42:43], v[14:15], v[40:41] op_sel_hi:[1,0]
	global_load_dwordx4 v[30:33], v[34:35], off
	global_load_dwordx4 v[14:17], v[34:35], off offset:1024
	v_accvgpr_read_b32 v35, a3
	v_accvgpr_read_b32 v34, a2
	v_pk_mul_f32 v[34:35], v[34:35], v[40:41] op_sel_hi:[1,0]
	v_mfma_f32_4x4x1_16b_f32 a[0:3], v42, v37, 0
	v_cndmask_b32_e64 v37, 0, 1.0, vcc
	v_cmp_eq_u32_e32 vcc, 2, v39
	v_mov_b32_e32 v41, 0xff7fffff
	v_mfma_f32_4x4x1_16b_f32 a[0:3], v43, v37, a[0:3]
	v_cndmask_b32_e64 v37, 0, 1.0, vcc
	v_cmp_eq_u32_e32 vcc, 3, v39
	s_nop 0
	v_mfma_f32_4x4x1_16b_f32 a[0:3], v34, v37, a[0:3]
	v_cndmask_b32_e64 v34, 0, 1.0, vcc
	s_nop 1
	v_mfma_f32_4x4x1_16b_f32 a[0:3], v35, v34, a[0:3]
	v_and_b32_e32 v34, -4, v36
	v_cmp_gt_i32_e32 vcc, s3, v34
	v_or_b32_e32 v36, 3, v36
	v_cmp_gt_i32_e64 s[10:11], s3, v36
	v_accvgpr_read_b32 v37, a0
	v_max_f32_e32 v40, v37, v37
	v_max_f32_e32 v40, 0xff7fffff, v40
	v_accvgpr_read_b32 v42, a1
	v_cndmask_b32_e32 v40, v41, v40, vcc
	v_or_b32_e32 v41, 1, v34
	v_max_f32_e32 v43, v42, v42
	v_max_f32_e32 v43, v40, v43
	v_cmp_gt_i32_e64 s[0:1], s3, v41
	v_or_b32_e32 v34, 2, v34
	v_cmp_gt_i32_e64 s[8:9], s3, v34
	v_cndmask_b32_e64 v40, v40, v43, s[0:1]
	v_accvgpr_read_b32 v43, a2
	v_max_f32_e32 v41, v43, v43
	v_max_f32_e32 v41, v40, v41
	v_cndmask_b32_e64 v34, v40, v41, s[8:9]
	v_accvgpr_read_b32 v40, a3
	v_max_f32_e32 v41, v40, v40
	v_max_f32_e32 v41, v34, v41
	v_lshlrev_b32_e32 v35, 2, v0
	v_cndmask_b32_e64 v34, v34, v41, s[10:11]
	v_and_or_b32 v35, v35, 48, v39
	;;#ASMSTART
	v_nop
 v_nop
 v_max_f32_dpp v34, v34, v34 row_ror:4
	;;#ASMEND
	v_lshlrev_b32_e32 v44, 2, v35
	;;#ASMSTART
	v_nop
 v_nop
 v_max_f32_dpp v34, v34, v34 row_ror:8
	;;#ASMEND
	ds_bpermute_b32 v34, v44, v34
	s_waitcnt lgkmcnt(0)
	;;#ASMSTART
	v_nop
 v_nop
 v_max_f32_dpp v34, v34, v34 row_ror:4
	;;#ASMEND
	s_nop 0
	;;#ASMSTART
	v_nop
 v_nop
 v_max_f32_dpp v41, v34, v34 row_ror:8
	;;#ASMEND
	s_nop 0
	v_sub_f32_e32 v34, v37, v41
	v_mul_f32_e32 v34, 0x3fb8aa3b, v34
	v_sub_f32_e32 v35, v42, v41
	v_exp_f32_e32 v34, v34
	v_mul_f32_e32 v35, 0x3fb8aa3b, v35
	v_sub_f32_e32 v37, v43, v41
	v_exp_f32_e32 v35, v35
	;; [unrolled: 3-line block ×3, first 2 shown]
	v_mul_f32_e32 v40, 0x3fb8aa3b, v40
	v_exp_f32_e32 v40, v40
	v_cndmask_b32_e32 v34, 0, v34, vcc
	v_add_f32_e32 v36, 0, v34
	v_cndmask_b32_e64 v35, 0, v35, s[0:1]
	v_add_f32_e32 v42, v36, v35
	v_cndmask_b32_e64 v36, 0, v37, s[8:9]
	;; [unrolled: 2-line block ×3, first 2 shown]
	v_add_f32_e32 v40, v42, v37
	;;#ASMSTART
	v_nop
 v_nop
 v_add_f32_dpp v40, v40, v40 row_ror:4
	;;#ASMEND
	v_cmp_gt_u32_e32 vcc, 4, v1
	;;#ASMSTART
	v_nop
 v_nop
 v_add_f32_dpp v40, v40, v40 row_ror:8
	;;#ASMEND
	ds_bpermute_b32 v40, v44, v40
	s_waitcnt lgkmcnt(0)
	;;#ASMSTART
	v_nop
 v_nop
 v_add_f32_dpp v40, v40, v40 row_ror:4
	;;#ASMEND
	s_nop 0
	;;#ASMSTART
	v_nop
 v_nop
 v_add_f32_dpp v40, v40, v40 row_ror:8
	;;#ASMEND
	s_and_saveexec_b64 s[0:1], vcc
	s_cbranch_execz .LBB1268_16
; %bb.15:
	v_mul_u32_u24_e32 v42, 20, v38
	v_lshl_add_u32 v42, v39, 2, v42
	v_add_u32_e32 v42, 0x1400, v42
	ds_write2_b32 v42, v41, v40 offset1:20
.LBB1268_16:
	s_or_b64 exec, exec, s[0:1]
.LBB1268_17:
	s_or_b64 exec, exec, s[30:31]
	s_waitcnt lgkmcnt(0)
	s_barrier
	s_load_dword s0, s[28:29], 0x8
	v_lshlrev_b32_e32 v40, 2, v39
	v_add_u32_e32 v43, 0x1400, v40
	ds_read2_b32 v[44:45], v43 offset1:5
	ds_read2_b32 v[46:47], v43 offset0:10 offset1:15
	s_mul_i32 s1, s5, s2
	s_waitcnt lgkmcnt(0)
	s_mul_i32 s0, s1, s0
	s_mov_b32 s1, 0xff7fffff
	v_max3_f32 v40, v44, s1, v45
	v_max3_f32 v42, v40, v46, v47
	v_sub_f32_e32 v40, v44, v42
	v_sub_f32_e32 v44, v45, v42
	v_mul_f32_e32 v44, 0x3fb8aa3b, v44
	ds_read2_b32 v[48:49], v43 offset0:20 offset1:25
	v_mul_f32_e32 v40, 0x3fb8aa3b, v40
	v_exp_f32_e32 v51, v44
	ds_read2_b32 v[44:45], v43 offset0:30 offset1:35
	v_sub_f32_e32 v43, v46, v42
	v_exp_f32_e32 v50, v40
	v_mul_f32_e32 v43, 0x3fb8aa3b, v43
	v_exp_f32_e32 v46, v43
	v_sub_f32_e32 v43, v47, v42
	v_mul_f32_e32 v43, 0x3fb8aa3b, v43
	v_exp_f32_e32 v47, v43
	s_waitcnt lgkmcnt(1)
	v_fma_f32 v43, v50, v48, 0
	v_fmac_f32_e32 v43, v51, v49
	s_waitcnt lgkmcnt(0)
	v_fmac_f32_e32 v43, v46, v44
	v_mov_b32_e32 v40, 0
	v_fmac_f32_e32 v43, v47, v45
	s_mov_b32 s1, 0
	v_cmp_eq_u32_e32 vcc, 0, v39
	s_and_saveexec_b64 s[2:3], vcc
	s_cbranch_execz .LBB1268_19
; %bb.18:
	s_lshl_b64 s[8:9], s[0:1], 2
	s_add_u32 s12, s16, s8
	s_mov_b32 s25, s1
	s_addc_u32 s13, s17, s9
	s_lshl_b64 s[10:11], s[24:25], 2
	s_add_u32 s12, s12, s10
	s_addc_u32 s13, s13, s11
	s_add_u32 s8, s18, s8
	s_addc_u32 s9, s19, s9
	;; [unrolled: 2-line block ×3, first 2 shown]
	s_mul_i32 s8, s5, s4
	s_mov_b32 s9, s1
	s_lshl_b64 s[8:9], s[8:9], 2
	s_add_u32 s10, s12, s8
	s_addc_u32 s11, s13, s9
	s_add_u32 s8, s16, s8
	s_addc_u32 s9, s17, s9
	global_store_dword v40, v42, s[8:9]
	global_store_dword v40, v43, s[10:11]
.LBB1268_19:
	s_or_b64 exec, exec, s[2:3]
	v_lshlrev_b32_e32 v40, 3, v38
                                        ; implicit-def: $sgpr1
	s_and_saveexec_b64 s[2:3], s[6:7]
	s_xor_b64 s[2:3], exec, s[2:3]
	s_cbranch_execz .LBB1268_21
; %bb.20:
	s_waitcnt vmcnt(6)
	v_mov_b32_e32 v2, 0
	v_mad_u32_u24 v4, v1, 40, v40
	s_mov_b32 s1, 0
	v_mov_b32_e32 v3, v2
	ds_write_b64 v4, v[2:3]
                                        ; implicit-def: $vgpr37
                                        ; implicit-def: $vgpr35
                                        ; implicit-def: $vgpr41
                                        ; implicit-def: $vgpr18_vgpr19
                                        ; implicit-def: $vgpr22_vgpr23
                                        ; implicit-def: $vgpr26_vgpr27
                                        ; implicit-def: $vgpr30_vgpr31
                                        ; implicit-def: $vgpr2_vgpr3
                                        ; implicit-def: $vgpr6_vgpr7
                                        ; implicit-def: $vgpr10_vgpr11
                                        ; implicit-def: $vgpr14_vgpr15
                                        ; implicit-def: $vgpr42
                                        ; implicit-def: $vgpr43
.LBB1268_21:
	s_or_saveexec_b64 s[2:3], s[2:3]
	v_mov_b32_e32 v38, s1
	v_mov_b32_e32 v39, s1
	s_xor_b64 exec, exec, s[2:3]
	s_cbranch_execz .LBB1268_23
; %bb.22:
	v_add_f32_e32 v38, 0x358637bd, v43
	v_div_scale_f32 v39, s[6:7], v38, v38, 1.0
	v_rcp_f32_e32 v43, v39
	v_sub_f32_e32 v41, v41, v42
	v_mul_f32_e32 v41, 0x3fb8aa3b, v41
	v_exp_f32_e32 v41, v41
	v_fma_f32 v42, -v39, v43, 1.0
	v_fmac_f32_e32 v43, v42, v43
	v_div_scale_f32 v42, vcc, 1.0, v38, 1.0
	v_mul_f32_e32 v44, v42, v43
	v_fma_f32 v45, -v39, v44, v42
	v_fmac_f32_e32 v44, v45, v43
	v_fma_f32 v39, -v39, v44, v42
	v_div_fmas_f32 v39, v39, v43, v44
	v_div_fixup_f32 v38, v39, v38, 1.0
	v_mul_f32_e32 v38, v41, v38
	v_pk_mul_f32 v[34:35], v[34:35], v[38:39] op_sel_hi:[1,0]
	v_pk_mul_f32 v[36:37], v[36:37], v[38:39] op_sel_hi:[1,0]
	v_bfe_u32 v38, v35, 16, 1
	v_bfe_u32 v39, v34, 16, 1
	s_movk_i32 s1, 0x7fff
	v_add3_u32 v34, v34, v39, s1
	v_add3_u32 v35, v35, v38, s1
	s_mov_b32 s7, 0x7060302
	v_perm_b32 v34, v35, v34, s7
	v_bfe_u32 v35, v37, 16, 1
	v_bfe_u32 v38, v36, 16, 1
	v_add3_u32 v36, v36, v38, s1
	v_add3_u32 v35, v37, v35, s1
	v_perm_b32 v35, v35, v36, s7
	s_waitcnt vmcnt(7)
	v_cvt_pk_f32_fp8_e32 v[36:37], v18
	v_cvt_pk_f32_fp8_sdwa v[38:39], v18 src0_sel:WORD_1
	v_cvt_pk_f32_fp8_e32 v[42:43], v19
	v_cvt_pk_f32_fp8_sdwa v[18:19], v19 src0_sel:WORD_1
	v_perm_b32 v36, v37, v36, s7
	v_perm_b32 v37, v39, v38, s7
	;; [unrolled: 1-line block ×4, first 2 shown]
	v_mfma_f32_4x4x4_16b_bf16 a[0:3], v[34:35], v[36:37], 0 cbsz:4
	v_cvt_pk_f32_fp8_e32 v[18:19], v20
	v_cvt_pk_f32_fp8_sdwa v[36:37], v20 src0_sel:WORD_1
	v_mfma_f32_4x4x4_16b_bf16 a[0:3], v[34:35], v[38:39], a[0:3] cbsz:4 abid:1
	v_cvt_pk_f32_fp8_e32 v[38:39], v21
	v_cvt_pk_f32_fp8_sdwa v[20:21], v21 src0_sel:WORD_1
	v_perm_b32 v18, v19, v18, s7
	v_perm_b32 v19, v37, v36, s7
	;; [unrolled: 1-line block ×4, first 2 shown]
	v_mfma_f32_4x4x4_16b_bf16 a[0:3], v[34:35], v[18:19], a[0:3] cbsz:4 abid:2
	s_waitcnt vmcnt(5)
	v_cvt_pk_f32_fp8_e32 v[18:19], v22
	v_cvt_pk_f32_fp8_sdwa v[20:21], v22 src0_sel:WORD_1
	v_mfma_f32_4x4x4_16b_bf16 a[0:3], v[34:35], v[36:37], a[0:3] cbsz:4 abid:3
	v_cvt_pk_f32_fp8_e32 v[36:37], v23
	v_cvt_pk_f32_fp8_sdwa v[22:23], v23 src0_sel:WORD_1
	v_perm_b32 v18, v19, v18, s7
	v_perm_b32 v19, v21, v20, s7
	;; [unrolled: 1-line block ×4, first 2 shown]
	v_mfma_f32_4x4x4_16b_bf16 a[0:3], v[34:35], v[18:19], a[0:3] cbsz:4 abid:4
	v_cvt_pk_f32_fp8_e32 v[18:19], v24
	v_cvt_pk_f32_fp8_e32 v[22:23], v25
	v_mfma_f32_4x4x4_16b_bf16 a[0:3], v[34:35], v[20:21], a[0:3] cbsz:4 abid:5
	v_cvt_pk_f32_fp8_sdwa v[20:21], v24 src0_sel:WORD_1
	v_cvt_pk_f32_fp8_sdwa v[24:25], v25 src0_sel:WORD_1
	v_perm_b32 v18, v19, v18, s7
	s_load_dword s6, s[14:15], 0x0
	v_perm_b32 v19, v21, v20, s7
	v_perm_b32 v20, v23, v22, s7
	;; [unrolled: 1-line block ×3, first 2 shown]
	v_mfma_f32_4x4x4_16b_bf16 a[0:3], v[34:35], v[18:19], a[0:3] cbsz:4 abid:6
	s_waitcnt vmcnt(3)
	v_cvt_pk_f32_fp8_e32 v[18:19], v26
	v_cvt_pk_f32_fp8_e32 v[22:23], v27
	v_mfma_f32_4x4x4_16b_bf16 a[0:3], v[34:35], v[20:21], a[0:3] cbsz:4 abid:7
	v_cvt_pk_f32_fp8_sdwa v[20:21], v26 src0_sel:WORD_1
	v_cvt_pk_f32_fp8_sdwa v[24:25], v27 src0_sel:WORD_1
	v_perm_b32 v18, v19, v18, s7
	v_perm_b32 v19, v21, v20, s7
	v_perm_b32 v20, v23, v22, s7
	s_nop 0
	v_mfma_f32_4x4x4_16b_bf16 a[0:3], v[34:35], v[18:19], a[0:3] cbsz:4 abid:8
	v_perm_b32 v21, v25, v24, s7
	v_cvt_pk_f32_fp8_e32 v[18:19], v28
	v_cvt_pk_f32_fp8_e32 v[22:23], v29
	v_mfma_f32_4x4x4_16b_bf16 a[0:3], v[34:35], v[20:21], a[0:3] cbsz:4 abid:9
	v_cvt_pk_f32_fp8_sdwa v[20:21], v28 src0_sel:WORD_1
	v_cvt_pk_f32_fp8_sdwa v[24:25], v29 src0_sel:WORD_1
	v_perm_b32 v18, v19, v18, s7
	v_perm_b32 v19, v21, v20, s7
	;; [unrolled: 1-line block ×3, first 2 shown]
	s_nop 0
	v_mfma_f32_4x4x4_16b_bf16 a[0:3], v[34:35], v[18:19], a[0:3] cbsz:4 abid:10
	v_perm_b32 v21, v25, v24, s7
	s_waitcnt vmcnt(1)
	v_cvt_pk_f32_fp8_e32 v[18:19], v30
	v_cvt_pk_f32_fp8_e32 v[22:23], v31
	v_mfma_f32_4x4x4_16b_bf16 a[0:3], v[34:35], v[20:21], a[0:3] cbsz:4 abid:11
	v_cvt_pk_f32_fp8_sdwa v[20:21], v30 src0_sel:WORD_1
	v_cvt_pk_f32_fp8_sdwa v[24:25], v31 src0_sel:WORD_1
	v_perm_b32 v18, v19, v18, s7
	v_perm_b32 v19, v21, v20, s7
	;; [unrolled: 1-line block ×3, first 2 shown]
	s_nop 0
	v_mfma_f32_4x4x4_16b_bf16 a[0:3], v[34:35], v[18:19], a[0:3] cbsz:4 abid:12
	v_perm_b32 v21, v25, v24, s7
	v_cvt_pk_f32_fp8_e32 v[18:19], v32
	v_cvt_pk_f32_fp8_e32 v[22:23], v33
	v_mfma_f32_4x4x4_16b_bf16 a[0:3], v[34:35], v[20:21], a[0:3] cbsz:4 abid:13
	v_cvt_pk_f32_fp8_sdwa v[20:21], v32 src0_sel:WORD_1
	v_cvt_pk_f32_fp8_sdwa v[24:25], v33 src0_sel:WORD_1
	v_perm_b32 v18, v19, v18, s7
	v_perm_b32 v19, v21, v20, s7
	;; [unrolled: 1-line block ×3, first 2 shown]
	s_nop 0
	v_mfma_f32_4x4x4_16b_bf16 a[0:3], v[34:35], v[18:19], a[0:3] cbsz:4 abid:14
	v_perm_b32 v21, v25, v24, s7
	s_nop 1
	v_mfma_f32_4x4x4_16b_bf16 a[0:3], v[34:35], v[20:21], a[0:3] cbsz:4 abid:15
	s_nop 4
	v_accvgpr_read_b32 v21, a1
	v_accvgpr_read_b32 v20, a0
	s_waitcnt lgkmcnt(0)
	v_pk_mul_f32 v[20:21], v[20:21], s[6:7] op_sel_hi:[1,0]
	v_accvgpr_read_b32 v19, a3
	v_accvgpr_read_b32 v18, a2
	v_bfe_u32 v22, v21, 16, 1
	v_bfe_u32 v23, v20, 16, 1
	v_pk_mul_f32 v[18:19], v[18:19], s[6:7] op_sel_hi:[1,0]
	v_add3_u32 v20, v20, v23, s1
	v_add3_u32 v21, v21, v22, s1
	v_perm_b32 v20, v21, v20, s7
	v_bfe_u32 v21, v19, 16, 1
	v_bfe_u32 v22, v18, 16, 1
	v_add3_u32 v18, v18, v22, s1
	v_add3_u32 v19, v19, v21, s1
	v_perm_b32 v21, v19, v18, s7
	v_mad_u32_u24 v18, v1, 40, v40
	ds_write_b64 v18, v[20:21]
	v_cvt_pk_f32_fp8_e32 v[18:19], v2
	v_cvt_pk_f32_fp8_sdwa v[20:21], v2 src0_sel:WORD_1
	v_cvt_pk_f32_fp8_e32 v[22:23], v3
	v_cvt_pk_f32_fp8_sdwa v[2:3], v3 src0_sel:WORD_1
	v_perm_b32 v18, v19, v18, s7
	v_perm_b32 v19, v21, v20, s7
	;; [unrolled: 1-line block ×4, first 2 shown]
	v_mfma_f32_4x4x4_16b_bf16 a[0:3], v[34:35], v[18:19], 0 cbsz:4
	v_cvt_pk_f32_fp8_e32 v[2:3], v4
	v_cvt_pk_f32_fp8_sdwa v[18:19], v4 src0_sel:WORD_1
	v_mfma_f32_4x4x4_16b_bf16 a[0:3], v[34:35], v[20:21], a[0:3] cbsz:4 abid:1
	v_cvt_pk_f32_fp8_e32 v[20:21], v5
	v_cvt_pk_f32_fp8_sdwa v[4:5], v5 src0_sel:WORD_1
	v_perm_b32 v2, v3, v2, s7
	v_perm_b32 v3, v19, v18, s7
	;; [unrolled: 1-line block ×4, first 2 shown]
	v_mfma_f32_4x4x4_16b_bf16 a[0:3], v[34:35], v[2:3], a[0:3] cbsz:4 abid:2
	v_cvt_pk_f32_fp8_e32 v[2:3], v6
	v_cvt_pk_f32_fp8_sdwa v[4:5], v6 src0_sel:WORD_1
	v_mfma_f32_4x4x4_16b_bf16 a[0:3], v[34:35], v[18:19], a[0:3] cbsz:4 abid:3
	v_cvt_pk_f32_fp8_e32 v[18:19], v7
	v_cvt_pk_f32_fp8_sdwa v[6:7], v7 src0_sel:WORD_1
	v_perm_b32 v2, v3, v2, s7
	v_perm_b32 v3, v5, v4, s7
	;; [unrolled: 1-line block ×4, first 2 shown]
	v_mfma_f32_4x4x4_16b_bf16 a[0:3], v[34:35], v[2:3], a[0:3] cbsz:4 abid:4
	v_cvt_pk_f32_fp8_e32 v[2:3], v8
	v_cvt_pk_f32_fp8_e32 v[6:7], v9
	v_mfma_f32_4x4x4_16b_bf16 a[0:3], v[34:35], v[4:5], a[0:3] cbsz:4 abid:5
	v_cvt_pk_f32_fp8_sdwa v[4:5], v8 src0_sel:WORD_1
	v_cvt_pk_f32_fp8_sdwa v[8:9], v9 src0_sel:WORD_1
	v_perm_b32 v2, v3, v2, s7
	v_perm_b32 v3, v5, v4, s7
	v_perm_b32 v4, v7, v6, s7
	s_nop 0
	v_mfma_f32_4x4x4_16b_bf16 a[0:3], v[34:35], v[2:3], a[0:3] cbsz:4 abid:6
	v_perm_b32 v5, v9, v8, s7
	v_cvt_pk_f32_fp8_e32 v[2:3], v10
	v_cvt_pk_f32_fp8_e32 v[6:7], v11
	v_mfma_f32_4x4x4_16b_bf16 a[0:3], v[34:35], v[4:5], a[0:3] cbsz:4 abid:7
	v_cvt_pk_f32_fp8_sdwa v[4:5], v10 src0_sel:WORD_1
	v_cvt_pk_f32_fp8_sdwa v[8:9], v11 src0_sel:WORD_1
	v_perm_b32 v2, v3, v2, s7
	v_perm_b32 v3, v5, v4, s7
	v_perm_b32 v4, v7, v6, s7
	s_nop 0
	v_mfma_f32_4x4x4_16b_bf16 a[0:3], v[34:35], v[2:3], a[0:3] cbsz:4 abid:8
	v_perm_b32 v5, v9, v8, s7
	;; [unrolled: 11-line block ×3, first 2 shown]
	s_waitcnt vmcnt(0)
	v_cvt_pk_f32_fp8_e32 v[2:3], v14
	v_cvt_pk_f32_fp8_e32 v[6:7], v15
	v_mfma_f32_4x4x4_16b_bf16 a[0:3], v[34:35], v[4:5], a[0:3] cbsz:4 abid:11
	v_cvt_pk_f32_fp8_sdwa v[4:5], v14 src0_sel:WORD_1
	v_cvt_pk_f32_fp8_sdwa v[8:9], v15 src0_sel:WORD_1
	v_perm_b32 v2, v3, v2, s7
	v_perm_b32 v3, v5, v4, s7
	;; [unrolled: 1-line block ×3, first 2 shown]
	s_nop 0
	v_mfma_f32_4x4x4_16b_bf16 a[0:3], v[34:35], v[2:3], a[0:3] cbsz:4 abid:12
	v_perm_b32 v5, v9, v8, s7
	v_cvt_pk_f32_fp8_e32 v[2:3], v16
	v_cvt_pk_f32_fp8_e32 v[6:7], v17
	v_mfma_f32_4x4x4_16b_bf16 a[0:3], v[34:35], v[4:5], a[0:3] cbsz:4 abid:13
	v_cvt_pk_f32_fp8_sdwa v[4:5], v16 src0_sel:WORD_1
	v_cvt_pk_f32_fp8_sdwa v[8:9], v17 src0_sel:WORD_1
	v_perm_b32 v2, v3, v2, s7
	v_perm_b32 v3, v5, v4, s7
	;; [unrolled: 1-line block ×3, first 2 shown]
	s_nop 0
	v_mfma_f32_4x4x4_16b_bf16 a[0:3], v[34:35], v[2:3], a[0:3] cbsz:4 abid:14
	v_perm_b32 v5, v9, v8, s7
	s_nop 1
	v_mfma_f32_4x4x4_16b_bf16 a[0:3], v[34:35], v[4:5], a[0:3] cbsz:4 abid:15
	s_nop 4
	v_accvgpr_read_b32 v5, a1
	v_accvgpr_read_b32 v4, a0
	;; [unrolled: 1-line block ×4, first 2 shown]
	v_pk_mul_f32 v[4:5], v[4:5], s[6:7] op_sel_hi:[1,0]
	v_pk_mul_f32 v[2:3], v[2:3], s[6:7] op_sel_hi:[1,0]
	v_bfe_u32 v6, v5, 16, 1
	v_bfe_u32 v7, v4, 16, 1
	v_add3_u32 v4, v4, v7, s1
	v_add3_u32 v5, v5, v6, s1
	v_bfe_u32 v6, v3, 16, 1
	v_bfe_u32 v7, v2, 16, 1
	v_add3_u32 v2, v2, v7, s1
	v_add3_u32 v3, v3, v6, s1
	v_perm_b32 v39, v3, v2, s7
	v_perm_b32 v38, v5, v4, s7
.LBB1268_23:
	s_or_b64 exec, exec, s[2:3]
	s_waitcnt vmcnt(6)
	v_mad_u32_u24 v2, v1, 40, v40
	v_cmp_gt_u32_e32 vcc, 64, v0
	ds_write_b64 v2, v[38:39] offset:2560
	s_waitcnt lgkmcnt(0)
	s_barrier
	s_and_saveexec_b64 s[2:3], vcc
	s_cbranch_execz .LBB1268_25
; %bb.24:
	v_mov_b32_e32 v2, 0xa00
	v_mad_u32_u24 v2, v1, 40, v2
	ds_read2_b64 v[2:5], v2 offset1:1
	s_waitcnt lgkmcnt(0)
	v_mov_b32_e32 v3, 0xa10
	s_waitcnt vmcnt(2)
	v_mul_u32_u24_e32 v10, 40, v1
	v_mad_u32_u24 v1, v1, 40, v3
	ds_read2_b64 v[6:9], v1 offset1:1
	v_lshlrev_b32_e32 v1, 16, v2
	v_add_f32_e32 v1, 0, v1
	v_and_b32_e32 v1, 0xffff0000, v1
	v_lshlrev_b32_e32 v2, 16, v4
	v_add_f32_e32 v1, v1, v2
	v_and_b32_e32 v1, 0xffff0000, v1
	s_waitcnt lgkmcnt(0)
	v_lshlrev_b32_e32 v2, 16, v6
	v_add_f32_e32 v1, v1, v2
	v_and_b32_e32 v1, 0xffff0000, v1
	v_lshlrev_b32_e32 v2, 16, v8
	v_add_f32_e32 v11, v1, v2
	ds_read2_b64 v[2:5], v10 offset1:1
	ds_read2_b64 v[6:9], v10 offset0:2 offset1:3
	s_mov_b32 s1, 0
	s_lshl_b32 s0, s0, 7
	s_lshl_b64 s[2:3], s[0:1], 1
	s_waitcnt lgkmcnt(1)
	v_lshlrev_b32_e32 v2, 16, v2
	v_add_f32_e32 v2, 0, v2
	s_add_u32 s2, s26, s2
	v_and_b32_e32 v2, 0xffff0000, v2
	v_lshlrev_b32_e32 v3, 16, v4
	s_addc_u32 s3, s27, s3
	s_lshl_b32 s0, s24, 7
	v_add_f32_e32 v2, v2, v3
	s_lshl_b64 s[0:1], s[0:1], 1
	v_and_b32_e32 v2, 0xffff0000, v2
	s_waitcnt lgkmcnt(0)
	v_lshlrev_b32_e32 v3, 16, v6
	s_add_u32 s0, s2, s0
	s_mul_i32 s4, s4, s5
	v_add_f32_e32 v2, v2, v3
	s_addc_u32 s1, s3, s1
	v_lshl_or_b32 v0, s4, 7, v0
	v_mov_b32_e32 v1, 0
	v_and_b32_e32 v2, 0xffff0000, v2
	v_lshlrev_b32_e32 v3, 16, v8
	v_lshl_add_u64 v[0:1], v[0:1], 1, s[0:1]
	v_add_f32_e32 v2, v2, v3
	global_store_short_d16_hi v[0:1], v2, off
	global_store_short_d16_hi v[0:1], v11, off offset:128
.LBB1268_25:
	s_endpgm
	.section	.rodata,"a",@progbits
	.p2align	6, 0x0
	.amdhsa_kernel _Z38paged_attention_ll4mi_QKV_mfma4_kernelI14__hip_bfloat16hLN4vllm18Fp8KVCacheDataTypeE1EhLi16ELi128ELi256ELb0ELi1EEvPKT_PKT0_S8_ifPKiSA_SA_iPKfiiiPfSD_PS3_PT2_iSC_SC_
		.amdhsa_group_segment_fixed_size 5280
		.amdhsa_private_segment_fixed_size 0
		.amdhsa_kernarg_size 400
		.amdhsa_user_sgpr_count 2
		.amdhsa_user_sgpr_dispatch_ptr 0
		.amdhsa_user_sgpr_queue_ptr 0
		.amdhsa_user_sgpr_kernarg_segment_ptr 1
		.amdhsa_user_sgpr_dispatch_id 0
		.amdhsa_user_sgpr_kernarg_preload_length 0
		.amdhsa_user_sgpr_kernarg_preload_offset 0
		.amdhsa_user_sgpr_private_segment_size 0
		.amdhsa_uses_dynamic_stack 0
		.amdhsa_enable_private_segment 0
		.amdhsa_system_sgpr_workgroup_id_x 1
		.amdhsa_system_sgpr_workgroup_id_y 1
		.amdhsa_system_sgpr_workgroup_id_z 1
		.amdhsa_system_sgpr_workgroup_info 0
		.amdhsa_system_vgpr_workitem_id 0
		.amdhsa_next_free_vgpr 68
		.amdhsa_next_free_sgpr 42
		.amdhsa_accum_offset 64
		.amdhsa_reserve_vcc 1
		.amdhsa_float_round_mode_32 0
		.amdhsa_float_round_mode_16_64 0
		.amdhsa_float_denorm_mode_32 3
		.amdhsa_float_denorm_mode_16_64 3
		.amdhsa_dx10_clamp 1
		.amdhsa_ieee_mode 1
		.amdhsa_fp16_overflow 0
		.amdhsa_tg_split 0
		.amdhsa_exception_fp_ieee_invalid_op 0
		.amdhsa_exception_fp_denorm_src 0
		.amdhsa_exception_fp_ieee_div_zero 0
		.amdhsa_exception_fp_ieee_overflow 0
		.amdhsa_exception_fp_ieee_underflow 0
		.amdhsa_exception_fp_ieee_inexact 0
		.amdhsa_exception_int_div_zero 0
	.end_amdhsa_kernel
	.section	.text._Z38paged_attention_ll4mi_QKV_mfma4_kernelI14__hip_bfloat16hLN4vllm18Fp8KVCacheDataTypeE1EhLi16ELi128ELi256ELb0ELi1EEvPKT_PKT0_S8_ifPKiSA_SA_iPKfiiiPfSD_PS3_PT2_iSC_SC_,"axG",@progbits,_Z38paged_attention_ll4mi_QKV_mfma4_kernelI14__hip_bfloat16hLN4vllm18Fp8KVCacheDataTypeE1EhLi16ELi128ELi256ELb0ELi1EEvPKT_PKT0_S8_ifPKiSA_SA_iPKfiiiPfSD_PS3_PT2_iSC_SC_,comdat
.Lfunc_end1268:
	.size	_Z38paged_attention_ll4mi_QKV_mfma4_kernelI14__hip_bfloat16hLN4vllm18Fp8KVCacheDataTypeE1EhLi16ELi128ELi256ELb0ELi1EEvPKT_PKT0_S8_ifPKiSA_SA_iPKfiiiPfSD_PS3_PT2_iSC_SC_, .Lfunc_end1268-_Z38paged_attention_ll4mi_QKV_mfma4_kernelI14__hip_bfloat16hLN4vllm18Fp8KVCacheDataTypeE1EhLi16ELi128ELi256ELb0ELi1EEvPKT_PKT0_S8_ifPKiSA_SA_iPKfiiiPfSD_PS3_PT2_iSC_SC_
                                        ; -- End function
	.section	.AMDGPU.csdata,"",@progbits
; Kernel info:
; codeLenInByte = 5580
; NumSgprs: 48
; NumVgprs: 64
; NumAgprs: 4
; TotalNumVgprs: 68
; ScratchSize: 0
; MemoryBound: 0
; FloatMode: 240
; IeeeMode: 1
; LDSByteSize: 5280 bytes/workgroup (compile time only)
; SGPRBlocks: 5
; VGPRBlocks: 8
; NumSGPRsForWavesPerEU: 48
; NumVGPRsForWavesPerEU: 68
; AccumOffset: 64
; Occupancy: 7
; WaveLimiterHint : 1
; COMPUTE_PGM_RSRC2:SCRATCH_EN: 0
; COMPUTE_PGM_RSRC2:USER_SGPR: 2
; COMPUTE_PGM_RSRC2:TRAP_HANDLER: 0
; COMPUTE_PGM_RSRC2:TGID_X_EN: 1
; COMPUTE_PGM_RSRC2:TGID_Y_EN: 1
; COMPUTE_PGM_RSRC2:TGID_Z_EN: 1
; COMPUTE_PGM_RSRC2:TIDIG_COMP_CNT: 0
; COMPUTE_PGM_RSRC3_GFX90A:ACCUM_OFFSET: 15
; COMPUTE_PGM_RSRC3_GFX90A:TG_SPLIT: 0
	.section	.text._Z38paged_attention_ll4mi_QKV_mfma4_kernelI14__hip_bfloat16hLN4vllm18Fp8KVCacheDataTypeE1EhLi16ELi128ELi256ELb0ELi2EEvPKT_PKT0_S8_ifPKiSA_SA_iPKfiiiPfSD_PS3_PT2_iSC_SC_,"axG",@progbits,_Z38paged_attention_ll4mi_QKV_mfma4_kernelI14__hip_bfloat16hLN4vllm18Fp8KVCacheDataTypeE1EhLi16ELi128ELi256ELb0ELi2EEvPKT_PKT0_S8_ifPKiSA_SA_iPKfiiiPfSD_PS3_PT2_iSC_SC_,comdat
	.protected	_Z38paged_attention_ll4mi_QKV_mfma4_kernelI14__hip_bfloat16hLN4vllm18Fp8KVCacheDataTypeE1EhLi16ELi128ELi256ELb0ELi2EEvPKT_PKT0_S8_ifPKiSA_SA_iPKfiiiPfSD_PS3_PT2_iSC_SC_ ; -- Begin function _Z38paged_attention_ll4mi_QKV_mfma4_kernelI14__hip_bfloat16hLN4vllm18Fp8KVCacheDataTypeE1EhLi16ELi128ELi256ELb0ELi2EEvPKT_PKT0_S8_ifPKiSA_SA_iPKfiiiPfSD_PS3_PT2_iSC_SC_
	.globl	_Z38paged_attention_ll4mi_QKV_mfma4_kernelI14__hip_bfloat16hLN4vllm18Fp8KVCacheDataTypeE1EhLi16ELi128ELi256ELb0ELi2EEvPKT_PKT0_S8_ifPKiSA_SA_iPKfiiiPfSD_PS3_PT2_iSC_SC_
	.p2align	8
	.type	_Z38paged_attention_ll4mi_QKV_mfma4_kernelI14__hip_bfloat16hLN4vllm18Fp8KVCacheDataTypeE1EhLi16ELi128ELi256ELb0ELi2EEvPKT_PKT0_S8_ifPKiSA_SA_iPKfiiiPfSD_PS3_PT2_iSC_SC_,@function
_Z38paged_attention_ll4mi_QKV_mfma4_kernelI14__hip_bfloat16hLN4vllm18Fp8KVCacheDataTypeE1EhLi16ELi128ELi256ELb0ELi2EEvPKT_PKT0_S8_ifPKiSA_SA_iPKfiiiPfSD_PS3_PT2_iSC_SC_: ; @_Z38paged_attention_ll4mi_QKV_mfma4_kernelI14__hip_bfloat16hLN4vllm18Fp8KVCacheDataTypeE1EhLi16ELi128ELi256ELb0ELi2EEvPKT_PKT0_S8_ifPKiSA_SA_iPKfiiiPfSD_PS3_PT2_iSC_SC_
; %bb.0:
	s_load_dwordx2 s[20:21], s[0:1], 0x30
	s_mov_b32 s24, s3
	s_mov_b64 s[6:7], 0
	s_waitcnt lgkmcnt(0)
	s_cmp_lg_u64 s[20:21], 0
	s_cselect_b64 s[22:23], -1, 0
	s_and_b64 vcc, exec, s[22:23]
	s_cbranch_vccz .LBB1269_10
; %bb.1:
	s_add_i32 s8, s2, 1
	s_mov_b32 s9, 0
	s_lshl_b64 s[10:11], s[8:9], 2
	s_add_u32 s10, s20, s10
	s_mov_b32 s3, s9
	s_addc_u32 s11, s21, s11
	s_lshl_b64 s[8:9], s[2:3], 2
	s_add_u32 s8, s20, s8
	s_addc_u32 s9, s21, s9
	s_load_dword s5, s[10:11], 0x0
	s_load_dword s12, s[8:9], 0x0
	s_waitcnt lgkmcnt(0)
	s_sub_i32 s5, s5, s12
	s_cmp_eq_u32 s5, 1
	s_cselect_b64 s[8:9], -1, 0
	s_andn2_b64 vcc, exec, s[6:7]
	s_cbranch_vccnz .LBB1269_3
.LBB1269_2:
	s_mov_b32 s3, 0
	s_mov_b64 s[8:9], -1
.LBB1269_3:
	s_andn2_b64 vcc, exec, s[8:9]
	s_cbranch_vccnz .LBB1269_25
; %bb.4:
	s_load_dword s5, s[0:1], 0x9c
	s_load_dwordx2 s[6:7], s[0:1], 0x28
	s_add_u32 s28, s0, 0x90
	s_addc_u32 s29, s1, 0
	s_lshl_b64 s[34:35], s[2:3], 2
	s_waitcnt lgkmcnt(0)
	s_and_b32 s5, s5, 0xffff
	s_add_u32 s6, s6, s34
	s_addc_u32 s7, s7, s35
	s_load_dword s3, s[6:7], 0x0
	s_mul_i32 s10, s24, s5
	s_waitcnt lgkmcnt(0)
	s_cmp_ge_i32 s10, s3
	s_cbranch_scc1 .LBB1269_25
; %bb.5:
	v_and_b32_e32 v1, 0xc0, v0
	v_add_u32_e32 v4, s10, v1
	v_lshrrev_b32_e32 v38, 6, v0
	v_cmp_le_i32_e64 s[6:7], s3, v4
                                        ; implicit-def: $sgpr25
                                        ; implicit-def: $sgpr11
	s_and_saveexec_b64 s[8:9], s[6:7]
	s_xor_b64 s[8:9], exec, s[8:9]
	s_cbranch_execz .LBB1269_7
; %bb.6:
	v_mul_u32_u24_e32 v1, 20, v38
	v_or_b32_e32 v1, 0x1400, v1
	v_mov_b32_e32 v2, 0x1450
	v_mov_b32_e32 v3, 0xff7fffff
	v_mad_u32_u24 v2, v38, 20, v2
	ds_write2_b32 v1, v3, v3 offset1:1
	v_mov_b32_e32 v1, 0
	ds_write2_b32 v2, v1, v1 offset1:1
	v_mov_b32_e32 v2, 0x1408
	v_mov_b32_e32 v4, 0x1458
	s_mov_b32 s11, 0xff7fffff
	s_mov_b32 s25, 0
	v_mad_u32_u24 v2, v38, 20, v2
	v_mad_u32_u24 v4, v38, 20, v4
	ds_write2_b32 v2, v3, v3 offset1:1
	ds_write2_b32 v4, v1, v1 offset1:1
                                        ; implicit-def: $vgpr4
.LBB1269_7:
	s_or_saveexec_b64 s[30:31], s[8:9]
	s_load_dwordx2 s[26:27], s[0:1], 0x68
	s_load_dwordx4 s[16:19], s[0:1], 0x58
	s_load_dword s5, s[28:29], 0x4
	s_load_dwordx4 s[12:15], s[0:1], 0x80
	v_and_b32_e32 v1, 63, v0
	v_and_b32_e32 v39, 3, v0
	v_mov_b32_e32 v37, s25
	v_mov_b32_e32 v41, s11
	;; [unrolled: 1-line block ×5, first 2 shown]
                                        ; implicit-def: $vgpr26_vgpr27
                                        ; implicit-def: $vgpr18_vgpr19
                                        ; implicit-def: $vgpr22_vgpr23
                                        ; implicit-def: $vgpr30_vgpr31
                                        ; implicit-def: $vgpr10_vgpr11
                                        ; implicit-def: $vgpr2_vgpr3
                                        ; implicit-def: $vgpr6_vgpr7
                                        ; implicit-def: $vgpr14_vgpr15
	s_xor_b64 exec, exec, s[30:31]
	s_cbranch_execz .LBB1269_17
; %bb.8:
	s_load_dwordx2 s[8:9], s[0:1], 0x20
	s_load_dword s11, s[0:1], 0x38
	s_add_i32 s25, s3, 15
	s_ashr_i32 s33, s25, 31
	s_lshr_b32 s33, s33, 28
	v_add_u32_e32 v40, s10, v0
	s_add_i32 s25, s25, s33
	v_ashrrev_i32_e32 v2, 31, v40
	s_ashr_i32 s25, s25, 4
	v_lshrrev_b32_e32 v2, 28, v2
	s_add_i32 s25, s25, -1
	s_waitcnt lgkmcnt(0)
	s_mul_i32 s36, s2, s11
	s_mov_b32 s37, 0
	v_add_u32_e32 v2, v40, v2
	s_lshl_b64 s[36:37], s[36:37], 2
	v_ashrrev_i32_e32 v2, 4, v2
	v_mov_b32_e32 v3, s25
	v_cmp_gt_i32_e32 vcc, s3, v40
	s_add_u32 s8, s8, s36
	s_addc_u32 s9, s9, s37
	v_cndmask_b32_e32 v2, v3, v2, vcc
	v_ashrrev_i32_e32 v3, 31, v2
	v_lshl_add_u64 v[10:11], v[2:3], 2, s[8:9]
	v_ashrrev_i32_e32 v2, 31, v4
	v_lshrrev_b32_e32 v2, 28, v2
	v_add_u32_e32 v2, v4, v2
	v_ashrrev_i32_e32 v6, 4, v2
	v_min_i32_e32 v2, s25, v6
	v_ashrrev_i32_e32 v3, 31, v2
	v_lshl_add_u64 v[4:5], v[2:3], 2, s[8:9]
	v_add_u32_e32 v2, 1, v6
	v_min_i32_e32 v2, s25, v2
	v_ashrrev_i32_e32 v3, 31, v2
	v_lshl_add_u64 v[12:13], v[2:3], 2, s[8:9]
	v_add_u32_e32 v2, 2, v6
	;; [unrolled: 4-line block ×3, first 2 shown]
	v_min_i32_e32 v2, s25, v2
	v_ashrrev_i32_e32 v3, 31, v2
	v_lshl_add_u64 v[16:17], v[2:3], 2, s[8:9]
	global_load_dword v2, v[10:11], off
	global_load_dword v6, v[4:5], off
	;; [unrolled: 1-line block ×5, first 2 shown]
	s_load_dwordx4 s[8:11], s[0:1], 0x8
	s_andn2_b64 vcc, exec, s[22:23]
	s_cbranch_vccnz .LBB1269_11
; %bb.9:
	s_add_u32 s20, s20, s34
	s_addc_u32 s21, s21, s35
	s_load_dword s25, s[20:21], 0x0
	s_branch .LBB1269_12
.LBB1269_10:
	s_mov_b64 s[8:9], 0
	s_branch .LBB1269_2
.LBB1269_11:
	s_mov_b32 s25, s2
.LBB1269_12:
	s_load_dwordx4 s[20:23], s[0:1], 0x48
	v_cmp_gt_u32_e32 vcc, 2, v39
	s_mov_b32 s37, 0
	v_mov_b32_e32 v5, 0
	v_mov_b32_e32 v34, 0
	;; [unrolled: 1-line block ×5, first 2 shown]
	s_and_saveexec_b64 s[34:35], vcc
	s_cbranch_execz .LBB1269_14
; %bb.13:
	s_load_dwordx2 s[38:39], s[0:1], 0x0
	s_waitcnt lgkmcnt(0)
	s_ashr_i32 s23, s20, 31
	s_mul_hi_u32 s33, s25, s20
	s_mul_i32 s23, s25, s23
	s_add_i32 s41, s33, s23
	s_mul_i32 s40, s25, s20
	s_lshl_b64 s[40:41], s[40:41], 1
	s_add_u32 s20, s38, s40
	s_addc_u32 s23, s39, s41
	s_lshl_b32 s36, s4, 8
	s_lshl_b64 s[36:37], s[36:37], 1
	v_lshlrev_b32_e32 v3, 2, v1
	s_add_u32 s36, s20, s36
	v_and_b32_e32 v3, 0xf0, v3
	s_addc_u32 s37, s23, s37
	v_lshl_or_b32 v3, v39, 8, v3
	global_load_dwordx4 v[34:37], v3, s[36:37]
.LBB1269_14:
	s_or_b64 exec, exec, s[34:35]
	s_waitcnt lgkmcnt(0)
	s_mul_i32 s20, s4, s22
	s_add_u32 s8, s20, s8
	s_addc_u32 s9, 0, s9
	v_mov_b64_e32 v[10:11], s[8:9]
	v_lshlrev_b32_e32 v4, 4, v0
	s_waitcnt vmcnt(4)
	v_mad_i64_i32 v[2:3], s[8:9], v2, s21, v[10:11]
	v_and_b32_e32 v4, 0xf0, v4
	v_lshl_add_u64 v[2:3], v[2:3], 0, v[4:5]
	global_load_dwordx4 v[10:13], v[2:3], off
	global_load_dwordx4 v[16:19], v[2:3], off offset:256
	s_waitcnt vmcnt(5)
	v_mul_hi_i32 v4, v6, s21
	s_waitcnt vmcnt(4)
	v_mul_hi_i32 v14, v7, s21
	;; [unrolled: 2-line block ×4, first 2 shown]
	v_ashrrev_i32_e32 v4, 31, v4
	v_ashrrev_i32_e32 v14, 31, v14
	;; [unrolled: 1-line block ×4, first 2 shown]
	v_mov_b32_e32 v15, v5
	v_mov_b32_e32 v21, v5
	;; [unrolled: 1-line block ×3, first 2 shown]
	v_lshrrev_b32_e32 v14, 29, v14
	v_lshrrev_b32_e32 v20, 29, v20
	;; [unrolled: 1-line block ×4, first 2 shown]
	s_add_u32 s10, s10, s20
	v_mad_i64_i32 v[14:15], s[22:23], v7, s21, v[14:15]
	v_mad_i64_i32 v[20:21], s[22:23], v8, s21, v[20:21]
	;; [unrolled: 1-line block ×4, first 2 shown]
	s_addc_u32 s11, s11, 0
	v_and_b32_e32 v14, -8, v14
	v_and_b32_e32 v20, -8, v20
	;; [unrolled: 1-line block ×4, first 2 shown]
	v_lshl_add_u64 v[14:15], s[10:11], 0, v[14:15]
	v_lshl_add_u64 v[20:21], s[10:11], 0, v[20:21]
	;; [unrolled: 1-line block ×3, first 2 shown]
	v_lshlrev_b32_e32 v4, 4, v1
	v_lshl_add_u64 v[6:7], s[10:11], 0, v[6:7]
	v_lshl_add_u64 v[26:27], v[14:15], 0, v[4:5]
	;; [unrolled: 1-line block ×5, first 2 shown]
	s_mov_b32 s8, 0x7060302
	s_load_dword s0, s[0:1], 0x1c
	v_cmp_eq_u32_e32 vcc, 0, v39
	s_load_dword s1, s[12:13], 0x0
	v_mov_b32_e32 v41, 0xff7fffff
	s_waitcnt vmcnt(1)
	v_cvt_pk_f32_fp8_e32 v[4:5], v10
	v_cvt_pk_f32_fp8_sdwa v[6:7], v10 src0_sel:WORD_1
	v_cvt_pk_f32_fp8_e32 v[8:9], v11
	v_cvt_pk_f32_fp8_sdwa v[10:11], v11 src0_sel:WORD_1
	v_perm_b32 v48, v5, v4, s8
	v_perm_b32 v49, v7, v6, s8
	global_load_dwordx4 v[4:7], v[2:3], off offset:512
	v_perm_b32 v54, v9, v8, s8
	v_perm_b32 v55, v11, v10, s8
	global_load_dwordx4 v[8:11], v[2:3], off offset:768
	v_cvt_pk_f32_fp8_e32 v[20:21], v12
	v_cvt_pk_f32_fp8_sdwa v[22:23], v12 src0_sel:WORD_1
	v_cvt_pk_f32_fp8_e32 v[24:25], v13
	v_cvt_pk_f32_fp8_sdwa v[12:13], v13 src0_sel:WORD_1
	v_perm_b32 v20, v21, v20, s8
	v_perm_b32 v21, v23, v22, s8
	;; [unrolled: 1-line block ×3, first 2 shown]
	global_load_dwordx4 v[22:25], v[2:3], off offset:1024
	s_waitcnt vmcnt(3)
	v_cvt_pk_f32_fp8_e32 v[28:29], v16
	v_cvt_pk_f32_fp8_sdwa v[30:31], v16 src0_sel:WORD_1
	v_cvt_pk_f32_fp8_e32 v[32:33], v17
	v_perm_b32 v57, v13, v12, s8
	v_perm_b32 v12, v29, v28, s8
	v_perm_b32 v13, v31, v30, s8
	v_perm_b32 v28, v33, v32, s8
	global_load_dwordx4 v[30:33], v[2:3], off offset:1280
	v_cvt_pk_f32_fp8_sdwa v[16:17], v17 src0_sel:WORD_1
	v_cvt_pk_f32_fp8_e32 v[42:43], v18
	v_cvt_pk_f32_fp8_sdwa v[44:45], v18 src0_sel:WORD_1
	v_mfma_f32_4x4x4_16b_bf16 a[0:3], v[34:35], v[48:49], 0 cbsz:4
	v_perm_b32 v29, v17, v16, s8
	v_perm_b32 v16, v43, v42, s8
	;; [unrolled: 1-line block ×3, first 2 shown]
	global_load_dwordx4 v[42:45], v[2:3], off offset:1536
	v_cvt_pk_f32_fp8_e32 v[46:47], v19
	v_mfma_f32_4x4x4_16b_bf16 a[0:3], v[36:37], v[54:55], a[0:3] cbsz:4
	v_cvt_pk_f32_fp8_sdwa v[18:19], v19 src0_sel:WORD_1
	v_perm_b32 v58, v47, v46, s8
	global_load_dwordx4 v[46:49], v[2:3], off offset:1792
	v_mfma_f32_4x4x4_16b_bf16 a[0:3], v[34:35], v[20:21], a[0:3] cbsz:4 abid:1
	v_perm_b32 v59, v19, v18, s8
	s_waitcnt vmcnt(5)
	v_cvt_pk_f32_fp8_e32 v[18:19], v4
	v_mfma_f32_4x4x4_16b_bf16 a[0:3], v[36:37], v[56:57], a[0:3] cbsz:4 abid:1
	v_cvt_pk_f32_fp8_sdwa v[20:21], v4 src0_sel:WORD_1
	v_perm_b32 v54, v19, v18, s8
	v_mfma_f32_4x4x4_16b_bf16 a[0:3], v[34:35], v[12:13], a[0:3] cbsz:4 abid:2
	v_cvt_pk_f32_fp8_e32 v[12:13], v5
	v_perm_b32 v55, v21, v20, s8
	v_mfma_f32_4x4x4_16b_bf16 a[0:3], v[36:37], v[28:29], a[0:3] cbsz:4 abid:2
	global_load_dwordx4 v[18:21], v[26:27], off
	v_perm_b32 v12, v13, v12, s8
	v_mfma_f32_4x4x4_16b_bf16 a[0:3], v[34:35], v[16:17], a[0:3] cbsz:4 abid:3
	v_cvt_pk_f32_fp8_sdwa v[16:17], v5 src0_sel:WORD_1
	global_load_dwordx4 v[2:5], v[26:27], off offset:1024
	v_mfma_f32_4x4x4_16b_bf16 a[0:3], v[36:37], v[58:59], a[0:3] cbsz:4 abid:3
	v_cvt_pk_f32_fp8_sdwa v[26:27], v6 src0_sel:WORD_1
	v_perm_b32 v13, v17, v16, s8
	v_mfma_f32_4x4x4_16b_bf16 a[0:3], v[34:35], v[54:55], a[0:3] cbsz:4 abid:4
	v_cvt_pk_f32_fp8_e32 v[16:17], v6
	s_waitcnt vmcnt(6)
	v_cvt_pk_f32_fp8_sdwa v[54:55], v11 src0_sel:WORD_1
	v_mfma_f32_4x4x4_16b_bf16 a[0:3], v[36:37], v[12:13], a[0:3] cbsz:4 abid:4
	v_cvt_pk_f32_fp8_e32 v[12:13], v7
	v_cvt_pk_f32_fp8_sdwa v[6:7], v7 src0_sel:WORD_1
	v_perm_b32 v16, v17, v16, s8
	v_perm_b32 v17, v27, v26, s8
	;; [unrolled: 1-line block ×3, first 2 shown]
	v_cvt_pk_f32_fp8_sdwa v[26:27], v8 src0_sel:WORD_1
	v_mfma_f32_4x4x4_16b_bf16 a[0:3], v[34:35], v[16:17], a[0:3] cbsz:4 abid:5
	v_cvt_pk_f32_fp8_e32 v[16:17], v8
	v_perm_b32 v13, v7, v6, s8
	v_perm_b32 v7, v27, v26, s8
	global_load_dwordx4 v[26:29], v[52:53], off
	v_mfma_f32_4x4x4_16b_bf16 a[0:3], v[36:37], v[12:13], a[0:3] cbsz:4 abid:5
	v_cvt_pk_f32_fp8_e32 v[12:13], v9
	v_cvt_pk_f32_fp8_sdwa v[8:9], v9 src0_sel:WORD_1
	v_perm_b32 v6, v17, v16, s8
	v_cvt_pk_f32_fp8_e32 v[16:17], v11
	v_perm_b32 v12, v13, v12, s8
	v_mfma_f32_4x4x4_16b_bf16 a[0:3], v[34:35], v[6:7], a[0:3] cbsz:4 abid:6
	v_perm_b32 v13, v9, v8, s8
	v_cvt_pk_f32_fp8_e32 v[6:7], v10
	v_cvt_pk_f32_fp8_sdwa v[8:9], v10 src0_sel:WORD_1
	v_mfma_f32_4x4x4_16b_bf16 a[0:3], v[36:37], v[12:13], a[0:3] cbsz:4 abid:6
	global_load_dwordx4 v[10:13], v[52:53], off offset:1024
	v_perm_b32 v6, v7, v6, s8
	v_perm_b32 v7, v9, v8, s8
	;; [unrolled: 1-line block ×4, first 2 shown]
	v_mfma_f32_4x4x4_16b_bf16 a[0:3], v[34:35], v[6:7], a[0:3] cbsz:4 abid:7
	s_waitcnt vmcnt(7)
	v_cvt_pk_f32_fp8_e32 v[6:7], v22
	v_cvt_pk_f32_fp8_e32 v[16:17], v23
	v_mfma_f32_4x4x4_16b_bf16 a[0:3], v[36:37], v[8:9], a[0:3] cbsz:4 abid:7
	v_cvt_pk_f32_fp8_sdwa v[8:9], v22 src0_sel:WORD_1
	v_cvt_pk_f32_fp8_sdwa v[22:23], v23 src0_sel:WORD_1
	v_perm_b32 v6, v7, v6, s8
	v_cvt_pk_f32_fp8_sdwa v[52:53], v25 src0_sel:WORD_1
	v_perm_b32 v7, v9, v8, s8
	v_perm_b32 v8, v17, v16, s8
	;; [unrolled: 1-line block ×3, first 2 shown]
	v_mfma_f32_4x4x4_16b_bf16 a[0:3], v[34:35], v[6:7], a[0:3] cbsz:4 abid:8
	v_cvt_pk_f32_fp8_e32 v[6:7], v24
	v_cvt_pk_f32_fp8_e32 v[16:17], v25
	v_mfma_f32_4x4x4_16b_bf16 a[0:3], v[36:37], v[8:9], a[0:3] cbsz:4 abid:8
	v_cvt_pk_f32_fp8_sdwa v[8:9], v24 src0_sel:WORD_1
	v_perm_b32 v6, v7, v6, s8
	global_load_dwordx4 v[22:25], v[50:51], off
	v_perm_b32 v7, v9, v8, s8
	v_perm_b32 v8, v17, v16, s8
	s_nop 0
	v_mfma_f32_4x4x4_16b_bf16 a[0:3], v[34:35], v[6:7], a[0:3] cbsz:4 abid:9
	v_perm_b32 v9, v53, v52, s8
	s_waitcnt vmcnt(7)
	v_cvt_pk_f32_fp8_e32 v[6:7], v30
	v_cvt_pk_f32_fp8_e32 v[16:17], v31
	v_mfma_f32_4x4x4_16b_bf16 a[0:3], v[36:37], v[8:9], a[0:3] cbsz:4 abid:9
	v_cvt_pk_f32_fp8_sdwa v[8:9], v30 src0_sel:WORD_1
	v_cvt_pk_f32_fp8_sdwa v[52:53], v31 src0_sel:WORD_1
	v_perm_b32 v30, v7, v6, s8
	v_perm_b32 v16, v17, v16, s8
	;; [unrolled: 1-line block ×3, first 2 shown]
	global_load_dwordx4 v[6:9], v[50:51], off offset:1024
	v_perm_b32 v17, v53, v52, s8
	v_mfma_f32_4x4x4_16b_bf16 a[0:3], v[34:35], v[30:31], a[0:3] cbsz:4 abid:10
	v_cvt_pk_f32_fp8_sdwa v[30:31], v32 src0_sel:WORD_1
	v_cvt_pk_f32_fp8_e32 v[50:51], v33
	v_mfma_f32_4x4x4_16b_bf16 a[0:3], v[36:37], v[16:17], a[0:3] cbsz:4 abid:10
	v_cvt_pk_f32_fp8_e32 v[16:17], v32
	v_cvt_pk_f32_fp8_sdwa v[32:33], v33 src0_sel:WORD_1
	s_waitcnt vmcnt(7)
	v_cvt_pk_f32_fp8_e32 v[52:53], v45
	v_perm_b32 v16, v17, v16, s8
	v_perm_b32 v17, v31, v30, s8
	;; [unrolled: 1-line block ×4, first 2 shown]
	v_mfma_f32_4x4x4_16b_bf16 a[0:3], v[34:35], v[16:17], a[0:3] cbsz:4 abid:11
	v_cvt_pk_f32_fp8_e32 v[16:17], v42
	v_cvt_pk_f32_fp8_e32 v[50:51], v43
	v_mfma_f32_4x4x4_16b_bf16 a[0:3], v[36:37], v[30:31], a[0:3] cbsz:4 abid:11
	v_cvt_pk_f32_fp8_sdwa v[30:31], v42 src0_sel:WORD_1
	v_perm_b32 v16, v17, v16, s8
	v_cvt_pk_f32_fp8_sdwa v[42:43], v43 src0_sel:WORD_1
	v_perm_b32 v50, v51, v50, s8
	v_perm_b32 v17, v31, v30, s8
	global_load_dwordx4 v[30:33], v[14:15], off
	v_perm_b32 v51, v43, v42, s8
	v_mfma_f32_4x4x4_16b_bf16 a[0:3], v[34:35], v[16:17], a[0:3] cbsz:4 abid:12
	global_load_dwordx4 v[14:17], v[14:15], off offset:1024
	v_cvt_pk_f32_fp8_e32 v[42:43], v44
	v_mfma_f32_4x4x4_16b_bf16 a[0:3], v[36:37], v[50:51], a[0:3] cbsz:4 abid:12
	v_cvt_pk_f32_fp8_sdwa v[50:51], v44 src0_sel:WORD_1
	v_cvt_pk_f32_fp8_sdwa v[44:45], v45 src0_sel:WORD_1
	v_perm_b32 v42, v43, v42, s8
	v_perm_b32 v43, v51, v50, s8
	;; [unrolled: 1-line block ×3, first 2 shown]
	s_nop 0
	v_mfma_f32_4x4x4_16b_bf16 a[0:3], v[34:35], v[42:43], a[0:3] cbsz:4 abid:13
	s_waitcnt vmcnt(8)
	v_cvt_pk_f32_fp8_e32 v[42:43], v46
	v_cvt_pk_f32_fp8_sdwa v[44:45], v46 src0_sel:WORD_1
	v_perm_b32 v50, v53, v52, s8
	v_perm_b32 v42, v43, v42, s8
	s_nop 0
	v_mfma_f32_4x4x4_16b_bf16 a[0:3], v[36:37], v[50:51], a[0:3] cbsz:4 abid:13
	v_cvt_pk_f32_fp8_e32 v[50:51], v47
	v_cvt_pk_f32_fp8_sdwa v[46:47], v47 src0_sel:WORD_1
	v_perm_b32 v43, v45, v44, s8
	v_perm_b32 v44, v51, v50, s8
	s_nop 0
	v_mfma_f32_4x4x4_16b_bf16 a[0:3], v[34:35], v[42:43], a[0:3] cbsz:4 abid:14
	v_perm_b32 v45, v47, v46, s8
	v_cvt_pk_f32_fp8_e32 v[42:43], v48
	v_cvt_pk_f32_fp8_e32 v[46:47], v49
	v_mfma_f32_4x4x4_16b_bf16 a[0:3], v[36:37], v[44:45], a[0:3] cbsz:4 abid:14
	v_cvt_pk_f32_fp8_sdwa v[44:45], v48 src0_sel:WORD_1
	v_cvt_pk_f32_fp8_sdwa v[48:49], v49 src0_sel:WORD_1
	v_perm_b32 v42, v43, v42, s8
	v_perm_b32 v43, v45, v44, s8
	;; [unrolled: 1-line block ×3, first 2 shown]
	s_nop 0
	v_mfma_f32_4x4x4_16b_bf16 a[0:3], v[34:35], v[42:43], a[0:3] cbsz:4 abid:15
	v_perm_b32 v45, v49, v48, s8
	s_waitcnt lgkmcnt(0)
	v_mov_b32_e32 v34, s0
	v_mfma_f32_4x4x4_16b_bf16 a[0:3], v[36:37], v[44:45], a[0:3] cbsz:4 abid:15
	v_mul_f32_e32 v36, s1, v34
	s_nop 3
	v_accvgpr_read_b32 v43, a1
	v_accvgpr_read_b32 v42, a0
	v_pk_mul_f32 v[42:43], v[42:43], v[36:37] op_sel_hi:[1,0]
	v_accvgpr_read_b32 v35, a3
	v_accvgpr_read_b32 v34, a2
	v_pk_mul_f32 v[34:35], v[34:35], v[36:37] op_sel_hi:[1,0]
	v_cndmask_b32_e64 v36, 0, 1.0, vcc
	v_cmp_eq_u32_e32 vcc, 1, v39
	s_nop 0
	v_mfma_f32_4x4x1_16b_f32 a[0:3], v42, v36, 0
	v_cndmask_b32_e64 v36, 0, 1.0, vcc
	v_cmp_eq_u32_e32 vcc, 2, v39
	s_nop 0
	v_mfma_f32_4x4x1_16b_f32 a[0:3], v43, v36, a[0:3]
	;; [unrolled: 4-line block ×3, first 2 shown]
	v_cndmask_b32_e64 v34, 0, 1.0, vcc
	s_nop 1
	v_mfma_f32_4x4x1_16b_f32 a[0:3], v35, v34, a[0:3]
	v_and_b32_e32 v34, -4, v40
	v_cmp_gt_i32_e32 vcc, s3, v34
	v_lshlrev_b32_e32 v35, 2, v0
	v_and_or_b32 v35, v35, 48, v39
	v_accvgpr_read_b32 v36, a0
	v_max_f32_e32 v37, v36, v36
	v_max_f32_e32 v37, 0xff7fffff, v37
	v_accvgpr_read_b32 v42, a1
	v_cndmask_b32_e32 v37, v41, v37, vcc
	v_or_b32_e32 v41, 1, v34
	v_max_f32_e32 v43, v42, v42
	v_max_f32_e32 v43, v37, v43
	v_cmp_gt_i32_e64 s[0:1], s3, v41
	v_or_b32_e32 v34, 2, v34
	v_cmp_gt_i32_e64 s[8:9], s3, v34
	v_cndmask_b32_e64 v37, v37, v43, s[0:1]
	v_accvgpr_read_b32 v43, a2
	v_max_f32_e32 v41, v43, v43
	v_max_f32_e32 v41, v37, v41
	v_cndmask_b32_e64 v34, v37, v41, s[8:9]
	v_or_b32_e32 v37, 3, v40
	v_accvgpr_read_b32 v40, a3
	v_max_f32_e32 v41, v40, v40
	v_max_f32_e32 v41, v34, v41
	v_cmp_gt_i32_e64 s[10:11], s3, v37
	v_lshlrev_b32_e32 v44, 2, v35
	s_nop 0
	v_cndmask_b32_e64 v34, v34, v41, s[10:11]
	;;#ASMSTART
	v_nop
 v_nop
 v_max_f32_dpp v34, v34, v34 row_ror:4
	;;#ASMEND
	s_nop 0
	;;#ASMSTART
	v_nop
 v_nop
 v_max_f32_dpp v34, v34, v34 row_ror:8
	;;#ASMEND
	ds_bpermute_b32 v34, v44, v34
	s_waitcnt lgkmcnt(0)
	;;#ASMSTART
	v_nop
 v_nop
 v_max_f32_dpp v34, v34, v34 row_ror:4
	;;#ASMEND
	s_nop 0
	;;#ASMSTART
	v_nop
 v_nop
 v_max_f32_dpp v41, v34, v34 row_ror:8
	;;#ASMEND
	s_nop 0
	v_sub_f32_e32 v34, v36, v41
	v_mul_f32_e32 v34, 0x3fb8aa3b, v34
	v_sub_f32_e32 v35, v42, v41
	v_exp_f32_e32 v34, v34
	v_mul_f32_e32 v35, 0x3fb8aa3b, v35
	v_sub_f32_e32 v37, v43, v41
	v_exp_f32_e32 v35, v35
	;; [unrolled: 3-line block ×3, first 2 shown]
	v_mul_f32_e32 v40, 0x3fb8aa3b, v40
	v_exp_f32_e32 v40, v40
	v_cndmask_b32_e32 v34, 0, v34, vcc
	v_add_f32_e32 v36, 0, v34
	v_cndmask_b32_e64 v35, 0, v35, s[0:1]
	v_add_f32_e32 v42, v36, v35
	v_cndmask_b32_e64 v36, 0, v37, s[8:9]
	;; [unrolled: 2-line block ×3, first 2 shown]
	v_add_f32_e32 v40, v42, v37
	;;#ASMSTART
	v_nop
 v_nop
 v_add_f32_dpp v40, v40, v40 row_ror:4
	;;#ASMEND
	v_cmp_gt_u32_e32 vcc, 4, v1
	;;#ASMSTART
	v_nop
 v_nop
 v_add_f32_dpp v40, v40, v40 row_ror:8
	;;#ASMEND
	ds_bpermute_b32 v40, v44, v40
	s_waitcnt lgkmcnt(0)
	;;#ASMSTART
	v_nop
 v_nop
 v_add_f32_dpp v40, v40, v40 row_ror:4
	;;#ASMEND
	s_nop 0
	;;#ASMSTART
	v_nop
 v_nop
 v_add_f32_dpp v40, v40, v40 row_ror:8
	;;#ASMEND
	s_and_saveexec_b64 s[0:1], vcc
	s_cbranch_execz .LBB1269_16
; %bb.15:
	v_mul_u32_u24_e32 v42, 20, v38
	v_lshl_add_u32 v42, v39, 2, v42
	v_add_u32_e32 v42, 0x1400, v42
	ds_write2_b32 v42, v41, v40 offset1:20
.LBB1269_16:
	s_or_b64 exec, exec, s[0:1]
.LBB1269_17:
	s_or_b64 exec, exec, s[30:31]
	s_waitcnt lgkmcnt(0)
	s_barrier
	s_load_dword s0, s[28:29], 0x8
	v_lshlrev_b32_e32 v40, 2, v39
	v_add_u32_e32 v40, 0x1400, v40
	ds_read2_b32 v[44:45], v40 offset1:5
	ds_read2_b32 v[46:47], v40 offset0:10 offset1:15
	s_mul_i32 s1, s2, s5
	s_waitcnt lgkmcnt(0)
	s_mul_i32 s1, s1, s0
	s_lshl_b32 s0, s1, 1
	s_mov_b32 s1, 0xff7fffff
	v_max3_f32 v42, v44, s1, v45
	v_max3_f32 v42, v42, v46, v47
	v_sub_f32_e32 v43, v44, v42
	v_sub_f32_e32 v44, v45, v42
	ds_read2_b32 v[48:49], v40 offset0:20 offset1:25
	v_mul_f32_e32 v43, 0x3fb8aa3b, v43
	v_mul_f32_e32 v44, 0x3fb8aa3b, v44
	v_exp_f32_e32 v43, v43
	v_exp_f32_e32 v50, v44
	ds_read2_b32 v[44:45], v40 offset0:30 offset1:35
	v_sub_f32_e32 v40, v46, v42
	v_mul_f32_e32 v40, 0x3fb8aa3b, v40
	v_sub_f32_e32 v46, v47, v42
	v_exp_f32_e32 v40, v40
	v_mul_f32_e32 v46, 0x3fb8aa3b, v46
	v_exp_f32_e32 v46, v46
	s_waitcnt lgkmcnt(1)
	v_fma_f32 v43, v43, v48, 0
	v_fmac_f32_e32 v43, v50, v49
	s_waitcnt lgkmcnt(0)
	v_fmac_f32_e32 v43, v40, v44
	s_lshl_b32 s8, s4, 1
	v_fmac_f32_e32 v43, v46, v45
	v_cmp_gt_u32_e32 vcc, 2, v39
	s_and_saveexec_b64 s[2:3], vcc
	s_cbranch_execz .LBB1269_19
; %bb.18:
	s_mov_b32 s1, 0
	s_lshl_b64 s[10:11], s[0:1], 2
	s_add_u32 s4, s16, s10
	s_mov_b32 s25, s1
	s_addc_u32 s9, s17, s11
	s_lshl_b64 s[12:13], s[24:25], 2
	s_add_u32 s16, s4, s12
	s_addc_u32 s17, s9, s13
	s_add_u32 s1, s18, s10
	s_addc_u32 s4, s19, s11
	v_or_b32_e32 v39, s8, v39
	s_add_u32 s10, s1, s12
	v_mul_lo_u32 v44, s5, v39
	v_mov_b32_e32 v45, 0
	s_addc_u32 s11, s4, s13
	v_lshlrev_b64 v[44:45], 2, v[44:45]
	v_lshl_add_u64 v[46:47], s[16:17], 0, v[44:45]
	v_lshl_add_u64 v[44:45], s[10:11], 0, v[44:45]
	global_store_dword v[44:45], v42, off
	global_store_dword v[46:47], v43, off
.LBB1269_19:
	s_or_b64 exec, exec, s[2:3]
	v_lshlrev_b32_e32 v40, 3, v38
                                        ; implicit-def: $sgpr1
	s_and_saveexec_b64 s[2:3], s[6:7]
	s_xor_b64 s[2:3], exec, s[2:3]
	s_cbranch_execz .LBB1269_21
; %bb.20:
	s_waitcnt vmcnt(6)
	v_mov_b32_e32 v2, 0
	v_mad_u32_u24 v4, v1, 40, v40
	s_mov_b32 s1, 0
	v_mov_b32_e32 v3, v2
	ds_write_b64 v4, v[2:3]
                                        ; implicit-def: $vgpr37
                                        ; implicit-def: $vgpr35
                                        ; implicit-def: $vgpr41
                                        ; implicit-def: $vgpr26_vgpr27
                                        ; implicit-def: $vgpr18_vgpr19
                                        ; implicit-def: $vgpr22_vgpr23
                                        ; implicit-def: $vgpr30_vgpr31
                                        ; implicit-def: $vgpr10_vgpr11
                                        ; implicit-def: $vgpr2_vgpr3
                                        ; implicit-def: $vgpr6_vgpr7
                                        ; implicit-def: $vgpr14_vgpr15
                                        ; implicit-def: $vgpr42
                                        ; implicit-def: $vgpr43
.LBB1269_21:
	s_or_saveexec_b64 s[2:3], s[2:3]
	v_mov_b32_e32 v38, s1
	v_mov_b32_e32 v39, s1
	s_xor_b64 exec, exec, s[2:3]
	s_cbranch_execz .LBB1269_23
; %bb.22:
	v_add_f32_e32 v38, 0x358637bd, v43
	v_div_scale_f32 v39, s[6:7], v38, v38, 1.0
	v_rcp_f32_e32 v43, v39
	v_sub_f32_e32 v41, v41, v42
	v_mul_f32_e32 v41, 0x3fb8aa3b, v41
	v_exp_f32_e32 v41, v41
	v_fma_f32 v42, -v39, v43, 1.0
	v_fmac_f32_e32 v43, v42, v43
	v_div_scale_f32 v42, vcc, 1.0, v38, 1.0
	v_mul_f32_e32 v44, v42, v43
	v_fma_f32 v45, -v39, v44, v42
	v_fmac_f32_e32 v44, v45, v43
	v_fma_f32 v39, -v39, v44, v42
	v_div_fmas_f32 v39, v39, v43, v44
	v_div_fixup_f32 v38, v39, v38, 1.0
	v_mul_f32_e32 v38, v41, v38
	v_pk_mul_f32 v[34:35], v[34:35], v[38:39] op_sel_hi:[1,0]
	v_pk_mul_f32 v[36:37], v[36:37], v[38:39] op_sel_hi:[1,0]
	v_bfe_u32 v38, v35, 16, 1
	v_bfe_u32 v39, v34, 16, 1
	s_movk_i32 s1, 0x7fff
	v_add3_u32 v34, v34, v39, s1
	v_add3_u32 v35, v35, v38, s1
	s_mov_b32 s6, 0x7060302
	v_perm_b32 v34, v35, v34, s6
	v_bfe_u32 v35, v37, 16, 1
	v_bfe_u32 v38, v36, 16, 1
	v_add3_u32 v36, v36, v38, s1
	v_add3_u32 v35, v37, v35, s1
	v_perm_b32 v35, v35, v36, s6
	s_waitcnt vmcnt(5)
	v_cvt_pk_f32_fp8_e32 v[36:37], v26
	v_cvt_pk_f32_fp8_sdwa v[38:39], v26 src0_sel:WORD_1
	v_cvt_pk_f32_fp8_e32 v[42:43], v27
	v_cvt_pk_f32_fp8_sdwa v[26:27], v27 src0_sel:WORD_1
	v_perm_b32 v36, v37, v36, s6
	v_perm_b32 v37, v39, v38, s6
	v_perm_b32 v38, v43, v42, s6
	v_perm_b32 v39, v27, v26, s6
	v_mfma_f32_4x4x4_16b_bf16 a[0:3], v[34:35], v[36:37], 0 cbsz:4
	v_cvt_pk_f32_fp8_e32 v[26:27], v28
	v_cvt_pk_f32_fp8_sdwa v[36:37], v28 src0_sel:WORD_1
	v_mfma_f32_4x4x4_16b_bf16 a[0:3], v[34:35], v[38:39], a[0:3] cbsz:4 abid:1
	v_cvt_pk_f32_fp8_e32 v[38:39], v29
	v_cvt_pk_f32_fp8_sdwa v[28:29], v29 src0_sel:WORD_1
	v_perm_b32 v26, v27, v26, s6
	v_perm_b32 v27, v37, v36, s6
	v_perm_b32 v36, v39, v38, s6
	v_perm_b32 v37, v29, v28, s6
	v_mfma_f32_4x4x4_16b_bf16 a[0:3], v[34:35], v[26:27], a[0:3] cbsz:4 abid:2
	v_cvt_pk_f32_fp8_e32 v[26:27], v18
	v_cvt_pk_f32_fp8_sdwa v[28:29], v18 src0_sel:WORD_1
	v_mfma_f32_4x4x4_16b_bf16 a[0:3], v[34:35], v[36:37], a[0:3] cbsz:4 abid:3
	v_cvt_pk_f32_fp8_e32 v[36:37], v19
	v_cvt_pk_f32_fp8_sdwa v[18:19], v19 src0_sel:WORD_1
	v_perm_b32 v26, v27, v26, s6
	v_perm_b32 v27, v29, v28, s6
	v_perm_b32 v28, v37, v36, s6
	v_perm_b32 v29, v19, v18, s6
	v_mfma_f32_4x4x4_16b_bf16 a[0:3], v[34:35], v[26:27], a[0:3] cbsz:4 abid:4
	;; [unrolled: 10-line block ×3, first 2 shown]
	s_waitcnt vmcnt(3)
	v_cvt_pk_f32_fp8_e32 v[18:19], v22
	v_cvt_pk_f32_fp8_sdwa v[20:21], v22 src0_sel:WORD_1
	v_mfma_f32_4x4x4_16b_bf16 a[0:3], v[34:35], v[26:27], a[0:3] cbsz:4 abid:7
	v_cvt_pk_f32_fp8_e32 v[26:27], v23
	v_cvt_pk_f32_fp8_sdwa v[22:23], v23 src0_sel:WORD_1
	v_perm_b32 v18, v19, v18, s6
	v_perm_b32 v19, v21, v20, s6
	;; [unrolled: 1-line block ×4, first 2 shown]
	v_mfma_f32_4x4x4_16b_bf16 a[0:3], v[34:35], v[18:19], a[0:3] cbsz:4 abid:8
	v_cvt_pk_f32_fp8_e32 v[18:19], v24
	v_cvt_pk_f32_fp8_e32 v[22:23], v25
	v_mfma_f32_4x4x4_16b_bf16 a[0:3], v[34:35], v[20:21], a[0:3] cbsz:4 abid:9
	v_cvt_pk_f32_fp8_sdwa v[20:21], v24 src0_sel:WORD_1
	v_cvt_pk_f32_fp8_sdwa v[24:25], v25 src0_sel:WORD_1
	v_perm_b32 v18, v19, v18, s6
	s_load_dword s4, s[14:15], 0x0
	v_perm_b32 v19, v21, v20, s6
	v_perm_b32 v20, v23, v22, s6
	;; [unrolled: 1-line block ×3, first 2 shown]
	v_mfma_f32_4x4x4_16b_bf16 a[0:3], v[34:35], v[18:19], a[0:3] cbsz:4 abid:10
	s_waitcnt vmcnt(1)
	v_cvt_pk_f32_fp8_e32 v[18:19], v30
	v_cvt_pk_f32_fp8_e32 v[22:23], v31
	v_mfma_f32_4x4x4_16b_bf16 a[0:3], v[34:35], v[20:21], a[0:3] cbsz:4 abid:11
	v_cvt_pk_f32_fp8_sdwa v[20:21], v30 src0_sel:WORD_1
	v_cvt_pk_f32_fp8_sdwa v[24:25], v31 src0_sel:WORD_1
	v_perm_b32 v18, v19, v18, s6
	v_perm_b32 v19, v21, v20, s6
	;; [unrolled: 1-line block ×3, first 2 shown]
	s_nop 0
	v_mfma_f32_4x4x4_16b_bf16 a[0:3], v[34:35], v[18:19], a[0:3] cbsz:4 abid:12
	v_perm_b32 v21, v25, v24, s6
	v_cvt_pk_f32_fp8_e32 v[18:19], v32
	v_cvt_pk_f32_fp8_e32 v[22:23], v33
	v_mfma_f32_4x4x4_16b_bf16 a[0:3], v[34:35], v[20:21], a[0:3] cbsz:4 abid:13
	v_cvt_pk_f32_fp8_sdwa v[20:21], v32 src0_sel:WORD_1
	v_cvt_pk_f32_fp8_sdwa v[24:25], v33 src0_sel:WORD_1
	v_perm_b32 v18, v19, v18, s6
	v_perm_b32 v19, v21, v20, s6
	;; [unrolled: 1-line block ×3, first 2 shown]
	s_nop 0
	v_mfma_f32_4x4x4_16b_bf16 a[0:3], v[34:35], v[18:19], a[0:3] cbsz:4 abid:14
	v_perm_b32 v21, v25, v24, s6
	s_nop 1
	v_mfma_f32_4x4x4_16b_bf16 a[0:3], v[34:35], v[20:21], a[0:3] cbsz:4 abid:15
	s_nop 4
	v_accvgpr_read_b32 v21, a1
	v_accvgpr_read_b32 v20, a0
	s_waitcnt lgkmcnt(0)
	v_pk_mul_f32 v[20:21], v[20:21], s[4:5] op_sel_hi:[1,0]
	v_accvgpr_read_b32 v19, a3
	v_accvgpr_read_b32 v18, a2
	v_bfe_u32 v22, v21, 16, 1
	v_bfe_u32 v23, v20, 16, 1
	v_pk_mul_f32 v[18:19], v[18:19], s[4:5] op_sel_hi:[1,0]
	v_add3_u32 v20, v20, v23, s1
	v_add3_u32 v21, v21, v22, s1
	v_perm_b32 v20, v21, v20, s6
	v_bfe_u32 v21, v19, 16, 1
	v_bfe_u32 v22, v18, 16, 1
	v_add3_u32 v18, v18, v22, s1
	v_add3_u32 v19, v19, v21, s1
	v_perm_b32 v21, v19, v18, s6
	v_mad_u32_u24 v18, v1, 40, v40
	ds_write_b64 v18, v[20:21]
	v_cvt_pk_f32_fp8_e32 v[18:19], v10
	v_cvt_pk_f32_fp8_sdwa v[20:21], v10 src0_sel:WORD_1
	v_cvt_pk_f32_fp8_e32 v[22:23], v11
	v_cvt_pk_f32_fp8_sdwa v[10:11], v11 src0_sel:WORD_1
	v_perm_b32 v18, v19, v18, s6
	v_perm_b32 v19, v21, v20, s6
	;; [unrolled: 1-line block ×4, first 2 shown]
	v_mfma_f32_4x4x4_16b_bf16 a[0:3], v[34:35], v[18:19], 0 cbsz:4
	v_cvt_pk_f32_fp8_e32 v[10:11], v12
	v_cvt_pk_f32_fp8_sdwa v[18:19], v12 src0_sel:WORD_1
	v_mfma_f32_4x4x4_16b_bf16 a[0:3], v[34:35], v[20:21], a[0:3] cbsz:4 abid:1
	v_cvt_pk_f32_fp8_e32 v[20:21], v13
	v_cvt_pk_f32_fp8_sdwa v[12:13], v13 src0_sel:WORD_1
	v_perm_b32 v10, v11, v10, s6
	v_perm_b32 v11, v19, v18, s6
	v_perm_b32 v18, v21, v20, s6
	v_perm_b32 v19, v13, v12, s6
	v_mfma_f32_4x4x4_16b_bf16 a[0:3], v[34:35], v[10:11], a[0:3] cbsz:4 abid:2
	v_cvt_pk_f32_fp8_e32 v[10:11], v2
	v_cvt_pk_f32_fp8_sdwa v[12:13], v2 src0_sel:WORD_1
	v_mfma_f32_4x4x4_16b_bf16 a[0:3], v[34:35], v[18:19], a[0:3] cbsz:4 abid:3
	v_cvt_pk_f32_fp8_e32 v[18:19], v3
	v_cvt_pk_f32_fp8_sdwa v[2:3], v3 src0_sel:WORD_1
	v_perm_b32 v10, v11, v10, s6
	v_perm_b32 v11, v13, v12, s6
	v_perm_b32 v12, v19, v18, s6
	v_perm_b32 v13, v3, v2, s6
	v_mfma_f32_4x4x4_16b_bf16 a[0:3], v[34:35], v[10:11], a[0:3] cbsz:4 abid:4
	;; [unrolled: 10-line block ×4, first 2 shown]
	v_cvt_pk_f32_fp8_e32 v[2:3], v8
	v_cvt_pk_f32_fp8_e32 v[6:7], v9
	v_mfma_f32_4x4x4_16b_bf16 a[0:3], v[34:35], v[4:5], a[0:3] cbsz:4 abid:9
	v_cvt_pk_f32_fp8_sdwa v[4:5], v8 src0_sel:WORD_1
	v_cvt_pk_f32_fp8_sdwa v[8:9], v9 src0_sel:WORD_1
	v_perm_b32 v2, v3, v2, s6
	v_perm_b32 v3, v5, v4, s6
	;; [unrolled: 1-line block ×3, first 2 shown]
	s_nop 0
	v_mfma_f32_4x4x4_16b_bf16 a[0:3], v[34:35], v[2:3], a[0:3] cbsz:4 abid:10
	v_perm_b32 v5, v9, v8, s6
	s_waitcnt vmcnt(0)
	v_cvt_pk_f32_fp8_e32 v[2:3], v14
	v_cvt_pk_f32_fp8_e32 v[6:7], v15
	v_mfma_f32_4x4x4_16b_bf16 a[0:3], v[34:35], v[4:5], a[0:3] cbsz:4 abid:11
	v_cvt_pk_f32_fp8_sdwa v[4:5], v14 src0_sel:WORD_1
	v_cvt_pk_f32_fp8_sdwa v[8:9], v15 src0_sel:WORD_1
	v_perm_b32 v2, v3, v2, s6
	v_perm_b32 v3, v5, v4, s6
	;; [unrolled: 1-line block ×3, first 2 shown]
	s_nop 0
	v_mfma_f32_4x4x4_16b_bf16 a[0:3], v[34:35], v[2:3], a[0:3] cbsz:4 abid:12
	v_perm_b32 v5, v9, v8, s6
	v_cvt_pk_f32_fp8_e32 v[2:3], v16
	v_cvt_pk_f32_fp8_e32 v[6:7], v17
	v_mfma_f32_4x4x4_16b_bf16 a[0:3], v[34:35], v[4:5], a[0:3] cbsz:4 abid:13
	v_cvt_pk_f32_fp8_sdwa v[4:5], v16 src0_sel:WORD_1
	v_cvt_pk_f32_fp8_sdwa v[8:9], v17 src0_sel:WORD_1
	v_perm_b32 v2, v3, v2, s6
	v_perm_b32 v3, v5, v4, s6
	;; [unrolled: 1-line block ×3, first 2 shown]
	s_nop 0
	v_mfma_f32_4x4x4_16b_bf16 a[0:3], v[34:35], v[2:3], a[0:3] cbsz:4 abid:14
	v_perm_b32 v5, v9, v8, s6
	s_nop 1
	v_mfma_f32_4x4x4_16b_bf16 a[0:3], v[34:35], v[4:5], a[0:3] cbsz:4 abid:15
	s_nop 4
	v_accvgpr_read_b32 v5, a1
	v_accvgpr_read_b32 v4, a0
	;; [unrolled: 1-line block ×4, first 2 shown]
	v_pk_mul_f32 v[4:5], v[4:5], s[4:5] op_sel_hi:[1,0]
	v_pk_mul_f32 v[2:3], v[2:3], s[4:5] op_sel_hi:[1,0]
	v_bfe_u32 v6, v5, 16, 1
	v_bfe_u32 v7, v4, 16, 1
	v_add3_u32 v4, v4, v7, s1
	v_add3_u32 v5, v5, v6, s1
	v_bfe_u32 v6, v3, 16, 1
	v_bfe_u32 v7, v2, 16, 1
	v_add3_u32 v2, v2, v7, s1
	v_add3_u32 v3, v3, v6, s1
	v_perm_b32 v39, v3, v2, s6
	v_perm_b32 v38, v5, v4, s6
.LBB1269_23:
	s_or_b64 exec, exec, s[2:3]
	s_waitcnt vmcnt(6)
	v_mad_u32_u24 v2, v1, 40, v40
	v_cmp_gt_u32_e32 vcc, 64, v0
	ds_write_b64 v2, v[38:39] offset:2560
	s_waitcnt lgkmcnt(0)
	s_barrier
	s_and_saveexec_b64 s[2:3], vcc
	s_cbranch_execz .LBB1269_25
; %bb.24:
	s_waitcnt vmcnt(2)
	v_mul_u32_u24_e32 v6, 40, v1
	ds_read2_b64 v[2:5], v6 offset1:1
	ds_read2_b64 v[6:9], v6 offset0:2 offset1:3
	s_mov_b32 s1, 0
	s_lshl_b32 s0, s0, 7
	s_lshl_b64 s[2:3], s[0:1], 1
	s_waitcnt lgkmcnt(1)
	v_and_b32_e32 v3, 0xffff0000, v2
	v_add_f32_e32 v3, 0, v3
	v_and_b32_e32 v5, 0xffff0000, v4
	v_and_b32_e32 v3, 0xffff0000, v3
	v_add_f32_e32 v3, v3, v5
	s_waitcnt lgkmcnt(0)
	v_and_b32_e32 v7, 0xffff0000, v6
	v_and_b32_e32 v3, 0xffff0000, v3
	v_add_f32_e32 v3, v3, v7
	v_mov_b32_e32 v7, 0xa00
	v_mad_u32_u24 v7, v1, 40, v7
	ds_read2_b64 v[10:13], v7 offset1:1
	v_and_b32_e32 v3, 0xffff0000, v3
	v_and_b32_e32 v5, 0xffff0000, v8
	v_add_f32_e32 v7, v3, v5
	v_mov_b32_e32 v3, 0xa10
	v_mad_u32_u24 v1, v1, 40, v3
	s_waitcnt vmcnt(0)
	ds_read2_b64 v[14:17], v1 offset1:1
	s_waitcnt lgkmcnt(1)
	v_lshlrev_b32_e32 v1, 16, v10
	v_add_f32_e32 v1, 0, v1
	v_and_b32_e32 v3, 0xffff0000, v10
	v_and_b32_e32 v1, 0xffff0000, v1
	v_add_f32_e32 v3, 0, v3
	v_lshlrev_b32_e32 v5, 16, v12
	v_and_b32_e32 v3, 0xffff0000, v3
	v_add_f32_e32 v1, v1, v5
	v_and_b32_e32 v5, 0xffff0000, v12
	v_and_b32_e32 v1, 0xffff0000, v1
	v_add_f32_e32 v3, v3, v5
	s_waitcnt lgkmcnt(0)
	v_lshlrev_b32_e32 v5, 16, v14
	v_and_b32_e32 v3, 0xffff0000, v3
	v_add_f32_e32 v1, v1, v5
	v_and_b32_e32 v5, 0xffff0000, v14
	v_and_b32_e32 v1, 0xffff0000, v1
	v_add_f32_e32 v3, v3, v5
	v_lshlrev_b32_e32 v5, 16, v16
	v_and_b32_e32 v3, 0xffff0000, v3
	v_add_f32_e32 v9, v1, v5
	v_and_b32_e32 v1, 0xffff0000, v16
	v_add_f32_e32 v10, v3, v1
	v_lshlrev_b32_e32 v1, 16, v2
	s_add_u32 s2, s26, s2
	v_add_f32_e32 v1, 0, v1
	s_addc_u32 s3, s27, s3
	s_lshl_b32 s0, s24, 7
	v_and_b32_e32 v1, 0xffff0000, v1
	v_lshlrev_b32_e32 v2, 16, v4
	s_lshl_b64 s[0:1], s[0:1], 1
	v_add_f32_e32 v1, v1, v2
	s_add_u32 s0, s2, s0
	v_and_b32_e32 v1, 0xffff0000, v1
	v_lshlrev_b32_e32 v2, 16, v6
	s_addc_u32 s1, s3, s1
	s_lshl_b32 s2, s5, 7
	v_add_f32_e32 v1, v1, v2
	v_and_b32_e32 v1, 0xffff0000, v1
	v_lshlrev_b32_e32 v2, 16, v8
	s_mul_i32 s3, s2, s8
	v_add_f32_e32 v1, v1, v2
	v_or_b32_e32 v2, s3, v0
	v_mov_b32_e32 v3, 0
	s_add_i32 s3, s3, s2
	v_lshl_add_u64 v[4:5], v[2:3], 1, s[0:1]
	v_or_b32_e32 v2, s3, v0
	global_store_short_d16_hi v[4:5], v1, off
	v_lshl_add_u64 v[0:1], v[2:3], 1, s[0:1]
	global_store_short_d16_hi v[0:1], v7, off
	global_store_short_d16_hi v[4:5], v9, off offset:128
	global_store_short_d16_hi v[0:1], v10, off offset:128
.LBB1269_25:
	s_endpgm
	.section	.rodata,"a",@progbits
	.p2align	6, 0x0
	.amdhsa_kernel _Z38paged_attention_ll4mi_QKV_mfma4_kernelI14__hip_bfloat16hLN4vllm18Fp8KVCacheDataTypeE1EhLi16ELi128ELi256ELb0ELi2EEvPKT_PKT0_S8_ifPKiSA_SA_iPKfiiiPfSD_PS3_PT2_iSC_SC_
		.amdhsa_group_segment_fixed_size 5280
		.amdhsa_private_segment_fixed_size 0
		.amdhsa_kernarg_size 400
		.amdhsa_user_sgpr_count 2
		.amdhsa_user_sgpr_dispatch_ptr 0
		.amdhsa_user_sgpr_queue_ptr 0
		.amdhsa_user_sgpr_kernarg_segment_ptr 1
		.amdhsa_user_sgpr_dispatch_id 0
		.amdhsa_user_sgpr_kernarg_preload_length 0
		.amdhsa_user_sgpr_kernarg_preload_offset 0
		.amdhsa_user_sgpr_private_segment_size 0
		.amdhsa_uses_dynamic_stack 0
		.amdhsa_enable_private_segment 0
		.amdhsa_system_sgpr_workgroup_id_x 1
		.amdhsa_system_sgpr_workgroup_id_y 1
		.amdhsa_system_sgpr_workgroup_id_z 1
		.amdhsa_system_sgpr_workgroup_info 0
		.amdhsa_system_vgpr_workitem_id 0
		.amdhsa_next_free_vgpr 64
		.amdhsa_next_free_sgpr 42
		.amdhsa_accum_offset 60
		.amdhsa_reserve_vcc 1
		.amdhsa_float_round_mode_32 0
		.amdhsa_float_round_mode_16_64 0
		.amdhsa_float_denorm_mode_32 3
		.amdhsa_float_denorm_mode_16_64 3
		.amdhsa_dx10_clamp 1
		.amdhsa_ieee_mode 1
		.amdhsa_fp16_overflow 0
		.amdhsa_tg_split 0
		.amdhsa_exception_fp_ieee_invalid_op 0
		.amdhsa_exception_fp_denorm_src 0
		.amdhsa_exception_fp_ieee_div_zero 0
		.amdhsa_exception_fp_ieee_overflow 0
		.amdhsa_exception_fp_ieee_underflow 0
		.amdhsa_exception_fp_ieee_inexact 0
		.amdhsa_exception_int_div_zero 0
	.end_amdhsa_kernel
	.section	.text._Z38paged_attention_ll4mi_QKV_mfma4_kernelI14__hip_bfloat16hLN4vllm18Fp8KVCacheDataTypeE1EhLi16ELi128ELi256ELb0ELi2EEvPKT_PKT0_S8_ifPKiSA_SA_iPKfiiiPfSD_PS3_PT2_iSC_SC_,"axG",@progbits,_Z38paged_attention_ll4mi_QKV_mfma4_kernelI14__hip_bfloat16hLN4vllm18Fp8KVCacheDataTypeE1EhLi16ELi128ELi256ELb0ELi2EEvPKT_PKT0_S8_ifPKiSA_SA_iPKfiiiPfSD_PS3_PT2_iSC_SC_,comdat
.Lfunc_end1269:
	.size	_Z38paged_attention_ll4mi_QKV_mfma4_kernelI14__hip_bfloat16hLN4vllm18Fp8KVCacheDataTypeE1EhLi16ELi128ELi256ELb0ELi2EEvPKT_PKT0_S8_ifPKiSA_SA_iPKfiiiPfSD_PS3_PT2_iSC_SC_, .Lfunc_end1269-_Z38paged_attention_ll4mi_QKV_mfma4_kernelI14__hip_bfloat16hLN4vllm18Fp8KVCacheDataTypeE1EhLi16ELi128ELi256ELb0ELi2EEvPKT_PKT0_S8_ifPKiSA_SA_iPKfiiiPfSD_PS3_PT2_iSC_SC_
                                        ; -- End function
	.section	.AMDGPU.csdata,"",@progbits
; Kernel info:
; codeLenInByte = 5776
; NumSgprs: 48
; NumVgprs: 60
; NumAgprs: 4
; TotalNumVgprs: 64
; ScratchSize: 0
; MemoryBound: 0
; FloatMode: 240
; IeeeMode: 1
; LDSByteSize: 5280 bytes/workgroup (compile time only)
; SGPRBlocks: 5
; VGPRBlocks: 7
; NumSGPRsForWavesPerEU: 48
; NumVGPRsForWavesPerEU: 64
; AccumOffset: 60
; Occupancy: 8
; WaveLimiterHint : 1
; COMPUTE_PGM_RSRC2:SCRATCH_EN: 0
; COMPUTE_PGM_RSRC2:USER_SGPR: 2
; COMPUTE_PGM_RSRC2:TRAP_HANDLER: 0
; COMPUTE_PGM_RSRC2:TGID_X_EN: 1
; COMPUTE_PGM_RSRC2:TGID_Y_EN: 1
; COMPUTE_PGM_RSRC2:TGID_Z_EN: 1
; COMPUTE_PGM_RSRC2:TIDIG_COMP_CNT: 0
; COMPUTE_PGM_RSRC3_GFX90A:ACCUM_OFFSET: 14
; COMPUTE_PGM_RSRC3_GFX90A:TG_SPLIT: 0
	.section	.text._Z38paged_attention_ll4mi_QKV_mfma4_kernelI14__hip_bfloat16hLN4vllm18Fp8KVCacheDataTypeE1EhLi16ELi128ELi256ELb0ELi3EEvPKT_PKT0_S8_ifPKiSA_SA_iPKfiiiPfSD_PS3_PT2_iSC_SC_,"axG",@progbits,_Z38paged_attention_ll4mi_QKV_mfma4_kernelI14__hip_bfloat16hLN4vllm18Fp8KVCacheDataTypeE1EhLi16ELi128ELi256ELb0ELi3EEvPKT_PKT0_S8_ifPKiSA_SA_iPKfiiiPfSD_PS3_PT2_iSC_SC_,comdat
	.protected	_Z38paged_attention_ll4mi_QKV_mfma4_kernelI14__hip_bfloat16hLN4vllm18Fp8KVCacheDataTypeE1EhLi16ELi128ELi256ELb0ELi3EEvPKT_PKT0_S8_ifPKiSA_SA_iPKfiiiPfSD_PS3_PT2_iSC_SC_ ; -- Begin function _Z38paged_attention_ll4mi_QKV_mfma4_kernelI14__hip_bfloat16hLN4vllm18Fp8KVCacheDataTypeE1EhLi16ELi128ELi256ELb0ELi3EEvPKT_PKT0_S8_ifPKiSA_SA_iPKfiiiPfSD_PS3_PT2_iSC_SC_
	.globl	_Z38paged_attention_ll4mi_QKV_mfma4_kernelI14__hip_bfloat16hLN4vllm18Fp8KVCacheDataTypeE1EhLi16ELi128ELi256ELb0ELi3EEvPKT_PKT0_S8_ifPKiSA_SA_iPKfiiiPfSD_PS3_PT2_iSC_SC_
	.p2align	8
	.type	_Z38paged_attention_ll4mi_QKV_mfma4_kernelI14__hip_bfloat16hLN4vllm18Fp8KVCacheDataTypeE1EhLi16ELi128ELi256ELb0ELi3EEvPKT_PKT0_S8_ifPKiSA_SA_iPKfiiiPfSD_PS3_PT2_iSC_SC_,@function
_Z38paged_attention_ll4mi_QKV_mfma4_kernelI14__hip_bfloat16hLN4vllm18Fp8KVCacheDataTypeE1EhLi16ELi128ELi256ELb0ELi3EEvPKT_PKT0_S8_ifPKiSA_SA_iPKfiiiPfSD_PS3_PT2_iSC_SC_: ; @_Z38paged_attention_ll4mi_QKV_mfma4_kernelI14__hip_bfloat16hLN4vllm18Fp8KVCacheDataTypeE1EhLi16ELi128ELi256ELb0ELi3EEvPKT_PKT0_S8_ifPKiSA_SA_iPKfiiiPfSD_PS3_PT2_iSC_SC_
; %bb.0:
	s_load_dwordx2 s[20:21], s[0:1], 0x30
	s_mov_b32 s24, s3
	s_mov_b64 s[6:7], 0
	s_waitcnt lgkmcnt(0)
	s_cmp_lg_u64 s[20:21], 0
	s_cselect_b64 s[22:23], -1, 0
	s_and_b64 vcc, exec, s[22:23]
	s_cbranch_vccz .LBB1270_10
; %bb.1:
	s_add_i32 s8, s2, 1
	s_mov_b32 s9, 0
	s_lshl_b64 s[10:11], s[8:9], 2
	s_add_u32 s10, s20, s10
	s_mov_b32 s3, s9
	s_addc_u32 s11, s21, s11
	s_lshl_b64 s[8:9], s[2:3], 2
	s_add_u32 s8, s20, s8
	s_addc_u32 s9, s21, s9
	s_load_dword s5, s[10:11], 0x0
	s_load_dword s12, s[8:9], 0x0
	s_waitcnt lgkmcnt(0)
	s_sub_i32 s5, s5, s12
	s_cmp_eq_u32 s5, 1
	s_cselect_b64 s[8:9], -1, 0
	s_andn2_b64 vcc, exec, s[6:7]
	s_cbranch_vccnz .LBB1270_3
.LBB1270_2:
	s_mov_b32 s3, 0
	s_mov_b64 s[8:9], -1
.LBB1270_3:
	s_andn2_b64 vcc, exec, s[8:9]
	s_cbranch_vccnz .LBB1270_25
; %bb.4:
	s_load_dword s5, s[0:1], 0x9c
	s_load_dwordx2 s[6:7], s[0:1], 0x28
	s_add_u32 s28, s0, 0x90
	s_addc_u32 s29, s1, 0
	s_lshl_b64 s[34:35], s[2:3], 2
	s_waitcnt lgkmcnt(0)
	s_and_b32 s5, s5, 0xffff
	s_add_u32 s6, s6, s34
	s_addc_u32 s7, s7, s35
	s_load_dword s3, s[6:7], 0x0
	s_mul_i32 s10, s24, s5
	s_waitcnt lgkmcnt(0)
	s_cmp_ge_i32 s10, s3
	s_cbranch_scc1 .LBB1270_25
; %bb.5:
	v_and_b32_e32 v1, 0xc0, v0
	v_add_u32_e32 v4, s10, v1
	v_lshrrev_b32_e32 v38, 6, v0
	v_cmp_le_i32_e64 s[6:7], s3, v4
                                        ; implicit-def: $sgpr25
                                        ; implicit-def: $sgpr11
	s_and_saveexec_b64 s[8:9], s[6:7]
	s_xor_b64 s[8:9], exec, s[8:9]
	s_cbranch_execz .LBB1270_7
; %bb.6:
	v_mul_u32_u24_e32 v1, 20, v38
	v_or_b32_e32 v1, 0x1400, v1
	v_mov_b32_e32 v2, 0x1450
	v_mov_b32_e32 v3, 0xff7fffff
	v_mad_u32_u24 v2, v38, 20, v2
	ds_write2_b32 v1, v3, v3 offset1:1
	v_mov_b32_e32 v1, 0
	ds_write2_b32 v2, v1, v1 offset1:1
	v_mov_b32_e32 v2, 0x1408
	v_mov_b32_e32 v4, 0x1458
	s_mov_b32 s11, 0xff7fffff
	s_mov_b32 s25, 0
	v_mad_u32_u24 v2, v38, 20, v2
	v_mad_u32_u24 v4, v38, 20, v4
	ds_write2_b32 v2, v3, v3 offset1:1
	ds_write2_b32 v4, v1, v1 offset1:1
                                        ; implicit-def: $vgpr4
.LBB1270_7:
	s_or_saveexec_b64 s[30:31], s[8:9]
	s_load_dwordx2 s[26:27], s[0:1], 0x68
	s_load_dwordx4 s[16:19], s[0:1], 0x58
	s_load_dword s5, s[28:29], 0x4
	s_load_dwordx4 s[12:15], s[0:1], 0x80
	v_and_b32_e32 v1, 63, v0
	v_and_b32_e32 v39, 3, v0
	v_mov_b32_e32 v37, s25
	v_mov_b32_e32 v41, s11
	;; [unrolled: 1-line block ×5, first 2 shown]
                                        ; implicit-def: $vgpr18_vgpr19
                                        ; implicit-def: $vgpr22_vgpr23
                                        ; implicit-def: $vgpr26_vgpr27
                                        ; implicit-def: $vgpr30_vgpr31
                                        ; implicit-def: $vgpr2_vgpr3
                                        ; implicit-def: $vgpr6_vgpr7
                                        ; implicit-def: $vgpr10_vgpr11
                                        ; implicit-def: $vgpr14_vgpr15
	s_xor_b64 exec, exec, s[30:31]
	s_cbranch_execz .LBB1270_17
; %bb.8:
	s_load_dwordx2 s[8:9], s[0:1], 0x20
	s_load_dword s11, s[0:1], 0x38
	s_add_i32 s25, s3, 15
	s_ashr_i32 s33, s25, 31
	s_lshr_b32 s33, s33, 28
	v_add_u32_e32 v36, s10, v0
	s_add_i32 s25, s25, s33
	v_ashrrev_i32_e32 v2, 31, v36
	s_ashr_i32 s25, s25, 4
	v_lshrrev_b32_e32 v2, 28, v2
	s_add_i32 s25, s25, -1
	s_waitcnt lgkmcnt(0)
	s_mul_i32 s36, s2, s11
	s_mov_b32 s37, 0
	v_add_u32_e32 v2, v36, v2
	s_lshl_b64 s[36:37], s[36:37], 2
	v_ashrrev_i32_e32 v2, 4, v2
	v_mov_b32_e32 v3, s25
	v_cmp_gt_i32_e32 vcc, s3, v36
	s_add_u32 s8, s8, s36
	s_addc_u32 s9, s9, s37
	v_cndmask_b32_e32 v2, v3, v2, vcc
	v_ashrrev_i32_e32 v3, 31, v2
	v_lshl_add_u64 v[10:11], v[2:3], 2, s[8:9]
	v_ashrrev_i32_e32 v2, 31, v4
	v_lshrrev_b32_e32 v2, 28, v2
	v_add_u32_e32 v2, v4, v2
	v_ashrrev_i32_e32 v6, 4, v2
	v_min_i32_e32 v2, s25, v6
	v_ashrrev_i32_e32 v3, 31, v2
	v_lshl_add_u64 v[4:5], v[2:3], 2, s[8:9]
	v_add_u32_e32 v2, 1, v6
	v_min_i32_e32 v2, s25, v2
	v_ashrrev_i32_e32 v3, 31, v2
	v_lshl_add_u64 v[12:13], v[2:3], 2, s[8:9]
	v_add_u32_e32 v2, 2, v6
	v_min_i32_e32 v2, s25, v2
	v_ashrrev_i32_e32 v3, 31, v2
	v_lshl_add_u64 v[14:15], v[2:3], 2, s[8:9]
	v_add_u32_e32 v2, 3, v6
	v_min_i32_e32 v2, s25, v2
	v_ashrrev_i32_e32 v3, 31, v2
	v_lshl_add_u64 v[16:17], v[2:3], 2, s[8:9]
	global_load_dword v2, v[10:11], off
	global_load_dword v6, v[4:5], off
	;; [unrolled: 1-line block ×5, first 2 shown]
	s_load_dwordx4 s[8:11], s[0:1], 0x8
	s_andn2_b64 vcc, exec, s[22:23]
	s_cbranch_vccnz .LBB1270_11
; %bb.9:
	s_add_u32 s20, s20, s34
	s_addc_u32 s21, s21, s35
	s_load_dword s25, s[20:21], 0x0
	s_branch .LBB1270_12
.LBB1270_10:
	s_mov_b64 s[8:9], 0
	s_branch .LBB1270_2
.LBB1270_11:
	s_mov_b32 s25, s2
.LBB1270_12:
	s_load_dwordx4 s[20:23], s[0:1], 0x48
	v_cmp_ne_u32_e32 vcc, 3, v39
	s_mov_b32 s37, 0
	v_mov_b32_e32 v37, 1.0
	v_mov_b32_e32 v3, 0
	v_mov_b32_e32 v14, 0
	;; [unrolled: 1-line block ×5, first 2 shown]
	s_and_saveexec_b64 s[34:35], vcc
	s_cbranch_execz .LBB1270_14
; %bb.13:
	s_load_dwordx2 s[38:39], s[0:1], 0x0
	s_waitcnt lgkmcnt(0)
	s_ashr_i32 s23, s20, 31
	s_mul_hi_u32 s33, s25, s20
	s_mul_i32 s23, s25, s23
	s_add_i32 s41, s33, s23
	s_mul_i32 s40, s25, s20
	s_lshl_b64 s[40:41], s[40:41], 1
	s_add_u32 s20, s38, s40
	s_mul_i32 s36, s4, 0x180
	s_addc_u32 s23, s39, s41
	s_lshl_b64 s[36:37], s[36:37], 1
	v_lshlrev_b32_e32 v4, 2, v1
	s_add_u32 s36, s20, s36
	v_and_b32_e32 v4, 0xf0, v4
	s_addc_u32 s37, s23, s37
	v_lshl_or_b32 v4, v39, 8, v4
	global_load_dwordx4 v[14:17], v4, s[36:37]
	v_mov_b32_e32 v37, 0
.LBB1270_14:
	s_or_b64 exec, exec, s[34:35]
	s_waitcnt lgkmcnt(0)
	s_mul_i32 s20, s4, s22
	s_add_u32 s8, s20, s8
	s_addc_u32 s9, 0, s9
	v_mov_b64_e32 v[4:5], s[8:9]
	s_waitcnt vmcnt(4)
	v_mad_i64_i32 v[4:5], s[8:9], v2, s21, v[4:5]
	v_lshlrev_b32_e32 v2, 4, v0
	v_and_b32_e32 v2, 0xf0, v2
	v_lshl_add_u64 v[4:5], v[4:5], 0, v[2:3]
	global_load_dwordx4 v[10:13], v[4:5], off
	global_load_dwordx4 v[18:21], v[4:5], off offset:256
	s_waitcnt vmcnt(5)
	v_mul_hi_i32 v2, v6, s21
	s_waitcnt vmcnt(4)
	v_mul_hi_i32 v22, v7, s21
	;; [unrolled: 2-line block ×4, first 2 shown]
	v_ashrrev_i32_e32 v2, 31, v2
	v_ashrrev_i32_e32 v22, 31, v22
	;; [unrolled: 1-line block ×4, first 2 shown]
	v_mov_b32_e32 v23, v3
	v_mov_b32_e32 v25, v3
	;; [unrolled: 1-line block ×3, first 2 shown]
	v_lshrrev_b32_e32 v22, 29, v22
	v_lshrrev_b32_e32 v24, 29, v24
	;; [unrolled: 1-line block ×4, first 2 shown]
	s_add_u32 s10, s10, s20
	v_mad_i64_i32 v[22:23], s[22:23], v7, s21, v[22:23]
	v_mad_i64_i32 v[24:25], s[22:23], v8, s21, v[24:25]
	v_mad_i64_i32 v[8:9], s[22:23], v9, s21, v[26:27]
	v_mad_i64_i32 v[6:7], s[20:21], v6, s21, v[2:3]
	s_addc_u32 s11, s11, 0
	v_and_b32_e32 v22, -8, v22
	v_and_b32_e32 v24, -8, v24
	;; [unrolled: 1-line block ×4, first 2 shown]
	v_lshl_add_u64 v[22:23], s[10:11], 0, v[22:23]
	v_lshl_add_u64 v[24:25], s[10:11], 0, v[24:25]
	v_lshl_add_u64 v[8:9], s[10:11], 0, v[8:9]
	v_lshlrev_b32_e32 v2, 4, v1
	v_lshl_add_u64 v[6:7], s[10:11], 0, v[6:7]
	v_lshl_add_u64 v[48:49], v[22:23], 0, v[2:3]
	v_lshl_add_u64 v[50:51], v[24:25], 0, v[2:3]
	v_lshl_add_u64 v[34:35], v[8:9], 0, v[2:3]
	v_lshl_add_u64 v[2:3], v[6:7], 0, v[2:3]
	s_mov_b32 s8, 0x7060302
	s_load_dword s0, s[0:1], 0x1c
	v_cmp_eq_u32_e32 vcc, 0, v39
	s_load_dword s1, s[12:13], 0x0
	s_waitcnt vmcnt(1)
	v_cvt_pk_f32_fp8_e32 v[6:7], v10
	v_cvt_pk_f32_fp8_sdwa v[8:9], v10 src0_sel:WORD_1
	v_cvt_pk_f32_fp8_e32 v[22:23], v11
	v_cvt_pk_f32_fp8_sdwa v[10:11], v11 src0_sel:WORD_1
	v_perm_b32 v54, v7, v6, s8
	v_perm_b32 v55, v9, v8, s8
	global_load_dwordx4 v[6:9], v[4:5], off offset:512
	v_cvt_pk_f32_fp8_e32 v[24:25], v12
	v_cvt_pk_f32_fp8_sdwa v[26:27], v12 src0_sel:WORD_1
	v_cvt_pk_f32_fp8_e32 v[28:29], v13
	v_cvt_pk_f32_fp8_sdwa v[30:31], v13 src0_sel:WORD_1
	v_perm_b32 v22, v23, v22, s8
	v_perm_b32 v23, v11, v10, s8
	global_load_dwordx4 v[10:13], v[4:5], off offset:768
	v_perm_b32 v24, v25, v24, s8
	v_perm_b32 v25, v27, v26, s8
	;; [unrolled: 1-line block ×3, first 2 shown]
	global_load_dwordx4 v[26:29], v[4:5], off offset:1024
	s_waitcnt vmcnt(3)
	v_cvt_pk_f32_fp8_e32 v[32:33], v18
	v_perm_b32 v57, v31, v30, s8
	v_cvt_pk_f32_fp8_sdwa v[40:41], v18 src0_sel:WORD_1
	v_cvt_pk_f32_fp8_e32 v[42:43], v19
	v_perm_b32 v58, v33, v32, s8
	global_load_dwordx4 v[30:33], v[4:5], off offset:1280
	v_perm_b32 v59, v41, v40, s8
	v_perm_b32 v60, v43, v42, s8
	global_load_dwordx4 v[40:43], v[4:5], off offset:1536
	v_cvt_pk_f32_fp8_e32 v[44:45], v20
	v_cvt_pk_f32_fp8_sdwa v[46:47], v20 src0_sel:WORD_1
	v_mfma_f32_4x4x4_16b_bf16 a[0:3], v[14:15], v[54:55], 0 cbsz:4
	v_cvt_pk_f32_fp8_sdwa v[18:19], v19 src0_sel:WORD_1
	v_perm_b32 v62, v45, v44, s8
	v_perm_b32 v63, v47, v46, s8
	global_load_dwordx4 v[44:47], v[4:5], off offset:1792
	v_mfma_f32_4x4x4_16b_bf16 a[0:3], v[16:17], v[22:23], a[0:3] cbsz:4
	v_cvt_pk_f32_fp8_e32 v[52:53], v21
	v_cvt_pk_f32_fp8_sdwa v[20:21], v21 src0_sel:WORD_1
	v_mfma_f32_4x4x4_16b_bf16 a[0:3], v[14:15], v[24:25], a[0:3] cbsz:4 abid:1
	v_perm_b32 v61, v19, v18, s8
	v_perm_b32 v52, v53, v52, s8
	v_mfma_f32_4x4x4_16b_bf16 a[0:3], v[16:17], v[56:57], a[0:3] cbsz:4 abid:1
	v_perm_b32 v53, v21, v20, s8
	s_waitcnt vmcnt(5)
	v_cvt_pk_f32_fp8_e32 v[18:19], v6
	v_mfma_f32_4x4x4_16b_bf16 a[0:3], v[14:15], v[58:59], a[0:3] cbsz:4 abid:2
	v_cvt_pk_f32_fp8_sdwa v[20:21], v6 src0_sel:WORD_1
	v_cvt_pk_f32_fp8_e32 v[24:25], v7
	v_mfma_f32_4x4x4_16b_bf16 a[0:3], v[16:17], v[60:61], a[0:3] cbsz:4 abid:2
	v_cvt_pk_f32_fp8_sdwa v[6:7], v7 src0_sel:WORD_1
	v_perm_b32 v22, v19, v18, s8
	v_mfma_f32_4x4x4_16b_bf16 a[0:3], v[14:15], v[62:63], a[0:3] cbsz:4 abid:3
	v_perm_b32 v23, v21, v20, s8
	v_perm_b32 v24, v25, v24, s8
	v_mfma_f32_4x4x4_16b_bf16 a[0:3], v[16:17], v[52:53], a[0:3] cbsz:4 abid:3
	v_perm_b32 v25, v7, v6, s8
	v_cvt_pk_f32_fp8_sdwa v[6:7], v8 src0_sel:WORD_1
	v_mfma_f32_4x4x4_16b_bf16 a[0:3], v[14:15], v[22:23], a[0:3] cbsz:4 abid:4
	v_cvt_pk_f32_fp8_e32 v[22:23], v8
	s_waitcnt vmcnt(4)
	v_cvt_pk_f32_fp8_e32 v[52:53], v11
	v_mfma_f32_4x4x4_16b_bf16 a[0:3], v[16:17], v[24:25], a[0:3] cbsz:4 abid:4
	v_cvt_pk_f32_fp8_e32 v[24:25], v9
	v_cvt_pk_f32_fp8_sdwa v[8:9], v9 src0_sel:WORD_1
	v_perm_b32 v22, v23, v22, s8
	v_perm_b32 v23, v7, v6, s8
	;; [unrolled: 1-line block ×4, first 2 shown]
	v_mfma_f32_4x4x4_16b_bf16 a[0:3], v[14:15], v[22:23], a[0:3] cbsz:4 abid:5
	v_cvt_pk_f32_fp8_e32 v[8:9], v10
	v_cvt_pk_f32_fp8_e32 v[54:55], v13
	v_mfma_f32_4x4x4_16b_bf16 a[0:3], v[16:17], v[6:7], a[0:3] cbsz:4 abid:5
	v_cvt_pk_f32_fp8_sdwa v[6:7], v10 src0_sel:WORD_1
	v_cvt_pk_f32_fp8_sdwa v[10:11], v11 src0_sel:WORD_1
	v_perm_b32 v8, v9, v8, s8
	global_load_dwordx4 v[18:21], v[2:3], off
	v_perm_b32 v9, v7, v6, s8
	v_perm_b32 v6, v53, v52, s8
	;; [unrolled: 1-line block ×3, first 2 shown]
	v_cvt_pk_f32_fp8_e32 v[10:11], v12
	v_cvt_pk_f32_fp8_sdwa v[52:53], v12 src0_sel:WORD_1
	v_mfma_f32_4x4x4_16b_bf16 a[0:3], v[14:15], v[8:9], a[0:3] cbsz:4 abid:6
	v_cvt_pk_f32_fp8_sdwa v[12:13], v13 src0_sel:WORD_1
	v_perm_b32 v10, v11, v10, s8
	v_mfma_f32_4x4x4_16b_bf16 a[0:3], v[16:17], v[6:7], a[0:3] cbsz:4 abid:6
	v_perm_b32 v11, v53, v52, s8
	global_load_dwordx4 v[2:5], v[2:3], off offset:1024
	s_waitcnt vmcnt(5)
	v_cvt_pk_f32_fp8_sdwa v[52:53], v29 src0_sel:WORD_1
	global_load_dwordx4 v[22:25], v[48:49], off
	global_load_dwordx4 v[6:9], v[48:49], off offset:1024
	v_perm_b32 v49, v13, v12, s8
	v_mfma_f32_4x4x4_16b_bf16 a[0:3], v[14:15], v[10:11], a[0:3] cbsz:4 abid:7
	v_cvt_pk_f32_fp8_e32 v[10:11], v26
	v_cvt_pk_f32_fp8_sdwa v[12:13], v26 src0_sel:WORD_1
	v_perm_b32 v48, v55, v54, s8
	v_perm_b32 v10, v11, v10, s8
	s_nop 0
	v_mfma_f32_4x4x4_16b_bf16 a[0:3], v[16:17], v[48:49], a[0:3] cbsz:4 abid:7
	v_cvt_pk_f32_fp8_e32 v[48:49], v27
	v_cvt_pk_f32_fp8_sdwa v[26:27], v27 src0_sel:WORD_1
	v_perm_b32 v11, v13, v12, s8
	v_perm_b32 v12, v49, v48, s8
	s_nop 0
	v_mfma_f32_4x4x4_16b_bf16 a[0:3], v[14:15], v[10:11], a[0:3] cbsz:4 abid:8
	v_perm_b32 v13, v27, v26, s8
	v_cvt_pk_f32_fp8_e32 v[10:11], v28
	v_cvt_pk_f32_fp8_e32 v[48:49], v29
	v_mfma_f32_4x4x4_16b_bf16 a[0:3], v[16:17], v[12:13], a[0:3] cbsz:4 abid:8
	v_cvt_pk_f32_fp8_sdwa v[12:13], v28 src0_sel:WORD_1
	v_perm_b32 v10, v11, v10, s8
	global_load_dwordx4 v[26:29], v[50:51], off
	v_perm_b32 v11, v13, v12, s8
	v_perm_b32 v12, v49, v48, s8
	s_nop 0
	v_mfma_f32_4x4x4_16b_bf16 a[0:3], v[14:15], v[10:11], a[0:3] cbsz:4 abid:9
	v_perm_b32 v13, v53, v52, s8
	s_waitcnt vmcnt(7)
	v_cvt_pk_f32_fp8_e32 v[10:11], v30
	v_cvt_pk_f32_fp8_e32 v[48:49], v31
	v_mfma_f32_4x4x4_16b_bf16 a[0:3], v[16:17], v[12:13], a[0:3] cbsz:4 abid:9
	v_cvt_pk_f32_fp8_sdwa v[12:13], v30 src0_sel:WORD_1
	v_cvt_pk_f32_fp8_sdwa v[52:53], v31 src0_sel:WORD_1
	v_perm_b32 v30, v11, v10, s8
	v_perm_b32 v48, v49, v48, s8
	;; [unrolled: 1-line block ×3, first 2 shown]
	global_load_dwordx4 v[10:13], v[50:51], off offset:1024
	v_perm_b32 v49, v53, v52, s8
	v_mfma_f32_4x4x4_16b_bf16 a[0:3], v[14:15], v[30:31], a[0:3] cbsz:4 abid:10
	v_cvt_pk_f32_fp8_e32 v[30:31], v32
	v_cvt_pk_f32_fp8_e32 v[50:51], v33
	v_mfma_f32_4x4x4_16b_bf16 a[0:3], v[16:17], v[48:49], a[0:3] cbsz:4 abid:10
	v_cvt_pk_f32_fp8_sdwa v[48:49], v32 src0_sel:WORD_1
	v_cvt_pk_f32_fp8_sdwa v[32:33], v33 src0_sel:WORD_1
	v_perm_b32 v30, v31, v30, s8
	v_perm_b32 v31, v49, v48, s8
	v_perm_b32 v49, v33, v32, s8
	s_nop 0
	v_mfma_f32_4x4x4_16b_bf16 a[0:3], v[14:15], v[30:31], a[0:3] cbsz:4 abid:11
	s_waitcnt vmcnt(7)
	v_cvt_pk_f32_fp8_e32 v[30:31], v40
	v_cvt_pk_f32_fp8_sdwa v[32:33], v40 src0_sel:WORD_1
	v_perm_b32 v48, v51, v50, s8
	v_perm_b32 v30, v31, v30, s8
	s_nop 0
	v_mfma_f32_4x4x4_16b_bf16 a[0:3], v[16:17], v[48:49], a[0:3] cbsz:4 abid:11
	v_cvt_pk_f32_fp8_e32 v[48:49], v41
	v_cvt_pk_f32_fp8_sdwa v[40:41], v41 src0_sel:WORD_1
	v_perm_b32 v31, v33, v32, s8
	v_perm_b32 v32, v49, v48, s8
	s_nop 0
	v_mfma_f32_4x4x4_16b_bf16 a[0:3], v[14:15], v[30:31], a[0:3] cbsz:4 abid:12
	v_perm_b32 v33, v41, v40, s8
	v_cvt_pk_f32_fp8_e32 v[30:31], v42
	v_cvt_pk_f32_fp8_e32 v[40:41], v43
	v_mfma_f32_4x4x4_16b_bf16 a[0:3], v[16:17], v[32:33], a[0:3] cbsz:4 abid:12
	v_cvt_pk_f32_fp8_sdwa v[32:33], v42 src0_sel:WORD_1
	v_cvt_pk_f32_fp8_sdwa v[42:43], v43 src0_sel:WORD_1
	v_perm_b32 v30, v31, v30, s8
	v_perm_b32 v31, v33, v32, s8
	;; [unrolled: 1-line block ×3, first 2 shown]
	s_nop 0
	v_mfma_f32_4x4x4_16b_bf16 a[0:3], v[14:15], v[30:31], a[0:3] cbsz:4 abid:13
	v_perm_b32 v33, v43, v42, s8
	s_waitcnt vmcnt(6)
	v_cvt_pk_f32_fp8_e32 v[30:31], v44
	v_cvt_pk_f32_fp8_e32 v[40:41], v45
	v_mfma_f32_4x4x4_16b_bf16 a[0:3], v[16:17], v[32:33], a[0:3] cbsz:4 abid:13
	v_cvt_pk_f32_fp8_sdwa v[32:33], v44 src0_sel:WORD_1
	v_cvt_pk_f32_fp8_sdwa v[42:43], v45 src0_sel:WORD_1
	v_perm_b32 v30, v31, v30, s8
	v_perm_b32 v31, v33, v32, s8
	;; [unrolled: 1-line block ×3, first 2 shown]
	s_nop 0
	v_mfma_f32_4x4x4_16b_bf16 a[0:3], v[14:15], v[30:31], a[0:3] cbsz:4 abid:14
	v_perm_b32 v33, v43, v42, s8
	v_cvt_pk_f32_fp8_e32 v[30:31], v46
	v_cvt_pk_f32_fp8_e32 v[40:41], v47
	v_mfma_f32_4x4x4_16b_bf16 a[0:3], v[16:17], v[32:33], a[0:3] cbsz:4 abid:14
	v_cvt_pk_f32_fp8_sdwa v[32:33], v46 src0_sel:WORD_1
	v_cvt_pk_f32_fp8_sdwa v[42:43], v47 src0_sel:WORD_1
	v_perm_b32 v30, v31, v30, s8
	v_perm_b32 v31, v33, v32, s8
	;; [unrolled: 1-line block ×3, first 2 shown]
	s_nop 0
	v_mfma_f32_4x4x4_16b_bf16 a[0:3], v[14:15], v[30:31], a[0:3] cbsz:4 abid:15
	v_perm_b32 v33, v43, v42, s8
	s_waitcnt lgkmcnt(0)
	v_mov_b32_e32 v14, s0
	v_mfma_f32_4x4x4_16b_bf16 a[0:3], v[16:17], v[32:33], a[0:3] cbsz:4 abid:15
	v_mul_f32_e32 v16, s1, v14
	s_nop 3
	v_accvgpr_read_b32 v31, a1
	v_accvgpr_read_b32 v30, a0
	v_pk_mul_f32 v[30:31], v[30:31], v[16:17] op_sel_hi:[1,0]
	v_accvgpr_read_b32 v15, a3
	v_accvgpr_read_b32 v14, a2
	v_pk_mul_f32 v[40:41], v[14:15], v[16:17] op_sel_hi:[1,0]
	v_cndmask_b32_e64 v14, 0, 1.0, vcc
	v_cmp_eq_u32_e32 vcc, 1, v39
	s_nop 0
	v_mfma_f32_4x4x1_16b_f32 a[0:3], v30, v14, 0
	v_cndmask_b32_e64 v14, 0, 1.0, vcc
	v_cmp_eq_u32_e32 vcc, 2, v39
	s_nop 0
	v_mfma_f32_4x4x1_16b_f32 a[0:3], v31, v14, a[0:3]
	v_cndmask_b32_e64 v14, 0, 1.0, vcc
	s_nop 1
	v_mfma_f32_4x4x1_16b_f32 a[0:3], v40, v14, a[0:3]
	global_load_dwordx4 v[30:33], v[34:35], off
	global_load_dwordx4 v[14:17], v[34:35], off offset:1024
	v_mfma_f32_4x4x1_16b_f32 a[0:3], v41, v37, a[0:3]
	v_and_b32_e32 v34, -4, v36
	v_mov_b32_e32 v41, 0xff7fffff
	v_cmp_gt_i32_e32 vcc, s3, v34
	v_or_b32_e32 v36, 3, v36
	v_accvgpr_read_b32 v37, a0
	v_max_f32_e32 v40, v37, v37
	v_max_f32_e32 v40, 0xff7fffff, v40
	v_accvgpr_read_b32 v42, a1
	v_cndmask_b32_e32 v40, v41, v40, vcc
	v_or_b32_e32 v41, 1, v34
	v_max_f32_e32 v43, v42, v42
	v_max_f32_e32 v43, v40, v43
	v_cmp_gt_i32_e64 s[0:1], s3, v41
	v_or_b32_e32 v34, 2, v34
	v_cmp_gt_i32_e64 s[8:9], s3, v34
	v_cndmask_b32_e64 v40, v40, v43, s[0:1]
	v_accvgpr_read_b32 v43, a2
	v_max_f32_e32 v41, v43, v43
	v_max_f32_e32 v41, v40, v41
	v_cndmask_b32_e64 v34, v40, v41, s[8:9]
	v_accvgpr_read_b32 v40, a3
	v_max_f32_e32 v41, v40, v40
	v_max_f32_e32 v41, v34, v41
	v_cmp_gt_i32_e64 s[10:11], s3, v36
	v_lshlrev_b32_e32 v35, 2, v0
	v_and_or_b32 v35, v35, 48, v39
	v_cndmask_b32_e64 v34, v34, v41, s[10:11]
	;;#ASMSTART
	v_nop
 v_nop
 v_max_f32_dpp v34, v34, v34 row_ror:4
	;;#ASMEND
	v_lshlrev_b32_e32 v44, 2, v35
	;;#ASMSTART
	v_nop
 v_nop
 v_max_f32_dpp v34, v34, v34 row_ror:8
	;;#ASMEND
	ds_bpermute_b32 v34, v44, v34
	s_waitcnt lgkmcnt(0)
	;;#ASMSTART
	v_nop
 v_nop
 v_max_f32_dpp v34, v34, v34 row_ror:4
	;;#ASMEND
	s_nop 0
	;;#ASMSTART
	v_nop
 v_nop
 v_max_f32_dpp v41, v34, v34 row_ror:8
	;;#ASMEND
	s_nop 0
	v_sub_f32_e32 v34, v37, v41
	v_mul_f32_e32 v34, 0x3fb8aa3b, v34
	v_sub_f32_e32 v35, v42, v41
	v_exp_f32_e32 v34, v34
	v_mul_f32_e32 v35, 0x3fb8aa3b, v35
	v_sub_f32_e32 v37, v43, v41
	v_exp_f32_e32 v35, v35
	;; [unrolled: 3-line block ×3, first 2 shown]
	v_mul_f32_e32 v40, 0x3fb8aa3b, v40
	v_exp_f32_e32 v40, v40
	v_cndmask_b32_e32 v34, 0, v34, vcc
	v_add_f32_e32 v36, 0, v34
	v_cndmask_b32_e64 v35, 0, v35, s[0:1]
	v_add_f32_e32 v42, v36, v35
	v_cndmask_b32_e64 v36, 0, v37, s[8:9]
	;; [unrolled: 2-line block ×3, first 2 shown]
	v_add_f32_e32 v40, v42, v37
	;;#ASMSTART
	v_nop
 v_nop
 v_add_f32_dpp v40, v40, v40 row_ror:4
	;;#ASMEND
	v_cmp_gt_u32_e32 vcc, 4, v1
	;;#ASMSTART
	v_nop
 v_nop
 v_add_f32_dpp v40, v40, v40 row_ror:8
	;;#ASMEND
	ds_bpermute_b32 v40, v44, v40
	s_waitcnt lgkmcnt(0)
	;;#ASMSTART
	v_nop
 v_nop
 v_add_f32_dpp v40, v40, v40 row_ror:4
	;;#ASMEND
	s_nop 0
	;;#ASMSTART
	v_nop
 v_nop
 v_add_f32_dpp v40, v40, v40 row_ror:8
	;;#ASMEND
	s_and_saveexec_b64 s[0:1], vcc
	s_cbranch_execz .LBB1270_16
; %bb.15:
	v_mul_u32_u24_e32 v42, 20, v38
	v_lshl_add_u32 v42, v39, 2, v42
	v_add_u32_e32 v42, 0x1400, v42
	ds_write2_b32 v42, v41, v40 offset1:20
.LBB1270_16:
	s_or_b64 exec, exec, s[0:1]
.LBB1270_17:
	s_or_b64 exec, exec, s[30:31]
	s_waitcnt lgkmcnt(0)
	s_barrier
	s_load_dword s0, s[28:29], 0x8
	v_lshlrev_b32_e32 v40, 2, v39
	v_add_u32_e32 v40, 0x1400, v40
	ds_read2_b32 v[44:45], v40 offset1:5
	ds_read2_b32 v[46:47], v40 offset0:10 offset1:15
	s_mul_i32 s1, s2, s5
	s_waitcnt lgkmcnt(0)
	s_mul_i32 s0, s1, s0
	s_mov_b32 s1, 0xff7fffff
	v_max3_f32 v42, v44, s1, v45
	v_max3_f32 v42, v42, v46, v47
	v_sub_f32_e32 v43, v44, v42
	v_sub_f32_e32 v44, v45, v42
	ds_read2_b32 v[48:49], v40 offset0:20 offset1:25
	v_mul_f32_e32 v43, 0x3fb8aa3b, v43
	v_mul_f32_e32 v44, 0x3fb8aa3b, v44
	v_exp_f32_e32 v43, v43
	v_exp_f32_e32 v50, v44
	ds_read2_b32 v[44:45], v40 offset0:30 offset1:35
	v_sub_f32_e32 v40, v46, v42
	v_mul_f32_e32 v40, 0x3fb8aa3b, v40
	v_sub_f32_e32 v46, v47, v42
	v_exp_f32_e32 v40, v40
	v_mul_f32_e32 v46, 0x3fb8aa3b, v46
	v_exp_f32_e32 v46, v46
	s_waitcnt lgkmcnt(1)
	v_fma_f32 v43, v43, v48, 0
	v_fmac_f32_e32 v43, v50, v49
	s_waitcnt lgkmcnt(0)
	v_fmac_f32_e32 v43, v40, v44
	s_mul_i32 s8, s4, 3
	s_mul_i32 s0, s0, 3
	v_fmac_f32_e32 v43, v46, v45
	v_cmp_ne_u32_e32 vcc, 3, v39
	s_and_saveexec_b64 s[2:3], vcc
	s_cbranch_execz .LBB1270_19
; %bb.18:
	s_mov_b32 s1, 0
	s_lshl_b64 s[10:11], s[0:1], 2
	s_add_u32 s4, s16, s10
	s_mov_b32 s25, s1
	s_addc_u32 s9, s17, s11
	s_lshl_b64 s[12:13], s[24:25], 2
	s_add_u32 s16, s4, s12
	s_addc_u32 s17, s9, s13
	s_add_u32 s1, s18, s10
	s_addc_u32 s4, s19, s11
	v_add_u32_e32 v39, s8, v39
	s_add_u32 s10, s1, s12
	v_mul_lo_u32 v44, s5, v39
	v_mov_b32_e32 v45, 0
	s_addc_u32 s11, s4, s13
	v_lshlrev_b64 v[44:45], 2, v[44:45]
	v_lshl_add_u64 v[46:47], s[16:17], 0, v[44:45]
	v_lshl_add_u64 v[44:45], s[10:11], 0, v[44:45]
	global_store_dword v[44:45], v42, off
	global_store_dword v[46:47], v43, off
.LBB1270_19:
	s_or_b64 exec, exec, s[2:3]
	v_lshlrev_b32_e32 v40, 3, v38
                                        ; implicit-def: $sgpr1
	s_and_saveexec_b64 s[2:3], s[6:7]
	s_xor_b64 s[2:3], exec, s[2:3]
	s_cbranch_execz .LBB1270_21
; %bb.20:
	s_waitcnt vmcnt(6)
	v_mov_b32_e32 v2, 0
	v_mad_u32_u24 v4, v1, 40, v40
	s_mov_b32 s1, 0
	v_mov_b32_e32 v3, v2
	ds_write_b64 v4, v[2:3]
                                        ; implicit-def: $vgpr37
                                        ; implicit-def: $vgpr35
                                        ; implicit-def: $vgpr41
                                        ; implicit-def: $vgpr18_vgpr19
                                        ; implicit-def: $vgpr22_vgpr23
                                        ; implicit-def: $vgpr26_vgpr27
                                        ; implicit-def: $vgpr30_vgpr31
                                        ; implicit-def: $vgpr2_vgpr3
                                        ; implicit-def: $vgpr6_vgpr7
                                        ; implicit-def: $vgpr10_vgpr11
                                        ; implicit-def: $vgpr14_vgpr15
                                        ; implicit-def: $vgpr42
                                        ; implicit-def: $vgpr43
.LBB1270_21:
	s_or_saveexec_b64 s[2:3], s[2:3]
	v_mov_b32_e32 v38, s1
	v_mov_b32_e32 v39, s1
	s_xor_b64 exec, exec, s[2:3]
	s_cbranch_execz .LBB1270_23
; %bb.22:
	v_add_f32_e32 v38, 0x358637bd, v43
	v_div_scale_f32 v39, s[6:7], v38, v38, 1.0
	v_rcp_f32_e32 v43, v39
	v_sub_f32_e32 v41, v41, v42
	v_mul_f32_e32 v41, 0x3fb8aa3b, v41
	v_exp_f32_e32 v41, v41
	v_fma_f32 v42, -v39, v43, 1.0
	v_fmac_f32_e32 v43, v42, v43
	v_div_scale_f32 v42, vcc, 1.0, v38, 1.0
	v_mul_f32_e32 v44, v42, v43
	v_fma_f32 v45, -v39, v44, v42
	v_fmac_f32_e32 v44, v45, v43
	v_fma_f32 v39, -v39, v44, v42
	v_div_fmas_f32 v39, v39, v43, v44
	v_div_fixup_f32 v38, v39, v38, 1.0
	v_mul_f32_e32 v38, v41, v38
	v_pk_mul_f32 v[34:35], v[34:35], v[38:39] op_sel_hi:[1,0]
	v_pk_mul_f32 v[36:37], v[36:37], v[38:39] op_sel_hi:[1,0]
	v_bfe_u32 v38, v35, 16, 1
	v_bfe_u32 v39, v34, 16, 1
	s_movk_i32 s1, 0x7fff
	v_add3_u32 v34, v34, v39, s1
	v_add3_u32 v35, v35, v38, s1
	s_mov_b32 s6, 0x7060302
	v_perm_b32 v34, v35, v34, s6
	v_bfe_u32 v35, v37, 16, 1
	v_bfe_u32 v38, v36, 16, 1
	v_add3_u32 v36, v36, v38, s1
	v_add3_u32 v35, v37, v35, s1
	v_perm_b32 v35, v35, v36, s6
	s_waitcnt vmcnt(7)
	v_cvt_pk_f32_fp8_e32 v[36:37], v18
	v_cvt_pk_f32_fp8_sdwa v[38:39], v18 src0_sel:WORD_1
	v_cvt_pk_f32_fp8_e32 v[42:43], v19
	v_cvt_pk_f32_fp8_sdwa v[18:19], v19 src0_sel:WORD_1
	v_perm_b32 v36, v37, v36, s6
	v_perm_b32 v37, v39, v38, s6
	;; [unrolled: 1-line block ×4, first 2 shown]
	v_mfma_f32_4x4x4_16b_bf16 a[0:3], v[34:35], v[36:37], 0 cbsz:4
	v_cvt_pk_f32_fp8_e32 v[18:19], v20
	v_cvt_pk_f32_fp8_sdwa v[36:37], v20 src0_sel:WORD_1
	v_mfma_f32_4x4x4_16b_bf16 a[0:3], v[34:35], v[38:39], a[0:3] cbsz:4 abid:1
	v_cvt_pk_f32_fp8_e32 v[38:39], v21
	v_cvt_pk_f32_fp8_sdwa v[20:21], v21 src0_sel:WORD_1
	v_perm_b32 v18, v19, v18, s6
	v_perm_b32 v19, v37, v36, s6
	;; [unrolled: 1-line block ×4, first 2 shown]
	v_mfma_f32_4x4x4_16b_bf16 a[0:3], v[34:35], v[18:19], a[0:3] cbsz:4 abid:2
	s_waitcnt vmcnt(5)
	v_cvt_pk_f32_fp8_e32 v[18:19], v22
	v_cvt_pk_f32_fp8_sdwa v[20:21], v22 src0_sel:WORD_1
	v_mfma_f32_4x4x4_16b_bf16 a[0:3], v[34:35], v[36:37], a[0:3] cbsz:4 abid:3
	v_cvt_pk_f32_fp8_e32 v[36:37], v23
	v_cvt_pk_f32_fp8_sdwa v[22:23], v23 src0_sel:WORD_1
	v_perm_b32 v18, v19, v18, s6
	v_perm_b32 v19, v21, v20, s6
	;; [unrolled: 1-line block ×4, first 2 shown]
	v_mfma_f32_4x4x4_16b_bf16 a[0:3], v[34:35], v[18:19], a[0:3] cbsz:4 abid:4
	v_cvt_pk_f32_fp8_e32 v[18:19], v24
	v_cvt_pk_f32_fp8_e32 v[22:23], v25
	v_mfma_f32_4x4x4_16b_bf16 a[0:3], v[34:35], v[20:21], a[0:3] cbsz:4 abid:5
	v_cvt_pk_f32_fp8_sdwa v[20:21], v24 src0_sel:WORD_1
	v_cvt_pk_f32_fp8_sdwa v[24:25], v25 src0_sel:WORD_1
	v_perm_b32 v18, v19, v18, s6
	s_load_dword s4, s[14:15], 0x0
	v_perm_b32 v19, v21, v20, s6
	v_perm_b32 v20, v23, v22, s6
	;; [unrolled: 1-line block ×3, first 2 shown]
	v_mfma_f32_4x4x4_16b_bf16 a[0:3], v[34:35], v[18:19], a[0:3] cbsz:4 abid:6
	s_waitcnt vmcnt(3)
	v_cvt_pk_f32_fp8_e32 v[18:19], v26
	v_cvt_pk_f32_fp8_e32 v[22:23], v27
	v_mfma_f32_4x4x4_16b_bf16 a[0:3], v[34:35], v[20:21], a[0:3] cbsz:4 abid:7
	v_cvt_pk_f32_fp8_sdwa v[20:21], v26 src0_sel:WORD_1
	v_cvt_pk_f32_fp8_sdwa v[24:25], v27 src0_sel:WORD_1
	v_perm_b32 v18, v19, v18, s6
	v_perm_b32 v19, v21, v20, s6
	v_perm_b32 v20, v23, v22, s6
	s_nop 0
	v_mfma_f32_4x4x4_16b_bf16 a[0:3], v[34:35], v[18:19], a[0:3] cbsz:4 abid:8
	v_perm_b32 v21, v25, v24, s6
	v_cvt_pk_f32_fp8_e32 v[18:19], v28
	v_cvt_pk_f32_fp8_e32 v[22:23], v29
	v_mfma_f32_4x4x4_16b_bf16 a[0:3], v[34:35], v[20:21], a[0:3] cbsz:4 abid:9
	v_cvt_pk_f32_fp8_sdwa v[20:21], v28 src0_sel:WORD_1
	v_cvt_pk_f32_fp8_sdwa v[24:25], v29 src0_sel:WORD_1
	v_perm_b32 v18, v19, v18, s6
	v_perm_b32 v19, v21, v20, s6
	;; [unrolled: 1-line block ×3, first 2 shown]
	s_nop 0
	v_mfma_f32_4x4x4_16b_bf16 a[0:3], v[34:35], v[18:19], a[0:3] cbsz:4 abid:10
	v_perm_b32 v21, v25, v24, s6
	s_waitcnt vmcnt(1)
	v_cvt_pk_f32_fp8_e32 v[18:19], v30
	v_cvt_pk_f32_fp8_e32 v[22:23], v31
	v_mfma_f32_4x4x4_16b_bf16 a[0:3], v[34:35], v[20:21], a[0:3] cbsz:4 abid:11
	v_cvt_pk_f32_fp8_sdwa v[20:21], v30 src0_sel:WORD_1
	v_cvt_pk_f32_fp8_sdwa v[24:25], v31 src0_sel:WORD_1
	v_perm_b32 v18, v19, v18, s6
	v_perm_b32 v19, v21, v20, s6
	;; [unrolled: 1-line block ×3, first 2 shown]
	s_nop 0
	v_mfma_f32_4x4x4_16b_bf16 a[0:3], v[34:35], v[18:19], a[0:3] cbsz:4 abid:12
	v_perm_b32 v21, v25, v24, s6
	v_cvt_pk_f32_fp8_e32 v[18:19], v32
	v_cvt_pk_f32_fp8_e32 v[22:23], v33
	v_mfma_f32_4x4x4_16b_bf16 a[0:3], v[34:35], v[20:21], a[0:3] cbsz:4 abid:13
	v_cvt_pk_f32_fp8_sdwa v[20:21], v32 src0_sel:WORD_1
	v_cvt_pk_f32_fp8_sdwa v[24:25], v33 src0_sel:WORD_1
	v_perm_b32 v18, v19, v18, s6
	v_perm_b32 v19, v21, v20, s6
	;; [unrolled: 1-line block ×3, first 2 shown]
	s_nop 0
	v_mfma_f32_4x4x4_16b_bf16 a[0:3], v[34:35], v[18:19], a[0:3] cbsz:4 abid:14
	v_perm_b32 v21, v25, v24, s6
	s_nop 1
	v_mfma_f32_4x4x4_16b_bf16 a[0:3], v[34:35], v[20:21], a[0:3] cbsz:4 abid:15
	s_nop 4
	v_accvgpr_read_b32 v21, a1
	v_accvgpr_read_b32 v20, a0
	s_waitcnt lgkmcnt(0)
	v_pk_mul_f32 v[20:21], v[20:21], s[4:5] op_sel_hi:[1,0]
	v_accvgpr_read_b32 v19, a3
	v_accvgpr_read_b32 v18, a2
	v_bfe_u32 v22, v21, 16, 1
	v_bfe_u32 v23, v20, 16, 1
	v_pk_mul_f32 v[18:19], v[18:19], s[4:5] op_sel_hi:[1,0]
	v_add3_u32 v20, v20, v23, s1
	v_add3_u32 v21, v21, v22, s1
	v_perm_b32 v20, v21, v20, s6
	v_bfe_u32 v21, v19, 16, 1
	v_bfe_u32 v22, v18, 16, 1
	v_add3_u32 v18, v18, v22, s1
	v_add3_u32 v19, v19, v21, s1
	v_perm_b32 v21, v19, v18, s6
	v_mad_u32_u24 v18, v1, 40, v40
	ds_write_b64 v18, v[20:21]
	v_cvt_pk_f32_fp8_e32 v[18:19], v2
	v_cvt_pk_f32_fp8_sdwa v[20:21], v2 src0_sel:WORD_1
	v_cvt_pk_f32_fp8_e32 v[22:23], v3
	v_cvt_pk_f32_fp8_sdwa v[2:3], v3 src0_sel:WORD_1
	v_perm_b32 v18, v19, v18, s6
	v_perm_b32 v19, v21, v20, s6
	;; [unrolled: 1-line block ×4, first 2 shown]
	v_mfma_f32_4x4x4_16b_bf16 a[0:3], v[34:35], v[18:19], 0 cbsz:4
	v_cvt_pk_f32_fp8_e32 v[2:3], v4
	v_cvt_pk_f32_fp8_sdwa v[18:19], v4 src0_sel:WORD_1
	v_mfma_f32_4x4x4_16b_bf16 a[0:3], v[34:35], v[20:21], a[0:3] cbsz:4 abid:1
	v_cvt_pk_f32_fp8_e32 v[20:21], v5
	v_cvt_pk_f32_fp8_sdwa v[4:5], v5 src0_sel:WORD_1
	v_perm_b32 v2, v3, v2, s6
	v_perm_b32 v3, v19, v18, s6
	;; [unrolled: 1-line block ×4, first 2 shown]
	v_mfma_f32_4x4x4_16b_bf16 a[0:3], v[34:35], v[2:3], a[0:3] cbsz:4 abid:2
	v_cvt_pk_f32_fp8_e32 v[2:3], v6
	v_cvt_pk_f32_fp8_sdwa v[4:5], v6 src0_sel:WORD_1
	v_mfma_f32_4x4x4_16b_bf16 a[0:3], v[34:35], v[18:19], a[0:3] cbsz:4 abid:3
	v_cvt_pk_f32_fp8_e32 v[18:19], v7
	v_cvt_pk_f32_fp8_sdwa v[6:7], v7 src0_sel:WORD_1
	v_perm_b32 v2, v3, v2, s6
	v_perm_b32 v3, v5, v4, s6
	;; [unrolled: 1-line block ×4, first 2 shown]
	v_mfma_f32_4x4x4_16b_bf16 a[0:3], v[34:35], v[2:3], a[0:3] cbsz:4 abid:4
	v_cvt_pk_f32_fp8_e32 v[2:3], v8
	v_cvt_pk_f32_fp8_e32 v[6:7], v9
	v_mfma_f32_4x4x4_16b_bf16 a[0:3], v[34:35], v[4:5], a[0:3] cbsz:4 abid:5
	v_cvt_pk_f32_fp8_sdwa v[4:5], v8 src0_sel:WORD_1
	v_cvt_pk_f32_fp8_sdwa v[8:9], v9 src0_sel:WORD_1
	v_perm_b32 v2, v3, v2, s6
	v_perm_b32 v3, v5, v4, s6
	v_perm_b32 v4, v7, v6, s6
	s_nop 0
	v_mfma_f32_4x4x4_16b_bf16 a[0:3], v[34:35], v[2:3], a[0:3] cbsz:4 abid:6
	v_perm_b32 v5, v9, v8, s6
	v_cvt_pk_f32_fp8_e32 v[2:3], v10
	v_cvt_pk_f32_fp8_e32 v[6:7], v11
	v_mfma_f32_4x4x4_16b_bf16 a[0:3], v[34:35], v[4:5], a[0:3] cbsz:4 abid:7
	v_cvt_pk_f32_fp8_sdwa v[4:5], v10 src0_sel:WORD_1
	v_cvt_pk_f32_fp8_sdwa v[8:9], v11 src0_sel:WORD_1
	v_perm_b32 v2, v3, v2, s6
	v_perm_b32 v3, v5, v4, s6
	v_perm_b32 v4, v7, v6, s6
	s_nop 0
	v_mfma_f32_4x4x4_16b_bf16 a[0:3], v[34:35], v[2:3], a[0:3] cbsz:4 abid:8
	v_perm_b32 v5, v9, v8, s6
	v_cvt_pk_f32_fp8_e32 v[2:3], v12
	v_cvt_pk_f32_fp8_e32 v[6:7], v13
	v_mfma_f32_4x4x4_16b_bf16 a[0:3], v[34:35], v[4:5], a[0:3] cbsz:4 abid:9
	v_cvt_pk_f32_fp8_sdwa v[4:5], v12 src0_sel:WORD_1
	v_cvt_pk_f32_fp8_sdwa v[8:9], v13 src0_sel:WORD_1
	v_perm_b32 v2, v3, v2, s6
	v_perm_b32 v3, v5, v4, s6
	v_perm_b32 v4, v7, v6, s6
	s_nop 0
	v_mfma_f32_4x4x4_16b_bf16 a[0:3], v[34:35], v[2:3], a[0:3] cbsz:4 abid:10
	v_perm_b32 v5, v9, v8, s6
	s_waitcnt vmcnt(0)
	v_cvt_pk_f32_fp8_e32 v[2:3], v14
	v_cvt_pk_f32_fp8_e32 v[6:7], v15
	v_mfma_f32_4x4x4_16b_bf16 a[0:3], v[34:35], v[4:5], a[0:3] cbsz:4 abid:11
	v_cvt_pk_f32_fp8_sdwa v[4:5], v14 src0_sel:WORD_1
	v_cvt_pk_f32_fp8_sdwa v[8:9], v15 src0_sel:WORD_1
	v_perm_b32 v2, v3, v2, s6
	v_perm_b32 v3, v5, v4, s6
	;; [unrolled: 1-line block ×3, first 2 shown]
	s_nop 0
	v_mfma_f32_4x4x4_16b_bf16 a[0:3], v[34:35], v[2:3], a[0:3] cbsz:4 abid:12
	v_perm_b32 v5, v9, v8, s6
	v_cvt_pk_f32_fp8_e32 v[2:3], v16
	v_cvt_pk_f32_fp8_e32 v[6:7], v17
	v_mfma_f32_4x4x4_16b_bf16 a[0:3], v[34:35], v[4:5], a[0:3] cbsz:4 abid:13
	v_cvt_pk_f32_fp8_sdwa v[4:5], v16 src0_sel:WORD_1
	v_cvt_pk_f32_fp8_sdwa v[8:9], v17 src0_sel:WORD_1
	v_perm_b32 v2, v3, v2, s6
	v_perm_b32 v3, v5, v4, s6
	v_perm_b32 v4, v7, v6, s6
	s_nop 0
	v_mfma_f32_4x4x4_16b_bf16 a[0:3], v[34:35], v[2:3], a[0:3] cbsz:4 abid:14
	v_perm_b32 v5, v9, v8, s6
	s_nop 1
	v_mfma_f32_4x4x4_16b_bf16 a[0:3], v[34:35], v[4:5], a[0:3] cbsz:4 abid:15
	s_nop 4
	v_accvgpr_read_b32 v5, a1
	v_accvgpr_read_b32 v4, a0
	;; [unrolled: 1-line block ×4, first 2 shown]
	v_pk_mul_f32 v[4:5], v[4:5], s[4:5] op_sel_hi:[1,0]
	v_pk_mul_f32 v[2:3], v[2:3], s[4:5] op_sel_hi:[1,0]
	v_bfe_u32 v6, v5, 16, 1
	v_bfe_u32 v7, v4, 16, 1
	v_add3_u32 v4, v4, v7, s1
	v_add3_u32 v5, v5, v6, s1
	v_bfe_u32 v6, v3, 16, 1
	v_bfe_u32 v7, v2, 16, 1
	v_add3_u32 v2, v2, v7, s1
	v_add3_u32 v3, v3, v6, s1
	v_perm_b32 v39, v3, v2, s6
	v_perm_b32 v38, v5, v4, s6
.LBB1270_23:
	s_or_b64 exec, exec, s[2:3]
	s_waitcnt vmcnt(6)
	v_mad_u32_u24 v2, v1, 40, v40
	v_cmp_gt_u32_e32 vcc, 64, v0
	ds_write_b64 v2, v[38:39] offset:2560
	s_waitcnt lgkmcnt(0)
	s_barrier
	s_and_saveexec_b64 s[2:3], vcc
	s_cbranch_execz .LBB1270_25
; %bb.24:
	s_waitcnt vmcnt(4)
	v_mul_u32_u24_e32 v6, 40, v1
	ds_read2_b64 v[2:5], v6 offset1:1
	ds_read2_b64 v[6:9], v6 offset0:2 offset1:3
	s_mov_b32 s1, 0
	s_lshl_b32 s0, s0, 7
	s_lshl_b64 s[2:3], s[0:1], 1
	s_waitcnt vmcnt(2) lgkmcnt(1)
	v_and_b32_e32 v10, 0xffff0000, v2
	v_lshlrev_b32_e32 v3, 16, v3
	v_add_f32_e32 v10, 0, v10
	v_add_f32_e32 v3, 0, v3
	v_and_b32_e32 v10, 0xffff0000, v10
	v_and_b32_e32 v11, 0xffff0000, v4
	v_and_b32_e32 v3, 0xffff0000, v3
	v_add_f32_e32 v10, v10, v11
	v_lshlrev_b32_e32 v5, 16, v5
	v_and_b32_e32 v10, 0xffff0000, v10
	v_add_f32_e32 v3, v3, v5
	s_waitcnt lgkmcnt(0)
	v_and_b32_e32 v5, 0xffff0000, v6
	v_and_b32_e32 v3, 0xffff0000, v3
	v_add_f32_e32 v5, v10, v5
	v_lshlrev_b32_e32 v7, 16, v7
	v_and_b32_e32 v5, 0xffff0000, v5
	v_add_f32_e32 v3, v3, v7
	v_and_b32_e32 v7, 0xffff0000, v8
	v_add_f32_e32 v18, v5, v7
	v_mov_b32_e32 v7, 0xa00
	v_mad_u32_u24 v7, v1, 40, v7
	ds_read2_b64 v[10:13], v7 offset1:1
	v_and_b32_e32 v3, 0xffff0000, v3
	v_lshlrev_b32_e32 v5, 16, v9
	v_add_f32_e32 v9, v3, v5
	v_mov_b32_e32 v3, 0xa10
	v_mad_u32_u24 v1, v1, 40, v3
	s_waitcnt vmcnt(0)
	ds_read2_b64 v[14:17], v1 offset1:1
	s_waitcnt lgkmcnt(1)
	v_lshlrev_b32_e32 v1, 16, v10
	v_add_f32_e32 v1, 0, v1
	v_and_b32_e32 v3, 0xffff0000, v10
	v_and_b32_e32 v1, 0xffff0000, v1
	v_add_f32_e32 v3, 0, v3
	v_lshlrev_b32_e32 v5, 16, v11
	v_lshlrev_b32_e32 v7, 16, v12
	v_and_b32_e32 v3, 0xffff0000, v3
	v_add_f32_e32 v5, 0, v5
	v_add_f32_e32 v1, v1, v7
	v_and_b32_e32 v7, 0xffff0000, v12
	v_and_b32_e32 v5, 0xffff0000, v5
	v_add_f32_e32 v3, v3, v7
	v_lshlrev_b32_e32 v7, 16, v13
	v_and_b32_e32 v1, 0xffff0000, v1
	v_add_f32_e32 v5, v5, v7
	s_waitcnt lgkmcnt(0)
	v_lshlrev_b32_e32 v7, 16, v14
	v_and_b32_e32 v3, 0xffff0000, v3
	v_add_f32_e32 v1, v1, v7
	v_and_b32_e32 v7, 0xffff0000, v14
	v_and_b32_e32 v5, 0xffff0000, v5
	v_add_f32_e32 v3, v3, v7
	v_lshlrev_b32_e32 v7, 16, v15
	v_and_b32_e32 v1, 0xffff0000, v1
	v_add_f32_e32 v5, v5, v7
	v_lshlrev_b32_e32 v7, 16, v16
	v_and_b32_e32 v3, 0xffff0000, v3
	v_add_f32_e32 v10, v1, v7
	v_and_b32_e32 v1, 0xffff0000, v16
	v_and_b32_e32 v5, 0xffff0000, v5
	v_add_f32_e32 v11, v3, v1
	v_lshlrev_b32_e32 v1, 16, v17
	v_add_f32_e32 v12, v5, v1
	v_lshlrev_b32_e32 v1, 16, v2
	s_add_u32 s2, s26, s2
	v_add_f32_e32 v1, 0, v1
	s_addc_u32 s3, s27, s3
	s_lshl_b32 s0, s24, 7
	v_and_b32_e32 v1, 0xffff0000, v1
	v_lshlrev_b32_e32 v2, 16, v4
	s_lshl_b64 s[0:1], s[0:1], 1
	v_add_f32_e32 v1, v1, v2
	s_add_u32 s0, s2, s0
	v_and_b32_e32 v1, 0xffff0000, v1
	v_lshlrev_b32_e32 v2, 16, v6
	s_addc_u32 s1, s3, s1
	s_lshl_b32 s2, s5, 7
	v_add_f32_e32 v1, v1, v2
	v_and_b32_e32 v1, 0xffff0000, v1
	v_lshlrev_b32_e32 v2, 16, v8
	s_mul_i32 s3, s2, s8
	v_add_f32_e32 v1, v1, v2
	v_or_b32_e32 v2, s3, v0
	v_mov_b32_e32 v3, 0
	s_add_i32 s3, s3, s2
	v_lshl_add_u64 v[4:5], v[2:3], 1, s[0:1]
	v_or_b32_e32 v2, s3, v0
	s_add_i32 s3, s3, s2
	v_lshl_add_u64 v[6:7], v[2:3], 1, s[0:1]
	v_or_b32_e32 v2, s3, v0
	global_store_short_d16_hi v[4:5], v1, off
	v_lshl_add_u64 v[0:1], v[2:3], 1, s[0:1]
	global_store_short_d16_hi v[6:7], v18, off
	global_store_short_d16_hi v[0:1], v9, off
	global_store_short_d16_hi v[4:5], v10, off offset:128
	global_store_short_d16_hi v[6:7], v11, off offset:128
	;; [unrolled: 1-line block ×3, first 2 shown]
.LBB1270_25:
	s_endpgm
	.section	.rodata,"a",@progbits
	.p2align	6, 0x0
	.amdhsa_kernel _Z38paged_attention_ll4mi_QKV_mfma4_kernelI14__hip_bfloat16hLN4vllm18Fp8KVCacheDataTypeE1EhLi16ELi128ELi256ELb0ELi3EEvPKT_PKT0_S8_ifPKiSA_SA_iPKfiiiPfSD_PS3_PT2_iSC_SC_
		.amdhsa_group_segment_fixed_size 5280
		.amdhsa_private_segment_fixed_size 0
		.amdhsa_kernarg_size 400
		.amdhsa_user_sgpr_count 2
		.amdhsa_user_sgpr_dispatch_ptr 0
		.amdhsa_user_sgpr_queue_ptr 0
		.amdhsa_user_sgpr_kernarg_segment_ptr 1
		.amdhsa_user_sgpr_dispatch_id 0
		.amdhsa_user_sgpr_kernarg_preload_length 0
		.amdhsa_user_sgpr_kernarg_preload_offset 0
		.amdhsa_user_sgpr_private_segment_size 0
		.amdhsa_uses_dynamic_stack 0
		.amdhsa_enable_private_segment 0
		.amdhsa_system_sgpr_workgroup_id_x 1
		.amdhsa_system_sgpr_workgroup_id_y 1
		.amdhsa_system_sgpr_workgroup_id_z 1
		.amdhsa_system_sgpr_workgroup_info 0
		.amdhsa_system_vgpr_workitem_id 0
		.amdhsa_next_free_vgpr 68
		.amdhsa_next_free_sgpr 42
		.amdhsa_accum_offset 64
		.amdhsa_reserve_vcc 1
		.amdhsa_float_round_mode_32 0
		.amdhsa_float_round_mode_16_64 0
		.amdhsa_float_denorm_mode_32 3
		.amdhsa_float_denorm_mode_16_64 3
		.amdhsa_dx10_clamp 1
		.amdhsa_ieee_mode 1
		.amdhsa_fp16_overflow 0
		.amdhsa_tg_split 0
		.amdhsa_exception_fp_ieee_invalid_op 0
		.amdhsa_exception_fp_denorm_src 0
		.amdhsa_exception_fp_ieee_div_zero 0
		.amdhsa_exception_fp_ieee_overflow 0
		.amdhsa_exception_fp_ieee_underflow 0
		.amdhsa_exception_fp_ieee_inexact 0
		.amdhsa_exception_int_div_zero 0
	.end_amdhsa_kernel
	.section	.text._Z38paged_attention_ll4mi_QKV_mfma4_kernelI14__hip_bfloat16hLN4vllm18Fp8KVCacheDataTypeE1EhLi16ELi128ELi256ELb0ELi3EEvPKT_PKT0_S8_ifPKiSA_SA_iPKfiiiPfSD_PS3_PT2_iSC_SC_,"axG",@progbits,_Z38paged_attention_ll4mi_QKV_mfma4_kernelI14__hip_bfloat16hLN4vllm18Fp8KVCacheDataTypeE1EhLi16ELi128ELi256ELb0ELi3EEvPKT_PKT0_S8_ifPKiSA_SA_iPKfiiiPfSD_PS3_PT2_iSC_SC_,comdat
.Lfunc_end1270:
	.size	_Z38paged_attention_ll4mi_QKV_mfma4_kernelI14__hip_bfloat16hLN4vllm18Fp8KVCacheDataTypeE1EhLi16ELi128ELi256ELb0ELi3EEvPKT_PKT0_S8_ifPKiSA_SA_iPKfiiiPfSD_PS3_PT2_iSC_SC_, .Lfunc_end1270-_Z38paged_attention_ll4mi_QKV_mfma4_kernelI14__hip_bfloat16hLN4vllm18Fp8KVCacheDataTypeE1EhLi16ELi128ELi256ELb0ELi3EEvPKT_PKT0_S8_ifPKiSA_SA_iPKfiiiPfSD_PS3_PT2_iSC_SC_
                                        ; -- End function
	.section	.AMDGPU.csdata,"",@progbits
; Kernel info:
; codeLenInByte = 5944
; NumSgprs: 48
; NumVgprs: 64
; NumAgprs: 4
; TotalNumVgprs: 68
; ScratchSize: 0
; MemoryBound: 0
; FloatMode: 240
; IeeeMode: 1
; LDSByteSize: 5280 bytes/workgroup (compile time only)
; SGPRBlocks: 5
; VGPRBlocks: 8
; NumSGPRsForWavesPerEU: 48
; NumVGPRsForWavesPerEU: 68
; AccumOffset: 64
; Occupancy: 7
; WaveLimiterHint : 1
; COMPUTE_PGM_RSRC2:SCRATCH_EN: 0
; COMPUTE_PGM_RSRC2:USER_SGPR: 2
; COMPUTE_PGM_RSRC2:TRAP_HANDLER: 0
; COMPUTE_PGM_RSRC2:TGID_X_EN: 1
; COMPUTE_PGM_RSRC2:TGID_Y_EN: 1
; COMPUTE_PGM_RSRC2:TGID_Z_EN: 1
; COMPUTE_PGM_RSRC2:TIDIG_COMP_CNT: 0
; COMPUTE_PGM_RSRC3_GFX90A:ACCUM_OFFSET: 15
; COMPUTE_PGM_RSRC3_GFX90A:TG_SPLIT: 0
	.section	.text._Z38paged_attention_ll4mi_QKV_mfma4_kernelI14__hip_bfloat16hLN4vllm18Fp8KVCacheDataTypeE1EhLi16ELi128ELi256ELb0ELi4EEvPKT_PKT0_S8_ifPKiSA_SA_iPKfiiiPfSD_PS3_PT2_iSC_SC_,"axG",@progbits,_Z38paged_attention_ll4mi_QKV_mfma4_kernelI14__hip_bfloat16hLN4vllm18Fp8KVCacheDataTypeE1EhLi16ELi128ELi256ELb0ELi4EEvPKT_PKT0_S8_ifPKiSA_SA_iPKfiiiPfSD_PS3_PT2_iSC_SC_,comdat
	.protected	_Z38paged_attention_ll4mi_QKV_mfma4_kernelI14__hip_bfloat16hLN4vllm18Fp8KVCacheDataTypeE1EhLi16ELi128ELi256ELb0ELi4EEvPKT_PKT0_S8_ifPKiSA_SA_iPKfiiiPfSD_PS3_PT2_iSC_SC_ ; -- Begin function _Z38paged_attention_ll4mi_QKV_mfma4_kernelI14__hip_bfloat16hLN4vllm18Fp8KVCacheDataTypeE1EhLi16ELi128ELi256ELb0ELi4EEvPKT_PKT0_S8_ifPKiSA_SA_iPKfiiiPfSD_PS3_PT2_iSC_SC_
	.globl	_Z38paged_attention_ll4mi_QKV_mfma4_kernelI14__hip_bfloat16hLN4vllm18Fp8KVCacheDataTypeE1EhLi16ELi128ELi256ELb0ELi4EEvPKT_PKT0_S8_ifPKiSA_SA_iPKfiiiPfSD_PS3_PT2_iSC_SC_
	.p2align	8
	.type	_Z38paged_attention_ll4mi_QKV_mfma4_kernelI14__hip_bfloat16hLN4vllm18Fp8KVCacheDataTypeE1EhLi16ELi128ELi256ELb0ELi4EEvPKT_PKT0_S8_ifPKiSA_SA_iPKfiiiPfSD_PS3_PT2_iSC_SC_,@function
_Z38paged_attention_ll4mi_QKV_mfma4_kernelI14__hip_bfloat16hLN4vllm18Fp8KVCacheDataTypeE1EhLi16ELi128ELi256ELb0ELi4EEvPKT_PKT0_S8_ifPKiSA_SA_iPKfiiiPfSD_PS3_PT2_iSC_SC_: ; @_Z38paged_attention_ll4mi_QKV_mfma4_kernelI14__hip_bfloat16hLN4vllm18Fp8KVCacheDataTypeE1EhLi16ELi128ELi256ELb0ELi4EEvPKT_PKT0_S8_ifPKiSA_SA_iPKfiiiPfSD_PS3_PT2_iSC_SC_
; %bb.0:
	s_load_dwordx2 s[8:9], s[0:1], 0x30
	s_mov_b32 s24, s3
	s_mov_b64 s[6:7], 0
	s_waitcnt lgkmcnt(0)
	s_cmp_lg_u64 s[8:9], 0
	s_cselect_b64 s[10:11], -1, 0
	s_and_b64 vcc, exec, s[10:11]
	s_cbranch_vccz .LBB1271_20
; %bb.1:
	s_add_i32 s12, s2, 1
	s_mov_b32 s13, 0
	s_lshl_b64 s[14:15], s[12:13], 2
	s_add_u32 s14, s8, s14
	s_mov_b32 s3, s13
	s_addc_u32 s15, s9, s15
	s_lshl_b64 s[12:13], s[2:3], 2
	s_add_u32 s12, s8, s12
	s_addc_u32 s13, s9, s13
	s_load_dword s5, s[14:15], 0x0
	s_load_dword s16, s[12:13], 0x0
	s_mov_b64 s[34:35], s[2:3]
	s_waitcnt lgkmcnt(0)
	s_sub_i32 s5, s5, s16
	s_cmp_eq_u32 s5, 1
	s_cselect_b64 s[12:13], -1, 0
	s_andn2_b64 vcc, exec, s[6:7]
	s_cbranch_vccnz .LBB1271_3
.LBB1271_2:
	s_mov_b32 s3, 0
	s_mov_b64 s[12:13], -1
	s_mov_b64 s[34:35], s[2:3]
.LBB1271_3:
	s_andn2_b64 vcc, exec, s[12:13]
	s_cbranch_vccnz .LBB1271_19
; %bb.4:
	s_load_dword s3, s[0:1], 0x9c
	s_load_dwordx2 s[6:7], s[0:1], 0x28
	s_add_u32 s28, s0, 0x90
	s_addc_u32 s29, s1, 0
	s_lshl_b64 s[38:39], s[34:35], 2
	s_waitcnt lgkmcnt(0)
	s_and_b32 s5, s3, 0xffff
	s_add_u32 s6, s6, s38
	s_addc_u32 s7, s7, s39
	s_load_dword s3, s[6:7], 0x0
	s_mul_i32 s20, s24, s5
	s_waitcnt lgkmcnt(0)
	s_cmp_ge_i32 s20, s3
	s_cbranch_scc1 .LBB1271_19
; %bb.5:
	v_and_b32_e32 v1, 0xc0, v0
	v_add_u32_e32 v4, s20, v1
	v_lshrrev_b32_e32 v46, 6, v0
	v_cmp_le_i32_e64 s[6:7], s3, v4
                                        ; implicit-def: $sgpr22
                                        ; implicit-def: $sgpr21
	s_and_saveexec_b64 s[12:13], s[6:7]
	s_xor_b64 s[12:13], exec, s[12:13]
	s_cbranch_execz .LBB1271_7
; %bb.6:
	v_mul_u32_u24_e32 v1, 20, v46
	v_or_b32_e32 v1, 0x1400, v1
	v_mov_b32_e32 v2, 0x1450
	v_mov_b32_e32 v3, 0xff7fffff
	v_mad_u32_u24 v2, v46, 20, v2
	ds_write2_b32 v1, v3, v3 offset1:1
	v_mov_b32_e32 v1, 0
	ds_write2_b32 v2, v1, v1 offset1:1
	v_mov_b32_e32 v2, 0x1408
	v_mov_b32_e32 v4, 0x1458
	s_mov_b32 s21, 0xff7fffff
	s_mov_b32 s22, 0
	v_mad_u32_u24 v2, v46, 20, v2
	v_mad_u32_u24 v4, v46, 20, v4
	ds_write2_b32 v2, v3, v3 offset1:1
	ds_write2_b32 v4, v1, v1 offset1:1
                                        ; implicit-def: $vgpr4
.LBB1271_7:
	s_or_saveexec_b64 s[30:31], s[12:13]
	s_load_dwordx2 s[26:27], s[0:1], 0x68
	s_load_dwordx4 s[16:19], s[0:1], 0x58
	s_load_dword s5, s[28:29], 0x4
	s_load_dwordx4 s[12:15], s[0:1], 0x80
	v_and_b32_e32 v1, 63, v0
	v_and_b32_e32 v47, 3, v0
	v_mov_b32_e32 v37, s22
	v_mov_b32_e32 v41, s21
	v_mov_b32_e32 v36, s22
	v_mov_b32_e32 v35, s22
	v_mov_b32_e32 v34, s22
                                        ; implicit-def: $vgpr26_vgpr27
                                        ; implicit-def: $vgpr18_vgpr19
                                        ; implicit-def: $vgpr22_vgpr23
                                        ; implicit-def: $vgpr30_vgpr31
                                        ; implicit-def: $vgpr10_vgpr11
                                        ; implicit-def: $vgpr2_vgpr3
                                        ; implicit-def: $vgpr6_vgpr7
                                        ; implicit-def: $vgpr14_vgpr15
	s_xor_b64 exec, exec, s[30:31]
	s_cbranch_execz .LBB1271_13
; %bb.8:
	s_load_dwordx2 s[22:23], s[0:1], 0x20
	s_load_dword s21, s[0:1], 0x38
	s_add_i32 s25, s3, 15
	s_ashr_i32 s33, s25, 31
	s_lshr_b32 s33, s33, 28
	v_add_u32_e32 v48, s20, v0
	s_add_i32 s25, s25, s33
	v_ashrrev_i32_e32 v2, 31, v48
	s_ashr_i32 s25, s25, 4
	v_lshrrev_b32_e32 v2, 28, v2
	s_add_i32 s25, s25, -1
	s_waitcnt lgkmcnt(0)
	s_mul_i32 s40, s2, s21
	s_mov_b32 s41, 0
	v_add_u32_e32 v2, v48, v2
	s_lshl_b64 s[36:37], s[40:41], 2
	v_ashrrev_i32_e32 v2, 4, v2
	v_mov_b32_e32 v3, s25
	v_cmp_gt_i32_e32 vcc, s3, v48
	s_add_u32 s22, s22, s36
	s_addc_u32 s23, s23, s37
	v_cndmask_b32_e32 v2, v3, v2, vcc
	v_ashrrev_i32_e32 v3, 31, v2
	v_lshl_add_u64 v[8:9], v[2:3], 2, s[22:23]
	v_ashrrev_i32_e32 v2, 31, v4
	v_lshrrev_b32_e32 v2, 28, v2
	v_add_u32_e32 v2, v4, v2
	v_ashrrev_i32_e32 v4, 4, v2
	v_min_i32_e32 v2, s25, v4
	v_ashrrev_i32_e32 v3, 31, v2
	v_lshl_add_u64 v[10:11], v[2:3], 2, s[22:23]
	v_add_u32_e32 v2, 1, v4
	v_min_i32_e32 v2, s25, v2
	v_ashrrev_i32_e32 v3, 31, v2
	v_lshl_add_u64 v[12:13], v[2:3], 2, s[22:23]
	v_add_u32_e32 v2, 2, v4
	;; [unrolled: 4-line block ×3, first 2 shown]
	v_min_i32_e32 v2, s25, v2
	v_ashrrev_i32_e32 v3, 31, v2
	v_lshl_add_u64 v[16:17], v[2:3], 2, s[22:23]
	global_load_dword v6, v[8:9], off
	global_load_dword v2, v[10:11], off
	;; [unrolled: 1-line block ×5, first 2 shown]
	s_load_dwordx4 s[20:23], s[0:1], 0x0
	s_load_dwordx2 s[36:37], s[0:1], 0x10
	s_andn2_b64 vcc, exec, s[10:11]
	s_cbranch_vccnz .LBB1271_10
; %bb.9:
	s_add_u32 s8, s8, s38
	s_addc_u32 s9, s9, s39
	s_load_dword s40, s[8:9], 0x0
	s_waitcnt lgkmcnt(0)
	s_mov_b64 s[34:35], s[40:41]
.LBB1271_10:
	s_load_dwordx4 s[8:11], s[0:1], 0x48
	s_waitcnt lgkmcnt(0)
	s_load_dword s11, s[0:1], 0x1c
                                        ; kill: killed $sgpr0 killed $sgpr1
	v_mov_b32_e32 v11, 0
	v_mov_b32_e32 v19, v11
	;; [unrolled: 1-line block ×3, first 2 shown]
	s_ashr_i32 s1, s8, 31
	s_mul_hi_u32 s25, s34, s8
	s_mul_i32 s1, s34, s1
	s_mul_i32 s33, s35, s8
	s_add_i32 s1, s25, s1
	s_mul_i32 s0, s34, s8
	s_add_i32 s1, s1, s33
	s_lshl_b64 s[0:1], s[0:1], 1
	s_add_u32 s8, s20, s0
	s_addc_u32 s20, s21, s1
	s_lshl_b32 s40, s4, 9
	s_lshl_b64 s[0:1], s[40:41], 1
	s_add_u32 s0, s8, s0
	s_addc_u32 s1, s20, s1
	s_mul_i32 s8, s4, s10
	s_add_u32 s20, s8, s22
	s_addc_u32 s21, 0, s23
	v_mov_b64_e32 v[8:9], s[20:21]
	s_waitcnt vmcnt(4)
	v_mad_i64_i32 v[6:7], s[20:21], v6, s9, v[8:9]
	v_lshlrev_b32_e32 v8, 4, v0
	v_and_b32_e32 v10, 0xf0, v8
	v_lshl_add_u64 v[12:13], v[6:7], 0, v[10:11]
	v_lshlrev_b32_e32 v10, 2, v1
	v_and_b32_e32 v10, 0xf0, v10
	v_lshl_or_b32 v10, v47, 8, v10
	global_load_dwordx4 v[14:17], v[12:13], off
	global_load_dwordx4 v[6:9], v[12:13], off offset:256
	global_load_dwordx4 v[50:53], v10, s[0:1]
	global_load_dwordx4 v[30:33], v[12:13], off offset:512
	global_load_dwordx4 v[54:57], v[12:13], off offset:768
	;; [unrolled: 1-line block ×6, first 2 shown]
	s_waitcnt vmcnt(11)
	v_mul_hi_i32 v18, v3, s9
	s_waitcnt vmcnt(10)
	v_mul_hi_i32 v20, v4, s9
	;; [unrolled: 2-line block ×3, first 2 shown]
	v_mul_hi_i32 v10, v2, s9
	v_ashrrev_i32_e32 v18, 31, v18
	v_ashrrev_i32_e32 v20, 31, v20
	v_ashrrev_i32_e32 v22, 31, v22
	v_mov_b32_e32 v23, v11
	v_ashrrev_i32_e32 v10, 31, v10
	v_lshrrev_b32_e32 v18, 29, v18
	v_lshrrev_b32_e32 v20, 29, v20
	v_lshrrev_b32_e32 v22, 29, v22
	v_mad_i64_i32 v[18:19], s[20:21], v3, s9, v[18:19]
	v_mad_i64_i32 v[20:21], s[20:21], v4, s9, v[20:21]
	;; [unrolled: 1-line block ×3, first 2 shown]
	v_lshrrev_b32_e32 v10, 29, v10
	s_add_u32 s20, s36, s8
	v_mad_i64_i32 v[2:3], s[8:9], v2, s9, v[10:11]
	v_and_b32_e32 v18, -8, v18
	s_addc_u32 s21, s37, 0
	v_and_b32_e32 v2, -8, v2
	v_and_b32_e32 v20, -8, v20
	;; [unrolled: 1-line block ×3, first 2 shown]
	v_lshl_add_u64 v[18:19], s[20:21], 0, v[18:19]
	v_lshlrev_b32_e32 v10, 4, v1
	v_lshl_add_u64 v[22:23], s[20:21], 0, v[2:3]
	v_lshl_add_u64 v[20:21], s[20:21], 0, v[20:21]
	;; [unrolled: 1-line block ×7, first 2 shown]
	global_load_dwordx4 v[18:21], v[12:13], off
	global_load_dwordx4 v[2:5], v[12:13], off offset:1024
	global_load_dwordx4 v[26:29], v[22:23], off
	s_nop 0
	global_load_dwordx4 v[10:13], v[22:23], off offset:1024
	s_mov_b32 s0, 0x7060302
	v_cmp_eq_u32_e32 vcc, 0, v47
	s_waitcnt vmcnt(12)
	v_cvt_pk_f32_fp8_e32 v[22:23], v14
	v_cvt_pk_f32_fp8_sdwa v[24:25], v14 src0_sel:WORD_1
	v_cvt_pk_f32_fp8_e32 v[66:67], v15
	v_cvt_pk_f32_fp8_sdwa v[14:15], v15 src0_sel:WORD_1
	;; [unrolled: 2-line block ×3, first 2 shown]
	v_perm_b32 v22, v23, v22, s0
	v_perm_b32 v23, v25, v24, s0
	v_cvt_pk_f32_fp8_e32 v[72:73], v17
	v_cvt_pk_f32_fp8_sdwa v[16:17], v17 src0_sel:WORD_1
	s_waitcnt vmcnt(10)
	v_mfma_f32_4x4x4_16b_bf16 a[0:3], v[50:51], v[22:23], 0 cbsz:4
	v_perm_b32 v66, v67, v66, s0
	v_perm_b32 v67, v15, v14, s0
	v_cvt_pk_f32_fp8_e32 v[74:75], v6
	v_cvt_pk_f32_fp8_sdwa v[76:77], v6 src0_sel:WORD_1
	v_mfma_f32_4x4x4_16b_bf16 a[0:3], v[52:53], v[66:67], a[0:3] cbsz:4
	v_perm_b32 v68, v69, v68, s0
	v_perm_b32 v69, v71, v70, s0
	v_cvt_pk_f32_fp8_e32 v[78:79], v7
	v_cvt_pk_f32_fp8_sdwa v[6:7], v7 src0_sel:WORD_1
	v_mfma_f32_4x4x4_16b_bf16 a[0:3], v[50:51], v[68:69], a[0:3] cbsz:4 abid:1
	v_perm_b32 v72, v73, v72, s0
	v_perm_b32 v73, v17, v16, s0
	v_cvt_pk_f32_fp8_e32 v[24:25], v8
	v_cvt_pk_f32_fp8_sdwa v[14:15], v8 src0_sel:WORD_1
	v_mfma_f32_4x4x4_16b_bf16 a[0:3], v[52:53], v[72:73], a[0:3] cbsz:4 abid:1
	v_perm_b32 v16, v75, v74, s0
	v_perm_b32 v17, v77, v76, s0
	v_cvt_pk_f32_fp8_e32 v[70:71], v9
	v_perm_b32 v22, v79, v78, s0
	v_mfma_f32_4x4x4_16b_bf16 a[0:3], v[50:51], v[16:17], a[0:3] cbsz:4 abid:2
	v_perm_b32 v23, v7, v6, s0
	v_cvt_pk_f32_fp8_sdwa v[8:9], v9 src0_sel:WORD_1
	s_waitcnt vmcnt(9)
	v_cvt_pk_f32_fp8_sdwa v[16:17], v30 src0_sel:WORD_1
	v_mfma_f32_4x4x4_16b_bf16 a[0:3], v[52:53], v[22:23], a[0:3] cbsz:4 abid:2
	v_perm_b32 v6, v25, v24, s0
	v_perm_b32 v7, v15, v14, s0
	;; [unrolled: 1-line block ×4, first 2 shown]
	v_mfma_f32_4x4x4_16b_bf16 a[0:3], v[50:51], v[6:7], a[0:3] cbsz:4 abid:3
	v_cvt_pk_f32_fp8_e32 v[6:7], v30
	s_waitcnt vmcnt(8)
	v_cvt_pk_f32_fp8_e32 v[66:67], v57
	v_mfma_f32_4x4x4_16b_bf16 a[0:3], v[52:53], v[14:15], a[0:3] cbsz:4 abid:3
	v_perm_b32 v15, v17, v16, s0
	v_cvt_pk_f32_fp8_e32 v[16:17], v31
	v_cvt_pk_f32_fp8_sdwa v[30:31], v31 src0_sel:WORD_1
	v_perm_b32 v14, v7, v6, s0
	global_load_dwordx4 v[22:25], v[62:63], off
	global_load_dwordx4 v[6:9], v[62:63], off offset:1024
	v_mfma_f32_4x4x4_16b_bf16 a[0:3], v[50:51], v[14:15], a[0:3] cbsz:4 abid:4
	v_perm_b32 v16, v17, v16, s0
	v_perm_b32 v17, v31, v30, s0
	v_cvt_pk_f32_fp8_e32 v[14:15], v32
	v_cvt_pk_f32_fp8_e32 v[30:31], v33
	v_mfma_f32_4x4x4_16b_bf16 a[0:3], v[52:53], v[16:17], a[0:3] cbsz:4 abid:4
	v_cvt_pk_f32_fp8_sdwa v[16:17], v32 src0_sel:WORD_1
	v_cvt_pk_f32_fp8_sdwa v[32:33], v33 src0_sel:WORD_1
	v_perm_b32 v14, v15, v14, s0
	v_cvt_pk_f32_fp8_sdwa v[62:63], v56 src0_sel:WORD_1
	v_perm_b32 v15, v17, v16, s0
	v_perm_b32 v16, v31, v30, s0
	;; [unrolled: 1-line block ×3, first 2 shown]
	v_mfma_f32_4x4x4_16b_bf16 a[0:3], v[50:51], v[14:15], a[0:3] cbsz:4 abid:5
	v_cvt_pk_f32_fp8_e32 v[14:15], v54
	v_cvt_pk_f32_fp8_e32 v[30:31], v55
	v_mfma_f32_4x4x4_16b_bf16 a[0:3], v[52:53], v[16:17], a[0:3] cbsz:4 abid:5
	v_cvt_pk_f32_fp8_sdwa v[16:17], v54 src0_sel:WORD_1
	v_cvt_pk_f32_fp8_sdwa v[32:33], v55 src0_sel:WORD_1
	v_perm_b32 v14, v15, v14, s0
	v_cvt_pk_f32_fp8_e32 v[54:55], v56
	v_perm_b32 v15, v17, v16, s0
	v_cvt_pk_f32_fp8_sdwa v[56:57], v57 src0_sel:WORD_1
	v_perm_b32 v16, v31, v30, s0
	v_mfma_f32_4x4x4_16b_bf16 a[0:3], v[50:51], v[14:15], a[0:3] cbsz:4 abid:6
	v_perm_b32 v17, v33, v32, s0
	v_perm_b32 v54, v55, v54, s0
	;; [unrolled: 1-line block ×3, first 2 shown]
	v_mfma_f32_4x4x4_16b_bf16 a[0:3], v[52:53], v[16:17], a[0:3] cbsz:4 abid:6
	v_perm_b32 v63, v57, v56, s0
	s_waitcnt vmcnt(9)
	v_cvt_pk_f32_fp8_sdwa v[56:57], v58 src0_sel:WORD_1
	v_mfma_f32_4x4x4_16b_bf16 a[0:3], v[50:51], v[54:55], a[0:3] cbsz:4 abid:7
	v_cvt_pk_f32_fp8_e32 v[54:55], v58
	v_perm_b32 v62, v67, v66, s0
	global_load_dwordx4 v[30:33], v[64:65], off
	global_load_dwordx4 v[14:17], v[64:65], off offset:1024
	v_mfma_f32_4x4x4_16b_bf16 a[0:3], v[52:53], v[62:63], a[0:3] cbsz:4 abid:7
	v_cvt_pk_f32_fp8_e32 v[62:63], v59
	v_cvt_pk_f32_fp8_sdwa v[58:59], v59 src0_sel:WORD_1
	v_perm_b32 v54, v55, v54, s0
	v_perm_b32 v55, v57, v56, s0
	;; [unrolled: 1-line block ×4, first 2 shown]
	v_mfma_f32_4x4x4_16b_bf16 a[0:3], v[50:51], v[54:55], a[0:3] cbsz:4 abid:8
	v_cvt_pk_f32_fp8_e32 v[54:55], v60
	v_cvt_pk_f32_fp8_e32 v[58:59], v61
	v_mfma_f32_4x4x4_16b_bf16 a[0:3], v[52:53], v[56:57], a[0:3] cbsz:4 abid:8
	v_cvt_pk_f32_fp8_sdwa v[56:57], v60 src0_sel:WORD_1
	v_cvt_pk_f32_fp8_sdwa v[60:61], v61 src0_sel:WORD_1
	v_perm_b32 v54, v55, v54, s0
	v_perm_b32 v55, v57, v56, s0
	;; [unrolled: 1-line block ×3, first 2 shown]
	s_nop 0
	v_mfma_f32_4x4x4_16b_bf16 a[0:3], v[50:51], v[54:55], a[0:3] cbsz:4 abid:9
	s_waitcnt vmcnt(10)
	v_cvt_pk_f32_fp8_e32 v[54:55], v42
	v_perm_b32 v57, v61, v60, s0
	v_cvt_pk_f32_fp8_e32 v[58:59], v43
	s_nop 0
	v_mfma_f32_4x4x4_16b_bf16 a[0:3], v[52:53], v[56:57], a[0:3] cbsz:4 abid:9
	v_cvt_pk_f32_fp8_sdwa v[56:57], v42 src0_sel:WORD_1
	v_perm_b32 v42, v55, v54, s0
	v_cvt_pk_f32_fp8_sdwa v[54:55], v43 src0_sel:WORD_1
	v_perm_b32 v43, v57, v56, s0
	v_perm_b32 v56, v59, v58, s0
	s_nop 0
	v_mfma_f32_4x4x4_16b_bf16 a[0:3], v[50:51], v[42:43], a[0:3] cbsz:4 abid:10
	v_perm_b32 v57, v55, v54, s0
	v_cvt_pk_f32_fp8_e32 v[42:43], v44
	v_cvt_pk_f32_fp8_sdwa v[54:55], v44 src0_sel:WORD_1
	v_mfma_f32_4x4x4_16b_bf16 a[0:3], v[52:53], v[56:57], a[0:3] cbsz:4 abid:10
	v_cvt_pk_f32_fp8_e32 v[56:57], v45
	v_cvt_pk_f32_fp8_sdwa v[44:45], v45 src0_sel:WORD_1
	v_perm_b32 v42, v43, v42, s0
	v_perm_b32 v43, v55, v54, s0
	;; [unrolled: 1-line block ×4, first 2 shown]
	v_mfma_f32_4x4x4_16b_bf16 a[0:3], v[50:51], v[42:43], a[0:3] cbsz:4 abid:11
	s_waitcnt vmcnt(9)
	v_cvt_pk_f32_fp8_e32 v[42:43], v38
	v_cvt_pk_f32_fp8_sdwa v[44:45], v38 src0_sel:WORD_1
	v_mfma_f32_4x4x4_16b_bf16 a[0:3], v[52:53], v[54:55], a[0:3] cbsz:4 abid:11
	v_cvt_pk_f32_fp8_e32 v[54:55], v39
	v_perm_b32 v38, v43, v42, s0
	v_cvt_pk_f32_fp8_sdwa v[42:43], v39 src0_sel:WORD_1
	v_perm_b32 v39, v45, v44, s0
	v_perm_b32 v44, v55, v54, s0
	;; [unrolled: 1-line block ×3, first 2 shown]
	v_mfma_f32_4x4x4_16b_bf16 a[0:3], v[50:51], v[38:39], a[0:3] cbsz:4 abid:12
	v_cvt_pk_f32_fp8_e32 v[38:39], v40
	v_cvt_pk_f32_fp8_sdwa v[42:43], v40 src0_sel:WORD_1
	v_mfma_f32_4x4x4_16b_bf16 a[0:3], v[52:53], v[44:45], a[0:3] cbsz:4 abid:12
	v_cvt_pk_f32_fp8_e32 v[44:45], v41
	v_cvt_pk_f32_fp8_sdwa v[40:41], v41 src0_sel:WORD_1
	v_perm_b32 v38, v39, v38, s0
	v_perm_b32 v39, v43, v42, s0
	;; [unrolled: 1-line block ×4, first 2 shown]
	v_mfma_f32_4x4x4_16b_bf16 a[0:3], v[50:51], v[38:39], a[0:3] cbsz:4 abid:13
	s_waitcnt vmcnt(8)
	v_cvt_pk_f32_fp8_e32 v[38:39], v34
	v_cvt_pk_f32_fp8_sdwa v[40:41], v34 src0_sel:WORD_1
	v_mfma_f32_4x4x4_16b_bf16 a[0:3], v[52:53], v[42:43], a[0:3] cbsz:4 abid:13
	v_cvt_pk_f32_fp8_e32 v[42:43], v35
	v_perm_b32 v34, v39, v38, s0
	v_cvt_pk_f32_fp8_sdwa v[38:39], v35 src0_sel:WORD_1
	v_perm_b32 v35, v41, v40, s0
	v_perm_b32 v40, v43, v42, s0
	;; [unrolled: 1-line block ×3, first 2 shown]
	v_mfma_f32_4x4x4_16b_bf16 a[0:3], v[50:51], v[34:35], a[0:3] cbsz:4 abid:14
	v_cvt_pk_f32_fp8_e32 v[34:35], v36
	v_cvt_pk_f32_fp8_sdwa v[38:39], v36 src0_sel:WORD_1
	v_mfma_f32_4x4x4_16b_bf16 a[0:3], v[52:53], v[40:41], a[0:3] cbsz:4 abid:14
	v_cvt_pk_f32_fp8_e32 v[40:41], v37
	v_cvt_pk_f32_fp8_sdwa v[36:37], v37 src0_sel:WORD_1
	v_perm_b32 v34, v35, v34, s0
	v_perm_b32 v35, v39, v38, s0
	;; [unrolled: 1-line block ×4, first 2 shown]
	v_mfma_f32_4x4x4_16b_bf16 a[0:3], v[50:51], v[34:35], a[0:3] cbsz:4 abid:15
	s_load_dword s0, s[12:13], 0x0
	s_waitcnt lgkmcnt(0)
	v_mov_b32_e32 v34, s11
	v_mfma_f32_4x4x4_16b_bf16 a[0:3], v[52:53], v[38:39], a[0:3] cbsz:4 abid:15
	v_mul_f32_e32 v36, s0, v34
	s_nop 3
	v_accvgpr_read_b32 v39, a1
	v_accvgpr_read_b32 v38, a0
	v_pk_mul_f32 v[38:39], v[38:39], v[36:37] op_sel_hi:[1,0]
	v_accvgpr_read_b32 v35, a3
	v_accvgpr_read_b32 v34, a2
	v_pk_mul_f32 v[34:35], v[34:35], v[36:37] op_sel_hi:[1,0]
	v_cndmask_b32_e64 v36, 0, 1.0, vcc
	v_cmp_eq_u32_e32 vcc, 1, v47
	s_nop 0
	v_mfma_f32_4x4x1_16b_f32 a[0:3], v38, v36, 0
	v_cndmask_b32_e64 v36, 0, 1.0, vcc
	v_cmp_eq_u32_e32 vcc, 2, v47
	v_mov_b32_e32 v38, 0xff7fffff
	v_mfma_f32_4x4x1_16b_f32 a[0:3], v39, v36, a[0:3]
	v_cndmask_b32_e64 v36, 0, 1.0, vcc
	v_cmp_eq_u32_e32 vcc, 3, v47
	s_nop 0
	v_mfma_f32_4x4x1_16b_f32 a[0:3], v34, v36, a[0:3]
	v_cndmask_b32_e64 v34, 0, 1.0, vcc
	s_nop 1
	v_mfma_f32_4x4x1_16b_f32 a[0:3], v35, v34, a[0:3]
	v_and_b32_e32 v34, -4, v48
	v_cmp_gt_i32_e32 vcc, s3, v34
	v_lshlrev_b32_e32 v35, 2, v0
	v_and_or_b32 v35, v35, 48, v47
	v_accvgpr_read_b32 v36, a0
	v_max_f32_e32 v37, v36, v36
	v_max_f32_e32 v37, 0xff7fffff, v37
	v_accvgpr_read_b32 v39, a1
	v_cndmask_b32_e32 v37, v38, v37, vcc
	v_or_b32_e32 v38, 1, v34
	v_max_f32_e32 v40, v39, v39
	v_max_f32_e32 v40, v37, v40
	v_cmp_gt_i32_e64 s[0:1], s3, v38
	v_accvgpr_read_b32 v38, a2
	v_or_b32_e32 v34, 2, v34
	v_cndmask_b32_e64 v37, v37, v40, s[0:1]
	v_max_f32_e32 v40, v38, v38
	v_max_f32_e32 v40, v37, v40
	v_cmp_gt_i32_e64 s[8:9], s3, v34
	v_lshlrev_b32_e32 v42, 2, v35
	s_nop 0
	v_cndmask_b32_e64 v34, v37, v40, s[8:9]
	v_accvgpr_read_b32 v40, a3
	v_or_b32_e32 v37, 3, v48
	v_max_f32_e32 v41, v40, v40
	v_max_f32_e32 v41, v34, v41
	v_cmp_gt_i32_e64 s[10:11], s3, v37
	s_nop 1
	v_cndmask_b32_e64 v34, v34, v41, s[10:11]
	;;#ASMSTART
	v_nop
 v_nop
 v_max_f32_dpp v34, v34, v34 row_ror:4
	;;#ASMEND
	s_nop 0
	;;#ASMSTART
	v_nop
 v_nop
 v_max_f32_dpp v34, v34, v34 row_ror:8
	;;#ASMEND
	ds_bpermute_b32 v34, v42, v34
	s_waitcnt lgkmcnt(0)
	;;#ASMSTART
	v_nop
 v_nop
 v_max_f32_dpp v34, v34, v34 row_ror:4
	;;#ASMEND
	s_nop 0
	;;#ASMSTART
	v_nop
 v_nop
 v_max_f32_dpp v41, v34, v34 row_ror:8
	;;#ASMEND
	s_nop 0
	v_sub_f32_e32 v34, v36, v41
	v_mul_f32_e32 v34, 0x3fb8aa3b, v34
	v_sub_f32_e32 v35, v39, v41
	v_exp_f32_e32 v34, v34
	v_mul_f32_e32 v35, 0x3fb8aa3b, v35
	v_sub_f32_e32 v37, v38, v41
	v_exp_f32_e32 v35, v35
	v_mul_f32_e32 v37, 0x3fb8aa3b, v37
	v_sub_f32_e32 v38, v40, v41
	v_exp_f32_e32 v37, v37
	v_mul_f32_e32 v38, 0x3fb8aa3b, v38
	v_exp_f32_e32 v38, v38
	v_cndmask_b32_e32 v34, 0, v34, vcc
	v_add_f32_e32 v36, 0, v34
	v_cndmask_b32_e64 v35, 0, v35, s[0:1]
	v_add_f32_e32 v39, v36, v35
	v_cndmask_b32_e64 v36, 0, v37, s[8:9]
	;; [unrolled: 2-line block ×3, first 2 shown]
	v_add_f32_e32 v38, v39, v37
	;;#ASMSTART
	v_nop
 v_nop
 v_add_f32_dpp v38, v38, v38 row_ror:4
	;;#ASMEND
	v_cmp_gt_u32_e32 vcc, 4, v1
	;;#ASMSTART
	v_nop
 v_nop
 v_add_f32_dpp v38, v38, v38 row_ror:8
	;;#ASMEND
	ds_bpermute_b32 v38, v42, v38
	s_waitcnt lgkmcnt(0)
	;;#ASMSTART
	v_nop
 v_nop
 v_add_f32_dpp v38, v38, v38 row_ror:4
	;;#ASMEND
	s_nop 0
	;;#ASMSTART
	v_nop
 v_nop
 v_add_f32_dpp v38, v38, v38 row_ror:8
	;;#ASMEND
	s_and_saveexec_b64 s[0:1], vcc
	s_cbranch_execz .LBB1271_12
; %bb.11:
	v_mul_u32_u24_e32 v39, 20, v46
	v_lshl_add_u32 v39, v47, 2, v39
	v_add_u32_e32 v39, 0x1400, v39
	ds_write2_b32 v39, v41, v38 offset1:20
.LBB1271_12:
	s_or_b64 exec, exec, s[0:1]
.LBB1271_13:
	s_or_b64 exec, exec, s[30:31]
	v_lshlrev_b32_e32 v38, 2, v47
	v_add_u32_e32 v40, 0x1400, v38
	s_waitcnt lgkmcnt(0)
	s_barrier
	s_load_dword s0, s[28:29], 0x8
	ds_read2_b32 v[38:39], v40 offset1:5
	ds_read2_b32 v[44:45], v40 offset0:10 offset1:15
	s_mov_b32 s10, 0xff7fffff
	s_mul_i32 s1, s2, s5
	ds_read2_b32 v[48:49], v40 offset0:20 offset1:25
	s_waitcnt lgkmcnt(0)
	v_max3_f32 v42, v38, s10, v39
	v_max3_f32 v42, v42, v44, v45
	v_sub_f32_e32 v38, v38, v42
	v_mul_f32_e32 v38, 0x3fb8aa3b, v38
	s_mul_i32 s1, s1, s0
	v_exp_f32_e32 v43, v38
	v_sub_f32_e32 v38, v39, v42
	s_lshl_b32 s0, s1, 2
	s_mov_b32 s1, 0
	v_mul_f32_e32 v38, 0x3fb8aa3b, v38
	s_lshl_b32 s8, s4, 2
	s_lshl_b64 s[2:3], s[0:1], 2
	v_exp_f32_e32 v50, v38
	ds_read2_b32 v[38:39], v40 offset0:30 offset1:35
	v_sub_f32_e32 v40, v44, v42
	s_add_u32 s4, s16, s2
	v_mul_f32_e32 v40, 0x3fb8aa3b, v40
	v_sub_f32_e32 v44, v45, v42
	s_addc_u32 s9, s17, s3
	v_exp_f32_e32 v40, v40
	v_mul_f32_e32 v44, 0x3fb8aa3b, v44
	s_mov_b32 s25, s1
	s_add_u32 s10, s18, s2
	v_exp_f32_e32 v44, v44
	s_addc_u32 s11, s19, s3
	s_lshl_b64 s[2:3], s[24:25], 2
	v_fma_f32 v43, v43, v48, 0
	s_add_u32 s10, s10, s2
	v_fmac_f32_e32 v43, v50, v49
	s_addc_u32 s11, s11, s3
	s_waitcnt lgkmcnt(0)
	v_fmac_f32_e32 v43, v40, v38
	v_or_b32_e32 v38, s8, v47
	v_fmac_f32_e32 v43, v44, v39
	s_add_u32 s2, s4, s2
	v_mul_lo_u32 v38, s5, v38
	v_mov_b32_e32 v39, 0
	s_addc_u32 s3, s9, s3
	v_lshlrev_b64 v[44:45], 2, v[38:39]
	v_lshl_add_u64 v[48:49], s[10:11], 0, v[44:45]
	v_lshl_add_u64 v[44:45], s[2:3], 0, v[44:45]
	v_lshlrev_b32_e32 v40, 3, v46
	global_store_dword v[48:49], v42, off
	global_store_dword v[44:45], v43, off
	s_and_saveexec_b64 s[2:3], s[6:7]
	s_xor_b64 s[2:3], exec, s[2:3]
	s_cbranch_execz .LBB1271_15
; %bb.14:
	s_waitcnt vmcnt(8)
	v_mad_u32_u24 v2, v1, 40, v40
	v_mov_b32_e32 v38, v39
	ds_write_b64 v2, v[38:39]
                                        ; implicit-def: $vgpr37
                                        ; implicit-def: $vgpr35
                                        ; implicit-def: $vgpr41
                                        ; implicit-def: $vgpr26_vgpr27
                                        ; implicit-def: $vgpr18_vgpr19
                                        ; implicit-def: $vgpr22_vgpr23
                                        ; implicit-def: $vgpr30_vgpr31
                                        ; implicit-def: $vgpr10_vgpr11
                                        ; implicit-def: $vgpr2_vgpr3
                                        ; implicit-def: $vgpr6_vgpr7
                                        ; implicit-def: $vgpr14_vgpr15
                                        ; implicit-def: $vgpr42
                                        ; implicit-def: $vgpr43
.LBB1271_15:
	s_or_saveexec_b64 s[2:3], s[2:3]
	v_mov_b32_e32 v38, s1
	v_mov_b32_e32 v39, s1
	s_xor_b64 exec, exec, s[2:3]
	s_cbranch_execz .LBB1271_17
; %bb.16:
	v_add_f32_e32 v38, 0x358637bd, v43
	v_div_scale_f32 v39, s[6:7], v38, v38, 1.0
	v_rcp_f32_e32 v43, v39
	v_sub_f32_e32 v41, v41, v42
	v_mul_f32_e32 v41, 0x3fb8aa3b, v41
	v_exp_f32_e32 v41, v41
	v_fma_f32 v42, -v39, v43, 1.0
	v_fmac_f32_e32 v43, v42, v43
	v_div_scale_f32 v42, vcc, 1.0, v38, 1.0
	v_mul_f32_e32 v44, v42, v43
	v_fma_f32 v45, -v39, v44, v42
	v_fmac_f32_e32 v44, v45, v43
	v_fma_f32 v39, -v39, v44, v42
	v_div_fmas_f32 v39, v39, v43, v44
	v_div_fixup_f32 v38, v39, v38, 1.0
	v_mul_f32_e32 v38, v41, v38
	v_pk_mul_f32 v[34:35], v[34:35], v[38:39] op_sel_hi:[1,0]
	v_pk_mul_f32 v[36:37], v[36:37], v[38:39] op_sel_hi:[1,0]
	v_bfe_u32 v38, v35, 16, 1
	v_bfe_u32 v39, v34, 16, 1
	s_movk_i32 s1, 0x7fff
	v_add3_u32 v34, v34, v39, s1
	v_add3_u32 v35, v35, v38, s1
	s_mov_b32 s6, 0x7060302
	v_perm_b32 v34, v35, v34, s6
	v_bfe_u32 v35, v37, 16, 1
	v_bfe_u32 v38, v36, 16, 1
	v_add3_u32 v36, v36, v38, s1
	v_add3_u32 v35, v37, v35, s1
	v_perm_b32 v35, v35, v36, s6
	s_waitcnt vmcnt(7)
	v_cvt_pk_f32_fp8_e32 v[36:37], v26
	v_cvt_pk_f32_fp8_sdwa v[38:39], v26 src0_sel:WORD_1
	v_cvt_pk_f32_fp8_e32 v[42:43], v27
	v_cvt_pk_f32_fp8_sdwa v[26:27], v27 src0_sel:WORD_1
	v_perm_b32 v36, v37, v36, s6
	v_perm_b32 v37, v39, v38, s6
	;; [unrolled: 1-line block ×4, first 2 shown]
	v_mfma_f32_4x4x4_16b_bf16 a[0:3], v[34:35], v[36:37], 0 cbsz:4
	v_cvt_pk_f32_fp8_e32 v[26:27], v28
	v_cvt_pk_f32_fp8_sdwa v[36:37], v28 src0_sel:WORD_1
	v_mfma_f32_4x4x4_16b_bf16 a[0:3], v[34:35], v[38:39], a[0:3] cbsz:4 abid:1
	v_cvt_pk_f32_fp8_e32 v[38:39], v29
	v_cvt_pk_f32_fp8_sdwa v[28:29], v29 src0_sel:WORD_1
	v_perm_b32 v26, v27, v26, s6
	v_perm_b32 v27, v37, v36, s6
	v_perm_b32 v36, v39, v38, s6
	v_perm_b32 v37, v29, v28, s6
	v_mfma_f32_4x4x4_16b_bf16 a[0:3], v[34:35], v[26:27], a[0:3] cbsz:4 abid:2
	v_cvt_pk_f32_fp8_e32 v[26:27], v18
	v_cvt_pk_f32_fp8_sdwa v[28:29], v18 src0_sel:WORD_1
	v_mfma_f32_4x4x4_16b_bf16 a[0:3], v[34:35], v[36:37], a[0:3] cbsz:4 abid:3
	v_cvt_pk_f32_fp8_e32 v[36:37], v19
	v_cvt_pk_f32_fp8_sdwa v[18:19], v19 src0_sel:WORD_1
	v_perm_b32 v26, v27, v26, s6
	v_perm_b32 v27, v29, v28, s6
	v_perm_b32 v28, v37, v36, s6
	v_perm_b32 v29, v19, v18, s6
	v_mfma_f32_4x4x4_16b_bf16 a[0:3], v[34:35], v[26:27], a[0:3] cbsz:4 abid:4
	;; [unrolled: 10-line block ×3, first 2 shown]
	s_waitcnt vmcnt(5)
	v_cvt_pk_f32_fp8_e32 v[18:19], v22
	v_cvt_pk_f32_fp8_sdwa v[20:21], v22 src0_sel:WORD_1
	v_mfma_f32_4x4x4_16b_bf16 a[0:3], v[34:35], v[26:27], a[0:3] cbsz:4 abid:7
	v_cvt_pk_f32_fp8_e32 v[26:27], v23
	v_cvt_pk_f32_fp8_sdwa v[22:23], v23 src0_sel:WORD_1
	v_perm_b32 v18, v19, v18, s6
	v_perm_b32 v19, v21, v20, s6
	;; [unrolled: 1-line block ×4, first 2 shown]
	v_mfma_f32_4x4x4_16b_bf16 a[0:3], v[34:35], v[18:19], a[0:3] cbsz:4 abid:8
	v_cvt_pk_f32_fp8_e32 v[18:19], v24
	v_cvt_pk_f32_fp8_e32 v[22:23], v25
	v_mfma_f32_4x4x4_16b_bf16 a[0:3], v[34:35], v[20:21], a[0:3] cbsz:4 abid:9
	v_cvt_pk_f32_fp8_sdwa v[20:21], v24 src0_sel:WORD_1
	v_cvt_pk_f32_fp8_sdwa v[24:25], v25 src0_sel:WORD_1
	v_perm_b32 v18, v19, v18, s6
	s_load_dword s4, s[14:15], 0x0
	v_perm_b32 v19, v21, v20, s6
	v_perm_b32 v20, v23, v22, s6
	;; [unrolled: 1-line block ×3, first 2 shown]
	v_mfma_f32_4x4x4_16b_bf16 a[0:3], v[34:35], v[18:19], a[0:3] cbsz:4 abid:10
	s_waitcnt vmcnt(3)
	v_cvt_pk_f32_fp8_e32 v[18:19], v30
	v_cvt_pk_f32_fp8_e32 v[22:23], v31
	v_mfma_f32_4x4x4_16b_bf16 a[0:3], v[34:35], v[20:21], a[0:3] cbsz:4 abid:11
	v_cvt_pk_f32_fp8_sdwa v[20:21], v30 src0_sel:WORD_1
	v_cvt_pk_f32_fp8_sdwa v[24:25], v31 src0_sel:WORD_1
	v_perm_b32 v18, v19, v18, s6
	v_perm_b32 v19, v21, v20, s6
	;; [unrolled: 1-line block ×3, first 2 shown]
	s_nop 0
	v_mfma_f32_4x4x4_16b_bf16 a[0:3], v[34:35], v[18:19], a[0:3] cbsz:4 abid:12
	v_perm_b32 v21, v25, v24, s6
	v_cvt_pk_f32_fp8_e32 v[18:19], v32
	v_cvt_pk_f32_fp8_e32 v[22:23], v33
	v_mfma_f32_4x4x4_16b_bf16 a[0:3], v[34:35], v[20:21], a[0:3] cbsz:4 abid:13
	v_cvt_pk_f32_fp8_sdwa v[20:21], v32 src0_sel:WORD_1
	v_cvt_pk_f32_fp8_sdwa v[24:25], v33 src0_sel:WORD_1
	v_perm_b32 v18, v19, v18, s6
	v_perm_b32 v19, v21, v20, s6
	v_perm_b32 v20, v23, v22, s6
	s_nop 0
	v_mfma_f32_4x4x4_16b_bf16 a[0:3], v[34:35], v[18:19], a[0:3] cbsz:4 abid:14
	v_perm_b32 v21, v25, v24, s6
	s_nop 1
	v_mfma_f32_4x4x4_16b_bf16 a[0:3], v[34:35], v[20:21], a[0:3] cbsz:4 abid:15
	s_nop 4
	v_accvgpr_read_b32 v21, a1
	v_accvgpr_read_b32 v20, a0
	s_waitcnt lgkmcnt(0)
	v_pk_mul_f32 v[20:21], v[20:21], s[4:5] op_sel_hi:[1,0]
	v_accvgpr_read_b32 v19, a3
	v_accvgpr_read_b32 v18, a2
	v_bfe_u32 v22, v21, 16, 1
	v_bfe_u32 v23, v20, 16, 1
	v_pk_mul_f32 v[18:19], v[18:19], s[4:5] op_sel_hi:[1,0]
	v_add3_u32 v20, v20, v23, s1
	v_add3_u32 v21, v21, v22, s1
	v_perm_b32 v20, v21, v20, s6
	v_bfe_u32 v21, v19, 16, 1
	v_bfe_u32 v22, v18, 16, 1
	v_add3_u32 v18, v18, v22, s1
	v_add3_u32 v19, v19, v21, s1
	v_perm_b32 v21, v19, v18, s6
	v_mad_u32_u24 v18, v1, 40, v40
	ds_write_b64 v18, v[20:21]
	v_cvt_pk_f32_fp8_e32 v[18:19], v10
	v_cvt_pk_f32_fp8_sdwa v[20:21], v10 src0_sel:WORD_1
	v_cvt_pk_f32_fp8_e32 v[22:23], v11
	v_cvt_pk_f32_fp8_sdwa v[10:11], v11 src0_sel:WORD_1
	v_perm_b32 v18, v19, v18, s6
	v_perm_b32 v19, v21, v20, s6
	;; [unrolled: 1-line block ×4, first 2 shown]
	v_mfma_f32_4x4x4_16b_bf16 a[0:3], v[34:35], v[18:19], 0 cbsz:4
	v_cvt_pk_f32_fp8_e32 v[10:11], v12
	v_cvt_pk_f32_fp8_sdwa v[18:19], v12 src0_sel:WORD_1
	v_mfma_f32_4x4x4_16b_bf16 a[0:3], v[34:35], v[20:21], a[0:3] cbsz:4 abid:1
	v_cvt_pk_f32_fp8_e32 v[20:21], v13
	v_cvt_pk_f32_fp8_sdwa v[12:13], v13 src0_sel:WORD_1
	v_perm_b32 v10, v11, v10, s6
	v_perm_b32 v11, v19, v18, s6
	v_perm_b32 v18, v21, v20, s6
	v_perm_b32 v19, v13, v12, s6
	v_mfma_f32_4x4x4_16b_bf16 a[0:3], v[34:35], v[10:11], a[0:3] cbsz:4 abid:2
	v_cvt_pk_f32_fp8_e32 v[10:11], v2
	v_cvt_pk_f32_fp8_sdwa v[12:13], v2 src0_sel:WORD_1
	v_mfma_f32_4x4x4_16b_bf16 a[0:3], v[34:35], v[18:19], a[0:3] cbsz:4 abid:3
	v_cvt_pk_f32_fp8_e32 v[18:19], v3
	v_cvt_pk_f32_fp8_sdwa v[2:3], v3 src0_sel:WORD_1
	v_perm_b32 v10, v11, v10, s6
	v_perm_b32 v11, v13, v12, s6
	v_perm_b32 v12, v19, v18, s6
	v_perm_b32 v13, v3, v2, s6
	v_mfma_f32_4x4x4_16b_bf16 a[0:3], v[34:35], v[10:11], a[0:3] cbsz:4 abid:4
	;; [unrolled: 10-line block ×4, first 2 shown]
	v_cvt_pk_f32_fp8_e32 v[2:3], v8
	v_cvt_pk_f32_fp8_e32 v[6:7], v9
	v_mfma_f32_4x4x4_16b_bf16 a[0:3], v[34:35], v[4:5], a[0:3] cbsz:4 abid:9
	v_cvt_pk_f32_fp8_sdwa v[4:5], v8 src0_sel:WORD_1
	v_cvt_pk_f32_fp8_sdwa v[8:9], v9 src0_sel:WORD_1
	v_perm_b32 v2, v3, v2, s6
	v_perm_b32 v3, v5, v4, s6
	;; [unrolled: 1-line block ×3, first 2 shown]
	s_nop 0
	v_mfma_f32_4x4x4_16b_bf16 a[0:3], v[34:35], v[2:3], a[0:3] cbsz:4 abid:10
	v_perm_b32 v5, v9, v8, s6
	s_waitcnt vmcnt(2)
	v_cvt_pk_f32_fp8_e32 v[2:3], v14
	v_cvt_pk_f32_fp8_e32 v[6:7], v15
	v_mfma_f32_4x4x4_16b_bf16 a[0:3], v[34:35], v[4:5], a[0:3] cbsz:4 abid:11
	v_cvt_pk_f32_fp8_sdwa v[4:5], v14 src0_sel:WORD_1
	v_cvt_pk_f32_fp8_sdwa v[8:9], v15 src0_sel:WORD_1
	v_perm_b32 v2, v3, v2, s6
	v_perm_b32 v3, v5, v4, s6
	;; [unrolled: 1-line block ×3, first 2 shown]
	s_nop 0
	v_mfma_f32_4x4x4_16b_bf16 a[0:3], v[34:35], v[2:3], a[0:3] cbsz:4 abid:12
	v_perm_b32 v5, v9, v8, s6
	v_cvt_pk_f32_fp8_e32 v[2:3], v16
	v_cvt_pk_f32_fp8_e32 v[6:7], v17
	v_mfma_f32_4x4x4_16b_bf16 a[0:3], v[34:35], v[4:5], a[0:3] cbsz:4 abid:13
	v_cvt_pk_f32_fp8_sdwa v[4:5], v16 src0_sel:WORD_1
	v_cvt_pk_f32_fp8_sdwa v[8:9], v17 src0_sel:WORD_1
	v_perm_b32 v2, v3, v2, s6
	v_perm_b32 v3, v5, v4, s6
	;; [unrolled: 1-line block ×3, first 2 shown]
	s_nop 0
	v_mfma_f32_4x4x4_16b_bf16 a[0:3], v[34:35], v[2:3], a[0:3] cbsz:4 abid:14
	v_perm_b32 v5, v9, v8, s6
	s_nop 1
	v_mfma_f32_4x4x4_16b_bf16 a[0:3], v[34:35], v[4:5], a[0:3] cbsz:4 abid:15
	s_nop 4
	v_accvgpr_read_b32 v5, a1
	v_accvgpr_read_b32 v4, a0
	;; [unrolled: 1-line block ×4, first 2 shown]
	v_pk_mul_f32 v[4:5], v[4:5], s[4:5] op_sel_hi:[1,0]
	v_pk_mul_f32 v[2:3], v[2:3], s[4:5] op_sel_hi:[1,0]
	v_bfe_u32 v6, v5, 16, 1
	v_bfe_u32 v7, v4, 16, 1
	v_add3_u32 v4, v4, v7, s1
	v_add3_u32 v5, v5, v6, s1
	v_bfe_u32 v6, v3, 16, 1
	v_bfe_u32 v7, v2, 16, 1
	v_add3_u32 v2, v2, v7, s1
	v_add3_u32 v3, v3, v6, s1
	v_perm_b32 v39, v3, v2, s6
	v_perm_b32 v38, v5, v4, s6
.LBB1271_17:
	s_or_b64 exec, exec, s[2:3]
	s_waitcnt vmcnt(8)
	v_mad_u32_u24 v2, v1, 40, v40
	v_cmp_gt_u32_e32 vcc, 64, v0
	ds_write_b64 v2, v[38:39] offset:2560
	s_waitcnt lgkmcnt(0)
	s_barrier
	s_and_saveexec_b64 s[2:3], vcc
	s_cbranch_execz .LBB1271_19
; %bb.18:
	s_waitcnt vmcnt(4)
	v_mul_u32_u24_e32 v6, 40, v1
	ds_read2_b64 v[2:5], v6 offset1:1
	ds_read2_b64 v[6:9], v6 offset0:2 offset1:3
	s_mov_b32 s1, 0
	s_lshl_b32 s0, s0, 7
	s_lshl_b64 s[2:3], s[0:1], 1
	s_waitcnt lgkmcnt(1)
	v_lshlrev_b32_e32 v10, 16, v2
	v_and_b32_e32 v2, 0xffff0000, v2
	v_add_f32_e32 v2, 0, v2
	v_lshlrev_b32_e32 v11, 16, v3
	v_and_b32_e32 v3, 0xffff0000, v3
	v_and_b32_e32 v2, 0xffff0000, v2
	v_add_f32_e32 v11, 0, v11
	v_add_f32_e32 v3, 0, v3
	v_lshlrev_b32_e32 v12, 16, v4
	v_and_b32_e32 v4, 0xffff0000, v4
	v_add_f32_e32 v10, 0, v10
	v_and_b32_e32 v11, 0xffff0000, v11
	v_and_b32_e32 v3, 0xffff0000, v3
	v_add_f32_e32 v2, v2, v4
	v_lshlrev_b32_e32 v4, 16, v5
	v_and_b32_e32 v5, 0xffff0000, v5
	v_and_b32_e32 v10, 0xffff0000, v10
	;; [unrolled: 1-line block ×3, first 2 shown]
	v_add_f32_e32 v4, v11, v4
	v_add_f32_e32 v3, v3, v5
	s_waitcnt lgkmcnt(0)
	v_lshlrev_b32_e32 v5, 16, v6
	v_and_b32_e32 v6, 0xffff0000, v6
	v_add_f32_e32 v10, v10, v12
	v_and_b32_e32 v4, 0xffff0000, v4
	v_add_f32_e32 v2, v2, v6
	v_lshlrev_b32_e32 v6, 16, v7
	v_and_b32_e32 v10, 0xffff0000, v10
	v_and_b32_e32 v3, 0xffff0000, v3
	v_add_f32_e32 v4, v4, v6
	v_and_b32_e32 v6, 0xffff0000, v7
	v_add_f32_e32 v5, v10, v5
	v_add_f32_e32 v3, v3, v6
	v_and_b32_e32 v5, 0xffff0000, v5
	v_and_b32_e32 v6, 0xffff0000, v3
	v_lshlrev_b32_e32 v3, 16, v8
	v_and_b32_e32 v2, 0xffff0000, v2
	v_add_f32_e32 v10, v5, v3
	v_and_b32_e32 v3, 0xffff0000, v8
	v_and_b32_e32 v4, 0xffff0000, v4
	v_add_f32_e32 v11, v2, v3
	v_lshlrev_b32_e32 v2, 16, v9
	v_add_f32_e32 v12, v4, v2
	v_mov_b32_e32 v2, 0xa00
	v_mad_u32_u24 v2, v1, 40, v2
	ds_read2_b64 v[2:5], v2 offset1:1
	v_and_b32_e32 v7, 0xffff0000, v9
	v_add_f32_e32 v13, v6, v7
	v_mov_b32_e32 v6, 0xa10
	v_mad_u32_u24 v1, v1, 40, v6
	ds_read2_b64 v[6:9], v1 offset1:1
	s_waitcnt lgkmcnt(1)
	v_lshlrev_b32_e32 v1, 16, v2
	v_and_b32_e32 v2, 0xffff0000, v2
	v_add_f32_e32 v1, 0, v1
	v_add_f32_e32 v2, 0, v2
	s_waitcnt vmcnt(2)
	v_lshlrev_b32_e32 v14, 16, v3
	v_and_b32_e32 v3, 0xffff0000, v3
	v_and_b32_e32 v1, 0xffff0000, v1
	v_and_b32_e32 v2, 0xffff0000, v2
	v_add_f32_e32 v3, 0, v3
	v_lshlrev_b32_e32 v15, 16, v4
	v_and_b32_e32 v4, 0xffff0000, v4
	v_add_f32_e32 v14, 0, v14
	v_and_b32_e32 v3, 0xffff0000, v3
	v_add_f32_e32 v1, v1, v15
	v_add_f32_e32 v2, v2, v4
	v_lshlrev_b32_e32 v4, 16, v5
	v_and_b32_e32 v5, 0xffff0000, v5
	v_and_b32_e32 v14, 0xffff0000, v14
	;; [unrolled: 1-line block ×3, first 2 shown]
	v_add_f32_e32 v3, v3, v5
	s_waitcnt lgkmcnt(0)
	v_lshlrev_b32_e32 v5, 16, v6
	v_and_b32_e32 v2, 0xffff0000, v2
	v_add_f32_e32 v4, v14, v4
	v_add_f32_e32 v1, v1, v5
	v_and_b32_e32 v5, 0xffff0000, v6
	v_and_b32_e32 v4, 0xffff0000, v4
	v_add_f32_e32 v2, v2, v5
	v_lshlrev_b32_e32 v5, 16, v7
	s_add_u32 s2, s26, s2
	v_and_b32_e32 v3, 0xffff0000, v3
	v_add_f32_e32 v4, v4, v5
	v_and_b32_e32 v5, 0xffff0000, v7
	s_addc_u32 s3, s27, s3
	s_lshl_b32 s0, s24, 7
	v_and_b32_e32 v1, 0xffff0000, v1
	v_add_f32_e32 v3, v3, v5
	v_lshlrev_b32_e32 v5, 16, v8
	s_lshl_b64 s[0:1], s[0:1], 1
	v_and_b32_e32 v2, 0xffff0000, v2
	v_add_f32_e32 v14, v1, v5
	v_and_b32_e32 v1, 0xffff0000, v8
	s_add_u32 s0, s2, s0
	v_and_b32_e32 v4, 0xffff0000, v4
	v_add_f32_e32 v15, v2, v1
	v_lshlrev_b32_e32 v1, 16, v9
	s_addc_u32 s1, s3, s1
	s_lshl_b32 s2, s5, 7
	v_and_b32_e32 v3, 0xffff0000, v3
	v_add_f32_e32 v16, v4, v1
	v_and_b32_e32 v1, 0xffff0000, v9
	s_mul_i32 s3, s2, s8
	v_add_f32_e32 v17, v3, v1
	v_or_b32_e32 v2, s3, v0
	v_mov_b32_e32 v3, 0
	s_add_i32 s3, s3, s2
	v_lshl_add_u64 v[4:5], v[2:3], 1, s[0:1]
	v_or_b32_e32 v2, s3, v0
	s_add_i32 s3, s3, s2
	v_lshl_add_u64 v[6:7], v[2:3], 1, s[0:1]
	v_or_b32_e32 v2, s3, v0
	;; [unrolled: 3-line block ×3, first 2 shown]
	v_lshl_add_u64 v[0:1], v[2:3], 1, s[0:1]
	global_store_short_d16_hi v[4:5], v10, off
	global_store_short_d16_hi v[6:7], v11, off
	;; [unrolled: 1-line block ×4, first 2 shown]
	global_store_short_d16_hi v[4:5], v14, off offset:128
	global_store_short_d16_hi v[6:7], v15, off offset:128
	;; [unrolled: 1-line block ×4, first 2 shown]
.LBB1271_19:
	s_endpgm
.LBB1271_20:
	s_mov_b64 s[12:13], 0
                                        ; implicit-def: $sgpr34_sgpr35
	s_branch .LBB1271_2
	.section	.rodata,"a",@progbits
	.p2align	6, 0x0
	.amdhsa_kernel _Z38paged_attention_ll4mi_QKV_mfma4_kernelI14__hip_bfloat16hLN4vllm18Fp8KVCacheDataTypeE1EhLi16ELi128ELi256ELb0ELi4EEvPKT_PKT0_S8_ifPKiSA_SA_iPKfiiiPfSD_PS3_PT2_iSC_SC_
		.amdhsa_group_segment_fixed_size 5280
		.amdhsa_private_segment_fixed_size 0
		.amdhsa_kernarg_size 400
		.amdhsa_user_sgpr_count 2
		.amdhsa_user_sgpr_dispatch_ptr 0
		.amdhsa_user_sgpr_queue_ptr 0
		.amdhsa_user_sgpr_kernarg_segment_ptr 1
		.amdhsa_user_sgpr_dispatch_id 0
		.amdhsa_user_sgpr_kernarg_preload_length 0
		.amdhsa_user_sgpr_kernarg_preload_offset 0
		.amdhsa_user_sgpr_private_segment_size 0
		.amdhsa_uses_dynamic_stack 0
		.amdhsa_enable_private_segment 0
		.amdhsa_system_sgpr_workgroup_id_x 1
		.amdhsa_system_sgpr_workgroup_id_y 1
		.amdhsa_system_sgpr_workgroup_id_z 1
		.amdhsa_system_sgpr_workgroup_info 0
		.amdhsa_system_vgpr_workitem_id 0
		.amdhsa_next_free_vgpr 84
		.amdhsa_next_free_sgpr 42
		.amdhsa_accum_offset 80
		.amdhsa_reserve_vcc 1
		.amdhsa_float_round_mode_32 0
		.amdhsa_float_round_mode_16_64 0
		.amdhsa_float_denorm_mode_32 3
		.amdhsa_float_denorm_mode_16_64 3
		.amdhsa_dx10_clamp 1
		.amdhsa_ieee_mode 1
		.amdhsa_fp16_overflow 0
		.amdhsa_tg_split 0
		.amdhsa_exception_fp_ieee_invalid_op 0
		.amdhsa_exception_fp_denorm_src 0
		.amdhsa_exception_fp_ieee_div_zero 0
		.amdhsa_exception_fp_ieee_overflow 0
		.amdhsa_exception_fp_ieee_underflow 0
		.amdhsa_exception_fp_ieee_inexact 0
		.amdhsa_exception_int_div_zero 0
	.end_amdhsa_kernel
	.section	.text._Z38paged_attention_ll4mi_QKV_mfma4_kernelI14__hip_bfloat16hLN4vllm18Fp8KVCacheDataTypeE1EhLi16ELi128ELi256ELb0ELi4EEvPKT_PKT0_S8_ifPKiSA_SA_iPKfiiiPfSD_PS3_PT2_iSC_SC_,"axG",@progbits,_Z38paged_attention_ll4mi_QKV_mfma4_kernelI14__hip_bfloat16hLN4vllm18Fp8KVCacheDataTypeE1EhLi16ELi128ELi256ELb0ELi4EEvPKT_PKT0_S8_ifPKiSA_SA_iPKfiiiPfSD_PS3_PT2_iSC_SC_,comdat
.Lfunc_end1271:
	.size	_Z38paged_attention_ll4mi_QKV_mfma4_kernelI14__hip_bfloat16hLN4vllm18Fp8KVCacheDataTypeE1EhLi16ELi128ELi256ELb0ELi4EEvPKT_PKT0_S8_ifPKiSA_SA_iPKfiiiPfSD_PS3_PT2_iSC_SC_, .Lfunc_end1271-_Z38paged_attention_ll4mi_QKV_mfma4_kernelI14__hip_bfloat16hLN4vllm18Fp8KVCacheDataTypeE1EhLi16ELi128ELi256ELb0ELi4EEvPKT_PKT0_S8_ifPKiSA_SA_iPKfiiiPfSD_PS3_PT2_iSC_SC_
                                        ; -- End function
	.section	.AMDGPU.csdata,"",@progbits
; Kernel info:
; codeLenInByte = 6036
; NumSgprs: 48
; NumVgprs: 80
; NumAgprs: 4
; TotalNumVgprs: 84
; ScratchSize: 0
; MemoryBound: 0
; FloatMode: 240
; IeeeMode: 1
; LDSByteSize: 5280 bytes/workgroup (compile time only)
; SGPRBlocks: 5
; VGPRBlocks: 10
; NumSGPRsForWavesPerEU: 48
; NumVGPRsForWavesPerEU: 84
; AccumOffset: 80
; Occupancy: 5
; WaveLimiterHint : 1
; COMPUTE_PGM_RSRC2:SCRATCH_EN: 0
; COMPUTE_PGM_RSRC2:USER_SGPR: 2
; COMPUTE_PGM_RSRC2:TRAP_HANDLER: 0
; COMPUTE_PGM_RSRC2:TGID_X_EN: 1
; COMPUTE_PGM_RSRC2:TGID_Y_EN: 1
; COMPUTE_PGM_RSRC2:TGID_Z_EN: 1
; COMPUTE_PGM_RSRC2:TIDIG_COMP_CNT: 0
; COMPUTE_PGM_RSRC3_GFX90A:ACCUM_OFFSET: 19
; COMPUTE_PGM_RSRC3_GFX90A:TG_SPLIT: 0
	.section	.text._Z39paged_attention_ll4mi_QKV_mfma16_kernelI14__hip_bfloat16hLN4vllm18Fp8KVCacheDataTypeE1EhLi16ELi128ELi256ELb0ELi5EEvPKT_PKT0_S8_ifPKiSA_SA_iPKfiiiPfSD_PS3_PT2_iSC_SC_,"axG",@progbits,_Z39paged_attention_ll4mi_QKV_mfma16_kernelI14__hip_bfloat16hLN4vllm18Fp8KVCacheDataTypeE1EhLi16ELi128ELi256ELb0ELi5EEvPKT_PKT0_S8_ifPKiSA_SA_iPKfiiiPfSD_PS3_PT2_iSC_SC_,comdat
	.protected	_Z39paged_attention_ll4mi_QKV_mfma16_kernelI14__hip_bfloat16hLN4vllm18Fp8KVCacheDataTypeE1EhLi16ELi128ELi256ELb0ELi5EEvPKT_PKT0_S8_ifPKiSA_SA_iPKfiiiPfSD_PS3_PT2_iSC_SC_ ; -- Begin function _Z39paged_attention_ll4mi_QKV_mfma16_kernelI14__hip_bfloat16hLN4vllm18Fp8KVCacheDataTypeE1EhLi16ELi128ELi256ELb0ELi5EEvPKT_PKT0_S8_ifPKiSA_SA_iPKfiiiPfSD_PS3_PT2_iSC_SC_
	.globl	_Z39paged_attention_ll4mi_QKV_mfma16_kernelI14__hip_bfloat16hLN4vllm18Fp8KVCacheDataTypeE1EhLi16ELi128ELi256ELb0ELi5EEvPKT_PKT0_S8_ifPKiSA_SA_iPKfiiiPfSD_PS3_PT2_iSC_SC_
	.p2align	8
	.type	_Z39paged_attention_ll4mi_QKV_mfma16_kernelI14__hip_bfloat16hLN4vllm18Fp8KVCacheDataTypeE1EhLi16ELi128ELi256ELb0ELi5EEvPKT_PKT0_S8_ifPKiSA_SA_iPKfiiiPfSD_PS3_PT2_iSC_SC_,@function
_Z39paged_attention_ll4mi_QKV_mfma16_kernelI14__hip_bfloat16hLN4vllm18Fp8KVCacheDataTypeE1EhLi16ELi128ELi256ELb0ELi5EEvPKT_PKT0_S8_ifPKiSA_SA_iPKfiiiPfSD_PS3_PT2_iSC_SC_: ; @_Z39paged_attention_ll4mi_QKV_mfma16_kernelI14__hip_bfloat16hLN4vllm18Fp8KVCacheDataTypeE1EhLi16ELi128ELi256ELb0ELi5EEvPKT_PKT0_S8_ifPKiSA_SA_iPKfiiiPfSD_PS3_PT2_iSC_SC_
; %bb.0:
	s_load_dwordx2 s[12:13], s[0:1], 0x30
	s_mov_b32 s24, s3
	s_mov_b64 s[6:7], 0
	s_waitcnt lgkmcnt(0)
	s_cmp_lg_u64 s[12:13], 0
	s_cselect_b64 s[14:15], -1, 0
	s_and_b64 vcc, exec, s[14:15]
	s_cbranch_vccz .LBB1272_7
; %bb.1:
	s_add_i32 s8, s2, 1
	s_mov_b32 s9, 0
	s_lshl_b64 s[10:11], s[8:9], 2
	s_add_u32 s10, s12, s10
	s_mov_b32 s3, s9
	s_addc_u32 s11, s13, s11
	s_lshl_b64 s[8:9], s[2:3], 2
	s_add_u32 s8, s12, s8
	s_addc_u32 s9, s13, s9
	s_load_dword s5, s[10:11], 0x0
	s_load_dword s16, s[8:9], 0x0
	s_waitcnt lgkmcnt(0)
	s_sub_i32 s5, s5, s16
	s_cmp_eq_u32 s5, 1
	s_cselect_b64 s[8:9], -1, 0
	s_andn2_b64 vcc, exec, s[6:7]
	s_cbranch_vccnz .LBB1272_3
.LBB1272_2:
	s_mov_b32 s3, 0
	s_mov_b64 s[8:9], -1
.LBB1272_3:
	s_andn2_b64 vcc, exec, s[8:9]
	s_cbranch_vccnz .LBB1272_18
; %bb.4:
	s_load_dwordx2 s[6:7], s[0:1], 0x28
	s_lshl_b64 s[16:17], s[2:3], 2
	s_waitcnt lgkmcnt(0)
	s_add_u32 s6, s6, s16
	s_addc_u32 s7, s7, s17
	s_load_dword s33, s[6:7], 0x0
	s_lshl_b32 s18, s24, 8
	s_waitcnt lgkmcnt(0)
	s_cmp_ge_i32 s18, s33
	s_cbranch_scc1 .LBB1272_18
; %bb.5:
	s_load_dwordx2 s[6:7], s[0:1], 0x20
	s_load_dword s8, s[0:1], 0x38
	s_add_i32 s5, s33, 15
	s_ashr_i32 s9, s5, 31
	v_and_b32_e32 v1, 0xcf, v0
	s_lshr_b32 s9, s9, 28
	v_add_u32_e32 v1, s18, v1
	s_add_i32 s5, s5, s9
	v_ashrrev_i32_e32 v2, 31, v1
	s_ashr_i32 s5, s5, 4
	v_lshrrev_b32_e32 v10, 28, v2
	s_add_i32 s5, s5, -1
	s_waitcnt lgkmcnt(0)
	s_mul_i32 s8, s2, s8
	s_mov_b32 s9, 0
	v_add_u32_e32 v2, v1, v10
	s_lshl_b64 s[8:9], s[8:9], 2
	v_ashrrev_i32_e32 v2, 4, v2
	v_mov_b32_e32 v11, s5
	v_cmp_gt_i32_e32 vcc, s33, v1
	s_add_u32 s6, s6, s8
	s_addc_u32 s7, s7, s9
	v_cndmask_b32_e32 v2, v11, v2, vcc
	v_ashrrev_i32_e32 v3, 31, v2
	v_lshl_add_u64 v[4:5], v[2:3], 2, s[6:7]
	v_or_b32_e32 v2, 16, v1
	v_add_u32_e32 v3, v2, v10
	v_ashrrev_i32_e32 v3, 4, v3
	v_cmp_gt_i32_e32 vcc, s33, v2
	s_load_dwordx4 s[8:11], s[0:1], 0x8
	s_nop 0
	v_cndmask_b32_e32 v2, v11, v3, vcc
	v_ashrrev_i32_e32 v3, 31, v2
	v_lshl_add_u64 v[6:7], v[2:3], 2, s[6:7]
	v_or_b32_e32 v2, 32, v1
	v_add_u32_e32 v3, v2, v10
	v_ashrrev_i32_e32 v3, 4, v3
	v_cmp_gt_i32_e32 vcc, s33, v2
	v_or_b32_e32 v1, 48, v1
	s_nop 0
	v_cndmask_b32_e32 v2, v11, v3, vcc
	v_ashrrev_i32_e32 v3, 31, v2
	v_lshl_add_u64 v[8:9], v[2:3], 2, s[6:7]
	v_add_u32_e32 v2, v1, v10
	v_ashrrev_i32_e32 v2, 4, v2
	v_cmp_gt_i32_e32 vcc, s33, v1
	s_nop 1
	v_cndmask_b32_e32 v2, v11, v2, vcc
	v_ashrrev_i32_e32 v3, 31, v2
	v_lshl_add_u64 v[12:13], v[2:3], 2, s[6:7]
	global_load_dword v3, v[4:5], off
	global_load_dword v2, v[6:7], off
	;; [unrolled: 1-line block ×4, first 2 shown]
	s_andn2_b64 vcc, exec, s[14:15]
	s_cbranch_vccnz .LBB1272_8
; %bb.6:
	s_add_u32 s12, s12, s16
	s_addc_u32 s13, s13, s17
	s_load_dword s14, s[12:13], 0x0
	s_branch .LBB1272_9
.LBB1272_7:
	s_mov_b64 s[8:9], 0
	s_branch .LBB1272_2
.LBB1272_8:
	s_mov_b32 s14, s2
.LBB1272_9:
	s_load_dwordx4 s[44:47], s[0:1], 0x48
	v_lshrrev_b32_e32 v61, 6, v0
	v_bfe_u32 v64, v0, 4, 2
	v_and_b32_e32 v60, 15, v0
	v_lshl_or_b32 v4, v61, 2, v64
	v_lshlrev_b32_e32 v1, 3, v60
	v_and_b32_e32 v65, 63, v0
	s_mul_i32 s48, s4, 5
	v_cmp_gt_u32_e32 vcc, 5, v4
	v_lshlrev_b32_e32 v58, 1, v1
	v_lshlrev_b32_e32 v1, 4, v0
	s_and_saveexec_b64 s[12:13], vcc
	s_cbranch_execz .LBB1272_11
; %bb.10:
	s_load_dwordx2 s[16:17], s[0:1], 0x0
	s_waitcnt lgkmcnt(0)
	s_ashr_i32 s15, s44, 31
	s_mul_hi_u32 s19, s14, s44
	s_mul_i32 s15, s14, s15
	s_add_i32 s15, s19, s15
	s_mul_i32 s14, s14, s44
	s_lshl_b64 s[14:15], s[14:15], 1
	s_add_u32 s14, s16, s14
	v_add_lshl_u32 v6, v4, s48, 7
	s_addc_u32 s15, s17, s15
	v_ashrrev_i32_e32 v7, 31, v6
	v_lshl_add_u64 v[6:7], v[6:7], 1, s[14:15]
	v_mov_b32_e32 v59, 0
	v_lshl_add_u64 v[6:7], v[6:7], 0, v[58:59]
	global_load_dwordx4 v[6:9], v[6:7], off
	v_lshlrev_b32_e32 v12, 8, v0
	v_lshlrev_b32_e32 v5, 8, v60
	v_and_b32_e32 v12, 0x600, v12
	s_movk_i32 s14, 0x800
	v_and_or_b32 v5, v5, s14, v12
	v_lshlrev_b32_e32 v4, 5, v4
	v_and_b32_e32 v12, 16, v1
	v_or3_b32 v4, v5, v4, v12
	s_waitcnt vmcnt(0)
	ds_write_b128 v4, v[6:9]
.LBB1272_11:
	s_or_b64 exec, exec, s[12:13]
	s_waitcnt lgkmcnt(0)
	s_mul_i32 s4, s4, s46
	s_add_u32 s8, s8, s4
	s_addc_u32 s9, s9, 0
	v_and_b32_e32 v62, 0xf0, v1
	v_mov_b32_e32 v63, 0
	v_and_b32_e32 v12, 48, v0
	v_lshl_add_u64 v[6:7], s[8:9], 0, v[62:63]
	v_lshlrev_b32_e32 v62, 4, v12
	s_waitcnt vmcnt(3)
	v_mad_i64_i32 v[4:5], s[8:9], v3, s45, v[6:7]
	v_lshl_add_u64 v[4:5], v[4:5], 0, v[62:63]
	s_load_dword s25, s[0:1], 0x98
	s_load_dwordx4 s[40:43], s[0:1], 0x80
	s_waitcnt lgkmcnt(0)
	s_barrier
	global_load_dwordx4 v[22:25], v[4:5], off
	global_load_dwordx4 v[14:17], v[4:5], off offset:1024
	s_waitcnt vmcnt(4)
	v_mad_i64_i32 v[2:3], s[12:13], v2, s45, v[6:7]
	v_lshl_add_u64 v[8:9], v[2:3], 0, v[62:63]
	global_load_dwordx4 v[2:5], v[8:9], off
	v_mul_lo_u16_e32 v13, 52, v60
	v_mov_b32_e32 v18, 5
	v_or_b32_e32 v12, s18, v12
	v_mov_b32_e32 v19, s5
	v_mul_lo_u16_sdwa v13, v13, v18 dst_sel:DWORD dst_unused:UNUSED_PAD src0_sel:BYTE_1 src1_sel:DWORD
	v_ashrrev_i32_e32 v20, 4, v12
	v_or_b32_e32 v21, 64, v12
	v_cmp_gt_i32_e32 vcc, s33, v12
	v_sub_u16_e32 v13, v60, v13
	v_or_b32_e32 v26, 0x80, v12
	v_or_b32_e32 v27, 0xc0, v12
	v_cndmask_b32_e32 v38, v19, v20, vcc
	v_ashrrev_i32_e32 v12, 4, v21
	v_cmp_gt_i32_e32 vcc, s33, v21
	v_lshlrev_b32_sdwa v13, v18, v13 dst_sel:DWORD dst_unused:UNUSED_PAD src0_sel:DWORD src1_sel:BYTE_0
	v_ashrrev_i32_e32 v18, 4, v26
	v_cndmask_b32_e32 v42, v19, v12, vcc
	v_cmp_gt_i32_e32 vcc, s33, v26
	v_ashrrev_i32_e32 v20, 4, v27
	v_lshl_add_u32 v36, v64, 9, v13
	v_cndmask_b32_e32 v44, v19, v18, vcc
	v_cmp_gt_i32_e32 vcc, s33, v27
	s_waitcnt vmcnt(4)
	v_mad_i64_i32 v[34:35], s[12:13], v10, s45, v[6:7]
	v_cndmask_b32_e32 v46, v19, v20, vcc
	ds_read_b128 v[26:29], v36
	ds_read_b128 v[18:21], v36 offset:16
	global_load_dwordx4 v[30:33], v[8:9], off offset:1024
	s_waitcnt vmcnt(4)
	v_mad_i64_i32 v[40:41], s[12:13], v11, s45, v[6:7]
	v_ashrrev_i32_e32 v39, 31, v38
	ds_read_b128 v[10:13], v36 offset:2048
	ds_read_b128 v[6:9], v36 offset:2064
	v_lshl_add_u64 v[36:37], v[34:35], 0, v[62:63]
	v_lshl_add_u64 v[34:35], v[40:41], 0, v[62:63]
	v_ashrrev_i32_e32 v43, 31, v42
	v_ashrrev_i32_e32 v45, 31, v44
	;; [unrolled: 1-line block ×3, first 2 shown]
	v_lshl_add_u64 v[50:51], v[38:39], 2, s[6:7]
	v_lshl_add_u64 v[52:53], v[42:43], 2, s[6:7]
	;; [unrolled: 1-line block ×4, first 2 shown]
	global_load_dwordx4 v[46:49], v[36:37], off
	global_load_dwordx4 v[42:45], v[36:37], off offset:1024
	global_load_dwordx4 v[38:41], v[34:35], off
	s_nop 0
	global_load_dwordx4 v[34:37], v[34:35], off offset:1024
	s_nop 0
	global_load_dword v69, v[50:51], off
	global_load_dword v68, v[52:53], off
	;; [unrolled: 1-line block ×4, first 2 shown]
	s_mov_b32 s44, 0x7060302
	s_add_u32 s4, s10, s4
	v_lshl_or_b32 v59, v61, 4, v60
	s_addc_u32 s5, s11, 0
	v_lshlrev_b32_e32 v62, 4, v59
	s_load_dword s8, s[0:1], 0x1c
	s_waitcnt vmcnt(11)
	v_cvt_pk_f32_fp8_e32 v[50:51], v22
	v_cvt_pk_f32_fp8_sdwa v[52:53], v22 src0_sel:WORD_1
	v_cvt_pk_f32_fp8_e32 v[54:55], v23
	v_cvt_pk_f32_fp8_sdwa v[22:23], v23 src0_sel:WORD_1
	s_waitcnt vmcnt(10)
	v_cvt_pk_f32_fp8_e32 v[76:77], v14
	v_cvt_pk_f32_fp8_sdwa v[78:79], v14 src0_sel:WORD_1
	v_cvt_pk_f32_fp8_e32 v[80:81], v15
	v_cvt_pk_f32_fp8_sdwa v[82:83], v15 src0_sel:WORD_1
	v_perm_b32 v14, v51, v50, s44
	v_perm_b32 v15, v53, v52, s44
	v_cvt_pk_f32_fp8_e32 v[56:57], v24
	v_cvt_pk_f32_fp8_sdwa v[70:71], v24 src0_sel:WORD_1
	v_perm_b32 v54, v55, v54, s44
	v_perm_b32 v55, v23, v22, s44
	v_cvt_pk_f32_fp8_e32 v[72:73], v25
	v_cvt_pk_f32_fp8_sdwa v[74:75], v25 src0_sel:WORD_1
	s_waitcnt lgkmcnt(0)
	v_mfma_f32_16x16x16_bf16 v[22:25], v[14:15], v[26:27], 0
	v_perm_b32 v14, v57, v56, s44
	v_perm_b32 v15, v71, v70, s44
	v_perm_b32 v56, v73, v72, s44
	v_mfma_f32_16x16x16_bf16 v[22:25], v[54:55], v[28:29], v[22:25]
	v_perm_b32 v57, v75, v74, s44
	v_cvt_pk_f32_fp8_e32 v[50:51], v16
	v_cvt_pk_f32_fp8_sdwa v[52:53], v16 src0_sel:WORD_1
	v_cvt_pk_f32_fp8_e32 v[84:85], v17
	v_cvt_pk_f32_fp8_sdwa v[54:55], v17 src0_sel:WORD_1
	v_mfma_f32_16x16x16_bf16 v[14:17], v[14:15], v[18:19], v[22:25]
	v_perm_b32 v70, v81, v80, s44
	v_perm_b32 v71, v83, v82, s44
	;; [unrolled: 1-line block ×5, first 2 shown]
	v_mfma_f32_16x16x16_bf16 v[14:17], v[56:57], v[20:21], v[14:17]
	s_waitcnt vmcnt(9)
	v_cvt_pk_f32_fp8_e32 v[22:23], v2
	v_cvt_pk_f32_fp8_sdwa v[56:57], v2 src0_sel:WORD_1
	v_perm_b32 v51, v53, v52, s44
	v_mfma_f32_16x16x16_bf16 v[14:17], v[24:25], v[10:11], v[14:17]
	v_cvt_pk_f32_fp8_e32 v[24:25], v3
	v_cvt_pk_f32_fp8_sdwa v[2:3], v3 src0_sel:WORD_1
	v_perm_b32 v52, v85, v84, s44
	v_mfma_f32_16x16x16_bf16 v[14:17], v[70:71], v[12:13], v[14:17]
	v_perm_b32 v53, v55, v54, s44
	v_perm_b32 v22, v23, v22, s44
	;; [unrolled: 1-line block ×3, first 2 shown]
	v_mfma_f32_16x16x16_bf16 v[14:17], v[50:51], v[6:7], v[14:17]
	v_cvt_pk_f32_fp8_e32 v[54:55], v4
	v_cvt_pk_f32_fp8_sdwa v[56:57], v4 src0_sel:WORD_1
	v_perm_b32 v24, v25, v24, s44
	v_perm_b32 v25, v3, v2, s44
	v_mfma_f32_16x16x16_bf16 v[50:53], v[52:53], v[8:9], v[14:17]
	s_waitcnt vmcnt(7)
	v_cvt_pk_f32_fp8_e32 v[72:73], v49
	v_lshl_add_u64 v[70:71], s[4:5], 0, v[62:63]
	s_waitcnt vmcnt(6)
	v_cvt_pk_f32_fp8_sdwa v[76:77], v44 src0_sel:WORD_1
	v_mfma_f32_16x16x16_bf16 v[14:17], v[22:23], v[26:27], 0
	v_perm_b32 v22, v55, v54, s44
	v_perm_b32 v23, v57, v56, s44
	v_cvt_pk_f32_fp8_e32 v[54:55], v5
	v_cvt_pk_f32_fp8_sdwa v[56:57], v5 src0_sel:WORD_1
	v_mfma_f32_16x16x16_bf16 v[2:5], v[24:25], v[28:29], v[14:17]
	v_cvt_pk_f32_fp8_e32 v[24:25], v32
	v_or_b32_e32 v62, 0x400, v62
	s_nop 0
	v_perm_b32 v14, v55, v54, s44
	v_perm_b32 v15, v57, v56, s44
	v_mfma_f32_16x16x16_bf16 v[2:5], v[22:23], v[18:19], v[2:5]
	v_cvt_pk_f32_fp8_e32 v[16:17], v30
	v_cvt_pk_f32_fp8_sdwa v[22:23], v30 src0_sel:WORD_1
	v_perm_b32 v16, v17, v16, s44
	v_mfma_f32_16x16x16_bf16 v[2:5], v[14:15], v[20:21], v[2:5]
	v_cvt_pk_f32_fp8_e32 v[14:15], v31
	v_perm_b32 v17, v23, v22, s44
	v_cvt_pk_f32_fp8_sdwa v[22:23], v31 src0_sel:WORD_1
	v_cvt_pk_f32_fp8_sdwa v[30:31], v32 src0_sel:WORD_1
	v_perm_b32 v14, v15, v14, s44
	v_mfma_f32_16x16x16_bf16 v[2:5], v[16:17], v[10:11], v[2:5]
	v_perm_b32 v15, v23, v22, s44
	v_perm_b32 v16, v25, v24, s44
	;; [unrolled: 1-line block ×3, first 2 shown]
	v_cvt_pk_f32_fp8_e32 v[22:23], v33
	v_cvt_pk_f32_fp8_sdwa v[24:25], v33 src0_sel:WORD_1
	v_mfma_f32_16x16x16_bf16 v[2:5], v[14:15], v[12:13], v[2:5]
	v_perm_b32 v14, v23, v22, s44
	v_perm_b32 v15, v25, v24, s44
	v_mfma_f32_16x16x16_bf16 v[2:5], v[16:17], v[6:7], v[2:5]
	v_cvt_pk_f32_fp8_e32 v[16:17], v46
	v_cvt_pk_f32_fp8_sdwa v[22:23], v46 src0_sel:WORD_1
	v_cvt_pk_f32_fp8_sdwa v[24:25], v48 src0_sel:WORD_1
	v_mfma_f32_16x16x16_bf16 v[54:57], v[14:15], v[8:9], v[2:5]
	v_cvt_pk_f32_fp8_sdwa v[14:15], v47 src0_sel:WORD_1
	s_nop 1
	v_perm_b32 v2, v17, v16, s44
	v_perm_b32 v3, v23, v22, s44
	v_cvt_pk_f32_fp8_e32 v[4:5], v47
	v_perm_b32 v23, v15, v14, s44
	v_cvt_pk_f32_fp8_e32 v[14:15], v48
	v_cvt_pk_f32_fp8_sdwa v[48:49], v49 src0_sel:WORD_1
	v_perm_b32 v22, v5, v4, s44
	v_mfma_f32_16x16x16_bf16 v[2:5], v[2:3], v[26:27], 0
	v_perm_b32 v14, v15, v14, s44
	v_perm_b32 v15, v25, v24, s44
	s_waitcnt vmcnt(3)
	v_mad_i64_i32 v[16:17], s[6:7], v69, s45, v[70:71]
	v_mfma_f32_16x16x16_bf16 v[2:5], v[22:23], v[28:29], v[2:5]
	s_waitcnt vmcnt(2)
	v_mad_i64_i32 v[46:47], s[6:7], v68, s45, v[70:71]
	global_load_dwordx4 v[30:33], v[16:17], off
	global_load_dwordx4 v[22:25], v[46:47], off
	v_perm_b32 v16, v73, v72, s44
	v_perm_b32 v17, v49, v48, s44
	v_mfma_f32_16x16x16_bf16 v[2:5], v[14:15], v[18:19], v[2:5]
	v_cvt_pk_f32_fp8_e32 v[14:15], v42
	v_cvt_pk_f32_fp8_sdwa v[46:47], v42 src0_sel:WORD_1
	s_waitcnt vmcnt(3)
	v_mad_i64_i32 v[72:73], s[6:7], v67, s45, v[70:71]
	v_mfma_f32_16x16x16_bf16 v[2:5], v[16:17], v[20:21], v[2:5]
	v_perm_b32 v14, v15, v14, s44
	v_perm_b32 v15, v47, v46, s44
	v_cvt_pk_f32_fp8_e32 v[16:17], v43
	v_cvt_pk_f32_fp8_sdwa v[42:43], v43 src0_sel:WORD_1
	v_mfma_f32_16x16x16_bf16 v[46:49], v[14:15], v[10:11], v[2:5]
	v_perm_b32 v74, v17, v16, s44
	v_perm_b32 v75, v43, v42, s44
	v_cvt_pk_f32_fp8_e32 v[42:43], v44
	s_waitcnt vmcnt(2)
	v_mad_i64_i32 v[70:71], s[6:7], v66, s45, v[70:71]
	global_load_dwordx4 v[14:17], v[72:73], off
	global_load_dwordx4 v[2:5], v[70:71], off
	v_perm_b32 v70, v43, v42, s44
	v_perm_b32 v71, v77, v76, s44
	v_cvt_pk_f32_fp8_e32 v[72:73], v45
	v_cvt_pk_f32_fp8_sdwa v[76:77], v45 src0_sel:WORD_1
	v_mfma_f32_16x16x16_bf16 v[44:47], v[74:75], v[12:13], v[46:49]
	v_lshl_add_u64 v[42:43], s[4:5], 0, v[62:63]
	v_cvt_pk_f32_fp8_e32 v[62:63], v38
	s_load_dword s4, s[40:41], 0x0
	v_perm_b32 v48, v73, v72, s44
	v_perm_b32 v49, v77, v76, s44
	v_mfma_f32_16x16x16_bf16 v[44:47], v[70:71], v[6:7], v[44:47]
	v_cvt_pk_f32_fp8_sdwa v[70:71], v38 src0_sel:WORD_1
	v_perm_b32 v62, v63, v62, s44
	v_cvt_pk_f32_fp8_e32 v[74:75], v40
	v_mfma_f32_16x16x16_bf16 v[46:49], v[48:49], v[8:9], v[44:47]
	v_perm_b32 v63, v71, v70, s44
	v_cvt_pk_f32_fp8_sdwa v[76:77], v40 src0_sel:WORD_1
	s_mov_b32 s40, 0xff7fffff
	v_cvt_pk_f32_fp8_e32 v[44:45], v39
	v_cvt_pk_f32_fp8_sdwa v[38:39], v39 src0_sel:WORD_1
	v_mfma_f32_16x16x16_bf16 v[70:73], v[62:63], v[26:27], 0
	v_cvt_pk_f32_fp8_e32 v[62:63], v41
	v_perm_b32 v44, v45, v44, s44
	v_perm_b32 v45, v39, v38, s44
	;; [unrolled: 1-line block ×4, first 2 shown]
	v_cvt_pk_f32_fp8_sdwa v[40:41], v41 src0_sel:WORD_1
	v_mov_b32_e32 v26, s8
	s_waitcnt lgkmcnt(0)
	v_mul_f32_e32 v74, s4, v26
	v_mfma_f32_16x16x16_bf16 v[26:29], v[44:45], v[28:29], v[70:73]
	v_pk_mul_f32 v[44:45], v[74:75], v[52:53] op_sel_hi:[0,1]
	v_perm_b32 v52, v63, v62, s44
	v_perm_b32 v53, v41, v40, s44
	v_mfma_f32_16x16x16_bf16 v[26:29], v[38:39], v[18:19], v[26:29]
	v_cvt_pk_f32_fp8_e32 v[18:19], v34
	v_cvt_pk_f32_fp8_sdwa v[38:39], v34 src0_sel:WORD_1
	v_pk_mul_f32 v[50:51], v[74:75], v[50:51] op_sel_hi:[0,1]
	v_mfma_f32_16x16x16_bf16 v[26:29], v[52:53], v[20:21], v[26:29]
	v_perm_b32 v20, v19, v18, s44
	v_perm_b32 v21, v39, v38, s44
	v_cvt_pk_f32_fp8_e32 v[38:39], v35
	v_cvt_pk_f32_fp8_sdwa v[34:35], v35 src0_sel:WORD_1
	v_mfma_f32_16x16x16_bf16 v[26:29], v[20:21], v[10:11], v[26:29]
	v_perm_b32 v38, v39, v38, s44
	v_perm_b32 v39, v35, v34, s44
	v_cvt_pk_f32_fp8_e32 v[10:11], v36
	v_cvt_pk_f32_fp8_sdwa v[20:21], v36 src0_sel:WORD_1
	v_pk_mul_f32 v[52:53], v[74:75], v[54:55] op_sel_hi:[0,1]
	v_pk_mul_f32 v[34:35], v[74:75], v[56:57] op_sel_hi:[0,1]
	v_perm_b32 v40, v11, v10, s44
	v_perm_b32 v41, v21, v20, s44
	v_cvt_pk_f32_fp8_e32 v[20:21], v37
	v_cvt_pk_f32_fp8_sdwa v[36:37], v37 src0_sel:WORD_1
	v_mfma_f32_16x16x16_bf16 v[10:13], v[38:39], v[12:13], v[26:29]
	v_pk_mul_f32 v[46:47], v[74:75], v[46:47] op_sel_hi:[0,1]
	v_perm_b32 v20, v21, v20, s44
	v_perm_b32 v21, v37, v36, s44
	v_mfma_f32_16x16x16_bf16 v[10:13], v[40:41], v[6:7], v[10:13]
	v_pk_mul_f32 v[40:41], v[74:75], v[48:49] op_sel_hi:[0,1]
	v_mad_i64_i32 v[18:19], s[4:5], v69, s45, v[42:43]
	v_mfma_f32_16x16x16_bf16 v[6:9], v[20:21], v[8:9], v[10:13]
	v_mad_i64_i32 v[62:63], s[4:5], v68, s45, v[42:43]
	global_load_dwordx4 v[26:29], v[18:19], off
	s_nop 0
	global_load_dwordx4 v[18:21], v[62:63], off
	s_nop 2
	v_pk_mul_f32 v[48:49], v[74:75], v[6:7] op_sel_hi:[0,1]
	v_and_b32_e32 v6, 0xc0, v0
	v_add_u32_e32 v6, s18, v6
	v_lshl_or_b32 v6, v64, 2, v6
	v_pk_mul_f32 v[38:39], v[74:75], v[8:9] op_sel_hi:[0,1]
	v_or_b32_e32 v9, 1, v6
	v_mov_b32_e32 v7, 0xff7fffff
	v_cmp_gt_i32_e64 s[26:27], s33, v6
	v_cmp_gt_i32_e64 s[28:29], s33, v9
	v_or_b32_e32 v10, 3, v6
	v_cndmask_b32_e64 v8, v7, v50, s[26:27]
	v_cndmask_b32_e64 v9, v7, v51, s[28:29]
	v_max3_f32 v8, v8, s40, v9
	v_or_b32_e32 v9, 2, v6
	v_cmp_gt_i32_e64 s[30:31], s33, v9
	v_cmp_gt_i32_e64 s[34:35], s33, v10
	s_nop 0
	v_cndmask_b32_e64 v9, v7, v44, s[30:31]
	v_cndmask_b32_e64 v10, v7, v45, s[34:35]
	v_max3_f32 v8, v8, v9, v10
	v_or_b32_e32 v9, 16, v6
	v_or_b32_e32 v10, 17, v6
	v_cmp_gt_i32_e64 s[18:19], s33, v9
	v_cmp_gt_i32_e64 s[20:21], s33, v10
	s_nop 0
	v_cndmask_b32_e64 v9, v7, v52, s[18:19]
	v_cndmask_b32_e64 v10, v7, v53, s[20:21]
	v_max3_f32 v8, v8, v9, v10
	v_or_b32_e32 v9, 18, v6
	;; [unrolled: 8-line block ×5, first 2 shown]
	v_or_b32_e32 v10, 49, v6
	v_cmp_gt_i32_e32 vcc, s33, v9
	v_cmp_gt_i32_e64 s[4:5], s33, v10
	s_nop 0
	v_cndmask_b32_e32 v9, v7, v48, vcc
	v_cndmask_b32_e64 v10, v7, v49, s[4:5]
	v_max3_f32 v8, v8, v9, v10
	v_or_b32_e32 v9, 50, v6
	v_or_b32_e32 v6, 51, v6
	v_cmp_gt_i32_e64 s[6:7], s33, v9
	v_cmp_gt_i32_e64 s[8:9], s33, v6
	s_nop 0
	v_cndmask_b32_e64 v9, v7, v38, s[6:7]
	v_cndmask_b32_e64 v6, v7, v39, s[8:9]
	v_max3_f32 v8, v8, v9, v6
	v_mbcnt_lo_u32_b32 v6, -1, 0
	v_mbcnt_hi_u32_b32 v9, -1, v6
	v_and_b32_e32 v6, 64, v9
	v_add_u32_e32 v10, 64, v6
	v_xor_b32_e32 v6, 32, v9
	v_cmp_lt_i32_e64 s[38:39], v6, v10
	s_nop 1
	v_cndmask_b32_e64 v6, v9, v6, s[38:39]
	v_lshlrev_b32_e32 v55, 2, v6
	ds_bpermute_b32 v11, v55, v8
	v_mad_i64_i32 v[6:7], s[38:39], v67, s45, v[42:43]
	s_waitcnt lgkmcnt(0)
	v_max_f32_e32 v11, v11, v11
	v_max_f32_e32 v36, v8, v11
	v_xor_b32_e32 v8, 16, v9
	v_cmp_lt_i32_e64 s[38:39], v8, v10
	s_nop 1
	v_cndmask_b32_e64 v8, v9, v8, s[38:39]
	v_lshlrev_b32_e32 v56, 2, v8
	v_mad_i64_i32 v[8:9], s[38:39], v66, s45, v[42:43]
	global_load_dwordx4 v[10:13], v[6:7], off
	s_nop 0
	global_load_dwordx4 v[6:9], v[8:9], off
	ds_bpermute_b32 v37, v56, v36
	s_waitcnt lgkmcnt(0)
	s_barrier
	v_max_f32_e32 v37, v37, v37
	v_max_f32_e32 v54, v36, v37
	v_sub_f32_e32 v42, v44, v54
	v_mul_f32_e32 v42, 0x3fb8aa3b, v42
	v_exp_f32_e32 v42, v42
	v_sub_f32_e32 v43, v45, v54
	v_mul_f32_e32 v43, 0x3fb8aa3b, v43
	v_exp_f32_e32 v43, v43
	v_cndmask_b32_e64 v44, 0, v42, s[30:31]
	v_sub_f32_e32 v42, v52, v54
	v_sub_f32_e32 v34, v34, v54
	v_mul_f32_e32 v42, 0x3fb8aa3b, v42
	v_mul_f32_e32 v34, 0x3fb8aa3b, v34
	v_sub_f32_e32 v36, v50, v54
	v_exp_f32_e32 v42, v42
	v_exp_f32_e32 v50, v34
	v_cndmask_b32_e64 v45, 0, v43, s[34:35]
	v_sub_f32_e32 v43, v53, v54
	v_sub_f32_e32 v34, v35, v54
	;; [unrolled: 1-line block ×4, first 2 shown]
	v_mul_f32_e32 v43, 0x3fb8aa3b, v43
	v_mul_f32_e32 v34, 0x3fb8aa3b, v34
	;; [unrolled: 1-line block ×4, first 2 shown]
	v_sub_f32_e32 v37, v51, v54
	v_exp_f32_e32 v43, v43
	v_exp_f32_e32 v51, v34
	v_cndmask_b32_e64 v34, 0, v42, s[18:19]
	v_cndmask_b32_e64 v42, 0, v50, s[22:23]
	v_exp_f32_e32 v46, v46
	v_exp_f32_e32 v50, v40
	v_mul_f32_e32 v36, 0x3fb8aa3b, v36
	v_sub_f32_e32 v47, v47, v54
	v_sub_f32_e32 v40, v41, v54
	v_sub_f32_e32 v48, v48, v54
	v_sub_f32_e32 v38, v38, v54
	v_exp_f32_e32 v36, v36
	v_mul_f32_e32 v37, 0x3fb8aa3b, v37
	v_mul_f32_e32 v47, 0x3fb8aa3b, v47
	;; [unrolled: 1-line block ×5, first 2 shown]
	v_exp_f32_e32 v37, v37
	v_cndmask_b32_e64 v35, 0, v43, s[20:21]
	v_cndmask_b32_e64 v43, 0, v51, s[36:37]
	v_exp_f32_e32 v47, v47
	v_exp_f32_e32 v51, v40
	v_cndmask_b32_e64 v40, 0, v46, s[10:11]
	v_cndmask_b32_e64 v46, 0, v50, s[14:15]
	v_exp_f32_e32 v48, v48
	v_exp_f32_e32 v50, v38
	v_sub_f32_e32 v38, v39, v54
	v_cndmask_b32_e64 v36, 0, v36, s[26:27]
	v_mul_f32_e32 v38, 0x3fb8aa3b, v38
	v_cndmask_b32_e64 v37, 0, v37, s[28:29]
	v_cndmask_b32_e64 v41, 0, v47, s[12:13]
	;; [unrolled: 1-line block ×3, first 2 shown]
	v_exp_f32_e32 v51, v38
	v_cndmask_b32_e32 v38, 0, v48, vcc
	v_cndmask_b32_e64 v48, 0, v50, s[6:7]
	v_add_f32_e32 v50, 0, v36
	v_add_f32_e32 v50, v50, v37
	v_add_f32_e32 v50, v50, v44
	v_add_f32_e32 v50, v50, v45
	v_add_f32_e32 v50, v50, v34
	v_add_f32_e32 v50, v50, v35
	v_sub_f32_e32 v49, v49, v54
	v_add_f32_e32 v50, v50, v42
	v_mul_f32_e32 v49, 0x3fb8aa3b, v49
	v_add_f32_e32 v50, v50, v43
	v_exp_f32_e32 v49, v49
	v_add_f32_e32 v50, v50, v40
	v_add_f32_e32 v50, v50, v41
	;; [unrolled: 1-line block ×4, first 2 shown]
	v_cndmask_b32_e64 v39, 0, v49, s[4:5]
	v_add_f32_e32 v50, v50, v38
	v_add_f32_e32 v50, v50, v39
	v_cndmask_b32_e64 v49, 0, v51, s[8:9]
	v_add_f32_e32 v50, v50, v48
	v_add_f32_e32 v50, v50, v49
	ds_bpermute_b32 v51, v55, v50
	v_cmp_gt_u32_e64 s[4:5], 16, v65
	s_waitcnt lgkmcnt(0)
	v_add_f32_e32 v50, v50, v51
	ds_bpermute_b32 v51, v56, v50
	s_and_saveexec_b64 s[6:7], s[4:5]
	s_cbranch_execz .LBB1272_13
; %bb.12:
	s_waitcnt lgkmcnt(0)
	v_add_f32_e32 v50, v50, v51
	v_lshlrev_b32_e32 v51, 2, v59
	ds_write2st64_b32 v51, v54, v50 offset1:1
.LBB1272_13:
	s_or_b64 exec, exec, s[6:7]
	s_waitcnt lgkmcnt(0)
	v_lshlrev_b32_e32 v51, 2, v60
	s_load_dword s8, s[0:1], 0x94
	s_waitcnt lgkmcnt(0)
	s_barrier
	ds_read2_b32 v[52:53], v51 offset1:16
	ds_read2_b32 v[54:55], v51 offset0:32 offset1:48
	ds_read2_b32 v[56:57], v51 offset0:64 offset1:80
	s_movk_i32 s10, 0x7fff
	s_mul_i32 s9, s25, 5
	s_waitcnt lgkmcnt(2)
	v_max3_f32 v50, v52, s40, v53
	s_waitcnt lgkmcnt(1)
	v_max3_f32 v50, v50, v54, v55
	v_sub_f32_e32 v52, v52, v50
	v_mul_f32_e32 v52, 0x3fb8aa3b, v52
	v_exp_f32_e32 v59, v52
	v_sub_f32_e32 v52, v53, v50
	v_mul_f32_e32 v52, 0x3fb8aa3b, v52
	v_exp_f32_e32 v62, v52
	;; [unrolled: 3-line block ×3, first 2 shown]
	ds_read2_b32 v[52:53], v51 offset0:96 offset1:112
	v_sub_f32_e32 v51, v55, v50
	v_mul_f32_e32 v51, 0x3fb8aa3b, v51
	v_exp_f32_e32 v55, v51
	s_waitcnt lgkmcnt(1)
	v_fma_f32 v51, v59, v56, 0
	v_fmac_f32_e32 v51, v62, v57
	s_waitcnt lgkmcnt(0)
	v_fmac_f32_e32 v51, v54, v52
	v_fmac_f32_e32 v51, v55, v53
	v_add_f32_e32 v52, 0x358637bd, v51
	v_div_scale_f32 v53, s[6:7], v52, v52, 1.0
	v_rcp_f32_e32 v56, v53
	s_barrier
	v_fma_f32 v57, -v53, v56, 1.0
	v_fmac_f32_e32 v56, v57, v56
	v_div_scale_f32 v57, vcc, 1.0, v52, 1.0
	v_mul_f32_e32 v63, v57, v56
	v_fma_f32 v65, -v53, v63, v57
	v_fmac_f32_e32 v63, v65, v56
	v_fma_f32 v53, -v53, v63, v57
	v_div_fmas_f32 v53, v53, v56, v63
	v_cmp_eq_u32_e32 vcc, 1, v61
	v_div_fixup_f32 v52, v53, v52, 1.0
	s_nop 0
	v_cndmask_b32_e32 v53, v59, v62, vcc
	v_cmp_eq_u32_e32 vcc, 2, v61
	s_nop 1
	v_cndmask_b32_e32 v53, v53, v54, vcc
	v_cmp_eq_u32_e32 vcc, 3, v61
	s_nop 1
	v_cndmask_b32_e32 v53, v53, v55, vcc
	v_mul_f32_e32 v52, v53, v52
	v_pk_mul_f32 v[36:37], v[52:53], v[36:37] op_sel_hi:[0,1]
	v_pk_mul_f32 v[44:45], v[52:53], v[44:45] op_sel_hi:[0,1]
	v_bfe_u32 v53, v37, 16, 1
	v_bfe_u32 v54, v36, 16, 1
	v_add3_u32 v36, v36, v54, s10
	v_add3_u32 v37, v37, v53, s10
	v_perm_b32 v56, v37, v36, s44
	v_bfe_u32 v36, v45, 16, 1
	v_bfe_u32 v37, v44, 16, 1
	v_add3_u32 v37, v44, v37, s10
	v_add3_u32 v36, v45, v36, s10
	v_perm_b32 v57, v36, v37, s44
	v_lshlrev_b32_e32 v37, 3, v64
	v_lshlrev_b32_e32 v36, 5, v60
	;; [unrolled: 1-line block ×3, first 2 shown]
	v_pk_mul_f32 v[34:35], v[52:53], v[34:35] op_sel_hi:[0,1]
	v_or3_b32 v54, v44, v36, v37
	v_bfe_u32 v37, v35, 16, 1
	v_bfe_u32 v44, v34, 16, 1
	v_pk_mul_f32 v[42:43], v[52:53], v[42:43] op_sel_hi:[0,1]
	v_add3_u32 v34, v34, v44, s10
	v_add3_u32 v35, v35, v37, s10
	v_perm_b32 v34, v35, v34, s44
	v_bfe_u32 v35, v43, 16, 1
	v_bfe_u32 v37, v42, 16, 1
	v_add3_u32 v37, v42, v37, s10
	v_add3_u32 v35, v43, v35, s10
	v_pk_mul_f32 v[40:41], v[52:53], v[40:41] op_sel_hi:[0,1]
	v_perm_b32 v35, v35, v37, s44
	v_bfe_u32 v37, v41, 16, 1
	v_bfe_u32 v42, v40, 16, 1
	ds_write2st64_b64 v54, v[56:57], v[34:35] offset1:1
	v_pk_mul_f32 v[34:35], v[52:53], v[46:47] op_sel_hi:[0,1]
	v_add3_u32 v40, v40, v42, s10
	v_add3_u32 v37, v41, v37, s10
	v_perm_b32 v40, v37, v40, s44
	v_bfe_u32 v37, v35, 16, 1
	v_bfe_u32 v41, v34, 16, 1
	v_pk_mul_f32 v[38:39], v[52:53], v[38:39] op_sel_hi:[0,1]
	v_add3_u32 v34, v34, v41, s10
	v_add3_u32 v35, v35, v37, s10
	v_bfe_u32 v37, v39, 16, 1
	v_bfe_u32 v42, v38, 16, 1
	v_perm_b32 v41, v35, v34, s44
	v_pk_mul_f32 v[34:35], v[52:53], v[48:49] op_sel_hi:[0,1]
	v_add3_u32 v38, v38, v42, s10
	v_add3_u32 v37, v39, v37, s10
	v_perm_b32 v38, v37, v38, s44
	v_bfe_u32 v37, v35, 16, 1
	v_bfe_u32 v39, v34, 16, 1
	v_add3_u32 v34, v34, v39, s10
	v_add3_u32 v35, v35, v37, s10
	v_perm_b32 v39, v35, v34, s44
	v_cmp_gt_u32_e32 vcc, 5, v0
	ds_write2st64_b64 v54, v[40:41], v[38:39] offset0:2 offset1:3
	s_and_saveexec_b64 s[6:7], vcc
	s_cbranch_execz .LBB1272_15
; %bb.14:
	s_mov_b32 s49, 0
	v_mov_b32_e32 v61, 0
	v_lshl_add_u64 v[34:35], s[48:49], 0, v[60:61]
	v_mov_b32_e32 v37, s9
	v_mad_u64_u32 v[34:35], s[16:17], s2, v37, v[34:35]
	s_mul_i32 s3, s3, s9
	v_mov_b32_e32 v38, s24
	v_mov_b32_e32 v39, v61
	s_load_dwordx4 s[12:15], s[0:1], 0x58
	v_add_u32_e32 v37, s3, v35
	v_mad_u64_u32 v[34:35], s[16:17], v34, s8, v[38:39]
	v_mov_b32_e32 v38, v35
	v_mad_u64_u32 v[38:39], s[16:17], v37, s8, v[38:39]
	v_mov_b32_e32 v35, v38
	v_lshlrev_b64 v[34:35], 2, v[34:35]
	s_waitcnt lgkmcnt(0)
	v_lshl_add_u64 v[38:39], s[14:15], 0, v[34:35]
	v_lshl_add_u64 v[34:35], s[12:13], 0, v[34:35]
	global_store_dword v[38:39], v50, off
	global_store_dword v[34:35], v51, off
.LBB1272_15:
	s_or_b64 exec, exec, s[6:7]
	v_lshl_or_b32 v50, v64, 9, v36
	s_waitcnt vmcnt(7)
	v_cvt_pk_f32_fp8_e32 v[34:35], v30
	v_cvt_pk_f32_fp8_sdwa v[36:37], v30 src0_sel:WORD_1
	s_mov_b32 s7, 0x7060302
	s_waitcnt lgkmcnt(0)
	s_barrier
	v_cvt_pk_f32_fp8_e32 v[38:39], v31
	v_perm_b32 v30, v35, v34, s7
	v_cvt_pk_f32_fp8_sdwa v[40:41], v31 src0_sel:WORD_1
	v_perm_b32 v31, v37, v36, s7
	ds_read_b128 v[34:37], v50
	v_perm_b32 v46, v39, v38, s7
	v_perm_b32 v47, v41, v40, s7
	ds_read_b128 v[38:41], v50 offset:16
	v_cvt_pk_f32_fp8_e32 v[48:49], v32
	v_cvt_pk_f32_fp8_sdwa v[52:53], v32 src0_sel:WORD_1
	s_waitcnt lgkmcnt(1)
	v_mfma_f32_16x16x16_bf16 v[42:45], v[30:31], v[34:35], 0
	s_waitcnt vmcnt(6)
	v_cvt_pk_f32_fp8_e32 v[56:57], v24
	v_perm_b32 v30, v49, v48, s7
	v_perm_b32 v31, v53, v52, s7
	v_cvt_pk_f32_fp8_e32 v[48:49], v33
	v_mfma_f32_16x16x16_bf16 v[42:45], v[46:47], v[36:37], v[42:45]
	v_cvt_pk_f32_fp8_sdwa v[46:47], v33 src0_sel:WORD_1
	v_cvt_pk_f32_fp8_sdwa v[62:63], v24 src0_sel:WORD_1
	v_perm_b32 v48, v49, v48, s7
	s_waitcnt lgkmcnt(0)
	v_mfma_f32_16x16x16_bf16 v[30:33], v[30:31], v[38:39], v[42:45]
	v_perm_b32 v49, v47, v46, s7
	s_waitcnt vmcnt(4)
	v_cvt_pk_f32_fp8_sdwa v[70:71], v4 src0_sel:WORD_1
	s_load_dword s6, s[42:43], 0x0
	v_cvt_pk_f32_fp8_e32 v[42:43], v22
	v_mfma_f32_16x16x16_bf16 v[46:49], v[48:49], v[40:41], v[30:33]
	s_waitcnt vmcnt(3)
	v_cvt_pk_f32_fp8_sdwa v[72:73], v28 src0_sel:WORD_1
	s_mov_b32 s3, 0
	v_cvt_pk_f32_fp8_sdwa v[30:31], v22 src0_sel:WORD_1
	v_cvt_pk_f32_fp8_e32 v[32:33], v23
	v_perm_b32 v22, v43, v42, s7
	v_cvt_pk_f32_fp8_sdwa v[42:43], v23 src0_sel:WORD_1
	v_perm_b32 v23, v31, v30, s7
	v_perm_b32 v52, v33, v32, s7
	ds_read_b128 v[30:33], v50 offset:2048
	v_perm_b32 v53, v43, v42, s7
	ds_read_b128 v[42:45], v50 offset:2064
	s_waitcnt lgkmcnt(0)
	v_mfma_f32_16x16x16_bf16 v[46:49], v[22:23], v[30:31], v[46:49]
	v_perm_b32 v22, v57, v56, s7
	v_perm_b32 v23, v63, v62, s7
	v_cvt_pk_f32_fp8_e32 v[56:57], v25
	v_mfma_f32_16x16x16_bf16 v[46:49], v[52:53], v[32:33], v[46:49]
	v_cvt_pk_f32_fp8_sdwa v[52:53], v25 src0_sel:WORD_1
	v_cvt_pk_f32_fp8_sdwa v[62:63], v16 src0_sel:WORD_1
	v_perm_b32 v56, v57, v56, s7
	v_mfma_f32_16x16x16_bf16 v[22:25], v[22:23], v[42:43], v[46:49]
	v_perm_b32 v57, v53, v52, s7
	v_cmp_gt_u32_e32 vcc, 64, v0
	s_nop 0
	v_cvt_pk_f32_fp8_e32 v[46:47], v14
	v_mfma_f32_16x16x16_bf16 v[66:69], v[56:57], v[44:45], v[22:25]
	v_cvt_pk_f32_fp8_e32 v[56:57], v16
	s_nop 1
	v_cvt_pk_f32_fp8_sdwa v[22:23], v14 src0_sel:WORD_1
	v_cvt_pk_f32_fp8_e32 v[24:25], v15
	v_perm_b32 v14, v47, v46, s7
	v_cvt_pk_f32_fp8_sdwa v[46:47], v15 src0_sel:WORD_1
	v_perm_b32 v15, v23, v22, s7
	v_perm_b32 v52, v25, v24, s7
	ds_read_b128 v[22:25], v50 offset:4096
	v_perm_b32 v53, v47, v46, s7
	ds_read_b128 v[46:49], v50 offset:4112
	s_waitcnt lgkmcnt(1)
	v_mfma_f32_16x16x16_bf16 v[66:69], v[14:15], v[22:23], v[66:69]
	v_perm_b32 v14, v57, v56, s7
	v_perm_b32 v15, v63, v62, s7
	v_cvt_pk_f32_fp8_e32 v[56:57], v17
	v_mfma_f32_16x16x16_bf16 v[66:69], v[52:53], v[24:25], v[66:69]
	v_cvt_pk_f32_fp8_sdwa v[52:53], v17 src0_sel:WORD_1
	v_cvt_pk_f32_fp8_e32 v[62:63], v4
	v_perm_b32 v56, v57, v56, s7
	s_waitcnt lgkmcnt(0)
	v_mfma_f32_16x16x16_bf16 v[14:17], v[14:15], v[46:47], v[66:69]
	v_perm_b32 v57, v53, v52, s7
	v_cvt_pk_f32_fp8_e32 v[52:53], v2
	s_nop 0
	v_mfma_f32_16x16x16_bf16 v[66:69], v[56:57], v[48:49], v[14:17]
	s_nop 2
	v_cvt_pk_f32_fp8_sdwa v[14:15], v2 src0_sel:WORD_1
	v_cvt_pk_f32_fp8_e32 v[16:17], v3
	v_perm_b32 v2, v53, v52, s7
	v_cvt_pk_f32_fp8_sdwa v[52:53], v3 src0_sel:WORD_1
	v_perm_b32 v3, v15, v14, s7
	v_perm_b32 v56, v17, v16, s7
	ds_read_b128 v[14:17], v50 offset:6144
	v_perm_b32 v57, v53, v52, s7
	s_waitcnt lgkmcnt(0)
	v_mfma_f32_16x16x16_bf16 v[66:69], v[2:3], v[14:15], v[66:69]
	ds_read_b128 v[50:53], v50 offset:6160
	v_perm_b32 v2, v63, v62, s7
	v_perm_b32 v3, v71, v70, s7
	v_cvt_pk_f32_fp8_e32 v[62:63], v5
	v_mfma_f32_16x16x16_bf16 v[66:69], v[56:57], v[16:17], v[66:69]
	v_cvt_pk_f32_fp8_sdwa v[56:57], v5 src0_sel:WORD_1
	v_cvt_pk_f32_fp8_e32 v[70:71], v28
	v_perm_b32 v62, v63, v62, s7
	s_waitcnt lgkmcnt(0)
	v_mfma_f32_16x16x16_bf16 v[2:5], v[2:3], v[50:51], v[66:69]
	v_perm_b32 v63, v57, v56, s7
	v_cvt_pk_f32_fp8_sdwa v[56:57], v26 src0_sel:WORD_1
	s_nop 0
	v_mfma_f32_16x16x16_bf16 v[66:69], v[62:63], v[52:53], v[2:5]
	s_barrier
	s_nop 1
	v_cvt_pk_f32_fp8_e32 v[4:5], v26
	s_nop 2
	v_pk_mul_f32 v[62:63], v[66:67], s[6:7] op_sel_hi:[1,0]
	v_cvt_pk_f32_fp8_e32 v[66:67], v27
	v_perm_b32 v4, v5, v4, s7
	v_perm_b32 v5, v57, v56, s7
	v_cvt_pk_f32_fp8_sdwa v[26:27], v27 src0_sel:WORD_1
	v_perm_b32 v56, v67, v66, s7
	v_pk_mul_f32 v[2:3], v[68:69], s[6:7] op_sel_hi:[1,0]
	v_mfma_f32_16x16x16_bf16 v[66:69], v[4:5], v[34:35], 0
	v_perm_b32 v57, v27, v26, s7
	v_perm_b32 v4, v71, v70, s7
	;; [unrolled: 1-line block ×3, first 2 shown]
	v_cvt_pk_f32_fp8_e32 v[34:35], v29
	v_cvt_pk_f32_fp8_sdwa v[70:71], v29 src0_sel:WORD_1
	v_mfma_f32_16x16x16_bf16 v[26:29], v[56:57], v[36:37], v[66:69]
	s_waitcnt vmcnt(2)
	v_cvt_pk_f32_fp8_sdwa v[36:37], v18 src0_sel:WORD_1
	v_perm_b32 v34, v35, v34, s7
	v_perm_b32 v35, v71, v70, s7
	v_mfma_f32_16x16x16_bf16 v[26:29], v[4:5], v[38:39], v[26:29]
	v_cvt_pk_f32_fp8_e32 v[4:5], v18
	v_cvt_pk_f32_fp8_sdwa v[38:39], v20 src0_sel:WORD_1
	v_bfe_u32 v55, v63, 16, 1
	v_mfma_f32_16x16x16_bf16 v[26:29], v[34:35], v[40:41], v[26:29]
	v_cvt_pk_f32_fp8_e32 v[34:35], v19
	v_perm_b32 v4, v5, v4, s7
	v_perm_b32 v5, v37, v36, s7
	v_cvt_pk_f32_fp8_sdwa v[18:19], v19 src0_sel:WORD_1
	v_perm_b32 v34, v35, v34, s7
	v_cvt_pk_f32_fp8_e32 v[36:37], v20
	v_mfma_f32_16x16x16_bf16 v[26:29], v[4:5], v[30:31], v[26:29]
	v_perm_b32 v35, v19, v18, s7
	v_perm_b32 v4, v37, v36, s7
	;; [unrolled: 1-line block ×3, first 2 shown]
	v_cvt_pk_f32_fp8_e32 v[30:31], v21
	v_cvt_pk_f32_fp8_sdwa v[36:37], v21 src0_sel:WORD_1
	v_mfma_f32_16x16x16_bf16 v[18:21], v[34:35], v[32:33], v[26:29]
	v_bfe_u32 v56, v62, 16, 1
	v_add3_u32 v32, v62, v56, s10
	v_add3_u32 v33, v63, v55, s10
	v_perm_b32 v26, v31, v30, s7
	v_perm_b32 v27, v37, v36, s7
	v_mfma_f32_16x16x16_bf16 v[18:21], v[4:5], v[42:43], v[18:21]
	s_waitcnt vmcnt(1)
	v_cvt_pk_f32_fp8_e32 v[4:5], v10
	v_cvt_pk_f32_fp8_sdwa v[28:29], v10 src0_sel:WORD_1
	v_cvt_pk_f32_fp8_sdwa v[30:31], v12 src0_sel:WORD_1
	v_mfma_f32_16x16x16_bf16 v[18:21], v[26:27], v[44:45], v[18:21]
	v_cvt_pk_f32_fp8_e32 v[26:27], v11
	v_perm_b32 v4, v5, v4, s7
	v_perm_b32 v5, v29, v28, s7
	v_cvt_pk_f32_fp8_sdwa v[10:11], v11 src0_sel:WORD_1
	v_perm_b32 v26, v27, v26, s7
	v_cvt_pk_f32_fp8_e32 v[28:29], v12
	v_mfma_f32_16x16x16_bf16 v[18:21], v[4:5], v[22:23], v[18:21]
	v_perm_b32 v27, v11, v10, s7
	v_perm_b32 v4, v29, v28, s7
	;; [unrolled: 1-line block ×3, first 2 shown]
	v_cvt_pk_f32_fp8_e32 v[22:23], v13
	v_cvt_pk_f32_fp8_sdwa v[28:29], v13 src0_sel:WORD_1
	v_mfma_f32_16x16x16_bf16 v[10:13], v[26:27], v[24:25], v[18:21]
	s_waitcnt vmcnt(0)
	v_cvt_pk_f32_fp8_sdwa v[24:25], v8 src0_sel:WORD_1
	s_nop 0
	v_perm_b32 v20, v23, v22, s7
	v_perm_b32 v21, v29, v28, s7
	v_mfma_f32_16x16x16_bf16 v[10:13], v[4:5], v[46:47], v[10:13]
	v_cvt_pk_f32_fp8_e32 v[4:5], v6
	v_cvt_pk_f32_fp8_sdwa v[22:23], v6 src0_sel:WORD_1
	v_bfe_u32 v19, v3, 16, 1
	v_mfma_f32_16x16x16_bf16 v[10:13], v[20:21], v[48:49], v[10:13]
	v_cvt_pk_f32_fp8_e32 v[20:21], v7
	v_perm_b32 v4, v5, v4, s7
	v_perm_b32 v5, v23, v22, s7
	v_cvt_pk_f32_fp8_sdwa v[6:7], v7 src0_sel:WORD_1
	v_perm_b32 v20, v21, v20, s7
	v_cvt_pk_f32_fp8_e32 v[22:23], v8
	v_add3_u32 v3, v3, v19, s10
	v_perm_b32 v21, v7, v6, s7
	v_mfma_f32_16x16x16_bf16 v[4:7], v[4:5], v[14:15], v[10:13]
	v_bfe_u32 v14, v2, 16, 1
	v_add3_u32 v2, v2, v14, s10
	v_perm_b32 v19, v3, v2, s7
	v_perm_b32 v10, v23, v22, s7
	;; [unrolled: 1-line block ×3, first 2 shown]
	v_cvt_pk_f32_fp8_e32 v[12:13], v9
	v_cvt_pk_f32_fp8_sdwa v[8:9], v9 src0_sel:WORD_1
	v_mfma_f32_16x16x16_bf16 v[4:7], v[20:21], v[16:17], v[4:7]
	v_perm_b32 v18, v33, v32, s7
	v_perm_b32 v12, v13, v12, s7
	;; [unrolled: 1-line block ×3, first 2 shown]
	v_mfma_f32_16x16x16_bf16 v[4:7], v[10:11], v[50:51], v[4:7]
	s_nop 0
	v_mfma_f32_16x16x16_bf16 v[2:5], v[12:13], v[52:53], v[4:7]
	s_nop 6
	v_pk_mul_f32 v[2:3], v[2:3], s[6:7] op_sel_hi:[1,0]
	v_pk_mul_f32 v[4:5], v[4:5], s[6:7] op_sel_hi:[1,0]
	v_bfe_u32 v6, v3, 16, 1
	v_bfe_u32 v7, v2, 16, 1
	v_add3_u32 v2, v2, v7, s10
	v_add3_u32 v3, v3, v6, s10
	v_perm_b32 v2, v3, v2, s7
	v_bfe_u32 v3, v5, 16, 1
	v_bfe_u32 v6, v4, 16, 1
	v_add3_u32 v4, v4, v6, s10
	v_add3_u32 v3, v5, v3, s10
	v_perm_b32 v3, v3, v4, s7
	ds_write2st64_b64 v54, v[18:19], v[2:3] offset1:1
	s_waitcnt lgkmcnt(0)
	s_barrier
	s_and_saveexec_b64 s[6:7], vcc
	s_cbranch_execz .LBB1272_18
; %bb.16:
	s_load_dwordx2 s[6:7], s[0:1], 0x68
	s_lshl_b32 s0, s8, 7
	s_mul_i32 s1, s9, s2
	v_lshlrev_b32_e32 v3, 6, v60
	s_mul_hi_u32 s9, s1, s0
	s_mul_i32 s8, s1, s0
	v_lshl_or_b32 v0, v0, 10, v3
	s_lshl_b64 s[8:9], s[8:9], 1
	v_lshlrev_b32_e32 v2, 5, v64
	v_and_b32_e32 v1, 16, v1
	v_and_b32_e32 v0, 0x1a00, v0
	s_waitcnt lgkmcnt(0)
	s_add_u32 s1, s6, s8
	v_or3_b32 v2, v0, v2, v1
	s_addc_u32 s6, s7, s9
	s_lshl_b32 s2, s24, 7
	s_lshl_b64 s[2:3], s[2:3], 1
	ds_read_b128 v[4:7], v2
	s_add_u32 s2, s1, s2
	s_addc_u32 s3, s6, s3
	v_mov_b32_e32 v59, 0
	v_add_u32_e32 v3, s48, v64
	v_lshl_add_u64 v[0:1], s[2:3], 0, v[58:59]
	v_mad_u64_u32 v[8:9], s[2:3], v3, s0, 0
	v_lshl_add_u64 v[8:9], v[8:9], 1, v[0:1]
	s_waitcnt lgkmcnt(0)
	global_store_dwordx4 v[8:9], v[4:7], off
	s_and_b64 exec, exec, s[4:5]
	s_cbranch_execz .LBB1272_18
; %bb.17:
	ds_read_b128 v[2:5], v2 offset:128
	v_add3_u32 v6, s48, v64, 4
	v_mad_u64_u32 v[6:7], s[0:1], v6, s0, 0
	v_lshl_add_u64 v[0:1], v[6:7], 1, v[0:1]
	s_waitcnt lgkmcnt(0)
	global_store_dwordx4 v[0:1], v[2:5], off
.LBB1272_18:
	s_endpgm
	.section	.rodata,"a",@progbits
	.p2align	6, 0x0
	.amdhsa_kernel _Z39paged_attention_ll4mi_QKV_mfma16_kernelI14__hip_bfloat16hLN4vllm18Fp8KVCacheDataTypeE1EhLi16ELi128ELi256ELb0ELi5EEvPKT_PKT0_S8_ifPKiSA_SA_iPKfiiiPfSD_PS3_PT2_iSC_SC_
		.amdhsa_group_segment_fixed_size 8192
		.amdhsa_private_segment_fixed_size 0
		.amdhsa_kernarg_size 400
		.amdhsa_user_sgpr_count 2
		.amdhsa_user_sgpr_dispatch_ptr 0
		.amdhsa_user_sgpr_queue_ptr 0
		.amdhsa_user_sgpr_kernarg_segment_ptr 1
		.amdhsa_user_sgpr_dispatch_id 0
		.amdhsa_user_sgpr_kernarg_preload_length 0
		.amdhsa_user_sgpr_kernarg_preload_offset 0
		.amdhsa_user_sgpr_private_segment_size 0
		.amdhsa_uses_dynamic_stack 0
		.amdhsa_enable_private_segment 0
		.amdhsa_system_sgpr_workgroup_id_x 1
		.amdhsa_system_sgpr_workgroup_id_y 1
		.amdhsa_system_sgpr_workgroup_id_z 1
		.amdhsa_system_sgpr_workgroup_info 0
		.amdhsa_system_vgpr_workitem_id 0
		.amdhsa_next_free_vgpr 86
		.amdhsa_next_free_sgpr 50
		.amdhsa_accum_offset 88
		.amdhsa_reserve_vcc 1
		.amdhsa_float_round_mode_32 0
		.amdhsa_float_round_mode_16_64 0
		.amdhsa_float_denorm_mode_32 3
		.amdhsa_float_denorm_mode_16_64 3
		.amdhsa_dx10_clamp 1
		.amdhsa_ieee_mode 1
		.amdhsa_fp16_overflow 0
		.amdhsa_tg_split 0
		.amdhsa_exception_fp_ieee_invalid_op 0
		.amdhsa_exception_fp_denorm_src 0
		.amdhsa_exception_fp_ieee_div_zero 0
		.amdhsa_exception_fp_ieee_overflow 0
		.amdhsa_exception_fp_ieee_underflow 0
		.amdhsa_exception_fp_ieee_inexact 0
		.amdhsa_exception_int_div_zero 0
	.end_amdhsa_kernel
	.section	.text._Z39paged_attention_ll4mi_QKV_mfma16_kernelI14__hip_bfloat16hLN4vllm18Fp8KVCacheDataTypeE1EhLi16ELi128ELi256ELb0ELi5EEvPKT_PKT0_S8_ifPKiSA_SA_iPKfiiiPfSD_PS3_PT2_iSC_SC_,"axG",@progbits,_Z39paged_attention_ll4mi_QKV_mfma16_kernelI14__hip_bfloat16hLN4vllm18Fp8KVCacheDataTypeE1EhLi16ELi128ELi256ELb0ELi5EEvPKT_PKT0_S8_ifPKiSA_SA_iPKfiiiPfSD_PS3_PT2_iSC_SC_,comdat
.Lfunc_end1272:
	.size	_Z39paged_attention_ll4mi_QKV_mfma16_kernelI14__hip_bfloat16hLN4vllm18Fp8KVCacheDataTypeE1EhLi16ELi128ELi256ELb0ELi5EEvPKT_PKT0_S8_ifPKiSA_SA_iPKfiiiPfSD_PS3_PT2_iSC_SC_, .Lfunc_end1272-_Z39paged_attention_ll4mi_QKV_mfma16_kernelI14__hip_bfloat16hLN4vllm18Fp8KVCacheDataTypeE1EhLi16ELi128ELi256ELb0ELi5EEvPKT_PKT0_S8_ifPKiSA_SA_iPKfiiiPfSD_PS3_PT2_iSC_SC_
                                        ; -- End function
	.section	.AMDGPU.csdata,"",@progbits
; Kernel info:
; codeLenInByte = 6316
; NumSgprs: 56
; NumVgprs: 86
; NumAgprs: 0
; TotalNumVgprs: 86
; ScratchSize: 0
; MemoryBound: 0
; FloatMode: 240
; IeeeMode: 1
; LDSByteSize: 8192 bytes/workgroup (compile time only)
; SGPRBlocks: 6
; VGPRBlocks: 10
; NumSGPRsForWavesPerEU: 56
; NumVGPRsForWavesPerEU: 86
; AccumOffset: 88
; Occupancy: 5
; WaveLimiterHint : 1
; COMPUTE_PGM_RSRC2:SCRATCH_EN: 0
; COMPUTE_PGM_RSRC2:USER_SGPR: 2
; COMPUTE_PGM_RSRC2:TRAP_HANDLER: 0
; COMPUTE_PGM_RSRC2:TGID_X_EN: 1
; COMPUTE_PGM_RSRC2:TGID_Y_EN: 1
; COMPUTE_PGM_RSRC2:TGID_Z_EN: 1
; COMPUTE_PGM_RSRC2:TIDIG_COMP_CNT: 0
; COMPUTE_PGM_RSRC3_GFX90A:ACCUM_OFFSET: 21
; COMPUTE_PGM_RSRC3_GFX90A:TG_SPLIT: 0
	.section	.text._Z39paged_attention_ll4mi_QKV_mfma16_kernelI14__hip_bfloat16hLN4vllm18Fp8KVCacheDataTypeE1EhLi16ELi128ELi256ELb0ELi6EEvPKT_PKT0_S8_ifPKiSA_SA_iPKfiiiPfSD_PS3_PT2_iSC_SC_,"axG",@progbits,_Z39paged_attention_ll4mi_QKV_mfma16_kernelI14__hip_bfloat16hLN4vllm18Fp8KVCacheDataTypeE1EhLi16ELi128ELi256ELb0ELi6EEvPKT_PKT0_S8_ifPKiSA_SA_iPKfiiiPfSD_PS3_PT2_iSC_SC_,comdat
	.protected	_Z39paged_attention_ll4mi_QKV_mfma16_kernelI14__hip_bfloat16hLN4vllm18Fp8KVCacheDataTypeE1EhLi16ELi128ELi256ELb0ELi6EEvPKT_PKT0_S8_ifPKiSA_SA_iPKfiiiPfSD_PS3_PT2_iSC_SC_ ; -- Begin function _Z39paged_attention_ll4mi_QKV_mfma16_kernelI14__hip_bfloat16hLN4vllm18Fp8KVCacheDataTypeE1EhLi16ELi128ELi256ELb0ELi6EEvPKT_PKT0_S8_ifPKiSA_SA_iPKfiiiPfSD_PS3_PT2_iSC_SC_
	.globl	_Z39paged_attention_ll4mi_QKV_mfma16_kernelI14__hip_bfloat16hLN4vllm18Fp8KVCacheDataTypeE1EhLi16ELi128ELi256ELb0ELi6EEvPKT_PKT0_S8_ifPKiSA_SA_iPKfiiiPfSD_PS3_PT2_iSC_SC_
	.p2align	8
	.type	_Z39paged_attention_ll4mi_QKV_mfma16_kernelI14__hip_bfloat16hLN4vllm18Fp8KVCacheDataTypeE1EhLi16ELi128ELi256ELb0ELi6EEvPKT_PKT0_S8_ifPKiSA_SA_iPKfiiiPfSD_PS3_PT2_iSC_SC_,@function
_Z39paged_attention_ll4mi_QKV_mfma16_kernelI14__hip_bfloat16hLN4vllm18Fp8KVCacheDataTypeE1EhLi16ELi128ELi256ELb0ELi6EEvPKT_PKT0_S8_ifPKiSA_SA_iPKfiiiPfSD_PS3_PT2_iSC_SC_: ; @_Z39paged_attention_ll4mi_QKV_mfma16_kernelI14__hip_bfloat16hLN4vllm18Fp8KVCacheDataTypeE1EhLi16ELi128ELi256ELb0ELi6EEvPKT_PKT0_S8_ifPKiSA_SA_iPKfiiiPfSD_PS3_PT2_iSC_SC_
; %bb.0:
	s_load_dwordx2 s[12:13], s[0:1], 0x30
	s_mov_b32 s24, s3
	s_mov_b64 s[6:7], 0
	s_waitcnt lgkmcnt(0)
	s_cmp_lg_u64 s[12:13], 0
	s_cselect_b64 s[14:15], -1, 0
	s_and_b64 vcc, exec, s[14:15]
	s_cbranch_vccz .LBB1273_7
; %bb.1:
	s_add_i32 s8, s2, 1
	s_mov_b32 s9, 0
	s_lshl_b64 s[10:11], s[8:9], 2
	s_add_u32 s10, s12, s10
	s_mov_b32 s3, s9
	s_addc_u32 s11, s13, s11
	s_lshl_b64 s[8:9], s[2:3], 2
	s_add_u32 s8, s12, s8
	s_addc_u32 s9, s13, s9
	s_load_dword s5, s[10:11], 0x0
	s_load_dword s16, s[8:9], 0x0
	s_waitcnt lgkmcnt(0)
	s_sub_i32 s5, s5, s16
	s_cmp_eq_u32 s5, 1
	s_cselect_b64 s[8:9], -1, 0
	s_andn2_b64 vcc, exec, s[6:7]
	s_cbranch_vccnz .LBB1273_3
.LBB1273_2:
	s_mov_b32 s3, 0
	s_mov_b64 s[8:9], -1
.LBB1273_3:
	s_andn2_b64 vcc, exec, s[8:9]
	s_cbranch_vccnz .LBB1273_18
; %bb.4:
	s_load_dwordx2 s[6:7], s[0:1], 0x28
	s_lshl_b64 s[16:17], s[2:3], 2
	s_waitcnt lgkmcnt(0)
	s_add_u32 s6, s6, s16
	s_addc_u32 s7, s7, s17
	s_load_dword s33, s[6:7], 0x0
	s_lshl_b32 s18, s24, 8
	s_waitcnt lgkmcnt(0)
	s_cmp_ge_i32 s18, s33
	s_cbranch_scc1 .LBB1273_18
; %bb.5:
	s_load_dwordx2 s[6:7], s[0:1], 0x20
	s_load_dword s8, s[0:1], 0x38
	s_add_i32 s5, s33, 15
	s_ashr_i32 s9, s5, 31
	v_and_b32_e32 v1, 0xcf, v0
	s_lshr_b32 s9, s9, 28
	v_add_u32_e32 v1, s18, v1
	s_add_i32 s5, s5, s9
	v_ashrrev_i32_e32 v2, 31, v1
	s_ashr_i32 s5, s5, 4
	v_lshrrev_b32_e32 v10, 28, v2
	s_add_i32 s5, s5, -1
	s_waitcnt lgkmcnt(0)
	s_mul_i32 s8, s2, s8
	s_mov_b32 s9, 0
	v_add_u32_e32 v2, v1, v10
	s_lshl_b64 s[8:9], s[8:9], 2
	v_ashrrev_i32_e32 v2, 4, v2
	v_mov_b32_e32 v11, s5
	v_cmp_gt_i32_e32 vcc, s33, v1
	s_add_u32 s6, s6, s8
	s_addc_u32 s7, s7, s9
	v_cndmask_b32_e32 v2, v11, v2, vcc
	v_ashrrev_i32_e32 v3, 31, v2
	v_lshl_add_u64 v[4:5], v[2:3], 2, s[6:7]
	v_or_b32_e32 v2, 16, v1
	v_add_u32_e32 v3, v2, v10
	v_ashrrev_i32_e32 v3, 4, v3
	v_cmp_gt_i32_e32 vcc, s33, v2
	s_load_dwordx4 s[8:11], s[0:1], 0x8
	s_nop 0
	v_cndmask_b32_e32 v2, v11, v3, vcc
	v_ashrrev_i32_e32 v3, 31, v2
	v_lshl_add_u64 v[6:7], v[2:3], 2, s[6:7]
	v_or_b32_e32 v2, 32, v1
	v_add_u32_e32 v3, v2, v10
	v_ashrrev_i32_e32 v3, 4, v3
	v_cmp_gt_i32_e32 vcc, s33, v2
	v_or_b32_e32 v1, 48, v1
	s_nop 0
	v_cndmask_b32_e32 v2, v11, v3, vcc
	v_ashrrev_i32_e32 v3, 31, v2
	v_lshl_add_u64 v[8:9], v[2:3], 2, s[6:7]
	v_add_u32_e32 v2, v1, v10
	v_ashrrev_i32_e32 v2, 4, v2
	v_cmp_gt_i32_e32 vcc, s33, v1
	s_nop 1
	v_cndmask_b32_e32 v2, v11, v2, vcc
	v_ashrrev_i32_e32 v3, 31, v2
	v_lshl_add_u64 v[12:13], v[2:3], 2, s[6:7]
	global_load_dword v3, v[4:5], off
	global_load_dword v2, v[6:7], off
	;; [unrolled: 1-line block ×4, first 2 shown]
	s_andn2_b64 vcc, exec, s[14:15]
	s_cbranch_vccnz .LBB1273_8
; %bb.6:
	s_add_u32 s12, s12, s16
	s_addc_u32 s13, s13, s17
	s_load_dword s14, s[12:13], 0x0
	s_branch .LBB1273_9
.LBB1273_7:
	s_mov_b64 s[8:9], 0
	s_branch .LBB1273_2
.LBB1273_8:
	s_mov_b32 s14, s2
.LBB1273_9:
	s_load_dwordx4 s[44:47], s[0:1], 0x48
	v_lshrrev_b32_e32 v61, 6, v0
	v_bfe_u32 v64, v0, 4, 2
	v_and_b32_e32 v60, 15, v0
	v_lshl_or_b32 v4, v61, 2, v64
	v_lshlrev_b32_e32 v1, 3, v60
	v_and_b32_e32 v65, 63, v0
	s_mul_i32 s48, s4, 6
	v_cmp_gt_u32_e32 vcc, 6, v4
	v_lshlrev_b32_e32 v58, 1, v1
	v_lshlrev_b32_e32 v1, 4, v0
	s_and_saveexec_b64 s[12:13], vcc
	s_cbranch_execz .LBB1273_11
; %bb.10:
	s_load_dwordx2 s[16:17], s[0:1], 0x0
	s_waitcnt lgkmcnt(0)
	s_ashr_i32 s15, s44, 31
	s_mul_hi_u32 s19, s14, s44
	s_mul_i32 s15, s14, s15
	s_add_i32 s15, s19, s15
	s_mul_i32 s14, s14, s44
	s_lshl_b64 s[14:15], s[14:15], 1
	s_add_u32 s14, s16, s14
	v_add_lshl_u32 v6, v4, s48, 7
	s_addc_u32 s15, s17, s15
	v_ashrrev_i32_e32 v7, 31, v6
	v_lshl_add_u64 v[6:7], v[6:7], 1, s[14:15]
	v_mov_b32_e32 v59, 0
	v_lshl_add_u64 v[6:7], v[6:7], 0, v[58:59]
	global_load_dwordx4 v[6:9], v[6:7], off
	v_lshlrev_b32_e32 v12, 8, v0
	v_lshlrev_b32_e32 v5, 8, v60
	v_and_b32_e32 v12, 0x600, v12
	s_movk_i32 s14, 0x800
	v_and_or_b32 v5, v5, s14, v12
	v_lshlrev_b32_e32 v4, 5, v4
	v_and_b32_e32 v12, 16, v1
	v_or3_b32 v4, v5, v4, v12
	s_waitcnt vmcnt(0)
	ds_write_b128 v4, v[6:9]
.LBB1273_11:
	s_or_b64 exec, exec, s[12:13]
	s_waitcnt lgkmcnt(0)
	s_mul_i32 s4, s4, s46
	s_add_u32 s8, s8, s4
	s_addc_u32 s9, s9, 0
	v_and_b32_e32 v62, 0xf0, v1
	v_mov_b32_e32 v63, 0
	v_and_b32_e32 v12, 48, v0
	v_lshl_add_u64 v[6:7], s[8:9], 0, v[62:63]
	v_lshlrev_b32_e32 v62, 4, v12
	s_waitcnt vmcnt(3)
	v_mad_i64_i32 v[4:5], s[8:9], v3, s45, v[6:7]
	v_lshl_add_u64 v[4:5], v[4:5], 0, v[62:63]
	s_load_dword s25, s[0:1], 0x98
	s_load_dwordx4 s[40:43], s[0:1], 0x80
	s_waitcnt lgkmcnt(0)
	s_barrier
	global_load_dwordx4 v[22:25], v[4:5], off
	global_load_dwordx4 v[14:17], v[4:5], off offset:1024
	s_waitcnt vmcnt(4)
	v_mad_i64_i32 v[2:3], s[12:13], v2, s45, v[6:7]
	v_lshl_add_u64 v[8:9], v[2:3], 0, v[62:63]
	global_load_dwordx4 v[2:5], v[8:9], off
	v_mul_lo_u16_e32 v13, 43, v60
	v_mov_b32_e32 v18, 6
	v_or_b32_e32 v12, s18, v12
	v_mov_b32_e32 v20, s5
	v_mul_lo_u16_sdwa v13, v13, v18 dst_sel:DWORD dst_unused:UNUSED_PAD src0_sel:BYTE_1 src1_sel:DWORD
	v_ashrrev_i32_e32 v18, 4, v12
	v_or_b32_e32 v21, 64, v12
	v_cmp_gt_i32_e32 vcc, s33, v12
	v_mov_b32_e32 v19, 5
	v_sub_u16_e32 v13, v60, v13
	v_or_b32_e32 v26, 0x80, v12
	v_or_b32_e32 v27, 0xc0, v12
	v_cndmask_b32_e32 v38, v20, v18, vcc
	v_ashrrev_i32_e32 v12, 4, v21
	v_cmp_gt_i32_e32 vcc, s33, v21
	v_lshlrev_b32_sdwa v13, v19, v13 dst_sel:DWORD dst_unused:UNUSED_PAD src0_sel:DWORD src1_sel:BYTE_0
	v_ashrrev_i32_e32 v18, 4, v26
	v_cndmask_b32_e32 v42, v20, v12, vcc
	v_cmp_gt_i32_e32 vcc, s33, v26
	v_ashrrev_i32_e32 v19, 4, v27
	v_lshl_add_u32 v36, v64, 9, v13
	v_cndmask_b32_e32 v44, v20, v18, vcc
	v_cmp_gt_i32_e32 vcc, s33, v27
	s_waitcnt vmcnt(4)
	v_mad_i64_i32 v[34:35], s[12:13], v10, s45, v[6:7]
	v_cndmask_b32_e32 v46, v20, v19, vcc
	ds_read_b128 v[26:29], v36
	ds_read_b128 v[18:21], v36 offset:16
	global_load_dwordx4 v[30:33], v[8:9], off offset:1024
	s_waitcnt vmcnt(4)
	v_mad_i64_i32 v[40:41], s[12:13], v11, s45, v[6:7]
	v_ashrrev_i32_e32 v39, 31, v38
	ds_read_b128 v[10:13], v36 offset:2048
	ds_read_b128 v[6:9], v36 offset:2064
	v_lshl_add_u64 v[36:37], v[34:35], 0, v[62:63]
	v_lshl_add_u64 v[34:35], v[40:41], 0, v[62:63]
	v_ashrrev_i32_e32 v43, 31, v42
	v_ashrrev_i32_e32 v45, 31, v44
	;; [unrolled: 1-line block ×3, first 2 shown]
	v_lshl_add_u64 v[50:51], v[38:39], 2, s[6:7]
	v_lshl_add_u64 v[52:53], v[42:43], 2, s[6:7]
	;; [unrolled: 1-line block ×4, first 2 shown]
	global_load_dwordx4 v[46:49], v[36:37], off
	global_load_dwordx4 v[42:45], v[36:37], off offset:1024
	global_load_dwordx4 v[38:41], v[34:35], off
	s_nop 0
	global_load_dwordx4 v[34:37], v[34:35], off offset:1024
	s_nop 0
	global_load_dword v69, v[50:51], off
	global_load_dword v68, v[52:53], off
	global_load_dword v67, v[54:55], off
	global_load_dword v66, v[56:57], off
	s_mov_b32 s44, 0x7060302
	s_add_u32 s4, s10, s4
	v_lshl_or_b32 v59, v61, 4, v60
	s_addc_u32 s5, s11, 0
	v_lshlrev_b32_e32 v62, 4, v59
	s_load_dword s8, s[0:1], 0x1c
	s_waitcnt vmcnt(11)
	v_cvt_pk_f32_fp8_e32 v[50:51], v22
	v_cvt_pk_f32_fp8_sdwa v[52:53], v22 src0_sel:WORD_1
	v_cvt_pk_f32_fp8_e32 v[54:55], v23
	v_cvt_pk_f32_fp8_sdwa v[22:23], v23 src0_sel:WORD_1
	s_waitcnt vmcnt(10)
	v_cvt_pk_f32_fp8_e32 v[76:77], v14
	v_cvt_pk_f32_fp8_sdwa v[78:79], v14 src0_sel:WORD_1
	v_cvt_pk_f32_fp8_e32 v[80:81], v15
	v_cvt_pk_f32_fp8_sdwa v[82:83], v15 src0_sel:WORD_1
	v_perm_b32 v14, v51, v50, s44
	v_perm_b32 v15, v53, v52, s44
	v_cvt_pk_f32_fp8_e32 v[56:57], v24
	v_cvt_pk_f32_fp8_sdwa v[70:71], v24 src0_sel:WORD_1
	v_perm_b32 v54, v55, v54, s44
	v_perm_b32 v55, v23, v22, s44
	v_cvt_pk_f32_fp8_e32 v[72:73], v25
	v_cvt_pk_f32_fp8_sdwa v[74:75], v25 src0_sel:WORD_1
	s_waitcnt lgkmcnt(0)
	v_mfma_f32_16x16x16_bf16 v[22:25], v[14:15], v[26:27], 0
	v_perm_b32 v14, v57, v56, s44
	v_perm_b32 v15, v71, v70, s44
	v_perm_b32 v56, v73, v72, s44
	v_mfma_f32_16x16x16_bf16 v[22:25], v[54:55], v[28:29], v[22:25]
	v_perm_b32 v57, v75, v74, s44
	v_cvt_pk_f32_fp8_e32 v[50:51], v16
	v_cvt_pk_f32_fp8_sdwa v[52:53], v16 src0_sel:WORD_1
	v_cvt_pk_f32_fp8_e32 v[84:85], v17
	v_cvt_pk_f32_fp8_sdwa v[54:55], v17 src0_sel:WORD_1
	v_mfma_f32_16x16x16_bf16 v[14:17], v[14:15], v[18:19], v[22:25]
	v_perm_b32 v70, v81, v80, s44
	v_perm_b32 v71, v83, v82, s44
	;; [unrolled: 1-line block ×5, first 2 shown]
	v_mfma_f32_16x16x16_bf16 v[14:17], v[56:57], v[20:21], v[14:17]
	s_waitcnt vmcnt(9)
	v_cvt_pk_f32_fp8_e32 v[22:23], v2
	v_cvt_pk_f32_fp8_sdwa v[56:57], v2 src0_sel:WORD_1
	v_perm_b32 v51, v53, v52, s44
	v_mfma_f32_16x16x16_bf16 v[14:17], v[24:25], v[10:11], v[14:17]
	v_cvt_pk_f32_fp8_e32 v[24:25], v3
	v_cvt_pk_f32_fp8_sdwa v[2:3], v3 src0_sel:WORD_1
	v_perm_b32 v52, v85, v84, s44
	v_mfma_f32_16x16x16_bf16 v[14:17], v[70:71], v[12:13], v[14:17]
	v_perm_b32 v53, v55, v54, s44
	v_perm_b32 v22, v23, v22, s44
	v_perm_b32 v23, v57, v56, s44
	v_mfma_f32_16x16x16_bf16 v[14:17], v[50:51], v[6:7], v[14:17]
	v_cvt_pk_f32_fp8_e32 v[54:55], v4
	v_perm_b32 v24, v25, v24, s44
	v_cvt_pk_f32_fp8_sdwa v[56:57], v4 src0_sel:WORD_1
	v_perm_b32 v25, v3, v2, s44
	v_mfma_f32_16x16x16_bf16 v[50:53], v[52:53], v[8:9], v[14:17]
	s_waitcnt vmcnt(7)
	v_cvt_pk_f32_fp8_e32 v[72:73], v49
	v_lshl_add_u64 v[70:71], s[4:5], 0, v[62:63]
	s_waitcnt vmcnt(6)
	v_cvt_pk_f32_fp8_sdwa v[76:77], v44 src0_sel:WORD_1
	v_mfma_f32_16x16x16_bf16 v[14:17], v[22:23], v[26:27], 0
	v_perm_b32 v22, v55, v54, s44
	v_perm_b32 v23, v57, v56, s44
	v_cvt_pk_f32_fp8_e32 v[54:55], v5
	v_cvt_pk_f32_fp8_sdwa v[56:57], v5 src0_sel:WORD_1
	v_mfma_f32_16x16x16_bf16 v[2:5], v[24:25], v[28:29], v[14:17]
	v_cvt_pk_f32_fp8_e32 v[24:25], v32
	v_or_b32_e32 v62, 0x400, v62
	s_nop 0
	v_perm_b32 v14, v55, v54, s44
	v_perm_b32 v15, v57, v56, s44
	v_mfma_f32_16x16x16_bf16 v[2:5], v[22:23], v[18:19], v[2:5]
	v_cvt_pk_f32_fp8_e32 v[16:17], v30
	v_cvt_pk_f32_fp8_sdwa v[22:23], v30 src0_sel:WORD_1
	v_perm_b32 v16, v17, v16, s44
	v_mfma_f32_16x16x16_bf16 v[2:5], v[14:15], v[20:21], v[2:5]
	v_cvt_pk_f32_fp8_e32 v[14:15], v31
	v_perm_b32 v17, v23, v22, s44
	v_cvt_pk_f32_fp8_sdwa v[22:23], v31 src0_sel:WORD_1
	v_cvt_pk_f32_fp8_sdwa v[30:31], v32 src0_sel:WORD_1
	v_perm_b32 v14, v15, v14, s44
	v_mfma_f32_16x16x16_bf16 v[2:5], v[16:17], v[10:11], v[2:5]
	v_perm_b32 v15, v23, v22, s44
	v_perm_b32 v16, v25, v24, s44
	;; [unrolled: 1-line block ×3, first 2 shown]
	v_cvt_pk_f32_fp8_e32 v[22:23], v33
	v_cvt_pk_f32_fp8_sdwa v[24:25], v33 src0_sel:WORD_1
	v_mfma_f32_16x16x16_bf16 v[2:5], v[14:15], v[12:13], v[2:5]
	v_perm_b32 v14, v23, v22, s44
	v_perm_b32 v15, v25, v24, s44
	v_mfma_f32_16x16x16_bf16 v[2:5], v[16:17], v[6:7], v[2:5]
	v_cvt_pk_f32_fp8_e32 v[16:17], v46
	v_cvt_pk_f32_fp8_sdwa v[22:23], v46 src0_sel:WORD_1
	v_cvt_pk_f32_fp8_sdwa v[24:25], v48 src0_sel:WORD_1
	v_mfma_f32_16x16x16_bf16 v[54:57], v[14:15], v[8:9], v[2:5]
	v_cvt_pk_f32_fp8_sdwa v[14:15], v47 src0_sel:WORD_1
	s_nop 1
	v_perm_b32 v2, v17, v16, s44
	v_perm_b32 v3, v23, v22, s44
	v_cvt_pk_f32_fp8_e32 v[4:5], v47
	v_perm_b32 v23, v15, v14, s44
	v_cvt_pk_f32_fp8_e32 v[14:15], v48
	v_cvt_pk_f32_fp8_sdwa v[48:49], v49 src0_sel:WORD_1
	v_perm_b32 v22, v5, v4, s44
	v_mfma_f32_16x16x16_bf16 v[2:5], v[2:3], v[26:27], 0
	v_perm_b32 v14, v15, v14, s44
	v_perm_b32 v15, v25, v24, s44
	s_waitcnt vmcnt(3)
	v_mad_i64_i32 v[16:17], s[6:7], v69, s45, v[70:71]
	v_mfma_f32_16x16x16_bf16 v[2:5], v[22:23], v[28:29], v[2:5]
	s_waitcnt vmcnt(2)
	v_mad_i64_i32 v[46:47], s[6:7], v68, s45, v[70:71]
	global_load_dwordx4 v[30:33], v[16:17], off
	global_load_dwordx4 v[22:25], v[46:47], off
	v_perm_b32 v16, v73, v72, s44
	v_perm_b32 v17, v49, v48, s44
	v_mfma_f32_16x16x16_bf16 v[2:5], v[14:15], v[18:19], v[2:5]
	v_cvt_pk_f32_fp8_e32 v[14:15], v42
	v_cvt_pk_f32_fp8_sdwa v[46:47], v42 src0_sel:WORD_1
	s_waitcnt vmcnt(3)
	v_mad_i64_i32 v[72:73], s[6:7], v67, s45, v[70:71]
	v_mfma_f32_16x16x16_bf16 v[2:5], v[16:17], v[20:21], v[2:5]
	v_perm_b32 v14, v15, v14, s44
	v_perm_b32 v15, v47, v46, s44
	v_cvt_pk_f32_fp8_e32 v[16:17], v43
	v_cvt_pk_f32_fp8_sdwa v[42:43], v43 src0_sel:WORD_1
	v_mfma_f32_16x16x16_bf16 v[46:49], v[14:15], v[10:11], v[2:5]
	v_perm_b32 v74, v17, v16, s44
	v_perm_b32 v75, v43, v42, s44
	v_cvt_pk_f32_fp8_e32 v[42:43], v44
	s_waitcnt vmcnt(2)
	v_mad_i64_i32 v[70:71], s[6:7], v66, s45, v[70:71]
	global_load_dwordx4 v[14:17], v[72:73], off
	global_load_dwordx4 v[2:5], v[70:71], off
	v_perm_b32 v70, v43, v42, s44
	v_perm_b32 v71, v77, v76, s44
	v_cvt_pk_f32_fp8_e32 v[72:73], v45
	v_cvt_pk_f32_fp8_sdwa v[76:77], v45 src0_sel:WORD_1
	v_mfma_f32_16x16x16_bf16 v[44:47], v[74:75], v[12:13], v[46:49]
	v_lshl_add_u64 v[42:43], s[4:5], 0, v[62:63]
	v_cvt_pk_f32_fp8_e32 v[62:63], v38
	s_load_dword s4, s[40:41], 0x0
	v_perm_b32 v48, v73, v72, s44
	v_perm_b32 v49, v77, v76, s44
	v_mfma_f32_16x16x16_bf16 v[44:47], v[70:71], v[6:7], v[44:47]
	v_cvt_pk_f32_fp8_sdwa v[70:71], v38 src0_sel:WORD_1
	v_perm_b32 v62, v63, v62, s44
	v_cvt_pk_f32_fp8_e32 v[74:75], v40
	v_mfma_f32_16x16x16_bf16 v[46:49], v[48:49], v[8:9], v[44:47]
	v_perm_b32 v63, v71, v70, s44
	v_cvt_pk_f32_fp8_sdwa v[76:77], v40 src0_sel:WORD_1
	s_mov_b32 s40, 0xff7fffff
	v_cvt_pk_f32_fp8_e32 v[44:45], v39
	v_cvt_pk_f32_fp8_sdwa v[38:39], v39 src0_sel:WORD_1
	v_mfma_f32_16x16x16_bf16 v[70:73], v[62:63], v[26:27], 0
	v_cvt_pk_f32_fp8_e32 v[62:63], v41
	v_perm_b32 v44, v45, v44, s44
	v_perm_b32 v45, v39, v38, s44
	;; [unrolled: 1-line block ×4, first 2 shown]
	v_cvt_pk_f32_fp8_sdwa v[40:41], v41 src0_sel:WORD_1
	v_mov_b32_e32 v26, s8
	s_waitcnt lgkmcnt(0)
	v_mul_f32_e32 v74, s4, v26
	v_mfma_f32_16x16x16_bf16 v[26:29], v[44:45], v[28:29], v[70:73]
	v_pk_mul_f32 v[44:45], v[74:75], v[52:53] op_sel_hi:[0,1]
	v_perm_b32 v52, v63, v62, s44
	v_perm_b32 v53, v41, v40, s44
	v_mfma_f32_16x16x16_bf16 v[26:29], v[38:39], v[18:19], v[26:29]
	v_cvt_pk_f32_fp8_e32 v[18:19], v34
	v_cvt_pk_f32_fp8_sdwa v[38:39], v34 src0_sel:WORD_1
	v_pk_mul_f32 v[50:51], v[74:75], v[50:51] op_sel_hi:[0,1]
	v_mfma_f32_16x16x16_bf16 v[26:29], v[52:53], v[20:21], v[26:29]
	v_perm_b32 v20, v19, v18, s44
	v_perm_b32 v21, v39, v38, s44
	v_cvt_pk_f32_fp8_e32 v[38:39], v35
	v_cvt_pk_f32_fp8_sdwa v[34:35], v35 src0_sel:WORD_1
	v_mfma_f32_16x16x16_bf16 v[26:29], v[20:21], v[10:11], v[26:29]
	v_perm_b32 v38, v39, v38, s44
	v_perm_b32 v39, v35, v34, s44
	v_cvt_pk_f32_fp8_e32 v[10:11], v36
	v_cvt_pk_f32_fp8_sdwa v[20:21], v36 src0_sel:WORD_1
	v_pk_mul_f32 v[52:53], v[74:75], v[54:55] op_sel_hi:[0,1]
	v_pk_mul_f32 v[34:35], v[74:75], v[56:57] op_sel_hi:[0,1]
	v_perm_b32 v40, v11, v10, s44
	v_perm_b32 v41, v21, v20, s44
	v_cvt_pk_f32_fp8_e32 v[20:21], v37
	v_cvt_pk_f32_fp8_sdwa v[36:37], v37 src0_sel:WORD_1
	v_mfma_f32_16x16x16_bf16 v[10:13], v[38:39], v[12:13], v[26:29]
	v_pk_mul_f32 v[46:47], v[74:75], v[46:47] op_sel_hi:[0,1]
	v_perm_b32 v20, v21, v20, s44
	v_perm_b32 v21, v37, v36, s44
	v_mfma_f32_16x16x16_bf16 v[10:13], v[40:41], v[6:7], v[10:13]
	v_pk_mul_f32 v[40:41], v[74:75], v[48:49] op_sel_hi:[0,1]
	v_mad_i64_i32 v[18:19], s[4:5], v69, s45, v[42:43]
	v_mfma_f32_16x16x16_bf16 v[6:9], v[20:21], v[8:9], v[10:13]
	v_mad_i64_i32 v[62:63], s[4:5], v68, s45, v[42:43]
	global_load_dwordx4 v[26:29], v[18:19], off
	s_nop 0
	global_load_dwordx4 v[18:21], v[62:63], off
	s_nop 2
	v_pk_mul_f32 v[48:49], v[74:75], v[6:7] op_sel_hi:[0,1]
	v_and_b32_e32 v6, 0xc0, v0
	v_add_u32_e32 v6, s18, v6
	v_lshl_or_b32 v6, v64, 2, v6
	v_pk_mul_f32 v[38:39], v[74:75], v[8:9] op_sel_hi:[0,1]
	v_or_b32_e32 v9, 1, v6
	v_mov_b32_e32 v7, 0xff7fffff
	v_cmp_gt_i32_e64 s[26:27], s33, v6
	v_cmp_gt_i32_e64 s[28:29], s33, v9
	v_or_b32_e32 v10, 3, v6
	v_cndmask_b32_e64 v8, v7, v50, s[26:27]
	v_cndmask_b32_e64 v9, v7, v51, s[28:29]
	v_max3_f32 v8, v8, s40, v9
	v_or_b32_e32 v9, 2, v6
	v_cmp_gt_i32_e64 s[30:31], s33, v9
	v_cmp_gt_i32_e64 s[34:35], s33, v10
	s_nop 0
	v_cndmask_b32_e64 v9, v7, v44, s[30:31]
	v_cndmask_b32_e64 v10, v7, v45, s[34:35]
	v_max3_f32 v8, v8, v9, v10
	v_or_b32_e32 v9, 16, v6
	v_or_b32_e32 v10, 17, v6
	v_cmp_gt_i32_e64 s[18:19], s33, v9
	v_cmp_gt_i32_e64 s[20:21], s33, v10
	s_nop 0
	v_cndmask_b32_e64 v9, v7, v52, s[18:19]
	v_cndmask_b32_e64 v10, v7, v53, s[20:21]
	v_max3_f32 v8, v8, v9, v10
	v_or_b32_e32 v9, 18, v6
	;; [unrolled: 8-line block ×5, first 2 shown]
	v_or_b32_e32 v10, 49, v6
	v_cmp_gt_i32_e32 vcc, s33, v9
	v_cmp_gt_i32_e64 s[4:5], s33, v10
	s_nop 0
	v_cndmask_b32_e32 v9, v7, v48, vcc
	v_cndmask_b32_e64 v10, v7, v49, s[4:5]
	v_max3_f32 v8, v8, v9, v10
	v_or_b32_e32 v9, 50, v6
	v_or_b32_e32 v6, 51, v6
	v_cmp_gt_i32_e64 s[6:7], s33, v9
	v_cmp_gt_i32_e64 s[8:9], s33, v6
	s_nop 0
	v_cndmask_b32_e64 v9, v7, v38, s[6:7]
	v_cndmask_b32_e64 v6, v7, v39, s[8:9]
	v_max3_f32 v8, v8, v9, v6
	v_mbcnt_lo_u32_b32 v6, -1, 0
	v_mbcnt_hi_u32_b32 v9, -1, v6
	v_and_b32_e32 v6, 64, v9
	v_add_u32_e32 v10, 64, v6
	v_xor_b32_e32 v6, 32, v9
	v_cmp_lt_i32_e64 s[38:39], v6, v10
	s_nop 1
	v_cndmask_b32_e64 v6, v9, v6, s[38:39]
	v_lshlrev_b32_e32 v55, 2, v6
	ds_bpermute_b32 v11, v55, v8
	v_mad_i64_i32 v[6:7], s[38:39], v67, s45, v[42:43]
	s_waitcnt lgkmcnt(0)
	v_max_f32_e32 v11, v11, v11
	v_max_f32_e32 v36, v8, v11
	v_xor_b32_e32 v8, 16, v9
	v_cmp_lt_i32_e64 s[38:39], v8, v10
	s_nop 1
	v_cndmask_b32_e64 v8, v9, v8, s[38:39]
	v_lshlrev_b32_e32 v56, 2, v8
	v_mad_i64_i32 v[8:9], s[38:39], v66, s45, v[42:43]
	global_load_dwordx4 v[10:13], v[6:7], off
	s_nop 0
	global_load_dwordx4 v[6:9], v[8:9], off
	ds_bpermute_b32 v37, v56, v36
	s_waitcnt lgkmcnt(0)
	s_barrier
	v_max_f32_e32 v37, v37, v37
	v_max_f32_e32 v54, v36, v37
	v_sub_f32_e32 v42, v44, v54
	v_mul_f32_e32 v42, 0x3fb8aa3b, v42
	v_exp_f32_e32 v42, v42
	v_sub_f32_e32 v43, v45, v54
	v_mul_f32_e32 v43, 0x3fb8aa3b, v43
	v_exp_f32_e32 v43, v43
	v_cndmask_b32_e64 v44, 0, v42, s[30:31]
	v_sub_f32_e32 v42, v52, v54
	v_sub_f32_e32 v34, v34, v54
	v_mul_f32_e32 v42, 0x3fb8aa3b, v42
	v_mul_f32_e32 v34, 0x3fb8aa3b, v34
	v_sub_f32_e32 v36, v50, v54
	v_exp_f32_e32 v42, v42
	v_exp_f32_e32 v50, v34
	v_cndmask_b32_e64 v45, 0, v43, s[34:35]
	v_sub_f32_e32 v43, v53, v54
	v_sub_f32_e32 v34, v35, v54
	;; [unrolled: 1-line block ×4, first 2 shown]
	v_mul_f32_e32 v43, 0x3fb8aa3b, v43
	v_mul_f32_e32 v34, 0x3fb8aa3b, v34
	;; [unrolled: 1-line block ×4, first 2 shown]
	v_sub_f32_e32 v37, v51, v54
	v_exp_f32_e32 v43, v43
	v_exp_f32_e32 v51, v34
	v_cndmask_b32_e64 v34, 0, v42, s[18:19]
	v_cndmask_b32_e64 v42, 0, v50, s[22:23]
	v_exp_f32_e32 v46, v46
	v_exp_f32_e32 v50, v40
	v_mul_f32_e32 v36, 0x3fb8aa3b, v36
	v_sub_f32_e32 v47, v47, v54
	v_sub_f32_e32 v40, v41, v54
	;; [unrolled: 1-line block ×4, first 2 shown]
	v_exp_f32_e32 v36, v36
	v_mul_f32_e32 v37, 0x3fb8aa3b, v37
	v_mul_f32_e32 v47, 0x3fb8aa3b, v47
	;; [unrolled: 1-line block ×5, first 2 shown]
	v_exp_f32_e32 v37, v37
	v_cndmask_b32_e64 v35, 0, v43, s[20:21]
	v_cndmask_b32_e64 v43, 0, v51, s[36:37]
	v_exp_f32_e32 v47, v47
	v_exp_f32_e32 v51, v40
	v_cndmask_b32_e64 v40, 0, v46, s[10:11]
	v_cndmask_b32_e64 v46, 0, v50, s[14:15]
	v_exp_f32_e32 v48, v48
	v_exp_f32_e32 v50, v38
	v_sub_f32_e32 v38, v39, v54
	v_cndmask_b32_e64 v36, 0, v36, s[26:27]
	v_mul_f32_e32 v38, 0x3fb8aa3b, v38
	v_cndmask_b32_e64 v37, 0, v37, s[28:29]
	v_cndmask_b32_e64 v41, 0, v47, s[12:13]
	;; [unrolled: 1-line block ×3, first 2 shown]
	v_exp_f32_e32 v51, v38
	v_cndmask_b32_e32 v38, 0, v48, vcc
	v_cndmask_b32_e64 v48, 0, v50, s[6:7]
	v_add_f32_e32 v50, 0, v36
	v_add_f32_e32 v50, v50, v37
	;; [unrolled: 1-line block ×6, first 2 shown]
	v_sub_f32_e32 v49, v49, v54
	v_add_f32_e32 v50, v50, v42
	v_mul_f32_e32 v49, 0x3fb8aa3b, v49
	v_add_f32_e32 v50, v50, v43
	v_exp_f32_e32 v49, v49
	v_add_f32_e32 v50, v50, v40
	v_add_f32_e32 v50, v50, v41
	;; [unrolled: 1-line block ×4, first 2 shown]
	v_cndmask_b32_e64 v39, 0, v49, s[4:5]
	v_add_f32_e32 v50, v50, v38
	v_add_f32_e32 v50, v50, v39
	v_cndmask_b32_e64 v49, 0, v51, s[8:9]
	v_add_f32_e32 v50, v50, v48
	v_add_f32_e32 v50, v50, v49
	ds_bpermute_b32 v51, v55, v50
	v_cmp_gt_u32_e32 vcc, 16, v65
	s_waitcnt lgkmcnt(0)
	v_add_f32_e32 v50, v50, v51
	ds_bpermute_b32 v51, v56, v50
	s_and_saveexec_b64 s[4:5], vcc
	s_cbranch_execz .LBB1273_13
; %bb.12:
	s_waitcnt lgkmcnt(0)
	v_add_f32_e32 v50, v50, v51
	v_lshlrev_b32_e32 v51, 2, v59
	ds_write2st64_b32 v51, v54, v50 offset1:1
.LBB1273_13:
	s_or_b64 exec, exec, s[4:5]
	s_waitcnt lgkmcnt(0)
	v_lshlrev_b32_e32 v51, 2, v60
	s_load_dword s6, s[0:1], 0x94
	s_waitcnt lgkmcnt(0)
	s_barrier
	ds_read2_b32 v[52:53], v51 offset1:16
	ds_read2_b32 v[54:55], v51 offset0:32 offset1:48
	ds_read2_b32 v[56:57], v51 offset0:64 offset1:80
	s_movk_i32 s8, 0x7fff
	s_mul_i32 s7, s25, 6
	s_waitcnt lgkmcnt(2)
	v_max3_f32 v50, v52, s40, v53
	s_waitcnt lgkmcnt(1)
	v_max3_f32 v50, v50, v54, v55
	v_sub_f32_e32 v52, v52, v50
	v_mul_f32_e32 v52, 0x3fb8aa3b, v52
	v_exp_f32_e32 v59, v52
	v_sub_f32_e32 v52, v53, v50
	v_mul_f32_e32 v52, 0x3fb8aa3b, v52
	v_exp_f32_e32 v62, v52
	;; [unrolled: 3-line block ×3, first 2 shown]
	ds_read2_b32 v[52:53], v51 offset0:96 offset1:112
	v_sub_f32_e32 v51, v55, v50
	v_mul_f32_e32 v51, 0x3fb8aa3b, v51
	v_exp_f32_e32 v55, v51
	s_waitcnt lgkmcnt(1)
	v_fma_f32 v51, v59, v56, 0
	v_fmac_f32_e32 v51, v62, v57
	s_waitcnt lgkmcnt(0)
	v_fmac_f32_e32 v51, v54, v52
	v_fmac_f32_e32 v51, v55, v53
	v_add_f32_e32 v52, 0x358637bd, v51
	v_div_scale_f32 v53, s[4:5], v52, v52, 1.0
	v_rcp_f32_e32 v56, v53
	s_barrier
	v_fma_f32 v57, -v53, v56, 1.0
	v_fmac_f32_e32 v56, v57, v56
	v_div_scale_f32 v57, vcc, 1.0, v52, 1.0
	v_mul_f32_e32 v63, v57, v56
	v_fma_f32 v65, -v53, v63, v57
	v_fmac_f32_e32 v63, v65, v56
	v_fma_f32 v53, -v53, v63, v57
	v_div_fmas_f32 v53, v53, v56, v63
	v_cmp_eq_u32_e32 vcc, 1, v61
	v_div_fixup_f32 v52, v53, v52, 1.0
	s_nop 0
	v_cndmask_b32_e32 v53, v59, v62, vcc
	v_cmp_eq_u32_e32 vcc, 2, v61
	s_nop 1
	v_cndmask_b32_e32 v53, v53, v54, vcc
	v_cmp_eq_u32_e32 vcc, 3, v61
	s_nop 1
	v_cndmask_b32_e32 v53, v53, v55, vcc
	v_mul_f32_e32 v52, v53, v52
	v_pk_mul_f32 v[36:37], v[52:53], v[36:37] op_sel_hi:[0,1]
	v_pk_mul_f32 v[44:45], v[52:53], v[44:45] op_sel_hi:[0,1]
	v_bfe_u32 v53, v37, 16, 1
	v_bfe_u32 v54, v36, 16, 1
	v_add3_u32 v36, v36, v54, s8
	v_add3_u32 v37, v37, v53, s8
	v_perm_b32 v56, v37, v36, s44
	v_bfe_u32 v36, v45, 16, 1
	v_bfe_u32 v37, v44, 16, 1
	v_add3_u32 v37, v44, v37, s8
	v_add3_u32 v36, v45, v36, s8
	v_perm_b32 v57, v36, v37, s44
	v_lshlrev_b32_e32 v37, 3, v64
	v_lshlrev_b32_e32 v36, 5, v60
	;; [unrolled: 1-line block ×3, first 2 shown]
	v_pk_mul_f32 v[34:35], v[52:53], v[34:35] op_sel_hi:[0,1]
	v_or3_b32 v54, v44, v36, v37
	v_bfe_u32 v37, v35, 16, 1
	v_bfe_u32 v44, v34, 16, 1
	v_pk_mul_f32 v[42:43], v[52:53], v[42:43] op_sel_hi:[0,1]
	v_add3_u32 v34, v34, v44, s8
	v_add3_u32 v35, v35, v37, s8
	v_perm_b32 v34, v35, v34, s44
	v_bfe_u32 v35, v43, 16, 1
	v_bfe_u32 v37, v42, 16, 1
	v_add3_u32 v37, v42, v37, s8
	v_add3_u32 v35, v43, v35, s8
	v_pk_mul_f32 v[40:41], v[52:53], v[40:41] op_sel_hi:[0,1]
	v_perm_b32 v35, v35, v37, s44
	v_bfe_u32 v37, v41, 16, 1
	v_bfe_u32 v42, v40, 16, 1
	ds_write2st64_b64 v54, v[56:57], v[34:35] offset1:1
	v_pk_mul_f32 v[34:35], v[52:53], v[46:47] op_sel_hi:[0,1]
	v_add3_u32 v40, v40, v42, s8
	v_add3_u32 v37, v41, v37, s8
	v_perm_b32 v40, v37, v40, s44
	v_bfe_u32 v37, v35, 16, 1
	v_bfe_u32 v41, v34, 16, 1
	v_pk_mul_f32 v[38:39], v[52:53], v[38:39] op_sel_hi:[0,1]
	v_add3_u32 v34, v34, v41, s8
	v_add3_u32 v35, v35, v37, s8
	v_bfe_u32 v37, v39, 16, 1
	v_bfe_u32 v42, v38, 16, 1
	v_perm_b32 v41, v35, v34, s44
	v_pk_mul_f32 v[34:35], v[52:53], v[48:49] op_sel_hi:[0,1]
	v_add3_u32 v38, v38, v42, s8
	v_add3_u32 v37, v39, v37, s8
	v_perm_b32 v38, v37, v38, s44
	v_bfe_u32 v37, v35, 16, 1
	v_bfe_u32 v39, v34, 16, 1
	v_add3_u32 v34, v34, v39, s8
	v_add3_u32 v35, v35, v37, s8
	v_perm_b32 v39, v35, v34, s44
	v_cmp_gt_u32_e32 vcc, 6, v0
	ds_write2st64_b64 v54, v[40:41], v[38:39] offset0:2 offset1:3
	s_and_saveexec_b64 s[4:5], vcc
	s_cbranch_execz .LBB1273_15
; %bb.14:
	s_mov_b32 s49, 0
	v_mov_b32_e32 v61, 0
	v_lshl_add_u64 v[34:35], s[48:49], 0, v[60:61]
	v_mov_b32_e32 v37, s7
	v_mad_u64_u32 v[34:35], s[10:11], s2, v37, v[34:35]
	s_mul_i32 s3, s3, s7
	v_mov_b32_e32 v38, s24
	v_mov_b32_e32 v39, v61
	s_load_dwordx4 s[12:15], s[0:1], 0x58
	v_add_u32_e32 v37, s3, v35
	v_mad_u64_u32 v[34:35], s[10:11], v34, s6, v[38:39]
	v_mov_b32_e32 v38, v35
	v_mad_u64_u32 v[38:39], s[10:11], v37, s6, v[38:39]
	v_mov_b32_e32 v35, v38
	v_lshlrev_b64 v[34:35], 2, v[34:35]
	s_waitcnt lgkmcnt(0)
	v_lshl_add_u64 v[38:39], s[14:15], 0, v[34:35]
	v_lshl_add_u64 v[34:35], s[12:13], 0, v[34:35]
	global_store_dword v[38:39], v50, off
	global_store_dword v[34:35], v51, off
.LBB1273_15:
	s_or_b64 exec, exec, s[4:5]
	v_lshl_or_b32 v50, v64, 9, v36
	s_waitcnt vmcnt(7)
	v_cvt_pk_f32_fp8_e32 v[34:35], v30
	v_cvt_pk_f32_fp8_sdwa v[36:37], v30 src0_sel:WORD_1
	s_mov_b32 s5, 0x7060302
	s_waitcnt lgkmcnt(0)
	s_barrier
	v_cvt_pk_f32_fp8_e32 v[38:39], v31
	v_perm_b32 v30, v35, v34, s5
	v_cvt_pk_f32_fp8_sdwa v[40:41], v31 src0_sel:WORD_1
	v_perm_b32 v31, v37, v36, s5
	ds_read_b128 v[34:37], v50
	v_perm_b32 v46, v39, v38, s5
	v_perm_b32 v47, v41, v40, s5
	ds_read_b128 v[38:41], v50 offset:16
	v_cvt_pk_f32_fp8_e32 v[48:49], v32
	v_cvt_pk_f32_fp8_sdwa v[52:53], v32 src0_sel:WORD_1
	s_waitcnt lgkmcnt(1)
	v_mfma_f32_16x16x16_bf16 v[42:45], v[30:31], v[34:35], 0
	s_waitcnt vmcnt(6)
	v_cvt_pk_f32_fp8_e32 v[56:57], v24
	v_perm_b32 v30, v49, v48, s5
	v_perm_b32 v31, v53, v52, s5
	v_cvt_pk_f32_fp8_e32 v[48:49], v33
	v_mfma_f32_16x16x16_bf16 v[42:45], v[46:47], v[36:37], v[42:45]
	v_cvt_pk_f32_fp8_sdwa v[46:47], v33 src0_sel:WORD_1
	v_cvt_pk_f32_fp8_sdwa v[62:63], v24 src0_sel:WORD_1
	v_perm_b32 v48, v49, v48, s5
	s_waitcnt lgkmcnt(0)
	v_mfma_f32_16x16x16_bf16 v[30:33], v[30:31], v[38:39], v[42:45]
	v_perm_b32 v49, v47, v46, s5
	s_waitcnt vmcnt(4)
	v_cvt_pk_f32_fp8_sdwa v[70:71], v4 src0_sel:WORD_1
	s_load_dword s4, s[42:43], 0x0
	v_cvt_pk_f32_fp8_e32 v[42:43], v22
	v_mfma_f32_16x16x16_bf16 v[46:49], v[48:49], v[40:41], v[30:33]
	s_waitcnt vmcnt(3)
	v_cvt_pk_f32_fp8_sdwa v[72:73], v28 src0_sel:WORD_1
	s_mov_b32 s3, 0
	v_cvt_pk_f32_fp8_sdwa v[30:31], v22 src0_sel:WORD_1
	v_cvt_pk_f32_fp8_e32 v[32:33], v23
	v_perm_b32 v22, v43, v42, s5
	v_cvt_pk_f32_fp8_sdwa v[42:43], v23 src0_sel:WORD_1
	v_perm_b32 v23, v31, v30, s5
	v_perm_b32 v52, v33, v32, s5
	ds_read_b128 v[30:33], v50 offset:2048
	v_perm_b32 v53, v43, v42, s5
	ds_read_b128 v[42:45], v50 offset:2064
	s_waitcnt lgkmcnt(0)
	v_mfma_f32_16x16x16_bf16 v[46:49], v[22:23], v[30:31], v[46:49]
	v_perm_b32 v22, v57, v56, s5
	v_perm_b32 v23, v63, v62, s5
	v_cvt_pk_f32_fp8_e32 v[56:57], v25
	v_mfma_f32_16x16x16_bf16 v[46:49], v[52:53], v[32:33], v[46:49]
	v_cvt_pk_f32_fp8_sdwa v[52:53], v25 src0_sel:WORD_1
	v_cvt_pk_f32_fp8_sdwa v[62:63], v16 src0_sel:WORD_1
	v_perm_b32 v56, v57, v56, s5
	v_mfma_f32_16x16x16_bf16 v[22:25], v[22:23], v[42:43], v[46:49]
	v_perm_b32 v57, v53, v52, s5
	v_cmp_gt_u32_e32 vcc, 64, v0
	s_nop 0
	v_cvt_pk_f32_fp8_e32 v[46:47], v14
	v_mfma_f32_16x16x16_bf16 v[66:69], v[56:57], v[44:45], v[22:25]
	v_cvt_pk_f32_fp8_e32 v[56:57], v16
	s_nop 1
	v_cvt_pk_f32_fp8_sdwa v[22:23], v14 src0_sel:WORD_1
	v_cvt_pk_f32_fp8_e32 v[24:25], v15
	v_perm_b32 v14, v47, v46, s5
	v_cvt_pk_f32_fp8_sdwa v[46:47], v15 src0_sel:WORD_1
	v_perm_b32 v15, v23, v22, s5
	v_perm_b32 v52, v25, v24, s5
	ds_read_b128 v[22:25], v50 offset:4096
	v_perm_b32 v53, v47, v46, s5
	ds_read_b128 v[46:49], v50 offset:4112
	s_waitcnt lgkmcnt(1)
	v_mfma_f32_16x16x16_bf16 v[66:69], v[14:15], v[22:23], v[66:69]
	v_perm_b32 v14, v57, v56, s5
	v_perm_b32 v15, v63, v62, s5
	v_cvt_pk_f32_fp8_e32 v[56:57], v17
	v_mfma_f32_16x16x16_bf16 v[66:69], v[52:53], v[24:25], v[66:69]
	v_cvt_pk_f32_fp8_sdwa v[52:53], v17 src0_sel:WORD_1
	v_cvt_pk_f32_fp8_e32 v[62:63], v4
	v_perm_b32 v56, v57, v56, s5
	s_waitcnt lgkmcnt(0)
	v_mfma_f32_16x16x16_bf16 v[14:17], v[14:15], v[46:47], v[66:69]
	v_perm_b32 v57, v53, v52, s5
	v_cvt_pk_f32_fp8_e32 v[52:53], v2
	s_nop 0
	v_mfma_f32_16x16x16_bf16 v[66:69], v[56:57], v[48:49], v[14:17]
	s_nop 2
	v_cvt_pk_f32_fp8_sdwa v[14:15], v2 src0_sel:WORD_1
	v_cvt_pk_f32_fp8_e32 v[16:17], v3
	v_perm_b32 v2, v53, v52, s5
	v_cvt_pk_f32_fp8_sdwa v[52:53], v3 src0_sel:WORD_1
	v_perm_b32 v3, v15, v14, s5
	v_perm_b32 v56, v17, v16, s5
	ds_read_b128 v[14:17], v50 offset:6144
	v_perm_b32 v57, v53, v52, s5
	s_waitcnt lgkmcnt(0)
	v_mfma_f32_16x16x16_bf16 v[66:69], v[2:3], v[14:15], v[66:69]
	ds_read_b128 v[50:53], v50 offset:6160
	v_perm_b32 v2, v63, v62, s5
	v_perm_b32 v3, v71, v70, s5
	v_cvt_pk_f32_fp8_e32 v[62:63], v5
	v_mfma_f32_16x16x16_bf16 v[66:69], v[56:57], v[16:17], v[66:69]
	v_cvt_pk_f32_fp8_sdwa v[56:57], v5 src0_sel:WORD_1
	v_cvt_pk_f32_fp8_e32 v[70:71], v28
	v_perm_b32 v62, v63, v62, s5
	s_waitcnt lgkmcnt(0)
	v_mfma_f32_16x16x16_bf16 v[2:5], v[2:3], v[50:51], v[66:69]
	v_perm_b32 v63, v57, v56, s5
	v_cvt_pk_f32_fp8_sdwa v[56:57], v26 src0_sel:WORD_1
	s_nop 0
	v_mfma_f32_16x16x16_bf16 v[66:69], v[62:63], v[52:53], v[2:5]
	s_barrier
	s_nop 1
	v_cvt_pk_f32_fp8_e32 v[4:5], v26
	s_nop 2
	v_pk_mul_f32 v[62:63], v[66:67], s[4:5] op_sel_hi:[1,0]
	v_cvt_pk_f32_fp8_e32 v[66:67], v27
	v_perm_b32 v4, v5, v4, s5
	v_perm_b32 v5, v57, v56, s5
	v_cvt_pk_f32_fp8_sdwa v[26:27], v27 src0_sel:WORD_1
	v_perm_b32 v56, v67, v66, s5
	v_pk_mul_f32 v[2:3], v[68:69], s[4:5] op_sel_hi:[1,0]
	v_mfma_f32_16x16x16_bf16 v[66:69], v[4:5], v[34:35], 0
	v_perm_b32 v57, v27, v26, s5
	v_perm_b32 v4, v71, v70, s5
	;; [unrolled: 1-line block ×3, first 2 shown]
	v_cvt_pk_f32_fp8_e32 v[34:35], v29
	v_cvt_pk_f32_fp8_sdwa v[70:71], v29 src0_sel:WORD_1
	v_mfma_f32_16x16x16_bf16 v[26:29], v[56:57], v[36:37], v[66:69]
	s_waitcnt vmcnt(2)
	v_cvt_pk_f32_fp8_sdwa v[36:37], v18 src0_sel:WORD_1
	v_perm_b32 v34, v35, v34, s5
	v_perm_b32 v35, v71, v70, s5
	v_mfma_f32_16x16x16_bf16 v[26:29], v[4:5], v[38:39], v[26:29]
	v_cvt_pk_f32_fp8_e32 v[4:5], v18
	v_cvt_pk_f32_fp8_sdwa v[38:39], v20 src0_sel:WORD_1
	v_bfe_u32 v55, v63, 16, 1
	v_mfma_f32_16x16x16_bf16 v[26:29], v[34:35], v[40:41], v[26:29]
	v_cvt_pk_f32_fp8_e32 v[34:35], v19
	v_perm_b32 v4, v5, v4, s5
	v_perm_b32 v5, v37, v36, s5
	v_cvt_pk_f32_fp8_sdwa v[18:19], v19 src0_sel:WORD_1
	v_perm_b32 v34, v35, v34, s5
	v_cvt_pk_f32_fp8_e32 v[36:37], v20
	v_mfma_f32_16x16x16_bf16 v[26:29], v[4:5], v[30:31], v[26:29]
	v_perm_b32 v35, v19, v18, s5
	v_perm_b32 v4, v37, v36, s5
	;; [unrolled: 1-line block ×3, first 2 shown]
	v_cvt_pk_f32_fp8_e32 v[30:31], v21
	v_cvt_pk_f32_fp8_sdwa v[36:37], v21 src0_sel:WORD_1
	v_mfma_f32_16x16x16_bf16 v[18:21], v[34:35], v[32:33], v[26:29]
	v_bfe_u32 v56, v62, 16, 1
	v_add3_u32 v32, v62, v56, s8
	v_add3_u32 v33, v63, v55, s8
	v_perm_b32 v26, v31, v30, s5
	v_perm_b32 v27, v37, v36, s5
	v_mfma_f32_16x16x16_bf16 v[18:21], v[4:5], v[42:43], v[18:21]
	s_waitcnt vmcnt(1)
	v_cvt_pk_f32_fp8_e32 v[4:5], v10
	v_cvt_pk_f32_fp8_sdwa v[28:29], v10 src0_sel:WORD_1
	v_cvt_pk_f32_fp8_sdwa v[30:31], v12 src0_sel:WORD_1
	v_mfma_f32_16x16x16_bf16 v[18:21], v[26:27], v[44:45], v[18:21]
	v_cvt_pk_f32_fp8_e32 v[26:27], v11
	v_perm_b32 v4, v5, v4, s5
	v_perm_b32 v5, v29, v28, s5
	v_cvt_pk_f32_fp8_sdwa v[10:11], v11 src0_sel:WORD_1
	v_perm_b32 v26, v27, v26, s5
	v_cvt_pk_f32_fp8_e32 v[28:29], v12
	v_mfma_f32_16x16x16_bf16 v[18:21], v[4:5], v[22:23], v[18:21]
	v_perm_b32 v27, v11, v10, s5
	v_perm_b32 v4, v29, v28, s5
	;; [unrolled: 1-line block ×3, first 2 shown]
	v_cvt_pk_f32_fp8_e32 v[22:23], v13
	v_cvt_pk_f32_fp8_sdwa v[28:29], v13 src0_sel:WORD_1
	v_mfma_f32_16x16x16_bf16 v[10:13], v[26:27], v[24:25], v[18:21]
	s_waitcnt vmcnt(0)
	v_cvt_pk_f32_fp8_sdwa v[24:25], v8 src0_sel:WORD_1
	s_nop 0
	v_perm_b32 v20, v23, v22, s5
	v_perm_b32 v21, v29, v28, s5
	v_mfma_f32_16x16x16_bf16 v[10:13], v[4:5], v[46:47], v[10:13]
	v_cvt_pk_f32_fp8_e32 v[4:5], v6
	v_cvt_pk_f32_fp8_sdwa v[22:23], v6 src0_sel:WORD_1
	v_bfe_u32 v19, v3, 16, 1
	v_mfma_f32_16x16x16_bf16 v[10:13], v[20:21], v[48:49], v[10:13]
	v_cvt_pk_f32_fp8_e32 v[20:21], v7
	v_perm_b32 v4, v5, v4, s5
	v_perm_b32 v5, v23, v22, s5
	v_cvt_pk_f32_fp8_sdwa v[6:7], v7 src0_sel:WORD_1
	v_perm_b32 v20, v21, v20, s5
	v_cvt_pk_f32_fp8_e32 v[22:23], v8
	v_add3_u32 v3, v3, v19, s8
	v_perm_b32 v21, v7, v6, s5
	v_mfma_f32_16x16x16_bf16 v[4:7], v[4:5], v[14:15], v[10:13]
	v_bfe_u32 v14, v2, 16, 1
	v_add3_u32 v2, v2, v14, s8
	v_perm_b32 v19, v3, v2, s5
	v_perm_b32 v10, v23, v22, s5
	;; [unrolled: 1-line block ×3, first 2 shown]
	v_cvt_pk_f32_fp8_e32 v[12:13], v9
	v_cvt_pk_f32_fp8_sdwa v[8:9], v9 src0_sel:WORD_1
	v_mfma_f32_16x16x16_bf16 v[4:7], v[20:21], v[16:17], v[4:7]
	v_perm_b32 v18, v33, v32, s5
	v_perm_b32 v12, v13, v12, s5
	;; [unrolled: 1-line block ×3, first 2 shown]
	v_mfma_f32_16x16x16_bf16 v[4:7], v[10:11], v[50:51], v[4:7]
	s_nop 0
	v_mfma_f32_16x16x16_bf16 v[2:5], v[12:13], v[52:53], v[4:7]
	s_nop 6
	v_pk_mul_f32 v[2:3], v[2:3], s[4:5] op_sel_hi:[1,0]
	v_pk_mul_f32 v[4:5], v[4:5], s[4:5] op_sel_hi:[1,0]
	v_bfe_u32 v6, v3, 16, 1
	v_bfe_u32 v7, v2, 16, 1
	v_add3_u32 v2, v2, v7, s8
	v_add3_u32 v3, v3, v6, s8
	v_perm_b32 v2, v3, v2, s5
	v_bfe_u32 v3, v5, 16, 1
	v_bfe_u32 v6, v4, 16, 1
	v_add3_u32 v4, v4, v6, s8
	v_add3_u32 v3, v5, v3, s8
	v_perm_b32 v3, v3, v4, s5
	ds_write2st64_b64 v54, v[18:19], v[2:3] offset1:1
	s_waitcnt lgkmcnt(0)
	s_barrier
	s_and_saveexec_b64 s[4:5], vcc
	s_cbranch_execz .LBB1273_18
; %bb.16:
	s_load_dwordx2 s[4:5], s[0:1], 0x68
	s_lshl_b32 s0, s6, 7
	s_mul_i32 s1, s7, s2
	v_lshlrev_b32_e32 v4, 6, v60
	s_mul_hi_u32 s7, s1, s0
	s_mul_i32 s6, s1, s0
	v_lshl_or_b32 v0, v0, 10, v4
	s_lshl_b64 s[6:7], s[6:7], 1
	v_lshlrev_b32_e32 v3, 5, v64
	v_and_b32_e32 v1, 16, v1
	v_and_b32_e32 v0, 0x1a00, v0
	s_waitcnt lgkmcnt(0)
	s_add_u32 s1, s4, s6
	v_or3_b32 v3, v0, v3, v1
	s_addc_u32 s4, s5, s7
	s_lshl_b32 s2, s24, 7
	s_lshl_b64 s[2:3], s[2:3], 1
	ds_read_b128 v[4:7], v3
	s_add_u32 s2, s1, s2
	s_addc_u32 s3, s4, s3
	v_mov_b32_e32 v59, 0
	v_add_u32_e32 v8, s48, v64
	v_or_b32_e32 v2, 4, v64
	v_lshl_add_u64 v[0:1], s[2:3], 0, v[58:59]
	v_mad_u64_u32 v[8:9], s[2:3], v8, s0, 0
	v_lshl_add_u64 v[8:9], v[8:9], 1, v[0:1]
	v_cmp_gt_u32_e32 vcc, 6, v2
	s_waitcnt lgkmcnt(0)
	global_store_dwordx4 v[8:9], v[4:7], off
	s_and_b64 exec, exec, vcc
	s_cbranch_execz .LBB1273_18
; %bb.17:
	ds_read_b128 v[4:7], v3 offset:128
	v_add_u32_e32 v2, s48, v2
	v_mad_u64_u32 v[2:3], s[0:1], v2, s0, 0
	v_lshl_add_u64 v[0:1], v[2:3], 1, v[0:1]
	s_waitcnt lgkmcnt(0)
	global_store_dwordx4 v[0:1], v[4:7], off
.LBB1273_18:
	s_endpgm
	.section	.rodata,"a",@progbits
	.p2align	6, 0x0
	.amdhsa_kernel _Z39paged_attention_ll4mi_QKV_mfma16_kernelI14__hip_bfloat16hLN4vllm18Fp8KVCacheDataTypeE1EhLi16ELi128ELi256ELb0ELi6EEvPKT_PKT0_S8_ifPKiSA_SA_iPKfiiiPfSD_PS3_PT2_iSC_SC_
		.amdhsa_group_segment_fixed_size 8192
		.amdhsa_private_segment_fixed_size 0
		.amdhsa_kernarg_size 400
		.amdhsa_user_sgpr_count 2
		.amdhsa_user_sgpr_dispatch_ptr 0
		.amdhsa_user_sgpr_queue_ptr 0
		.amdhsa_user_sgpr_kernarg_segment_ptr 1
		.amdhsa_user_sgpr_dispatch_id 0
		.amdhsa_user_sgpr_kernarg_preload_length 0
		.amdhsa_user_sgpr_kernarg_preload_offset 0
		.amdhsa_user_sgpr_private_segment_size 0
		.amdhsa_uses_dynamic_stack 0
		.amdhsa_enable_private_segment 0
		.amdhsa_system_sgpr_workgroup_id_x 1
		.amdhsa_system_sgpr_workgroup_id_y 1
		.amdhsa_system_sgpr_workgroup_id_z 1
		.amdhsa_system_sgpr_workgroup_info 0
		.amdhsa_system_vgpr_workitem_id 0
		.amdhsa_next_free_vgpr 86
		.amdhsa_next_free_sgpr 50
		.amdhsa_accum_offset 88
		.amdhsa_reserve_vcc 1
		.amdhsa_float_round_mode_32 0
		.amdhsa_float_round_mode_16_64 0
		.amdhsa_float_denorm_mode_32 3
		.amdhsa_float_denorm_mode_16_64 3
		.amdhsa_dx10_clamp 1
		.amdhsa_ieee_mode 1
		.amdhsa_fp16_overflow 0
		.amdhsa_tg_split 0
		.amdhsa_exception_fp_ieee_invalid_op 0
		.amdhsa_exception_fp_denorm_src 0
		.amdhsa_exception_fp_ieee_div_zero 0
		.amdhsa_exception_fp_ieee_overflow 0
		.amdhsa_exception_fp_ieee_underflow 0
		.amdhsa_exception_fp_ieee_inexact 0
		.amdhsa_exception_int_div_zero 0
	.end_amdhsa_kernel
	.section	.text._Z39paged_attention_ll4mi_QKV_mfma16_kernelI14__hip_bfloat16hLN4vllm18Fp8KVCacheDataTypeE1EhLi16ELi128ELi256ELb0ELi6EEvPKT_PKT0_S8_ifPKiSA_SA_iPKfiiiPfSD_PS3_PT2_iSC_SC_,"axG",@progbits,_Z39paged_attention_ll4mi_QKV_mfma16_kernelI14__hip_bfloat16hLN4vllm18Fp8KVCacheDataTypeE1EhLi16ELi128ELi256ELb0ELi6EEvPKT_PKT0_S8_ifPKiSA_SA_iPKfiiiPfSD_PS3_PT2_iSC_SC_,comdat
.Lfunc_end1273:
	.size	_Z39paged_attention_ll4mi_QKV_mfma16_kernelI14__hip_bfloat16hLN4vllm18Fp8KVCacheDataTypeE1EhLi16ELi128ELi256ELb0ELi6EEvPKT_PKT0_S8_ifPKiSA_SA_iPKfiiiPfSD_PS3_PT2_iSC_SC_, .Lfunc_end1273-_Z39paged_attention_ll4mi_QKV_mfma16_kernelI14__hip_bfloat16hLN4vllm18Fp8KVCacheDataTypeE1EhLi16ELi128ELi256ELb0ELi6EEvPKT_PKT0_S8_ifPKiSA_SA_iPKfiiiPfSD_PS3_PT2_iSC_SC_
                                        ; -- End function
	.section	.AMDGPU.csdata,"",@progbits
; Kernel info:
; codeLenInByte = 6320
; NumSgprs: 56
; NumVgprs: 86
; NumAgprs: 0
; TotalNumVgprs: 86
; ScratchSize: 0
; MemoryBound: 0
; FloatMode: 240
; IeeeMode: 1
; LDSByteSize: 8192 bytes/workgroup (compile time only)
; SGPRBlocks: 6
; VGPRBlocks: 10
; NumSGPRsForWavesPerEU: 56
; NumVGPRsForWavesPerEU: 86
; AccumOffset: 88
; Occupancy: 5
; WaveLimiterHint : 1
; COMPUTE_PGM_RSRC2:SCRATCH_EN: 0
; COMPUTE_PGM_RSRC2:USER_SGPR: 2
; COMPUTE_PGM_RSRC2:TRAP_HANDLER: 0
; COMPUTE_PGM_RSRC2:TGID_X_EN: 1
; COMPUTE_PGM_RSRC2:TGID_Y_EN: 1
; COMPUTE_PGM_RSRC2:TGID_Z_EN: 1
; COMPUTE_PGM_RSRC2:TIDIG_COMP_CNT: 0
; COMPUTE_PGM_RSRC3_GFX90A:ACCUM_OFFSET: 21
; COMPUTE_PGM_RSRC3_GFX90A:TG_SPLIT: 0
	.section	.text._Z39paged_attention_ll4mi_QKV_mfma16_kernelI14__hip_bfloat16hLN4vllm18Fp8KVCacheDataTypeE1EhLi16ELi128ELi256ELb0ELi7EEvPKT_PKT0_S8_ifPKiSA_SA_iPKfiiiPfSD_PS3_PT2_iSC_SC_,"axG",@progbits,_Z39paged_attention_ll4mi_QKV_mfma16_kernelI14__hip_bfloat16hLN4vllm18Fp8KVCacheDataTypeE1EhLi16ELi128ELi256ELb0ELi7EEvPKT_PKT0_S8_ifPKiSA_SA_iPKfiiiPfSD_PS3_PT2_iSC_SC_,comdat
	.protected	_Z39paged_attention_ll4mi_QKV_mfma16_kernelI14__hip_bfloat16hLN4vllm18Fp8KVCacheDataTypeE1EhLi16ELi128ELi256ELb0ELi7EEvPKT_PKT0_S8_ifPKiSA_SA_iPKfiiiPfSD_PS3_PT2_iSC_SC_ ; -- Begin function _Z39paged_attention_ll4mi_QKV_mfma16_kernelI14__hip_bfloat16hLN4vllm18Fp8KVCacheDataTypeE1EhLi16ELi128ELi256ELb0ELi7EEvPKT_PKT0_S8_ifPKiSA_SA_iPKfiiiPfSD_PS3_PT2_iSC_SC_
	.globl	_Z39paged_attention_ll4mi_QKV_mfma16_kernelI14__hip_bfloat16hLN4vllm18Fp8KVCacheDataTypeE1EhLi16ELi128ELi256ELb0ELi7EEvPKT_PKT0_S8_ifPKiSA_SA_iPKfiiiPfSD_PS3_PT2_iSC_SC_
	.p2align	8
	.type	_Z39paged_attention_ll4mi_QKV_mfma16_kernelI14__hip_bfloat16hLN4vllm18Fp8KVCacheDataTypeE1EhLi16ELi128ELi256ELb0ELi7EEvPKT_PKT0_S8_ifPKiSA_SA_iPKfiiiPfSD_PS3_PT2_iSC_SC_,@function
_Z39paged_attention_ll4mi_QKV_mfma16_kernelI14__hip_bfloat16hLN4vllm18Fp8KVCacheDataTypeE1EhLi16ELi128ELi256ELb0ELi7EEvPKT_PKT0_S8_ifPKiSA_SA_iPKfiiiPfSD_PS3_PT2_iSC_SC_: ; @_Z39paged_attention_ll4mi_QKV_mfma16_kernelI14__hip_bfloat16hLN4vllm18Fp8KVCacheDataTypeE1EhLi16ELi128ELi256ELb0ELi7EEvPKT_PKT0_S8_ifPKiSA_SA_iPKfiiiPfSD_PS3_PT2_iSC_SC_
; %bb.0:
	s_load_dwordx2 s[12:13], s[0:1], 0x30
	s_mov_b32 s24, s3
	s_mov_b64 s[6:7], 0
	s_waitcnt lgkmcnt(0)
	s_cmp_lg_u64 s[12:13], 0
	s_cselect_b64 s[14:15], -1, 0
	s_and_b64 vcc, exec, s[14:15]
	s_cbranch_vccz .LBB1274_7
; %bb.1:
	s_add_i32 s8, s2, 1
	s_mov_b32 s9, 0
	s_lshl_b64 s[10:11], s[8:9], 2
	s_add_u32 s10, s12, s10
	s_mov_b32 s3, s9
	s_addc_u32 s11, s13, s11
	s_lshl_b64 s[8:9], s[2:3], 2
	s_add_u32 s8, s12, s8
	s_addc_u32 s9, s13, s9
	s_load_dword s5, s[10:11], 0x0
	s_load_dword s16, s[8:9], 0x0
	s_waitcnt lgkmcnt(0)
	s_sub_i32 s5, s5, s16
	s_cmp_eq_u32 s5, 1
	s_cselect_b64 s[8:9], -1, 0
	s_andn2_b64 vcc, exec, s[6:7]
	s_cbranch_vccnz .LBB1274_3
.LBB1274_2:
	s_mov_b32 s3, 0
	s_mov_b64 s[8:9], -1
.LBB1274_3:
	s_andn2_b64 vcc, exec, s[8:9]
	s_cbranch_vccnz .LBB1274_18
; %bb.4:
	s_load_dwordx2 s[6:7], s[0:1], 0x28
	s_lshl_b64 s[16:17], s[2:3], 2
	s_waitcnt lgkmcnt(0)
	s_add_u32 s6, s6, s16
	s_addc_u32 s7, s7, s17
	s_load_dword s33, s[6:7], 0x0
	s_lshl_b32 s18, s24, 8
	s_waitcnt lgkmcnt(0)
	s_cmp_ge_i32 s18, s33
	s_cbranch_scc1 .LBB1274_18
; %bb.5:
	s_load_dwordx2 s[6:7], s[0:1], 0x20
	s_load_dword s8, s[0:1], 0x38
	s_add_i32 s5, s33, 15
	s_ashr_i32 s9, s5, 31
	v_and_b32_e32 v1, 0xcf, v0
	s_lshr_b32 s9, s9, 28
	v_add_u32_e32 v1, s18, v1
	s_add_i32 s5, s5, s9
	v_ashrrev_i32_e32 v2, 31, v1
	s_ashr_i32 s5, s5, 4
	v_lshrrev_b32_e32 v10, 28, v2
	s_add_i32 s5, s5, -1
	s_waitcnt lgkmcnt(0)
	s_mul_i32 s8, s2, s8
	s_mov_b32 s9, 0
	v_add_u32_e32 v2, v1, v10
	s_lshl_b64 s[8:9], s[8:9], 2
	v_ashrrev_i32_e32 v2, 4, v2
	v_mov_b32_e32 v11, s5
	v_cmp_gt_i32_e32 vcc, s33, v1
	s_add_u32 s6, s6, s8
	s_addc_u32 s7, s7, s9
	v_cndmask_b32_e32 v2, v11, v2, vcc
	v_ashrrev_i32_e32 v3, 31, v2
	v_lshl_add_u64 v[4:5], v[2:3], 2, s[6:7]
	v_or_b32_e32 v2, 16, v1
	v_add_u32_e32 v3, v2, v10
	v_ashrrev_i32_e32 v3, 4, v3
	v_cmp_gt_i32_e32 vcc, s33, v2
	s_load_dwordx4 s[8:11], s[0:1], 0x8
	s_nop 0
	v_cndmask_b32_e32 v2, v11, v3, vcc
	v_ashrrev_i32_e32 v3, 31, v2
	v_lshl_add_u64 v[6:7], v[2:3], 2, s[6:7]
	v_or_b32_e32 v2, 32, v1
	v_add_u32_e32 v3, v2, v10
	v_ashrrev_i32_e32 v3, 4, v3
	v_cmp_gt_i32_e32 vcc, s33, v2
	v_or_b32_e32 v1, 48, v1
	s_nop 0
	v_cndmask_b32_e32 v2, v11, v3, vcc
	v_ashrrev_i32_e32 v3, 31, v2
	v_lshl_add_u64 v[8:9], v[2:3], 2, s[6:7]
	v_add_u32_e32 v2, v1, v10
	v_ashrrev_i32_e32 v2, 4, v2
	v_cmp_gt_i32_e32 vcc, s33, v1
	s_nop 1
	v_cndmask_b32_e32 v2, v11, v2, vcc
	v_ashrrev_i32_e32 v3, 31, v2
	v_lshl_add_u64 v[12:13], v[2:3], 2, s[6:7]
	global_load_dword v3, v[4:5], off
	global_load_dword v2, v[6:7], off
	;; [unrolled: 1-line block ×4, first 2 shown]
	s_andn2_b64 vcc, exec, s[14:15]
	s_cbranch_vccnz .LBB1274_8
; %bb.6:
	s_add_u32 s12, s12, s16
	s_addc_u32 s13, s13, s17
	s_load_dword s14, s[12:13], 0x0
	s_branch .LBB1274_9
.LBB1274_7:
	s_mov_b64 s[8:9], 0
	s_branch .LBB1274_2
.LBB1274_8:
	s_mov_b32 s14, s2
.LBB1274_9:
	s_load_dwordx4 s[44:47], s[0:1], 0x48
	v_lshrrev_b32_e32 v61, 6, v0
	v_bfe_u32 v64, v0, 4, 2
	v_and_b32_e32 v60, 15, v0
	v_lshl_or_b32 v4, v61, 2, v64
	v_lshlrev_b32_e32 v1, 3, v60
	v_and_b32_e32 v65, 63, v0
	s_mul_i32 s48, s4, 7
	v_cmp_gt_u32_e32 vcc, 7, v4
	v_lshlrev_b32_e32 v58, 1, v1
	v_lshlrev_b32_e32 v1, 4, v0
	s_and_saveexec_b64 s[12:13], vcc
	s_cbranch_execz .LBB1274_11
; %bb.10:
	s_load_dwordx2 s[16:17], s[0:1], 0x0
	s_waitcnt lgkmcnt(0)
	s_ashr_i32 s15, s44, 31
	s_mul_hi_u32 s19, s14, s44
	s_mul_i32 s15, s14, s15
	s_add_i32 s15, s19, s15
	s_mul_i32 s14, s14, s44
	s_lshl_b64 s[14:15], s[14:15], 1
	s_add_u32 s14, s16, s14
	v_add_lshl_u32 v6, v4, s48, 7
	s_addc_u32 s15, s17, s15
	v_ashrrev_i32_e32 v7, 31, v6
	v_lshl_add_u64 v[6:7], v[6:7], 1, s[14:15]
	v_mov_b32_e32 v59, 0
	v_lshl_add_u64 v[6:7], v[6:7], 0, v[58:59]
	global_load_dwordx4 v[6:9], v[6:7], off
	v_lshlrev_b32_e32 v12, 8, v0
	v_lshlrev_b32_e32 v5, 8, v60
	v_and_b32_e32 v12, 0x600, v12
	s_movk_i32 s14, 0x800
	v_and_or_b32 v5, v5, s14, v12
	v_lshlrev_b32_e32 v4, 5, v4
	v_and_b32_e32 v12, 16, v1
	v_or3_b32 v4, v5, v4, v12
	s_waitcnt vmcnt(0)
	ds_write_b128 v4, v[6:9]
.LBB1274_11:
	s_or_b64 exec, exec, s[12:13]
	s_waitcnt lgkmcnt(0)
	s_mul_i32 s4, s4, s46
	s_add_u32 s8, s8, s4
	s_addc_u32 s9, s9, 0
	v_and_b32_e32 v62, 0xf0, v1
	v_mov_b32_e32 v63, 0
	v_and_b32_e32 v12, 48, v0
	v_lshl_add_u64 v[6:7], s[8:9], 0, v[62:63]
	v_lshlrev_b32_e32 v62, 4, v12
	s_waitcnt vmcnt(3)
	v_mad_i64_i32 v[4:5], s[8:9], v3, s45, v[6:7]
	v_lshl_add_u64 v[4:5], v[4:5], 0, v[62:63]
	s_load_dword s25, s[0:1], 0x98
	s_load_dwordx4 s[40:43], s[0:1], 0x80
	s_waitcnt lgkmcnt(0)
	s_barrier
	global_load_dwordx4 v[22:25], v[4:5], off
	global_load_dwordx4 v[14:17], v[4:5], off offset:1024
	s_waitcnt vmcnt(4)
	v_mad_i64_i32 v[2:3], s[12:13], v2, s45, v[6:7]
	v_lshl_add_u64 v[8:9], v[2:3], 0, v[62:63]
	global_load_dwordx4 v[2:5], v[8:9], off
	v_mul_lo_u16_e32 v13, 37, v60
	v_mov_b32_e32 v18, 7
	v_or_b32_e32 v12, s18, v12
	v_mov_b32_e32 v20, s5
	v_mul_lo_u16_sdwa v13, v13, v18 dst_sel:DWORD dst_unused:UNUSED_PAD src0_sel:BYTE_1 src1_sel:DWORD
	v_ashrrev_i32_e32 v18, 4, v12
	v_or_b32_e32 v21, 64, v12
	v_cmp_gt_i32_e32 vcc, s33, v12
	v_mov_b32_e32 v19, 5
	v_sub_u16_e32 v13, v60, v13
	v_or_b32_e32 v26, 0x80, v12
	v_or_b32_e32 v27, 0xc0, v12
	v_cndmask_b32_e32 v38, v20, v18, vcc
	v_ashrrev_i32_e32 v12, 4, v21
	v_cmp_gt_i32_e32 vcc, s33, v21
	v_lshlrev_b32_sdwa v13, v19, v13 dst_sel:DWORD dst_unused:UNUSED_PAD src0_sel:DWORD src1_sel:BYTE_0
	v_ashrrev_i32_e32 v18, 4, v26
	v_cndmask_b32_e32 v42, v20, v12, vcc
	v_cmp_gt_i32_e32 vcc, s33, v26
	v_ashrrev_i32_e32 v19, 4, v27
	v_lshl_add_u32 v36, v64, 9, v13
	v_cndmask_b32_e32 v44, v20, v18, vcc
	v_cmp_gt_i32_e32 vcc, s33, v27
	s_waitcnt vmcnt(4)
	v_mad_i64_i32 v[34:35], s[12:13], v10, s45, v[6:7]
	v_cndmask_b32_e32 v46, v20, v19, vcc
	ds_read_b128 v[26:29], v36
	ds_read_b128 v[18:21], v36 offset:16
	global_load_dwordx4 v[30:33], v[8:9], off offset:1024
	s_waitcnt vmcnt(4)
	v_mad_i64_i32 v[40:41], s[12:13], v11, s45, v[6:7]
	v_ashrrev_i32_e32 v39, 31, v38
	ds_read_b128 v[10:13], v36 offset:2048
	ds_read_b128 v[6:9], v36 offset:2064
	v_lshl_add_u64 v[36:37], v[34:35], 0, v[62:63]
	v_lshl_add_u64 v[34:35], v[40:41], 0, v[62:63]
	v_ashrrev_i32_e32 v43, 31, v42
	v_ashrrev_i32_e32 v45, 31, v44
	;; [unrolled: 1-line block ×3, first 2 shown]
	v_lshl_add_u64 v[50:51], v[38:39], 2, s[6:7]
	v_lshl_add_u64 v[52:53], v[42:43], 2, s[6:7]
	v_lshl_add_u64 v[54:55], v[44:45], 2, s[6:7]
	v_lshl_add_u64 v[56:57], v[46:47], 2, s[6:7]
	global_load_dwordx4 v[46:49], v[36:37], off
	global_load_dwordx4 v[42:45], v[36:37], off offset:1024
	global_load_dwordx4 v[38:41], v[34:35], off
	s_nop 0
	global_load_dwordx4 v[34:37], v[34:35], off offset:1024
	s_nop 0
	global_load_dword v69, v[50:51], off
	global_load_dword v68, v[52:53], off
	;; [unrolled: 1-line block ×4, first 2 shown]
	s_mov_b32 s44, 0x7060302
	s_add_u32 s4, s10, s4
	v_lshl_or_b32 v59, v61, 4, v60
	s_addc_u32 s5, s11, 0
	v_lshlrev_b32_e32 v62, 4, v59
	s_load_dword s8, s[0:1], 0x1c
	s_waitcnt vmcnt(11)
	v_cvt_pk_f32_fp8_e32 v[50:51], v22
	v_cvt_pk_f32_fp8_sdwa v[52:53], v22 src0_sel:WORD_1
	v_cvt_pk_f32_fp8_e32 v[54:55], v23
	v_cvt_pk_f32_fp8_sdwa v[22:23], v23 src0_sel:WORD_1
	s_waitcnt vmcnt(10)
	v_cvt_pk_f32_fp8_e32 v[76:77], v14
	v_cvt_pk_f32_fp8_sdwa v[78:79], v14 src0_sel:WORD_1
	v_cvt_pk_f32_fp8_e32 v[80:81], v15
	v_cvt_pk_f32_fp8_sdwa v[82:83], v15 src0_sel:WORD_1
	v_perm_b32 v14, v51, v50, s44
	v_perm_b32 v15, v53, v52, s44
	v_cvt_pk_f32_fp8_e32 v[56:57], v24
	v_cvt_pk_f32_fp8_sdwa v[70:71], v24 src0_sel:WORD_1
	v_perm_b32 v54, v55, v54, s44
	v_perm_b32 v55, v23, v22, s44
	v_cvt_pk_f32_fp8_e32 v[72:73], v25
	v_cvt_pk_f32_fp8_sdwa v[74:75], v25 src0_sel:WORD_1
	s_waitcnt lgkmcnt(0)
	v_mfma_f32_16x16x16_bf16 v[22:25], v[14:15], v[26:27], 0
	v_perm_b32 v14, v57, v56, s44
	v_perm_b32 v15, v71, v70, s44
	;; [unrolled: 1-line block ×3, first 2 shown]
	v_mfma_f32_16x16x16_bf16 v[22:25], v[54:55], v[28:29], v[22:25]
	v_perm_b32 v57, v75, v74, s44
	v_cvt_pk_f32_fp8_e32 v[50:51], v16
	v_cvt_pk_f32_fp8_sdwa v[52:53], v16 src0_sel:WORD_1
	v_cvt_pk_f32_fp8_e32 v[84:85], v17
	v_cvt_pk_f32_fp8_sdwa v[54:55], v17 src0_sel:WORD_1
	v_mfma_f32_16x16x16_bf16 v[14:17], v[14:15], v[18:19], v[22:25]
	v_perm_b32 v70, v81, v80, s44
	v_perm_b32 v71, v83, v82, s44
	v_perm_b32 v50, v51, v50, s44
	v_perm_b32 v24, v77, v76, s44
	v_perm_b32 v25, v79, v78, s44
	v_mfma_f32_16x16x16_bf16 v[14:17], v[56:57], v[20:21], v[14:17]
	s_waitcnt vmcnt(9)
	v_cvt_pk_f32_fp8_e32 v[22:23], v2
	v_cvt_pk_f32_fp8_sdwa v[56:57], v2 src0_sel:WORD_1
	v_perm_b32 v51, v53, v52, s44
	v_mfma_f32_16x16x16_bf16 v[14:17], v[24:25], v[10:11], v[14:17]
	v_cvt_pk_f32_fp8_e32 v[24:25], v3
	v_cvt_pk_f32_fp8_sdwa v[2:3], v3 src0_sel:WORD_1
	v_perm_b32 v52, v85, v84, s44
	v_mfma_f32_16x16x16_bf16 v[14:17], v[70:71], v[12:13], v[14:17]
	v_perm_b32 v53, v55, v54, s44
	v_perm_b32 v22, v23, v22, s44
	v_perm_b32 v23, v57, v56, s44
	v_mfma_f32_16x16x16_bf16 v[14:17], v[50:51], v[6:7], v[14:17]
	v_cvt_pk_f32_fp8_e32 v[54:55], v4
	v_perm_b32 v24, v25, v24, s44
	v_cvt_pk_f32_fp8_sdwa v[56:57], v4 src0_sel:WORD_1
	v_perm_b32 v25, v3, v2, s44
	v_mfma_f32_16x16x16_bf16 v[50:53], v[52:53], v[8:9], v[14:17]
	s_waitcnt vmcnt(7)
	v_cvt_pk_f32_fp8_e32 v[72:73], v49
	v_lshl_add_u64 v[70:71], s[4:5], 0, v[62:63]
	s_waitcnt vmcnt(6)
	v_cvt_pk_f32_fp8_sdwa v[76:77], v44 src0_sel:WORD_1
	v_mfma_f32_16x16x16_bf16 v[14:17], v[22:23], v[26:27], 0
	v_perm_b32 v22, v55, v54, s44
	v_perm_b32 v23, v57, v56, s44
	v_cvt_pk_f32_fp8_e32 v[54:55], v5
	v_cvt_pk_f32_fp8_sdwa v[56:57], v5 src0_sel:WORD_1
	v_mfma_f32_16x16x16_bf16 v[2:5], v[24:25], v[28:29], v[14:17]
	v_cvt_pk_f32_fp8_e32 v[24:25], v32
	v_or_b32_e32 v62, 0x400, v62
	s_nop 0
	v_perm_b32 v14, v55, v54, s44
	v_perm_b32 v15, v57, v56, s44
	v_mfma_f32_16x16x16_bf16 v[2:5], v[22:23], v[18:19], v[2:5]
	v_cvt_pk_f32_fp8_e32 v[16:17], v30
	v_cvt_pk_f32_fp8_sdwa v[22:23], v30 src0_sel:WORD_1
	v_perm_b32 v16, v17, v16, s44
	v_mfma_f32_16x16x16_bf16 v[2:5], v[14:15], v[20:21], v[2:5]
	v_cvt_pk_f32_fp8_e32 v[14:15], v31
	v_perm_b32 v17, v23, v22, s44
	v_cvt_pk_f32_fp8_sdwa v[22:23], v31 src0_sel:WORD_1
	v_cvt_pk_f32_fp8_sdwa v[30:31], v32 src0_sel:WORD_1
	v_perm_b32 v14, v15, v14, s44
	v_mfma_f32_16x16x16_bf16 v[2:5], v[16:17], v[10:11], v[2:5]
	v_perm_b32 v15, v23, v22, s44
	v_perm_b32 v16, v25, v24, s44
	;; [unrolled: 1-line block ×3, first 2 shown]
	v_cvt_pk_f32_fp8_e32 v[22:23], v33
	v_cvt_pk_f32_fp8_sdwa v[24:25], v33 src0_sel:WORD_1
	v_mfma_f32_16x16x16_bf16 v[2:5], v[14:15], v[12:13], v[2:5]
	v_perm_b32 v14, v23, v22, s44
	v_perm_b32 v15, v25, v24, s44
	v_mfma_f32_16x16x16_bf16 v[2:5], v[16:17], v[6:7], v[2:5]
	v_cvt_pk_f32_fp8_e32 v[16:17], v46
	v_cvt_pk_f32_fp8_sdwa v[22:23], v46 src0_sel:WORD_1
	v_cvt_pk_f32_fp8_sdwa v[24:25], v48 src0_sel:WORD_1
	v_mfma_f32_16x16x16_bf16 v[54:57], v[14:15], v[8:9], v[2:5]
	v_cvt_pk_f32_fp8_sdwa v[14:15], v47 src0_sel:WORD_1
	s_nop 1
	v_perm_b32 v2, v17, v16, s44
	v_perm_b32 v3, v23, v22, s44
	v_cvt_pk_f32_fp8_e32 v[4:5], v47
	v_perm_b32 v23, v15, v14, s44
	v_cvt_pk_f32_fp8_e32 v[14:15], v48
	v_cvt_pk_f32_fp8_sdwa v[48:49], v49 src0_sel:WORD_1
	v_perm_b32 v22, v5, v4, s44
	v_mfma_f32_16x16x16_bf16 v[2:5], v[2:3], v[26:27], 0
	v_perm_b32 v14, v15, v14, s44
	v_perm_b32 v15, v25, v24, s44
	s_waitcnt vmcnt(3)
	v_mad_i64_i32 v[16:17], s[6:7], v69, s45, v[70:71]
	v_mfma_f32_16x16x16_bf16 v[2:5], v[22:23], v[28:29], v[2:5]
	s_waitcnt vmcnt(2)
	v_mad_i64_i32 v[46:47], s[6:7], v68, s45, v[70:71]
	global_load_dwordx4 v[30:33], v[16:17], off
	global_load_dwordx4 v[22:25], v[46:47], off
	v_perm_b32 v16, v73, v72, s44
	v_perm_b32 v17, v49, v48, s44
	v_mfma_f32_16x16x16_bf16 v[2:5], v[14:15], v[18:19], v[2:5]
	v_cvt_pk_f32_fp8_e32 v[14:15], v42
	v_cvt_pk_f32_fp8_sdwa v[46:47], v42 src0_sel:WORD_1
	s_waitcnt vmcnt(3)
	v_mad_i64_i32 v[72:73], s[6:7], v67, s45, v[70:71]
	v_mfma_f32_16x16x16_bf16 v[2:5], v[16:17], v[20:21], v[2:5]
	v_perm_b32 v14, v15, v14, s44
	v_perm_b32 v15, v47, v46, s44
	v_cvt_pk_f32_fp8_e32 v[16:17], v43
	v_cvt_pk_f32_fp8_sdwa v[42:43], v43 src0_sel:WORD_1
	v_mfma_f32_16x16x16_bf16 v[46:49], v[14:15], v[10:11], v[2:5]
	v_perm_b32 v74, v17, v16, s44
	v_perm_b32 v75, v43, v42, s44
	v_cvt_pk_f32_fp8_e32 v[42:43], v44
	s_waitcnt vmcnt(2)
	v_mad_i64_i32 v[70:71], s[6:7], v66, s45, v[70:71]
	global_load_dwordx4 v[14:17], v[72:73], off
	global_load_dwordx4 v[2:5], v[70:71], off
	v_perm_b32 v70, v43, v42, s44
	v_perm_b32 v71, v77, v76, s44
	v_cvt_pk_f32_fp8_e32 v[72:73], v45
	v_cvt_pk_f32_fp8_sdwa v[76:77], v45 src0_sel:WORD_1
	v_mfma_f32_16x16x16_bf16 v[44:47], v[74:75], v[12:13], v[46:49]
	v_lshl_add_u64 v[42:43], s[4:5], 0, v[62:63]
	v_cvt_pk_f32_fp8_e32 v[62:63], v38
	s_load_dword s4, s[40:41], 0x0
	v_perm_b32 v48, v73, v72, s44
	v_perm_b32 v49, v77, v76, s44
	v_mfma_f32_16x16x16_bf16 v[44:47], v[70:71], v[6:7], v[44:47]
	v_cvt_pk_f32_fp8_sdwa v[70:71], v38 src0_sel:WORD_1
	v_perm_b32 v62, v63, v62, s44
	v_cvt_pk_f32_fp8_e32 v[74:75], v40
	v_mfma_f32_16x16x16_bf16 v[46:49], v[48:49], v[8:9], v[44:47]
	v_perm_b32 v63, v71, v70, s44
	v_cvt_pk_f32_fp8_sdwa v[76:77], v40 src0_sel:WORD_1
	s_mov_b32 s40, 0xff7fffff
	v_cvt_pk_f32_fp8_e32 v[44:45], v39
	v_cvt_pk_f32_fp8_sdwa v[38:39], v39 src0_sel:WORD_1
	v_mfma_f32_16x16x16_bf16 v[70:73], v[62:63], v[26:27], 0
	v_cvt_pk_f32_fp8_e32 v[62:63], v41
	v_perm_b32 v44, v45, v44, s44
	v_perm_b32 v45, v39, v38, s44
	;; [unrolled: 1-line block ×4, first 2 shown]
	v_cvt_pk_f32_fp8_sdwa v[40:41], v41 src0_sel:WORD_1
	v_mov_b32_e32 v26, s8
	s_waitcnt lgkmcnt(0)
	v_mul_f32_e32 v74, s4, v26
	v_mfma_f32_16x16x16_bf16 v[26:29], v[44:45], v[28:29], v[70:73]
	v_pk_mul_f32 v[44:45], v[74:75], v[52:53] op_sel_hi:[0,1]
	v_perm_b32 v52, v63, v62, s44
	v_perm_b32 v53, v41, v40, s44
	v_mfma_f32_16x16x16_bf16 v[26:29], v[38:39], v[18:19], v[26:29]
	v_cvt_pk_f32_fp8_e32 v[18:19], v34
	v_cvt_pk_f32_fp8_sdwa v[38:39], v34 src0_sel:WORD_1
	v_pk_mul_f32 v[50:51], v[74:75], v[50:51] op_sel_hi:[0,1]
	v_mfma_f32_16x16x16_bf16 v[26:29], v[52:53], v[20:21], v[26:29]
	v_perm_b32 v20, v19, v18, s44
	v_perm_b32 v21, v39, v38, s44
	v_cvt_pk_f32_fp8_e32 v[38:39], v35
	v_cvt_pk_f32_fp8_sdwa v[34:35], v35 src0_sel:WORD_1
	v_mfma_f32_16x16x16_bf16 v[26:29], v[20:21], v[10:11], v[26:29]
	v_perm_b32 v38, v39, v38, s44
	v_perm_b32 v39, v35, v34, s44
	v_cvt_pk_f32_fp8_e32 v[10:11], v36
	v_cvt_pk_f32_fp8_sdwa v[20:21], v36 src0_sel:WORD_1
	v_pk_mul_f32 v[52:53], v[74:75], v[54:55] op_sel_hi:[0,1]
	v_pk_mul_f32 v[34:35], v[74:75], v[56:57] op_sel_hi:[0,1]
	v_perm_b32 v40, v11, v10, s44
	v_perm_b32 v41, v21, v20, s44
	v_cvt_pk_f32_fp8_e32 v[20:21], v37
	v_cvt_pk_f32_fp8_sdwa v[36:37], v37 src0_sel:WORD_1
	v_mfma_f32_16x16x16_bf16 v[10:13], v[38:39], v[12:13], v[26:29]
	v_pk_mul_f32 v[46:47], v[74:75], v[46:47] op_sel_hi:[0,1]
	v_perm_b32 v20, v21, v20, s44
	v_perm_b32 v21, v37, v36, s44
	v_mfma_f32_16x16x16_bf16 v[10:13], v[40:41], v[6:7], v[10:13]
	v_pk_mul_f32 v[40:41], v[74:75], v[48:49] op_sel_hi:[0,1]
	v_mad_i64_i32 v[18:19], s[4:5], v69, s45, v[42:43]
	v_mfma_f32_16x16x16_bf16 v[6:9], v[20:21], v[8:9], v[10:13]
	v_mad_i64_i32 v[62:63], s[4:5], v68, s45, v[42:43]
	global_load_dwordx4 v[26:29], v[18:19], off
	s_nop 0
	global_load_dwordx4 v[18:21], v[62:63], off
	s_nop 2
	v_pk_mul_f32 v[48:49], v[74:75], v[6:7] op_sel_hi:[0,1]
	v_and_b32_e32 v6, 0xc0, v0
	v_add_u32_e32 v6, s18, v6
	v_lshl_or_b32 v6, v64, 2, v6
	v_pk_mul_f32 v[38:39], v[74:75], v[8:9] op_sel_hi:[0,1]
	v_or_b32_e32 v9, 1, v6
	v_mov_b32_e32 v7, 0xff7fffff
	v_cmp_gt_i32_e64 s[26:27], s33, v6
	v_cmp_gt_i32_e64 s[28:29], s33, v9
	v_or_b32_e32 v10, 3, v6
	v_cndmask_b32_e64 v8, v7, v50, s[26:27]
	v_cndmask_b32_e64 v9, v7, v51, s[28:29]
	v_max3_f32 v8, v8, s40, v9
	v_or_b32_e32 v9, 2, v6
	v_cmp_gt_i32_e64 s[30:31], s33, v9
	v_cmp_gt_i32_e64 s[34:35], s33, v10
	s_nop 0
	v_cndmask_b32_e64 v9, v7, v44, s[30:31]
	v_cndmask_b32_e64 v10, v7, v45, s[34:35]
	v_max3_f32 v8, v8, v9, v10
	v_or_b32_e32 v9, 16, v6
	v_or_b32_e32 v10, 17, v6
	v_cmp_gt_i32_e64 s[18:19], s33, v9
	v_cmp_gt_i32_e64 s[20:21], s33, v10
	s_nop 0
	v_cndmask_b32_e64 v9, v7, v52, s[18:19]
	v_cndmask_b32_e64 v10, v7, v53, s[20:21]
	v_max3_f32 v8, v8, v9, v10
	v_or_b32_e32 v9, 18, v6
	;; [unrolled: 8-line block ×5, first 2 shown]
	v_or_b32_e32 v10, 49, v6
	v_cmp_gt_i32_e32 vcc, s33, v9
	v_cmp_gt_i32_e64 s[4:5], s33, v10
	s_nop 0
	v_cndmask_b32_e32 v9, v7, v48, vcc
	v_cndmask_b32_e64 v10, v7, v49, s[4:5]
	v_max3_f32 v8, v8, v9, v10
	v_or_b32_e32 v9, 50, v6
	v_or_b32_e32 v6, 51, v6
	v_cmp_gt_i32_e64 s[6:7], s33, v9
	v_cmp_gt_i32_e64 s[8:9], s33, v6
	s_nop 0
	v_cndmask_b32_e64 v9, v7, v38, s[6:7]
	v_cndmask_b32_e64 v6, v7, v39, s[8:9]
	v_max3_f32 v8, v8, v9, v6
	v_mbcnt_lo_u32_b32 v6, -1, 0
	v_mbcnt_hi_u32_b32 v9, -1, v6
	v_and_b32_e32 v6, 64, v9
	v_add_u32_e32 v10, 64, v6
	v_xor_b32_e32 v6, 32, v9
	v_cmp_lt_i32_e64 s[38:39], v6, v10
	s_nop 1
	v_cndmask_b32_e64 v6, v9, v6, s[38:39]
	v_lshlrev_b32_e32 v55, 2, v6
	ds_bpermute_b32 v11, v55, v8
	v_mad_i64_i32 v[6:7], s[38:39], v67, s45, v[42:43]
	s_waitcnt lgkmcnt(0)
	v_max_f32_e32 v11, v11, v11
	v_max_f32_e32 v36, v8, v11
	v_xor_b32_e32 v8, 16, v9
	v_cmp_lt_i32_e64 s[38:39], v8, v10
	s_nop 1
	v_cndmask_b32_e64 v8, v9, v8, s[38:39]
	v_lshlrev_b32_e32 v56, 2, v8
	v_mad_i64_i32 v[8:9], s[38:39], v66, s45, v[42:43]
	global_load_dwordx4 v[10:13], v[6:7], off
	s_nop 0
	global_load_dwordx4 v[6:9], v[8:9], off
	ds_bpermute_b32 v37, v56, v36
	s_waitcnt lgkmcnt(0)
	s_barrier
	v_max_f32_e32 v37, v37, v37
	v_max_f32_e32 v54, v36, v37
	v_sub_f32_e32 v42, v44, v54
	v_mul_f32_e32 v42, 0x3fb8aa3b, v42
	v_exp_f32_e32 v42, v42
	v_sub_f32_e32 v43, v45, v54
	v_mul_f32_e32 v43, 0x3fb8aa3b, v43
	v_exp_f32_e32 v43, v43
	v_cndmask_b32_e64 v44, 0, v42, s[30:31]
	v_sub_f32_e32 v42, v52, v54
	v_sub_f32_e32 v34, v34, v54
	v_mul_f32_e32 v42, 0x3fb8aa3b, v42
	v_mul_f32_e32 v34, 0x3fb8aa3b, v34
	v_sub_f32_e32 v36, v50, v54
	v_exp_f32_e32 v42, v42
	v_exp_f32_e32 v50, v34
	v_cndmask_b32_e64 v45, 0, v43, s[34:35]
	v_sub_f32_e32 v43, v53, v54
	v_sub_f32_e32 v34, v35, v54
	;; [unrolled: 1-line block ×4, first 2 shown]
	v_mul_f32_e32 v43, 0x3fb8aa3b, v43
	v_mul_f32_e32 v34, 0x3fb8aa3b, v34
	;; [unrolled: 1-line block ×4, first 2 shown]
	v_sub_f32_e32 v37, v51, v54
	v_exp_f32_e32 v43, v43
	v_exp_f32_e32 v51, v34
	v_cndmask_b32_e64 v34, 0, v42, s[18:19]
	v_cndmask_b32_e64 v42, 0, v50, s[22:23]
	v_exp_f32_e32 v46, v46
	v_exp_f32_e32 v50, v40
	v_mul_f32_e32 v36, 0x3fb8aa3b, v36
	v_sub_f32_e32 v47, v47, v54
	v_sub_f32_e32 v40, v41, v54
	;; [unrolled: 1-line block ×4, first 2 shown]
	v_exp_f32_e32 v36, v36
	v_mul_f32_e32 v37, 0x3fb8aa3b, v37
	v_mul_f32_e32 v47, 0x3fb8aa3b, v47
	;; [unrolled: 1-line block ×5, first 2 shown]
	v_exp_f32_e32 v37, v37
	v_cndmask_b32_e64 v35, 0, v43, s[20:21]
	v_cndmask_b32_e64 v43, 0, v51, s[36:37]
	v_exp_f32_e32 v47, v47
	v_exp_f32_e32 v51, v40
	v_cndmask_b32_e64 v40, 0, v46, s[10:11]
	v_cndmask_b32_e64 v46, 0, v50, s[14:15]
	v_exp_f32_e32 v48, v48
	v_exp_f32_e32 v50, v38
	v_sub_f32_e32 v38, v39, v54
	v_cndmask_b32_e64 v36, 0, v36, s[26:27]
	v_mul_f32_e32 v38, 0x3fb8aa3b, v38
	v_cndmask_b32_e64 v37, 0, v37, s[28:29]
	v_cndmask_b32_e64 v41, 0, v47, s[12:13]
	;; [unrolled: 1-line block ×3, first 2 shown]
	v_exp_f32_e32 v51, v38
	v_cndmask_b32_e32 v38, 0, v48, vcc
	v_cndmask_b32_e64 v48, 0, v50, s[6:7]
	v_add_f32_e32 v50, 0, v36
	v_add_f32_e32 v50, v50, v37
	;; [unrolled: 1-line block ×6, first 2 shown]
	v_sub_f32_e32 v49, v49, v54
	v_add_f32_e32 v50, v50, v42
	v_mul_f32_e32 v49, 0x3fb8aa3b, v49
	v_add_f32_e32 v50, v50, v43
	v_exp_f32_e32 v49, v49
	v_add_f32_e32 v50, v50, v40
	v_add_f32_e32 v50, v50, v41
	;; [unrolled: 1-line block ×4, first 2 shown]
	v_cndmask_b32_e64 v39, 0, v49, s[4:5]
	v_add_f32_e32 v50, v50, v38
	v_add_f32_e32 v50, v50, v39
	v_cndmask_b32_e64 v49, 0, v51, s[8:9]
	v_add_f32_e32 v50, v50, v48
	v_add_f32_e32 v50, v50, v49
	ds_bpermute_b32 v51, v55, v50
	v_cmp_gt_u32_e32 vcc, 16, v65
	s_waitcnt lgkmcnt(0)
	v_add_f32_e32 v50, v50, v51
	ds_bpermute_b32 v51, v56, v50
	s_and_saveexec_b64 s[4:5], vcc
	s_cbranch_execz .LBB1274_13
; %bb.12:
	s_waitcnt lgkmcnt(0)
	v_add_f32_e32 v50, v50, v51
	v_lshlrev_b32_e32 v51, 2, v59
	ds_write2st64_b32 v51, v54, v50 offset1:1
.LBB1274_13:
	s_or_b64 exec, exec, s[4:5]
	s_waitcnt lgkmcnt(0)
	v_lshlrev_b32_e32 v51, 2, v60
	s_load_dword s6, s[0:1], 0x94
	s_waitcnt lgkmcnt(0)
	s_barrier
	ds_read2_b32 v[52:53], v51 offset1:16
	ds_read2_b32 v[54:55], v51 offset0:32 offset1:48
	ds_read2_b32 v[56:57], v51 offset0:64 offset1:80
	s_movk_i32 s8, 0x7fff
	s_mul_i32 s7, s25, 7
	s_waitcnt lgkmcnt(2)
	v_max3_f32 v50, v52, s40, v53
	s_waitcnt lgkmcnt(1)
	v_max3_f32 v50, v50, v54, v55
	v_sub_f32_e32 v52, v52, v50
	v_mul_f32_e32 v52, 0x3fb8aa3b, v52
	v_exp_f32_e32 v59, v52
	v_sub_f32_e32 v52, v53, v50
	v_mul_f32_e32 v52, 0x3fb8aa3b, v52
	v_exp_f32_e32 v62, v52
	;; [unrolled: 3-line block ×3, first 2 shown]
	ds_read2_b32 v[52:53], v51 offset0:96 offset1:112
	v_sub_f32_e32 v51, v55, v50
	v_mul_f32_e32 v51, 0x3fb8aa3b, v51
	v_exp_f32_e32 v55, v51
	s_waitcnt lgkmcnt(1)
	v_fma_f32 v51, v59, v56, 0
	v_fmac_f32_e32 v51, v62, v57
	s_waitcnt lgkmcnt(0)
	v_fmac_f32_e32 v51, v54, v52
	v_fmac_f32_e32 v51, v55, v53
	v_add_f32_e32 v52, 0x358637bd, v51
	v_div_scale_f32 v53, s[4:5], v52, v52, 1.0
	v_rcp_f32_e32 v56, v53
	s_barrier
	v_fma_f32 v57, -v53, v56, 1.0
	v_fmac_f32_e32 v56, v57, v56
	v_div_scale_f32 v57, vcc, 1.0, v52, 1.0
	v_mul_f32_e32 v63, v57, v56
	v_fma_f32 v65, -v53, v63, v57
	v_fmac_f32_e32 v63, v65, v56
	v_fma_f32 v53, -v53, v63, v57
	v_div_fmas_f32 v53, v53, v56, v63
	v_cmp_eq_u32_e32 vcc, 1, v61
	v_div_fixup_f32 v52, v53, v52, 1.0
	s_nop 0
	v_cndmask_b32_e32 v53, v59, v62, vcc
	v_cmp_eq_u32_e32 vcc, 2, v61
	s_nop 1
	v_cndmask_b32_e32 v53, v53, v54, vcc
	v_cmp_eq_u32_e32 vcc, 3, v61
	s_nop 1
	v_cndmask_b32_e32 v53, v53, v55, vcc
	v_mul_f32_e32 v52, v53, v52
	v_pk_mul_f32 v[36:37], v[52:53], v[36:37] op_sel_hi:[0,1]
	v_pk_mul_f32 v[44:45], v[52:53], v[44:45] op_sel_hi:[0,1]
	v_bfe_u32 v53, v37, 16, 1
	v_bfe_u32 v54, v36, 16, 1
	v_add3_u32 v36, v36, v54, s8
	v_add3_u32 v37, v37, v53, s8
	v_perm_b32 v56, v37, v36, s44
	v_bfe_u32 v36, v45, 16, 1
	v_bfe_u32 v37, v44, 16, 1
	v_add3_u32 v37, v44, v37, s8
	v_add3_u32 v36, v45, v36, s8
	v_perm_b32 v57, v36, v37, s44
	v_lshlrev_b32_e32 v37, 3, v64
	v_lshlrev_b32_e32 v36, 5, v60
	;; [unrolled: 1-line block ×3, first 2 shown]
	v_pk_mul_f32 v[34:35], v[52:53], v[34:35] op_sel_hi:[0,1]
	v_or3_b32 v54, v44, v36, v37
	v_bfe_u32 v37, v35, 16, 1
	v_bfe_u32 v44, v34, 16, 1
	v_pk_mul_f32 v[42:43], v[52:53], v[42:43] op_sel_hi:[0,1]
	v_add3_u32 v34, v34, v44, s8
	v_add3_u32 v35, v35, v37, s8
	v_perm_b32 v34, v35, v34, s44
	v_bfe_u32 v35, v43, 16, 1
	v_bfe_u32 v37, v42, 16, 1
	v_add3_u32 v37, v42, v37, s8
	v_add3_u32 v35, v43, v35, s8
	v_pk_mul_f32 v[40:41], v[52:53], v[40:41] op_sel_hi:[0,1]
	v_perm_b32 v35, v35, v37, s44
	v_bfe_u32 v37, v41, 16, 1
	v_bfe_u32 v42, v40, 16, 1
	ds_write2st64_b64 v54, v[56:57], v[34:35] offset1:1
	v_pk_mul_f32 v[34:35], v[52:53], v[46:47] op_sel_hi:[0,1]
	v_add3_u32 v40, v40, v42, s8
	v_add3_u32 v37, v41, v37, s8
	v_perm_b32 v40, v37, v40, s44
	v_bfe_u32 v37, v35, 16, 1
	v_bfe_u32 v41, v34, 16, 1
	v_pk_mul_f32 v[38:39], v[52:53], v[38:39] op_sel_hi:[0,1]
	v_add3_u32 v34, v34, v41, s8
	v_add3_u32 v35, v35, v37, s8
	v_bfe_u32 v37, v39, 16, 1
	v_bfe_u32 v42, v38, 16, 1
	v_perm_b32 v41, v35, v34, s44
	v_pk_mul_f32 v[34:35], v[52:53], v[48:49] op_sel_hi:[0,1]
	v_add3_u32 v38, v38, v42, s8
	v_add3_u32 v37, v39, v37, s8
	v_perm_b32 v38, v37, v38, s44
	v_bfe_u32 v37, v35, 16, 1
	v_bfe_u32 v39, v34, 16, 1
	v_add3_u32 v34, v34, v39, s8
	v_add3_u32 v35, v35, v37, s8
	v_perm_b32 v39, v35, v34, s44
	v_cmp_gt_u32_e32 vcc, 7, v0
	ds_write2st64_b64 v54, v[40:41], v[38:39] offset0:2 offset1:3
	s_and_saveexec_b64 s[4:5], vcc
	s_cbranch_execz .LBB1274_15
; %bb.14:
	s_mov_b32 s49, 0
	v_mov_b32_e32 v61, 0
	v_lshl_add_u64 v[34:35], s[48:49], 0, v[60:61]
	v_mov_b32_e32 v37, s7
	v_mad_u64_u32 v[34:35], s[10:11], s2, v37, v[34:35]
	s_mul_i32 s3, s3, s7
	v_mov_b32_e32 v38, s24
	v_mov_b32_e32 v39, v61
	s_load_dwordx4 s[12:15], s[0:1], 0x58
	v_add_u32_e32 v37, s3, v35
	v_mad_u64_u32 v[34:35], s[10:11], v34, s6, v[38:39]
	v_mov_b32_e32 v38, v35
	v_mad_u64_u32 v[38:39], s[10:11], v37, s6, v[38:39]
	v_mov_b32_e32 v35, v38
	v_lshlrev_b64 v[34:35], 2, v[34:35]
	s_waitcnt lgkmcnt(0)
	v_lshl_add_u64 v[38:39], s[14:15], 0, v[34:35]
	v_lshl_add_u64 v[34:35], s[12:13], 0, v[34:35]
	global_store_dword v[38:39], v50, off
	global_store_dword v[34:35], v51, off
.LBB1274_15:
	s_or_b64 exec, exec, s[4:5]
	v_lshl_or_b32 v50, v64, 9, v36
	s_waitcnt vmcnt(7)
	v_cvt_pk_f32_fp8_e32 v[34:35], v30
	v_cvt_pk_f32_fp8_sdwa v[36:37], v30 src0_sel:WORD_1
	s_mov_b32 s5, 0x7060302
	s_waitcnt lgkmcnt(0)
	s_barrier
	v_cvt_pk_f32_fp8_e32 v[38:39], v31
	v_perm_b32 v30, v35, v34, s5
	v_cvt_pk_f32_fp8_sdwa v[40:41], v31 src0_sel:WORD_1
	v_perm_b32 v31, v37, v36, s5
	ds_read_b128 v[34:37], v50
	v_perm_b32 v46, v39, v38, s5
	v_perm_b32 v47, v41, v40, s5
	ds_read_b128 v[38:41], v50 offset:16
	v_cvt_pk_f32_fp8_e32 v[48:49], v32
	v_cvt_pk_f32_fp8_sdwa v[52:53], v32 src0_sel:WORD_1
	s_waitcnt lgkmcnt(1)
	v_mfma_f32_16x16x16_bf16 v[42:45], v[30:31], v[34:35], 0
	s_waitcnt vmcnt(6)
	v_cvt_pk_f32_fp8_e32 v[56:57], v24
	v_perm_b32 v30, v49, v48, s5
	v_perm_b32 v31, v53, v52, s5
	v_cvt_pk_f32_fp8_e32 v[48:49], v33
	v_mfma_f32_16x16x16_bf16 v[42:45], v[46:47], v[36:37], v[42:45]
	v_cvt_pk_f32_fp8_sdwa v[46:47], v33 src0_sel:WORD_1
	v_cvt_pk_f32_fp8_sdwa v[62:63], v24 src0_sel:WORD_1
	v_perm_b32 v48, v49, v48, s5
	s_waitcnt lgkmcnt(0)
	v_mfma_f32_16x16x16_bf16 v[30:33], v[30:31], v[38:39], v[42:45]
	v_perm_b32 v49, v47, v46, s5
	s_waitcnt vmcnt(4)
	v_cvt_pk_f32_fp8_sdwa v[70:71], v4 src0_sel:WORD_1
	s_load_dword s4, s[42:43], 0x0
	v_cvt_pk_f32_fp8_e32 v[42:43], v22
	v_mfma_f32_16x16x16_bf16 v[46:49], v[48:49], v[40:41], v[30:33]
	s_waitcnt vmcnt(3)
	v_cvt_pk_f32_fp8_sdwa v[72:73], v28 src0_sel:WORD_1
	s_mov_b32 s3, 0
	v_cvt_pk_f32_fp8_sdwa v[30:31], v22 src0_sel:WORD_1
	v_cvt_pk_f32_fp8_e32 v[32:33], v23
	v_perm_b32 v22, v43, v42, s5
	v_cvt_pk_f32_fp8_sdwa v[42:43], v23 src0_sel:WORD_1
	v_perm_b32 v23, v31, v30, s5
	v_perm_b32 v52, v33, v32, s5
	ds_read_b128 v[30:33], v50 offset:2048
	v_perm_b32 v53, v43, v42, s5
	ds_read_b128 v[42:45], v50 offset:2064
	s_waitcnt lgkmcnt(0)
	v_mfma_f32_16x16x16_bf16 v[46:49], v[22:23], v[30:31], v[46:49]
	v_perm_b32 v22, v57, v56, s5
	v_perm_b32 v23, v63, v62, s5
	v_cvt_pk_f32_fp8_e32 v[56:57], v25
	v_mfma_f32_16x16x16_bf16 v[46:49], v[52:53], v[32:33], v[46:49]
	v_cvt_pk_f32_fp8_sdwa v[52:53], v25 src0_sel:WORD_1
	v_cvt_pk_f32_fp8_sdwa v[62:63], v16 src0_sel:WORD_1
	v_perm_b32 v56, v57, v56, s5
	v_mfma_f32_16x16x16_bf16 v[22:25], v[22:23], v[42:43], v[46:49]
	v_perm_b32 v57, v53, v52, s5
	v_cmp_gt_u32_e32 vcc, 64, v0
	s_nop 0
	v_cvt_pk_f32_fp8_e32 v[46:47], v14
	v_mfma_f32_16x16x16_bf16 v[66:69], v[56:57], v[44:45], v[22:25]
	v_cvt_pk_f32_fp8_e32 v[56:57], v16
	s_nop 1
	v_cvt_pk_f32_fp8_sdwa v[22:23], v14 src0_sel:WORD_1
	v_cvt_pk_f32_fp8_e32 v[24:25], v15
	v_perm_b32 v14, v47, v46, s5
	v_cvt_pk_f32_fp8_sdwa v[46:47], v15 src0_sel:WORD_1
	v_perm_b32 v15, v23, v22, s5
	v_perm_b32 v52, v25, v24, s5
	ds_read_b128 v[22:25], v50 offset:4096
	v_perm_b32 v53, v47, v46, s5
	ds_read_b128 v[46:49], v50 offset:4112
	s_waitcnt lgkmcnt(1)
	v_mfma_f32_16x16x16_bf16 v[66:69], v[14:15], v[22:23], v[66:69]
	v_perm_b32 v14, v57, v56, s5
	v_perm_b32 v15, v63, v62, s5
	v_cvt_pk_f32_fp8_e32 v[56:57], v17
	v_mfma_f32_16x16x16_bf16 v[66:69], v[52:53], v[24:25], v[66:69]
	v_cvt_pk_f32_fp8_sdwa v[52:53], v17 src0_sel:WORD_1
	v_cvt_pk_f32_fp8_e32 v[62:63], v4
	v_perm_b32 v56, v57, v56, s5
	s_waitcnt lgkmcnt(0)
	v_mfma_f32_16x16x16_bf16 v[14:17], v[14:15], v[46:47], v[66:69]
	v_perm_b32 v57, v53, v52, s5
	v_cvt_pk_f32_fp8_e32 v[52:53], v2
	s_nop 0
	v_mfma_f32_16x16x16_bf16 v[66:69], v[56:57], v[48:49], v[14:17]
	s_nop 2
	v_cvt_pk_f32_fp8_sdwa v[14:15], v2 src0_sel:WORD_1
	v_cvt_pk_f32_fp8_e32 v[16:17], v3
	v_perm_b32 v2, v53, v52, s5
	v_cvt_pk_f32_fp8_sdwa v[52:53], v3 src0_sel:WORD_1
	v_perm_b32 v3, v15, v14, s5
	v_perm_b32 v56, v17, v16, s5
	ds_read_b128 v[14:17], v50 offset:6144
	v_perm_b32 v57, v53, v52, s5
	s_waitcnt lgkmcnt(0)
	v_mfma_f32_16x16x16_bf16 v[66:69], v[2:3], v[14:15], v[66:69]
	ds_read_b128 v[50:53], v50 offset:6160
	v_perm_b32 v2, v63, v62, s5
	v_perm_b32 v3, v71, v70, s5
	v_cvt_pk_f32_fp8_e32 v[62:63], v5
	v_mfma_f32_16x16x16_bf16 v[66:69], v[56:57], v[16:17], v[66:69]
	v_cvt_pk_f32_fp8_sdwa v[56:57], v5 src0_sel:WORD_1
	v_cvt_pk_f32_fp8_e32 v[70:71], v28
	v_perm_b32 v62, v63, v62, s5
	s_waitcnt lgkmcnt(0)
	v_mfma_f32_16x16x16_bf16 v[2:5], v[2:3], v[50:51], v[66:69]
	v_perm_b32 v63, v57, v56, s5
	v_cvt_pk_f32_fp8_sdwa v[56:57], v26 src0_sel:WORD_1
	s_nop 0
	v_mfma_f32_16x16x16_bf16 v[66:69], v[62:63], v[52:53], v[2:5]
	s_barrier
	s_nop 1
	v_cvt_pk_f32_fp8_e32 v[4:5], v26
	s_nop 2
	v_pk_mul_f32 v[62:63], v[66:67], s[4:5] op_sel_hi:[1,0]
	v_cvt_pk_f32_fp8_e32 v[66:67], v27
	v_perm_b32 v4, v5, v4, s5
	v_perm_b32 v5, v57, v56, s5
	v_cvt_pk_f32_fp8_sdwa v[26:27], v27 src0_sel:WORD_1
	v_perm_b32 v56, v67, v66, s5
	v_pk_mul_f32 v[2:3], v[68:69], s[4:5] op_sel_hi:[1,0]
	v_mfma_f32_16x16x16_bf16 v[66:69], v[4:5], v[34:35], 0
	v_perm_b32 v57, v27, v26, s5
	v_perm_b32 v4, v71, v70, s5
	;; [unrolled: 1-line block ×3, first 2 shown]
	v_cvt_pk_f32_fp8_e32 v[34:35], v29
	v_cvt_pk_f32_fp8_sdwa v[70:71], v29 src0_sel:WORD_1
	v_mfma_f32_16x16x16_bf16 v[26:29], v[56:57], v[36:37], v[66:69]
	s_waitcnt vmcnt(2)
	v_cvt_pk_f32_fp8_sdwa v[36:37], v18 src0_sel:WORD_1
	v_perm_b32 v34, v35, v34, s5
	v_perm_b32 v35, v71, v70, s5
	v_mfma_f32_16x16x16_bf16 v[26:29], v[4:5], v[38:39], v[26:29]
	v_cvt_pk_f32_fp8_e32 v[4:5], v18
	v_cvt_pk_f32_fp8_sdwa v[38:39], v20 src0_sel:WORD_1
	v_bfe_u32 v55, v63, 16, 1
	v_mfma_f32_16x16x16_bf16 v[26:29], v[34:35], v[40:41], v[26:29]
	v_cvt_pk_f32_fp8_e32 v[34:35], v19
	v_perm_b32 v4, v5, v4, s5
	v_perm_b32 v5, v37, v36, s5
	v_cvt_pk_f32_fp8_sdwa v[18:19], v19 src0_sel:WORD_1
	v_perm_b32 v34, v35, v34, s5
	v_cvt_pk_f32_fp8_e32 v[36:37], v20
	v_mfma_f32_16x16x16_bf16 v[26:29], v[4:5], v[30:31], v[26:29]
	v_perm_b32 v35, v19, v18, s5
	v_perm_b32 v4, v37, v36, s5
	;; [unrolled: 1-line block ×3, first 2 shown]
	v_cvt_pk_f32_fp8_e32 v[30:31], v21
	v_cvt_pk_f32_fp8_sdwa v[36:37], v21 src0_sel:WORD_1
	v_mfma_f32_16x16x16_bf16 v[18:21], v[34:35], v[32:33], v[26:29]
	v_bfe_u32 v56, v62, 16, 1
	v_add3_u32 v32, v62, v56, s8
	v_add3_u32 v33, v63, v55, s8
	v_perm_b32 v26, v31, v30, s5
	v_perm_b32 v27, v37, v36, s5
	v_mfma_f32_16x16x16_bf16 v[18:21], v[4:5], v[42:43], v[18:21]
	s_waitcnt vmcnt(1)
	v_cvt_pk_f32_fp8_e32 v[4:5], v10
	v_cvt_pk_f32_fp8_sdwa v[28:29], v10 src0_sel:WORD_1
	v_cvt_pk_f32_fp8_sdwa v[30:31], v12 src0_sel:WORD_1
	v_mfma_f32_16x16x16_bf16 v[18:21], v[26:27], v[44:45], v[18:21]
	v_cvt_pk_f32_fp8_e32 v[26:27], v11
	v_perm_b32 v4, v5, v4, s5
	v_perm_b32 v5, v29, v28, s5
	v_cvt_pk_f32_fp8_sdwa v[10:11], v11 src0_sel:WORD_1
	v_perm_b32 v26, v27, v26, s5
	v_cvt_pk_f32_fp8_e32 v[28:29], v12
	v_mfma_f32_16x16x16_bf16 v[18:21], v[4:5], v[22:23], v[18:21]
	v_perm_b32 v27, v11, v10, s5
	v_perm_b32 v4, v29, v28, s5
	;; [unrolled: 1-line block ×3, first 2 shown]
	v_cvt_pk_f32_fp8_e32 v[22:23], v13
	v_cvt_pk_f32_fp8_sdwa v[28:29], v13 src0_sel:WORD_1
	v_mfma_f32_16x16x16_bf16 v[10:13], v[26:27], v[24:25], v[18:21]
	s_waitcnt vmcnt(0)
	v_cvt_pk_f32_fp8_sdwa v[24:25], v8 src0_sel:WORD_1
	s_nop 0
	v_perm_b32 v20, v23, v22, s5
	v_perm_b32 v21, v29, v28, s5
	v_mfma_f32_16x16x16_bf16 v[10:13], v[4:5], v[46:47], v[10:13]
	v_cvt_pk_f32_fp8_e32 v[4:5], v6
	v_cvt_pk_f32_fp8_sdwa v[22:23], v6 src0_sel:WORD_1
	v_bfe_u32 v19, v3, 16, 1
	v_mfma_f32_16x16x16_bf16 v[10:13], v[20:21], v[48:49], v[10:13]
	v_cvt_pk_f32_fp8_e32 v[20:21], v7
	v_perm_b32 v4, v5, v4, s5
	v_perm_b32 v5, v23, v22, s5
	v_cvt_pk_f32_fp8_sdwa v[6:7], v7 src0_sel:WORD_1
	v_perm_b32 v20, v21, v20, s5
	v_cvt_pk_f32_fp8_e32 v[22:23], v8
	v_add3_u32 v3, v3, v19, s8
	v_perm_b32 v21, v7, v6, s5
	v_mfma_f32_16x16x16_bf16 v[4:7], v[4:5], v[14:15], v[10:13]
	v_bfe_u32 v14, v2, 16, 1
	v_add3_u32 v2, v2, v14, s8
	v_perm_b32 v19, v3, v2, s5
	v_perm_b32 v10, v23, v22, s5
	;; [unrolled: 1-line block ×3, first 2 shown]
	v_cvt_pk_f32_fp8_e32 v[12:13], v9
	v_cvt_pk_f32_fp8_sdwa v[8:9], v9 src0_sel:WORD_1
	v_mfma_f32_16x16x16_bf16 v[4:7], v[20:21], v[16:17], v[4:7]
	v_perm_b32 v18, v33, v32, s5
	v_perm_b32 v12, v13, v12, s5
	;; [unrolled: 1-line block ×3, first 2 shown]
	v_mfma_f32_16x16x16_bf16 v[4:7], v[10:11], v[50:51], v[4:7]
	s_nop 0
	v_mfma_f32_16x16x16_bf16 v[2:5], v[12:13], v[52:53], v[4:7]
	s_nop 6
	v_pk_mul_f32 v[2:3], v[2:3], s[4:5] op_sel_hi:[1,0]
	v_pk_mul_f32 v[4:5], v[4:5], s[4:5] op_sel_hi:[1,0]
	v_bfe_u32 v6, v3, 16, 1
	v_bfe_u32 v7, v2, 16, 1
	v_add3_u32 v2, v2, v7, s8
	v_add3_u32 v3, v3, v6, s8
	v_perm_b32 v2, v3, v2, s5
	v_bfe_u32 v3, v5, 16, 1
	v_bfe_u32 v6, v4, 16, 1
	v_add3_u32 v4, v4, v6, s8
	v_add3_u32 v3, v5, v3, s8
	v_perm_b32 v3, v3, v4, s5
	ds_write2st64_b64 v54, v[18:19], v[2:3] offset1:1
	s_waitcnt lgkmcnt(0)
	s_barrier
	s_and_saveexec_b64 s[4:5], vcc
	s_cbranch_execz .LBB1274_18
; %bb.16:
	s_load_dwordx2 s[4:5], s[0:1], 0x68
	s_lshl_b32 s0, s6, 7
	s_mul_i32 s1, s7, s2
	v_lshlrev_b32_e32 v3, 6, v60
	s_mul_hi_u32 s7, s1, s0
	s_mul_i32 s6, s1, s0
	v_lshl_or_b32 v0, v0, 10, v3
	s_lshl_b64 s[6:7], s[6:7], 1
	v_lshlrev_b32_e32 v2, 5, v64
	v_and_b32_e32 v1, 16, v1
	v_and_b32_e32 v0, 0x1a00, v0
	s_waitcnt lgkmcnt(0)
	s_add_u32 s1, s4, s6
	v_or3_b32 v2, v0, v2, v1
	s_addc_u32 s4, s5, s7
	s_lshl_b32 s2, s24, 7
	s_lshl_b64 s[2:3], s[2:3], 1
	ds_read_b128 v[4:7], v2
	s_add_u32 s2, s1, s2
	s_addc_u32 s3, s4, s3
	v_mov_b32_e32 v59, 0
	v_add_u32_e32 v3, s48, v64
	v_lshl_add_u64 v[0:1], s[2:3], 0, v[58:59]
	v_mad_u64_u32 v[8:9], s[2:3], v3, s0, 0
	v_lshl_add_u64 v[8:9], v[8:9], 1, v[0:1]
	v_cmp_ne_u32_e32 vcc, 3, v64
	s_waitcnt lgkmcnt(0)
	global_store_dwordx4 v[8:9], v[4:7], off
	s_and_b64 exec, exec, vcc
	s_cbranch_execz .LBB1274_18
; %bb.17:
	ds_read_b128 v[2:5], v2 offset:128
	v_add3_u32 v6, s48, v64, 4
	v_mad_u64_u32 v[6:7], s[0:1], v6, s0, 0
	v_lshl_add_u64 v[0:1], v[6:7], 1, v[0:1]
	s_waitcnt lgkmcnt(0)
	global_store_dwordx4 v[0:1], v[2:5], off
.LBB1274_18:
	s_endpgm
	.section	.rodata,"a",@progbits
	.p2align	6, 0x0
	.amdhsa_kernel _Z39paged_attention_ll4mi_QKV_mfma16_kernelI14__hip_bfloat16hLN4vllm18Fp8KVCacheDataTypeE1EhLi16ELi128ELi256ELb0ELi7EEvPKT_PKT0_S8_ifPKiSA_SA_iPKfiiiPfSD_PS3_PT2_iSC_SC_
		.amdhsa_group_segment_fixed_size 8192
		.amdhsa_private_segment_fixed_size 0
		.amdhsa_kernarg_size 400
		.amdhsa_user_sgpr_count 2
		.amdhsa_user_sgpr_dispatch_ptr 0
		.amdhsa_user_sgpr_queue_ptr 0
		.amdhsa_user_sgpr_kernarg_segment_ptr 1
		.amdhsa_user_sgpr_dispatch_id 0
		.amdhsa_user_sgpr_kernarg_preload_length 0
		.amdhsa_user_sgpr_kernarg_preload_offset 0
		.amdhsa_user_sgpr_private_segment_size 0
		.amdhsa_uses_dynamic_stack 0
		.amdhsa_enable_private_segment 0
		.amdhsa_system_sgpr_workgroup_id_x 1
		.amdhsa_system_sgpr_workgroup_id_y 1
		.amdhsa_system_sgpr_workgroup_id_z 1
		.amdhsa_system_sgpr_workgroup_info 0
		.amdhsa_system_vgpr_workitem_id 0
		.amdhsa_next_free_vgpr 86
		.amdhsa_next_free_sgpr 50
		.amdhsa_accum_offset 88
		.amdhsa_reserve_vcc 1
		.amdhsa_float_round_mode_32 0
		.amdhsa_float_round_mode_16_64 0
		.amdhsa_float_denorm_mode_32 3
		.amdhsa_float_denorm_mode_16_64 3
		.amdhsa_dx10_clamp 1
		.amdhsa_ieee_mode 1
		.amdhsa_fp16_overflow 0
		.amdhsa_tg_split 0
		.amdhsa_exception_fp_ieee_invalid_op 0
		.amdhsa_exception_fp_denorm_src 0
		.amdhsa_exception_fp_ieee_div_zero 0
		.amdhsa_exception_fp_ieee_overflow 0
		.amdhsa_exception_fp_ieee_underflow 0
		.amdhsa_exception_fp_ieee_inexact 0
		.amdhsa_exception_int_div_zero 0
	.end_amdhsa_kernel
	.section	.text._Z39paged_attention_ll4mi_QKV_mfma16_kernelI14__hip_bfloat16hLN4vllm18Fp8KVCacheDataTypeE1EhLi16ELi128ELi256ELb0ELi7EEvPKT_PKT0_S8_ifPKiSA_SA_iPKfiiiPfSD_PS3_PT2_iSC_SC_,"axG",@progbits,_Z39paged_attention_ll4mi_QKV_mfma16_kernelI14__hip_bfloat16hLN4vllm18Fp8KVCacheDataTypeE1EhLi16ELi128ELi256ELb0ELi7EEvPKT_PKT0_S8_ifPKiSA_SA_iPKfiiiPfSD_PS3_PT2_iSC_SC_,comdat
.Lfunc_end1274:
	.size	_Z39paged_attention_ll4mi_QKV_mfma16_kernelI14__hip_bfloat16hLN4vllm18Fp8KVCacheDataTypeE1EhLi16ELi128ELi256ELb0ELi7EEvPKT_PKT0_S8_ifPKiSA_SA_iPKfiiiPfSD_PS3_PT2_iSC_SC_, .Lfunc_end1274-_Z39paged_attention_ll4mi_QKV_mfma16_kernelI14__hip_bfloat16hLN4vllm18Fp8KVCacheDataTypeE1EhLi16ELi128ELi256ELb0ELi7EEvPKT_PKT0_S8_ifPKiSA_SA_iPKfiiiPfSD_PS3_PT2_iSC_SC_
                                        ; -- End function
	.section	.AMDGPU.csdata,"",@progbits
; Kernel info:
; codeLenInByte = 6320
; NumSgprs: 56
; NumVgprs: 86
; NumAgprs: 0
; TotalNumVgprs: 86
; ScratchSize: 0
; MemoryBound: 0
; FloatMode: 240
; IeeeMode: 1
; LDSByteSize: 8192 bytes/workgroup (compile time only)
; SGPRBlocks: 6
; VGPRBlocks: 10
; NumSGPRsForWavesPerEU: 56
; NumVGPRsForWavesPerEU: 86
; AccumOffset: 88
; Occupancy: 5
; WaveLimiterHint : 1
; COMPUTE_PGM_RSRC2:SCRATCH_EN: 0
; COMPUTE_PGM_RSRC2:USER_SGPR: 2
; COMPUTE_PGM_RSRC2:TRAP_HANDLER: 0
; COMPUTE_PGM_RSRC2:TGID_X_EN: 1
; COMPUTE_PGM_RSRC2:TGID_Y_EN: 1
; COMPUTE_PGM_RSRC2:TGID_Z_EN: 1
; COMPUTE_PGM_RSRC2:TIDIG_COMP_CNT: 0
; COMPUTE_PGM_RSRC3_GFX90A:ACCUM_OFFSET: 21
; COMPUTE_PGM_RSRC3_GFX90A:TG_SPLIT: 0
	.section	.text._Z39paged_attention_ll4mi_QKV_mfma16_kernelI14__hip_bfloat16hLN4vllm18Fp8KVCacheDataTypeE1EhLi16ELi128ELi256ELb0ELi8EEvPKT_PKT0_S8_ifPKiSA_SA_iPKfiiiPfSD_PS3_PT2_iSC_SC_,"axG",@progbits,_Z39paged_attention_ll4mi_QKV_mfma16_kernelI14__hip_bfloat16hLN4vllm18Fp8KVCacheDataTypeE1EhLi16ELi128ELi256ELb0ELi8EEvPKT_PKT0_S8_ifPKiSA_SA_iPKfiiiPfSD_PS3_PT2_iSC_SC_,comdat
	.protected	_Z39paged_attention_ll4mi_QKV_mfma16_kernelI14__hip_bfloat16hLN4vllm18Fp8KVCacheDataTypeE1EhLi16ELi128ELi256ELb0ELi8EEvPKT_PKT0_S8_ifPKiSA_SA_iPKfiiiPfSD_PS3_PT2_iSC_SC_ ; -- Begin function _Z39paged_attention_ll4mi_QKV_mfma16_kernelI14__hip_bfloat16hLN4vllm18Fp8KVCacheDataTypeE1EhLi16ELi128ELi256ELb0ELi8EEvPKT_PKT0_S8_ifPKiSA_SA_iPKfiiiPfSD_PS3_PT2_iSC_SC_
	.globl	_Z39paged_attention_ll4mi_QKV_mfma16_kernelI14__hip_bfloat16hLN4vllm18Fp8KVCacheDataTypeE1EhLi16ELi128ELi256ELb0ELi8EEvPKT_PKT0_S8_ifPKiSA_SA_iPKfiiiPfSD_PS3_PT2_iSC_SC_
	.p2align	8
	.type	_Z39paged_attention_ll4mi_QKV_mfma16_kernelI14__hip_bfloat16hLN4vllm18Fp8KVCacheDataTypeE1EhLi16ELi128ELi256ELb0ELi8EEvPKT_PKT0_S8_ifPKiSA_SA_iPKfiiiPfSD_PS3_PT2_iSC_SC_,@function
_Z39paged_attention_ll4mi_QKV_mfma16_kernelI14__hip_bfloat16hLN4vllm18Fp8KVCacheDataTypeE1EhLi16ELi128ELi256ELb0ELi8EEvPKT_PKT0_S8_ifPKiSA_SA_iPKfiiiPfSD_PS3_PT2_iSC_SC_: ; @_Z39paged_attention_ll4mi_QKV_mfma16_kernelI14__hip_bfloat16hLN4vllm18Fp8KVCacheDataTypeE1EhLi16ELi128ELi256ELb0ELi8EEvPKT_PKT0_S8_ifPKiSA_SA_iPKfiiiPfSD_PS3_PT2_iSC_SC_
; %bb.0:
	s_load_dwordx2 s[12:13], s[0:1], 0x30
	s_mov_b32 s22, s3
	s_mov_b64 s[6:7], 0
	s_waitcnt lgkmcnt(0)
	s_cmp_lg_u64 s[12:13], 0
	s_cselect_b64 s[14:15], -1, 0
	s_and_b64 vcc, exec, s[14:15]
	s_cbranch_vccz .LBB1275_7
; %bb.1:
	s_add_i32 s8, s2, 1
	s_mov_b32 s9, 0
	s_lshl_b64 s[10:11], s[8:9], 2
	s_add_u32 s10, s12, s10
	s_mov_b32 s3, s9
	s_addc_u32 s11, s13, s11
	s_lshl_b64 s[8:9], s[2:3], 2
	s_add_u32 s8, s12, s8
	s_addc_u32 s9, s13, s9
	s_load_dword s5, s[10:11], 0x0
	s_load_dword s16, s[8:9], 0x0
	s_waitcnt lgkmcnt(0)
	s_sub_i32 s5, s5, s16
	s_cmp_eq_u32 s5, 1
	s_cselect_b64 s[8:9], -1, 0
	s_andn2_b64 vcc, exec, s[6:7]
	s_cbranch_vccnz .LBB1275_3
.LBB1275_2:
	s_mov_b32 s3, 0
	s_mov_b64 s[8:9], -1
.LBB1275_3:
	s_andn2_b64 vcc, exec, s[8:9]
	s_cbranch_vccnz .LBB1275_17
; %bb.4:
	s_load_dwordx2 s[6:7], s[0:1], 0x28
	s_lshl_b64 s[16:17], s[2:3], 2
	s_waitcnt lgkmcnt(0)
	s_add_u32 s6, s6, s16
	s_addc_u32 s7, s7, s17
	s_load_dword s38, s[6:7], 0x0
	s_lshl_b32 s18, s22, 8
	s_waitcnt lgkmcnt(0)
	s_cmp_ge_i32 s18, s38
	s_cbranch_scc1 .LBB1275_17
; %bb.5:
	s_load_dwordx2 s[6:7], s[0:1], 0x20
	s_load_dword s8, s[0:1], 0x38
	s_add_i32 s5, s38, 15
	s_ashr_i32 s9, s5, 31
	v_and_b32_e32 v1, 0xcf, v0
	s_lshr_b32 s9, s9, 28
	v_add_u32_e32 v1, s18, v1
	s_add_i32 s5, s5, s9
	v_ashrrev_i32_e32 v2, 31, v1
	s_ashr_i32 s5, s5, 4
	v_lshrrev_b32_e32 v10, 28, v2
	s_add_i32 s5, s5, -1
	s_waitcnt lgkmcnt(0)
	s_mul_i32 s8, s2, s8
	s_mov_b32 s9, 0
	v_add_u32_e32 v2, v1, v10
	s_lshl_b64 s[8:9], s[8:9], 2
	v_ashrrev_i32_e32 v2, 4, v2
	v_mov_b32_e32 v11, s5
	v_cmp_gt_i32_e32 vcc, s38, v1
	s_add_u32 s6, s6, s8
	s_addc_u32 s7, s7, s9
	v_cndmask_b32_e32 v2, v11, v2, vcc
	v_ashrrev_i32_e32 v3, 31, v2
	v_lshl_add_u64 v[4:5], v[2:3], 2, s[6:7]
	v_or_b32_e32 v2, 16, v1
	v_add_u32_e32 v3, v2, v10
	v_ashrrev_i32_e32 v3, 4, v3
	v_cmp_gt_i32_e32 vcc, s38, v2
	s_load_dwordx4 s[8:11], s[0:1], 0x8
	s_nop 0
	v_cndmask_b32_e32 v2, v11, v3, vcc
	v_ashrrev_i32_e32 v3, 31, v2
	v_lshl_add_u64 v[6:7], v[2:3], 2, s[6:7]
	v_or_b32_e32 v2, 32, v1
	v_add_u32_e32 v3, v2, v10
	v_ashrrev_i32_e32 v3, 4, v3
	v_cmp_gt_i32_e32 vcc, s38, v2
	v_or_b32_e32 v1, 48, v1
	s_nop 0
	v_cndmask_b32_e32 v2, v11, v3, vcc
	v_ashrrev_i32_e32 v3, 31, v2
	v_lshl_add_u64 v[8:9], v[2:3], 2, s[6:7]
	v_add_u32_e32 v2, v1, v10
	v_ashrrev_i32_e32 v2, 4, v2
	v_cmp_gt_i32_e32 vcc, s38, v1
	s_nop 1
	v_cndmask_b32_e32 v2, v11, v2, vcc
	v_ashrrev_i32_e32 v3, 31, v2
	v_lshl_add_u64 v[10:11], v[2:3], 2, s[6:7]
	global_load_dword v3, v[4:5], off
	global_load_dword v2, v[6:7], off
	;; [unrolled: 1-line block ×4, first 2 shown]
	s_andn2_b64 vcc, exec, s[14:15]
	s_cbranch_vccnz .LBB1275_8
; %bb.6:
	s_add_u32 s12, s12, s16
	s_addc_u32 s13, s13, s17
	s_load_dword s14, s[12:13], 0x0
	s_branch .LBB1275_9
.LBB1275_7:
	s_mov_b64 s[8:9], 0
	s_branch .LBB1275_2
.LBB1275_8:
	s_mov_b32 s14, s2
.LBB1275_9:
	s_load_dwordx4 s[44:47], s[0:1], 0x48
	v_and_b32_e32 v62, 15, v0
	v_lshlrev_b32_e32 v4, 3, v62
	s_movk_i32 s12, 0x80
	v_lshrrev_b32_e32 v64, 6, v0
	v_and_b32_e32 v65, 63, v0
	v_bfe_u32 v1, v0, 4, 2
	s_lshl_b32 s23, s4, 3
	v_cmp_gt_u32_e32 vcc, s12, v0
	v_lshlrev_b32_e32 v54, 1, v4
	v_lshlrev_b32_e32 v63, 4, v0
	s_and_saveexec_b64 s[12:13], vcc
	s_cbranch_execz .LBB1275_11
; %bb.10:
	s_load_dwordx2 s[16:17], s[0:1], 0x0
	s_waitcnt lgkmcnt(0)
	s_ashr_i32 s15, s44, 31
	s_mul_hi_u32 s19, s14, s44
	s_mul_i32 s15, s14, s15
	s_add_i32 s15, s19, s15
	s_mul_i32 s14, s14, s44
	v_lshl_or_b32 v8, v64, 2, v1
	s_lshl_b64 s[14:15], s[14:15], 1
	s_add_u32 s14, s16, s14
	v_add_lshl_u32 v4, v8, s23, 7
	s_addc_u32 s15, s17, s15
	v_ashrrev_i32_e32 v5, 31, v4
	v_lshl_add_u64 v[4:5], v[4:5], 1, s[14:15]
	v_mov_b32_e32 v55, 0
	v_lshl_add_u64 v[4:5], v[4:5], 0, v[54:55]
	global_load_dwordx4 v[4:7], v[4:5], off
	v_lshlrev_b32_e32 v10, 8, v0
	v_lshlrev_b32_e32 v9, 8, v62
	v_and_b32_e32 v10, 0x600, v10
	s_movk_i32 s14, 0x800
	v_and_or_b32 v9, v9, s14, v10
	v_lshlrev_b32_e32 v8, 5, v8
	v_and_b32_e32 v10, 16, v63
	v_or3_b32 v8, v9, v8, v10
	s_waitcnt vmcnt(0)
	ds_write_b128 v8, v[4:7]
.LBB1275_11:
	s_or_b64 exec, exec, s[12:13]
	s_waitcnt lgkmcnt(0)
	s_mul_i32 s4, s4, s46
	s_add_u32 s8, s8, s4
	s_addc_u32 s9, s9, 0
	v_and_b32_e32 v56, 0xf0, v63
	v_mov_b32_e32 v57, 0
	v_and_b32_e32 v6, 48, v0
	v_lshl_add_u64 v[30:31], s[8:9], 0, v[56:57]
	v_lshlrev_b32_e32 v56, 4, v6
	s_waitcnt vmcnt(3)
	v_mad_i64_i32 v[4:5], s[8:9], v3, s45, v[30:31]
	v_lshl_add_u64 v[4:5], v[4:5], 0, v[56:57]
	s_load_dword s33, s[0:1], 0x98
	s_load_dwordx4 s[40:43], s[0:1], 0x80
	s_waitcnt lgkmcnt(0)
	s_barrier
	global_load_dwordx4 v[22:25], v[4:5], off
	global_load_dwordx4 v[10:13], v[4:5], off offset:1024
	s_waitcnt vmcnt(4)
	v_mad_i64_i32 v[2:3], s[8:9], v2, s45, v[30:31]
	v_lshl_add_u64 v[32:33], v[2:3], 0, v[56:57]
	global_load_dwordx4 v[2:5], v[32:33], off
	v_or_b32_e32 v36, s18, v6
	v_and_b32_e32 v7, 7, v0
	v_mov_b32_e32 v41, s5
	v_ashrrev_i32_e32 v37, 4, v36
	v_or_b32_e32 v40, 64, v36
	v_cmp_gt_i32_e32 vcc, s38, v36
	v_lshlrev_b32_e32 v7, 5, v7
	v_or_b32_e32 v42, 0x80, v36
	v_or_b32_e32 v47, 0xc0, v36
	v_cndmask_b32_e32 v36, v41, v37, vcc
	v_ashrrev_i32_e32 v43, 4, v40
	v_cmp_gt_i32_e32 vcc, s38, v40
	v_lshl_or_b32 v6, v1, 9, v7
	v_ashrrev_i32_e32 v44, 4, v42
	v_cndmask_b32_e32 v40, v41, v43, vcc
	v_cmp_gt_i32_e32 vcc, s38, v42
	ds_read_b128 v[26:29], v6
	ds_read_b128 v[18:21], v6 offset:16
	ds_read_b128 v[14:17], v6 offset:2048
	;; [unrolled: 1-line block ×3, first 2 shown]
	v_cndmask_b32_e32 v46, v41, v44, vcc
	global_load_dwordx4 v[42:45], v[32:33], off offset:1024
	v_ashrrev_i32_e32 v48, 4, v47
	v_cmp_gt_i32_e32 vcc, s38, v47
	s_waitcnt vmcnt(5)
	v_mad_i64_i32 v[38:39], s[12:13], v34, s45, v[30:31]
	s_waitcnt vmcnt(4)
	v_mad_i64_i32 v[30:31], s[12:13], v35, s45, v[30:31]
	v_cndmask_b32_e32 v32, v41, v48, vcc
	v_ashrrev_i32_e32 v47, 31, v46
	v_ashrrev_i32_e32 v37, 31, v36
	v_lshl_add_u64 v[38:39], v[38:39], 0, v[56:57]
	v_lshl_add_u64 v[34:35], v[30:31], 0, v[56:57]
	v_ashrrev_i32_e32 v41, 31, v40
	v_ashrrev_i32_e32 v33, 31, v32
	v_lshl_add_u64 v[58:59], v[46:47], 2, s[6:7]
	v_lshl_add_u64 v[50:51], v[36:37], 2, s[6:7]
	;; [unrolled: 1-line block ×4, first 2 shown]
	global_load_dwordx4 v[30:33], v[38:39], off
	global_load_dwordx4 v[46:49], v[38:39], off offset:1024
	s_nop 0
	global_load_dwordx4 v[38:41], v[34:35], off
	s_nop 0
	global_load_dwordx4 v[34:37], v[34:35], off offset:1024
	s_nop 0
	global_load_dword v67, v[50:51], off
	global_load_dword v66, v[52:53], off
	s_nop 0
	global_load_dword v58, v[58:59], off
	s_nop 0
	global_load_dword v59, v[60:61], off
	s_mov_b32 s44, 0x7060302
	s_add_u32 s4, s10, s4
	v_lshl_or_b32 v55, v64, 4, v62
	s_addc_u32 s5, s11, 0
	v_lshlrev_b32_e32 v56, 4, v55
	s_load_dword s8, s[0:1], 0x1c
	s_waitcnt vmcnt(11)
	v_cvt_pk_f32_fp8_e32 v[50:51], v22
	v_cvt_pk_f32_fp8_sdwa v[52:53], v22 src0_sel:WORD_1
	v_cvt_pk_f32_fp8_e32 v[60:61], v23
	v_cvt_pk_f32_fp8_sdwa v[68:69], v23 src0_sel:WORD_1
	;; [unrolled: 2-line block ×4, first 2 shown]
	s_waitcnt vmcnt(9)
	v_cvt_pk_f32_fp8_e32 v[22:23], v2
	v_cvt_pk_f32_fp8_sdwa v[24:25], v2 src0_sel:WORD_1
	v_perm_b32 v50, v51, v50, s44
	v_perm_b32 v51, v53, v52, s44
	v_cvt_pk_f32_fp8_e32 v[80:81], v10
	v_cvt_pk_f32_fp8_sdwa v[82:83], v10 src0_sel:WORD_1
	v_cvt_pk_f32_fp8_e32 v[84:85], v11
	v_cvt_pk_f32_fp8_sdwa v[52:53], v11 src0_sel:WORD_1
	v_perm_b32 v10, v23, v22, s44
	v_perm_b32 v11, v25, v24, s44
	;; [unrolled: 1-line block ×4, first 2 shown]
	s_waitcnt lgkmcnt(0)
	v_mfma_f32_16x16x16_bf16 v[22:25], v[50:51], v[26:27], 0
	v_cvt_pk_f32_fp8_e32 v[86:87], v12
	v_cvt_pk_f32_fp8_sdwa v[50:51], v12 src0_sel:WORD_1
	v_cvt_pk_f32_fp8_e32 v[88:89], v13
	v_mfma_f32_16x16x16_bf16 v[68:71], v[10:11], v[26:27], 0
	v_perm_b32 v10, v73, v72, s44
	v_perm_b32 v11, v75, v74, s44
	v_perm_b32 v72, v77, v76, s44
	v_mfma_f32_16x16x16_bf16 v[22:25], v[60:61], v[28:29], v[22:25]
	v_perm_b32 v73, v79, v78, s44
	v_cvt_pk_f32_fp8_sdwa v[60:61], v13 src0_sel:WORD_1
	s_waitcnt vmcnt(6)
	v_cvt_pk_f32_fp8_sdwa v[76:77], v48 src0_sel:WORD_1
	v_mfma_f32_16x16x16_bf16 v[10:13], v[10:11], v[18:19], v[22:25]
	s_nop 2
	v_perm_b32 v24, v81, v80, s44
	v_perm_b32 v25, v83, v82, s44
	v_mfma_f32_16x16x16_bf16 v[10:13], v[72:73], v[20:21], v[10:13]
	v_perm_b32 v72, v85, v84, s44
	v_perm_b32 v73, v53, v52, s44
	;; [unrolled: 1-line block ×3, first 2 shown]
	v_mfma_f32_16x16x16_bf16 v[10:13], v[24:25], v[14:15], v[10:13]
	v_perm_b32 v53, v51, v50, s44
	v_cvt_pk_f32_fp8_e32 v[22:23], v3
	v_cvt_pk_f32_fp8_sdwa v[2:3], v3 src0_sel:WORD_1
	v_mfma_f32_16x16x16_bf16 v[10:13], v[72:73], v[16:17], v[10:13]
	v_perm_b32 v50, v89, v88, s44
	v_perm_b32 v51, v61, v60, s44
	v_cvt_pk_f32_fp8_e32 v[24:25], v4
	v_cvt_pk_f32_fp8_sdwa v[72:73], v4 src0_sel:WORD_1
	v_mfma_f32_16x16x16_bf16 v[10:13], v[52:53], v[6:7], v[10:13]
	v_perm_b32 v22, v23, v22, s44
	v_perm_b32 v23, v3, v2, s44
	;; [unrolled: 1-line block ×3, first 2 shown]
	v_mfma_f32_16x16x16_bf16 v[50:53], v[50:51], v[8:9], v[10:13]
	v_perm_b32 v25, v73, v72, s44
	v_cvt_pk_f32_fp8_sdwa v[72:73], v33 src0_sel:WORD_1
	v_lshl_add_u64 v[60:61], s[4:5], 0, v[56:57]
	v_cvt_pk_f32_fp8_e32 v[10:11], v5
	v_cvt_pk_f32_fp8_sdwa v[12:13], v5 src0_sel:WORD_1
	v_mfma_f32_16x16x16_bf16 v[2:5], v[22:23], v[28:29], v[68:71]
	v_cvt_pk_f32_fp8_sdwa v[22:23], v42 src0_sel:WORD_1
	v_perm_b32 v10, v11, v10, s44
	v_perm_b32 v11, v13, v12, s44
	v_mfma_f32_16x16x16_bf16 v[2:5], v[24:25], v[18:19], v[2:5]
	v_cvt_pk_f32_fp8_e32 v[12:13], v42
	v_cvt_pk_f32_fp8_e32 v[24:25], v44
	;; [unrolled: 1-line block ×3, first 2 shown]
	v_mfma_f32_16x16x16_bf16 v[2:5], v[10:11], v[20:21], v[2:5]
	v_cvt_pk_f32_fp8_e32 v[10:11], v43
	v_perm_b32 v12, v13, v12, s44
	v_perm_b32 v13, v23, v22, s44
	v_cvt_pk_f32_fp8_sdwa v[22:23], v43 src0_sel:WORD_1
	v_perm_b32 v10, v11, v10, s44
	v_cvt_pk_f32_fp8_sdwa v[42:43], v44 src0_sel:WORD_1
	v_mfma_f32_16x16x16_bf16 v[2:5], v[12:13], v[14:15], v[2:5]
	v_perm_b32 v11, v23, v22, s44
	v_perm_b32 v12, v25, v24, s44
	;; [unrolled: 1-line block ×3, first 2 shown]
	v_cvt_pk_f32_fp8_e32 v[22:23], v45
	v_cvt_pk_f32_fp8_sdwa v[24:25], v45 src0_sel:WORD_1
	v_mfma_f32_16x16x16_bf16 v[2:5], v[10:11], v[16:17], v[2:5]
	s_waitcnt vmcnt(2)
	v_mad_i64_i32 v[68:69], s[6:7], v66, s45, v[60:61]
	v_perm_b32 v10, v23, v22, s44
	v_perm_b32 v11, v25, v24, s44
	v_mfma_f32_16x16x16_bf16 v[2:5], v[12:13], v[6:7], v[2:5]
	v_cvt_pk_f32_fp8_e32 v[12:13], v30
	v_cvt_pk_f32_fp8_sdwa v[22:23], v30 src0_sel:WORD_1
	v_cvt_pk_f32_fp8_sdwa v[24:25], v32 src0_sel:WORD_1
	v_mfma_f32_16x16x16_bf16 v[42:45], v[10:11], v[8:9], v[2:5]
	v_cvt_pk_f32_fp8_sdwa v[10:11], v31 src0_sel:WORD_1
	v_or_b32_e32 v56, 0x400, v56
	s_nop 0
	v_perm_b32 v2, v13, v12, s44
	v_perm_b32 v3, v23, v22, s44
	v_cvt_pk_f32_fp8_e32 v[4:5], v31
	v_perm_b32 v23, v11, v10, s44
	v_cvt_pk_f32_fp8_e32 v[10:11], v32
	v_mad_i64_i32 v[12:13], s[6:7], v67, s45, v[60:61]
	v_perm_b32 v22, v5, v4, s44
	v_mfma_f32_16x16x16_bf16 v[2:5], v[2:3], v[26:27], 0
	v_perm_b32 v10, v11, v10, s44
	v_perm_b32 v11, v25, v24, s44
	v_mfma_f32_16x16x16_bf16 v[2:5], v[22:23], v[28:29], v[2:5]
	global_load_dwordx4 v[30:33], v[12:13], off
	global_load_dwordx4 v[22:25], v[68:69], off
	v_perm_b32 v12, v71, v70, s44
	v_perm_b32 v13, v73, v72, s44
	v_mfma_f32_16x16x16_bf16 v[2:5], v[10:11], v[18:19], v[2:5]
	v_cvt_pk_f32_fp8_e32 v[10:11], v46
	v_cvt_pk_f32_fp8_sdwa v[68:69], v46 src0_sel:WORD_1
	s_waitcnt vmcnt(3)
	v_mad_i64_i32 v[72:73], s[6:7], v58, s45, v[60:61]
	v_mfma_f32_16x16x16_bf16 v[2:5], v[12:13], v[20:21], v[2:5]
	v_perm_b32 v10, v11, v10, s44
	v_perm_b32 v11, v69, v68, s44
	v_cvt_pk_f32_fp8_e32 v[12:13], v47
	v_cvt_pk_f32_fp8_sdwa v[46:47], v47 src0_sel:WORD_1
	v_mfma_f32_16x16x16_bf16 v[68:71], v[10:11], v[14:15], v[2:5]
	v_perm_b32 v74, v13, v12, s44
	v_perm_b32 v75, v47, v46, s44
	v_cvt_pk_f32_fp8_e32 v[46:47], v48
	s_waitcnt vmcnt(2)
	v_mad_i64_i32 v[60:61], s[6:7], v59, s45, v[60:61]
	global_load_dwordx4 v[10:13], v[72:73], off
	global_load_dwordx4 v[2:5], v[60:61], off
	v_perm_b32 v60, v47, v46, s44
	v_perm_b32 v61, v77, v76, s44
	v_cvt_pk_f32_fp8_e32 v[72:73], v49
	v_cvt_pk_f32_fp8_sdwa v[48:49], v49 src0_sel:WORD_1
	v_mfma_f32_16x16x16_bf16 v[68:71], v[74:75], v[16:17], v[68:71]
	v_lshl_add_u64 v[46:47], s[4:5], 0, v[56:57]
	v_perm_b32 v56, v73, v72, s44
	v_perm_b32 v57, v49, v48, s44
	v_mfma_f32_16x16x16_bf16 v[68:71], v[60:61], v[6:7], v[68:71]
	v_cvt_pk_f32_fp8_e32 v[48:49], v38
	v_cvt_pk_f32_fp8_sdwa v[60:61], v38 src0_sel:WORD_1
	v_cvt_pk_f32_fp8_sdwa v[76:77], v40 src0_sel:WORD_1
	v_mfma_f32_16x16x16_bf16 v[68:71], v[56:57], v[8:9], v[68:71]
	v_cvt_pk_f32_fp8_e32 v[56:57], v39
	v_perm_b32 v48, v49, v48, s44
	v_perm_b32 v49, v61, v60, s44
	v_cvt_pk_f32_fp8_sdwa v[38:39], v39 src0_sel:WORD_1
	v_perm_b32 v56, v57, v56, s44
	v_cvt_pk_f32_fp8_e32 v[60:61], v40
	v_mfma_f32_16x16x16_bf16 v[72:75], v[48:49], v[26:27], 0
	v_perm_b32 v57, v39, v38, s44
	v_perm_b32 v38, v61, v60, s44
	;; [unrolled: 1-line block ×3, first 2 shown]
	v_cvt_pk_f32_fp8_e32 v[48:49], v41
	v_cvt_pk_f32_fp8_sdwa v[40:41], v41 src0_sel:WORD_1
	v_mfma_f32_16x16x16_bf16 v[26:29], v[56:57], v[28:29], v[72:75]
	s_load_dword s4, s[40:41], 0x0
	v_perm_b32 v48, v49, v48, s44
	v_perm_b32 v49, v41, v40, s44
	v_mfma_f32_16x16x16_bf16 v[26:29], v[38:39], v[18:19], v[26:29]
	v_cvt_pk_f32_fp8_e32 v[40:41], v35
	v_mov_b32_e32 v56, s8
	s_waitcnt lgkmcnt(0)
	v_mul_f32_e32 v56, s4, v56
	v_mfma_f32_16x16x16_bf16 v[18:21], v[48:49], v[20:21], v[26:29]
	v_pk_mul_f32 v[38:39], v[56:57], v[52:53] op_sel_hi:[0,1]
	v_pk_mul_f32 v[52:53], v[56:57], v[42:43] op_sel_hi:[0,1]
	;; [unrolled: 1-line block ×3, first 2 shown]
	v_cvt_pk_f32_fp8_e32 v[26:27], v34
	v_cvt_pk_f32_fp8_sdwa v[28:29], v34 src0_sel:WORD_1
	v_cvt_pk_f32_fp8_sdwa v[34:35], v35 src0_sel:WORD_1
	s_mov_b32 s40, 0xff7fffff
	v_perm_b32 v26, v27, v26, s44
	v_perm_b32 v27, v29, v28, s44
	;; [unrolled: 1-line block ×4, first 2 shown]
	v_cvt_pk_f32_fp8_e32 v[34:35], v36
	v_cvt_pk_f32_fp8_sdwa v[40:41], v36 src0_sel:WORD_1
	v_mfma_f32_16x16x16_bf16 v[18:21], v[26:27], v[14:15], v[18:21]
	v_pk_mul_f32 v[48:49], v[56:57], v[44:45] op_sel_hi:[0,1]
	v_perm_b32 v26, v35, v34, s44
	v_perm_b32 v27, v41, v40, s44
	v_cvt_pk_f32_fp8_e32 v[34:35], v37
	v_cvt_pk_f32_fp8_sdwa v[36:37], v37 src0_sel:WORD_1
	v_mfma_f32_16x16x16_bf16 v[14:17], v[28:29], v[16:17], v[18:21]
	v_pk_mul_f32 v[40:41], v[56:57], v[68:69] op_sel_hi:[0,1]
	v_pk_mul_f32 v[44:45], v[56:57], v[70:71] op_sel_hi:[0,1]
	v_mad_i64_i32 v[60:61], s[4:5], v67, s45, v[46:47]
	v_perm_b32 v18, v35, v34, s44
	v_perm_b32 v19, v37, v36, s44
	v_mfma_f32_16x16x16_bf16 v[14:17], v[26:27], v[6:7], v[14:17]
	s_nop 0
	v_mfma_f32_16x16x16_bf16 v[6:9], v[18:19], v[8:9], v[14:17]
	s_nop 6
	v_pk_mul_f32 v[42:43], v[56:57], v[6:7] op_sel_hi:[0,1]
	v_and_b32_e32 v6, 0xc0, v0
	v_add_u32_e32 v6, s18, v6
	v_lshl_or_b32 v6, v1, 2, v6
	v_pk_mul_f32 v[34:35], v[56:57], v[8:9] op_sel_hi:[0,1]
	v_or_b32_e32 v9, 1, v6
	v_mov_b32_e32 v7, 0xff7fffff
	v_cmp_gt_i32_e64 s[24:25], s38, v6
	v_cmp_gt_i32_e64 s[26:27], s38, v9
	v_or_b32_e32 v14, 3, v6
	v_cndmask_b32_e64 v8, v7, v50, s[24:25]
	v_cndmask_b32_e64 v9, v7, v51, s[26:27]
	v_max3_f32 v8, v8, s40, v9
	v_or_b32_e32 v9, 2, v6
	v_cmp_gt_i32_e64 s[28:29], s38, v9
	v_cmp_gt_i32_e64 s[30:31], s38, v14
	s_nop 0
	v_cndmask_b32_e64 v9, v7, v38, s[28:29]
	v_cndmask_b32_e64 v14, v7, v39, s[30:31]
	v_max3_f32 v8, v8, v9, v14
	v_or_b32_e32 v9, 16, v6
	v_or_b32_e32 v14, 17, v6
	v_cmp_gt_i32_e64 s[34:35], s38, v9
	v_cmp_gt_i32_e64 s[36:37], s38, v14
	s_nop 0
	v_cndmask_b32_e64 v9, v7, v52, s[34:35]
	v_cndmask_b32_e64 v14, v7, v53, s[36:37]
	v_max3_f32 v8, v8, v9, v14
	v_or_b32_e32 v9, 18, v6
	;; [unrolled: 8-line block ×6, first 2 shown]
	v_or_b32_e32 v6, 51, v6
	v_cmp_gt_i32_e32 vcc, s38, v9
	v_cmp_gt_i32_e64 s[4:5], s38, v6
	s_nop 0
	v_cndmask_b32_e32 v9, v7, v34, vcc
	v_cndmask_b32_e64 v6, v7, v35, s[4:5]
	v_max3_f32 v8, v8, v9, v6
	v_mbcnt_lo_u32_b32 v6, -1, 0
	v_mbcnt_hi_u32_b32 v9, -1, v6
	v_and_b32_e32 v6, 64, v9
	v_add_u32_e32 v14, 64, v6
	v_xor_b32_e32 v6, 32, v9
	v_cmp_lt_i32_e64 s[38:39], v6, v14
	s_nop 1
	v_cndmask_b32_e64 v6, v9, v6, s[38:39]
	v_lshlrev_b32_e32 v57, 2, v6
	ds_bpermute_b32 v15, v57, v8
	v_mad_i64_i32 v[6:7], s[38:39], v66, s45, v[46:47]
	global_load_dwordx4 v[26:29], v[60:61], off
	global_load_dwordx4 v[18:21], v[6:7], off
	s_waitcnt lgkmcnt(0)
	v_max_f32_e32 v6, v15, v15
	v_max_f32_e32 v15, v8, v6
	v_xor_b32_e32 v6, 16, v9
	v_cmp_lt_i32_e64 s[38:39], v6, v14
	s_nop 1
	v_cndmask_b32_e64 v6, v9, v6, s[38:39]
	v_lshlrev_b32_e32 v60, 2, v6
	ds_bpermute_b32 v14, v60, v15
	v_mad_i64_i32 v[6:7], s[38:39], v58, s45, v[46:47]
	v_mad_i64_i32 v[8:9], s[38:39], v59, s45, v[46:47]
	s_waitcnt lgkmcnt(0)
	v_max_f32_e32 v14, v14, v14
	v_max_f32_e32 v56, v15, v14
	v_sub_f32_e32 v14, v50, v56
	v_mul_f32_e32 v14, 0x3fb8aa3b, v14
	v_exp_f32_e32 v36, v14
	v_sub_f32_e32 v14, v51, v56
	v_mul_f32_e32 v14, 0x3fb8aa3b, v14
	v_exp_f32_e32 v37, v14
	global_load_dwordx4 v[14:17], v[6:7], off
	s_nop 0
	global_load_dwordx4 v[6:9], v[8:9], off
	v_sub_f32_e32 v38, v38, v56
	v_mul_f32_e32 v38, 0x3fb8aa3b, v38
	v_sub_f32_e32 v39, v39, v56
	v_exp_f32_e32 v38, v38
	v_mul_f32_e32 v39, 0x3fb8aa3b, v39
	v_exp_f32_e32 v39, v39
	v_cndmask_b32_e64 v36, 0, v36, s[24:25]
	v_add_f32_e32 v46, 0, v36
	v_cndmask_b32_e64 v37, 0, v37, s[26:27]
	v_add_f32_e32 v47, v46, v37
	;; [unrolled: 2-line block ×3, first 2 shown]
	v_cndmask_b32_e64 v47, 0, v39, s[30:31]
	v_sub_f32_e32 v39, v52, v56
	v_mul_f32_e32 v39, 0x3fb8aa3b, v39
	v_sub_f32_e32 v50, v53, v56
	v_exp_f32_e32 v39, v39
	v_mul_f32_e32 v50, 0x3fb8aa3b, v50
	v_sub_f32_e32 v48, v48, v56
	v_exp_f32_e32 v50, v50
	;; [unrolled: 3-line block ×4, first 2 shown]
	v_mul_f32_e32 v40, 0x3fb8aa3b, v40
	v_sub_f32_e32 v41, v41, v56
	v_add_f32_e32 v51, v38, v47
	v_cndmask_b32_e64 v38, 0, v39, s[34:35]
	v_exp_f32_e32 v40, v40
	v_mul_f32_e32 v41, 0x3fb8aa3b, v41
	v_sub_f32_e32 v44, v44, v56
	v_add_f32_e32 v51, v51, v38
	v_cndmask_b32_e64 v39, 0, v50, s[36:37]
	v_exp_f32_e32 v41, v41
	v_mul_f32_e32 v44, 0x3fb8aa3b, v44
	v_sub_f32_e32 v45, v45, v56
	v_add_f32_e32 v50, v51, v39
	v_cndmask_b32_e64 v48, 0, v48, s[18:19]
	v_exp_f32_e32 v44, v44
	v_mul_f32_e32 v45, 0x3fb8aa3b, v45
	v_sub_f32_e32 v42, v42, v56
	v_add_f32_e32 v50, v50, v48
	v_cndmask_b32_e64 v49, 0, v49, s[20:21]
	v_exp_f32_e32 v45, v45
	v_mul_f32_e32 v42, 0x3fb8aa3b, v42
	v_sub_f32_e32 v43, v43, v56
	v_add_f32_e32 v50, v50, v49
	v_cndmask_b32_e64 v40, 0, v40, s[14:15]
	v_exp_f32_e32 v42, v42
	v_mul_f32_e32 v43, 0x3fb8aa3b, v43
	v_sub_f32_e32 v34, v34, v56
	v_add_f32_e32 v50, v50, v40
	v_cndmask_b32_e64 v41, 0, v41, s[16:17]
	v_exp_f32_e32 v43, v43
	v_mul_f32_e32 v34, 0x3fb8aa3b, v34
	v_sub_f32_e32 v35, v35, v56
	v_add_f32_e32 v50, v50, v41
	v_cndmask_b32_e64 v44, 0, v44, s[10:11]
	v_exp_f32_e32 v34, v34
	v_mul_f32_e32 v35, 0x3fb8aa3b, v35
	v_add_f32_e32 v50, v50, v44
	v_cndmask_b32_e64 v45, 0, v45, s[12:13]
	v_exp_f32_e32 v35, v35
	v_add_f32_e32 v50, v50, v45
	v_cndmask_b32_e64 v42, 0, v42, s[6:7]
	v_add_f32_e32 v50, v50, v42
	v_cndmask_b32_e64 v43, 0, v43, s[8:9]
	v_add_f32_e32 v50, v50, v43
	v_cndmask_b32_e32 v34, 0, v34, vcc
	v_add_f32_e32 v50, v50, v34
	v_cndmask_b32_e64 v35, 0, v35, s[4:5]
	v_add_f32_e32 v50, v50, v35
	ds_bpermute_b32 v51, v57, v50
	v_cmp_gt_u32_e32 vcc, 16, v65
	s_waitcnt lgkmcnt(0)
	s_barrier
	v_add_f32_e32 v50, v50, v51
	ds_bpermute_b32 v51, v60, v50
	s_and_saveexec_b64 s[4:5], vcc
	s_cbranch_execz .LBB1275_13
; %bb.12:
	s_waitcnt lgkmcnt(0)
	v_add_f32_e32 v50, v50, v51
	v_lshlrev_b32_e32 v51, 2, v55
	ds_write2st64_b32 v51, v56, v50 offset1:1
.LBB1275_13:
	s_or_b64 exec, exec, s[4:5]
	s_waitcnt lgkmcnt(0)
	v_lshlrev_b32_e32 v51, 2, v62
	s_load_dword s6, s[0:1], 0x94
	s_waitcnt lgkmcnt(0)
	s_barrier
	ds_read2_b32 v[52:53], v51 offset1:16
	ds_read2_b32 v[56:57], v51 offset0:32 offset1:48
	ds_read2_b32 v[58:59], v51 offset0:64 offset1:80
	s_movk_i32 s8, 0x7fff
	s_lshl_b32 s7, s33, 3
	s_waitcnt lgkmcnt(2)
	v_max3_f32 v50, v52, s40, v53
	s_waitcnt lgkmcnt(1)
	v_max3_f32 v50, v50, v56, v57
	v_sub_f32_e32 v52, v52, v50
	v_mul_f32_e32 v52, 0x3fb8aa3b, v52
	v_exp_f32_e32 v55, v52
	v_sub_f32_e32 v52, v53, v50
	v_mul_f32_e32 v52, 0x3fb8aa3b, v52
	v_exp_f32_e32 v60, v52
	v_sub_f32_e32 v52, v56, v50
	v_mul_f32_e32 v52, 0x3fb8aa3b, v52
	v_exp_f32_e32 v56, v52
	ds_read2_b32 v[52:53], v51 offset0:96 offset1:112
	v_sub_f32_e32 v51, v57, v50
	v_mul_f32_e32 v51, 0x3fb8aa3b, v51
	v_exp_f32_e32 v57, v51
	s_waitcnt lgkmcnt(1)
	v_fma_f32 v51, v55, v58, 0
	v_fmac_f32_e32 v51, v60, v59
	s_waitcnt lgkmcnt(0)
	v_fmac_f32_e32 v51, v56, v52
	v_fmac_f32_e32 v51, v57, v53
	v_add_f32_e32 v52, 0x358637bd, v51
	v_div_scale_f32 v53, s[4:5], v52, v52, 1.0
	v_rcp_f32_e32 v58, v53
	s_barrier
	v_fma_f32 v59, -v53, v58, 1.0
	v_fmac_f32_e32 v58, v59, v58
	v_div_scale_f32 v59, vcc, 1.0, v52, 1.0
	v_mul_f32_e32 v61, v59, v58
	v_fma_f32 v65, -v53, v61, v59
	v_fmac_f32_e32 v61, v65, v58
	v_fma_f32 v53, -v53, v61, v59
	v_div_fmas_f32 v53, v53, v58, v61
	v_cmp_eq_u32_e32 vcc, 1, v64
	v_div_fixup_f32 v52, v53, v52, 1.0
	s_nop 0
	v_cndmask_b32_e32 v53, v55, v60, vcc
	v_cmp_eq_u32_e32 vcc, 2, v64
	s_nop 1
	v_cndmask_b32_e32 v53, v53, v56, vcc
	v_cmp_eq_u32_e32 vcc, 3, v64
	s_nop 1
	v_cndmask_b32_e32 v53, v53, v57, vcc
	v_mul_f32_e32 v52, v53, v52
	v_pk_mul_f32 v[36:37], v[52:53], v[36:37] op_sel_hi:[0,1]
	v_pk_mul_f32 v[46:47], v[52:53], v[46:47] op_sel_hi:[0,1]
	v_bfe_u32 v53, v37, 16, 1
	v_bfe_u32 v55, v36, 16, 1
	v_add3_u32 v36, v36, v55, s8
	v_add3_u32 v37, v37, v53, s8
	v_perm_b32 v56, v37, v36, s44
	v_bfe_u32 v36, v47, 16, 1
	v_bfe_u32 v37, v46, 16, 1
	v_add3_u32 v37, v46, v37, s8
	v_add3_u32 v36, v47, v36, s8
	v_perm_b32 v57, v36, v37, s44
	v_lshlrev_b32_e32 v37, 3, v1
	v_lshlrev_b32_e32 v36, 5, v62
	v_lshlrev_b32_e32 v46, 11, v64
	v_pk_mul_f32 v[38:39], v[52:53], v[38:39] op_sel_hi:[0,1]
	v_or3_b32 v55, v46, v36, v37
	v_pk_mul_f32 v[46:47], v[52:53], v[48:49] op_sel_hi:[0,1]
	v_bfe_u32 v37, v39, 16, 1
	v_bfe_u32 v48, v38, 16, 1
	v_add3_u32 v38, v38, v48, s8
	v_add3_u32 v37, v39, v37, s8
	v_perm_b32 v38, v37, v38, s44
	v_bfe_u32 v37, v47, 16, 1
	v_bfe_u32 v39, v46, 16, 1
	v_add3_u32 v39, v46, v39, s8
	v_add3_u32 v37, v47, v37, s8
	v_perm_b32 v39, v37, v39, s44
	v_pk_mul_f32 v[40:41], v[52:53], v[40:41] op_sel_hi:[0,1]
	ds_write2st64_b64 v55, v[56:57], v[38:39] offset1:1
	v_pk_mul_f32 v[38:39], v[52:53], v[44:45] op_sel_hi:[0,1]
	v_bfe_u32 v37, v41, 16, 1
	v_bfe_u32 v44, v40, 16, 1
	v_add3_u32 v40, v40, v44, s8
	v_add3_u32 v37, v41, v37, s8
	v_perm_b32 v40, v37, v40, s44
	v_bfe_u32 v37, v39, 16, 1
	v_bfe_u32 v41, v38, 16, 1
	v_add3_u32 v38, v38, v41, s8
	v_add3_u32 v37, v39, v37, s8
	v_perm_b32 v41, v37, v38, s44
	v_pk_mul_f32 v[38:39], v[52:53], v[42:43] op_sel_hi:[0,1]
	v_bfe_u32 v37, v39, 16, 1
	v_bfe_u32 v42, v38, 16, 1
	v_pk_mul_f32 v[34:35], v[52:53], v[34:35] op_sel_hi:[0,1]
	v_add3_u32 v38, v38, v42, s8
	v_add3_u32 v37, v39, v37, s8
	v_perm_b32 v38, v37, v38, s44
	v_bfe_u32 v37, v35, 16, 1
	v_bfe_u32 v39, v34, 16, 1
	v_add3_u32 v34, v34, v39, s8
	v_add3_u32 v35, v35, v37, s8
	v_perm_b32 v39, v35, v34, s44
	v_cmp_gt_u32_e32 vcc, 8, v0
	ds_write2st64_b64 v55, v[40:41], v[38:39] offset0:2 offset1:3
	s_and_saveexec_b64 s[4:5], vcc
	s_cbranch_execz .LBB1275_15
; %bb.14:
	v_or_b32_e32 v34, s23, v0
	v_mov_b32_e32 v35, 0
	v_mov_b32_e32 v37, s7
	v_mad_u64_u32 v[38:39], s[10:11], s2, v37, v[34:35]
	v_mov_b32_e32 v34, s22
	s_load_dwordx4 s[12:15], s[0:1], 0x58
	s_mul_i32 s3, s3, s7
	v_mad_u64_u32 v[34:35], s[10:11], v38, s6, v[34:35]
	v_add_u32_e32 v37, s3, v39
	v_mov_b32_e32 v38, v35
	v_mad_u64_u32 v[38:39], s[10:11], v37, s6, v[38:39]
	v_mov_b32_e32 v35, v38
	v_lshlrev_b64 v[34:35], 2, v[34:35]
	s_waitcnt lgkmcnt(0)
	v_lshl_add_u64 v[38:39], s[14:15], 0, v[34:35]
	v_lshl_add_u64 v[34:35], s[12:13], 0, v[34:35]
	global_store_dword v[38:39], v50, off
	global_store_dword v[34:35], v51, off
.LBB1275_15:
	s_or_b64 exec, exec, s[4:5]
	v_lshl_or_b32 v50, v1, 9, v36
	s_waitcnt vmcnt(7)
	v_cvt_pk_f32_fp8_e32 v[34:35], v30
	v_cvt_pk_f32_fp8_sdwa v[36:37], v30 src0_sel:WORD_1
	s_mov_b32 s5, 0x7060302
	s_waitcnt lgkmcnt(0)
	s_barrier
	v_cvt_pk_f32_fp8_e32 v[38:39], v31
	v_perm_b32 v30, v35, v34, s5
	v_cvt_pk_f32_fp8_sdwa v[40:41], v31 src0_sel:WORD_1
	v_perm_b32 v31, v37, v36, s5
	ds_read_b128 v[34:37], v50
	v_perm_b32 v46, v39, v38, s5
	v_perm_b32 v47, v41, v40, s5
	ds_read_b128 v[38:41], v50 offset:16
	v_cvt_pk_f32_fp8_e32 v[48:49], v32
	v_cvt_pk_f32_fp8_sdwa v[52:53], v32 src0_sel:WORD_1
	s_waitcnt lgkmcnt(1)
	v_mfma_f32_16x16x16_bf16 v[42:45], v[30:31], v[34:35], 0
	s_waitcnt vmcnt(6)
	v_cvt_pk_f32_fp8_e32 v[56:57], v24
	v_perm_b32 v30, v49, v48, s5
	v_perm_b32 v31, v53, v52, s5
	v_cvt_pk_f32_fp8_e32 v[48:49], v33
	v_mfma_f32_16x16x16_bf16 v[42:45], v[46:47], v[36:37], v[42:45]
	v_cvt_pk_f32_fp8_sdwa v[46:47], v33 src0_sel:WORD_1
	v_cvt_pk_f32_fp8_sdwa v[58:59], v24 src0_sel:WORD_1
	v_perm_b32 v48, v49, v48, s5
	s_waitcnt lgkmcnt(0)
	v_mfma_f32_16x16x16_bf16 v[30:33], v[30:31], v[38:39], v[42:45]
	v_perm_b32 v49, v47, v46, s5
	s_waitcnt vmcnt(5)
	v_cvt_pk_f32_fp8_e32 v[60:61], v12
	v_cvt_pk_f32_fp8_sdwa v[64:65], v12 src0_sel:WORD_1
	v_cvt_pk_f32_fp8_e32 v[42:43], v22
	v_mfma_f32_16x16x16_bf16 v[46:49], v[48:49], v[40:41], v[30:33]
	s_waitcnt vmcnt(4)
	v_cvt_pk_f32_fp8_sdwa v[66:67], v4 src0_sel:WORD_1
	s_load_dword s4, s[42:43], 0x0
	v_cvt_pk_f32_fp8_sdwa v[30:31], v22 src0_sel:WORD_1
	v_cvt_pk_f32_fp8_e32 v[32:33], v23
	v_perm_b32 v22, v43, v42, s5
	v_cvt_pk_f32_fp8_sdwa v[42:43], v23 src0_sel:WORD_1
	v_perm_b32 v23, v31, v30, s5
	v_perm_b32 v52, v33, v32, s5
	ds_read_b128 v[30:33], v50 offset:2048
	v_perm_b32 v53, v43, v42, s5
	ds_read_b128 v[42:45], v50 offset:2064
	s_waitcnt lgkmcnt(0)
	v_mfma_f32_16x16x16_bf16 v[46:49], v[22:23], v[30:31], v[46:49]
	v_perm_b32 v22, v57, v56, s5
	v_perm_b32 v23, v59, v58, s5
	v_cvt_pk_f32_fp8_e32 v[56:57], v25
	v_mfma_f32_16x16x16_bf16 v[46:49], v[52:53], v[32:33], v[46:49]
	v_cvt_pk_f32_fp8_sdwa v[52:53], v25 src0_sel:WORD_1
	s_waitcnt vmcnt(3)
	v_cvt_pk_f32_fp8_sdwa v[68:69], v28 src0_sel:WORD_1
	v_perm_b32 v56, v57, v56, s5
	v_mfma_f32_16x16x16_bf16 v[22:25], v[22:23], v[42:43], v[46:49]
	v_perm_b32 v57, v53, v52, s5
	s_mov_b32 s3, 0
	v_cmp_gt_u32_e32 vcc, 64, v0
	v_cvt_pk_f32_fp8_e32 v[46:47], v10
	v_mfma_f32_16x16x16_bf16 v[56:59], v[56:57], v[44:45], v[22:25]
	s_nop 2
	v_cvt_pk_f32_fp8_sdwa v[22:23], v10 src0_sel:WORD_1
	v_cvt_pk_f32_fp8_e32 v[24:25], v11
	v_perm_b32 v10, v47, v46, s5
	v_cvt_pk_f32_fp8_sdwa v[46:47], v11 src0_sel:WORD_1
	v_perm_b32 v11, v23, v22, s5
	v_perm_b32 v52, v25, v24, s5
	ds_read_b128 v[22:25], v50 offset:4096
	v_perm_b32 v53, v47, v46, s5
	ds_read_b128 v[46:49], v50 offset:4112
	s_waitcnt lgkmcnt(1)
	v_mfma_f32_16x16x16_bf16 v[56:59], v[10:11], v[22:23], v[56:59]
	v_perm_b32 v10, v61, v60, s5
	v_perm_b32 v11, v65, v64, s5
	v_cvt_pk_f32_fp8_e32 v[60:61], v13
	v_mfma_f32_16x16x16_bf16 v[56:59], v[52:53], v[24:25], v[56:59]
	v_cvt_pk_f32_fp8_sdwa v[52:53], v13 src0_sel:WORD_1
	v_cvt_pk_f32_fp8_e32 v[64:65], v4
	v_perm_b32 v60, v61, v60, s5
	s_waitcnt lgkmcnt(0)
	v_mfma_f32_16x16x16_bf16 v[10:13], v[10:11], v[46:47], v[56:59]
	v_perm_b32 v61, v53, v52, s5
	v_cvt_pk_f32_fp8_e32 v[52:53], v2
	s_nop 0
	v_mfma_f32_16x16x16_bf16 v[56:59], v[60:61], v[48:49], v[10:13]
	s_nop 2
	v_cvt_pk_f32_fp8_sdwa v[10:11], v2 src0_sel:WORD_1
	v_cvt_pk_f32_fp8_e32 v[12:13], v3
	v_perm_b32 v2, v53, v52, s5
	v_cvt_pk_f32_fp8_sdwa v[52:53], v3 src0_sel:WORD_1
	v_perm_b32 v3, v11, v10, s5
	v_perm_b32 v60, v13, v12, s5
	ds_read_b128 v[10:13], v50 offset:6144
	v_perm_b32 v61, v53, v52, s5
	s_waitcnt lgkmcnt(0)
	v_mfma_f32_16x16x16_bf16 v[56:59], v[2:3], v[10:11], v[56:59]
	ds_read_b128 v[50:53], v50 offset:6160
	v_perm_b32 v2, v65, v64, s5
	v_perm_b32 v3, v67, v66, s5
	v_cvt_pk_f32_fp8_e32 v[64:65], v5
	v_mfma_f32_16x16x16_bf16 v[56:59], v[60:61], v[12:13], v[56:59]
	v_cvt_pk_f32_fp8_sdwa v[60:61], v5 src0_sel:WORD_1
	v_cvt_pk_f32_fp8_e32 v[66:67], v28
	v_perm_b32 v64, v65, v64, s5
	s_waitcnt lgkmcnt(0)
	v_mfma_f32_16x16x16_bf16 v[2:5], v[2:3], v[50:51], v[56:59]
	v_perm_b32 v65, v61, v60, s5
	s_barrier
	s_nop 0
	v_mfma_f32_16x16x16_bf16 v[56:59], v[64:65], v[52:53], v[2:5]
	s_nop 2
	v_cvt_pk_f32_fp8_e32 v[4:5], v26
	v_perm_b32 v4, v5, v4, s5
	s_nop 1
	v_pk_mul_f32 v[2:3], v[58:59], s[4:5] op_sel_hi:[1,0]
	v_cvt_pk_f32_fp8_sdwa v[58:59], v26 src0_sel:WORD_1
	v_pk_mul_f32 v[60:61], v[56:57], s[4:5] op_sel_hi:[1,0]
	v_cvt_pk_f32_fp8_e32 v[56:57], v27
	v_cvt_pk_f32_fp8_sdwa v[26:27], v27 src0_sel:WORD_1
	v_perm_b32 v5, v59, v58, s5
	v_perm_b32 v64, v57, v56, s5
	v_perm_b32 v65, v27, v26, s5
	v_mfma_f32_16x16x16_bf16 v[56:59], v[4:5], v[34:35], 0
	v_perm_b32 v4, v67, v66, s5
	v_perm_b32 v5, v69, v68, s5
	v_cvt_pk_f32_fp8_e32 v[34:35], v29
	v_cvt_pk_f32_fp8_sdwa v[66:67], v29 src0_sel:WORD_1
	v_mfma_f32_16x16x16_bf16 v[26:29], v[64:65], v[36:37], v[56:59]
	s_waitcnt vmcnt(2)
	v_cvt_pk_f32_fp8_sdwa v[36:37], v18 src0_sel:WORD_1
	v_perm_b32 v34, v35, v34, s5
	v_perm_b32 v35, v67, v66, s5
	v_mfma_f32_16x16x16_bf16 v[26:29], v[4:5], v[38:39], v[26:29]
	v_cvt_pk_f32_fp8_e32 v[4:5], v18
	v_cvt_pk_f32_fp8_sdwa v[38:39], v20 src0_sel:WORD_1
	v_bfe_u32 v56, v61, 16, 1
	v_mfma_f32_16x16x16_bf16 v[26:29], v[34:35], v[40:41], v[26:29]
	v_cvt_pk_f32_fp8_e32 v[34:35], v19
	v_perm_b32 v4, v5, v4, s5
	v_perm_b32 v5, v37, v36, s5
	v_cvt_pk_f32_fp8_sdwa v[18:19], v19 src0_sel:WORD_1
	v_perm_b32 v34, v35, v34, s5
	v_cvt_pk_f32_fp8_e32 v[36:37], v20
	v_mfma_f32_16x16x16_bf16 v[26:29], v[4:5], v[30:31], v[26:29]
	v_perm_b32 v35, v19, v18, s5
	v_perm_b32 v4, v37, v36, s5
	;; [unrolled: 1-line block ×3, first 2 shown]
	v_cvt_pk_f32_fp8_e32 v[30:31], v21
	v_cvt_pk_f32_fp8_sdwa v[36:37], v21 src0_sel:WORD_1
	v_mfma_f32_16x16x16_bf16 v[18:21], v[34:35], v[32:33], v[26:29]
	v_bfe_u32 v57, v60, 16, 1
	v_add3_u32 v32, v60, v57, s8
	v_add3_u32 v33, v61, v56, s8
	v_perm_b32 v26, v31, v30, s5
	v_perm_b32 v27, v37, v36, s5
	v_mfma_f32_16x16x16_bf16 v[18:21], v[4:5], v[42:43], v[18:21]
	s_waitcnt vmcnt(1)
	v_cvt_pk_f32_fp8_e32 v[4:5], v14
	v_cvt_pk_f32_fp8_sdwa v[28:29], v14 src0_sel:WORD_1
	v_cvt_pk_f32_fp8_sdwa v[30:31], v16 src0_sel:WORD_1
	v_mfma_f32_16x16x16_bf16 v[18:21], v[26:27], v[44:45], v[18:21]
	v_cvt_pk_f32_fp8_e32 v[26:27], v15
	v_perm_b32 v4, v5, v4, s5
	v_perm_b32 v5, v29, v28, s5
	v_cvt_pk_f32_fp8_sdwa v[14:15], v15 src0_sel:WORD_1
	v_perm_b32 v26, v27, v26, s5
	v_cvt_pk_f32_fp8_e32 v[28:29], v16
	v_mfma_f32_16x16x16_bf16 v[18:21], v[4:5], v[22:23], v[18:21]
	v_perm_b32 v27, v15, v14, s5
	v_perm_b32 v4, v29, v28, s5
	;; [unrolled: 1-line block ×3, first 2 shown]
	v_cvt_pk_f32_fp8_e32 v[22:23], v17
	v_cvt_pk_f32_fp8_sdwa v[28:29], v17 src0_sel:WORD_1
	v_mfma_f32_16x16x16_bf16 v[14:17], v[26:27], v[24:25], v[18:21]
	s_waitcnt vmcnt(0)
	v_cvt_pk_f32_fp8_sdwa v[24:25], v8 src0_sel:WORD_1
	s_nop 0
	v_perm_b32 v20, v23, v22, s5
	v_perm_b32 v21, v29, v28, s5
	v_mfma_f32_16x16x16_bf16 v[14:17], v[4:5], v[46:47], v[14:17]
	v_cvt_pk_f32_fp8_e32 v[4:5], v6
	v_cvt_pk_f32_fp8_sdwa v[22:23], v6 src0_sel:WORD_1
	v_bfe_u32 v19, v3, 16, 1
	v_mfma_f32_16x16x16_bf16 v[14:17], v[20:21], v[48:49], v[14:17]
	v_cvt_pk_f32_fp8_e32 v[20:21], v7
	v_perm_b32 v4, v5, v4, s5
	v_perm_b32 v5, v23, v22, s5
	v_cvt_pk_f32_fp8_sdwa v[6:7], v7 src0_sel:WORD_1
	v_perm_b32 v20, v21, v20, s5
	v_cvt_pk_f32_fp8_e32 v[22:23], v8
	v_add3_u32 v3, v3, v19, s8
	v_perm_b32 v21, v7, v6, s5
	v_mfma_f32_16x16x16_bf16 v[4:7], v[4:5], v[10:11], v[14:17]
	v_perm_b32 v10, v23, v22, s5
	v_perm_b32 v11, v25, v24, s5
	;; [unrolled: 1-line block ×3, first 2 shown]
	v_cvt_pk_f32_fp8_e32 v[14:15], v9
	v_cvt_pk_f32_fp8_sdwa v[8:9], v9 src0_sel:WORD_1
	v_mfma_f32_16x16x16_bf16 v[4:7], v[20:21], v[12:13], v[4:7]
	v_bfe_u32 v16, v2, 16, 1
	v_perm_b32 v12, v15, v14, s5
	v_perm_b32 v13, v9, v8, s5
	v_mfma_f32_16x16x16_bf16 v[4:7], v[10:11], v[50:51], v[4:7]
	v_add3_u32 v2, v2, v16, s8
	v_perm_b32 v19, v3, v2, s5
	v_mfma_f32_16x16x16_bf16 v[2:5], v[12:13], v[52:53], v[4:7]
	s_nop 6
	v_pk_mul_f32 v[2:3], v[2:3], s[4:5] op_sel_hi:[1,0]
	v_pk_mul_f32 v[4:5], v[4:5], s[4:5] op_sel_hi:[1,0]
	v_bfe_u32 v6, v3, 16, 1
	v_bfe_u32 v7, v2, 16, 1
	v_add3_u32 v2, v2, v7, s8
	v_add3_u32 v3, v3, v6, s8
	v_perm_b32 v2, v3, v2, s5
	v_bfe_u32 v3, v5, 16, 1
	v_bfe_u32 v6, v4, 16, 1
	v_add3_u32 v4, v4, v6, s8
	v_add3_u32 v3, v5, v3, s8
	v_perm_b32 v3, v3, v4, s5
	ds_write2st64_b64 v55, v[18:19], v[2:3] offset1:1
	s_waitcnt lgkmcnt(0)
	s_barrier
	s_and_saveexec_b64 s[4:5], vcc
	s_cbranch_execz .LBB1275_17
; %bb.16:
	s_load_dwordx2 s[0:1], s[0:1], 0x68
	s_lshl_b32 s6, s6, 7
	s_mul_i32 s2, s7, s2
	s_mul_hi_u32 s5, s2, s6
	s_mul_i32 s4, s2, s6
	v_lshlrev_b32_e32 v4, 6, v62
	s_lshl_b64 s[4:5], s[4:5], 1
	v_lshl_or_b32 v0, v0, 10, v4
	s_waitcnt lgkmcnt(0)
	s_add_u32 s4, s0, s4
	v_lshlrev_b32_e32 v2, 5, v1
	v_and_b32_e32 v3, 16, v63
	v_and_b32_e32 v0, 0x1a00, v0
	s_addc_u32 s5, s1, s5
	s_lshl_b32 s2, s22, 7
	v_or3_b32 v0, v0, v2, v3
	s_lshl_b64 s[0:1], s[2:3], 1
	ds_read_b128 v[2:5], v0
	ds_read_b128 v[6:9], v0 offset:128
	s_add_u32 s0, s4, s0
	s_addc_u32 s1, s5, s1
	v_mov_b32_e32 v55, 0
	v_or_b32_e32 v12, s23, v1
	v_lshl_add_u64 v[10:11], s[0:1], 0, v[54:55]
	v_mad_u64_u32 v[0:1], s[0:1], v12, s6, 0
	v_lshl_add_u64 v[0:1], v[0:1], 1, v[10:11]
	s_waitcnt lgkmcnt(1)
	global_store_dwordx4 v[0:1], v[2:5], off
	v_or_b32_e32 v0, 4, v12
	v_mad_u64_u32 v[0:1], s[0:1], v0, s6, 0
	v_lshl_add_u64 v[0:1], v[0:1], 1, v[10:11]
	s_waitcnt lgkmcnt(0)
	global_store_dwordx4 v[0:1], v[6:9], off
.LBB1275_17:
	s_endpgm
	.section	.rodata,"a",@progbits
	.p2align	6, 0x0
	.amdhsa_kernel _Z39paged_attention_ll4mi_QKV_mfma16_kernelI14__hip_bfloat16hLN4vllm18Fp8KVCacheDataTypeE1EhLi16ELi128ELi256ELb0ELi8EEvPKT_PKT0_S8_ifPKiSA_SA_iPKfiiiPfSD_PS3_PT2_iSC_SC_
		.amdhsa_group_segment_fixed_size 8192
		.amdhsa_private_segment_fixed_size 0
		.amdhsa_kernarg_size 400
		.amdhsa_user_sgpr_count 2
		.amdhsa_user_sgpr_dispatch_ptr 0
		.amdhsa_user_sgpr_queue_ptr 0
		.amdhsa_user_sgpr_kernarg_segment_ptr 1
		.amdhsa_user_sgpr_dispatch_id 0
		.amdhsa_user_sgpr_kernarg_preload_length 0
		.amdhsa_user_sgpr_kernarg_preload_offset 0
		.amdhsa_user_sgpr_private_segment_size 0
		.amdhsa_uses_dynamic_stack 0
		.amdhsa_enable_private_segment 0
		.amdhsa_system_sgpr_workgroup_id_x 1
		.amdhsa_system_sgpr_workgroup_id_y 1
		.amdhsa_system_sgpr_workgroup_id_z 1
		.amdhsa_system_sgpr_workgroup_info 0
		.amdhsa_system_vgpr_workitem_id 0
		.amdhsa_next_free_vgpr 90
		.amdhsa_next_free_sgpr 48
		.amdhsa_accum_offset 92
		.amdhsa_reserve_vcc 1
		.amdhsa_float_round_mode_32 0
		.amdhsa_float_round_mode_16_64 0
		.amdhsa_float_denorm_mode_32 3
		.amdhsa_float_denorm_mode_16_64 3
		.amdhsa_dx10_clamp 1
		.amdhsa_ieee_mode 1
		.amdhsa_fp16_overflow 0
		.amdhsa_tg_split 0
		.amdhsa_exception_fp_ieee_invalid_op 0
		.amdhsa_exception_fp_denorm_src 0
		.amdhsa_exception_fp_ieee_div_zero 0
		.amdhsa_exception_fp_ieee_overflow 0
		.amdhsa_exception_fp_ieee_underflow 0
		.amdhsa_exception_fp_ieee_inexact 0
		.amdhsa_exception_int_div_zero 0
	.end_amdhsa_kernel
	.section	.text._Z39paged_attention_ll4mi_QKV_mfma16_kernelI14__hip_bfloat16hLN4vllm18Fp8KVCacheDataTypeE1EhLi16ELi128ELi256ELb0ELi8EEvPKT_PKT0_S8_ifPKiSA_SA_iPKfiiiPfSD_PS3_PT2_iSC_SC_,"axG",@progbits,_Z39paged_attention_ll4mi_QKV_mfma16_kernelI14__hip_bfloat16hLN4vllm18Fp8KVCacheDataTypeE1EhLi16ELi128ELi256ELb0ELi8EEvPKT_PKT0_S8_ifPKiSA_SA_iPKfiiiPfSD_PS3_PT2_iSC_SC_,comdat
.Lfunc_end1275:
	.size	_Z39paged_attention_ll4mi_QKV_mfma16_kernelI14__hip_bfloat16hLN4vllm18Fp8KVCacheDataTypeE1EhLi16ELi128ELi256ELb0ELi8EEvPKT_PKT0_S8_ifPKiSA_SA_iPKfiiiPfSD_PS3_PT2_iSC_SC_, .Lfunc_end1275-_Z39paged_attention_ll4mi_QKV_mfma16_kernelI14__hip_bfloat16hLN4vllm18Fp8KVCacheDataTypeE1EhLi16ELi128ELi256ELb0ELi8EEvPKT_PKT0_S8_ifPKiSA_SA_iPKfiiiPfSD_PS3_PT2_iSC_SC_
                                        ; -- End function
	.section	.AMDGPU.csdata,"",@progbits
; Kernel info:
; codeLenInByte = 6268
; NumSgprs: 54
; NumVgprs: 90
; NumAgprs: 0
; TotalNumVgprs: 90
; ScratchSize: 0
; MemoryBound: 0
; FloatMode: 240
; IeeeMode: 1
; LDSByteSize: 8192 bytes/workgroup (compile time only)
; SGPRBlocks: 6
; VGPRBlocks: 11
; NumSGPRsForWavesPerEU: 54
; NumVGPRsForWavesPerEU: 90
; AccumOffset: 92
; Occupancy: 5
; WaveLimiterHint : 1
; COMPUTE_PGM_RSRC2:SCRATCH_EN: 0
; COMPUTE_PGM_RSRC2:USER_SGPR: 2
; COMPUTE_PGM_RSRC2:TRAP_HANDLER: 0
; COMPUTE_PGM_RSRC2:TGID_X_EN: 1
; COMPUTE_PGM_RSRC2:TGID_Y_EN: 1
; COMPUTE_PGM_RSRC2:TGID_Z_EN: 1
; COMPUTE_PGM_RSRC2:TIDIG_COMP_CNT: 0
; COMPUTE_PGM_RSRC3_GFX90A:ACCUM_OFFSET: 22
; COMPUTE_PGM_RSRC3_GFX90A:TG_SPLIT: 0
	.section	.text._Z39paged_attention_ll4mi_QKV_mfma16_kernelI14__hip_bfloat16hLN4vllm18Fp8KVCacheDataTypeE1EhLi16ELi128ELi256ELb0ELi9EEvPKT_PKT0_S8_ifPKiSA_SA_iPKfiiiPfSD_PS3_PT2_iSC_SC_,"axG",@progbits,_Z39paged_attention_ll4mi_QKV_mfma16_kernelI14__hip_bfloat16hLN4vllm18Fp8KVCacheDataTypeE1EhLi16ELi128ELi256ELb0ELi9EEvPKT_PKT0_S8_ifPKiSA_SA_iPKfiiiPfSD_PS3_PT2_iSC_SC_,comdat
	.protected	_Z39paged_attention_ll4mi_QKV_mfma16_kernelI14__hip_bfloat16hLN4vllm18Fp8KVCacheDataTypeE1EhLi16ELi128ELi256ELb0ELi9EEvPKT_PKT0_S8_ifPKiSA_SA_iPKfiiiPfSD_PS3_PT2_iSC_SC_ ; -- Begin function _Z39paged_attention_ll4mi_QKV_mfma16_kernelI14__hip_bfloat16hLN4vllm18Fp8KVCacheDataTypeE1EhLi16ELi128ELi256ELb0ELi9EEvPKT_PKT0_S8_ifPKiSA_SA_iPKfiiiPfSD_PS3_PT2_iSC_SC_
	.globl	_Z39paged_attention_ll4mi_QKV_mfma16_kernelI14__hip_bfloat16hLN4vllm18Fp8KVCacheDataTypeE1EhLi16ELi128ELi256ELb0ELi9EEvPKT_PKT0_S8_ifPKiSA_SA_iPKfiiiPfSD_PS3_PT2_iSC_SC_
	.p2align	8
	.type	_Z39paged_attention_ll4mi_QKV_mfma16_kernelI14__hip_bfloat16hLN4vllm18Fp8KVCacheDataTypeE1EhLi16ELi128ELi256ELb0ELi9EEvPKT_PKT0_S8_ifPKiSA_SA_iPKfiiiPfSD_PS3_PT2_iSC_SC_,@function
_Z39paged_attention_ll4mi_QKV_mfma16_kernelI14__hip_bfloat16hLN4vllm18Fp8KVCacheDataTypeE1EhLi16ELi128ELi256ELb0ELi9EEvPKT_PKT0_S8_ifPKiSA_SA_iPKfiiiPfSD_PS3_PT2_iSC_SC_: ; @_Z39paged_attention_ll4mi_QKV_mfma16_kernelI14__hip_bfloat16hLN4vllm18Fp8KVCacheDataTypeE1EhLi16ELi128ELi256ELb0ELi9EEvPKT_PKT0_S8_ifPKiSA_SA_iPKfiiiPfSD_PS3_PT2_iSC_SC_
; %bb.0:
	s_load_dwordx2 s[12:13], s[0:1], 0x30
	s_mov_b32 s24, s3
	s_mov_b64 s[6:7], 0
	s_waitcnt lgkmcnt(0)
	s_cmp_lg_u64 s[12:13], 0
	s_cselect_b64 s[14:15], -1, 0
	s_and_b64 vcc, exec, s[14:15]
	s_cbranch_vccz .LBB1276_7
; %bb.1:
	s_add_i32 s8, s2, 1
	s_mov_b32 s9, 0
	s_lshl_b64 s[10:11], s[8:9], 2
	s_add_u32 s10, s12, s10
	s_mov_b32 s3, s9
	s_addc_u32 s11, s13, s11
	s_lshl_b64 s[8:9], s[2:3], 2
	s_add_u32 s8, s12, s8
	s_addc_u32 s9, s13, s9
	s_load_dword s5, s[10:11], 0x0
	s_load_dword s16, s[8:9], 0x0
	s_waitcnt lgkmcnt(0)
	s_sub_i32 s5, s5, s16
	s_cmp_eq_u32 s5, 1
	s_cselect_b64 s[8:9], -1, 0
	s_andn2_b64 vcc, exec, s[6:7]
	s_cbranch_vccnz .LBB1276_3
.LBB1276_2:
	s_mov_b32 s3, 0
	s_mov_b64 s[8:9], -1
.LBB1276_3:
	s_andn2_b64 vcc, exec, s[8:9]
	s_cbranch_vccnz .LBB1276_18
; %bb.4:
	s_load_dwordx2 s[6:7], s[0:1], 0x28
	s_lshl_b64 s[16:17], s[2:3], 2
	s_waitcnt lgkmcnt(0)
	s_add_u32 s6, s6, s16
	s_addc_u32 s7, s7, s17
	s_load_dword s33, s[6:7], 0x0
	s_lshl_b32 s18, s24, 8
	s_waitcnt lgkmcnt(0)
	s_cmp_ge_i32 s18, s33
	s_cbranch_scc1 .LBB1276_18
; %bb.5:
	s_load_dwordx2 s[6:7], s[0:1], 0x20
	s_load_dword s8, s[0:1], 0x38
	s_add_i32 s5, s33, 15
	s_ashr_i32 s9, s5, 31
	v_and_b32_e32 v1, 0xcf, v0
	s_lshr_b32 s9, s9, 28
	v_add_u32_e32 v1, s18, v1
	s_add_i32 s5, s5, s9
	v_ashrrev_i32_e32 v2, 31, v1
	s_ashr_i32 s5, s5, 4
	v_lshrrev_b32_e32 v10, 28, v2
	s_add_i32 s5, s5, -1
	s_waitcnt lgkmcnt(0)
	s_mul_i32 s8, s2, s8
	s_mov_b32 s9, 0
	v_add_u32_e32 v2, v1, v10
	s_lshl_b64 s[8:9], s[8:9], 2
	v_ashrrev_i32_e32 v2, 4, v2
	v_mov_b32_e32 v11, s5
	v_cmp_gt_i32_e32 vcc, s33, v1
	s_add_u32 s6, s6, s8
	s_addc_u32 s7, s7, s9
	v_cndmask_b32_e32 v2, v11, v2, vcc
	v_ashrrev_i32_e32 v3, 31, v2
	v_lshl_add_u64 v[4:5], v[2:3], 2, s[6:7]
	v_or_b32_e32 v2, 16, v1
	v_add_u32_e32 v3, v2, v10
	v_ashrrev_i32_e32 v3, 4, v3
	v_cmp_gt_i32_e32 vcc, s33, v2
	s_load_dwordx4 s[8:11], s[0:1], 0x8
	s_nop 0
	v_cndmask_b32_e32 v2, v11, v3, vcc
	v_ashrrev_i32_e32 v3, 31, v2
	v_lshl_add_u64 v[6:7], v[2:3], 2, s[6:7]
	v_or_b32_e32 v2, 32, v1
	v_add_u32_e32 v3, v2, v10
	v_ashrrev_i32_e32 v3, 4, v3
	v_cmp_gt_i32_e32 vcc, s33, v2
	v_or_b32_e32 v1, 48, v1
	s_nop 0
	v_cndmask_b32_e32 v2, v11, v3, vcc
	v_ashrrev_i32_e32 v3, 31, v2
	v_lshl_add_u64 v[8:9], v[2:3], 2, s[6:7]
	v_add_u32_e32 v2, v1, v10
	v_ashrrev_i32_e32 v2, 4, v2
	v_cmp_gt_i32_e32 vcc, s33, v1
	s_nop 1
	v_cndmask_b32_e32 v2, v11, v2, vcc
	v_ashrrev_i32_e32 v3, 31, v2
	v_lshl_add_u64 v[10:11], v[2:3], 2, s[6:7]
	global_load_dword v3, v[4:5], off
	global_load_dword v2, v[6:7], off
	;; [unrolled: 1-line block ×4, first 2 shown]
	s_andn2_b64 vcc, exec, s[14:15]
	s_cbranch_vccnz .LBB1276_8
; %bb.6:
	s_add_u32 s12, s12, s16
	s_addc_u32 s13, s13, s17
	s_load_dword s14, s[12:13], 0x0
	s_branch .LBB1276_9
.LBB1276_7:
	s_mov_b64 s[8:9], 0
	s_branch .LBB1276_2
.LBB1276_8:
	s_mov_b32 s14, s2
.LBB1276_9:
	s_load_dwordx4 s[44:47], s[0:1], 0x48
	v_lshrrev_b32_e32 v61, 6, v0
	v_bfe_u32 v64, v0, 4, 2
	v_and_b32_e32 v60, 15, v0
	v_lshl_or_b32 v4, v61, 2, v64
	v_lshlrev_b32_e32 v1, 3, v60
	v_and_b32_e32 v65, 63, v0
	s_mul_i32 s48, s4, 9
	v_cmp_gt_u32_e32 vcc, 9, v4
	v_lshlrev_b32_e32 v58, 1, v1
	v_lshlrev_b32_e32 v1, 4, v0
	s_and_saveexec_b64 s[12:13], vcc
	s_cbranch_execz .LBB1276_11
; %bb.10:
	s_load_dwordx2 s[16:17], s[0:1], 0x0
	s_waitcnt lgkmcnt(0)
	s_ashr_i32 s15, s44, 31
	s_mul_hi_u32 s19, s14, s44
	s_mul_i32 s15, s14, s15
	s_add_i32 s15, s19, s15
	s_mul_i32 s14, s14, s44
	s_lshl_b64 s[14:15], s[14:15], 1
	s_add_u32 s14, s16, s14
	v_add_lshl_u32 v6, v4, s48, 7
	s_addc_u32 s15, s17, s15
	v_ashrrev_i32_e32 v7, 31, v6
	v_lshl_add_u64 v[6:7], v[6:7], 1, s[14:15]
	v_mov_b32_e32 v59, 0
	v_lshl_add_u64 v[6:7], v[6:7], 0, v[58:59]
	global_load_dwordx4 v[6:9], v[6:7], off
	v_lshlrev_b32_e32 v10, 8, v0
	v_lshlrev_b32_e32 v5, 8, v60
	v_and_b32_e32 v10, 0x600, v10
	s_movk_i32 s14, 0x800
	v_and_or_b32 v5, v5, s14, v10
	v_lshlrev_b32_e32 v4, 5, v4
	v_and_b32_e32 v10, 16, v1
	v_or3_b32 v4, v5, v4, v10
	s_waitcnt vmcnt(0)
	ds_write_b128 v4, v[6:9]
.LBB1276_11:
	s_or_b64 exec, exec, s[12:13]
	s_waitcnt lgkmcnt(0)
	s_mul_i32 s4, s4, s46
	s_add_u32 s8, s8, s4
	s_addc_u32 s9, s9, 0
	v_and_b32_e32 v62, 0xf0, v1
	v_mov_b32_e32 v63, 0
	v_and_b32_e32 v6, 48, v0
	v_lshl_add_u64 v[30:31], s[8:9], 0, v[62:63]
	v_lshlrev_b32_e32 v62, 4, v6
	s_waitcnt vmcnt(3)
	v_mad_i64_i32 v[4:5], s[8:9], v3, s45, v[30:31]
	v_lshl_add_u64 v[4:5], v[4:5], 0, v[62:63]
	s_load_dword s25, s[0:1], 0x98
	s_load_dwordx4 s[40:43], s[0:1], 0x80
	s_waitcnt lgkmcnt(0)
	s_barrier
	global_load_dwordx4 v[22:25], v[4:5], off
	global_load_dwordx4 v[14:17], v[4:5], off offset:1024
	s_waitcnt vmcnt(4)
	v_mad_i64_i32 v[2:3], s[8:9], v2, s45, v[30:31]
	v_lshl_add_u64 v[32:33], v[2:3], 0, v[62:63]
	global_load_dwordx4 v[2:5], v[32:33], off
	v_add_u32_e32 v7, -9, v60
	v_cmp_gt_u32_e32 vcc, 9, v60
	v_or_b32_e32 v6, s18, v6
	v_mov_b32_e32 v41, s5
	v_cndmask_b32_e32 v7, v7, v60, vcc
	v_lshlrev_b32_e32 v7, 5, v7
	v_ashrrev_i32_e32 v8, 4, v6
	v_lshl_add_u32 v7, v64, 9, v7
	v_cmp_gt_i32_e32 vcc, s33, v6
	v_or_b32_e32 v40, 64, v6
	v_or_b32_e32 v42, 0x80, v6
	;; [unrolled: 1-line block ×3, first 2 shown]
	v_cndmask_b32_e32 v38, v41, v8, vcc
	ds_read_b128 v[26:29], v7
	ds_read_b128 v[18:21], v7 offset:16
	ds_read_b128 v[10:13], v7 offset:2048
	ds_read_b128 v[6:9], v7 offset:2064
	s_waitcnt vmcnt(4)
	v_mad_i64_i32 v[36:37], s[12:13], v34, s45, v[30:31]
	s_waitcnt vmcnt(3)
	v_mad_i64_i32 v[34:35], s[12:13], v35, s45, v[30:31]
	global_load_dwordx4 v[30:33], v[32:33], off offset:1024
	v_ashrrev_i32_e32 v44, 4, v40
	v_cmp_gt_i32_e32 vcc, s33, v40
	v_ashrrev_i32_e32 v45, 4, v42
	v_ashrrev_i32_e32 v46, 4, v43
	v_cndmask_b32_e32 v40, v41, v44, vcc
	v_cmp_gt_i32_e32 vcc, s33, v42
	v_ashrrev_i32_e32 v39, 31, v38
	v_lshl_add_u64 v[36:37], v[36:37], 0, v[62:63]
	v_cndmask_b32_e32 v42, v41, v45, vcc
	v_cmp_gt_i32_e32 vcc, s33, v43
	v_lshl_add_u64 v[34:35], v[34:35], 0, v[62:63]
	v_ashrrev_i32_e32 v43, 31, v42
	v_cndmask_b32_e32 v44, v41, v46, vcc
	v_ashrrev_i32_e32 v41, 31, v40
	v_ashrrev_i32_e32 v45, 31, v44
	v_lshl_add_u64 v[50:51], v[38:39], 2, s[6:7]
	v_lshl_add_u64 v[52:53], v[40:41], 2, s[6:7]
	;; [unrolled: 1-line block ×4, first 2 shown]
	global_load_dwordx4 v[46:49], v[36:37], off
	global_load_dwordx4 v[42:45], v[36:37], off offset:1024
	global_load_dwordx4 v[38:41], v[34:35], off
	s_nop 0
	global_load_dwordx4 v[34:37], v[34:35], off offset:1024
	s_nop 0
	global_load_dword v69, v[50:51], off
	global_load_dword v68, v[52:53], off
	;; [unrolled: 1-line block ×4, first 2 shown]
	s_mov_b32 s44, 0x7060302
	s_add_u32 s4, s10, s4
	v_lshl_or_b32 v59, v61, 4, v60
	s_addc_u32 s5, s11, 0
	v_lshlrev_b32_e32 v62, 4, v59
	s_load_dword s8, s[0:1], 0x1c
	s_waitcnt vmcnt(11)
	v_cvt_pk_f32_fp8_e32 v[50:51], v22
	v_cvt_pk_f32_fp8_sdwa v[52:53], v22 src0_sel:WORD_1
	v_cvt_pk_f32_fp8_e32 v[54:55], v23
	v_cvt_pk_f32_fp8_sdwa v[22:23], v23 src0_sel:WORD_1
	s_waitcnt vmcnt(10)
	v_cvt_pk_f32_fp8_e32 v[76:77], v14
	v_cvt_pk_f32_fp8_sdwa v[78:79], v14 src0_sel:WORD_1
	v_cvt_pk_f32_fp8_e32 v[80:81], v15
	v_cvt_pk_f32_fp8_sdwa v[82:83], v15 src0_sel:WORD_1
	v_perm_b32 v14, v51, v50, s44
	v_perm_b32 v15, v53, v52, s44
	v_cvt_pk_f32_fp8_e32 v[56:57], v24
	v_cvt_pk_f32_fp8_sdwa v[70:71], v24 src0_sel:WORD_1
	v_perm_b32 v54, v55, v54, s44
	v_perm_b32 v55, v23, v22, s44
	v_cvt_pk_f32_fp8_e32 v[72:73], v25
	v_cvt_pk_f32_fp8_sdwa v[74:75], v25 src0_sel:WORD_1
	s_waitcnt lgkmcnt(0)
	v_mfma_f32_16x16x16_bf16 v[22:25], v[14:15], v[26:27], 0
	v_perm_b32 v14, v57, v56, s44
	v_perm_b32 v15, v71, v70, s44
	;; [unrolled: 1-line block ×3, first 2 shown]
	v_mfma_f32_16x16x16_bf16 v[22:25], v[54:55], v[28:29], v[22:25]
	v_perm_b32 v57, v75, v74, s44
	v_cvt_pk_f32_fp8_e32 v[50:51], v16
	v_cvt_pk_f32_fp8_sdwa v[52:53], v16 src0_sel:WORD_1
	v_cvt_pk_f32_fp8_e32 v[84:85], v17
	v_cvt_pk_f32_fp8_sdwa v[54:55], v17 src0_sel:WORD_1
	v_mfma_f32_16x16x16_bf16 v[14:17], v[14:15], v[18:19], v[22:25]
	v_perm_b32 v70, v81, v80, s44
	v_perm_b32 v71, v83, v82, s44
	;; [unrolled: 1-line block ×5, first 2 shown]
	v_mfma_f32_16x16x16_bf16 v[14:17], v[56:57], v[20:21], v[14:17]
	s_waitcnt vmcnt(9)
	v_cvt_pk_f32_fp8_e32 v[22:23], v2
	v_cvt_pk_f32_fp8_sdwa v[56:57], v2 src0_sel:WORD_1
	v_perm_b32 v51, v53, v52, s44
	v_mfma_f32_16x16x16_bf16 v[14:17], v[24:25], v[10:11], v[14:17]
	v_cvt_pk_f32_fp8_e32 v[24:25], v3
	v_cvt_pk_f32_fp8_sdwa v[2:3], v3 src0_sel:WORD_1
	v_perm_b32 v52, v85, v84, s44
	v_mfma_f32_16x16x16_bf16 v[14:17], v[70:71], v[12:13], v[14:17]
	v_perm_b32 v53, v55, v54, s44
	v_perm_b32 v22, v23, v22, s44
	;; [unrolled: 1-line block ×3, first 2 shown]
	v_mfma_f32_16x16x16_bf16 v[14:17], v[50:51], v[6:7], v[14:17]
	v_cvt_pk_f32_fp8_e32 v[54:55], v4
	v_cvt_pk_f32_fp8_sdwa v[56:57], v4 src0_sel:WORD_1
	v_perm_b32 v24, v25, v24, s44
	v_perm_b32 v25, v3, v2, s44
	v_mfma_f32_16x16x16_bf16 v[50:53], v[52:53], v[8:9], v[14:17]
	s_waitcnt vmcnt(7)
	v_cvt_pk_f32_fp8_e32 v[72:73], v49
	v_lshl_add_u64 v[70:71], s[4:5], 0, v[62:63]
	s_waitcnt vmcnt(6)
	v_cvt_pk_f32_fp8_sdwa v[76:77], v44 src0_sel:WORD_1
	v_mfma_f32_16x16x16_bf16 v[14:17], v[22:23], v[26:27], 0
	v_perm_b32 v22, v55, v54, s44
	v_perm_b32 v23, v57, v56, s44
	v_cvt_pk_f32_fp8_e32 v[54:55], v5
	v_cvt_pk_f32_fp8_sdwa v[56:57], v5 src0_sel:WORD_1
	v_mfma_f32_16x16x16_bf16 v[2:5], v[24:25], v[28:29], v[14:17]
	v_cvt_pk_f32_fp8_e32 v[24:25], v32
	v_or_b32_e32 v62, 0x400, v62
	s_nop 0
	v_perm_b32 v14, v55, v54, s44
	v_perm_b32 v15, v57, v56, s44
	v_mfma_f32_16x16x16_bf16 v[2:5], v[22:23], v[18:19], v[2:5]
	v_cvt_pk_f32_fp8_e32 v[16:17], v30
	v_cvt_pk_f32_fp8_sdwa v[22:23], v30 src0_sel:WORD_1
	v_perm_b32 v16, v17, v16, s44
	v_mfma_f32_16x16x16_bf16 v[2:5], v[14:15], v[20:21], v[2:5]
	v_cvt_pk_f32_fp8_e32 v[14:15], v31
	v_perm_b32 v17, v23, v22, s44
	v_cvt_pk_f32_fp8_sdwa v[22:23], v31 src0_sel:WORD_1
	v_cvt_pk_f32_fp8_sdwa v[30:31], v32 src0_sel:WORD_1
	v_perm_b32 v14, v15, v14, s44
	v_mfma_f32_16x16x16_bf16 v[2:5], v[16:17], v[10:11], v[2:5]
	v_perm_b32 v15, v23, v22, s44
	v_perm_b32 v16, v25, v24, s44
	;; [unrolled: 1-line block ×3, first 2 shown]
	v_cvt_pk_f32_fp8_e32 v[22:23], v33
	v_cvt_pk_f32_fp8_sdwa v[24:25], v33 src0_sel:WORD_1
	v_mfma_f32_16x16x16_bf16 v[2:5], v[14:15], v[12:13], v[2:5]
	v_perm_b32 v14, v23, v22, s44
	v_perm_b32 v15, v25, v24, s44
	v_mfma_f32_16x16x16_bf16 v[2:5], v[16:17], v[6:7], v[2:5]
	v_cvt_pk_f32_fp8_e32 v[16:17], v46
	v_cvt_pk_f32_fp8_sdwa v[22:23], v46 src0_sel:WORD_1
	v_cvt_pk_f32_fp8_sdwa v[24:25], v48 src0_sel:WORD_1
	v_mfma_f32_16x16x16_bf16 v[54:57], v[14:15], v[8:9], v[2:5]
	v_cvt_pk_f32_fp8_sdwa v[14:15], v47 src0_sel:WORD_1
	s_nop 1
	v_perm_b32 v2, v17, v16, s44
	v_perm_b32 v3, v23, v22, s44
	v_cvt_pk_f32_fp8_e32 v[4:5], v47
	v_perm_b32 v23, v15, v14, s44
	v_cvt_pk_f32_fp8_e32 v[14:15], v48
	v_cvt_pk_f32_fp8_sdwa v[48:49], v49 src0_sel:WORD_1
	v_perm_b32 v22, v5, v4, s44
	v_mfma_f32_16x16x16_bf16 v[2:5], v[2:3], v[26:27], 0
	v_perm_b32 v14, v15, v14, s44
	v_perm_b32 v15, v25, v24, s44
	s_waitcnt vmcnt(3)
	v_mad_i64_i32 v[16:17], s[6:7], v69, s45, v[70:71]
	v_mfma_f32_16x16x16_bf16 v[2:5], v[22:23], v[28:29], v[2:5]
	s_waitcnt vmcnt(2)
	v_mad_i64_i32 v[46:47], s[6:7], v68, s45, v[70:71]
	global_load_dwordx4 v[30:33], v[16:17], off
	global_load_dwordx4 v[22:25], v[46:47], off
	v_perm_b32 v16, v73, v72, s44
	v_perm_b32 v17, v49, v48, s44
	v_mfma_f32_16x16x16_bf16 v[2:5], v[14:15], v[18:19], v[2:5]
	v_cvt_pk_f32_fp8_e32 v[14:15], v42
	v_cvt_pk_f32_fp8_sdwa v[46:47], v42 src0_sel:WORD_1
	s_waitcnt vmcnt(3)
	v_mad_i64_i32 v[72:73], s[6:7], v67, s45, v[70:71]
	v_mfma_f32_16x16x16_bf16 v[2:5], v[16:17], v[20:21], v[2:5]
	v_perm_b32 v14, v15, v14, s44
	v_perm_b32 v15, v47, v46, s44
	v_cvt_pk_f32_fp8_e32 v[16:17], v43
	v_cvt_pk_f32_fp8_sdwa v[42:43], v43 src0_sel:WORD_1
	v_mfma_f32_16x16x16_bf16 v[46:49], v[14:15], v[10:11], v[2:5]
	v_perm_b32 v74, v17, v16, s44
	v_perm_b32 v75, v43, v42, s44
	v_cvt_pk_f32_fp8_e32 v[42:43], v44
	s_waitcnt vmcnt(2)
	v_mad_i64_i32 v[70:71], s[6:7], v66, s45, v[70:71]
	global_load_dwordx4 v[14:17], v[72:73], off
	global_load_dwordx4 v[2:5], v[70:71], off
	v_perm_b32 v70, v43, v42, s44
	v_perm_b32 v71, v77, v76, s44
	v_cvt_pk_f32_fp8_e32 v[72:73], v45
	v_cvt_pk_f32_fp8_sdwa v[76:77], v45 src0_sel:WORD_1
	v_mfma_f32_16x16x16_bf16 v[44:47], v[74:75], v[12:13], v[46:49]
	v_lshl_add_u64 v[42:43], s[4:5], 0, v[62:63]
	v_cvt_pk_f32_fp8_e32 v[62:63], v38
	s_load_dword s4, s[40:41], 0x0
	v_perm_b32 v48, v73, v72, s44
	v_perm_b32 v49, v77, v76, s44
	v_mfma_f32_16x16x16_bf16 v[44:47], v[70:71], v[6:7], v[44:47]
	v_cvt_pk_f32_fp8_sdwa v[70:71], v38 src0_sel:WORD_1
	v_perm_b32 v62, v63, v62, s44
	v_cvt_pk_f32_fp8_e32 v[74:75], v40
	v_mfma_f32_16x16x16_bf16 v[46:49], v[48:49], v[8:9], v[44:47]
	v_perm_b32 v63, v71, v70, s44
	v_cvt_pk_f32_fp8_sdwa v[76:77], v40 src0_sel:WORD_1
	s_mov_b32 s40, 0xff7fffff
	v_cvt_pk_f32_fp8_e32 v[44:45], v39
	v_cvt_pk_f32_fp8_sdwa v[38:39], v39 src0_sel:WORD_1
	v_mfma_f32_16x16x16_bf16 v[70:73], v[62:63], v[26:27], 0
	v_cvt_pk_f32_fp8_e32 v[62:63], v41
	v_perm_b32 v44, v45, v44, s44
	v_perm_b32 v45, v39, v38, s44
	;; [unrolled: 1-line block ×4, first 2 shown]
	v_cvt_pk_f32_fp8_sdwa v[40:41], v41 src0_sel:WORD_1
	v_mov_b32_e32 v26, s8
	s_waitcnt lgkmcnt(0)
	v_mul_f32_e32 v74, s4, v26
	v_mfma_f32_16x16x16_bf16 v[26:29], v[44:45], v[28:29], v[70:73]
	v_pk_mul_f32 v[44:45], v[74:75], v[52:53] op_sel_hi:[0,1]
	v_perm_b32 v52, v63, v62, s44
	v_perm_b32 v53, v41, v40, s44
	v_mfma_f32_16x16x16_bf16 v[26:29], v[38:39], v[18:19], v[26:29]
	v_cvt_pk_f32_fp8_e32 v[18:19], v34
	v_cvt_pk_f32_fp8_sdwa v[38:39], v34 src0_sel:WORD_1
	v_pk_mul_f32 v[50:51], v[74:75], v[50:51] op_sel_hi:[0,1]
	v_mfma_f32_16x16x16_bf16 v[26:29], v[52:53], v[20:21], v[26:29]
	v_perm_b32 v20, v19, v18, s44
	v_perm_b32 v21, v39, v38, s44
	v_cvt_pk_f32_fp8_e32 v[38:39], v35
	v_cvt_pk_f32_fp8_sdwa v[34:35], v35 src0_sel:WORD_1
	v_mfma_f32_16x16x16_bf16 v[26:29], v[20:21], v[10:11], v[26:29]
	v_perm_b32 v38, v39, v38, s44
	v_perm_b32 v39, v35, v34, s44
	v_cvt_pk_f32_fp8_e32 v[10:11], v36
	v_cvt_pk_f32_fp8_sdwa v[20:21], v36 src0_sel:WORD_1
	v_pk_mul_f32 v[52:53], v[74:75], v[54:55] op_sel_hi:[0,1]
	v_pk_mul_f32 v[34:35], v[74:75], v[56:57] op_sel_hi:[0,1]
	v_perm_b32 v40, v11, v10, s44
	v_perm_b32 v41, v21, v20, s44
	v_cvt_pk_f32_fp8_e32 v[20:21], v37
	v_cvt_pk_f32_fp8_sdwa v[36:37], v37 src0_sel:WORD_1
	v_mfma_f32_16x16x16_bf16 v[10:13], v[38:39], v[12:13], v[26:29]
	v_pk_mul_f32 v[46:47], v[74:75], v[46:47] op_sel_hi:[0,1]
	v_perm_b32 v20, v21, v20, s44
	v_perm_b32 v21, v37, v36, s44
	v_mfma_f32_16x16x16_bf16 v[10:13], v[40:41], v[6:7], v[10:13]
	v_pk_mul_f32 v[40:41], v[74:75], v[48:49] op_sel_hi:[0,1]
	v_mad_i64_i32 v[18:19], s[4:5], v69, s45, v[42:43]
	v_mfma_f32_16x16x16_bf16 v[6:9], v[20:21], v[8:9], v[10:13]
	v_mad_i64_i32 v[62:63], s[4:5], v68, s45, v[42:43]
	global_load_dwordx4 v[26:29], v[18:19], off
	s_nop 0
	global_load_dwordx4 v[18:21], v[62:63], off
	s_nop 2
	v_pk_mul_f32 v[48:49], v[74:75], v[6:7] op_sel_hi:[0,1]
	v_and_b32_e32 v6, 0xc0, v0
	v_add_u32_e32 v6, s18, v6
	v_lshl_or_b32 v6, v64, 2, v6
	v_pk_mul_f32 v[38:39], v[74:75], v[8:9] op_sel_hi:[0,1]
	v_or_b32_e32 v9, 1, v6
	v_mov_b32_e32 v7, 0xff7fffff
	v_cmp_gt_i32_e64 s[26:27], s33, v6
	v_cmp_gt_i32_e64 s[28:29], s33, v9
	v_or_b32_e32 v10, 3, v6
	v_cndmask_b32_e64 v8, v7, v50, s[26:27]
	v_cndmask_b32_e64 v9, v7, v51, s[28:29]
	v_max3_f32 v8, v8, s40, v9
	v_or_b32_e32 v9, 2, v6
	v_cmp_gt_i32_e64 s[30:31], s33, v9
	v_cmp_gt_i32_e64 s[34:35], s33, v10
	s_nop 0
	v_cndmask_b32_e64 v9, v7, v44, s[30:31]
	v_cndmask_b32_e64 v10, v7, v45, s[34:35]
	v_max3_f32 v8, v8, v9, v10
	v_or_b32_e32 v9, 16, v6
	v_or_b32_e32 v10, 17, v6
	v_cmp_gt_i32_e64 s[18:19], s33, v9
	v_cmp_gt_i32_e64 s[20:21], s33, v10
	s_nop 0
	v_cndmask_b32_e64 v9, v7, v52, s[18:19]
	v_cndmask_b32_e64 v10, v7, v53, s[20:21]
	v_max3_f32 v8, v8, v9, v10
	v_or_b32_e32 v9, 18, v6
	;; [unrolled: 8-line block ×5, first 2 shown]
	v_or_b32_e32 v10, 49, v6
	v_cmp_gt_i32_e32 vcc, s33, v9
	v_cmp_gt_i32_e64 s[4:5], s33, v10
	s_nop 0
	v_cndmask_b32_e32 v9, v7, v48, vcc
	v_cndmask_b32_e64 v10, v7, v49, s[4:5]
	v_max3_f32 v8, v8, v9, v10
	v_or_b32_e32 v9, 50, v6
	v_or_b32_e32 v6, 51, v6
	v_cmp_gt_i32_e64 s[6:7], s33, v9
	v_cmp_gt_i32_e64 s[8:9], s33, v6
	s_nop 0
	v_cndmask_b32_e64 v9, v7, v38, s[6:7]
	v_cndmask_b32_e64 v6, v7, v39, s[8:9]
	v_max3_f32 v8, v8, v9, v6
	v_mbcnt_lo_u32_b32 v6, -1, 0
	v_mbcnt_hi_u32_b32 v9, -1, v6
	v_and_b32_e32 v6, 64, v9
	v_add_u32_e32 v10, 64, v6
	v_xor_b32_e32 v6, 32, v9
	v_cmp_lt_i32_e64 s[38:39], v6, v10
	s_nop 1
	v_cndmask_b32_e64 v6, v9, v6, s[38:39]
	v_lshlrev_b32_e32 v55, 2, v6
	ds_bpermute_b32 v11, v55, v8
	v_mad_i64_i32 v[6:7], s[38:39], v67, s45, v[42:43]
	s_waitcnt lgkmcnt(0)
	v_max_f32_e32 v11, v11, v11
	v_max_f32_e32 v36, v8, v11
	v_xor_b32_e32 v8, 16, v9
	v_cmp_lt_i32_e64 s[38:39], v8, v10
	s_nop 1
	v_cndmask_b32_e64 v8, v9, v8, s[38:39]
	v_lshlrev_b32_e32 v56, 2, v8
	v_mad_i64_i32 v[8:9], s[38:39], v66, s45, v[42:43]
	global_load_dwordx4 v[10:13], v[6:7], off
	s_nop 0
	global_load_dwordx4 v[6:9], v[8:9], off
	ds_bpermute_b32 v37, v56, v36
	s_waitcnt lgkmcnt(0)
	s_barrier
	v_max_f32_e32 v37, v37, v37
	v_max_f32_e32 v54, v36, v37
	v_sub_f32_e32 v42, v44, v54
	v_mul_f32_e32 v42, 0x3fb8aa3b, v42
	v_exp_f32_e32 v42, v42
	v_sub_f32_e32 v43, v45, v54
	v_mul_f32_e32 v43, 0x3fb8aa3b, v43
	v_exp_f32_e32 v43, v43
	v_cndmask_b32_e64 v44, 0, v42, s[30:31]
	v_sub_f32_e32 v42, v52, v54
	v_sub_f32_e32 v34, v34, v54
	v_mul_f32_e32 v42, 0x3fb8aa3b, v42
	v_mul_f32_e32 v34, 0x3fb8aa3b, v34
	v_sub_f32_e32 v36, v50, v54
	v_exp_f32_e32 v42, v42
	v_exp_f32_e32 v50, v34
	v_cndmask_b32_e64 v45, 0, v43, s[34:35]
	v_sub_f32_e32 v43, v53, v54
	v_sub_f32_e32 v34, v35, v54
	;; [unrolled: 1-line block ×4, first 2 shown]
	v_mul_f32_e32 v43, 0x3fb8aa3b, v43
	v_mul_f32_e32 v34, 0x3fb8aa3b, v34
	;; [unrolled: 1-line block ×4, first 2 shown]
	v_sub_f32_e32 v37, v51, v54
	v_exp_f32_e32 v43, v43
	v_exp_f32_e32 v51, v34
	v_cndmask_b32_e64 v34, 0, v42, s[18:19]
	v_cndmask_b32_e64 v42, 0, v50, s[22:23]
	v_exp_f32_e32 v46, v46
	v_exp_f32_e32 v50, v40
	v_mul_f32_e32 v36, 0x3fb8aa3b, v36
	v_sub_f32_e32 v47, v47, v54
	v_sub_f32_e32 v40, v41, v54
	;; [unrolled: 1-line block ×4, first 2 shown]
	v_exp_f32_e32 v36, v36
	v_mul_f32_e32 v37, 0x3fb8aa3b, v37
	v_mul_f32_e32 v47, 0x3fb8aa3b, v47
	;; [unrolled: 1-line block ×5, first 2 shown]
	v_exp_f32_e32 v37, v37
	v_cndmask_b32_e64 v35, 0, v43, s[20:21]
	v_cndmask_b32_e64 v43, 0, v51, s[36:37]
	v_exp_f32_e32 v47, v47
	v_exp_f32_e32 v51, v40
	v_cndmask_b32_e64 v40, 0, v46, s[10:11]
	v_cndmask_b32_e64 v46, 0, v50, s[14:15]
	v_exp_f32_e32 v48, v48
	v_exp_f32_e32 v50, v38
	v_sub_f32_e32 v38, v39, v54
	v_cndmask_b32_e64 v36, 0, v36, s[26:27]
	v_mul_f32_e32 v38, 0x3fb8aa3b, v38
	v_cndmask_b32_e64 v37, 0, v37, s[28:29]
	v_cndmask_b32_e64 v41, 0, v47, s[12:13]
	;; [unrolled: 1-line block ×3, first 2 shown]
	v_exp_f32_e32 v51, v38
	v_cndmask_b32_e32 v38, 0, v48, vcc
	v_cndmask_b32_e64 v48, 0, v50, s[6:7]
	v_add_f32_e32 v50, 0, v36
	v_add_f32_e32 v50, v50, v37
	;; [unrolled: 1-line block ×6, first 2 shown]
	v_sub_f32_e32 v49, v49, v54
	v_add_f32_e32 v50, v50, v42
	v_mul_f32_e32 v49, 0x3fb8aa3b, v49
	v_add_f32_e32 v50, v50, v43
	v_exp_f32_e32 v49, v49
	v_add_f32_e32 v50, v50, v40
	v_add_f32_e32 v50, v50, v41
	;; [unrolled: 1-line block ×4, first 2 shown]
	v_cndmask_b32_e64 v39, 0, v49, s[4:5]
	v_add_f32_e32 v50, v50, v38
	v_add_f32_e32 v50, v50, v39
	v_cndmask_b32_e64 v49, 0, v51, s[8:9]
	v_add_f32_e32 v50, v50, v48
	v_add_f32_e32 v50, v50, v49
	ds_bpermute_b32 v51, v55, v50
	v_cmp_gt_u32_e64 s[4:5], 16, v65
	s_waitcnt lgkmcnt(0)
	v_add_f32_e32 v50, v50, v51
	ds_bpermute_b32 v51, v56, v50
	s_and_saveexec_b64 s[6:7], s[4:5]
	s_cbranch_execz .LBB1276_13
; %bb.12:
	s_waitcnt lgkmcnt(0)
	v_add_f32_e32 v50, v50, v51
	v_lshlrev_b32_e32 v51, 2, v59
	ds_write2st64_b32 v51, v54, v50 offset1:1
.LBB1276_13:
	s_or_b64 exec, exec, s[6:7]
	s_waitcnt lgkmcnt(0)
	v_lshlrev_b32_e32 v51, 2, v60
	s_load_dword s8, s[0:1], 0x94
	s_waitcnt lgkmcnt(0)
	s_barrier
	ds_read2_b32 v[52:53], v51 offset1:16
	ds_read2_b32 v[54:55], v51 offset0:32 offset1:48
	ds_read2_b32 v[56:57], v51 offset0:64 offset1:80
	s_movk_i32 s10, 0x7fff
	s_mul_i32 s9, s25, 9
	s_waitcnt lgkmcnt(2)
	v_max3_f32 v50, v52, s40, v53
	s_waitcnt lgkmcnt(1)
	v_max3_f32 v50, v50, v54, v55
	v_sub_f32_e32 v52, v52, v50
	v_mul_f32_e32 v52, 0x3fb8aa3b, v52
	v_exp_f32_e32 v59, v52
	v_sub_f32_e32 v52, v53, v50
	v_mul_f32_e32 v52, 0x3fb8aa3b, v52
	v_exp_f32_e32 v62, v52
	;; [unrolled: 3-line block ×3, first 2 shown]
	ds_read2_b32 v[52:53], v51 offset0:96 offset1:112
	v_sub_f32_e32 v51, v55, v50
	v_mul_f32_e32 v51, 0x3fb8aa3b, v51
	v_exp_f32_e32 v55, v51
	s_waitcnt lgkmcnt(1)
	v_fma_f32 v51, v59, v56, 0
	v_fmac_f32_e32 v51, v62, v57
	s_waitcnt lgkmcnt(0)
	v_fmac_f32_e32 v51, v54, v52
	v_fmac_f32_e32 v51, v55, v53
	v_add_f32_e32 v52, 0x358637bd, v51
	v_div_scale_f32 v53, s[6:7], v52, v52, 1.0
	v_rcp_f32_e32 v56, v53
	s_barrier
	v_fma_f32 v57, -v53, v56, 1.0
	v_fmac_f32_e32 v56, v57, v56
	v_div_scale_f32 v57, vcc, 1.0, v52, 1.0
	v_mul_f32_e32 v63, v57, v56
	v_fma_f32 v65, -v53, v63, v57
	v_fmac_f32_e32 v63, v65, v56
	v_fma_f32 v53, -v53, v63, v57
	v_div_fmas_f32 v53, v53, v56, v63
	v_cmp_eq_u32_e32 vcc, 1, v61
	v_div_fixup_f32 v52, v53, v52, 1.0
	s_nop 0
	v_cndmask_b32_e32 v53, v59, v62, vcc
	v_cmp_eq_u32_e32 vcc, 2, v61
	s_nop 1
	v_cndmask_b32_e32 v53, v53, v54, vcc
	v_cmp_eq_u32_e32 vcc, 3, v61
	s_nop 1
	v_cndmask_b32_e32 v53, v53, v55, vcc
	v_mul_f32_e32 v52, v53, v52
	v_pk_mul_f32 v[36:37], v[52:53], v[36:37] op_sel_hi:[0,1]
	v_pk_mul_f32 v[44:45], v[52:53], v[44:45] op_sel_hi:[0,1]
	v_bfe_u32 v53, v37, 16, 1
	v_bfe_u32 v54, v36, 16, 1
	v_add3_u32 v36, v36, v54, s10
	v_add3_u32 v37, v37, v53, s10
	v_perm_b32 v56, v37, v36, s44
	v_bfe_u32 v36, v45, 16, 1
	v_bfe_u32 v37, v44, 16, 1
	v_add3_u32 v37, v44, v37, s10
	v_add3_u32 v36, v45, v36, s10
	v_perm_b32 v57, v36, v37, s44
	v_lshlrev_b32_e32 v37, 3, v64
	v_lshlrev_b32_e32 v36, 5, v60
	v_lshlrev_b32_e32 v44, 11, v61
	v_pk_mul_f32 v[34:35], v[52:53], v[34:35] op_sel_hi:[0,1]
	v_or3_b32 v54, v44, v36, v37
	v_bfe_u32 v37, v35, 16, 1
	v_bfe_u32 v44, v34, 16, 1
	v_pk_mul_f32 v[42:43], v[52:53], v[42:43] op_sel_hi:[0,1]
	v_add3_u32 v34, v34, v44, s10
	v_add3_u32 v35, v35, v37, s10
	v_perm_b32 v34, v35, v34, s44
	v_bfe_u32 v35, v43, 16, 1
	v_bfe_u32 v37, v42, 16, 1
	v_add3_u32 v37, v42, v37, s10
	v_add3_u32 v35, v43, v35, s10
	v_pk_mul_f32 v[40:41], v[52:53], v[40:41] op_sel_hi:[0,1]
	v_perm_b32 v35, v35, v37, s44
	v_bfe_u32 v37, v41, 16, 1
	v_bfe_u32 v42, v40, 16, 1
	ds_write2st64_b64 v54, v[56:57], v[34:35] offset1:1
	v_pk_mul_f32 v[34:35], v[52:53], v[46:47] op_sel_hi:[0,1]
	v_add3_u32 v40, v40, v42, s10
	v_add3_u32 v37, v41, v37, s10
	v_perm_b32 v40, v37, v40, s44
	v_bfe_u32 v37, v35, 16, 1
	v_bfe_u32 v41, v34, 16, 1
	v_pk_mul_f32 v[38:39], v[52:53], v[38:39] op_sel_hi:[0,1]
	v_add3_u32 v34, v34, v41, s10
	v_add3_u32 v35, v35, v37, s10
	v_bfe_u32 v37, v39, 16, 1
	v_bfe_u32 v42, v38, 16, 1
	v_perm_b32 v41, v35, v34, s44
	v_pk_mul_f32 v[34:35], v[52:53], v[48:49] op_sel_hi:[0,1]
	v_add3_u32 v38, v38, v42, s10
	v_add3_u32 v37, v39, v37, s10
	v_perm_b32 v38, v37, v38, s44
	v_bfe_u32 v37, v35, 16, 1
	v_bfe_u32 v39, v34, 16, 1
	v_add3_u32 v34, v34, v39, s10
	v_add3_u32 v35, v35, v37, s10
	v_perm_b32 v39, v35, v34, s44
	v_cmp_gt_u32_e32 vcc, 9, v0
	ds_write2st64_b64 v54, v[40:41], v[38:39] offset0:2 offset1:3
	s_and_saveexec_b64 s[6:7], vcc
	s_cbranch_execz .LBB1276_15
; %bb.14:
	s_mov_b32 s49, 0
	v_mov_b32_e32 v61, 0
	v_lshl_add_u64 v[34:35], s[48:49], 0, v[60:61]
	v_mov_b32_e32 v37, s9
	v_mad_u64_u32 v[34:35], s[16:17], s2, v37, v[34:35]
	s_mul_i32 s3, s3, s9
	v_mov_b32_e32 v38, s24
	v_mov_b32_e32 v39, v61
	s_load_dwordx4 s[12:15], s[0:1], 0x58
	v_add_u32_e32 v37, s3, v35
	v_mad_u64_u32 v[34:35], s[16:17], v34, s8, v[38:39]
	v_mov_b32_e32 v38, v35
	v_mad_u64_u32 v[38:39], s[16:17], v37, s8, v[38:39]
	v_mov_b32_e32 v35, v38
	v_lshlrev_b64 v[34:35], 2, v[34:35]
	s_waitcnt lgkmcnt(0)
	v_lshl_add_u64 v[38:39], s[14:15], 0, v[34:35]
	v_lshl_add_u64 v[34:35], s[12:13], 0, v[34:35]
	global_store_dword v[38:39], v50, off
	global_store_dword v[34:35], v51, off
.LBB1276_15:
	s_or_b64 exec, exec, s[6:7]
	v_lshl_or_b32 v50, v64, 9, v36
	s_waitcnt vmcnt(7)
	v_cvt_pk_f32_fp8_e32 v[34:35], v30
	v_cvt_pk_f32_fp8_sdwa v[36:37], v30 src0_sel:WORD_1
	s_mov_b32 s7, 0x7060302
	s_waitcnt lgkmcnt(0)
	s_barrier
	v_cvt_pk_f32_fp8_e32 v[38:39], v31
	v_perm_b32 v30, v35, v34, s7
	v_cvt_pk_f32_fp8_sdwa v[40:41], v31 src0_sel:WORD_1
	v_perm_b32 v31, v37, v36, s7
	ds_read_b128 v[34:37], v50
	v_perm_b32 v46, v39, v38, s7
	v_perm_b32 v47, v41, v40, s7
	ds_read_b128 v[38:41], v50 offset:16
	v_cvt_pk_f32_fp8_e32 v[48:49], v32
	v_cvt_pk_f32_fp8_sdwa v[52:53], v32 src0_sel:WORD_1
	s_waitcnt lgkmcnt(1)
	v_mfma_f32_16x16x16_bf16 v[42:45], v[30:31], v[34:35], 0
	s_waitcnt vmcnt(6)
	v_cvt_pk_f32_fp8_e32 v[56:57], v24
	v_perm_b32 v30, v49, v48, s7
	v_perm_b32 v31, v53, v52, s7
	v_cvt_pk_f32_fp8_e32 v[48:49], v33
	v_mfma_f32_16x16x16_bf16 v[42:45], v[46:47], v[36:37], v[42:45]
	v_cvt_pk_f32_fp8_sdwa v[46:47], v33 src0_sel:WORD_1
	v_cvt_pk_f32_fp8_sdwa v[62:63], v24 src0_sel:WORD_1
	v_perm_b32 v48, v49, v48, s7
	s_waitcnt lgkmcnt(0)
	v_mfma_f32_16x16x16_bf16 v[30:33], v[30:31], v[38:39], v[42:45]
	v_perm_b32 v49, v47, v46, s7
	s_waitcnt vmcnt(4)
	v_cvt_pk_f32_fp8_sdwa v[70:71], v4 src0_sel:WORD_1
	s_load_dword s6, s[42:43], 0x0
	v_cvt_pk_f32_fp8_e32 v[42:43], v22
	v_mfma_f32_16x16x16_bf16 v[46:49], v[48:49], v[40:41], v[30:33]
	s_waitcnt vmcnt(3)
	v_cvt_pk_f32_fp8_sdwa v[72:73], v28 src0_sel:WORD_1
	s_mov_b32 s3, 0
	v_cvt_pk_f32_fp8_sdwa v[30:31], v22 src0_sel:WORD_1
	v_cvt_pk_f32_fp8_e32 v[32:33], v23
	v_perm_b32 v22, v43, v42, s7
	v_cvt_pk_f32_fp8_sdwa v[42:43], v23 src0_sel:WORD_1
	v_perm_b32 v23, v31, v30, s7
	v_perm_b32 v52, v33, v32, s7
	ds_read_b128 v[30:33], v50 offset:2048
	v_perm_b32 v53, v43, v42, s7
	ds_read_b128 v[42:45], v50 offset:2064
	s_waitcnt lgkmcnt(0)
	v_mfma_f32_16x16x16_bf16 v[46:49], v[22:23], v[30:31], v[46:49]
	v_perm_b32 v22, v57, v56, s7
	v_perm_b32 v23, v63, v62, s7
	v_cvt_pk_f32_fp8_e32 v[56:57], v25
	v_mfma_f32_16x16x16_bf16 v[46:49], v[52:53], v[32:33], v[46:49]
	v_cvt_pk_f32_fp8_sdwa v[52:53], v25 src0_sel:WORD_1
	v_cvt_pk_f32_fp8_sdwa v[62:63], v16 src0_sel:WORD_1
	v_perm_b32 v56, v57, v56, s7
	v_mfma_f32_16x16x16_bf16 v[22:25], v[22:23], v[42:43], v[46:49]
	v_perm_b32 v57, v53, v52, s7
	v_cmp_gt_u32_e32 vcc, 64, v0
	s_nop 0
	v_cvt_pk_f32_fp8_e32 v[46:47], v14
	v_mfma_f32_16x16x16_bf16 v[66:69], v[56:57], v[44:45], v[22:25]
	v_cvt_pk_f32_fp8_e32 v[56:57], v16
	s_nop 1
	v_cvt_pk_f32_fp8_sdwa v[22:23], v14 src0_sel:WORD_1
	v_cvt_pk_f32_fp8_e32 v[24:25], v15
	v_perm_b32 v14, v47, v46, s7
	v_cvt_pk_f32_fp8_sdwa v[46:47], v15 src0_sel:WORD_1
	v_perm_b32 v15, v23, v22, s7
	v_perm_b32 v52, v25, v24, s7
	ds_read_b128 v[22:25], v50 offset:4096
	v_perm_b32 v53, v47, v46, s7
	ds_read_b128 v[46:49], v50 offset:4112
	s_waitcnt lgkmcnt(1)
	v_mfma_f32_16x16x16_bf16 v[66:69], v[14:15], v[22:23], v[66:69]
	v_perm_b32 v14, v57, v56, s7
	v_perm_b32 v15, v63, v62, s7
	v_cvt_pk_f32_fp8_e32 v[56:57], v17
	v_mfma_f32_16x16x16_bf16 v[66:69], v[52:53], v[24:25], v[66:69]
	v_cvt_pk_f32_fp8_sdwa v[52:53], v17 src0_sel:WORD_1
	v_cvt_pk_f32_fp8_e32 v[62:63], v4
	v_perm_b32 v56, v57, v56, s7
	s_waitcnt lgkmcnt(0)
	v_mfma_f32_16x16x16_bf16 v[14:17], v[14:15], v[46:47], v[66:69]
	v_perm_b32 v57, v53, v52, s7
	v_cvt_pk_f32_fp8_e32 v[52:53], v2
	s_nop 0
	v_mfma_f32_16x16x16_bf16 v[66:69], v[56:57], v[48:49], v[14:17]
	s_nop 2
	v_cvt_pk_f32_fp8_sdwa v[14:15], v2 src0_sel:WORD_1
	v_cvt_pk_f32_fp8_e32 v[16:17], v3
	v_perm_b32 v2, v53, v52, s7
	v_cvt_pk_f32_fp8_sdwa v[52:53], v3 src0_sel:WORD_1
	v_perm_b32 v3, v15, v14, s7
	v_perm_b32 v56, v17, v16, s7
	ds_read_b128 v[14:17], v50 offset:6144
	v_perm_b32 v57, v53, v52, s7
	s_waitcnt lgkmcnt(0)
	v_mfma_f32_16x16x16_bf16 v[66:69], v[2:3], v[14:15], v[66:69]
	ds_read_b128 v[50:53], v50 offset:6160
	v_perm_b32 v2, v63, v62, s7
	v_perm_b32 v3, v71, v70, s7
	v_cvt_pk_f32_fp8_e32 v[62:63], v5
	v_mfma_f32_16x16x16_bf16 v[66:69], v[56:57], v[16:17], v[66:69]
	v_cvt_pk_f32_fp8_sdwa v[56:57], v5 src0_sel:WORD_1
	v_cvt_pk_f32_fp8_e32 v[70:71], v28
	v_perm_b32 v62, v63, v62, s7
	s_waitcnt lgkmcnt(0)
	v_mfma_f32_16x16x16_bf16 v[2:5], v[2:3], v[50:51], v[66:69]
	v_perm_b32 v63, v57, v56, s7
	v_cvt_pk_f32_fp8_sdwa v[56:57], v26 src0_sel:WORD_1
	s_nop 0
	v_mfma_f32_16x16x16_bf16 v[66:69], v[62:63], v[52:53], v[2:5]
	s_barrier
	s_nop 1
	v_cvt_pk_f32_fp8_e32 v[4:5], v26
	s_nop 2
	v_pk_mul_f32 v[62:63], v[66:67], s[6:7] op_sel_hi:[1,0]
	v_cvt_pk_f32_fp8_e32 v[66:67], v27
	v_perm_b32 v4, v5, v4, s7
	v_perm_b32 v5, v57, v56, s7
	v_cvt_pk_f32_fp8_sdwa v[26:27], v27 src0_sel:WORD_1
	v_perm_b32 v56, v67, v66, s7
	v_pk_mul_f32 v[2:3], v[68:69], s[6:7] op_sel_hi:[1,0]
	v_mfma_f32_16x16x16_bf16 v[66:69], v[4:5], v[34:35], 0
	v_perm_b32 v57, v27, v26, s7
	v_perm_b32 v4, v71, v70, s7
	;; [unrolled: 1-line block ×3, first 2 shown]
	v_cvt_pk_f32_fp8_e32 v[34:35], v29
	v_cvt_pk_f32_fp8_sdwa v[70:71], v29 src0_sel:WORD_1
	v_mfma_f32_16x16x16_bf16 v[26:29], v[56:57], v[36:37], v[66:69]
	s_waitcnt vmcnt(2)
	v_cvt_pk_f32_fp8_sdwa v[36:37], v18 src0_sel:WORD_1
	v_perm_b32 v34, v35, v34, s7
	v_perm_b32 v35, v71, v70, s7
	v_mfma_f32_16x16x16_bf16 v[26:29], v[4:5], v[38:39], v[26:29]
	v_cvt_pk_f32_fp8_e32 v[4:5], v18
	v_cvt_pk_f32_fp8_sdwa v[38:39], v20 src0_sel:WORD_1
	v_bfe_u32 v55, v63, 16, 1
	v_mfma_f32_16x16x16_bf16 v[26:29], v[34:35], v[40:41], v[26:29]
	v_cvt_pk_f32_fp8_e32 v[34:35], v19
	v_perm_b32 v4, v5, v4, s7
	v_perm_b32 v5, v37, v36, s7
	v_cvt_pk_f32_fp8_sdwa v[18:19], v19 src0_sel:WORD_1
	v_perm_b32 v34, v35, v34, s7
	v_cvt_pk_f32_fp8_e32 v[36:37], v20
	v_mfma_f32_16x16x16_bf16 v[26:29], v[4:5], v[30:31], v[26:29]
	v_perm_b32 v35, v19, v18, s7
	v_perm_b32 v4, v37, v36, s7
	;; [unrolled: 1-line block ×3, first 2 shown]
	v_cvt_pk_f32_fp8_e32 v[30:31], v21
	v_cvt_pk_f32_fp8_sdwa v[36:37], v21 src0_sel:WORD_1
	v_mfma_f32_16x16x16_bf16 v[18:21], v[34:35], v[32:33], v[26:29]
	v_bfe_u32 v56, v62, 16, 1
	v_add3_u32 v32, v62, v56, s10
	v_add3_u32 v33, v63, v55, s10
	v_perm_b32 v26, v31, v30, s7
	v_perm_b32 v27, v37, v36, s7
	v_mfma_f32_16x16x16_bf16 v[18:21], v[4:5], v[42:43], v[18:21]
	s_waitcnt vmcnt(1)
	v_cvt_pk_f32_fp8_e32 v[4:5], v10
	v_cvt_pk_f32_fp8_sdwa v[28:29], v10 src0_sel:WORD_1
	v_cvt_pk_f32_fp8_sdwa v[30:31], v12 src0_sel:WORD_1
	v_mfma_f32_16x16x16_bf16 v[18:21], v[26:27], v[44:45], v[18:21]
	v_cvt_pk_f32_fp8_e32 v[26:27], v11
	v_perm_b32 v4, v5, v4, s7
	v_perm_b32 v5, v29, v28, s7
	v_cvt_pk_f32_fp8_sdwa v[10:11], v11 src0_sel:WORD_1
	v_perm_b32 v26, v27, v26, s7
	v_cvt_pk_f32_fp8_e32 v[28:29], v12
	v_mfma_f32_16x16x16_bf16 v[18:21], v[4:5], v[22:23], v[18:21]
	v_perm_b32 v27, v11, v10, s7
	v_perm_b32 v4, v29, v28, s7
	;; [unrolled: 1-line block ×3, first 2 shown]
	v_cvt_pk_f32_fp8_e32 v[22:23], v13
	v_cvt_pk_f32_fp8_sdwa v[28:29], v13 src0_sel:WORD_1
	v_mfma_f32_16x16x16_bf16 v[10:13], v[26:27], v[24:25], v[18:21]
	s_waitcnt vmcnt(0)
	v_cvt_pk_f32_fp8_sdwa v[24:25], v8 src0_sel:WORD_1
	s_nop 0
	v_perm_b32 v20, v23, v22, s7
	v_perm_b32 v21, v29, v28, s7
	v_mfma_f32_16x16x16_bf16 v[10:13], v[4:5], v[46:47], v[10:13]
	v_cvt_pk_f32_fp8_e32 v[4:5], v6
	v_cvt_pk_f32_fp8_sdwa v[22:23], v6 src0_sel:WORD_1
	v_bfe_u32 v19, v3, 16, 1
	v_mfma_f32_16x16x16_bf16 v[10:13], v[20:21], v[48:49], v[10:13]
	v_cvt_pk_f32_fp8_e32 v[20:21], v7
	v_perm_b32 v4, v5, v4, s7
	v_perm_b32 v5, v23, v22, s7
	v_cvt_pk_f32_fp8_sdwa v[6:7], v7 src0_sel:WORD_1
	v_perm_b32 v20, v21, v20, s7
	v_cvt_pk_f32_fp8_e32 v[22:23], v8
	v_add3_u32 v3, v3, v19, s10
	v_perm_b32 v21, v7, v6, s7
	v_mfma_f32_16x16x16_bf16 v[4:7], v[4:5], v[14:15], v[10:13]
	v_bfe_u32 v14, v2, 16, 1
	v_add3_u32 v2, v2, v14, s10
	v_perm_b32 v19, v3, v2, s7
	v_perm_b32 v10, v23, v22, s7
	;; [unrolled: 1-line block ×3, first 2 shown]
	v_cvt_pk_f32_fp8_e32 v[12:13], v9
	v_cvt_pk_f32_fp8_sdwa v[8:9], v9 src0_sel:WORD_1
	v_mfma_f32_16x16x16_bf16 v[4:7], v[20:21], v[16:17], v[4:7]
	v_perm_b32 v18, v33, v32, s7
	v_perm_b32 v12, v13, v12, s7
	v_perm_b32 v13, v9, v8, s7
	v_mfma_f32_16x16x16_bf16 v[4:7], v[10:11], v[50:51], v[4:7]
	s_nop 0
	v_mfma_f32_16x16x16_bf16 v[2:5], v[12:13], v[52:53], v[4:7]
	s_nop 6
	v_pk_mul_f32 v[2:3], v[2:3], s[6:7] op_sel_hi:[1,0]
	v_pk_mul_f32 v[4:5], v[4:5], s[6:7] op_sel_hi:[1,0]
	v_bfe_u32 v6, v3, 16, 1
	v_bfe_u32 v7, v2, 16, 1
	v_add3_u32 v2, v2, v7, s10
	v_add3_u32 v3, v3, v6, s10
	v_perm_b32 v2, v3, v2, s7
	v_bfe_u32 v3, v5, 16, 1
	v_bfe_u32 v6, v4, 16, 1
	v_add3_u32 v4, v4, v6, s10
	v_add3_u32 v3, v5, v3, s10
	v_perm_b32 v3, v3, v4, s7
	ds_write2st64_b64 v54, v[18:19], v[2:3] offset1:1
	s_waitcnt lgkmcnt(0)
	s_barrier
	s_and_saveexec_b64 s[6:7], vcc
	s_cbranch_execz .LBB1276_18
; %bb.16:
	s_load_dwordx2 s[6:7], s[0:1], 0x68
	s_lshl_b32 s0, s8, 7
	s_mul_i32 s1, s9, s2
	v_lshlrev_b32_e32 v3, 6, v60
	s_mul_hi_u32 s9, s1, s0
	s_mul_i32 s8, s1, s0
	v_lshl_or_b32 v0, v0, 10, v3
	s_lshl_b64 s[8:9], s[8:9], 1
	v_lshlrev_b32_e32 v2, 5, v64
	v_and_b32_e32 v1, 16, v1
	v_and_b32_e32 v0, 0x1a00, v0
	s_waitcnt lgkmcnt(0)
	s_add_u32 s1, s6, s8
	v_or3_b32 v2, v0, v2, v1
	s_addc_u32 s6, s7, s9
	s_lshl_b32 s2, s24, 7
	s_lshl_b64 s[2:3], s[2:3], 1
	ds_read_b128 v[4:7], v2 offset:128
	ds_read_b128 v[8:11], v2
	s_add_u32 s2, s1, s2
	s_addc_u32 s3, s6, s3
	v_mov_b32_e32 v59, 0
	v_add_u32_e32 v3, s48, v64
	v_lshl_add_u64 v[0:1], s[2:3], 0, v[58:59]
	v_mad_u64_u32 v[12:13], s[2:3], v3, s0, 0
	v_lshl_add_u64 v[12:13], v[12:13], 1, v[0:1]
	v_add_u32_e32 v3, 4, v3
	s_waitcnt lgkmcnt(0)
	global_store_dwordx4 v[12:13], v[8:11], off
	s_nop 1
	v_mad_u64_u32 v[8:9], s[2:3], v3, s0, 0
	v_lshl_add_u64 v[8:9], v[8:9], 1, v[0:1]
	global_store_dwordx4 v[8:9], v[4:7], off
	s_and_b64 exec, exec, s[4:5]
	s_cbranch_execz .LBB1276_18
; %bb.17:
	ds_read_b128 v[2:5], v2 offset:256
	v_add3_u32 v6, s48, v64, 8
	v_mad_u64_u32 v[6:7], s[0:1], v6, s0, 0
	v_lshl_add_u64 v[0:1], v[6:7], 1, v[0:1]
	s_waitcnt lgkmcnt(0)
	global_store_dwordx4 v[0:1], v[2:5], off
.LBB1276_18:
	s_endpgm
	.section	.rodata,"a",@progbits
	.p2align	6, 0x0
	.amdhsa_kernel _Z39paged_attention_ll4mi_QKV_mfma16_kernelI14__hip_bfloat16hLN4vllm18Fp8KVCacheDataTypeE1EhLi16ELi128ELi256ELb0ELi9EEvPKT_PKT0_S8_ifPKiSA_SA_iPKfiiiPfSD_PS3_PT2_iSC_SC_
		.amdhsa_group_segment_fixed_size 8192
		.amdhsa_private_segment_fixed_size 0
		.amdhsa_kernarg_size 400
		.amdhsa_user_sgpr_count 2
		.amdhsa_user_sgpr_dispatch_ptr 0
		.amdhsa_user_sgpr_queue_ptr 0
		.amdhsa_user_sgpr_kernarg_segment_ptr 1
		.amdhsa_user_sgpr_dispatch_id 0
		.amdhsa_user_sgpr_kernarg_preload_length 0
		.amdhsa_user_sgpr_kernarg_preload_offset 0
		.amdhsa_user_sgpr_private_segment_size 0
		.amdhsa_uses_dynamic_stack 0
		.amdhsa_enable_private_segment 0
		.amdhsa_system_sgpr_workgroup_id_x 1
		.amdhsa_system_sgpr_workgroup_id_y 1
		.amdhsa_system_sgpr_workgroup_id_z 1
		.amdhsa_system_sgpr_workgroup_info 0
		.amdhsa_system_vgpr_workitem_id 0
		.amdhsa_next_free_vgpr 86
		.amdhsa_next_free_sgpr 50
		.amdhsa_accum_offset 88
		.amdhsa_reserve_vcc 1
		.amdhsa_float_round_mode_32 0
		.amdhsa_float_round_mode_16_64 0
		.amdhsa_float_denorm_mode_32 3
		.amdhsa_float_denorm_mode_16_64 3
		.amdhsa_dx10_clamp 1
		.amdhsa_ieee_mode 1
		.amdhsa_fp16_overflow 0
		.amdhsa_tg_split 0
		.amdhsa_exception_fp_ieee_invalid_op 0
		.amdhsa_exception_fp_denorm_src 0
		.amdhsa_exception_fp_ieee_div_zero 0
		.amdhsa_exception_fp_ieee_overflow 0
		.amdhsa_exception_fp_ieee_underflow 0
		.amdhsa_exception_fp_ieee_inexact 0
		.amdhsa_exception_int_div_zero 0
	.end_amdhsa_kernel
	.section	.text._Z39paged_attention_ll4mi_QKV_mfma16_kernelI14__hip_bfloat16hLN4vllm18Fp8KVCacheDataTypeE1EhLi16ELi128ELi256ELb0ELi9EEvPKT_PKT0_S8_ifPKiSA_SA_iPKfiiiPfSD_PS3_PT2_iSC_SC_,"axG",@progbits,_Z39paged_attention_ll4mi_QKV_mfma16_kernelI14__hip_bfloat16hLN4vllm18Fp8KVCacheDataTypeE1EhLi16ELi128ELi256ELb0ELi9EEvPKT_PKT0_S8_ifPKiSA_SA_iPKfiiiPfSD_PS3_PT2_iSC_SC_,comdat
.Lfunc_end1276:
	.size	_Z39paged_attention_ll4mi_QKV_mfma16_kernelI14__hip_bfloat16hLN4vllm18Fp8KVCacheDataTypeE1EhLi16ELi128ELi256ELb0ELi9EEvPKT_PKT0_S8_ifPKiSA_SA_iPKfiiiPfSD_PS3_PT2_iSC_SC_, .Lfunc_end1276-_Z39paged_attention_ll4mi_QKV_mfma16_kernelI14__hip_bfloat16hLN4vllm18Fp8KVCacheDataTypeE1EhLi16ELi128ELi256ELb0ELi9EEvPKT_PKT0_S8_ifPKiSA_SA_iPKfiiiPfSD_PS3_PT2_iSC_SC_
                                        ; -- End function
	.section	.AMDGPU.csdata,"",@progbits
; Kernel info:
; codeLenInByte = 6344
; NumSgprs: 56
; NumVgprs: 86
; NumAgprs: 0
; TotalNumVgprs: 86
; ScratchSize: 0
; MemoryBound: 0
; FloatMode: 240
; IeeeMode: 1
; LDSByteSize: 8192 bytes/workgroup (compile time only)
; SGPRBlocks: 6
; VGPRBlocks: 10
; NumSGPRsForWavesPerEU: 56
; NumVGPRsForWavesPerEU: 86
; AccumOffset: 88
; Occupancy: 5
; WaveLimiterHint : 1
; COMPUTE_PGM_RSRC2:SCRATCH_EN: 0
; COMPUTE_PGM_RSRC2:USER_SGPR: 2
; COMPUTE_PGM_RSRC2:TRAP_HANDLER: 0
; COMPUTE_PGM_RSRC2:TGID_X_EN: 1
; COMPUTE_PGM_RSRC2:TGID_Y_EN: 1
; COMPUTE_PGM_RSRC2:TGID_Z_EN: 1
; COMPUTE_PGM_RSRC2:TIDIG_COMP_CNT: 0
; COMPUTE_PGM_RSRC3_GFX90A:ACCUM_OFFSET: 21
; COMPUTE_PGM_RSRC3_GFX90A:TG_SPLIT: 0
	.section	.text._Z39paged_attention_ll4mi_QKV_mfma16_kernelI14__hip_bfloat16hLN4vllm18Fp8KVCacheDataTypeE1EhLi16ELi128ELi256ELb0ELi10EEvPKT_PKT0_S8_ifPKiSA_SA_iPKfiiiPfSD_PS3_PT2_iSC_SC_,"axG",@progbits,_Z39paged_attention_ll4mi_QKV_mfma16_kernelI14__hip_bfloat16hLN4vllm18Fp8KVCacheDataTypeE1EhLi16ELi128ELi256ELb0ELi10EEvPKT_PKT0_S8_ifPKiSA_SA_iPKfiiiPfSD_PS3_PT2_iSC_SC_,comdat
	.protected	_Z39paged_attention_ll4mi_QKV_mfma16_kernelI14__hip_bfloat16hLN4vllm18Fp8KVCacheDataTypeE1EhLi16ELi128ELi256ELb0ELi10EEvPKT_PKT0_S8_ifPKiSA_SA_iPKfiiiPfSD_PS3_PT2_iSC_SC_ ; -- Begin function _Z39paged_attention_ll4mi_QKV_mfma16_kernelI14__hip_bfloat16hLN4vllm18Fp8KVCacheDataTypeE1EhLi16ELi128ELi256ELb0ELi10EEvPKT_PKT0_S8_ifPKiSA_SA_iPKfiiiPfSD_PS3_PT2_iSC_SC_
	.globl	_Z39paged_attention_ll4mi_QKV_mfma16_kernelI14__hip_bfloat16hLN4vllm18Fp8KVCacheDataTypeE1EhLi16ELi128ELi256ELb0ELi10EEvPKT_PKT0_S8_ifPKiSA_SA_iPKfiiiPfSD_PS3_PT2_iSC_SC_
	.p2align	8
	.type	_Z39paged_attention_ll4mi_QKV_mfma16_kernelI14__hip_bfloat16hLN4vllm18Fp8KVCacheDataTypeE1EhLi16ELi128ELi256ELb0ELi10EEvPKT_PKT0_S8_ifPKiSA_SA_iPKfiiiPfSD_PS3_PT2_iSC_SC_,@function
_Z39paged_attention_ll4mi_QKV_mfma16_kernelI14__hip_bfloat16hLN4vllm18Fp8KVCacheDataTypeE1EhLi16ELi128ELi256ELb0ELi10EEvPKT_PKT0_S8_ifPKiSA_SA_iPKfiiiPfSD_PS3_PT2_iSC_SC_: ; @_Z39paged_attention_ll4mi_QKV_mfma16_kernelI14__hip_bfloat16hLN4vllm18Fp8KVCacheDataTypeE1EhLi16ELi128ELi256ELb0ELi10EEvPKT_PKT0_S8_ifPKiSA_SA_iPKfiiiPfSD_PS3_PT2_iSC_SC_
; %bb.0:
	s_load_dwordx2 s[12:13], s[0:1], 0x30
	s_mov_b32 s24, s3
	s_mov_b64 s[6:7], 0
	s_waitcnt lgkmcnt(0)
	s_cmp_lg_u64 s[12:13], 0
	s_cselect_b64 s[14:15], -1, 0
	s_and_b64 vcc, exec, s[14:15]
	s_cbranch_vccz .LBB1277_7
; %bb.1:
	s_add_i32 s8, s2, 1
	s_mov_b32 s9, 0
	s_lshl_b64 s[10:11], s[8:9], 2
	s_add_u32 s10, s12, s10
	s_mov_b32 s3, s9
	s_addc_u32 s11, s13, s11
	s_lshl_b64 s[8:9], s[2:3], 2
	s_add_u32 s8, s12, s8
	s_addc_u32 s9, s13, s9
	s_load_dword s5, s[10:11], 0x0
	s_load_dword s16, s[8:9], 0x0
	s_waitcnt lgkmcnt(0)
	s_sub_i32 s5, s5, s16
	s_cmp_eq_u32 s5, 1
	s_cselect_b64 s[8:9], -1, 0
	s_andn2_b64 vcc, exec, s[6:7]
	s_cbranch_vccnz .LBB1277_3
.LBB1277_2:
	s_mov_b32 s3, 0
	s_mov_b64 s[8:9], -1
.LBB1277_3:
	s_andn2_b64 vcc, exec, s[8:9]
	s_cbranch_vccnz .LBB1277_18
; %bb.4:
	s_load_dwordx2 s[6:7], s[0:1], 0x28
	s_lshl_b64 s[16:17], s[2:3], 2
	s_waitcnt lgkmcnt(0)
	s_add_u32 s6, s6, s16
	s_addc_u32 s7, s7, s17
	s_load_dword s33, s[6:7], 0x0
	s_lshl_b32 s18, s24, 8
	s_waitcnt lgkmcnt(0)
	s_cmp_ge_i32 s18, s33
	s_cbranch_scc1 .LBB1277_18
; %bb.5:
	s_load_dwordx2 s[6:7], s[0:1], 0x20
	s_load_dword s8, s[0:1], 0x38
	s_add_i32 s5, s33, 15
	s_ashr_i32 s9, s5, 31
	v_and_b32_e32 v1, 0xcf, v0
	s_lshr_b32 s9, s9, 28
	v_add_u32_e32 v1, s18, v1
	s_add_i32 s5, s5, s9
	v_ashrrev_i32_e32 v2, 31, v1
	s_ashr_i32 s5, s5, 4
	v_lshrrev_b32_e32 v10, 28, v2
	s_add_i32 s5, s5, -1
	s_waitcnt lgkmcnt(0)
	s_mul_i32 s8, s2, s8
	s_mov_b32 s9, 0
	v_add_u32_e32 v2, v1, v10
	s_lshl_b64 s[8:9], s[8:9], 2
	v_ashrrev_i32_e32 v2, 4, v2
	v_mov_b32_e32 v11, s5
	v_cmp_gt_i32_e32 vcc, s33, v1
	s_add_u32 s6, s6, s8
	s_addc_u32 s7, s7, s9
	v_cndmask_b32_e32 v2, v11, v2, vcc
	v_ashrrev_i32_e32 v3, 31, v2
	v_lshl_add_u64 v[4:5], v[2:3], 2, s[6:7]
	v_or_b32_e32 v2, 16, v1
	v_add_u32_e32 v3, v2, v10
	v_ashrrev_i32_e32 v3, 4, v3
	v_cmp_gt_i32_e32 vcc, s33, v2
	s_load_dwordx4 s[8:11], s[0:1], 0x8
	s_nop 0
	v_cndmask_b32_e32 v2, v11, v3, vcc
	v_ashrrev_i32_e32 v3, 31, v2
	v_lshl_add_u64 v[6:7], v[2:3], 2, s[6:7]
	v_or_b32_e32 v2, 32, v1
	v_add_u32_e32 v3, v2, v10
	v_ashrrev_i32_e32 v3, 4, v3
	v_cmp_gt_i32_e32 vcc, s33, v2
	v_or_b32_e32 v1, 48, v1
	s_nop 0
	v_cndmask_b32_e32 v2, v11, v3, vcc
	v_ashrrev_i32_e32 v3, 31, v2
	v_lshl_add_u64 v[8:9], v[2:3], 2, s[6:7]
	v_add_u32_e32 v2, v1, v10
	v_ashrrev_i32_e32 v2, 4, v2
	v_cmp_gt_i32_e32 vcc, s33, v1
	s_nop 1
	v_cndmask_b32_e32 v2, v11, v2, vcc
	v_ashrrev_i32_e32 v3, 31, v2
	v_lshl_add_u64 v[10:11], v[2:3], 2, s[6:7]
	global_load_dword v3, v[4:5], off
	global_load_dword v2, v[6:7], off
	;; [unrolled: 1-line block ×4, first 2 shown]
	s_andn2_b64 vcc, exec, s[14:15]
	s_cbranch_vccnz .LBB1277_8
; %bb.6:
	s_add_u32 s12, s12, s16
	s_addc_u32 s13, s13, s17
	s_load_dword s14, s[12:13], 0x0
	s_branch .LBB1277_9
.LBB1277_7:
	s_mov_b64 s[8:9], 0
	s_branch .LBB1277_2
.LBB1277_8:
	s_mov_b32 s14, s2
.LBB1277_9:
	s_load_dwordx4 s[44:47], s[0:1], 0x48
	v_lshrrev_b32_e32 v61, 6, v0
	v_bfe_u32 v64, v0, 4, 2
	v_and_b32_e32 v60, 15, v0
	v_lshl_or_b32 v4, v61, 2, v64
	v_lshlrev_b32_e32 v1, 3, v60
	v_and_b32_e32 v65, 63, v0
	s_mul_i32 s48, s4, 10
	v_cmp_gt_u32_e32 vcc, 10, v4
	v_lshlrev_b32_e32 v58, 1, v1
	v_lshlrev_b32_e32 v1, 4, v0
	s_and_saveexec_b64 s[12:13], vcc
	s_cbranch_execz .LBB1277_11
; %bb.10:
	s_load_dwordx2 s[16:17], s[0:1], 0x0
	s_waitcnt lgkmcnt(0)
	s_ashr_i32 s15, s44, 31
	s_mul_hi_u32 s19, s14, s44
	s_mul_i32 s15, s14, s15
	s_add_i32 s15, s19, s15
	s_mul_i32 s14, s14, s44
	s_lshl_b64 s[14:15], s[14:15], 1
	s_add_u32 s14, s16, s14
	v_add_lshl_u32 v6, v4, s48, 7
	s_addc_u32 s15, s17, s15
	v_ashrrev_i32_e32 v7, 31, v6
	v_lshl_add_u64 v[6:7], v[6:7], 1, s[14:15]
	v_mov_b32_e32 v59, 0
	v_lshl_add_u64 v[6:7], v[6:7], 0, v[58:59]
	global_load_dwordx4 v[6:9], v[6:7], off
	v_lshlrev_b32_e32 v10, 8, v0
	v_lshlrev_b32_e32 v5, 8, v60
	v_and_b32_e32 v10, 0x600, v10
	s_movk_i32 s14, 0x800
	v_and_or_b32 v5, v5, s14, v10
	v_lshlrev_b32_e32 v4, 5, v4
	v_and_b32_e32 v10, 16, v1
	v_or3_b32 v4, v5, v4, v10
	s_waitcnt vmcnt(0)
	ds_write_b128 v4, v[6:9]
.LBB1277_11:
	s_or_b64 exec, exec, s[12:13]
	s_waitcnt lgkmcnt(0)
	s_mul_i32 s4, s4, s46
	s_add_u32 s8, s8, s4
	s_addc_u32 s9, s9, 0
	v_and_b32_e32 v62, 0xf0, v1
	v_mov_b32_e32 v63, 0
	v_and_b32_e32 v6, 48, v0
	v_lshl_add_u64 v[30:31], s[8:9], 0, v[62:63]
	v_lshlrev_b32_e32 v62, 4, v6
	s_waitcnt vmcnt(3)
	v_mad_i64_i32 v[4:5], s[8:9], v3, s45, v[30:31]
	v_lshl_add_u64 v[4:5], v[4:5], 0, v[62:63]
	s_load_dword s25, s[0:1], 0x98
	s_load_dwordx4 s[40:43], s[0:1], 0x80
	s_waitcnt lgkmcnt(0)
	s_barrier
	global_load_dwordx4 v[22:25], v[4:5], off
	global_load_dwordx4 v[14:17], v[4:5], off offset:1024
	s_waitcnt vmcnt(4)
	v_mad_i64_i32 v[2:3], s[8:9], v2, s45, v[30:31]
	v_lshl_add_u64 v[32:33], v[2:3], 0, v[62:63]
	global_load_dwordx4 v[2:5], v[32:33], off
	v_add_u32_e32 v7, -10, v60
	v_cmp_gt_u32_e32 vcc, 10, v60
	v_or_b32_e32 v6, s18, v6
	v_mov_b32_e32 v41, s5
	v_cndmask_b32_e32 v7, v7, v60, vcc
	v_lshlrev_b32_e32 v7, 5, v7
	v_ashrrev_i32_e32 v8, 4, v6
	v_lshl_add_u32 v7, v64, 9, v7
	v_cmp_gt_i32_e32 vcc, s33, v6
	v_or_b32_e32 v40, 64, v6
	v_or_b32_e32 v42, 0x80, v6
	;; [unrolled: 1-line block ×3, first 2 shown]
	v_cndmask_b32_e32 v38, v41, v8, vcc
	ds_read_b128 v[26:29], v7
	ds_read_b128 v[18:21], v7 offset:16
	ds_read_b128 v[10:13], v7 offset:2048
	;; [unrolled: 1-line block ×3, first 2 shown]
	s_waitcnt vmcnt(4)
	v_mad_i64_i32 v[36:37], s[12:13], v34, s45, v[30:31]
	s_waitcnt vmcnt(3)
	v_mad_i64_i32 v[34:35], s[12:13], v35, s45, v[30:31]
	global_load_dwordx4 v[30:33], v[32:33], off offset:1024
	v_ashrrev_i32_e32 v44, 4, v40
	v_cmp_gt_i32_e32 vcc, s33, v40
	v_ashrrev_i32_e32 v45, 4, v42
	v_ashrrev_i32_e32 v46, 4, v43
	v_cndmask_b32_e32 v40, v41, v44, vcc
	v_cmp_gt_i32_e32 vcc, s33, v42
	v_ashrrev_i32_e32 v39, 31, v38
	v_lshl_add_u64 v[36:37], v[36:37], 0, v[62:63]
	v_cndmask_b32_e32 v42, v41, v45, vcc
	v_cmp_gt_i32_e32 vcc, s33, v43
	v_lshl_add_u64 v[34:35], v[34:35], 0, v[62:63]
	v_ashrrev_i32_e32 v43, 31, v42
	v_cndmask_b32_e32 v44, v41, v46, vcc
	v_ashrrev_i32_e32 v41, 31, v40
	v_ashrrev_i32_e32 v45, 31, v44
	v_lshl_add_u64 v[50:51], v[38:39], 2, s[6:7]
	v_lshl_add_u64 v[52:53], v[40:41], 2, s[6:7]
	;; [unrolled: 1-line block ×4, first 2 shown]
	global_load_dwordx4 v[46:49], v[36:37], off
	global_load_dwordx4 v[42:45], v[36:37], off offset:1024
	global_load_dwordx4 v[38:41], v[34:35], off
	s_nop 0
	global_load_dwordx4 v[34:37], v[34:35], off offset:1024
	s_nop 0
	global_load_dword v69, v[50:51], off
	global_load_dword v68, v[52:53], off
	global_load_dword v67, v[54:55], off
	global_load_dword v66, v[56:57], off
	s_mov_b32 s44, 0x7060302
	s_add_u32 s4, s10, s4
	v_lshl_or_b32 v59, v61, 4, v60
	s_addc_u32 s5, s11, 0
	v_lshlrev_b32_e32 v62, 4, v59
	s_load_dword s8, s[0:1], 0x1c
	s_waitcnt vmcnt(11)
	v_cvt_pk_f32_fp8_e32 v[50:51], v22
	v_cvt_pk_f32_fp8_sdwa v[52:53], v22 src0_sel:WORD_1
	v_cvt_pk_f32_fp8_e32 v[54:55], v23
	v_cvt_pk_f32_fp8_sdwa v[22:23], v23 src0_sel:WORD_1
	s_waitcnt vmcnt(10)
	v_cvt_pk_f32_fp8_e32 v[76:77], v14
	v_cvt_pk_f32_fp8_sdwa v[78:79], v14 src0_sel:WORD_1
	v_cvt_pk_f32_fp8_e32 v[80:81], v15
	v_cvt_pk_f32_fp8_sdwa v[82:83], v15 src0_sel:WORD_1
	v_perm_b32 v14, v51, v50, s44
	v_perm_b32 v15, v53, v52, s44
	v_cvt_pk_f32_fp8_e32 v[56:57], v24
	v_cvt_pk_f32_fp8_sdwa v[70:71], v24 src0_sel:WORD_1
	v_perm_b32 v54, v55, v54, s44
	v_perm_b32 v55, v23, v22, s44
	v_cvt_pk_f32_fp8_e32 v[72:73], v25
	v_cvt_pk_f32_fp8_sdwa v[74:75], v25 src0_sel:WORD_1
	s_waitcnt lgkmcnt(0)
	v_mfma_f32_16x16x16_bf16 v[22:25], v[14:15], v[26:27], 0
	v_perm_b32 v14, v57, v56, s44
	v_perm_b32 v15, v71, v70, s44
	;; [unrolled: 1-line block ×3, first 2 shown]
	v_mfma_f32_16x16x16_bf16 v[22:25], v[54:55], v[28:29], v[22:25]
	v_perm_b32 v57, v75, v74, s44
	v_cvt_pk_f32_fp8_e32 v[50:51], v16
	v_cvt_pk_f32_fp8_sdwa v[52:53], v16 src0_sel:WORD_1
	v_cvt_pk_f32_fp8_e32 v[84:85], v17
	v_cvt_pk_f32_fp8_sdwa v[54:55], v17 src0_sel:WORD_1
	v_mfma_f32_16x16x16_bf16 v[14:17], v[14:15], v[18:19], v[22:25]
	v_perm_b32 v70, v81, v80, s44
	v_perm_b32 v71, v83, v82, s44
	;; [unrolled: 1-line block ×5, first 2 shown]
	v_mfma_f32_16x16x16_bf16 v[14:17], v[56:57], v[20:21], v[14:17]
	s_waitcnt vmcnt(9)
	v_cvt_pk_f32_fp8_e32 v[22:23], v2
	v_cvt_pk_f32_fp8_sdwa v[56:57], v2 src0_sel:WORD_1
	v_perm_b32 v51, v53, v52, s44
	v_mfma_f32_16x16x16_bf16 v[14:17], v[24:25], v[10:11], v[14:17]
	v_cvt_pk_f32_fp8_e32 v[24:25], v3
	v_cvt_pk_f32_fp8_sdwa v[2:3], v3 src0_sel:WORD_1
	v_perm_b32 v52, v85, v84, s44
	v_mfma_f32_16x16x16_bf16 v[14:17], v[70:71], v[12:13], v[14:17]
	v_perm_b32 v53, v55, v54, s44
	v_perm_b32 v22, v23, v22, s44
	;; [unrolled: 1-line block ×3, first 2 shown]
	v_mfma_f32_16x16x16_bf16 v[14:17], v[50:51], v[6:7], v[14:17]
	v_cvt_pk_f32_fp8_e32 v[54:55], v4
	v_cvt_pk_f32_fp8_sdwa v[56:57], v4 src0_sel:WORD_1
	v_perm_b32 v24, v25, v24, s44
	v_perm_b32 v25, v3, v2, s44
	v_mfma_f32_16x16x16_bf16 v[50:53], v[52:53], v[8:9], v[14:17]
	s_waitcnt vmcnt(7)
	v_cvt_pk_f32_fp8_e32 v[72:73], v49
	v_lshl_add_u64 v[70:71], s[4:5], 0, v[62:63]
	s_waitcnt vmcnt(6)
	v_cvt_pk_f32_fp8_sdwa v[76:77], v44 src0_sel:WORD_1
	v_mfma_f32_16x16x16_bf16 v[14:17], v[22:23], v[26:27], 0
	v_perm_b32 v22, v55, v54, s44
	v_perm_b32 v23, v57, v56, s44
	v_cvt_pk_f32_fp8_e32 v[54:55], v5
	v_cvt_pk_f32_fp8_sdwa v[56:57], v5 src0_sel:WORD_1
	v_mfma_f32_16x16x16_bf16 v[2:5], v[24:25], v[28:29], v[14:17]
	v_cvt_pk_f32_fp8_e32 v[24:25], v32
	v_or_b32_e32 v62, 0x400, v62
	s_nop 0
	v_perm_b32 v14, v55, v54, s44
	v_perm_b32 v15, v57, v56, s44
	v_mfma_f32_16x16x16_bf16 v[2:5], v[22:23], v[18:19], v[2:5]
	v_cvt_pk_f32_fp8_e32 v[16:17], v30
	v_cvt_pk_f32_fp8_sdwa v[22:23], v30 src0_sel:WORD_1
	v_perm_b32 v16, v17, v16, s44
	v_mfma_f32_16x16x16_bf16 v[2:5], v[14:15], v[20:21], v[2:5]
	v_cvt_pk_f32_fp8_e32 v[14:15], v31
	v_perm_b32 v17, v23, v22, s44
	v_cvt_pk_f32_fp8_sdwa v[22:23], v31 src0_sel:WORD_1
	v_cvt_pk_f32_fp8_sdwa v[30:31], v32 src0_sel:WORD_1
	v_perm_b32 v14, v15, v14, s44
	v_mfma_f32_16x16x16_bf16 v[2:5], v[16:17], v[10:11], v[2:5]
	v_perm_b32 v15, v23, v22, s44
	v_perm_b32 v16, v25, v24, s44
	;; [unrolled: 1-line block ×3, first 2 shown]
	v_cvt_pk_f32_fp8_e32 v[22:23], v33
	v_cvt_pk_f32_fp8_sdwa v[24:25], v33 src0_sel:WORD_1
	v_mfma_f32_16x16x16_bf16 v[2:5], v[14:15], v[12:13], v[2:5]
	v_perm_b32 v14, v23, v22, s44
	v_perm_b32 v15, v25, v24, s44
	v_mfma_f32_16x16x16_bf16 v[2:5], v[16:17], v[6:7], v[2:5]
	v_cvt_pk_f32_fp8_e32 v[16:17], v46
	v_cvt_pk_f32_fp8_sdwa v[22:23], v46 src0_sel:WORD_1
	v_cvt_pk_f32_fp8_sdwa v[24:25], v48 src0_sel:WORD_1
	v_mfma_f32_16x16x16_bf16 v[54:57], v[14:15], v[8:9], v[2:5]
	v_cvt_pk_f32_fp8_sdwa v[14:15], v47 src0_sel:WORD_1
	s_nop 1
	v_perm_b32 v2, v17, v16, s44
	v_perm_b32 v3, v23, v22, s44
	v_cvt_pk_f32_fp8_e32 v[4:5], v47
	v_perm_b32 v23, v15, v14, s44
	v_cvt_pk_f32_fp8_e32 v[14:15], v48
	v_cvt_pk_f32_fp8_sdwa v[48:49], v49 src0_sel:WORD_1
	v_perm_b32 v22, v5, v4, s44
	v_mfma_f32_16x16x16_bf16 v[2:5], v[2:3], v[26:27], 0
	v_perm_b32 v14, v15, v14, s44
	v_perm_b32 v15, v25, v24, s44
	s_waitcnt vmcnt(3)
	v_mad_i64_i32 v[16:17], s[6:7], v69, s45, v[70:71]
	v_mfma_f32_16x16x16_bf16 v[2:5], v[22:23], v[28:29], v[2:5]
	s_waitcnt vmcnt(2)
	v_mad_i64_i32 v[46:47], s[6:7], v68, s45, v[70:71]
	global_load_dwordx4 v[30:33], v[16:17], off
	global_load_dwordx4 v[22:25], v[46:47], off
	v_perm_b32 v16, v73, v72, s44
	v_perm_b32 v17, v49, v48, s44
	v_mfma_f32_16x16x16_bf16 v[2:5], v[14:15], v[18:19], v[2:5]
	v_cvt_pk_f32_fp8_e32 v[14:15], v42
	v_cvt_pk_f32_fp8_sdwa v[46:47], v42 src0_sel:WORD_1
	s_waitcnt vmcnt(3)
	v_mad_i64_i32 v[72:73], s[6:7], v67, s45, v[70:71]
	v_mfma_f32_16x16x16_bf16 v[2:5], v[16:17], v[20:21], v[2:5]
	v_perm_b32 v14, v15, v14, s44
	v_perm_b32 v15, v47, v46, s44
	v_cvt_pk_f32_fp8_e32 v[16:17], v43
	v_cvt_pk_f32_fp8_sdwa v[42:43], v43 src0_sel:WORD_1
	v_mfma_f32_16x16x16_bf16 v[46:49], v[14:15], v[10:11], v[2:5]
	v_perm_b32 v74, v17, v16, s44
	v_perm_b32 v75, v43, v42, s44
	v_cvt_pk_f32_fp8_e32 v[42:43], v44
	s_waitcnt vmcnt(2)
	v_mad_i64_i32 v[70:71], s[6:7], v66, s45, v[70:71]
	global_load_dwordx4 v[14:17], v[72:73], off
	global_load_dwordx4 v[2:5], v[70:71], off
	v_perm_b32 v70, v43, v42, s44
	v_perm_b32 v71, v77, v76, s44
	v_cvt_pk_f32_fp8_e32 v[72:73], v45
	v_cvt_pk_f32_fp8_sdwa v[76:77], v45 src0_sel:WORD_1
	v_mfma_f32_16x16x16_bf16 v[44:47], v[74:75], v[12:13], v[46:49]
	v_lshl_add_u64 v[42:43], s[4:5], 0, v[62:63]
	v_cvt_pk_f32_fp8_e32 v[62:63], v38
	s_load_dword s4, s[40:41], 0x0
	v_perm_b32 v48, v73, v72, s44
	v_perm_b32 v49, v77, v76, s44
	v_mfma_f32_16x16x16_bf16 v[44:47], v[70:71], v[6:7], v[44:47]
	v_cvt_pk_f32_fp8_sdwa v[70:71], v38 src0_sel:WORD_1
	v_perm_b32 v62, v63, v62, s44
	v_cvt_pk_f32_fp8_e32 v[74:75], v40
	v_mfma_f32_16x16x16_bf16 v[46:49], v[48:49], v[8:9], v[44:47]
	v_perm_b32 v63, v71, v70, s44
	v_cvt_pk_f32_fp8_sdwa v[76:77], v40 src0_sel:WORD_1
	s_mov_b32 s40, 0xff7fffff
	v_cvt_pk_f32_fp8_e32 v[44:45], v39
	v_cvt_pk_f32_fp8_sdwa v[38:39], v39 src0_sel:WORD_1
	v_mfma_f32_16x16x16_bf16 v[70:73], v[62:63], v[26:27], 0
	v_cvt_pk_f32_fp8_e32 v[62:63], v41
	v_perm_b32 v44, v45, v44, s44
	v_perm_b32 v45, v39, v38, s44
	;; [unrolled: 1-line block ×4, first 2 shown]
	v_cvt_pk_f32_fp8_sdwa v[40:41], v41 src0_sel:WORD_1
	v_mov_b32_e32 v26, s8
	s_waitcnt lgkmcnt(0)
	v_mul_f32_e32 v74, s4, v26
	v_mfma_f32_16x16x16_bf16 v[26:29], v[44:45], v[28:29], v[70:73]
	v_pk_mul_f32 v[44:45], v[74:75], v[52:53] op_sel_hi:[0,1]
	v_perm_b32 v52, v63, v62, s44
	v_perm_b32 v53, v41, v40, s44
	v_mfma_f32_16x16x16_bf16 v[26:29], v[38:39], v[18:19], v[26:29]
	v_cvt_pk_f32_fp8_e32 v[18:19], v34
	v_cvt_pk_f32_fp8_sdwa v[38:39], v34 src0_sel:WORD_1
	v_pk_mul_f32 v[50:51], v[74:75], v[50:51] op_sel_hi:[0,1]
	v_mfma_f32_16x16x16_bf16 v[26:29], v[52:53], v[20:21], v[26:29]
	v_perm_b32 v20, v19, v18, s44
	v_perm_b32 v21, v39, v38, s44
	v_cvt_pk_f32_fp8_e32 v[38:39], v35
	v_cvt_pk_f32_fp8_sdwa v[34:35], v35 src0_sel:WORD_1
	v_mfma_f32_16x16x16_bf16 v[26:29], v[20:21], v[10:11], v[26:29]
	v_perm_b32 v38, v39, v38, s44
	v_perm_b32 v39, v35, v34, s44
	v_cvt_pk_f32_fp8_e32 v[10:11], v36
	v_cvt_pk_f32_fp8_sdwa v[20:21], v36 src0_sel:WORD_1
	v_pk_mul_f32 v[52:53], v[74:75], v[54:55] op_sel_hi:[0,1]
	v_pk_mul_f32 v[34:35], v[74:75], v[56:57] op_sel_hi:[0,1]
	v_perm_b32 v40, v11, v10, s44
	v_perm_b32 v41, v21, v20, s44
	v_cvt_pk_f32_fp8_e32 v[20:21], v37
	v_cvt_pk_f32_fp8_sdwa v[36:37], v37 src0_sel:WORD_1
	v_mfma_f32_16x16x16_bf16 v[10:13], v[38:39], v[12:13], v[26:29]
	v_pk_mul_f32 v[46:47], v[74:75], v[46:47] op_sel_hi:[0,1]
	v_perm_b32 v20, v21, v20, s44
	v_perm_b32 v21, v37, v36, s44
	v_mfma_f32_16x16x16_bf16 v[10:13], v[40:41], v[6:7], v[10:13]
	v_pk_mul_f32 v[40:41], v[74:75], v[48:49] op_sel_hi:[0,1]
	v_mad_i64_i32 v[18:19], s[4:5], v69, s45, v[42:43]
	v_mfma_f32_16x16x16_bf16 v[6:9], v[20:21], v[8:9], v[10:13]
	v_mad_i64_i32 v[62:63], s[4:5], v68, s45, v[42:43]
	global_load_dwordx4 v[26:29], v[18:19], off
	s_nop 0
	global_load_dwordx4 v[18:21], v[62:63], off
	s_nop 2
	v_pk_mul_f32 v[48:49], v[74:75], v[6:7] op_sel_hi:[0,1]
	v_and_b32_e32 v6, 0xc0, v0
	v_add_u32_e32 v6, s18, v6
	v_lshl_or_b32 v6, v64, 2, v6
	v_pk_mul_f32 v[38:39], v[74:75], v[8:9] op_sel_hi:[0,1]
	v_or_b32_e32 v9, 1, v6
	v_mov_b32_e32 v7, 0xff7fffff
	v_cmp_gt_i32_e64 s[26:27], s33, v6
	v_cmp_gt_i32_e64 s[28:29], s33, v9
	v_or_b32_e32 v10, 3, v6
	v_cndmask_b32_e64 v8, v7, v50, s[26:27]
	v_cndmask_b32_e64 v9, v7, v51, s[28:29]
	v_max3_f32 v8, v8, s40, v9
	v_or_b32_e32 v9, 2, v6
	v_cmp_gt_i32_e64 s[30:31], s33, v9
	v_cmp_gt_i32_e64 s[34:35], s33, v10
	s_nop 0
	v_cndmask_b32_e64 v9, v7, v44, s[30:31]
	v_cndmask_b32_e64 v10, v7, v45, s[34:35]
	v_max3_f32 v8, v8, v9, v10
	v_or_b32_e32 v9, 16, v6
	v_or_b32_e32 v10, 17, v6
	v_cmp_gt_i32_e64 s[18:19], s33, v9
	v_cmp_gt_i32_e64 s[20:21], s33, v10
	s_nop 0
	v_cndmask_b32_e64 v9, v7, v52, s[18:19]
	v_cndmask_b32_e64 v10, v7, v53, s[20:21]
	v_max3_f32 v8, v8, v9, v10
	v_or_b32_e32 v9, 18, v6
	;; [unrolled: 8-line block ×5, first 2 shown]
	v_or_b32_e32 v10, 49, v6
	v_cmp_gt_i32_e32 vcc, s33, v9
	v_cmp_gt_i32_e64 s[4:5], s33, v10
	s_nop 0
	v_cndmask_b32_e32 v9, v7, v48, vcc
	v_cndmask_b32_e64 v10, v7, v49, s[4:5]
	v_max3_f32 v8, v8, v9, v10
	v_or_b32_e32 v9, 50, v6
	v_or_b32_e32 v6, 51, v6
	v_cmp_gt_i32_e64 s[6:7], s33, v9
	v_cmp_gt_i32_e64 s[8:9], s33, v6
	s_nop 0
	v_cndmask_b32_e64 v9, v7, v38, s[6:7]
	v_cndmask_b32_e64 v6, v7, v39, s[8:9]
	v_max3_f32 v8, v8, v9, v6
	v_mbcnt_lo_u32_b32 v6, -1, 0
	v_mbcnt_hi_u32_b32 v9, -1, v6
	v_and_b32_e32 v6, 64, v9
	v_add_u32_e32 v10, 64, v6
	v_xor_b32_e32 v6, 32, v9
	v_cmp_lt_i32_e64 s[38:39], v6, v10
	s_nop 1
	v_cndmask_b32_e64 v6, v9, v6, s[38:39]
	v_lshlrev_b32_e32 v55, 2, v6
	ds_bpermute_b32 v11, v55, v8
	v_mad_i64_i32 v[6:7], s[38:39], v67, s45, v[42:43]
	s_waitcnt lgkmcnt(0)
	v_max_f32_e32 v11, v11, v11
	v_max_f32_e32 v36, v8, v11
	v_xor_b32_e32 v8, 16, v9
	v_cmp_lt_i32_e64 s[38:39], v8, v10
	s_nop 1
	v_cndmask_b32_e64 v8, v9, v8, s[38:39]
	v_lshlrev_b32_e32 v56, 2, v8
	v_mad_i64_i32 v[8:9], s[38:39], v66, s45, v[42:43]
	global_load_dwordx4 v[10:13], v[6:7], off
	s_nop 0
	global_load_dwordx4 v[6:9], v[8:9], off
	ds_bpermute_b32 v37, v56, v36
	s_waitcnt lgkmcnt(0)
	s_barrier
	v_max_f32_e32 v37, v37, v37
	v_max_f32_e32 v54, v36, v37
	v_sub_f32_e32 v42, v44, v54
	v_mul_f32_e32 v42, 0x3fb8aa3b, v42
	v_exp_f32_e32 v42, v42
	v_sub_f32_e32 v43, v45, v54
	v_mul_f32_e32 v43, 0x3fb8aa3b, v43
	v_exp_f32_e32 v43, v43
	v_cndmask_b32_e64 v44, 0, v42, s[30:31]
	v_sub_f32_e32 v42, v52, v54
	v_sub_f32_e32 v34, v34, v54
	v_mul_f32_e32 v42, 0x3fb8aa3b, v42
	v_mul_f32_e32 v34, 0x3fb8aa3b, v34
	v_sub_f32_e32 v36, v50, v54
	v_exp_f32_e32 v42, v42
	v_exp_f32_e32 v50, v34
	v_cndmask_b32_e64 v45, 0, v43, s[34:35]
	v_sub_f32_e32 v43, v53, v54
	v_sub_f32_e32 v34, v35, v54
	;; [unrolled: 1-line block ×4, first 2 shown]
	v_mul_f32_e32 v43, 0x3fb8aa3b, v43
	v_mul_f32_e32 v34, 0x3fb8aa3b, v34
	;; [unrolled: 1-line block ×4, first 2 shown]
	v_sub_f32_e32 v37, v51, v54
	v_exp_f32_e32 v43, v43
	v_exp_f32_e32 v51, v34
	v_cndmask_b32_e64 v34, 0, v42, s[18:19]
	v_cndmask_b32_e64 v42, 0, v50, s[22:23]
	v_exp_f32_e32 v46, v46
	v_exp_f32_e32 v50, v40
	v_mul_f32_e32 v36, 0x3fb8aa3b, v36
	v_sub_f32_e32 v47, v47, v54
	v_sub_f32_e32 v40, v41, v54
	;; [unrolled: 1-line block ×4, first 2 shown]
	v_exp_f32_e32 v36, v36
	v_mul_f32_e32 v37, 0x3fb8aa3b, v37
	v_mul_f32_e32 v47, 0x3fb8aa3b, v47
	;; [unrolled: 1-line block ×5, first 2 shown]
	v_exp_f32_e32 v37, v37
	v_cndmask_b32_e64 v35, 0, v43, s[20:21]
	v_cndmask_b32_e64 v43, 0, v51, s[36:37]
	v_exp_f32_e32 v47, v47
	v_exp_f32_e32 v51, v40
	v_cndmask_b32_e64 v40, 0, v46, s[10:11]
	v_cndmask_b32_e64 v46, 0, v50, s[14:15]
	v_exp_f32_e32 v48, v48
	v_exp_f32_e32 v50, v38
	v_sub_f32_e32 v38, v39, v54
	v_cndmask_b32_e64 v36, 0, v36, s[26:27]
	v_mul_f32_e32 v38, 0x3fb8aa3b, v38
	v_cndmask_b32_e64 v37, 0, v37, s[28:29]
	v_cndmask_b32_e64 v41, 0, v47, s[12:13]
	;; [unrolled: 1-line block ×3, first 2 shown]
	v_exp_f32_e32 v51, v38
	v_cndmask_b32_e32 v38, 0, v48, vcc
	v_cndmask_b32_e64 v48, 0, v50, s[6:7]
	v_add_f32_e32 v50, 0, v36
	v_add_f32_e32 v50, v50, v37
	;; [unrolled: 1-line block ×6, first 2 shown]
	v_sub_f32_e32 v49, v49, v54
	v_add_f32_e32 v50, v50, v42
	v_mul_f32_e32 v49, 0x3fb8aa3b, v49
	v_add_f32_e32 v50, v50, v43
	v_exp_f32_e32 v49, v49
	v_add_f32_e32 v50, v50, v40
	v_add_f32_e32 v50, v50, v41
	;; [unrolled: 1-line block ×4, first 2 shown]
	v_cndmask_b32_e64 v39, 0, v49, s[4:5]
	v_add_f32_e32 v50, v50, v38
	v_add_f32_e32 v50, v50, v39
	v_cndmask_b32_e64 v49, 0, v51, s[8:9]
	v_add_f32_e32 v50, v50, v48
	v_add_f32_e32 v50, v50, v49
	ds_bpermute_b32 v51, v55, v50
	v_cmp_gt_u32_e32 vcc, 16, v65
	s_waitcnt lgkmcnt(0)
	v_add_f32_e32 v50, v50, v51
	ds_bpermute_b32 v51, v56, v50
	s_and_saveexec_b64 s[4:5], vcc
	s_cbranch_execz .LBB1277_13
; %bb.12:
	s_waitcnt lgkmcnt(0)
	v_add_f32_e32 v50, v50, v51
	v_lshlrev_b32_e32 v51, 2, v59
	ds_write2st64_b32 v51, v54, v50 offset1:1
.LBB1277_13:
	s_or_b64 exec, exec, s[4:5]
	s_waitcnt lgkmcnt(0)
	v_lshlrev_b32_e32 v51, 2, v60
	s_load_dword s6, s[0:1], 0x94
	s_waitcnt lgkmcnt(0)
	s_barrier
	ds_read2_b32 v[52:53], v51 offset1:16
	ds_read2_b32 v[54:55], v51 offset0:32 offset1:48
	ds_read2_b32 v[56:57], v51 offset0:64 offset1:80
	s_movk_i32 s8, 0x7fff
	s_mul_i32 s7, s25, 10
	s_waitcnt lgkmcnt(2)
	v_max3_f32 v50, v52, s40, v53
	s_waitcnt lgkmcnt(1)
	v_max3_f32 v50, v50, v54, v55
	v_sub_f32_e32 v52, v52, v50
	v_mul_f32_e32 v52, 0x3fb8aa3b, v52
	v_exp_f32_e32 v59, v52
	v_sub_f32_e32 v52, v53, v50
	v_mul_f32_e32 v52, 0x3fb8aa3b, v52
	v_exp_f32_e32 v62, v52
	;; [unrolled: 3-line block ×3, first 2 shown]
	ds_read2_b32 v[52:53], v51 offset0:96 offset1:112
	v_sub_f32_e32 v51, v55, v50
	v_mul_f32_e32 v51, 0x3fb8aa3b, v51
	v_exp_f32_e32 v55, v51
	s_waitcnt lgkmcnt(1)
	v_fma_f32 v51, v59, v56, 0
	v_fmac_f32_e32 v51, v62, v57
	s_waitcnt lgkmcnt(0)
	v_fmac_f32_e32 v51, v54, v52
	v_fmac_f32_e32 v51, v55, v53
	v_add_f32_e32 v52, 0x358637bd, v51
	v_div_scale_f32 v53, s[4:5], v52, v52, 1.0
	v_rcp_f32_e32 v56, v53
	s_barrier
	v_fma_f32 v57, -v53, v56, 1.0
	v_fmac_f32_e32 v56, v57, v56
	v_div_scale_f32 v57, vcc, 1.0, v52, 1.0
	v_mul_f32_e32 v63, v57, v56
	v_fma_f32 v65, -v53, v63, v57
	v_fmac_f32_e32 v63, v65, v56
	v_fma_f32 v53, -v53, v63, v57
	v_div_fmas_f32 v53, v53, v56, v63
	v_cmp_eq_u32_e32 vcc, 1, v61
	v_div_fixup_f32 v52, v53, v52, 1.0
	s_nop 0
	v_cndmask_b32_e32 v53, v59, v62, vcc
	v_cmp_eq_u32_e32 vcc, 2, v61
	s_nop 1
	v_cndmask_b32_e32 v53, v53, v54, vcc
	v_cmp_eq_u32_e32 vcc, 3, v61
	s_nop 1
	v_cndmask_b32_e32 v53, v53, v55, vcc
	v_mul_f32_e32 v52, v53, v52
	v_pk_mul_f32 v[36:37], v[52:53], v[36:37] op_sel_hi:[0,1]
	v_pk_mul_f32 v[44:45], v[52:53], v[44:45] op_sel_hi:[0,1]
	v_bfe_u32 v53, v37, 16, 1
	v_bfe_u32 v54, v36, 16, 1
	v_add3_u32 v36, v36, v54, s8
	v_add3_u32 v37, v37, v53, s8
	v_perm_b32 v56, v37, v36, s44
	v_bfe_u32 v36, v45, 16, 1
	v_bfe_u32 v37, v44, 16, 1
	v_add3_u32 v37, v44, v37, s8
	v_add3_u32 v36, v45, v36, s8
	v_perm_b32 v57, v36, v37, s44
	v_lshlrev_b32_e32 v37, 3, v64
	v_lshlrev_b32_e32 v36, 5, v60
	;; [unrolled: 1-line block ×3, first 2 shown]
	v_pk_mul_f32 v[34:35], v[52:53], v[34:35] op_sel_hi:[0,1]
	v_or3_b32 v54, v44, v36, v37
	v_bfe_u32 v37, v35, 16, 1
	v_bfe_u32 v44, v34, 16, 1
	v_pk_mul_f32 v[42:43], v[52:53], v[42:43] op_sel_hi:[0,1]
	v_add3_u32 v34, v34, v44, s8
	v_add3_u32 v35, v35, v37, s8
	v_perm_b32 v34, v35, v34, s44
	v_bfe_u32 v35, v43, 16, 1
	v_bfe_u32 v37, v42, 16, 1
	v_add3_u32 v37, v42, v37, s8
	v_add3_u32 v35, v43, v35, s8
	v_pk_mul_f32 v[40:41], v[52:53], v[40:41] op_sel_hi:[0,1]
	v_perm_b32 v35, v35, v37, s44
	v_bfe_u32 v37, v41, 16, 1
	v_bfe_u32 v42, v40, 16, 1
	ds_write2st64_b64 v54, v[56:57], v[34:35] offset1:1
	v_pk_mul_f32 v[34:35], v[52:53], v[46:47] op_sel_hi:[0,1]
	v_add3_u32 v40, v40, v42, s8
	v_add3_u32 v37, v41, v37, s8
	v_perm_b32 v40, v37, v40, s44
	v_bfe_u32 v37, v35, 16, 1
	v_bfe_u32 v41, v34, 16, 1
	v_pk_mul_f32 v[38:39], v[52:53], v[38:39] op_sel_hi:[0,1]
	v_add3_u32 v34, v34, v41, s8
	v_add3_u32 v35, v35, v37, s8
	v_bfe_u32 v37, v39, 16, 1
	v_bfe_u32 v42, v38, 16, 1
	v_perm_b32 v41, v35, v34, s44
	v_pk_mul_f32 v[34:35], v[52:53], v[48:49] op_sel_hi:[0,1]
	v_add3_u32 v38, v38, v42, s8
	v_add3_u32 v37, v39, v37, s8
	v_perm_b32 v38, v37, v38, s44
	v_bfe_u32 v37, v35, 16, 1
	v_bfe_u32 v39, v34, 16, 1
	v_add3_u32 v34, v34, v39, s8
	v_add3_u32 v35, v35, v37, s8
	v_perm_b32 v39, v35, v34, s44
	v_cmp_gt_u32_e32 vcc, 10, v0
	ds_write2st64_b64 v54, v[40:41], v[38:39] offset0:2 offset1:3
	s_and_saveexec_b64 s[4:5], vcc
	s_cbranch_execz .LBB1277_15
; %bb.14:
	s_mov_b32 s49, 0
	v_mov_b32_e32 v61, 0
	v_lshl_add_u64 v[34:35], s[48:49], 0, v[60:61]
	v_mov_b32_e32 v37, s7
	v_mad_u64_u32 v[34:35], s[10:11], s2, v37, v[34:35]
	s_mul_i32 s3, s3, s7
	v_mov_b32_e32 v38, s24
	v_mov_b32_e32 v39, v61
	s_load_dwordx4 s[12:15], s[0:1], 0x58
	v_add_u32_e32 v37, s3, v35
	v_mad_u64_u32 v[34:35], s[10:11], v34, s6, v[38:39]
	v_mov_b32_e32 v38, v35
	v_mad_u64_u32 v[38:39], s[10:11], v37, s6, v[38:39]
	v_mov_b32_e32 v35, v38
	v_lshlrev_b64 v[34:35], 2, v[34:35]
	s_waitcnt lgkmcnt(0)
	v_lshl_add_u64 v[38:39], s[14:15], 0, v[34:35]
	v_lshl_add_u64 v[34:35], s[12:13], 0, v[34:35]
	global_store_dword v[38:39], v50, off
	global_store_dword v[34:35], v51, off
.LBB1277_15:
	s_or_b64 exec, exec, s[4:5]
	v_lshl_or_b32 v50, v64, 9, v36
	s_waitcnt vmcnt(7)
	v_cvt_pk_f32_fp8_e32 v[34:35], v30
	v_cvt_pk_f32_fp8_sdwa v[36:37], v30 src0_sel:WORD_1
	s_mov_b32 s5, 0x7060302
	s_waitcnt lgkmcnt(0)
	s_barrier
	v_cvt_pk_f32_fp8_e32 v[38:39], v31
	v_perm_b32 v30, v35, v34, s5
	v_cvt_pk_f32_fp8_sdwa v[40:41], v31 src0_sel:WORD_1
	v_perm_b32 v31, v37, v36, s5
	ds_read_b128 v[34:37], v50
	v_perm_b32 v46, v39, v38, s5
	v_perm_b32 v47, v41, v40, s5
	ds_read_b128 v[38:41], v50 offset:16
	v_cvt_pk_f32_fp8_e32 v[48:49], v32
	v_cvt_pk_f32_fp8_sdwa v[52:53], v32 src0_sel:WORD_1
	s_waitcnt lgkmcnt(1)
	v_mfma_f32_16x16x16_bf16 v[42:45], v[30:31], v[34:35], 0
	s_waitcnt vmcnt(6)
	v_cvt_pk_f32_fp8_e32 v[56:57], v24
	v_perm_b32 v30, v49, v48, s5
	v_perm_b32 v31, v53, v52, s5
	v_cvt_pk_f32_fp8_e32 v[48:49], v33
	v_mfma_f32_16x16x16_bf16 v[42:45], v[46:47], v[36:37], v[42:45]
	v_cvt_pk_f32_fp8_sdwa v[46:47], v33 src0_sel:WORD_1
	v_cvt_pk_f32_fp8_sdwa v[62:63], v24 src0_sel:WORD_1
	v_perm_b32 v48, v49, v48, s5
	s_waitcnt lgkmcnt(0)
	v_mfma_f32_16x16x16_bf16 v[30:33], v[30:31], v[38:39], v[42:45]
	v_perm_b32 v49, v47, v46, s5
	s_waitcnt vmcnt(4)
	v_cvt_pk_f32_fp8_sdwa v[70:71], v4 src0_sel:WORD_1
	s_load_dword s4, s[42:43], 0x0
	v_cvt_pk_f32_fp8_e32 v[42:43], v22
	v_mfma_f32_16x16x16_bf16 v[46:49], v[48:49], v[40:41], v[30:33]
	s_waitcnt vmcnt(3)
	v_cvt_pk_f32_fp8_sdwa v[72:73], v28 src0_sel:WORD_1
	s_mov_b32 s3, 0
	v_cvt_pk_f32_fp8_sdwa v[30:31], v22 src0_sel:WORD_1
	v_cvt_pk_f32_fp8_e32 v[32:33], v23
	v_perm_b32 v22, v43, v42, s5
	v_cvt_pk_f32_fp8_sdwa v[42:43], v23 src0_sel:WORD_1
	v_perm_b32 v23, v31, v30, s5
	v_perm_b32 v52, v33, v32, s5
	ds_read_b128 v[30:33], v50 offset:2048
	v_perm_b32 v53, v43, v42, s5
	ds_read_b128 v[42:45], v50 offset:2064
	s_waitcnt lgkmcnt(0)
	v_mfma_f32_16x16x16_bf16 v[46:49], v[22:23], v[30:31], v[46:49]
	v_perm_b32 v22, v57, v56, s5
	v_perm_b32 v23, v63, v62, s5
	v_cvt_pk_f32_fp8_e32 v[56:57], v25
	v_mfma_f32_16x16x16_bf16 v[46:49], v[52:53], v[32:33], v[46:49]
	v_cvt_pk_f32_fp8_sdwa v[52:53], v25 src0_sel:WORD_1
	v_cvt_pk_f32_fp8_sdwa v[62:63], v16 src0_sel:WORD_1
	v_perm_b32 v56, v57, v56, s5
	v_mfma_f32_16x16x16_bf16 v[22:25], v[22:23], v[42:43], v[46:49]
	v_perm_b32 v57, v53, v52, s5
	v_cmp_gt_u32_e32 vcc, 64, v0
	s_nop 0
	v_cvt_pk_f32_fp8_e32 v[46:47], v14
	v_mfma_f32_16x16x16_bf16 v[66:69], v[56:57], v[44:45], v[22:25]
	v_cvt_pk_f32_fp8_e32 v[56:57], v16
	s_nop 1
	v_cvt_pk_f32_fp8_sdwa v[22:23], v14 src0_sel:WORD_1
	v_cvt_pk_f32_fp8_e32 v[24:25], v15
	v_perm_b32 v14, v47, v46, s5
	v_cvt_pk_f32_fp8_sdwa v[46:47], v15 src0_sel:WORD_1
	v_perm_b32 v15, v23, v22, s5
	v_perm_b32 v52, v25, v24, s5
	ds_read_b128 v[22:25], v50 offset:4096
	v_perm_b32 v53, v47, v46, s5
	ds_read_b128 v[46:49], v50 offset:4112
	s_waitcnt lgkmcnt(1)
	v_mfma_f32_16x16x16_bf16 v[66:69], v[14:15], v[22:23], v[66:69]
	v_perm_b32 v14, v57, v56, s5
	v_perm_b32 v15, v63, v62, s5
	v_cvt_pk_f32_fp8_e32 v[56:57], v17
	v_mfma_f32_16x16x16_bf16 v[66:69], v[52:53], v[24:25], v[66:69]
	v_cvt_pk_f32_fp8_sdwa v[52:53], v17 src0_sel:WORD_1
	v_cvt_pk_f32_fp8_e32 v[62:63], v4
	v_perm_b32 v56, v57, v56, s5
	s_waitcnt lgkmcnt(0)
	v_mfma_f32_16x16x16_bf16 v[14:17], v[14:15], v[46:47], v[66:69]
	v_perm_b32 v57, v53, v52, s5
	v_cvt_pk_f32_fp8_e32 v[52:53], v2
	s_nop 0
	v_mfma_f32_16x16x16_bf16 v[66:69], v[56:57], v[48:49], v[14:17]
	s_nop 2
	v_cvt_pk_f32_fp8_sdwa v[14:15], v2 src0_sel:WORD_1
	v_cvt_pk_f32_fp8_e32 v[16:17], v3
	v_perm_b32 v2, v53, v52, s5
	v_cvt_pk_f32_fp8_sdwa v[52:53], v3 src0_sel:WORD_1
	v_perm_b32 v3, v15, v14, s5
	v_perm_b32 v56, v17, v16, s5
	ds_read_b128 v[14:17], v50 offset:6144
	v_perm_b32 v57, v53, v52, s5
	s_waitcnt lgkmcnt(0)
	v_mfma_f32_16x16x16_bf16 v[66:69], v[2:3], v[14:15], v[66:69]
	ds_read_b128 v[50:53], v50 offset:6160
	v_perm_b32 v2, v63, v62, s5
	v_perm_b32 v3, v71, v70, s5
	v_cvt_pk_f32_fp8_e32 v[62:63], v5
	v_mfma_f32_16x16x16_bf16 v[66:69], v[56:57], v[16:17], v[66:69]
	v_cvt_pk_f32_fp8_sdwa v[56:57], v5 src0_sel:WORD_1
	v_cvt_pk_f32_fp8_e32 v[70:71], v28
	v_perm_b32 v62, v63, v62, s5
	s_waitcnt lgkmcnt(0)
	v_mfma_f32_16x16x16_bf16 v[2:5], v[2:3], v[50:51], v[66:69]
	v_perm_b32 v63, v57, v56, s5
	v_cvt_pk_f32_fp8_sdwa v[56:57], v26 src0_sel:WORD_1
	s_nop 0
	v_mfma_f32_16x16x16_bf16 v[66:69], v[62:63], v[52:53], v[2:5]
	s_barrier
	s_nop 1
	v_cvt_pk_f32_fp8_e32 v[4:5], v26
	s_nop 2
	v_pk_mul_f32 v[62:63], v[66:67], s[4:5] op_sel_hi:[1,0]
	v_cvt_pk_f32_fp8_e32 v[66:67], v27
	v_perm_b32 v4, v5, v4, s5
	v_perm_b32 v5, v57, v56, s5
	v_cvt_pk_f32_fp8_sdwa v[26:27], v27 src0_sel:WORD_1
	v_perm_b32 v56, v67, v66, s5
	v_pk_mul_f32 v[2:3], v[68:69], s[4:5] op_sel_hi:[1,0]
	v_mfma_f32_16x16x16_bf16 v[66:69], v[4:5], v[34:35], 0
	v_perm_b32 v57, v27, v26, s5
	v_perm_b32 v4, v71, v70, s5
	;; [unrolled: 1-line block ×3, first 2 shown]
	v_cvt_pk_f32_fp8_e32 v[34:35], v29
	v_cvt_pk_f32_fp8_sdwa v[70:71], v29 src0_sel:WORD_1
	v_mfma_f32_16x16x16_bf16 v[26:29], v[56:57], v[36:37], v[66:69]
	s_waitcnt vmcnt(2)
	v_cvt_pk_f32_fp8_sdwa v[36:37], v18 src0_sel:WORD_1
	v_perm_b32 v34, v35, v34, s5
	v_perm_b32 v35, v71, v70, s5
	v_mfma_f32_16x16x16_bf16 v[26:29], v[4:5], v[38:39], v[26:29]
	v_cvt_pk_f32_fp8_e32 v[4:5], v18
	v_cvt_pk_f32_fp8_sdwa v[38:39], v20 src0_sel:WORD_1
	v_bfe_u32 v55, v63, 16, 1
	v_mfma_f32_16x16x16_bf16 v[26:29], v[34:35], v[40:41], v[26:29]
	v_cvt_pk_f32_fp8_e32 v[34:35], v19
	v_perm_b32 v4, v5, v4, s5
	v_perm_b32 v5, v37, v36, s5
	v_cvt_pk_f32_fp8_sdwa v[18:19], v19 src0_sel:WORD_1
	v_perm_b32 v34, v35, v34, s5
	v_cvt_pk_f32_fp8_e32 v[36:37], v20
	v_mfma_f32_16x16x16_bf16 v[26:29], v[4:5], v[30:31], v[26:29]
	v_perm_b32 v35, v19, v18, s5
	v_perm_b32 v4, v37, v36, s5
	v_perm_b32 v5, v39, v38, s5
	v_cvt_pk_f32_fp8_e32 v[30:31], v21
	v_cvt_pk_f32_fp8_sdwa v[36:37], v21 src0_sel:WORD_1
	v_mfma_f32_16x16x16_bf16 v[18:21], v[34:35], v[32:33], v[26:29]
	v_bfe_u32 v56, v62, 16, 1
	v_add3_u32 v32, v62, v56, s8
	v_add3_u32 v33, v63, v55, s8
	v_perm_b32 v26, v31, v30, s5
	v_perm_b32 v27, v37, v36, s5
	v_mfma_f32_16x16x16_bf16 v[18:21], v[4:5], v[42:43], v[18:21]
	s_waitcnt vmcnt(1)
	v_cvt_pk_f32_fp8_e32 v[4:5], v10
	v_cvt_pk_f32_fp8_sdwa v[28:29], v10 src0_sel:WORD_1
	v_cvt_pk_f32_fp8_sdwa v[30:31], v12 src0_sel:WORD_1
	v_mfma_f32_16x16x16_bf16 v[18:21], v[26:27], v[44:45], v[18:21]
	v_cvt_pk_f32_fp8_e32 v[26:27], v11
	v_perm_b32 v4, v5, v4, s5
	v_perm_b32 v5, v29, v28, s5
	v_cvt_pk_f32_fp8_sdwa v[10:11], v11 src0_sel:WORD_1
	v_perm_b32 v26, v27, v26, s5
	v_cvt_pk_f32_fp8_e32 v[28:29], v12
	v_mfma_f32_16x16x16_bf16 v[18:21], v[4:5], v[22:23], v[18:21]
	v_perm_b32 v27, v11, v10, s5
	v_perm_b32 v4, v29, v28, s5
	;; [unrolled: 1-line block ×3, first 2 shown]
	v_cvt_pk_f32_fp8_e32 v[22:23], v13
	v_cvt_pk_f32_fp8_sdwa v[28:29], v13 src0_sel:WORD_1
	v_mfma_f32_16x16x16_bf16 v[10:13], v[26:27], v[24:25], v[18:21]
	s_waitcnt vmcnt(0)
	v_cvt_pk_f32_fp8_sdwa v[24:25], v8 src0_sel:WORD_1
	s_nop 0
	v_perm_b32 v20, v23, v22, s5
	v_perm_b32 v21, v29, v28, s5
	v_mfma_f32_16x16x16_bf16 v[10:13], v[4:5], v[46:47], v[10:13]
	v_cvt_pk_f32_fp8_e32 v[4:5], v6
	v_cvt_pk_f32_fp8_sdwa v[22:23], v6 src0_sel:WORD_1
	v_bfe_u32 v19, v3, 16, 1
	v_mfma_f32_16x16x16_bf16 v[10:13], v[20:21], v[48:49], v[10:13]
	v_cvt_pk_f32_fp8_e32 v[20:21], v7
	v_perm_b32 v4, v5, v4, s5
	v_perm_b32 v5, v23, v22, s5
	v_cvt_pk_f32_fp8_sdwa v[6:7], v7 src0_sel:WORD_1
	v_perm_b32 v20, v21, v20, s5
	v_cvt_pk_f32_fp8_e32 v[22:23], v8
	v_add3_u32 v3, v3, v19, s8
	v_perm_b32 v21, v7, v6, s5
	v_mfma_f32_16x16x16_bf16 v[4:7], v[4:5], v[14:15], v[10:13]
	v_bfe_u32 v14, v2, 16, 1
	v_add3_u32 v2, v2, v14, s8
	v_perm_b32 v19, v3, v2, s5
	v_perm_b32 v10, v23, v22, s5
	;; [unrolled: 1-line block ×3, first 2 shown]
	v_cvt_pk_f32_fp8_e32 v[12:13], v9
	v_cvt_pk_f32_fp8_sdwa v[8:9], v9 src0_sel:WORD_1
	v_mfma_f32_16x16x16_bf16 v[4:7], v[20:21], v[16:17], v[4:7]
	v_perm_b32 v18, v33, v32, s5
	v_perm_b32 v12, v13, v12, s5
	;; [unrolled: 1-line block ×3, first 2 shown]
	v_mfma_f32_16x16x16_bf16 v[4:7], v[10:11], v[50:51], v[4:7]
	s_nop 0
	v_mfma_f32_16x16x16_bf16 v[2:5], v[12:13], v[52:53], v[4:7]
	s_nop 6
	v_pk_mul_f32 v[2:3], v[2:3], s[4:5] op_sel_hi:[1,0]
	v_pk_mul_f32 v[4:5], v[4:5], s[4:5] op_sel_hi:[1,0]
	v_bfe_u32 v6, v3, 16, 1
	v_bfe_u32 v7, v2, 16, 1
	v_add3_u32 v2, v2, v7, s8
	v_add3_u32 v3, v3, v6, s8
	v_perm_b32 v2, v3, v2, s5
	v_bfe_u32 v3, v5, 16, 1
	v_bfe_u32 v6, v4, 16, 1
	v_add3_u32 v4, v4, v6, s8
	v_add3_u32 v3, v5, v3, s8
	v_perm_b32 v3, v3, v4, s5
	ds_write2st64_b64 v54, v[18:19], v[2:3] offset1:1
	s_waitcnt lgkmcnt(0)
	s_barrier
	s_and_saveexec_b64 s[4:5], vcc
	s_cbranch_execz .LBB1277_18
; %bb.16:
	s_load_dwordx2 s[4:5], s[0:1], 0x68
	s_lshl_b32 s0, s6, 7
	s_mul_i32 s1, s7, s2
	v_lshlrev_b32_e32 v3, 6, v60
	s_mul_hi_u32 s7, s1, s0
	s_mul_i32 s6, s1, s0
	v_lshl_or_b32 v0, v0, 10, v3
	s_lshl_b64 s[6:7], s[6:7], 1
	v_lshlrev_b32_e32 v2, 5, v64
	v_and_b32_e32 v1, 16, v1
	v_and_b32_e32 v0, 0x1a00, v0
	s_waitcnt lgkmcnt(0)
	s_add_u32 s1, s4, s6
	v_or3_b32 v2, v0, v2, v1
	s_addc_u32 s4, s5, s7
	s_lshl_b32 s2, s24, 7
	s_lshl_b64 s[2:3], s[2:3], 1
	ds_read_b128 v[4:7], v2 offset:128
	ds_read_b128 v[8:11], v2
	s_add_u32 s2, s1, s2
	s_addc_u32 s3, s4, s3
	v_mov_b32_e32 v59, 0
	v_add_u32_e32 v14, s48, v64
	v_lshl_add_u64 v[0:1], s[2:3], 0, v[58:59]
	v_mad_u64_u32 v[12:13], s[2:3], v14, s0, 0
	v_lshl_add_u64 v[12:13], v[12:13], 1, v[0:1]
	s_waitcnt lgkmcnt(0)
	global_store_dwordx4 v[12:13], v[8:11], off
	v_or_b32_e32 v3, 8, v64
	v_cmp_gt_u32_e32 vcc, 10, v3
	v_add_u32_e32 v8, 4, v14
	v_mad_u64_u32 v[8:9], s[2:3], v8, s0, 0
	v_lshl_add_u64 v[8:9], v[8:9], 1, v[0:1]
	global_store_dwordx4 v[8:9], v[4:7], off
	s_and_b64 exec, exec, vcc
	s_cbranch_execz .LBB1277_18
; %bb.17:
	ds_read_b128 v[4:7], v2 offset:256
	v_add_u32_e32 v2, s48, v3
	v_mad_u64_u32 v[2:3], s[0:1], v2, s0, 0
	v_lshl_add_u64 v[0:1], v[2:3], 1, v[0:1]
	s_waitcnt lgkmcnt(0)
	global_store_dwordx4 v[0:1], v[4:7], off
.LBB1277_18:
	s_endpgm
	.section	.rodata,"a",@progbits
	.p2align	6, 0x0
	.amdhsa_kernel _Z39paged_attention_ll4mi_QKV_mfma16_kernelI14__hip_bfloat16hLN4vllm18Fp8KVCacheDataTypeE1EhLi16ELi128ELi256ELb0ELi10EEvPKT_PKT0_S8_ifPKiSA_SA_iPKfiiiPfSD_PS3_PT2_iSC_SC_
		.amdhsa_group_segment_fixed_size 8192
		.amdhsa_private_segment_fixed_size 0
		.amdhsa_kernarg_size 400
		.amdhsa_user_sgpr_count 2
		.amdhsa_user_sgpr_dispatch_ptr 0
		.amdhsa_user_sgpr_queue_ptr 0
		.amdhsa_user_sgpr_kernarg_segment_ptr 1
		.amdhsa_user_sgpr_dispatch_id 0
		.amdhsa_user_sgpr_kernarg_preload_length 0
		.amdhsa_user_sgpr_kernarg_preload_offset 0
		.amdhsa_user_sgpr_private_segment_size 0
		.amdhsa_uses_dynamic_stack 0
		.amdhsa_enable_private_segment 0
		.amdhsa_system_sgpr_workgroup_id_x 1
		.amdhsa_system_sgpr_workgroup_id_y 1
		.amdhsa_system_sgpr_workgroup_id_z 1
		.amdhsa_system_sgpr_workgroup_info 0
		.amdhsa_system_vgpr_workitem_id 0
		.amdhsa_next_free_vgpr 86
		.amdhsa_next_free_sgpr 50
		.amdhsa_accum_offset 88
		.amdhsa_reserve_vcc 1
		.amdhsa_float_round_mode_32 0
		.amdhsa_float_round_mode_16_64 0
		.amdhsa_float_denorm_mode_32 3
		.amdhsa_float_denorm_mode_16_64 3
		.amdhsa_dx10_clamp 1
		.amdhsa_ieee_mode 1
		.amdhsa_fp16_overflow 0
		.amdhsa_tg_split 0
		.amdhsa_exception_fp_ieee_invalid_op 0
		.amdhsa_exception_fp_denorm_src 0
		.amdhsa_exception_fp_ieee_div_zero 0
		.amdhsa_exception_fp_ieee_overflow 0
		.amdhsa_exception_fp_ieee_underflow 0
		.amdhsa_exception_fp_ieee_inexact 0
		.amdhsa_exception_int_div_zero 0
	.end_amdhsa_kernel
	.section	.text._Z39paged_attention_ll4mi_QKV_mfma16_kernelI14__hip_bfloat16hLN4vllm18Fp8KVCacheDataTypeE1EhLi16ELi128ELi256ELb0ELi10EEvPKT_PKT0_S8_ifPKiSA_SA_iPKfiiiPfSD_PS3_PT2_iSC_SC_,"axG",@progbits,_Z39paged_attention_ll4mi_QKV_mfma16_kernelI14__hip_bfloat16hLN4vllm18Fp8KVCacheDataTypeE1EhLi16ELi128ELi256ELb0ELi10EEvPKT_PKT0_S8_ifPKiSA_SA_iPKfiiiPfSD_PS3_PT2_iSC_SC_,comdat
.Lfunc_end1277:
	.size	_Z39paged_attention_ll4mi_QKV_mfma16_kernelI14__hip_bfloat16hLN4vllm18Fp8KVCacheDataTypeE1EhLi16ELi128ELi256ELb0ELi10EEvPKT_PKT0_S8_ifPKiSA_SA_iPKfiiiPfSD_PS3_PT2_iSC_SC_, .Lfunc_end1277-_Z39paged_attention_ll4mi_QKV_mfma16_kernelI14__hip_bfloat16hLN4vllm18Fp8KVCacheDataTypeE1EhLi16ELi128ELi256ELb0ELi10EEvPKT_PKT0_S8_ifPKiSA_SA_iPKfiiiPfSD_PS3_PT2_iSC_SC_
                                        ; -- End function
	.section	.AMDGPU.csdata,"",@progbits
; Kernel info:
; codeLenInByte = 6340
; NumSgprs: 56
; NumVgprs: 86
; NumAgprs: 0
; TotalNumVgprs: 86
; ScratchSize: 0
; MemoryBound: 0
; FloatMode: 240
; IeeeMode: 1
; LDSByteSize: 8192 bytes/workgroup (compile time only)
; SGPRBlocks: 6
; VGPRBlocks: 10
; NumSGPRsForWavesPerEU: 56
; NumVGPRsForWavesPerEU: 86
; AccumOffset: 88
; Occupancy: 5
; WaveLimiterHint : 1
; COMPUTE_PGM_RSRC2:SCRATCH_EN: 0
; COMPUTE_PGM_RSRC2:USER_SGPR: 2
; COMPUTE_PGM_RSRC2:TRAP_HANDLER: 0
; COMPUTE_PGM_RSRC2:TGID_X_EN: 1
; COMPUTE_PGM_RSRC2:TGID_Y_EN: 1
; COMPUTE_PGM_RSRC2:TGID_Z_EN: 1
; COMPUTE_PGM_RSRC2:TIDIG_COMP_CNT: 0
; COMPUTE_PGM_RSRC3_GFX90A:ACCUM_OFFSET: 21
; COMPUTE_PGM_RSRC3_GFX90A:TG_SPLIT: 0
	.section	.text._Z39paged_attention_ll4mi_QKV_mfma16_kernelI14__hip_bfloat16hLN4vllm18Fp8KVCacheDataTypeE1EhLi16ELi128ELi256ELb0ELi11EEvPKT_PKT0_S8_ifPKiSA_SA_iPKfiiiPfSD_PS3_PT2_iSC_SC_,"axG",@progbits,_Z39paged_attention_ll4mi_QKV_mfma16_kernelI14__hip_bfloat16hLN4vllm18Fp8KVCacheDataTypeE1EhLi16ELi128ELi256ELb0ELi11EEvPKT_PKT0_S8_ifPKiSA_SA_iPKfiiiPfSD_PS3_PT2_iSC_SC_,comdat
	.protected	_Z39paged_attention_ll4mi_QKV_mfma16_kernelI14__hip_bfloat16hLN4vllm18Fp8KVCacheDataTypeE1EhLi16ELi128ELi256ELb0ELi11EEvPKT_PKT0_S8_ifPKiSA_SA_iPKfiiiPfSD_PS3_PT2_iSC_SC_ ; -- Begin function _Z39paged_attention_ll4mi_QKV_mfma16_kernelI14__hip_bfloat16hLN4vllm18Fp8KVCacheDataTypeE1EhLi16ELi128ELi256ELb0ELi11EEvPKT_PKT0_S8_ifPKiSA_SA_iPKfiiiPfSD_PS3_PT2_iSC_SC_
	.globl	_Z39paged_attention_ll4mi_QKV_mfma16_kernelI14__hip_bfloat16hLN4vllm18Fp8KVCacheDataTypeE1EhLi16ELi128ELi256ELb0ELi11EEvPKT_PKT0_S8_ifPKiSA_SA_iPKfiiiPfSD_PS3_PT2_iSC_SC_
	.p2align	8
	.type	_Z39paged_attention_ll4mi_QKV_mfma16_kernelI14__hip_bfloat16hLN4vllm18Fp8KVCacheDataTypeE1EhLi16ELi128ELi256ELb0ELi11EEvPKT_PKT0_S8_ifPKiSA_SA_iPKfiiiPfSD_PS3_PT2_iSC_SC_,@function
_Z39paged_attention_ll4mi_QKV_mfma16_kernelI14__hip_bfloat16hLN4vllm18Fp8KVCacheDataTypeE1EhLi16ELi128ELi256ELb0ELi11EEvPKT_PKT0_S8_ifPKiSA_SA_iPKfiiiPfSD_PS3_PT2_iSC_SC_: ; @_Z39paged_attention_ll4mi_QKV_mfma16_kernelI14__hip_bfloat16hLN4vllm18Fp8KVCacheDataTypeE1EhLi16ELi128ELi256ELb0ELi11EEvPKT_PKT0_S8_ifPKiSA_SA_iPKfiiiPfSD_PS3_PT2_iSC_SC_
; %bb.0:
	s_load_dwordx2 s[12:13], s[0:1], 0x30
	s_mov_b32 s24, s3
	s_mov_b64 s[6:7], 0
	s_waitcnt lgkmcnt(0)
	s_cmp_lg_u64 s[12:13], 0
	s_cselect_b64 s[14:15], -1, 0
	s_and_b64 vcc, exec, s[14:15]
	s_cbranch_vccz .LBB1278_7
; %bb.1:
	s_add_i32 s8, s2, 1
	s_mov_b32 s9, 0
	s_lshl_b64 s[10:11], s[8:9], 2
	s_add_u32 s10, s12, s10
	s_mov_b32 s3, s9
	s_addc_u32 s11, s13, s11
	s_lshl_b64 s[8:9], s[2:3], 2
	s_add_u32 s8, s12, s8
	s_addc_u32 s9, s13, s9
	s_load_dword s5, s[10:11], 0x0
	s_load_dword s16, s[8:9], 0x0
	s_waitcnt lgkmcnt(0)
	s_sub_i32 s5, s5, s16
	s_cmp_eq_u32 s5, 1
	s_cselect_b64 s[8:9], -1, 0
	s_andn2_b64 vcc, exec, s[6:7]
	s_cbranch_vccnz .LBB1278_3
.LBB1278_2:
	s_mov_b32 s3, 0
	s_mov_b64 s[8:9], -1
.LBB1278_3:
	s_andn2_b64 vcc, exec, s[8:9]
	s_cbranch_vccnz .LBB1278_18
; %bb.4:
	s_load_dwordx2 s[6:7], s[0:1], 0x28
	s_lshl_b64 s[16:17], s[2:3], 2
	s_waitcnt lgkmcnt(0)
	s_add_u32 s6, s6, s16
	s_addc_u32 s7, s7, s17
	s_load_dword s33, s[6:7], 0x0
	s_lshl_b32 s18, s24, 8
	s_waitcnt lgkmcnt(0)
	s_cmp_ge_i32 s18, s33
	s_cbranch_scc1 .LBB1278_18
; %bb.5:
	s_load_dwordx2 s[6:7], s[0:1], 0x20
	s_load_dword s8, s[0:1], 0x38
	s_add_i32 s5, s33, 15
	s_ashr_i32 s9, s5, 31
	v_and_b32_e32 v1, 0xcf, v0
	s_lshr_b32 s9, s9, 28
	v_add_u32_e32 v1, s18, v1
	s_add_i32 s5, s5, s9
	v_ashrrev_i32_e32 v2, 31, v1
	s_ashr_i32 s5, s5, 4
	v_lshrrev_b32_e32 v10, 28, v2
	s_add_i32 s5, s5, -1
	s_waitcnt lgkmcnt(0)
	s_mul_i32 s8, s2, s8
	s_mov_b32 s9, 0
	v_add_u32_e32 v2, v1, v10
	s_lshl_b64 s[8:9], s[8:9], 2
	v_ashrrev_i32_e32 v2, 4, v2
	v_mov_b32_e32 v11, s5
	v_cmp_gt_i32_e32 vcc, s33, v1
	s_add_u32 s6, s6, s8
	s_addc_u32 s7, s7, s9
	v_cndmask_b32_e32 v2, v11, v2, vcc
	v_ashrrev_i32_e32 v3, 31, v2
	v_lshl_add_u64 v[4:5], v[2:3], 2, s[6:7]
	v_or_b32_e32 v2, 16, v1
	v_add_u32_e32 v3, v2, v10
	v_ashrrev_i32_e32 v3, 4, v3
	v_cmp_gt_i32_e32 vcc, s33, v2
	s_load_dwordx4 s[8:11], s[0:1], 0x8
	s_nop 0
	v_cndmask_b32_e32 v2, v11, v3, vcc
	v_ashrrev_i32_e32 v3, 31, v2
	v_lshl_add_u64 v[6:7], v[2:3], 2, s[6:7]
	v_or_b32_e32 v2, 32, v1
	v_add_u32_e32 v3, v2, v10
	v_ashrrev_i32_e32 v3, 4, v3
	v_cmp_gt_i32_e32 vcc, s33, v2
	v_or_b32_e32 v1, 48, v1
	s_nop 0
	v_cndmask_b32_e32 v2, v11, v3, vcc
	v_ashrrev_i32_e32 v3, 31, v2
	v_lshl_add_u64 v[8:9], v[2:3], 2, s[6:7]
	v_add_u32_e32 v2, v1, v10
	v_ashrrev_i32_e32 v2, 4, v2
	v_cmp_gt_i32_e32 vcc, s33, v1
	s_nop 1
	v_cndmask_b32_e32 v2, v11, v2, vcc
	v_ashrrev_i32_e32 v3, 31, v2
	v_lshl_add_u64 v[10:11], v[2:3], 2, s[6:7]
	global_load_dword v3, v[4:5], off
	global_load_dword v2, v[6:7], off
	global_load_dword v34, v[8:9], off
	global_load_dword v35, v[10:11], off
	s_andn2_b64 vcc, exec, s[14:15]
	s_cbranch_vccnz .LBB1278_8
; %bb.6:
	s_add_u32 s12, s12, s16
	s_addc_u32 s13, s13, s17
	s_load_dword s14, s[12:13], 0x0
	s_branch .LBB1278_9
.LBB1278_7:
	s_mov_b64 s[8:9], 0
	s_branch .LBB1278_2
.LBB1278_8:
	s_mov_b32 s14, s2
.LBB1278_9:
	s_load_dwordx4 s[44:47], s[0:1], 0x48
	v_lshrrev_b32_e32 v61, 6, v0
	v_bfe_u32 v64, v0, 4, 2
	v_and_b32_e32 v60, 15, v0
	v_lshl_or_b32 v4, v61, 2, v64
	v_lshlrev_b32_e32 v1, 3, v60
	v_and_b32_e32 v65, 63, v0
	s_mul_i32 s48, s4, 11
	v_cmp_gt_u32_e32 vcc, 11, v4
	v_lshlrev_b32_e32 v58, 1, v1
	v_lshlrev_b32_e32 v1, 4, v0
	s_and_saveexec_b64 s[12:13], vcc
	s_cbranch_execz .LBB1278_11
; %bb.10:
	s_load_dwordx2 s[16:17], s[0:1], 0x0
	s_waitcnt lgkmcnt(0)
	s_ashr_i32 s15, s44, 31
	s_mul_hi_u32 s19, s14, s44
	s_mul_i32 s15, s14, s15
	s_add_i32 s15, s19, s15
	s_mul_i32 s14, s14, s44
	s_lshl_b64 s[14:15], s[14:15], 1
	s_add_u32 s14, s16, s14
	v_add_lshl_u32 v6, v4, s48, 7
	s_addc_u32 s15, s17, s15
	v_ashrrev_i32_e32 v7, 31, v6
	v_lshl_add_u64 v[6:7], v[6:7], 1, s[14:15]
	v_mov_b32_e32 v59, 0
	v_lshl_add_u64 v[6:7], v[6:7], 0, v[58:59]
	global_load_dwordx4 v[6:9], v[6:7], off
	v_lshlrev_b32_e32 v10, 8, v0
	v_lshlrev_b32_e32 v5, 8, v60
	v_and_b32_e32 v10, 0x600, v10
	s_movk_i32 s14, 0x800
	v_and_or_b32 v5, v5, s14, v10
	v_lshlrev_b32_e32 v4, 5, v4
	v_and_b32_e32 v10, 16, v1
	v_or3_b32 v4, v5, v4, v10
	s_waitcnt vmcnt(0)
	ds_write_b128 v4, v[6:9]
.LBB1278_11:
	s_or_b64 exec, exec, s[12:13]
	s_waitcnt lgkmcnt(0)
	s_mul_i32 s4, s4, s46
	s_add_u32 s8, s8, s4
	s_addc_u32 s9, s9, 0
	v_and_b32_e32 v62, 0xf0, v1
	v_mov_b32_e32 v63, 0
	v_and_b32_e32 v6, 48, v0
	v_lshl_add_u64 v[30:31], s[8:9], 0, v[62:63]
	v_lshlrev_b32_e32 v62, 4, v6
	s_waitcnt vmcnt(3)
	v_mad_i64_i32 v[4:5], s[8:9], v3, s45, v[30:31]
	v_lshl_add_u64 v[4:5], v[4:5], 0, v[62:63]
	s_load_dword s25, s[0:1], 0x98
	s_load_dwordx4 s[40:43], s[0:1], 0x80
	s_waitcnt lgkmcnt(0)
	s_barrier
	global_load_dwordx4 v[22:25], v[4:5], off
	global_load_dwordx4 v[14:17], v[4:5], off offset:1024
	s_waitcnt vmcnt(4)
	v_mad_i64_i32 v[2:3], s[8:9], v2, s45, v[30:31]
	v_lshl_add_u64 v[32:33], v[2:3], 0, v[62:63]
	global_load_dwordx4 v[2:5], v[32:33], off
	v_add_u32_e32 v7, -11, v60
	v_cmp_gt_u32_e32 vcc, 11, v60
	v_or_b32_e32 v6, s18, v6
	v_mov_b32_e32 v41, s5
	v_cndmask_b32_e32 v7, v7, v60, vcc
	v_lshlrev_b32_e32 v7, 5, v7
	v_ashrrev_i32_e32 v8, 4, v6
	v_lshl_add_u32 v7, v64, 9, v7
	v_cmp_gt_i32_e32 vcc, s33, v6
	v_or_b32_e32 v40, 64, v6
	v_or_b32_e32 v42, 0x80, v6
	;; [unrolled: 1-line block ×3, first 2 shown]
	v_cndmask_b32_e32 v38, v41, v8, vcc
	ds_read_b128 v[26:29], v7
	ds_read_b128 v[18:21], v7 offset:16
	ds_read_b128 v[10:13], v7 offset:2048
	;; [unrolled: 1-line block ×3, first 2 shown]
	s_waitcnt vmcnt(4)
	v_mad_i64_i32 v[36:37], s[12:13], v34, s45, v[30:31]
	s_waitcnt vmcnt(3)
	v_mad_i64_i32 v[34:35], s[12:13], v35, s45, v[30:31]
	global_load_dwordx4 v[30:33], v[32:33], off offset:1024
	v_ashrrev_i32_e32 v44, 4, v40
	v_cmp_gt_i32_e32 vcc, s33, v40
	v_ashrrev_i32_e32 v45, 4, v42
	v_ashrrev_i32_e32 v46, 4, v43
	v_cndmask_b32_e32 v40, v41, v44, vcc
	v_cmp_gt_i32_e32 vcc, s33, v42
	v_ashrrev_i32_e32 v39, 31, v38
	v_lshl_add_u64 v[36:37], v[36:37], 0, v[62:63]
	v_cndmask_b32_e32 v42, v41, v45, vcc
	v_cmp_gt_i32_e32 vcc, s33, v43
	v_lshl_add_u64 v[34:35], v[34:35], 0, v[62:63]
	v_ashrrev_i32_e32 v43, 31, v42
	v_cndmask_b32_e32 v44, v41, v46, vcc
	v_ashrrev_i32_e32 v41, 31, v40
	v_ashrrev_i32_e32 v45, 31, v44
	v_lshl_add_u64 v[50:51], v[38:39], 2, s[6:7]
	v_lshl_add_u64 v[52:53], v[40:41], 2, s[6:7]
	v_lshl_add_u64 v[54:55], v[42:43], 2, s[6:7]
	v_lshl_add_u64 v[56:57], v[44:45], 2, s[6:7]
	global_load_dwordx4 v[46:49], v[36:37], off
	global_load_dwordx4 v[42:45], v[36:37], off offset:1024
	global_load_dwordx4 v[38:41], v[34:35], off
	s_nop 0
	global_load_dwordx4 v[34:37], v[34:35], off offset:1024
	s_nop 0
	global_load_dword v69, v[50:51], off
	global_load_dword v68, v[52:53], off
	;; [unrolled: 1-line block ×4, first 2 shown]
	s_mov_b32 s44, 0x7060302
	s_add_u32 s4, s10, s4
	v_lshl_or_b32 v59, v61, 4, v60
	s_addc_u32 s5, s11, 0
	v_lshlrev_b32_e32 v62, 4, v59
	s_load_dword s8, s[0:1], 0x1c
	s_waitcnt vmcnt(11)
	v_cvt_pk_f32_fp8_e32 v[50:51], v22
	v_cvt_pk_f32_fp8_sdwa v[52:53], v22 src0_sel:WORD_1
	v_cvt_pk_f32_fp8_e32 v[54:55], v23
	v_cvt_pk_f32_fp8_sdwa v[22:23], v23 src0_sel:WORD_1
	s_waitcnt vmcnt(10)
	v_cvt_pk_f32_fp8_e32 v[76:77], v14
	v_cvt_pk_f32_fp8_sdwa v[78:79], v14 src0_sel:WORD_1
	v_cvt_pk_f32_fp8_e32 v[80:81], v15
	v_cvt_pk_f32_fp8_sdwa v[82:83], v15 src0_sel:WORD_1
	v_perm_b32 v14, v51, v50, s44
	v_perm_b32 v15, v53, v52, s44
	v_cvt_pk_f32_fp8_e32 v[56:57], v24
	v_cvt_pk_f32_fp8_sdwa v[70:71], v24 src0_sel:WORD_1
	v_perm_b32 v54, v55, v54, s44
	v_perm_b32 v55, v23, v22, s44
	v_cvt_pk_f32_fp8_e32 v[72:73], v25
	v_cvt_pk_f32_fp8_sdwa v[74:75], v25 src0_sel:WORD_1
	s_waitcnt lgkmcnt(0)
	v_mfma_f32_16x16x16_bf16 v[22:25], v[14:15], v[26:27], 0
	v_perm_b32 v14, v57, v56, s44
	v_perm_b32 v15, v71, v70, s44
	;; [unrolled: 1-line block ×3, first 2 shown]
	v_mfma_f32_16x16x16_bf16 v[22:25], v[54:55], v[28:29], v[22:25]
	v_perm_b32 v57, v75, v74, s44
	v_cvt_pk_f32_fp8_e32 v[50:51], v16
	v_cvt_pk_f32_fp8_sdwa v[52:53], v16 src0_sel:WORD_1
	v_cvt_pk_f32_fp8_e32 v[84:85], v17
	v_cvt_pk_f32_fp8_sdwa v[54:55], v17 src0_sel:WORD_1
	v_mfma_f32_16x16x16_bf16 v[14:17], v[14:15], v[18:19], v[22:25]
	v_perm_b32 v70, v81, v80, s44
	v_perm_b32 v71, v83, v82, s44
	;; [unrolled: 1-line block ×5, first 2 shown]
	v_mfma_f32_16x16x16_bf16 v[14:17], v[56:57], v[20:21], v[14:17]
	s_waitcnt vmcnt(9)
	v_cvt_pk_f32_fp8_e32 v[22:23], v2
	v_cvt_pk_f32_fp8_sdwa v[56:57], v2 src0_sel:WORD_1
	v_perm_b32 v51, v53, v52, s44
	v_mfma_f32_16x16x16_bf16 v[14:17], v[24:25], v[10:11], v[14:17]
	v_cvt_pk_f32_fp8_e32 v[24:25], v3
	v_cvt_pk_f32_fp8_sdwa v[2:3], v3 src0_sel:WORD_1
	v_perm_b32 v52, v85, v84, s44
	v_mfma_f32_16x16x16_bf16 v[14:17], v[70:71], v[12:13], v[14:17]
	v_perm_b32 v53, v55, v54, s44
	v_perm_b32 v22, v23, v22, s44
	;; [unrolled: 1-line block ×3, first 2 shown]
	v_mfma_f32_16x16x16_bf16 v[14:17], v[50:51], v[6:7], v[14:17]
	v_cvt_pk_f32_fp8_e32 v[54:55], v4
	v_cvt_pk_f32_fp8_sdwa v[56:57], v4 src0_sel:WORD_1
	v_perm_b32 v24, v25, v24, s44
	v_perm_b32 v25, v3, v2, s44
	v_mfma_f32_16x16x16_bf16 v[50:53], v[52:53], v[8:9], v[14:17]
	s_waitcnt vmcnt(7)
	v_cvt_pk_f32_fp8_e32 v[72:73], v49
	v_lshl_add_u64 v[70:71], s[4:5], 0, v[62:63]
	s_waitcnt vmcnt(6)
	v_cvt_pk_f32_fp8_sdwa v[76:77], v44 src0_sel:WORD_1
	v_mfma_f32_16x16x16_bf16 v[14:17], v[22:23], v[26:27], 0
	v_perm_b32 v22, v55, v54, s44
	v_perm_b32 v23, v57, v56, s44
	v_cvt_pk_f32_fp8_e32 v[54:55], v5
	v_cvt_pk_f32_fp8_sdwa v[56:57], v5 src0_sel:WORD_1
	v_mfma_f32_16x16x16_bf16 v[2:5], v[24:25], v[28:29], v[14:17]
	v_cvt_pk_f32_fp8_e32 v[24:25], v32
	v_or_b32_e32 v62, 0x400, v62
	s_nop 0
	v_perm_b32 v14, v55, v54, s44
	v_perm_b32 v15, v57, v56, s44
	v_mfma_f32_16x16x16_bf16 v[2:5], v[22:23], v[18:19], v[2:5]
	v_cvt_pk_f32_fp8_e32 v[16:17], v30
	v_cvt_pk_f32_fp8_sdwa v[22:23], v30 src0_sel:WORD_1
	v_perm_b32 v16, v17, v16, s44
	v_mfma_f32_16x16x16_bf16 v[2:5], v[14:15], v[20:21], v[2:5]
	v_cvt_pk_f32_fp8_e32 v[14:15], v31
	v_perm_b32 v17, v23, v22, s44
	v_cvt_pk_f32_fp8_sdwa v[22:23], v31 src0_sel:WORD_1
	v_cvt_pk_f32_fp8_sdwa v[30:31], v32 src0_sel:WORD_1
	v_perm_b32 v14, v15, v14, s44
	v_mfma_f32_16x16x16_bf16 v[2:5], v[16:17], v[10:11], v[2:5]
	v_perm_b32 v15, v23, v22, s44
	v_perm_b32 v16, v25, v24, s44
	;; [unrolled: 1-line block ×3, first 2 shown]
	v_cvt_pk_f32_fp8_e32 v[22:23], v33
	v_cvt_pk_f32_fp8_sdwa v[24:25], v33 src0_sel:WORD_1
	v_mfma_f32_16x16x16_bf16 v[2:5], v[14:15], v[12:13], v[2:5]
	v_perm_b32 v14, v23, v22, s44
	v_perm_b32 v15, v25, v24, s44
	v_mfma_f32_16x16x16_bf16 v[2:5], v[16:17], v[6:7], v[2:5]
	v_cvt_pk_f32_fp8_e32 v[16:17], v46
	v_cvt_pk_f32_fp8_sdwa v[22:23], v46 src0_sel:WORD_1
	v_cvt_pk_f32_fp8_sdwa v[24:25], v48 src0_sel:WORD_1
	v_mfma_f32_16x16x16_bf16 v[54:57], v[14:15], v[8:9], v[2:5]
	v_cvt_pk_f32_fp8_sdwa v[14:15], v47 src0_sel:WORD_1
	s_nop 1
	v_perm_b32 v2, v17, v16, s44
	v_perm_b32 v3, v23, v22, s44
	v_cvt_pk_f32_fp8_e32 v[4:5], v47
	v_perm_b32 v23, v15, v14, s44
	v_cvt_pk_f32_fp8_e32 v[14:15], v48
	v_cvt_pk_f32_fp8_sdwa v[48:49], v49 src0_sel:WORD_1
	v_perm_b32 v22, v5, v4, s44
	v_mfma_f32_16x16x16_bf16 v[2:5], v[2:3], v[26:27], 0
	v_perm_b32 v14, v15, v14, s44
	v_perm_b32 v15, v25, v24, s44
	s_waitcnt vmcnt(3)
	v_mad_i64_i32 v[16:17], s[6:7], v69, s45, v[70:71]
	v_mfma_f32_16x16x16_bf16 v[2:5], v[22:23], v[28:29], v[2:5]
	s_waitcnt vmcnt(2)
	v_mad_i64_i32 v[46:47], s[6:7], v68, s45, v[70:71]
	global_load_dwordx4 v[30:33], v[16:17], off
	global_load_dwordx4 v[22:25], v[46:47], off
	v_perm_b32 v16, v73, v72, s44
	v_perm_b32 v17, v49, v48, s44
	v_mfma_f32_16x16x16_bf16 v[2:5], v[14:15], v[18:19], v[2:5]
	v_cvt_pk_f32_fp8_e32 v[14:15], v42
	v_cvt_pk_f32_fp8_sdwa v[46:47], v42 src0_sel:WORD_1
	s_waitcnt vmcnt(3)
	v_mad_i64_i32 v[72:73], s[6:7], v67, s45, v[70:71]
	v_mfma_f32_16x16x16_bf16 v[2:5], v[16:17], v[20:21], v[2:5]
	v_perm_b32 v14, v15, v14, s44
	v_perm_b32 v15, v47, v46, s44
	v_cvt_pk_f32_fp8_e32 v[16:17], v43
	v_cvt_pk_f32_fp8_sdwa v[42:43], v43 src0_sel:WORD_1
	v_mfma_f32_16x16x16_bf16 v[46:49], v[14:15], v[10:11], v[2:5]
	v_perm_b32 v74, v17, v16, s44
	v_perm_b32 v75, v43, v42, s44
	v_cvt_pk_f32_fp8_e32 v[42:43], v44
	s_waitcnt vmcnt(2)
	v_mad_i64_i32 v[70:71], s[6:7], v66, s45, v[70:71]
	global_load_dwordx4 v[14:17], v[72:73], off
	global_load_dwordx4 v[2:5], v[70:71], off
	v_perm_b32 v70, v43, v42, s44
	v_perm_b32 v71, v77, v76, s44
	v_cvt_pk_f32_fp8_e32 v[72:73], v45
	v_cvt_pk_f32_fp8_sdwa v[76:77], v45 src0_sel:WORD_1
	v_mfma_f32_16x16x16_bf16 v[44:47], v[74:75], v[12:13], v[46:49]
	v_lshl_add_u64 v[42:43], s[4:5], 0, v[62:63]
	v_cvt_pk_f32_fp8_e32 v[62:63], v38
	s_load_dword s4, s[40:41], 0x0
	v_perm_b32 v48, v73, v72, s44
	v_perm_b32 v49, v77, v76, s44
	v_mfma_f32_16x16x16_bf16 v[44:47], v[70:71], v[6:7], v[44:47]
	v_cvt_pk_f32_fp8_sdwa v[70:71], v38 src0_sel:WORD_1
	v_perm_b32 v62, v63, v62, s44
	v_cvt_pk_f32_fp8_e32 v[74:75], v40
	v_mfma_f32_16x16x16_bf16 v[46:49], v[48:49], v[8:9], v[44:47]
	v_perm_b32 v63, v71, v70, s44
	v_cvt_pk_f32_fp8_sdwa v[76:77], v40 src0_sel:WORD_1
	s_mov_b32 s40, 0xff7fffff
	v_cvt_pk_f32_fp8_e32 v[44:45], v39
	v_cvt_pk_f32_fp8_sdwa v[38:39], v39 src0_sel:WORD_1
	v_mfma_f32_16x16x16_bf16 v[70:73], v[62:63], v[26:27], 0
	v_cvt_pk_f32_fp8_e32 v[62:63], v41
	v_perm_b32 v44, v45, v44, s44
	v_perm_b32 v45, v39, v38, s44
	;; [unrolled: 1-line block ×4, first 2 shown]
	v_cvt_pk_f32_fp8_sdwa v[40:41], v41 src0_sel:WORD_1
	v_mov_b32_e32 v26, s8
	s_waitcnt lgkmcnt(0)
	v_mul_f32_e32 v74, s4, v26
	v_mfma_f32_16x16x16_bf16 v[26:29], v[44:45], v[28:29], v[70:73]
	v_pk_mul_f32 v[44:45], v[74:75], v[52:53] op_sel_hi:[0,1]
	v_perm_b32 v52, v63, v62, s44
	v_perm_b32 v53, v41, v40, s44
	v_mfma_f32_16x16x16_bf16 v[26:29], v[38:39], v[18:19], v[26:29]
	v_cvt_pk_f32_fp8_e32 v[18:19], v34
	v_cvt_pk_f32_fp8_sdwa v[38:39], v34 src0_sel:WORD_1
	v_pk_mul_f32 v[50:51], v[74:75], v[50:51] op_sel_hi:[0,1]
	v_mfma_f32_16x16x16_bf16 v[26:29], v[52:53], v[20:21], v[26:29]
	v_perm_b32 v20, v19, v18, s44
	v_perm_b32 v21, v39, v38, s44
	v_cvt_pk_f32_fp8_e32 v[38:39], v35
	v_cvt_pk_f32_fp8_sdwa v[34:35], v35 src0_sel:WORD_1
	v_mfma_f32_16x16x16_bf16 v[26:29], v[20:21], v[10:11], v[26:29]
	v_perm_b32 v38, v39, v38, s44
	v_perm_b32 v39, v35, v34, s44
	v_cvt_pk_f32_fp8_e32 v[10:11], v36
	v_cvt_pk_f32_fp8_sdwa v[20:21], v36 src0_sel:WORD_1
	v_pk_mul_f32 v[52:53], v[74:75], v[54:55] op_sel_hi:[0,1]
	v_pk_mul_f32 v[34:35], v[74:75], v[56:57] op_sel_hi:[0,1]
	v_perm_b32 v40, v11, v10, s44
	v_perm_b32 v41, v21, v20, s44
	v_cvt_pk_f32_fp8_e32 v[20:21], v37
	v_cvt_pk_f32_fp8_sdwa v[36:37], v37 src0_sel:WORD_1
	v_mfma_f32_16x16x16_bf16 v[10:13], v[38:39], v[12:13], v[26:29]
	v_pk_mul_f32 v[46:47], v[74:75], v[46:47] op_sel_hi:[0,1]
	v_perm_b32 v20, v21, v20, s44
	v_perm_b32 v21, v37, v36, s44
	v_mfma_f32_16x16x16_bf16 v[10:13], v[40:41], v[6:7], v[10:13]
	v_pk_mul_f32 v[40:41], v[74:75], v[48:49] op_sel_hi:[0,1]
	v_mad_i64_i32 v[18:19], s[4:5], v69, s45, v[42:43]
	v_mfma_f32_16x16x16_bf16 v[6:9], v[20:21], v[8:9], v[10:13]
	v_mad_i64_i32 v[62:63], s[4:5], v68, s45, v[42:43]
	global_load_dwordx4 v[26:29], v[18:19], off
	s_nop 0
	global_load_dwordx4 v[18:21], v[62:63], off
	s_nop 2
	v_pk_mul_f32 v[48:49], v[74:75], v[6:7] op_sel_hi:[0,1]
	v_and_b32_e32 v6, 0xc0, v0
	v_add_u32_e32 v6, s18, v6
	v_lshl_or_b32 v6, v64, 2, v6
	v_pk_mul_f32 v[38:39], v[74:75], v[8:9] op_sel_hi:[0,1]
	v_or_b32_e32 v9, 1, v6
	v_mov_b32_e32 v7, 0xff7fffff
	v_cmp_gt_i32_e64 s[26:27], s33, v6
	v_cmp_gt_i32_e64 s[28:29], s33, v9
	v_or_b32_e32 v10, 3, v6
	v_cndmask_b32_e64 v8, v7, v50, s[26:27]
	v_cndmask_b32_e64 v9, v7, v51, s[28:29]
	v_max3_f32 v8, v8, s40, v9
	v_or_b32_e32 v9, 2, v6
	v_cmp_gt_i32_e64 s[30:31], s33, v9
	v_cmp_gt_i32_e64 s[34:35], s33, v10
	s_nop 0
	v_cndmask_b32_e64 v9, v7, v44, s[30:31]
	v_cndmask_b32_e64 v10, v7, v45, s[34:35]
	v_max3_f32 v8, v8, v9, v10
	v_or_b32_e32 v9, 16, v6
	v_or_b32_e32 v10, 17, v6
	v_cmp_gt_i32_e64 s[18:19], s33, v9
	v_cmp_gt_i32_e64 s[20:21], s33, v10
	s_nop 0
	v_cndmask_b32_e64 v9, v7, v52, s[18:19]
	v_cndmask_b32_e64 v10, v7, v53, s[20:21]
	v_max3_f32 v8, v8, v9, v10
	v_or_b32_e32 v9, 18, v6
	;; [unrolled: 8-line block ×5, first 2 shown]
	v_or_b32_e32 v10, 49, v6
	v_cmp_gt_i32_e32 vcc, s33, v9
	v_cmp_gt_i32_e64 s[4:5], s33, v10
	s_nop 0
	v_cndmask_b32_e32 v9, v7, v48, vcc
	v_cndmask_b32_e64 v10, v7, v49, s[4:5]
	v_max3_f32 v8, v8, v9, v10
	v_or_b32_e32 v9, 50, v6
	v_or_b32_e32 v6, 51, v6
	v_cmp_gt_i32_e64 s[6:7], s33, v9
	v_cmp_gt_i32_e64 s[8:9], s33, v6
	s_nop 0
	v_cndmask_b32_e64 v9, v7, v38, s[6:7]
	v_cndmask_b32_e64 v6, v7, v39, s[8:9]
	v_max3_f32 v8, v8, v9, v6
	v_mbcnt_lo_u32_b32 v6, -1, 0
	v_mbcnt_hi_u32_b32 v9, -1, v6
	v_and_b32_e32 v6, 64, v9
	v_add_u32_e32 v10, 64, v6
	v_xor_b32_e32 v6, 32, v9
	v_cmp_lt_i32_e64 s[38:39], v6, v10
	s_nop 1
	v_cndmask_b32_e64 v6, v9, v6, s[38:39]
	v_lshlrev_b32_e32 v55, 2, v6
	ds_bpermute_b32 v11, v55, v8
	v_mad_i64_i32 v[6:7], s[38:39], v67, s45, v[42:43]
	s_waitcnt lgkmcnt(0)
	v_max_f32_e32 v11, v11, v11
	v_max_f32_e32 v36, v8, v11
	v_xor_b32_e32 v8, 16, v9
	v_cmp_lt_i32_e64 s[38:39], v8, v10
	s_nop 1
	v_cndmask_b32_e64 v8, v9, v8, s[38:39]
	v_lshlrev_b32_e32 v56, 2, v8
	v_mad_i64_i32 v[8:9], s[38:39], v66, s45, v[42:43]
	global_load_dwordx4 v[10:13], v[6:7], off
	s_nop 0
	global_load_dwordx4 v[6:9], v[8:9], off
	ds_bpermute_b32 v37, v56, v36
	s_waitcnt lgkmcnt(0)
	s_barrier
	v_max_f32_e32 v37, v37, v37
	v_max_f32_e32 v54, v36, v37
	v_sub_f32_e32 v42, v44, v54
	v_mul_f32_e32 v42, 0x3fb8aa3b, v42
	v_exp_f32_e32 v42, v42
	v_sub_f32_e32 v43, v45, v54
	v_mul_f32_e32 v43, 0x3fb8aa3b, v43
	v_exp_f32_e32 v43, v43
	v_cndmask_b32_e64 v44, 0, v42, s[30:31]
	v_sub_f32_e32 v42, v52, v54
	v_sub_f32_e32 v34, v34, v54
	v_mul_f32_e32 v42, 0x3fb8aa3b, v42
	v_mul_f32_e32 v34, 0x3fb8aa3b, v34
	v_sub_f32_e32 v36, v50, v54
	v_exp_f32_e32 v42, v42
	v_exp_f32_e32 v50, v34
	v_cndmask_b32_e64 v45, 0, v43, s[34:35]
	v_sub_f32_e32 v43, v53, v54
	v_sub_f32_e32 v34, v35, v54
	v_sub_f32_e32 v46, v46, v54
	v_sub_f32_e32 v40, v40, v54
	v_mul_f32_e32 v43, 0x3fb8aa3b, v43
	v_mul_f32_e32 v34, 0x3fb8aa3b, v34
	;; [unrolled: 1-line block ×4, first 2 shown]
	v_sub_f32_e32 v37, v51, v54
	v_exp_f32_e32 v43, v43
	v_exp_f32_e32 v51, v34
	v_cndmask_b32_e64 v34, 0, v42, s[18:19]
	v_cndmask_b32_e64 v42, 0, v50, s[22:23]
	v_exp_f32_e32 v46, v46
	v_exp_f32_e32 v50, v40
	v_mul_f32_e32 v36, 0x3fb8aa3b, v36
	v_sub_f32_e32 v47, v47, v54
	v_sub_f32_e32 v40, v41, v54
	v_sub_f32_e32 v48, v48, v54
	v_sub_f32_e32 v38, v38, v54
	v_exp_f32_e32 v36, v36
	v_mul_f32_e32 v37, 0x3fb8aa3b, v37
	v_mul_f32_e32 v47, 0x3fb8aa3b, v47
	;; [unrolled: 1-line block ×5, first 2 shown]
	v_exp_f32_e32 v37, v37
	v_cndmask_b32_e64 v35, 0, v43, s[20:21]
	v_cndmask_b32_e64 v43, 0, v51, s[36:37]
	v_exp_f32_e32 v47, v47
	v_exp_f32_e32 v51, v40
	v_cndmask_b32_e64 v40, 0, v46, s[10:11]
	v_cndmask_b32_e64 v46, 0, v50, s[14:15]
	v_exp_f32_e32 v48, v48
	v_exp_f32_e32 v50, v38
	v_sub_f32_e32 v38, v39, v54
	v_cndmask_b32_e64 v36, 0, v36, s[26:27]
	v_mul_f32_e32 v38, 0x3fb8aa3b, v38
	v_cndmask_b32_e64 v37, 0, v37, s[28:29]
	v_cndmask_b32_e64 v41, 0, v47, s[12:13]
	v_cndmask_b32_e64 v47, 0, v51, s[16:17]
	v_exp_f32_e32 v51, v38
	v_cndmask_b32_e32 v38, 0, v48, vcc
	v_cndmask_b32_e64 v48, 0, v50, s[6:7]
	v_add_f32_e32 v50, 0, v36
	v_add_f32_e32 v50, v50, v37
	;; [unrolled: 1-line block ×6, first 2 shown]
	v_sub_f32_e32 v49, v49, v54
	v_add_f32_e32 v50, v50, v42
	v_mul_f32_e32 v49, 0x3fb8aa3b, v49
	v_add_f32_e32 v50, v50, v43
	v_exp_f32_e32 v49, v49
	v_add_f32_e32 v50, v50, v40
	v_add_f32_e32 v50, v50, v41
	;; [unrolled: 1-line block ×4, first 2 shown]
	v_cndmask_b32_e64 v39, 0, v49, s[4:5]
	v_add_f32_e32 v50, v50, v38
	v_add_f32_e32 v50, v50, v39
	v_cndmask_b32_e64 v49, 0, v51, s[8:9]
	v_add_f32_e32 v50, v50, v48
	v_add_f32_e32 v50, v50, v49
	ds_bpermute_b32 v51, v55, v50
	v_cmp_gt_u32_e32 vcc, 16, v65
	s_waitcnt lgkmcnt(0)
	v_add_f32_e32 v50, v50, v51
	ds_bpermute_b32 v51, v56, v50
	s_and_saveexec_b64 s[4:5], vcc
	s_cbranch_execz .LBB1278_13
; %bb.12:
	s_waitcnt lgkmcnt(0)
	v_add_f32_e32 v50, v50, v51
	v_lshlrev_b32_e32 v51, 2, v59
	ds_write2st64_b32 v51, v54, v50 offset1:1
.LBB1278_13:
	s_or_b64 exec, exec, s[4:5]
	s_waitcnt lgkmcnt(0)
	v_lshlrev_b32_e32 v51, 2, v60
	s_load_dword s6, s[0:1], 0x94
	s_waitcnt lgkmcnt(0)
	s_barrier
	ds_read2_b32 v[52:53], v51 offset1:16
	ds_read2_b32 v[54:55], v51 offset0:32 offset1:48
	ds_read2_b32 v[56:57], v51 offset0:64 offset1:80
	s_movk_i32 s8, 0x7fff
	s_mul_i32 s7, s25, 11
	s_waitcnt lgkmcnt(2)
	v_max3_f32 v50, v52, s40, v53
	s_waitcnt lgkmcnt(1)
	v_max3_f32 v50, v50, v54, v55
	v_sub_f32_e32 v52, v52, v50
	v_mul_f32_e32 v52, 0x3fb8aa3b, v52
	v_exp_f32_e32 v59, v52
	v_sub_f32_e32 v52, v53, v50
	v_mul_f32_e32 v52, 0x3fb8aa3b, v52
	v_exp_f32_e32 v62, v52
	;; [unrolled: 3-line block ×3, first 2 shown]
	ds_read2_b32 v[52:53], v51 offset0:96 offset1:112
	v_sub_f32_e32 v51, v55, v50
	v_mul_f32_e32 v51, 0x3fb8aa3b, v51
	v_exp_f32_e32 v55, v51
	s_waitcnt lgkmcnt(1)
	v_fma_f32 v51, v59, v56, 0
	v_fmac_f32_e32 v51, v62, v57
	s_waitcnt lgkmcnt(0)
	v_fmac_f32_e32 v51, v54, v52
	v_fmac_f32_e32 v51, v55, v53
	v_add_f32_e32 v52, 0x358637bd, v51
	v_div_scale_f32 v53, s[4:5], v52, v52, 1.0
	v_rcp_f32_e32 v56, v53
	s_barrier
	v_fma_f32 v57, -v53, v56, 1.0
	v_fmac_f32_e32 v56, v57, v56
	v_div_scale_f32 v57, vcc, 1.0, v52, 1.0
	v_mul_f32_e32 v63, v57, v56
	v_fma_f32 v65, -v53, v63, v57
	v_fmac_f32_e32 v63, v65, v56
	v_fma_f32 v53, -v53, v63, v57
	v_div_fmas_f32 v53, v53, v56, v63
	v_cmp_eq_u32_e32 vcc, 1, v61
	v_div_fixup_f32 v52, v53, v52, 1.0
	s_nop 0
	v_cndmask_b32_e32 v53, v59, v62, vcc
	v_cmp_eq_u32_e32 vcc, 2, v61
	s_nop 1
	v_cndmask_b32_e32 v53, v53, v54, vcc
	v_cmp_eq_u32_e32 vcc, 3, v61
	s_nop 1
	v_cndmask_b32_e32 v53, v53, v55, vcc
	v_mul_f32_e32 v52, v53, v52
	v_pk_mul_f32 v[36:37], v[52:53], v[36:37] op_sel_hi:[0,1]
	v_pk_mul_f32 v[44:45], v[52:53], v[44:45] op_sel_hi:[0,1]
	v_bfe_u32 v53, v37, 16, 1
	v_bfe_u32 v54, v36, 16, 1
	v_add3_u32 v36, v36, v54, s8
	v_add3_u32 v37, v37, v53, s8
	v_perm_b32 v56, v37, v36, s44
	v_bfe_u32 v36, v45, 16, 1
	v_bfe_u32 v37, v44, 16, 1
	v_add3_u32 v37, v44, v37, s8
	v_add3_u32 v36, v45, v36, s8
	v_perm_b32 v57, v36, v37, s44
	v_lshlrev_b32_e32 v37, 3, v64
	v_lshlrev_b32_e32 v36, 5, v60
	;; [unrolled: 1-line block ×3, first 2 shown]
	v_pk_mul_f32 v[34:35], v[52:53], v[34:35] op_sel_hi:[0,1]
	v_or3_b32 v54, v44, v36, v37
	v_bfe_u32 v37, v35, 16, 1
	v_bfe_u32 v44, v34, 16, 1
	v_pk_mul_f32 v[42:43], v[52:53], v[42:43] op_sel_hi:[0,1]
	v_add3_u32 v34, v34, v44, s8
	v_add3_u32 v35, v35, v37, s8
	v_perm_b32 v34, v35, v34, s44
	v_bfe_u32 v35, v43, 16, 1
	v_bfe_u32 v37, v42, 16, 1
	v_add3_u32 v37, v42, v37, s8
	v_add3_u32 v35, v43, v35, s8
	v_pk_mul_f32 v[40:41], v[52:53], v[40:41] op_sel_hi:[0,1]
	v_perm_b32 v35, v35, v37, s44
	v_bfe_u32 v37, v41, 16, 1
	v_bfe_u32 v42, v40, 16, 1
	ds_write2st64_b64 v54, v[56:57], v[34:35] offset1:1
	v_pk_mul_f32 v[34:35], v[52:53], v[46:47] op_sel_hi:[0,1]
	v_add3_u32 v40, v40, v42, s8
	v_add3_u32 v37, v41, v37, s8
	v_perm_b32 v40, v37, v40, s44
	v_bfe_u32 v37, v35, 16, 1
	v_bfe_u32 v41, v34, 16, 1
	v_pk_mul_f32 v[38:39], v[52:53], v[38:39] op_sel_hi:[0,1]
	v_add3_u32 v34, v34, v41, s8
	v_add3_u32 v35, v35, v37, s8
	v_bfe_u32 v37, v39, 16, 1
	v_bfe_u32 v42, v38, 16, 1
	v_perm_b32 v41, v35, v34, s44
	v_pk_mul_f32 v[34:35], v[52:53], v[48:49] op_sel_hi:[0,1]
	v_add3_u32 v38, v38, v42, s8
	v_add3_u32 v37, v39, v37, s8
	v_perm_b32 v38, v37, v38, s44
	v_bfe_u32 v37, v35, 16, 1
	v_bfe_u32 v39, v34, 16, 1
	v_add3_u32 v34, v34, v39, s8
	v_add3_u32 v35, v35, v37, s8
	v_perm_b32 v39, v35, v34, s44
	v_cmp_gt_u32_e32 vcc, 11, v0
	ds_write2st64_b64 v54, v[40:41], v[38:39] offset0:2 offset1:3
	s_and_saveexec_b64 s[4:5], vcc
	s_cbranch_execz .LBB1278_15
; %bb.14:
	s_mov_b32 s49, 0
	v_mov_b32_e32 v61, 0
	v_lshl_add_u64 v[34:35], s[48:49], 0, v[60:61]
	v_mov_b32_e32 v37, s7
	v_mad_u64_u32 v[34:35], s[10:11], s2, v37, v[34:35]
	s_mul_i32 s3, s3, s7
	v_mov_b32_e32 v38, s24
	v_mov_b32_e32 v39, v61
	s_load_dwordx4 s[12:15], s[0:1], 0x58
	v_add_u32_e32 v37, s3, v35
	v_mad_u64_u32 v[34:35], s[10:11], v34, s6, v[38:39]
	v_mov_b32_e32 v38, v35
	v_mad_u64_u32 v[38:39], s[10:11], v37, s6, v[38:39]
	v_mov_b32_e32 v35, v38
	v_lshlrev_b64 v[34:35], 2, v[34:35]
	s_waitcnt lgkmcnt(0)
	v_lshl_add_u64 v[38:39], s[14:15], 0, v[34:35]
	v_lshl_add_u64 v[34:35], s[12:13], 0, v[34:35]
	global_store_dword v[38:39], v50, off
	global_store_dword v[34:35], v51, off
.LBB1278_15:
	s_or_b64 exec, exec, s[4:5]
	v_lshl_or_b32 v50, v64, 9, v36
	s_waitcnt vmcnt(7)
	v_cvt_pk_f32_fp8_e32 v[34:35], v30
	v_cvt_pk_f32_fp8_sdwa v[36:37], v30 src0_sel:WORD_1
	s_mov_b32 s5, 0x7060302
	s_waitcnt lgkmcnt(0)
	s_barrier
	v_cvt_pk_f32_fp8_e32 v[38:39], v31
	v_perm_b32 v30, v35, v34, s5
	v_cvt_pk_f32_fp8_sdwa v[40:41], v31 src0_sel:WORD_1
	v_perm_b32 v31, v37, v36, s5
	ds_read_b128 v[34:37], v50
	v_perm_b32 v46, v39, v38, s5
	v_perm_b32 v47, v41, v40, s5
	ds_read_b128 v[38:41], v50 offset:16
	v_cvt_pk_f32_fp8_e32 v[48:49], v32
	v_cvt_pk_f32_fp8_sdwa v[52:53], v32 src0_sel:WORD_1
	s_waitcnt lgkmcnt(1)
	v_mfma_f32_16x16x16_bf16 v[42:45], v[30:31], v[34:35], 0
	s_waitcnt vmcnt(6)
	v_cvt_pk_f32_fp8_e32 v[56:57], v24
	v_perm_b32 v30, v49, v48, s5
	v_perm_b32 v31, v53, v52, s5
	v_cvt_pk_f32_fp8_e32 v[48:49], v33
	v_mfma_f32_16x16x16_bf16 v[42:45], v[46:47], v[36:37], v[42:45]
	v_cvt_pk_f32_fp8_sdwa v[46:47], v33 src0_sel:WORD_1
	v_cvt_pk_f32_fp8_sdwa v[62:63], v24 src0_sel:WORD_1
	v_perm_b32 v48, v49, v48, s5
	s_waitcnt lgkmcnt(0)
	v_mfma_f32_16x16x16_bf16 v[30:33], v[30:31], v[38:39], v[42:45]
	v_perm_b32 v49, v47, v46, s5
	s_waitcnt vmcnt(4)
	v_cvt_pk_f32_fp8_sdwa v[70:71], v4 src0_sel:WORD_1
	s_load_dword s4, s[42:43], 0x0
	v_cvt_pk_f32_fp8_e32 v[42:43], v22
	v_mfma_f32_16x16x16_bf16 v[46:49], v[48:49], v[40:41], v[30:33]
	s_waitcnt vmcnt(3)
	v_cvt_pk_f32_fp8_sdwa v[72:73], v28 src0_sel:WORD_1
	s_mov_b32 s3, 0
	v_cvt_pk_f32_fp8_sdwa v[30:31], v22 src0_sel:WORD_1
	v_cvt_pk_f32_fp8_e32 v[32:33], v23
	v_perm_b32 v22, v43, v42, s5
	v_cvt_pk_f32_fp8_sdwa v[42:43], v23 src0_sel:WORD_1
	v_perm_b32 v23, v31, v30, s5
	v_perm_b32 v52, v33, v32, s5
	ds_read_b128 v[30:33], v50 offset:2048
	v_perm_b32 v53, v43, v42, s5
	ds_read_b128 v[42:45], v50 offset:2064
	s_waitcnt lgkmcnt(0)
	v_mfma_f32_16x16x16_bf16 v[46:49], v[22:23], v[30:31], v[46:49]
	v_perm_b32 v22, v57, v56, s5
	v_perm_b32 v23, v63, v62, s5
	v_cvt_pk_f32_fp8_e32 v[56:57], v25
	v_mfma_f32_16x16x16_bf16 v[46:49], v[52:53], v[32:33], v[46:49]
	v_cvt_pk_f32_fp8_sdwa v[52:53], v25 src0_sel:WORD_1
	v_cvt_pk_f32_fp8_sdwa v[62:63], v16 src0_sel:WORD_1
	v_perm_b32 v56, v57, v56, s5
	v_mfma_f32_16x16x16_bf16 v[22:25], v[22:23], v[42:43], v[46:49]
	v_perm_b32 v57, v53, v52, s5
	v_cmp_gt_u32_e32 vcc, 64, v0
	s_nop 0
	v_cvt_pk_f32_fp8_e32 v[46:47], v14
	v_mfma_f32_16x16x16_bf16 v[66:69], v[56:57], v[44:45], v[22:25]
	v_cvt_pk_f32_fp8_e32 v[56:57], v16
	s_nop 1
	v_cvt_pk_f32_fp8_sdwa v[22:23], v14 src0_sel:WORD_1
	v_cvt_pk_f32_fp8_e32 v[24:25], v15
	v_perm_b32 v14, v47, v46, s5
	v_cvt_pk_f32_fp8_sdwa v[46:47], v15 src0_sel:WORD_1
	v_perm_b32 v15, v23, v22, s5
	v_perm_b32 v52, v25, v24, s5
	ds_read_b128 v[22:25], v50 offset:4096
	v_perm_b32 v53, v47, v46, s5
	ds_read_b128 v[46:49], v50 offset:4112
	s_waitcnt lgkmcnt(1)
	v_mfma_f32_16x16x16_bf16 v[66:69], v[14:15], v[22:23], v[66:69]
	v_perm_b32 v14, v57, v56, s5
	v_perm_b32 v15, v63, v62, s5
	v_cvt_pk_f32_fp8_e32 v[56:57], v17
	v_mfma_f32_16x16x16_bf16 v[66:69], v[52:53], v[24:25], v[66:69]
	v_cvt_pk_f32_fp8_sdwa v[52:53], v17 src0_sel:WORD_1
	v_cvt_pk_f32_fp8_e32 v[62:63], v4
	v_perm_b32 v56, v57, v56, s5
	s_waitcnt lgkmcnt(0)
	v_mfma_f32_16x16x16_bf16 v[14:17], v[14:15], v[46:47], v[66:69]
	v_perm_b32 v57, v53, v52, s5
	v_cvt_pk_f32_fp8_e32 v[52:53], v2
	s_nop 0
	v_mfma_f32_16x16x16_bf16 v[66:69], v[56:57], v[48:49], v[14:17]
	s_nop 2
	v_cvt_pk_f32_fp8_sdwa v[14:15], v2 src0_sel:WORD_1
	v_cvt_pk_f32_fp8_e32 v[16:17], v3
	v_perm_b32 v2, v53, v52, s5
	v_cvt_pk_f32_fp8_sdwa v[52:53], v3 src0_sel:WORD_1
	v_perm_b32 v3, v15, v14, s5
	v_perm_b32 v56, v17, v16, s5
	ds_read_b128 v[14:17], v50 offset:6144
	v_perm_b32 v57, v53, v52, s5
	s_waitcnt lgkmcnt(0)
	v_mfma_f32_16x16x16_bf16 v[66:69], v[2:3], v[14:15], v[66:69]
	ds_read_b128 v[50:53], v50 offset:6160
	v_perm_b32 v2, v63, v62, s5
	v_perm_b32 v3, v71, v70, s5
	v_cvt_pk_f32_fp8_e32 v[62:63], v5
	v_mfma_f32_16x16x16_bf16 v[66:69], v[56:57], v[16:17], v[66:69]
	v_cvt_pk_f32_fp8_sdwa v[56:57], v5 src0_sel:WORD_1
	v_cvt_pk_f32_fp8_e32 v[70:71], v28
	v_perm_b32 v62, v63, v62, s5
	s_waitcnt lgkmcnt(0)
	v_mfma_f32_16x16x16_bf16 v[2:5], v[2:3], v[50:51], v[66:69]
	v_perm_b32 v63, v57, v56, s5
	v_cvt_pk_f32_fp8_sdwa v[56:57], v26 src0_sel:WORD_1
	s_nop 0
	v_mfma_f32_16x16x16_bf16 v[66:69], v[62:63], v[52:53], v[2:5]
	s_barrier
	s_nop 1
	v_cvt_pk_f32_fp8_e32 v[4:5], v26
	s_nop 2
	v_pk_mul_f32 v[62:63], v[66:67], s[4:5] op_sel_hi:[1,0]
	v_cvt_pk_f32_fp8_e32 v[66:67], v27
	v_perm_b32 v4, v5, v4, s5
	v_perm_b32 v5, v57, v56, s5
	v_cvt_pk_f32_fp8_sdwa v[26:27], v27 src0_sel:WORD_1
	v_perm_b32 v56, v67, v66, s5
	v_pk_mul_f32 v[2:3], v[68:69], s[4:5] op_sel_hi:[1,0]
	v_mfma_f32_16x16x16_bf16 v[66:69], v[4:5], v[34:35], 0
	v_perm_b32 v57, v27, v26, s5
	v_perm_b32 v4, v71, v70, s5
	;; [unrolled: 1-line block ×3, first 2 shown]
	v_cvt_pk_f32_fp8_e32 v[34:35], v29
	v_cvt_pk_f32_fp8_sdwa v[70:71], v29 src0_sel:WORD_1
	v_mfma_f32_16x16x16_bf16 v[26:29], v[56:57], v[36:37], v[66:69]
	s_waitcnt vmcnt(2)
	v_cvt_pk_f32_fp8_sdwa v[36:37], v18 src0_sel:WORD_1
	v_perm_b32 v34, v35, v34, s5
	v_perm_b32 v35, v71, v70, s5
	v_mfma_f32_16x16x16_bf16 v[26:29], v[4:5], v[38:39], v[26:29]
	v_cvt_pk_f32_fp8_e32 v[4:5], v18
	v_cvt_pk_f32_fp8_sdwa v[38:39], v20 src0_sel:WORD_1
	v_bfe_u32 v55, v63, 16, 1
	v_mfma_f32_16x16x16_bf16 v[26:29], v[34:35], v[40:41], v[26:29]
	v_cvt_pk_f32_fp8_e32 v[34:35], v19
	v_perm_b32 v4, v5, v4, s5
	v_perm_b32 v5, v37, v36, s5
	v_cvt_pk_f32_fp8_sdwa v[18:19], v19 src0_sel:WORD_1
	v_perm_b32 v34, v35, v34, s5
	v_cvt_pk_f32_fp8_e32 v[36:37], v20
	v_mfma_f32_16x16x16_bf16 v[26:29], v[4:5], v[30:31], v[26:29]
	v_perm_b32 v35, v19, v18, s5
	v_perm_b32 v4, v37, v36, s5
	v_perm_b32 v5, v39, v38, s5
	v_cvt_pk_f32_fp8_e32 v[30:31], v21
	v_cvt_pk_f32_fp8_sdwa v[36:37], v21 src0_sel:WORD_1
	v_mfma_f32_16x16x16_bf16 v[18:21], v[34:35], v[32:33], v[26:29]
	v_bfe_u32 v56, v62, 16, 1
	v_add3_u32 v32, v62, v56, s8
	v_add3_u32 v33, v63, v55, s8
	v_perm_b32 v26, v31, v30, s5
	v_perm_b32 v27, v37, v36, s5
	v_mfma_f32_16x16x16_bf16 v[18:21], v[4:5], v[42:43], v[18:21]
	s_waitcnt vmcnt(1)
	v_cvt_pk_f32_fp8_e32 v[4:5], v10
	v_cvt_pk_f32_fp8_sdwa v[28:29], v10 src0_sel:WORD_1
	v_cvt_pk_f32_fp8_sdwa v[30:31], v12 src0_sel:WORD_1
	v_mfma_f32_16x16x16_bf16 v[18:21], v[26:27], v[44:45], v[18:21]
	v_cvt_pk_f32_fp8_e32 v[26:27], v11
	v_perm_b32 v4, v5, v4, s5
	v_perm_b32 v5, v29, v28, s5
	v_cvt_pk_f32_fp8_sdwa v[10:11], v11 src0_sel:WORD_1
	v_perm_b32 v26, v27, v26, s5
	v_cvt_pk_f32_fp8_e32 v[28:29], v12
	v_mfma_f32_16x16x16_bf16 v[18:21], v[4:5], v[22:23], v[18:21]
	v_perm_b32 v27, v11, v10, s5
	v_perm_b32 v4, v29, v28, s5
	;; [unrolled: 1-line block ×3, first 2 shown]
	v_cvt_pk_f32_fp8_e32 v[22:23], v13
	v_cvt_pk_f32_fp8_sdwa v[28:29], v13 src0_sel:WORD_1
	v_mfma_f32_16x16x16_bf16 v[10:13], v[26:27], v[24:25], v[18:21]
	s_waitcnt vmcnt(0)
	v_cvt_pk_f32_fp8_sdwa v[24:25], v8 src0_sel:WORD_1
	s_nop 0
	v_perm_b32 v20, v23, v22, s5
	v_perm_b32 v21, v29, v28, s5
	v_mfma_f32_16x16x16_bf16 v[10:13], v[4:5], v[46:47], v[10:13]
	v_cvt_pk_f32_fp8_e32 v[4:5], v6
	v_cvt_pk_f32_fp8_sdwa v[22:23], v6 src0_sel:WORD_1
	v_bfe_u32 v19, v3, 16, 1
	v_mfma_f32_16x16x16_bf16 v[10:13], v[20:21], v[48:49], v[10:13]
	v_cvt_pk_f32_fp8_e32 v[20:21], v7
	v_perm_b32 v4, v5, v4, s5
	v_perm_b32 v5, v23, v22, s5
	v_cvt_pk_f32_fp8_sdwa v[6:7], v7 src0_sel:WORD_1
	v_perm_b32 v20, v21, v20, s5
	v_cvt_pk_f32_fp8_e32 v[22:23], v8
	v_add3_u32 v3, v3, v19, s8
	v_perm_b32 v21, v7, v6, s5
	v_mfma_f32_16x16x16_bf16 v[4:7], v[4:5], v[14:15], v[10:13]
	v_bfe_u32 v14, v2, 16, 1
	v_add3_u32 v2, v2, v14, s8
	v_perm_b32 v19, v3, v2, s5
	v_perm_b32 v10, v23, v22, s5
	;; [unrolled: 1-line block ×3, first 2 shown]
	v_cvt_pk_f32_fp8_e32 v[12:13], v9
	v_cvt_pk_f32_fp8_sdwa v[8:9], v9 src0_sel:WORD_1
	v_mfma_f32_16x16x16_bf16 v[4:7], v[20:21], v[16:17], v[4:7]
	v_perm_b32 v18, v33, v32, s5
	v_perm_b32 v12, v13, v12, s5
	;; [unrolled: 1-line block ×3, first 2 shown]
	v_mfma_f32_16x16x16_bf16 v[4:7], v[10:11], v[50:51], v[4:7]
	s_nop 0
	v_mfma_f32_16x16x16_bf16 v[2:5], v[12:13], v[52:53], v[4:7]
	s_nop 6
	v_pk_mul_f32 v[2:3], v[2:3], s[4:5] op_sel_hi:[1,0]
	v_pk_mul_f32 v[4:5], v[4:5], s[4:5] op_sel_hi:[1,0]
	v_bfe_u32 v6, v3, 16, 1
	v_bfe_u32 v7, v2, 16, 1
	v_add3_u32 v2, v2, v7, s8
	v_add3_u32 v3, v3, v6, s8
	v_perm_b32 v2, v3, v2, s5
	v_bfe_u32 v3, v5, 16, 1
	v_bfe_u32 v6, v4, 16, 1
	v_add3_u32 v4, v4, v6, s8
	v_add3_u32 v3, v5, v3, s8
	v_perm_b32 v3, v3, v4, s5
	ds_write2st64_b64 v54, v[18:19], v[2:3] offset1:1
	s_waitcnt lgkmcnt(0)
	s_barrier
	s_and_saveexec_b64 s[4:5], vcc
	s_cbranch_execz .LBB1278_18
; %bb.16:
	s_load_dwordx2 s[4:5], s[0:1], 0x68
	s_lshl_b32 s0, s6, 7
	s_mul_i32 s1, s7, s2
	v_lshlrev_b32_e32 v3, 6, v60
	s_mul_hi_u32 s7, s1, s0
	s_mul_i32 s6, s1, s0
	v_lshl_or_b32 v0, v0, 10, v3
	s_lshl_b64 s[6:7], s[6:7], 1
	v_lshlrev_b32_e32 v2, 5, v64
	v_and_b32_e32 v1, 16, v1
	v_and_b32_e32 v0, 0x1a00, v0
	s_waitcnt lgkmcnt(0)
	s_add_u32 s1, s4, s6
	v_or3_b32 v2, v0, v2, v1
	s_addc_u32 s4, s5, s7
	s_lshl_b32 s2, s24, 7
	s_lshl_b64 s[2:3], s[2:3], 1
	ds_read_b128 v[4:7], v2 offset:128
	ds_read_b128 v[8:11], v2
	s_add_u32 s2, s1, s2
	s_addc_u32 s3, s4, s3
	v_mov_b32_e32 v59, 0
	v_add_u32_e32 v3, s48, v64
	v_lshl_add_u64 v[0:1], s[2:3], 0, v[58:59]
	v_mad_u64_u32 v[12:13], s[2:3], v3, s0, 0
	v_lshl_add_u64 v[12:13], v[12:13], 1, v[0:1]
	v_add_u32_e32 v3, 4, v3
	s_waitcnt lgkmcnt(0)
	global_store_dwordx4 v[12:13], v[8:11], off
	v_cmp_ne_u32_e32 vcc, 3, v64
	s_nop 0
	v_mad_u64_u32 v[8:9], s[2:3], v3, s0, 0
	v_lshl_add_u64 v[8:9], v[8:9], 1, v[0:1]
	global_store_dwordx4 v[8:9], v[4:7], off
	s_and_b64 exec, exec, vcc
	s_cbranch_execz .LBB1278_18
; %bb.17:
	ds_read_b128 v[2:5], v2 offset:256
	v_add3_u32 v6, s48, v64, 8
	v_mad_u64_u32 v[6:7], s[0:1], v6, s0, 0
	v_lshl_add_u64 v[0:1], v[6:7], 1, v[0:1]
	s_waitcnt lgkmcnt(0)
	global_store_dwordx4 v[0:1], v[2:5], off
.LBB1278_18:
	s_endpgm
	.section	.rodata,"a",@progbits
	.p2align	6, 0x0
	.amdhsa_kernel _Z39paged_attention_ll4mi_QKV_mfma16_kernelI14__hip_bfloat16hLN4vllm18Fp8KVCacheDataTypeE1EhLi16ELi128ELi256ELb0ELi11EEvPKT_PKT0_S8_ifPKiSA_SA_iPKfiiiPfSD_PS3_PT2_iSC_SC_
		.amdhsa_group_segment_fixed_size 8192
		.amdhsa_private_segment_fixed_size 0
		.amdhsa_kernarg_size 400
		.amdhsa_user_sgpr_count 2
		.amdhsa_user_sgpr_dispatch_ptr 0
		.amdhsa_user_sgpr_queue_ptr 0
		.amdhsa_user_sgpr_kernarg_segment_ptr 1
		.amdhsa_user_sgpr_dispatch_id 0
		.amdhsa_user_sgpr_kernarg_preload_length 0
		.amdhsa_user_sgpr_kernarg_preload_offset 0
		.amdhsa_user_sgpr_private_segment_size 0
		.amdhsa_uses_dynamic_stack 0
		.amdhsa_enable_private_segment 0
		.amdhsa_system_sgpr_workgroup_id_x 1
		.amdhsa_system_sgpr_workgroup_id_y 1
		.amdhsa_system_sgpr_workgroup_id_z 1
		.amdhsa_system_sgpr_workgroup_info 0
		.amdhsa_system_vgpr_workitem_id 0
		.amdhsa_next_free_vgpr 86
		.amdhsa_next_free_sgpr 50
		.amdhsa_accum_offset 88
		.amdhsa_reserve_vcc 1
		.amdhsa_float_round_mode_32 0
		.amdhsa_float_round_mode_16_64 0
		.amdhsa_float_denorm_mode_32 3
		.amdhsa_float_denorm_mode_16_64 3
		.amdhsa_dx10_clamp 1
		.amdhsa_ieee_mode 1
		.amdhsa_fp16_overflow 0
		.amdhsa_tg_split 0
		.amdhsa_exception_fp_ieee_invalid_op 0
		.amdhsa_exception_fp_denorm_src 0
		.amdhsa_exception_fp_ieee_div_zero 0
		.amdhsa_exception_fp_ieee_overflow 0
		.amdhsa_exception_fp_ieee_underflow 0
		.amdhsa_exception_fp_ieee_inexact 0
		.amdhsa_exception_int_div_zero 0
	.end_amdhsa_kernel
	.section	.text._Z39paged_attention_ll4mi_QKV_mfma16_kernelI14__hip_bfloat16hLN4vllm18Fp8KVCacheDataTypeE1EhLi16ELi128ELi256ELb0ELi11EEvPKT_PKT0_S8_ifPKiSA_SA_iPKfiiiPfSD_PS3_PT2_iSC_SC_,"axG",@progbits,_Z39paged_attention_ll4mi_QKV_mfma16_kernelI14__hip_bfloat16hLN4vllm18Fp8KVCacheDataTypeE1EhLi16ELi128ELi256ELb0ELi11EEvPKT_PKT0_S8_ifPKiSA_SA_iPKfiiiPfSD_PS3_PT2_iSC_SC_,comdat
.Lfunc_end1278:
	.size	_Z39paged_attention_ll4mi_QKV_mfma16_kernelI14__hip_bfloat16hLN4vllm18Fp8KVCacheDataTypeE1EhLi16ELi128ELi256ELb0ELi11EEvPKT_PKT0_S8_ifPKiSA_SA_iPKfiiiPfSD_PS3_PT2_iSC_SC_, .Lfunc_end1278-_Z39paged_attention_ll4mi_QKV_mfma16_kernelI14__hip_bfloat16hLN4vllm18Fp8KVCacheDataTypeE1EhLi16ELi128ELi256ELb0ELi11EEvPKT_PKT0_S8_ifPKiSA_SA_iPKfiiiPfSD_PS3_PT2_iSC_SC_
                                        ; -- End function
	.section	.AMDGPU.csdata,"",@progbits
; Kernel info:
; codeLenInByte = 6344
; NumSgprs: 56
; NumVgprs: 86
; NumAgprs: 0
; TotalNumVgprs: 86
; ScratchSize: 0
; MemoryBound: 0
; FloatMode: 240
; IeeeMode: 1
; LDSByteSize: 8192 bytes/workgroup (compile time only)
; SGPRBlocks: 6
; VGPRBlocks: 10
; NumSGPRsForWavesPerEU: 56
; NumVGPRsForWavesPerEU: 86
; AccumOffset: 88
; Occupancy: 5
; WaveLimiterHint : 1
; COMPUTE_PGM_RSRC2:SCRATCH_EN: 0
; COMPUTE_PGM_RSRC2:USER_SGPR: 2
; COMPUTE_PGM_RSRC2:TRAP_HANDLER: 0
; COMPUTE_PGM_RSRC2:TGID_X_EN: 1
; COMPUTE_PGM_RSRC2:TGID_Y_EN: 1
; COMPUTE_PGM_RSRC2:TGID_Z_EN: 1
; COMPUTE_PGM_RSRC2:TIDIG_COMP_CNT: 0
; COMPUTE_PGM_RSRC3_GFX90A:ACCUM_OFFSET: 21
; COMPUTE_PGM_RSRC3_GFX90A:TG_SPLIT: 0
	.section	.text._Z39paged_attention_ll4mi_QKV_mfma16_kernelI14__hip_bfloat16hLN4vllm18Fp8KVCacheDataTypeE1EhLi16ELi128ELi256ELb0ELi12EEvPKT_PKT0_S8_ifPKiSA_SA_iPKfiiiPfSD_PS3_PT2_iSC_SC_,"axG",@progbits,_Z39paged_attention_ll4mi_QKV_mfma16_kernelI14__hip_bfloat16hLN4vllm18Fp8KVCacheDataTypeE1EhLi16ELi128ELi256ELb0ELi12EEvPKT_PKT0_S8_ifPKiSA_SA_iPKfiiiPfSD_PS3_PT2_iSC_SC_,comdat
	.protected	_Z39paged_attention_ll4mi_QKV_mfma16_kernelI14__hip_bfloat16hLN4vllm18Fp8KVCacheDataTypeE1EhLi16ELi128ELi256ELb0ELi12EEvPKT_PKT0_S8_ifPKiSA_SA_iPKfiiiPfSD_PS3_PT2_iSC_SC_ ; -- Begin function _Z39paged_attention_ll4mi_QKV_mfma16_kernelI14__hip_bfloat16hLN4vllm18Fp8KVCacheDataTypeE1EhLi16ELi128ELi256ELb0ELi12EEvPKT_PKT0_S8_ifPKiSA_SA_iPKfiiiPfSD_PS3_PT2_iSC_SC_
	.globl	_Z39paged_attention_ll4mi_QKV_mfma16_kernelI14__hip_bfloat16hLN4vllm18Fp8KVCacheDataTypeE1EhLi16ELi128ELi256ELb0ELi12EEvPKT_PKT0_S8_ifPKiSA_SA_iPKfiiiPfSD_PS3_PT2_iSC_SC_
	.p2align	8
	.type	_Z39paged_attention_ll4mi_QKV_mfma16_kernelI14__hip_bfloat16hLN4vllm18Fp8KVCacheDataTypeE1EhLi16ELi128ELi256ELb0ELi12EEvPKT_PKT0_S8_ifPKiSA_SA_iPKfiiiPfSD_PS3_PT2_iSC_SC_,@function
_Z39paged_attention_ll4mi_QKV_mfma16_kernelI14__hip_bfloat16hLN4vllm18Fp8KVCacheDataTypeE1EhLi16ELi128ELi256ELb0ELi12EEvPKT_PKT0_S8_ifPKiSA_SA_iPKfiiiPfSD_PS3_PT2_iSC_SC_: ; @_Z39paged_attention_ll4mi_QKV_mfma16_kernelI14__hip_bfloat16hLN4vllm18Fp8KVCacheDataTypeE1EhLi16ELi128ELi256ELb0ELi12EEvPKT_PKT0_S8_ifPKiSA_SA_iPKfiiiPfSD_PS3_PT2_iSC_SC_
; %bb.0:
	s_load_dwordx2 s[12:13], s[0:1], 0x30
	s_mov_b32 s24, s3
	s_mov_b64 s[6:7], 0
	s_waitcnt lgkmcnt(0)
	s_cmp_lg_u64 s[12:13], 0
	s_cselect_b64 s[14:15], -1, 0
	s_and_b64 vcc, exec, s[14:15]
	s_cbranch_vccz .LBB1279_7
; %bb.1:
	s_add_i32 s8, s2, 1
	s_mov_b32 s9, 0
	s_lshl_b64 s[10:11], s[8:9], 2
	s_add_u32 s10, s12, s10
	s_mov_b32 s3, s9
	s_addc_u32 s11, s13, s11
	s_lshl_b64 s[8:9], s[2:3], 2
	s_add_u32 s8, s12, s8
	s_addc_u32 s9, s13, s9
	s_load_dword s5, s[10:11], 0x0
	s_load_dword s16, s[8:9], 0x0
	s_waitcnt lgkmcnt(0)
	s_sub_i32 s5, s5, s16
	s_cmp_eq_u32 s5, 1
	s_cselect_b64 s[8:9], -1, 0
	s_andn2_b64 vcc, exec, s[6:7]
	s_cbranch_vccnz .LBB1279_3
.LBB1279_2:
	s_mov_b32 s3, 0
	s_mov_b64 s[8:9], -1
.LBB1279_3:
	s_andn2_b64 vcc, exec, s[8:9]
	s_cbranch_vccnz .LBB1279_17
; %bb.4:
	s_load_dwordx2 s[6:7], s[0:1], 0x28
	s_lshl_b64 s[16:17], s[2:3], 2
	s_waitcnt lgkmcnt(0)
	s_add_u32 s6, s6, s16
	s_addc_u32 s7, s7, s17
	s_load_dword s33, s[6:7], 0x0
	s_lshl_b32 s18, s24, 8
	s_waitcnt lgkmcnt(0)
	s_cmp_ge_i32 s18, s33
	s_cbranch_scc1 .LBB1279_17
; %bb.5:
	s_load_dwordx2 s[6:7], s[0:1], 0x20
	s_load_dword s8, s[0:1], 0x38
	s_add_i32 s5, s33, 15
	s_ashr_i32 s9, s5, 31
	v_and_b32_e32 v1, 0xcf, v0
	s_lshr_b32 s9, s9, 28
	v_add_u32_e32 v1, s18, v1
	s_add_i32 s5, s5, s9
	v_ashrrev_i32_e32 v2, 31, v1
	s_ashr_i32 s5, s5, 4
	v_lshrrev_b32_e32 v10, 28, v2
	s_add_i32 s5, s5, -1
	s_waitcnt lgkmcnt(0)
	s_mul_i32 s8, s2, s8
	s_mov_b32 s9, 0
	v_add_u32_e32 v2, v1, v10
	s_lshl_b64 s[8:9], s[8:9], 2
	v_ashrrev_i32_e32 v2, 4, v2
	v_mov_b32_e32 v11, s5
	v_cmp_gt_i32_e32 vcc, s33, v1
	s_add_u32 s6, s6, s8
	s_addc_u32 s7, s7, s9
	v_cndmask_b32_e32 v2, v11, v2, vcc
	v_ashrrev_i32_e32 v3, 31, v2
	v_lshl_add_u64 v[4:5], v[2:3], 2, s[6:7]
	v_or_b32_e32 v2, 16, v1
	v_add_u32_e32 v3, v2, v10
	v_ashrrev_i32_e32 v3, 4, v3
	v_cmp_gt_i32_e32 vcc, s33, v2
	s_load_dwordx4 s[8:11], s[0:1], 0x8
	s_nop 0
	v_cndmask_b32_e32 v2, v11, v3, vcc
	v_ashrrev_i32_e32 v3, 31, v2
	v_lshl_add_u64 v[6:7], v[2:3], 2, s[6:7]
	v_or_b32_e32 v2, 32, v1
	v_add_u32_e32 v3, v2, v10
	v_ashrrev_i32_e32 v3, 4, v3
	v_cmp_gt_i32_e32 vcc, s33, v2
	v_or_b32_e32 v1, 48, v1
	s_nop 0
	v_cndmask_b32_e32 v2, v11, v3, vcc
	v_ashrrev_i32_e32 v3, 31, v2
	v_lshl_add_u64 v[8:9], v[2:3], 2, s[6:7]
	v_add_u32_e32 v2, v1, v10
	v_ashrrev_i32_e32 v2, 4, v2
	v_cmp_gt_i32_e32 vcc, s33, v1
	s_nop 1
	v_cndmask_b32_e32 v2, v11, v2, vcc
	v_ashrrev_i32_e32 v3, 31, v2
	v_lshl_add_u64 v[10:11], v[2:3], 2, s[6:7]
	global_load_dword v3, v[4:5], off
	global_load_dword v2, v[6:7], off
	global_load_dword v34, v[8:9], off
	global_load_dword v35, v[10:11], off
	s_andn2_b64 vcc, exec, s[14:15]
	s_cbranch_vccnz .LBB1279_8
; %bb.6:
	s_add_u32 s12, s12, s16
	s_addc_u32 s13, s13, s17
	s_load_dword s14, s[12:13], 0x0
	s_branch .LBB1279_9
.LBB1279_7:
	s_mov_b64 s[8:9], 0
	s_branch .LBB1279_2
.LBB1279_8:
	s_mov_b32 s14, s2
.LBB1279_9:
	s_load_dwordx4 s[44:47], s[0:1], 0x48
	v_and_b32_e32 v60, 15, v0
	v_lshlrev_b32_e32 v4, 3, v60
	s_movk_i32 s12, 0xc0
	v_lshrrev_b32_e32 v61, 6, v0
	v_and_b32_e32 v65, 63, v0
	v_bfe_u32 v1, v0, 4, 2
	s_mul_i32 s48, s4, 12
	v_cmp_gt_u32_e32 vcc, s12, v0
	v_lshlrev_b32_e32 v58, 1, v4
	v_lshlrev_b32_e32 v64, 4, v0
	s_and_saveexec_b64 s[12:13], vcc
	s_cbranch_execz .LBB1279_11
; %bb.10:
	s_load_dwordx2 s[16:17], s[0:1], 0x0
	s_waitcnt lgkmcnt(0)
	s_ashr_i32 s15, s44, 31
	s_mul_hi_u32 s19, s14, s44
	s_mul_i32 s15, s14, s15
	s_add_i32 s15, s19, s15
	s_mul_i32 s14, s14, s44
	v_lshl_or_b32 v8, v61, 2, v1
	s_lshl_b64 s[14:15], s[14:15], 1
	s_add_u32 s14, s16, s14
	v_add_lshl_u32 v4, v8, s48, 7
	s_addc_u32 s15, s17, s15
	v_ashrrev_i32_e32 v5, 31, v4
	v_lshl_add_u64 v[4:5], v[4:5], 1, s[14:15]
	v_mov_b32_e32 v59, 0
	v_lshl_add_u64 v[4:5], v[4:5], 0, v[58:59]
	global_load_dwordx4 v[4:7], v[4:5], off
	v_lshlrev_b32_e32 v10, 8, v0
	v_lshlrev_b32_e32 v9, 8, v60
	v_and_b32_e32 v10, 0x600, v10
	s_movk_i32 s14, 0x800
	v_and_or_b32 v9, v9, s14, v10
	v_lshlrev_b32_e32 v8, 5, v8
	v_and_b32_e32 v10, 16, v64
	v_or3_b32 v8, v9, v8, v10
	s_waitcnt vmcnt(0)
	ds_write_b128 v8, v[4:7]
.LBB1279_11:
	s_or_b64 exec, exec, s[12:13]
	s_waitcnt lgkmcnt(0)
	s_mul_i32 s4, s4, s46
	s_add_u32 s8, s8, s4
	s_addc_u32 s9, s9, 0
	v_and_b32_e32 v62, 0xf0, v64
	v_mov_b32_e32 v63, 0
	v_and_b32_e32 v6, 48, v0
	v_lshl_add_u64 v[30:31], s[8:9], 0, v[62:63]
	v_lshlrev_b32_e32 v62, 4, v6
	s_waitcnt vmcnt(3)
	v_mad_i64_i32 v[4:5], s[8:9], v3, s45, v[30:31]
	v_lshl_add_u64 v[4:5], v[4:5], 0, v[62:63]
	s_load_dword s25, s[0:1], 0x98
	s_load_dwordx4 s[40:43], s[0:1], 0x80
	s_waitcnt lgkmcnt(0)
	s_barrier
	global_load_dwordx4 v[22:25], v[4:5], off
	global_load_dwordx4 v[14:17], v[4:5], off offset:1024
	s_waitcnt vmcnt(4)
	v_mad_i64_i32 v[2:3], s[8:9], v2, s45, v[30:31]
	v_lshl_add_u64 v[32:33], v[2:3], 0, v[62:63]
	global_load_dwordx4 v[2:5], v[32:33], off
	v_add_u32_e32 v7, -12, v60
	v_cmp_gt_u32_e32 vcc, 12, v60
	v_or_b32_e32 v6, s18, v6
	v_mov_b32_e32 v41, s5
	v_cndmask_b32_e32 v7, v7, v60, vcc
	v_lshlrev_b32_e32 v7, 5, v7
	v_ashrrev_i32_e32 v8, 4, v6
	v_lshl_add_u32 v7, v1, 9, v7
	v_cmp_gt_i32_e32 vcc, s33, v6
	v_or_b32_e32 v40, 64, v6
	v_or_b32_e32 v42, 0x80, v6
	;; [unrolled: 1-line block ×3, first 2 shown]
	v_cndmask_b32_e32 v38, v41, v8, vcc
	ds_read_b128 v[26:29], v7
	ds_read_b128 v[18:21], v7 offset:16
	ds_read_b128 v[10:13], v7 offset:2048
	;; [unrolled: 1-line block ×3, first 2 shown]
	s_waitcnt vmcnt(4)
	v_mad_i64_i32 v[36:37], s[12:13], v34, s45, v[30:31]
	s_waitcnt vmcnt(3)
	v_mad_i64_i32 v[34:35], s[12:13], v35, s45, v[30:31]
	global_load_dwordx4 v[30:33], v[32:33], off offset:1024
	v_ashrrev_i32_e32 v44, 4, v40
	v_cmp_gt_i32_e32 vcc, s33, v40
	v_ashrrev_i32_e32 v45, 4, v42
	v_ashrrev_i32_e32 v46, 4, v43
	v_cndmask_b32_e32 v40, v41, v44, vcc
	v_cmp_gt_i32_e32 vcc, s33, v42
	v_ashrrev_i32_e32 v39, 31, v38
	v_lshl_add_u64 v[36:37], v[36:37], 0, v[62:63]
	v_cndmask_b32_e32 v42, v41, v45, vcc
	v_cmp_gt_i32_e32 vcc, s33, v43
	v_lshl_add_u64 v[34:35], v[34:35], 0, v[62:63]
	v_ashrrev_i32_e32 v43, 31, v42
	v_cndmask_b32_e32 v44, v41, v46, vcc
	v_ashrrev_i32_e32 v41, 31, v40
	v_ashrrev_i32_e32 v45, 31, v44
	v_lshl_add_u64 v[50:51], v[38:39], 2, s[6:7]
	v_lshl_add_u64 v[52:53], v[40:41], 2, s[6:7]
	;; [unrolled: 1-line block ×4, first 2 shown]
	global_load_dwordx4 v[46:49], v[36:37], off
	global_load_dwordx4 v[42:45], v[36:37], off offset:1024
	global_load_dwordx4 v[38:41], v[34:35], off
	s_nop 0
	global_load_dwordx4 v[34:37], v[34:35], off offset:1024
	s_nop 0
	global_load_dword v69, v[50:51], off
	global_load_dword v68, v[52:53], off
	;; [unrolled: 1-line block ×4, first 2 shown]
	s_mov_b32 s44, 0x7060302
	s_add_u32 s4, s10, s4
	v_lshl_or_b32 v59, v61, 4, v60
	s_addc_u32 s5, s11, 0
	v_lshlrev_b32_e32 v62, 4, v59
	s_load_dword s8, s[0:1], 0x1c
	s_waitcnt vmcnt(11)
	v_cvt_pk_f32_fp8_e32 v[50:51], v22
	v_cvt_pk_f32_fp8_sdwa v[52:53], v22 src0_sel:WORD_1
	v_cvt_pk_f32_fp8_e32 v[54:55], v23
	v_cvt_pk_f32_fp8_sdwa v[22:23], v23 src0_sel:WORD_1
	s_waitcnt vmcnt(10)
	v_cvt_pk_f32_fp8_e32 v[76:77], v14
	v_cvt_pk_f32_fp8_sdwa v[78:79], v14 src0_sel:WORD_1
	v_cvt_pk_f32_fp8_e32 v[80:81], v15
	v_cvt_pk_f32_fp8_sdwa v[82:83], v15 src0_sel:WORD_1
	v_perm_b32 v14, v51, v50, s44
	v_perm_b32 v15, v53, v52, s44
	v_cvt_pk_f32_fp8_e32 v[56:57], v24
	v_cvt_pk_f32_fp8_sdwa v[70:71], v24 src0_sel:WORD_1
	v_perm_b32 v54, v55, v54, s44
	v_perm_b32 v55, v23, v22, s44
	v_cvt_pk_f32_fp8_e32 v[72:73], v25
	v_cvt_pk_f32_fp8_sdwa v[74:75], v25 src0_sel:WORD_1
	s_waitcnt lgkmcnt(0)
	v_mfma_f32_16x16x16_bf16 v[22:25], v[14:15], v[26:27], 0
	v_perm_b32 v14, v57, v56, s44
	v_perm_b32 v15, v71, v70, s44
	;; [unrolled: 1-line block ×3, first 2 shown]
	v_mfma_f32_16x16x16_bf16 v[22:25], v[54:55], v[28:29], v[22:25]
	v_perm_b32 v57, v75, v74, s44
	v_cvt_pk_f32_fp8_e32 v[50:51], v16
	v_cvt_pk_f32_fp8_sdwa v[52:53], v16 src0_sel:WORD_1
	v_cvt_pk_f32_fp8_e32 v[84:85], v17
	v_cvt_pk_f32_fp8_sdwa v[54:55], v17 src0_sel:WORD_1
	v_mfma_f32_16x16x16_bf16 v[14:17], v[14:15], v[18:19], v[22:25]
	v_perm_b32 v70, v81, v80, s44
	v_perm_b32 v71, v83, v82, s44
	;; [unrolled: 1-line block ×5, first 2 shown]
	v_mfma_f32_16x16x16_bf16 v[14:17], v[56:57], v[20:21], v[14:17]
	s_waitcnt vmcnt(9)
	v_cvt_pk_f32_fp8_e32 v[22:23], v2
	v_cvt_pk_f32_fp8_sdwa v[56:57], v2 src0_sel:WORD_1
	v_perm_b32 v51, v53, v52, s44
	v_mfma_f32_16x16x16_bf16 v[14:17], v[24:25], v[10:11], v[14:17]
	v_cvt_pk_f32_fp8_e32 v[24:25], v3
	v_cvt_pk_f32_fp8_sdwa v[2:3], v3 src0_sel:WORD_1
	v_perm_b32 v52, v85, v84, s44
	v_mfma_f32_16x16x16_bf16 v[14:17], v[70:71], v[12:13], v[14:17]
	v_perm_b32 v53, v55, v54, s44
	v_perm_b32 v22, v23, v22, s44
	;; [unrolled: 1-line block ×3, first 2 shown]
	v_mfma_f32_16x16x16_bf16 v[14:17], v[50:51], v[6:7], v[14:17]
	v_cvt_pk_f32_fp8_e32 v[54:55], v4
	v_cvt_pk_f32_fp8_sdwa v[56:57], v4 src0_sel:WORD_1
	v_perm_b32 v24, v25, v24, s44
	v_perm_b32 v25, v3, v2, s44
	v_mfma_f32_16x16x16_bf16 v[50:53], v[52:53], v[8:9], v[14:17]
	s_waitcnt vmcnt(7)
	v_cvt_pk_f32_fp8_e32 v[72:73], v49
	v_lshl_add_u64 v[70:71], s[4:5], 0, v[62:63]
	s_waitcnt vmcnt(6)
	v_cvt_pk_f32_fp8_sdwa v[76:77], v44 src0_sel:WORD_1
	v_mfma_f32_16x16x16_bf16 v[14:17], v[22:23], v[26:27], 0
	v_perm_b32 v22, v55, v54, s44
	v_perm_b32 v23, v57, v56, s44
	v_cvt_pk_f32_fp8_e32 v[54:55], v5
	v_cvt_pk_f32_fp8_sdwa v[56:57], v5 src0_sel:WORD_1
	v_mfma_f32_16x16x16_bf16 v[2:5], v[24:25], v[28:29], v[14:17]
	v_cvt_pk_f32_fp8_e32 v[24:25], v32
	v_or_b32_e32 v62, 0x400, v62
	s_nop 0
	v_perm_b32 v14, v55, v54, s44
	v_perm_b32 v15, v57, v56, s44
	v_mfma_f32_16x16x16_bf16 v[2:5], v[22:23], v[18:19], v[2:5]
	v_cvt_pk_f32_fp8_e32 v[16:17], v30
	v_cvt_pk_f32_fp8_sdwa v[22:23], v30 src0_sel:WORD_1
	v_perm_b32 v16, v17, v16, s44
	v_mfma_f32_16x16x16_bf16 v[2:5], v[14:15], v[20:21], v[2:5]
	v_cvt_pk_f32_fp8_e32 v[14:15], v31
	v_perm_b32 v17, v23, v22, s44
	v_cvt_pk_f32_fp8_sdwa v[22:23], v31 src0_sel:WORD_1
	v_cvt_pk_f32_fp8_sdwa v[30:31], v32 src0_sel:WORD_1
	v_perm_b32 v14, v15, v14, s44
	v_mfma_f32_16x16x16_bf16 v[2:5], v[16:17], v[10:11], v[2:5]
	v_perm_b32 v15, v23, v22, s44
	v_perm_b32 v16, v25, v24, s44
	;; [unrolled: 1-line block ×3, first 2 shown]
	v_cvt_pk_f32_fp8_e32 v[22:23], v33
	v_cvt_pk_f32_fp8_sdwa v[24:25], v33 src0_sel:WORD_1
	v_mfma_f32_16x16x16_bf16 v[2:5], v[14:15], v[12:13], v[2:5]
	v_perm_b32 v14, v23, v22, s44
	v_perm_b32 v15, v25, v24, s44
	v_mfma_f32_16x16x16_bf16 v[2:5], v[16:17], v[6:7], v[2:5]
	v_cvt_pk_f32_fp8_e32 v[16:17], v46
	v_cvt_pk_f32_fp8_sdwa v[22:23], v46 src0_sel:WORD_1
	v_cvt_pk_f32_fp8_sdwa v[24:25], v48 src0_sel:WORD_1
	v_mfma_f32_16x16x16_bf16 v[54:57], v[14:15], v[8:9], v[2:5]
	v_cvt_pk_f32_fp8_sdwa v[14:15], v47 src0_sel:WORD_1
	s_nop 1
	v_perm_b32 v2, v17, v16, s44
	v_perm_b32 v3, v23, v22, s44
	v_cvt_pk_f32_fp8_e32 v[4:5], v47
	v_perm_b32 v23, v15, v14, s44
	v_cvt_pk_f32_fp8_e32 v[14:15], v48
	v_cvt_pk_f32_fp8_sdwa v[48:49], v49 src0_sel:WORD_1
	v_perm_b32 v22, v5, v4, s44
	v_mfma_f32_16x16x16_bf16 v[2:5], v[2:3], v[26:27], 0
	v_perm_b32 v14, v15, v14, s44
	v_perm_b32 v15, v25, v24, s44
	s_waitcnt vmcnt(3)
	v_mad_i64_i32 v[16:17], s[6:7], v69, s45, v[70:71]
	v_mfma_f32_16x16x16_bf16 v[2:5], v[22:23], v[28:29], v[2:5]
	s_waitcnt vmcnt(2)
	v_mad_i64_i32 v[46:47], s[6:7], v68, s45, v[70:71]
	global_load_dwordx4 v[30:33], v[16:17], off
	global_load_dwordx4 v[22:25], v[46:47], off
	v_perm_b32 v16, v73, v72, s44
	v_perm_b32 v17, v49, v48, s44
	v_mfma_f32_16x16x16_bf16 v[2:5], v[14:15], v[18:19], v[2:5]
	v_cvt_pk_f32_fp8_e32 v[14:15], v42
	v_cvt_pk_f32_fp8_sdwa v[46:47], v42 src0_sel:WORD_1
	s_waitcnt vmcnt(3)
	v_mad_i64_i32 v[72:73], s[6:7], v67, s45, v[70:71]
	v_mfma_f32_16x16x16_bf16 v[2:5], v[16:17], v[20:21], v[2:5]
	v_perm_b32 v14, v15, v14, s44
	v_perm_b32 v15, v47, v46, s44
	v_cvt_pk_f32_fp8_e32 v[16:17], v43
	v_cvt_pk_f32_fp8_sdwa v[42:43], v43 src0_sel:WORD_1
	v_mfma_f32_16x16x16_bf16 v[46:49], v[14:15], v[10:11], v[2:5]
	v_perm_b32 v74, v17, v16, s44
	v_perm_b32 v75, v43, v42, s44
	v_cvt_pk_f32_fp8_e32 v[42:43], v44
	s_waitcnt vmcnt(2)
	v_mad_i64_i32 v[70:71], s[6:7], v66, s45, v[70:71]
	global_load_dwordx4 v[14:17], v[72:73], off
	global_load_dwordx4 v[2:5], v[70:71], off
	v_perm_b32 v70, v43, v42, s44
	v_perm_b32 v71, v77, v76, s44
	v_cvt_pk_f32_fp8_e32 v[72:73], v45
	v_cvt_pk_f32_fp8_sdwa v[76:77], v45 src0_sel:WORD_1
	v_mfma_f32_16x16x16_bf16 v[44:47], v[74:75], v[12:13], v[46:49]
	v_lshl_add_u64 v[42:43], s[4:5], 0, v[62:63]
	v_cvt_pk_f32_fp8_e32 v[62:63], v38
	s_load_dword s4, s[40:41], 0x0
	v_perm_b32 v48, v73, v72, s44
	v_perm_b32 v49, v77, v76, s44
	v_mfma_f32_16x16x16_bf16 v[44:47], v[70:71], v[6:7], v[44:47]
	v_cvt_pk_f32_fp8_sdwa v[70:71], v38 src0_sel:WORD_1
	v_perm_b32 v62, v63, v62, s44
	v_cvt_pk_f32_fp8_e32 v[74:75], v40
	v_mfma_f32_16x16x16_bf16 v[46:49], v[48:49], v[8:9], v[44:47]
	v_perm_b32 v63, v71, v70, s44
	v_cvt_pk_f32_fp8_sdwa v[76:77], v40 src0_sel:WORD_1
	s_mov_b32 s40, 0xff7fffff
	v_cvt_pk_f32_fp8_e32 v[44:45], v39
	v_cvt_pk_f32_fp8_sdwa v[38:39], v39 src0_sel:WORD_1
	v_mfma_f32_16x16x16_bf16 v[70:73], v[62:63], v[26:27], 0
	v_cvt_pk_f32_fp8_e32 v[62:63], v41
	v_perm_b32 v44, v45, v44, s44
	v_perm_b32 v45, v39, v38, s44
	;; [unrolled: 1-line block ×4, first 2 shown]
	v_cvt_pk_f32_fp8_sdwa v[40:41], v41 src0_sel:WORD_1
	v_mov_b32_e32 v26, s8
	s_waitcnt lgkmcnt(0)
	v_mul_f32_e32 v74, s4, v26
	v_mfma_f32_16x16x16_bf16 v[26:29], v[44:45], v[28:29], v[70:73]
	v_pk_mul_f32 v[44:45], v[74:75], v[52:53] op_sel_hi:[0,1]
	v_perm_b32 v52, v63, v62, s44
	v_perm_b32 v53, v41, v40, s44
	v_mfma_f32_16x16x16_bf16 v[26:29], v[38:39], v[18:19], v[26:29]
	v_cvt_pk_f32_fp8_e32 v[18:19], v34
	v_cvt_pk_f32_fp8_sdwa v[38:39], v34 src0_sel:WORD_1
	v_pk_mul_f32 v[50:51], v[74:75], v[50:51] op_sel_hi:[0,1]
	v_mfma_f32_16x16x16_bf16 v[26:29], v[52:53], v[20:21], v[26:29]
	v_perm_b32 v20, v19, v18, s44
	v_perm_b32 v21, v39, v38, s44
	v_cvt_pk_f32_fp8_e32 v[38:39], v35
	v_cvt_pk_f32_fp8_sdwa v[34:35], v35 src0_sel:WORD_1
	v_mfma_f32_16x16x16_bf16 v[26:29], v[20:21], v[10:11], v[26:29]
	v_perm_b32 v38, v39, v38, s44
	v_perm_b32 v39, v35, v34, s44
	v_cvt_pk_f32_fp8_e32 v[10:11], v36
	v_cvt_pk_f32_fp8_sdwa v[20:21], v36 src0_sel:WORD_1
	v_pk_mul_f32 v[52:53], v[74:75], v[54:55] op_sel_hi:[0,1]
	v_pk_mul_f32 v[34:35], v[74:75], v[56:57] op_sel_hi:[0,1]
	v_perm_b32 v40, v11, v10, s44
	v_perm_b32 v41, v21, v20, s44
	v_cvt_pk_f32_fp8_e32 v[20:21], v37
	v_cvt_pk_f32_fp8_sdwa v[36:37], v37 src0_sel:WORD_1
	v_mfma_f32_16x16x16_bf16 v[10:13], v[38:39], v[12:13], v[26:29]
	v_pk_mul_f32 v[46:47], v[74:75], v[46:47] op_sel_hi:[0,1]
	v_perm_b32 v20, v21, v20, s44
	v_perm_b32 v21, v37, v36, s44
	v_mfma_f32_16x16x16_bf16 v[10:13], v[40:41], v[6:7], v[10:13]
	v_pk_mul_f32 v[40:41], v[74:75], v[48:49] op_sel_hi:[0,1]
	v_mad_i64_i32 v[18:19], s[4:5], v69, s45, v[42:43]
	v_mfma_f32_16x16x16_bf16 v[6:9], v[20:21], v[8:9], v[10:13]
	v_mad_i64_i32 v[62:63], s[4:5], v68, s45, v[42:43]
	global_load_dwordx4 v[26:29], v[18:19], off
	s_nop 0
	global_load_dwordx4 v[18:21], v[62:63], off
	s_nop 2
	v_pk_mul_f32 v[48:49], v[74:75], v[6:7] op_sel_hi:[0,1]
	v_and_b32_e32 v6, 0xc0, v0
	v_add_u32_e32 v6, s18, v6
	v_lshl_or_b32 v6, v1, 2, v6
	v_pk_mul_f32 v[38:39], v[74:75], v[8:9] op_sel_hi:[0,1]
	v_or_b32_e32 v9, 1, v6
	v_mov_b32_e32 v7, 0xff7fffff
	v_cmp_gt_i32_e64 s[26:27], s33, v6
	v_cmp_gt_i32_e64 s[28:29], s33, v9
	v_or_b32_e32 v10, 3, v6
	v_cndmask_b32_e64 v8, v7, v50, s[26:27]
	v_cndmask_b32_e64 v9, v7, v51, s[28:29]
	v_max3_f32 v8, v8, s40, v9
	v_or_b32_e32 v9, 2, v6
	v_cmp_gt_i32_e64 s[30:31], s33, v9
	v_cmp_gt_i32_e64 s[34:35], s33, v10
	s_nop 0
	v_cndmask_b32_e64 v9, v7, v44, s[30:31]
	v_cndmask_b32_e64 v10, v7, v45, s[34:35]
	v_max3_f32 v8, v8, v9, v10
	v_or_b32_e32 v9, 16, v6
	v_or_b32_e32 v10, 17, v6
	v_cmp_gt_i32_e64 s[18:19], s33, v9
	v_cmp_gt_i32_e64 s[20:21], s33, v10
	s_nop 0
	v_cndmask_b32_e64 v9, v7, v52, s[18:19]
	v_cndmask_b32_e64 v10, v7, v53, s[20:21]
	v_max3_f32 v8, v8, v9, v10
	v_or_b32_e32 v9, 18, v6
	;; [unrolled: 8-line block ×5, first 2 shown]
	v_or_b32_e32 v10, 49, v6
	v_cmp_gt_i32_e32 vcc, s33, v9
	v_cmp_gt_i32_e64 s[4:5], s33, v10
	s_nop 0
	v_cndmask_b32_e32 v9, v7, v48, vcc
	v_cndmask_b32_e64 v10, v7, v49, s[4:5]
	v_max3_f32 v8, v8, v9, v10
	v_or_b32_e32 v9, 50, v6
	v_or_b32_e32 v6, 51, v6
	v_cmp_gt_i32_e64 s[6:7], s33, v9
	v_cmp_gt_i32_e64 s[8:9], s33, v6
	s_nop 0
	v_cndmask_b32_e64 v9, v7, v38, s[6:7]
	v_cndmask_b32_e64 v6, v7, v39, s[8:9]
	v_max3_f32 v8, v8, v9, v6
	v_mbcnt_lo_u32_b32 v6, -1, 0
	v_mbcnt_hi_u32_b32 v9, -1, v6
	v_and_b32_e32 v6, 64, v9
	v_add_u32_e32 v10, 64, v6
	v_xor_b32_e32 v6, 32, v9
	v_cmp_lt_i32_e64 s[38:39], v6, v10
	s_nop 1
	v_cndmask_b32_e64 v6, v9, v6, s[38:39]
	v_lshlrev_b32_e32 v55, 2, v6
	ds_bpermute_b32 v11, v55, v8
	v_mad_i64_i32 v[6:7], s[38:39], v67, s45, v[42:43]
	s_waitcnt lgkmcnt(0)
	v_max_f32_e32 v11, v11, v11
	v_max_f32_e32 v36, v8, v11
	v_xor_b32_e32 v8, 16, v9
	v_cmp_lt_i32_e64 s[38:39], v8, v10
	s_nop 1
	v_cndmask_b32_e64 v8, v9, v8, s[38:39]
	v_lshlrev_b32_e32 v56, 2, v8
	v_mad_i64_i32 v[8:9], s[38:39], v66, s45, v[42:43]
	global_load_dwordx4 v[10:13], v[6:7], off
	s_nop 0
	global_load_dwordx4 v[6:9], v[8:9], off
	ds_bpermute_b32 v37, v56, v36
	s_waitcnt lgkmcnt(0)
	s_barrier
	v_max_f32_e32 v37, v37, v37
	v_max_f32_e32 v54, v36, v37
	v_sub_f32_e32 v42, v44, v54
	v_mul_f32_e32 v42, 0x3fb8aa3b, v42
	v_exp_f32_e32 v42, v42
	v_sub_f32_e32 v43, v45, v54
	v_mul_f32_e32 v43, 0x3fb8aa3b, v43
	v_exp_f32_e32 v43, v43
	v_cndmask_b32_e64 v44, 0, v42, s[30:31]
	v_sub_f32_e32 v42, v52, v54
	v_sub_f32_e32 v34, v34, v54
	v_mul_f32_e32 v42, 0x3fb8aa3b, v42
	v_mul_f32_e32 v34, 0x3fb8aa3b, v34
	v_sub_f32_e32 v36, v50, v54
	v_exp_f32_e32 v42, v42
	v_exp_f32_e32 v50, v34
	v_cndmask_b32_e64 v45, 0, v43, s[34:35]
	v_sub_f32_e32 v43, v53, v54
	v_sub_f32_e32 v34, v35, v54
	v_sub_f32_e32 v46, v46, v54
	v_sub_f32_e32 v40, v40, v54
	v_mul_f32_e32 v43, 0x3fb8aa3b, v43
	v_mul_f32_e32 v34, 0x3fb8aa3b, v34
	;; [unrolled: 1-line block ×4, first 2 shown]
	v_sub_f32_e32 v37, v51, v54
	v_exp_f32_e32 v43, v43
	v_exp_f32_e32 v51, v34
	v_cndmask_b32_e64 v34, 0, v42, s[18:19]
	v_cndmask_b32_e64 v42, 0, v50, s[22:23]
	v_exp_f32_e32 v46, v46
	v_exp_f32_e32 v50, v40
	v_mul_f32_e32 v36, 0x3fb8aa3b, v36
	v_sub_f32_e32 v47, v47, v54
	v_sub_f32_e32 v40, v41, v54
	;; [unrolled: 1-line block ×4, first 2 shown]
	v_exp_f32_e32 v36, v36
	v_mul_f32_e32 v37, 0x3fb8aa3b, v37
	v_mul_f32_e32 v47, 0x3fb8aa3b, v47
	;; [unrolled: 1-line block ×5, first 2 shown]
	v_exp_f32_e32 v37, v37
	v_cndmask_b32_e64 v35, 0, v43, s[20:21]
	v_cndmask_b32_e64 v43, 0, v51, s[36:37]
	v_exp_f32_e32 v47, v47
	v_exp_f32_e32 v51, v40
	v_cndmask_b32_e64 v40, 0, v46, s[10:11]
	v_cndmask_b32_e64 v46, 0, v50, s[14:15]
	v_exp_f32_e32 v48, v48
	v_exp_f32_e32 v50, v38
	v_sub_f32_e32 v38, v39, v54
	v_cndmask_b32_e64 v36, 0, v36, s[26:27]
	v_mul_f32_e32 v38, 0x3fb8aa3b, v38
	v_cndmask_b32_e64 v37, 0, v37, s[28:29]
	v_cndmask_b32_e64 v41, 0, v47, s[12:13]
	;; [unrolled: 1-line block ×3, first 2 shown]
	v_exp_f32_e32 v51, v38
	v_cndmask_b32_e32 v38, 0, v48, vcc
	v_cndmask_b32_e64 v48, 0, v50, s[6:7]
	v_add_f32_e32 v50, 0, v36
	v_add_f32_e32 v50, v50, v37
	;; [unrolled: 1-line block ×6, first 2 shown]
	v_sub_f32_e32 v49, v49, v54
	v_add_f32_e32 v50, v50, v42
	v_mul_f32_e32 v49, 0x3fb8aa3b, v49
	v_add_f32_e32 v50, v50, v43
	v_exp_f32_e32 v49, v49
	v_add_f32_e32 v50, v50, v40
	v_add_f32_e32 v50, v50, v41
	;; [unrolled: 1-line block ×4, first 2 shown]
	v_cndmask_b32_e64 v39, 0, v49, s[4:5]
	v_add_f32_e32 v50, v50, v38
	v_add_f32_e32 v50, v50, v39
	v_cndmask_b32_e64 v49, 0, v51, s[8:9]
	v_add_f32_e32 v50, v50, v48
	v_add_f32_e32 v50, v50, v49
	ds_bpermute_b32 v51, v55, v50
	v_cmp_gt_u32_e32 vcc, 16, v65
	s_waitcnt lgkmcnt(0)
	v_add_f32_e32 v50, v50, v51
	ds_bpermute_b32 v51, v56, v50
	s_and_saveexec_b64 s[4:5], vcc
	s_cbranch_execz .LBB1279_13
; %bb.12:
	s_waitcnt lgkmcnt(0)
	v_add_f32_e32 v50, v50, v51
	v_lshlrev_b32_e32 v51, 2, v59
	ds_write2st64_b32 v51, v54, v50 offset1:1
.LBB1279_13:
	s_or_b64 exec, exec, s[4:5]
	s_waitcnt lgkmcnt(0)
	v_lshlrev_b32_e32 v51, 2, v60
	s_load_dword s6, s[0:1], 0x94
	s_waitcnt lgkmcnt(0)
	s_barrier
	ds_read2_b32 v[52:53], v51 offset1:16
	ds_read2_b32 v[54:55], v51 offset0:32 offset1:48
	ds_read2_b32 v[56:57], v51 offset0:64 offset1:80
	s_movk_i32 s8, 0x7fff
	s_mul_i32 s7, s25, 12
	s_waitcnt lgkmcnt(2)
	v_max3_f32 v50, v52, s40, v53
	s_waitcnt lgkmcnt(1)
	v_max3_f32 v50, v50, v54, v55
	v_sub_f32_e32 v52, v52, v50
	v_mul_f32_e32 v52, 0x3fb8aa3b, v52
	v_exp_f32_e32 v59, v52
	v_sub_f32_e32 v52, v53, v50
	v_mul_f32_e32 v52, 0x3fb8aa3b, v52
	v_exp_f32_e32 v62, v52
	;; [unrolled: 3-line block ×3, first 2 shown]
	ds_read2_b32 v[52:53], v51 offset0:96 offset1:112
	v_sub_f32_e32 v51, v55, v50
	v_mul_f32_e32 v51, 0x3fb8aa3b, v51
	v_exp_f32_e32 v55, v51
	s_waitcnt lgkmcnt(1)
	v_fma_f32 v51, v59, v56, 0
	v_fmac_f32_e32 v51, v62, v57
	s_waitcnt lgkmcnt(0)
	v_fmac_f32_e32 v51, v54, v52
	v_fmac_f32_e32 v51, v55, v53
	v_add_f32_e32 v52, 0x358637bd, v51
	v_div_scale_f32 v53, s[4:5], v52, v52, 1.0
	v_rcp_f32_e32 v56, v53
	s_barrier
	v_fma_f32 v57, -v53, v56, 1.0
	v_fmac_f32_e32 v56, v57, v56
	v_div_scale_f32 v57, vcc, 1.0, v52, 1.0
	v_mul_f32_e32 v63, v57, v56
	v_fma_f32 v65, -v53, v63, v57
	v_fmac_f32_e32 v63, v65, v56
	v_fma_f32 v53, -v53, v63, v57
	v_div_fmas_f32 v53, v53, v56, v63
	v_cmp_eq_u32_e32 vcc, 1, v61
	v_div_fixup_f32 v52, v53, v52, 1.0
	s_nop 0
	v_cndmask_b32_e32 v53, v59, v62, vcc
	v_cmp_eq_u32_e32 vcc, 2, v61
	s_nop 1
	v_cndmask_b32_e32 v53, v53, v54, vcc
	v_cmp_eq_u32_e32 vcc, 3, v61
	s_nop 1
	v_cndmask_b32_e32 v53, v53, v55, vcc
	v_mul_f32_e32 v52, v53, v52
	v_pk_mul_f32 v[36:37], v[52:53], v[36:37] op_sel_hi:[0,1]
	v_pk_mul_f32 v[44:45], v[52:53], v[44:45] op_sel_hi:[0,1]
	v_bfe_u32 v53, v37, 16, 1
	v_bfe_u32 v54, v36, 16, 1
	v_add3_u32 v36, v36, v54, s8
	v_add3_u32 v37, v37, v53, s8
	v_perm_b32 v56, v37, v36, s44
	v_bfe_u32 v36, v45, 16, 1
	v_bfe_u32 v37, v44, 16, 1
	v_add3_u32 v37, v44, v37, s8
	v_add3_u32 v36, v45, v36, s8
	v_perm_b32 v57, v36, v37, s44
	v_lshlrev_b32_e32 v37, 3, v1
	v_lshlrev_b32_e32 v36, 5, v60
	;; [unrolled: 1-line block ×3, first 2 shown]
	v_pk_mul_f32 v[34:35], v[52:53], v[34:35] op_sel_hi:[0,1]
	v_or3_b32 v54, v44, v36, v37
	v_bfe_u32 v37, v35, 16, 1
	v_bfe_u32 v44, v34, 16, 1
	v_pk_mul_f32 v[42:43], v[52:53], v[42:43] op_sel_hi:[0,1]
	v_add3_u32 v34, v34, v44, s8
	v_add3_u32 v35, v35, v37, s8
	v_perm_b32 v34, v35, v34, s44
	v_bfe_u32 v35, v43, 16, 1
	v_bfe_u32 v37, v42, 16, 1
	v_add3_u32 v37, v42, v37, s8
	v_add3_u32 v35, v43, v35, s8
	v_pk_mul_f32 v[40:41], v[52:53], v[40:41] op_sel_hi:[0,1]
	v_perm_b32 v35, v35, v37, s44
	v_bfe_u32 v37, v41, 16, 1
	v_bfe_u32 v42, v40, 16, 1
	ds_write2st64_b64 v54, v[56:57], v[34:35] offset1:1
	v_pk_mul_f32 v[34:35], v[52:53], v[46:47] op_sel_hi:[0,1]
	v_add3_u32 v40, v40, v42, s8
	v_add3_u32 v37, v41, v37, s8
	v_perm_b32 v40, v37, v40, s44
	v_bfe_u32 v37, v35, 16, 1
	v_bfe_u32 v41, v34, 16, 1
	v_pk_mul_f32 v[38:39], v[52:53], v[38:39] op_sel_hi:[0,1]
	v_add3_u32 v34, v34, v41, s8
	v_add3_u32 v35, v35, v37, s8
	v_bfe_u32 v37, v39, 16, 1
	v_bfe_u32 v42, v38, 16, 1
	v_perm_b32 v41, v35, v34, s44
	v_pk_mul_f32 v[34:35], v[52:53], v[48:49] op_sel_hi:[0,1]
	v_add3_u32 v38, v38, v42, s8
	v_add3_u32 v37, v39, v37, s8
	v_perm_b32 v38, v37, v38, s44
	v_bfe_u32 v37, v35, 16, 1
	v_bfe_u32 v39, v34, 16, 1
	v_add3_u32 v34, v34, v39, s8
	v_add3_u32 v35, v35, v37, s8
	v_perm_b32 v39, v35, v34, s44
	v_cmp_gt_u32_e32 vcc, 12, v0
	ds_write2st64_b64 v54, v[40:41], v[38:39] offset0:2 offset1:3
	s_and_saveexec_b64 s[4:5], vcc
	s_cbranch_execz .LBB1279_15
; %bb.14:
	s_mov_b32 s49, 0
	v_mov_b32_e32 v61, 0
	v_lshl_add_u64 v[34:35], s[48:49], 0, v[60:61]
	v_mov_b32_e32 v37, s7
	v_mad_u64_u32 v[34:35], s[10:11], s2, v37, v[34:35]
	s_mul_i32 s3, s3, s7
	v_mov_b32_e32 v38, s24
	v_mov_b32_e32 v39, v61
	s_load_dwordx4 s[12:15], s[0:1], 0x58
	v_add_u32_e32 v37, s3, v35
	v_mad_u64_u32 v[34:35], s[10:11], v34, s6, v[38:39]
	v_mov_b32_e32 v38, v35
	v_mad_u64_u32 v[38:39], s[10:11], v37, s6, v[38:39]
	v_mov_b32_e32 v35, v38
	v_lshlrev_b64 v[34:35], 2, v[34:35]
	s_waitcnt lgkmcnt(0)
	v_lshl_add_u64 v[38:39], s[14:15], 0, v[34:35]
	v_lshl_add_u64 v[34:35], s[12:13], 0, v[34:35]
	global_store_dword v[38:39], v50, off
	global_store_dword v[34:35], v51, off
.LBB1279_15:
	s_or_b64 exec, exec, s[4:5]
	v_lshl_or_b32 v50, v1, 9, v36
	s_waitcnt vmcnt(7)
	v_cvt_pk_f32_fp8_e32 v[34:35], v30
	v_cvt_pk_f32_fp8_sdwa v[36:37], v30 src0_sel:WORD_1
	s_mov_b32 s5, 0x7060302
	s_waitcnt lgkmcnt(0)
	s_barrier
	v_cvt_pk_f32_fp8_e32 v[38:39], v31
	v_perm_b32 v30, v35, v34, s5
	v_cvt_pk_f32_fp8_sdwa v[40:41], v31 src0_sel:WORD_1
	v_perm_b32 v31, v37, v36, s5
	ds_read_b128 v[34:37], v50
	v_perm_b32 v46, v39, v38, s5
	v_perm_b32 v47, v41, v40, s5
	ds_read_b128 v[38:41], v50 offset:16
	v_cvt_pk_f32_fp8_e32 v[48:49], v32
	v_cvt_pk_f32_fp8_sdwa v[52:53], v32 src0_sel:WORD_1
	s_waitcnt lgkmcnt(1)
	v_mfma_f32_16x16x16_bf16 v[42:45], v[30:31], v[34:35], 0
	s_waitcnt vmcnt(6)
	v_cvt_pk_f32_fp8_e32 v[56:57], v24
	v_perm_b32 v30, v49, v48, s5
	v_perm_b32 v31, v53, v52, s5
	v_cvt_pk_f32_fp8_e32 v[48:49], v33
	v_mfma_f32_16x16x16_bf16 v[42:45], v[46:47], v[36:37], v[42:45]
	v_cvt_pk_f32_fp8_sdwa v[46:47], v33 src0_sel:WORD_1
	v_cvt_pk_f32_fp8_sdwa v[62:63], v24 src0_sel:WORD_1
	v_perm_b32 v48, v49, v48, s5
	s_waitcnt lgkmcnt(0)
	v_mfma_f32_16x16x16_bf16 v[30:33], v[30:31], v[38:39], v[42:45]
	v_perm_b32 v49, v47, v46, s5
	s_waitcnt vmcnt(4)
	v_cvt_pk_f32_fp8_sdwa v[70:71], v4 src0_sel:WORD_1
	s_load_dword s4, s[42:43], 0x0
	v_cvt_pk_f32_fp8_e32 v[42:43], v22
	v_mfma_f32_16x16x16_bf16 v[46:49], v[48:49], v[40:41], v[30:33]
	s_waitcnt vmcnt(3)
	v_cvt_pk_f32_fp8_sdwa v[72:73], v28 src0_sel:WORD_1
	s_mov_b32 s3, 0
	v_cvt_pk_f32_fp8_sdwa v[30:31], v22 src0_sel:WORD_1
	v_cvt_pk_f32_fp8_e32 v[32:33], v23
	v_perm_b32 v22, v43, v42, s5
	v_cvt_pk_f32_fp8_sdwa v[42:43], v23 src0_sel:WORD_1
	v_perm_b32 v23, v31, v30, s5
	v_perm_b32 v52, v33, v32, s5
	ds_read_b128 v[30:33], v50 offset:2048
	v_perm_b32 v53, v43, v42, s5
	ds_read_b128 v[42:45], v50 offset:2064
	s_waitcnt lgkmcnt(0)
	v_mfma_f32_16x16x16_bf16 v[46:49], v[22:23], v[30:31], v[46:49]
	v_perm_b32 v22, v57, v56, s5
	v_perm_b32 v23, v63, v62, s5
	v_cvt_pk_f32_fp8_e32 v[56:57], v25
	v_mfma_f32_16x16x16_bf16 v[46:49], v[52:53], v[32:33], v[46:49]
	v_cvt_pk_f32_fp8_sdwa v[52:53], v25 src0_sel:WORD_1
	v_cvt_pk_f32_fp8_sdwa v[62:63], v16 src0_sel:WORD_1
	v_perm_b32 v56, v57, v56, s5
	v_mfma_f32_16x16x16_bf16 v[22:25], v[22:23], v[42:43], v[46:49]
	v_perm_b32 v57, v53, v52, s5
	v_cmp_gt_u32_e32 vcc, 64, v0
	s_nop 0
	v_cvt_pk_f32_fp8_e32 v[46:47], v14
	v_mfma_f32_16x16x16_bf16 v[66:69], v[56:57], v[44:45], v[22:25]
	v_cvt_pk_f32_fp8_e32 v[56:57], v16
	s_nop 1
	v_cvt_pk_f32_fp8_sdwa v[22:23], v14 src0_sel:WORD_1
	v_cvt_pk_f32_fp8_e32 v[24:25], v15
	v_perm_b32 v14, v47, v46, s5
	v_cvt_pk_f32_fp8_sdwa v[46:47], v15 src0_sel:WORD_1
	v_perm_b32 v15, v23, v22, s5
	v_perm_b32 v52, v25, v24, s5
	ds_read_b128 v[22:25], v50 offset:4096
	v_perm_b32 v53, v47, v46, s5
	ds_read_b128 v[46:49], v50 offset:4112
	s_waitcnt lgkmcnt(1)
	v_mfma_f32_16x16x16_bf16 v[66:69], v[14:15], v[22:23], v[66:69]
	v_perm_b32 v14, v57, v56, s5
	v_perm_b32 v15, v63, v62, s5
	v_cvt_pk_f32_fp8_e32 v[56:57], v17
	v_mfma_f32_16x16x16_bf16 v[66:69], v[52:53], v[24:25], v[66:69]
	v_cvt_pk_f32_fp8_sdwa v[52:53], v17 src0_sel:WORD_1
	v_cvt_pk_f32_fp8_e32 v[62:63], v4
	v_perm_b32 v56, v57, v56, s5
	s_waitcnt lgkmcnt(0)
	v_mfma_f32_16x16x16_bf16 v[14:17], v[14:15], v[46:47], v[66:69]
	v_perm_b32 v57, v53, v52, s5
	v_cvt_pk_f32_fp8_e32 v[52:53], v2
	s_nop 0
	v_mfma_f32_16x16x16_bf16 v[66:69], v[56:57], v[48:49], v[14:17]
	s_nop 2
	v_cvt_pk_f32_fp8_sdwa v[14:15], v2 src0_sel:WORD_1
	v_cvt_pk_f32_fp8_e32 v[16:17], v3
	v_perm_b32 v2, v53, v52, s5
	v_cvt_pk_f32_fp8_sdwa v[52:53], v3 src0_sel:WORD_1
	v_perm_b32 v3, v15, v14, s5
	v_perm_b32 v56, v17, v16, s5
	ds_read_b128 v[14:17], v50 offset:6144
	v_perm_b32 v57, v53, v52, s5
	s_waitcnt lgkmcnt(0)
	v_mfma_f32_16x16x16_bf16 v[66:69], v[2:3], v[14:15], v[66:69]
	ds_read_b128 v[50:53], v50 offset:6160
	v_perm_b32 v2, v63, v62, s5
	v_perm_b32 v3, v71, v70, s5
	v_cvt_pk_f32_fp8_e32 v[62:63], v5
	v_mfma_f32_16x16x16_bf16 v[66:69], v[56:57], v[16:17], v[66:69]
	v_cvt_pk_f32_fp8_sdwa v[56:57], v5 src0_sel:WORD_1
	v_cvt_pk_f32_fp8_e32 v[70:71], v28
	v_perm_b32 v62, v63, v62, s5
	s_waitcnt lgkmcnt(0)
	v_mfma_f32_16x16x16_bf16 v[2:5], v[2:3], v[50:51], v[66:69]
	v_perm_b32 v63, v57, v56, s5
	v_cvt_pk_f32_fp8_sdwa v[56:57], v26 src0_sel:WORD_1
	s_nop 0
	v_mfma_f32_16x16x16_bf16 v[66:69], v[62:63], v[52:53], v[2:5]
	s_barrier
	s_nop 1
	v_cvt_pk_f32_fp8_e32 v[4:5], v26
	s_nop 2
	v_pk_mul_f32 v[62:63], v[66:67], s[4:5] op_sel_hi:[1,0]
	v_cvt_pk_f32_fp8_e32 v[66:67], v27
	v_perm_b32 v4, v5, v4, s5
	v_perm_b32 v5, v57, v56, s5
	v_cvt_pk_f32_fp8_sdwa v[26:27], v27 src0_sel:WORD_1
	v_perm_b32 v56, v67, v66, s5
	v_pk_mul_f32 v[2:3], v[68:69], s[4:5] op_sel_hi:[1,0]
	v_mfma_f32_16x16x16_bf16 v[66:69], v[4:5], v[34:35], 0
	v_perm_b32 v57, v27, v26, s5
	v_perm_b32 v4, v71, v70, s5
	;; [unrolled: 1-line block ×3, first 2 shown]
	v_cvt_pk_f32_fp8_e32 v[34:35], v29
	v_cvt_pk_f32_fp8_sdwa v[70:71], v29 src0_sel:WORD_1
	v_mfma_f32_16x16x16_bf16 v[26:29], v[56:57], v[36:37], v[66:69]
	s_waitcnt vmcnt(2)
	v_cvt_pk_f32_fp8_sdwa v[36:37], v18 src0_sel:WORD_1
	v_perm_b32 v34, v35, v34, s5
	v_perm_b32 v35, v71, v70, s5
	v_mfma_f32_16x16x16_bf16 v[26:29], v[4:5], v[38:39], v[26:29]
	v_cvt_pk_f32_fp8_e32 v[4:5], v18
	v_cvt_pk_f32_fp8_sdwa v[38:39], v20 src0_sel:WORD_1
	v_bfe_u32 v55, v63, 16, 1
	v_mfma_f32_16x16x16_bf16 v[26:29], v[34:35], v[40:41], v[26:29]
	v_cvt_pk_f32_fp8_e32 v[34:35], v19
	v_perm_b32 v4, v5, v4, s5
	v_perm_b32 v5, v37, v36, s5
	v_cvt_pk_f32_fp8_sdwa v[18:19], v19 src0_sel:WORD_1
	v_perm_b32 v34, v35, v34, s5
	v_cvt_pk_f32_fp8_e32 v[36:37], v20
	v_mfma_f32_16x16x16_bf16 v[26:29], v[4:5], v[30:31], v[26:29]
	v_perm_b32 v35, v19, v18, s5
	v_perm_b32 v4, v37, v36, s5
	;; [unrolled: 1-line block ×3, first 2 shown]
	v_cvt_pk_f32_fp8_e32 v[30:31], v21
	v_cvt_pk_f32_fp8_sdwa v[36:37], v21 src0_sel:WORD_1
	v_mfma_f32_16x16x16_bf16 v[18:21], v[34:35], v[32:33], v[26:29]
	v_bfe_u32 v56, v62, 16, 1
	v_add3_u32 v32, v62, v56, s8
	v_add3_u32 v33, v63, v55, s8
	v_perm_b32 v26, v31, v30, s5
	v_perm_b32 v27, v37, v36, s5
	v_mfma_f32_16x16x16_bf16 v[18:21], v[4:5], v[42:43], v[18:21]
	s_waitcnt vmcnt(1)
	v_cvt_pk_f32_fp8_e32 v[4:5], v10
	v_cvt_pk_f32_fp8_sdwa v[28:29], v10 src0_sel:WORD_1
	v_cvt_pk_f32_fp8_sdwa v[30:31], v12 src0_sel:WORD_1
	v_mfma_f32_16x16x16_bf16 v[18:21], v[26:27], v[44:45], v[18:21]
	v_cvt_pk_f32_fp8_e32 v[26:27], v11
	v_perm_b32 v4, v5, v4, s5
	v_perm_b32 v5, v29, v28, s5
	v_cvt_pk_f32_fp8_sdwa v[10:11], v11 src0_sel:WORD_1
	v_perm_b32 v26, v27, v26, s5
	v_cvt_pk_f32_fp8_e32 v[28:29], v12
	v_mfma_f32_16x16x16_bf16 v[18:21], v[4:5], v[22:23], v[18:21]
	v_perm_b32 v27, v11, v10, s5
	v_perm_b32 v4, v29, v28, s5
	;; [unrolled: 1-line block ×3, first 2 shown]
	v_cvt_pk_f32_fp8_e32 v[22:23], v13
	v_cvt_pk_f32_fp8_sdwa v[28:29], v13 src0_sel:WORD_1
	v_mfma_f32_16x16x16_bf16 v[10:13], v[26:27], v[24:25], v[18:21]
	s_waitcnt vmcnt(0)
	v_cvt_pk_f32_fp8_sdwa v[24:25], v8 src0_sel:WORD_1
	s_nop 0
	v_perm_b32 v20, v23, v22, s5
	v_perm_b32 v21, v29, v28, s5
	v_mfma_f32_16x16x16_bf16 v[10:13], v[4:5], v[46:47], v[10:13]
	v_cvt_pk_f32_fp8_e32 v[4:5], v6
	v_cvt_pk_f32_fp8_sdwa v[22:23], v6 src0_sel:WORD_1
	v_bfe_u32 v19, v3, 16, 1
	v_mfma_f32_16x16x16_bf16 v[10:13], v[20:21], v[48:49], v[10:13]
	v_cvt_pk_f32_fp8_e32 v[20:21], v7
	v_perm_b32 v4, v5, v4, s5
	v_perm_b32 v5, v23, v22, s5
	v_cvt_pk_f32_fp8_sdwa v[6:7], v7 src0_sel:WORD_1
	v_perm_b32 v20, v21, v20, s5
	v_cvt_pk_f32_fp8_e32 v[22:23], v8
	v_add3_u32 v3, v3, v19, s8
	v_perm_b32 v21, v7, v6, s5
	v_mfma_f32_16x16x16_bf16 v[4:7], v[4:5], v[14:15], v[10:13]
	v_bfe_u32 v14, v2, 16, 1
	v_add3_u32 v2, v2, v14, s8
	v_perm_b32 v19, v3, v2, s5
	v_perm_b32 v10, v23, v22, s5
	;; [unrolled: 1-line block ×3, first 2 shown]
	v_cvt_pk_f32_fp8_e32 v[12:13], v9
	v_cvt_pk_f32_fp8_sdwa v[8:9], v9 src0_sel:WORD_1
	v_mfma_f32_16x16x16_bf16 v[4:7], v[20:21], v[16:17], v[4:7]
	v_perm_b32 v18, v33, v32, s5
	v_perm_b32 v12, v13, v12, s5
	;; [unrolled: 1-line block ×3, first 2 shown]
	v_mfma_f32_16x16x16_bf16 v[4:7], v[10:11], v[50:51], v[4:7]
	s_nop 0
	v_mfma_f32_16x16x16_bf16 v[2:5], v[12:13], v[52:53], v[4:7]
	s_nop 6
	v_pk_mul_f32 v[2:3], v[2:3], s[4:5] op_sel_hi:[1,0]
	v_pk_mul_f32 v[4:5], v[4:5], s[4:5] op_sel_hi:[1,0]
	v_bfe_u32 v6, v3, 16, 1
	v_bfe_u32 v7, v2, 16, 1
	v_add3_u32 v2, v2, v7, s8
	v_add3_u32 v3, v3, v6, s8
	v_perm_b32 v2, v3, v2, s5
	v_bfe_u32 v3, v5, 16, 1
	v_bfe_u32 v6, v4, 16, 1
	v_add3_u32 v4, v4, v6, s8
	v_add3_u32 v3, v5, v3, s8
	v_perm_b32 v3, v3, v4, s5
	ds_write2st64_b64 v54, v[18:19], v[2:3] offset1:1
	s_waitcnt lgkmcnt(0)
	s_barrier
	s_and_saveexec_b64 s[4:5], vcc
	s_cbranch_execz .LBB1279_17
; %bb.16:
	s_load_dwordx2 s[0:1], s[0:1], 0x68
	s_lshl_b32 s6, s6, 7
	s_mul_i32 s2, s7, s2
	s_mul_hi_u32 s5, s2, s6
	s_mul_i32 s4, s2, s6
	s_lshl_b64 s[4:5], s[4:5], 1
	v_lshlrev_b32_e32 v4, 6, v60
	s_waitcnt lgkmcnt(0)
	s_add_u32 s4, s0, s4
	v_lshl_or_b32 v0, v0, 10, v4
	s_addc_u32 s5, s1, s5
	s_lshl_b32 s2, s24, 7
	v_lshlrev_b32_e32 v2, 5, v1
	v_and_b32_e32 v3, 16, v64
	v_and_b32_e32 v0, 0x1a00, v0
	s_lshl_b64 s[0:1], s[2:3], 1
	v_or3_b32 v0, v0, v2, v3
	s_add_u32 s0, s4, s0
	ds_read_b128 v[2:5], v0
	ds_read_b128 v[6:9], v0 offset:128
	ds_read_b128 v[10:13], v0 offset:256
	s_addc_u32 s1, s5, s1
	v_or_b32_e32 v16, s48, v1
	v_mov_b32_e32 v59, 0
	v_lshl_add_u64 v[0:1], s[0:1], 0, v[58:59]
	v_mad_u64_u32 v[14:15], s[0:1], v16, s6, 0
	v_lshl_add_u64 v[14:15], v[14:15], 1, v[0:1]
	s_waitcnt lgkmcnt(2)
	global_store_dwordx4 v[14:15], v[2:5], off
	s_nop 1
	v_add_u32_e32 v2, 4, v16
	v_mad_u64_u32 v[2:3], s[0:1], v2, s6, 0
	v_lshl_add_u64 v[2:3], v[2:3], 1, v[0:1]
	s_waitcnt lgkmcnt(1)
	global_store_dwordx4 v[2:3], v[6:9], off
	v_add_u32_e32 v2, 8, v16
	v_mad_u64_u32 v[2:3], s[0:1], v2, s6, 0
	v_lshl_add_u64 v[0:1], v[2:3], 1, v[0:1]
	s_waitcnt lgkmcnt(0)
	global_store_dwordx4 v[0:1], v[10:13], off
.LBB1279_17:
	s_endpgm
	.section	.rodata,"a",@progbits
	.p2align	6, 0x0
	.amdhsa_kernel _Z39paged_attention_ll4mi_QKV_mfma16_kernelI14__hip_bfloat16hLN4vllm18Fp8KVCacheDataTypeE1EhLi16ELi128ELi256ELb0ELi12EEvPKT_PKT0_S8_ifPKiSA_SA_iPKfiiiPfSD_PS3_PT2_iSC_SC_
		.amdhsa_group_segment_fixed_size 8192
		.amdhsa_private_segment_fixed_size 0
		.amdhsa_kernarg_size 400
		.amdhsa_user_sgpr_count 2
		.amdhsa_user_sgpr_dispatch_ptr 0
		.amdhsa_user_sgpr_queue_ptr 0
		.amdhsa_user_sgpr_kernarg_segment_ptr 1
		.amdhsa_user_sgpr_dispatch_id 0
		.amdhsa_user_sgpr_kernarg_preload_length 0
		.amdhsa_user_sgpr_kernarg_preload_offset 0
		.amdhsa_user_sgpr_private_segment_size 0
		.amdhsa_uses_dynamic_stack 0
		.amdhsa_enable_private_segment 0
		.amdhsa_system_sgpr_workgroup_id_x 1
		.amdhsa_system_sgpr_workgroup_id_y 1
		.amdhsa_system_sgpr_workgroup_id_z 1
		.amdhsa_system_sgpr_workgroup_info 0
		.amdhsa_system_vgpr_workitem_id 0
		.amdhsa_next_free_vgpr 86
		.amdhsa_next_free_sgpr 50
		.amdhsa_accum_offset 88
		.amdhsa_reserve_vcc 1
		.amdhsa_float_round_mode_32 0
		.amdhsa_float_round_mode_16_64 0
		.amdhsa_float_denorm_mode_32 3
		.amdhsa_float_denorm_mode_16_64 3
		.amdhsa_dx10_clamp 1
		.amdhsa_ieee_mode 1
		.amdhsa_fp16_overflow 0
		.amdhsa_tg_split 0
		.amdhsa_exception_fp_ieee_invalid_op 0
		.amdhsa_exception_fp_denorm_src 0
		.amdhsa_exception_fp_ieee_div_zero 0
		.amdhsa_exception_fp_ieee_overflow 0
		.amdhsa_exception_fp_ieee_underflow 0
		.amdhsa_exception_fp_ieee_inexact 0
		.amdhsa_exception_int_div_zero 0
	.end_amdhsa_kernel
	.section	.text._Z39paged_attention_ll4mi_QKV_mfma16_kernelI14__hip_bfloat16hLN4vllm18Fp8KVCacheDataTypeE1EhLi16ELi128ELi256ELb0ELi12EEvPKT_PKT0_S8_ifPKiSA_SA_iPKfiiiPfSD_PS3_PT2_iSC_SC_,"axG",@progbits,_Z39paged_attention_ll4mi_QKV_mfma16_kernelI14__hip_bfloat16hLN4vllm18Fp8KVCacheDataTypeE1EhLi16ELi128ELi256ELb0ELi12EEvPKT_PKT0_S8_ifPKiSA_SA_iPKfiiiPfSD_PS3_PT2_iSC_SC_,comdat
.Lfunc_end1279:
	.size	_Z39paged_attention_ll4mi_QKV_mfma16_kernelI14__hip_bfloat16hLN4vllm18Fp8KVCacheDataTypeE1EhLi16ELi128ELi256ELb0ELi12EEvPKT_PKT0_S8_ifPKiSA_SA_iPKfiiiPfSD_PS3_PT2_iSC_SC_, .Lfunc_end1279-_Z39paged_attention_ll4mi_QKV_mfma16_kernelI14__hip_bfloat16hLN4vllm18Fp8KVCacheDataTypeE1EhLi16ELi128ELi256ELb0ELi12EEvPKT_PKT0_S8_ifPKiSA_SA_iPKfiiiPfSD_PS3_PT2_iSC_SC_
                                        ; -- End function
	.section	.AMDGPU.csdata,"",@progbits
; Kernel info:
; codeLenInByte = 6336
; NumSgprs: 56
; NumVgprs: 86
; NumAgprs: 0
; TotalNumVgprs: 86
; ScratchSize: 0
; MemoryBound: 0
; FloatMode: 240
; IeeeMode: 1
; LDSByteSize: 8192 bytes/workgroup (compile time only)
; SGPRBlocks: 6
; VGPRBlocks: 10
; NumSGPRsForWavesPerEU: 56
; NumVGPRsForWavesPerEU: 86
; AccumOffset: 88
; Occupancy: 5
; WaveLimiterHint : 1
; COMPUTE_PGM_RSRC2:SCRATCH_EN: 0
; COMPUTE_PGM_RSRC2:USER_SGPR: 2
; COMPUTE_PGM_RSRC2:TRAP_HANDLER: 0
; COMPUTE_PGM_RSRC2:TGID_X_EN: 1
; COMPUTE_PGM_RSRC2:TGID_Y_EN: 1
; COMPUTE_PGM_RSRC2:TGID_Z_EN: 1
; COMPUTE_PGM_RSRC2:TIDIG_COMP_CNT: 0
; COMPUTE_PGM_RSRC3_GFX90A:ACCUM_OFFSET: 21
; COMPUTE_PGM_RSRC3_GFX90A:TG_SPLIT: 0
	.section	.text._Z39paged_attention_ll4mi_QKV_mfma16_kernelI14__hip_bfloat16hLN4vllm18Fp8KVCacheDataTypeE1EhLi16ELi128ELi256ELb0ELi13EEvPKT_PKT0_S8_ifPKiSA_SA_iPKfiiiPfSD_PS3_PT2_iSC_SC_,"axG",@progbits,_Z39paged_attention_ll4mi_QKV_mfma16_kernelI14__hip_bfloat16hLN4vllm18Fp8KVCacheDataTypeE1EhLi16ELi128ELi256ELb0ELi13EEvPKT_PKT0_S8_ifPKiSA_SA_iPKfiiiPfSD_PS3_PT2_iSC_SC_,comdat
	.protected	_Z39paged_attention_ll4mi_QKV_mfma16_kernelI14__hip_bfloat16hLN4vllm18Fp8KVCacheDataTypeE1EhLi16ELi128ELi256ELb0ELi13EEvPKT_PKT0_S8_ifPKiSA_SA_iPKfiiiPfSD_PS3_PT2_iSC_SC_ ; -- Begin function _Z39paged_attention_ll4mi_QKV_mfma16_kernelI14__hip_bfloat16hLN4vllm18Fp8KVCacheDataTypeE1EhLi16ELi128ELi256ELb0ELi13EEvPKT_PKT0_S8_ifPKiSA_SA_iPKfiiiPfSD_PS3_PT2_iSC_SC_
	.globl	_Z39paged_attention_ll4mi_QKV_mfma16_kernelI14__hip_bfloat16hLN4vllm18Fp8KVCacheDataTypeE1EhLi16ELi128ELi256ELb0ELi13EEvPKT_PKT0_S8_ifPKiSA_SA_iPKfiiiPfSD_PS3_PT2_iSC_SC_
	.p2align	8
	.type	_Z39paged_attention_ll4mi_QKV_mfma16_kernelI14__hip_bfloat16hLN4vllm18Fp8KVCacheDataTypeE1EhLi16ELi128ELi256ELb0ELi13EEvPKT_PKT0_S8_ifPKiSA_SA_iPKfiiiPfSD_PS3_PT2_iSC_SC_,@function
_Z39paged_attention_ll4mi_QKV_mfma16_kernelI14__hip_bfloat16hLN4vllm18Fp8KVCacheDataTypeE1EhLi16ELi128ELi256ELb0ELi13EEvPKT_PKT0_S8_ifPKiSA_SA_iPKfiiiPfSD_PS3_PT2_iSC_SC_: ; @_Z39paged_attention_ll4mi_QKV_mfma16_kernelI14__hip_bfloat16hLN4vllm18Fp8KVCacheDataTypeE1EhLi16ELi128ELi256ELb0ELi13EEvPKT_PKT0_S8_ifPKiSA_SA_iPKfiiiPfSD_PS3_PT2_iSC_SC_
; %bb.0:
	s_load_dwordx2 s[12:13], s[0:1], 0x30
	s_mov_b32 s24, s3
	s_mov_b64 s[6:7], 0
	s_waitcnt lgkmcnt(0)
	s_cmp_lg_u64 s[12:13], 0
	s_cselect_b64 s[14:15], -1, 0
	s_and_b64 vcc, exec, s[14:15]
	s_cbranch_vccz .LBB1280_7
; %bb.1:
	s_add_i32 s8, s2, 1
	s_mov_b32 s9, 0
	s_lshl_b64 s[10:11], s[8:9], 2
	s_add_u32 s10, s12, s10
	s_mov_b32 s3, s9
	s_addc_u32 s11, s13, s11
	s_lshl_b64 s[8:9], s[2:3], 2
	s_add_u32 s8, s12, s8
	s_addc_u32 s9, s13, s9
	s_load_dword s5, s[10:11], 0x0
	s_load_dword s16, s[8:9], 0x0
	s_waitcnt lgkmcnt(0)
	s_sub_i32 s5, s5, s16
	s_cmp_eq_u32 s5, 1
	s_cselect_b64 s[8:9], -1, 0
	s_andn2_b64 vcc, exec, s[6:7]
	s_cbranch_vccnz .LBB1280_3
.LBB1280_2:
	s_mov_b32 s3, 0
	s_mov_b64 s[8:9], -1
.LBB1280_3:
	s_andn2_b64 vcc, exec, s[8:9]
	s_cbranch_vccnz .LBB1280_18
; %bb.4:
	s_load_dwordx2 s[6:7], s[0:1], 0x28
	s_lshl_b64 s[16:17], s[2:3], 2
	s_waitcnt lgkmcnt(0)
	s_add_u32 s6, s6, s16
	s_addc_u32 s7, s7, s17
	s_load_dword s33, s[6:7], 0x0
	s_lshl_b32 s18, s24, 8
	s_waitcnt lgkmcnt(0)
	s_cmp_ge_i32 s18, s33
	s_cbranch_scc1 .LBB1280_18
; %bb.5:
	s_load_dwordx2 s[6:7], s[0:1], 0x20
	s_load_dword s8, s[0:1], 0x38
	s_add_i32 s5, s33, 15
	s_ashr_i32 s9, s5, 31
	v_and_b32_e32 v1, 0xcf, v0
	s_lshr_b32 s9, s9, 28
	v_add_u32_e32 v1, s18, v1
	s_add_i32 s5, s5, s9
	v_ashrrev_i32_e32 v2, 31, v1
	s_ashr_i32 s5, s5, 4
	v_lshrrev_b32_e32 v10, 28, v2
	s_add_i32 s5, s5, -1
	s_waitcnt lgkmcnt(0)
	s_mul_i32 s8, s2, s8
	s_mov_b32 s9, 0
	v_add_u32_e32 v2, v1, v10
	s_lshl_b64 s[8:9], s[8:9], 2
	v_ashrrev_i32_e32 v2, 4, v2
	v_mov_b32_e32 v11, s5
	v_cmp_gt_i32_e32 vcc, s33, v1
	s_add_u32 s6, s6, s8
	s_addc_u32 s7, s7, s9
	v_cndmask_b32_e32 v2, v11, v2, vcc
	v_ashrrev_i32_e32 v3, 31, v2
	v_lshl_add_u64 v[4:5], v[2:3], 2, s[6:7]
	v_or_b32_e32 v2, 16, v1
	v_add_u32_e32 v3, v2, v10
	v_ashrrev_i32_e32 v3, 4, v3
	v_cmp_gt_i32_e32 vcc, s33, v2
	s_load_dwordx4 s[8:11], s[0:1], 0x8
	s_nop 0
	v_cndmask_b32_e32 v2, v11, v3, vcc
	v_ashrrev_i32_e32 v3, 31, v2
	v_lshl_add_u64 v[6:7], v[2:3], 2, s[6:7]
	v_or_b32_e32 v2, 32, v1
	v_add_u32_e32 v3, v2, v10
	v_ashrrev_i32_e32 v3, 4, v3
	v_cmp_gt_i32_e32 vcc, s33, v2
	v_or_b32_e32 v1, 48, v1
	s_nop 0
	v_cndmask_b32_e32 v2, v11, v3, vcc
	v_ashrrev_i32_e32 v3, 31, v2
	v_lshl_add_u64 v[8:9], v[2:3], 2, s[6:7]
	v_add_u32_e32 v2, v1, v10
	v_ashrrev_i32_e32 v2, 4, v2
	v_cmp_gt_i32_e32 vcc, s33, v1
	s_nop 1
	v_cndmask_b32_e32 v2, v11, v2, vcc
	v_ashrrev_i32_e32 v3, 31, v2
	v_lshl_add_u64 v[10:11], v[2:3], 2, s[6:7]
	global_load_dword v3, v[4:5], off
	global_load_dword v2, v[6:7], off
	;; [unrolled: 1-line block ×4, first 2 shown]
	s_andn2_b64 vcc, exec, s[14:15]
	s_cbranch_vccnz .LBB1280_8
; %bb.6:
	s_add_u32 s12, s12, s16
	s_addc_u32 s13, s13, s17
	s_load_dword s14, s[12:13], 0x0
	s_branch .LBB1280_9
.LBB1280_7:
	s_mov_b64 s[8:9], 0
	s_branch .LBB1280_2
.LBB1280_8:
	s_mov_b32 s14, s2
.LBB1280_9:
	s_load_dwordx4 s[44:47], s[0:1], 0x48
	v_lshrrev_b32_e32 v61, 6, v0
	v_bfe_u32 v64, v0, 4, 2
	v_and_b32_e32 v60, 15, v0
	v_lshl_or_b32 v4, v61, 2, v64
	v_lshlrev_b32_e32 v1, 3, v60
	v_and_b32_e32 v65, 63, v0
	s_mul_i32 s48, s4, 13
	v_cmp_gt_u32_e32 vcc, 13, v4
	v_lshlrev_b32_e32 v58, 1, v1
	v_lshlrev_b32_e32 v1, 4, v0
	s_and_saveexec_b64 s[12:13], vcc
	s_cbranch_execz .LBB1280_11
; %bb.10:
	s_load_dwordx2 s[16:17], s[0:1], 0x0
	s_waitcnt lgkmcnt(0)
	s_ashr_i32 s15, s44, 31
	s_mul_hi_u32 s19, s14, s44
	s_mul_i32 s15, s14, s15
	s_add_i32 s15, s19, s15
	s_mul_i32 s14, s14, s44
	s_lshl_b64 s[14:15], s[14:15], 1
	s_add_u32 s14, s16, s14
	v_add_lshl_u32 v6, v4, s48, 7
	s_addc_u32 s15, s17, s15
	v_ashrrev_i32_e32 v7, 31, v6
	v_lshl_add_u64 v[6:7], v[6:7], 1, s[14:15]
	v_mov_b32_e32 v59, 0
	v_lshl_add_u64 v[6:7], v[6:7], 0, v[58:59]
	global_load_dwordx4 v[6:9], v[6:7], off
	v_lshlrev_b32_e32 v10, 8, v0
	v_lshlrev_b32_e32 v5, 8, v60
	v_and_b32_e32 v10, 0x600, v10
	s_movk_i32 s14, 0x800
	v_and_or_b32 v5, v5, s14, v10
	v_lshlrev_b32_e32 v4, 5, v4
	v_and_b32_e32 v10, 16, v1
	v_or3_b32 v4, v5, v4, v10
	s_waitcnt vmcnt(0)
	ds_write_b128 v4, v[6:9]
.LBB1280_11:
	s_or_b64 exec, exec, s[12:13]
	s_waitcnt lgkmcnt(0)
	s_mul_i32 s4, s4, s46
	s_add_u32 s8, s8, s4
	s_addc_u32 s9, s9, 0
	v_and_b32_e32 v62, 0xf0, v1
	v_mov_b32_e32 v63, 0
	v_and_b32_e32 v6, 48, v0
	v_lshl_add_u64 v[30:31], s[8:9], 0, v[62:63]
	v_lshlrev_b32_e32 v62, 4, v6
	s_waitcnt vmcnt(3)
	v_mad_i64_i32 v[4:5], s[8:9], v3, s45, v[30:31]
	v_lshl_add_u64 v[4:5], v[4:5], 0, v[62:63]
	s_load_dword s25, s[0:1], 0x98
	s_load_dwordx4 s[40:43], s[0:1], 0x80
	s_waitcnt lgkmcnt(0)
	s_barrier
	global_load_dwordx4 v[22:25], v[4:5], off
	global_load_dwordx4 v[14:17], v[4:5], off offset:1024
	s_waitcnt vmcnt(4)
	v_mad_i64_i32 v[2:3], s[8:9], v2, s45, v[30:31]
	v_lshl_add_u64 v[32:33], v[2:3], 0, v[62:63]
	global_load_dwordx4 v[2:5], v[32:33], off
	v_add_u32_e32 v7, -13, v60
	v_cmp_gt_u32_e32 vcc, 13, v60
	v_or_b32_e32 v6, s18, v6
	v_mov_b32_e32 v41, s5
	v_cndmask_b32_e32 v7, v7, v60, vcc
	v_lshlrev_b32_e32 v7, 5, v7
	v_ashrrev_i32_e32 v8, 4, v6
	v_lshl_add_u32 v7, v64, 9, v7
	v_cmp_gt_i32_e32 vcc, s33, v6
	v_or_b32_e32 v40, 64, v6
	v_or_b32_e32 v42, 0x80, v6
	;; [unrolled: 1-line block ×3, first 2 shown]
	v_cndmask_b32_e32 v38, v41, v8, vcc
	ds_read_b128 v[26:29], v7
	ds_read_b128 v[18:21], v7 offset:16
	ds_read_b128 v[10:13], v7 offset:2048
	ds_read_b128 v[6:9], v7 offset:2064
	s_waitcnt vmcnt(4)
	v_mad_i64_i32 v[36:37], s[12:13], v34, s45, v[30:31]
	s_waitcnt vmcnt(3)
	v_mad_i64_i32 v[34:35], s[12:13], v35, s45, v[30:31]
	global_load_dwordx4 v[30:33], v[32:33], off offset:1024
	v_ashrrev_i32_e32 v44, 4, v40
	v_cmp_gt_i32_e32 vcc, s33, v40
	v_ashrrev_i32_e32 v45, 4, v42
	v_ashrrev_i32_e32 v46, 4, v43
	v_cndmask_b32_e32 v40, v41, v44, vcc
	v_cmp_gt_i32_e32 vcc, s33, v42
	v_ashrrev_i32_e32 v39, 31, v38
	v_lshl_add_u64 v[36:37], v[36:37], 0, v[62:63]
	v_cndmask_b32_e32 v42, v41, v45, vcc
	v_cmp_gt_i32_e32 vcc, s33, v43
	v_lshl_add_u64 v[34:35], v[34:35], 0, v[62:63]
	v_ashrrev_i32_e32 v43, 31, v42
	v_cndmask_b32_e32 v44, v41, v46, vcc
	v_ashrrev_i32_e32 v41, 31, v40
	v_ashrrev_i32_e32 v45, 31, v44
	v_lshl_add_u64 v[50:51], v[38:39], 2, s[6:7]
	v_lshl_add_u64 v[52:53], v[40:41], 2, s[6:7]
	v_lshl_add_u64 v[54:55], v[42:43], 2, s[6:7]
	v_lshl_add_u64 v[56:57], v[44:45], 2, s[6:7]
	global_load_dwordx4 v[46:49], v[36:37], off
	global_load_dwordx4 v[42:45], v[36:37], off offset:1024
	global_load_dwordx4 v[38:41], v[34:35], off
	s_nop 0
	global_load_dwordx4 v[34:37], v[34:35], off offset:1024
	s_nop 0
	global_load_dword v69, v[50:51], off
	global_load_dword v68, v[52:53], off
	;; [unrolled: 1-line block ×4, first 2 shown]
	s_mov_b32 s44, 0x7060302
	s_add_u32 s4, s10, s4
	v_lshl_or_b32 v59, v61, 4, v60
	s_addc_u32 s5, s11, 0
	v_lshlrev_b32_e32 v62, 4, v59
	s_load_dword s8, s[0:1], 0x1c
	s_waitcnt vmcnt(11)
	v_cvt_pk_f32_fp8_e32 v[50:51], v22
	v_cvt_pk_f32_fp8_sdwa v[52:53], v22 src0_sel:WORD_1
	v_cvt_pk_f32_fp8_e32 v[54:55], v23
	v_cvt_pk_f32_fp8_sdwa v[22:23], v23 src0_sel:WORD_1
	s_waitcnt vmcnt(10)
	v_cvt_pk_f32_fp8_e32 v[76:77], v14
	v_cvt_pk_f32_fp8_sdwa v[78:79], v14 src0_sel:WORD_1
	v_cvt_pk_f32_fp8_e32 v[80:81], v15
	v_cvt_pk_f32_fp8_sdwa v[82:83], v15 src0_sel:WORD_1
	v_perm_b32 v14, v51, v50, s44
	v_perm_b32 v15, v53, v52, s44
	v_cvt_pk_f32_fp8_e32 v[56:57], v24
	v_cvt_pk_f32_fp8_sdwa v[70:71], v24 src0_sel:WORD_1
	v_perm_b32 v54, v55, v54, s44
	v_perm_b32 v55, v23, v22, s44
	v_cvt_pk_f32_fp8_e32 v[72:73], v25
	v_cvt_pk_f32_fp8_sdwa v[74:75], v25 src0_sel:WORD_1
	s_waitcnt lgkmcnt(0)
	v_mfma_f32_16x16x16_bf16 v[22:25], v[14:15], v[26:27], 0
	v_perm_b32 v14, v57, v56, s44
	v_perm_b32 v15, v71, v70, s44
	;; [unrolled: 1-line block ×3, first 2 shown]
	v_mfma_f32_16x16x16_bf16 v[22:25], v[54:55], v[28:29], v[22:25]
	v_perm_b32 v57, v75, v74, s44
	v_cvt_pk_f32_fp8_e32 v[50:51], v16
	v_cvt_pk_f32_fp8_sdwa v[52:53], v16 src0_sel:WORD_1
	v_cvt_pk_f32_fp8_e32 v[84:85], v17
	v_cvt_pk_f32_fp8_sdwa v[54:55], v17 src0_sel:WORD_1
	v_mfma_f32_16x16x16_bf16 v[14:17], v[14:15], v[18:19], v[22:25]
	v_perm_b32 v70, v81, v80, s44
	v_perm_b32 v71, v83, v82, s44
	;; [unrolled: 1-line block ×5, first 2 shown]
	v_mfma_f32_16x16x16_bf16 v[14:17], v[56:57], v[20:21], v[14:17]
	s_waitcnt vmcnt(9)
	v_cvt_pk_f32_fp8_e32 v[22:23], v2
	v_cvt_pk_f32_fp8_sdwa v[56:57], v2 src0_sel:WORD_1
	v_perm_b32 v51, v53, v52, s44
	v_mfma_f32_16x16x16_bf16 v[14:17], v[24:25], v[10:11], v[14:17]
	v_cvt_pk_f32_fp8_e32 v[24:25], v3
	v_cvt_pk_f32_fp8_sdwa v[2:3], v3 src0_sel:WORD_1
	v_perm_b32 v52, v85, v84, s44
	v_mfma_f32_16x16x16_bf16 v[14:17], v[70:71], v[12:13], v[14:17]
	v_perm_b32 v53, v55, v54, s44
	v_perm_b32 v22, v23, v22, s44
	;; [unrolled: 1-line block ×3, first 2 shown]
	v_mfma_f32_16x16x16_bf16 v[14:17], v[50:51], v[6:7], v[14:17]
	v_cvt_pk_f32_fp8_e32 v[54:55], v4
	v_cvt_pk_f32_fp8_sdwa v[56:57], v4 src0_sel:WORD_1
	v_perm_b32 v24, v25, v24, s44
	v_perm_b32 v25, v3, v2, s44
	v_mfma_f32_16x16x16_bf16 v[50:53], v[52:53], v[8:9], v[14:17]
	s_waitcnt vmcnt(7)
	v_cvt_pk_f32_fp8_e32 v[72:73], v49
	v_lshl_add_u64 v[70:71], s[4:5], 0, v[62:63]
	s_waitcnt vmcnt(6)
	v_cvt_pk_f32_fp8_sdwa v[76:77], v44 src0_sel:WORD_1
	v_mfma_f32_16x16x16_bf16 v[14:17], v[22:23], v[26:27], 0
	v_perm_b32 v22, v55, v54, s44
	v_perm_b32 v23, v57, v56, s44
	v_cvt_pk_f32_fp8_e32 v[54:55], v5
	v_cvt_pk_f32_fp8_sdwa v[56:57], v5 src0_sel:WORD_1
	v_mfma_f32_16x16x16_bf16 v[2:5], v[24:25], v[28:29], v[14:17]
	v_cvt_pk_f32_fp8_e32 v[24:25], v32
	v_or_b32_e32 v62, 0x400, v62
	s_nop 0
	v_perm_b32 v14, v55, v54, s44
	v_perm_b32 v15, v57, v56, s44
	v_mfma_f32_16x16x16_bf16 v[2:5], v[22:23], v[18:19], v[2:5]
	v_cvt_pk_f32_fp8_e32 v[16:17], v30
	v_cvt_pk_f32_fp8_sdwa v[22:23], v30 src0_sel:WORD_1
	v_perm_b32 v16, v17, v16, s44
	v_mfma_f32_16x16x16_bf16 v[2:5], v[14:15], v[20:21], v[2:5]
	v_cvt_pk_f32_fp8_e32 v[14:15], v31
	v_perm_b32 v17, v23, v22, s44
	v_cvt_pk_f32_fp8_sdwa v[22:23], v31 src0_sel:WORD_1
	v_cvt_pk_f32_fp8_sdwa v[30:31], v32 src0_sel:WORD_1
	v_perm_b32 v14, v15, v14, s44
	v_mfma_f32_16x16x16_bf16 v[2:5], v[16:17], v[10:11], v[2:5]
	v_perm_b32 v15, v23, v22, s44
	v_perm_b32 v16, v25, v24, s44
	;; [unrolled: 1-line block ×3, first 2 shown]
	v_cvt_pk_f32_fp8_e32 v[22:23], v33
	v_cvt_pk_f32_fp8_sdwa v[24:25], v33 src0_sel:WORD_1
	v_mfma_f32_16x16x16_bf16 v[2:5], v[14:15], v[12:13], v[2:5]
	v_perm_b32 v14, v23, v22, s44
	v_perm_b32 v15, v25, v24, s44
	v_mfma_f32_16x16x16_bf16 v[2:5], v[16:17], v[6:7], v[2:5]
	v_cvt_pk_f32_fp8_e32 v[16:17], v46
	v_cvt_pk_f32_fp8_sdwa v[22:23], v46 src0_sel:WORD_1
	v_cvt_pk_f32_fp8_sdwa v[24:25], v48 src0_sel:WORD_1
	v_mfma_f32_16x16x16_bf16 v[54:57], v[14:15], v[8:9], v[2:5]
	v_cvt_pk_f32_fp8_sdwa v[14:15], v47 src0_sel:WORD_1
	s_nop 1
	v_perm_b32 v2, v17, v16, s44
	v_perm_b32 v3, v23, v22, s44
	v_cvt_pk_f32_fp8_e32 v[4:5], v47
	v_perm_b32 v23, v15, v14, s44
	v_cvt_pk_f32_fp8_e32 v[14:15], v48
	v_cvt_pk_f32_fp8_sdwa v[48:49], v49 src0_sel:WORD_1
	v_perm_b32 v22, v5, v4, s44
	v_mfma_f32_16x16x16_bf16 v[2:5], v[2:3], v[26:27], 0
	v_perm_b32 v14, v15, v14, s44
	v_perm_b32 v15, v25, v24, s44
	s_waitcnt vmcnt(3)
	v_mad_i64_i32 v[16:17], s[6:7], v69, s45, v[70:71]
	v_mfma_f32_16x16x16_bf16 v[2:5], v[22:23], v[28:29], v[2:5]
	s_waitcnt vmcnt(2)
	v_mad_i64_i32 v[46:47], s[6:7], v68, s45, v[70:71]
	global_load_dwordx4 v[30:33], v[16:17], off
	global_load_dwordx4 v[22:25], v[46:47], off
	v_perm_b32 v16, v73, v72, s44
	v_perm_b32 v17, v49, v48, s44
	v_mfma_f32_16x16x16_bf16 v[2:5], v[14:15], v[18:19], v[2:5]
	v_cvt_pk_f32_fp8_e32 v[14:15], v42
	v_cvt_pk_f32_fp8_sdwa v[46:47], v42 src0_sel:WORD_1
	s_waitcnt vmcnt(3)
	v_mad_i64_i32 v[72:73], s[6:7], v67, s45, v[70:71]
	v_mfma_f32_16x16x16_bf16 v[2:5], v[16:17], v[20:21], v[2:5]
	v_perm_b32 v14, v15, v14, s44
	v_perm_b32 v15, v47, v46, s44
	v_cvt_pk_f32_fp8_e32 v[16:17], v43
	v_cvt_pk_f32_fp8_sdwa v[42:43], v43 src0_sel:WORD_1
	v_mfma_f32_16x16x16_bf16 v[46:49], v[14:15], v[10:11], v[2:5]
	v_perm_b32 v74, v17, v16, s44
	v_perm_b32 v75, v43, v42, s44
	v_cvt_pk_f32_fp8_e32 v[42:43], v44
	s_waitcnt vmcnt(2)
	v_mad_i64_i32 v[70:71], s[6:7], v66, s45, v[70:71]
	global_load_dwordx4 v[14:17], v[72:73], off
	global_load_dwordx4 v[2:5], v[70:71], off
	v_perm_b32 v70, v43, v42, s44
	v_perm_b32 v71, v77, v76, s44
	v_cvt_pk_f32_fp8_e32 v[72:73], v45
	v_cvt_pk_f32_fp8_sdwa v[76:77], v45 src0_sel:WORD_1
	v_mfma_f32_16x16x16_bf16 v[44:47], v[74:75], v[12:13], v[46:49]
	v_lshl_add_u64 v[42:43], s[4:5], 0, v[62:63]
	v_cvt_pk_f32_fp8_e32 v[62:63], v38
	s_load_dword s4, s[40:41], 0x0
	v_perm_b32 v48, v73, v72, s44
	v_perm_b32 v49, v77, v76, s44
	v_mfma_f32_16x16x16_bf16 v[44:47], v[70:71], v[6:7], v[44:47]
	v_cvt_pk_f32_fp8_sdwa v[70:71], v38 src0_sel:WORD_1
	v_perm_b32 v62, v63, v62, s44
	v_cvt_pk_f32_fp8_e32 v[74:75], v40
	v_mfma_f32_16x16x16_bf16 v[46:49], v[48:49], v[8:9], v[44:47]
	v_perm_b32 v63, v71, v70, s44
	v_cvt_pk_f32_fp8_sdwa v[76:77], v40 src0_sel:WORD_1
	s_mov_b32 s40, 0xff7fffff
	v_cvt_pk_f32_fp8_e32 v[44:45], v39
	v_cvt_pk_f32_fp8_sdwa v[38:39], v39 src0_sel:WORD_1
	v_mfma_f32_16x16x16_bf16 v[70:73], v[62:63], v[26:27], 0
	v_cvt_pk_f32_fp8_e32 v[62:63], v41
	v_perm_b32 v44, v45, v44, s44
	v_perm_b32 v45, v39, v38, s44
	;; [unrolled: 1-line block ×4, first 2 shown]
	v_cvt_pk_f32_fp8_sdwa v[40:41], v41 src0_sel:WORD_1
	v_mov_b32_e32 v26, s8
	s_waitcnt lgkmcnt(0)
	v_mul_f32_e32 v74, s4, v26
	v_mfma_f32_16x16x16_bf16 v[26:29], v[44:45], v[28:29], v[70:73]
	v_pk_mul_f32 v[44:45], v[74:75], v[52:53] op_sel_hi:[0,1]
	v_perm_b32 v52, v63, v62, s44
	v_perm_b32 v53, v41, v40, s44
	v_mfma_f32_16x16x16_bf16 v[26:29], v[38:39], v[18:19], v[26:29]
	v_cvt_pk_f32_fp8_e32 v[18:19], v34
	v_cvt_pk_f32_fp8_sdwa v[38:39], v34 src0_sel:WORD_1
	v_pk_mul_f32 v[50:51], v[74:75], v[50:51] op_sel_hi:[0,1]
	v_mfma_f32_16x16x16_bf16 v[26:29], v[52:53], v[20:21], v[26:29]
	v_perm_b32 v20, v19, v18, s44
	v_perm_b32 v21, v39, v38, s44
	v_cvt_pk_f32_fp8_e32 v[38:39], v35
	v_cvt_pk_f32_fp8_sdwa v[34:35], v35 src0_sel:WORD_1
	v_mfma_f32_16x16x16_bf16 v[26:29], v[20:21], v[10:11], v[26:29]
	v_perm_b32 v38, v39, v38, s44
	v_perm_b32 v39, v35, v34, s44
	v_cvt_pk_f32_fp8_e32 v[10:11], v36
	v_cvt_pk_f32_fp8_sdwa v[20:21], v36 src0_sel:WORD_1
	v_pk_mul_f32 v[52:53], v[74:75], v[54:55] op_sel_hi:[0,1]
	v_pk_mul_f32 v[34:35], v[74:75], v[56:57] op_sel_hi:[0,1]
	v_perm_b32 v40, v11, v10, s44
	v_perm_b32 v41, v21, v20, s44
	v_cvt_pk_f32_fp8_e32 v[20:21], v37
	v_cvt_pk_f32_fp8_sdwa v[36:37], v37 src0_sel:WORD_1
	v_mfma_f32_16x16x16_bf16 v[10:13], v[38:39], v[12:13], v[26:29]
	v_pk_mul_f32 v[46:47], v[74:75], v[46:47] op_sel_hi:[0,1]
	v_perm_b32 v20, v21, v20, s44
	v_perm_b32 v21, v37, v36, s44
	v_mfma_f32_16x16x16_bf16 v[10:13], v[40:41], v[6:7], v[10:13]
	v_pk_mul_f32 v[40:41], v[74:75], v[48:49] op_sel_hi:[0,1]
	v_mad_i64_i32 v[18:19], s[4:5], v69, s45, v[42:43]
	v_mfma_f32_16x16x16_bf16 v[6:9], v[20:21], v[8:9], v[10:13]
	v_mad_i64_i32 v[62:63], s[4:5], v68, s45, v[42:43]
	global_load_dwordx4 v[26:29], v[18:19], off
	s_nop 0
	global_load_dwordx4 v[18:21], v[62:63], off
	s_nop 2
	v_pk_mul_f32 v[48:49], v[74:75], v[6:7] op_sel_hi:[0,1]
	v_and_b32_e32 v6, 0xc0, v0
	v_add_u32_e32 v6, s18, v6
	v_lshl_or_b32 v6, v64, 2, v6
	v_pk_mul_f32 v[38:39], v[74:75], v[8:9] op_sel_hi:[0,1]
	v_or_b32_e32 v9, 1, v6
	v_mov_b32_e32 v7, 0xff7fffff
	v_cmp_gt_i32_e64 s[26:27], s33, v6
	v_cmp_gt_i32_e64 s[28:29], s33, v9
	v_or_b32_e32 v10, 3, v6
	v_cndmask_b32_e64 v8, v7, v50, s[26:27]
	v_cndmask_b32_e64 v9, v7, v51, s[28:29]
	v_max3_f32 v8, v8, s40, v9
	v_or_b32_e32 v9, 2, v6
	v_cmp_gt_i32_e64 s[30:31], s33, v9
	v_cmp_gt_i32_e64 s[34:35], s33, v10
	s_nop 0
	v_cndmask_b32_e64 v9, v7, v44, s[30:31]
	v_cndmask_b32_e64 v10, v7, v45, s[34:35]
	v_max3_f32 v8, v8, v9, v10
	v_or_b32_e32 v9, 16, v6
	v_or_b32_e32 v10, 17, v6
	v_cmp_gt_i32_e64 s[18:19], s33, v9
	v_cmp_gt_i32_e64 s[20:21], s33, v10
	s_nop 0
	v_cndmask_b32_e64 v9, v7, v52, s[18:19]
	v_cndmask_b32_e64 v10, v7, v53, s[20:21]
	v_max3_f32 v8, v8, v9, v10
	v_or_b32_e32 v9, 18, v6
	;; [unrolled: 8-line block ×5, first 2 shown]
	v_or_b32_e32 v10, 49, v6
	v_cmp_gt_i32_e32 vcc, s33, v9
	v_cmp_gt_i32_e64 s[4:5], s33, v10
	s_nop 0
	v_cndmask_b32_e32 v9, v7, v48, vcc
	v_cndmask_b32_e64 v10, v7, v49, s[4:5]
	v_max3_f32 v8, v8, v9, v10
	v_or_b32_e32 v9, 50, v6
	v_or_b32_e32 v6, 51, v6
	v_cmp_gt_i32_e64 s[6:7], s33, v9
	v_cmp_gt_i32_e64 s[8:9], s33, v6
	s_nop 0
	v_cndmask_b32_e64 v9, v7, v38, s[6:7]
	v_cndmask_b32_e64 v6, v7, v39, s[8:9]
	v_max3_f32 v8, v8, v9, v6
	v_mbcnt_lo_u32_b32 v6, -1, 0
	v_mbcnt_hi_u32_b32 v9, -1, v6
	v_and_b32_e32 v6, 64, v9
	v_add_u32_e32 v10, 64, v6
	v_xor_b32_e32 v6, 32, v9
	v_cmp_lt_i32_e64 s[38:39], v6, v10
	s_nop 1
	v_cndmask_b32_e64 v6, v9, v6, s[38:39]
	v_lshlrev_b32_e32 v55, 2, v6
	ds_bpermute_b32 v11, v55, v8
	v_mad_i64_i32 v[6:7], s[38:39], v67, s45, v[42:43]
	s_waitcnt lgkmcnt(0)
	v_max_f32_e32 v11, v11, v11
	v_max_f32_e32 v36, v8, v11
	v_xor_b32_e32 v8, 16, v9
	v_cmp_lt_i32_e64 s[38:39], v8, v10
	s_nop 1
	v_cndmask_b32_e64 v8, v9, v8, s[38:39]
	v_lshlrev_b32_e32 v56, 2, v8
	v_mad_i64_i32 v[8:9], s[38:39], v66, s45, v[42:43]
	global_load_dwordx4 v[10:13], v[6:7], off
	s_nop 0
	global_load_dwordx4 v[6:9], v[8:9], off
	ds_bpermute_b32 v37, v56, v36
	s_waitcnt lgkmcnt(0)
	s_barrier
	v_max_f32_e32 v37, v37, v37
	v_max_f32_e32 v54, v36, v37
	v_sub_f32_e32 v42, v44, v54
	v_mul_f32_e32 v42, 0x3fb8aa3b, v42
	v_exp_f32_e32 v42, v42
	v_sub_f32_e32 v43, v45, v54
	v_mul_f32_e32 v43, 0x3fb8aa3b, v43
	v_exp_f32_e32 v43, v43
	v_cndmask_b32_e64 v44, 0, v42, s[30:31]
	v_sub_f32_e32 v42, v52, v54
	v_sub_f32_e32 v34, v34, v54
	v_mul_f32_e32 v42, 0x3fb8aa3b, v42
	v_mul_f32_e32 v34, 0x3fb8aa3b, v34
	v_sub_f32_e32 v36, v50, v54
	v_exp_f32_e32 v42, v42
	v_exp_f32_e32 v50, v34
	v_cndmask_b32_e64 v45, 0, v43, s[34:35]
	v_sub_f32_e32 v43, v53, v54
	v_sub_f32_e32 v34, v35, v54
	;; [unrolled: 1-line block ×4, first 2 shown]
	v_mul_f32_e32 v43, 0x3fb8aa3b, v43
	v_mul_f32_e32 v34, 0x3fb8aa3b, v34
	;; [unrolled: 1-line block ×4, first 2 shown]
	v_sub_f32_e32 v37, v51, v54
	v_exp_f32_e32 v43, v43
	v_exp_f32_e32 v51, v34
	v_cndmask_b32_e64 v34, 0, v42, s[18:19]
	v_cndmask_b32_e64 v42, 0, v50, s[22:23]
	v_exp_f32_e32 v46, v46
	v_exp_f32_e32 v50, v40
	v_mul_f32_e32 v36, 0x3fb8aa3b, v36
	v_sub_f32_e32 v47, v47, v54
	v_sub_f32_e32 v40, v41, v54
	;; [unrolled: 1-line block ×4, first 2 shown]
	v_exp_f32_e32 v36, v36
	v_mul_f32_e32 v37, 0x3fb8aa3b, v37
	v_mul_f32_e32 v47, 0x3fb8aa3b, v47
	;; [unrolled: 1-line block ×5, first 2 shown]
	v_exp_f32_e32 v37, v37
	v_cndmask_b32_e64 v35, 0, v43, s[20:21]
	v_cndmask_b32_e64 v43, 0, v51, s[36:37]
	v_exp_f32_e32 v47, v47
	v_exp_f32_e32 v51, v40
	v_cndmask_b32_e64 v40, 0, v46, s[10:11]
	v_cndmask_b32_e64 v46, 0, v50, s[14:15]
	v_exp_f32_e32 v48, v48
	v_exp_f32_e32 v50, v38
	v_sub_f32_e32 v38, v39, v54
	v_cndmask_b32_e64 v36, 0, v36, s[26:27]
	v_mul_f32_e32 v38, 0x3fb8aa3b, v38
	v_cndmask_b32_e64 v37, 0, v37, s[28:29]
	v_cndmask_b32_e64 v41, 0, v47, s[12:13]
	;; [unrolled: 1-line block ×3, first 2 shown]
	v_exp_f32_e32 v51, v38
	v_cndmask_b32_e32 v38, 0, v48, vcc
	v_cndmask_b32_e64 v48, 0, v50, s[6:7]
	v_add_f32_e32 v50, 0, v36
	v_add_f32_e32 v50, v50, v37
	;; [unrolled: 1-line block ×6, first 2 shown]
	v_sub_f32_e32 v49, v49, v54
	v_add_f32_e32 v50, v50, v42
	v_mul_f32_e32 v49, 0x3fb8aa3b, v49
	v_add_f32_e32 v50, v50, v43
	v_exp_f32_e32 v49, v49
	v_add_f32_e32 v50, v50, v40
	v_add_f32_e32 v50, v50, v41
	;; [unrolled: 1-line block ×4, first 2 shown]
	v_cndmask_b32_e64 v39, 0, v49, s[4:5]
	v_add_f32_e32 v50, v50, v38
	v_add_f32_e32 v50, v50, v39
	v_cndmask_b32_e64 v49, 0, v51, s[8:9]
	v_add_f32_e32 v50, v50, v48
	v_add_f32_e32 v50, v50, v49
	ds_bpermute_b32 v51, v55, v50
	v_cmp_gt_u32_e64 s[4:5], 16, v65
	s_waitcnt lgkmcnt(0)
	v_add_f32_e32 v50, v50, v51
	ds_bpermute_b32 v51, v56, v50
	s_and_saveexec_b64 s[6:7], s[4:5]
	s_cbranch_execz .LBB1280_13
; %bb.12:
	s_waitcnt lgkmcnt(0)
	v_add_f32_e32 v50, v50, v51
	v_lshlrev_b32_e32 v51, 2, v59
	ds_write2st64_b32 v51, v54, v50 offset1:1
.LBB1280_13:
	s_or_b64 exec, exec, s[6:7]
	s_waitcnt lgkmcnt(0)
	v_lshlrev_b32_e32 v51, 2, v60
	s_load_dword s8, s[0:1], 0x94
	s_waitcnt lgkmcnt(0)
	s_barrier
	ds_read2_b32 v[52:53], v51 offset1:16
	ds_read2_b32 v[54:55], v51 offset0:32 offset1:48
	ds_read2_b32 v[56:57], v51 offset0:64 offset1:80
	s_movk_i32 s10, 0x7fff
	s_mul_i32 s9, s25, 13
	s_waitcnt lgkmcnt(2)
	v_max3_f32 v50, v52, s40, v53
	s_waitcnt lgkmcnt(1)
	v_max3_f32 v50, v50, v54, v55
	v_sub_f32_e32 v52, v52, v50
	v_mul_f32_e32 v52, 0x3fb8aa3b, v52
	v_exp_f32_e32 v59, v52
	v_sub_f32_e32 v52, v53, v50
	v_mul_f32_e32 v52, 0x3fb8aa3b, v52
	v_exp_f32_e32 v62, v52
	;; [unrolled: 3-line block ×3, first 2 shown]
	ds_read2_b32 v[52:53], v51 offset0:96 offset1:112
	v_sub_f32_e32 v51, v55, v50
	v_mul_f32_e32 v51, 0x3fb8aa3b, v51
	v_exp_f32_e32 v55, v51
	s_waitcnt lgkmcnt(1)
	v_fma_f32 v51, v59, v56, 0
	v_fmac_f32_e32 v51, v62, v57
	s_waitcnt lgkmcnt(0)
	v_fmac_f32_e32 v51, v54, v52
	v_fmac_f32_e32 v51, v55, v53
	v_add_f32_e32 v52, 0x358637bd, v51
	v_div_scale_f32 v53, s[6:7], v52, v52, 1.0
	v_rcp_f32_e32 v56, v53
	s_barrier
	v_fma_f32 v57, -v53, v56, 1.0
	v_fmac_f32_e32 v56, v57, v56
	v_div_scale_f32 v57, vcc, 1.0, v52, 1.0
	v_mul_f32_e32 v63, v57, v56
	v_fma_f32 v65, -v53, v63, v57
	v_fmac_f32_e32 v63, v65, v56
	v_fma_f32 v53, -v53, v63, v57
	v_div_fmas_f32 v53, v53, v56, v63
	v_cmp_eq_u32_e32 vcc, 1, v61
	v_div_fixup_f32 v52, v53, v52, 1.0
	s_nop 0
	v_cndmask_b32_e32 v53, v59, v62, vcc
	v_cmp_eq_u32_e32 vcc, 2, v61
	s_nop 1
	v_cndmask_b32_e32 v53, v53, v54, vcc
	v_cmp_eq_u32_e32 vcc, 3, v61
	s_nop 1
	v_cndmask_b32_e32 v53, v53, v55, vcc
	v_mul_f32_e32 v52, v53, v52
	v_pk_mul_f32 v[36:37], v[52:53], v[36:37] op_sel_hi:[0,1]
	v_pk_mul_f32 v[44:45], v[52:53], v[44:45] op_sel_hi:[0,1]
	v_bfe_u32 v53, v37, 16, 1
	v_bfe_u32 v54, v36, 16, 1
	v_add3_u32 v36, v36, v54, s10
	v_add3_u32 v37, v37, v53, s10
	v_perm_b32 v56, v37, v36, s44
	v_bfe_u32 v36, v45, 16, 1
	v_bfe_u32 v37, v44, 16, 1
	v_add3_u32 v37, v44, v37, s10
	v_add3_u32 v36, v45, v36, s10
	v_perm_b32 v57, v36, v37, s44
	v_lshlrev_b32_e32 v37, 3, v64
	v_lshlrev_b32_e32 v36, 5, v60
	;; [unrolled: 1-line block ×3, first 2 shown]
	v_pk_mul_f32 v[34:35], v[52:53], v[34:35] op_sel_hi:[0,1]
	v_or3_b32 v54, v44, v36, v37
	v_bfe_u32 v37, v35, 16, 1
	v_bfe_u32 v44, v34, 16, 1
	v_pk_mul_f32 v[42:43], v[52:53], v[42:43] op_sel_hi:[0,1]
	v_add3_u32 v34, v34, v44, s10
	v_add3_u32 v35, v35, v37, s10
	v_perm_b32 v34, v35, v34, s44
	v_bfe_u32 v35, v43, 16, 1
	v_bfe_u32 v37, v42, 16, 1
	v_add3_u32 v37, v42, v37, s10
	v_add3_u32 v35, v43, v35, s10
	v_pk_mul_f32 v[40:41], v[52:53], v[40:41] op_sel_hi:[0,1]
	v_perm_b32 v35, v35, v37, s44
	v_bfe_u32 v37, v41, 16, 1
	v_bfe_u32 v42, v40, 16, 1
	ds_write2st64_b64 v54, v[56:57], v[34:35] offset1:1
	v_pk_mul_f32 v[34:35], v[52:53], v[46:47] op_sel_hi:[0,1]
	v_add3_u32 v40, v40, v42, s10
	v_add3_u32 v37, v41, v37, s10
	v_perm_b32 v40, v37, v40, s44
	v_bfe_u32 v37, v35, 16, 1
	v_bfe_u32 v41, v34, 16, 1
	v_pk_mul_f32 v[38:39], v[52:53], v[38:39] op_sel_hi:[0,1]
	v_add3_u32 v34, v34, v41, s10
	v_add3_u32 v35, v35, v37, s10
	v_bfe_u32 v37, v39, 16, 1
	v_bfe_u32 v42, v38, 16, 1
	v_perm_b32 v41, v35, v34, s44
	v_pk_mul_f32 v[34:35], v[52:53], v[48:49] op_sel_hi:[0,1]
	v_add3_u32 v38, v38, v42, s10
	v_add3_u32 v37, v39, v37, s10
	v_perm_b32 v38, v37, v38, s44
	v_bfe_u32 v37, v35, 16, 1
	v_bfe_u32 v39, v34, 16, 1
	v_add3_u32 v34, v34, v39, s10
	v_add3_u32 v35, v35, v37, s10
	v_perm_b32 v39, v35, v34, s44
	v_cmp_gt_u32_e32 vcc, 13, v0
	ds_write2st64_b64 v54, v[40:41], v[38:39] offset0:2 offset1:3
	s_and_saveexec_b64 s[6:7], vcc
	s_cbranch_execz .LBB1280_15
; %bb.14:
	s_mov_b32 s49, 0
	v_mov_b32_e32 v61, 0
	v_lshl_add_u64 v[34:35], s[48:49], 0, v[60:61]
	v_mov_b32_e32 v37, s9
	v_mad_u64_u32 v[34:35], s[16:17], s2, v37, v[34:35]
	s_mul_i32 s3, s3, s9
	v_mov_b32_e32 v38, s24
	v_mov_b32_e32 v39, v61
	s_load_dwordx4 s[12:15], s[0:1], 0x58
	v_add_u32_e32 v37, s3, v35
	v_mad_u64_u32 v[34:35], s[16:17], v34, s8, v[38:39]
	v_mov_b32_e32 v38, v35
	v_mad_u64_u32 v[38:39], s[16:17], v37, s8, v[38:39]
	v_mov_b32_e32 v35, v38
	v_lshlrev_b64 v[34:35], 2, v[34:35]
	s_waitcnt lgkmcnt(0)
	v_lshl_add_u64 v[38:39], s[14:15], 0, v[34:35]
	v_lshl_add_u64 v[34:35], s[12:13], 0, v[34:35]
	global_store_dword v[38:39], v50, off
	global_store_dword v[34:35], v51, off
.LBB1280_15:
	s_or_b64 exec, exec, s[6:7]
	v_lshl_or_b32 v50, v64, 9, v36
	s_waitcnt vmcnt(7)
	v_cvt_pk_f32_fp8_e32 v[34:35], v30
	v_cvt_pk_f32_fp8_sdwa v[36:37], v30 src0_sel:WORD_1
	s_mov_b32 s7, 0x7060302
	s_waitcnt lgkmcnt(0)
	s_barrier
	v_cvt_pk_f32_fp8_e32 v[38:39], v31
	v_perm_b32 v30, v35, v34, s7
	v_cvt_pk_f32_fp8_sdwa v[40:41], v31 src0_sel:WORD_1
	v_perm_b32 v31, v37, v36, s7
	ds_read_b128 v[34:37], v50
	v_perm_b32 v46, v39, v38, s7
	v_perm_b32 v47, v41, v40, s7
	ds_read_b128 v[38:41], v50 offset:16
	v_cvt_pk_f32_fp8_e32 v[48:49], v32
	v_cvt_pk_f32_fp8_sdwa v[52:53], v32 src0_sel:WORD_1
	s_waitcnt lgkmcnt(1)
	v_mfma_f32_16x16x16_bf16 v[42:45], v[30:31], v[34:35], 0
	s_waitcnt vmcnt(6)
	v_cvt_pk_f32_fp8_e32 v[56:57], v24
	v_perm_b32 v30, v49, v48, s7
	v_perm_b32 v31, v53, v52, s7
	v_cvt_pk_f32_fp8_e32 v[48:49], v33
	v_mfma_f32_16x16x16_bf16 v[42:45], v[46:47], v[36:37], v[42:45]
	v_cvt_pk_f32_fp8_sdwa v[46:47], v33 src0_sel:WORD_1
	v_cvt_pk_f32_fp8_sdwa v[62:63], v24 src0_sel:WORD_1
	v_perm_b32 v48, v49, v48, s7
	s_waitcnt lgkmcnt(0)
	v_mfma_f32_16x16x16_bf16 v[30:33], v[30:31], v[38:39], v[42:45]
	v_perm_b32 v49, v47, v46, s7
	s_waitcnt vmcnt(4)
	v_cvt_pk_f32_fp8_sdwa v[70:71], v4 src0_sel:WORD_1
	s_load_dword s6, s[42:43], 0x0
	v_cvt_pk_f32_fp8_e32 v[42:43], v22
	v_mfma_f32_16x16x16_bf16 v[46:49], v[48:49], v[40:41], v[30:33]
	s_waitcnt vmcnt(3)
	v_cvt_pk_f32_fp8_sdwa v[72:73], v28 src0_sel:WORD_1
	s_mov_b32 s3, 0
	v_cvt_pk_f32_fp8_sdwa v[30:31], v22 src0_sel:WORD_1
	v_cvt_pk_f32_fp8_e32 v[32:33], v23
	v_perm_b32 v22, v43, v42, s7
	v_cvt_pk_f32_fp8_sdwa v[42:43], v23 src0_sel:WORD_1
	v_perm_b32 v23, v31, v30, s7
	v_perm_b32 v52, v33, v32, s7
	ds_read_b128 v[30:33], v50 offset:2048
	v_perm_b32 v53, v43, v42, s7
	ds_read_b128 v[42:45], v50 offset:2064
	s_waitcnt lgkmcnt(0)
	v_mfma_f32_16x16x16_bf16 v[46:49], v[22:23], v[30:31], v[46:49]
	v_perm_b32 v22, v57, v56, s7
	v_perm_b32 v23, v63, v62, s7
	v_cvt_pk_f32_fp8_e32 v[56:57], v25
	v_mfma_f32_16x16x16_bf16 v[46:49], v[52:53], v[32:33], v[46:49]
	v_cvt_pk_f32_fp8_sdwa v[52:53], v25 src0_sel:WORD_1
	v_cvt_pk_f32_fp8_sdwa v[62:63], v16 src0_sel:WORD_1
	v_perm_b32 v56, v57, v56, s7
	v_mfma_f32_16x16x16_bf16 v[22:25], v[22:23], v[42:43], v[46:49]
	v_perm_b32 v57, v53, v52, s7
	v_cmp_gt_u32_e32 vcc, 64, v0
	s_nop 0
	v_cvt_pk_f32_fp8_e32 v[46:47], v14
	v_mfma_f32_16x16x16_bf16 v[66:69], v[56:57], v[44:45], v[22:25]
	v_cvt_pk_f32_fp8_e32 v[56:57], v16
	s_nop 1
	v_cvt_pk_f32_fp8_sdwa v[22:23], v14 src0_sel:WORD_1
	v_cvt_pk_f32_fp8_e32 v[24:25], v15
	v_perm_b32 v14, v47, v46, s7
	v_cvt_pk_f32_fp8_sdwa v[46:47], v15 src0_sel:WORD_1
	v_perm_b32 v15, v23, v22, s7
	v_perm_b32 v52, v25, v24, s7
	ds_read_b128 v[22:25], v50 offset:4096
	v_perm_b32 v53, v47, v46, s7
	ds_read_b128 v[46:49], v50 offset:4112
	s_waitcnt lgkmcnt(1)
	v_mfma_f32_16x16x16_bf16 v[66:69], v[14:15], v[22:23], v[66:69]
	v_perm_b32 v14, v57, v56, s7
	v_perm_b32 v15, v63, v62, s7
	v_cvt_pk_f32_fp8_e32 v[56:57], v17
	v_mfma_f32_16x16x16_bf16 v[66:69], v[52:53], v[24:25], v[66:69]
	v_cvt_pk_f32_fp8_sdwa v[52:53], v17 src0_sel:WORD_1
	v_cvt_pk_f32_fp8_e32 v[62:63], v4
	v_perm_b32 v56, v57, v56, s7
	s_waitcnt lgkmcnt(0)
	v_mfma_f32_16x16x16_bf16 v[14:17], v[14:15], v[46:47], v[66:69]
	v_perm_b32 v57, v53, v52, s7
	v_cvt_pk_f32_fp8_e32 v[52:53], v2
	s_nop 0
	v_mfma_f32_16x16x16_bf16 v[66:69], v[56:57], v[48:49], v[14:17]
	s_nop 2
	v_cvt_pk_f32_fp8_sdwa v[14:15], v2 src0_sel:WORD_1
	v_cvt_pk_f32_fp8_e32 v[16:17], v3
	v_perm_b32 v2, v53, v52, s7
	v_cvt_pk_f32_fp8_sdwa v[52:53], v3 src0_sel:WORD_1
	v_perm_b32 v3, v15, v14, s7
	v_perm_b32 v56, v17, v16, s7
	ds_read_b128 v[14:17], v50 offset:6144
	v_perm_b32 v57, v53, v52, s7
	s_waitcnt lgkmcnt(0)
	v_mfma_f32_16x16x16_bf16 v[66:69], v[2:3], v[14:15], v[66:69]
	ds_read_b128 v[50:53], v50 offset:6160
	v_perm_b32 v2, v63, v62, s7
	v_perm_b32 v3, v71, v70, s7
	v_cvt_pk_f32_fp8_e32 v[62:63], v5
	v_mfma_f32_16x16x16_bf16 v[66:69], v[56:57], v[16:17], v[66:69]
	v_cvt_pk_f32_fp8_sdwa v[56:57], v5 src0_sel:WORD_1
	v_cvt_pk_f32_fp8_e32 v[70:71], v28
	v_perm_b32 v62, v63, v62, s7
	s_waitcnt lgkmcnt(0)
	v_mfma_f32_16x16x16_bf16 v[2:5], v[2:3], v[50:51], v[66:69]
	v_perm_b32 v63, v57, v56, s7
	v_cvt_pk_f32_fp8_sdwa v[56:57], v26 src0_sel:WORD_1
	s_nop 0
	v_mfma_f32_16x16x16_bf16 v[66:69], v[62:63], v[52:53], v[2:5]
	s_barrier
	s_nop 1
	v_cvt_pk_f32_fp8_e32 v[4:5], v26
	s_nop 2
	v_pk_mul_f32 v[62:63], v[66:67], s[6:7] op_sel_hi:[1,0]
	v_cvt_pk_f32_fp8_e32 v[66:67], v27
	v_perm_b32 v4, v5, v4, s7
	v_perm_b32 v5, v57, v56, s7
	v_cvt_pk_f32_fp8_sdwa v[26:27], v27 src0_sel:WORD_1
	v_perm_b32 v56, v67, v66, s7
	v_pk_mul_f32 v[2:3], v[68:69], s[6:7] op_sel_hi:[1,0]
	v_mfma_f32_16x16x16_bf16 v[66:69], v[4:5], v[34:35], 0
	v_perm_b32 v57, v27, v26, s7
	v_perm_b32 v4, v71, v70, s7
	;; [unrolled: 1-line block ×3, first 2 shown]
	v_cvt_pk_f32_fp8_e32 v[34:35], v29
	v_cvt_pk_f32_fp8_sdwa v[70:71], v29 src0_sel:WORD_1
	v_mfma_f32_16x16x16_bf16 v[26:29], v[56:57], v[36:37], v[66:69]
	s_waitcnt vmcnt(2)
	v_cvt_pk_f32_fp8_sdwa v[36:37], v18 src0_sel:WORD_1
	v_perm_b32 v34, v35, v34, s7
	v_perm_b32 v35, v71, v70, s7
	v_mfma_f32_16x16x16_bf16 v[26:29], v[4:5], v[38:39], v[26:29]
	v_cvt_pk_f32_fp8_e32 v[4:5], v18
	v_cvt_pk_f32_fp8_sdwa v[38:39], v20 src0_sel:WORD_1
	v_bfe_u32 v55, v63, 16, 1
	v_mfma_f32_16x16x16_bf16 v[26:29], v[34:35], v[40:41], v[26:29]
	v_cvt_pk_f32_fp8_e32 v[34:35], v19
	v_perm_b32 v4, v5, v4, s7
	v_perm_b32 v5, v37, v36, s7
	v_cvt_pk_f32_fp8_sdwa v[18:19], v19 src0_sel:WORD_1
	v_perm_b32 v34, v35, v34, s7
	v_cvt_pk_f32_fp8_e32 v[36:37], v20
	v_mfma_f32_16x16x16_bf16 v[26:29], v[4:5], v[30:31], v[26:29]
	v_perm_b32 v35, v19, v18, s7
	v_perm_b32 v4, v37, v36, s7
	;; [unrolled: 1-line block ×3, first 2 shown]
	v_cvt_pk_f32_fp8_e32 v[30:31], v21
	v_cvt_pk_f32_fp8_sdwa v[36:37], v21 src0_sel:WORD_1
	v_mfma_f32_16x16x16_bf16 v[18:21], v[34:35], v[32:33], v[26:29]
	v_bfe_u32 v56, v62, 16, 1
	v_add3_u32 v32, v62, v56, s10
	v_add3_u32 v33, v63, v55, s10
	v_perm_b32 v26, v31, v30, s7
	v_perm_b32 v27, v37, v36, s7
	v_mfma_f32_16x16x16_bf16 v[18:21], v[4:5], v[42:43], v[18:21]
	s_waitcnt vmcnt(1)
	v_cvt_pk_f32_fp8_e32 v[4:5], v10
	v_cvt_pk_f32_fp8_sdwa v[28:29], v10 src0_sel:WORD_1
	v_cvt_pk_f32_fp8_sdwa v[30:31], v12 src0_sel:WORD_1
	v_mfma_f32_16x16x16_bf16 v[18:21], v[26:27], v[44:45], v[18:21]
	v_cvt_pk_f32_fp8_e32 v[26:27], v11
	v_perm_b32 v4, v5, v4, s7
	v_perm_b32 v5, v29, v28, s7
	v_cvt_pk_f32_fp8_sdwa v[10:11], v11 src0_sel:WORD_1
	v_perm_b32 v26, v27, v26, s7
	v_cvt_pk_f32_fp8_e32 v[28:29], v12
	v_mfma_f32_16x16x16_bf16 v[18:21], v[4:5], v[22:23], v[18:21]
	v_perm_b32 v27, v11, v10, s7
	v_perm_b32 v4, v29, v28, s7
	;; [unrolled: 1-line block ×3, first 2 shown]
	v_cvt_pk_f32_fp8_e32 v[22:23], v13
	v_cvt_pk_f32_fp8_sdwa v[28:29], v13 src0_sel:WORD_1
	v_mfma_f32_16x16x16_bf16 v[10:13], v[26:27], v[24:25], v[18:21]
	s_waitcnt vmcnt(0)
	v_cvt_pk_f32_fp8_sdwa v[24:25], v8 src0_sel:WORD_1
	s_nop 0
	v_perm_b32 v20, v23, v22, s7
	v_perm_b32 v21, v29, v28, s7
	v_mfma_f32_16x16x16_bf16 v[10:13], v[4:5], v[46:47], v[10:13]
	v_cvt_pk_f32_fp8_e32 v[4:5], v6
	v_cvt_pk_f32_fp8_sdwa v[22:23], v6 src0_sel:WORD_1
	v_bfe_u32 v19, v3, 16, 1
	v_mfma_f32_16x16x16_bf16 v[10:13], v[20:21], v[48:49], v[10:13]
	v_cvt_pk_f32_fp8_e32 v[20:21], v7
	v_perm_b32 v4, v5, v4, s7
	v_perm_b32 v5, v23, v22, s7
	v_cvt_pk_f32_fp8_sdwa v[6:7], v7 src0_sel:WORD_1
	v_perm_b32 v20, v21, v20, s7
	v_cvt_pk_f32_fp8_e32 v[22:23], v8
	v_add3_u32 v3, v3, v19, s10
	v_perm_b32 v21, v7, v6, s7
	v_mfma_f32_16x16x16_bf16 v[4:7], v[4:5], v[14:15], v[10:13]
	v_bfe_u32 v14, v2, 16, 1
	v_add3_u32 v2, v2, v14, s10
	v_perm_b32 v19, v3, v2, s7
	v_perm_b32 v10, v23, v22, s7
	;; [unrolled: 1-line block ×3, first 2 shown]
	v_cvt_pk_f32_fp8_e32 v[12:13], v9
	v_cvt_pk_f32_fp8_sdwa v[8:9], v9 src0_sel:WORD_1
	v_mfma_f32_16x16x16_bf16 v[4:7], v[20:21], v[16:17], v[4:7]
	v_perm_b32 v18, v33, v32, s7
	v_perm_b32 v12, v13, v12, s7
	;; [unrolled: 1-line block ×3, first 2 shown]
	v_mfma_f32_16x16x16_bf16 v[4:7], v[10:11], v[50:51], v[4:7]
	s_nop 0
	v_mfma_f32_16x16x16_bf16 v[2:5], v[12:13], v[52:53], v[4:7]
	s_nop 6
	v_pk_mul_f32 v[2:3], v[2:3], s[6:7] op_sel_hi:[1,0]
	v_pk_mul_f32 v[4:5], v[4:5], s[6:7] op_sel_hi:[1,0]
	v_bfe_u32 v6, v3, 16, 1
	v_bfe_u32 v7, v2, 16, 1
	v_add3_u32 v2, v2, v7, s10
	v_add3_u32 v3, v3, v6, s10
	v_perm_b32 v2, v3, v2, s7
	v_bfe_u32 v3, v5, 16, 1
	v_bfe_u32 v6, v4, 16, 1
	v_add3_u32 v4, v4, v6, s10
	v_add3_u32 v3, v5, v3, s10
	v_perm_b32 v3, v3, v4, s7
	ds_write2st64_b64 v54, v[18:19], v[2:3] offset1:1
	s_waitcnt lgkmcnt(0)
	s_barrier
	s_and_saveexec_b64 s[6:7], vcc
	s_cbranch_execz .LBB1280_18
; %bb.16:
	s_load_dwordx2 s[6:7], s[0:1], 0x68
	s_lshl_b32 s0, s8, 7
	s_mul_i32 s1, s9, s2
	v_lshlrev_b32_e32 v3, 6, v60
	s_mul_hi_u32 s9, s1, s0
	s_mul_i32 s8, s1, s0
	v_lshl_or_b32 v0, v0, 10, v3
	s_lshl_b64 s[8:9], s[8:9], 1
	v_lshlrev_b32_e32 v2, 5, v64
	v_and_b32_e32 v1, 16, v1
	v_and_b32_e32 v0, 0x1a00, v0
	s_waitcnt lgkmcnt(0)
	s_add_u32 s1, s6, s8
	v_or3_b32 v2, v0, v2, v1
	s_addc_u32 s6, s7, s9
	s_lshl_b32 s2, s24, 7
	ds_read_b128 v[4:7], v2 offset:256
	s_lshl_b64 s[2:3], s[2:3], 1
	ds_read_b128 v[8:11], v2 offset:128
	ds_read_b128 v[12:15], v2
	s_add_u32 s2, s1, s2
	s_addc_u32 s3, s6, s3
	v_mov_b32_e32 v59, 0
	v_add_u32_e32 v3, s48, v64
	v_lshl_add_u64 v[0:1], s[2:3], 0, v[58:59]
	v_mad_u64_u32 v[16:17], s[2:3], v3, s0, 0
	v_lshl_add_u64 v[16:17], v[16:17], 1, v[0:1]
	s_waitcnt lgkmcnt(0)
	global_store_dwordx4 v[16:17], v[12:15], off
	s_nop 1
	v_add_u32_e32 v12, 4, v3
	v_mad_u64_u32 v[12:13], s[2:3], v12, s0, 0
	v_lshl_add_u64 v[12:13], v[12:13], 1, v[0:1]
	v_add_u32_e32 v3, 8, v3
	global_store_dwordx4 v[12:13], v[8:11], off
	s_nop 1
	v_mad_u64_u32 v[8:9], s[2:3], v3, s0, 0
	v_lshl_add_u64 v[8:9], v[8:9], 1, v[0:1]
	global_store_dwordx4 v[8:9], v[4:7], off
	s_and_b64 exec, exec, s[4:5]
	s_cbranch_execz .LBB1280_18
; %bb.17:
	ds_read_b128 v[2:5], v2 offset:384
	v_add3_u32 v6, s48, v64, 12
	v_mad_u64_u32 v[6:7], s[0:1], v6, s0, 0
	v_lshl_add_u64 v[0:1], v[6:7], 1, v[0:1]
	s_waitcnt lgkmcnt(0)
	global_store_dwordx4 v[0:1], v[2:5], off
.LBB1280_18:
	s_endpgm
	.section	.rodata,"a",@progbits
	.p2align	6, 0x0
	.amdhsa_kernel _Z39paged_attention_ll4mi_QKV_mfma16_kernelI14__hip_bfloat16hLN4vllm18Fp8KVCacheDataTypeE1EhLi16ELi128ELi256ELb0ELi13EEvPKT_PKT0_S8_ifPKiSA_SA_iPKfiiiPfSD_PS3_PT2_iSC_SC_
		.amdhsa_group_segment_fixed_size 8192
		.amdhsa_private_segment_fixed_size 0
		.amdhsa_kernarg_size 400
		.amdhsa_user_sgpr_count 2
		.amdhsa_user_sgpr_dispatch_ptr 0
		.amdhsa_user_sgpr_queue_ptr 0
		.amdhsa_user_sgpr_kernarg_segment_ptr 1
		.amdhsa_user_sgpr_dispatch_id 0
		.amdhsa_user_sgpr_kernarg_preload_length 0
		.amdhsa_user_sgpr_kernarg_preload_offset 0
		.amdhsa_user_sgpr_private_segment_size 0
		.amdhsa_uses_dynamic_stack 0
		.amdhsa_enable_private_segment 0
		.amdhsa_system_sgpr_workgroup_id_x 1
		.amdhsa_system_sgpr_workgroup_id_y 1
		.amdhsa_system_sgpr_workgroup_id_z 1
		.amdhsa_system_sgpr_workgroup_info 0
		.amdhsa_system_vgpr_workitem_id 0
		.amdhsa_next_free_vgpr 86
		.amdhsa_next_free_sgpr 50
		.amdhsa_accum_offset 88
		.amdhsa_reserve_vcc 1
		.amdhsa_float_round_mode_32 0
		.amdhsa_float_round_mode_16_64 0
		.amdhsa_float_denorm_mode_32 3
		.amdhsa_float_denorm_mode_16_64 3
		.amdhsa_dx10_clamp 1
		.amdhsa_ieee_mode 1
		.amdhsa_fp16_overflow 0
		.amdhsa_tg_split 0
		.amdhsa_exception_fp_ieee_invalid_op 0
		.amdhsa_exception_fp_denorm_src 0
		.amdhsa_exception_fp_ieee_div_zero 0
		.amdhsa_exception_fp_ieee_overflow 0
		.amdhsa_exception_fp_ieee_underflow 0
		.amdhsa_exception_fp_ieee_inexact 0
		.amdhsa_exception_int_div_zero 0
	.end_amdhsa_kernel
	.section	.text._Z39paged_attention_ll4mi_QKV_mfma16_kernelI14__hip_bfloat16hLN4vllm18Fp8KVCacheDataTypeE1EhLi16ELi128ELi256ELb0ELi13EEvPKT_PKT0_S8_ifPKiSA_SA_iPKfiiiPfSD_PS3_PT2_iSC_SC_,"axG",@progbits,_Z39paged_attention_ll4mi_QKV_mfma16_kernelI14__hip_bfloat16hLN4vllm18Fp8KVCacheDataTypeE1EhLi16ELi128ELi256ELb0ELi13EEvPKT_PKT0_S8_ifPKiSA_SA_iPKfiiiPfSD_PS3_PT2_iSC_SC_,comdat
.Lfunc_end1280:
	.size	_Z39paged_attention_ll4mi_QKV_mfma16_kernelI14__hip_bfloat16hLN4vllm18Fp8KVCacheDataTypeE1EhLi16ELi128ELi256ELb0ELi13EEvPKT_PKT0_S8_ifPKiSA_SA_iPKfiiiPfSD_PS3_PT2_iSC_SC_, .Lfunc_end1280-_Z39paged_attention_ll4mi_QKV_mfma16_kernelI14__hip_bfloat16hLN4vllm18Fp8KVCacheDataTypeE1EhLi16ELi128ELi256ELb0ELi13EEvPKT_PKT0_S8_ifPKiSA_SA_iPKfiiiPfSD_PS3_PT2_iSC_SC_
                                        ; -- End function
	.section	.AMDGPU.csdata,"",@progbits
; Kernel info:
; codeLenInByte = 6384
; NumSgprs: 56
; NumVgprs: 86
; NumAgprs: 0
; TotalNumVgprs: 86
; ScratchSize: 0
; MemoryBound: 0
; FloatMode: 240
; IeeeMode: 1
; LDSByteSize: 8192 bytes/workgroup (compile time only)
; SGPRBlocks: 6
; VGPRBlocks: 10
; NumSGPRsForWavesPerEU: 56
; NumVGPRsForWavesPerEU: 86
; AccumOffset: 88
; Occupancy: 5
; WaveLimiterHint : 1
; COMPUTE_PGM_RSRC2:SCRATCH_EN: 0
; COMPUTE_PGM_RSRC2:USER_SGPR: 2
; COMPUTE_PGM_RSRC2:TRAP_HANDLER: 0
; COMPUTE_PGM_RSRC2:TGID_X_EN: 1
; COMPUTE_PGM_RSRC2:TGID_Y_EN: 1
; COMPUTE_PGM_RSRC2:TGID_Z_EN: 1
; COMPUTE_PGM_RSRC2:TIDIG_COMP_CNT: 0
; COMPUTE_PGM_RSRC3_GFX90A:ACCUM_OFFSET: 21
; COMPUTE_PGM_RSRC3_GFX90A:TG_SPLIT: 0
	.section	.text._Z39paged_attention_ll4mi_QKV_mfma16_kernelI14__hip_bfloat16hLN4vllm18Fp8KVCacheDataTypeE1EhLi16ELi128ELi256ELb0ELi14EEvPKT_PKT0_S8_ifPKiSA_SA_iPKfiiiPfSD_PS3_PT2_iSC_SC_,"axG",@progbits,_Z39paged_attention_ll4mi_QKV_mfma16_kernelI14__hip_bfloat16hLN4vllm18Fp8KVCacheDataTypeE1EhLi16ELi128ELi256ELb0ELi14EEvPKT_PKT0_S8_ifPKiSA_SA_iPKfiiiPfSD_PS3_PT2_iSC_SC_,comdat
	.protected	_Z39paged_attention_ll4mi_QKV_mfma16_kernelI14__hip_bfloat16hLN4vllm18Fp8KVCacheDataTypeE1EhLi16ELi128ELi256ELb0ELi14EEvPKT_PKT0_S8_ifPKiSA_SA_iPKfiiiPfSD_PS3_PT2_iSC_SC_ ; -- Begin function _Z39paged_attention_ll4mi_QKV_mfma16_kernelI14__hip_bfloat16hLN4vllm18Fp8KVCacheDataTypeE1EhLi16ELi128ELi256ELb0ELi14EEvPKT_PKT0_S8_ifPKiSA_SA_iPKfiiiPfSD_PS3_PT2_iSC_SC_
	.globl	_Z39paged_attention_ll4mi_QKV_mfma16_kernelI14__hip_bfloat16hLN4vllm18Fp8KVCacheDataTypeE1EhLi16ELi128ELi256ELb0ELi14EEvPKT_PKT0_S8_ifPKiSA_SA_iPKfiiiPfSD_PS3_PT2_iSC_SC_
	.p2align	8
	.type	_Z39paged_attention_ll4mi_QKV_mfma16_kernelI14__hip_bfloat16hLN4vllm18Fp8KVCacheDataTypeE1EhLi16ELi128ELi256ELb0ELi14EEvPKT_PKT0_S8_ifPKiSA_SA_iPKfiiiPfSD_PS3_PT2_iSC_SC_,@function
_Z39paged_attention_ll4mi_QKV_mfma16_kernelI14__hip_bfloat16hLN4vllm18Fp8KVCacheDataTypeE1EhLi16ELi128ELi256ELb0ELi14EEvPKT_PKT0_S8_ifPKiSA_SA_iPKfiiiPfSD_PS3_PT2_iSC_SC_: ; @_Z39paged_attention_ll4mi_QKV_mfma16_kernelI14__hip_bfloat16hLN4vllm18Fp8KVCacheDataTypeE1EhLi16ELi128ELi256ELb0ELi14EEvPKT_PKT0_S8_ifPKiSA_SA_iPKfiiiPfSD_PS3_PT2_iSC_SC_
; %bb.0:
	s_load_dwordx2 s[12:13], s[0:1], 0x30
	s_mov_b32 s24, s3
	s_mov_b64 s[6:7], 0
	s_waitcnt lgkmcnt(0)
	s_cmp_lg_u64 s[12:13], 0
	s_cselect_b64 s[14:15], -1, 0
	s_and_b64 vcc, exec, s[14:15]
	s_cbranch_vccz .LBB1281_7
; %bb.1:
	s_add_i32 s8, s2, 1
	s_mov_b32 s9, 0
	s_lshl_b64 s[10:11], s[8:9], 2
	s_add_u32 s10, s12, s10
	s_mov_b32 s3, s9
	s_addc_u32 s11, s13, s11
	s_lshl_b64 s[8:9], s[2:3], 2
	s_add_u32 s8, s12, s8
	s_addc_u32 s9, s13, s9
	s_load_dword s5, s[10:11], 0x0
	s_load_dword s16, s[8:9], 0x0
	s_waitcnt lgkmcnt(0)
	s_sub_i32 s5, s5, s16
	s_cmp_eq_u32 s5, 1
	s_cselect_b64 s[8:9], -1, 0
	s_andn2_b64 vcc, exec, s[6:7]
	s_cbranch_vccnz .LBB1281_3
.LBB1281_2:
	s_mov_b32 s3, 0
	s_mov_b64 s[8:9], -1
.LBB1281_3:
	s_andn2_b64 vcc, exec, s[8:9]
	s_cbranch_vccnz .LBB1281_18
; %bb.4:
	s_load_dwordx2 s[6:7], s[0:1], 0x28
	s_lshl_b64 s[16:17], s[2:3], 2
	s_waitcnt lgkmcnt(0)
	s_add_u32 s6, s6, s16
	s_addc_u32 s7, s7, s17
	s_load_dword s33, s[6:7], 0x0
	s_lshl_b32 s18, s24, 8
	s_waitcnt lgkmcnt(0)
	s_cmp_ge_i32 s18, s33
	s_cbranch_scc1 .LBB1281_18
; %bb.5:
	s_load_dwordx2 s[6:7], s[0:1], 0x20
	s_load_dword s8, s[0:1], 0x38
	s_add_i32 s5, s33, 15
	s_ashr_i32 s9, s5, 31
	v_and_b32_e32 v1, 0xcf, v0
	s_lshr_b32 s9, s9, 28
	v_add_u32_e32 v1, s18, v1
	s_add_i32 s5, s5, s9
	v_ashrrev_i32_e32 v2, 31, v1
	s_ashr_i32 s5, s5, 4
	v_lshrrev_b32_e32 v10, 28, v2
	s_add_i32 s5, s5, -1
	s_waitcnt lgkmcnt(0)
	s_mul_i32 s8, s2, s8
	s_mov_b32 s9, 0
	v_add_u32_e32 v2, v1, v10
	s_lshl_b64 s[8:9], s[8:9], 2
	v_ashrrev_i32_e32 v2, 4, v2
	v_mov_b32_e32 v11, s5
	v_cmp_gt_i32_e32 vcc, s33, v1
	s_add_u32 s6, s6, s8
	s_addc_u32 s7, s7, s9
	v_cndmask_b32_e32 v2, v11, v2, vcc
	v_ashrrev_i32_e32 v3, 31, v2
	v_lshl_add_u64 v[4:5], v[2:3], 2, s[6:7]
	v_or_b32_e32 v2, 16, v1
	v_add_u32_e32 v3, v2, v10
	v_ashrrev_i32_e32 v3, 4, v3
	v_cmp_gt_i32_e32 vcc, s33, v2
	s_load_dwordx4 s[8:11], s[0:1], 0x8
	s_nop 0
	v_cndmask_b32_e32 v2, v11, v3, vcc
	v_ashrrev_i32_e32 v3, 31, v2
	v_lshl_add_u64 v[6:7], v[2:3], 2, s[6:7]
	v_or_b32_e32 v2, 32, v1
	v_add_u32_e32 v3, v2, v10
	v_ashrrev_i32_e32 v3, 4, v3
	v_cmp_gt_i32_e32 vcc, s33, v2
	v_or_b32_e32 v1, 48, v1
	s_nop 0
	v_cndmask_b32_e32 v2, v11, v3, vcc
	v_ashrrev_i32_e32 v3, 31, v2
	v_lshl_add_u64 v[8:9], v[2:3], 2, s[6:7]
	v_add_u32_e32 v2, v1, v10
	v_ashrrev_i32_e32 v2, 4, v2
	v_cmp_gt_i32_e32 vcc, s33, v1
	s_nop 1
	v_cndmask_b32_e32 v2, v11, v2, vcc
	v_ashrrev_i32_e32 v3, 31, v2
	v_lshl_add_u64 v[10:11], v[2:3], 2, s[6:7]
	global_load_dword v3, v[4:5], off
	global_load_dword v2, v[6:7], off
	;; [unrolled: 1-line block ×4, first 2 shown]
	s_andn2_b64 vcc, exec, s[14:15]
	s_cbranch_vccnz .LBB1281_8
; %bb.6:
	s_add_u32 s12, s12, s16
	s_addc_u32 s13, s13, s17
	s_load_dword s14, s[12:13], 0x0
	s_branch .LBB1281_9
.LBB1281_7:
	s_mov_b64 s[8:9], 0
	s_branch .LBB1281_2
.LBB1281_8:
	s_mov_b32 s14, s2
.LBB1281_9:
	s_load_dwordx4 s[44:47], s[0:1], 0x48
	v_lshrrev_b32_e32 v61, 6, v0
	v_bfe_u32 v64, v0, 4, 2
	v_and_b32_e32 v60, 15, v0
	v_lshl_or_b32 v4, v61, 2, v64
	v_lshlrev_b32_e32 v1, 3, v60
	v_and_b32_e32 v65, 63, v0
	s_mul_i32 s48, s4, 14
	v_cmp_gt_u32_e32 vcc, 14, v4
	v_lshlrev_b32_e32 v58, 1, v1
	v_lshlrev_b32_e32 v1, 4, v0
	s_and_saveexec_b64 s[12:13], vcc
	s_cbranch_execz .LBB1281_11
; %bb.10:
	s_load_dwordx2 s[16:17], s[0:1], 0x0
	s_waitcnt lgkmcnt(0)
	s_ashr_i32 s15, s44, 31
	s_mul_hi_u32 s19, s14, s44
	s_mul_i32 s15, s14, s15
	s_add_i32 s15, s19, s15
	s_mul_i32 s14, s14, s44
	s_lshl_b64 s[14:15], s[14:15], 1
	s_add_u32 s14, s16, s14
	v_add_lshl_u32 v6, v4, s48, 7
	s_addc_u32 s15, s17, s15
	v_ashrrev_i32_e32 v7, 31, v6
	v_lshl_add_u64 v[6:7], v[6:7], 1, s[14:15]
	v_mov_b32_e32 v59, 0
	v_lshl_add_u64 v[6:7], v[6:7], 0, v[58:59]
	global_load_dwordx4 v[6:9], v[6:7], off
	v_lshlrev_b32_e32 v10, 8, v0
	v_lshlrev_b32_e32 v5, 8, v60
	v_and_b32_e32 v10, 0x600, v10
	s_movk_i32 s14, 0x800
	v_and_or_b32 v5, v5, s14, v10
	v_lshlrev_b32_e32 v4, 5, v4
	v_and_b32_e32 v10, 16, v1
	v_or3_b32 v4, v5, v4, v10
	s_waitcnt vmcnt(0)
	ds_write_b128 v4, v[6:9]
.LBB1281_11:
	s_or_b64 exec, exec, s[12:13]
	s_waitcnt lgkmcnt(0)
	s_mul_i32 s4, s4, s46
	s_add_u32 s8, s8, s4
	s_addc_u32 s9, s9, 0
	v_and_b32_e32 v62, 0xf0, v1
	v_mov_b32_e32 v63, 0
	v_and_b32_e32 v6, 48, v0
	v_lshl_add_u64 v[30:31], s[8:9], 0, v[62:63]
	v_lshlrev_b32_e32 v62, 4, v6
	s_waitcnt vmcnt(3)
	v_mad_i64_i32 v[4:5], s[8:9], v3, s45, v[30:31]
	v_lshl_add_u64 v[4:5], v[4:5], 0, v[62:63]
	s_load_dword s25, s[0:1], 0x98
	s_load_dwordx4 s[40:43], s[0:1], 0x80
	s_waitcnt lgkmcnt(0)
	s_barrier
	global_load_dwordx4 v[22:25], v[4:5], off
	global_load_dwordx4 v[14:17], v[4:5], off offset:1024
	s_waitcnt vmcnt(4)
	v_mad_i64_i32 v[2:3], s[8:9], v2, s45, v[30:31]
	v_lshl_add_u64 v[32:33], v[2:3], 0, v[62:63]
	global_load_dwordx4 v[2:5], v[32:33], off
	v_add_u32_e32 v7, -14, v60
	v_cmp_gt_u32_e32 vcc, 14, v60
	v_or_b32_e32 v6, s18, v6
	v_mov_b32_e32 v41, s5
	v_cndmask_b32_e32 v7, v7, v60, vcc
	v_lshlrev_b32_e32 v7, 5, v7
	v_ashrrev_i32_e32 v8, 4, v6
	v_lshl_add_u32 v7, v64, 9, v7
	v_cmp_gt_i32_e32 vcc, s33, v6
	v_or_b32_e32 v40, 64, v6
	v_or_b32_e32 v42, 0x80, v6
	v_or_b32_e32 v43, 0xc0, v6
	v_cndmask_b32_e32 v38, v41, v8, vcc
	ds_read_b128 v[26:29], v7
	ds_read_b128 v[18:21], v7 offset:16
	ds_read_b128 v[10:13], v7 offset:2048
	ds_read_b128 v[6:9], v7 offset:2064
	s_waitcnt vmcnt(4)
	v_mad_i64_i32 v[36:37], s[12:13], v34, s45, v[30:31]
	s_waitcnt vmcnt(3)
	v_mad_i64_i32 v[34:35], s[12:13], v35, s45, v[30:31]
	global_load_dwordx4 v[30:33], v[32:33], off offset:1024
	v_ashrrev_i32_e32 v44, 4, v40
	v_cmp_gt_i32_e32 vcc, s33, v40
	v_ashrrev_i32_e32 v45, 4, v42
	v_ashrrev_i32_e32 v46, 4, v43
	v_cndmask_b32_e32 v40, v41, v44, vcc
	v_cmp_gt_i32_e32 vcc, s33, v42
	v_ashrrev_i32_e32 v39, 31, v38
	v_lshl_add_u64 v[36:37], v[36:37], 0, v[62:63]
	v_cndmask_b32_e32 v42, v41, v45, vcc
	v_cmp_gt_i32_e32 vcc, s33, v43
	v_lshl_add_u64 v[34:35], v[34:35], 0, v[62:63]
	v_ashrrev_i32_e32 v43, 31, v42
	v_cndmask_b32_e32 v44, v41, v46, vcc
	v_ashrrev_i32_e32 v41, 31, v40
	v_ashrrev_i32_e32 v45, 31, v44
	v_lshl_add_u64 v[50:51], v[38:39], 2, s[6:7]
	v_lshl_add_u64 v[52:53], v[40:41], 2, s[6:7]
	v_lshl_add_u64 v[54:55], v[42:43], 2, s[6:7]
	v_lshl_add_u64 v[56:57], v[44:45], 2, s[6:7]
	global_load_dwordx4 v[46:49], v[36:37], off
	global_load_dwordx4 v[42:45], v[36:37], off offset:1024
	global_load_dwordx4 v[38:41], v[34:35], off
	s_nop 0
	global_load_dwordx4 v[34:37], v[34:35], off offset:1024
	s_nop 0
	global_load_dword v69, v[50:51], off
	global_load_dword v68, v[52:53], off
	;; [unrolled: 1-line block ×4, first 2 shown]
	s_mov_b32 s44, 0x7060302
	s_add_u32 s4, s10, s4
	v_lshl_or_b32 v59, v61, 4, v60
	s_addc_u32 s5, s11, 0
	v_lshlrev_b32_e32 v62, 4, v59
	s_load_dword s8, s[0:1], 0x1c
	s_waitcnt vmcnt(11)
	v_cvt_pk_f32_fp8_e32 v[50:51], v22
	v_cvt_pk_f32_fp8_sdwa v[52:53], v22 src0_sel:WORD_1
	v_cvt_pk_f32_fp8_e32 v[54:55], v23
	v_cvt_pk_f32_fp8_sdwa v[22:23], v23 src0_sel:WORD_1
	s_waitcnt vmcnt(10)
	v_cvt_pk_f32_fp8_e32 v[76:77], v14
	v_cvt_pk_f32_fp8_sdwa v[78:79], v14 src0_sel:WORD_1
	v_cvt_pk_f32_fp8_e32 v[80:81], v15
	v_cvt_pk_f32_fp8_sdwa v[82:83], v15 src0_sel:WORD_1
	v_perm_b32 v14, v51, v50, s44
	v_perm_b32 v15, v53, v52, s44
	v_cvt_pk_f32_fp8_e32 v[56:57], v24
	v_cvt_pk_f32_fp8_sdwa v[70:71], v24 src0_sel:WORD_1
	v_perm_b32 v54, v55, v54, s44
	v_perm_b32 v55, v23, v22, s44
	v_cvt_pk_f32_fp8_e32 v[72:73], v25
	v_cvt_pk_f32_fp8_sdwa v[74:75], v25 src0_sel:WORD_1
	s_waitcnt lgkmcnt(0)
	v_mfma_f32_16x16x16_bf16 v[22:25], v[14:15], v[26:27], 0
	v_perm_b32 v14, v57, v56, s44
	v_perm_b32 v15, v71, v70, s44
	v_perm_b32 v56, v73, v72, s44
	v_mfma_f32_16x16x16_bf16 v[22:25], v[54:55], v[28:29], v[22:25]
	v_perm_b32 v57, v75, v74, s44
	v_cvt_pk_f32_fp8_e32 v[50:51], v16
	v_cvt_pk_f32_fp8_sdwa v[52:53], v16 src0_sel:WORD_1
	v_cvt_pk_f32_fp8_e32 v[84:85], v17
	v_cvt_pk_f32_fp8_sdwa v[54:55], v17 src0_sel:WORD_1
	v_mfma_f32_16x16x16_bf16 v[14:17], v[14:15], v[18:19], v[22:25]
	v_perm_b32 v70, v81, v80, s44
	v_perm_b32 v71, v83, v82, s44
	;; [unrolled: 1-line block ×5, first 2 shown]
	v_mfma_f32_16x16x16_bf16 v[14:17], v[56:57], v[20:21], v[14:17]
	s_waitcnt vmcnt(9)
	v_cvt_pk_f32_fp8_e32 v[22:23], v2
	v_cvt_pk_f32_fp8_sdwa v[56:57], v2 src0_sel:WORD_1
	v_perm_b32 v51, v53, v52, s44
	v_mfma_f32_16x16x16_bf16 v[14:17], v[24:25], v[10:11], v[14:17]
	v_cvt_pk_f32_fp8_e32 v[24:25], v3
	v_cvt_pk_f32_fp8_sdwa v[2:3], v3 src0_sel:WORD_1
	v_perm_b32 v52, v85, v84, s44
	v_mfma_f32_16x16x16_bf16 v[14:17], v[70:71], v[12:13], v[14:17]
	v_perm_b32 v53, v55, v54, s44
	v_perm_b32 v22, v23, v22, s44
	;; [unrolled: 1-line block ×3, first 2 shown]
	v_mfma_f32_16x16x16_bf16 v[14:17], v[50:51], v[6:7], v[14:17]
	v_cvt_pk_f32_fp8_e32 v[54:55], v4
	v_cvt_pk_f32_fp8_sdwa v[56:57], v4 src0_sel:WORD_1
	v_perm_b32 v24, v25, v24, s44
	v_perm_b32 v25, v3, v2, s44
	v_mfma_f32_16x16x16_bf16 v[50:53], v[52:53], v[8:9], v[14:17]
	s_waitcnt vmcnt(7)
	v_cvt_pk_f32_fp8_e32 v[72:73], v49
	v_lshl_add_u64 v[70:71], s[4:5], 0, v[62:63]
	s_waitcnt vmcnt(6)
	v_cvt_pk_f32_fp8_sdwa v[76:77], v44 src0_sel:WORD_1
	v_mfma_f32_16x16x16_bf16 v[14:17], v[22:23], v[26:27], 0
	v_perm_b32 v22, v55, v54, s44
	v_perm_b32 v23, v57, v56, s44
	v_cvt_pk_f32_fp8_e32 v[54:55], v5
	v_cvt_pk_f32_fp8_sdwa v[56:57], v5 src0_sel:WORD_1
	v_mfma_f32_16x16x16_bf16 v[2:5], v[24:25], v[28:29], v[14:17]
	v_cvt_pk_f32_fp8_e32 v[24:25], v32
	v_or_b32_e32 v62, 0x400, v62
	s_nop 0
	v_perm_b32 v14, v55, v54, s44
	v_perm_b32 v15, v57, v56, s44
	v_mfma_f32_16x16x16_bf16 v[2:5], v[22:23], v[18:19], v[2:5]
	v_cvt_pk_f32_fp8_e32 v[16:17], v30
	v_cvt_pk_f32_fp8_sdwa v[22:23], v30 src0_sel:WORD_1
	v_perm_b32 v16, v17, v16, s44
	v_mfma_f32_16x16x16_bf16 v[2:5], v[14:15], v[20:21], v[2:5]
	v_cvt_pk_f32_fp8_e32 v[14:15], v31
	v_perm_b32 v17, v23, v22, s44
	v_cvt_pk_f32_fp8_sdwa v[22:23], v31 src0_sel:WORD_1
	v_cvt_pk_f32_fp8_sdwa v[30:31], v32 src0_sel:WORD_1
	v_perm_b32 v14, v15, v14, s44
	v_mfma_f32_16x16x16_bf16 v[2:5], v[16:17], v[10:11], v[2:5]
	v_perm_b32 v15, v23, v22, s44
	v_perm_b32 v16, v25, v24, s44
	;; [unrolled: 1-line block ×3, first 2 shown]
	v_cvt_pk_f32_fp8_e32 v[22:23], v33
	v_cvt_pk_f32_fp8_sdwa v[24:25], v33 src0_sel:WORD_1
	v_mfma_f32_16x16x16_bf16 v[2:5], v[14:15], v[12:13], v[2:5]
	v_perm_b32 v14, v23, v22, s44
	v_perm_b32 v15, v25, v24, s44
	v_mfma_f32_16x16x16_bf16 v[2:5], v[16:17], v[6:7], v[2:5]
	v_cvt_pk_f32_fp8_e32 v[16:17], v46
	v_cvt_pk_f32_fp8_sdwa v[22:23], v46 src0_sel:WORD_1
	v_cvt_pk_f32_fp8_sdwa v[24:25], v48 src0_sel:WORD_1
	v_mfma_f32_16x16x16_bf16 v[54:57], v[14:15], v[8:9], v[2:5]
	v_cvt_pk_f32_fp8_sdwa v[14:15], v47 src0_sel:WORD_1
	s_nop 1
	v_perm_b32 v2, v17, v16, s44
	v_perm_b32 v3, v23, v22, s44
	v_cvt_pk_f32_fp8_e32 v[4:5], v47
	v_perm_b32 v23, v15, v14, s44
	v_cvt_pk_f32_fp8_e32 v[14:15], v48
	v_cvt_pk_f32_fp8_sdwa v[48:49], v49 src0_sel:WORD_1
	v_perm_b32 v22, v5, v4, s44
	v_mfma_f32_16x16x16_bf16 v[2:5], v[2:3], v[26:27], 0
	v_perm_b32 v14, v15, v14, s44
	v_perm_b32 v15, v25, v24, s44
	s_waitcnt vmcnt(3)
	v_mad_i64_i32 v[16:17], s[6:7], v69, s45, v[70:71]
	v_mfma_f32_16x16x16_bf16 v[2:5], v[22:23], v[28:29], v[2:5]
	s_waitcnt vmcnt(2)
	v_mad_i64_i32 v[46:47], s[6:7], v68, s45, v[70:71]
	global_load_dwordx4 v[30:33], v[16:17], off
	global_load_dwordx4 v[22:25], v[46:47], off
	v_perm_b32 v16, v73, v72, s44
	v_perm_b32 v17, v49, v48, s44
	v_mfma_f32_16x16x16_bf16 v[2:5], v[14:15], v[18:19], v[2:5]
	v_cvt_pk_f32_fp8_e32 v[14:15], v42
	v_cvt_pk_f32_fp8_sdwa v[46:47], v42 src0_sel:WORD_1
	s_waitcnt vmcnt(3)
	v_mad_i64_i32 v[72:73], s[6:7], v67, s45, v[70:71]
	v_mfma_f32_16x16x16_bf16 v[2:5], v[16:17], v[20:21], v[2:5]
	v_perm_b32 v14, v15, v14, s44
	v_perm_b32 v15, v47, v46, s44
	v_cvt_pk_f32_fp8_e32 v[16:17], v43
	v_cvt_pk_f32_fp8_sdwa v[42:43], v43 src0_sel:WORD_1
	v_mfma_f32_16x16x16_bf16 v[46:49], v[14:15], v[10:11], v[2:5]
	v_perm_b32 v74, v17, v16, s44
	v_perm_b32 v75, v43, v42, s44
	v_cvt_pk_f32_fp8_e32 v[42:43], v44
	s_waitcnt vmcnt(2)
	v_mad_i64_i32 v[70:71], s[6:7], v66, s45, v[70:71]
	global_load_dwordx4 v[14:17], v[72:73], off
	global_load_dwordx4 v[2:5], v[70:71], off
	v_perm_b32 v70, v43, v42, s44
	v_perm_b32 v71, v77, v76, s44
	v_cvt_pk_f32_fp8_e32 v[72:73], v45
	v_cvt_pk_f32_fp8_sdwa v[76:77], v45 src0_sel:WORD_1
	v_mfma_f32_16x16x16_bf16 v[44:47], v[74:75], v[12:13], v[46:49]
	v_lshl_add_u64 v[42:43], s[4:5], 0, v[62:63]
	v_cvt_pk_f32_fp8_e32 v[62:63], v38
	s_load_dword s4, s[40:41], 0x0
	v_perm_b32 v48, v73, v72, s44
	v_perm_b32 v49, v77, v76, s44
	v_mfma_f32_16x16x16_bf16 v[44:47], v[70:71], v[6:7], v[44:47]
	v_cvt_pk_f32_fp8_sdwa v[70:71], v38 src0_sel:WORD_1
	v_perm_b32 v62, v63, v62, s44
	v_cvt_pk_f32_fp8_e32 v[74:75], v40
	v_mfma_f32_16x16x16_bf16 v[46:49], v[48:49], v[8:9], v[44:47]
	v_perm_b32 v63, v71, v70, s44
	v_cvt_pk_f32_fp8_sdwa v[76:77], v40 src0_sel:WORD_1
	s_mov_b32 s40, 0xff7fffff
	v_cvt_pk_f32_fp8_e32 v[44:45], v39
	v_cvt_pk_f32_fp8_sdwa v[38:39], v39 src0_sel:WORD_1
	v_mfma_f32_16x16x16_bf16 v[70:73], v[62:63], v[26:27], 0
	v_cvt_pk_f32_fp8_e32 v[62:63], v41
	v_perm_b32 v44, v45, v44, s44
	v_perm_b32 v45, v39, v38, s44
	;; [unrolled: 1-line block ×4, first 2 shown]
	v_cvt_pk_f32_fp8_sdwa v[40:41], v41 src0_sel:WORD_1
	v_mov_b32_e32 v26, s8
	s_waitcnt lgkmcnt(0)
	v_mul_f32_e32 v74, s4, v26
	v_mfma_f32_16x16x16_bf16 v[26:29], v[44:45], v[28:29], v[70:73]
	v_pk_mul_f32 v[44:45], v[74:75], v[52:53] op_sel_hi:[0,1]
	v_perm_b32 v52, v63, v62, s44
	v_perm_b32 v53, v41, v40, s44
	v_mfma_f32_16x16x16_bf16 v[26:29], v[38:39], v[18:19], v[26:29]
	v_cvt_pk_f32_fp8_e32 v[18:19], v34
	v_cvt_pk_f32_fp8_sdwa v[38:39], v34 src0_sel:WORD_1
	v_pk_mul_f32 v[50:51], v[74:75], v[50:51] op_sel_hi:[0,1]
	v_mfma_f32_16x16x16_bf16 v[26:29], v[52:53], v[20:21], v[26:29]
	v_perm_b32 v20, v19, v18, s44
	v_perm_b32 v21, v39, v38, s44
	v_cvt_pk_f32_fp8_e32 v[38:39], v35
	v_cvt_pk_f32_fp8_sdwa v[34:35], v35 src0_sel:WORD_1
	v_mfma_f32_16x16x16_bf16 v[26:29], v[20:21], v[10:11], v[26:29]
	v_perm_b32 v38, v39, v38, s44
	v_perm_b32 v39, v35, v34, s44
	v_cvt_pk_f32_fp8_e32 v[10:11], v36
	v_cvt_pk_f32_fp8_sdwa v[20:21], v36 src0_sel:WORD_1
	v_pk_mul_f32 v[52:53], v[74:75], v[54:55] op_sel_hi:[0,1]
	v_pk_mul_f32 v[34:35], v[74:75], v[56:57] op_sel_hi:[0,1]
	v_perm_b32 v40, v11, v10, s44
	v_perm_b32 v41, v21, v20, s44
	v_cvt_pk_f32_fp8_e32 v[20:21], v37
	v_cvt_pk_f32_fp8_sdwa v[36:37], v37 src0_sel:WORD_1
	v_mfma_f32_16x16x16_bf16 v[10:13], v[38:39], v[12:13], v[26:29]
	v_pk_mul_f32 v[46:47], v[74:75], v[46:47] op_sel_hi:[0,1]
	v_perm_b32 v20, v21, v20, s44
	v_perm_b32 v21, v37, v36, s44
	v_mfma_f32_16x16x16_bf16 v[10:13], v[40:41], v[6:7], v[10:13]
	v_pk_mul_f32 v[40:41], v[74:75], v[48:49] op_sel_hi:[0,1]
	v_mad_i64_i32 v[18:19], s[4:5], v69, s45, v[42:43]
	v_mfma_f32_16x16x16_bf16 v[6:9], v[20:21], v[8:9], v[10:13]
	v_mad_i64_i32 v[62:63], s[4:5], v68, s45, v[42:43]
	global_load_dwordx4 v[26:29], v[18:19], off
	s_nop 0
	global_load_dwordx4 v[18:21], v[62:63], off
	s_nop 2
	v_pk_mul_f32 v[48:49], v[74:75], v[6:7] op_sel_hi:[0,1]
	v_and_b32_e32 v6, 0xc0, v0
	v_add_u32_e32 v6, s18, v6
	v_lshl_or_b32 v6, v64, 2, v6
	v_pk_mul_f32 v[38:39], v[74:75], v[8:9] op_sel_hi:[0,1]
	v_or_b32_e32 v9, 1, v6
	v_mov_b32_e32 v7, 0xff7fffff
	v_cmp_gt_i32_e64 s[26:27], s33, v6
	v_cmp_gt_i32_e64 s[28:29], s33, v9
	v_or_b32_e32 v10, 3, v6
	v_cndmask_b32_e64 v8, v7, v50, s[26:27]
	v_cndmask_b32_e64 v9, v7, v51, s[28:29]
	v_max3_f32 v8, v8, s40, v9
	v_or_b32_e32 v9, 2, v6
	v_cmp_gt_i32_e64 s[30:31], s33, v9
	v_cmp_gt_i32_e64 s[34:35], s33, v10
	s_nop 0
	v_cndmask_b32_e64 v9, v7, v44, s[30:31]
	v_cndmask_b32_e64 v10, v7, v45, s[34:35]
	v_max3_f32 v8, v8, v9, v10
	v_or_b32_e32 v9, 16, v6
	v_or_b32_e32 v10, 17, v6
	v_cmp_gt_i32_e64 s[18:19], s33, v9
	v_cmp_gt_i32_e64 s[20:21], s33, v10
	s_nop 0
	v_cndmask_b32_e64 v9, v7, v52, s[18:19]
	v_cndmask_b32_e64 v10, v7, v53, s[20:21]
	v_max3_f32 v8, v8, v9, v10
	v_or_b32_e32 v9, 18, v6
	;; [unrolled: 8-line block ×5, first 2 shown]
	v_or_b32_e32 v10, 49, v6
	v_cmp_gt_i32_e32 vcc, s33, v9
	v_cmp_gt_i32_e64 s[4:5], s33, v10
	s_nop 0
	v_cndmask_b32_e32 v9, v7, v48, vcc
	v_cndmask_b32_e64 v10, v7, v49, s[4:5]
	v_max3_f32 v8, v8, v9, v10
	v_or_b32_e32 v9, 50, v6
	v_or_b32_e32 v6, 51, v6
	v_cmp_gt_i32_e64 s[6:7], s33, v9
	v_cmp_gt_i32_e64 s[8:9], s33, v6
	s_nop 0
	v_cndmask_b32_e64 v9, v7, v38, s[6:7]
	v_cndmask_b32_e64 v6, v7, v39, s[8:9]
	v_max3_f32 v8, v8, v9, v6
	v_mbcnt_lo_u32_b32 v6, -1, 0
	v_mbcnt_hi_u32_b32 v9, -1, v6
	v_and_b32_e32 v6, 64, v9
	v_add_u32_e32 v10, 64, v6
	v_xor_b32_e32 v6, 32, v9
	v_cmp_lt_i32_e64 s[38:39], v6, v10
	s_nop 1
	v_cndmask_b32_e64 v6, v9, v6, s[38:39]
	v_lshlrev_b32_e32 v55, 2, v6
	ds_bpermute_b32 v11, v55, v8
	v_mad_i64_i32 v[6:7], s[38:39], v67, s45, v[42:43]
	s_waitcnt lgkmcnt(0)
	v_max_f32_e32 v11, v11, v11
	v_max_f32_e32 v36, v8, v11
	v_xor_b32_e32 v8, 16, v9
	v_cmp_lt_i32_e64 s[38:39], v8, v10
	s_nop 1
	v_cndmask_b32_e64 v8, v9, v8, s[38:39]
	v_lshlrev_b32_e32 v56, 2, v8
	v_mad_i64_i32 v[8:9], s[38:39], v66, s45, v[42:43]
	global_load_dwordx4 v[10:13], v[6:7], off
	s_nop 0
	global_load_dwordx4 v[6:9], v[8:9], off
	ds_bpermute_b32 v37, v56, v36
	s_waitcnt lgkmcnt(0)
	s_barrier
	v_max_f32_e32 v37, v37, v37
	v_max_f32_e32 v54, v36, v37
	v_sub_f32_e32 v42, v44, v54
	v_mul_f32_e32 v42, 0x3fb8aa3b, v42
	v_exp_f32_e32 v42, v42
	v_sub_f32_e32 v43, v45, v54
	v_mul_f32_e32 v43, 0x3fb8aa3b, v43
	v_exp_f32_e32 v43, v43
	v_cndmask_b32_e64 v44, 0, v42, s[30:31]
	v_sub_f32_e32 v42, v52, v54
	v_sub_f32_e32 v34, v34, v54
	v_mul_f32_e32 v42, 0x3fb8aa3b, v42
	v_mul_f32_e32 v34, 0x3fb8aa3b, v34
	v_sub_f32_e32 v36, v50, v54
	v_exp_f32_e32 v42, v42
	v_exp_f32_e32 v50, v34
	v_cndmask_b32_e64 v45, 0, v43, s[34:35]
	v_sub_f32_e32 v43, v53, v54
	v_sub_f32_e32 v34, v35, v54
	;; [unrolled: 1-line block ×4, first 2 shown]
	v_mul_f32_e32 v43, 0x3fb8aa3b, v43
	v_mul_f32_e32 v34, 0x3fb8aa3b, v34
	;; [unrolled: 1-line block ×4, first 2 shown]
	v_sub_f32_e32 v37, v51, v54
	v_exp_f32_e32 v43, v43
	v_exp_f32_e32 v51, v34
	v_cndmask_b32_e64 v34, 0, v42, s[18:19]
	v_cndmask_b32_e64 v42, 0, v50, s[22:23]
	v_exp_f32_e32 v46, v46
	v_exp_f32_e32 v50, v40
	v_mul_f32_e32 v36, 0x3fb8aa3b, v36
	v_sub_f32_e32 v47, v47, v54
	v_sub_f32_e32 v40, v41, v54
	;; [unrolled: 1-line block ×4, first 2 shown]
	v_exp_f32_e32 v36, v36
	v_mul_f32_e32 v37, 0x3fb8aa3b, v37
	v_mul_f32_e32 v47, 0x3fb8aa3b, v47
	;; [unrolled: 1-line block ×5, first 2 shown]
	v_exp_f32_e32 v37, v37
	v_cndmask_b32_e64 v35, 0, v43, s[20:21]
	v_cndmask_b32_e64 v43, 0, v51, s[36:37]
	v_exp_f32_e32 v47, v47
	v_exp_f32_e32 v51, v40
	v_cndmask_b32_e64 v40, 0, v46, s[10:11]
	v_cndmask_b32_e64 v46, 0, v50, s[14:15]
	v_exp_f32_e32 v48, v48
	v_exp_f32_e32 v50, v38
	v_sub_f32_e32 v38, v39, v54
	v_cndmask_b32_e64 v36, 0, v36, s[26:27]
	v_mul_f32_e32 v38, 0x3fb8aa3b, v38
	v_cndmask_b32_e64 v37, 0, v37, s[28:29]
	v_cndmask_b32_e64 v41, 0, v47, s[12:13]
	;; [unrolled: 1-line block ×3, first 2 shown]
	v_exp_f32_e32 v51, v38
	v_cndmask_b32_e32 v38, 0, v48, vcc
	v_cndmask_b32_e64 v48, 0, v50, s[6:7]
	v_add_f32_e32 v50, 0, v36
	v_add_f32_e32 v50, v50, v37
	v_add_f32_e32 v50, v50, v44
	v_add_f32_e32 v50, v50, v45
	v_add_f32_e32 v50, v50, v34
	v_add_f32_e32 v50, v50, v35
	v_sub_f32_e32 v49, v49, v54
	v_add_f32_e32 v50, v50, v42
	v_mul_f32_e32 v49, 0x3fb8aa3b, v49
	v_add_f32_e32 v50, v50, v43
	v_exp_f32_e32 v49, v49
	v_add_f32_e32 v50, v50, v40
	v_add_f32_e32 v50, v50, v41
	;; [unrolled: 1-line block ×4, first 2 shown]
	v_cndmask_b32_e64 v39, 0, v49, s[4:5]
	v_add_f32_e32 v50, v50, v38
	v_add_f32_e32 v50, v50, v39
	v_cndmask_b32_e64 v49, 0, v51, s[8:9]
	v_add_f32_e32 v50, v50, v48
	v_add_f32_e32 v50, v50, v49
	ds_bpermute_b32 v51, v55, v50
	v_cmp_gt_u32_e32 vcc, 16, v65
	s_waitcnt lgkmcnt(0)
	v_add_f32_e32 v50, v50, v51
	ds_bpermute_b32 v51, v56, v50
	s_and_saveexec_b64 s[4:5], vcc
	s_cbranch_execz .LBB1281_13
; %bb.12:
	s_waitcnt lgkmcnt(0)
	v_add_f32_e32 v50, v50, v51
	v_lshlrev_b32_e32 v51, 2, v59
	ds_write2st64_b32 v51, v54, v50 offset1:1
.LBB1281_13:
	s_or_b64 exec, exec, s[4:5]
	s_waitcnt lgkmcnt(0)
	v_lshlrev_b32_e32 v51, 2, v60
	s_load_dword s6, s[0:1], 0x94
	s_waitcnt lgkmcnt(0)
	s_barrier
	ds_read2_b32 v[52:53], v51 offset1:16
	ds_read2_b32 v[54:55], v51 offset0:32 offset1:48
	ds_read2_b32 v[56:57], v51 offset0:64 offset1:80
	s_movk_i32 s8, 0x7fff
	s_mul_i32 s7, s25, 14
	s_waitcnt lgkmcnt(2)
	v_max3_f32 v50, v52, s40, v53
	s_waitcnt lgkmcnt(1)
	v_max3_f32 v50, v50, v54, v55
	v_sub_f32_e32 v52, v52, v50
	v_mul_f32_e32 v52, 0x3fb8aa3b, v52
	v_exp_f32_e32 v59, v52
	v_sub_f32_e32 v52, v53, v50
	v_mul_f32_e32 v52, 0x3fb8aa3b, v52
	v_exp_f32_e32 v62, v52
	;; [unrolled: 3-line block ×3, first 2 shown]
	ds_read2_b32 v[52:53], v51 offset0:96 offset1:112
	v_sub_f32_e32 v51, v55, v50
	v_mul_f32_e32 v51, 0x3fb8aa3b, v51
	v_exp_f32_e32 v55, v51
	s_waitcnt lgkmcnt(1)
	v_fma_f32 v51, v59, v56, 0
	v_fmac_f32_e32 v51, v62, v57
	s_waitcnt lgkmcnt(0)
	v_fmac_f32_e32 v51, v54, v52
	v_fmac_f32_e32 v51, v55, v53
	v_add_f32_e32 v52, 0x358637bd, v51
	v_div_scale_f32 v53, s[4:5], v52, v52, 1.0
	v_rcp_f32_e32 v56, v53
	s_barrier
	v_fma_f32 v57, -v53, v56, 1.0
	v_fmac_f32_e32 v56, v57, v56
	v_div_scale_f32 v57, vcc, 1.0, v52, 1.0
	v_mul_f32_e32 v63, v57, v56
	v_fma_f32 v65, -v53, v63, v57
	v_fmac_f32_e32 v63, v65, v56
	v_fma_f32 v53, -v53, v63, v57
	v_div_fmas_f32 v53, v53, v56, v63
	v_cmp_eq_u32_e32 vcc, 1, v61
	v_div_fixup_f32 v52, v53, v52, 1.0
	s_nop 0
	v_cndmask_b32_e32 v53, v59, v62, vcc
	v_cmp_eq_u32_e32 vcc, 2, v61
	s_nop 1
	v_cndmask_b32_e32 v53, v53, v54, vcc
	v_cmp_eq_u32_e32 vcc, 3, v61
	s_nop 1
	v_cndmask_b32_e32 v53, v53, v55, vcc
	v_mul_f32_e32 v52, v53, v52
	v_pk_mul_f32 v[36:37], v[52:53], v[36:37] op_sel_hi:[0,1]
	v_pk_mul_f32 v[44:45], v[52:53], v[44:45] op_sel_hi:[0,1]
	v_bfe_u32 v53, v37, 16, 1
	v_bfe_u32 v54, v36, 16, 1
	v_add3_u32 v36, v36, v54, s8
	v_add3_u32 v37, v37, v53, s8
	v_perm_b32 v56, v37, v36, s44
	v_bfe_u32 v36, v45, 16, 1
	v_bfe_u32 v37, v44, 16, 1
	v_add3_u32 v37, v44, v37, s8
	v_add3_u32 v36, v45, v36, s8
	v_perm_b32 v57, v36, v37, s44
	v_lshlrev_b32_e32 v37, 3, v64
	v_lshlrev_b32_e32 v36, 5, v60
	;; [unrolled: 1-line block ×3, first 2 shown]
	v_pk_mul_f32 v[34:35], v[52:53], v[34:35] op_sel_hi:[0,1]
	v_or3_b32 v54, v44, v36, v37
	v_bfe_u32 v37, v35, 16, 1
	v_bfe_u32 v44, v34, 16, 1
	v_pk_mul_f32 v[42:43], v[52:53], v[42:43] op_sel_hi:[0,1]
	v_add3_u32 v34, v34, v44, s8
	v_add3_u32 v35, v35, v37, s8
	v_perm_b32 v34, v35, v34, s44
	v_bfe_u32 v35, v43, 16, 1
	v_bfe_u32 v37, v42, 16, 1
	v_add3_u32 v37, v42, v37, s8
	v_add3_u32 v35, v43, v35, s8
	v_pk_mul_f32 v[40:41], v[52:53], v[40:41] op_sel_hi:[0,1]
	v_perm_b32 v35, v35, v37, s44
	v_bfe_u32 v37, v41, 16, 1
	v_bfe_u32 v42, v40, 16, 1
	ds_write2st64_b64 v54, v[56:57], v[34:35] offset1:1
	v_pk_mul_f32 v[34:35], v[52:53], v[46:47] op_sel_hi:[0,1]
	v_add3_u32 v40, v40, v42, s8
	v_add3_u32 v37, v41, v37, s8
	v_perm_b32 v40, v37, v40, s44
	v_bfe_u32 v37, v35, 16, 1
	v_bfe_u32 v41, v34, 16, 1
	v_pk_mul_f32 v[38:39], v[52:53], v[38:39] op_sel_hi:[0,1]
	v_add3_u32 v34, v34, v41, s8
	v_add3_u32 v35, v35, v37, s8
	v_bfe_u32 v37, v39, 16, 1
	v_bfe_u32 v42, v38, 16, 1
	v_perm_b32 v41, v35, v34, s44
	v_pk_mul_f32 v[34:35], v[52:53], v[48:49] op_sel_hi:[0,1]
	v_add3_u32 v38, v38, v42, s8
	v_add3_u32 v37, v39, v37, s8
	v_perm_b32 v38, v37, v38, s44
	v_bfe_u32 v37, v35, 16, 1
	v_bfe_u32 v39, v34, 16, 1
	v_add3_u32 v34, v34, v39, s8
	v_add3_u32 v35, v35, v37, s8
	v_perm_b32 v39, v35, v34, s44
	v_cmp_gt_u32_e32 vcc, 14, v0
	ds_write2st64_b64 v54, v[40:41], v[38:39] offset0:2 offset1:3
	s_and_saveexec_b64 s[4:5], vcc
	s_cbranch_execz .LBB1281_15
; %bb.14:
	s_mov_b32 s49, 0
	v_mov_b32_e32 v61, 0
	v_lshl_add_u64 v[34:35], s[48:49], 0, v[60:61]
	v_mov_b32_e32 v37, s7
	v_mad_u64_u32 v[34:35], s[10:11], s2, v37, v[34:35]
	s_mul_i32 s3, s3, s7
	v_mov_b32_e32 v38, s24
	v_mov_b32_e32 v39, v61
	s_load_dwordx4 s[12:15], s[0:1], 0x58
	v_add_u32_e32 v37, s3, v35
	v_mad_u64_u32 v[34:35], s[10:11], v34, s6, v[38:39]
	v_mov_b32_e32 v38, v35
	v_mad_u64_u32 v[38:39], s[10:11], v37, s6, v[38:39]
	v_mov_b32_e32 v35, v38
	v_lshlrev_b64 v[34:35], 2, v[34:35]
	s_waitcnt lgkmcnt(0)
	v_lshl_add_u64 v[38:39], s[14:15], 0, v[34:35]
	v_lshl_add_u64 v[34:35], s[12:13], 0, v[34:35]
	global_store_dword v[38:39], v50, off
	global_store_dword v[34:35], v51, off
.LBB1281_15:
	s_or_b64 exec, exec, s[4:5]
	v_lshl_or_b32 v50, v64, 9, v36
	s_waitcnt vmcnt(7)
	v_cvt_pk_f32_fp8_e32 v[34:35], v30
	v_cvt_pk_f32_fp8_sdwa v[36:37], v30 src0_sel:WORD_1
	s_mov_b32 s5, 0x7060302
	s_waitcnt lgkmcnt(0)
	s_barrier
	v_cvt_pk_f32_fp8_e32 v[38:39], v31
	v_perm_b32 v30, v35, v34, s5
	v_cvt_pk_f32_fp8_sdwa v[40:41], v31 src0_sel:WORD_1
	v_perm_b32 v31, v37, v36, s5
	ds_read_b128 v[34:37], v50
	v_perm_b32 v46, v39, v38, s5
	v_perm_b32 v47, v41, v40, s5
	ds_read_b128 v[38:41], v50 offset:16
	v_cvt_pk_f32_fp8_e32 v[48:49], v32
	v_cvt_pk_f32_fp8_sdwa v[52:53], v32 src0_sel:WORD_1
	s_waitcnt lgkmcnt(1)
	v_mfma_f32_16x16x16_bf16 v[42:45], v[30:31], v[34:35], 0
	s_waitcnt vmcnt(6)
	v_cvt_pk_f32_fp8_e32 v[56:57], v24
	v_perm_b32 v30, v49, v48, s5
	v_perm_b32 v31, v53, v52, s5
	v_cvt_pk_f32_fp8_e32 v[48:49], v33
	v_mfma_f32_16x16x16_bf16 v[42:45], v[46:47], v[36:37], v[42:45]
	v_cvt_pk_f32_fp8_sdwa v[46:47], v33 src0_sel:WORD_1
	v_cvt_pk_f32_fp8_sdwa v[62:63], v24 src0_sel:WORD_1
	v_perm_b32 v48, v49, v48, s5
	s_waitcnt lgkmcnt(0)
	v_mfma_f32_16x16x16_bf16 v[30:33], v[30:31], v[38:39], v[42:45]
	v_perm_b32 v49, v47, v46, s5
	s_waitcnt vmcnt(4)
	v_cvt_pk_f32_fp8_sdwa v[70:71], v4 src0_sel:WORD_1
	s_load_dword s4, s[42:43], 0x0
	v_cvt_pk_f32_fp8_e32 v[42:43], v22
	v_mfma_f32_16x16x16_bf16 v[46:49], v[48:49], v[40:41], v[30:33]
	s_waitcnt vmcnt(3)
	v_cvt_pk_f32_fp8_sdwa v[72:73], v28 src0_sel:WORD_1
	s_mov_b32 s3, 0
	v_cvt_pk_f32_fp8_sdwa v[30:31], v22 src0_sel:WORD_1
	v_cvt_pk_f32_fp8_e32 v[32:33], v23
	v_perm_b32 v22, v43, v42, s5
	v_cvt_pk_f32_fp8_sdwa v[42:43], v23 src0_sel:WORD_1
	v_perm_b32 v23, v31, v30, s5
	v_perm_b32 v52, v33, v32, s5
	ds_read_b128 v[30:33], v50 offset:2048
	v_perm_b32 v53, v43, v42, s5
	ds_read_b128 v[42:45], v50 offset:2064
	s_waitcnt lgkmcnt(0)
	v_mfma_f32_16x16x16_bf16 v[46:49], v[22:23], v[30:31], v[46:49]
	v_perm_b32 v22, v57, v56, s5
	v_perm_b32 v23, v63, v62, s5
	v_cvt_pk_f32_fp8_e32 v[56:57], v25
	v_mfma_f32_16x16x16_bf16 v[46:49], v[52:53], v[32:33], v[46:49]
	v_cvt_pk_f32_fp8_sdwa v[52:53], v25 src0_sel:WORD_1
	v_cvt_pk_f32_fp8_sdwa v[62:63], v16 src0_sel:WORD_1
	v_perm_b32 v56, v57, v56, s5
	v_mfma_f32_16x16x16_bf16 v[22:25], v[22:23], v[42:43], v[46:49]
	v_perm_b32 v57, v53, v52, s5
	v_cmp_gt_u32_e32 vcc, 64, v0
	s_nop 0
	v_cvt_pk_f32_fp8_e32 v[46:47], v14
	v_mfma_f32_16x16x16_bf16 v[66:69], v[56:57], v[44:45], v[22:25]
	v_cvt_pk_f32_fp8_e32 v[56:57], v16
	s_nop 1
	v_cvt_pk_f32_fp8_sdwa v[22:23], v14 src0_sel:WORD_1
	v_cvt_pk_f32_fp8_e32 v[24:25], v15
	v_perm_b32 v14, v47, v46, s5
	v_cvt_pk_f32_fp8_sdwa v[46:47], v15 src0_sel:WORD_1
	v_perm_b32 v15, v23, v22, s5
	v_perm_b32 v52, v25, v24, s5
	ds_read_b128 v[22:25], v50 offset:4096
	v_perm_b32 v53, v47, v46, s5
	ds_read_b128 v[46:49], v50 offset:4112
	s_waitcnt lgkmcnt(1)
	v_mfma_f32_16x16x16_bf16 v[66:69], v[14:15], v[22:23], v[66:69]
	v_perm_b32 v14, v57, v56, s5
	v_perm_b32 v15, v63, v62, s5
	v_cvt_pk_f32_fp8_e32 v[56:57], v17
	v_mfma_f32_16x16x16_bf16 v[66:69], v[52:53], v[24:25], v[66:69]
	v_cvt_pk_f32_fp8_sdwa v[52:53], v17 src0_sel:WORD_1
	v_cvt_pk_f32_fp8_e32 v[62:63], v4
	v_perm_b32 v56, v57, v56, s5
	s_waitcnt lgkmcnt(0)
	v_mfma_f32_16x16x16_bf16 v[14:17], v[14:15], v[46:47], v[66:69]
	v_perm_b32 v57, v53, v52, s5
	v_cvt_pk_f32_fp8_e32 v[52:53], v2
	s_nop 0
	v_mfma_f32_16x16x16_bf16 v[66:69], v[56:57], v[48:49], v[14:17]
	s_nop 2
	v_cvt_pk_f32_fp8_sdwa v[14:15], v2 src0_sel:WORD_1
	v_cvt_pk_f32_fp8_e32 v[16:17], v3
	v_perm_b32 v2, v53, v52, s5
	v_cvt_pk_f32_fp8_sdwa v[52:53], v3 src0_sel:WORD_1
	v_perm_b32 v3, v15, v14, s5
	v_perm_b32 v56, v17, v16, s5
	ds_read_b128 v[14:17], v50 offset:6144
	v_perm_b32 v57, v53, v52, s5
	s_waitcnt lgkmcnt(0)
	v_mfma_f32_16x16x16_bf16 v[66:69], v[2:3], v[14:15], v[66:69]
	ds_read_b128 v[50:53], v50 offset:6160
	v_perm_b32 v2, v63, v62, s5
	v_perm_b32 v3, v71, v70, s5
	v_cvt_pk_f32_fp8_e32 v[62:63], v5
	v_mfma_f32_16x16x16_bf16 v[66:69], v[56:57], v[16:17], v[66:69]
	v_cvt_pk_f32_fp8_sdwa v[56:57], v5 src0_sel:WORD_1
	v_cvt_pk_f32_fp8_e32 v[70:71], v28
	v_perm_b32 v62, v63, v62, s5
	s_waitcnt lgkmcnt(0)
	v_mfma_f32_16x16x16_bf16 v[2:5], v[2:3], v[50:51], v[66:69]
	v_perm_b32 v63, v57, v56, s5
	v_cvt_pk_f32_fp8_sdwa v[56:57], v26 src0_sel:WORD_1
	s_nop 0
	v_mfma_f32_16x16x16_bf16 v[66:69], v[62:63], v[52:53], v[2:5]
	s_barrier
	s_nop 1
	v_cvt_pk_f32_fp8_e32 v[4:5], v26
	s_nop 2
	v_pk_mul_f32 v[62:63], v[66:67], s[4:5] op_sel_hi:[1,0]
	v_cvt_pk_f32_fp8_e32 v[66:67], v27
	v_perm_b32 v4, v5, v4, s5
	v_perm_b32 v5, v57, v56, s5
	v_cvt_pk_f32_fp8_sdwa v[26:27], v27 src0_sel:WORD_1
	v_perm_b32 v56, v67, v66, s5
	v_pk_mul_f32 v[2:3], v[68:69], s[4:5] op_sel_hi:[1,0]
	v_mfma_f32_16x16x16_bf16 v[66:69], v[4:5], v[34:35], 0
	v_perm_b32 v57, v27, v26, s5
	v_perm_b32 v4, v71, v70, s5
	;; [unrolled: 1-line block ×3, first 2 shown]
	v_cvt_pk_f32_fp8_e32 v[34:35], v29
	v_cvt_pk_f32_fp8_sdwa v[70:71], v29 src0_sel:WORD_1
	v_mfma_f32_16x16x16_bf16 v[26:29], v[56:57], v[36:37], v[66:69]
	s_waitcnt vmcnt(2)
	v_cvt_pk_f32_fp8_sdwa v[36:37], v18 src0_sel:WORD_1
	v_perm_b32 v34, v35, v34, s5
	v_perm_b32 v35, v71, v70, s5
	v_mfma_f32_16x16x16_bf16 v[26:29], v[4:5], v[38:39], v[26:29]
	v_cvt_pk_f32_fp8_e32 v[4:5], v18
	v_cvt_pk_f32_fp8_sdwa v[38:39], v20 src0_sel:WORD_1
	v_bfe_u32 v55, v63, 16, 1
	v_mfma_f32_16x16x16_bf16 v[26:29], v[34:35], v[40:41], v[26:29]
	v_cvt_pk_f32_fp8_e32 v[34:35], v19
	v_perm_b32 v4, v5, v4, s5
	v_perm_b32 v5, v37, v36, s5
	v_cvt_pk_f32_fp8_sdwa v[18:19], v19 src0_sel:WORD_1
	v_perm_b32 v34, v35, v34, s5
	v_cvt_pk_f32_fp8_e32 v[36:37], v20
	v_mfma_f32_16x16x16_bf16 v[26:29], v[4:5], v[30:31], v[26:29]
	v_perm_b32 v35, v19, v18, s5
	v_perm_b32 v4, v37, v36, s5
	;; [unrolled: 1-line block ×3, first 2 shown]
	v_cvt_pk_f32_fp8_e32 v[30:31], v21
	v_cvt_pk_f32_fp8_sdwa v[36:37], v21 src0_sel:WORD_1
	v_mfma_f32_16x16x16_bf16 v[18:21], v[34:35], v[32:33], v[26:29]
	v_bfe_u32 v56, v62, 16, 1
	v_add3_u32 v32, v62, v56, s8
	v_add3_u32 v33, v63, v55, s8
	v_perm_b32 v26, v31, v30, s5
	v_perm_b32 v27, v37, v36, s5
	v_mfma_f32_16x16x16_bf16 v[18:21], v[4:5], v[42:43], v[18:21]
	s_waitcnt vmcnt(1)
	v_cvt_pk_f32_fp8_e32 v[4:5], v10
	v_cvt_pk_f32_fp8_sdwa v[28:29], v10 src0_sel:WORD_1
	v_cvt_pk_f32_fp8_sdwa v[30:31], v12 src0_sel:WORD_1
	v_mfma_f32_16x16x16_bf16 v[18:21], v[26:27], v[44:45], v[18:21]
	v_cvt_pk_f32_fp8_e32 v[26:27], v11
	v_perm_b32 v4, v5, v4, s5
	v_perm_b32 v5, v29, v28, s5
	v_cvt_pk_f32_fp8_sdwa v[10:11], v11 src0_sel:WORD_1
	v_perm_b32 v26, v27, v26, s5
	v_cvt_pk_f32_fp8_e32 v[28:29], v12
	v_mfma_f32_16x16x16_bf16 v[18:21], v[4:5], v[22:23], v[18:21]
	v_perm_b32 v27, v11, v10, s5
	v_perm_b32 v4, v29, v28, s5
	;; [unrolled: 1-line block ×3, first 2 shown]
	v_cvt_pk_f32_fp8_e32 v[22:23], v13
	v_cvt_pk_f32_fp8_sdwa v[28:29], v13 src0_sel:WORD_1
	v_mfma_f32_16x16x16_bf16 v[10:13], v[26:27], v[24:25], v[18:21]
	s_waitcnt vmcnt(0)
	v_cvt_pk_f32_fp8_sdwa v[24:25], v8 src0_sel:WORD_1
	s_nop 0
	v_perm_b32 v20, v23, v22, s5
	v_perm_b32 v21, v29, v28, s5
	v_mfma_f32_16x16x16_bf16 v[10:13], v[4:5], v[46:47], v[10:13]
	v_cvt_pk_f32_fp8_e32 v[4:5], v6
	v_cvt_pk_f32_fp8_sdwa v[22:23], v6 src0_sel:WORD_1
	v_bfe_u32 v19, v3, 16, 1
	v_mfma_f32_16x16x16_bf16 v[10:13], v[20:21], v[48:49], v[10:13]
	v_cvt_pk_f32_fp8_e32 v[20:21], v7
	v_perm_b32 v4, v5, v4, s5
	v_perm_b32 v5, v23, v22, s5
	v_cvt_pk_f32_fp8_sdwa v[6:7], v7 src0_sel:WORD_1
	v_perm_b32 v20, v21, v20, s5
	v_cvt_pk_f32_fp8_e32 v[22:23], v8
	v_add3_u32 v3, v3, v19, s8
	v_perm_b32 v21, v7, v6, s5
	v_mfma_f32_16x16x16_bf16 v[4:7], v[4:5], v[14:15], v[10:13]
	v_bfe_u32 v14, v2, 16, 1
	v_add3_u32 v2, v2, v14, s8
	v_perm_b32 v19, v3, v2, s5
	v_perm_b32 v10, v23, v22, s5
	;; [unrolled: 1-line block ×3, first 2 shown]
	v_cvt_pk_f32_fp8_e32 v[12:13], v9
	v_cvt_pk_f32_fp8_sdwa v[8:9], v9 src0_sel:WORD_1
	v_mfma_f32_16x16x16_bf16 v[4:7], v[20:21], v[16:17], v[4:7]
	v_perm_b32 v18, v33, v32, s5
	v_perm_b32 v12, v13, v12, s5
	;; [unrolled: 1-line block ×3, first 2 shown]
	v_mfma_f32_16x16x16_bf16 v[4:7], v[10:11], v[50:51], v[4:7]
	s_nop 0
	v_mfma_f32_16x16x16_bf16 v[2:5], v[12:13], v[52:53], v[4:7]
	s_nop 6
	v_pk_mul_f32 v[2:3], v[2:3], s[4:5] op_sel_hi:[1,0]
	v_pk_mul_f32 v[4:5], v[4:5], s[4:5] op_sel_hi:[1,0]
	v_bfe_u32 v6, v3, 16, 1
	v_bfe_u32 v7, v2, 16, 1
	v_add3_u32 v2, v2, v7, s8
	v_add3_u32 v3, v3, v6, s8
	v_perm_b32 v2, v3, v2, s5
	v_bfe_u32 v3, v5, 16, 1
	v_bfe_u32 v6, v4, 16, 1
	v_add3_u32 v4, v4, v6, s8
	v_add3_u32 v3, v5, v3, s8
	v_perm_b32 v3, v3, v4, s5
	ds_write2st64_b64 v54, v[18:19], v[2:3] offset1:1
	s_waitcnt lgkmcnt(0)
	s_barrier
	s_and_saveexec_b64 s[4:5], vcc
	s_cbranch_execz .LBB1281_18
; %bb.16:
	s_load_dwordx2 s[4:5], s[0:1], 0x68
	s_lshl_b32 s0, s6, 7
	s_mul_i32 s1, s7, s2
	v_lshlrev_b32_e32 v3, 6, v60
	s_mul_hi_u32 s7, s1, s0
	s_mul_i32 s6, s1, s0
	v_lshl_or_b32 v0, v0, 10, v3
	s_lshl_b64 s[6:7], s[6:7], 1
	v_lshlrev_b32_e32 v2, 5, v64
	v_and_b32_e32 v1, 16, v1
	v_and_b32_e32 v0, 0x1a00, v0
	s_waitcnt lgkmcnt(0)
	s_add_u32 s1, s4, s6
	v_or3_b32 v2, v0, v2, v1
	s_addc_u32 s4, s5, s7
	s_lshl_b32 s2, s24, 7
	ds_read_b128 v[4:7], v2 offset:256
	s_lshl_b64 s[2:3], s[2:3], 1
	ds_read_b128 v[8:11], v2 offset:128
	ds_read_b128 v[12:15], v2
	s_add_u32 s2, s1, s2
	s_addc_u32 s3, s4, s3
	v_mov_b32_e32 v59, 0
	v_add_u32_e32 v18, s48, v64
	v_lshl_add_u64 v[0:1], s[2:3], 0, v[58:59]
	v_mad_u64_u32 v[16:17], s[2:3], v18, s0, 0
	v_lshl_add_u64 v[16:17], v[16:17], 1, v[0:1]
	s_waitcnt lgkmcnt(0)
	global_store_dwordx4 v[16:17], v[12:15], off
	v_or_b32_e32 v3, 12, v64
	v_cmp_gt_u32_e32 vcc, 14, v3
	v_add_u32_e32 v12, 4, v18
	v_mad_u64_u32 v[12:13], s[2:3], v12, s0, 0
	v_lshl_add_u64 v[12:13], v[12:13], 1, v[0:1]
	global_store_dwordx4 v[12:13], v[8:11], off
	s_nop 1
	v_add_u32_e32 v8, 8, v18
	v_mad_u64_u32 v[8:9], s[2:3], v8, s0, 0
	v_lshl_add_u64 v[8:9], v[8:9], 1, v[0:1]
	global_store_dwordx4 v[8:9], v[4:7], off
	s_and_b64 exec, exec, vcc
	s_cbranch_execz .LBB1281_18
; %bb.17:
	ds_read_b128 v[4:7], v2 offset:384
	v_add_u32_e32 v2, s48, v3
	v_mad_u64_u32 v[2:3], s[0:1], v2, s0, 0
	v_lshl_add_u64 v[0:1], v[2:3], 1, v[0:1]
	s_waitcnt lgkmcnt(0)
	global_store_dwordx4 v[0:1], v[4:7], off
.LBB1281_18:
	s_endpgm
	.section	.rodata,"a",@progbits
	.p2align	6, 0x0
	.amdhsa_kernel _Z39paged_attention_ll4mi_QKV_mfma16_kernelI14__hip_bfloat16hLN4vllm18Fp8KVCacheDataTypeE1EhLi16ELi128ELi256ELb0ELi14EEvPKT_PKT0_S8_ifPKiSA_SA_iPKfiiiPfSD_PS3_PT2_iSC_SC_
		.amdhsa_group_segment_fixed_size 8192
		.amdhsa_private_segment_fixed_size 0
		.amdhsa_kernarg_size 400
		.amdhsa_user_sgpr_count 2
		.amdhsa_user_sgpr_dispatch_ptr 0
		.amdhsa_user_sgpr_queue_ptr 0
		.amdhsa_user_sgpr_kernarg_segment_ptr 1
		.amdhsa_user_sgpr_dispatch_id 0
		.amdhsa_user_sgpr_kernarg_preload_length 0
		.amdhsa_user_sgpr_kernarg_preload_offset 0
		.amdhsa_user_sgpr_private_segment_size 0
		.amdhsa_uses_dynamic_stack 0
		.amdhsa_enable_private_segment 0
		.amdhsa_system_sgpr_workgroup_id_x 1
		.amdhsa_system_sgpr_workgroup_id_y 1
		.amdhsa_system_sgpr_workgroup_id_z 1
		.amdhsa_system_sgpr_workgroup_info 0
		.amdhsa_system_vgpr_workitem_id 0
		.amdhsa_next_free_vgpr 86
		.amdhsa_next_free_sgpr 50
		.amdhsa_accum_offset 88
		.amdhsa_reserve_vcc 1
		.amdhsa_float_round_mode_32 0
		.amdhsa_float_round_mode_16_64 0
		.amdhsa_float_denorm_mode_32 3
		.amdhsa_float_denorm_mode_16_64 3
		.amdhsa_dx10_clamp 1
		.amdhsa_ieee_mode 1
		.amdhsa_fp16_overflow 0
		.amdhsa_tg_split 0
		.amdhsa_exception_fp_ieee_invalid_op 0
		.amdhsa_exception_fp_denorm_src 0
		.amdhsa_exception_fp_ieee_div_zero 0
		.amdhsa_exception_fp_ieee_overflow 0
		.amdhsa_exception_fp_ieee_underflow 0
		.amdhsa_exception_fp_ieee_inexact 0
		.amdhsa_exception_int_div_zero 0
	.end_amdhsa_kernel
	.section	.text._Z39paged_attention_ll4mi_QKV_mfma16_kernelI14__hip_bfloat16hLN4vllm18Fp8KVCacheDataTypeE1EhLi16ELi128ELi256ELb0ELi14EEvPKT_PKT0_S8_ifPKiSA_SA_iPKfiiiPfSD_PS3_PT2_iSC_SC_,"axG",@progbits,_Z39paged_attention_ll4mi_QKV_mfma16_kernelI14__hip_bfloat16hLN4vllm18Fp8KVCacheDataTypeE1EhLi16ELi128ELi256ELb0ELi14EEvPKT_PKT0_S8_ifPKiSA_SA_iPKfiiiPfSD_PS3_PT2_iSC_SC_,comdat
.Lfunc_end1281:
	.size	_Z39paged_attention_ll4mi_QKV_mfma16_kernelI14__hip_bfloat16hLN4vllm18Fp8KVCacheDataTypeE1EhLi16ELi128ELi256ELb0ELi14EEvPKT_PKT0_S8_ifPKiSA_SA_iPKfiiiPfSD_PS3_PT2_iSC_SC_, .Lfunc_end1281-_Z39paged_attention_ll4mi_QKV_mfma16_kernelI14__hip_bfloat16hLN4vllm18Fp8KVCacheDataTypeE1EhLi16ELi128ELi256ELb0ELi14EEvPKT_PKT0_S8_ifPKiSA_SA_iPKfiiiPfSD_PS3_PT2_iSC_SC_
                                        ; -- End function
	.section	.AMDGPU.csdata,"",@progbits
; Kernel info:
; codeLenInByte = 6380
; NumSgprs: 56
; NumVgprs: 86
; NumAgprs: 0
; TotalNumVgprs: 86
; ScratchSize: 0
; MemoryBound: 0
; FloatMode: 240
; IeeeMode: 1
; LDSByteSize: 8192 bytes/workgroup (compile time only)
; SGPRBlocks: 6
; VGPRBlocks: 10
; NumSGPRsForWavesPerEU: 56
; NumVGPRsForWavesPerEU: 86
; AccumOffset: 88
; Occupancy: 5
; WaveLimiterHint : 1
; COMPUTE_PGM_RSRC2:SCRATCH_EN: 0
; COMPUTE_PGM_RSRC2:USER_SGPR: 2
; COMPUTE_PGM_RSRC2:TRAP_HANDLER: 0
; COMPUTE_PGM_RSRC2:TGID_X_EN: 1
; COMPUTE_PGM_RSRC2:TGID_Y_EN: 1
; COMPUTE_PGM_RSRC2:TGID_Z_EN: 1
; COMPUTE_PGM_RSRC2:TIDIG_COMP_CNT: 0
; COMPUTE_PGM_RSRC3_GFX90A:ACCUM_OFFSET: 21
; COMPUTE_PGM_RSRC3_GFX90A:TG_SPLIT: 0
	.section	.text._Z39paged_attention_ll4mi_QKV_mfma16_kernelI14__hip_bfloat16hLN4vllm18Fp8KVCacheDataTypeE1EhLi16ELi128ELi256ELb0ELi15EEvPKT_PKT0_S8_ifPKiSA_SA_iPKfiiiPfSD_PS3_PT2_iSC_SC_,"axG",@progbits,_Z39paged_attention_ll4mi_QKV_mfma16_kernelI14__hip_bfloat16hLN4vllm18Fp8KVCacheDataTypeE1EhLi16ELi128ELi256ELb0ELi15EEvPKT_PKT0_S8_ifPKiSA_SA_iPKfiiiPfSD_PS3_PT2_iSC_SC_,comdat
	.protected	_Z39paged_attention_ll4mi_QKV_mfma16_kernelI14__hip_bfloat16hLN4vllm18Fp8KVCacheDataTypeE1EhLi16ELi128ELi256ELb0ELi15EEvPKT_PKT0_S8_ifPKiSA_SA_iPKfiiiPfSD_PS3_PT2_iSC_SC_ ; -- Begin function _Z39paged_attention_ll4mi_QKV_mfma16_kernelI14__hip_bfloat16hLN4vllm18Fp8KVCacheDataTypeE1EhLi16ELi128ELi256ELb0ELi15EEvPKT_PKT0_S8_ifPKiSA_SA_iPKfiiiPfSD_PS3_PT2_iSC_SC_
	.globl	_Z39paged_attention_ll4mi_QKV_mfma16_kernelI14__hip_bfloat16hLN4vllm18Fp8KVCacheDataTypeE1EhLi16ELi128ELi256ELb0ELi15EEvPKT_PKT0_S8_ifPKiSA_SA_iPKfiiiPfSD_PS3_PT2_iSC_SC_
	.p2align	8
	.type	_Z39paged_attention_ll4mi_QKV_mfma16_kernelI14__hip_bfloat16hLN4vllm18Fp8KVCacheDataTypeE1EhLi16ELi128ELi256ELb0ELi15EEvPKT_PKT0_S8_ifPKiSA_SA_iPKfiiiPfSD_PS3_PT2_iSC_SC_,@function
_Z39paged_attention_ll4mi_QKV_mfma16_kernelI14__hip_bfloat16hLN4vllm18Fp8KVCacheDataTypeE1EhLi16ELi128ELi256ELb0ELi15EEvPKT_PKT0_S8_ifPKiSA_SA_iPKfiiiPfSD_PS3_PT2_iSC_SC_: ; @_Z39paged_attention_ll4mi_QKV_mfma16_kernelI14__hip_bfloat16hLN4vllm18Fp8KVCacheDataTypeE1EhLi16ELi128ELi256ELb0ELi15EEvPKT_PKT0_S8_ifPKiSA_SA_iPKfiiiPfSD_PS3_PT2_iSC_SC_
; %bb.0:
	s_load_dwordx2 s[12:13], s[0:1], 0x30
	s_mov_b32 s24, s3
	s_mov_b64 s[6:7], 0
	s_waitcnt lgkmcnt(0)
	s_cmp_lg_u64 s[12:13], 0
	s_cselect_b64 s[14:15], -1, 0
	s_and_b64 vcc, exec, s[14:15]
	s_cbranch_vccz .LBB1282_7
; %bb.1:
	s_add_i32 s8, s2, 1
	s_mov_b32 s9, 0
	s_lshl_b64 s[10:11], s[8:9], 2
	s_add_u32 s10, s12, s10
	s_mov_b32 s3, s9
	s_addc_u32 s11, s13, s11
	s_lshl_b64 s[8:9], s[2:3], 2
	s_add_u32 s8, s12, s8
	s_addc_u32 s9, s13, s9
	s_load_dword s5, s[10:11], 0x0
	s_load_dword s16, s[8:9], 0x0
	s_waitcnt lgkmcnt(0)
	s_sub_i32 s5, s5, s16
	s_cmp_eq_u32 s5, 1
	s_cselect_b64 s[8:9], -1, 0
	s_andn2_b64 vcc, exec, s[6:7]
	s_cbranch_vccnz .LBB1282_3
.LBB1282_2:
	s_mov_b32 s3, 0
	s_mov_b64 s[8:9], -1
.LBB1282_3:
	s_andn2_b64 vcc, exec, s[8:9]
	s_cbranch_vccnz .LBB1282_18
; %bb.4:
	s_load_dwordx2 s[6:7], s[0:1], 0x28
	s_lshl_b64 s[16:17], s[2:3], 2
	s_waitcnt lgkmcnt(0)
	s_add_u32 s6, s6, s16
	s_addc_u32 s7, s7, s17
	s_load_dword s33, s[6:7], 0x0
	s_lshl_b32 s18, s24, 8
	s_waitcnt lgkmcnt(0)
	s_cmp_ge_i32 s18, s33
	s_cbranch_scc1 .LBB1282_18
; %bb.5:
	s_load_dwordx2 s[6:7], s[0:1], 0x20
	s_load_dword s8, s[0:1], 0x38
	s_add_i32 s5, s33, 15
	s_ashr_i32 s9, s5, 31
	v_and_b32_e32 v1, 0xcf, v0
	s_lshr_b32 s9, s9, 28
	v_add_u32_e32 v1, s18, v1
	s_add_i32 s5, s5, s9
	v_ashrrev_i32_e32 v2, 31, v1
	s_ashr_i32 s5, s5, 4
	v_lshrrev_b32_e32 v10, 28, v2
	s_add_i32 s5, s5, -1
	s_waitcnt lgkmcnt(0)
	s_mul_i32 s8, s2, s8
	s_mov_b32 s9, 0
	v_add_u32_e32 v2, v1, v10
	s_lshl_b64 s[8:9], s[8:9], 2
	v_ashrrev_i32_e32 v2, 4, v2
	v_mov_b32_e32 v11, s5
	v_cmp_gt_i32_e32 vcc, s33, v1
	s_add_u32 s6, s6, s8
	s_addc_u32 s7, s7, s9
	v_cndmask_b32_e32 v2, v11, v2, vcc
	v_ashrrev_i32_e32 v3, 31, v2
	v_lshl_add_u64 v[4:5], v[2:3], 2, s[6:7]
	v_or_b32_e32 v2, 16, v1
	v_add_u32_e32 v3, v2, v10
	v_ashrrev_i32_e32 v3, 4, v3
	v_cmp_gt_i32_e32 vcc, s33, v2
	s_load_dwordx4 s[8:11], s[0:1], 0x8
	s_nop 0
	v_cndmask_b32_e32 v2, v11, v3, vcc
	v_ashrrev_i32_e32 v3, 31, v2
	v_lshl_add_u64 v[6:7], v[2:3], 2, s[6:7]
	v_or_b32_e32 v2, 32, v1
	v_add_u32_e32 v3, v2, v10
	v_ashrrev_i32_e32 v3, 4, v3
	v_cmp_gt_i32_e32 vcc, s33, v2
	v_or_b32_e32 v1, 48, v1
	s_nop 0
	v_cndmask_b32_e32 v2, v11, v3, vcc
	v_ashrrev_i32_e32 v3, 31, v2
	v_lshl_add_u64 v[8:9], v[2:3], 2, s[6:7]
	v_add_u32_e32 v2, v1, v10
	v_ashrrev_i32_e32 v2, 4, v2
	v_cmp_gt_i32_e32 vcc, s33, v1
	s_nop 1
	v_cndmask_b32_e32 v2, v11, v2, vcc
	v_ashrrev_i32_e32 v3, 31, v2
	v_lshl_add_u64 v[10:11], v[2:3], 2, s[6:7]
	global_load_dword v3, v[4:5], off
	global_load_dword v2, v[6:7], off
	;; [unrolled: 1-line block ×4, first 2 shown]
	s_andn2_b64 vcc, exec, s[14:15]
	s_cbranch_vccnz .LBB1282_8
; %bb.6:
	s_add_u32 s12, s12, s16
	s_addc_u32 s13, s13, s17
	s_load_dword s14, s[12:13], 0x0
	s_branch .LBB1282_9
.LBB1282_7:
	s_mov_b64 s[8:9], 0
	s_branch .LBB1282_2
.LBB1282_8:
	s_mov_b32 s14, s2
.LBB1282_9:
	s_load_dwordx4 s[44:47], s[0:1], 0x48
	v_lshrrev_b32_e32 v61, 6, v0
	v_bfe_u32 v64, v0, 4, 2
	v_and_b32_e32 v60, 15, v0
	v_lshl_or_b32 v4, v61, 2, v64
	v_lshlrev_b32_e32 v1, 3, v60
	v_and_b32_e32 v65, 63, v0
	s_mul_i32 s48, s4, 15
	v_cmp_gt_u32_e32 vcc, 15, v4
	v_lshlrev_b32_e32 v58, 1, v1
	v_lshlrev_b32_e32 v1, 4, v0
	s_and_saveexec_b64 s[12:13], vcc
	s_cbranch_execz .LBB1282_11
; %bb.10:
	s_load_dwordx2 s[16:17], s[0:1], 0x0
	s_waitcnt lgkmcnt(0)
	s_ashr_i32 s15, s44, 31
	s_mul_hi_u32 s19, s14, s44
	s_mul_i32 s15, s14, s15
	s_add_i32 s15, s19, s15
	s_mul_i32 s14, s14, s44
	s_lshl_b64 s[14:15], s[14:15], 1
	s_add_u32 s14, s16, s14
	v_add_lshl_u32 v6, v4, s48, 7
	s_addc_u32 s15, s17, s15
	v_ashrrev_i32_e32 v7, 31, v6
	v_lshl_add_u64 v[6:7], v[6:7], 1, s[14:15]
	v_mov_b32_e32 v59, 0
	v_lshl_add_u64 v[6:7], v[6:7], 0, v[58:59]
	global_load_dwordx4 v[6:9], v[6:7], off
	v_lshlrev_b32_e32 v10, 8, v0
	v_lshlrev_b32_e32 v5, 8, v60
	v_and_b32_e32 v10, 0x600, v10
	s_movk_i32 s14, 0x800
	v_and_or_b32 v5, v5, s14, v10
	v_lshlrev_b32_e32 v4, 5, v4
	v_and_b32_e32 v10, 16, v1
	v_or3_b32 v4, v5, v4, v10
	s_waitcnt vmcnt(0)
	ds_write_b128 v4, v[6:9]
.LBB1282_11:
	s_or_b64 exec, exec, s[12:13]
	s_waitcnt lgkmcnt(0)
	s_mul_i32 s4, s4, s46
	s_add_u32 s8, s8, s4
	v_mov_b32_e32 v63, 0
	s_addc_u32 s9, s9, 0
	v_and_b32_e32 v62, 0xf0, v1
	v_and_b32_e32 v6, 48, v0
	v_lshl_add_u64 v[30:31], s[8:9], 0, v[62:63]
	v_lshlrev_b32_e32 v62, 4, v6
	s_waitcnt vmcnt(3)
	v_mad_i64_i32 v[4:5], s[8:9], v3, s45, v[30:31]
	v_lshl_add_u64 v[4:5], v[4:5], 0, v[62:63]
	s_load_dword s25, s[0:1], 0x98
	s_load_dwordx4 s[40:43], s[0:1], 0x80
	s_waitcnt lgkmcnt(0)
	s_barrier
	global_load_dwordx4 v[22:25], v[4:5], off
	global_load_dwordx4 v[14:17], v[4:5], off offset:1024
	s_waitcnt vmcnt(4)
	v_mad_i64_i32 v[2:3], s[8:9], v2, s45, v[30:31]
	v_lshl_add_u64 v[32:33], v[2:3], 0, v[62:63]
	global_load_dwordx4 v[2:5], v[32:33], off
	v_cmp_ne_u32_e32 vcc, 15, v60
	v_or_b32_e32 v6, s18, v6
	v_mov_b32_e32 v38, s5
	v_cndmask_b32_e32 v7, 0, v60, vcc
	v_lshlrev_b32_e32 v7, 5, v7
	v_ashrrev_i32_e32 v8, 4, v6
	v_lshl_or_b32 v7, v64, 9, v7
	v_cmp_gt_i32_e32 vcc, s33, v6
	v_or_b32_e32 v39, 64, v6
	v_or_b32_e32 v43, 0x80, v6
	v_or_b32_e32 v45, 0xc0, v6
	v_cndmask_b32_e32 v40, v38, v8, vcc
	ds_read_b128 v[26:29], v7
	ds_read_b128 v[18:21], v7 offset:16
	ds_read_b128 v[10:13], v7 offset:2048
	;; [unrolled: 1-line block ×3, first 2 shown]
	s_waitcnt vmcnt(4)
	v_mad_i64_i32 v[36:37], s[12:13], v34, s45, v[30:31]
	s_waitcnt vmcnt(3)
	v_mad_i64_i32 v[34:35], s[12:13], v35, s45, v[30:31]
	global_load_dwordx4 v[30:33], v[32:33], off offset:1024
	v_ashrrev_i32_e32 v42, 4, v39
	v_cmp_gt_i32_e32 vcc, s33, v39
	v_ashrrev_i32_e32 v44, 4, v43
	v_ashrrev_i32_e32 v46, 4, v45
	v_cndmask_b32_e32 v42, v38, v42, vcc
	v_cmp_gt_i32_e32 vcc, s33, v43
	v_ashrrev_i32_e32 v41, 31, v40
	v_lshl_add_u64 v[36:37], v[36:37], 0, v[62:63]
	v_cndmask_b32_e32 v44, v38, v44, vcc
	v_cmp_gt_i32_e32 vcc, s33, v45
	v_lshl_add_u64 v[34:35], v[34:35], 0, v[62:63]
	v_ashrrev_i32_e32 v43, 31, v42
	v_cndmask_b32_e32 v38, v38, v46, vcc
	v_ashrrev_i32_e32 v45, 31, v44
	v_ashrrev_i32_e32 v39, 31, v38
	v_lshl_add_u64 v[50:51], v[40:41], 2, s[6:7]
	v_lshl_add_u64 v[52:53], v[42:43], 2, s[6:7]
	;; [unrolled: 1-line block ×4, first 2 shown]
	global_load_dwordx4 v[46:49], v[36:37], off
	global_load_dwordx4 v[42:45], v[36:37], off offset:1024
	global_load_dwordx4 v[38:41], v[34:35], off
	s_nop 0
	global_load_dwordx4 v[34:37], v[34:35], off offset:1024
	s_nop 0
	global_load_dword v69, v[50:51], off
	global_load_dword v68, v[52:53], off
	;; [unrolled: 1-line block ×4, first 2 shown]
	s_mov_b32 s44, 0x7060302
	s_add_u32 s4, s10, s4
	v_lshl_or_b32 v59, v61, 4, v60
	s_addc_u32 s5, s11, 0
	v_lshlrev_b32_e32 v62, 4, v59
	s_load_dword s8, s[0:1], 0x1c
	s_waitcnt vmcnt(11)
	v_cvt_pk_f32_fp8_e32 v[50:51], v22
	v_cvt_pk_f32_fp8_sdwa v[52:53], v22 src0_sel:WORD_1
	v_cvt_pk_f32_fp8_e32 v[54:55], v23
	v_cvt_pk_f32_fp8_sdwa v[56:57], v23 src0_sel:WORD_1
	;; [unrolled: 2-line block ×4, first 2 shown]
	s_waitcnt vmcnt(9)
	v_cvt_pk_f32_fp8_e32 v[22:23], v2
	v_cvt_pk_f32_fp8_sdwa v[24:25], v2 src0_sel:WORD_1
	v_perm_b32 v50, v51, v50, s44
	v_perm_b32 v51, v53, v52, s44
	v_cvt_pk_f32_fp8_e32 v[78:79], v14
	v_cvt_pk_f32_fp8_sdwa v[80:81], v14 src0_sel:WORD_1
	v_cvt_pk_f32_fp8_e32 v[52:53], v15
	v_cvt_pk_f32_fp8_sdwa v[82:83], v15 src0_sel:WORD_1
	v_perm_b32 v14, v23, v22, s44
	v_perm_b32 v15, v25, v24, s44
	;; [unrolled: 1-line block ×4, first 2 shown]
	s_waitcnt lgkmcnt(0)
	v_mfma_f32_16x16x16_bf16 v[22:25], v[50:51], v[26:27], 0
	v_cvt_pk_f32_fp8_e32 v[50:51], v16
	v_cvt_pk_f32_fp8_sdwa v[86:87], v16 src0_sel:WORD_1
	v_perm_b32 v50, v51, v50, s44
	v_mfma_f32_16x16x16_bf16 v[54:57], v[14:15], v[26:27], 0
	v_perm_b32 v14, v71, v70, s44
	v_perm_b32 v15, v73, v72, s44
	;; [unrolled: 1-line block ×3, first 2 shown]
	v_mfma_f32_16x16x16_bf16 v[22:25], v[84:85], v[28:29], v[22:25]
	v_perm_b32 v73, v77, v76, s44
	v_perm_b32 v76, v79, v78, s44
	;; [unrolled: 1-line block ×3, first 2 shown]
	v_mfma_f32_16x16x16_bf16 v[22:25], v[14:15], v[18:19], v[22:25]
	v_cvt_pk_f32_fp8_e32 v[70:71], v17
	v_cvt_pk_f32_fp8_sdwa v[74:75], v17 src0_sel:WORD_1
	v_perm_b32 v51, v87, v86, s44
	v_mfma_f32_16x16x16_bf16 v[14:17], v[72:73], v[20:21], v[22:25]
	s_waitcnt vmcnt(7)
	v_cvt_pk_f32_fp8_e32 v[72:73], v49
	s_nop 0
	v_perm_b32 v24, v53, v52, s44
	v_perm_b32 v25, v83, v82, s44
	v_mfma_f32_16x16x16_bf16 v[14:17], v[76:77], v[10:11], v[14:17]
	v_cvt_pk_f32_fp8_e32 v[22:23], v3
	v_cvt_pk_f32_fp8_sdwa v[2:3], v3 src0_sel:WORD_1
	v_perm_b32 v52, v71, v70, s44
	v_mfma_f32_16x16x16_bf16 v[14:17], v[24:25], v[12:13], v[14:17]
	v_perm_b32 v53, v75, v74, s44
	v_cvt_pk_f32_fp8_e32 v[24:25], v4
	v_cvt_pk_f32_fp8_sdwa v[70:71], v4 src0_sel:WORD_1
	v_mfma_f32_16x16x16_bf16 v[14:17], v[50:51], v[6:7], v[14:17]
	v_perm_b32 v22, v23, v22, s44
	v_perm_b32 v23, v3, v2, s44
	s_waitcnt vmcnt(6)
	v_cvt_pk_f32_fp8_sdwa v[76:77], v44 src0_sel:WORD_1
	v_mfma_f32_16x16x16_bf16 v[50:53], v[52:53], v[8:9], v[14:17]
	s_nop 2
	v_perm_b32 v14, v25, v24, s44
	v_perm_b32 v15, v71, v70, s44
	v_cvt_pk_f32_fp8_e32 v[16:17], v5
	v_cvt_pk_f32_fp8_sdwa v[24:25], v5 src0_sel:WORD_1
	v_mfma_f32_16x16x16_bf16 v[2:5], v[22:23], v[28:29], v[54:57]
	v_cvt_pk_f32_fp8_sdwa v[22:23], v30 src0_sel:WORD_1
	v_perm_b32 v16, v17, v16, s44
	v_perm_b32 v17, v25, v24, s44
	v_mfma_f32_16x16x16_bf16 v[2:5], v[14:15], v[18:19], v[2:5]
	v_cvt_pk_f32_fp8_e32 v[14:15], v30
	v_cvt_pk_f32_fp8_e32 v[24:25], v32
	v_lshl_add_u64 v[70:71], s[4:5], 0, v[62:63]
	v_mfma_f32_16x16x16_bf16 v[2:5], v[16:17], v[20:21], v[2:5]
	v_cvt_pk_f32_fp8_e32 v[16:17], v31
	v_perm_b32 v14, v15, v14, s44
	v_perm_b32 v15, v23, v22, s44
	v_cvt_pk_f32_fp8_sdwa v[22:23], v31 src0_sel:WORD_1
	v_perm_b32 v16, v17, v16, s44
	v_cvt_pk_f32_fp8_sdwa v[30:31], v32 src0_sel:WORD_1
	v_mfma_f32_16x16x16_bf16 v[2:5], v[14:15], v[10:11], v[2:5]
	v_perm_b32 v17, v23, v22, s44
	v_perm_b32 v14, v25, v24, s44
	v_perm_b32 v15, v31, v30, s44
	v_cvt_pk_f32_fp8_e32 v[22:23], v33
	v_cvt_pk_f32_fp8_sdwa v[24:25], v33 src0_sel:WORD_1
	v_mfma_f32_16x16x16_bf16 v[2:5], v[16:17], v[12:13], v[2:5]
	v_or_b32_e32 v62, 0x400, v62
	v_perm_b32 v16, v23, v22, s44
	v_perm_b32 v17, v25, v24, s44
	v_mfma_f32_16x16x16_bf16 v[2:5], v[14:15], v[6:7], v[2:5]
	v_cvt_pk_f32_fp8_e32 v[14:15], v46
	v_cvt_pk_f32_fp8_sdwa v[22:23], v46 src0_sel:WORD_1
	v_cvt_pk_f32_fp8_sdwa v[24:25], v48 src0_sel:WORD_1
	v_mfma_f32_16x16x16_bf16 v[54:57], v[16:17], v[8:9], v[2:5]
	s_waitcnt vmcnt(3)
	v_mad_i64_i32 v[16:17], s[6:7], v69, s45, v[70:71]
	s_nop 0
	v_perm_b32 v2, v15, v14, s44
	v_perm_b32 v3, v23, v22, s44
	v_cvt_pk_f32_fp8_e32 v[4:5], v47
	v_cvt_pk_f32_fp8_sdwa v[14:15], v47 src0_sel:WORD_1
	s_waitcnt vmcnt(2)
	v_mad_i64_i32 v[46:47], s[6:7], v68, s45, v[70:71]
	v_perm_b32 v22, v5, v4, s44
	v_perm_b32 v23, v15, v14, s44
	v_cvt_pk_f32_fp8_e32 v[14:15], v48
	v_mfma_f32_16x16x16_bf16 v[2:5], v[2:3], v[26:27], 0
	v_cvt_pk_f32_fp8_sdwa v[48:49], v49 src0_sel:WORD_1
	v_perm_b32 v14, v15, v14, s44
	v_perm_b32 v15, v25, v24, s44
	v_mfma_f32_16x16x16_bf16 v[2:5], v[22:23], v[28:29], v[2:5]
	global_load_dwordx4 v[30:33], v[16:17], off
	global_load_dwordx4 v[22:25], v[46:47], off
	v_perm_b32 v16, v73, v72, s44
	v_perm_b32 v17, v49, v48, s44
	v_mfma_f32_16x16x16_bf16 v[2:5], v[14:15], v[18:19], v[2:5]
	v_cvt_pk_f32_fp8_e32 v[14:15], v42
	v_cvt_pk_f32_fp8_sdwa v[46:47], v42 src0_sel:WORD_1
	s_waitcnt vmcnt(3)
	v_mad_i64_i32 v[72:73], s[6:7], v67, s45, v[70:71]
	v_mfma_f32_16x16x16_bf16 v[2:5], v[16:17], v[20:21], v[2:5]
	v_perm_b32 v14, v15, v14, s44
	v_perm_b32 v15, v47, v46, s44
	v_cvt_pk_f32_fp8_e32 v[16:17], v43
	v_cvt_pk_f32_fp8_sdwa v[42:43], v43 src0_sel:WORD_1
	v_mfma_f32_16x16x16_bf16 v[46:49], v[14:15], v[10:11], v[2:5]
	v_perm_b32 v74, v17, v16, s44
	v_perm_b32 v75, v43, v42, s44
	v_cvt_pk_f32_fp8_e32 v[42:43], v44
	s_waitcnt vmcnt(2)
	v_mad_i64_i32 v[70:71], s[6:7], v66, s45, v[70:71]
	global_load_dwordx4 v[14:17], v[72:73], off
	global_load_dwordx4 v[2:5], v[70:71], off
	v_perm_b32 v70, v43, v42, s44
	v_perm_b32 v71, v77, v76, s44
	v_cvt_pk_f32_fp8_e32 v[72:73], v45
	v_cvt_pk_f32_fp8_sdwa v[76:77], v45 src0_sel:WORD_1
	v_mfma_f32_16x16x16_bf16 v[44:47], v[74:75], v[12:13], v[46:49]
	v_lshl_add_u64 v[42:43], s[4:5], 0, v[62:63]
	v_cvt_pk_f32_fp8_e32 v[62:63], v38
	s_load_dword s4, s[40:41], 0x0
	v_perm_b32 v48, v73, v72, s44
	v_perm_b32 v49, v77, v76, s44
	v_mfma_f32_16x16x16_bf16 v[44:47], v[70:71], v[6:7], v[44:47]
	v_cvt_pk_f32_fp8_sdwa v[70:71], v38 src0_sel:WORD_1
	v_perm_b32 v62, v63, v62, s44
	v_cvt_pk_f32_fp8_e32 v[74:75], v40
	v_mfma_f32_16x16x16_bf16 v[46:49], v[48:49], v[8:9], v[44:47]
	v_perm_b32 v63, v71, v70, s44
	v_cvt_pk_f32_fp8_sdwa v[76:77], v40 src0_sel:WORD_1
	s_mov_b32 s40, 0xff7fffff
	v_cvt_pk_f32_fp8_e32 v[44:45], v39
	v_cvt_pk_f32_fp8_sdwa v[38:39], v39 src0_sel:WORD_1
	v_mfma_f32_16x16x16_bf16 v[70:73], v[62:63], v[26:27], 0
	v_cvt_pk_f32_fp8_e32 v[62:63], v41
	v_perm_b32 v44, v45, v44, s44
	v_perm_b32 v45, v39, v38, s44
	;; [unrolled: 1-line block ×4, first 2 shown]
	v_cvt_pk_f32_fp8_sdwa v[40:41], v41 src0_sel:WORD_1
	v_mov_b32_e32 v26, s8
	s_waitcnt lgkmcnt(0)
	v_mul_f32_e32 v74, s4, v26
	v_mfma_f32_16x16x16_bf16 v[26:29], v[44:45], v[28:29], v[70:73]
	v_pk_mul_f32 v[44:45], v[74:75], v[52:53] op_sel_hi:[0,1]
	v_perm_b32 v52, v63, v62, s44
	v_perm_b32 v53, v41, v40, s44
	v_mfma_f32_16x16x16_bf16 v[26:29], v[38:39], v[18:19], v[26:29]
	v_cvt_pk_f32_fp8_e32 v[18:19], v34
	v_cvt_pk_f32_fp8_sdwa v[38:39], v34 src0_sel:WORD_1
	v_pk_mul_f32 v[50:51], v[74:75], v[50:51] op_sel_hi:[0,1]
	v_mfma_f32_16x16x16_bf16 v[26:29], v[52:53], v[20:21], v[26:29]
	v_perm_b32 v20, v19, v18, s44
	v_perm_b32 v21, v39, v38, s44
	v_cvt_pk_f32_fp8_e32 v[38:39], v35
	v_cvt_pk_f32_fp8_sdwa v[34:35], v35 src0_sel:WORD_1
	v_mfma_f32_16x16x16_bf16 v[26:29], v[20:21], v[10:11], v[26:29]
	v_perm_b32 v38, v39, v38, s44
	v_perm_b32 v39, v35, v34, s44
	v_cvt_pk_f32_fp8_e32 v[10:11], v36
	v_cvt_pk_f32_fp8_sdwa v[20:21], v36 src0_sel:WORD_1
	v_pk_mul_f32 v[52:53], v[74:75], v[54:55] op_sel_hi:[0,1]
	v_pk_mul_f32 v[34:35], v[74:75], v[56:57] op_sel_hi:[0,1]
	v_perm_b32 v40, v11, v10, s44
	v_perm_b32 v41, v21, v20, s44
	v_cvt_pk_f32_fp8_e32 v[20:21], v37
	v_cvt_pk_f32_fp8_sdwa v[36:37], v37 src0_sel:WORD_1
	v_mfma_f32_16x16x16_bf16 v[10:13], v[38:39], v[12:13], v[26:29]
	v_pk_mul_f32 v[46:47], v[74:75], v[46:47] op_sel_hi:[0,1]
	v_perm_b32 v20, v21, v20, s44
	v_perm_b32 v21, v37, v36, s44
	v_mfma_f32_16x16x16_bf16 v[10:13], v[40:41], v[6:7], v[10:13]
	v_pk_mul_f32 v[40:41], v[74:75], v[48:49] op_sel_hi:[0,1]
	v_mad_i64_i32 v[18:19], s[4:5], v69, s45, v[42:43]
	v_mfma_f32_16x16x16_bf16 v[6:9], v[20:21], v[8:9], v[10:13]
	v_mad_i64_i32 v[62:63], s[4:5], v68, s45, v[42:43]
	global_load_dwordx4 v[26:29], v[18:19], off
	s_nop 0
	global_load_dwordx4 v[18:21], v[62:63], off
	s_nop 2
	v_pk_mul_f32 v[48:49], v[74:75], v[6:7] op_sel_hi:[0,1]
	v_and_b32_e32 v6, 0xc0, v0
	v_add_u32_e32 v6, s18, v6
	v_lshl_or_b32 v6, v64, 2, v6
	v_pk_mul_f32 v[38:39], v[74:75], v[8:9] op_sel_hi:[0,1]
	v_or_b32_e32 v9, 1, v6
	v_mov_b32_e32 v7, 0xff7fffff
	v_cmp_gt_i32_e64 s[26:27], s33, v6
	v_cmp_gt_i32_e64 s[28:29], s33, v9
	v_or_b32_e32 v10, 3, v6
	v_cndmask_b32_e64 v8, v7, v50, s[26:27]
	v_cndmask_b32_e64 v9, v7, v51, s[28:29]
	v_max3_f32 v8, v8, s40, v9
	v_or_b32_e32 v9, 2, v6
	v_cmp_gt_i32_e64 s[30:31], s33, v9
	v_cmp_gt_i32_e64 s[34:35], s33, v10
	s_nop 0
	v_cndmask_b32_e64 v9, v7, v44, s[30:31]
	v_cndmask_b32_e64 v10, v7, v45, s[34:35]
	v_max3_f32 v8, v8, v9, v10
	v_or_b32_e32 v9, 16, v6
	v_or_b32_e32 v10, 17, v6
	v_cmp_gt_i32_e64 s[18:19], s33, v9
	v_cmp_gt_i32_e64 s[20:21], s33, v10
	s_nop 0
	v_cndmask_b32_e64 v9, v7, v52, s[18:19]
	v_cndmask_b32_e64 v10, v7, v53, s[20:21]
	v_max3_f32 v8, v8, v9, v10
	v_or_b32_e32 v9, 18, v6
	;; [unrolled: 8-line block ×5, first 2 shown]
	v_or_b32_e32 v10, 49, v6
	v_cmp_gt_i32_e32 vcc, s33, v9
	v_cmp_gt_i32_e64 s[4:5], s33, v10
	s_nop 0
	v_cndmask_b32_e32 v9, v7, v48, vcc
	v_cndmask_b32_e64 v10, v7, v49, s[4:5]
	v_max3_f32 v8, v8, v9, v10
	v_or_b32_e32 v9, 50, v6
	v_or_b32_e32 v6, 51, v6
	v_cmp_gt_i32_e64 s[6:7], s33, v9
	v_cmp_gt_i32_e64 s[8:9], s33, v6
	s_nop 0
	v_cndmask_b32_e64 v9, v7, v38, s[6:7]
	v_cndmask_b32_e64 v6, v7, v39, s[8:9]
	v_max3_f32 v8, v8, v9, v6
	v_mbcnt_lo_u32_b32 v6, -1, 0
	v_mbcnt_hi_u32_b32 v9, -1, v6
	v_and_b32_e32 v6, 64, v9
	v_add_u32_e32 v10, 64, v6
	v_xor_b32_e32 v6, 32, v9
	v_cmp_lt_i32_e64 s[38:39], v6, v10
	s_nop 1
	v_cndmask_b32_e64 v6, v9, v6, s[38:39]
	v_lshlrev_b32_e32 v55, 2, v6
	ds_bpermute_b32 v11, v55, v8
	v_mad_i64_i32 v[6:7], s[38:39], v67, s45, v[42:43]
	s_waitcnt lgkmcnt(0)
	v_max_f32_e32 v11, v11, v11
	v_max_f32_e32 v36, v8, v11
	v_xor_b32_e32 v8, 16, v9
	v_cmp_lt_i32_e64 s[38:39], v8, v10
	s_nop 1
	v_cndmask_b32_e64 v8, v9, v8, s[38:39]
	v_lshlrev_b32_e32 v56, 2, v8
	v_mad_i64_i32 v[8:9], s[38:39], v66, s45, v[42:43]
	global_load_dwordx4 v[10:13], v[6:7], off
	s_nop 0
	global_load_dwordx4 v[6:9], v[8:9], off
	ds_bpermute_b32 v37, v56, v36
	s_waitcnt lgkmcnt(0)
	s_barrier
	v_max_f32_e32 v37, v37, v37
	v_max_f32_e32 v54, v36, v37
	v_sub_f32_e32 v42, v44, v54
	v_mul_f32_e32 v42, 0x3fb8aa3b, v42
	v_exp_f32_e32 v42, v42
	v_sub_f32_e32 v43, v45, v54
	v_mul_f32_e32 v43, 0x3fb8aa3b, v43
	v_exp_f32_e32 v43, v43
	v_cndmask_b32_e64 v44, 0, v42, s[30:31]
	v_sub_f32_e32 v42, v52, v54
	v_sub_f32_e32 v34, v34, v54
	v_mul_f32_e32 v42, 0x3fb8aa3b, v42
	v_mul_f32_e32 v34, 0x3fb8aa3b, v34
	v_sub_f32_e32 v36, v50, v54
	v_exp_f32_e32 v42, v42
	v_exp_f32_e32 v50, v34
	v_cndmask_b32_e64 v45, 0, v43, s[34:35]
	v_sub_f32_e32 v43, v53, v54
	v_sub_f32_e32 v34, v35, v54
	v_sub_f32_e32 v46, v46, v54
	v_sub_f32_e32 v40, v40, v54
	v_mul_f32_e32 v43, 0x3fb8aa3b, v43
	v_mul_f32_e32 v34, 0x3fb8aa3b, v34
	;; [unrolled: 1-line block ×4, first 2 shown]
	v_sub_f32_e32 v37, v51, v54
	v_exp_f32_e32 v43, v43
	v_exp_f32_e32 v51, v34
	v_cndmask_b32_e64 v34, 0, v42, s[18:19]
	v_cndmask_b32_e64 v42, 0, v50, s[22:23]
	v_exp_f32_e32 v46, v46
	v_exp_f32_e32 v50, v40
	v_mul_f32_e32 v36, 0x3fb8aa3b, v36
	v_sub_f32_e32 v47, v47, v54
	v_sub_f32_e32 v40, v41, v54
	;; [unrolled: 1-line block ×4, first 2 shown]
	v_exp_f32_e32 v36, v36
	v_mul_f32_e32 v37, 0x3fb8aa3b, v37
	v_mul_f32_e32 v47, 0x3fb8aa3b, v47
	;; [unrolled: 1-line block ×5, first 2 shown]
	v_exp_f32_e32 v37, v37
	v_cndmask_b32_e64 v35, 0, v43, s[20:21]
	v_cndmask_b32_e64 v43, 0, v51, s[36:37]
	v_exp_f32_e32 v47, v47
	v_exp_f32_e32 v51, v40
	v_cndmask_b32_e64 v40, 0, v46, s[10:11]
	v_cndmask_b32_e64 v46, 0, v50, s[14:15]
	v_exp_f32_e32 v48, v48
	v_exp_f32_e32 v50, v38
	v_sub_f32_e32 v38, v39, v54
	v_cndmask_b32_e64 v36, 0, v36, s[26:27]
	v_mul_f32_e32 v38, 0x3fb8aa3b, v38
	v_cndmask_b32_e64 v37, 0, v37, s[28:29]
	v_cndmask_b32_e64 v41, 0, v47, s[12:13]
	;; [unrolled: 1-line block ×3, first 2 shown]
	v_exp_f32_e32 v51, v38
	v_cndmask_b32_e32 v38, 0, v48, vcc
	v_cndmask_b32_e64 v48, 0, v50, s[6:7]
	v_add_f32_e32 v50, 0, v36
	v_add_f32_e32 v50, v50, v37
	;; [unrolled: 1-line block ×6, first 2 shown]
	v_sub_f32_e32 v49, v49, v54
	v_add_f32_e32 v50, v50, v42
	v_mul_f32_e32 v49, 0x3fb8aa3b, v49
	v_add_f32_e32 v50, v50, v43
	v_exp_f32_e32 v49, v49
	v_add_f32_e32 v50, v50, v40
	v_add_f32_e32 v50, v50, v41
	;; [unrolled: 1-line block ×4, first 2 shown]
	v_cndmask_b32_e64 v39, 0, v49, s[4:5]
	v_add_f32_e32 v50, v50, v38
	v_add_f32_e32 v50, v50, v39
	v_cndmask_b32_e64 v49, 0, v51, s[8:9]
	v_add_f32_e32 v50, v50, v48
	v_add_f32_e32 v50, v50, v49
	ds_bpermute_b32 v51, v55, v50
	v_cmp_gt_u32_e32 vcc, 16, v65
	s_waitcnt lgkmcnt(0)
	v_add_f32_e32 v50, v50, v51
	ds_bpermute_b32 v51, v56, v50
	s_and_saveexec_b64 s[4:5], vcc
	s_cbranch_execz .LBB1282_13
; %bb.12:
	s_waitcnt lgkmcnt(0)
	v_add_f32_e32 v50, v50, v51
	v_lshlrev_b32_e32 v51, 2, v59
	ds_write2st64_b32 v51, v54, v50 offset1:1
.LBB1282_13:
	s_or_b64 exec, exec, s[4:5]
	s_waitcnt lgkmcnt(0)
	v_lshlrev_b32_e32 v51, 2, v60
	s_load_dword s6, s[0:1], 0x94
	s_waitcnt lgkmcnt(0)
	s_barrier
	ds_read2_b32 v[52:53], v51 offset1:16
	ds_read2_b32 v[54:55], v51 offset0:32 offset1:48
	ds_read2_b32 v[56:57], v51 offset0:64 offset1:80
	s_movk_i32 s8, 0x7fff
	s_mul_i32 s7, s25, 15
	s_waitcnt lgkmcnt(2)
	v_max3_f32 v50, v52, s40, v53
	s_waitcnt lgkmcnt(1)
	v_max3_f32 v50, v50, v54, v55
	v_sub_f32_e32 v52, v52, v50
	v_mul_f32_e32 v52, 0x3fb8aa3b, v52
	v_exp_f32_e32 v59, v52
	v_sub_f32_e32 v52, v53, v50
	v_mul_f32_e32 v52, 0x3fb8aa3b, v52
	v_exp_f32_e32 v62, v52
	;; [unrolled: 3-line block ×3, first 2 shown]
	ds_read2_b32 v[52:53], v51 offset0:96 offset1:112
	v_sub_f32_e32 v51, v55, v50
	v_mul_f32_e32 v51, 0x3fb8aa3b, v51
	v_exp_f32_e32 v55, v51
	s_waitcnt lgkmcnt(1)
	v_fma_f32 v51, v59, v56, 0
	v_fmac_f32_e32 v51, v62, v57
	s_waitcnt lgkmcnt(0)
	v_fmac_f32_e32 v51, v54, v52
	v_fmac_f32_e32 v51, v55, v53
	v_add_f32_e32 v52, 0x358637bd, v51
	v_div_scale_f32 v53, s[4:5], v52, v52, 1.0
	v_rcp_f32_e32 v56, v53
	s_barrier
	v_fma_f32 v57, -v53, v56, 1.0
	v_fmac_f32_e32 v56, v57, v56
	v_div_scale_f32 v57, vcc, 1.0, v52, 1.0
	v_mul_f32_e32 v63, v57, v56
	v_fma_f32 v65, -v53, v63, v57
	v_fmac_f32_e32 v63, v65, v56
	v_fma_f32 v53, -v53, v63, v57
	v_div_fmas_f32 v53, v53, v56, v63
	v_cmp_eq_u32_e32 vcc, 1, v61
	v_div_fixup_f32 v52, v53, v52, 1.0
	s_nop 0
	v_cndmask_b32_e32 v53, v59, v62, vcc
	v_cmp_eq_u32_e32 vcc, 2, v61
	s_nop 1
	v_cndmask_b32_e32 v53, v53, v54, vcc
	v_cmp_eq_u32_e32 vcc, 3, v61
	s_nop 1
	v_cndmask_b32_e32 v53, v53, v55, vcc
	v_mul_f32_e32 v52, v53, v52
	v_pk_mul_f32 v[36:37], v[52:53], v[36:37] op_sel_hi:[0,1]
	v_pk_mul_f32 v[44:45], v[52:53], v[44:45] op_sel_hi:[0,1]
	v_bfe_u32 v53, v37, 16, 1
	v_bfe_u32 v54, v36, 16, 1
	v_add3_u32 v36, v36, v54, s8
	v_add3_u32 v37, v37, v53, s8
	v_perm_b32 v56, v37, v36, s44
	v_bfe_u32 v36, v45, 16, 1
	v_bfe_u32 v37, v44, 16, 1
	v_add3_u32 v37, v44, v37, s8
	v_add3_u32 v36, v45, v36, s8
	v_perm_b32 v57, v36, v37, s44
	v_lshlrev_b32_e32 v37, 3, v64
	v_lshlrev_b32_e32 v36, 5, v60
	;; [unrolled: 1-line block ×3, first 2 shown]
	v_pk_mul_f32 v[34:35], v[52:53], v[34:35] op_sel_hi:[0,1]
	v_or3_b32 v54, v44, v36, v37
	v_bfe_u32 v37, v35, 16, 1
	v_bfe_u32 v44, v34, 16, 1
	v_pk_mul_f32 v[42:43], v[52:53], v[42:43] op_sel_hi:[0,1]
	v_add3_u32 v34, v34, v44, s8
	v_add3_u32 v35, v35, v37, s8
	v_perm_b32 v34, v35, v34, s44
	v_bfe_u32 v35, v43, 16, 1
	v_bfe_u32 v37, v42, 16, 1
	v_add3_u32 v37, v42, v37, s8
	v_add3_u32 v35, v43, v35, s8
	v_pk_mul_f32 v[40:41], v[52:53], v[40:41] op_sel_hi:[0,1]
	v_perm_b32 v35, v35, v37, s44
	v_bfe_u32 v37, v41, 16, 1
	v_bfe_u32 v42, v40, 16, 1
	ds_write2st64_b64 v54, v[56:57], v[34:35] offset1:1
	v_pk_mul_f32 v[34:35], v[52:53], v[46:47] op_sel_hi:[0,1]
	v_add3_u32 v40, v40, v42, s8
	v_add3_u32 v37, v41, v37, s8
	v_perm_b32 v40, v37, v40, s44
	v_bfe_u32 v37, v35, 16, 1
	v_bfe_u32 v41, v34, 16, 1
	v_pk_mul_f32 v[38:39], v[52:53], v[38:39] op_sel_hi:[0,1]
	v_add3_u32 v34, v34, v41, s8
	v_add3_u32 v35, v35, v37, s8
	v_bfe_u32 v37, v39, 16, 1
	v_bfe_u32 v42, v38, 16, 1
	v_perm_b32 v41, v35, v34, s44
	v_pk_mul_f32 v[34:35], v[52:53], v[48:49] op_sel_hi:[0,1]
	v_add3_u32 v38, v38, v42, s8
	v_add3_u32 v37, v39, v37, s8
	v_perm_b32 v38, v37, v38, s44
	v_bfe_u32 v37, v35, 16, 1
	v_bfe_u32 v39, v34, 16, 1
	v_add3_u32 v34, v34, v39, s8
	v_add3_u32 v35, v35, v37, s8
	v_perm_b32 v39, v35, v34, s44
	v_cmp_gt_u32_e32 vcc, 15, v0
	ds_write2st64_b64 v54, v[40:41], v[38:39] offset0:2 offset1:3
	s_and_saveexec_b64 s[4:5], vcc
	s_cbranch_execz .LBB1282_15
; %bb.14:
	s_mov_b32 s49, 0
	v_mov_b32_e32 v61, 0
	v_lshl_add_u64 v[34:35], s[48:49], 0, v[60:61]
	v_mov_b32_e32 v37, s7
	v_mad_u64_u32 v[34:35], s[10:11], s2, v37, v[34:35]
	s_mul_i32 s3, s3, s7
	v_mov_b32_e32 v38, s24
	v_mov_b32_e32 v39, v61
	s_load_dwordx4 s[12:15], s[0:1], 0x58
	v_add_u32_e32 v37, s3, v35
	v_mad_u64_u32 v[34:35], s[10:11], v34, s6, v[38:39]
	v_mov_b32_e32 v38, v35
	v_mad_u64_u32 v[38:39], s[10:11], v37, s6, v[38:39]
	v_mov_b32_e32 v35, v38
	v_lshlrev_b64 v[34:35], 2, v[34:35]
	s_waitcnt lgkmcnt(0)
	v_lshl_add_u64 v[38:39], s[14:15], 0, v[34:35]
	v_lshl_add_u64 v[34:35], s[12:13], 0, v[34:35]
	global_store_dword v[38:39], v50, off
	global_store_dword v[34:35], v51, off
.LBB1282_15:
	s_or_b64 exec, exec, s[4:5]
	v_lshl_or_b32 v50, v64, 9, v36
	s_waitcnt vmcnt(7)
	v_cvt_pk_f32_fp8_e32 v[34:35], v30
	v_cvt_pk_f32_fp8_sdwa v[36:37], v30 src0_sel:WORD_1
	s_mov_b32 s5, 0x7060302
	s_waitcnt lgkmcnt(0)
	s_barrier
	v_cvt_pk_f32_fp8_e32 v[38:39], v31
	v_perm_b32 v30, v35, v34, s5
	v_cvt_pk_f32_fp8_sdwa v[40:41], v31 src0_sel:WORD_1
	v_perm_b32 v31, v37, v36, s5
	ds_read_b128 v[34:37], v50
	v_perm_b32 v46, v39, v38, s5
	v_perm_b32 v47, v41, v40, s5
	ds_read_b128 v[38:41], v50 offset:16
	v_cvt_pk_f32_fp8_e32 v[48:49], v32
	v_cvt_pk_f32_fp8_sdwa v[52:53], v32 src0_sel:WORD_1
	s_waitcnt lgkmcnt(1)
	v_mfma_f32_16x16x16_bf16 v[42:45], v[30:31], v[34:35], 0
	s_waitcnt vmcnt(6)
	v_cvt_pk_f32_fp8_e32 v[56:57], v24
	v_perm_b32 v30, v49, v48, s5
	v_perm_b32 v31, v53, v52, s5
	v_cvt_pk_f32_fp8_e32 v[48:49], v33
	v_mfma_f32_16x16x16_bf16 v[42:45], v[46:47], v[36:37], v[42:45]
	v_cvt_pk_f32_fp8_sdwa v[46:47], v33 src0_sel:WORD_1
	v_cvt_pk_f32_fp8_sdwa v[62:63], v24 src0_sel:WORD_1
	v_perm_b32 v48, v49, v48, s5
	s_waitcnt lgkmcnt(0)
	v_mfma_f32_16x16x16_bf16 v[30:33], v[30:31], v[38:39], v[42:45]
	v_perm_b32 v49, v47, v46, s5
	s_waitcnt vmcnt(4)
	v_cvt_pk_f32_fp8_sdwa v[70:71], v4 src0_sel:WORD_1
	s_load_dword s4, s[42:43], 0x0
	v_cvt_pk_f32_fp8_e32 v[42:43], v22
	v_mfma_f32_16x16x16_bf16 v[46:49], v[48:49], v[40:41], v[30:33]
	s_waitcnt vmcnt(3)
	v_cvt_pk_f32_fp8_sdwa v[72:73], v28 src0_sel:WORD_1
	s_mov_b32 s3, 0
	v_cvt_pk_f32_fp8_sdwa v[30:31], v22 src0_sel:WORD_1
	v_cvt_pk_f32_fp8_e32 v[32:33], v23
	v_perm_b32 v22, v43, v42, s5
	v_cvt_pk_f32_fp8_sdwa v[42:43], v23 src0_sel:WORD_1
	v_perm_b32 v23, v31, v30, s5
	v_perm_b32 v52, v33, v32, s5
	ds_read_b128 v[30:33], v50 offset:2048
	v_perm_b32 v53, v43, v42, s5
	ds_read_b128 v[42:45], v50 offset:2064
	s_waitcnt lgkmcnt(0)
	v_mfma_f32_16x16x16_bf16 v[46:49], v[22:23], v[30:31], v[46:49]
	v_perm_b32 v22, v57, v56, s5
	v_perm_b32 v23, v63, v62, s5
	v_cvt_pk_f32_fp8_e32 v[56:57], v25
	v_mfma_f32_16x16x16_bf16 v[46:49], v[52:53], v[32:33], v[46:49]
	v_cvt_pk_f32_fp8_sdwa v[52:53], v25 src0_sel:WORD_1
	v_cvt_pk_f32_fp8_sdwa v[62:63], v16 src0_sel:WORD_1
	v_perm_b32 v56, v57, v56, s5
	v_mfma_f32_16x16x16_bf16 v[22:25], v[22:23], v[42:43], v[46:49]
	v_perm_b32 v57, v53, v52, s5
	v_cmp_gt_u32_e32 vcc, 64, v0
	s_nop 0
	v_cvt_pk_f32_fp8_e32 v[46:47], v14
	v_mfma_f32_16x16x16_bf16 v[66:69], v[56:57], v[44:45], v[22:25]
	v_cvt_pk_f32_fp8_e32 v[56:57], v16
	s_nop 1
	v_cvt_pk_f32_fp8_sdwa v[22:23], v14 src0_sel:WORD_1
	v_cvt_pk_f32_fp8_e32 v[24:25], v15
	v_perm_b32 v14, v47, v46, s5
	v_cvt_pk_f32_fp8_sdwa v[46:47], v15 src0_sel:WORD_1
	v_perm_b32 v15, v23, v22, s5
	v_perm_b32 v52, v25, v24, s5
	ds_read_b128 v[22:25], v50 offset:4096
	v_perm_b32 v53, v47, v46, s5
	ds_read_b128 v[46:49], v50 offset:4112
	s_waitcnt lgkmcnt(1)
	v_mfma_f32_16x16x16_bf16 v[66:69], v[14:15], v[22:23], v[66:69]
	v_perm_b32 v14, v57, v56, s5
	v_perm_b32 v15, v63, v62, s5
	v_cvt_pk_f32_fp8_e32 v[56:57], v17
	v_mfma_f32_16x16x16_bf16 v[66:69], v[52:53], v[24:25], v[66:69]
	v_cvt_pk_f32_fp8_sdwa v[52:53], v17 src0_sel:WORD_1
	v_cvt_pk_f32_fp8_e32 v[62:63], v4
	v_perm_b32 v56, v57, v56, s5
	s_waitcnt lgkmcnt(0)
	v_mfma_f32_16x16x16_bf16 v[14:17], v[14:15], v[46:47], v[66:69]
	v_perm_b32 v57, v53, v52, s5
	v_cvt_pk_f32_fp8_e32 v[52:53], v2
	s_nop 0
	v_mfma_f32_16x16x16_bf16 v[66:69], v[56:57], v[48:49], v[14:17]
	s_nop 2
	v_cvt_pk_f32_fp8_sdwa v[14:15], v2 src0_sel:WORD_1
	v_cvt_pk_f32_fp8_e32 v[16:17], v3
	v_perm_b32 v2, v53, v52, s5
	v_cvt_pk_f32_fp8_sdwa v[52:53], v3 src0_sel:WORD_1
	v_perm_b32 v3, v15, v14, s5
	v_perm_b32 v56, v17, v16, s5
	ds_read_b128 v[14:17], v50 offset:6144
	v_perm_b32 v57, v53, v52, s5
	s_waitcnt lgkmcnt(0)
	v_mfma_f32_16x16x16_bf16 v[66:69], v[2:3], v[14:15], v[66:69]
	ds_read_b128 v[50:53], v50 offset:6160
	v_perm_b32 v2, v63, v62, s5
	v_perm_b32 v3, v71, v70, s5
	v_cvt_pk_f32_fp8_e32 v[62:63], v5
	v_mfma_f32_16x16x16_bf16 v[66:69], v[56:57], v[16:17], v[66:69]
	v_cvt_pk_f32_fp8_sdwa v[56:57], v5 src0_sel:WORD_1
	v_cvt_pk_f32_fp8_e32 v[70:71], v28
	v_perm_b32 v62, v63, v62, s5
	s_waitcnt lgkmcnt(0)
	v_mfma_f32_16x16x16_bf16 v[2:5], v[2:3], v[50:51], v[66:69]
	v_perm_b32 v63, v57, v56, s5
	v_cvt_pk_f32_fp8_sdwa v[56:57], v26 src0_sel:WORD_1
	s_nop 0
	v_mfma_f32_16x16x16_bf16 v[66:69], v[62:63], v[52:53], v[2:5]
	s_barrier
	s_nop 1
	v_cvt_pk_f32_fp8_e32 v[4:5], v26
	s_nop 2
	v_pk_mul_f32 v[62:63], v[66:67], s[4:5] op_sel_hi:[1,0]
	v_cvt_pk_f32_fp8_e32 v[66:67], v27
	v_perm_b32 v4, v5, v4, s5
	v_perm_b32 v5, v57, v56, s5
	v_cvt_pk_f32_fp8_sdwa v[26:27], v27 src0_sel:WORD_1
	v_perm_b32 v56, v67, v66, s5
	v_pk_mul_f32 v[2:3], v[68:69], s[4:5] op_sel_hi:[1,0]
	v_mfma_f32_16x16x16_bf16 v[66:69], v[4:5], v[34:35], 0
	v_perm_b32 v57, v27, v26, s5
	v_perm_b32 v4, v71, v70, s5
	;; [unrolled: 1-line block ×3, first 2 shown]
	v_cvt_pk_f32_fp8_e32 v[34:35], v29
	v_cvt_pk_f32_fp8_sdwa v[70:71], v29 src0_sel:WORD_1
	v_mfma_f32_16x16x16_bf16 v[26:29], v[56:57], v[36:37], v[66:69]
	s_waitcnt vmcnt(2)
	v_cvt_pk_f32_fp8_sdwa v[36:37], v18 src0_sel:WORD_1
	v_perm_b32 v34, v35, v34, s5
	v_perm_b32 v35, v71, v70, s5
	v_mfma_f32_16x16x16_bf16 v[26:29], v[4:5], v[38:39], v[26:29]
	v_cvt_pk_f32_fp8_e32 v[4:5], v18
	v_cvt_pk_f32_fp8_sdwa v[38:39], v20 src0_sel:WORD_1
	v_bfe_u32 v55, v63, 16, 1
	v_mfma_f32_16x16x16_bf16 v[26:29], v[34:35], v[40:41], v[26:29]
	v_cvt_pk_f32_fp8_e32 v[34:35], v19
	v_perm_b32 v4, v5, v4, s5
	v_perm_b32 v5, v37, v36, s5
	v_cvt_pk_f32_fp8_sdwa v[18:19], v19 src0_sel:WORD_1
	v_perm_b32 v34, v35, v34, s5
	v_cvt_pk_f32_fp8_e32 v[36:37], v20
	v_mfma_f32_16x16x16_bf16 v[26:29], v[4:5], v[30:31], v[26:29]
	v_perm_b32 v35, v19, v18, s5
	v_perm_b32 v4, v37, v36, s5
	;; [unrolled: 1-line block ×3, first 2 shown]
	v_cvt_pk_f32_fp8_e32 v[30:31], v21
	v_cvt_pk_f32_fp8_sdwa v[36:37], v21 src0_sel:WORD_1
	v_mfma_f32_16x16x16_bf16 v[18:21], v[34:35], v[32:33], v[26:29]
	v_bfe_u32 v56, v62, 16, 1
	v_add3_u32 v32, v62, v56, s8
	v_add3_u32 v33, v63, v55, s8
	v_perm_b32 v26, v31, v30, s5
	v_perm_b32 v27, v37, v36, s5
	v_mfma_f32_16x16x16_bf16 v[18:21], v[4:5], v[42:43], v[18:21]
	s_waitcnt vmcnt(1)
	v_cvt_pk_f32_fp8_e32 v[4:5], v10
	v_cvt_pk_f32_fp8_sdwa v[28:29], v10 src0_sel:WORD_1
	v_cvt_pk_f32_fp8_sdwa v[30:31], v12 src0_sel:WORD_1
	v_mfma_f32_16x16x16_bf16 v[18:21], v[26:27], v[44:45], v[18:21]
	v_cvt_pk_f32_fp8_e32 v[26:27], v11
	v_perm_b32 v4, v5, v4, s5
	v_perm_b32 v5, v29, v28, s5
	v_cvt_pk_f32_fp8_sdwa v[10:11], v11 src0_sel:WORD_1
	v_perm_b32 v26, v27, v26, s5
	v_cvt_pk_f32_fp8_e32 v[28:29], v12
	v_mfma_f32_16x16x16_bf16 v[18:21], v[4:5], v[22:23], v[18:21]
	v_perm_b32 v27, v11, v10, s5
	v_perm_b32 v4, v29, v28, s5
	;; [unrolled: 1-line block ×3, first 2 shown]
	v_cvt_pk_f32_fp8_e32 v[22:23], v13
	v_cvt_pk_f32_fp8_sdwa v[28:29], v13 src0_sel:WORD_1
	v_mfma_f32_16x16x16_bf16 v[10:13], v[26:27], v[24:25], v[18:21]
	s_waitcnt vmcnt(0)
	v_cvt_pk_f32_fp8_sdwa v[24:25], v8 src0_sel:WORD_1
	s_nop 0
	v_perm_b32 v20, v23, v22, s5
	v_perm_b32 v21, v29, v28, s5
	v_mfma_f32_16x16x16_bf16 v[10:13], v[4:5], v[46:47], v[10:13]
	v_cvt_pk_f32_fp8_e32 v[4:5], v6
	v_cvt_pk_f32_fp8_sdwa v[22:23], v6 src0_sel:WORD_1
	v_bfe_u32 v19, v3, 16, 1
	v_mfma_f32_16x16x16_bf16 v[10:13], v[20:21], v[48:49], v[10:13]
	v_cvt_pk_f32_fp8_e32 v[20:21], v7
	v_perm_b32 v4, v5, v4, s5
	v_perm_b32 v5, v23, v22, s5
	v_cvt_pk_f32_fp8_sdwa v[6:7], v7 src0_sel:WORD_1
	v_perm_b32 v20, v21, v20, s5
	v_cvt_pk_f32_fp8_e32 v[22:23], v8
	v_add3_u32 v3, v3, v19, s8
	v_perm_b32 v21, v7, v6, s5
	v_mfma_f32_16x16x16_bf16 v[4:7], v[4:5], v[14:15], v[10:13]
	v_bfe_u32 v14, v2, 16, 1
	v_add3_u32 v2, v2, v14, s8
	v_perm_b32 v19, v3, v2, s5
	v_perm_b32 v10, v23, v22, s5
	;; [unrolled: 1-line block ×3, first 2 shown]
	v_cvt_pk_f32_fp8_e32 v[12:13], v9
	v_cvt_pk_f32_fp8_sdwa v[8:9], v9 src0_sel:WORD_1
	v_mfma_f32_16x16x16_bf16 v[4:7], v[20:21], v[16:17], v[4:7]
	v_perm_b32 v18, v33, v32, s5
	v_perm_b32 v12, v13, v12, s5
	;; [unrolled: 1-line block ×3, first 2 shown]
	v_mfma_f32_16x16x16_bf16 v[4:7], v[10:11], v[50:51], v[4:7]
	s_nop 0
	v_mfma_f32_16x16x16_bf16 v[2:5], v[12:13], v[52:53], v[4:7]
	s_nop 6
	v_pk_mul_f32 v[2:3], v[2:3], s[4:5] op_sel_hi:[1,0]
	v_pk_mul_f32 v[4:5], v[4:5], s[4:5] op_sel_hi:[1,0]
	v_bfe_u32 v6, v3, 16, 1
	v_bfe_u32 v7, v2, 16, 1
	v_add3_u32 v2, v2, v7, s8
	v_add3_u32 v3, v3, v6, s8
	v_perm_b32 v2, v3, v2, s5
	v_bfe_u32 v3, v5, 16, 1
	v_bfe_u32 v6, v4, 16, 1
	v_add3_u32 v4, v4, v6, s8
	v_add3_u32 v3, v5, v3, s8
	v_perm_b32 v3, v3, v4, s5
	ds_write2st64_b64 v54, v[18:19], v[2:3] offset1:1
	s_waitcnt lgkmcnt(0)
	s_barrier
	s_and_saveexec_b64 s[4:5], vcc
	s_cbranch_execz .LBB1282_18
; %bb.16:
	s_load_dwordx2 s[4:5], s[0:1], 0x68
	s_lshl_b32 s0, s6, 7
	s_mul_i32 s1, s7, s2
	v_lshlrev_b32_e32 v3, 6, v60
	s_mul_hi_u32 s7, s1, s0
	s_mul_i32 s6, s1, s0
	v_lshl_or_b32 v0, v0, 10, v3
	s_lshl_b64 s[6:7], s[6:7], 1
	v_lshlrev_b32_e32 v2, 5, v64
	v_and_b32_e32 v1, 16, v1
	v_and_b32_e32 v0, 0x1a00, v0
	s_waitcnt lgkmcnt(0)
	s_add_u32 s1, s4, s6
	v_or3_b32 v2, v0, v2, v1
	s_addc_u32 s4, s5, s7
	s_lshl_b32 s2, s24, 7
	ds_read_b128 v[4:7], v2 offset:256
	s_lshl_b64 s[2:3], s[2:3], 1
	ds_read_b128 v[8:11], v2 offset:128
	ds_read_b128 v[12:15], v2
	s_add_u32 s2, s1, s2
	s_addc_u32 s3, s4, s3
	v_mov_b32_e32 v59, 0
	v_add_u32_e32 v3, s48, v64
	v_lshl_add_u64 v[0:1], s[2:3], 0, v[58:59]
	v_mad_u64_u32 v[16:17], s[2:3], v3, s0, 0
	v_lshl_add_u64 v[16:17], v[16:17], 1, v[0:1]
	s_waitcnt lgkmcnt(0)
	global_store_dwordx4 v[16:17], v[12:15], off
	v_cmp_ne_u32_e32 vcc, 3, v64
	s_nop 0
	v_add_u32_e32 v12, 4, v3
	v_mad_u64_u32 v[12:13], s[2:3], v12, s0, 0
	v_lshl_add_u64 v[12:13], v[12:13], 1, v[0:1]
	v_add_u32_e32 v3, 8, v3
	global_store_dwordx4 v[12:13], v[8:11], off
	s_nop 1
	v_mad_u64_u32 v[8:9], s[2:3], v3, s0, 0
	v_lshl_add_u64 v[8:9], v[8:9], 1, v[0:1]
	global_store_dwordx4 v[8:9], v[4:7], off
	s_and_b64 exec, exec, vcc
	s_cbranch_execz .LBB1282_18
; %bb.17:
	ds_read_b128 v[2:5], v2 offset:384
	v_add3_u32 v6, s48, v64, 12
	v_mad_u64_u32 v[6:7], s[0:1], v6, s0, 0
	v_lshl_add_u64 v[0:1], v[6:7], 1, v[0:1]
	s_waitcnt lgkmcnt(0)
	global_store_dwordx4 v[0:1], v[2:5], off
.LBB1282_18:
	s_endpgm
	.section	.rodata,"a",@progbits
	.p2align	6, 0x0
	.amdhsa_kernel _Z39paged_attention_ll4mi_QKV_mfma16_kernelI14__hip_bfloat16hLN4vllm18Fp8KVCacheDataTypeE1EhLi16ELi128ELi256ELb0ELi15EEvPKT_PKT0_S8_ifPKiSA_SA_iPKfiiiPfSD_PS3_PT2_iSC_SC_
		.amdhsa_group_segment_fixed_size 8192
		.amdhsa_private_segment_fixed_size 0
		.amdhsa_kernarg_size 400
		.amdhsa_user_sgpr_count 2
		.amdhsa_user_sgpr_dispatch_ptr 0
		.amdhsa_user_sgpr_queue_ptr 0
		.amdhsa_user_sgpr_kernarg_segment_ptr 1
		.amdhsa_user_sgpr_dispatch_id 0
		.amdhsa_user_sgpr_kernarg_preload_length 0
		.amdhsa_user_sgpr_kernarg_preload_offset 0
		.amdhsa_user_sgpr_private_segment_size 0
		.amdhsa_uses_dynamic_stack 0
		.amdhsa_enable_private_segment 0
		.amdhsa_system_sgpr_workgroup_id_x 1
		.amdhsa_system_sgpr_workgroup_id_y 1
		.amdhsa_system_sgpr_workgroup_id_z 1
		.amdhsa_system_sgpr_workgroup_info 0
		.amdhsa_system_vgpr_workitem_id 0
		.amdhsa_next_free_vgpr 88
		.amdhsa_next_free_sgpr 50
		.amdhsa_accum_offset 88
		.amdhsa_reserve_vcc 1
		.amdhsa_float_round_mode_32 0
		.amdhsa_float_round_mode_16_64 0
		.amdhsa_float_denorm_mode_32 3
		.amdhsa_float_denorm_mode_16_64 3
		.amdhsa_dx10_clamp 1
		.amdhsa_ieee_mode 1
		.amdhsa_fp16_overflow 0
		.amdhsa_tg_split 0
		.amdhsa_exception_fp_ieee_invalid_op 0
		.amdhsa_exception_fp_denorm_src 0
		.amdhsa_exception_fp_ieee_div_zero 0
		.amdhsa_exception_fp_ieee_overflow 0
		.amdhsa_exception_fp_ieee_underflow 0
		.amdhsa_exception_fp_ieee_inexact 0
		.amdhsa_exception_int_div_zero 0
	.end_amdhsa_kernel
	.section	.text._Z39paged_attention_ll4mi_QKV_mfma16_kernelI14__hip_bfloat16hLN4vllm18Fp8KVCacheDataTypeE1EhLi16ELi128ELi256ELb0ELi15EEvPKT_PKT0_S8_ifPKiSA_SA_iPKfiiiPfSD_PS3_PT2_iSC_SC_,"axG",@progbits,_Z39paged_attention_ll4mi_QKV_mfma16_kernelI14__hip_bfloat16hLN4vllm18Fp8KVCacheDataTypeE1EhLi16ELi128ELi256ELb0ELi15EEvPKT_PKT0_S8_ifPKiSA_SA_iPKfiiiPfSD_PS3_PT2_iSC_SC_,comdat
.Lfunc_end1282:
	.size	_Z39paged_attention_ll4mi_QKV_mfma16_kernelI14__hip_bfloat16hLN4vllm18Fp8KVCacheDataTypeE1EhLi16ELi128ELi256ELb0ELi15EEvPKT_PKT0_S8_ifPKiSA_SA_iPKfiiiPfSD_PS3_PT2_iSC_SC_, .Lfunc_end1282-_Z39paged_attention_ll4mi_QKV_mfma16_kernelI14__hip_bfloat16hLN4vllm18Fp8KVCacheDataTypeE1EhLi16ELi128ELi256ELb0ELi15EEvPKT_PKT0_S8_ifPKiSA_SA_iPKfiiiPfSD_PS3_PT2_iSC_SC_
                                        ; -- End function
	.section	.AMDGPU.csdata,"",@progbits
; Kernel info:
; codeLenInByte = 6380
; NumSgprs: 56
; NumVgprs: 88
; NumAgprs: 0
; TotalNumVgprs: 88
; ScratchSize: 0
; MemoryBound: 0
; FloatMode: 240
; IeeeMode: 1
; LDSByteSize: 8192 bytes/workgroup (compile time only)
; SGPRBlocks: 6
; VGPRBlocks: 10
; NumSGPRsForWavesPerEU: 56
; NumVGPRsForWavesPerEU: 88
; AccumOffset: 88
; Occupancy: 5
; WaveLimiterHint : 1
; COMPUTE_PGM_RSRC2:SCRATCH_EN: 0
; COMPUTE_PGM_RSRC2:USER_SGPR: 2
; COMPUTE_PGM_RSRC2:TRAP_HANDLER: 0
; COMPUTE_PGM_RSRC2:TGID_X_EN: 1
; COMPUTE_PGM_RSRC2:TGID_Y_EN: 1
; COMPUTE_PGM_RSRC2:TGID_Z_EN: 1
; COMPUTE_PGM_RSRC2:TIDIG_COMP_CNT: 0
; COMPUTE_PGM_RSRC3_GFX90A:ACCUM_OFFSET: 21
; COMPUTE_PGM_RSRC3_GFX90A:TG_SPLIT: 0
	.section	.text._Z39paged_attention_ll4mi_QKV_mfma16_kernelI14__hip_bfloat16hLN4vllm18Fp8KVCacheDataTypeE1EhLi16ELi128ELi256ELb0ELi16EEvPKT_PKT0_S8_ifPKiSA_SA_iPKfiiiPfSD_PS3_PT2_iSC_SC_,"axG",@progbits,_Z39paged_attention_ll4mi_QKV_mfma16_kernelI14__hip_bfloat16hLN4vllm18Fp8KVCacheDataTypeE1EhLi16ELi128ELi256ELb0ELi16EEvPKT_PKT0_S8_ifPKiSA_SA_iPKfiiiPfSD_PS3_PT2_iSC_SC_,comdat
	.protected	_Z39paged_attention_ll4mi_QKV_mfma16_kernelI14__hip_bfloat16hLN4vllm18Fp8KVCacheDataTypeE1EhLi16ELi128ELi256ELb0ELi16EEvPKT_PKT0_S8_ifPKiSA_SA_iPKfiiiPfSD_PS3_PT2_iSC_SC_ ; -- Begin function _Z39paged_attention_ll4mi_QKV_mfma16_kernelI14__hip_bfloat16hLN4vllm18Fp8KVCacheDataTypeE1EhLi16ELi128ELi256ELb0ELi16EEvPKT_PKT0_S8_ifPKiSA_SA_iPKfiiiPfSD_PS3_PT2_iSC_SC_
	.globl	_Z39paged_attention_ll4mi_QKV_mfma16_kernelI14__hip_bfloat16hLN4vllm18Fp8KVCacheDataTypeE1EhLi16ELi128ELi256ELb0ELi16EEvPKT_PKT0_S8_ifPKiSA_SA_iPKfiiiPfSD_PS3_PT2_iSC_SC_
	.p2align	8
	.type	_Z39paged_attention_ll4mi_QKV_mfma16_kernelI14__hip_bfloat16hLN4vllm18Fp8KVCacheDataTypeE1EhLi16ELi128ELi256ELb0ELi16EEvPKT_PKT0_S8_ifPKiSA_SA_iPKfiiiPfSD_PS3_PT2_iSC_SC_,@function
_Z39paged_attention_ll4mi_QKV_mfma16_kernelI14__hip_bfloat16hLN4vllm18Fp8KVCacheDataTypeE1EhLi16ELi128ELi256ELb0ELi16EEvPKT_PKT0_S8_ifPKiSA_SA_iPKfiiiPfSD_PS3_PT2_iSC_SC_: ; @_Z39paged_attention_ll4mi_QKV_mfma16_kernelI14__hip_bfloat16hLN4vllm18Fp8KVCacheDataTypeE1EhLi16ELi128ELi256ELb0ELi16EEvPKT_PKT0_S8_ifPKiSA_SA_iPKfiiiPfSD_PS3_PT2_iSC_SC_
; %bb.0:
	s_load_dwordx2 s[12:13], s[0:1], 0x30
	s_mov_b32 s33, s3
	s_mov_b64 s[6:7], 0
	s_waitcnt lgkmcnt(0)
	s_cmp_lg_u64 s[12:13], 0
	s_cselect_b64 s[14:15], -1, 0
	s_and_b64 vcc, exec, s[14:15]
	s_cbranch_vccz .LBB1283_7
; %bb.1:
	s_add_i32 s8, s2, 1
	s_mov_b32 s9, 0
	s_lshl_b64 s[10:11], s[8:9], 2
	s_add_u32 s10, s12, s10
	s_mov_b32 s3, s9
	s_addc_u32 s11, s13, s11
	s_lshl_b64 s[8:9], s[2:3], 2
	s_add_u32 s8, s12, s8
	s_addc_u32 s9, s13, s9
	s_load_dword s5, s[10:11], 0x0
	s_load_dword s16, s[8:9], 0x0
	s_waitcnt lgkmcnt(0)
	s_sub_i32 s5, s5, s16
	s_cmp_eq_u32 s5, 1
	s_cselect_b64 s[8:9], -1, 0
	s_andn2_b64 vcc, exec, s[6:7]
	s_cbranch_vccnz .LBB1283_3
.LBB1283_2:
	s_mov_b32 s3, 0
	s_mov_b64 s[8:9], -1
.LBB1283_3:
	s_andn2_b64 vcc, exec, s[8:9]
	s_cbranch_vccnz .LBB1283_17
; %bb.4:
	s_load_dwordx2 s[6:7], s[0:1], 0x28
	s_lshl_b64 s[16:17], s[2:3], 2
	s_waitcnt lgkmcnt(0)
	s_add_u32 s6, s6, s16
	s_addc_u32 s7, s7, s17
	s_load_dword s20, s[6:7], 0x0
	s_lshl_b32 s5, s33, 8
	s_waitcnt lgkmcnt(0)
	s_cmp_ge_i32 s5, s20
	s_cbranch_scc1 .LBB1283_17
; %bb.5:
	s_load_dwordx2 s[6:7], s[0:1], 0x20
	s_load_dword s8, s[0:1], 0x38
	s_add_i32 s9, s20, 15
	s_ashr_i32 s10, s9, 31
	v_and_b32_e32 v1, 0xcf, v0
	s_lshr_b32 s10, s10, 28
	v_add_u32_e32 v1, s5, v1
	s_add_i32 s9, s9, s10
	v_ashrrev_i32_e32 v2, 31, v1
	s_ashr_i32 s18, s9, 4
	v_lshrrev_b32_e32 v10, 28, v2
	s_add_i32 s18, s18, -1
	s_waitcnt lgkmcnt(0)
	s_mul_i32 s8, s2, s8
	s_mov_b32 s9, 0
	v_add_u32_e32 v2, v1, v10
	s_lshl_b64 s[8:9], s[8:9], 2
	v_ashrrev_i32_e32 v2, 4, v2
	v_mov_b32_e32 v11, s18
	v_cmp_gt_i32_e32 vcc, s20, v1
	s_add_u32 s6, s6, s8
	s_addc_u32 s7, s7, s9
	v_cndmask_b32_e32 v2, v11, v2, vcc
	v_ashrrev_i32_e32 v3, 31, v2
	v_lshl_add_u64 v[4:5], v[2:3], 2, s[6:7]
	v_or_b32_e32 v2, 16, v1
	v_add_u32_e32 v3, v2, v10
	v_ashrrev_i32_e32 v3, 4, v3
	v_cmp_gt_i32_e32 vcc, s20, v2
	s_load_dwordx4 s[8:11], s[0:1], 0x8
	s_nop 0
	v_cndmask_b32_e32 v2, v11, v3, vcc
	v_ashrrev_i32_e32 v3, 31, v2
	v_lshl_add_u64 v[6:7], v[2:3], 2, s[6:7]
	v_or_b32_e32 v2, 32, v1
	v_add_u32_e32 v3, v2, v10
	v_ashrrev_i32_e32 v3, 4, v3
	v_cmp_gt_i32_e32 vcc, s20, v2
	v_or_b32_e32 v1, 48, v1
	s_nop 0
	v_cndmask_b32_e32 v2, v11, v3, vcc
	v_ashrrev_i32_e32 v3, 31, v2
	v_lshl_add_u64 v[8:9], v[2:3], 2, s[6:7]
	v_add_u32_e32 v2, v1, v10
	v_ashrrev_i32_e32 v2, 4, v2
	v_cmp_gt_i32_e32 vcc, s20, v1
	s_nop 1
	v_cndmask_b32_e32 v2, v11, v2, vcc
	v_ashrrev_i32_e32 v3, 31, v2
	v_lshl_add_u64 v[10:11], v[2:3], 2, s[6:7]
	global_load_dword v3, v[4:5], off
	global_load_dword v2, v[6:7], off
	;; [unrolled: 1-line block ×4, first 2 shown]
	s_andn2_b64 vcc, exec, s[14:15]
	s_cbranch_vccnz .LBB1283_8
; %bb.6:
	s_add_u32 s12, s12, s16
	s_addc_u32 s13, s13, s17
	s_load_dword s14, s[12:13], 0x0
	s_branch .LBB1283_9
.LBB1283_7:
	s_mov_b64 s[8:9], 0
	s_branch .LBB1283_2
.LBB1283_8:
	s_mov_b32 s14, s2
.LBB1283_9:
	s_load_dwordx4 s[40:43], s[0:1], 0x48
	v_and_b32_e32 v60, 15, v0
	v_lshlrev_b32_e32 v4, 3, v60
	s_movk_i32 s12, 0x100
	v_lshrrev_b32_e32 v62, 6, v0
	v_and_b32_e32 v63, 63, v0
	v_bfe_u32 v1, v0, 4, 2
	s_lshl_b32 s44, s4, 4
	v_cmp_gt_u32_e32 vcc, s12, v0
	v_lshlrev_b32_e32 v54, 1, v4
	v_lshlrev_b32_e32 v61, 4, v0
	s_and_saveexec_b64 s[12:13], vcc
	s_cbranch_execz .LBB1283_11
; %bb.10:
	s_load_dwordx2 s[16:17], s[0:1], 0x0
	s_waitcnt lgkmcnt(0)
	s_ashr_i32 s15, s40, 31
	s_mul_hi_u32 s19, s14, s40
	s_mul_i32 s15, s14, s15
	s_add_i32 s15, s19, s15
	s_mul_i32 s14, s14, s40
	v_lshl_or_b32 v8, v62, 2, v1
	s_lshl_b64 s[14:15], s[14:15], 1
	s_add_u32 s14, s16, s14
	v_add_lshl_u32 v4, v8, s44, 7
	s_addc_u32 s15, s17, s15
	v_ashrrev_i32_e32 v5, 31, v4
	v_lshl_add_u64 v[4:5], v[4:5], 1, s[14:15]
	v_mov_b32_e32 v55, 0
	v_lshl_add_u64 v[4:5], v[4:5], 0, v[54:55]
	global_load_dwordx4 v[4:7], v[4:5], off
	v_lshlrev_b32_e32 v10, 8, v0
	v_lshlrev_b32_e32 v9, 8, v60
	v_and_b32_e32 v10, 0x600, v10
	s_movk_i32 s14, 0x800
	v_and_or_b32 v9, v9, s14, v10
	v_lshlrev_b32_e32 v8, 5, v8
	v_and_b32_e32 v10, 16, v61
	v_or3_b32 v8, v9, v8, v10
	s_waitcnt vmcnt(0)
	ds_write_b128 v8, v[4:7]
.LBB1283_11:
	s_or_b64 exec, exec, s[12:13]
	s_waitcnt lgkmcnt(0)
	s_mul_i32 s12, s4, s42
	s_add_u32 s8, s8, s12
	s_addc_u32 s9, s9, 0
	v_and_b32_e32 v50, 0xf0, v61
	v_mov_b32_e32 v51, 0
	v_and_b32_e32 v10, 48, v0
	v_lshl_add_u64 v[30:31], s[8:9], 0, v[50:51]
	v_lshlrev_b32_e32 v50, 4, v10
	s_waitcnt vmcnt(3)
	v_mad_i64_i32 v[4:5], s[8:9], v3, s41, v[30:31]
	v_lshl_add_u64 v[4:5], v[4:5], 0, v[50:51]
	s_load_dword s40, s[0:1], 0x98
	s_load_dwordx4 s[36:39], s[0:1], 0x80
	s_waitcnt lgkmcnt(0)
	s_barrier
	global_load_dwordx4 v[18:21], v[4:5], off
	global_load_dwordx4 v[6:9], v[4:5], off offset:1024
	s_waitcnt vmcnt(4)
	v_mad_i64_i32 v[2:3], s[8:9], v2, s41, v[30:31]
	v_lshl_add_u64 v[32:33], v[2:3], 0, v[50:51]
	global_load_dwordx4 v[2:5], v[32:33], off
	v_lshlrev_b32_e32 v64, 5, v60
	v_lshl_or_b32 v55, v1, 9, v64
	v_or_b32_e32 v37, s5, v10
	ds_read_b128 v[26:29], v55
	ds_read_b128 v[22:25], v55 offset:16
	ds_read_b128 v[14:17], v55 offset:2048
	;; [unrolled: 1-line block ×3, first 2 shown]
	global_load_dwordx4 v[46:49], v[32:33], off offset:1024
	v_mov_b32_e32 v36, s18
	v_ashrrev_i32_e32 v38, 4, v37
	v_or_b32_e32 v42, 64, v37
	v_cmp_gt_i32_e32 vcc, s20, v37
	v_or_b32_e32 v43, 0x80, v37
	v_or_b32_e32 v44, 0xc0, v37
	v_cndmask_b32_e32 v38, v36, v38, vcc
	v_ashrrev_i32_e32 v37, 4, v42
	v_cmp_gt_i32_e32 vcc, s20, v42
	v_ashrrev_i32_e32 v45, 4, v43
	s_waitcnt vmcnt(5)
	v_mad_i64_i32 v[40:41], s[8:9], v34, s41, v[30:31]
	v_cndmask_b32_e32 v34, v36, v37, vcc
	v_cmp_gt_i32_e32 vcc, s20, v43
	v_ashrrev_i32_e32 v52, 4, v44
	s_waitcnt vmcnt(4)
	v_mad_i64_i32 v[30:31], s[8:9], v35, s41, v[30:31]
	v_cndmask_b32_e32 v42, v36, v45, vcc
	v_cmp_gt_i32_e32 vcc, s20, v44
	v_ashrrev_i32_e32 v39, 31, v38
	v_ashrrev_i32_e32 v35, 31, v34
	v_cndmask_b32_e32 v32, v36, v52, vcc
	v_lshl_add_u64 v[36:37], v[40:41], 0, v[50:51]
	v_ashrrev_i32_e32 v43, 31, v42
	v_ashrrev_i32_e32 v33, 31, v32
	v_lshl_add_u64 v[30:31], v[30:31], 0, v[50:51]
	v_lshl_add_u64 v[52:53], v[38:39], 2, s[6:7]
	;; [unrolled: 1-line block ×5, first 2 shown]
	global_load_dwordx4 v[42:45], v[36:37], off
	global_load_dwordx4 v[38:41], v[36:37], off offset:1024
	s_nop 0
	global_load_dwordx4 v[34:37], v[30:31], off
	s_nop 0
	global_load_dwordx4 v[30:33], v[30:31], off offset:1024
	s_nop 0
	global_load_dword v68, v[52:53], off
	global_load_dword v69, v[56:57], off
	;; [unrolled: 1-line block ×4, first 2 shown]
	s_mov_b32 s45, 0x7060302
	s_add_u32 s42, s10, s12
	v_lshl_or_b32 v65, v62, 4, v60
	s_addc_u32 s43, s11, 0
	v_lshlrev_b32_e32 v50, 4, v65
	s_load_dword s4, s[0:1], 0x1c
	s_mov_b32 s46, 0xff7fffff
	s_waitcnt vmcnt(11)
	v_cvt_pk_f32_fp8_e32 v[52:53], v18
	v_cvt_pk_f32_fp8_sdwa v[56:57], v18 src0_sel:WORD_1
	v_cvt_pk_f32_fp8_e32 v[58:59], v19
	v_cvt_pk_f32_fp8_sdwa v[70:71], v19 src0_sel:WORD_1
	;; [unrolled: 2-line block ×4, first 2 shown]
	s_waitcnt vmcnt(9)
	v_cvt_pk_f32_fp8_e32 v[18:19], v2
	v_cvt_pk_f32_fp8_sdwa v[20:21], v2 src0_sel:WORD_1
	v_perm_b32 v52, v53, v52, s45
	v_perm_b32 v53, v57, v56, s45
	v_cvt_pk_f32_fp8_e32 v[80:81], v6
	v_cvt_pk_f32_fp8_sdwa v[82:83], v6 src0_sel:WORD_1
	v_cvt_pk_f32_fp8_e32 v[84:85], v7
	v_cvt_pk_f32_fp8_sdwa v[86:87], v7 src0_sel:WORD_1
	v_perm_b32 v6, v19, v18, s45
	v_perm_b32 v7, v21, v20, s45
	;; [unrolled: 1-line block ×4, first 2 shown]
	s_waitcnt lgkmcnt(0)
	v_mfma_f32_16x16x16_bf16 v[18:21], v[52:53], v[26:27], 0
	v_cvt_pk_f32_fp8_e32 v[88:89], v8
	v_cvt_pk_f32_fp8_sdwa v[52:53], v8 src0_sel:WORD_1
	v_cvt_pk_f32_fp8_e32 v[70:71], v9
	v_mfma_f32_16x16x16_bf16 v[56:59], v[6:7], v[26:27], 0
	v_perm_b32 v6, v73, v72, s45
	v_perm_b32 v7, v75, v74, s45
	;; [unrolled: 1-line block ×3, first 2 shown]
	v_mfma_f32_16x16x16_bf16 v[18:21], v[90:91], v[28:29], v[18:21]
	v_perm_b32 v75, v79, v78, s45
	v_cvt_pk_f32_fp8_sdwa v[72:73], v9 src0_sel:WORD_1
	v_perm_b32 v76, v89, v88, s45
	v_mfma_f32_16x16x16_bf16 v[6:9], v[6:7], v[22:23], v[18:21]
	v_perm_b32 v77, v53, v52, s45
	v_perm_b32 v70, v71, v70, s45
	;; [unrolled: 1-line block ×5, first 2 shown]
	v_mfma_f32_16x16x16_bf16 v[6:9], v[74:75], v[24:25], v[6:9]
	v_perm_b32 v74, v85, v84, s45
	v_perm_b32 v75, v87, v86, s45
	v_cvt_pk_f32_fp8_e32 v[18:19], v3
	v_mfma_f32_16x16x16_bf16 v[6:9], v[20:21], v[14:15], v[6:9]
	v_cvt_pk_f32_fp8_sdwa v[2:3], v3 src0_sel:WORD_1
	v_cvt_pk_f32_fp8_e32 v[20:21], v4
	v_cvt_pk_f32_fp8_sdwa v[52:53], v4 src0_sel:WORD_1
	v_mfma_f32_16x16x16_bf16 v[6:9], v[74:75], v[16:17], v[6:9]
	v_perm_b32 v18, v19, v18, s45
	v_perm_b32 v19, v3, v2, s45
	v_perm_b32 v20, v21, v20, s45
	v_mfma_f32_16x16x16_bf16 v[6:9], v[76:77], v[10:11], v[6:9]
	v_perm_b32 v21, v53, v52, s45
	v_cvt_pk_f32_fp8_e32 v[52:53], v5
	s_waitcnt vmcnt(6)
	v_cvt_pk_f32_fp8_sdwa v[74:75], v41 src0_sel:WORD_1
	v_mfma_f32_16x16x16_bf16 v[6:9], v[70:71], v[12:13], v[6:9]
	v_cvt_pk_f32_fp8_sdwa v[70:71], v5 src0_sel:WORD_1
	v_mfma_f32_16x16x16_bf16 v[2:5], v[18:19], v[28:29], v[56:59]
	v_perm_b32 v18, v53, v52, s45
	v_perm_b32 v19, v71, v70, s45
	v_cvt_pk_f32_fp8_sdwa v[52:53], v46 src0_sel:WORD_1
	v_mfma_f32_16x16x16_bf16 v[2:5], v[20:21], v[22:23], v[2:5]
	v_cvt_pk_f32_fp8_e32 v[20:21], v46
	v_cvt_pk_f32_fp8_sdwa v[56:57], v48 src0_sel:WORD_1
	v_lshl_add_u64 v[70:71], s[42:43], 0, v[50:51]
	v_mfma_f32_16x16x16_bf16 v[2:5], v[18:19], v[24:25], v[2:5]
	v_cvt_pk_f32_fp8_e32 v[18:19], v47
	v_perm_b32 v20, v21, v20, s45
	v_perm_b32 v21, v53, v52, s45
	v_cvt_pk_f32_fp8_sdwa v[46:47], v47 src0_sel:WORD_1
	v_perm_b32 v18, v19, v18, s45
	v_cvt_pk_f32_fp8_e32 v[52:53], v48
	v_mfma_f32_16x16x16_bf16 v[2:5], v[20:21], v[14:15], v[2:5]
	v_perm_b32 v19, v47, v46, s45
	v_perm_b32 v20, v53, v52, s45
	;; [unrolled: 1-line block ×3, first 2 shown]
	v_cvt_pk_f32_fp8_e32 v[46:47], v49
	v_cvt_pk_f32_fp8_sdwa v[48:49], v49 src0_sel:WORD_1
	v_mfma_f32_16x16x16_bf16 v[2:5], v[18:19], v[16:17], v[2:5]
	v_cvt_pk_f32_fp8_sdwa v[52:53], v42 src0_sel:WORD_1
	v_perm_b32 v18, v47, v46, s45
	v_perm_b32 v19, v49, v48, s45
	v_mfma_f32_16x16x16_bf16 v[2:5], v[20:21], v[10:11], v[2:5]
	v_cvt_pk_f32_fp8_e32 v[20:21], v42
	s_waitcnt vmcnt(2)
	v_mad_i64_i32 v[72:73], s[6:7], v69, s41, v[70:71]
	v_mfma_f32_16x16x16_bf16 v[46:49], v[18:19], v[12:13], v[2:5]
	v_cvt_pk_f32_fp8_sdwa v[18:19], v43 src0_sel:WORD_1
	v_or_b32_e32 v50, 0x400, v50
	s_nop 0
	v_perm_b32 v2, v21, v20, s45
	v_perm_b32 v3, v53, v52, s45
	v_cvt_pk_f32_fp8_e32 v[4:5], v43
	v_perm_b32 v43, v19, v18, s45
	v_cvt_pk_f32_fp8_e32 v[18:19], v44
	v_cvt_pk_f32_fp8_sdwa v[52:53], v44 src0_sel:WORD_1
	v_perm_b32 v42, v5, v4, s45
	v_mfma_f32_16x16x16_bf16 v[2:5], v[2:3], v[26:27], 0
	v_mad_i64_i32 v[20:21], s[6:7], v68, s41, v[70:71]
	v_mfma_f32_16x16x16_bf16 v[56:59], v[42:43], v[28:29], v[2:5]
	v_perm_b32 v42, v19, v18, s45
	v_perm_b32 v43, v53, v52, s45
	v_cvt_pk_f32_fp8_e32 v[52:53], v45
	v_cvt_pk_f32_fp8_sdwa v[44:45], v45 src0_sel:WORD_1
	global_load_dwordx4 v[18:21], v[20:21], off
	s_nop 0
	global_load_dwordx4 v[2:5], v[72:73], off
	v_perm_b32 v72, v53, v52, s45
	v_perm_b32 v73, v45, v44, s45
	v_mfma_f32_16x16x16_bf16 v[42:45], v[42:43], v[22:23], v[56:59]
	s_waitcnt vmcnt(3)
	v_mad_i64_i32 v[52:53], s[6:7], v66, s41, v[70:71]
	s_waitcnt vmcnt(2)
	v_mad_i64_i32 v[56:57], s[6:7], v67, s41, v[70:71]
	v_cvt_pk_f32_fp8_e32 v[58:59], v38
	v_cvt_pk_f32_fp8_sdwa v[70:71], v38 src0_sel:WORD_1
	v_mfma_f32_16x16x16_bf16 v[42:45], v[72:73], v[24:25], v[42:45]
	v_cvt_pk_f32_fp8_e32 v[72:73], v39
	v_cvt_pk_f32_fp8_sdwa v[38:39], v39 src0_sel:WORD_1
	v_perm_b32 v58, v59, v58, s45
	v_perm_b32 v59, v71, v70, s45
	;; [unrolled: 1-line block ×4, first 2 shown]
	v_cvt_pk_f32_fp8_e32 v[38:39], v40
	v_cvt_pk_f32_fp8_sdwa v[72:73], v40 src0_sel:WORD_1
	v_mfma_f32_16x16x16_bf16 v[42:45], v[58:59], v[14:15], v[42:45]
	s_load_dword s6, s[36:37], 0x0
	v_perm_b32 v58, v39, v38, s45
	v_perm_b32 v59, v73, v72, s45
	v_cvt_pk_f32_fp8_e32 v[72:73], v41
	v_mfma_f32_16x16x16_bf16 v[38:41], v[70:71], v[16:17], v[42:45]
	s_nop 2
	v_mov_b32_e32 v44, s4
	v_perm_b32 v42, v73, v72, s45
	v_perm_b32 v43, v75, v74, s45
	v_mfma_f32_16x16x16_bf16 v[38:41], v[58:59], v[10:11], v[38:41]
	s_waitcnt lgkmcnt(0)
	v_mul_f32_e32 v74, s6, v44
	v_cvt_pk_f32_fp8_e32 v[44:45], v34
	v_cvt_pk_f32_fp8_sdwa v[58:59], v34 src0_sel:WORD_1
	v_mfma_f32_16x16x16_bf16 v[70:73], v[42:43], v[12:13], v[38:41]
	v_pk_mul_f32 v[6:7], v[74:75], v[6:7] op_sel_hi:[0,1]
	s_nop 1
	v_cvt_pk_f32_fp8_e32 v[38:39], v35
	v_perm_b32 v40, v45, v44, s45
	v_perm_b32 v41, v59, v58, s45
	v_cvt_pk_f32_fp8_sdwa v[34:35], v35 src0_sel:WORD_1
	v_perm_b32 v42, v39, v38, s45
	v_cvt_pk_f32_fp8_e32 v[44:45], v36
	v_cvt_pk_f32_fp8_sdwa v[58:59], v36 src0_sel:WORD_1
	v_perm_b32 v43, v35, v34, s45
	v_mfma_f32_16x16x16_bf16 v[38:41], v[40:41], v[26:27], 0
	v_perm_b32 v34, v45, v44, s45
	v_perm_b32 v35, v59, v58, s45
	v_cvt_pk_f32_fp8_e32 v[44:45], v37
	v_cvt_pk_f32_fp8_sdwa v[36:37], v37 src0_sel:WORD_1
	v_mfma_f32_16x16x16_bf16 v[26:29], v[42:43], v[28:29], v[38:41]
	v_pk_mul_f32 v[58:59], v[74:75], v[8:9] op_sel_hi:[0,1]
	v_perm_b32 v8, v45, v44, s45
	v_perm_b32 v9, v37, v36, s45
	v_mfma_f32_16x16x16_bf16 v[26:29], v[34:35], v[22:23], v[26:29]
	v_cvt_pk_f32_fp8_e32 v[34:35], v30
	v_cvt_pk_f32_fp8_sdwa v[36:37], v30 src0_sel:WORD_1
	v_pk_mul_f32 v[44:45], v[74:75], v[46:47] op_sel_hi:[0,1]
	v_mfma_f32_16x16x16_bf16 v[22:25], v[8:9], v[24:25], v[26:29]
	v_cvt_pk_f32_fp8_e32 v[8:9], v31
	v_pk_mul_f32 v[42:43], v[74:75], v[48:49] op_sel_hi:[0,1]
	v_pk_mul_f32 v[40:41], v[74:75], v[70:71] op_sel_hi:[0,1]
	v_perm_b32 v26, v35, v34, s45
	v_perm_b32 v27, v37, v36, s45
	v_cvt_pk_f32_fp8_sdwa v[28:29], v31 src0_sel:WORD_1
	v_perm_b32 v8, v9, v8, s45
	v_cvt_pk_f32_fp8_e32 v[30:31], v32
	v_cvt_pk_f32_fp8_sdwa v[34:35], v32 src0_sel:WORD_1
	v_perm_b32 v9, v29, v28, s45
	v_mfma_f32_16x16x16_bf16 v[22:25], v[26:27], v[14:15], v[22:25]
	v_perm_b32 v26, v31, v30, s45
	v_perm_b32 v27, v35, v34, s45
	v_cvt_pk_f32_fp8_e32 v[28:29], v33
	v_cvt_pk_f32_fp8_sdwa v[30:31], v33 src0_sel:WORD_1
	v_mfma_f32_16x16x16_bf16 v[14:17], v[8:9], v[16:17], v[22:25]
	v_pk_mul_f32 v[38:39], v[74:75], v[72:73] op_sel_hi:[0,1]
	s_nop 1
	v_perm_b32 v22, v29, v28, s45
	v_perm_b32 v23, v31, v30, s45
	v_mfma_f32_16x16x16_bf16 v[8:11], v[26:27], v[10:11], v[14:17]
	global_load_dwordx4 v[30:33], v[52:53], off
	global_load_dwordx4 v[26:29], v[56:57], off
	v_mfma_f32_16x16x16_bf16 v[8:11], v[22:23], v[12:13], v[8:11]
	s_nop 6
	v_pk_mul_f32 v[36:37], v[74:75], v[8:9] op_sel_hi:[0,1]
	v_and_b32_e32 v8, 0xc0, v0
	v_add_u32_e32 v8, s5, v8
	v_lshl_or_b32 v8, v1, 2, v8
	v_pk_mul_f32 v[34:35], v[74:75], v[10:11] op_sel_hi:[0,1]
	v_or_b32_e32 v11, 1, v8
	v_mov_b32_e32 v9, 0xff7fffff
	v_cmp_gt_i32_e64 s[14:15], s20, v8
	v_cmp_gt_i32_e64 s[22:23], s20, v11
	v_or_b32_e32 v12, 3, v8
	v_cndmask_b32_e64 v10, v9, v6, s[14:15]
	v_cndmask_b32_e64 v11, v9, v7, s[22:23]
	v_max3_f32 v10, v10, s46, v11
	v_or_b32_e32 v11, 2, v8
	v_cmp_gt_i32_e64 s[28:29], s20, v11
	v_cmp_gt_i32_e64 s[34:35], s20, v12
	s_nop 0
	v_cndmask_b32_e64 v11, v9, v58, s[28:29]
	v_cndmask_b32_e64 v12, v9, v59, s[34:35]
	v_max3_f32 v10, v10, v11, v12
	v_or_b32_e32 v11, 16, v8
	v_or_b32_e32 v12, 17, v8
	v_cmp_gt_i32_e64 s[8:9], s20, v11
	v_cmp_gt_i32_e64 s[16:17], s20, v12
	s_nop 0
	v_cndmask_b32_e64 v11, v9, v44, s[8:9]
	v_cndmask_b32_e64 v12, v9, v45, s[16:17]
	v_max3_f32 v10, v10, v11, v12
	v_or_b32_e32 v11, 18, v8
	v_or_b32_e32 v12, 19, v8
	v_cmp_gt_i32_e64 s[24:25], s20, v11
	v_cmp_gt_i32_e64 s[30:31], s20, v12
	s_nop 0
	v_cndmask_b32_e64 v11, v9, v42, s[24:25]
	v_cndmask_b32_e64 v12, v9, v43, s[30:31]
	v_max3_f32 v10, v10, v11, v12
	v_or_b32_e32 v11, 32, v8
	v_or_b32_e32 v12, 33, v8
	v_cmp_gt_i32_e64 s[4:5], s20, v11
	v_cmp_gt_i32_e64 s[10:11], s20, v12
	s_nop 0
	v_cndmask_b32_e64 v11, v9, v40, s[4:5]
	v_cndmask_b32_e64 v12, v9, v41, s[10:11]
	v_max3_f32 v10, v10, v11, v12
	v_or_b32_e32 v11, 34, v8
	v_or_b32_e32 v12, 35, v8
	v_cmp_gt_i32_e64 s[18:19], s20, v11
	v_cmp_gt_i32_e64 s[26:27], s20, v12
	s_nop 0
	v_cndmask_b32_e64 v11, v9, v38, s[18:19]
	v_cndmask_b32_e64 v12, v9, v39, s[26:27]
	v_max3_f32 v10, v10, v11, v12
	v_or_b32_e32 v11, 48, v8
	v_or_b32_e32 v12, 49, v8
	v_cmp_gt_i32_e32 vcc, s20, v11
	v_cmp_gt_i32_e64 s[6:7], s20, v12
	s_nop 0
	v_cndmask_b32_e32 v11, v9, v36, vcc
	v_cndmask_b32_e64 v12, v9, v37, s[6:7]
	v_max3_f32 v10, v10, v11, v12
	v_or_b32_e32 v11, 50, v8
	v_or_b32_e32 v8, 51, v8
	v_cmp_gt_i32_e64 s[12:13], s20, v11
	v_cmp_gt_i32_e64 s[20:21], s20, v8
	s_nop 0
	v_cndmask_b32_e64 v11, v9, v34, s[12:13]
	v_cndmask_b32_e64 v8, v9, v35, s[20:21]
	v_mbcnt_lo_u32_b32 v9, -1, 0
	v_mbcnt_hi_u32_b32 v9, -1, v9
	v_max3_f32 v8, v10, v11, v8
	v_and_b32_e32 v10, 64, v9
	v_add_u32_e32 v12, 64, v10
	v_xor_b32_e32 v10, 32, v9
	v_cmp_lt_i32_e64 s[36:37], v10, v12
	s_nop 1
	v_cndmask_b32_e64 v10, v9, v10, s[36:37]
	v_lshlrev_b32_e32 v70, 2, v10
	ds_bpermute_b32 v13, v70, v8
	v_lshl_add_u64 v[10:11], s[42:43], 0, v[50:51]
	s_waitcnt lgkmcnt(0)
	v_max_f32_e32 v13, v13, v13
	v_max_f32_e32 v14, v8, v13
	v_xor_b32_e32 v8, 16, v9
	v_cmp_lt_i32_e64 s[36:37], v8, v12
	s_nop 1
	v_cndmask_b32_e64 v8, v9, v8, s[36:37]
	v_lshlrev_b32_e32 v52, 2, v8
	ds_bpermute_b32 v15, v52, v14
	v_mad_i64_i32 v[8:9], s[36:37], v68, s41, v[10:11]
	v_mad_i64_i32 v[12:13], s[36:37], v69, s41, v[10:11]
	s_waitcnt lgkmcnt(0)
	v_max_f32_e32 v15, v15, v15
	v_max_f32_e32 v50, v14, v15
	v_sub_f32_e32 v6, v6, v50
	v_mul_f32_e32 v6, 0x3fb8aa3b, v6
	v_exp_f32_e32 v46, v6
	v_sub_f32_e32 v6, v7, v50
	v_mul_f32_e32 v6, 0x3fb8aa3b, v6
	v_exp_f32_e32 v47, v6
	global_load_dwordx4 v[14:17], v[8:9], off
	s_nop 0
	global_load_dwordx4 v[6:9], v[12:13], off
	v_sub_f32_e32 v12, v58, v50
	v_mul_f32_e32 v12, 0x3fb8aa3b, v12
	v_exp_f32_e32 v48, v12
	v_sub_f32_e32 v12, v59, v50
	v_mul_f32_e32 v12, 0x3fb8aa3b, v12
	v_exp_f32_e32 v49, v12
	v_mad_i64_i32 v[12:13], s[36:37], v66, s41, v[10:11]
	v_mad_i64_i32 v[10:11], s[36:37], v67, s41, v[10:11]
	global_load_dwordx4 v[22:25], v[12:13], off
	s_nop 0
	global_load_dwordx4 v[10:13], v[10:11], off
	v_sub_f32_e32 v44, v44, v50
	v_sub_f32_e32 v42, v42, v50
	v_mul_f32_e32 v44, 0x3fb8aa3b, v44
	v_mul_f32_e32 v42, 0x3fb8aa3b, v42
	v_exp_f32_e32 v44, v44
	v_exp_f32_e32 v51, v42
	v_sub_f32_e32 v45, v45, v50
	v_sub_f32_e32 v42, v43, v50
	;; [unrolled: 1-line block ×4, first 2 shown]
	v_mul_f32_e32 v45, 0x3fb8aa3b, v45
	v_mul_f32_e32 v42, 0x3fb8aa3b, v42
	;; [unrolled: 1-line block ×4, first 2 shown]
	v_exp_f32_e32 v45, v45
	v_exp_f32_e32 v53, v42
	v_cndmask_b32_e64 v42, 0, v44, s[8:9]
	v_cndmask_b32_e64 v44, 0, v51, s[24:25]
	v_exp_f32_e32 v40, v40
	v_exp_f32_e32 v51, v38
	v_sub_f32_e32 v41, v41, v50
	v_sub_f32_e32 v38, v39, v50
	;; [unrolled: 1-line block ×4, first 2 shown]
	v_mul_f32_e32 v41, 0x3fb8aa3b, v41
	v_mul_f32_e32 v38, 0x3fb8aa3b, v38
	;; [unrolled: 1-line block ×4, first 2 shown]
	v_cndmask_b32_e64 v43, 0, v45, s[16:17]
	v_cndmask_b32_e64 v45, 0, v53, s[30:31]
	v_exp_f32_e32 v41, v41
	v_exp_f32_e32 v53, v38
	v_cndmask_b32_e64 v38, 0, v40, s[4:5]
	v_cndmask_b32_e64 v40, 0, v51, s[18:19]
	v_exp_f32_e32 v36, v36
	v_exp_f32_e32 v51, v34
	v_sub_f32_e32 v34, v35, v50
	v_cndmask_b32_e64 v46, 0, v46, s[14:15]
	v_mul_f32_e32 v34, 0x3fb8aa3b, v34
	v_cndmask_b32_e64 v47, 0, v47, s[22:23]
	v_cndmask_b32_e64 v39, 0, v41, s[10:11]
	;; [unrolled: 1-line block ×3, first 2 shown]
	v_exp_f32_e32 v53, v34
	v_cndmask_b32_e32 v34, 0, v36, vcc
	v_cndmask_b32_e64 v36, 0, v51, s[12:13]
	v_add_f32_e32 v51, 0, v46
	v_cndmask_b32_e64 v48, 0, v48, s[28:29]
	v_add_f32_e32 v51, v51, v47
	;; [unrolled: 2-line block ×3, first 2 shown]
	v_add_f32_e32 v51, v51, v49
	v_add_f32_e32 v51, v51, v42
	;; [unrolled: 1-line block ×3, first 2 shown]
	v_sub_f32_e32 v37, v37, v50
	v_add_f32_e32 v51, v51, v44
	v_mul_f32_e32 v37, 0x3fb8aa3b, v37
	v_add_f32_e32 v51, v51, v45
	v_exp_f32_e32 v37, v37
	v_add_f32_e32 v51, v51, v38
	v_add_f32_e32 v51, v51, v39
	;; [unrolled: 1-line block ×4, first 2 shown]
	v_cndmask_b32_e64 v35, 0, v37, s[6:7]
	v_add_f32_e32 v51, v51, v34
	v_add_f32_e32 v51, v51, v35
	v_cndmask_b32_e64 v37, 0, v53, s[20:21]
	v_add_f32_e32 v51, v51, v36
	v_add_f32_e32 v51, v51, v37
	ds_bpermute_b32 v53, v70, v51
	v_cmp_gt_u32_e32 vcc, 16, v63
	s_waitcnt lgkmcnt(0)
	s_barrier
	v_add_f32_e32 v51, v51, v53
	ds_bpermute_b32 v52, v52, v51
	s_and_saveexec_b64 s[4:5], vcc
	s_cbranch_execz .LBB1283_13
; %bb.12:
	s_waitcnt lgkmcnt(0)
	v_add_f32_e32 v51, v51, v52
	v_lshlrev_b32_e32 v52, 2, v65
	ds_write2st64_b32 v52, v50, v51 offset1:1
.LBB1283_13:
	s_or_b64 exec, exec, s[4:5]
	v_lshlrev_b32_e32 v51, 2, v60
	s_load_dword s6, s[0:1], 0x94
	s_waitcnt lgkmcnt(0)
	s_barrier
	ds_read2_b32 v[52:53], v51 offset1:16
	ds_read2_b32 v[56:57], v51 offset0:32 offset1:48
	ds_read2_b32 v[58:59], v51 offset0:64 offset1:80
	s_movk_i32 s8, 0x7fff
	s_lshl_b32 s7, s40, 4
	s_waitcnt lgkmcnt(2)
	v_max3_f32 v50, v52, s46, v53
	s_waitcnt lgkmcnt(1)
	v_max3_f32 v50, v50, v56, v57
	v_sub_f32_e32 v52, v52, v50
	v_mul_f32_e32 v52, 0x3fb8aa3b, v52
	v_exp_f32_e32 v63, v52
	v_sub_f32_e32 v52, v53, v50
	v_mul_f32_e32 v52, 0x3fb8aa3b, v52
	v_exp_f32_e32 v65, v52
	;; [unrolled: 3-line block ×3, first 2 shown]
	ds_read2_b32 v[52:53], v51 offset0:96 offset1:112
	v_sub_f32_e32 v51, v57, v50
	v_mul_f32_e32 v51, 0x3fb8aa3b, v51
	v_exp_f32_e32 v57, v51
	s_waitcnt lgkmcnt(1)
	v_fma_f32 v51, v63, v58, 0
	v_fmac_f32_e32 v51, v65, v59
	s_waitcnt lgkmcnt(0)
	v_fmac_f32_e32 v51, v56, v52
	v_fmac_f32_e32 v51, v57, v53
	v_add_f32_e32 v52, 0x358637bd, v51
	v_div_scale_f32 v53, s[4:5], v52, v52, 1.0
	v_rcp_f32_e32 v58, v53
	s_barrier
	v_fma_f32 v59, -v53, v58, 1.0
	v_fmac_f32_e32 v58, v59, v58
	v_div_scale_f32 v59, vcc, 1.0, v52, 1.0
	v_mul_f32_e32 v66, v59, v58
	v_fma_f32 v67, -v53, v66, v59
	v_fmac_f32_e32 v66, v67, v58
	v_fma_f32 v53, -v53, v66, v59
	v_div_fmas_f32 v53, v53, v58, v66
	v_cmp_eq_u32_e32 vcc, 1, v62
	v_div_fixup_f32 v52, v53, v52, 1.0
	s_nop 0
	v_cndmask_b32_e32 v53, v63, v65, vcc
	v_cmp_eq_u32_e32 vcc, 2, v62
	s_nop 1
	v_cndmask_b32_e32 v53, v53, v56, vcc
	v_cmp_eq_u32_e32 vcc, 3, v62
	s_nop 1
	v_cndmask_b32_e32 v53, v53, v57, vcc
	v_mul_f32_e32 v52, v53, v52
	v_pk_mul_f32 v[46:47], v[52:53], v[46:47] op_sel_hi:[0,1]
	v_pk_mul_f32 v[48:49], v[52:53], v[48:49] op_sel_hi:[0,1]
	v_bfe_u32 v53, v47, 16, 1
	v_bfe_u32 v56, v46, 16, 1
	v_add3_u32 v46, v46, v56, s8
	v_add3_u32 v47, v47, v53, s8
	v_perm_b32 v46, v47, v46, s45
	v_bfe_u32 v47, v49, 16, 1
	v_bfe_u32 v53, v48, 16, 1
	v_add3_u32 v48, v48, v53, s8
	v_add3_u32 v47, v49, v47, s8
	v_perm_b32 v47, v47, v48, s45
	v_lshlrev_b32_e32 v48, 3, v1
	v_lshlrev_b32_e32 v49, 11, v62
	v_pk_mul_f32 v[42:43], v[52:53], v[42:43] op_sel_hi:[0,1]
	v_or3_b32 v56, v49, v64, v48
	v_bfe_u32 v48, v43, 16, 1
	v_bfe_u32 v49, v42, 16, 1
	v_pk_mul_f32 v[44:45], v[52:53], v[44:45] op_sel_hi:[0,1]
	v_add3_u32 v42, v42, v49, s8
	v_add3_u32 v43, v43, v48, s8
	v_perm_b32 v42, v43, v42, s45
	v_bfe_u32 v43, v45, 16, 1
	v_bfe_u32 v48, v44, 16, 1
	v_add3_u32 v44, v44, v48, s8
	v_add3_u32 v43, v45, v43, s8
	v_perm_b32 v43, v43, v44, s45
	v_pk_mul_f32 v[38:39], v[52:53], v[38:39] op_sel_hi:[0,1]
	ds_write2st64_b64 v56, v[46:47], v[42:43] offset1:1
	v_bfe_u32 v42, v39, 16, 1
	v_bfe_u32 v43, v38, 16, 1
	v_pk_mul_f32 v[40:41], v[52:53], v[40:41] op_sel_hi:[0,1]
	v_add3_u32 v38, v38, v43, s8
	v_add3_u32 v39, v39, v42, s8
	v_perm_b32 v38, v39, v38, s45
	v_bfe_u32 v39, v41, 16, 1
	v_bfe_u32 v42, v40, 16, 1
	v_add3_u32 v40, v40, v42, s8
	v_add3_u32 v39, v41, v39, s8
	v_pk_mul_f32 v[34:35], v[52:53], v[34:35] op_sel_hi:[0,1]
	v_perm_b32 v39, v39, v40, s45
	v_bfe_u32 v40, v35, 16, 1
	v_bfe_u32 v41, v34, 16, 1
	v_pk_mul_f32 v[36:37], v[52:53], v[36:37] op_sel_hi:[0,1]
	v_add3_u32 v34, v34, v41, s8
	v_add3_u32 v35, v35, v40, s8
	v_perm_b32 v34, v35, v34, s45
	v_bfe_u32 v35, v37, 16, 1
	v_bfe_u32 v40, v36, 16, 1
	v_add3_u32 v36, v36, v40, s8
	v_add3_u32 v35, v37, v35, s8
	v_perm_b32 v35, v35, v36, s45
	v_cmp_gt_u32_e32 vcc, 16, v0
	ds_write2st64_b64 v56, v[38:39], v[34:35] offset0:2 offset1:3
	s_and_saveexec_b64 s[4:5], vcc
	s_cbranch_execz .LBB1283_15
; %bb.14:
	v_or_b32_e32 v34, s44, v0
	v_mov_b32_e32 v35, 0
	v_mov_b32_e32 v36, s7
	v_mad_u64_u32 v[36:37], s[10:11], s2, v36, v[34:35]
	v_mov_b32_e32 v34, s33
	s_load_dwordx4 s[12:15], s[0:1], 0x58
	s_mul_i32 s3, s3, s7
	v_mad_u64_u32 v[34:35], s[10:11], v36, s6, v[34:35]
	v_add_u32_e32 v37, s3, v37
	v_mov_b32_e32 v36, v35
	v_mad_u64_u32 v[36:37], s[10:11], v37, s6, v[36:37]
	v_mov_b32_e32 v35, v36
	v_lshlrev_b64 v[34:35], 2, v[34:35]
	s_waitcnt lgkmcnt(0)
	v_lshl_add_u64 v[36:37], s[14:15], 0, v[34:35]
	v_lshl_add_u64 v[34:35], s[12:13], 0, v[34:35]
	global_store_dword v[36:37], v50, off
	global_store_dword v[34:35], v51, off
.LBB1283_15:
	s_or_b64 exec, exec, s[4:5]
	s_waitcnt vmcnt(7)
	v_cvt_pk_f32_fp8_e32 v[34:35], v18
	v_cvt_pk_f32_fp8_sdwa v[36:37], v18 src0_sel:WORD_1
	s_mov_b32 s5, 0x7060302
	s_waitcnt lgkmcnt(0)
	s_barrier
	v_cvt_pk_f32_fp8_e32 v[38:39], v19
	v_perm_b32 v18, v35, v34, s5
	v_cvt_pk_f32_fp8_sdwa v[40:41], v19 src0_sel:WORD_1
	v_perm_b32 v19, v37, v36, s5
	ds_read_b128 v[34:37], v55
	v_perm_b32 v46, v39, v38, s5
	v_perm_b32 v47, v41, v40, s5
	ds_read_b128 v[38:41], v55 offset:16
	v_cvt_pk_f32_fp8_e32 v[48:49], v20
	v_cvt_pk_f32_fp8_sdwa v[50:51], v20 src0_sel:WORD_1
	s_waitcnt lgkmcnt(1)
	v_mfma_f32_16x16x16_bf16 v[42:45], v[18:19], v[34:35], 0
	s_waitcnt vmcnt(6)
	v_cvt_pk_f32_fp8_e32 v[52:53], v4
	v_perm_b32 v18, v49, v48, s5
	v_perm_b32 v19, v51, v50, s5
	v_cvt_pk_f32_fp8_e32 v[48:49], v21
	v_mfma_f32_16x16x16_bf16 v[42:45], v[46:47], v[36:37], v[42:45]
	v_cvt_pk_f32_fp8_sdwa v[46:47], v21 src0_sel:WORD_1
	v_cvt_pk_f32_fp8_sdwa v[58:59], v4 src0_sel:WORD_1
	v_perm_b32 v48, v49, v48, s5
	s_waitcnt lgkmcnt(0)
	v_mfma_f32_16x16x16_bf16 v[18:21], v[18:19], v[38:39], v[42:45]
	v_perm_b32 v49, v47, v46, s5
	s_waitcnt vmcnt(5)
	v_cvt_pk_f32_fp8_e32 v[62:63], v32
	v_cvt_pk_f32_fp8_sdwa v[64:65], v32 src0_sel:WORD_1
	v_cvt_pk_f32_fp8_e32 v[42:43], v2
	v_mfma_f32_16x16x16_bf16 v[46:49], v[48:49], v[40:41], v[18:21]
	s_waitcnt vmcnt(4)
	v_cvt_pk_f32_fp8_e32 v[66:67], v28
	v_cvt_pk_f32_fp8_sdwa v[68:69], v28 src0_sel:WORD_1
	v_cvt_pk_f32_fp8_sdwa v[18:19], v2 src0_sel:WORD_1
	v_cvt_pk_f32_fp8_e32 v[20:21], v3
	v_perm_b32 v2, v43, v42, s5
	v_cvt_pk_f32_fp8_sdwa v[42:43], v3 src0_sel:WORD_1
	v_perm_b32 v3, v19, v18, s5
	v_perm_b32 v50, v21, v20, s5
	ds_read_b128 v[18:21], v55 offset:2048
	v_perm_b32 v51, v43, v42, s5
	ds_read_b128 v[42:45], v55 offset:2064
	s_waitcnt lgkmcnt(1)
	v_mfma_f32_16x16x16_bf16 v[46:49], v[2:3], v[18:19], v[46:49]
	v_perm_b32 v2, v53, v52, s5
	v_perm_b32 v3, v59, v58, s5
	v_cvt_pk_f32_fp8_e32 v[52:53], v5
	v_mfma_f32_16x16x16_bf16 v[46:49], v[50:51], v[20:21], v[46:49]
	v_cvt_pk_f32_fp8_sdwa v[50:51], v5 src0_sel:WORD_1
	s_load_dword s4, s[38:39], 0x0
	v_perm_b32 v52, v53, v52, s5
	s_waitcnt lgkmcnt(0)
	v_mfma_f32_16x16x16_bf16 v[2:5], v[2:3], v[42:43], v[46:49]
	v_perm_b32 v53, v51, v50, s5
	s_waitcnt vmcnt(3)
	v_cvt_pk_f32_fp8_sdwa v[70:71], v16 src0_sel:WORD_1
	s_mov_b32 s3, 0
	v_cvt_pk_f32_fp8_e32 v[46:47], v30
	v_mfma_f32_16x16x16_bf16 v[50:53], v[52:53], v[44:45], v[2:5]
	v_cmp_gt_u32_e32 vcc, 64, v0
	s_nop 1
	v_cvt_pk_f32_fp8_sdwa v[2:3], v30 src0_sel:WORD_1
	v_cvt_pk_f32_fp8_e32 v[4:5], v31
	v_perm_b32 v30, v47, v46, s5
	v_cvt_pk_f32_fp8_sdwa v[46:47], v31 src0_sel:WORD_1
	v_perm_b32 v31, v3, v2, s5
	v_perm_b32 v58, v5, v4, s5
	ds_read_b128 v[2:5], v55 offset:4096
	v_perm_b32 v59, v47, v46, s5
	ds_read_b128 v[46:49], v55 offset:4112
	s_waitcnt lgkmcnt(1)
	v_mfma_f32_16x16x16_bf16 v[50:53], v[30:31], v[2:3], v[50:53]
	v_perm_b32 v30, v63, v62, s5
	v_perm_b32 v31, v65, v64, s5
	v_cvt_pk_f32_fp8_e32 v[62:63], v33
	v_mfma_f32_16x16x16_bf16 v[50:53], v[58:59], v[4:5], v[50:53]
	v_cvt_pk_f32_fp8_sdwa v[58:59], v33 src0_sel:WORD_1
	v_perm_b32 v62, v63, v62, s5
	s_waitcnt lgkmcnt(0)
	v_mfma_f32_16x16x16_bf16 v[30:33], v[30:31], v[46:47], v[50:53]
	v_perm_b32 v63, v59, v58, s5
	s_nop 1
	v_cvt_pk_f32_fp8_e32 v[50:51], v26
	v_mfma_f32_16x16x16_bf16 v[62:65], v[62:63], v[48:49], v[30:33]
	s_nop 2
	v_cvt_pk_f32_fp8_sdwa v[30:31], v26 src0_sel:WORD_1
	v_cvt_pk_f32_fp8_e32 v[32:33], v27
	v_perm_b32 v26, v51, v50, s5
	v_cvt_pk_f32_fp8_sdwa v[50:51], v27 src0_sel:WORD_1
	v_perm_b32 v27, v31, v30, s5
	v_perm_b32 v58, v33, v32, s5
	ds_read_b128 v[30:33], v55 offset:6144
	v_perm_b32 v59, v51, v50, s5
	ds_read_b128 v[50:53], v55 offset:6160
	s_waitcnt lgkmcnt(1)
	v_mfma_f32_16x16x16_bf16 v[62:65], v[26:27], v[30:31], v[62:65]
	v_perm_b32 v26, v67, v66, s5
	v_perm_b32 v27, v69, v68, s5
	v_cvt_pk_f32_fp8_e32 v[66:67], v29
	v_mfma_f32_16x16x16_bf16 v[62:65], v[58:59], v[32:33], v[62:65]
	v_cvt_pk_f32_fp8_sdwa v[58:59], v29 src0_sel:WORD_1
	v_cvt_pk_f32_fp8_e32 v[68:69], v16
	v_perm_b32 v66, v67, v66, s5
	s_waitcnt lgkmcnt(0)
	v_mfma_f32_16x16x16_bf16 v[26:29], v[26:27], v[50:51], v[62:65]
	v_perm_b32 v67, v59, v58, s5
	v_cvt_pk_f32_fp8_sdwa v[58:59], v14 src0_sel:WORD_1
	s_nop 0
	v_mfma_f32_16x16x16_bf16 v[62:65], v[66:67], v[52:53], v[26:29]
	s_barrier
	s_nop 1
	v_cvt_pk_f32_fp8_e32 v[28:29], v14
	s_nop 2
	v_pk_mul_f32 v[66:67], v[62:63], s[4:5] op_sel_hi:[1,0]
	v_cvt_pk_f32_fp8_e32 v[62:63], v15
	v_perm_b32 v28, v29, v28, s5
	v_perm_b32 v29, v59, v58, s5
	v_cvt_pk_f32_fp8_sdwa v[14:15], v15 src0_sel:WORD_1
	v_perm_b32 v58, v63, v62, s5
	v_pk_mul_f32 v[26:27], v[64:65], s[4:5] op_sel_hi:[1,0]
	v_mfma_f32_16x16x16_bf16 v[62:65], v[28:29], v[34:35], 0
	v_perm_b32 v59, v15, v14, s5
	v_perm_b32 v28, v69, v68, s5
	;; [unrolled: 1-line block ×3, first 2 shown]
	v_cvt_pk_f32_fp8_e32 v[34:35], v17
	v_cvt_pk_f32_fp8_sdwa v[68:69], v17 src0_sel:WORD_1
	v_mfma_f32_16x16x16_bf16 v[14:17], v[58:59], v[36:37], v[62:65]
	s_waitcnt vmcnt(2)
	v_cvt_pk_f32_fp8_sdwa v[36:37], v6 src0_sel:WORD_1
	v_perm_b32 v34, v35, v34, s5
	v_perm_b32 v35, v69, v68, s5
	v_mfma_f32_16x16x16_bf16 v[14:17], v[28:29], v[38:39], v[14:17]
	v_cvt_pk_f32_fp8_e32 v[28:29], v6
	v_cvt_pk_f32_fp8_sdwa v[38:39], v8 src0_sel:WORD_1
	v_bfe_u32 v55, v67, 16, 1
	v_mfma_f32_16x16x16_bf16 v[14:17], v[34:35], v[40:41], v[14:17]
	v_cvt_pk_f32_fp8_e32 v[34:35], v7
	v_perm_b32 v28, v29, v28, s5
	v_perm_b32 v29, v37, v36, s5
	v_cvt_pk_f32_fp8_sdwa v[6:7], v7 src0_sel:WORD_1
	v_perm_b32 v34, v35, v34, s5
	v_cvt_pk_f32_fp8_e32 v[36:37], v8
	v_mfma_f32_16x16x16_bf16 v[14:17], v[28:29], v[18:19], v[14:17]
	v_perm_b32 v35, v7, v6, s5
	v_perm_b32 v18, v37, v36, s5
	;; [unrolled: 1-line block ×3, first 2 shown]
	v_cvt_pk_f32_fp8_e32 v[28:29], v9
	v_cvt_pk_f32_fp8_sdwa v[36:37], v9 src0_sel:WORD_1
	v_mfma_f32_16x16x16_bf16 v[6:9], v[34:35], v[20:21], v[14:17]
	s_waitcnt vmcnt(1)
	v_cvt_pk_f32_fp8_e32 v[20:21], v24
	v_bfe_u32 v57, v66, 16, 1
	v_add3_u32 v34, v66, v57, s8
	v_perm_b32 v14, v29, v28, s5
	v_perm_b32 v15, v37, v36, s5
	v_mfma_f32_16x16x16_bf16 v[6:9], v[18:19], v[42:43], v[6:9]
	v_cvt_pk_f32_fp8_e32 v[16:17], v22
	v_cvt_pk_f32_fp8_sdwa v[18:19], v22 src0_sel:WORD_1
	v_add3_u32 v28, v67, v55, s8
	v_mfma_f32_16x16x16_bf16 v[6:9], v[14:15], v[44:45], v[6:9]
	v_cvt_pk_f32_fp8_e32 v[14:15], v23
	v_perm_b32 v16, v17, v16, s5
	v_perm_b32 v17, v19, v18, s5
	v_cvt_pk_f32_fp8_sdwa v[18:19], v23 src0_sel:WORD_1
	v_perm_b32 v14, v15, v14, s5
	v_cvt_pk_f32_fp8_sdwa v[22:23], v24 src0_sel:WORD_1
	v_mfma_f32_16x16x16_bf16 v[6:9], v[16:17], v[2:3], v[6:9]
	v_perm_b32 v15, v19, v18, s5
	v_perm_b32 v16, v21, v20, s5
	;; [unrolled: 1-line block ×3, first 2 shown]
	v_cvt_pk_f32_fp8_e32 v[18:19], v25
	v_cvt_pk_f32_fp8_sdwa v[20:21], v25 src0_sel:WORD_1
	v_mfma_f32_16x16x16_bf16 v[2:5], v[14:15], v[4:5], v[6:9]
	s_waitcnt vmcnt(0)
	v_cvt_pk_f32_fp8_e32 v[14:15], v10
	v_perm_b32 v14, v15, v14, s5
	v_perm_b32 v8, v19, v18, s5
	;; [unrolled: 1-line block ×3, first 2 shown]
	v_mfma_f32_16x16x16_bf16 v[2:5], v[16:17], v[46:47], v[2:5]
	v_cvt_pk_f32_fp8_sdwa v[16:17], v10 src0_sel:WORD_1
	v_cvt_pk_f32_fp8_sdwa v[18:19], v12 src0_sel:WORD_1
	v_bfe_u32 v7, v27, 16, 1
	v_mfma_f32_16x16x16_bf16 v[2:5], v[8:9], v[48:49], v[2:5]
	v_cvt_pk_f32_fp8_e32 v[8:9], v11
	v_perm_b32 v15, v17, v16, s5
	v_cvt_pk_f32_fp8_sdwa v[10:11], v11 src0_sel:WORD_1
	v_cvt_pk_f32_fp8_e32 v[16:17], v12
	v_perm_b32 v8, v9, v8, s5
	v_mfma_f32_16x16x16_bf16 v[2:5], v[14:15], v[30:31], v[2:5]
	v_perm_b32 v9, v11, v10, s5
	v_perm_b32 v10, v17, v16, s5
	;; [unrolled: 1-line block ×3, first 2 shown]
	v_cvt_pk_f32_fp8_e32 v[14:15], v13
	v_cvt_pk_f32_fp8_sdwa v[12:13], v13 src0_sel:WORD_1
	v_mfma_f32_16x16x16_bf16 v[2:5], v[8:9], v[32:33], v[2:5]
	v_bfe_u32 v16, v26, 16, 1
	v_perm_b32 v8, v15, v14, s5
	v_perm_b32 v9, v13, v12, s5
	v_mfma_f32_16x16x16_bf16 v[2:5], v[10:11], v[50:51], v[2:5]
	v_add3_u32 v10, v26, v16, s8
	v_add3_u32 v7, v27, v7, s8
	v_perm_b32 v6, v28, v34, s5
	v_mfma_f32_16x16x16_bf16 v[2:5], v[8:9], v[52:53], v[2:5]
	v_perm_b32 v7, v7, v10, s5
	s_nop 5
	v_pk_mul_f32 v[2:3], v[2:3], s[4:5] op_sel_hi:[1,0]
	v_pk_mul_f32 v[4:5], v[4:5], s[4:5] op_sel_hi:[1,0]
	v_bfe_u32 v8, v3, 16, 1
	v_bfe_u32 v9, v2, 16, 1
	v_add3_u32 v2, v2, v9, s8
	v_add3_u32 v3, v3, v8, s8
	v_perm_b32 v2, v3, v2, s5
	v_bfe_u32 v3, v5, 16, 1
	v_bfe_u32 v8, v4, 16, 1
	v_add3_u32 v4, v4, v8, s8
	v_add3_u32 v3, v5, v3, s8
	v_perm_b32 v3, v3, v4, s5
	ds_write2st64_b64 v56, v[6:7], v[2:3] offset1:1
	s_waitcnt lgkmcnt(0)
	s_barrier
	s_and_saveexec_b64 s[4:5], vcc
	s_cbranch_execz .LBB1283_17
; %bb.16:
	s_load_dwordx2 s[0:1], s[0:1], 0x68
	s_lshl_b32 s6, s6, 7
	s_mul_i32 s2, s7, s2
	s_mul_hi_u32 s5, s2, s6
	s_mul_i32 s4, s2, s6
	s_lshl_b64 s[4:5], s[4:5], 1
	s_waitcnt lgkmcnt(0)
	s_add_u32 s4, s0, s4
	v_lshlrev_b32_e32 v4, 6, v60
	s_addc_u32 s5, s1, s5
	s_lshl_b32 s2, s33, 7
	v_lshl_or_b32 v0, v0, 10, v4
	s_lshl_b64 s[0:1], s[2:3], 1
	v_lshlrev_b32_e32 v2, 5, v1
	v_and_b32_e32 v3, 16, v61
	v_and_b32_e32 v0, 0x1a00, v0
	s_add_u32 s0, s4, s0
	v_or3_b32 v0, v0, v2, v3
	s_addc_u32 s1, s5, s1
	v_mov_b32_e32 v55, 0
	v_or_b32_e32 v20, s44, v1
	ds_read_b128 v[2:5], v0
	ds_read_b128 v[6:9], v0 offset:128
	ds_read_b128 v[10:13], v0 offset:256
	;; [unrolled: 1-line block ×3, first 2 shown]
	v_lshl_add_u64 v[18:19], s[0:1], 0, v[54:55]
	v_mad_u64_u32 v[0:1], s[0:1], v20, s6, 0
	v_lshl_add_u64 v[0:1], v[0:1], 1, v[18:19]
	s_waitcnt lgkmcnt(3)
	global_store_dwordx4 v[0:1], v[2:5], off
	v_or_b32_e32 v0, 4, v20
	v_mad_u64_u32 v[0:1], s[0:1], v0, s6, 0
	v_lshl_add_u64 v[0:1], v[0:1], 1, v[18:19]
	s_waitcnt lgkmcnt(2)
	global_store_dwordx4 v[0:1], v[6:9], off
	v_or_b32_e32 v0, 8, v20
	;; [unrolled: 5-line block ×3, first 2 shown]
	v_mad_u64_u32 v[0:1], s[0:1], v0, s6, 0
	v_lshl_add_u64 v[0:1], v[0:1], 1, v[18:19]
	s_waitcnt lgkmcnt(0)
	global_store_dwordx4 v[0:1], v[14:17], off
.LBB1283_17:
	s_endpgm
	.section	.rodata,"a",@progbits
	.p2align	6, 0x0
	.amdhsa_kernel _Z39paged_attention_ll4mi_QKV_mfma16_kernelI14__hip_bfloat16hLN4vllm18Fp8KVCacheDataTypeE1EhLi16ELi128ELi256ELb0ELi16EEvPKT_PKT0_S8_ifPKiSA_SA_iPKfiiiPfSD_PS3_PT2_iSC_SC_
		.amdhsa_group_segment_fixed_size 8192
		.amdhsa_private_segment_fixed_size 0
		.amdhsa_kernarg_size 400
		.amdhsa_user_sgpr_count 2
		.amdhsa_user_sgpr_dispatch_ptr 0
		.amdhsa_user_sgpr_queue_ptr 0
		.amdhsa_user_sgpr_kernarg_segment_ptr 1
		.amdhsa_user_sgpr_dispatch_id 0
		.amdhsa_user_sgpr_kernarg_preload_length 0
		.amdhsa_user_sgpr_kernarg_preload_offset 0
		.amdhsa_user_sgpr_private_segment_size 0
		.amdhsa_uses_dynamic_stack 0
		.amdhsa_enable_private_segment 0
		.amdhsa_system_sgpr_workgroup_id_x 1
		.amdhsa_system_sgpr_workgroup_id_y 1
		.amdhsa_system_sgpr_workgroup_id_z 1
		.amdhsa_system_sgpr_workgroup_info 0
		.amdhsa_system_vgpr_workitem_id 0
		.amdhsa_next_free_vgpr 92
		.amdhsa_next_free_sgpr 47
		.amdhsa_accum_offset 92
		.amdhsa_reserve_vcc 1
		.amdhsa_float_round_mode_32 0
		.amdhsa_float_round_mode_16_64 0
		.amdhsa_float_denorm_mode_32 3
		.amdhsa_float_denorm_mode_16_64 3
		.amdhsa_dx10_clamp 1
		.amdhsa_ieee_mode 1
		.amdhsa_fp16_overflow 0
		.amdhsa_tg_split 0
		.amdhsa_exception_fp_ieee_invalid_op 0
		.amdhsa_exception_fp_denorm_src 0
		.amdhsa_exception_fp_ieee_div_zero 0
		.amdhsa_exception_fp_ieee_overflow 0
		.amdhsa_exception_fp_ieee_underflow 0
		.amdhsa_exception_fp_ieee_inexact 0
		.amdhsa_exception_int_div_zero 0
	.end_amdhsa_kernel
	.section	.text._Z39paged_attention_ll4mi_QKV_mfma16_kernelI14__hip_bfloat16hLN4vllm18Fp8KVCacheDataTypeE1EhLi16ELi128ELi256ELb0ELi16EEvPKT_PKT0_S8_ifPKiSA_SA_iPKfiiiPfSD_PS3_PT2_iSC_SC_,"axG",@progbits,_Z39paged_attention_ll4mi_QKV_mfma16_kernelI14__hip_bfloat16hLN4vllm18Fp8KVCacheDataTypeE1EhLi16ELi128ELi256ELb0ELi16EEvPKT_PKT0_S8_ifPKiSA_SA_iPKfiiiPfSD_PS3_PT2_iSC_SC_,comdat
.Lfunc_end1283:
	.size	_Z39paged_attention_ll4mi_QKV_mfma16_kernelI14__hip_bfloat16hLN4vllm18Fp8KVCacheDataTypeE1EhLi16ELi128ELi256ELb0ELi16EEvPKT_PKT0_S8_ifPKiSA_SA_iPKfiiiPfSD_PS3_PT2_iSC_SC_, .Lfunc_end1283-_Z39paged_attention_ll4mi_QKV_mfma16_kernelI14__hip_bfloat16hLN4vllm18Fp8KVCacheDataTypeE1EhLi16ELi128ELi256ELb0ELi16EEvPKT_PKT0_S8_ifPKiSA_SA_iPKfiiiPfSD_PS3_PT2_iSC_SC_
                                        ; -- End function
	.section	.AMDGPU.csdata,"",@progbits
; Kernel info:
; codeLenInByte = 6332
; NumSgprs: 53
; NumVgprs: 92
; NumAgprs: 0
; TotalNumVgprs: 92
; ScratchSize: 0
; MemoryBound: 0
; FloatMode: 240
; IeeeMode: 1
; LDSByteSize: 8192 bytes/workgroup (compile time only)
; SGPRBlocks: 6
; VGPRBlocks: 11
; NumSGPRsForWavesPerEU: 53
; NumVGPRsForWavesPerEU: 92
; AccumOffset: 92
; Occupancy: 5
; WaveLimiterHint : 1
; COMPUTE_PGM_RSRC2:SCRATCH_EN: 0
; COMPUTE_PGM_RSRC2:USER_SGPR: 2
; COMPUTE_PGM_RSRC2:TRAP_HANDLER: 0
; COMPUTE_PGM_RSRC2:TGID_X_EN: 1
; COMPUTE_PGM_RSRC2:TGID_Y_EN: 1
; COMPUTE_PGM_RSRC2:TGID_Z_EN: 1
; COMPUTE_PGM_RSRC2:TIDIG_COMP_CNT: 0
; COMPUTE_PGM_RSRC3_GFX90A:ACCUM_OFFSET: 22
; COMPUTE_PGM_RSRC3_GFX90A:TG_SPLIT: 0
	.section	.text._Z39paged_attention_ll4mi_QKV_mfma16_kernelI14__hip_bfloat16hLN4vllm18Fp8KVCacheDataTypeE1EhLi16ELi128ELi256ELb0ELi1EEvPKT_PKT0_S8_ifPKiSA_SA_iPKfiiiPfSD_PS3_PT2_iSC_SC_,"axG",@progbits,_Z39paged_attention_ll4mi_QKV_mfma16_kernelI14__hip_bfloat16hLN4vllm18Fp8KVCacheDataTypeE1EhLi16ELi128ELi256ELb0ELi1EEvPKT_PKT0_S8_ifPKiSA_SA_iPKfiiiPfSD_PS3_PT2_iSC_SC_,comdat
	.protected	_Z39paged_attention_ll4mi_QKV_mfma16_kernelI14__hip_bfloat16hLN4vllm18Fp8KVCacheDataTypeE1EhLi16ELi128ELi256ELb0ELi1EEvPKT_PKT0_S8_ifPKiSA_SA_iPKfiiiPfSD_PS3_PT2_iSC_SC_ ; -- Begin function _Z39paged_attention_ll4mi_QKV_mfma16_kernelI14__hip_bfloat16hLN4vllm18Fp8KVCacheDataTypeE1EhLi16ELi128ELi256ELb0ELi1EEvPKT_PKT0_S8_ifPKiSA_SA_iPKfiiiPfSD_PS3_PT2_iSC_SC_
	.globl	_Z39paged_attention_ll4mi_QKV_mfma16_kernelI14__hip_bfloat16hLN4vllm18Fp8KVCacheDataTypeE1EhLi16ELi128ELi256ELb0ELi1EEvPKT_PKT0_S8_ifPKiSA_SA_iPKfiiiPfSD_PS3_PT2_iSC_SC_
	.p2align	8
	.type	_Z39paged_attention_ll4mi_QKV_mfma16_kernelI14__hip_bfloat16hLN4vllm18Fp8KVCacheDataTypeE1EhLi16ELi128ELi256ELb0ELi1EEvPKT_PKT0_S8_ifPKiSA_SA_iPKfiiiPfSD_PS3_PT2_iSC_SC_,@function
_Z39paged_attention_ll4mi_QKV_mfma16_kernelI14__hip_bfloat16hLN4vllm18Fp8KVCacheDataTypeE1EhLi16ELi128ELi256ELb0ELi1EEvPKT_PKT0_S8_ifPKiSA_SA_iPKfiiiPfSD_PS3_PT2_iSC_SC_: ; @_Z39paged_attention_ll4mi_QKV_mfma16_kernelI14__hip_bfloat16hLN4vllm18Fp8KVCacheDataTypeE1EhLi16ELi128ELi256ELb0ELi1EEvPKT_PKT0_S8_ifPKiSA_SA_iPKfiiiPfSD_PS3_PT2_iSC_SC_
; %bb.0:
	s_load_dwordx2 s[12:13], s[0:1], 0x30
	s_mov_b32 s5, s3
	s_mov_b64 s[6:7], 0
	s_waitcnt lgkmcnt(0)
	s_cmp_lg_u64 s[12:13], 0
	s_cselect_b64 s[14:15], -1, 0
	s_and_b64 vcc, exec, s[14:15]
	s_cbranch_vccz .LBB1284_7
; %bb.1:
	s_add_i32 s8, s2, 1
	s_mov_b32 s9, 0
	s_lshl_b64 s[10:11], s[8:9], 2
	s_add_u32 s10, s12, s10
	s_mov_b32 s3, s9
	s_addc_u32 s11, s13, s11
	s_lshl_b64 s[8:9], s[2:3], 2
	s_add_u32 s8, s12, s8
	s_addc_u32 s9, s13, s9
	s_load_dword s16, s[10:11], 0x0
	s_load_dword s17, s[8:9], 0x0
	s_waitcnt lgkmcnt(0)
	s_sub_i32 s8, s16, s17
	s_cmp_eq_u32 s8, 1
	s_cselect_b64 s[8:9], -1, 0
	s_andn2_b64 vcc, exec, s[6:7]
	s_cbranch_vccnz .LBB1284_3
.LBB1284_2:
	s_mov_b32 s3, 0
	s_mov_b64 s[8:9], -1
.LBB1284_3:
	s_andn2_b64 vcc, exec, s[8:9]
	s_cbranch_vccnz .LBB1284_17
; %bb.4:
	s_load_dwordx2 s[6:7], s[0:1], 0x28
	s_lshl_b64 s[16:17], s[2:3], 2
	s_waitcnt lgkmcnt(0)
	s_add_u32 s6, s6, s16
	s_addc_u32 s7, s7, s17
	s_load_dword s18, s[6:7], 0x0
	s_lshl_b32 s19, s5, 8
	s_waitcnt lgkmcnt(0)
	s_cmp_ge_i32 s19, s18
	s_cbranch_scc1 .LBB1284_17
; %bb.5:
	s_load_dwordx2 s[6:7], s[0:1], 0x20
	s_load_dword s8, s[0:1], 0x38
	s_add_i32 s9, s18, 15
	s_ashr_i32 s10, s9, 31
	v_and_b32_e32 v1, 0xcf, v0
	s_lshr_b32 s10, s10, 28
	v_add_u32_e32 v1, s19, v1
	s_add_i32 s9, s9, s10
	v_ashrrev_i32_e32 v2, 31, v1
	s_ashr_i32 s20, s9, 4
	v_lshrrev_b32_e32 v10, 28, v2
	s_add_i32 s20, s20, -1
	s_waitcnt lgkmcnt(0)
	s_mul_i32 s8, s2, s8
	s_mov_b32 s9, 0
	v_add_u32_e32 v2, v1, v10
	s_lshl_b64 s[8:9], s[8:9], 2
	v_ashrrev_i32_e32 v2, 4, v2
	v_mov_b32_e32 v11, s20
	v_cmp_gt_i32_e32 vcc, s18, v1
	s_add_u32 s6, s6, s8
	s_addc_u32 s7, s7, s9
	v_cndmask_b32_e32 v2, v11, v2, vcc
	v_ashrrev_i32_e32 v3, 31, v2
	v_lshl_add_u64 v[4:5], v[2:3], 2, s[6:7]
	v_or_b32_e32 v2, 16, v1
	v_add_u32_e32 v3, v2, v10
	v_ashrrev_i32_e32 v3, 4, v3
	v_cmp_gt_i32_e32 vcc, s18, v2
	s_load_dwordx4 s[8:11], s[0:1], 0x8
	s_nop 0
	v_cndmask_b32_e32 v2, v11, v3, vcc
	v_ashrrev_i32_e32 v3, 31, v2
	v_lshl_add_u64 v[6:7], v[2:3], 2, s[6:7]
	v_or_b32_e32 v2, 32, v1
	v_add_u32_e32 v3, v2, v10
	v_ashrrev_i32_e32 v3, 4, v3
	v_cmp_gt_i32_e32 vcc, s18, v2
	v_or_b32_e32 v1, 48, v1
	s_nop 0
	v_cndmask_b32_e32 v2, v11, v3, vcc
	v_ashrrev_i32_e32 v3, 31, v2
	v_lshl_add_u64 v[8:9], v[2:3], 2, s[6:7]
	v_add_u32_e32 v2, v1, v10
	v_ashrrev_i32_e32 v2, 4, v2
	v_cmp_gt_i32_e32 vcc, s18, v1
	s_nop 1
	v_cndmask_b32_e32 v2, v11, v2, vcc
	v_ashrrev_i32_e32 v3, 31, v2
	v_lshl_add_u64 v[10:11], v[2:3], 2, s[6:7]
	global_load_dword v3, v[4:5], off
	global_load_dword v2, v[6:7], off
	;; [unrolled: 1-line block ×4, first 2 shown]
	s_andn2_b64 vcc, exec, s[14:15]
	s_cbranch_vccnz .LBB1284_8
; %bb.6:
	s_add_u32 s12, s12, s16
	s_addc_u32 s13, s13, s17
	s_load_dword s14, s[12:13], 0x0
	s_branch .LBB1284_9
.LBB1284_7:
	s_mov_b64 s[8:9], 0
	s_branch .LBB1284_2
.LBB1284_8:
	s_mov_b32 s14, s2
.LBB1284_9:
	s_load_dwordx4 s[44:47], s[0:1], 0x48
	v_lshrrev_b32_e32 v57, 6, v0
	v_bfe_u32 v54, v0, 4, 2
	v_and_b32_e32 v55, 15, v0
	v_lshl_or_b32 v1, v57, 2, v54
	v_lshlrev_b32_e32 v4, 3, v55
	v_and_b32_e32 v58, 63, v0
	v_cmp_eq_u32_e32 vcc, 0, v1
	v_lshlrev_b32_e32 v1, 1, v4
	v_lshlrev_b32_e32 v56, 4, v0
	s_and_saveexec_b64 s[12:13], vcc
	s_cbranch_execz .LBB1284_11
; %bb.10:
	s_load_dwordx2 s[16:17], s[0:1], 0x0
	s_waitcnt lgkmcnt(0)
	s_ashr_i32 s15, s44, 31
	s_mul_hi_u32 s21, s14, s44
	s_mul_i32 s15, s14, s15
	s_add_i32 s15, s21, s15
	s_mul_i32 s14, s14, s44
	s_lshl_b64 s[14:15], s[14:15], 1
	s_add_u32 s16, s16, s14
	s_addc_u32 s17, s17, s15
	s_lshl_b32 s14, s4, 7
	s_ashr_i32 s15, s14, 31
	s_lshl_b64 s[14:15], s[14:15], 1
	s_add_u32 s14, s16, s14
	s_addc_u32 s15, s17, s15
	global_load_dwordx4 v[4:7], v1, s[14:15]
	v_lshlrev_b32_e32 v8, 8, v0
	v_lshlrev_b32_e32 v9, 8, v55
	v_and_b32_e32 v8, 0x600, v8
	v_and_b32_e32 v9, 0x800, v9
	;; [unrolled: 1-line block ×3, first 2 shown]
	v_or3_b32 v8, v9, v8, v10
	s_waitcnt vmcnt(0)
	ds_write_b128 v8, v[4:7]
.LBB1284_11:
	s_or_b64 exec, exec, s[12:13]
	s_waitcnt lgkmcnt(0)
	s_mul_i32 s12, s4, s46
	s_add_u32 s8, s8, s12
	s_addc_u32 s9, s9, 0
	v_and_b32_e32 v50, 0xf0, v56
	v_mov_b32_e32 v51, 0
	v_and_b32_e32 v36, 48, v0
	v_lshl_add_u64 v[26:27], s[8:9], 0, v[50:51]
	v_lshlrev_b32_e32 v50, 4, v36
	s_waitcnt vmcnt(3)
	v_mad_i64_i32 v[4:5], s[8:9], v3, s45, v[26:27]
	v_lshl_add_u64 v[4:5], v[4:5], 0, v[50:51]
	s_barrier
	global_load_dwordx4 v[30:33], v[4:5], off
	global_load_dwordx4 v[14:17], v[4:5], off offset:1024
	s_waitcnt vmcnt(4)
	v_mad_i64_i32 v[2:3], s[8:9], v2, s45, v[26:27]
	v_lshl_add_u64 v[28:29], v[2:3], 0, v[50:51]
	global_load_dwordx4 v[2:5], v[28:29], off
	v_or_b32_e32 v36, s19, v36
	v_mov_b32_e32 v45, s20
	v_ashrrev_i32_e32 v37, 4, v36
	v_or_b32_e32 v38, 64, v36
	v_cmp_gt_i32_e32 vcc, s18, v36
	v_lshlrev_b32_e32 v6, 9, v54
	v_or_b32_e32 v46, 0x80, v36
	v_or_b32_e32 v47, 0xc0, v36
	v_cndmask_b32_e32 v36, v45, v37, vcc
	v_ashrrev_i32_e32 v39, 4, v38
	v_cmp_gt_i32_e32 vcc, s18, v38
	s_load_dword s8, s[0:1], 0x1c
	s_load_dwordx4 s[40:43], s[0:1], 0x80
	ds_read_b128 v[22:25], v6
	ds_read_b128 v[18:21], v6 offset:16
	ds_read_b128 v[10:13], v6 offset:2048
	ds_read_b128 v[6:9], v6 offset:2064
	v_cndmask_b32_e32 v44, v45, v39, vcc
	global_load_dwordx4 v[38:41], v[28:29], off offset:1024
	s_add_u32 s46, s10, s12
	s_waitcnt vmcnt(5)
	v_mad_i64_i32 v[42:43], s[12:13], v34, s45, v[26:27]
	v_ashrrev_i32_e32 v48, 4, v46
	s_waitcnt vmcnt(4)
	v_mad_i64_i32 v[26:27], s[12:13], v35, s45, v[26:27]
	v_ashrrev_i32_e32 v37, 31, v36
	v_cmp_gt_i32_e32 vcc, s18, v46
	v_lshl_add_u64 v[28:29], v[42:43], 0, v[50:51]
	v_ashrrev_i32_e32 v49, 4, v47
	v_cndmask_b32_e32 v48, v45, v48, vcc
	v_cmp_gt_i32_e32 vcc, s18, v47
	v_lshl_add_u64 v[46:47], v[26:27], 0, v[50:51]
	v_lshl_add_u64 v[60:61], v[36:37], 2, s[6:7]
	global_load_dwordx4 v[34:37], v[28:29], off
	s_nop 0
	global_load_dwordx4 v[26:29], v[28:29], off offset:1024
	v_cndmask_b32_e32 v52, v45, v49, vcc
	v_ashrrev_i32_e32 v45, 31, v44
	v_ashrrev_i32_e32 v49, 31, v48
	;; [unrolled: 1-line block ×3, first 2 shown]
	v_lshl_add_u64 v[42:43], v[44:45], 2, s[6:7]
	v_lshl_add_u64 v[44:45], v[48:49], 2, s[6:7]
	;; [unrolled: 1-line block ×3, first 2 shown]
	global_load_dword v60, v[60:61], off
	s_nop 0
	global_load_dword v63, v[42:43], off
	global_load_dword v61, v[44:45], off
	;; [unrolled: 1-line block ×3, first 2 shown]
	s_mov_b32 s33, 0x7060302
	v_lshl_or_b32 v59, v57, 4, v55
	s_addc_u32 s47, s11, 0
	v_lshlrev_b32_e32 v50, 4, v59
	s_waitcnt vmcnt(9)
	v_cvt_pk_f32_fp8_e32 v[42:43], v30
	v_cvt_pk_f32_fp8_sdwa v[44:45], v30 src0_sel:WORD_1
	v_cvt_pk_f32_fp8_e32 v[48:49], v31
	v_cvt_pk_f32_fp8_sdwa v[52:53], v31 src0_sel:WORD_1
	;; [unrolled: 2-line block ×4, first 2 shown]
	s_waitcnt vmcnt(7)
	v_cvt_pk_f32_fp8_e32 v[30:31], v2
	v_cvt_pk_f32_fp8_sdwa v[32:33], v2 src0_sel:WORD_1
	v_perm_b32 v42, v43, v42, s33
	v_perm_b32 v43, v45, v44, s33
	v_cvt_pk_f32_fp8_e32 v[74:75], v3
	v_cvt_pk_f32_fp8_sdwa v[2:3], v3 src0_sel:WORD_1
	v_perm_b32 v44, v31, v30, s33
	v_perm_b32 v45, v33, v32, s33
	;; [unrolled: 1-line block ×4, first 2 shown]
	s_waitcnt lgkmcnt(0)
	v_mfma_f32_16x16x16_bf16 v[30:33], v[42:43], v[22:23], 0
	v_perm_b32 v74, v75, v74, s33
	v_perm_b32 v75, v3, v2, s33
	v_cvt_pk_f32_fp8_e32 v[72:73], v14
	v_cvt_pk_f32_fp8_sdwa v[76:77], v14 src0_sel:WORD_1
	v_mfma_f32_16x16x16_bf16 v[42:45], v[44:45], v[22:23], 0
	v_cvt_pk_f32_fp8_e32 v[52:53], v15
	v_cvt_pk_f32_fp8_sdwa v[2:3], v15 src0_sel:WORD_1
	v_perm_b32 v14, v65, v64, s33
	v_perm_b32 v15, v67, v66, s33
	v_mfma_f32_16x16x16_bf16 v[30:33], v[48:49], v[24:25], v[30:33]
	v_perm_b32 v48, v73, v72, s33
	v_perm_b32 v49, v77, v76, s33
	s_waitcnt vmcnt(5)
	v_cvt_pk_f32_fp8_sdwa v[72:73], v36 src0_sel:WORD_1
	v_mfma_f32_16x16x16_bf16 v[64:67], v[74:75], v[24:25], v[42:45]
	s_nop 2
	v_perm_b32 v44, v69, v68, s33
	v_perm_b32 v45, v71, v70, s33
	v_mfma_f32_16x16x16_bf16 v[30:33], v[14:15], v[18:19], v[30:33]
	v_cvt_pk_f32_fp8_e32 v[42:43], v16
	v_cvt_pk_f32_fp8_sdwa v[14:15], v16 src0_sel:WORD_1
	v_cvt_pk_f32_fp8_e32 v[68:69], v17
	v_mfma_f32_16x16x16_bf16 v[30:33], v[44:45], v[20:21], v[30:33]
	v_perm_b32 v44, v53, v52, s33
	v_perm_b32 v45, v3, v2, s33
	v_cvt_pk_f32_fp8_sdwa v[2:3], v17 src0_sel:WORD_1
	v_mfma_f32_16x16x16_bf16 v[30:33], v[48:49], v[10:11], v[30:33]
	v_perm_b32 v48, v43, v42, s33
	v_perm_b32 v49, v15, v14, s33
	v_cvt_pk_f32_fp8_sdwa v[52:53], v4 src0_sel:WORD_1
	v_mfma_f32_16x16x16_bf16 v[14:17], v[44:45], v[12:13], v[30:33]
	global_load_dwordx4 v[42:45], v[46:47], off
	s_nop 1
	global_load_dwordx4 v[30:33], v[46:47], off offset:1024
	v_perm_b32 v47, v3, v2, s33
	v_cvt_pk_f32_fp8_e32 v[2:3], v4
	v_perm_b32 v46, v69, v68, s33
	v_mfma_f32_16x16x16_bf16 v[14:17], v[48:49], v[6:7], v[14:17]
	v_cvt_pk_f32_fp8_e32 v[68:69], v5
	v_perm_b32 v2, v3, v2, s33
	v_perm_b32 v3, v53, v52, s33
	v_cvt_pk_f32_fp8_sdwa v[4:5], v5 src0_sel:WORD_1
	v_mfma_f32_16x16x16_bf16 v[46:49], v[46:47], v[8:9], v[14:17]
	v_cvt_pk_f32_fp8_sdwa v[52:53], v38 src0_sel:WORD_1
	s_waitcnt vmcnt(1)
	v_cvt_pk_f32_fp8_sdwa v[74:75], v44 src0_sel:WORD_1
	v_perm_b32 v14, v69, v68, s33
	v_cvt_pk_f32_fp8_e32 v[16:17], v38
	v_perm_b32 v15, v5, v4, s33
	v_mfma_f32_16x16x16_bf16 v[2:5], v[2:3], v[18:19], v[64:67]
	v_perm_b32 v16, v17, v16, s33
	v_perm_b32 v17, v53, v52, s33
	v_cvt_pk_f32_fp8_e32 v[52:53], v39
	v_cvt_pk_f32_fp8_sdwa v[38:39], v39 src0_sel:WORD_1
	v_mfma_f32_16x16x16_bf16 v[2:5], v[14:15], v[20:21], v[2:5]
	v_cvt_pk_f32_fp8_sdwa v[66:67], v34 src0_sel:WORD_1
	v_perm_b32 v14, v53, v52, s33
	v_perm_b32 v15, v39, v38, s33
	v_mfma_f32_16x16x16_bf16 v[2:5], v[16:17], v[10:11], v[2:5]
	v_cvt_pk_f32_fp8_e32 v[16:17], v40
	v_cvt_pk_f32_fp8_sdwa v[38:39], v40 src0_sel:WORD_1
	v_perm_b32 v71, v67, v66, s33
	v_mfma_f32_16x16x16_bf16 v[2:5], v[14:15], v[12:13], v[2:5]
	v_perm_b32 v14, v17, v16, s33
	v_perm_b32 v15, v39, v38, s33
	v_cvt_pk_f32_fp8_e32 v[16:17], v41
	v_cvt_pk_f32_fp8_sdwa v[38:39], v41 src0_sel:WORD_1
	v_mfma_f32_16x16x16_bf16 v[2:5], v[14:15], v[6:7], v[2:5]
	v_cvt_pk_f32_fp8_e32 v[14:15], v34
	v_perm_b32 v16, v17, v16, s33
	v_perm_b32 v17, v39, v38, s33
	v_cvt_pk_f32_fp8_e32 v[66:67], v35
	v_perm_b32 v70, v15, v14, s33
	v_cvt_pk_f32_fp8_sdwa v[34:35], v35 src0_sel:WORD_1
	v_lshl_add_u64 v[52:53], s[46:47], 0, v[50:51]
	v_mad_i64_i32 v[64:65], s[6:7], v60, s45, v[52:53]
	v_mad_i64_i32 v[68:69], s[6:7], v63, s45, v[52:53]
	v_mfma_f32_16x16x16_bf16 v[38:41], v[16:17], v[8:9], v[2:5]
	global_load_dwordx4 v[14:17], v[64:65], off
	s_nop 1
	global_load_dwordx4 v[2:5], v[68:69], off
	v_perm_b32 v68, v67, v66, s33
	v_perm_b32 v69, v35, v34, s33
	v_mfma_f32_16x16x16_bf16 v[64:67], v[70:71], v[22:23], 0
	v_cvt_pk_f32_fp8_e32 v[70:71], v36
	v_mad_i64_i32 v[34:35], s[6:7], v61, s45, v[52:53]
	v_mfma_f32_16x16x16_bf16 v[64:67], v[68:69], v[24:25], v[64:67]
	v_perm_b32 v68, v71, v70, s33
	v_perm_b32 v69, v73, v72, s33
	v_cvt_pk_f32_fp8_e32 v[70:71], v37
	v_cvt_pk_f32_fp8_sdwa v[36:37], v37 src0_sel:WORD_1
	v_mfma_f32_16x16x16_bf16 v[64:67], v[68:69], v[18:19], v[64:67]
	v_perm_b32 v70, v71, v70, s33
	v_perm_b32 v71, v37, v36, s33
	v_cvt_pk_f32_fp8_e32 v[36:37], v26
	v_cvt_pk_f32_fp8_sdwa v[68:69], v26 src0_sel:WORD_1
	v_mfma_f32_16x16x16_bf16 v[64:67], v[70:71], v[20:21], v[64:67]
	v_cvt_pk_f32_fp8_e32 v[70:71], v27
	v_perm_b32 v36, v37, v36, s33
	v_perm_b32 v37, v69, v68, s33
	v_cvt_pk_f32_fp8_sdwa v[26:27], v27 src0_sel:WORD_1
	v_perm_b32 v68, v71, v70, s33
	v_cvt_pk_f32_fp8_e32 v[70:71], v28
	v_cvt_pk_f32_fp8_sdwa v[72:73], v28 src0_sel:WORD_1
	v_perm_b32 v69, v27, v26, s33
	v_mfma_f32_16x16x16_bf16 v[64:67], v[36:37], v[10:11], v[64:67]
	v_mad_i64_i32 v[52:53], s[6:7], v62, s45, v[52:53]
	s_load_dword s6, s[40:41], 0x0
	v_perm_b32 v36, v71, v70, s33
	v_perm_b32 v37, v73, v72, s33
	v_cvt_pk_f32_fp8_e32 v[70:71], v29
	v_cvt_pk_f32_fp8_sdwa v[72:73], v29 src0_sel:WORD_1
	v_mfma_f32_16x16x16_bf16 v[26:29], v[68:69], v[12:13], v[64:67]
	s_mov_b32 s40, 0xff7fffff
	v_or_b32_e32 v50, 0x400, v50
	s_nop 0
	v_mov_b32_e32 v66, s8
	v_perm_b32 v64, v71, v70, s33
	v_perm_b32 v65, v73, v72, s33
	v_mfma_f32_16x16x16_bf16 v[26:29], v[36:37], v[6:7], v[26:29]
	s_waitcnt lgkmcnt(0)
	v_mul_f32_e32 v68, s6, v66
	v_cvt_pk_f32_fp8_e32 v[36:37], v42
	v_cvt_pk_f32_fp8_sdwa v[66:67], v42 src0_sel:WORD_1
	v_mfma_f32_16x16x16_bf16 v[26:29], v[64:65], v[8:9], v[26:29]
	v_cvt_pk_f32_fp8_e32 v[64:65], v43
	v_perm_b32 v36, v37, v36, s33
	v_perm_b32 v37, v67, v66, s33
	v_cvt_pk_f32_fp8_sdwa v[42:43], v43 src0_sel:WORD_1
	v_perm_b32 v70, v65, v64, s33
	v_cvt_pk_f32_fp8_e32 v[72:73], v44
	v_mfma_f32_16x16x16_bf16 v[64:67], v[36:37], v[22:23], 0
	v_perm_b32 v71, v43, v42, s33
	v_perm_b32 v36, v73, v72, s33
	;; [unrolled: 1-line block ×3, first 2 shown]
	v_cvt_pk_f32_fp8_e32 v[72:73], v45
	v_cvt_pk_f32_fp8_sdwa v[74:75], v45 src0_sel:WORD_1
	v_mfma_f32_16x16x16_bf16 v[42:45], v[70:71], v[24:25], v[64:67]
	v_pk_mul_f32 v[22:23], v[68:69], v[48:49] op_sel_hi:[0,1]
	v_perm_b32 v24, v73, v72, s33
	v_perm_b32 v25, v75, v74, s33
	v_mfma_f32_16x16x16_bf16 v[42:45], v[36:37], v[18:19], v[42:45]
	v_pk_mul_f32 v[18:19], v[68:69], v[46:47] op_sel_hi:[0,1]
	s_waitcnt vmcnt(2)
	v_cvt_pk_f32_fp8_e32 v[36:37], v30
	v_cvt_pk_f32_fp8_sdwa v[46:47], v30 src0_sel:WORD_1
	v_mfma_f32_16x16x16_bf16 v[42:45], v[24:25], v[20:21], v[42:45]
	v_cvt_pk_f32_fp8_e32 v[20:21], v31
	v_perm_b32 v24, v37, v36, s33
	v_perm_b32 v25, v47, v46, s33
	v_cvt_pk_f32_fp8_sdwa v[30:31], v31 src0_sel:WORD_1
	v_perm_b32 v20, v21, v20, s33
	v_cvt_pk_f32_fp8_e32 v[36:37], v32
	v_cvt_pk_f32_fp8_sdwa v[46:47], v32 src0_sel:WORD_1
	v_perm_b32 v21, v31, v30, s33
	v_mfma_f32_16x16x16_bf16 v[42:45], v[24:25], v[10:11], v[42:45]
	v_perm_b32 v24, v37, v36, s33
	v_perm_b32 v25, v47, v46, s33
	v_cvt_pk_f32_fp8_e32 v[30:31], v33
	v_cvt_pk_f32_fp8_sdwa v[32:33], v33 src0_sel:WORD_1
	v_mfma_f32_16x16x16_bf16 v[10:13], v[20:21], v[12:13], v[42:45]
	v_pk_mul_f32 v[46:47], v[68:69], v[38:39] op_sel_hi:[0,1]
	v_perm_b32 v20, v31, v30, s33
	v_perm_b32 v21, v33, v32, s33
	v_mfma_f32_16x16x16_bf16 v[10:13], v[24:25], v[6:7], v[10:13]
	v_pk_mul_f32 v[44:45], v[68:69], v[40:41] op_sel_hi:[0,1]
	v_pk_mul_f32 v[42:43], v[68:69], v[26:27] op_sel_hi:[0,1]
	v_pk_mul_f32 v[40:41], v[68:69], v[28:29] op_sel_hi:[0,1]
	v_mfma_f32_16x16x16_bf16 v[6:9], v[20:21], v[8:9], v[10:13]
	global_load_dwordx4 v[30:33], v[34:35], off
	global_load_dwordx4 v[26:29], v[52:53], off
	s_nop 4
	v_pk_mul_f32 v[38:39], v[68:69], v[6:7] op_sel_hi:[0,1]
	v_and_b32_e32 v6, 0xc0, v0
	v_add_u32_e32 v6, s19, v6
	v_lshl_or_b32 v6, v54, 2, v6
	v_pk_mul_f32 v[36:37], v[68:69], v[8:9] op_sel_hi:[0,1]
	v_or_b32_e32 v9, 1, v6
	v_mov_b32_e32 v7, 0xff7fffff
	v_cmp_gt_i32_e64 s[36:37], s18, v6
	v_cmp_gt_i32_e64 s[20:21], s18, v9
	v_or_b32_e32 v10, 3, v6
	v_cndmask_b32_e64 v8, v7, v18, s[36:37]
	v_cndmask_b32_e64 v9, v7, v19, s[20:21]
	v_max3_f32 v8, v8, s40, v9
	v_or_b32_e32 v9, 2, v6
	v_cmp_gt_i32_e64 s[26:27], s18, v9
	v_cmp_gt_i32_e64 s[30:31], s18, v10
	s_nop 0
	v_cndmask_b32_e64 v9, v7, v22, s[26:27]
	v_cndmask_b32_e64 v10, v7, v23, s[30:31]
	v_max3_f32 v8, v8, v9, v10
	v_or_b32_e32 v9, 16, v6
	v_or_b32_e32 v10, 17, v6
	v_cmp_gt_i32_e64 s[8:9], s18, v9
	v_cmp_gt_i32_e64 s[14:15], s18, v10
	s_nop 0
	v_cndmask_b32_e64 v9, v7, v46, s[8:9]
	v_cndmask_b32_e64 v10, v7, v47, s[14:15]
	v_max3_f32 v8, v8, v9, v10
	v_or_b32_e32 v9, 18, v6
	;; [unrolled: 8-line block ×5, first 2 shown]
	v_or_b32_e32 v10, 49, v6
	v_cmp_gt_i32_e32 vcc, s18, v9
	v_cmp_gt_i32_e64 s[6:7], s18, v10
	s_nop 0
	v_cndmask_b32_e32 v9, v7, v38, vcc
	v_cndmask_b32_e64 v10, v7, v39, s[6:7]
	v_max3_f32 v8, v8, v9, v10
	v_or_b32_e32 v9, 50, v6
	v_or_b32_e32 v6, 51, v6
	v_cmp_gt_i32_e64 s[12:13], s18, v9
	v_cmp_gt_i32_e64 s[18:19], s18, v6
	v_lshl_add_u64 v[10:11], s[46:47], 0, v[50:51]
	v_cndmask_b32_e64 v9, v7, v36, s[12:13]
	v_cndmask_b32_e64 v6, v7, v37, s[18:19]
	v_mbcnt_lo_u32_b32 v7, -1, 0
	v_mbcnt_hi_u32_b32 v7, -1, v7
	v_max3_f32 v6, v8, v9, v6
	v_and_b32_e32 v8, 64, v7
	v_add_u32_e32 v8, 64, v8
	v_xor_b32_e32 v9, 32, v7
	v_cmp_lt_i32_e64 s[38:39], v9, v8
	s_nop 1
	v_cndmask_b32_e64 v9, v7, v9, s[38:39]
	v_lshlrev_b32_e32 v64, 2, v9
	ds_bpermute_b32 v9, v64, v6
	s_waitcnt lgkmcnt(0)
	v_max_f32_e32 v9, v9, v9
	v_max_f32_e32 v12, v6, v9
	v_xor_b32_e32 v6, 16, v7
	v_cmp_lt_i32_e64 s[38:39], v6, v8
	s_nop 1
	v_cndmask_b32_e64 v6, v7, v6, s[38:39]
	v_lshlrev_b32_e32 v53, 2, v6
	ds_bpermute_b32 v13, v53, v12
	v_mad_i64_i32 v[6:7], s[38:39], v60, s45, v[10:11]
	v_mad_i64_i32 v[8:9], s[38:39], v63, s45, v[10:11]
	s_waitcnt lgkmcnt(0)
	v_max_f32_e32 v13, v13, v13
	v_max_f32_e32 v50, v12, v13
	v_sub_f32_e32 v12, v18, v50
	v_mul_f32_e32 v12, 0x3fb8aa3b, v12
	v_exp_f32_e32 v12, v12
	v_sub_f32_e32 v13, v19, v50
	v_mul_f32_e32 v13, 0x3fb8aa3b, v13
	v_exp_f32_e32 v35, v13
	v_cndmask_b32_e64 v34, 0, v12, s[36:37]
	v_sub_f32_e32 v12, v22, v50
	v_mul_f32_e32 v12, 0x3fb8aa3b, v12
	v_exp_f32_e32 v48, v12
	v_sub_f32_e32 v12, v23, v50
	v_mul_f32_e32 v12, 0x3fb8aa3b, v12
	v_exp_f32_e32 v49, v12
	v_mad_i64_i32 v[12:13], s[36:37], v61, s45, v[10:11]
	v_mad_i64_i32 v[10:11], s[36:37], v62, s45, v[10:11]
	global_load_dwordx4 v[18:21], v[6:7], off
	s_nop 0
	global_load_dwordx4 v[6:9], v[8:9], off
	s_nop 0
	;; [unrolled: 2-line block ×3, first 2 shown]
	global_load_dwordx4 v[10:13], v[10:11], off
	v_sub_f32_e32 v46, v46, v50
	v_sub_f32_e32 v44, v44, v50
	v_mul_f32_e32 v46, 0x3fb8aa3b, v46
	v_mul_f32_e32 v44, 0x3fb8aa3b, v44
	v_exp_f32_e32 v46, v46
	v_exp_f32_e32 v52, v44
	v_sub_f32_e32 v47, v47, v50
	v_sub_f32_e32 v44, v45, v50
	;; [unrolled: 1-line block ×4, first 2 shown]
	v_mul_f32_e32 v47, 0x3fb8aa3b, v47
	v_mul_f32_e32 v44, 0x3fb8aa3b, v44
	;; [unrolled: 1-line block ×4, first 2 shown]
	v_exp_f32_e32 v47, v47
	v_exp_f32_e32 v60, v44
	v_cndmask_b32_e64 v44, 0, v46, s[8:9]
	v_cndmask_b32_e64 v46, 0, v52, s[22:23]
	v_exp_f32_e32 v42, v42
	v_exp_f32_e32 v52, v40
	v_sub_f32_e32 v43, v43, v50
	v_sub_f32_e32 v40, v41, v50
	;; [unrolled: 1-line block ×4, first 2 shown]
	v_mul_f32_e32 v43, 0x3fb8aa3b, v43
	v_mul_f32_e32 v40, 0x3fb8aa3b, v40
	;; [unrolled: 1-line block ×4, first 2 shown]
	v_cndmask_b32_e64 v45, 0, v47, s[14:15]
	v_cndmask_b32_e64 v47, 0, v60, s[28:29]
	v_exp_f32_e32 v43, v43
	v_exp_f32_e32 v60, v40
	v_cndmask_b32_e64 v40, 0, v42, s[34:35]
	v_cndmask_b32_e64 v42, 0, v52, s[16:17]
	v_exp_f32_e32 v38, v38
	v_exp_f32_e32 v52, v36
	v_sub_f32_e32 v36, v37, v50
	v_mul_f32_e32 v36, 0x3fb8aa3b, v36
	v_cndmask_b32_e64 v35, 0, v35, s[20:21]
	v_cndmask_b32_e64 v41, 0, v43, s[10:11]
	;; [unrolled: 1-line block ×3, first 2 shown]
	v_exp_f32_e32 v60, v36
	v_cndmask_b32_e32 v36, 0, v38, vcc
	v_cndmask_b32_e64 v38, 0, v52, s[12:13]
	v_add_f32_e32 v52, 0, v34
	v_cndmask_b32_e64 v48, 0, v48, s[26:27]
	v_add_f32_e32 v52, v52, v35
	;; [unrolled: 2-line block ×3, first 2 shown]
	v_add_f32_e32 v52, v52, v49
	v_add_f32_e32 v52, v52, v44
	;; [unrolled: 1-line block ×3, first 2 shown]
	v_sub_f32_e32 v39, v39, v50
	v_add_f32_e32 v52, v52, v46
	v_mul_f32_e32 v39, 0x3fb8aa3b, v39
	v_add_f32_e32 v52, v52, v47
	v_exp_f32_e32 v39, v39
	v_add_f32_e32 v52, v52, v40
	v_add_f32_e32 v52, v52, v41
	;; [unrolled: 1-line block ×4, first 2 shown]
	v_cndmask_b32_e64 v37, 0, v39, s[6:7]
	v_add_f32_e32 v52, v52, v36
	v_add_f32_e32 v52, v52, v37
	v_cndmask_b32_e64 v39, 0, v60, s[18:19]
	v_add_f32_e32 v52, v52, v38
	v_add_f32_e32 v52, v52, v39
	ds_bpermute_b32 v60, v64, v52
	v_cmp_lt_u32_e64 s[6:7], 15, v58
	v_cmp_gt_u32_e32 vcc, 16, v58
	s_waitcnt lgkmcnt(0)
	s_barrier
	v_add_f32_e32 v52, v52, v60
	ds_bpermute_b32 v53, v53, v52
	s_waitcnt lgkmcnt(0)
	s_and_saveexec_b64 s[8:9], vcc
	s_cbranch_execz .LBB1284_13
; %bb.12:
	v_add_f32_e32 v52, v52, v53
	v_lshlrev_b32_e32 v53, 2, v59
	ds_write2st64_b32 v53, v50, v52 offset1:1
.LBB1284_13:
	s_or_b64 exec, exec, s[8:9]
	v_lshlrev_b32_e32 v62, 2, v55
	s_load_dwordx2 s[8:9], s[0:1], 0x94
	s_waitcnt lgkmcnt(0)
	s_barrier
	ds_read2_b32 v[52:53], v62 offset1:16
	ds_read2_b32 v[58:59], v62 offset0:32 offset1:48
	ds_read2_b32 v[60:61], v62 offset0:64 offset1:80
	;; [unrolled: 1-line block ×3, first 2 shown]
	s_movk_i32 s12, 0x7fff
	s_waitcnt lgkmcnt(3)
	v_max3_f32 v50, v52, s40, v53
	s_waitcnt lgkmcnt(2)
	v_max3_f32 v50, v50, v58, v59
	v_sub_f32_e32 v52, v52, v50
	v_mul_f32_e32 v52, 0x3fb8aa3b, v52
	v_exp_f32_e32 v64, v52
	v_sub_f32_e32 v52, v53, v50
	v_mul_f32_e32 v52, 0x3fb8aa3b, v52
	v_exp_f32_e32 v53, v52
	;; [unrolled: 3-line block ×4, first 2 shown]
	s_waitcnt lgkmcnt(1)
	v_fma_f32 v52, v64, v60, 0
	v_fmac_f32_e32 v52, v53, v61
	s_waitcnt lgkmcnt(0)
	v_fmac_f32_e32 v52, v58, v62
	v_fmac_f32_e32 v52, v59, v63
	v_add_f32_e32 v60, 0x358637bd, v52
	v_div_scale_f32 v61, s[10:11], v60, v60, 1.0
	v_rcp_f32_e32 v62, v61
	s_barrier
	v_fma_f32 v63, -v61, v62, 1.0
	v_fmac_f32_e32 v62, v63, v62
	v_div_scale_f32 v63, vcc, 1.0, v60, 1.0
	v_mul_f32_e32 v65, v63, v62
	v_fma_f32 v66, -v61, v65, v63
	v_fmac_f32_e32 v65, v66, v62
	v_fma_f32 v61, -v61, v65, v63
	v_div_fmas_f32 v61, v61, v62, v65
	v_cmp_eq_u32_e32 vcc, 1, v57
	v_div_fixup_f32 v60, v61, v60, 1.0
	s_nop 0
	v_cndmask_b32_e32 v53, v64, v53, vcc
	v_cmp_eq_u32_e32 vcc, 2, v57
	s_nop 1
	v_cndmask_b32_e32 v53, v53, v58, vcc
	v_cmp_eq_u32_e32 vcc, 3, v57
	s_nop 1
	v_cndmask_b32_e32 v53, v53, v59, vcc
	v_mul_f32_e32 v58, v53, v60
	v_pk_mul_f32 v[34:35], v[58:59], v[34:35] op_sel_hi:[0,1]
	v_pk_mul_f32 v[48:49], v[58:59], v[48:49] op_sel_hi:[0,1]
	v_bfe_u32 v53, v35, 16, 1
	v_bfe_u32 v59, v34, 16, 1
	v_add3_u32 v34, v34, v59, s12
	v_add3_u32 v35, v35, v53, s12
	v_perm_b32 v60, v35, v34, s33
	v_bfe_u32 v34, v49, 16, 1
	v_bfe_u32 v35, v48, 16, 1
	v_add3_u32 v35, v48, v35, s12
	v_add3_u32 v34, v49, v34, s12
	v_perm_b32 v61, v34, v35, s33
	v_lshlrev_b32_e32 v35, 3, v54
	v_lshlrev_b32_e32 v34, 5, v55
	;; [unrolled: 1-line block ×3, first 2 shown]
	v_pk_mul_f32 v[44:45], v[58:59], v[44:45] op_sel_hi:[0,1]
	v_or3_b32 v57, v48, v34, v35
	v_bfe_u32 v35, v45, 16, 1
	v_bfe_u32 v48, v44, 16, 1
	v_pk_mul_f32 v[46:47], v[58:59], v[46:47] op_sel_hi:[0,1]
	v_add3_u32 v44, v44, v48, s12
	v_add3_u32 v35, v45, v35, s12
	v_perm_b32 v44, v35, v44, s33
	v_bfe_u32 v35, v47, 16, 1
	v_bfe_u32 v45, v46, 16, 1
	v_add3_u32 v45, v46, v45, s12
	v_add3_u32 v35, v47, v35, s12
	v_perm_b32 v45, v35, v45, s33
	v_pk_mul_f32 v[40:41], v[58:59], v[40:41] op_sel_hi:[0,1]
	ds_write2st64_b64 v57, v[60:61], v[44:45] offset1:1
	v_bfe_u32 v35, v41, 16, 1
	v_bfe_u32 v44, v40, 16, 1
	v_pk_mul_f32 v[42:43], v[58:59], v[42:43] op_sel_hi:[0,1]
	v_add3_u32 v40, v40, v44, s12
	v_add3_u32 v35, v41, v35, s12
	v_perm_b32 v40, v35, v40, s33
	v_bfe_u32 v35, v43, 16, 1
	v_bfe_u32 v41, v42, 16, 1
	v_add3_u32 v41, v42, v41, s12
	v_add3_u32 v35, v43, v35, s12
	v_pk_mul_f32 v[36:37], v[58:59], v[36:37] op_sel_hi:[0,1]
	v_perm_b32 v41, v35, v41, s33
	v_bfe_u32 v35, v37, 16, 1
	v_bfe_u32 v42, v36, 16, 1
	v_pk_mul_f32 v[38:39], v[58:59], v[38:39] op_sel_hi:[0,1]
	v_add3_u32 v36, v36, v42, s12
	v_add3_u32 v35, v37, v35, s12
	v_perm_b32 v36, v35, v36, s33
	v_bfe_u32 v35, v39, 16, 1
	v_bfe_u32 v37, v38, 16, 1
	v_add3_u32 v37, v38, v37, s12
	v_add3_u32 v35, v39, v35, s12
	v_perm_b32 v37, v35, v37, s33
	v_cmp_eq_u32_e32 vcc, 0, v0
	ds_write2st64_b64 v57, v[40:41], v[36:37] offset0:2 offset1:3
	s_and_saveexec_b64 s[10:11], vcc
	s_cbranch_execz .LBB1284_15
; %bb.14:
	s_mul_i32 s3, s3, s9
	s_mul_hi_u32 s13, s2, s9
	s_add_i32 s13, s13, s3
	s_mul_i32 s3, s2, s9
	s_add_u32 s3, s3, s4
	s_addc_u32 s13, s13, 0
	s_load_dwordx4 s[16:19], s[0:1], 0x58
	s_mul_i32 s13, s13, s8
	s_mul_hi_u32 s14, s3, s8
	s_add_i32 s13, s14, s13
	s_mul_i32 s3, s3, s8
	s_add_u32 s14, s3, s5
	s_addc_u32 s15, s13, 0
	s_lshl_b64 s[14:15], s[14:15], 2
	s_waitcnt lgkmcnt(0)
	s_add_u32 s18, s18, s14
	s_addc_u32 s19, s19, s15
	s_add_u32 s14, s16, s14
	s_addc_u32 s15, s17, s15
	global_store_dword v51, v50, s[18:19]
	global_store_dword v51, v52, s[14:15]
.LBB1284_15:
	s_or_b64 exec, exec, s[10:11]
	v_lshl_or_b32 v50, v54, 9, v34
	s_waitcnt vmcnt(7)
	v_cvt_pk_f32_fp8_e32 v[34:35], v14
	v_cvt_pk_f32_fp8_sdwa v[36:37], v14 src0_sel:WORD_1
	s_mov_b32 s11, 0x7060302
	s_waitcnt lgkmcnt(0)
	s_barrier
	v_cvt_pk_f32_fp8_e32 v[38:39], v15
	v_perm_b32 v14, v35, v34, s11
	v_cvt_pk_f32_fp8_sdwa v[40:41], v15 src0_sel:WORD_1
	v_perm_b32 v15, v37, v36, s11
	ds_read_b128 v[34:37], v50
	v_perm_b32 v46, v39, v38, s11
	v_perm_b32 v47, v41, v40, s11
	ds_read_b128 v[38:41], v50 offset:16
	v_cvt_pk_f32_fp8_e32 v[48:49], v16
	v_cvt_pk_f32_fp8_sdwa v[52:53], v16 src0_sel:WORD_1
	s_waitcnt lgkmcnt(1)
	v_mfma_f32_16x16x16_bf16 v[42:45], v[14:15], v[34:35], 0
	s_waitcnt vmcnt(6)
	v_cvt_pk_f32_fp8_e32 v[58:59], v4
	v_perm_b32 v14, v49, v48, s11
	v_perm_b32 v15, v53, v52, s11
	v_cvt_pk_f32_fp8_e32 v[48:49], v17
	v_mfma_f32_16x16x16_bf16 v[42:45], v[46:47], v[36:37], v[42:45]
	v_cvt_pk_f32_fp8_sdwa v[46:47], v17 src0_sel:WORD_1
	v_cvt_pk_f32_fp8_sdwa v[60:61], v4 src0_sel:WORD_1
	v_perm_b32 v48, v49, v48, s11
	s_waitcnt lgkmcnt(0)
	v_mfma_f32_16x16x16_bf16 v[14:17], v[14:15], v[38:39], v[42:45]
	v_perm_b32 v49, v47, v46, s11
	s_waitcnt vmcnt(5)
	v_cvt_pk_f32_fp8_e32 v[62:63], v32
	v_cvt_pk_f32_fp8_sdwa v[64:65], v32 src0_sel:WORD_1
	v_cvt_pk_f32_fp8_e32 v[42:43], v2
	v_mfma_f32_16x16x16_bf16 v[46:49], v[48:49], v[40:41], v[14:17]
	s_waitcnt vmcnt(4)
	v_cvt_pk_f32_fp8_sdwa v[66:67], v28 src0_sel:WORD_1
	s_load_dword s10, s[42:43], 0x0
	v_cvt_pk_f32_fp8_sdwa v[14:15], v2 src0_sel:WORD_1
	v_cvt_pk_f32_fp8_e32 v[16:17], v3
	v_perm_b32 v2, v43, v42, s11
	v_cvt_pk_f32_fp8_sdwa v[42:43], v3 src0_sel:WORD_1
	v_perm_b32 v3, v15, v14, s11
	v_perm_b32 v52, v17, v16, s11
	ds_read_b128 v[14:17], v50 offset:2048
	v_perm_b32 v53, v43, v42, s11
	ds_read_b128 v[42:45], v50 offset:2064
	s_waitcnt lgkmcnt(0)
	v_mfma_f32_16x16x16_bf16 v[46:49], v[2:3], v[14:15], v[46:49]
	v_perm_b32 v2, v59, v58, s11
	v_perm_b32 v3, v61, v60, s11
	v_cvt_pk_f32_fp8_e32 v[58:59], v5
	v_mfma_f32_16x16x16_bf16 v[46:49], v[52:53], v[16:17], v[46:49]
	v_cvt_pk_f32_fp8_sdwa v[52:53], v5 src0_sel:WORD_1
	s_waitcnt vmcnt(3)
	v_cvt_pk_f32_fp8_sdwa v[68:69], v20 src0_sel:WORD_1
	v_perm_b32 v58, v59, v58, s11
	v_mfma_f32_16x16x16_bf16 v[2:5], v[2:3], v[42:43], v[46:49]
	v_perm_b32 v59, v53, v52, s11
	v_cmp_gt_u32_e32 vcc, 64, v0
	s_xor_b64 s[6:7], s[6:7], -1
	v_cvt_pk_f32_fp8_e32 v[46:47], v30
	v_mfma_f32_16x16x16_bf16 v[58:61], v[58:59], v[44:45], v[2:5]
	s_mov_b32 s3, 0
	s_and_b64 s[6:7], vcc, s[6:7]
	s_nop 0
	v_cvt_pk_f32_fp8_sdwa v[2:3], v30 src0_sel:WORD_1
	v_cvt_pk_f32_fp8_e32 v[4:5], v31
	v_perm_b32 v30, v47, v46, s11
	v_cvt_pk_f32_fp8_sdwa v[46:47], v31 src0_sel:WORD_1
	v_perm_b32 v31, v3, v2, s11
	v_perm_b32 v52, v5, v4, s11
	ds_read_b128 v[2:5], v50 offset:4096
	v_perm_b32 v53, v47, v46, s11
	ds_read_b128 v[46:49], v50 offset:4112
	s_waitcnt lgkmcnt(1)
	v_mfma_f32_16x16x16_bf16 v[58:61], v[30:31], v[2:3], v[58:61]
	v_perm_b32 v30, v63, v62, s11
	v_perm_b32 v31, v65, v64, s11
	v_cvt_pk_f32_fp8_e32 v[62:63], v33
	v_mfma_f32_16x16x16_bf16 v[58:61], v[52:53], v[4:5], v[58:61]
	v_cvt_pk_f32_fp8_sdwa v[52:53], v33 src0_sel:WORD_1
	v_cvt_pk_f32_fp8_e32 v[64:65], v28
	v_perm_b32 v62, v63, v62, s11
	s_waitcnt lgkmcnt(0)
	v_mfma_f32_16x16x16_bf16 v[30:33], v[30:31], v[46:47], v[58:61]
	v_perm_b32 v63, v53, v52, s11
	v_cvt_pk_f32_fp8_e32 v[52:53], v26
	s_nop 0
	v_mfma_f32_16x16x16_bf16 v[58:61], v[62:63], v[48:49], v[30:33]
	s_nop 2
	v_cvt_pk_f32_fp8_sdwa v[30:31], v26 src0_sel:WORD_1
	v_cvt_pk_f32_fp8_e32 v[32:33], v27
	v_perm_b32 v26, v53, v52, s11
	v_cvt_pk_f32_fp8_sdwa v[52:53], v27 src0_sel:WORD_1
	v_perm_b32 v27, v31, v30, s11
	v_perm_b32 v62, v33, v32, s11
	ds_read_b128 v[30:33], v50 offset:6144
	v_perm_b32 v63, v53, v52, s11
	s_waitcnt lgkmcnt(0)
	v_mfma_f32_16x16x16_bf16 v[58:61], v[26:27], v[30:31], v[58:61]
	ds_read_b128 v[50:53], v50 offset:6160
	v_perm_b32 v26, v65, v64, s11
	v_perm_b32 v27, v67, v66, s11
	v_cvt_pk_f32_fp8_e32 v[64:65], v29
	v_mfma_f32_16x16x16_bf16 v[58:61], v[62:63], v[32:33], v[58:61]
	v_cvt_pk_f32_fp8_sdwa v[62:63], v29 src0_sel:WORD_1
	v_cvt_pk_f32_fp8_e32 v[66:67], v20
	v_perm_b32 v64, v65, v64, s11
	s_waitcnt lgkmcnt(0)
	v_mfma_f32_16x16x16_bf16 v[26:29], v[26:27], v[50:51], v[58:61]
	v_perm_b32 v65, v63, v62, s11
	s_barrier
	s_nop 0
	v_mfma_f32_16x16x16_bf16 v[58:61], v[64:65], v[52:53], v[26:29]
	s_nop 2
	v_cvt_pk_f32_fp8_e32 v[28:29], v18
	v_perm_b32 v28, v29, v28, s11
	s_nop 1
	v_pk_mul_f32 v[26:27], v[60:61], s[10:11] op_sel_hi:[1,0]
	v_cvt_pk_f32_fp8_sdwa v[60:61], v18 src0_sel:WORD_1
	v_pk_mul_f32 v[62:63], v[58:59], s[10:11] op_sel_hi:[1,0]
	v_cvt_pk_f32_fp8_e32 v[58:59], v19
	v_cvt_pk_f32_fp8_sdwa v[18:19], v19 src0_sel:WORD_1
	v_perm_b32 v29, v61, v60, s11
	v_perm_b32 v64, v59, v58, s11
	;; [unrolled: 1-line block ×3, first 2 shown]
	v_mfma_f32_16x16x16_bf16 v[58:61], v[28:29], v[34:35], 0
	v_perm_b32 v28, v67, v66, s11
	v_perm_b32 v29, v69, v68, s11
	v_cvt_pk_f32_fp8_e32 v[34:35], v21
	v_cvt_pk_f32_fp8_sdwa v[66:67], v21 src0_sel:WORD_1
	v_mfma_f32_16x16x16_bf16 v[18:21], v[64:65], v[36:37], v[58:61]
	s_waitcnt vmcnt(2)
	v_cvt_pk_f32_fp8_sdwa v[36:37], v6 src0_sel:WORD_1
	v_perm_b32 v34, v35, v34, s11
	v_perm_b32 v35, v67, v66, s11
	v_mfma_f32_16x16x16_bf16 v[18:21], v[28:29], v[38:39], v[18:21]
	v_cvt_pk_f32_fp8_e32 v[28:29], v6
	v_cvt_pk_f32_fp8_sdwa v[38:39], v8 src0_sel:WORD_1
	v_bfe_u32 v58, v63, 16, 1
	v_mfma_f32_16x16x16_bf16 v[18:21], v[34:35], v[40:41], v[18:21]
	v_cvt_pk_f32_fp8_e32 v[34:35], v7
	v_perm_b32 v28, v29, v28, s11
	v_perm_b32 v29, v37, v36, s11
	v_cvt_pk_f32_fp8_sdwa v[6:7], v7 src0_sel:WORD_1
	v_perm_b32 v34, v35, v34, s11
	v_cvt_pk_f32_fp8_e32 v[36:37], v8
	v_mfma_f32_16x16x16_bf16 v[18:21], v[28:29], v[14:15], v[18:21]
	v_perm_b32 v35, v7, v6, s11
	v_perm_b32 v14, v37, v36, s11
	;; [unrolled: 1-line block ×3, first 2 shown]
	v_cvt_pk_f32_fp8_e32 v[28:29], v9
	v_cvt_pk_f32_fp8_sdwa v[36:37], v9 src0_sel:WORD_1
	v_mfma_f32_16x16x16_bf16 v[6:9], v[34:35], v[16:17], v[18:21]
	v_bfe_u32 v59, v62, 16, 1
	v_perm_b32 v16, v29, v28, s11
	v_perm_b32 v17, v37, v36, s11
	v_mfma_f32_16x16x16_bf16 v[6:9], v[14:15], v[42:43], v[6:9]
	s_waitcnt vmcnt(1)
	v_cvt_pk_f32_fp8_e32 v[14:15], v22
	v_cvt_pk_f32_fp8_sdwa v[18:19], v22 src0_sel:WORD_1
	v_cvt_pk_f32_fp8_e32 v[20:21], v24
	v_mfma_f32_16x16x16_bf16 v[6:9], v[16:17], v[44:45], v[6:9]
	v_cvt_pk_f32_fp8_e32 v[16:17], v23
	v_perm_b32 v14, v15, v14, s11
	v_perm_b32 v15, v19, v18, s11
	v_cvt_pk_f32_fp8_sdwa v[18:19], v23 src0_sel:WORD_1
	v_perm_b32 v16, v17, v16, s11
	v_cvt_pk_f32_fp8_sdwa v[22:23], v24 src0_sel:WORD_1
	v_mfma_f32_16x16x16_bf16 v[6:9], v[14:15], v[2:3], v[6:9]
	v_perm_b32 v17, v19, v18, s11
	v_perm_b32 v14, v21, v20, s11
	;; [unrolled: 1-line block ×3, first 2 shown]
	v_cvt_pk_f32_fp8_e32 v[18:19], v25
	v_cvt_pk_f32_fp8_sdwa v[20:21], v25 src0_sel:WORD_1
	v_mfma_f32_16x16x16_bf16 v[2:5], v[16:17], v[4:5], v[6:9]
	s_waitcnt vmcnt(0)
	v_cvt_pk_f32_fp8_sdwa v[16:17], v10 src0_sel:WORD_1
	v_add3_u32 v34, v62, v59, s12
	v_add3_u32 v28, v63, v58, s12
	v_perm_b32 v8, v19, v18, s11
	v_perm_b32 v9, v21, v20, s11
	v_mfma_f32_16x16x16_bf16 v[2:5], v[14:15], v[46:47], v[2:5]
	v_cvt_pk_f32_fp8_e32 v[14:15], v10
	v_cvt_pk_f32_fp8_sdwa v[18:19], v12 src0_sel:WORD_1
	v_bfe_u32 v7, v27, 16, 1
	v_mfma_f32_16x16x16_bf16 v[2:5], v[8:9], v[48:49], v[2:5]
	v_cvt_pk_f32_fp8_e32 v[8:9], v11
	v_perm_b32 v14, v15, v14, s11
	v_perm_b32 v15, v17, v16, s11
	v_cvt_pk_f32_fp8_sdwa v[10:11], v11 src0_sel:WORD_1
	v_perm_b32 v8, v9, v8, s11
	v_cvt_pk_f32_fp8_e32 v[16:17], v12
	v_mfma_f32_16x16x16_bf16 v[2:5], v[14:15], v[30:31], v[2:5]
	v_perm_b32 v9, v11, v10, s11
	v_perm_b32 v10, v17, v16, s11
	;; [unrolled: 1-line block ×3, first 2 shown]
	v_cvt_pk_f32_fp8_e32 v[14:15], v13
	v_cvt_pk_f32_fp8_sdwa v[12:13], v13 src0_sel:WORD_1
	v_mfma_f32_16x16x16_bf16 v[2:5], v[8:9], v[32:33], v[2:5]
	v_bfe_u32 v16, v26, 16, 1
	v_perm_b32 v8, v15, v14, s11
	v_perm_b32 v9, v13, v12, s11
	v_mfma_f32_16x16x16_bf16 v[2:5], v[10:11], v[50:51], v[2:5]
	v_add3_u32 v10, v26, v16, s12
	v_add3_u32 v7, v27, v7, s12
	v_perm_b32 v6, v28, v34, s11
	v_mfma_f32_16x16x16_bf16 v[2:5], v[8:9], v[52:53], v[2:5]
	v_perm_b32 v7, v7, v10, s11
	s_nop 5
	v_pk_mul_f32 v[2:3], v[2:3], s[10:11] op_sel_hi:[1,0]
	v_pk_mul_f32 v[4:5], v[4:5], s[10:11] op_sel_hi:[1,0]
	v_bfe_u32 v8, v3, 16, 1
	v_bfe_u32 v9, v2, 16, 1
	v_add3_u32 v2, v2, v9, s12
	v_add3_u32 v3, v3, v8, s12
	v_perm_b32 v2, v3, v2, s11
	v_bfe_u32 v3, v5, 16, 1
	v_bfe_u32 v8, v4, 16, 1
	v_add3_u32 v4, v4, v8, s12
	v_add3_u32 v3, v5, v3, s12
	v_perm_b32 v3, v3, v4, s11
	ds_write2st64_b64 v57, v[6:7], v[2:3] offset1:1
	s_waitcnt lgkmcnt(0)
	s_barrier
	s_and_saveexec_b64 s[10:11], s[6:7]
	s_cbranch_execz .LBB1284_17
; %bb.16:
	s_load_dwordx2 s[0:1], s[0:1], 0x68
	s_mul_i32 s2, s9, s2
	s_lshl_b32 s8, s8, 7
	s_mul_hi_u32 s7, s2, s8
	s_mul_i32 s6, s2, s8
	v_lshlrev_b32_e32 v4, 6, v55
	s_lshl_b64 s[6:7], s[6:7], 1
	v_lshl_or_b32 v0, v0, 10, v4
	s_waitcnt lgkmcnt(0)
	s_add_u32 s6, s0, s6
	v_lshlrev_b32_e32 v2, 5, v54
	v_and_b32_e32 v3, 16, v56
	v_and_b32_e32 v0, 0x1a00, v0
	s_addc_u32 s7, s1, s7
	s_lshl_b32 s2, s5, 7
	v_or3_b32 v0, v0, v2, v3
	s_lshl_b64 s[0:1], s[2:3], 1
	ds_read_b128 v[2:5], v0
	s_add_u32 s2, s6, s0
	s_addc_u32 s3, s7, s1
	s_mul_hi_u32 s1, s8, s4
	s_mul_i32 s0, s8, s4
	s_lshl_b64 s[0:1], s[0:1], 1
	s_add_u32 s0, s2, s0
	s_addc_u32 s1, s3, s1
	s_waitcnt lgkmcnt(0)
	global_store_dwordx4 v1, v[2:5], s[0:1]
.LBB1284_17:
	s_endpgm
	.section	.rodata,"a",@progbits
	.p2align	6, 0x0
	.amdhsa_kernel _Z39paged_attention_ll4mi_QKV_mfma16_kernelI14__hip_bfloat16hLN4vllm18Fp8KVCacheDataTypeE1EhLi16ELi128ELi256ELb0ELi1EEvPKT_PKT0_S8_ifPKiSA_SA_iPKfiiiPfSD_PS3_PT2_iSC_SC_
		.amdhsa_group_segment_fixed_size 8192
		.amdhsa_private_segment_fixed_size 0
		.amdhsa_kernarg_size 400
		.amdhsa_user_sgpr_count 2
		.amdhsa_user_sgpr_dispatch_ptr 0
		.amdhsa_user_sgpr_queue_ptr 0
		.amdhsa_user_sgpr_kernarg_segment_ptr 1
		.amdhsa_user_sgpr_dispatch_id 0
		.amdhsa_user_sgpr_kernarg_preload_length 0
		.amdhsa_user_sgpr_kernarg_preload_offset 0
		.amdhsa_user_sgpr_private_segment_size 0
		.amdhsa_uses_dynamic_stack 0
		.amdhsa_enable_private_segment 0
		.amdhsa_system_sgpr_workgroup_id_x 1
		.amdhsa_system_sgpr_workgroup_id_y 1
		.amdhsa_system_sgpr_workgroup_id_z 1
		.amdhsa_system_sgpr_workgroup_info 0
		.amdhsa_system_vgpr_workitem_id 0
		.amdhsa_next_free_vgpr 78
		.amdhsa_next_free_sgpr 48
		.amdhsa_accum_offset 80
		.amdhsa_reserve_vcc 1
		.amdhsa_float_round_mode_32 0
		.amdhsa_float_round_mode_16_64 0
		.amdhsa_float_denorm_mode_32 3
		.amdhsa_float_denorm_mode_16_64 3
		.amdhsa_dx10_clamp 1
		.amdhsa_ieee_mode 1
		.amdhsa_fp16_overflow 0
		.amdhsa_tg_split 0
		.amdhsa_exception_fp_ieee_invalid_op 0
		.amdhsa_exception_fp_denorm_src 0
		.amdhsa_exception_fp_ieee_div_zero 0
		.amdhsa_exception_fp_ieee_overflow 0
		.amdhsa_exception_fp_ieee_underflow 0
		.amdhsa_exception_fp_ieee_inexact 0
		.amdhsa_exception_int_div_zero 0
	.end_amdhsa_kernel
	.section	.text._Z39paged_attention_ll4mi_QKV_mfma16_kernelI14__hip_bfloat16hLN4vllm18Fp8KVCacheDataTypeE1EhLi16ELi128ELi256ELb0ELi1EEvPKT_PKT0_S8_ifPKiSA_SA_iPKfiiiPfSD_PS3_PT2_iSC_SC_,"axG",@progbits,_Z39paged_attention_ll4mi_QKV_mfma16_kernelI14__hip_bfloat16hLN4vllm18Fp8KVCacheDataTypeE1EhLi16ELi128ELi256ELb0ELi1EEvPKT_PKT0_S8_ifPKiSA_SA_iPKfiiiPfSD_PS3_PT2_iSC_SC_,comdat
.Lfunc_end1284:
	.size	_Z39paged_attention_ll4mi_QKV_mfma16_kernelI14__hip_bfloat16hLN4vllm18Fp8KVCacheDataTypeE1EhLi16ELi128ELi256ELb0ELi1EEvPKT_PKT0_S8_ifPKiSA_SA_iPKfiiiPfSD_PS3_PT2_iSC_SC_, .Lfunc_end1284-_Z39paged_attention_ll4mi_QKV_mfma16_kernelI14__hip_bfloat16hLN4vllm18Fp8KVCacheDataTypeE1EhLi16ELi128ELi256ELb0ELi1EEvPKT_PKT0_S8_ifPKiSA_SA_iPKfiiiPfSD_PS3_PT2_iSC_SC_
                                        ; -- End function
	.section	.AMDGPU.csdata,"",@progbits
; Kernel info:
; codeLenInByte = 6148
; NumSgprs: 54
; NumVgprs: 78
; NumAgprs: 0
; TotalNumVgprs: 78
; ScratchSize: 0
; MemoryBound: 0
; FloatMode: 240
; IeeeMode: 1
; LDSByteSize: 8192 bytes/workgroup (compile time only)
; SGPRBlocks: 6
; VGPRBlocks: 9
; NumSGPRsForWavesPerEU: 54
; NumVGPRsForWavesPerEU: 78
; AccumOffset: 80
; Occupancy: 6
; WaveLimiterHint : 1
; COMPUTE_PGM_RSRC2:SCRATCH_EN: 0
; COMPUTE_PGM_RSRC2:USER_SGPR: 2
; COMPUTE_PGM_RSRC2:TRAP_HANDLER: 0
; COMPUTE_PGM_RSRC2:TGID_X_EN: 1
; COMPUTE_PGM_RSRC2:TGID_Y_EN: 1
; COMPUTE_PGM_RSRC2:TGID_Z_EN: 1
; COMPUTE_PGM_RSRC2:TIDIG_COMP_CNT: 0
; COMPUTE_PGM_RSRC3_GFX90A:ACCUM_OFFSET: 19
; COMPUTE_PGM_RSRC3_GFX90A:TG_SPLIT: 0
	.section	.text._Z39paged_attention_ll4mi_QKV_mfma16_kernelI14__hip_bfloat16hLN4vllm18Fp8KVCacheDataTypeE1EhLi16ELi128ELi256ELb0ELi2EEvPKT_PKT0_S8_ifPKiSA_SA_iPKfiiiPfSD_PS3_PT2_iSC_SC_,"axG",@progbits,_Z39paged_attention_ll4mi_QKV_mfma16_kernelI14__hip_bfloat16hLN4vllm18Fp8KVCacheDataTypeE1EhLi16ELi128ELi256ELb0ELi2EEvPKT_PKT0_S8_ifPKiSA_SA_iPKfiiiPfSD_PS3_PT2_iSC_SC_,comdat
	.protected	_Z39paged_attention_ll4mi_QKV_mfma16_kernelI14__hip_bfloat16hLN4vllm18Fp8KVCacheDataTypeE1EhLi16ELi128ELi256ELb0ELi2EEvPKT_PKT0_S8_ifPKiSA_SA_iPKfiiiPfSD_PS3_PT2_iSC_SC_ ; -- Begin function _Z39paged_attention_ll4mi_QKV_mfma16_kernelI14__hip_bfloat16hLN4vllm18Fp8KVCacheDataTypeE1EhLi16ELi128ELi256ELb0ELi2EEvPKT_PKT0_S8_ifPKiSA_SA_iPKfiiiPfSD_PS3_PT2_iSC_SC_
	.globl	_Z39paged_attention_ll4mi_QKV_mfma16_kernelI14__hip_bfloat16hLN4vllm18Fp8KVCacheDataTypeE1EhLi16ELi128ELi256ELb0ELi2EEvPKT_PKT0_S8_ifPKiSA_SA_iPKfiiiPfSD_PS3_PT2_iSC_SC_
	.p2align	8
	.type	_Z39paged_attention_ll4mi_QKV_mfma16_kernelI14__hip_bfloat16hLN4vllm18Fp8KVCacheDataTypeE1EhLi16ELi128ELi256ELb0ELi2EEvPKT_PKT0_S8_ifPKiSA_SA_iPKfiiiPfSD_PS3_PT2_iSC_SC_,@function
_Z39paged_attention_ll4mi_QKV_mfma16_kernelI14__hip_bfloat16hLN4vllm18Fp8KVCacheDataTypeE1EhLi16ELi128ELi256ELb0ELi2EEvPKT_PKT0_S8_ifPKiSA_SA_iPKfiiiPfSD_PS3_PT2_iSC_SC_: ; @_Z39paged_attention_ll4mi_QKV_mfma16_kernelI14__hip_bfloat16hLN4vllm18Fp8KVCacheDataTypeE1EhLi16ELi128ELi256ELb0ELi2EEvPKT_PKT0_S8_ifPKiSA_SA_iPKfiiiPfSD_PS3_PT2_iSC_SC_
; %bb.0:
	s_load_dwordx2 s[12:13], s[0:1], 0x30
	s_mov_b32 s22, s3
	s_mov_b64 s[6:7], 0
	s_waitcnt lgkmcnt(0)
	s_cmp_lg_u64 s[12:13], 0
	s_cselect_b64 s[14:15], -1, 0
	s_and_b64 vcc, exec, s[14:15]
	s_cbranch_vccz .LBB1285_7
; %bb.1:
	s_add_i32 s8, s2, 1
	s_mov_b32 s9, 0
	s_lshl_b64 s[10:11], s[8:9], 2
	s_add_u32 s10, s12, s10
	s_mov_b32 s3, s9
	s_addc_u32 s11, s13, s11
	s_lshl_b64 s[8:9], s[2:3], 2
	s_add_u32 s8, s12, s8
	s_addc_u32 s9, s13, s9
	s_load_dword s5, s[10:11], 0x0
	s_load_dword s16, s[8:9], 0x0
	s_waitcnt lgkmcnt(0)
	s_sub_i32 s5, s5, s16
	s_cmp_eq_u32 s5, 1
	s_cselect_b64 s[8:9], -1, 0
	s_andn2_b64 vcc, exec, s[6:7]
	s_cbranch_vccnz .LBB1285_3
.LBB1285_2:
	s_mov_b32 s3, 0
	s_mov_b64 s[8:9], -1
.LBB1285_3:
	s_andn2_b64 vcc, exec, s[8:9]
	s_cbranch_vccnz .LBB1285_17
; %bb.4:
	s_load_dwordx2 s[6:7], s[0:1], 0x28
	s_lshl_b64 s[16:17], s[2:3], 2
	s_waitcnt lgkmcnt(0)
	s_add_u32 s6, s6, s16
	s_addc_u32 s7, s7, s17
	s_load_dword s38, s[6:7], 0x0
	s_lshl_b32 s18, s22, 8
	s_waitcnt lgkmcnt(0)
	s_cmp_ge_i32 s18, s38
	s_cbranch_scc1 .LBB1285_17
; %bb.5:
	s_load_dwordx2 s[6:7], s[0:1], 0x20
	s_load_dword s8, s[0:1], 0x38
	s_add_i32 s5, s38, 15
	s_ashr_i32 s9, s5, 31
	v_and_b32_e32 v1, 0xcf, v0
	s_lshr_b32 s9, s9, 28
	v_add_u32_e32 v1, s18, v1
	s_add_i32 s5, s5, s9
	v_ashrrev_i32_e32 v2, 31, v1
	s_ashr_i32 s5, s5, 4
	v_lshrrev_b32_e32 v10, 28, v2
	s_add_i32 s5, s5, -1
	s_waitcnt lgkmcnt(0)
	s_mul_i32 s8, s2, s8
	s_mov_b32 s9, 0
	v_add_u32_e32 v2, v1, v10
	s_lshl_b64 s[8:9], s[8:9], 2
	v_ashrrev_i32_e32 v2, 4, v2
	v_mov_b32_e32 v11, s5
	v_cmp_gt_i32_e32 vcc, s38, v1
	s_add_u32 s6, s6, s8
	s_addc_u32 s7, s7, s9
	v_cndmask_b32_e32 v2, v11, v2, vcc
	v_ashrrev_i32_e32 v3, 31, v2
	v_lshl_add_u64 v[4:5], v[2:3], 2, s[6:7]
	v_or_b32_e32 v2, 16, v1
	v_add_u32_e32 v3, v2, v10
	v_ashrrev_i32_e32 v3, 4, v3
	v_cmp_gt_i32_e32 vcc, s38, v2
	s_load_dwordx4 s[8:11], s[0:1], 0x8
	s_nop 0
	v_cndmask_b32_e32 v2, v11, v3, vcc
	v_ashrrev_i32_e32 v3, 31, v2
	v_lshl_add_u64 v[6:7], v[2:3], 2, s[6:7]
	v_or_b32_e32 v2, 32, v1
	v_add_u32_e32 v3, v2, v10
	v_ashrrev_i32_e32 v3, 4, v3
	v_cmp_gt_i32_e32 vcc, s38, v2
	v_or_b32_e32 v1, 48, v1
	s_nop 0
	v_cndmask_b32_e32 v2, v11, v3, vcc
	v_ashrrev_i32_e32 v3, 31, v2
	v_lshl_add_u64 v[8:9], v[2:3], 2, s[6:7]
	v_add_u32_e32 v2, v1, v10
	v_ashrrev_i32_e32 v2, 4, v2
	v_cmp_gt_i32_e32 vcc, s38, v1
	s_nop 1
	v_cndmask_b32_e32 v2, v11, v2, vcc
	v_ashrrev_i32_e32 v3, 31, v2
	v_lshl_add_u64 v[10:11], v[2:3], 2, s[6:7]
	global_load_dword v3, v[4:5], off
	global_load_dword v2, v[6:7], off
	;; [unrolled: 1-line block ×4, first 2 shown]
	s_andn2_b64 vcc, exec, s[14:15]
	s_cbranch_vccnz .LBB1285_8
; %bb.6:
	s_add_u32 s12, s12, s16
	s_addc_u32 s13, s13, s17
	s_load_dword s14, s[12:13], 0x0
	s_branch .LBB1285_9
.LBB1285_7:
	s_mov_b64 s[8:9], 0
	s_branch .LBB1285_2
.LBB1285_8:
	s_mov_b32 s14, s2
.LBB1285_9:
	s_load_dwordx4 s[44:47], s[0:1], 0x48
	v_lshrrev_b32_e32 v65, 6, v0
	v_bfe_u32 v1, v0, 4, 2
	v_and_b32_e32 v62, 15, v0
	v_lshl_or_b32 v4, v65, 2, v1
	v_lshlrev_b32_e32 v5, 3, v62
	v_and_b32_e32 v64, 63, v0
	s_lshl_b32 s23, s4, 1
	v_cmp_gt_u32_e32 vcc, 2, v4
	v_lshlrev_b32_e32 v54, 1, v5
	v_lshlrev_b32_e32 v63, 4, v0
	s_and_saveexec_b64 s[12:13], vcc
	s_cbranch_execz .LBB1285_11
; %bb.10:
	s_load_dwordx2 s[16:17], s[0:1], 0x0
	s_waitcnt lgkmcnt(0)
	s_ashr_i32 s15, s44, 31
	s_mul_hi_u32 s19, s14, s44
	s_mul_i32 s15, s14, s15
	s_add_i32 s15, s19, s15
	s_mul_i32 s14, s14, s44
	s_lshl_b64 s[14:15], s[14:15], 1
	s_add_u32 s14, s16, s14
	v_add_lshl_u32 v6, v1, s23, 7
	s_addc_u32 s15, s17, s15
	v_ashrrev_i32_e32 v7, 31, v6
	v_lshl_add_u64 v[6:7], v[6:7], 1, s[14:15]
	v_mov_b32_e32 v55, 0
	v_lshl_add_u64 v[6:7], v[6:7], 0, v[54:55]
	global_load_dwordx4 v[6:9], v[6:7], off
	v_lshlrev_b32_e32 v10, 8, v0
	v_lshlrev_b32_e32 v5, 8, v62
	v_and_b32_e32 v10, 0x600, v10
	s_movk_i32 s14, 0x800
	v_and_or_b32 v5, v5, s14, v10
	v_lshlrev_b32_e32 v4, 5, v4
	v_and_b32_e32 v10, 16, v63
	v_or3_b32 v4, v5, v4, v10
	s_waitcnt vmcnt(0)
	ds_write_b128 v4, v[6:9]
.LBB1285_11:
	s_or_b64 exec, exec, s[12:13]
	s_waitcnt lgkmcnt(0)
	s_mul_i32 s4, s4, s46
	s_add_u32 s8, s8, s4
	s_addc_u32 s9, s9, 0
	v_and_b32_e32 v56, 0xf0, v63
	v_mov_b32_e32 v57, 0
	v_and_b32_e32 v6, 48, v0
	v_lshl_add_u64 v[30:31], s[8:9], 0, v[56:57]
	v_lshlrev_b32_e32 v56, 4, v6
	s_waitcnt vmcnt(3)
	v_mad_i64_i32 v[4:5], s[8:9], v3, s45, v[30:31]
	v_lshl_add_u64 v[4:5], v[4:5], 0, v[56:57]
	s_load_dword s33, s[0:1], 0x98
	s_load_dwordx4 s[40:43], s[0:1], 0x80
	s_waitcnt lgkmcnt(0)
	s_barrier
	global_load_dwordx4 v[22:25], v[4:5], off
	global_load_dwordx4 v[10:13], v[4:5], off offset:1024
	s_waitcnt vmcnt(4)
	v_mad_i64_i32 v[2:3], s[8:9], v2, s45, v[30:31]
	v_lshl_add_u64 v[32:33], v[2:3], 0, v[56:57]
	global_load_dwordx4 v[2:5], v[32:33], off
	v_or_b32_e32 v36, s18, v6
	v_and_b32_e32 v7, 1, v0
	v_mov_b32_e32 v41, s5
	v_ashrrev_i32_e32 v37, 4, v36
	v_or_b32_e32 v40, 64, v36
	v_cmp_gt_i32_e32 vcc, s38, v36
	v_lshlrev_b32_e32 v7, 5, v7
	v_or_b32_e32 v42, 0x80, v36
	v_or_b32_e32 v47, 0xc0, v36
	v_cndmask_b32_e32 v36, v41, v37, vcc
	v_ashrrev_i32_e32 v43, 4, v40
	v_cmp_gt_i32_e32 vcc, s38, v40
	v_lshl_or_b32 v6, v1, 9, v7
	v_ashrrev_i32_e32 v44, 4, v42
	v_cndmask_b32_e32 v40, v41, v43, vcc
	v_cmp_gt_i32_e32 vcc, s38, v42
	ds_read_b128 v[26:29], v6
	ds_read_b128 v[18:21], v6 offset:16
	ds_read_b128 v[14:17], v6 offset:2048
	;; [unrolled: 1-line block ×3, first 2 shown]
	v_cndmask_b32_e32 v46, v41, v44, vcc
	global_load_dwordx4 v[42:45], v[32:33], off offset:1024
	v_ashrrev_i32_e32 v48, 4, v47
	v_cmp_gt_i32_e32 vcc, s38, v47
	s_waitcnt vmcnt(5)
	v_mad_i64_i32 v[38:39], s[12:13], v34, s45, v[30:31]
	s_waitcnt vmcnt(4)
	v_mad_i64_i32 v[30:31], s[12:13], v35, s45, v[30:31]
	v_cndmask_b32_e32 v32, v41, v48, vcc
	v_ashrrev_i32_e32 v47, 31, v46
	v_ashrrev_i32_e32 v37, 31, v36
	v_lshl_add_u64 v[38:39], v[38:39], 0, v[56:57]
	v_lshl_add_u64 v[34:35], v[30:31], 0, v[56:57]
	v_ashrrev_i32_e32 v41, 31, v40
	v_ashrrev_i32_e32 v33, 31, v32
	v_lshl_add_u64 v[58:59], v[46:47], 2, s[6:7]
	v_lshl_add_u64 v[50:51], v[36:37], 2, s[6:7]
	v_lshl_add_u64 v[52:53], v[40:41], 2, s[6:7]
	v_lshl_add_u64 v[60:61], v[32:33], 2, s[6:7]
	global_load_dwordx4 v[30:33], v[38:39], off
	global_load_dwordx4 v[46:49], v[38:39], off offset:1024
	s_nop 0
	global_load_dwordx4 v[38:41], v[34:35], off
	s_nop 0
	global_load_dwordx4 v[34:37], v[34:35], off offset:1024
	s_nop 0
	global_load_dword v67, v[50:51], off
	global_load_dword v66, v[52:53], off
	s_nop 0
	global_load_dword v58, v[58:59], off
	s_nop 0
	global_load_dword v59, v[60:61], off
	s_mov_b32 s44, 0x7060302
	s_add_u32 s4, s10, s4
	v_lshl_or_b32 v55, v65, 4, v62
	s_addc_u32 s5, s11, 0
	v_lshlrev_b32_e32 v56, 4, v55
	s_load_dword s8, s[0:1], 0x1c
	s_waitcnt vmcnt(11)
	v_cvt_pk_f32_fp8_e32 v[50:51], v22
	v_cvt_pk_f32_fp8_sdwa v[52:53], v22 src0_sel:WORD_1
	v_cvt_pk_f32_fp8_e32 v[60:61], v23
	v_cvt_pk_f32_fp8_sdwa v[68:69], v23 src0_sel:WORD_1
	;; [unrolled: 2-line block ×4, first 2 shown]
	s_waitcnt vmcnt(9)
	v_cvt_pk_f32_fp8_e32 v[22:23], v2
	v_cvt_pk_f32_fp8_sdwa v[24:25], v2 src0_sel:WORD_1
	v_perm_b32 v50, v51, v50, s44
	v_perm_b32 v51, v53, v52, s44
	v_cvt_pk_f32_fp8_e32 v[80:81], v10
	v_cvt_pk_f32_fp8_sdwa v[82:83], v10 src0_sel:WORD_1
	v_cvt_pk_f32_fp8_e32 v[84:85], v11
	v_cvt_pk_f32_fp8_sdwa v[52:53], v11 src0_sel:WORD_1
	v_perm_b32 v10, v23, v22, s44
	v_perm_b32 v11, v25, v24, s44
	v_perm_b32 v60, v61, v60, s44
	v_perm_b32 v61, v69, v68, s44
	s_waitcnt lgkmcnt(0)
	v_mfma_f32_16x16x16_bf16 v[22:25], v[50:51], v[26:27], 0
	v_cvt_pk_f32_fp8_e32 v[86:87], v12
	v_cvt_pk_f32_fp8_sdwa v[50:51], v12 src0_sel:WORD_1
	v_cvt_pk_f32_fp8_e32 v[88:89], v13
	v_mfma_f32_16x16x16_bf16 v[68:71], v[10:11], v[26:27], 0
	v_perm_b32 v10, v73, v72, s44
	v_perm_b32 v11, v75, v74, s44
	;; [unrolled: 1-line block ×3, first 2 shown]
	v_mfma_f32_16x16x16_bf16 v[22:25], v[60:61], v[28:29], v[22:25]
	v_perm_b32 v73, v79, v78, s44
	v_cvt_pk_f32_fp8_sdwa v[60:61], v13 src0_sel:WORD_1
	s_waitcnt vmcnt(6)
	v_cvt_pk_f32_fp8_sdwa v[76:77], v48 src0_sel:WORD_1
	v_mfma_f32_16x16x16_bf16 v[10:13], v[10:11], v[18:19], v[22:25]
	s_nop 2
	v_perm_b32 v24, v81, v80, s44
	v_perm_b32 v25, v83, v82, s44
	v_mfma_f32_16x16x16_bf16 v[10:13], v[72:73], v[20:21], v[10:13]
	v_perm_b32 v72, v85, v84, s44
	v_perm_b32 v73, v53, v52, s44
	;; [unrolled: 1-line block ×3, first 2 shown]
	v_mfma_f32_16x16x16_bf16 v[10:13], v[24:25], v[14:15], v[10:13]
	v_perm_b32 v53, v51, v50, s44
	v_cvt_pk_f32_fp8_e32 v[22:23], v3
	v_cvt_pk_f32_fp8_sdwa v[2:3], v3 src0_sel:WORD_1
	v_mfma_f32_16x16x16_bf16 v[10:13], v[72:73], v[16:17], v[10:13]
	v_perm_b32 v50, v89, v88, s44
	v_perm_b32 v51, v61, v60, s44
	v_cvt_pk_f32_fp8_e32 v[24:25], v4
	v_cvt_pk_f32_fp8_sdwa v[72:73], v4 src0_sel:WORD_1
	v_mfma_f32_16x16x16_bf16 v[10:13], v[52:53], v[6:7], v[10:13]
	v_perm_b32 v22, v23, v22, s44
	v_perm_b32 v23, v3, v2, s44
	;; [unrolled: 1-line block ×3, first 2 shown]
	v_mfma_f32_16x16x16_bf16 v[50:53], v[50:51], v[8:9], v[10:13]
	v_perm_b32 v25, v73, v72, s44
	v_cvt_pk_f32_fp8_sdwa v[72:73], v33 src0_sel:WORD_1
	v_lshl_add_u64 v[60:61], s[4:5], 0, v[56:57]
	v_cvt_pk_f32_fp8_e32 v[10:11], v5
	v_cvt_pk_f32_fp8_sdwa v[12:13], v5 src0_sel:WORD_1
	v_mfma_f32_16x16x16_bf16 v[2:5], v[22:23], v[28:29], v[68:71]
	v_cvt_pk_f32_fp8_sdwa v[22:23], v42 src0_sel:WORD_1
	v_perm_b32 v10, v11, v10, s44
	v_perm_b32 v11, v13, v12, s44
	v_mfma_f32_16x16x16_bf16 v[2:5], v[24:25], v[18:19], v[2:5]
	v_cvt_pk_f32_fp8_e32 v[12:13], v42
	v_cvt_pk_f32_fp8_e32 v[24:25], v44
	;; [unrolled: 1-line block ×3, first 2 shown]
	v_mfma_f32_16x16x16_bf16 v[2:5], v[10:11], v[20:21], v[2:5]
	v_cvt_pk_f32_fp8_e32 v[10:11], v43
	v_perm_b32 v12, v13, v12, s44
	v_perm_b32 v13, v23, v22, s44
	v_cvt_pk_f32_fp8_sdwa v[22:23], v43 src0_sel:WORD_1
	v_perm_b32 v10, v11, v10, s44
	v_cvt_pk_f32_fp8_sdwa v[42:43], v44 src0_sel:WORD_1
	v_mfma_f32_16x16x16_bf16 v[2:5], v[12:13], v[14:15], v[2:5]
	v_perm_b32 v11, v23, v22, s44
	v_perm_b32 v12, v25, v24, s44
	v_perm_b32 v13, v43, v42, s44
	v_cvt_pk_f32_fp8_e32 v[22:23], v45
	v_cvt_pk_f32_fp8_sdwa v[24:25], v45 src0_sel:WORD_1
	v_mfma_f32_16x16x16_bf16 v[2:5], v[10:11], v[16:17], v[2:5]
	s_waitcnt vmcnt(2)
	v_mad_i64_i32 v[68:69], s[6:7], v66, s45, v[60:61]
	v_perm_b32 v10, v23, v22, s44
	v_perm_b32 v11, v25, v24, s44
	v_mfma_f32_16x16x16_bf16 v[2:5], v[12:13], v[6:7], v[2:5]
	v_cvt_pk_f32_fp8_e32 v[12:13], v30
	v_cvt_pk_f32_fp8_sdwa v[22:23], v30 src0_sel:WORD_1
	v_cvt_pk_f32_fp8_sdwa v[24:25], v32 src0_sel:WORD_1
	v_mfma_f32_16x16x16_bf16 v[42:45], v[10:11], v[8:9], v[2:5]
	v_cvt_pk_f32_fp8_sdwa v[10:11], v31 src0_sel:WORD_1
	v_or_b32_e32 v56, 0x400, v56
	s_nop 0
	v_perm_b32 v2, v13, v12, s44
	v_perm_b32 v3, v23, v22, s44
	v_cvt_pk_f32_fp8_e32 v[4:5], v31
	v_perm_b32 v23, v11, v10, s44
	v_cvt_pk_f32_fp8_e32 v[10:11], v32
	v_mad_i64_i32 v[12:13], s[6:7], v67, s45, v[60:61]
	v_perm_b32 v22, v5, v4, s44
	v_mfma_f32_16x16x16_bf16 v[2:5], v[2:3], v[26:27], 0
	v_perm_b32 v10, v11, v10, s44
	v_perm_b32 v11, v25, v24, s44
	v_mfma_f32_16x16x16_bf16 v[2:5], v[22:23], v[28:29], v[2:5]
	global_load_dwordx4 v[30:33], v[12:13], off
	global_load_dwordx4 v[22:25], v[68:69], off
	v_perm_b32 v12, v71, v70, s44
	v_perm_b32 v13, v73, v72, s44
	v_mfma_f32_16x16x16_bf16 v[2:5], v[10:11], v[18:19], v[2:5]
	v_cvt_pk_f32_fp8_e32 v[10:11], v46
	v_cvt_pk_f32_fp8_sdwa v[68:69], v46 src0_sel:WORD_1
	s_waitcnt vmcnt(3)
	v_mad_i64_i32 v[72:73], s[6:7], v58, s45, v[60:61]
	v_mfma_f32_16x16x16_bf16 v[2:5], v[12:13], v[20:21], v[2:5]
	v_perm_b32 v10, v11, v10, s44
	v_perm_b32 v11, v69, v68, s44
	v_cvt_pk_f32_fp8_e32 v[12:13], v47
	v_cvt_pk_f32_fp8_sdwa v[46:47], v47 src0_sel:WORD_1
	v_mfma_f32_16x16x16_bf16 v[68:71], v[10:11], v[14:15], v[2:5]
	v_perm_b32 v74, v13, v12, s44
	v_perm_b32 v75, v47, v46, s44
	v_cvt_pk_f32_fp8_e32 v[46:47], v48
	s_waitcnt vmcnt(2)
	v_mad_i64_i32 v[60:61], s[6:7], v59, s45, v[60:61]
	global_load_dwordx4 v[10:13], v[72:73], off
	global_load_dwordx4 v[2:5], v[60:61], off
	v_perm_b32 v60, v47, v46, s44
	v_perm_b32 v61, v77, v76, s44
	v_cvt_pk_f32_fp8_e32 v[72:73], v49
	v_cvt_pk_f32_fp8_sdwa v[48:49], v49 src0_sel:WORD_1
	v_mfma_f32_16x16x16_bf16 v[68:71], v[74:75], v[16:17], v[68:71]
	v_lshl_add_u64 v[46:47], s[4:5], 0, v[56:57]
	v_perm_b32 v56, v73, v72, s44
	v_perm_b32 v57, v49, v48, s44
	v_mfma_f32_16x16x16_bf16 v[68:71], v[60:61], v[6:7], v[68:71]
	v_cvt_pk_f32_fp8_e32 v[48:49], v38
	v_cvt_pk_f32_fp8_sdwa v[60:61], v38 src0_sel:WORD_1
	v_cvt_pk_f32_fp8_sdwa v[76:77], v40 src0_sel:WORD_1
	v_mfma_f32_16x16x16_bf16 v[68:71], v[56:57], v[8:9], v[68:71]
	v_cvt_pk_f32_fp8_e32 v[56:57], v39
	v_perm_b32 v48, v49, v48, s44
	v_perm_b32 v49, v61, v60, s44
	v_cvt_pk_f32_fp8_sdwa v[38:39], v39 src0_sel:WORD_1
	v_perm_b32 v56, v57, v56, s44
	v_cvt_pk_f32_fp8_e32 v[60:61], v40
	v_mfma_f32_16x16x16_bf16 v[72:75], v[48:49], v[26:27], 0
	v_perm_b32 v57, v39, v38, s44
	v_perm_b32 v38, v61, v60, s44
	;; [unrolled: 1-line block ×3, first 2 shown]
	v_cvt_pk_f32_fp8_e32 v[48:49], v41
	v_cvt_pk_f32_fp8_sdwa v[40:41], v41 src0_sel:WORD_1
	v_mfma_f32_16x16x16_bf16 v[26:29], v[56:57], v[28:29], v[72:75]
	s_load_dword s4, s[40:41], 0x0
	v_perm_b32 v48, v49, v48, s44
	v_perm_b32 v49, v41, v40, s44
	v_mfma_f32_16x16x16_bf16 v[26:29], v[38:39], v[18:19], v[26:29]
	v_cvt_pk_f32_fp8_e32 v[40:41], v35
	v_mov_b32_e32 v56, s8
	s_waitcnt lgkmcnt(0)
	v_mul_f32_e32 v56, s4, v56
	v_mfma_f32_16x16x16_bf16 v[18:21], v[48:49], v[20:21], v[26:29]
	v_pk_mul_f32 v[38:39], v[56:57], v[52:53] op_sel_hi:[0,1]
	v_pk_mul_f32 v[52:53], v[56:57], v[42:43] op_sel_hi:[0,1]
	;; [unrolled: 1-line block ×3, first 2 shown]
	v_cvt_pk_f32_fp8_e32 v[26:27], v34
	v_cvt_pk_f32_fp8_sdwa v[28:29], v34 src0_sel:WORD_1
	v_cvt_pk_f32_fp8_sdwa v[34:35], v35 src0_sel:WORD_1
	s_mov_b32 s40, 0xff7fffff
	v_perm_b32 v26, v27, v26, s44
	v_perm_b32 v27, v29, v28, s44
	v_perm_b32 v28, v41, v40, s44
	v_perm_b32 v29, v35, v34, s44
	v_cvt_pk_f32_fp8_e32 v[34:35], v36
	v_cvt_pk_f32_fp8_sdwa v[40:41], v36 src0_sel:WORD_1
	v_mfma_f32_16x16x16_bf16 v[18:21], v[26:27], v[14:15], v[18:21]
	v_pk_mul_f32 v[48:49], v[56:57], v[44:45] op_sel_hi:[0,1]
	v_perm_b32 v26, v35, v34, s44
	v_perm_b32 v27, v41, v40, s44
	v_cvt_pk_f32_fp8_e32 v[34:35], v37
	v_cvt_pk_f32_fp8_sdwa v[36:37], v37 src0_sel:WORD_1
	v_mfma_f32_16x16x16_bf16 v[14:17], v[28:29], v[16:17], v[18:21]
	v_pk_mul_f32 v[40:41], v[56:57], v[68:69] op_sel_hi:[0,1]
	v_pk_mul_f32 v[44:45], v[56:57], v[70:71] op_sel_hi:[0,1]
	v_mad_i64_i32 v[60:61], s[4:5], v67, s45, v[46:47]
	v_perm_b32 v18, v35, v34, s44
	v_perm_b32 v19, v37, v36, s44
	v_mfma_f32_16x16x16_bf16 v[14:17], v[26:27], v[6:7], v[14:17]
	s_nop 0
	v_mfma_f32_16x16x16_bf16 v[6:9], v[18:19], v[8:9], v[14:17]
	s_nop 6
	v_pk_mul_f32 v[42:43], v[56:57], v[6:7] op_sel_hi:[0,1]
	v_and_b32_e32 v6, 0xc0, v0
	v_add_u32_e32 v6, s18, v6
	v_lshl_or_b32 v6, v1, 2, v6
	v_pk_mul_f32 v[34:35], v[56:57], v[8:9] op_sel_hi:[0,1]
	v_or_b32_e32 v9, 1, v6
	v_mov_b32_e32 v7, 0xff7fffff
	v_cmp_gt_i32_e64 s[24:25], s38, v6
	v_cmp_gt_i32_e64 s[26:27], s38, v9
	v_or_b32_e32 v14, 3, v6
	v_cndmask_b32_e64 v8, v7, v50, s[24:25]
	v_cndmask_b32_e64 v9, v7, v51, s[26:27]
	v_max3_f32 v8, v8, s40, v9
	v_or_b32_e32 v9, 2, v6
	v_cmp_gt_i32_e64 s[28:29], s38, v9
	v_cmp_gt_i32_e64 s[30:31], s38, v14
	s_nop 0
	v_cndmask_b32_e64 v9, v7, v38, s[28:29]
	v_cndmask_b32_e64 v14, v7, v39, s[30:31]
	v_max3_f32 v8, v8, v9, v14
	v_or_b32_e32 v9, 16, v6
	v_or_b32_e32 v14, 17, v6
	v_cmp_gt_i32_e64 s[34:35], s38, v9
	v_cmp_gt_i32_e64 s[36:37], s38, v14
	s_nop 0
	v_cndmask_b32_e64 v9, v7, v52, s[34:35]
	v_cndmask_b32_e64 v14, v7, v53, s[36:37]
	v_max3_f32 v8, v8, v9, v14
	v_or_b32_e32 v9, 18, v6
	;; [unrolled: 8-line block ×6, first 2 shown]
	v_or_b32_e32 v6, 51, v6
	v_cmp_gt_i32_e32 vcc, s38, v9
	v_cmp_gt_i32_e64 s[4:5], s38, v6
	s_nop 0
	v_cndmask_b32_e32 v9, v7, v34, vcc
	v_cndmask_b32_e64 v6, v7, v35, s[4:5]
	v_max3_f32 v8, v8, v9, v6
	v_mbcnt_lo_u32_b32 v6, -1, 0
	v_mbcnt_hi_u32_b32 v9, -1, v6
	v_and_b32_e32 v6, 64, v9
	v_add_u32_e32 v14, 64, v6
	v_xor_b32_e32 v6, 32, v9
	v_cmp_lt_i32_e64 s[38:39], v6, v14
	s_nop 1
	v_cndmask_b32_e64 v6, v9, v6, s[38:39]
	v_lshlrev_b32_e32 v57, 2, v6
	ds_bpermute_b32 v15, v57, v8
	v_mad_i64_i32 v[6:7], s[38:39], v66, s45, v[46:47]
	global_load_dwordx4 v[26:29], v[60:61], off
	global_load_dwordx4 v[18:21], v[6:7], off
	s_waitcnt lgkmcnt(0)
	v_max_f32_e32 v6, v15, v15
	v_max_f32_e32 v15, v8, v6
	v_xor_b32_e32 v6, 16, v9
	v_cmp_lt_i32_e64 s[38:39], v6, v14
	s_nop 1
	v_cndmask_b32_e64 v6, v9, v6, s[38:39]
	v_lshlrev_b32_e32 v60, 2, v6
	ds_bpermute_b32 v14, v60, v15
	v_mad_i64_i32 v[6:7], s[38:39], v58, s45, v[46:47]
	v_mad_i64_i32 v[8:9], s[38:39], v59, s45, v[46:47]
	s_waitcnt lgkmcnt(0)
	v_max_f32_e32 v14, v14, v14
	v_max_f32_e32 v56, v15, v14
	v_sub_f32_e32 v14, v50, v56
	v_mul_f32_e32 v14, 0x3fb8aa3b, v14
	v_exp_f32_e32 v36, v14
	v_sub_f32_e32 v14, v51, v56
	v_mul_f32_e32 v14, 0x3fb8aa3b, v14
	v_exp_f32_e32 v37, v14
	global_load_dwordx4 v[14:17], v[6:7], off
	s_nop 0
	global_load_dwordx4 v[6:9], v[8:9], off
	v_sub_f32_e32 v38, v38, v56
	v_mul_f32_e32 v38, 0x3fb8aa3b, v38
	v_sub_f32_e32 v39, v39, v56
	v_exp_f32_e32 v38, v38
	v_mul_f32_e32 v39, 0x3fb8aa3b, v39
	v_exp_f32_e32 v39, v39
	v_cndmask_b32_e64 v36, 0, v36, s[24:25]
	v_add_f32_e32 v46, 0, v36
	v_cndmask_b32_e64 v37, 0, v37, s[26:27]
	v_add_f32_e32 v47, v46, v37
	;; [unrolled: 2-line block ×3, first 2 shown]
	v_cndmask_b32_e64 v47, 0, v39, s[30:31]
	v_sub_f32_e32 v39, v52, v56
	v_mul_f32_e32 v39, 0x3fb8aa3b, v39
	v_sub_f32_e32 v50, v53, v56
	v_exp_f32_e32 v39, v39
	v_mul_f32_e32 v50, 0x3fb8aa3b, v50
	v_sub_f32_e32 v48, v48, v56
	v_exp_f32_e32 v50, v50
	;; [unrolled: 3-line block ×4, first 2 shown]
	v_mul_f32_e32 v40, 0x3fb8aa3b, v40
	v_sub_f32_e32 v41, v41, v56
	v_add_f32_e32 v51, v38, v47
	v_cndmask_b32_e64 v38, 0, v39, s[34:35]
	v_exp_f32_e32 v40, v40
	v_mul_f32_e32 v41, 0x3fb8aa3b, v41
	v_sub_f32_e32 v44, v44, v56
	v_add_f32_e32 v51, v51, v38
	v_cndmask_b32_e64 v39, 0, v50, s[36:37]
	v_exp_f32_e32 v41, v41
	;; [unrolled: 5-line block ×7, first 2 shown]
	v_mul_f32_e32 v35, 0x3fb8aa3b, v35
	v_add_f32_e32 v50, v50, v44
	v_cndmask_b32_e64 v45, 0, v45, s[12:13]
	v_exp_f32_e32 v35, v35
	v_add_f32_e32 v50, v50, v45
	v_cndmask_b32_e64 v42, 0, v42, s[6:7]
	v_add_f32_e32 v50, v50, v42
	v_cndmask_b32_e64 v43, 0, v43, s[8:9]
	v_add_f32_e32 v50, v50, v43
	v_cndmask_b32_e32 v34, 0, v34, vcc
	v_add_f32_e32 v50, v50, v34
	v_cndmask_b32_e64 v35, 0, v35, s[4:5]
	v_add_f32_e32 v50, v50, v35
	ds_bpermute_b32 v51, v57, v50
	v_cmp_gt_u32_e32 vcc, 16, v64
	s_waitcnt lgkmcnt(0)
	s_barrier
	v_add_f32_e32 v50, v50, v51
	ds_bpermute_b32 v51, v60, v50
	s_and_saveexec_b64 s[4:5], vcc
	s_cbranch_execz .LBB1285_13
; %bb.12:
	s_waitcnt lgkmcnt(0)
	v_add_f32_e32 v50, v50, v51
	v_lshlrev_b32_e32 v51, 2, v55
	ds_write2st64_b32 v51, v56, v50 offset1:1
.LBB1285_13:
	s_or_b64 exec, exec, s[4:5]
	s_waitcnt lgkmcnt(0)
	v_lshlrev_b32_e32 v51, 2, v62
	s_load_dword s6, s[0:1], 0x94
	s_waitcnt lgkmcnt(0)
	s_barrier
	ds_read2_b32 v[52:53], v51 offset1:16
	ds_read2_b32 v[56:57], v51 offset0:32 offset1:48
	ds_read2_b32 v[58:59], v51 offset0:64 offset1:80
	s_movk_i32 s8, 0x7fff
	s_lshl_b32 s7, s33, 1
	s_waitcnt lgkmcnt(2)
	v_max3_f32 v50, v52, s40, v53
	s_waitcnt lgkmcnt(1)
	v_max3_f32 v50, v50, v56, v57
	v_sub_f32_e32 v52, v52, v50
	v_mul_f32_e32 v52, 0x3fb8aa3b, v52
	v_exp_f32_e32 v55, v52
	v_sub_f32_e32 v52, v53, v50
	v_mul_f32_e32 v52, 0x3fb8aa3b, v52
	v_exp_f32_e32 v60, v52
	;; [unrolled: 3-line block ×3, first 2 shown]
	ds_read2_b32 v[52:53], v51 offset0:96 offset1:112
	v_sub_f32_e32 v51, v57, v50
	v_mul_f32_e32 v51, 0x3fb8aa3b, v51
	v_exp_f32_e32 v57, v51
	s_waitcnt lgkmcnt(1)
	v_fma_f32 v51, v55, v58, 0
	v_fmac_f32_e32 v51, v60, v59
	s_waitcnt lgkmcnt(0)
	v_fmac_f32_e32 v51, v56, v52
	v_fmac_f32_e32 v51, v57, v53
	v_add_f32_e32 v52, 0x358637bd, v51
	v_div_scale_f32 v53, s[4:5], v52, v52, 1.0
	v_rcp_f32_e32 v58, v53
	s_barrier
	v_fma_f32 v59, -v53, v58, 1.0
	v_fmac_f32_e32 v58, v59, v58
	v_div_scale_f32 v59, vcc, 1.0, v52, 1.0
	v_mul_f32_e32 v61, v59, v58
	v_fma_f32 v66, -v53, v61, v59
	v_fmac_f32_e32 v61, v66, v58
	v_fma_f32 v53, -v53, v61, v59
	v_div_fmas_f32 v53, v53, v58, v61
	v_cmp_eq_u32_e32 vcc, 1, v65
	v_div_fixup_f32 v52, v53, v52, 1.0
	s_nop 0
	v_cndmask_b32_e32 v53, v55, v60, vcc
	v_cmp_eq_u32_e32 vcc, 2, v65
	s_nop 1
	v_cndmask_b32_e32 v53, v53, v56, vcc
	v_cmp_eq_u32_e32 vcc, 3, v65
	s_nop 1
	v_cndmask_b32_e32 v53, v53, v57, vcc
	v_mul_f32_e32 v52, v53, v52
	v_pk_mul_f32 v[36:37], v[52:53], v[36:37] op_sel_hi:[0,1]
	v_pk_mul_f32 v[46:47], v[52:53], v[46:47] op_sel_hi:[0,1]
	v_bfe_u32 v53, v37, 16, 1
	v_bfe_u32 v55, v36, 16, 1
	v_add3_u32 v36, v36, v55, s8
	v_add3_u32 v37, v37, v53, s8
	v_perm_b32 v56, v37, v36, s44
	v_bfe_u32 v36, v47, 16, 1
	v_bfe_u32 v37, v46, 16, 1
	v_add3_u32 v37, v46, v37, s8
	v_add3_u32 v36, v47, v36, s8
	v_perm_b32 v57, v36, v37, s44
	v_lshlrev_b32_e32 v37, 3, v1
	v_lshlrev_b32_e32 v36, 5, v62
	;; [unrolled: 1-line block ×3, first 2 shown]
	v_pk_mul_f32 v[38:39], v[52:53], v[38:39] op_sel_hi:[0,1]
	v_or3_b32 v55, v46, v36, v37
	v_pk_mul_f32 v[46:47], v[52:53], v[48:49] op_sel_hi:[0,1]
	v_bfe_u32 v37, v39, 16, 1
	v_bfe_u32 v48, v38, 16, 1
	v_add3_u32 v38, v38, v48, s8
	v_add3_u32 v37, v39, v37, s8
	v_perm_b32 v38, v37, v38, s44
	v_bfe_u32 v37, v47, 16, 1
	v_bfe_u32 v39, v46, 16, 1
	v_add3_u32 v39, v46, v39, s8
	v_add3_u32 v37, v47, v37, s8
	v_perm_b32 v39, v37, v39, s44
	v_pk_mul_f32 v[40:41], v[52:53], v[40:41] op_sel_hi:[0,1]
	ds_write2st64_b64 v55, v[56:57], v[38:39] offset1:1
	v_pk_mul_f32 v[38:39], v[52:53], v[44:45] op_sel_hi:[0,1]
	v_bfe_u32 v37, v41, 16, 1
	v_bfe_u32 v44, v40, 16, 1
	v_add3_u32 v40, v40, v44, s8
	v_add3_u32 v37, v41, v37, s8
	v_perm_b32 v40, v37, v40, s44
	v_bfe_u32 v37, v39, 16, 1
	v_bfe_u32 v41, v38, 16, 1
	v_add3_u32 v38, v38, v41, s8
	v_add3_u32 v37, v39, v37, s8
	v_perm_b32 v41, v37, v38, s44
	v_pk_mul_f32 v[38:39], v[52:53], v[42:43] op_sel_hi:[0,1]
	v_bfe_u32 v37, v39, 16, 1
	v_bfe_u32 v42, v38, 16, 1
	v_pk_mul_f32 v[34:35], v[52:53], v[34:35] op_sel_hi:[0,1]
	v_add3_u32 v38, v38, v42, s8
	v_add3_u32 v37, v39, v37, s8
	v_perm_b32 v38, v37, v38, s44
	v_bfe_u32 v37, v35, 16, 1
	v_bfe_u32 v39, v34, 16, 1
	v_add3_u32 v34, v34, v39, s8
	v_add3_u32 v35, v35, v37, s8
	v_perm_b32 v39, v35, v34, s44
	v_cmp_gt_u32_e32 vcc, 2, v0
	ds_write2st64_b64 v55, v[40:41], v[38:39] offset0:2 offset1:3
	s_and_saveexec_b64 s[4:5], vcc
	s_cbranch_execz .LBB1285_15
; %bb.14:
	v_or_b32_e32 v34, s23, v0
	v_mov_b32_e32 v35, 0
	v_mov_b32_e32 v37, s7
	v_mad_u64_u32 v[38:39], s[10:11], s2, v37, v[34:35]
	v_mov_b32_e32 v34, s22
	s_load_dwordx4 s[12:15], s[0:1], 0x58
	s_mul_i32 s3, s3, s7
	v_mad_u64_u32 v[34:35], s[10:11], v38, s6, v[34:35]
	v_add_u32_e32 v37, s3, v39
	v_mov_b32_e32 v38, v35
	v_mad_u64_u32 v[38:39], s[10:11], v37, s6, v[38:39]
	v_mov_b32_e32 v35, v38
	v_lshlrev_b64 v[34:35], 2, v[34:35]
	s_waitcnt lgkmcnt(0)
	v_lshl_add_u64 v[38:39], s[14:15], 0, v[34:35]
	v_lshl_add_u64 v[34:35], s[12:13], 0, v[34:35]
	global_store_dword v[38:39], v50, off
	global_store_dword v[34:35], v51, off
.LBB1285_15:
	s_or_b64 exec, exec, s[4:5]
	v_lshl_or_b32 v50, v1, 9, v36
	s_waitcnt vmcnt(7)
	v_cvt_pk_f32_fp8_e32 v[34:35], v30
	v_cvt_pk_f32_fp8_sdwa v[36:37], v30 src0_sel:WORD_1
	s_mov_b32 s5, 0x7060302
	s_waitcnt lgkmcnt(0)
	s_barrier
	v_cvt_pk_f32_fp8_e32 v[38:39], v31
	v_perm_b32 v30, v35, v34, s5
	v_cvt_pk_f32_fp8_sdwa v[40:41], v31 src0_sel:WORD_1
	v_perm_b32 v31, v37, v36, s5
	ds_read_b128 v[34:37], v50
	v_perm_b32 v46, v39, v38, s5
	v_perm_b32 v47, v41, v40, s5
	ds_read_b128 v[38:41], v50 offset:16
	v_cvt_pk_f32_fp8_e32 v[48:49], v32
	v_cvt_pk_f32_fp8_sdwa v[52:53], v32 src0_sel:WORD_1
	s_waitcnt lgkmcnt(1)
	v_mfma_f32_16x16x16_bf16 v[42:45], v[30:31], v[34:35], 0
	s_waitcnt vmcnt(6)
	v_cvt_pk_f32_fp8_e32 v[56:57], v24
	v_perm_b32 v30, v49, v48, s5
	v_perm_b32 v31, v53, v52, s5
	v_cvt_pk_f32_fp8_e32 v[48:49], v33
	v_mfma_f32_16x16x16_bf16 v[42:45], v[46:47], v[36:37], v[42:45]
	v_cvt_pk_f32_fp8_sdwa v[46:47], v33 src0_sel:WORD_1
	v_cvt_pk_f32_fp8_sdwa v[58:59], v24 src0_sel:WORD_1
	v_perm_b32 v48, v49, v48, s5
	s_waitcnt lgkmcnt(0)
	v_mfma_f32_16x16x16_bf16 v[30:33], v[30:31], v[38:39], v[42:45]
	v_perm_b32 v49, v47, v46, s5
	s_waitcnt vmcnt(5)
	v_cvt_pk_f32_fp8_e32 v[60:61], v12
	v_cvt_pk_f32_fp8_sdwa v[66:67], v12 src0_sel:WORD_1
	v_cvt_pk_f32_fp8_e32 v[42:43], v22
	v_mfma_f32_16x16x16_bf16 v[46:49], v[48:49], v[40:41], v[30:33]
	s_waitcnt vmcnt(4)
	v_cvt_pk_f32_fp8_sdwa v[68:69], v4 src0_sel:WORD_1
	s_load_dword s4, s[42:43], 0x0
	v_cvt_pk_f32_fp8_sdwa v[30:31], v22 src0_sel:WORD_1
	v_cvt_pk_f32_fp8_e32 v[32:33], v23
	v_perm_b32 v22, v43, v42, s5
	v_cvt_pk_f32_fp8_sdwa v[42:43], v23 src0_sel:WORD_1
	v_perm_b32 v23, v31, v30, s5
	v_perm_b32 v52, v33, v32, s5
	ds_read_b128 v[30:33], v50 offset:2048
	v_perm_b32 v53, v43, v42, s5
	ds_read_b128 v[42:45], v50 offset:2064
	s_waitcnt lgkmcnt(0)
	v_mfma_f32_16x16x16_bf16 v[46:49], v[22:23], v[30:31], v[46:49]
	v_perm_b32 v22, v57, v56, s5
	v_perm_b32 v23, v59, v58, s5
	v_cvt_pk_f32_fp8_e32 v[56:57], v25
	v_mfma_f32_16x16x16_bf16 v[46:49], v[52:53], v[32:33], v[46:49]
	v_cvt_pk_f32_fp8_sdwa v[52:53], v25 src0_sel:WORD_1
	s_waitcnt vmcnt(3)
	v_cvt_pk_f32_fp8_sdwa v[70:71], v28 src0_sel:WORD_1
	v_perm_b32 v56, v57, v56, s5
	v_mfma_f32_16x16x16_bf16 v[22:25], v[22:23], v[42:43], v[46:49]
	v_perm_b32 v57, v53, v52, s5
	v_cmp_gt_u32_e32 vcc, 64, v0
	s_mov_b32 s3, 0
	v_cvt_pk_f32_fp8_e32 v[46:47], v10
	v_mfma_f32_16x16x16_bf16 v[56:59], v[56:57], v[44:45], v[22:25]
	s_nop 2
	v_cvt_pk_f32_fp8_sdwa v[22:23], v10 src0_sel:WORD_1
	v_cvt_pk_f32_fp8_e32 v[24:25], v11
	v_perm_b32 v10, v47, v46, s5
	v_cvt_pk_f32_fp8_sdwa v[46:47], v11 src0_sel:WORD_1
	v_perm_b32 v11, v23, v22, s5
	v_perm_b32 v52, v25, v24, s5
	ds_read_b128 v[22:25], v50 offset:4096
	v_perm_b32 v53, v47, v46, s5
	ds_read_b128 v[46:49], v50 offset:4112
	s_waitcnt lgkmcnt(1)
	v_mfma_f32_16x16x16_bf16 v[56:59], v[10:11], v[22:23], v[56:59]
	v_perm_b32 v10, v61, v60, s5
	v_perm_b32 v11, v67, v66, s5
	v_cvt_pk_f32_fp8_e32 v[60:61], v13
	v_mfma_f32_16x16x16_bf16 v[56:59], v[52:53], v[24:25], v[56:59]
	v_cvt_pk_f32_fp8_sdwa v[52:53], v13 src0_sel:WORD_1
	v_cvt_pk_f32_fp8_e32 v[66:67], v4
	v_perm_b32 v60, v61, v60, s5
	s_waitcnt lgkmcnt(0)
	v_mfma_f32_16x16x16_bf16 v[10:13], v[10:11], v[46:47], v[56:59]
	v_perm_b32 v61, v53, v52, s5
	v_cvt_pk_f32_fp8_e32 v[52:53], v2
	s_nop 0
	v_mfma_f32_16x16x16_bf16 v[56:59], v[60:61], v[48:49], v[10:13]
	s_nop 2
	v_cvt_pk_f32_fp8_sdwa v[10:11], v2 src0_sel:WORD_1
	v_cvt_pk_f32_fp8_e32 v[12:13], v3
	v_perm_b32 v2, v53, v52, s5
	v_cvt_pk_f32_fp8_sdwa v[52:53], v3 src0_sel:WORD_1
	v_perm_b32 v3, v11, v10, s5
	v_perm_b32 v60, v13, v12, s5
	ds_read_b128 v[10:13], v50 offset:6144
	v_perm_b32 v61, v53, v52, s5
	s_waitcnt lgkmcnt(0)
	v_mfma_f32_16x16x16_bf16 v[56:59], v[2:3], v[10:11], v[56:59]
	ds_read_b128 v[50:53], v50 offset:6160
	v_perm_b32 v2, v67, v66, s5
	v_perm_b32 v3, v69, v68, s5
	v_cvt_pk_f32_fp8_e32 v[66:67], v5
	v_mfma_f32_16x16x16_bf16 v[56:59], v[60:61], v[12:13], v[56:59]
	v_cvt_pk_f32_fp8_sdwa v[60:61], v5 src0_sel:WORD_1
	v_cvt_pk_f32_fp8_e32 v[68:69], v28
	v_perm_b32 v66, v67, v66, s5
	s_waitcnt lgkmcnt(0)
	v_mfma_f32_16x16x16_bf16 v[2:5], v[2:3], v[50:51], v[56:59]
	v_perm_b32 v67, v61, v60, s5
	s_barrier
	s_nop 0
	v_mfma_f32_16x16x16_bf16 v[56:59], v[66:67], v[52:53], v[2:5]
	s_nop 2
	v_cvt_pk_f32_fp8_e32 v[4:5], v26
	v_perm_b32 v4, v5, v4, s5
	s_nop 1
	v_pk_mul_f32 v[2:3], v[58:59], s[4:5] op_sel_hi:[1,0]
	v_cvt_pk_f32_fp8_sdwa v[58:59], v26 src0_sel:WORD_1
	v_pk_mul_f32 v[60:61], v[56:57], s[4:5] op_sel_hi:[1,0]
	v_cvt_pk_f32_fp8_e32 v[56:57], v27
	v_cvt_pk_f32_fp8_sdwa v[26:27], v27 src0_sel:WORD_1
	v_perm_b32 v5, v59, v58, s5
	v_perm_b32 v66, v57, v56, s5
	;; [unrolled: 1-line block ×3, first 2 shown]
	v_mfma_f32_16x16x16_bf16 v[56:59], v[4:5], v[34:35], 0
	v_perm_b32 v4, v69, v68, s5
	v_perm_b32 v5, v71, v70, s5
	v_cvt_pk_f32_fp8_e32 v[34:35], v29
	v_cvt_pk_f32_fp8_sdwa v[68:69], v29 src0_sel:WORD_1
	v_mfma_f32_16x16x16_bf16 v[26:29], v[66:67], v[36:37], v[56:59]
	s_waitcnt vmcnt(2)
	v_cvt_pk_f32_fp8_sdwa v[36:37], v18 src0_sel:WORD_1
	v_perm_b32 v34, v35, v34, s5
	v_perm_b32 v35, v69, v68, s5
	v_mfma_f32_16x16x16_bf16 v[26:29], v[4:5], v[38:39], v[26:29]
	v_cvt_pk_f32_fp8_e32 v[4:5], v18
	v_cvt_pk_f32_fp8_sdwa v[38:39], v20 src0_sel:WORD_1
	v_bfe_u32 v56, v61, 16, 1
	v_mfma_f32_16x16x16_bf16 v[26:29], v[34:35], v[40:41], v[26:29]
	v_cvt_pk_f32_fp8_e32 v[34:35], v19
	v_perm_b32 v4, v5, v4, s5
	v_perm_b32 v5, v37, v36, s5
	v_cvt_pk_f32_fp8_sdwa v[18:19], v19 src0_sel:WORD_1
	v_perm_b32 v34, v35, v34, s5
	v_cvt_pk_f32_fp8_e32 v[36:37], v20
	v_mfma_f32_16x16x16_bf16 v[26:29], v[4:5], v[30:31], v[26:29]
	v_perm_b32 v35, v19, v18, s5
	v_perm_b32 v4, v37, v36, s5
	;; [unrolled: 1-line block ×3, first 2 shown]
	v_cvt_pk_f32_fp8_e32 v[30:31], v21
	v_cvt_pk_f32_fp8_sdwa v[36:37], v21 src0_sel:WORD_1
	v_mfma_f32_16x16x16_bf16 v[18:21], v[34:35], v[32:33], v[26:29]
	v_bfe_u32 v57, v60, 16, 1
	v_add3_u32 v32, v60, v57, s8
	v_add3_u32 v33, v61, v56, s8
	v_perm_b32 v26, v31, v30, s5
	v_perm_b32 v27, v37, v36, s5
	v_mfma_f32_16x16x16_bf16 v[18:21], v[4:5], v[42:43], v[18:21]
	s_waitcnt vmcnt(1)
	v_cvt_pk_f32_fp8_e32 v[4:5], v14
	v_cvt_pk_f32_fp8_sdwa v[28:29], v14 src0_sel:WORD_1
	v_cvt_pk_f32_fp8_sdwa v[30:31], v16 src0_sel:WORD_1
	v_mfma_f32_16x16x16_bf16 v[18:21], v[26:27], v[44:45], v[18:21]
	v_cvt_pk_f32_fp8_e32 v[26:27], v15
	v_perm_b32 v4, v5, v4, s5
	v_perm_b32 v5, v29, v28, s5
	v_cvt_pk_f32_fp8_sdwa v[14:15], v15 src0_sel:WORD_1
	v_perm_b32 v26, v27, v26, s5
	v_cvt_pk_f32_fp8_e32 v[28:29], v16
	v_mfma_f32_16x16x16_bf16 v[18:21], v[4:5], v[22:23], v[18:21]
	v_perm_b32 v27, v15, v14, s5
	v_perm_b32 v4, v29, v28, s5
	;; [unrolled: 1-line block ×3, first 2 shown]
	v_cvt_pk_f32_fp8_e32 v[22:23], v17
	v_cvt_pk_f32_fp8_sdwa v[28:29], v17 src0_sel:WORD_1
	v_mfma_f32_16x16x16_bf16 v[14:17], v[26:27], v[24:25], v[18:21]
	s_waitcnt vmcnt(0)
	v_cvt_pk_f32_fp8_sdwa v[24:25], v8 src0_sel:WORD_1
	s_nop 0
	v_perm_b32 v20, v23, v22, s5
	v_perm_b32 v21, v29, v28, s5
	v_mfma_f32_16x16x16_bf16 v[14:17], v[4:5], v[46:47], v[14:17]
	v_cvt_pk_f32_fp8_e32 v[4:5], v6
	v_cvt_pk_f32_fp8_sdwa v[22:23], v6 src0_sel:WORD_1
	v_bfe_u32 v19, v3, 16, 1
	v_mfma_f32_16x16x16_bf16 v[14:17], v[20:21], v[48:49], v[14:17]
	v_cvt_pk_f32_fp8_e32 v[20:21], v7
	v_perm_b32 v4, v5, v4, s5
	v_perm_b32 v5, v23, v22, s5
	v_cvt_pk_f32_fp8_sdwa v[6:7], v7 src0_sel:WORD_1
	v_perm_b32 v20, v21, v20, s5
	v_cvt_pk_f32_fp8_e32 v[22:23], v8
	v_add3_u32 v3, v3, v19, s8
	v_perm_b32 v21, v7, v6, s5
	v_mfma_f32_16x16x16_bf16 v[4:7], v[4:5], v[10:11], v[14:17]
	v_perm_b32 v10, v23, v22, s5
	v_perm_b32 v11, v25, v24, s5
	v_perm_b32 v18, v33, v32, s5
	v_cvt_pk_f32_fp8_e32 v[14:15], v9
	v_cvt_pk_f32_fp8_sdwa v[8:9], v9 src0_sel:WORD_1
	v_mfma_f32_16x16x16_bf16 v[4:7], v[20:21], v[12:13], v[4:7]
	v_bfe_u32 v16, v2, 16, 1
	v_perm_b32 v12, v15, v14, s5
	v_perm_b32 v13, v9, v8, s5
	v_mfma_f32_16x16x16_bf16 v[4:7], v[10:11], v[50:51], v[4:7]
	v_add3_u32 v2, v2, v16, s8
	v_perm_b32 v19, v3, v2, s5
	v_mfma_f32_16x16x16_bf16 v[2:5], v[12:13], v[52:53], v[4:7]
	s_nop 6
	v_pk_mul_f32 v[2:3], v[2:3], s[4:5] op_sel_hi:[1,0]
	v_pk_mul_f32 v[4:5], v[4:5], s[4:5] op_sel_hi:[1,0]
	v_bfe_u32 v6, v3, 16, 1
	v_bfe_u32 v7, v2, 16, 1
	v_add3_u32 v2, v2, v7, s8
	v_add3_u32 v3, v3, v6, s8
	v_perm_b32 v2, v3, v2, s5
	v_bfe_u32 v3, v5, 16, 1
	v_bfe_u32 v6, v4, 16, 1
	v_add3_u32 v4, v4, v6, s8
	v_add3_u32 v3, v5, v3, s8
	v_perm_b32 v3, v3, v4, s5
	v_cmp_gt_u32_e64 s[4:5], 32, v64
	s_and_b64 s[4:5], vcc, s[4:5]
	ds_write2st64_b64 v55, v[18:19], v[2:3] offset1:1
	s_waitcnt lgkmcnt(0)
	s_barrier
	s_and_saveexec_b64 s[8:9], s[4:5]
	s_cbranch_execz .LBB1285_17
; %bb.16:
	s_load_dwordx2 s[0:1], s[0:1], 0x68
	s_mul_i32 s2, s7, s2
	s_lshl_b32 s6, s6, 7
	v_lshlrev_b32_e32 v4, 6, v62
	s_mul_hi_u32 s5, s2, s6
	s_mul_i32 s4, s2, s6
	v_lshl_or_b32 v0, v0, 10, v4
	s_lshl_b64 s[4:5], s[4:5], 1
	v_lshlrev_b32_e32 v2, 5, v1
	v_and_b32_e32 v3, 16, v63
	v_and_b32_e32 v0, 0x1a00, v0
	s_waitcnt lgkmcnt(0)
	s_add_u32 s4, s0, s4
	v_or3_b32 v0, v0, v2, v3
	s_addc_u32 s5, s1, s5
	s_lshl_b32 s2, s22, 7
	ds_read_b128 v[2:5], v0
	s_lshl_b64 s[0:1], s[2:3], 1
	s_add_u32 s0, s4, s0
	v_or_b32_e32 v0, s23, v1
	s_addc_u32 s1, s5, s1
	v_mad_u64_u32 v[0:1], s[2:3], s6, v0, 0
	v_lshl_add_u64 v[0:1], v[0:1], 1, s[0:1]
	v_mov_b32_e32 v55, 0
	v_lshl_add_u64 v[0:1], v[0:1], 0, v[54:55]
	s_waitcnt lgkmcnt(0)
	global_store_dwordx4 v[0:1], v[2:5], off
.LBB1285_17:
	s_endpgm
	.section	.rodata,"a",@progbits
	.p2align	6, 0x0
	.amdhsa_kernel _Z39paged_attention_ll4mi_QKV_mfma16_kernelI14__hip_bfloat16hLN4vllm18Fp8KVCacheDataTypeE1EhLi16ELi128ELi256ELb0ELi2EEvPKT_PKT0_S8_ifPKiSA_SA_iPKfiiiPfSD_PS3_PT2_iSC_SC_
		.amdhsa_group_segment_fixed_size 8192
		.amdhsa_private_segment_fixed_size 0
		.amdhsa_kernarg_size 400
		.amdhsa_user_sgpr_count 2
		.amdhsa_user_sgpr_dispatch_ptr 0
		.amdhsa_user_sgpr_queue_ptr 0
		.amdhsa_user_sgpr_kernarg_segment_ptr 1
		.amdhsa_user_sgpr_dispatch_id 0
		.amdhsa_user_sgpr_kernarg_preload_length 0
		.amdhsa_user_sgpr_kernarg_preload_offset 0
		.amdhsa_user_sgpr_private_segment_size 0
		.amdhsa_uses_dynamic_stack 0
		.amdhsa_enable_private_segment 0
		.amdhsa_system_sgpr_workgroup_id_x 1
		.amdhsa_system_sgpr_workgroup_id_y 1
		.amdhsa_system_sgpr_workgroup_id_z 1
		.amdhsa_system_sgpr_workgroup_info 0
		.amdhsa_system_vgpr_workitem_id 0
		.amdhsa_next_free_vgpr 90
		.amdhsa_next_free_sgpr 48
		.amdhsa_accum_offset 92
		.amdhsa_reserve_vcc 1
		.amdhsa_float_round_mode_32 0
		.amdhsa_float_round_mode_16_64 0
		.amdhsa_float_denorm_mode_32 3
		.amdhsa_float_denorm_mode_16_64 3
		.amdhsa_dx10_clamp 1
		.amdhsa_ieee_mode 1
		.amdhsa_fp16_overflow 0
		.amdhsa_tg_split 0
		.amdhsa_exception_fp_ieee_invalid_op 0
		.amdhsa_exception_fp_denorm_src 0
		.amdhsa_exception_fp_ieee_div_zero 0
		.amdhsa_exception_fp_ieee_overflow 0
		.amdhsa_exception_fp_ieee_underflow 0
		.amdhsa_exception_fp_ieee_inexact 0
		.amdhsa_exception_int_div_zero 0
	.end_amdhsa_kernel
	.section	.text._Z39paged_attention_ll4mi_QKV_mfma16_kernelI14__hip_bfloat16hLN4vllm18Fp8KVCacheDataTypeE1EhLi16ELi128ELi256ELb0ELi2EEvPKT_PKT0_S8_ifPKiSA_SA_iPKfiiiPfSD_PS3_PT2_iSC_SC_,"axG",@progbits,_Z39paged_attention_ll4mi_QKV_mfma16_kernelI14__hip_bfloat16hLN4vllm18Fp8KVCacheDataTypeE1EhLi16ELi128ELi256ELb0ELi2EEvPKT_PKT0_S8_ifPKiSA_SA_iPKfiiiPfSD_PS3_PT2_iSC_SC_,comdat
.Lfunc_end1285:
	.size	_Z39paged_attention_ll4mi_QKV_mfma16_kernelI14__hip_bfloat16hLN4vllm18Fp8KVCacheDataTypeE1EhLi16ELi128ELi256ELb0ELi2EEvPKT_PKT0_S8_ifPKiSA_SA_iPKfiiiPfSD_PS3_PT2_iSC_SC_, .Lfunc_end1285-_Z39paged_attention_ll4mi_QKV_mfma16_kernelI14__hip_bfloat16hLN4vllm18Fp8KVCacheDataTypeE1EhLi16ELi128ELi256ELb0ELi2EEvPKT_PKT0_S8_ifPKiSA_SA_iPKfiiiPfSD_PS3_PT2_iSC_SC_
                                        ; -- End function
	.section	.AMDGPU.csdata,"",@progbits
; Kernel info:
; codeLenInByte = 6236
; NumSgprs: 54
; NumVgprs: 90
; NumAgprs: 0
; TotalNumVgprs: 90
; ScratchSize: 0
; MemoryBound: 0
; FloatMode: 240
; IeeeMode: 1
; LDSByteSize: 8192 bytes/workgroup (compile time only)
; SGPRBlocks: 6
; VGPRBlocks: 11
; NumSGPRsForWavesPerEU: 54
; NumVGPRsForWavesPerEU: 90
; AccumOffset: 92
; Occupancy: 5
; WaveLimiterHint : 1
; COMPUTE_PGM_RSRC2:SCRATCH_EN: 0
; COMPUTE_PGM_RSRC2:USER_SGPR: 2
; COMPUTE_PGM_RSRC2:TRAP_HANDLER: 0
; COMPUTE_PGM_RSRC2:TGID_X_EN: 1
; COMPUTE_PGM_RSRC2:TGID_Y_EN: 1
; COMPUTE_PGM_RSRC2:TGID_Z_EN: 1
; COMPUTE_PGM_RSRC2:TIDIG_COMP_CNT: 0
; COMPUTE_PGM_RSRC3_GFX90A:ACCUM_OFFSET: 22
; COMPUTE_PGM_RSRC3_GFX90A:TG_SPLIT: 0
	.section	.text._Z39paged_attention_ll4mi_QKV_mfma16_kernelI14__hip_bfloat16hLN4vllm18Fp8KVCacheDataTypeE1EhLi16ELi128ELi256ELb0ELi3EEvPKT_PKT0_S8_ifPKiSA_SA_iPKfiiiPfSD_PS3_PT2_iSC_SC_,"axG",@progbits,_Z39paged_attention_ll4mi_QKV_mfma16_kernelI14__hip_bfloat16hLN4vllm18Fp8KVCacheDataTypeE1EhLi16ELi128ELi256ELb0ELi3EEvPKT_PKT0_S8_ifPKiSA_SA_iPKfiiiPfSD_PS3_PT2_iSC_SC_,comdat
	.protected	_Z39paged_attention_ll4mi_QKV_mfma16_kernelI14__hip_bfloat16hLN4vllm18Fp8KVCacheDataTypeE1EhLi16ELi128ELi256ELb0ELi3EEvPKT_PKT0_S8_ifPKiSA_SA_iPKfiiiPfSD_PS3_PT2_iSC_SC_ ; -- Begin function _Z39paged_attention_ll4mi_QKV_mfma16_kernelI14__hip_bfloat16hLN4vllm18Fp8KVCacheDataTypeE1EhLi16ELi128ELi256ELb0ELi3EEvPKT_PKT0_S8_ifPKiSA_SA_iPKfiiiPfSD_PS3_PT2_iSC_SC_
	.globl	_Z39paged_attention_ll4mi_QKV_mfma16_kernelI14__hip_bfloat16hLN4vllm18Fp8KVCacheDataTypeE1EhLi16ELi128ELi256ELb0ELi3EEvPKT_PKT0_S8_ifPKiSA_SA_iPKfiiiPfSD_PS3_PT2_iSC_SC_
	.p2align	8
	.type	_Z39paged_attention_ll4mi_QKV_mfma16_kernelI14__hip_bfloat16hLN4vllm18Fp8KVCacheDataTypeE1EhLi16ELi128ELi256ELb0ELi3EEvPKT_PKT0_S8_ifPKiSA_SA_iPKfiiiPfSD_PS3_PT2_iSC_SC_,@function
_Z39paged_attention_ll4mi_QKV_mfma16_kernelI14__hip_bfloat16hLN4vllm18Fp8KVCacheDataTypeE1EhLi16ELi128ELi256ELb0ELi3EEvPKT_PKT0_S8_ifPKiSA_SA_iPKfiiiPfSD_PS3_PT2_iSC_SC_: ; @_Z39paged_attention_ll4mi_QKV_mfma16_kernelI14__hip_bfloat16hLN4vllm18Fp8KVCacheDataTypeE1EhLi16ELi128ELi256ELb0ELi3EEvPKT_PKT0_S8_ifPKiSA_SA_iPKfiiiPfSD_PS3_PT2_iSC_SC_
; %bb.0:
	s_load_dwordx2 s[12:13], s[0:1], 0x30
	s_mov_b32 s24, s3
	s_mov_b64 s[6:7], 0
	s_waitcnt lgkmcnt(0)
	s_cmp_lg_u64 s[12:13], 0
	s_cselect_b64 s[14:15], -1, 0
	s_and_b64 vcc, exec, s[14:15]
	s_cbranch_vccz .LBB1286_7
; %bb.1:
	s_add_i32 s8, s2, 1
	s_mov_b32 s9, 0
	s_lshl_b64 s[10:11], s[8:9], 2
	s_add_u32 s10, s12, s10
	s_mov_b32 s3, s9
	s_addc_u32 s11, s13, s11
	s_lshl_b64 s[8:9], s[2:3], 2
	s_add_u32 s8, s12, s8
	s_addc_u32 s9, s13, s9
	s_load_dword s5, s[10:11], 0x0
	s_load_dword s16, s[8:9], 0x0
	s_waitcnt lgkmcnt(0)
	s_sub_i32 s5, s5, s16
	s_cmp_eq_u32 s5, 1
	s_cselect_b64 s[8:9], -1, 0
	s_andn2_b64 vcc, exec, s[6:7]
	s_cbranch_vccnz .LBB1286_3
.LBB1286_2:
	s_mov_b32 s3, 0
	s_mov_b64 s[8:9], -1
.LBB1286_3:
	s_andn2_b64 vcc, exec, s[8:9]
	s_cbranch_vccnz .LBB1286_17
; %bb.4:
	s_load_dwordx2 s[6:7], s[0:1], 0x28
	s_lshl_b64 s[16:17], s[2:3], 2
	s_waitcnt lgkmcnt(0)
	s_add_u32 s6, s6, s16
	s_addc_u32 s7, s7, s17
	s_load_dword s33, s[6:7], 0x0
	s_lshl_b32 s18, s24, 8
	s_waitcnt lgkmcnt(0)
	s_cmp_ge_i32 s18, s33
	s_cbranch_scc1 .LBB1286_17
; %bb.5:
	s_load_dwordx2 s[6:7], s[0:1], 0x20
	s_load_dword s8, s[0:1], 0x38
	s_add_i32 s5, s33, 15
	s_ashr_i32 s9, s5, 31
	v_and_b32_e32 v1, 0xcf, v0
	s_lshr_b32 s9, s9, 28
	v_add_u32_e32 v1, s18, v1
	s_add_i32 s5, s5, s9
	v_ashrrev_i32_e32 v2, 31, v1
	s_ashr_i32 s5, s5, 4
	v_lshrrev_b32_e32 v10, 28, v2
	s_add_i32 s5, s5, -1
	s_waitcnt lgkmcnt(0)
	s_mul_i32 s8, s2, s8
	s_mov_b32 s9, 0
	v_add_u32_e32 v2, v1, v10
	s_lshl_b64 s[8:9], s[8:9], 2
	v_ashrrev_i32_e32 v2, 4, v2
	v_mov_b32_e32 v11, s5
	v_cmp_gt_i32_e32 vcc, s33, v1
	s_add_u32 s6, s6, s8
	s_addc_u32 s7, s7, s9
	v_cndmask_b32_e32 v2, v11, v2, vcc
	v_ashrrev_i32_e32 v3, 31, v2
	v_lshl_add_u64 v[4:5], v[2:3], 2, s[6:7]
	v_or_b32_e32 v2, 16, v1
	v_add_u32_e32 v3, v2, v10
	v_ashrrev_i32_e32 v3, 4, v3
	v_cmp_gt_i32_e32 vcc, s33, v2
	s_load_dwordx4 s[8:11], s[0:1], 0x8
	s_nop 0
	v_cndmask_b32_e32 v2, v11, v3, vcc
	v_ashrrev_i32_e32 v3, 31, v2
	v_lshl_add_u64 v[6:7], v[2:3], 2, s[6:7]
	v_or_b32_e32 v2, 32, v1
	v_add_u32_e32 v3, v2, v10
	v_ashrrev_i32_e32 v3, 4, v3
	v_cmp_gt_i32_e32 vcc, s33, v2
	v_or_b32_e32 v1, 48, v1
	s_nop 0
	v_cndmask_b32_e32 v2, v11, v3, vcc
	v_ashrrev_i32_e32 v3, 31, v2
	v_lshl_add_u64 v[8:9], v[2:3], 2, s[6:7]
	v_add_u32_e32 v2, v1, v10
	v_ashrrev_i32_e32 v2, 4, v2
	v_cmp_gt_i32_e32 vcc, s33, v1
	s_nop 1
	v_cndmask_b32_e32 v2, v11, v2, vcc
	v_ashrrev_i32_e32 v3, 31, v2
	v_lshl_add_u64 v[12:13], v[2:3], 2, s[6:7]
	global_load_dword v3, v[4:5], off
	global_load_dword v2, v[6:7], off
	;; [unrolled: 1-line block ×4, first 2 shown]
	s_andn2_b64 vcc, exec, s[14:15]
	s_cbranch_vccnz .LBB1286_8
; %bb.6:
	s_add_u32 s12, s12, s16
	s_addc_u32 s13, s13, s17
	s_load_dword s14, s[12:13], 0x0
	s_branch .LBB1286_9
.LBB1286_7:
	s_mov_b64 s[8:9], 0
	s_branch .LBB1286_2
.LBB1286_8:
	s_mov_b32 s14, s2
.LBB1286_9:
	s_load_dwordx4 s[44:47], s[0:1], 0x48
	v_lshrrev_b32_e32 v61, 6, v0
	v_bfe_u32 v64, v0, 4, 2
	v_and_b32_e32 v60, 15, v0
	s_mul_i32 s48, s4, 3
	v_lshl_or_b32 v4, v61, 2, v64
	v_lshlrev_b32_e32 v5, 3, v60
	v_and_b32_e32 v66, 63, v0
	v_add_u32_e32 v1, s48, v64
	v_cmp_gt_u32_e32 vcc, 3, v4
	v_lshlrev_b32_e32 v58, 1, v5
	v_lshlrev_b32_e32 v65, 4, v0
	s_and_saveexec_b64 s[12:13], vcc
	s_cbranch_execz .LBB1286_11
; %bb.10:
	s_load_dwordx2 s[16:17], s[0:1], 0x0
	s_waitcnt lgkmcnt(0)
	s_ashr_i32 s15, s44, 31
	s_mul_hi_u32 s19, s14, s44
	s_mul_i32 s15, s14, s15
	s_add_i32 s15, s19, s15
	s_mul_i32 s14, s14, s44
	s_lshl_b64 s[14:15], s[14:15], 1
	s_add_u32 s14, s16, s14
	v_lshlrev_b32_e32 v6, 7, v1
	s_addc_u32 s15, s17, s15
	v_ashrrev_i32_e32 v7, 31, v6
	v_lshl_add_u64 v[6:7], v[6:7], 1, s[14:15]
	v_mov_b32_e32 v59, 0
	v_lshl_add_u64 v[6:7], v[6:7], 0, v[58:59]
	global_load_dwordx4 v[6:9], v[6:7], off
	v_lshlrev_b32_e32 v12, 8, v0
	v_lshlrev_b32_e32 v5, 8, v60
	v_and_b32_e32 v12, 0x600, v12
	s_movk_i32 s14, 0x800
	v_and_or_b32 v5, v5, s14, v12
	v_lshlrev_b32_e32 v4, 5, v4
	v_and_b32_e32 v12, 16, v65
	v_or3_b32 v4, v5, v4, v12
	s_waitcnt vmcnt(0)
	ds_write_b128 v4, v[6:9]
.LBB1286_11:
	s_or_b64 exec, exec, s[12:13]
	s_waitcnt lgkmcnt(0)
	s_mul_i32 s4, s4, s46
	s_add_u32 s8, s8, s4
	s_addc_u32 s9, s9, 0
	v_and_b32_e32 v62, 0xf0, v65
	v_mov_b32_e32 v63, 0
	v_and_b32_e32 v12, 48, v0
	v_lshl_add_u64 v[6:7], s[8:9], 0, v[62:63]
	v_lshlrev_b32_e32 v62, 4, v12
	s_waitcnt vmcnt(3)
	v_mad_i64_i32 v[4:5], s[8:9], v3, s45, v[6:7]
	v_lshl_add_u64 v[4:5], v[4:5], 0, v[62:63]
	s_load_dword s25, s[0:1], 0x98
	s_load_dwordx4 s[40:43], s[0:1], 0x80
	s_waitcnt lgkmcnt(0)
	s_barrier
	global_load_dwordx4 v[22:25], v[4:5], off
	global_load_dwordx4 v[14:17], v[4:5], off offset:1024
	s_waitcnt vmcnt(4)
	v_mad_i64_i32 v[2:3], s[12:13], v2, s45, v[6:7]
	v_lshl_add_u64 v[8:9], v[2:3], 0, v[62:63]
	global_load_dwordx4 v[2:5], v[8:9], off
	v_mul_lo_u16_e32 v13, 0x56, v60
	v_mov_b32_e32 v18, 3
	v_or_b32_e32 v12, s18, v12
	v_mov_b32_e32 v20, s5
	v_mul_lo_u16_sdwa v13, v13, v18 dst_sel:DWORD dst_unused:UNUSED_PAD src0_sel:BYTE_1 src1_sel:DWORD
	v_ashrrev_i32_e32 v18, 4, v12
	v_or_b32_e32 v21, 64, v12
	v_cmp_gt_i32_e32 vcc, s33, v12
	v_mov_b32_e32 v19, 5
	v_sub_u16_e32 v13, v60, v13
	v_or_b32_e32 v26, 0x80, v12
	v_or_b32_e32 v27, 0xc0, v12
	v_cndmask_b32_e32 v38, v20, v18, vcc
	v_ashrrev_i32_e32 v12, 4, v21
	v_cmp_gt_i32_e32 vcc, s33, v21
	v_lshlrev_b32_sdwa v13, v19, v13 dst_sel:DWORD dst_unused:UNUSED_PAD src0_sel:DWORD src1_sel:BYTE_0
	v_ashrrev_i32_e32 v18, 4, v26
	v_cndmask_b32_e32 v42, v20, v12, vcc
	v_cmp_gt_i32_e32 vcc, s33, v26
	v_ashrrev_i32_e32 v19, 4, v27
	v_lshl_add_u32 v36, v64, 9, v13
	v_cndmask_b32_e32 v44, v20, v18, vcc
	v_cmp_gt_i32_e32 vcc, s33, v27
	s_waitcnt vmcnt(4)
	v_mad_i64_i32 v[34:35], s[12:13], v10, s45, v[6:7]
	v_cndmask_b32_e32 v46, v20, v19, vcc
	ds_read_b128 v[26:29], v36
	ds_read_b128 v[18:21], v36 offset:16
	global_load_dwordx4 v[30:33], v[8:9], off offset:1024
	s_waitcnt vmcnt(4)
	v_mad_i64_i32 v[40:41], s[12:13], v11, s45, v[6:7]
	v_ashrrev_i32_e32 v39, 31, v38
	ds_read_b128 v[10:13], v36 offset:2048
	ds_read_b128 v[6:9], v36 offset:2064
	v_lshl_add_u64 v[36:37], v[34:35], 0, v[62:63]
	v_lshl_add_u64 v[34:35], v[40:41], 0, v[62:63]
	v_ashrrev_i32_e32 v43, 31, v42
	v_ashrrev_i32_e32 v45, 31, v44
	;; [unrolled: 1-line block ×3, first 2 shown]
	v_lshl_add_u64 v[50:51], v[38:39], 2, s[6:7]
	v_lshl_add_u64 v[52:53], v[42:43], 2, s[6:7]
	;; [unrolled: 1-line block ×4, first 2 shown]
	global_load_dwordx4 v[46:49], v[36:37], off
	global_load_dwordx4 v[42:45], v[36:37], off offset:1024
	global_load_dwordx4 v[38:41], v[34:35], off
	s_nop 0
	global_load_dwordx4 v[34:37], v[34:35], off offset:1024
	s_nop 0
	global_load_dword v70, v[50:51], off
	global_load_dword v69, v[52:53], off
	;; [unrolled: 1-line block ×4, first 2 shown]
	s_mov_b32 s44, 0x7060302
	s_add_u32 s4, s10, s4
	v_lshl_or_b32 v59, v61, 4, v60
	s_addc_u32 s5, s11, 0
	v_lshlrev_b32_e32 v62, 4, v59
	s_load_dword s8, s[0:1], 0x1c
	s_waitcnt vmcnt(11)
	v_cvt_pk_f32_fp8_e32 v[50:51], v22
	v_cvt_pk_f32_fp8_sdwa v[52:53], v22 src0_sel:WORD_1
	v_cvt_pk_f32_fp8_e32 v[54:55], v23
	v_cvt_pk_f32_fp8_sdwa v[22:23], v23 src0_sel:WORD_1
	s_waitcnt vmcnt(10)
	v_cvt_pk_f32_fp8_e32 v[78:79], v14
	v_cvt_pk_f32_fp8_sdwa v[80:81], v14 src0_sel:WORD_1
	v_cvt_pk_f32_fp8_e32 v[82:83], v15
	v_cvt_pk_f32_fp8_sdwa v[84:85], v15 src0_sel:WORD_1
	v_perm_b32 v14, v51, v50, s44
	v_perm_b32 v15, v53, v52, s44
	v_cvt_pk_f32_fp8_e32 v[56:57], v24
	v_cvt_pk_f32_fp8_sdwa v[72:73], v24 src0_sel:WORD_1
	v_perm_b32 v54, v55, v54, s44
	v_perm_b32 v55, v23, v22, s44
	v_cvt_pk_f32_fp8_e32 v[74:75], v25
	v_cvt_pk_f32_fp8_sdwa v[76:77], v25 src0_sel:WORD_1
	s_waitcnt lgkmcnt(0)
	v_mfma_f32_16x16x16_bf16 v[22:25], v[14:15], v[26:27], 0
	v_perm_b32 v14, v57, v56, s44
	v_perm_b32 v15, v73, v72, s44
	;; [unrolled: 1-line block ×3, first 2 shown]
	v_mfma_f32_16x16x16_bf16 v[22:25], v[54:55], v[28:29], v[22:25]
	v_perm_b32 v57, v77, v76, s44
	v_cvt_pk_f32_fp8_e32 v[50:51], v16
	v_cvt_pk_f32_fp8_sdwa v[52:53], v16 src0_sel:WORD_1
	v_cvt_pk_f32_fp8_e32 v[86:87], v17
	v_cvt_pk_f32_fp8_sdwa v[54:55], v17 src0_sel:WORD_1
	v_mfma_f32_16x16x16_bf16 v[14:17], v[14:15], v[18:19], v[22:25]
	v_perm_b32 v72, v83, v82, s44
	v_perm_b32 v73, v85, v84, s44
	;; [unrolled: 1-line block ×5, first 2 shown]
	v_mfma_f32_16x16x16_bf16 v[14:17], v[56:57], v[20:21], v[14:17]
	s_waitcnt vmcnt(9)
	v_cvt_pk_f32_fp8_e32 v[22:23], v2
	v_cvt_pk_f32_fp8_sdwa v[56:57], v2 src0_sel:WORD_1
	v_perm_b32 v51, v53, v52, s44
	v_mfma_f32_16x16x16_bf16 v[14:17], v[24:25], v[10:11], v[14:17]
	v_cvt_pk_f32_fp8_e32 v[24:25], v3
	v_cvt_pk_f32_fp8_sdwa v[2:3], v3 src0_sel:WORD_1
	v_perm_b32 v52, v87, v86, s44
	v_mfma_f32_16x16x16_bf16 v[14:17], v[72:73], v[12:13], v[14:17]
	v_perm_b32 v53, v55, v54, s44
	v_perm_b32 v22, v23, v22, s44
	v_perm_b32 v23, v57, v56, s44
	v_mfma_f32_16x16x16_bf16 v[14:17], v[50:51], v[6:7], v[14:17]
	v_cvt_pk_f32_fp8_e32 v[54:55], v4
	v_perm_b32 v24, v25, v24, s44
	v_cvt_pk_f32_fp8_sdwa v[56:57], v4 src0_sel:WORD_1
	v_perm_b32 v25, v3, v2, s44
	v_mfma_f32_16x16x16_bf16 v[50:53], v[52:53], v[8:9], v[14:17]
	s_waitcnt vmcnt(7)
	v_cvt_pk_f32_fp8_e32 v[74:75], v49
	v_lshl_add_u64 v[72:73], s[4:5], 0, v[62:63]
	s_waitcnt vmcnt(6)
	v_cvt_pk_f32_fp8_sdwa v[78:79], v44 src0_sel:WORD_1
	v_mfma_f32_16x16x16_bf16 v[14:17], v[22:23], v[26:27], 0
	v_perm_b32 v22, v55, v54, s44
	v_perm_b32 v23, v57, v56, s44
	v_cvt_pk_f32_fp8_e32 v[54:55], v5
	v_cvt_pk_f32_fp8_sdwa v[56:57], v5 src0_sel:WORD_1
	v_mfma_f32_16x16x16_bf16 v[2:5], v[24:25], v[28:29], v[14:17]
	v_cvt_pk_f32_fp8_e32 v[24:25], v32
	v_or_b32_e32 v62, 0x400, v62
	s_nop 0
	v_perm_b32 v14, v55, v54, s44
	v_perm_b32 v15, v57, v56, s44
	v_mfma_f32_16x16x16_bf16 v[2:5], v[22:23], v[18:19], v[2:5]
	v_cvt_pk_f32_fp8_e32 v[16:17], v30
	v_cvt_pk_f32_fp8_sdwa v[22:23], v30 src0_sel:WORD_1
	v_perm_b32 v16, v17, v16, s44
	v_mfma_f32_16x16x16_bf16 v[2:5], v[14:15], v[20:21], v[2:5]
	v_cvt_pk_f32_fp8_e32 v[14:15], v31
	v_perm_b32 v17, v23, v22, s44
	v_cvt_pk_f32_fp8_sdwa v[22:23], v31 src0_sel:WORD_1
	v_cvt_pk_f32_fp8_sdwa v[30:31], v32 src0_sel:WORD_1
	v_perm_b32 v14, v15, v14, s44
	v_mfma_f32_16x16x16_bf16 v[2:5], v[16:17], v[10:11], v[2:5]
	v_perm_b32 v15, v23, v22, s44
	v_perm_b32 v16, v25, v24, s44
	;; [unrolled: 1-line block ×3, first 2 shown]
	v_cvt_pk_f32_fp8_e32 v[22:23], v33
	v_cvt_pk_f32_fp8_sdwa v[24:25], v33 src0_sel:WORD_1
	v_mfma_f32_16x16x16_bf16 v[2:5], v[14:15], v[12:13], v[2:5]
	v_perm_b32 v14, v23, v22, s44
	v_perm_b32 v15, v25, v24, s44
	v_mfma_f32_16x16x16_bf16 v[2:5], v[16:17], v[6:7], v[2:5]
	v_cvt_pk_f32_fp8_e32 v[16:17], v46
	v_cvt_pk_f32_fp8_sdwa v[22:23], v46 src0_sel:WORD_1
	v_cvt_pk_f32_fp8_sdwa v[24:25], v48 src0_sel:WORD_1
	v_mfma_f32_16x16x16_bf16 v[54:57], v[14:15], v[8:9], v[2:5]
	v_cvt_pk_f32_fp8_sdwa v[14:15], v47 src0_sel:WORD_1
	s_nop 1
	v_perm_b32 v2, v17, v16, s44
	v_perm_b32 v3, v23, v22, s44
	v_cvt_pk_f32_fp8_e32 v[4:5], v47
	v_perm_b32 v23, v15, v14, s44
	v_cvt_pk_f32_fp8_e32 v[14:15], v48
	v_cvt_pk_f32_fp8_sdwa v[48:49], v49 src0_sel:WORD_1
	v_perm_b32 v22, v5, v4, s44
	v_mfma_f32_16x16x16_bf16 v[2:5], v[2:3], v[26:27], 0
	v_perm_b32 v14, v15, v14, s44
	v_perm_b32 v15, v25, v24, s44
	s_waitcnt vmcnt(3)
	v_mad_i64_i32 v[16:17], s[6:7], v70, s45, v[72:73]
	v_mfma_f32_16x16x16_bf16 v[2:5], v[22:23], v[28:29], v[2:5]
	s_waitcnt vmcnt(2)
	v_mad_i64_i32 v[46:47], s[6:7], v69, s45, v[72:73]
	global_load_dwordx4 v[30:33], v[16:17], off
	global_load_dwordx4 v[22:25], v[46:47], off
	v_perm_b32 v16, v75, v74, s44
	v_perm_b32 v17, v49, v48, s44
	v_mfma_f32_16x16x16_bf16 v[2:5], v[14:15], v[18:19], v[2:5]
	v_cvt_pk_f32_fp8_e32 v[14:15], v42
	v_cvt_pk_f32_fp8_sdwa v[46:47], v42 src0_sel:WORD_1
	s_waitcnt vmcnt(3)
	v_mad_i64_i32 v[74:75], s[6:7], v68, s45, v[72:73]
	v_mfma_f32_16x16x16_bf16 v[2:5], v[16:17], v[20:21], v[2:5]
	v_perm_b32 v14, v15, v14, s44
	v_perm_b32 v15, v47, v46, s44
	v_cvt_pk_f32_fp8_e32 v[16:17], v43
	v_cvt_pk_f32_fp8_sdwa v[42:43], v43 src0_sel:WORD_1
	v_mfma_f32_16x16x16_bf16 v[46:49], v[14:15], v[10:11], v[2:5]
	v_perm_b32 v76, v17, v16, s44
	v_perm_b32 v77, v43, v42, s44
	v_cvt_pk_f32_fp8_e32 v[42:43], v44
	s_waitcnt vmcnt(2)
	v_mad_i64_i32 v[72:73], s[6:7], v67, s45, v[72:73]
	global_load_dwordx4 v[14:17], v[74:75], off
	global_load_dwordx4 v[2:5], v[72:73], off
	v_perm_b32 v72, v43, v42, s44
	v_perm_b32 v73, v79, v78, s44
	v_cvt_pk_f32_fp8_e32 v[74:75], v45
	v_cvt_pk_f32_fp8_sdwa v[78:79], v45 src0_sel:WORD_1
	v_mfma_f32_16x16x16_bf16 v[44:47], v[76:77], v[12:13], v[46:49]
	v_lshl_add_u64 v[42:43], s[4:5], 0, v[62:63]
	v_cvt_pk_f32_fp8_e32 v[62:63], v38
	s_load_dword s4, s[40:41], 0x0
	v_perm_b32 v48, v75, v74, s44
	v_perm_b32 v49, v79, v78, s44
	v_mfma_f32_16x16x16_bf16 v[44:47], v[72:73], v[6:7], v[44:47]
	v_cvt_pk_f32_fp8_sdwa v[72:73], v38 src0_sel:WORD_1
	v_perm_b32 v62, v63, v62, s44
	v_cvt_pk_f32_fp8_e32 v[76:77], v40
	v_mfma_f32_16x16x16_bf16 v[46:49], v[48:49], v[8:9], v[44:47]
	v_perm_b32 v63, v73, v72, s44
	v_cvt_pk_f32_fp8_sdwa v[78:79], v40 src0_sel:WORD_1
	s_mov_b32 s40, 0xff7fffff
	v_cvt_pk_f32_fp8_e32 v[44:45], v39
	v_cvt_pk_f32_fp8_sdwa v[38:39], v39 src0_sel:WORD_1
	v_mfma_f32_16x16x16_bf16 v[72:75], v[62:63], v[26:27], 0
	v_cvt_pk_f32_fp8_e32 v[62:63], v41
	v_perm_b32 v44, v45, v44, s44
	v_perm_b32 v45, v39, v38, s44
	;; [unrolled: 1-line block ×4, first 2 shown]
	v_cvt_pk_f32_fp8_sdwa v[40:41], v41 src0_sel:WORD_1
	v_mov_b32_e32 v26, s8
	s_waitcnt lgkmcnt(0)
	v_mul_f32_e32 v76, s4, v26
	v_mfma_f32_16x16x16_bf16 v[26:29], v[44:45], v[28:29], v[72:75]
	v_pk_mul_f32 v[44:45], v[76:77], v[52:53] op_sel_hi:[0,1]
	v_perm_b32 v52, v63, v62, s44
	v_perm_b32 v53, v41, v40, s44
	v_mfma_f32_16x16x16_bf16 v[26:29], v[38:39], v[18:19], v[26:29]
	v_cvt_pk_f32_fp8_e32 v[18:19], v34
	v_cvt_pk_f32_fp8_sdwa v[38:39], v34 src0_sel:WORD_1
	v_pk_mul_f32 v[50:51], v[76:77], v[50:51] op_sel_hi:[0,1]
	v_mfma_f32_16x16x16_bf16 v[26:29], v[52:53], v[20:21], v[26:29]
	v_perm_b32 v20, v19, v18, s44
	v_perm_b32 v21, v39, v38, s44
	v_cvt_pk_f32_fp8_e32 v[38:39], v35
	v_cvt_pk_f32_fp8_sdwa v[34:35], v35 src0_sel:WORD_1
	v_mfma_f32_16x16x16_bf16 v[26:29], v[20:21], v[10:11], v[26:29]
	v_perm_b32 v38, v39, v38, s44
	v_perm_b32 v39, v35, v34, s44
	v_cvt_pk_f32_fp8_e32 v[10:11], v36
	v_cvt_pk_f32_fp8_sdwa v[20:21], v36 src0_sel:WORD_1
	v_pk_mul_f32 v[52:53], v[76:77], v[54:55] op_sel_hi:[0,1]
	v_pk_mul_f32 v[34:35], v[76:77], v[56:57] op_sel_hi:[0,1]
	v_perm_b32 v40, v11, v10, s44
	v_perm_b32 v41, v21, v20, s44
	v_cvt_pk_f32_fp8_e32 v[20:21], v37
	v_cvt_pk_f32_fp8_sdwa v[36:37], v37 src0_sel:WORD_1
	v_mfma_f32_16x16x16_bf16 v[10:13], v[38:39], v[12:13], v[26:29]
	v_pk_mul_f32 v[46:47], v[76:77], v[46:47] op_sel_hi:[0,1]
	v_perm_b32 v20, v21, v20, s44
	v_perm_b32 v21, v37, v36, s44
	v_mfma_f32_16x16x16_bf16 v[10:13], v[40:41], v[6:7], v[10:13]
	v_pk_mul_f32 v[40:41], v[76:77], v[48:49] op_sel_hi:[0,1]
	v_mad_i64_i32 v[18:19], s[4:5], v70, s45, v[42:43]
	v_mfma_f32_16x16x16_bf16 v[6:9], v[20:21], v[8:9], v[10:13]
	v_mad_i64_i32 v[62:63], s[4:5], v69, s45, v[42:43]
	global_load_dwordx4 v[26:29], v[18:19], off
	s_nop 0
	global_load_dwordx4 v[18:21], v[62:63], off
	s_nop 2
	v_pk_mul_f32 v[48:49], v[76:77], v[6:7] op_sel_hi:[0,1]
	v_and_b32_e32 v6, 0xc0, v0
	v_add_u32_e32 v6, s18, v6
	v_lshl_or_b32 v6, v64, 2, v6
	v_pk_mul_f32 v[38:39], v[76:77], v[8:9] op_sel_hi:[0,1]
	v_or_b32_e32 v9, 1, v6
	v_mov_b32_e32 v7, 0xff7fffff
	v_cmp_gt_i32_e64 s[26:27], s33, v6
	v_cmp_gt_i32_e64 s[28:29], s33, v9
	v_or_b32_e32 v10, 3, v6
	v_cndmask_b32_e64 v8, v7, v50, s[26:27]
	v_cndmask_b32_e64 v9, v7, v51, s[28:29]
	v_max3_f32 v8, v8, s40, v9
	v_or_b32_e32 v9, 2, v6
	v_cmp_gt_i32_e64 s[30:31], s33, v9
	v_cmp_gt_i32_e64 s[34:35], s33, v10
	s_nop 0
	v_cndmask_b32_e64 v9, v7, v44, s[30:31]
	v_cndmask_b32_e64 v10, v7, v45, s[34:35]
	v_max3_f32 v8, v8, v9, v10
	v_or_b32_e32 v9, 16, v6
	v_or_b32_e32 v10, 17, v6
	v_cmp_gt_i32_e64 s[18:19], s33, v9
	v_cmp_gt_i32_e64 s[20:21], s33, v10
	s_nop 0
	v_cndmask_b32_e64 v9, v7, v52, s[18:19]
	v_cndmask_b32_e64 v10, v7, v53, s[20:21]
	v_max3_f32 v8, v8, v9, v10
	v_or_b32_e32 v9, 18, v6
	;; [unrolled: 8-line block ×5, first 2 shown]
	v_or_b32_e32 v10, 49, v6
	v_cmp_gt_i32_e32 vcc, s33, v9
	v_cmp_gt_i32_e64 s[4:5], s33, v10
	s_nop 0
	v_cndmask_b32_e32 v9, v7, v48, vcc
	v_cndmask_b32_e64 v10, v7, v49, s[4:5]
	v_max3_f32 v8, v8, v9, v10
	v_or_b32_e32 v9, 50, v6
	v_or_b32_e32 v6, 51, v6
	v_cmp_gt_i32_e64 s[6:7], s33, v9
	v_cmp_gt_i32_e64 s[8:9], s33, v6
	s_nop 0
	v_cndmask_b32_e64 v9, v7, v38, s[6:7]
	v_cndmask_b32_e64 v6, v7, v39, s[8:9]
	v_max3_f32 v8, v8, v9, v6
	v_mbcnt_lo_u32_b32 v6, -1, 0
	v_mbcnt_hi_u32_b32 v9, -1, v6
	v_and_b32_e32 v6, 64, v9
	v_add_u32_e32 v10, 64, v6
	v_xor_b32_e32 v6, 32, v9
	v_cmp_lt_i32_e64 s[38:39], v6, v10
	s_nop 1
	v_cndmask_b32_e64 v6, v9, v6, s[38:39]
	v_lshlrev_b32_e32 v55, 2, v6
	ds_bpermute_b32 v11, v55, v8
	v_mad_i64_i32 v[6:7], s[38:39], v68, s45, v[42:43]
	s_waitcnt lgkmcnt(0)
	v_max_f32_e32 v11, v11, v11
	v_max_f32_e32 v36, v8, v11
	v_xor_b32_e32 v8, 16, v9
	v_cmp_lt_i32_e64 s[38:39], v8, v10
	s_nop 1
	v_cndmask_b32_e64 v8, v9, v8, s[38:39]
	v_lshlrev_b32_e32 v56, 2, v8
	v_mad_i64_i32 v[8:9], s[38:39], v67, s45, v[42:43]
	global_load_dwordx4 v[10:13], v[6:7], off
	s_nop 0
	global_load_dwordx4 v[6:9], v[8:9], off
	ds_bpermute_b32 v37, v56, v36
	s_waitcnt lgkmcnt(0)
	s_barrier
	v_max_f32_e32 v37, v37, v37
	v_max_f32_e32 v54, v36, v37
	v_sub_f32_e32 v42, v44, v54
	v_mul_f32_e32 v42, 0x3fb8aa3b, v42
	v_exp_f32_e32 v42, v42
	v_sub_f32_e32 v43, v45, v54
	v_mul_f32_e32 v43, 0x3fb8aa3b, v43
	v_exp_f32_e32 v43, v43
	v_cndmask_b32_e64 v44, 0, v42, s[30:31]
	v_sub_f32_e32 v42, v52, v54
	v_sub_f32_e32 v34, v34, v54
	v_mul_f32_e32 v42, 0x3fb8aa3b, v42
	v_mul_f32_e32 v34, 0x3fb8aa3b, v34
	v_sub_f32_e32 v36, v50, v54
	v_exp_f32_e32 v42, v42
	v_exp_f32_e32 v50, v34
	v_cndmask_b32_e64 v45, 0, v43, s[34:35]
	v_sub_f32_e32 v43, v53, v54
	v_sub_f32_e32 v34, v35, v54
	;; [unrolled: 1-line block ×4, first 2 shown]
	v_mul_f32_e32 v43, 0x3fb8aa3b, v43
	v_mul_f32_e32 v34, 0x3fb8aa3b, v34
	;; [unrolled: 1-line block ×4, first 2 shown]
	v_sub_f32_e32 v37, v51, v54
	v_exp_f32_e32 v43, v43
	v_exp_f32_e32 v51, v34
	v_cndmask_b32_e64 v34, 0, v42, s[18:19]
	v_cndmask_b32_e64 v42, 0, v50, s[22:23]
	v_exp_f32_e32 v46, v46
	v_exp_f32_e32 v50, v40
	v_mul_f32_e32 v36, 0x3fb8aa3b, v36
	v_sub_f32_e32 v47, v47, v54
	v_sub_f32_e32 v40, v41, v54
	;; [unrolled: 1-line block ×4, first 2 shown]
	v_exp_f32_e32 v36, v36
	v_mul_f32_e32 v37, 0x3fb8aa3b, v37
	v_mul_f32_e32 v47, 0x3fb8aa3b, v47
	v_mul_f32_e32 v40, 0x3fb8aa3b, v40
	v_mul_f32_e32 v48, 0x3fb8aa3b, v48
	v_mul_f32_e32 v38, 0x3fb8aa3b, v38
	v_exp_f32_e32 v37, v37
	v_cndmask_b32_e64 v35, 0, v43, s[20:21]
	v_cndmask_b32_e64 v43, 0, v51, s[36:37]
	v_exp_f32_e32 v47, v47
	v_exp_f32_e32 v51, v40
	v_cndmask_b32_e64 v40, 0, v46, s[10:11]
	v_cndmask_b32_e64 v46, 0, v50, s[14:15]
	v_exp_f32_e32 v48, v48
	v_exp_f32_e32 v50, v38
	v_sub_f32_e32 v38, v39, v54
	v_cndmask_b32_e64 v36, 0, v36, s[26:27]
	v_mul_f32_e32 v38, 0x3fb8aa3b, v38
	v_cndmask_b32_e64 v37, 0, v37, s[28:29]
	v_cndmask_b32_e64 v41, 0, v47, s[12:13]
	;; [unrolled: 1-line block ×3, first 2 shown]
	v_exp_f32_e32 v51, v38
	v_cndmask_b32_e32 v38, 0, v48, vcc
	v_cndmask_b32_e64 v48, 0, v50, s[6:7]
	v_add_f32_e32 v50, 0, v36
	v_add_f32_e32 v50, v50, v37
	;; [unrolled: 1-line block ×6, first 2 shown]
	v_sub_f32_e32 v49, v49, v54
	v_add_f32_e32 v50, v50, v42
	v_mul_f32_e32 v49, 0x3fb8aa3b, v49
	v_add_f32_e32 v50, v50, v43
	v_exp_f32_e32 v49, v49
	v_add_f32_e32 v50, v50, v40
	v_add_f32_e32 v50, v50, v41
	;; [unrolled: 1-line block ×4, first 2 shown]
	v_cndmask_b32_e64 v39, 0, v49, s[4:5]
	v_add_f32_e32 v50, v50, v38
	v_add_f32_e32 v50, v50, v39
	v_cndmask_b32_e64 v49, 0, v51, s[8:9]
	v_add_f32_e32 v50, v50, v48
	v_add_f32_e32 v50, v50, v49
	ds_bpermute_b32 v51, v55, v50
	v_cmp_gt_u32_e32 vcc, 16, v66
	s_waitcnt lgkmcnt(0)
	v_add_f32_e32 v50, v50, v51
	ds_bpermute_b32 v51, v56, v50
	s_and_saveexec_b64 s[4:5], vcc
	s_cbranch_execz .LBB1286_13
; %bb.12:
	s_waitcnt lgkmcnt(0)
	v_add_f32_e32 v50, v50, v51
	v_lshlrev_b32_e32 v51, 2, v59
	ds_write2st64_b32 v51, v54, v50 offset1:1
.LBB1286_13:
	s_or_b64 exec, exec, s[4:5]
	s_waitcnt lgkmcnt(0)
	v_lshlrev_b32_e32 v51, 2, v60
	s_load_dword s6, s[0:1], 0x94
	s_waitcnt lgkmcnt(0)
	s_barrier
	ds_read2_b32 v[52:53], v51 offset1:16
	ds_read2_b32 v[54:55], v51 offset0:32 offset1:48
	ds_read2_b32 v[56:57], v51 offset0:64 offset1:80
	s_movk_i32 s8, 0x7fff
	s_mul_i32 s7, s25, 3
	s_waitcnt lgkmcnt(2)
	v_max3_f32 v50, v52, s40, v53
	s_waitcnt lgkmcnt(1)
	v_max3_f32 v50, v50, v54, v55
	v_sub_f32_e32 v52, v52, v50
	v_mul_f32_e32 v52, 0x3fb8aa3b, v52
	v_exp_f32_e32 v59, v52
	v_sub_f32_e32 v52, v53, v50
	v_mul_f32_e32 v52, 0x3fb8aa3b, v52
	v_exp_f32_e32 v62, v52
	;; [unrolled: 3-line block ×3, first 2 shown]
	ds_read2_b32 v[52:53], v51 offset0:96 offset1:112
	v_sub_f32_e32 v51, v55, v50
	v_mul_f32_e32 v51, 0x3fb8aa3b, v51
	v_exp_f32_e32 v55, v51
	s_waitcnt lgkmcnt(1)
	v_fma_f32 v51, v59, v56, 0
	v_fmac_f32_e32 v51, v62, v57
	s_waitcnt lgkmcnt(0)
	v_fmac_f32_e32 v51, v54, v52
	v_fmac_f32_e32 v51, v55, v53
	v_add_f32_e32 v52, 0x358637bd, v51
	v_div_scale_f32 v53, s[4:5], v52, v52, 1.0
	v_rcp_f32_e32 v56, v53
	s_barrier
	v_fma_f32 v57, -v53, v56, 1.0
	v_fmac_f32_e32 v56, v57, v56
	v_div_scale_f32 v57, vcc, 1.0, v52, 1.0
	v_mul_f32_e32 v63, v57, v56
	v_fma_f32 v66, -v53, v63, v57
	v_fmac_f32_e32 v63, v66, v56
	v_fma_f32 v53, -v53, v63, v57
	v_div_fmas_f32 v53, v53, v56, v63
	v_cmp_eq_u32_e32 vcc, 1, v61
	v_div_fixup_f32 v52, v53, v52, 1.0
	s_nop 0
	v_cndmask_b32_e32 v53, v59, v62, vcc
	v_cmp_eq_u32_e32 vcc, 2, v61
	s_nop 1
	v_cndmask_b32_e32 v53, v53, v54, vcc
	v_cmp_eq_u32_e32 vcc, 3, v61
	s_nop 1
	v_cndmask_b32_e32 v53, v53, v55, vcc
	v_mul_f32_e32 v52, v53, v52
	v_pk_mul_f32 v[36:37], v[52:53], v[36:37] op_sel_hi:[0,1]
	v_pk_mul_f32 v[44:45], v[52:53], v[44:45] op_sel_hi:[0,1]
	v_bfe_u32 v53, v37, 16, 1
	v_bfe_u32 v54, v36, 16, 1
	v_add3_u32 v36, v36, v54, s8
	v_add3_u32 v37, v37, v53, s8
	v_perm_b32 v56, v37, v36, s44
	v_bfe_u32 v36, v45, 16, 1
	v_bfe_u32 v37, v44, 16, 1
	v_add3_u32 v37, v44, v37, s8
	v_add3_u32 v36, v45, v36, s8
	v_perm_b32 v57, v36, v37, s44
	v_lshlrev_b32_e32 v37, 3, v64
	v_lshlrev_b32_e32 v36, 5, v60
	;; [unrolled: 1-line block ×3, first 2 shown]
	v_pk_mul_f32 v[34:35], v[52:53], v[34:35] op_sel_hi:[0,1]
	v_or3_b32 v54, v44, v36, v37
	v_bfe_u32 v37, v35, 16, 1
	v_bfe_u32 v44, v34, 16, 1
	v_pk_mul_f32 v[42:43], v[52:53], v[42:43] op_sel_hi:[0,1]
	v_add3_u32 v34, v34, v44, s8
	v_add3_u32 v35, v35, v37, s8
	v_perm_b32 v34, v35, v34, s44
	v_bfe_u32 v35, v43, 16, 1
	v_bfe_u32 v37, v42, 16, 1
	v_add3_u32 v37, v42, v37, s8
	v_add3_u32 v35, v43, v35, s8
	v_pk_mul_f32 v[40:41], v[52:53], v[40:41] op_sel_hi:[0,1]
	v_perm_b32 v35, v35, v37, s44
	v_bfe_u32 v37, v41, 16, 1
	v_bfe_u32 v42, v40, 16, 1
	ds_write2st64_b64 v54, v[56:57], v[34:35] offset1:1
	v_pk_mul_f32 v[34:35], v[52:53], v[46:47] op_sel_hi:[0,1]
	v_add3_u32 v40, v40, v42, s8
	v_add3_u32 v37, v41, v37, s8
	v_perm_b32 v40, v37, v40, s44
	v_bfe_u32 v37, v35, 16, 1
	v_bfe_u32 v41, v34, 16, 1
	v_pk_mul_f32 v[38:39], v[52:53], v[38:39] op_sel_hi:[0,1]
	v_add3_u32 v34, v34, v41, s8
	v_add3_u32 v35, v35, v37, s8
	v_bfe_u32 v37, v39, 16, 1
	v_bfe_u32 v42, v38, 16, 1
	v_perm_b32 v41, v35, v34, s44
	v_pk_mul_f32 v[34:35], v[52:53], v[48:49] op_sel_hi:[0,1]
	v_add3_u32 v38, v38, v42, s8
	v_add3_u32 v37, v39, v37, s8
	v_perm_b32 v38, v37, v38, s44
	v_bfe_u32 v37, v35, 16, 1
	v_bfe_u32 v39, v34, 16, 1
	v_add3_u32 v34, v34, v39, s8
	v_add3_u32 v35, v35, v37, s8
	v_perm_b32 v39, v35, v34, s44
	v_cmp_gt_u32_e32 vcc, 3, v0
	ds_write2st64_b64 v54, v[40:41], v[38:39] offset0:2 offset1:3
	s_and_saveexec_b64 s[4:5], vcc
	s_cbranch_execz .LBB1286_15
; %bb.14:
	s_mov_b32 s49, 0
	v_mov_b32_e32 v61, 0
	v_lshl_add_u64 v[34:35], s[48:49], 0, v[60:61]
	v_mov_b32_e32 v37, s7
	v_mad_u64_u32 v[34:35], s[10:11], s2, v37, v[34:35]
	s_mul_i32 s3, s3, s7
	v_mov_b32_e32 v38, s24
	v_mov_b32_e32 v39, v61
	s_load_dwordx4 s[12:15], s[0:1], 0x58
	v_add_u32_e32 v37, s3, v35
	v_mad_u64_u32 v[34:35], s[10:11], v34, s6, v[38:39]
	v_mov_b32_e32 v38, v35
	v_mad_u64_u32 v[38:39], s[10:11], v37, s6, v[38:39]
	v_mov_b32_e32 v35, v38
	v_lshlrev_b64 v[34:35], 2, v[34:35]
	s_waitcnt lgkmcnt(0)
	v_lshl_add_u64 v[38:39], s[14:15], 0, v[34:35]
	v_lshl_add_u64 v[34:35], s[12:13], 0, v[34:35]
	global_store_dword v[38:39], v50, off
	global_store_dword v[34:35], v51, off
.LBB1286_15:
	s_or_b64 exec, exec, s[4:5]
	v_lshl_or_b32 v50, v64, 9, v36
	s_waitcnt vmcnt(7)
	v_cvt_pk_f32_fp8_e32 v[34:35], v30
	v_cvt_pk_f32_fp8_sdwa v[36:37], v30 src0_sel:WORD_1
	s_mov_b32 s5, 0x7060302
	s_waitcnt lgkmcnt(0)
	s_barrier
	v_cvt_pk_f32_fp8_e32 v[38:39], v31
	v_perm_b32 v30, v35, v34, s5
	v_cvt_pk_f32_fp8_sdwa v[40:41], v31 src0_sel:WORD_1
	v_perm_b32 v31, v37, v36, s5
	ds_read_b128 v[34:37], v50
	v_perm_b32 v46, v39, v38, s5
	v_perm_b32 v47, v41, v40, s5
	ds_read_b128 v[38:41], v50 offset:16
	v_cvt_pk_f32_fp8_e32 v[48:49], v32
	v_cvt_pk_f32_fp8_sdwa v[52:53], v32 src0_sel:WORD_1
	s_waitcnt lgkmcnt(1)
	v_mfma_f32_16x16x16_bf16 v[42:45], v[30:31], v[34:35], 0
	s_waitcnt vmcnt(6)
	v_cvt_pk_f32_fp8_e32 v[56:57], v24
	v_perm_b32 v30, v49, v48, s5
	v_perm_b32 v31, v53, v52, s5
	v_cvt_pk_f32_fp8_e32 v[48:49], v33
	v_mfma_f32_16x16x16_bf16 v[42:45], v[46:47], v[36:37], v[42:45]
	v_cvt_pk_f32_fp8_sdwa v[46:47], v33 src0_sel:WORD_1
	v_cvt_pk_f32_fp8_sdwa v[62:63], v24 src0_sel:WORD_1
	v_perm_b32 v48, v49, v48, s5
	s_waitcnt lgkmcnt(0)
	v_mfma_f32_16x16x16_bf16 v[30:33], v[30:31], v[38:39], v[42:45]
	v_perm_b32 v49, v47, v46, s5
	s_waitcnt vmcnt(4)
	v_cvt_pk_f32_fp8_sdwa v[70:71], v4 src0_sel:WORD_1
	s_load_dword s4, s[42:43], 0x0
	v_cvt_pk_f32_fp8_e32 v[42:43], v22
	v_mfma_f32_16x16x16_bf16 v[46:49], v[48:49], v[40:41], v[30:33]
	s_waitcnt vmcnt(3)
	v_cvt_pk_f32_fp8_sdwa v[72:73], v28 src0_sel:WORD_1
	v_cmp_gt_u32_e32 vcc, 64, v0
	v_cvt_pk_f32_fp8_sdwa v[30:31], v22 src0_sel:WORD_1
	v_cvt_pk_f32_fp8_e32 v[32:33], v23
	v_perm_b32 v22, v43, v42, s5
	v_cvt_pk_f32_fp8_sdwa v[42:43], v23 src0_sel:WORD_1
	v_perm_b32 v23, v31, v30, s5
	v_perm_b32 v52, v33, v32, s5
	ds_read_b128 v[30:33], v50 offset:2048
	v_perm_b32 v53, v43, v42, s5
	ds_read_b128 v[42:45], v50 offset:2064
	s_waitcnt lgkmcnt(0)
	v_mfma_f32_16x16x16_bf16 v[46:49], v[22:23], v[30:31], v[46:49]
	v_perm_b32 v22, v57, v56, s5
	v_perm_b32 v23, v63, v62, s5
	v_cvt_pk_f32_fp8_e32 v[56:57], v25
	v_mfma_f32_16x16x16_bf16 v[46:49], v[52:53], v[32:33], v[46:49]
	v_cvt_pk_f32_fp8_sdwa v[52:53], v25 src0_sel:WORD_1
	v_cvt_pk_f32_fp8_sdwa v[62:63], v16 src0_sel:WORD_1
	v_perm_b32 v56, v57, v56, s5
	v_mfma_f32_16x16x16_bf16 v[22:25], v[22:23], v[42:43], v[46:49]
	v_perm_b32 v57, v53, v52, s5
	s_mov_b32 s3, 0
	s_nop 0
	v_cvt_pk_f32_fp8_e32 v[46:47], v14
	v_mfma_f32_16x16x16_bf16 v[66:69], v[56:57], v[44:45], v[22:25]
	v_cvt_pk_f32_fp8_e32 v[56:57], v16
	s_nop 1
	v_cvt_pk_f32_fp8_sdwa v[22:23], v14 src0_sel:WORD_1
	v_cvt_pk_f32_fp8_e32 v[24:25], v15
	v_perm_b32 v14, v47, v46, s5
	v_cvt_pk_f32_fp8_sdwa v[46:47], v15 src0_sel:WORD_1
	v_perm_b32 v15, v23, v22, s5
	v_perm_b32 v52, v25, v24, s5
	ds_read_b128 v[22:25], v50 offset:4096
	v_perm_b32 v53, v47, v46, s5
	ds_read_b128 v[46:49], v50 offset:4112
	s_waitcnt lgkmcnt(1)
	v_mfma_f32_16x16x16_bf16 v[66:69], v[14:15], v[22:23], v[66:69]
	v_perm_b32 v14, v57, v56, s5
	v_perm_b32 v15, v63, v62, s5
	v_cvt_pk_f32_fp8_e32 v[56:57], v17
	v_mfma_f32_16x16x16_bf16 v[66:69], v[52:53], v[24:25], v[66:69]
	v_cvt_pk_f32_fp8_sdwa v[52:53], v17 src0_sel:WORD_1
	v_cvt_pk_f32_fp8_e32 v[62:63], v4
	v_perm_b32 v56, v57, v56, s5
	s_waitcnt lgkmcnt(0)
	v_mfma_f32_16x16x16_bf16 v[14:17], v[14:15], v[46:47], v[66:69]
	v_perm_b32 v57, v53, v52, s5
	v_cvt_pk_f32_fp8_e32 v[52:53], v2
	s_nop 0
	v_mfma_f32_16x16x16_bf16 v[66:69], v[56:57], v[48:49], v[14:17]
	s_nop 2
	v_cvt_pk_f32_fp8_sdwa v[14:15], v2 src0_sel:WORD_1
	v_cvt_pk_f32_fp8_e32 v[16:17], v3
	v_perm_b32 v2, v53, v52, s5
	v_cvt_pk_f32_fp8_sdwa v[52:53], v3 src0_sel:WORD_1
	v_perm_b32 v3, v15, v14, s5
	v_perm_b32 v56, v17, v16, s5
	ds_read_b128 v[14:17], v50 offset:6144
	v_perm_b32 v57, v53, v52, s5
	s_waitcnt lgkmcnt(0)
	v_mfma_f32_16x16x16_bf16 v[66:69], v[2:3], v[14:15], v[66:69]
	ds_read_b128 v[50:53], v50 offset:6160
	v_perm_b32 v2, v63, v62, s5
	v_perm_b32 v3, v71, v70, s5
	v_cvt_pk_f32_fp8_e32 v[62:63], v5
	v_mfma_f32_16x16x16_bf16 v[66:69], v[56:57], v[16:17], v[66:69]
	v_cvt_pk_f32_fp8_sdwa v[56:57], v5 src0_sel:WORD_1
	v_cvt_pk_f32_fp8_e32 v[70:71], v28
	v_perm_b32 v62, v63, v62, s5
	s_waitcnt lgkmcnt(0)
	v_mfma_f32_16x16x16_bf16 v[2:5], v[2:3], v[50:51], v[66:69]
	v_perm_b32 v63, v57, v56, s5
	v_cvt_pk_f32_fp8_sdwa v[56:57], v26 src0_sel:WORD_1
	s_nop 0
	v_mfma_f32_16x16x16_bf16 v[66:69], v[62:63], v[52:53], v[2:5]
	s_barrier
	s_nop 1
	v_cvt_pk_f32_fp8_e32 v[4:5], v26
	s_nop 2
	v_pk_mul_f32 v[62:63], v[66:67], s[4:5] op_sel_hi:[1,0]
	v_cvt_pk_f32_fp8_e32 v[66:67], v27
	v_perm_b32 v4, v5, v4, s5
	v_perm_b32 v5, v57, v56, s5
	v_cvt_pk_f32_fp8_sdwa v[26:27], v27 src0_sel:WORD_1
	v_perm_b32 v56, v67, v66, s5
	v_pk_mul_f32 v[2:3], v[68:69], s[4:5] op_sel_hi:[1,0]
	v_mfma_f32_16x16x16_bf16 v[66:69], v[4:5], v[34:35], 0
	v_perm_b32 v57, v27, v26, s5
	v_perm_b32 v4, v71, v70, s5
	;; [unrolled: 1-line block ×3, first 2 shown]
	v_cvt_pk_f32_fp8_e32 v[34:35], v29
	v_cvt_pk_f32_fp8_sdwa v[70:71], v29 src0_sel:WORD_1
	v_mfma_f32_16x16x16_bf16 v[26:29], v[56:57], v[36:37], v[66:69]
	s_waitcnt vmcnt(2)
	v_cvt_pk_f32_fp8_sdwa v[36:37], v18 src0_sel:WORD_1
	v_perm_b32 v34, v35, v34, s5
	v_perm_b32 v35, v71, v70, s5
	v_mfma_f32_16x16x16_bf16 v[26:29], v[4:5], v[38:39], v[26:29]
	v_cvt_pk_f32_fp8_e32 v[4:5], v18
	v_cvt_pk_f32_fp8_sdwa v[38:39], v20 src0_sel:WORD_1
	v_bfe_u32 v55, v63, 16, 1
	v_mfma_f32_16x16x16_bf16 v[26:29], v[34:35], v[40:41], v[26:29]
	v_cvt_pk_f32_fp8_e32 v[34:35], v19
	v_perm_b32 v4, v5, v4, s5
	v_perm_b32 v5, v37, v36, s5
	v_cvt_pk_f32_fp8_sdwa v[18:19], v19 src0_sel:WORD_1
	v_perm_b32 v34, v35, v34, s5
	v_cvt_pk_f32_fp8_e32 v[36:37], v20
	v_mfma_f32_16x16x16_bf16 v[26:29], v[4:5], v[30:31], v[26:29]
	v_perm_b32 v35, v19, v18, s5
	v_perm_b32 v4, v37, v36, s5
	;; [unrolled: 1-line block ×3, first 2 shown]
	v_cvt_pk_f32_fp8_e32 v[30:31], v21
	v_cvt_pk_f32_fp8_sdwa v[36:37], v21 src0_sel:WORD_1
	v_mfma_f32_16x16x16_bf16 v[18:21], v[34:35], v[32:33], v[26:29]
	v_bfe_u32 v56, v62, 16, 1
	v_add3_u32 v32, v62, v56, s8
	v_add3_u32 v33, v63, v55, s8
	v_perm_b32 v26, v31, v30, s5
	v_perm_b32 v27, v37, v36, s5
	v_mfma_f32_16x16x16_bf16 v[18:21], v[4:5], v[42:43], v[18:21]
	s_waitcnt vmcnt(1)
	v_cvt_pk_f32_fp8_e32 v[4:5], v10
	v_cvt_pk_f32_fp8_sdwa v[28:29], v10 src0_sel:WORD_1
	v_cvt_pk_f32_fp8_sdwa v[30:31], v12 src0_sel:WORD_1
	v_mfma_f32_16x16x16_bf16 v[18:21], v[26:27], v[44:45], v[18:21]
	v_cvt_pk_f32_fp8_e32 v[26:27], v11
	v_perm_b32 v4, v5, v4, s5
	v_perm_b32 v5, v29, v28, s5
	v_cvt_pk_f32_fp8_sdwa v[10:11], v11 src0_sel:WORD_1
	v_perm_b32 v26, v27, v26, s5
	v_cvt_pk_f32_fp8_e32 v[28:29], v12
	v_mfma_f32_16x16x16_bf16 v[18:21], v[4:5], v[22:23], v[18:21]
	v_perm_b32 v27, v11, v10, s5
	v_perm_b32 v4, v29, v28, s5
	;; [unrolled: 1-line block ×3, first 2 shown]
	v_cvt_pk_f32_fp8_e32 v[22:23], v13
	v_cvt_pk_f32_fp8_sdwa v[28:29], v13 src0_sel:WORD_1
	v_mfma_f32_16x16x16_bf16 v[10:13], v[26:27], v[24:25], v[18:21]
	s_waitcnt vmcnt(0)
	v_cvt_pk_f32_fp8_sdwa v[24:25], v8 src0_sel:WORD_1
	s_nop 0
	v_perm_b32 v20, v23, v22, s5
	v_perm_b32 v21, v29, v28, s5
	v_mfma_f32_16x16x16_bf16 v[10:13], v[4:5], v[46:47], v[10:13]
	v_cvt_pk_f32_fp8_e32 v[4:5], v6
	v_cvt_pk_f32_fp8_sdwa v[22:23], v6 src0_sel:WORD_1
	v_bfe_u32 v19, v3, 16, 1
	v_mfma_f32_16x16x16_bf16 v[10:13], v[20:21], v[48:49], v[10:13]
	v_cvt_pk_f32_fp8_e32 v[20:21], v7
	v_perm_b32 v4, v5, v4, s5
	v_perm_b32 v5, v23, v22, s5
	v_cvt_pk_f32_fp8_sdwa v[6:7], v7 src0_sel:WORD_1
	v_perm_b32 v20, v21, v20, s5
	v_cvt_pk_f32_fp8_e32 v[22:23], v8
	v_add3_u32 v3, v3, v19, s8
	v_perm_b32 v21, v7, v6, s5
	v_mfma_f32_16x16x16_bf16 v[4:7], v[4:5], v[14:15], v[10:13]
	v_bfe_u32 v14, v2, 16, 1
	v_add3_u32 v2, v2, v14, s8
	v_perm_b32 v19, v3, v2, s5
	v_perm_b32 v10, v23, v22, s5
	;; [unrolled: 1-line block ×3, first 2 shown]
	v_cvt_pk_f32_fp8_e32 v[12:13], v9
	v_cvt_pk_f32_fp8_sdwa v[8:9], v9 src0_sel:WORD_1
	v_mfma_f32_16x16x16_bf16 v[4:7], v[20:21], v[16:17], v[4:7]
	v_perm_b32 v18, v33, v32, s5
	v_perm_b32 v12, v13, v12, s5
	;; [unrolled: 1-line block ×3, first 2 shown]
	v_mfma_f32_16x16x16_bf16 v[4:7], v[10:11], v[50:51], v[4:7]
	s_nop 0
	v_mfma_f32_16x16x16_bf16 v[2:5], v[12:13], v[52:53], v[4:7]
	s_nop 6
	v_pk_mul_f32 v[2:3], v[2:3], s[4:5] op_sel_hi:[1,0]
	v_pk_mul_f32 v[4:5], v[4:5], s[4:5] op_sel_hi:[1,0]
	v_bfe_u32 v6, v3, 16, 1
	v_bfe_u32 v7, v2, 16, 1
	v_add3_u32 v2, v2, v7, s8
	v_add3_u32 v3, v3, v6, s8
	v_perm_b32 v2, v3, v2, s5
	v_bfe_u32 v3, v5, 16, 1
	v_bfe_u32 v6, v4, 16, 1
	v_add3_u32 v4, v4, v6, s8
	v_add3_u32 v3, v5, v3, s8
	v_perm_b32 v3, v3, v4, s5
	v_cmp_ne_u32_e64 s[4:5], 3, v64
	s_and_b64 s[4:5], vcc, s[4:5]
	ds_write2st64_b64 v54, v[18:19], v[2:3] offset1:1
	s_waitcnt lgkmcnt(0)
	s_barrier
	s_and_saveexec_b64 s[8:9], s[4:5]
	s_cbranch_execz .LBB1286_17
; %bb.16:
	s_load_dwordx2 s[0:1], s[0:1], 0x68
	s_mul_i32 s2, s7, s2
	s_lshl_b32 s6, s6, 7
	v_lshlrev_b32_e32 v4, 6, v60
	s_mul_hi_u32 s5, s2, s6
	s_mul_i32 s4, s2, s6
	v_lshl_or_b32 v0, v0, 10, v4
	s_lshl_b64 s[4:5], s[4:5], 1
	v_lshlrev_b32_e32 v2, 5, v64
	v_and_b32_e32 v3, 16, v65
	v_and_b32_e32 v0, 0x1a00, v0
	s_waitcnt lgkmcnt(0)
	s_add_u32 s4, s0, s4
	v_or3_b32 v0, v0, v2, v3
	s_addc_u32 s5, s1, s5
	s_lshl_b32 s2, s24, 7
	ds_read_b128 v[2:5], v0
	s_lshl_b64 s[0:1], s[2:3], 1
	s_add_u32 s0, s4, s0
	s_addc_u32 s1, s5, s1
	v_mad_u64_u32 v[0:1], s[2:3], s6, v1, 0
	v_lshl_add_u64 v[0:1], v[0:1], 1, s[0:1]
	v_mov_b32_e32 v59, 0
	v_lshl_add_u64 v[0:1], v[0:1], 0, v[58:59]
	s_waitcnt lgkmcnt(0)
	global_store_dwordx4 v[0:1], v[2:5], off
.LBB1286_17:
	s_endpgm
	.section	.rodata,"a",@progbits
	.p2align	6, 0x0
	.amdhsa_kernel _Z39paged_attention_ll4mi_QKV_mfma16_kernelI14__hip_bfloat16hLN4vllm18Fp8KVCacheDataTypeE1EhLi16ELi128ELi256ELb0ELi3EEvPKT_PKT0_S8_ifPKiSA_SA_iPKfiiiPfSD_PS3_PT2_iSC_SC_
		.amdhsa_group_segment_fixed_size 8192
		.amdhsa_private_segment_fixed_size 0
		.amdhsa_kernarg_size 400
		.amdhsa_user_sgpr_count 2
		.amdhsa_user_sgpr_dispatch_ptr 0
		.amdhsa_user_sgpr_queue_ptr 0
		.amdhsa_user_sgpr_kernarg_segment_ptr 1
		.amdhsa_user_sgpr_dispatch_id 0
		.amdhsa_user_sgpr_kernarg_preload_length 0
		.amdhsa_user_sgpr_kernarg_preload_offset 0
		.amdhsa_user_sgpr_private_segment_size 0
		.amdhsa_uses_dynamic_stack 0
		.amdhsa_enable_private_segment 0
		.amdhsa_system_sgpr_workgroup_id_x 1
		.amdhsa_system_sgpr_workgroup_id_y 1
		.amdhsa_system_sgpr_workgroup_id_z 1
		.amdhsa_system_sgpr_workgroup_info 0
		.amdhsa_system_vgpr_workitem_id 0
		.amdhsa_next_free_vgpr 88
		.amdhsa_next_free_sgpr 50
		.amdhsa_accum_offset 88
		.amdhsa_reserve_vcc 1
		.amdhsa_float_round_mode_32 0
		.amdhsa_float_round_mode_16_64 0
		.amdhsa_float_denorm_mode_32 3
		.amdhsa_float_denorm_mode_16_64 3
		.amdhsa_dx10_clamp 1
		.amdhsa_ieee_mode 1
		.amdhsa_fp16_overflow 0
		.amdhsa_tg_split 0
		.amdhsa_exception_fp_ieee_invalid_op 0
		.amdhsa_exception_fp_denorm_src 0
		.amdhsa_exception_fp_ieee_div_zero 0
		.amdhsa_exception_fp_ieee_overflow 0
		.amdhsa_exception_fp_ieee_underflow 0
		.amdhsa_exception_fp_ieee_inexact 0
		.amdhsa_exception_int_div_zero 0
	.end_amdhsa_kernel
	.section	.text._Z39paged_attention_ll4mi_QKV_mfma16_kernelI14__hip_bfloat16hLN4vllm18Fp8KVCacheDataTypeE1EhLi16ELi128ELi256ELb0ELi3EEvPKT_PKT0_S8_ifPKiSA_SA_iPKfiiiPfSD_PS3_PT2_iSC_SC_,"axG",@progbits,_Z39paged_attention_ll4mi_QKV_mfma16_kernelI14__hip_bfloat16hLN4vllm18Fp8KVCacheDataTypeE1EhLi16ELi128ELi256ELb0ELi3EEvPKT_PKT0_S8_ifPKiSA_SA_iPKfiiiPfSD_PS3_PT2_iSC_SC_,comdat
.Lfunc_end1286:
	.size	_Z39paged_attention_ll4mi_QKV_mfma16_kernelI14__hip_bfloat16hLN4vllm18Fp8KVCacheDataTypeE1EhLi16ELi128ELi256ELb0ELi3EEvPKT_PKT0_S8_ifPKiSA_SA_iPKfiiiPfSD_PS3_PT2_iSC_SC_, .Lfunc_end1286-_Z39paged_attention_ll4mi_QKV_mfma16_kernelI14__hip_bfloat16hLN4vllm18Fp8KVCacheDataTypeE1EhLi16ELi128ELi256ELb0ELi3EEvPKT_PKT0_S8_ifPKiSA_SA_iPKfiiiPfSD_PS3_PT2_iSC_SC_
                                        ; -- End function
	.section	.AMDGPU.csdata,"",@progbits
; Kernel info:
; codeLenInByte = 6276
; NumSgprs: 56
; NumVgprs: 88
; NumAgprs: 0
; TotalNumVgprs: 88
; ScratchSize: 0
; MemoryBound: 0
; FloatMode: 240
; IeeeMode: 1
; LDSByteSize: 8192 bytes/workgroup (compile time only)
; SGPRBlocks: 6
; VGPRBlocks: 10
; NumSGPRsForWavesPerEU: 56
; NumVGPRsForWavesPerEU: 88
; AccumOffset: 88
; Occupancy: 5
; WaveLimiterHint : 1
; COMPUTE_PGM_RSRC2:SCRATCH_EN: 0
; COMPUTE_PGM_RSRC2:USER_SGPR: 2
; COMPUTE_PGM_RSRC2:TRAP_HANDLER: 0
; COMPUTE_PGM_RSRC2:TGID_X_EN: 1
; COMPUTE_PGM_RSRC2:TGID_Y_EN: 1
; COMPUTE_PGM_RSRC2:TGID_Z_EN: 1
; COMPUTE_PGM_RSRC2:TIDIG_COMP_CNT: 0
; COMPUTE_PGM_RSRC3_GFX90A:ACCUM_OFFSET: 21
; COMPUTE_PGM_RSRC3_GFX90A:TG_SPLIT: 0
	.section	.text._Z39paged_attention_ll4mi_QKV_mfma16_kernelI14__hip_bfloat16hLN4vllm18Fp8KVCacheDataTypeE1EhLi16ELi128ELi256ELb0ELi4EEvPKT_PKT0_S8_ifPKiSA_SA_iPKfiiiPfSD_PS3_PT2_iSC_SC_,"axG",@progbits,_Z39paged_attention_ll4mi_QKV_mfma16_kernelI14__hip_bfloat16hLN4vllm18Fp8KVCacheDataTypeE1EhLi16ELi128ELi256ELb0ELi4EEvPKT_PKT0_S8_ifPKiSA_SA_iPKfiiiPfSD_PS3_PT2_iSC_SC_,comdat
	.protected	_Z39paged_attention_ll4mi_QKV_mfma16_kernelI14__hip_bfloat16hLN4vllm18Fp8KVCacheDataTypeE1EhLi16ELi128ELi256ELb0ELi4EEvPKT_PKT0_S8_ifPKiSA_SA_iPKfiiiPfSD_PS3_PT2_iSC_SC_ ; -- Begin function _Z39paged_attention_ll4mi_QKV_mfma16_kernelI14__hip_bfloat16hLN4vllm18Fp8KVCacheDataTypeE1EhLi16ELi128ELi256ELb0ELi4EEvPKT_PKT0_S8_ifPKiSA_SA_iPKfiiiPfSD_PS3_PT2_iSC_SC_
	.globl	_Z39paged_attention_ll4mi_QKV_mfma16_kernelI14__hip_bfloat16hLN4vllm18Fp8KVCacheDataTypeE1EhLi16ELi128ELi256ELb0ELi4EEvPKT_PKT0_S8_ifPKiSA_SA_iPKfiiiPfSD_PS3_PT2_iSC_SC_
	.p2align	8
	.type	_Z39paged_attention_ll4mi_QKV_mfma16_kernelI14__hip_bfloat16hLN4vllm18Fp8KVCacheDataTypeE1EhLi16ELi128ELi256ELb0ELi4EEvPKT_PKT0_S8_ifPKiSA_SA_iPKfiiiPfSD_PS3_PT2_iSC_SC_,@function
_Z39paged_attention_ll4mi_QKV_mfma16_kernelI14__hip_bfloat16hLN4vllm18Fp8KVCacheDataTypeE1EhLi16ELi128ELi256ELb0ELi4EEvPKT_PKT0_S8_ifPKiSA_SA_iPKfiiiPfSD_PS3_PT2_iSC_SC_: ; @_Z39paged_attention_ll4mi_QKV_mfma16_kernelI14__hip_bfloat16hLN4vllm18Fp8KVCacheDataTypeE1EhLi16ELi128ELi256ELb0ELi4EEvPKT_PKT0_S8_ifPKiSA_SA_iPKfiiiPfSD_PS3_PT2_iSC_SC_
; %bb.0:
	s_load_dwordx2 s[12:13], s[0:1], 0x30
	s_mov_b32 s24, s3
	s_mov_b64 s[6:7], 0
	s_waitcnt lgkmcnt(0)
	s_cmp_lg_u64 s[12:13], 0
	s_cselect_b64 s[14:15], -1, 0
	s_and_b64 vcc, exec, s[14:15]
	s_cbranch_vccz .LBB1287_7
; %bb.1:
	s_add_i32 s8, s2, 1
	s_mov_b32 s9, 0
	s_lshl_b64 s[10:11], s[8:9], 2
	s_add_u32 s10, s12, s10
	s_mov_b32 s3, s9
	s_addc_u32 s11, s13, s11
	s_lshl_b64 s[8:9], s[2:3], 2
	s_add_u32 s8, s12, s8
	s_addc_u32 s9, s13, s9
	s_load_dword s5, s[10:11], 0x0
	s_load_dword s16, s[8:9], 0x0
	s_waitcnt lgkmcnt(0)
	s_sub_i32 s5, s5, s16
	s_cmp_eq_u32 s5, 1
	s_cselect_b64 s[8:9], -1, 0
	s_andn2_b64 vcc, exec, s[6:7]
	s_cbranch_vccnz .LBB1287_3
.LBB1287_2:
	s_mov_b32 s3, 0
	s_mov_b64 s[8:9], -1
.LBB1287_3:
	s_andn2_b64 vcc, exec, s[8:9]
	s_cbranch_vccnz .LBB1287_17
; %bb.4:
	s_load_dwordx2 s[6:7], s[0:1], 0x28
	s_lshl_b64 s[16:17], s[2:3], 2
	s_waitcnt lgkmcnt(0)
	s_add_u32 s6, s6, s16
	s_addc_u32 s7, s7, s17
	s_load_dword s48, s[6:7], 0x0
	s_lshl_b32 s18, s24, 8
	s_waitcnt lgkmcnt(0)
	s_cmp_ge_i32 s18, s48
	s_cbranch_scc1 .LBB1287_17
; %bb.5:
	s_load_dwordx2 s[6:7], s[0:1], 0x20
	s_load_dword s8, s[0:1], 0x38
	s_add_i32 s5, s48, 15
	s_ashr_i32 s9, s5, 31
	v_and_b32_e32 v1, 0xcf, v0
	s_lshr_b32 s9, s9, 28
	v_add_u32_e32 v1, s18, v1
	s_add_i32 s5, s5, s9
	v_ashrrev_i32_e32 v2, 31, v1
	s_ashr_i32 s5, s5, 4
	v_lshrrev_b32_e32 v10, 28, v2
	s_add_i32 s5, s5, -1
	s_waitcnt lgkmcnt(0)
	s_mul_i32 s8, s2, s8
	s_mov_b32 s9, 0
	v_add_u32_e32 v2, v1, v10
	s_lshl_b64 s[8:9], s[8:9], 2
	v_ashrrev_i32_e32 v2, 4, v2
	v_mov_b32_e32 v11, s5
	v_cmp_gt_i32_e32 vcc, s48, v1
	s_add_u32 s6, s6, s8
	s_addc_u32 s7, s7, s9
	v_cndmask_b32_e32 v2, v11, v2, vcc
	v_ashrrev_i32_e32 v3, 31, v2
	v_lshl_add_u64 v[4:5], v[2:3], 2, s[6:7]
	v_or_b32_e32 v2, 16, v1
	v_add_u32_e32 v3, v2, v10
	v_ashrrev_i32_e32 v3, 4, v3
	v_cmp_gt_i32_e32 vcc, s48, v2
	s_load_dwordx4 s[8:11], s[0:1], 0x8
	s_nop 0
	v_cndmask_b32_e32 v2, v11, v3, vcc
	v_ashrrev_i32_e32 v3, 31, v2
	v_lshl_add_u64 v[6:7], v[2:3], 2, s[6:7]
	v_or_b32_e32 v2, 32, v1
	v_add_u32_e32 v3, v2, v10
	v_ashrrev_i32_e32 v3, 4, v3
	v_cmp_gt_i32_e32 vcc, s48, v2
	v_or_b32_e32 v1, 48, v1
	s_nop 0
	v_cndmask_b32_e32 v2, v11, v3, vcc
	v_ashrrev_i32_e32 v3, 31, v2
	v_lshl_add_u64 v[8:9], v[2:3], 2, s[6:7]
	v_add_u32_e32 v2, v1, v10
	v_ashrrev_i32_e32 v2, 4, v2
	v_cmp_gt_i32_e32 vcc, s48, v1
	s_nop 1
	v_cndmask_b32_e32 v2, v11, v2, vcc
	v_ashrrev_i32_e32 v3, 31, v2
	v_lshl_add_u64 v[10:11], v[2:3], 2, s[6:7]
	global_load_dword v3, v[4:5], off
	global_load_dword v2, v[6:7], off
	;; [unrolled: 1-line block ×4, first 2 shown]
	s_andn2_b64 vcc, exec, s[14:15]
	s_cbranch_vccnz .LBB1287_8
; %bb.6:
	s_add_u32 s12, s12, s16
	s_addc_u32 s13, s13, s17
	s_load_dword s14, s[12:13], 0x0
	s_branch .LBB1287_9
.LBB1287_7:
	s_mov_b64 s[8:9], 0
	s_branch .LBB1287_2
.LBB1287_8:
	s_mov_b32 s14, s2
.LBB1287_9:
	s_load_dwordx4 s[44:47], s[0:1], 0x48
	v_and_b32_e32 v58, 15, v0
	v_bfe_u32 v61, v0, 4, 2
	s_lshl_b32 s25, s4, 2
	v_lshlrev_b32_e32 v4, 3, v58
	v_lshrrev_b32_e32 v62, 6, v0
	v_and_b32_e32 v63, 63, v0
	v_or_b32_e32 v1, s25, v61
	v_cmp_gt_u32_e64 s[26:27], 64, v0
	v_lshlrev_b32_e32 v54, 1, v4
	v_lshlrev_b32_e32 v59, 5, v61
	;; [unrolled: 1-line block ×3, first 2 shown]
	s_and_saveexec_b64 s[12:13], s[26:27]
	s_cbranch_execz .LBB1287_11
; %bb.10:
	s_load_dwordx2 s[16:17], s[0:1], 0x0
	s_waitcnt lgkmcnt(0)
	s_ashr_i32 s15, s44, 31
	s_mul_hi_u32 s19, s14, s44
	s_mul_i32 s15, s14, s15
	s_add_i32 s15, s19, s15
	s_mul_i32 s14, s14, s44
	s_lshl_b64 s[14:15], s[14:15], 1
	s_add_u32 s14, s16, s14
	v_lshlrev_b32_e32 v4, 7, v1
	s_addc_u32 s15, s17, s15
	v_ashrrev_i32_e32 v5, 31, v4
	v_lshl_add_u64 v[4:5], v[4:5], 1, s[14:15]
	v_mov_b32_e32 v55, 0
	v_lshl_add_u64 v[4:5], v[4:5], 0, v[54:55]
	global_load_dwordx4 v[4:7], v[4:5], off
	v_lshlrev_b32_e32 v9, 8, v0
	v_lshlrev_b32_e32 v8, 8, v58
	v_and_b32_e32 v9, 0x600, v9
	s_movk_i32 s14, 0x800
	v_and_or_b32 v8, v8, s14, v9
	v_lshl_or_b32 v9, v62, 7, v59
	v_and_b32_e32 v10, 16, v60
	v_or3_b32 v8, v8, v9, v10
	s_waitcnt vmcnt(0)
	ds_write_b128 v8, v[4:7]
.LBB1287_11:
	s_or_b64 exec, exec, s[12:13]
	s_waitcnt lgkmcnt(0)
	s_mul_i32 s4, s4, s46
	s_add_u32 s8, s8, s4
	s_addc_u32 s9, s9, 0
	v_and_b32_e32 v56, 0xf0, v60
	v_mov_b32_e32 v57, 0
	v_and_b32_e32 v6, 48, v0
	v_lshl_add_u64 v[30:31], s[8:9], 0, v[56:57]
	v_lshlrev_b32_e32 v56, 4, v6
	s_waitcnt vmcnt(3)
	v_mad_i64_i32 v[4:5], s[8:9], v3, s45, v[30:31]
	v_lshl_add_u64 v[4:5], v[4:5], 0, v[56:57]
	s_load_dword s33, s[0:1], 0x98
	s_load_dwordx4 s[40:43], s[0:1], 0x80
	s_waitcnt lgkmcnt(0)
	s_barrier
	global_load_dwordx4 v[22:25], v[4:5], off
	global_load_dwordx4 v[10:13], v[4:5], off offset:1024
	s_waitcnt vmcnt(4)
	v_mad_i64_i32 v[2:3], s[8:9], v2, s45, v[30:31]
	v_lshl_add_u64 v[32:33], v[2:3], 0, v[56:57]
	global_load_dwordx4 v[2:5], v[32:33], off
	v_and_b32_e32 v7, 3, v0
	v_lshlrev_b32_e32 v7, 5, v7
	v_or_b32_e32 v36, s18, v6
	v_lshl_or_b32 v6, v61, 9, v7
	ds_read_b128 v[26:29], v6
	ds_read_b128 v[18:21], v6 offset:16
	ds_read_b128 v[14:17], v6 offset:2048
	;; [unrolled: 1-line block ×3, first 2 shown]
	global_load_dwordx4 v[46:49], v[32:33], off offset:1024
	v_mov_b32_e32 v41, s5
	v_ashrrev_i32_e32 v37, 4, v36
	v_or_b32_e32 v40, 64, v36
	v_cmp_gt_i32_e32 vcc, s48, v36
	v_or_b32_e32 v42, 0x80, v36
	v_or_b32_e32 v43, 0xc0, v36
	v_cndmask_b32_e32 v36, v41, v37, vcc
	v_ashrrev_i32_e32 v44, 4, v40
	v_cmp_gt_i32_e32 vcc, s48, v40
	v_ashrrev_i32_e32 v45, 4, v42
	s_waitcnt vmcnt(5)
	v_mad_i64_i32 v[38:39], s[12:13], v34, s45, v[30:31]
	v_cndmask_b32_e32 v34, v41, v44, vcc
	v_cmp_gt_i32_e32 vcc, s48, v42
	v_ashrrev_i32_e32 v50, 4, v43
	s_waitcnt vmcnt(4)
	v_mad_i64_i32 v[30:31], s[12:13], v35, s45, v[30:31]
	v_cndmask_b32_e32 v40, v41, v45, vcc
	v_cmp_gt_i32_e32 vcc, s48, v43
	v_ashrrev_i32_e32 v35, 31, v34
	v_ashrrev_i32_e32 v37, 31, v36
	v_cndmask_b32_e32 v32, v41, v50, vcc
	v_lshl_add_u64 v[38:39], v[38:39], 0, v[56:57]
	v_ashrrev_i32_e32 v41, 31, v40
	v_ashrrev_i32_e32 v33, 31, v32
	v_lshl_add_u64 v[64:65], v[34:35], 2, s[6:7]
	v_lshl_add_u64 v[50:51], v[30:31], 0, v[56:57]
	;; [unrolled: 1-line block ×5, first 2 shown]
	global_load_dwordx4 v[30:33], v[38:39], off
	global_load_dwordx4 v[42:45], v[38:39], off offset:1024
	s_nop 0
	global_load_dwordx4 v[38:41], v[50:51], off
	global_load_dwordx4 v[34:37], v[50:51], off offset:1024
	global_load_dword v67, v[52:53], off
	global_load_dword v66, v[64:65], off
	s_nop 0
	global_load_dword v64, v[68:69], off
	global_load_dword v65, v[70:71], off
	s_mov_b32 s44, 0x7060302
	s_add_u32 s4, s10, s4
	v_lshl_or_b32 v55, v62, 4, v58
	s_addc_u32 s5, s11, 0
	v_lshlrev_b32_e32 v56, 4, v55
	s_load_dword s8, s[0:1], 0x1c
	s_mov_b32 s46, 0xff7fffff
	s_waitcnt vmcnt(11)
	v_cvt_pk_f32_fp8_e32 v[50:51], v22
	v_cvt_pk_f32_fp8_sdwa v[52:53], v22 src0_sel:WORD_1
	v_cvt_pk_f32_fp8_e32 v[68:69], v23
	v_cvt_pk_f32_fp8_sdwa v[70:71], v23 src0_sel:WORD_1
	;; [unrolled: 2-line block ×4, first 2 shown]
	s_waitcnt vmcnt(9)
	v_cvt_pk_f32_fp8_e32 v[22:23], v2
	v_cvt_pk_f32_fp8_sdwa v[24:25], v2 src0_sel:WORD_1
	v_perm_b32 v50, v51, v50, s44
	v_perm_b32 v51, v53, v52, s44
	v_cvt_pk_f32_fp8_e32 v[80:81], v10
	v_cvt_pk_f32_fp8_sdwa v[82:83], v10 src0_sel:WORD_1
	v_cvt_pk_f32_fp8_e32 v[84:85], v11
	v_cvt_pk_f32_fp8_sdwa v[52:53], v11 src0_sel:WORD_1
	v_perm_b32 v10, v23, v22, s44
	v_perm_b32 v11, v25, v24, s44
	;; [unrolled: 1-line block ×4, first 2 shown]
	s_waitcnt lgkmcnt(0)
	v_mfma_f32_16x16x16_bf16 v[22:25], v[50:51], v[26:27], 0
	v_cvt_pk_f32_fp8_e32 v[86:87], v12
	v_cvt_pk_f32_fp8_sdwa v[50:51], v12 src0_sel:WORD_1
	v_cvt_pk_f32_fp8_e32 v[90:91], v13
	v_mfma_f32_16x16x16_bf16 v[68:71], v[10:11], v[26:27], 0
	v_perm_b32 v10, v73, v72, s44
	v_perm_b32 v11, v75, v74, s44
	;; [unrolled: 1-line block ×3, first 2 shown]
	v_mfma_f32_16x16x16_bf16 v[22:25], v[88:89], v[28:29], v[22:25]
	v_perm_b32 v75, v79, v78, s44
	v_cvt_pk_f32_fp8_sdwa v[72:73], v13 src0_sel:WORD_1
	s_waitcnt vmcnt(6)
	v_cvt_pk_f32_fp8_sdwa v[78:79], v44 src0_sel:WORD_1
	v_mfma_f32_16x16x16_bf16 v[10:13], v[10:11], v[18:19], v[22:25]
	s_nop 2
	v_perm_b32 v24, v81, v80, s44
	v_perm_b32 v25, v83, v82, s44
	v_mfma_f32_16x16x16_bf16 v[10:13], v[74:75], v[20:21], v[10:13]
	v_perm_b32 v74, v85, v84, s44
	v_perm_b32 v75, v53, v52, s44
	;; [unrolled: 1-line block ×3, first 2 shown]
	v_mfma_f32_16x16x16_bf16 v[10:13], v[24:25], v[14:15], v[10:13]
	v_perm_b32 v53, v51, v50, s44
	v_cvt_pk_f32_fp8_e32 v[22:23], v3
	v_cvt_pk_f32_fp8_sdwa v[2:3], v3 src0_sel:WORD_1
	v_mfma_f32_16x16x16_bf16 v[10:13], v[74:75], v[16:17], v[10:13]
	v_perm_b32 v50, v91, v90, s44
	v_perm_b32 v51, v73, v72, s44
	v_cvt_pk_f32_fp8_e32 v[24:25], v4
	v_cvt_pk_f32_fp8_sdwa v[74:75], v4 src0_sel:WORD_1
	v_mfma_f32_16x16x16_bf16 v[10:13], v[52:53], v[6:7], v[10:13]
	v_perm_b32 v22, v23, v22, s44
	v_perm_b32 v23, v3, v2, s44
	;; [unrolled: 1-line block ×3, first 2 shown]
	v_mfma_f32_16x16x16_bf16 v[50:53], v[50:51], v[8:9], v[10:13]
	v_perm_b32 v25, v75, v74, s44
	v_cvt_pk_f32_fp8_e32 v[72:73], v33
	v_cvt_pk_f32_fp8_sdwa v[74:75], v33 src0_sel:WORD_1
	v_cvt_pk_f32_fp8_e32 v[10:11], v5
	v_cvt_pk_f32_fp8_sdwa v[12:13], v5 src0_sel:WORD_1
	v_mfma_f32_16x16x16_bf16 v[2:5], v[22:23], v[28:29], v[68:71]
	v_cvt_pk_f32_fp8_sdwa v[22:23], v46 src0_sel:WORD_1
	v_perm_b32 v10, v11, v10, s44
	v_perm_b32 v11, v13, v12, s44
	v_mfma_f32_16x16x16_bf16 v[2:5], v[24:25], v[18:19], v[2:5]
	v_cvt_pk_f32_fp8_e32 v[12:13], v46
	v_cvt_pk_f32_fp8_e32 v[24:25], v48
	v_lshl_add_u64 v[68:69], s[4:5], 0, v[56:57]
	v_mfma_f32_16x16x16_bf16 v[2:5], v[10:11], v[20:21], v[2:5]
	v_cvt_pk_f32_fp8_e32 v[10:11], v47
	v_perm_b32 v12, v13, v12, s44
	v_perm_b32 v13, v23, v22, s44
	v_cvt_pk_f32_fp8_sdwa v[22:23], v47 src0_sel:WORD_1
	v_perm_b32 v10, v11, v10, s44
	v_cvt_pk_f32_fp8_sdwa v[46:47], v48 src0_sel:WORD_1
	v_mfma_f32_16x16x16_bf16 v[2:5], v[12:13], v[14:15], v[2:5]
	v_perm_b32 v11, v23, v22, s44
	v_perm_b32 v12, v25, v24, s44
	;; [unrolled: 1-line block ×3, first 2 shown]
	v_cvt_pk_f32_fp8_e32 v[22:23], v49
	v_cvt_pk_f32_fp8_sdwa v[24:25], v49 src0_sel:WORD_1
	v_mfma_f32_16x16x16_bf16 v[2:5], v[10:11], v[16:17], v[2:5]
	s_waitcnt vmcnt(2)
	v_mad_i64_i32 v[70:71], s[6:7], v66, s45, v[68:69]
	v_perm_b32 v10, v23, v22, s44
	v_perm_b32 v11, v25, v24, s44
	v_mfma_f32_16x16x16_bf16 v[2:5], v[12:13], v[6:7], v[2:5]
	v_cvt_pk_f32_fp8_e32 v[12:13], v30
	v_cvt_pk_f32_fp8_sdwa v[22:23], v30 src0_sel:WORD_1
	v_cvt_pk_f32_fp8_sdwa v[24:25], v32 src0_sel:WORD_1
	v_mfma_f32_16x16x16_bf16 v[46:49], v[10:11], v[8:9], v[2:5]
	v_cvt_pk_f32_fp8_sdwa v[10:11], v31 src0_sel:WORD_1
	v_or_b32_e32 v56, 0x400, v56
	s_nop 0
	v_perm_b32 v2, v13, v12, s44
	v_perm_b32 v3, v23, v22, s44
	v_cvt_pk_f32_fp8_e32 v[4:5], v31
	v_perm_b32 v23, v11, v10, s44
	v_cvt_pk_f32_fp8_e32 v[10:11], v32
	v_mad_i64_i32 v[12:13], s[6:7], v67, s45, v[68:69]
	v_perm_b32 v22, v5, v4, s44
	v_mfma_f32_16x16x16_bf16 v[2:5], v[2:3], v[26:27], 0
	v_perm_b32 v10, v11, v10, s44
	v_perm_b32 v11, v25, v24, s44
	v_mfma_f32_16x16x16_bf16 v[2:5], v[22:23], v[28:29], v[2:5]
	global_load_dwordx4 v[30:33], v[12:13], off
	global_load_dwordx4 v[22:25], v[70:71], off
	v_perm_b32 v12, v73, v72, s44
	v_perm_b32 v13, v75, v74, s44
	v_mfma_f32_16x16x16_bf16 v[2:5], v[10:11], v[18:19], v[2:5]
	v_cvt_pk_f32_fp8_e32 v[10:11], v42
	v_cvt_pk_f32_fp8_sdwa v[70:71], v42 src0_sel:WORD_1
	s_waitcnt vmcnt(3)
	v_mad_i64_i32 v[72:73], s[6:7], v64, s45, v[68:69]
	v_mfma_f32_16x16x16_bf16 v[2:5], v[12:13], v[20:21], v[2:5]
	v_perm_b32 v10, v11, v10, s44
	v_perm_b32 v11, v71, v70, s44
	v_cvt_pk_f32_fp8_e32 v[12:13], v43
	v_cvt_pk_f32_fp8_sdwa v[42:43], v43 src0_sel:WORD_1
	s_waitcnt vmcnt(2)
	v_mad_i64_i32 v[74:75], s[6:7], v65, s45, v[68:69]
	v_perm_b32 v76, v13, v12, s44
	v_perm_b32 v77, v43, v42, s44
	v_cvt_pk_f32_fp8_e32 v[42:43], v44
	v_mfma_f32_16x16x16_bf16 v[68:71], v[10:11], v[14:15], v[2:5]
	global_load_dwordx4 v[10:13], v[72:73], off
	s_nop 1
	global_load_dwordx4 v[2:5], v[74:75], off
	v_perm_b32 v73, v79, v78, s44
	v_perm_b32 v72, v43, v42, s44
	v_cvt_pk_f32_fp8_e32 v[74:75], v45
	v_cvt_pk_f32_fp8_sdwa v[44:45], v45 src0_sel:WORD_1
	v_mfma_f32_16x16x16_bf16 v[68:71], v[76:77], v[16:17], v[68:71]
	v_lshl_add_u64 v[42:43], s[4:5], 0, v[56:57]
	v_perm_b32 v56, v75, v74, s44
	v_perm_b32 v57, v45, v44, s44
	v_mfma_f32_16x16x16_bf16 v[68:71], v[72:73], v[6:7], v[68:71]
	v_cvt_pk_f32_fp8_e32 v[44:45], v38
	v_cvt_pk_f32_fp8_sdwa v[72:73], v38 src0_sel:WORD_1
	v_cvt_pk_f32_fp8_e32 v[76:77], v40
	v_mfma_f32_16x16x16_bf16 v[68:71], v[56:57], v[8:9], v[68:71]
	v_cvt_pk_f32_fp8_e32 v[56:57], v39
	v_perm_b32 v44, v45, v44, s44
	v_perm_b32 v45, v73, v72, s44
	v_cvt_pk_f32_fp8_sdwa v[38:39], v39 src0_sel:WORD_1
	v_perm_b32 v56, v57, v56, s44
	v_cvt_pk_f32_fp8_sdwa v[78:79], v40 src0_sel:WORD_1
	v_mfma_f32_16x16x16_bf16 v[72:75], v[44:45], v[26:27], 0
	v_perm_b32 v57, v39, v38, s44
	v_perm_b32 v38, v77, v76, s44
	;; [unrolled: 1-line block ×3, first 2 shown]
	v_cvt_pk_f32_fp8_e32 v[44:45], v41
	v_cvt_pk_f32_fp8_sdwa v[40:41], v41 src0_sel:WORD_1
	v_mfma_f32_16x16x16_bf16 v[26:29], v[56:57], v[28:29], v[72:75]
	s_load_dword s4, s[40:41], 0x0
	v_perm_b32 v44, v45, v44, s44
	v_perm_b32 v45, v41, v40, s44
	v_mfma_f32_16x16x16_bf16 v[26:29], v[38:39], v[18:19], v[26:29]
	v_cvt_pk_f32_fp8_e32 v[40:41], v35
	v_mov_b32_e32 v56, s8
	s_waitcnt lgkmcnt(0)
	v_mul_f32_e32 v56, s4, v56
	v_mfma_f32_16x16x16_bf16 v[18:21], v[44:45], v[20:21], v[26:29]
	v_mad_i64_i32 v[72:73], s[4:5], v67, s45, v[42:43]
	v_pk_mul_f32 v[50:51], v[56:57], v[50:51] op_sel_hi:[0,1]
	s_nop 0
	v_cvt_pk_f32_fp8_e32 v[26:27], v34
	v_cvt_pk_f32_fp8_sdwa v[28:29], v34 src0_sel:WORD_1
	v_cvt_pk_f32_fp8_sdwa v[34:35], v35 src0_sel:WORD_1
	v_pk_mul_f32 v[38:39], v[56:57], v[52:53] op_sel_hi:[0,1]
	v_perm_b32 v26, v27, v26, s44
	v_perm_b32 v27, v29, v28, s44
	;; [unrolled: 1-line block ×4, first 2 shown]
	v_cvt_pk_f32_fp8_e32 v[34:35], v36
	v_cvt_pk_f32_fp8_sdwa v[40:41], v36 src0_sel:WORD_1
	v_mfma_f32_16x16x16_bf16 v[18:21], v[26:27], v[14:15], v[18:21]
	v_pk_mul_f32 v[52:53], v[56:57], v[46:47] op_sel_hi:[0,1]
	v_perm_b32 v26, v35, v34, s44
	v_perm_b32 v27, v41, v40, s44
	v_cvt_pk_f32_fp8_e32 v[34:35], v37
	v_cvt_pk_f32_fp8_sdwa v[36:37], v37 src0_sel:WORD_1
	v_mfma_f32_16x16x16_bf16 v[14:17], v[28:29], v[16:17], v[18:21]
	v_pk_mul_f32 v[48:49], v[56:57], v[48:49] op_sel_hi:[0,1]
	v_pk_mul_f32 v[40:41], v[56:57], v[68:69] op_sel_hi:[0,1]
	;; [unrolled: 1-line block ×3, first 2 shown]
	v_perm_b32 v18, v35, v34, s44
	v_perm_b32 v19, v37, v36, s44
	v_mfma_f32_16x16x16_bf16 v[14:17], v[26:27], v[6:7], v[14:17]
	s_nop 0
	v_mfma_f32_16x16x16_bf16 v[6:9], v[18:19], v[8:9], v[14:17]
	s_nop 6
	v_pk_mul_f32 v[44:45], v[56:57], v[6:7] op_sel_hi:[0,1]
	v_and_b32_e32 v6, 0xc0, v0
	v_add_u32_e32 v6, s18, v6
	v_lshl_or_b32 v6, v61, 2, v6
	v_pk_mul_f32 v[34:35], v[56:57], v[8:9] op_sel_hi:[0,1]
	v_or_b32_e32 v9, 1, v6
	v_mov_b32_e32 v7, 0xff7fffff
	v_cmp_gt_i32_e64 s[4:5], s48, v6
	v_cmp_gt_i32_e64 s[28:29], s48, v9
	v_or_b32_e32 v14, 3, v6
	v_cndmask_b32_e64 v8, v7, v50, s[4:5]
	v_cndmask_b32_e64 v9, v7, v51, s[28:29]
	v_max3_f32 v8, v8, s46, v9
	v_or_b32_e32 v9, 2, v6
	v_cmp_gt_i32_e64 s[30:31], s48, v9
	v_cmp_gt_i32_e64 s[34:35], s48, v14
	s_nop 0
	v_cndmask_b32_e64 v9, v7, v38, s[30:31]
	v_cndmask_b32_e64 v14, v7, v39, s[34:35]
	v_max3_f32 v8, v8, v9, v14
	v_or_b32_e32 v9, 16, v6
	v_or_b32_e32 v14, 17, v6
	v_cmp_gt_i32_e64 s[36:37], s48, v9
	v_cmp_gt_i32_e64 s[38:39], s48, v14
	s_nop 0
	v_cndmask_b32_e64 v9, v7, v52, s[36:37]
	v_cndmask_b32_e64 v14, v7, v53, s[38:39]
	v_max3_f32 v8, v8, v9, v14
	v_or_b32_e32 v9, 18, v6
	;; [unrolled: 8-line block ×6, first 2 shown]
	v_or_b32_e32 v6, 51, v6
	v_cmp_gt_i32_e32 vcc, s48, v9
	v_cmp_gt_i32_e64 s[6:7], s48, v6
	s_nop 0
	v_cndmask_b32_e32 v9, v7, v34, vcc
	v_cndmask_b32_e64 v6, v7, v35, s[6:7]
	v_max3_f32 v8, v8, v9, v6
	v_mbcnt_lo_u32_b32 v6, -1, 0
	v_mbcnt_hi_u32_b32 v9, -1, v6
	v_and_b32_e32 v6, 64, v9
	v_add_u32_e32 v14, 64, v6
	v_xor_b32_e32 v6, 32, v9
	v_cmp_lt_i32_e64 s[40:41], v6, v14
	s_nop 1
	v_cndmask_b32_e64 v6, v9, v6, s[40:41]
	v_lshlrev_b32_e32 v57, 2, v6
	ds_bpermute_b32 v15, v57, v8
	v_mad_i64_i32 v[6:7], s[40:41], v66, s45, v[42:43]
	global_load_dwordx4 v[26:29], v[72:73], off
	global_load_dwordx4 v[18:21], v[6:7], off
	s_waitcnt lgkmcnt(0)
	v_max_f32_e32 v6, v15, v15
	v_max_f32_e32 v15, v8, v6
	v_xor_b32_e32 v6, 16, v9
	v_cmp_lt_i32_e64 s[40:41], v6, v14
	s_nop 1
	v_cndmask_b32_e64 v6, v9, v6, s[40:41]
	v_lshlrev_b32_e32 v66, 2, v6
	ds_bpermute_b32 v14, v66, v15
	v_mad_i64_i32 v[6:7], s[40:41], v64, s45, v[42:43]
	v_mad_i64_i32 v[8:9], s[40:41], v65, s45, v[42:43]
	s_waitcnt lgkmcnt(0)
	v_max_f32_e32 v14, v14, v14
	v_max_f32_e32 v56, v15, v14
	v_sub_f32_e32 v14, v50, v56
	v_mul_f32_e32 v14, 0x3fb8aa3b, v14
	v_exp_f32_e32 v36, v14
	v_sub_f32_e32 v14, v51, v56
	v_mul_f32_e32 v14, 0x3fb8aa3b, v14
	v_exp_f32_e32 v37, v14
	global_load_dwordx4 v[14:17], v[6:7], off
	s_nop 0
	global_load_dwordx4 v[6:9], v[8:9], off
	v_sub_f32_e32 v38, v38, v56
	v_mul_f32_e32 v38, 0x3fb8aa3b, v38
	v_sub_f32_e32 v39, v39, v56
	v_exp_f32_e32 v38, v38
	v_mul_f32_e32 v39, 0x3fb8aa3b, v39
	v_exp_f32_e32 v39, v39
	v_cndmask_b32_e64 v36, 0, v36, s[4:5]
	v_add_f32_e32 v42, 0, v36
	v_cndmask_b32_e64 v37, 0, v37, s[28:29]
	v_add_f32_e32 v43, v42, v37
	v_cndmask_b32_e64 v42, 0, v38, s[30:31]
	v_add_f32_e32 v38, v43, v42
	v_cndmask_b32_e64 v43, 0, v39, s[34:35]
	v_sub_f32_e32 v39, v52, v56
	v_mul_f32_e32 v39, 0x3fb8aa3b, v39
	v_sub_f32_e32 v50, v53, v56
	v_exp_f32_e32 v39, v39
	v_mul_f32_e32 v50, 0x3fb8aa3b, v50
	v_sub_f32_e32 v48, v48, v56
	v_exp_f32_e32 v50, v50
	;; [unrolled: 3-line block ×4, first 2 shown]
	v_mul_f32_e32 v40, 0x3fb8aa3b, v40
	v_sub_f32_e32 v41, v41, v56
	v_add_f32_e32 v51, v38, v43
	v_cndmask_b32_e64 v38, 0, v39, s[36:37]
	v_exp_f32_e32 v40, v40
	v_mul_f32_e32 v41, 0x3fb8aa3b, v41
	v_sub_f32_e32 v46, v46, v56
	v_add_f32_e32 v51, v51, v38
	v_cndmask_b32_e64 v39, 0, v50, s[38:39]
	v_exp_f32_e32 v41, v41
	;; [unrolled: 5-line block ×7, first 2 shown]
	v_mul_f32_e32 v35, 0x3fb8aa3b, v35
	v_add_f32_e32 v50, v50, v46
	v_cndmask_b32_e64 v47, 0, v47, s[14:15]
	v_exp_f32_e32 v35, v35
	v_add_f32_e32 v50, v50, v47
	v_cndmask_b32_e64 v44, 0, v44, s[8:9]
	v_add_f32_e32 v50, v50, v44
	v_cndmask_b32_e64 v45, 0, v45, s[10:11]
	v_add_f32_e32 v50, v50, v45
	v_cndmask_b32_e32 v34, 0, v34, vcc
	v_add_f32_e32 v50, v50, v34
	v_cndmask_b32_e64 v35, 0, v35, s[6:7]
	v_add_f32_e32 v50, v50, v35
	ds_bpermute_b32 v51, v57, v50
	v_cmp_gt_u32_e32 vcc, 16, v63
	s_waitcnt lgkmcnt(0)
	s_barrier
	v_add_f32_e32 v50, v50, v51
	ds_bpermute_b32 v51, v66, v50
	s_and_saveexec_b64 s[4:5], vcc
	s_cbranch_execz .LBB1287_13
; %bb.12:
	s_waitcnt lgkmcnt(0)
	v_add_f32_e32 v50, v50, v51
	v_lshlrev_b32_e32 v51, 2, v55
	ds_write2st64_b32 v51, v56, v50 offset1:1
.LBB1287_13:
	s_or_b64 exec, exec, s[4:5]
	s_waitcnt lgkmcnt(0)
	v_lshlrev_b32_e32 v51, 2, v58
	s_load_dword s6, s[0:1], 0x94
	s_waitcnt lgkmcnt(0)
	s_barrier
	ds_read2_b32 v[52:53], v51 offset1:16
	ds_read2_b32 v[56:57], v51 offset0:32 offset1:48
	ds_read2_b32 v[64:65], v51 offset0:64 offset1:80
	s_movk_i32 s8, 0x7fff
	s_lshl_b32 s7, s33, 2
	s_waitcnt lgkmcnt(2)
	v_max3_f32 v50, v52, s46, v53
	s_waitcnt lgkmcnt(1)
	v_max3_f32 v50, v50, v56, v57
	v_sub_f32_e32 v52, v52, v50
	v_mul_f32_e32 v52, 0x3fb8aa3b, v52
	v_exp_f32_e32 v55, v52
	v_sub_f32_e32 v52, v53, v50
	v_mul_f32_e32 v52, 0x3fb8aa3b, v52
	v_exp_f32_e32 v63, v52
	;; [unrolled: 3-line block ×3, first 2 shown]
	ds_read2_b32 v[52:53], v51 offset0:96 offset1:112
	v_sub_f32_e32 v51, v57, v50
	v_mul_f32_e32 v51, 0x3fb8aa3b, v51
	v_exp_f32_e32 v57, v51
	s_waitcnt lgkmcnt(1)
	v_fma_f32 v51, v55, v64, 0
	v_fmac_f32_e32 v51, v63, v65
	s_waitcnt lgkmcnt(0)
	v_fmac_f32_e32 v51, v56, v52
	v_fmac_f32_e32 v51, v57, v53
	v_add_f32_e32 v52, 0x358637bd, v51
	v_div_scale_f32 v53, s[4:5], v52, v52, 1.0
	v_rcp_f32_e32 v64, v53
	s_barrier
	v_fma_f32 v65, -v53, v64, 1.0
	v_fmac_f32_e32 v64, v65, v64
	v_div_scale_f32 v65, vcc, 1.0, v52, 1.0
	v_mul_f32_e32 v66, v65, v64
	v_fma_f32 v67, -v53, v66, v65
	v_fmac_f32_e32 v66, v67, v64
	v_fma_f32 v53, -v53, v66, v65
	v_div_fmas_f32 v53, v53, v64, v66
	v_cmp_eq_u32_e32 vcc, 1, v62
	v_div_fixup_f32 v52, v53, v52, 1.0
	s_nop 0
	v_cndmask_b32_e32 v53, v55, v63, vcc
	v_cmp_eq_u32_e32 vcc, 2, v62
	s_nop 1
	v_cndmask_b32_e32 v53, v53, v56, vcc
	v_cmp_eq_u32_e32 vcc, 3, v62
	s_nop 1
	v_cndmask_b32_e32 v53, v53, v57, vcc
	v_mul_f32_e32 v52, v53, v52
	v_pk_mul_f32 v[36:37], v[52:53], v[36:37] op_sel_hi:[0,1]
	v_pk_mul_f32 v[42:43], v[52:53], v[42:43] op_sel_hi:[0,1]
	v_bfe_u32 v53, v37, 16, 1
	v_bfe_u32 v55, v36, 16, 1
	v_add3_u32 v36, v36, v55, s8
	v_add3_u32 v37, v37, v53, s8
	v_perm_b32 v56, v37, v36, s44
	v_bfe_u32 v36, v43, 16, 1
	v_bfe_u32 v37, v42, 16, 1
	v_add3_u32 v37, v42, v37, s8
	v_add3_u32 v36, v43, v36, s8
	v_perm_b32 v57, v36, v37, s44
	v_lshlrev_b32_e32 v37, 3, v61
	v_lshlrev_b32_e32 v36, 5, v58
	;; [unrolled: 1-line block ×3, first 2 shown]
	v_pk_mul_f32 v[38:39], v[52:53], v[38:39] op_sel_hi:[0,1]
	v_or3_b32 v55, v42, v36, v37
	v_pk_mul_f32 v[42:43], v[52:53], v[48:49] op_sel_hi:[0,1]
	v_bfe_u32 v37, v39, 16, 1
	v_bfe_u32 v48, v38, 16, 1
	v_add3_u32 v38, v38, v48, s8
	v_add3_u32 v37, v39, v37, s8
	v_perm_b32 v38, v37, v38, s44
	v_bfe_u32 v37, v43, 16, 1
	v_bfe_u32 v39, v42, 16, 1
	v_add3_u32 v39, v42, v39, s8
	v_add3_u32 v37, v43, v37, s8
	v_pk_mul_f32 v[40:41], v[52:53], v[40:41] op_sel_hi:[0,1]
	v_perm_b32 v39, v37, v39, s44
	v_bfe_u32 v37, v41, 16, 1
	v_bfe_u32 v42, v40, 16, 1
	ds_write2st64_b64 v55, v[56:57], v[38:39] offset1:1
	v_pk_mul_f32 v[38:39], v[52:53], v[46:47] op_sel_hi:[0,1]
	v_add3_u32 v40, v40, v42, s8
	v_add3_u32 v37, v41, v37, s8
	v_perm_b32 v40, v37, v40, s44
	v_bfe_u32 v37, v39, 16, 1
	v_bfe_u32 v41, v38, 16, 1
	v_add3_u32 v38, v38, v41, s8
	v_add3_u32 v37, v39, v37, s8
	v_perm_b32 v41, v37, v38, s44
	v_pk_mul_f32 v[38:39], v[52:53], v[44:45] op_sel_hi:[0,1]
	v_bfe_u32 v37, v39, 16, 1
	v_bfe_u32 v42, v38, 16, 1
	v_pk_mul_f32 v[34:35], v[52:53], v[34:35] op_sel_hi:[0,1]
	v_add3_u32 v38, v38, v42, s8
	v_add3_u32 v37, v39, v37, s8
	v_perm_b32 v38, v37, v38, s44
	v_bfe_u32 v37, v35, 16, 1
	v_bfe_u32 v39, v34, 16, 1
	v_add3_u32 v34, v34, v39, s8
	v_add3_u32 v35, v35, v37, s8
	v_perm_b32 v39, v35, v34, s44
	v_cmp_gt_u32_e32 vcc, 4, v0
	ds_write2st64_b64 v55, v[40:41], v[38:39] offset0:2 offset1:3
	s_and_saveexec_b64 s[4:5], vcc
	s_cbranch_execz .LBB1287_15
; %bb.14:
	v_or_b32_e32 v34, s25, v0
	v_mov_b32_e32 v35, 0
	v_mov_b32_e32 v37, s7
	v_mad_u64_u32 v[38:39], s[10:11], s2, v37, v[34:35]
	v_mov_b32_e32 v34, s24
	s_load_dwordx4 s[12:15], s[0:1], 0x58
	s_mul_i32 s3, s3, s7
	v_mad_u64_u32 v[34:35], s[10:11], v38, s6, v[34:35]
	v_add_u32_e32 v37, s3, v39
	v_mov_b32_e32 v38, v35
	v_mad_u64_u32 v[38:39], s[10:11], v37, s6, v[38:39]
	v_mov_b32_e32 v35, v38
	v_lshlrev_b64 v[34:35], 2, v[34:35]
	s_waitcnt lgkmcnt(0)
	v_lshl_add_u64 v[38:39], s[14:15], 0, v[34:35]
	v_lshl_add_u64 v[34:35], s[12:13], 0, v[34:35]
	global_store_dword v[38:39], v50, off
	global_store_dword v[34:35], v51, off
.LBB1287_15:
	s_or_b64 exec, exec, s[4:5]
	v_lshl_or_b32 v50, v61, 9, v36
	s_waitcnt vmcnt(7)
	v_cvt_pk_f32_fp8_e32 v[34:35], v30
	v_cvt_pk_f32_fp8_sdwa v[36:37], v30 src0_sel:WORD_1
	s_mov_b32 s5, 0x7060302
	s_waitcnt lgkmcnt(0)
	s_barrier
	v_cvt_pk_f32_fp8_e32 v[38:39], v31
	v_perm_b32 v30, v35, v34, s5
	v_cvt_pk_f32_fp8_sdwa v[40:41], v31 src0_sel:WORD_1
	v_perm_b32 v31, v37, v36, s5
	ds_read_b128 v[34:37], v50
	v_perm_b32 v46, v39, v38, s5
	v_perm_b32 v47, v41, v40, s5
	ds_read_b128 v[38:41], v50 offset:16
	v_cvt_pk_f32_fp8_e32 v[48:49], v32
	v_cvt_pk_f32_fp8_sdwa v[52:53], v32 src0_sel:WORD_1
	s_waitcnt lgkmcnt(1)
	v_mfma_f32_16x16x16_bf16 v[42:45], v[30:31], v[34:35], 0
	s_waitcnt vmcnt(6)
	v_cvt_pk_f32_fp8_e32 v[56:57], v24
	v_perm_b32 v30, v49, v48, s5
	v_perm_b32 v31, v53, v52, s5
	v_cvt_pk_f32_fp8_e32 v[48:49], v33
	v_mfma_f32_16x16x16_bf16 v[42:45], v[46:47], v[36:37], v[42:45]
	v_cvt_pk_f32_fp8_sdwa v[46:47], v33 src0_sel:WORD_1
	v_cvt_pk_f32_fp8_sdwa v[62:63], v24 src0_sel:WORD_1
	v_perm_b32 v48, v49, v48, s5
	s_waitcnt lgkmcnt(0)
	v_mfma_f32_16x16x16_bf16 v[30:33], v[30:31], v[38:39], v[42:45]
	v_perm_b32 v49, v47, v46, s5
	s_waitcnt vmcnt(5)
	v_cvt_pk_f32_fp8_sdwa v[66:67], v12 src0_sel:WORD_1
	s_waitcnt vmcnt(4)
	v_cvt_pk_f32_fp8_sdwa v[68:69], v4 src0_sel:WORD_1
	v_cvt_pk_f32_fp8_e32 v[42:43], v22
	v_mfma_f32_16x16x16_bf16 v[46:49], v[48:49], v[40:41], v[30:33]
	s_load_dword s4, s[42:43], 0x0
	s_waitcnt vmcnt(3)
	v_cvt_pk_f32_fp8_sdwa v[70:71], v28 src0_sel:WORD_1
	v_cvt_pk_f32_fp8_sdwa v[30:31], v22 src0_sel:WORD_1
	v_cvt_pk_f32_fp8_e32 v[32:33], v23
	v_perm_b32 v22, v43, v42, s5
	v_cvt_pk_f32_fp8_sdwa v[42:43], v23 src0_sel:WORD_1
	v_perm_b32 v23, v31, v30, s5
	v_perm_b32 v52, v33, v32, s5
	ds_read_b128 v[30:33], v50 offset:2048
	v_perm_b32 v53, v43, v42, s5
	ds_read_b128 v[42:45], v50 offset:2064
	s_waitcnt lgkmcnt(0)
	v_mfma_f32_16x16x16_bf16 v[46:49], v[22:23], v[30:31], v[46:49]
	v_perm_b32 v22, v57, v56, s5
	v_perm_b32 v23, v63, v62, s5
	v_cvt_pk_f32_fp8_e32 v[56:57], v25
	v_mfma_f32_16x16x16_bf16 v[46:49], v[52:53], v[32:33], v[46:49]
	v_cvt_pk_f32_fp8_sdwa v[52:53], v25 src0_sel:WORD_1
	s_mov_b32 s3, 0
	v_perm_b32 v56, v57, v56, s5
	v_mfma_f32_16x16x16_bf16 v[22:25], v[22:23], v[42:43], v[46:49]
	v_perm_b32 v57, v53, v52, s5
	s_nop 1
	v_cvt_pk_f32_fp8_e32 v[46:47], v10
	v_mfma_f32_16x16x16_bf16 v[62:65], v[56:57], v[44:45], v[22:25]
	v_cvt_pk_f32_fp8_e32 v[56:57], v12
	s_nop 1
	v_cvt_pk_f32_fp8_sdwa v[22:23], v10 src0_sel:WORD_1
	v_cvt_pk_f32_fp8_e32 v[24:25], v11
	v_perm_b32 v10, v47, v46, s5
	v_cvt_pk_f32_fp8_sdwa v[46:47], v11 src0_sel:WORD_1
	v_perm_b32 v11, v23, v22, s5
	v_perm_b32 v52, v25, v24, s5
	ds_read_b128 v[22:25], v50 offset:4096
	v_perm_b32 v53, v47, v46, s5
	ds_read_b128 v[46:49], v50 offset:4112
	s_waitcnt lgkmcnt(1)
	v_mfma_f32_16x16x16_bf16 v[62:65], v[10:11], v[22:23], v[62:65]
	v_perm_b32 v10, v57, v56, s5
	v_perm_b32 v11, v67, v66, s5
	v_cvt_pk_f32_fp8_e32 v[56:57], v13
	v_mfma_f32_16x16x16_bf16 v[62:65], v[52:53], v[24:25], v[62:65]
	v_cvt_pk_f32_fp8_sdwa v[52:53], v13 src0_sel:WORD_1
	v_cvt_pk_f32_fp8_e32 v[66:67], v4
	v_perm_b32 v56, v57, v56, s5
	s_waitcnt lgkmcnt(0)
	v_mfma_f32_16x16x16_bf16 v[10:13], v[10:11], v[46:47], v[62:65]
	v_perm_b32 v57, v53, v52, s5
	v_cvt_pk_f32_fp8_e32 v[52:53], v2
	s_nop 0
	v_mfma_f32_16x16x16_bf16 v[62:65], v[56:57], v[48:49], v[10:13]
	s_nop 2
	v_cvt_pk_f32_fp8_sdwa v[10:11], v2 src0_sel:WORD_1
	v_cvt_pk_f32_fp8_e32 v[12:13], v3
	v_perm_b32 v2, v53, v52, s5
	v_cvt_pk_f32_fp8_sdwa v[52:53], v3 src0_sel:WORD_1
	v_perm_b32 v3, v11, v10, s5
	v_perm_b32 v56, v13, v12, s5
	ds_read_b128 v[10:13], v50 offset:6144
	v_perm_b32 v57, v53, v52, s5
	s_waitcnt lgkmcnt(0)
	v_mfma_f32_16x16x16_bf16 v[62:65], v[2:3], v[10:11], v[62:65]
	ds_read_b128 v[50:53], v50 offset:6160
	v_perm_b32 v2, v67, v66, s5
	v_perm_b32 v3, v69, v68, s5
	v_cvt_pk_f32_fp8_e32 v[66:67], v5
	v_mfma_f32_16x16x16_bf16 v[62:65], v[56:57], v[12:13], v[62:65]
	v_cvt_pk_f32_fp8_sdwa v[56:57], v5 src0_sel:WORD_1
	v_cvt_pk_f32_fp8_e32 v[68:69], v28
	v_perm_b32 v66, v67, v66, s5
	s_waitcnt lgkmcnt(0)
	v_mfma_f32_16x16x16_bf16 v[2:5], v[2:3], v[50:51], v[62:65]
	v_perm_b32 v67, v57, v56, s5
	v_cvt_pk_f32_fp8_sdwa v[56:57], v26 src0_sel:WORD_1
	s_nop 0
	v_mfma_f32_16x16x16_bf16 v[62:65], v[66:67], v[52:53], v[2:5]
	s_barrier
	s_nop 1
	v_cvt_pk_f32_fp8_e32 v[4:5], v26
	s_nop 2
	v_pk_mul_f32 v[66:67], v[62:63], s[4:5] op_sel_hi:[1,0]
	v_cvt_pk_f32_fp8_e32 v[62:63], v27
	v_perm_b32 v4, v5, v4, s5
	v_perm_b32 v5, v57, v56, s5
	v_cvt_pk_f32_fp8_sdwa v[26:27], v27 src0_sel:WORD_1
	v_perm_b32 v56, v63, v62, s5
	v_pk_mul_f32 v[2:3], v[64:65], s[4:5] op_sel_hi:[1,0]
	v_mfma_f32_16x16x16_bf16 v[62:65], v[4:5], v[34:35], 0
	v_perm_b32 v57, v27, v26, s5
	v_perm_b32 v4, v69, v68, s5
	;; [unrolled: 1-line block ×3, first 2 shown]
	v_cvt_pk_f32_fp8_e32 v[34:35], v29
	v_cvt_pk_f32_fp8_sdwa v[68:69], v29 src0_sel:WORD_1
	v_mfma_f32_16x16x16_bf16 v[26:29], v[56:57], v[36:37], v[62:65]
	s_waitcnt vmcnt(2)
	v_cvt_pk_f32_fp8_sdwa v[36:37], v18 src0_sel:WORD_1
	v_perm_b32 v34, v35, v34, s5
	v_perm_b32 v35, v69, v68, s5
	v_mfma_f32_16x16x16_bf16 v[26:29], v[4:5], v[38:39], v[26:29]
	v_cvt_pk_f32_fp8_e32 v[4:5], v18
	v_cvt_pk_f32_fp8_sdwa v[38:39], v20 src0_sel:WORD_1
	v_bfe_u32 v56, v67, 16, 1
	v_mfma_f32_16x16x16_bf16 v[26:29], v[34:35], v[40:41], v[26:29]
	v_cvt_pk_f32_fp8_e32 v[34:35], v19
	v_perm_b32 v4, v5, v4, s5
	v_perm_b32 v5, v37, v36, s5
	v_cvt_pk_f32_fp8_sdwa v[18:19], v19 src0_sel:WORD_1
	v_perm_b32 v34, v35, v34, s5
	v_cvt_pk_f32_fp8_e32 v[36:37], v20
	v_mfma_f32_16x16x16_bf16 v[26:29], v[4:5], v[30:31], v[26:29]
	v_perm_b32 v35, v19, v18, s5
	v_perm_b32 v4, v37, v36, s5
	;; [unrolled: 1-line block ×3, first 2 shown]
	v_cvt_pk_f32_fp8_e32 v[30:31], v21
	v_cvt_pk_f32_fp8_sdwa v[36:37], v21 src0_sel:WORD_1
	v_mfma_f32_16x16x16_bf16 v[18:21], v[34:35], v[32:33], v[26:29]
	v_bfe_u32 v57, v66, 16, 1
	v_add3_u32 v32, v66, v57, s8
	v_add3_u32 v33, v67, v56, s8
	v_perm_b32 v26, v31, v30, s5
	v_perm_b32 v27, v37, v36, s5
	v_mfma_f32_16x16x16_bf16 v[18:21], v[4:5], v[42:43], v[18:21]
	s_waitcnt vmcnt(1)
	v_cvt_pk_f32_fp8_e32 v[4:5], v14
	v_cvt_pk_f32_fp8_sdwa v[28:29], v14 src0_sel:WORD_1
	v_cvt_pk_f32_fp8_sdwa v[30:31], v16 src0_sel:WORD_1
	v_mfma_f32_16x16x16_bf16 v[18:21], v[26:27], v[44:45], v[18:21]
	v_cvt_pk_f32_fp8_e32 v[26:27], v15
	v_perm_b32 v4, v5, v4, s5
	v_perm_b32 v5, v29, v28, s5
	v_cvt_pk_f32_fp8_sdwa v[14:15], v15 src0_sel:WORD_1
	v_perm_b32 v26, v27, v26, s5
	v_cvt_pk_f32_fp8_e32 v[28:29], v16
	v_mfma_f32_16x16x16_bf16 v[18:21], v[4:5], v[22:23], v[18:21]
	v_perm_b32 v27, v15, v14, s5
	v_perm_b32 v4, v29, v28, s5
	;; [unrolled: 1-line block ×3, first 2 shown]
	v_cvt_pk_f32_fp8_e32 v[22:23], v17
	v_cvt_pk_f32_fp8_sdwa v[28:29], v17 src0_sel:WORD_1
	v_mfma_f32_16x16x16_bf16 v[14:17], v[26:27], v[24:25], v[18:21]
	s_waitcnt vmcnt(0)
	v_cvt_pk_f32_fp8_sdwa v[24:25], v8 src0_sel:WORD_1
	s_nop 0
	v_perm_b32 v20, v23, v22, s5
	v_perm_b32 v21, v29, v28, s5
	v_mfma_f32_16x16x16_bf16 v[14:17], v[4:5], v[46:47], v[14:17]
	v_cvt_pk_f32_fp8_e32 v[4:5], v6
	v_cvt_pk_f32_fp8_sdwa v[22:23], v6 src0_sel:WORD_1
	v_bfe_u32 v19, v3, 16, 1
	v_mfma_f32_16x16x16_bf16 v[14:17], v[20:21], v[48:49], v[14:17]
	v_cvt_pk_f32_fp8_e32 v[20:21], v7
	v_perm_b32 v4, v5, v4, s5
	v_perm_b32 v5, v23, v22, s5
	v_cvt_pk_f32_fp8_sdwa v[6:7], v7 src0_sel:WORD_1
	v_perm_b32 v20, v21, v20, s5
	v_cvt_pk_f32_fp8_e32 v[22:23], v8
	v_add3_u32 v3, v3, v19, s8
	v_perm_b32 v21, v7, v6, s5
	v_mfma_f32_16x16x16_bf16 v[4:7], v[4:5], v[10:11], v[14:17]
	v_perm_b32 v10, v23, v22, s5
	v_perm_b32 v11, v25, v24, s5
	;; [unrolled: 1-line block ×3, first 2 shown]
	v_cvt_pk_f32_fp8_e32 v[14:15], v9
	v_cvt_pk_f32_fp8_sdwa v[8:9], v9 src0_sel:WORD_1
	v_mfma_f32_16x16x16_bf16 v[4:7], v[20:21], v[12:13], v[4:7]
	v_bfe_u32 v16, v2, 16, 1
	v_perm_b32 v12, v15, v14, s5
	v_perm_b32 v13, v9, v8, s5
	v_mfma_f32_16x16x16_bf16 v[4:7], v[10:11], v[50:51], v[4:7]
	v_add3_u32 v2, v2, v16, s8
	v_perm_b32 v19, v3, v2, s5
	v_mfma_f32_16x16x16_bf16 v[2:5], v[12:13], v[52:53], v[4:7]
	s_nop 6
	v_pk_mul_f32 v[2:3], v[2:3], s[4:5] op_sel_hi:[1,0]
	v_pk_mul_f32 v[4:5], v[4:5], s[4:5] op_sel_hi:[1,0]
	v_bfe_u32 v6, v3, 16, 1
	v_bfe_u32 v7, v2, 16, 1
	v_add3_u32 v2, v2, v7, s8
	v_add3_u32 v3, v3, v6, s8
	v_perm_b32 v2, v3, v2, s5
	v_bfe_u32 v3, v5, 16, 1
	v_bfe_u32 v6, v4, 16, 1
	v_add3_u32 v4, v4, v6, s8
	v_add3_u32 v3, v5, v3, s8
	v_perm_b32 v3, v3, v4, s5
	ds_write2st64_b64 v55, v[18:19], v[2:3] offset1:1
	s_waitcnt lgkmcnt(0)
	s_barrier
	s_and_saveexec_b64 s[4:5], s[26:27]
	s_cbranch_execz .LBB1287_17
; %bb.16:
	s_load_dwordx2 s[0:1], s[0:1], 0x68
	s_lshl_b32 s6, s6, 7
	s_mul_i32 s2, s7, s2
	v_lshlrev_b32_e32 v3, 6, v58
	s_mul_hi_u32 s5, s2, s6
	s_mul_i32 s4, s2, s6
	v_lshl_or_b32 v0, v0, 10, v3
	s_lshl_b64 s[4:5], s[4:5], 1
	v_and_b32_e32 v2, 16, v60
	v_and_b32_e32 v0, 0x1a00, v0
	s_waitcnt lgkmcnt(0)
	s_add_u32 s4, s0, s4
	v_or3_b32 v0, v0, v59, v2
	s_addc_u32 s5, s1, s5
	s_lshl_b32 s2, s24, 7
	ds_read_b128 v[2:5], v0
	s_lshl_b64 s[0:1], s[2:3], 1
	s_add_u32 s0, s4, s0
	s_addc_u32 s1, s5, s1
	v_mad_u64_u32 v[0:1], s[2:3], s6, v1, 0
	v_lshl_add_u64 v[0:1], v[0:1], 1, s[0:1]
	v_mov_b32_e32 v55, 0
	v_lshl_add_u64 v[0:1], v[0:1], 0, v[54:55]
	s_waitcnt lgkmcnt(0)
	global_store_dwordx4 v[0:1], v[2:5], off
.LBB1287_17:
	s_endpgm
	.section	.rodata,"a",@progbits
	.p2align	6, 0x0
	.amdhsa_kernel _Z39paged_attention_ll4mi_QKV_mfma16_kernelI14__hip_bfloat16hLN4vllm18Fp8KVCacheDataTypeE1EhLi16ELi128ELi256ELb0ELi4EEvPKT_PKT0_S8_ifPKiSA_SA_iPKfiiiPfSD_PS3_PT2_iSC_SC_
		.amdhsa_group_segment_fixed_size 8192
		.amdhsa_private_segment_fixed_size 0
		.amdhsa_kernarg_size 400
		.amdhsa_user_sgpr_count 2
		.amdhsa_user_sgpr_dispatch_ptr 0
		.amdhsa_user_sgpr_queue_ptr 0
		.amdhsa_user_sgpr_kernarg_segment_ptr 1
		.amdhsa_user_sgpr_dispatch_id 0
		.amdhsa_user_sgpr_kernarg_preload_length 0
		.amdhsa_user_sgpr_kernarg_preload_offset 0
		.amdhsa_user_sgpr_private_segment_size 0
		.amdhsa_uses_dynamic_stack 0
		.amdhsa_enable_private_segment 0
		.amdhsa_system_sgpr_workgroup_id_x 1
		.amdhsa_system_sgpr_workgroup_id_y 1
		.amdhsa_system_sgpr_workgroup_id_z 1
		.amdhsa_system_sgpr_workgroup_info 0
		.amdhsa_system_vgpr_workitem_id 0
		.amdhsa_next_free_vgpr 92
		.amdhsa_next_free_sgpr 49
		.amdhsa_accum_offset 92
		.amdhsa_reserve_vcc 1
		.amdhsa_float_round_mode_32 0
		.amdhsa_float_round_mode_16_64 0
		.amdhsa_float_denorm_mode_32 3
		.amdhsa_float_denorm_mode_16_64 3
		.amdhsa_dx10_clamp 1
		.amdhsa_ieee_mode 1
		.amdhsa_fp16_overflow 0
		.amdhsa_tg_split 0
		.amdhsa_exception_fp_ieee_invalid_op 0
		.amdhsa_exception_fp_denorm_src 0
		.amdhsa_exception_fp_ieee_div_zero 0
		.amdhsa_exception_fp_ieee_overflow 0
		.amdhsa_exception_fp_ieee_underflow 0
		.amdhsa_exception_fp_ieee_inexact 0
		.amdhsa_exception_int_div_zero 0
	.end_amdhsa_kernel
	.section	.text._Z39paged_attention_ll4mi_QKV_mfma16_kernelI14__hip_bfloat16hLN4vllm18Fp8KVCacheDataTypeE1EhLi16ELi128ELi256ELb0ELi4EEvPKT_PKT0_S8_ifPKiSA_SA_iPKfiiiPfSD_PS3_PT2_iSC_SC_,"axG",@progbits,_Z39paged_attention_ll4mi_QKV_mfma16_kernelI14__hip_bfloat16hLN4vllm18Fp8KVCacheDataTypeE1EhLi16ELi128ELi256ELb0ELi4EEvPKT_PKT0_S8_ifPKiSA_SA_iPKfiiiPfSD_PS3_PT2_iSC_SC_,comdat
.Lfunc_end1287:
	.size	_Z39paged_attention_ll4mi_QKV_mfma16_kernelI14__hip_bfloat16hLN4vllm18Fp8KVCacheDataTypeE1EhLi16ELi128ELi256ELb0ELi4EEvPKT_PKT0_S8_ifPKiSA_SA_iPKfiiiPfSD_PS3_PT2_iSC_SC_, .Lfunc_end1287-_Z39paged_attention_ll4mi_QKV_mfma16_kernelI14__hip_bfloat16hLN4vllm18Fp8KVCacheDataTypeE1EhLi16ELi128ELi256ELb0ELi4EEvPKT_PKT0_S8_ifPKiSA_SA_iPKfiiiPfSD_PS3_PT2_iSC_SC_
                                        ; -- End function
	.section	.AMDGPU.csdata,"",@progbits
; Kernel info:
; codeLenInByte = 6216
; NumSgprs: 55
; NumVgprs: 92
; NumAgprs: 0
; TotalNumVgprs: 92
; ScratchSize: 0
; MemoryBound: 0
; FloatMode: 240
; IeeeMode: 1
; LDSByteSize: 8192 bytes/workgroup (compile time only)
; SGPRBlocks: 6
; VGPRBlocks: 11
; NumSGPRsForWavesPerEU: 55
; NumVGPRsForWavesPerEU: 92
; AccumOffset: 92
; Occupancy: 5
; WaveLimiterHint : 1
; COMPUTE_PGM_RSRC2:SCRATCH_EN: 0
; COMPUTE_PGM_RSRC2:USER_SGPR: 2
; COMPUTE_PGM_RSRC2:TRAP_HANDLER: 0
; COMPUTE_PGM_RSRC2:TGID_X_EN: 1
; COMPUTE_PGM_RSRC2:TGID_Y_EN: 1
; COMPUTE_PGM_RSRC2:TGID_Z_EN: 1
; COMPUTE_PGM_RSRC2:TIDIG_COMP_CNT: 0
; COMPUTE_PGM_RSRC3_GFX90A:ACCUM_OFFSET: 22
; COMPUTE_PGM_RSRC3_GFX90A:TG_SPLIT: 0
	.section	.text._Z38paged_attention_ll4mi_QKV_mfma4_kernelI14__hip_bfloat16hLN4vllm18Fp8KVCacheDataTypeE1ES0_Li16ELi128ELi256ELb1ELi1EEvPKT_PKT0_S8_ifPKiSA_SA_iPKfiiiPfSD_PS3_PT2_iSC_SC_,"axG",@progbits,_Z38paged_attention_ll4mi_QKV_mfma4_kernelI14__hip_bfloat16hLN4vllm18Fp8KVCacheDataTypeE1ES0_Li16ELi128ELi256ELb1ELi1EEvPKT_PKT0_S8_ifPKiSA_SA_iPKfiiiPfSD_PS3_PT2_iSC_SC_,comdat
	.protected	_Z38paged_attention_ll4mi_QKV_mfma4_kernelI14__hip_bfloat16hLN4vllm18Fp8KVCacheDataTypeE1ES0_Li16ELi128ELi256ELb1ELi1EEvPKT_PKT0_S8_ifPKiSA_SA_iPKfiiiPfSD_PS3_PT2_iSC_SC_ ; -- Begin function _Z38paged_attention_ll4mi_QKV_mfma4_kernelI14__hip_bfloat16hLN4vllm18Fp8KVCacheDataTypeE1ES0_Li16ELi128ELi256ELb1ELi1EEvPKT_PKT0_S8_ifPKiSA_SA_iPKfiiiPfSD_PS3_PT2_iSC_SC_
	.globl	_Z38paged_attention_ll4mi_QKV_mfma4_kernelI14__hip_bfloat16hLN4vllm18Fp8KVCacheDataTypeE1ES0_Li16ELi128ELi256ELb1ELi1EEvPKT_PKT0_S8_ifPKiSA_SA_iPKfiiiPfSD_PS3_PT2_iSC_SC_
	.p2align	8
	.type	_Z38paged_attention_ll4mi_QKV_mfma4_kernelI14__hip_bfloat16hLN4vllm18Fp8KVCacheDataTypeE1ES0_Li16ELi128ELi256ELb1ELi1EEvPKT_PKT0_S8_ifPKiSA_SA_iPKfiiiPfSD_PS3_PT2_iSC_SC_,@function
_Z38paged_attention_ll4mi_QKV_mfma4_kernelI14__hip_bfloat16hLN4vllm18Fp8KVCacheDataTypeE1ES0_Li16ELi128ELi256ELb1ELi1EEvPKT_PKT0_S8_ifPKiSA_SA_iPKfiiiPfSD_PS3_PT2_iSC_SC_: ; @_Z38paged_attention_ll4mi_QKV_mfma4_kernelI14__hip_bfloat16hLN4vllm18Fp8KVCacheDataTypeE1ES0_Li16ELi128ELi256ELb1ELi1EEvPKT_PKT0_S8_ifPKiSA_SA_iPKfiiiPfSD_PS3_PT2_iSC_SC_
; %bb.0:
	s_load_dwordx2 s[8:9], s[0:1], 0x30
	s_mov_b32 s20, s3
	s_mov_b64 s[6:7], 0
	s_waitcnt lgkmcnt(0)
	s_cmp_lg_u64 s[8:9], 0
	s_cselect_b64 s[10:11], -1, 0
	s_and_b64 vcc, exec, s[10:11]
	s_cbranch_vccz .LBB1288_10
; %bb.1:
	s_add_i32 s12, s2, 1
	s_mov_b32 s13, 0
	s_lshl_b64 s[14:15], s[12:13], 2
	s_add_u32 s14, s8, s14
	s_mov_b32 s3, s13
	s_addc_u32 s15, s9, s15
	s_lshl_b64 s[12:13], s[2:3], 2
	s_add_u32 s12, s8, s12
	s_addc_u32 s13, s9, s13
	s_load_dword s5, s[14:15], 0x0
	s_load_dword s16, s[12:13], 0x0
	s_waitcnt lgkmcnt(0)
	s_sub_i32 s5, s5, s16
	s_cmp_eq_u32 s5, 1
	s_cselect_b64 s[12:13], -1, 0
	s_andn2_b64 vcc, exec, s[6:7]
	s_cbranch_vccnz .LBB1288_3
.LBB1288_2:
	s_mov_b32 s3, 0
	s_mov_b64 s[12:13], -1
.LBB1288_3:
	s_andn2_b64 vcc, exec, s[12:13]
	s_cbranch_vccnz .LBB1288_27
; %bb.4:
	s_load_dword s5, s[0:1], 0x9c
	s_load_dwordx2 s[6:7], s[0:1], 0x28
	s_add_u32 s24, s0, 0x90
	s_addc_u32 s25, s1, 0
	s_lshl_b64 s[28:29], s[2:3], 2
	s_waitcnt lgkmcnt(0)
	s_and_b32 s5, s5, 0xffff
	s_add_u32 s6, s6, s28
	s_addc_u32 s7, s7, s29
	s_load_dword s3, s[6:7], 0x0
	s_mul_i32 s5, s20, s5
	s_waitcnt lgkmcnt(0)
	s_cmp_ge_i32 s5, s3
	s_cbranch_scc1 .LBB1288_27
; %bb.5:
	v_and_b32_e32 v1, 0xc0, v0
	v_add_u32_e32 v4, s5, v1
	v_lshrrev_b32_e32 v42, 6, v0
	v_cmp_le_i32_e64 s[6:7], s3, v4
                                        ; implicit-def: $sgpr30
                                        ; implicit-def: $sgpr21
	s_and_saveexec_b64 s[12:13], s[6:7]
	s_xor_b64 s[12:13], exec, s[12:13]
	s_cbranch_execz .LBB1288_7
; %bb.6:
	v_mul_u32_u24_e32 v1, 20, v42
	v_or_b32_e32 v1, 0x1400, v1
	v_mov_b32_e32 v2, 0x1450
	v_mov_b32_e32 v3, 0xff7fffff
	v_mad_u32_u24 v2, v42, 20, v2
	ds_write2_b32 v1, v3, v3 offset1:1
	v_mov_b32_e32 v1, 0
	ds_write2_b32 v2, v1, v1 offset1:1
	v_mov_b32_e32 v2, 0x1408
	v_mov_b32_e32 v4, 0x1458
	s_mov_b32 s21, 0xff7fffff
	s_mov_b32 s30, 0
	v_mad_u32_u24 v2, v42, 20, v2
	v_mad_u32_u24 v4, v42, 20, v4
	ds_write2_b32 v2, v3, v3 offset1:1
	ds_write2_b32 v4, v1, v1 offset1:1
                                        ; implicit-def: $vgpr4
.LBB1288_7:
	s_or_saveexec_b64 s[26:27], s[12:13]
	s_load_dwordx2 s[22:23], s[0:1], 0x68
	s_load_dwordx4 s[16:19], s[0:1], 0x58
	s_load_dword s33, s[24:25], 0x4
	s_load_dwordx4 s[12:15], s[0:1], 0x80
	v_and_b32_e32 v1, 63, v0
	v_and_b32_e32 v43, 3, v0
	v_mov_b32_e32 v37, s30
	v_mov_b32_e32 v41, s21
	;; [unrolled: 1-line block ×5, first 2 shown]
                                        ; implicit-def: $vgpr18_vgpr19
                                        ; implicit-def: $vgpr22_vgpr23
                                        ; implicit-def: $vgpr26_vgpr27
                                        ; implicit-def: $vgpr30_vgpr31
                                        ; implicit-def: $vgpr2_vgpr3
                                        ; implicit-def: $vgpr6_vgpr7
                                        ; implicit-def: $vgpr10_vgpr11
                                        ; implicit-def: $vgpr14_vgpr15
	s_xor_b64 exec, exec, s[26:27]
	s_cbranch_execz .LBB1288_19
; %bb.8:
	s_load_dwordx2 s[30:31], s[0:1], 0x20
	s_load_dword s21, s[0:1], 0x38
	s_add_i32 s34, s3, 15
	s_ashr_i32 s35, s34, 31
	s_lshr_b32 s35, s35, 28
	v_add_u32_e32 v44, s5, v0
	s_add_i32 s34, s34, s35
	v_ashrrev_i32_e32 v2, 31, v44
	s_ashr_i32 s34, s34, 4
	v_lshrrev_b32_e32 v2, 28, v2
	s_add_i32 s36, s34, -1
	s_waitcnt lgkmcnt(0)
	s_mul_i32 s34, s2, s21
	s_mov_b32 s35, 0
	v_add_u32_e32 v2, v44, v2
	s_lshl_b64 s[34:35], s[34:35], 2
	v_ashrrev_i32_e32 v2, 4, v2
	v_mov_b32_e32 v3, s36
	v_cmp_gt_i32_e32 vcc, s3, v44
	s_add_u32 s30, s30, s34
	s_addc_u32 s31, s31, s35
	v_cndmask_b32_e32 v2, v3, v2, vcc
	v_ashrrev_i32_e32 v3, 31, v2
	v_lshl_add_u64 v[6:7], v[2:3], 2, s[30:31]
	v_ashrrev_i32_e32 v2, 31, v4
	v_lshrrev_b32_e32 v2, 28, v2
	v_add_u32_e32 v2, v4, v2
	v_ashrrev_i32_e32 v12, 4, v2
	v_min_i32_e32 v2, s36, v12
	v_ashrrev_i32_e32 v3, 31, v2
	v_lshl_add_u64 v[4:5], v[2:3], 2, s[30:31]
	v_add_u32_e32 v2, 1, v12
	v_min_i32_e32 v2, s36, v2
	v_ashrrev_i32_e32 v3, 31, v2
	v_lshl_add_u64 v[8:9], v[2:3], 2, s[30:31]
	v_add_u32_e32 v2, 2, v12
	;; [unrolled: 4-line block ×3, first 2 shown]
	v_min_i32_e32 v2, s36, v2
	v_ashrrev_i32_e32 v3, 31, v2
	v_lshl_add_u64 v[12:13], v[2:3], 2, s[30:31]
	global_load_dword v2, v[6:7], off
	global_load_dword v40, v[4:5], off
	;; [unrolled: 1-line block ×5, first 2 shown]
	s_load_dwordx2 s[34:35], s[0:1], 0x8
	s_andn2_b64 vcc, exec, s[10:11]
	s_cbranch_vccnz .LBB1288_11
; %bb.9:
	s_add_u32 s8, s8, s28
	s_addc_u32 s9, s9, s29
	s_load_dword s5, s[8:9], 0x0
	s_branch .LBB1288_12
.LBB1288_10:
	s_mov_b64 s[12:13], 0
	s_branch .LBB1288_2
.LBB1288_11:
	s_mov_b32 s5, s2
.LBB1288_12:
	s_load_dwordx2 s[28:29], s[0:1], 0x10
	s_load_dwordx4 s[8:11], s[0:1], 0x48
	v_cmp_eq_u32_e32 vcc, 0, v43
	s_mov_b32 s31, 0
	v_mov_b32_e32 v39, 0
	v_mov_b32_e32 v14, 0
	;; [unrolled: 1-line block ×5, first 2 shown]
	s_and_saveexec_b64 s[36:37], vcc
	s_cbranch_execz .LBB1288_14
; %bb.13:
	s_load_dwordx2 s[38:39], s[0:1], 0x0
	s_waitcnt lgkmcnt(0)
	s_ashr_i32 s11, s8, 31
	s_mul_hi_u32 s21, s5, s8
	s_mul_i32 s11, s5, s11
	s_add_i32 s41, s21, s11
	s_mul_i32 s40, s5, s8
	s_lshl_b64 s[40:41], s[40:41], 1
	s_add_u32 s5, s38, s40
	s_addc_u32 s8, s39, s41
	s_lshl_b32 s30, s4, 7
	s_lshl_b64 s[38:39], s[30:31], 1
	s_add_u32 s38, s5, s38
	s_addc_u32 s39, s8, s39
	v_lshlrev_b32_e32 v3, 2, v1
	global_load_dwordx4 v[14:17], v3, s[38:39]
.LBB1288_14:
	s_or_b64 exec, exec, s[36:37]
	s_waitcnt lgkmcnt(0)
	s_mul_i32 s8, s4, s10
	s_add_u32 s10, s8, s34
	s_addc_u32 s11, 0, s35
	v_mov_b64_e32 v[4:5], s[10:11]
	s_waitcnt vmcnt(4)
	v_mad_i64_i32 v[2:3], s[10:11], v2, s9, v[4:5]
	v_lshlrev_b32_e32 v4, 4, v0
	v_and_b32_e32 v38, 0xf0, v4
	v_lshl_add_u64 v[48:49], v[2:3], 0, v[38:39]
	global_load_dwordx4 v[22:25], v[48:49], off
	global_load_dwordx4 v[18:21], v[48:49], off offset:256
	global_load_dwordx4 v[2:5], v[48:49], off offset:512
	;; [unrolled: 1-line block ×7, first 2 shown]
	v_mov_b32_e32 v38, 0
	s_and_saveexec_b64 s[10:11], vcc
	s_cbranch_execz .LBB1288_16
; %bb.15:
	s_load_dwordx2 s[34:35], s[0:1], 0x40
	s_mov_b32 s5, s31
	s_lshl_b64 s[30:31], s[4:5], 2
	v_mov_b32_e32 v39, 1.0
	s_waitcnt lgkmcnt(0)
	s_add_u32 s30, s34, s30
	s_addc_u32 s31, s35, s31
	s_load_dword s5, s[30:31], 0x0
	s_waitcnt lgkmcnt(0)
	v_mov_b32_e32 v38, s5
.LBB1288_16:
	s_or_b64 exec, exec, s[10:11]
	s_waitcnt vmcnt(11)
	v_mul_hi_i32 v47, v40, s9
	v_ashrrev_i32_e32 v47, 31, v47
	v_lshrrev_b32_e32 v48, 29, v47
	s_waitcnt vmcnt(10)
	v_mul_hi_i32 v47, v46, s9
	v_mov_b32_e32 v49, 0
	v_ashrrev_i32_e32 v47, 31, v47
	s_add_u32 s10, s28, s8
	v_lshrrev_b32_e32 v50, 29, v47
	v_mov_b32_e32 v51, v49
	s_addc_u32 s11, s29, 0
	v_mad_i64_i32 v[46:47], s[28:29], v46, s9, v[50:51]
	s_waitcnt vmcnt(9)
	v_mul_hi_i32 v50, v45, s9
	v_ashrrev_i32_e32 v50, 31, v50
	v_lshrrev_b32_e32 v50, 29, v50
	v_mad_i64_i32 v[50:51], s[28:29], v45, s9, v[50:51]
	s_waitcnt vmcnt(8)
	v_mul_hi_i32 v45, v41, s9
	v_ashrrev_i32_e32 v45, 31, v45
	v_lshrrev_b32_e32 v52, 29, v45
	v_mov_b32_e32 v53, v49
	v_mad_i64_i32 v[52:53], s[28:29], v41, s9, v[52:53]
	v_mad_i64_i32 v[40:41], s[8:9], v40, s9, v[48:49]
	v_and_b32_e32 v40, -8, v40
	v_lshl_add_u64 v[40:41], s[10:11], 0, v[40:41]
	v_lshlrev_b32_e32 v48, 4, v1
	v_and_b32_e32 v46, -8, v46
	v_lshl_add_u64 v[54:55], v[40:41], 0, v[48:49]
	v_lshl_add_u64 v[40:41], s[10:11], 0, v[46:47]
	v_and_b32_e32 v50, -8, v50
	v_lshl_add_u64 v[46:47], v[40:41], 0, v[48:49]
	v_lshl_add_u64 v[40:41], s[10:11], 0, v[50:51]
	;; [unrolled: 3-line block ×3, first 2 shown]
	v_lshl_add_u64 v[40:41], v[40:41], 0, v[48:49]
	s_waitcnt vmcnt(7)
	v_cvt_pk_f32_fp8_e32 v[48:49], v22
	v_cvt_pk_f32_fp8_sdwa v[52:53], v22 src0_sel:WORD_1
	s_mov_b32 s5, 0x7060302
	s_load_dword s0, s[0:1], 0x1c
	v_perm_b32 v48, v49, v48, s5
	v_perm_b32 v49, v53, v52, s5
	s_waitcnt vmcnt(5)
	v_cvt_pk_f32_fp8_sdwa v[52:53], v5 src0_sel:WORD_1
	s_load_dword s1, s[12:13], 0x0
	v_mfma_f32_4x4x4_16b_bf16 a[0:3], v[14:15], v[48:49], 0 cbsz:4
	v_cvt_pk_f32_fp8_e32 v[48:49], v23
	v_cmp_eq_u32_e32 vcc, 1, v43
	v_perm_b32 v22, v49, v48, s5
	v_cvt_pk_f32_fp8_sdwa v[48:49], v23 src0_sel:WORD_1
	s_nop 0
	v_perm_b32 v23, v49, v48, s5
	s_nop 1
	v_mfma_f32_4x4x4_16b_bf16 a[0:3], v[16:17], v[22:23], a[0:3] cbsz:4
	v_cvt_pk_f32_fp8_e32 v[22:23], v24
	v_cvt_pk_f32_fp8_sdwa v[48:49], v24 src0_sel:WORD_1
	v_perm_b32 v22, v23, v22, s5
	v_perm_b32 v23, v49, v48, s5
	v_cvt_pk_f32_fp8_e32 v[48:49], v25
	v_cvt_pk_f32_fp8_sdwa v[24:25], v25 src0_sel:WORD_1
	v_mfma_f32_4x4x4_16b_bf16 a[0:3], v[14:15], v[22:23], a[0:3] cbsz:4 abid:1
	v_cvt_pk_f32_fp8_e32 v[22:23], v18
	v_perm_b32 v48, v49, v48, s5
	v_perm_b32 v49, v25, v24, s5
	v_cvt_pk_f32_fp8_sdwa v[24:25], v18 src0_sel:WORD_1
	v_perm_b32 v22, v23, v22, s5
	v_mfma_f32_4x4x4_16b_bf16 a[0:3], v[16:17], v[48:49], a[0:3] cbsz:4 abid:1
	v_cvt_pk_f32_fp8_e32 v[48:49], v19
	v_cvt_pk_f32_fp8_sdwa v[18:19], v19 src0_sel:WORD_1
	v_perm_b32 v23, v25, v24, s5
	v_perm_b32 v24, v49, v48, s5
	s_nop 0
	v_mfma_f32_4x4x4_16b_bf16 a[0:3], v[14:15], v[22:23], a[0:3] cbsz:4 abid:2
	v_perm_b32 v25, v19, v18, s5
	v_cvt_pk_f32_fp8_e32 v[18:19], v20
	v_cvt_pk_f32_fp8_sdwa v[22:23], v20 src0_sel:WORD_1
	v_mfma_f32_4x4x4_16b_bf16 a[0:3], v[16:17], v[24:25], a[0:3] cbsz:4 abid:2
	v_cvt_pk_f32_fp8_e32 v[24:25], v21
	v_cvt_pk_f32_fp8_sdwa v[20:21], v21 src0_sel:WORD_1
	v_perm_b32 v18, v19, v18, s5
	v_perm_b32 v19, v23, v22, s5
	;; [unrolled: 1-line block ×4, first 2 shown]
	v_mfma_f32_4x4x4_16b_bf16 a[0:3], v[14:15], v[18:19], a[0:3] cbsz:4 abid:3
	v_cvt_pk_f32_fp8_e32 v[18:19], v2
	v_cvt_pk_f32_fp8_sdwa v[20:21], v2 src0_sel:WORD_1
	v_mfma_f32_4x4x4_16b_bf16 a[0:3], v[16:17], v[22:23], a[0:3] cbsz:4 abid:3
	v_cvt_pk_f32_fp8_e32 v[22:23], v3
	v_cvt_pk_f32_fp8_sdwa v[24:25], v3 src0_sel:WORD_1
	v_perm_b32 v2, v19, v18, s5
	v_perm_b32 v3, v21, v20, s5
	;; [unrolled: 1-line block ×4, first 2 shown]
	v_mfma_f32_4x4x4_16b_bf16 a[0:3], v[14:15], v[2:3], a[0:3] cbsz:4 abid:4
	v_cvt_pk_f32_fp8_sdwa v[24:25], v4 src0_sel:WORD_1
	v_cvt_pk_f32_fp8_e32 v[48:49], v5
	v_mfma_f32_4x4x4_16b_bf16 a[0:3], v[16:17], v[22:23], a[0:3] cbsz:4 abid:4
	v_cvt_pk_f32_fp8_e32 v[22:23], v4
	global_load_dwordx4 v[18:21], v[54:55], off
	global_load_dwordx4 v[2:5], v[54:55], off offset:1024
	s_waitcnt vmcnt(5)
	v_cvt_pk_f32_fp8_sdwa v[54:55], v27 src0_sel:WORD_1
	v_perm_b32 v22, v23, v22, s5
	v_perm_b32 v23, v25, v24, s5
	;; [unrolled: 1-line block ×4, first 2 shown]
	v_mfma_f32_4x4x4_16b_bf16 a[0:3], v[14:15], v[22:23], a[0:3] cbsz:4 abid:5
	v_cvt_pk_f32_fp8_e32 v[22:23], v6
	v_cvt_pk_f32_fp8_e32 v[48:49], v7
	v_mfma_f32_4x4x4_16b_bf16 a[0:3], v[16:17], v[24:25], a[0:3] cbsz:4 abid:5
	v_cvt_pk_f32_fp8_sdwa v[24:25], v6 src0_sel:WORD_1
	v_cvt_pk_f32_fp8_sdwa v[6:7], v7 src0_sel:WORD_1
	v_perm_b32 v22, v23, v22, s5
	v_cvt_pk_f32_fp8_sdwa v[52:53], v26 src0_sel:WORD_1
	v_perm_b32 v23, v25, v24, s5
	v_perm_b32 v25, v7, v6, s5
	v_cvt_pk_f32_fp8_e32 v[6:7], v8
	v_mfma_f32_4x4x4_16b_bf16 a[0:3], v[14:15], v[22:23], a[0:3] cbsz:4 abid:6
	v_cvt_pk_f32_fp8_sdwa v[22:23], v8 src0_sel:WORD_1
	v_perm_b32 v24, v49, v48, s5
	v_cvt_pk_f32_fp8_e32 v[48:49], v9
	v_cvt_pk_f32_fp8_sdwa v[8:9], v9 src0_sel:WORD_1
	v_mfma_f32_4x4x4_16b_bf16 a[0:3], v[16:17], v[24:25], a[0:3] cbsz:4 abid:6
	v_perm_b32 v6, v7, v6, s5
	v_perm_b32 v7, v23, v22, s5
	;; [unrolled: 1-line block ×4, first 2 shown]
	v_mfma_f32_4x4x4_16b_bf16 a[0:3], v[14:15], v[6:7], a[0:3] cbsz:4 abid:7
	v_cvt_pk_f32_fp8_e32 v[6:7], v26
	global_load_dwordx4 v[22:25], v[46:47], off
	v_mfma_f32_4x4x4_16b_bf16 a[0:3], v[16:17], v[48:49], a[0:3] cbsz:4 abid:7
	v_cvt_pk_f32_fp8_e32 v[48:49], v27
	v_perm_b32 v26, v7, v6, s5
	global_load_dwordx4 v[6:9], v[46:47], off offset:1024
	v_perm_b32 v27, v53, v52, s5
	v_perm_b32 v46, v49, v48, s5
	;; [unrolled: 1-line block ×3, first 2 shown]
	v_mfma_f32_4x4x4_16b_bf16 a[0:3], v[14:15], v[26:27], a[0:3] cbsz:4 abid:8
	v_cvt_pk_f32_fp8_e32 v[26:27], v28
	v_cvt_pk_f32_fp8_e32 v[48:49], v29
	v_mfma_f32_4x4x4_16b_bf16 a[0:3], v[16:17], v[46:47], a[0:3] cbsz:4 abid:8
	v_cvt_pk_f32_fp8_sdwa v[46:47], v28 src0_sel:WORD_1
	v_cvt_pk_f32_fp8_sdwa v[28:29], v29 src0_sel:WORD_1
	v_perm_b32 v26, v27, v26, s5
	s_waitcnt vmcnt(6)
	v_cvt_pk_f32_fp8_e32 v[52:53], v13
	v_perm_b32 v27, v47, v46, s5
	v_perm_b32 v47, v29, v28, s5
	v_cvt_pk_f32_fp8_sdwa v[28:29], v10 src0_sel:WORD_1
	v_mfma_f32_4x4x4_16b_bf16 a[0:3], v[14:15], v[26:27], a[0:3] cbsz:4 abid:9
	v_cvt_pk_f32_fp8_e32 v[26:27], v10
	v_perm_b32 v46, v49, v48, s5
	v_perm_b32 v49, v29, v28, s5
	v_cvt_pk_f32_fp8_sdwa v[54:55], v13 src0_sel:WORD_1
	v_mfma_f32_4x4x4_16b_bf16 a[0:3], v[16:17], v[46:47], a[0:3] cbsz:4 abid:9
	v_cvt_pk_f32_fp8_e32 v[46:47], v11
	v_cvt_pk_f32_fp8_sdwa v[10:11], v11 src0_sel:WORD_1
	v_perm_b32 v48, v27, v26, s5
	global_load_dwordx4 v[26:29], v[50:51], off
	v_perm_b32 v46, v47, v46, s5
	v_mfma_f32_4x4x4_16b_bf16 a[0:3], v[14:15], v[48:49], a[0:3] cbsz:4 abid:10
	v_perm_b32 v47, v11, v10, s5
	v_cvt_pk_f32_fp8_e32 v[48:49], v12
	v_perm_b32 v48, v49, v48, s5
	v_mfma_f32_4x4x4_16b_bf16 a[0:3], v[16:17], v[46:47], a[0:3] cbsz:4 abid:10
	v_cvt_pk_f32_fp8_sdwa v[46:47], v12 src0_sel:WORD_1
	global_load_dwordx4 v[10:13], v[50:51], off offset:1024
	s_waitcnt vmcnt(7)
	v_cvt_pk_f32_fp8_e32 v[50:51], v35
	v_perm_b32 v49, v47, v46, s5
	v_perm_b32 v46, v53, v52, s5
	s_nop 0
	v_mfma_f32_4x4x4_16b_bf16 a[0:3], v[14:15], v[48:49], a[0:3] cbsz:4 abid:11
	v_perm_b32 v47, v55, v54, s5
	v_cvt_pk_f32_fp8_sdwa v[48:49], v34 src0_sel:WORD_1
	s_nop 0
	v_mfma_f32_4x4x4_16b_bf16 a[0:3], v[16:17], v[46:47], a[0:3] cbsz:4 abid:11
	v_cvt_pk_f32_fp8_e32 v[46:47], v34
	v_cvt_pk_f32_fp8_sdwa v[34:35], v35 src0_sel:WORD_1
	v_perm_b32 v46, v47, v46, s5
	v_perm_b32 v47, v49, v48, s5
	;; [unrolled: 1-line block ×3, first 2 shown]
	v_cvt_pk_f32_fp8_e32 v[34:35], v36
	v_mfma_f32_4x4x4_16b_bf16 a[0:3], v[14:15], v[46:47], a[0:3] cbsz:4 abid:12
	v_cvt_pk_f32_fp8_sdwa v[46:47], v36 src0_sel:WORD_1
	v_perm_b32 v48, v51, v50, s5
	v_perm_b32 v34, v35, v34, s5
	;; [unrolled: 1-line block ×3, first 2 shown]
	v_mfma_f32_4x4x4_16b_bf16 a[0:3], v[16:17], v[48:49], a[0:3] cbsz:4 abid:12
	v_cvt_pk_f32_fp8_e32 v[48:49], v37
	v_cvt_pk_f32_fp8_sdwa v[36:37], v37 src0_sel:WORD_1
	v_mfma_f32_4x4x4_16b_bf16 a[0:3], v[14:15], v[34:35], a[0:3] cbsz:4 abid:13
	s_waitcnt vmcnt(6)
	v_cvt_pk_f32_fp8_e32 v[34:35], v30
	v_perm_b32 v46, v49, v48, s5
	v_perm_b32 v47, v37, v36, s5
	v_cvt_pk_f32_fp8_sdwa v[36:37], v30 src0_sel:WORD_1
	v_perm_b32 v34, v35, v34, s5
	v_mfma_f32_4x4x4_16b_bf16 a[0:3], v[16:17], v[46:47], a[0:3] cbsz:4 abid:13
	v_cvt_pk_f32_fp8_e32 v[46:47], v31
	v_cvt_pk_f32_fp8_sdwa v[30:31], v31 src0_sel:WORD_1
	v_perm_b32 v35, v37, v36, s5
	v_perm_b32 v36, v47, v46, s5
	;; [unrolled: 1-line block ×3, first 2 shown]
	v_mfma_f32_4x4x4_16b_bf16 a[0:3], v[14:15], v[34:35], a[0:3] cbsz:4 abid:14
	v_cvt_pk_f32_fp8_e32 v[30:31], v32
	v_cvt_pk_f32_fp8_sdwa v[34:35], v32 src0_sel:WORD_1
	v_mfma_f32_4x4x4_16b_bf16 a[0:3], v[16:17], v[36:37], a[0:3] cbsz:4 abid:14
	v_cvt_pk_f32_fp8_e32 v[36:37], v33
	v_cvt_pk_f32_fp8_sdwa v[32:33], v33 src0_sel:WORD_1
	v_perm_b32 v30, v31, v30, s5
	v_perm_b32 v31, v35, v34, s5
	;; [unrolled: 1-line block ×4, first 2 shown]
	v_mfma_f32_4x4x4_16b_bf16 a[0:3], v[14:15], v[30:31], a[0:3] cbsz:4 abid:15
	s_waitcnt lgkmcnt(0)
	v_mov_b32_e32 v14, s0
	v_mfma_f32_4x4x4_16b_bf16 a[0:3], v[16:17], v[34:35], a[0:3] cbsz:4 abid:15
	v_mul_f32_e32 v34, s1, v14
	s_nop 3
	v_accvgpr_read_b32 v15, a1
	v_accvgpr_read_b32 v14, a0
	v_pk_mul_f32 v[36:37], v[14:15], v[34:35] op_sel_hi:[1,0]
	global_load_dwordx4 v[30:33], v[40:41], off
	global_load_dwordx4 v[14:17], v[40:41], off offset:1024
	v_accvgpr_read_b32 v41, a3
	v_accvgpr_read_b32 v40, a2
	v_pk_mul_f32 v[34:35], v[40:41], v[34:35] op_sel_hi:[1,0]
	v_mfma_f32_4x4x1_16b_f32 a[0:3], v36, v39, 0
	v_cndmask_b32_e64 v36, 0, 1.0, vcc
	v_cmp_eq_u32_e32 vcc, 2, v43
	v_mov_b32_e32 v41, 0xff7fffff
	v_mfma_f32_4x4x1_16b_f32 a[0:3], v37, v36, a[0:3]
	v_cndmask_b32_e64 v36, 0, 1.0, vcc
	v_cmp_eq_u32_e32 vcc, 3, v43
	s_nop 0
	v_mfma_f32_4x4x1_16b_f32 a[0:3], v34, v36, a[0:3]
	v_cndmask_b32_e64 v34, 0, 1.0, vcc
	s_nop 1
	v_mfma_f32_4x4x1_16b_f32 a[0:3], v35, v34, a[0:3]
	v_and_b32_e32 v34, -4, v44
	v_subrev_u32_e32 v35, s3, v34
	v_add_u32_e32 v36, 1, v35
	v_cvt_f32_i32_e32 v36, v36
	v_add_u32_e32 v37, 2, v35
	v_cvt_f32_i32_e32 v37, v37
	v_accvgpr_read_b32 v39, a0
	v_fma_f32 v36, v38, v36, v39
	v_accvgpr_read_b32 v39, a1
	v_fma_f32 v37, v38, v37, v39
	v_add_u32_e32 v39, 3, v35
	v_cvt_f32_i32_e32 v39, v39
	v_add_u32_e32 v35, 4, v35
	v_cvt_f32_i32_e32 v35, v35
	v_accvgpr_read_b32 v40, a2
	v_fma_f32 v39, v38, v39, v40
	v_accvgpr_read_b32 v40, a3
	v_fmac_f32_e32 v40, v38, v35
	v_max_f32_e32 v38, 0xff7fffff, v36
	v_cmp_gt_i32_e32 vcc, s3, v34
	v_lshlrev_b32_e32 v35, 2, v0
	v_and_or_b32 v35, v35, 48, v43
	v_cndmask_b32_e32 v38, v41, v38, vcc
	v_or_b32_e32 v41, 1, v34
	v_max_f32_e32 v45, v38, v37
	v_cmp_gt_i32_e64 s[0:1], s3, v41
	v_or_b32_e32 v34, 2, v34
	v_cmp_gt_i32_e64 s[8:9], s3, v34
	v_cndmask_b32_e64 v38, v38, v45, s[0:1]
	v_max_f32_e32 v41, v38, v39
	v_cndmask_b32_e64 v34, v38, v41, s[8:9]
	v_or_b32_e32 v38, 3, v44
	v_max_f32_e32 v41, v34, v40
	v_cmp_gt_i32_e64 s[10:11], s3, v38
	v_lshlrev_b32_e32 v38, 2, v35
	s_nop 0
	v_cndmask_b32_e64 v34, v34, v41, s[10:11]
	;;#ASMSTART
	v_nop
 v_nop
 v_max_f32_dpp v34, v34, v34 row_ror:4
	;;#ASMEND
	s_nop 0
	;;#ASMSTART
	v_nop
 v_nop
 v_max_f32_dpp v34, v34, v34 row_ror:8
	;;#ASMEND
	ds_bpermute_b32 v34, v38, v34
	s_waitcnt lgkmcnt(0)
	;;#ASMSTART
	v_nop
 v_nop
 v_max_f32_dpp v34, v34, v34 row_ror:4
	;;#ASMEND
	s_nop 0
	;;#ASMSTART
	v_nop
 v_nop
 v_max_f32_dpp v41, v34, v34 row_ror:8
	;;#ASMEND
	s_nop 0
	v_sub_f32_e32 v34, v36, v41
	v_mul_f32_e32 v34, 0x3fb8aa3b, v34
	v_sub_f32_e32 v35, v37, v41
	v_exp_f32_e32 v34, v34
	v_mul_f32_e32 v35, 0x3fb8aa3b, v35
	v_sub_f32_e32 v37, v39, v41
	v_exp_f32_e32 v35, v35
	;; [unrolled: 3-line block ×3, first 2 shown]
	v_mul_f32_e32 v39, 0x3fb8aa3b, v39
	v_exp_f32_e32 v39, v39
	v_cndmask_b32_e32 v34, 0, v34, vcc
	v_add_f32_e32 v36, 0, v34
	v_cndmask_b32_e64 v35, 0, v35, s[0:1]
	v_add_f32_e32 v40, v36, v35
	v_cndmask_b32_e64 v36, 0, v37, s[8:9]
	;; [unrolled: 2-line block ×3, first 2 shown]
	v_add_f32_e32 v39, v40, v37
	;;#ASMSTART
	v_nop
 v_nop
 v_add_f32_dpp v39, v39, v39 row_ror:4
	;;#ASMEND
	v_cmp_gt_u32_e32 vcc, 4, v1
	;;#ASMSTART
	v_nop
 v_nop
 v_add_f32_dpp v39, v39, v39 row_ror:8
	;;#ASMEND
	ds_bpermute_b32 v38, v38, v39
	s_waitcnt lgkmcnt(0)
	;;#ASMSTART
	v_nop
 v_nop
 v_add_f32_dpp v38, v38, v38 row_ror:4
	;;#ASMEND
	s_nop 0
	;;#ASMSTART
	v_nop
 v_nop
 v_add_f32_dpp v38, v38, v38 row_ror:8
	;;#ASMEND
	s_and_saveexec_b64 s[0:1], vcc
	s_cbranch_execz .LBB1288_18
; %bb.17:
	v_mul_u32_u24_e32 v39, 20, v42
	v_lshl_add_u32 v39, v43, 2, v39
	v_add_u32_e32 v39, 0x1400, v39
	ds_write2_b32 v39, v41, v38 offset1:20
.LBB1288_18:
	s_or_b64 exec, exec, s[0:1]
.LBB1288_19:
	s_or_b64 exec, exec, s[26:27]
	s_waitcnt lgkmcnt(0)
	s_barrier
	s_load_dword s0, s[24:25], 0x8
	v_lshlrev_b32_e32 v38, 2, v43
	v_add_u32_e32 v40, 0x1400, v38
	ds_read2_b32 v[38:39], v40 offset1:5
	ds_read2_b32 v[46:47], v40 offset0:10 offset1:15
	s_mul_i32 s1, s33, s2
	s_waitcnt lgkmcnt(0)
	s_mul_i32 s0, s1, s0
	s_mov_b32 s1, 0xff7fffff
	v_max3_f32 v44, v38, s1, v39
	v_max3_f32 v44, v44, v46, v47
	v_sub_f32_e32 v38, v38, v44
	ds_read2_b32 v[48:49], v40 offset0:20 offset1:25
	v_mul_f32_e32 v38, 0x3fb8aa3b, v38
	v_sub_f32_e32 v39, v39, v44
	v_exp_f32_e32 v45, v38
	v_mul_f32_e32 v39, 0x3fb8aa3b, v39
	ds_read2_b32 v[50:51], v40 offset0:30 offset1:35
	v_sub_f32_e32 v40, v46, v44
	v_exp_f32_e32 v39, v39
	v_mul_f32_e32 v40, 0x3fb8aa3b, v40
	v_sub_f32_e32 v46, v47, v44
	v_exp_f32_e32 v40, v40
	v_mul_f32_e32 v46, 0x3fb8aa3b, v46
	v_exp_f32_e32 v46, v46
	s_waitcnt lgkmcnt(1)
	v_fma_f32 v45, v45, v48, 0
	v_fmac_f32_e32 v45, v39, v49
	s_waitcnt lgkmcnt(0)
	v_fmac_f32_e32 v45, v40, v50
	v_mov_b32_e32 v38, 0
	v_fmac_f32_e32 v45, v46, v51
	s_mov_b32 s1, 0
	v_cmp_eq_u32_e32 vcc, 0, v43
	s_and_saveexec_b64 s[2:3], vcc
	s_cbranch_execz .LBB1288_21
; %bb.20:
	s_lshl_b64 s[8:9], s[0:1], 2
	s_add_u32 s5, s16, s8
	s_mov_b32 s21, s1
	s_addc_u32 s12, s17, s9
	s_lshl_b64 s[10:11], s[20:21], 2
	s_add_u32 s5, s5, s10
	s_addc_u32 s12, s12, s11
	s_add_u32 s8, s18, s8
	s_addc_u32 s9, s19, s9
	;; [unrolled: 2-line block ×3, first 2 shown]
	s_mul_i32 s8, s33, s4
	s_mov_b32 s9, s1
	s_lshl_b64 s[8:9], s[8:9], 2
	s_add_u32 s10, s5, s8
	s_addc_u32 s11, s12, s9
	s_add_u32 s8, s13, s8
	s_addc_u32 s9, s16, s9
	global_store_dword v38, v44, s[8:9]
	global_store_dword v38, v45, s[10:11]
.LBB1288_21:
	s_or_b64 exec, exec, s[2:3]
	v_lshlrev_b32_e32 v40, 3, v42
                                        ; implicit-def: $sgpr1
	s_and_saveexec_b64 s[2:3], s[6:7]
	s_xor_b64 s[2:3], exec, s[2:3]
	s_cbranch_execz .LBB1288_23
; %bb.22:
	s_waitcnt vmcnt(6)
	v_mov_b32_e32 v2, 0
	v_mad_u32_u24 v4, v1, 40, v40
	s_mov_b32 s1, 0
	v_mov_b32_e32 v3, v2
	ds_write_b64 v4, v[2:3]
                                        ; implicit-def: $vgpr37
                                        ; implicit-def: $vgpr35
                                        ; implicit-def: $vgpr41
                                        ; implicit-def: $vgpr18_vgpr19
                                        ; implicit-def: $vgpr22_vgpr23
                                        ; implicit-def: $vgpr26_vgpr27
                                        ; implicit-def: $vgpr30_vgpr31
                                        ; implicit-def: $vgpr2_vgpr3
                                        ; implicit-def: $vgpr6_vgpr7
                                        ; implicit-def: $vgpr10_vgpr11
                                        ; implicit-def: $vgpr14_vgpr15
                                        ; implicit-def: $vgpr44
                                        ; implicit-def: $vgpr45
.LBB1288_23:
	s_or_saveexec_b64 s[2:3], s[2:3]
	v_mov_b32_e32 v38, s1
	v_mov_b32_e32 v39, s1
	s_xor_b64 exec, exec, s[2:3]
	s_cbranch_execz .LBB1288_25
; %bb.24:
	v_add_f32_e32 v38, 0x358637bd, v45
	v_div_scale_f32 v39, s[6:7], v38, v38, 1.0
	v_rcp_f32_e32 v42, v39
	v_sub_f32_e32 v41, v41, v44
	v_mul_f32_e32 v41, 0x3fb8aa3b, v41
	v_exp_f32_e32 v41, v41
	v_fma_f32 v43, -v39, v42, 1.0
	v_fmac_f32_e32 v42, v43, v42
	v_div_scale_f32 v43, vcc, 1.0, v38, 1.0
	v_mul_f32_e32 v44, v43, v42
	v_fma_f32 v45, -v39, v44, v43
	v_fmac_f32_e32 v44, v45, v42
	v_fma_f32 v39, -v39, v44, v43
	v_div_fmas_f32 v39, v39, v42, v44
	v_div_fixup_f32 v38, v39, v38, 1.0
	v_mul_f32_e32 v38, v41, v38
	v_pk_mul_f32 v[34:35], v[34:35], v[38:39] op_sel_hi:[1,0]
	v_pk_mul_f32 v[36:37], v[36:37], v[38:39] op_sel_hi:[1,0]
	v_bfe_u32 v38, v35, 16, 1
	v_bfe_u32 v39, v34, 16, 1
	s_movk_i32 s1, 0x7fff
	v_add3_u32 v34, v34, v39, s1
	v_add3_u32 v35, v35, v38, s1
	s_mov_b32 s5, 0x7060302
	v_perm_b32 v34, v35, v34, s5
	v_bfe_u32 v35, v37, 16, 1
	v_bfe_u32 v38, v36, 16, 1
	v_add3_u32 v36, v36, v38, s1
	v_add3_u32 v35, v37, v35, s1
	v_perm_b32 v35, v35, v36, s5
	s_waitcnt vmcnt(7)
	v_cvt_pk_f32_fp8_e32 v[36:37], v18
	v_cvt_pk_f32_fp8_sdwa v[38:39], v18 src0_sel:WORD_1
	v_cvt_pk_f32_fp8_e32 v[42:43], v19
	v_cvt_pk_f32_fp8_sdwa v[18:19], v19 src0_sel:WORD_1
	v_perm_b32 v36, v37, v36, s5
	v_perm_b32 v37, v39, v38, s5
	;; [unrolled: 1-line block ×4, first 2 shown]
	v_mfma_f32_4x4x4_16b_bf16 a[0:3], v[34:35], v[36:37], 0 cbsz:4
	v_cvt_pk_f32_fp8_e32 v[18:19], v20
	v_cvt_pk_f32_fp8_sdwa v[36:37], v20 src0_sel:WORD_1
	v_mfma_f32_4x4x4_16b_bf16 a[0:3], v[34:35], v[38:39], a[0:3] cbsz:4 abid:1
	v_cvt_pk_f32_fp8_e32 v[38:39], v21
	v_cvt_pk_f32_fp8_sdwa v[20:21], v21 src0_sel:WORD_1
	v_perm_b32 v18, v19, v18, s5
	v_perm_b32 v19, v37, v36, s5
	;; [unrolled: 1-line block ×4, first 2 shown]
	v_mfma_f32_4x4x4_16b_bf16 a[0:3], v[34:35], v[18:19], a[0:3] cbsz:4 abid:2
	s_waitcnt vmcnt(5)
	v_cvt_pk_f32_fp8_e32 v[18:19], v22
	v_cvt_pk_f32_fp8_sdwa v[20:21], v22 src0_sel:WORD_1
	v_mfma_f32_4x4x4_16b_bf16 a[0:3], v[34:35], v[36:37], a[0:3] cbsz:4 abid:3
	v_cvt_pk_f32_fp8_e32 v[36:37], v23
	v_cvt_pk_f32_fp8_sdwa v[22:23], v23 src0_sel:WORD_1
	v_perm_b32 v18, v19, v18, s5
	v_perm_b32 v19, v21, v20, s5
	;; [unrolled: 1-line block ×4, first 2 shown]
	v_mfma_f32_4x4x4_16b_bf16 a[0:3], v[34:35], v[18:19], a[0:3] cbsz:4 abid:4
	v_cvt_pk_f32_fp8_e32 v[18:19], v24
	v_cvt_pk_f32_fp8_e32 v[22:23], v25
	v_mfma_f32_4x4x4_16b_bf16 a[0:3], v[34:35], v[20:21], a[0:3] cbsz:4 abid:5
	v_cvt_pk_f32_fp8_sdwa v[20:21], v24 src0_sel:WORD_1
	v_cvt_pk_f32_fp8_sdwa v[24:25], v25 src0_sel:WORD_1
	v_perm_b32 v18, v19, v18, s5
	s_load_dword s6, s[14:15], 0x0
	v_perm_b32 v19, v21, v20, s5
	v_perm_b32 v20, v23, v22, s5
	;; [unrolled: 1-line block ×3, first 2 shown]
	v_mfma_f32_4x4x4_16b_bf16 a[0:3], v[34:35], v[18:19], a[0:3] cbsz:4 abid:6
	s_waitcnt vmcnt(3)
	v_cvt_pk_f32_fp8_e32 v[18:19], v26
	v_cvt_pk_f32_fp8_e32 v[22:23], v27
	v_mfma_f32_4x4x4_16b_bf16 a[0:3], v[34:35], v[20:21], a[0:3] cbsz:4 abid:7
	v_cvt_pk_f32_fp8_sdwa v[20:21], v26 src0_sel:WORD_1
	v_cvt_pk_f32_fp8_sdwa v[24:25], v27 src0_sel:WORD_1
	v_perm_b32 v18, v19, v18, s5
	v_perm_b32 v19, v21, v20, s5
	v_perm_b32 v20, v23, v22, s5
	s_nop 0
	v_mfma_f32_4x4x4_16b_bf16 a[0:3], v[34:35], v[18:19], a[0:3] cbsz:4 abid:8
	v_perm_b32 v21, v25, v24, s5
	v_cvt_pk_f32_fp8_e32 v[18:19], v28
	v_cvt_pk_f32_fp8_e32 v[22:23], v29
	v_mfma_f32_4x4x4_16b_bf16 a[0:3], v[34:35], v[20:21], a[0:3] cbsz:4 abid:9
	v_cvt_pk_f32_fp8_sdwa v[20:21], v28 src0_sel:WORD_1
	v_cvt_pk_f32_fp8_sdwa v[24:25], v29 src0_sel:WORD_1
	v_perm_b32 v18, v19, v18, s5
	v_perm_b32 v19, v21, v20, s5
	;; [unrolled: 1-line block ×3, first 2 shown]
	s_nop 0
	v_mfma_f32_4x4x4_16b_bf16 a[0:3], v[34:35], v[18:19], a[0:3] cbsz:4 abid:10
	v_perm_b32 v21, v25, v24, s5
	s_waitcnt vmcnt(1)
	v_cvt_pk_f32_fp8_e32 v[18:19], v30
	v_cvt_pk_f32_fp8_e32 v[22:23], v31
	v_mfma_f32_4x4x4_16b_bf16 a[0:3], v[34:35], v[20:21], a[0:3] cbsz:4 abid:11
	v_cvt_pk_f32_fp8_sdwa v[20:21], v30 src0_sel:WORD_1
	v_cvt_pk_f32_fp8_sdwa v[24:25], v31 src0_sel:WORD_1
	v_perm_b32 v18, v19, v18, s5
	v_perm_b32 v19, v21, v20, s5
	;; [unrolled: 1-line block ×3, first 2 shown]
	s_nop 0
	v_mfma_f32_4x4x4_16b_bf16 a[0:3], v[34:35], v[18:19], a[0:3] cbsz:4 abid:12
	v_perm_b32 v21, v25, v24, s5
	v_cvt_pk_f32_fp8_e32 v[18:19], v32
	v_cvt_pk_f32_fp8_e32 v[22:23], v33
	v_mfma_f32_4x4x4_16b_bf16 a[0:3], v[34:35], v[20:21], a[0:3] cbsz:4 abid:13
	v_cvt_pk_f32_fp8_sdwa v[20:21], v32 src0_sel:WORD_1
	v_cvt_pk_f32_fp8_sdwa v[24:25], v33 src0_sel:WORD_1
	v_perm_b32 v18, v19, v18, s5
	v_perm_b32 v19, v21, v20, s5
	;; [unrolled: 1-line block ×3, first 2 shown]
	s_nop 0
	v_mfma_f32_4x4x4_16b_bf16 a[0:3], v[34:35], v[18:19], a[0:3] cbsz:4 abid:14
	v_perm_b32 v21, v25, v24, s5
	s_nop 1
	v_mfma_f32_4x4x4_16b_bf16 a[0:3], v[34:35], v[20:21], a[0:3] cbsz:4 abid:15
	s_nop 4
	v_accvgpr_read_b32 v21, a1
	v_accvgpr_read_b32 v20, a0
	s_waitcnt lgkmcnt(0)
	v_pk_mul_f32 v[20:21], v[20:21], s[6:7] op_sel_hi:[1,0]
	v_accvgpr_read_b32 v19, a3
	v_accvgpr_read_b32 v18, a2
	v_bfe_u32 v22, v21, 16, 1
	v_bfe_u32 v23, v20, 16, 1
	v_pk_mul_f32 v[18:19], v[18:19], s[6:7] op_sel_hi:[1,0]
	v_add3_u32 v20, v20, v23, s1
	v_add3_u32 v21, v21, v22, s1
	v_perm_b32 v20, v21, v20, s5
	v_bfe_u32 v21, v19, 16, 1
	v_bfe_u32 v22, v18, 16, 1
	v_add3_u32 v18, v18, v22, s1
	v_add3_u32 v19, v19, v21, s1
	v_perm_b32 v21, v19, v18, s5
	v_mad_u32_u24 v18, v1, 40, v40
	ds_write_b64 v18, v[20:21]
	v_cvt_pk_f32_fp8_e32 v[18:19], v2
	v_cvt_pk_f32_fp8_sdwa v[20:21], v2 src0_sel:WORD_1
	v_cvt_pk_f32_fp8_e32 v[22:23], v3
	v_cvt_pk_f32_fp8_sdwa v[2:3], v3 src0_sel:WORD_1
	v_perm_b32 v18, v19, v18, s5
	v_perm_b32 v19, v21, v20, s5
	;; [unrolled: 1-line block ×4, first 2 shown]
	v_mfma_f32_4x4x4_16b_bf16 a[0:3], v[34:35], v[18:19], 0 cbsz:4
	v_cvt_pk_f32_fp8_e32 v[2:3], v4
	v_cvt_pk_f32_fp8_sdwa v[18:19], v4 src0_sel:WORD_1
	v_mfma_f32_4x4x4_16b_bf16 a[0:3], v[34:35], v[20:21], a[0:3] cbsz:4 abid:1
	v_cvt_pk_f32_fp8_e32 v[20:21], v5
	v_cvt_pk_f32_fp8_sdwa v[4:5], v5 src0_sel:WORD_1
	v_perm_b32 v2, v3, v2, s5
	v_perm_b32 v3, v19, v18, s5
	;; [unrolled: 1-line block ×4, first 2 shown]
	v_mfma_f32_4x4x4_16b_bf16 a[0:3], v[34:35], v[2:3], a[0:3] cbsz:4 abid:2
	v_cvt_pk_f32_fp8_e32 v[2:3], v6
	v_cvt_pk_f32_fp8_sdwa v[4:5], v6 src0_sel:WORD_1
	v_mfma_f32_4x4x4_16b_bf16 a[0:3], v[34:35], v[18:19], a[0:3] cbsz:4 abid:3
	v_cvt_pk_f32_fp8_e32 v[18:19], v7
	v_cvt_pk_f32_fp8_sdwa v[6:7], v7 src0_sel:WORD_1
	v_perm_b32 v2, v3, v2, s5
	v_perm_b32 v3, v5, v4, s5
	;; [unrolled: 1-line block ×4, first 2 shown]
	v_mfma_f32_4x4x4_16b_bf16 a[0:3], v[34:35], v[2:3], a[0:3] cbsz:4 abid:4
	v_cvt_pk_f32_fp8_e32 v[2:3], v8
	v_cvt_pk_f32_fp8_e32 v[6:7], v9
	v_mfma_f32_4x4x4_16b_bf16 a[0:3], v[34:35], v[4:5], a[0:3] cbsz:4 abid:5
	v_cvt_pk_f32_fp8_sdwa v[4:5], v8 src0_sel:WORD_1
	v_cvt_pk_f32_fp8_sdwa v[8:9], v9 src0_sel:WORD_1
	v_perm_b32 v2, v3, v2, s5
	v_perm_b32 v3, v5, v4, s5
	v_perm_b32 v4, v7, v6, s5
	s_nop 0
	v_mfma_f32_4x4x4_16b_bf16 a[0:3], v[34:35], v[2:3], a[0:3] cbsz:4 abid:6
	v_perm_b32 v5, v9, v8, s5
	v_cvt_pk_f32_fp8_e32 v[2:3], v10
	v_cvt_pk_f32_fp8_e32 v[6:7], v11
	v_mfma_f32_4x4x4_16b_bf16 a[0:3], v[34:35], v[4:5], a[0:3] cbsz:4 abid:7
	v_cvt_pk_f32_fp8_sdwa v[4:5], v10 src0_sel:WORD_1
	v_cvt_pk_f32_fp8_sdwa v[8:9], v11 src0_sel:WORD_1
	v_perm_b32 v2, v3, v2, s5
	v_perm_b32 v3, v5, v4, s5
	v_perm_b32 v4, v7, v6, s5
	s_nop 0
	v_mfma_f32_4x4x4_16b_bf16 a[0:3], v[34:35], v[2:3], a[0:3] cbsz:4 abid:8
	v_perm_b32 v5, v9, v8, s5
	;; [unrolled: 11-line block ×3, first 2 shown]
	s_waitcnt vmcnt(0)
	v_cvt_pk_f32_fp8_e32 v[2:3], v14
	v_cvt_pk_f32_fp8_e32 v[6:7], v15
	v_mfma_f32_4x4x4_16b_bf16 a[0:3], v[34:35], v[4:5], a[0:3] cbsz:4 abid:11
	v_cvt_pk_f32_fp8_sdwa v[4:5], v14 src0_sel:WORD_1
	v_cvt_pk_f32_fp8_sdwa v[8:9], v15 src0_sel:WORD_1
	v_perm_b32 v2, v3, v2, s5
	v_perm_b32 v3, v5, v4, s5
	;; [unrolled: 1-line block ×3, first 2 shown]
	s_nop 0
	v_mfma_f32_4x4x4_16b_bf16 a[0:3], v[34:35], v[2:3], a[0:3] cbsz:4 abid:12
	v_perm_b32 v5, v9, v8, s5
	v_cvt_pk_f32_fp8_e32 v[2:3], v16
	v_cvt_pk_f32_fp8_e32 v[6:7], v17
	v_mfma_f32_4x4x4_16b_bf16 a[0:3], v[34:35], v[4:5], a[0:3] cbsz:4 abid:13
	v_cvt_pk_f32_fp8_sdwa v[4:5], v16 src0_sel:WORD_1
	v_cvt_pk_f32_fp8_sdwa v[8:9], v17 src0_sel:WORD_1
	v_perm_b32 v2, v3, v2, s5
	v_perm_b32 v3, v5, v4, s5
	;; [unrolled: 1-line block ×3, first 2 shown]
	s_nop 0
	v_mfma_f32_4x4x4_16b_bf16 a[0:3], v[34:35], v[2:3], a[0:3] cbsz:4 abid:14
	v_perm_b32 v5, v9, v8, s5
	s_nop 1
	v_mfma_f32_4x4x4_16b_bf16 a[0:3], v[34:35], v[4:5], a[0:3] cbsz:4 abid:15
	s_nop 4
	v_accvgpr_read_b32 v5, a1
	v_accvgpr_read_b32 v4, a0
	;; [unrolled: 1-line block ×4, first 2 shown]
	v_pk_mul_f32 v[4:5], v[4:5], s[6:7] op_sel_hi:[1,0]
	v_pk_mul_f32 v[2:3], v[2:3], s[6:7] op_sel_hi:[1,0]
	v_bfe_u32 v6, v5, 16, 1
	v_bfe_u32 v7, v4, 16, 1
	v_add3_u32 v4, v4, v7, s1
	v_add3_u32 v5, v5, v6, s1
	v_bfe_u32 v6, v3, 16, 1
	v_bfe_u32 v7, v2, 16, 1
	v_add3_u32 v2, v2, v7, s1
	v_add3_u32 v3, v3, v6, s1
	v_perm_b32 v39, v3, v2, s5
	v_perm_b32 v38, v5, v4, s5
.LBB1288_25:
	s_or_b64 exec, exec, s[2:3]
	s_waitcnt vmcnt(6)
	v_mad_u32_u24 v2, v1, 40, v40
	v_cmp_gt_u32_e32 vcc, 64, v0
	ds_write_b64 v2, v[38:39] offset:2560
	s_waitcnt lgkmcnt(0)
	s_barrier
	s_and_saveexec_b64 s[2:3], vcc
	s_cbranch_execz .LBB1288_27
; %bb.26:
	v_mov_b32_e32 v2, 0xa00
	v_mad_u32_u24 v2, v1, 40, v2
	ds_read2_b64 v[2:5], v2 offset1:1
	s_waitcnt lgkmcnt(0)
	v_mov_b32_e32 v3, 0xa10
	s_waitcnt vmcnt(2)
	v_mul_u32_u24_e32 v10, 40, v1
	v_mad_u32_u24 v1, v1, 40, v3
	ds_read2_b64 v[6:9], v1 offset1:1
	v_lshlrev_b32_e32 v1, 16, v2
	v_add_f32_e32 v1, 0, v1
	v_and_b32_e32 v1, 0xffff0000, v1
	v_lshlrev_b32_e32 v2, 16, v4
	v_add_f32_e32 v1, v1, v2
	v_and_b32_e32 v1, 0xffff0000, v1
	s_waitcnt lgkmcnt(0)
	v_lshlrev_b32_e32 v2, 16, v6
	v_add_f32_e32 v1, v1, v2
	v_and_b32_e32 v1, 0xffff0000, v1
	v_lshlrev_b32_e32 v2, 16, v8
	v_add_f32_e32 v11, v1, v2
	ds_read2_b64 v[2:5], v10 offset1:1
	ds_read2_b64 v[6:9], v10 offset0:2 offset1:3
	s_mov_b32 s1, 0
	s_lshl_b32 s0, s0, 7
	s_lshl_b64 s[2:3], s[0:1], 1
	s_waitcnt lgkmcnt(1)
	v_lshlrev_b32_e32 v2, 16, v2
	v_add_f32_e32 v2, 0, v2
	s_add_u32 s2, s22, s2
	v_and_b32_e32 v2, 0xffff0000, v2
	v_lshlrev_b32_e32 v3, 16, v4
	s_addc_u32 s3, s23, s3
	s_lshl_b32 s0, s20, 7
	v_add_f32_e32 v2, v2, v3
	s_lshl_b64 s[0:1], s[0:1], 1
	v_and_b32_e32 v2, 0xffff0000, v2
	s_waitcnt lgkmcnt(0)
	v_lshlrev_b32_e32 v3, 16, v6
	s_add_u32 s0, s2, s0
	s_mul_i32 s2, s4, s33
	v_add_f32_e32 v2, v2, v3
	s_addc_u32 s1, s3, s1
	v_lshl_or_b32 v0, s2, 7, v0
	v_mov_b32_e32 v1, 0
	v_and_b32_e32 v2, 0xffff0000, v2
	v_lshlrev_b32_e32 v3, 16, v8
	v_lshl_add_u64 v[0:1], v[0:1], 1, s[0:1]
	v_add_f32_e32 v2, v2, v3
	global_store_short_d16_hi v[0:1], v2, off
	global_store_short_d16_hi v[0:1], v11, off offset:128
.LBB1288_27:
	s_endpgm
	.section	.rodata,"a",@progbits
	.p2align	6, 0x0
	.amdhsa_kernel _Z38paged_attention_ll4mi_QKV_mfma4_kernelI14__hip_bfloat16hLN4vllm18Fp8KVCacheDataTypeE1ES0_Li16ELi128ELi256ELb1ELi1EEvPKT_PKT0_S8_ifPKiSA_SA_iPKfiiiPfSD_PS3_PT2_iSC_SC_
		.amdhsa_group_segment_fixed_size 5280
		.amdhsa_private_segment_fixed_size 0
		.amdhsa_kernarg_size 400
		.amdhsa_user_sgpr_count 2
		.amdhsa_user_sgpr_dispatch_ptr 0
		.amdhsa_user_sgpr_queue_ptr 0
		.amdhsa_user_sgpr_kernarg_segment_ptr 1
		.amdhsa_user_sgpr_dispatch_id 0
		.amdhsa_user_sgpr_kernarg_preload_length 0
		.amdhsa_user_sgpr_kernarg_preload_offset 0
		.amdhsa_user_sgpr_private_segment_size 0
		.amdhsa_uses_dynamic_stack 0
		.amdhsa_enable_private_segment 0
		.amdhsa_system_sgpr_workgroup_id_x 1
		.amdhsa_system_sgpr_workgroup_id_y 1
		.amdhsa_system_sgpr_workgroup_id_z 1
		.amdhsa_system_sgpr_workgroup_info 0
		.amdhsa_system_vgpr_workitem_id 0
		.amdhsa_next_free_vgpr 60
		.amdhsa_next_free_sgpr 42
		.amdhsa_accum_offset 56
		.amdhsa_reserve_vcc 1
		.amdhsa_float_round_mode_32 0
		.amdhsa_float_round_mode_16_64 0
		.amdhsa_float_denorm_mode_32 3
		.amdhsa_float_denorm_mode_16_64 3
		.amdhsa_dx10_clamp 1
		.amdhsa_ieee_mode 1
		.amdhsa_fp16_overflow 0
		.amdhsa_tg_split 0
		.amdhsa_exception_fp_ieee_invalid_op 0
		.amdhsa_exception_fp_denorm_src 0
		.amdhsa_exception_fp_ieee_div_zero 0
		.amdhsa_exception_fp_ieee_overflow 0
		.amdhsa_exception_fp_ieee_underflow 0
		.amdhsa_exception_fp_ieee_inexact 0
		.amdhsa_exception_int_div_zero 0
	.end_amdhsa_kernel
	.section	.text._Z38paged_attention_ll4mi_QKV_mfma4_kernelI14__hip_bfloat16hLN4vllm18Fp8KVCacheDataTypeE1ES0_Li16ELi128ELi256ELb1ELi1EEvPKT_PKT0_S8_ifPKiSA_SA_iPKfiiiPfSD_PS3_PT2_iSC_SC_,"axG",@progbits,_Z38paged_attention_ll4mi_QKV_mfma4_kernelI14__hip_bfloat16hLN4vllm18Fp8KVCacheDataTypeE1ES0_Li16ELi128ELi256ELb1ELi1EEvPKT_PKT0_S8_ifPKiSA_SA_iPKfiiiPfSD_PS3_PT2_iSC_SC_,comdat
.Lfunc_end1288:
	.size	_Z38paged_attention_ll4mi_QKV_mfma4_kernelI14__hip_bfloat16hLN4vllm18Fp8KVCacheDataTypeE1ES0_Li16ELi128ELi256ELb1ELi1EEvPKT_PKT0_S8_ifPKiSA_SA_iPKfiiiPfSD_PS3_PT2_iSC_SC_, .Lfunc_end1288-_Z38paged_attention_ll4mi_QKV_mfma4_kernelI14__hip_bfloat16hLN4vllm18Fp8KVCacheDataTypeE1ES0_Li16ELi128ELi256ELb1ELi1EEvPKT_PKT0_S8_ifPKiSA_SA_iPKfiiiPfSD_PS3_PT2_iSC_SC_
                                        ; -- End function
	.section	.AMDGPU.csdata,"",@progbits
; Kernel info:
; codeLenInByte = 5676
; NumSgprs: 48
; NumVgprs: 56
; NumAgprs: 4
; TotalNumVgprs: 60
; ScratchSize: 0
; MemoryBound: 0
; FloatMode: 240
; IeeeMode: 1
; LDSByteSize: 5280 bytes/workgroup (compile time only)
; SGPRBlocks: 5
; VGPRBlocks: 7
; NumSGPRsForWavesPerEU: 48
; NumVGPRsForWavesPerEU: 60
; AccumOffset: 56
; Occupancy: 8
; WaveLimiterHint : 1
; COMPUTE_PGM_RSRC2:SCRATCH_EN: 0
; COMPUTE_PGM_RSRC2:USER_SGPR: 2
; COMPUTE_PGM_RSRC2:TRAP_HANDLER: 0
; COMPUTE_PGM_RSRC2:TGID_X_EN: 1
; COMPUTE_PGM_RSRC2:TGID_Y_EN: 1
; COMPUTE_PGM_RSRC2:TGID_Z_EN: 1
; COMPUTE_PGM_RSRC2:TIDIG_COMP_CNT: 0
; COMPUTE_PGM_RSRC3_GFX90A:ACCUM_OFFSET: 13
; COMPUTE_PGM_RSRC3_GFX90A:TG_SPLIT: 0
	.section	.text._Z38paged_attention_ll4mi_QKV_mfma4_kernelI14__hip_bfloat16hLN4vllm18Fp8KVCacheDataTypeE1ES0_Li16ELi128ELi256ELb1ELi2EEvPKT_PKT0_S8_ifPKiSA_SA_iPKfiiiPfSD_PS3_PT2_iSC_SC_,"axG",@progbits,_Z38paged_attention_ll4mi_QKV_mfma4_kernelI14__hip_bfloat16hLN4vllm18Fp8KVCacheDataTypeE1ES0_Li16ELi128ELi256ELb1ELi2EEvPKT_PKT0_S8_ifPKiSA_SA_iPKfiiiPfSD_PS3_PT2_iSC_SC_,comdat
	.protected	_Z38paged_attention_ll4mi_QKV_mfma4_kernelI14__hip_bfloat16hLN4vllm18Fp8KVCacheDataTypeE1ES0_Li16ELi128ELi256ELb1ELi2EEvPKT_PKT0_S8_ifPKiSA_SA_iPKfiiiPfSD_PS3_PT2_iSC_SC_ ; -- Begin function _Z38paged_attention_ll4mi_QKV_mfma4_kernelI14__hip_bfloat16hLN4vllm18Fp8KVCacheDataTypeE1ES0_Li16ELi128ELi256ELb1ELi2EEvPKT_PKT0_S8_ifPKiSA_SA_iPKfiiiPfSD_PS3_PT2_iSC_SC_
	.globl	_Z38paged_attention_ll4mi_QKV_mfma4_kernelI14__hip_bfloat16hLN4vllm18Fp8KVCacheDataTypeE1ES0_Li16ELi128ELi256ELb1ELi2EEvPKT_PKT0_S8_ifPKiSA_SA_iPKfiiiPfSD_PS3_PT2_iSC_SC_
	.p2align	8
	.type	_Z38paged_attention_ll4mi_QKV_mfma4_kernelI14__hip_bfloat16hLN4vllm18Fp8KVCacheDataTypeE1ES0_Li16ELi128ELi256ELb1ELi2EEvPKT_PKT0_S8_ifPKiSA_SA_iPKfiiiPfSD_PS3_PT2_iSC_SC_,@function
_Z38paged_attention_ll4mi_QKV_mfma4_kernelI14__hip_bfloat16hLN4vllm18Fp8KVCacheDataTypeE1ES0_Li16ELi128ELi256ELb1ELi2EEvPKT_PKT0_S8_ifPKiSA_SA_iPKfiiiPfSD_PS3_PT2_iSC_SC_: ; @_Z38paged_attention_ll4mi_QKV_mfma4_kernelI14__hip_bfloat16hLN4vllm18Fp8KVCacheDataTypeE1ES0_Li16ELi128ELi256ELb1ELi2EEvPKT_PKT0_S8_ifPKiSA_SA_iPKfiiiPfSD_PS3_PT2_iSC_SC_
; %bb.0:
	s_load_dwordx2 s[16:17], s[0:1], 0x30
	s_mov_b32 s20, s3
	s_mov_b64 s[6:7], 0
	s_waitcnt lgkmcnt(0)
	s_cmp_lg_u64 s[16:17], 0
	s_cselect_b64 s[18:19], -1, 0
	s_and_b64 vcc, exec, s[18:19]
	s_cbranch_vccz .LBB1289_10
; %bb.1:
	s_add_i32 s8, s2, 1
	s_mov_b32 s9, 0
	s_lshl_b64 s[10:11], s[8:9], 2
	s_add_u32 s10, s16, s10
	s_mov_b32 s3, s9
	s_addc_u32 s11, s17, s11
	s_lshl_b64 s[8:9], s[2:3], 2
	s_add_u32 s8, s16, s8
	s_addc_u32 s9, s17, s9
	s_load_dword s5, s[10:11], 0x0
	s_load_dword s12, s[8:9], 0x0
	s_waitcnt lgkmcnt(0)
	s_sub_i32 s5, s5, s12
	s_cmp_eq_u32 s5, 1
	s_cselect_b64 s[8:9], -1, 0
	s_andn2_b64 vcc, exec, s[6:7]
	s_cbranch_vccnz .LBB1289_3
.LBB1289_2:
	s_mov_b32 s3, 0
	s_mov_b64 s[8:9], -1
.LBB1289_3:
	s_andn2_b64 vcc, exec, s[8:9]
	s_cbranch_vccnz .LBB1289_27
; %bb.4:
	s_load_dword s5, s[0:1], 0x9c
	s_load_dwordx2 s[6:7], s[0:1], 0x28
	s_add_u32 s24, s0, 0x90
	s_addc_u32 s25, s1, 0
	s_lshl_b64 s[28:29], s[2:3], 2
	s_waitcnt lgkmcnt(0)
	s_and_b32 s5, s5, 0xffff
	s_add_u32 s6, s6, s28
	s_addc_u32 s7, s7, s29
	s_load_dword s3, s[6:7], 0x0
	s_mul_i32 s5, s20, s5
	s_waitcnt lgkmcnt(0)
	s_cmp_ge_i32 s5, s3
	s_cbranch_scc1 .LBB1289_27
; %bb.5:
	v_and_b32_e32 v1, 0xc0, v0
	v_add_u32_e32 v4, s5, v1
	v_lshrrev_b32_e32 v44, 6, v0
	v_cmp_le_i32_e64 s[6:7], s3, v4
                                        ; implicit-def: $sgpr30
                                        ; implicit-def: $sgpr21
	s_and_saveexec_b64 s[8:9], s[6:7]
	s_xor_b64 s[8:9], exec, s[8:9]
	s_cbranch_execz .LBB1289_7
; %bb.6:
	v_mul_u32_u24_e32 v1, 20, v44
	v_or_b32_e32 v1, 0x1400, v1
	v_mov_b32_e32 v2, 0x1450
	v_mov_b32_e32 v3, 0xff7fffff
	v_mad_u32_u24 v2, v44, 20, v2
	ds_write2_b32 v1, v3, v3 offset1:1
	v_mov_b32_e32 v1, 0
	ds_write2_b32 v2, v1, v1 offset1:1
	v_mov_b32_e32 v2, 0x1408
	v_mov_b32_e32 v4, 0x1458
	s_mov_b32 s21, 0xff7fffff
	s_mov_b32 s30, 0
	v_mad_u32_u24 v2, v44, 20, v2
	v_mad_u32_u24 v4, v44, 20, v4
	ds_write2_b32 v2, v3, v3 offset1:1
	ds_write2_b32 v4, v1, v1 offset1:1
                                        ; implicit-def: $vgpr4
.LBB1289_7:
	s_or_saveexec_b64 s[26:27], s[8:9]
	s_load_dwordx2 s[22:23], s[0:1], 0x68
	s_load_dwordx4 s[12:15], s[0:1], 0x58
	s_load_dword s38, s[24:25], 0x4
	s_load_dwordx4 s[8:11], s[0:1], 0x80
	v_and_b32_e32 v1, 63, v0
	v_and_b32_e32 v45, 3, v0
	s_lshl_b32 s33, s4, 1
	v_mov_b32_e32 v37, s30
	v_mov_b32_e32 v41, s21
	;; [unrolled: 1-line block ×5, first 2 shown]
                                        ; implicit-def: $vgpr18_vgpr19
                                        ; implicit-def: $vgpr22_vgpr23
                                        ; implicit-def: $vgpr26_vgpr27
                                        ; implicit-def: $vgpr30_vgpr31
                                        ; implicit-def: $vgpr2_vgpr3
                                        ; implicit-def: $vgpr6_vgpr7
                                        ; implicit-def: $vgpr10_vgpr11
                                        ; implicit-def: $vgpr14_vgpr15
	s_xor_b64 exec, exec, s[26:27]
	s_cbranch_execz .LBB1289_19
; %bb.8:
	s_load_dwordx2 s[30:31], s[0:1], 0x20
	s_load_dword s21, s[0:1], 0x38
	s_add_i32 s34, s3, 15
	s_ashr_i32 s35, s34, 31
	s_lshr_b32 s35, s35, 28
	v_add_u32_e32 v46, s5, v0
	s_add_i32 s34, s34, s35
	v_ashrrev_i32_e32 v2, 31, v46
	s_ashr_i32 s34, s34, 4
	v_lshrrev_b32_e32 v2, 28, v2
	s_add_i32 s36, s34, -1
	s_waitcnt lgkmcnt(0)
	s_mul_i32 s34, s2, s21
	s_mov_b32 s35, 0
	v_add_u32_e32 v2, v46, v2
	s_lshl_b64 s[34:35], s[34:35], 2
	v_ashrrev_i32_e32 v2, 4, v2
	v_mov_b32_e32 v3, s36
	v_cmp_gt_i32_e32 vcc, s3, v46
	s_add_u32 s30, s30, s34
	s_addc_u32 s31, s31, s35
	v_cndmask_b32_e32 v2, v3, v2, vcc
	v_ashrrev_i32_e32 v3, 31, v2
	v_lshl_add_u64 v[6:7], v[2:3], 2, s[30:31]
	v_ashrrev_i32_e32 v2, 31, v4
	v_lshrrev_b32_e32 v2, 28, v2
	v_add_u32_e32 v2, v4, v2
	v_ashrrev_i32_e32 v12, 4, v2
	v_min_i32_e32 v2, s36, v12
	v_ashrrev_i32_e32 v3, 31, v2
	v_lshl_add_u64 v[4:5], v[2:3], 2, s[30:31]
	v_add_u32_e32 v2, 1, v12
	v_min_i32_e32 v2, s36, v2
	v_ashrrev_i32_e32 v3, 31, v2
	v_lshl_add_u64 v[8:9], v[2:3], 2, s[30:31]
	v_add_u32_e32 v2, 2, v12
	;; [unrolled: 4-line block ×3, first 2 shown]
	v_min_i32_e32 v2, s36, v2
	v_ashrrev_i32_e32 v3, 31, v2
	v_lshl_add_u64 v[12:13], v[2:3], 2, s[30:31]
	global_load_dword v2, v[6:7], off
	global_load_dword v43, v[4:5], off
	;; [unrolled: 1-line block ×5, first 2 shown]
	s_load_dwordx2 s[30:31], s[0:1], 0x8
	s_andn2_b64 vcc, exec, s[18:19]
	s_cbranch_vccnz .LBB1289_11
; %bb.9:
	s_add_u32 s16, s16, s28
	s_addc_u32 s17, s17, s29
	s_load_dword s5, s[16:17], 0x0
	s_branch .LBB1289_12
.LBB1289_10:
	s_mov_b64 s[8:9], 0
	s_branch .LBB1289_2
.LBB1289_11:
	s_mov_b32 s5, s2
.LBB1289_12:
	s_load_dwordx2 s[28:29], s[0:1], 0x10
	s_load_dwordx4 s[16:19], s[0:1], 0x48
	v_cmp_gt_u32_e32 vcc, 2, v45
	s_mov_b32 s37, 0
	v_mov_b32_e32 v27, 0
	v_mov_b32_e32 v34, 0
	;; [unrolled: 1-line block ×5, first 2 shown]
	s_and_saveexec_b64 s[34:35], vcc
	s_cbranch_execz .LBB1289_14
; %bb.13:
	s_load_dwordx2 s[40:41], s[0:1], 0x0
	s_waitcnt lgkmcnt(0)
	s_ashr_i32 s19, s16, 31
	s_mul_hi_u32 s21, s5, s16
	s_mul_i32 s19, s5, s19
	s_add_i32 s43, s21, s19
	s_mul_i32 s42, s5, s16
	s_lshl_b64 s[42:43], s[42:43], 1
	s_add_u32 s5, s40, s42
	s_addc_u32 s16, s41, s43
	s_lshl_b32 s36, s4, 8
	s_lshl_b64 s[36:37], s[36:37], 1
	v_lshlrev_b32_e32 v3, 2, v1
	s_add_u32 s36, s5, s36
	v_and_b32_e32 v3, 0xf0, v3
	s_addc_u32 s37, s16, s37
	v_lshl_or_b32 v3, v45, 8, v3
	global_load_dwordx4 v[34:37], v3, s[36:37]
.LBB1289_14:
	s_or_b64 exec, exec, s[34:35]
	s_waitcnt lgkmcnt(0)
	s_mul_i32 s16, s4, s18
	s_add_u32 s4, s16, s30
	s_addc_u32 s5, 0, s31
	v_mov_b64_e32 v[4:5], s[4:5]
	s_waitcnt vmcnt(4)
	v_mad_i64_i32 v[2:3], s[4:5], v2, s17, v[4:5]
	v_lshlrev_b32_e32 v4, 4, v0
	v_and_b32_e32 v26, 0xf0, v4
	v_lshl_add_u64 v[48:49], v[2:3], 0, v[26:27]
	global_load_dwordx4 v[18:21], v[48:49], off
	global_load_dwordx4 v[2:5], v[48:49], off offset:256
	global_load_dwordx4 v[22:25], v[48:49], off offset:512
	;; [unrolled: 1-line block ×7, first 2 shown]
	v_mov_b32_e32 v47, 0
	s_and_saveexec_b64 s[4:5], vcc
	s_cbranch_execz .LBB1289_16
; %bb.15:
	s_load_dwordx2 s[18:19], s[0:1], 0x40
	v_or_b32_e32 v48, s33, v45
	v_mov_b32_e32 v49, 0
	s_waitcnt lgkmcnt(0)
	v_lshl_add_u64 v[48:49], v[48:49], 2, s[18:19]
	global_load_dword v47, v[48:49], off
.LBB1289_16:
	s_or_b64 exec, exec, s[4:5]
	s_waitcnt vmcnt(11)
	v_mul_hi_i32 v26, v43, s17
	v_ashrrev_i32_e32 v26, 31, v26
	v_lshrrev_b32_e32 v48, 29, v26
	v_mov_b32_e32 v49, 0
	v_mad_i64_i32 v[50:51], s[18:19], v43, s17, v[48:49]
	s_waitcnt vmcnt(10)
	v_mul_hi_i32 v43, v42, s17
	v_ashrrev_i32_e32 v43, 31, v43
	v_lshrrev_b32_e32 v48, 29, v43
	s_add_u32 s4, s28, s16
	v_mad_i64_i32 v[42:43], s[18:19], v42, s17, v[48:49]
	s_addc_u32 s5, s29, 0
	v_and_b32_e32 v42, -8, v42
	v_lshlrev_b32_e32 v26, 4, v1
	v_lshl_add_u64 v[42:43], s[4:5], 0, v[42:43]
	v_lshl_add_u64 v[52:53], v[42:43], 0, v[26:27]
	s_waitcnt vmcnt(9)
	v_mul_hi_i32 v42, v29, s17
	v_ashrrev_i32_e32 v42, 31, v42
	v_lshrrev_b32_e32 v48, 29, v42
	v_mad_i64_i32 v[42:43], s[18:19], v29, s17, v[48:49]
	s_waitcnt vmcnt(8)
	v_mul_hi_i32 v29, v28, s17
	v_ashrrev_i32_e32 v29, 31, v29
	v_lshrrev_b32_e32 v48, 29, v29
	v_mad_i64_i32 v[28:29], s[16:17], v28, s17, v[48:49]
	v_and_b32_e32 v50, -8, v50
	v_and_b32_e32 v42, -8, v42
	;; [unrolled: 1-line block ×3, first 2 shown]
	v_lshl_add_u64 v[50:51], s[4:5], 0, v[50:51]
	v_lshl_add_u64 v[42:43], s[4:5], 0, v[42:43]
	;; [unrolled: 1-line block ×6, first 2 shown]
	s_waitcnt vmcnt(7)
	v_cvt_pk_f32_fp8_e32 v[26:27], v18
	v_cvt_pk_f32_fp8_sdwa v[28:29], v18 src0_sel:WORD_1
	s_mov_b32 s4, 0x7060302
	s_waitcnt vmcnt(5)
	v_cvt_pk_f32_fp8_e32 v[48:49], v23
	v_perm_b32 v26, v27, v26, s4
	v_perm_b32 v27, v29, v28, s4
	v_cvt_pk_f32_fp8_e32 v[28:29], v19
	v_cvt_pk_f32_fp8_sdwa v[18:19], v19 src0_sel:WORD_1
	v_mfma_f32_4x4x4_16b_bf16 a[0:3], v[34:35], v[26:27], 0 cbsz:4
	s_load_dword s0, s[0:1], 0x1c
	v_perm_b32 v26, v29, v28, s4
	v_perm_b32 v27, v19, v18, s4
	v_cvt_pk_f32_fp8_e32 v[18:19], v20
	v_cvt_pk_f32_fp8_e32 v[28:29], v21
	v_mfma_f32_4x4x4_16b_bf16 a[0:3], v[36:37], v[26:27], a[0:3] cbsz:4
	v_cvt_pk_f32_fp8_sdwa v[26:27], v20 src0_sel:WORD_1
	v_cvt_pk_f32_fp8_sdwa v[20:21], v21 src0_sel:WORD_1
	v_perm_b32 v18, v19, v18, s4
	s_load_dword s1, s[8:9], 0x0
	v_perm_b32 v19, v27, v26, s4
	v_perm_b32 v26, v29, v28, s4
	;; [unrolled: 1-line block ×3, first 2 shown]
	v_mfma_f32_4x4x4_16b_bf16 a[0:3], v[34:35], v[18:19], a[0:3] cbsz:4 abid:1
	v_cvt_pk_f32_fp8_e32 v[18:19], v2
	v_cvt_pk_f32_fp8_sdwa v[20:21], v2 src0_sel:WORD_1
	v_mfma_f32_4x4x4_16b_bf16 a[0:3], v[36:37], v[26:27], a[0:3] cbsz:4 abid:1
	v_cvt_pk_f32_fp8_e32 v[26:27], v3
	v_cvt_pk_f32_fp8_sdwa v[2:3], v3 src0_sel:WORD_1
	v_perm_b32 v18, v19, v18, s4
	v_perm_b32 v19, v21, v20, s4
	;; [unrolled: 1-line block ×4, first 2 shown]
	v_mfma_f32_4x4x4_16b_bf16 a[0:3], v[34:35], v[18:19], a[0:3] cbsz:4 abid:2
	v_cvt_pk_f32_fp8_e32 v[2:3], v4
	v_cvt_pk_f32_fp8_sdwa v[18:19], v4 src0_sel:WORD_1
	v_mfma_f32_4x4x4_16b_bf16 a[0:3], v[36:37], v[20:21], a[0:3] cbsz:4 abid:2
	v_cvt_pk_f32_fp8_e32 v[26:27], v5
	v_cvt_pk_f32_fp8_sdwa v[4:5], v5 src0_sel:WORD_1
	v_perm_b32 v2, v3, v2, s4
	v_perm_b32 v3, v19, v18, s4
	v_cvt_pk_f32_fp8_sdwa v[28:29], v22 src0_sel:WORD_1
	v_perm_b32 v26, v27, v26, s4
	v_mfma_f32_4x4x4_16b_bf16 a[0:3], v[34:35], v[2:3], a[0:3] cbsz:4 abid:3
	v_cvt_pk_f32_fp8_e32 v[2:3], v22
	v_perm_b32 v27, v5, v4, s4
	v_cvt_pk_f32_fp8_sdwa v[22:23], v23 src0_sel:WORD_1
	global_load_dwordx4 v[18:21], v[50:51], off
	v_mfma_f32_4x4x4_16b_bf16 a[0:3], v[36:37], v[26:27], a[0:3] cbsz:4 abid:3
	v_perm_b32 v26, v3, v2, s4
	global_load_dwordx4 v[2:5], v[50:51], off offset:1024
	v_perm_b32 v27, v29, v28, s4
	v_perm_b32 v28, v49, v48, s4
	;; [unrolled: 1-line block ×3, first 2 shown]
	v_mfma_f32_4x4x4_16b_bf16 a[0:3], v[34:35], v[26:27], a[0:3] cbsz:4 abid:4
	v_cvt_pk_f32_fp8_e32 v[22:23], v24
	v_cvt_pk_f32_fp8_sdwa v[26:27], v24 src0_sel:WORD_1
	v_mfma_f32_4x4x4_16b_bf16 a[0:3], v[36:37], v[28:29], a[0:3] cbsz:4 abid:4
	v_cvt_pk_f32_fp8_e32 v[28:29], v25
	v_cvt_pk_f32_fp8_sdwa v[24:25], v25 src0_sel:WORD_1
	v_perm_b32 v22, v23, v22, s4
	v_perm_b32 v23, v27, v26, s4
	;; [unrolled: 1-line block ×4, first 2 shown]
	v_mfma_f32_4x4x4_16b_bf16 a[0:3], v[34:35], v[22:23], a[0:3] cbsz:4 abid:5
	s_waitcnt vmcnt(6)
	v_cvt_pk_f32_fp8_e32 v[22:23], v6
	v_cvt_pk_f32_fp8_sdwa v[24:25], v6 src0_sel:WORD_1
	v_mfma_f32_4x4x4_16b_bf16 a[0:3], v[36:37], v[26:27], a[0:3] cbsz:4 abid:5
	v_cvt_pk_f32_fp8_e32 v[26:27], v7
	v_cvt_pk_f32_fp8_sdwa v[28:29], v7 src0_sel:WORD_1
	v_perm_b32 v6, v23, v22, s4
	v_perm_b32 v7, v25, v24, s4
	v_perm_b32 v26, v27, v26, s4
	v_perm_b32 v27, v29, v28, s4
	v_mfma_f32_4x4x4_16b_bf16 a[0:3], v[34:35], v[6:7], a[0:3] cbsz:4 abid:6
	v_cvt_pk_f32_fp8_sdwa v[28:29], v8 src0_sel:WORD_1
	v_cvt_pk_f32_fp8_e32 v[48:49], v9
	v_mfma_f32_4x4x4_16b_bf16 a[0:3], v[36:37], v[26:27], a[0:3] cbsz:4 abid:6
	v_cvt_pk_f32_fp8_e32 v[26:27], v8
	v_cvt_pk_f32_fp8_sdwa v[50:51], v9 src0_sel:WORD_1
	global_load_dwordx4 v[22:25], v[52:53], off
	global_load_dwordx4 v[6:9], v[52:53], off offset:1024
	v_perm_b32 v26, v27, v26, s4
	v_perm_b32 v27, v29, v28, s4
	;; [unrolled: 1-line block ×4, first 2 shown]
	v_mfma_f32_4x4x4_16b_bf16 a[0:3], v[34:35], v[26:27], a[0:3] cbsz:4 abid:7
	s_waitcnt vmcnt(7)
	v_cvt_pk_f32_fp8_e32 v[26:27], v10
	v_cvt_pk_f32_fp8_e32 v[48:49], v11
	v_mfma_f32_4x4x4_16b_bf16 a[0:3], v[36:37], v[28:29], a[0:3] cbsz:4 abid:7
	v_cvt_pk_f32_fp8_sdwa v[28:29], v10 src0_sel:WORD_1
	v_cvt_pk_f32_fp8_sdwa v[10:11], v11 src0_sel:WORD_1
	v_perm_b32 v26, v27, v26, s4
	s_waitcnt vmcnt(6)
	v_cvt_pk_f32_fp8_sdwa v[50:51], v30 src0_sel:WORD_1
	v_perm_b32 v27, v29, v28, s4
	v_perm_b32 v29, v11, v10, s4
	v_cvt_pk_f32_fp8_e32 v[10:11], v12
	v_mfma_f32_4x4x4_16b_bf16 a[0:3], v[34:35], v[26:27], a[0:3] cbsz:4 abid:8
	v_cvt_pk_f32_fp8_sdwa v[26:27], v12 src0_sel:WORD_1
	v_perm_b32 v28, v49, v48, s4
	v_cvt_pk_f32_fp8_e32 v[48:49], v13
	v_cvt_pk_f32_fp8_sdwa v[12:13], v13 src0_sel:WORD_1
	v_mfma_f32_4x4x4_16b_bf16 a[0:3], v[36:37], v[28:29], a[0:3] cbsz:4 abid:8
	v_perm_b32 v10, v11, v10, s4
	v_perm_b32 v11, v27, v26, s4
	;; [unrolled: 1-line block ×4, first 2 shown]
	v_mfma_f32_4x4x4_16b_bf16 a[0:3], v[34:35], v[10:11], a[0:3] cbsz:4 abid:9
	v_cvt_pk_f32_fp8_e32 v[10:11], v30
	v_cvt_pk_f32_fp8_e32 v[52:53], v31
	v_cvt_pk_f32_fp8_sdwa v[30:31], v31 src0_sel:WORD_1
	v_mfma_f32_4x4x4_16b_bf16 a[0:3], v[36:37], v[48:49], a[0:3] cbsz:4 abid:9
	v_perm_b32 v48, v11, v10, s4
	v_perm_b32 v49, v51, v50, s4
	;; [unrolled: 1-line block ×4, first 2 shown]
	v_mfma_f32_4x4x4_16b_bf16 a[0:3], v[34:35], v[48:49], a[0:3] cbsz:4 abid:10
	v_cvt_pk_f32_fp8_e32 v[30:31], v32
	v_cvt_pk_f32_fp8_sdwa v[48:49], v32 src0_sel:WORD_1
	v_mfma_f32_4x4x4_16b_bf16 a[0:3], v[36:37], v[50:51], a[0:3] cbsz:4 abid:10
	v_cvt_pk_f32_fp8_e32 v[50:51], v33
	v_cvt_pk_f32_fp8_sdwa v[32:33], v33 src0_sel:WORD_1
	v_perm_b32 v30, v31, v30, s4
	v_perm_b32 v31, v49, v48, s4
	;; [unrolled: 1-line block ×4, first 2 shown]
	v_mfma_f32_4x4x4_16b_bf16 a[0:3], v[34:35], v[30:31], a[0:3] cbsz:4 abid:11
	s_waitcnt vmcnt(5)
	v_cvt_pk_f32_fp8_e32 v[30:31], v14
	v_cvt_pk_f32_fp8_sdwa v[32:33], v14 src0_sel:WORD_1
	v_mfma_f32_4x4x4_16b_bf16 a[0:3], v[36:37], v[48:49], a[0:3] cbsz:4 abid:11
	v_cvt_pk_f32_fp8_e32 v[48:49], v15
	v_cvt_pk_f32_fp8_sdwa v[50:51], v15 src0_sel:WORD_1
	v_perm_b32 v14, v31, v30, s4
	v_perm_b32 v15, v33, v32, s4
	;; [unrolled: 1-line block ×4, first 2 shown]
	v_mfma_f32_4x4x4_16b_bf16 a[0:3], v[34:35], v[14:15], a[0:3] cbsz:4 abid:12
	global_load_dwordx4 v[26:29], v[54:55], off
	global_load_dwordx4 v[10:13], v[54:55], off offset:1024
	global_load_dwordx4 v[30:33], v[42:43], off
	v_mfma_f32_4x4x4_16b_bf16 a[0:3], v[36:37], v[48:49], a[0:3] cbsz:4 abid:12
	v_cvt_pk_f32_fp8_e32 v[48:49], v16
	v_cvt_pk_f32_fp8_sdwa v[50:51], v16 src0_sel:WORD_1
	v_cvt_pk_f32_fp8_e32 v[52:53], v17
	v_cvt_pk_f32_fp8_sdwa v[54:55], v17 src0_sel:WORD_1
	global_load_dwordx4 v[14:17], v[42:43], off offset:1024
	v_perm_b32 v42, v49, v48, s4
	v_perm_b32 v43, v51, v50, s4
	;; [unrolled: 1-line block ×4, first 2 shown]
	v_mfma_f32_4x4x4_16b_bf16 a[0:3], v[34:35], v[42:43], a[0:3] cbsz:4 abid:13
	s_waitcnt vmcnt(8)
	v_cvt_pk_f32_fp8_e32 v[42:43], v38
	v_cvt_pk_f32_fp8_e32 v[50:51], v39
	v_mfma_f32_4x4x4_16b_bf16 a[0:3], v[36:37], v[48:49], a[0:3] cbsz:4 abid:13
	v_cvt_pk_f32_fp8_sdwa v[48:49], v38 src0_sel:WORD_1
	v_perm_b32 v38, v43, v42, s4
	v_cvt_pk_f32_fp8_sdwa v[42:43], v39 src0_sel:WORD_1
	v_cmp_eq_u32_e32 vcc, 0, v45
	v_perm_b32 v39, v49, v48, s4
	v_perm_b32 v48, v51, v50, s4
	;; [unrolled: 1-line block ×3, first 2 shown]
	v_mfma_f32_4x4x4_16b_bf16 a[0:3], v[34:35], v[38:39], a[0:3] cbsz:4 abid:14
	v_cvt_pk_f32_fp8_e32 v[38:39], v40
	v_cvt_pk_f32_fp8_sdwa v[42:43], v40 src0_sel:WORD_1
	v_mfma_f32_4x4x4_16b_bf16 a[0:3], v[36:37], v[48:49], a[0:3] cbsz:4 abid:14
	v_cvt_pk_f32_fp8_e32 v[48:49], v41
	v_cvt_pk_f32_fp8_sdwa v[40:41], v41 src0_sel:WORD_1
	v_perm_b32 v38, v39, v38, s4
	v_perm_b32 v39, v43, v42, s4
	;; [unrolled: 1-line block ×4, first 2 shown]
	v_mfma_f32_4x4x4_16b_bf16 a[0:3], v[34:35], v[38:39], a[0:3] cbsz:4 abid:15
	s_waitcnt lgkmcnt(0)
	v_mov_b32_e32 v34, s0
	v_mov_b32_e32 v41, 0xff7fffff
	v_mfma_f32_4x4x4_16b_bf16 a[0:3], v[36:37], v[42:43], a[0:3] cbsz:4 abid:15
	v_mul_f32_e32 v36, s1, v34
	s_nop 3
	v_accvgpr_read_b32 v39, a1
	v_accvgpr_read_b32 v38, a0
	v_pk_mul_f32 v[38:39], v[38:39], v[36:37] op_sel_hi:[1,0]
	v_accvgpr_read_b32 v35, a3
	v_accvgpr_read_b32 v34, a2
	v_pk_mul_f32 v[34:35], v[34:35], v[36:37] op_sel_hi:[1,0]
	v_cndmask_b32_e64 v36, 0, 1.0, vcc
	v_cmp_eq_u32_e32 vcc, 1, v45
	s_nop 0
	v_mfma_f32_4x4x1_16b_f32 a[0:3], v38, v36, 0
	v_cndmask_b32_e64 v36, 0, 1.0, vcc
	v_cmp_eq_u32_e32 vcc, 2, v45
	s_nop 0
	v_mfma_f32_4x4x1_16b_f32 a[0:3], v39, v36, a[0:3]
	;; [unrolled: 4-line block ×3, first 2 shown]
	v_cndmask_b32_e64 v34, 0, 1.0, vcc
	s_nop 1
	v_mfma_f32_4x4x1_16b_f32 a[0:3], v35, v34, a[0:3]
	v_and_b32_e32 v34, -4, v46
	v_subrev_u32_e32 v35, s3, v34
	v_add_u32_e32 v36, 1, v35
	v_cvt_f32_i32_e32 v36, v36
	v_add_u32_e32 v37, 2, v35
	v_cvt_f32_i32_e32 v37, v37
	v_accvgpr_read_b32 v38, a0
	v_fma_f32 v36, v47, v36, v38
	v_accvgpr_read_b32 v38, a1
	v_fma_f32 v37, v47, v37, v38
	v_add_u32_e32 v38, 3, v35
	v_cvt_f32_i32_e32 v38, v38
	v_add_u32_e32 v35, 4, v35
	v_max_f32_e32 v40, 0xff7fffff, v36
	v_cmp_gt_i32_e32 vcc, s3, v34
	v_cvt_f32_i32_e32 v35, v35
	v_accvgpr_read_b32 v39, a2
	v_cndmask_b32_e32 v40, v41, v40, vcc
	v_or_b32_e32 v41, 1, v34
	v_max_f32_e32 v42, v40, v37
	v_cmp_gt_i32_e64 s[0:1], s3, v41
	v_fma_f32 v38, v47, v38, v39
	v_or_b32_e32 v34, 2, v34
	v_cndmask_b32_e64 v40, v40, v42, s[0:1]
	v_accvgpr_read_b32 v39, a3
	v_max_f32_e32 v41, v40, v38
	v_cmp_gt_i32_e64 s[4:5], s3, v34
	v_fmac_f32_e32 v39, v47, v35
	v_lshlrev_b32_e32 v35, 2, v0
	v_cndmask_b32_e64 v34, v40, v41, s[4:5]
	v_or_b32_e32 v40, 3, v46
	v_max_f32_e32 v41, v34, v39
	v_cmp_gt_i32_e64 s[8:9], s3, v40
	v_and_or_b32 v35, v35, 48, v45
	v_lshlrev_b32_e32 v40, 2, v35
	v_cndmask_b32_e64 v34, v34, v41, s[8:9]
	;;#ASMSTART
	v_nop
 v_nop
 v_max_f32_dpp v34, v34, v34 row_ror:4
	;;#ASMEND
	s_nop 0
	;;#ASMSTART
	v_nop
 v_nop
 v_max_f32_dpp v34, v34, v34 row_ror:8
	;;#ASMEND
	ds_bpermute_b32 v34, v40, v34
	s_waitcnt lgkmcnt(0)
	;;#ASMSTART
	v_nop
 v_nop
 v_max_f32_dpp v34, v34, v34 row_ror:4
	;;#ASMEND
	s_nop 0
	;;#ASMSTART
	v_nop
 v_nop
 v_max_f32_dpp v41, v34, v34 row_ror:8
	;;#ASMEND
	s_nop 0
	v_sub_f32_e32 v34, v36, v41
	v_mul_f32_e32 v34, 0x3fb8aa3b, v34
	v_sub_f32_e32 v35, v37, v41
	v_exp_f32_e32 v34, v34
	v_mul_f32_e32 v35, 0x3fb8aa3b, v35
	v_sub_f32_e32 v37, v38, v41
	v_exp_f32_e32 v35, v35
	;; [unrolled: 3-line block ×3, first 2 shown]
	v_mul_f32_e32 v38, 0x3fb8aa3b, v38
	v_exp_f32_e32 v38, v38
	v_cndmask_b32_e32 v34, 0, v34, vcc
	v_add_f32_e32 v36, 0, v34
	v_cndmask_b32_e64 v35, 0, v35, s[0:1]
	v_add_f32_e32 v39, v36, v35
	v_cndmask_b32_e64 v36, 0, v37, s[4:5]
	;; [unrolled: 2-line block ×3, first 2 shown]
	v_add_f32_e32 v38, v39, v37
	;;#ASMSTART
	v_nop
 v_nop
 v_add_f32_dpp v38, v38, v38 row_ror:4
	;;#ASMEND
	v_cmp_gt_u32_e32 vcc, 4, v1
	;;#ASMSTART
	v_nop
 v_nop
 v_add_f32_dpp v38, v38, v38 row_ror:8
	;;#ASMEND
	ds_bpermute_b32 v38, v40, v38
	s_waitcnt lgkmcnt(0)
	;;#ASMSTART
	v_nop
 v_nop
 v_add_f32_dpp v38, v38, v38 row_ror:4
	;;#ASMEND
	s_nop 0
	;;#ASMSTART
	v_nop
 v_nop
 v_add_f32_dpp v38, v38, v38 row_ror:8
	;;#ASMEND
	s_and_saveexec_b64 s[0:1], vcc
	s_cbranch_execz .LBB1289_18
; %bb.17:
	v_mul_u32_u24_e32 v39, 20, v44
	v_lshl_add_u32 v39, v45, 2, v39
	v_add_u32_e32 v39, 0x1400, v39
	ds_write2_b32 v39, v41, v38 offset1:20
.LBB1289_18:
	s_or_b64 exec, exec, s[0:1]
.LBB1289_19:
	s_or_b64 exec, exec, s[26:27]
	s_waitcnt lgkmcnt(0)
	s_barrier
	s_load_dword s0, s[24:25], 0x8
	v_lshlrev_b32_e32 v38, 2, v45
	v_add_u32_e32 v40, 0x1400, v38
	ds_read2_b32 v[38:39], v40 offset1:5
	ds_read2_b32 v[46:47], v40 offset0:10 offset1:15
	s_mul_i32 s1, s2, s38
	s_waitcnt lgkmcnt(0)
	s_mul_i32 s1, s1, s0
	s_lshl_b32 s0, s1, 1
	s_mov_b32 s1, 0xff7fffff
	v_max3_f32 v42, v38, s1, v39
	v_max3_f32 v42, v42, v46, v47
	v_sub_f32_e32 v38, v38, v42
	v_mul_f32_e32 v38, 0x3fb8aa3b, v38
	v_exp_f32_e32 v43, v38
	v_sub_f32_e32 v38, v39, v42
	ds_read2_b32 v[48:49], v40 offset0:20 offset1:25
	v_mul_f32_e32 v38, 0x3fb8aa3b, v38
	v_exp_f32_e32 v50, v38
	ds_read2_b32 v[38:39], v40 offset0:30 offset1:35
	v_sub_f32_e32 v40, v46, v42
	v_mul_f32_e32 v40, 0x3fb8aa3b, v40
	v_sub_f32_e32 v46, v47, v42
	v_exp_f32_e32 v40, v40
	v_mul_f32_e32 v46, 0x3fb8aa3b, v46
	v_exp_f32_e32 v46, v46
	s_waitcnt lgkmcnt(1)
	v_fma_f32 v43, v43, v48, 0
	v_fmac_f32_e32 v43, v50, v49
	s_waitcnt lgkmcnt(0)
	v_fmac_f32_e32 v43, v40, v38
	v_fmac_f32_e32 v43, v46, v39
	v_cmp_gt_u32_e32 vcc, 2, v45
	s_and_saveexec_b64 s[2:3], vcc
	s_cbranch_execz .LBB1289_21
; %bb.20:
	s_mov_b32 s1, 0
	s_lshl_b64 s[4:5], s[0:1], 2
	s_add_u32 s12, s12, s4
	s_mov_b32 s21, s1
	s_addc_u32 s13, s13, s5
	s_lshl_b64 s[8:9], s[20:21], 2
	s_add_u32 s12, s12, s8
	s_addc_u32 s13, s13, s9
	s_add_u32 s1, s14, s4
	s_addc_u32 s5, s15, s5
	v_or_b32_e32 v38, s33, v45
	s_add_u32 s4, s1, s8
	v_mul_lo_u32 v38, s38, v38
	v_mov_b32_e32 v39, 0
	s_addc_u32 s5, s5, s9
	v_lshlrev_b64 v[38:39], 2, v[38:39]
	v_lshl_add_u64 v[46:47], s[12:13], 0, v[38:39]
	v_lshl_add_u64 v[38:39], s[4:5], 0, v[38:39]
	global_store_dword v[38:39], v42, off
	global_store_dword v[46:47], v43, off
.LBB1289_21:
	s_or_b64 exec, exec, s[2:3]
	v_lshlrev_b32_e32 v40, 3, v44
                                        ; implicit-def: $sgpr1
	s_and_saveexec_b64 s[2:3], s[6:7]
	s_xor_b64 s[2:3], exec, s[2:3]
	s_cbranch_execz .LBB1289_23
; %bb.22:
	s_waitcnt vmcnt(6)
	v_mov_b32_e32 v2, 0
	v_mad_u32_u24 v4, v1, 40, v40
	s_mov_b32 s1, 0
	v_mov_b32_e32 v3, v2
	ds_write_b64 v4, v[2:3]
                                        ; implicit-def: $vgpr37
                                        ; implicit-def: $vgpr35
                                        ; implicit-def: $vgpr41
                                        ; implicit-def: $vgpr18_vgpr19
                                        ; implicit-def: $vgpr22_vgpr23
                                        ; implicit-def: $vgpr26_vgpr27
                                        ; implicit-def: $vgpr30_vgpr31
                                        ; implicit-def: $vgpr2_vgpr3
                                        ; implicit-def: $vgpr6_vgpr7
                                        ; implicit-def: $vgpr10_vgpr11
                                        ; implicit-def: $vgpr14_vgpr15
                                        ; implicit-def: $vgpr42
                                        ; implicit-def: $vgpr43
.LBB1289_23:
	s_or_saveexec_b64 s[2:3], s[2:3]
	v_mov_b32_e32 v38, s1
	v_mov_b32_e32 v39, s1
	s_xor_b64 exec, exec, s[2:3]
	s_cbranch_execz .LBB1289_25
; %bb.24:
	v_add_f32_e32 v38, 0x358637bd, v43
	v_div_scale_f32 v39, s[4:5], v38, v38, 1.0
	v_rcp_f32_e32 v43, v39
	v_sub_f32_e32 v41, v41, v42
	v_mul_f32_e32 v41, 0x3fb8aa3b, v41
	v_exp_f32_e32 v41, v41
	v_fma_f32 v42, -v39, v43, 1.0
	v_fmac_f32_e32 v43, v42, v43
	v_div_scale_f32 v42, vcc, 1.0, v38, 1.0
	v_mul_f32_e32 v44, v42, v43
	v_fma_f32 v45, -v39, v44, v42
	v_fmac_f32_e32 v44, v45, v43
	v_fma_f32 v39, -v39, v44, v42
	v_div_fmas_f32 v39, v39, v43, v44
	v_div_fixup_f32 v38, v39, v38, 1.0
	v_mul_f32_e32 v38, v41, v38
	v_pk_mul_f32 v[34:35], v[34:35], v[38:39] op_sel_hi:[1,0]
	v_pk_mul_f32 v[36:37], v[36:37], v[38:39] op_sel_hi:[1,0]
	v_bfe_u32 v38, v35, 16, 1
	v_bfe_u32 v39, v34, 16, 1
	s_movk_i32 s1, 0x7fff
	v_add3_u32 v34, v34, v39, s1
	v_add3_u32 v35, v35, v38, s1
	s_mov_b32 s5, 0x7060302
	v_perm_b32 v34, v35, v34, s5
	v_bfe_u32 v35, v37, 16, 1
	v_bfe_u32 v38, v36, 16, 1
	v_add3_u32 v36, v36, v38, s1
	v_add3_u32 v35, v37, v35, s1
	v_perm_b32 v35, v35, v36, s5
	s_waitcnt vmcnt(7)
	v_cvt_pk_f32_fp8_e32 v[36:37], v18
	v_cvt_pk_f32_fp8_sdwa v[38:39], v18 src0_sel:WORD_1
	v_cvt_pk_f32_fp8_e32 v[42:43], v19
	v_cvt_pk_f32_fp8_sdwa v[18:19], v19 src0_sel:WORD_1
	v_perm_b32 v36, v37, v36, s5
	v_perm_b32 v37, v39, v38, s5
	;; [unrolled: 1-line block ×4, first 2 shown]
	v_mfma_f32_4x4x4_16b_bf16 a[0:3], v[34:35], v[36:37], 0 cbsz:4
	v_cvt_pk_f32_fp8_e32 v[18:19], v20
	v_cvt_pk_f32_fp8_sdwa v[36:37], v20 src0_sel:WORD_1
	v_mfma_f32_4x4x4_16b_bf16 a[0:3], v[34:35], v[38:39], a[0:3] cbsz:4 abid:1
	v_cvt_pk_f32_fp8_e32 v[38:39], v21
	v_cvt_pk_f32_fp8_sdwa v[20:21], v21 src0_sel:WORD_1
	v_perm_b32 v18, v19, v18, s5
	v_perm_b32 v19, v37, v36, s5
	v_perm_b32 v36, v39, v38, s5
	v_perm_b32 v37, v21, v20, s5
	v_mfma_f32_4x4x4_16b_bf16 a[0:3], v[34:35], v[18:19], a[0:3] cbsz:4 abid:2
	s_waitcnt vmcnt(5)
	v_cvt_pk_f32_fp8_e32 v[18:19], v22
	v_cvt_pk_f32_fp8_sdwa v[20:21], v22 src0_sel:WORD_1
	v_mfma_f32_4x4x4_16b_bf16 a[0:3], v[34:35], v[36:37], a[0:3] cbsz:4 abid:3
	v_cvt_pk_f32_fp8_e32 v[36:37], v23
	v_cvt_pk_f32_fp8_sdwa v[22:23], v23 src0_sel:WORD_1
	v_perm_b32 v18, v19, v18, s5
	v_perm_b32 v19, v21, v20, s5
	;; [unrolled: 1-line block ×4, first 2 shown]
	v_mfma_f32_4x4x4_16b_bf16 a[0:3], v[34:35], v[18:19], a[0:3] cbsz:4 abid:4
	v_cvt_pk_f32_fp8_e32 v[18:19], v24
	v_cvt_pk_f32_fp8_e32 v[22:23], v25
	v_mfma_f32_4x4x4_16b_bf16 a[0:3], v[34:35], v[20:21], a[0:3] cbsz:4 abid:5
	v_cvt_pk_f32_fp8_sdwa v[20:21], v24 src0_sel:WORD_1
	v_cvt_pk_f32_fp8_sdwa v[24:25], v25 src0_sel:WORD_1
	v_perm_b32 v18, v19, v18, s5
	s_load_dword s4, s[10:11], 0x0
	v_perm_b32 v19, v21, v20, s5
	v_perm_b32 v20, v23, v22, s5
	;; [unrolled: 1-line block ×3, first 2 shown]
	v_mfma_f32_4x4x4_16b_bf16 a[0:3], v[34:35], v[18:19], a[0:3] cbsz:4 abid:6
	s_waitcnt vmcnt(3)
	v_cvt_pk_f32_fp8_e32 v[18:19], v26
	v_cvt_pk_f32_fp8_e32 v[22:23], v27
	v_mfma_f32_4x4x4_16b_bf16 a[0:3], v[34:35], v[20:21], a[0:3] cbsz:4 abid:7
	v_cvt_pk_f32_fp8_sdwa v[20:21], v26 src0_sel:WORD_1
	v_cvt_pk_f32_fp8_sdwa v[24:25], v27 src0_sel:WORD_1
	v_perm_b32 v18, v19, v18, s5
	v_perm_b32 v19, v21, v20, s5
	;; [unrolled: 1-line block ×3, first 2 shown]
	s_nop 0
	v_mfma_f32_4x4x4_16b_bf16 a[0:3], v[34:35], v[18:19], a[0:3] cbsz:4 abid:8
	v_perm_b32 v21, v25, v24, s5
	v_cvt_pk_f32_fp8_e32 v[18:19], v28
	v_cvt_pk_f32_fp8_e32 v[22:23], v29
	v_mfma_f32_4x4x4_16b_bf16 a[0:3], v[34:35], v[20:21], a[0:3] cbsz:4 abid:9
	v_cvt_pk_f32_fp8_sdwa v[20:21], v28 src0_sel:WORD_1
	v_cvt_pk_f32_fp8_sdwa v[24:25], v29 src0_sel:WORD_1
	v_perm_b32 v18, v19, v18, s5
	v_perm_b32 v19, v21, v20, s5
	;; [unrolled: 1-line block ×3, first 2 shown]
	s_nop 0
	v_mfma_f32_4x4x4_16b_bf16 a[0:3], v[34:35], v[18:19], a[0:3] cbsz:4 abid:10
	v_perm_b32 v21, v25, v24, s5
	s_waitcnt vmcnt(1)
	v_cvt_pk_f32_fp8_e32 v[18:19], v30
	v_cvt_pk_f32_fp8_e32 v[22:23], v31
	v_mfma_f32_4x4x4_16b_bf16 a[0:3], v[34:35], v[20:21], a[0:3] cbsz:4 abid:11
	v_cvt_pk_f32_fp8_sdwa v[20:21], v30 src0_sel:WORD_1
	v_cvt_pk_f32_fp8_sdwa v[24:25], v31 src0_sel:WORD_1
	v_perm_b32 v18, v19, v18, s5
	v_perm_b32 v19, v21, v20, s5
	;; [unrolled: 1-line block ×3, first 2 shown]
	s_nop 0
	v_mfma_f32_4x4x4_16b_bf16 a[0:3], v[34:35], v[18:19], a[0:3] cbsz:4 abid:12
	v_perm_b32 v21, v25, v24, s5
	v_cvt_pk_f32_fp8_e32 v[18:19], v32
	v_cvt_pk_f32_fp8_e32 v[22:23], v33
	v_mfma_f32_4x4x4_16b_bf16 a[0:3], v[34:35], v[20:21], a[0:3] cbsz:4 abid:13
	v_cvt_pk_f32_fp8_sdwa v[20:21], v32 src0_sel:WORD_1
	v_cvt_pk_f32_fp8_sdwa v[24:25], v33 src0_sel:WORD_1
	v_perm_b32 v18, v19, v18, s5
	v_perm_b32 v19, v21, v20, s5
	;; [unrolled: 1-line block ×3, first 2 shown]
	s_nop 0
	v_mfma_f32_4x4x4_16b_bf16 a[0:3], v[34:35], v[18:19], a[0:3] cbsz:4 abid:14
	v_perm_b32 v21, v25, v24, s5
	s_nop 1
	v_mfma_f32_4x4x4_16b_bf16 a[0:3], v[34:35], v[20:21], a[0:3] cbsz:4 abid:15
	s_nop 4
	v_accvgpr_read_b32 v21, a1
	v_accvgpr_read_b32 v20, a0
	s_waitcnt lgkmcnt(0)
	v_pk_mul_f32 v[20:21], v[20:21], s[4:5] op_sel_hi:[1,0]
	v_accvgpr_read_b32 v19, a3
	v_accvgpr_read_b32 v18, a2
	v_bfe_u32 v22, v21, 16, 1
	v_bfe_u32 v23, v20, 16, 1
	v_pk_mul_f32 v[18:19], v[18:19], s[4:5] op_sel_hi:[1,0]
	v_add3_u32 v20, v20, v23, s1
	v_add3_u32 v21, v21, v22, s1
	v_perm_b32 v20, v21, v20, s5
	v_bfe_u32 v21, v19, 16, 1
	v_bfe_u32 v22, v18, 16, 1
	v_add3_u32 v18, v18, v22, s1
	v_add3_u32 v19, v19, v21, s1
	v_perm_b32 v21, v19, v18, s5
	v_mad_u32_u24 v18, v1, 40, v40
	ds_write_b64 v18, v[20:21]
	v_cvt_pk_f32_fp8_e32 v[18:19], v2
	v_cvt_pk_f32_fp8_sdwa v[20:21], v2 src0_sel:WORD_1
	v_cvt_pk_f32_fp8_e32 v[22:23], v3
	v_cvt_pk_f32_fp8_sdwa v[2:3], v3 src0_sel:WORD_1
	v_perm_b32 v18, v19, v18, s5
	v_perm_b32 v19, v21, v20, s5
	v_perm_b32 v20, v23, v22, s5
	v_perm_b32 v21, v3, v2, s5
	v_mfma_f32_4x4x4_16b_bf16 a[0:3], v[34:35], v[18:19], 0 cbsz:4
	v_cvt_pk_f32_fp8_e32 v[2:3], v4
	v_cvt_pk_f32_fp8_sdwa v[18:19], v4 src0_sel:WORD_1
	v_mfma_f32_4x4x4_16b_bf16 a[0:3], v[34:35], v[20:21], a[0:3] cbsz:4 abid:1
	v_cvt_pk_f32_fp8_e32 v[20:21], v5
	v_cvt_pk_f32_fp8_sdwa v[4:5], v5 src0_sel:WORD_1
	v_perm_b32 v2, v3, v2, s5
	v_perm_b32 v3, v19, v18, s5
	;; [unrolled: 1-line block ×4, first 2 shown]
	v_mfma_f32_4x4x4_16b_bf16 a[0:3], v[34:35], v[2:3], a[0:3] cbsz:4 abid:2
	v_cvt_pk_f32_fp8_e32 v[2:3], v6
	v_cvt_pk_f32_fp8_sdwa v[4:5], v6 src0_sel:WORD_1
	v_mfma_f32_4x4x4_16b_bf16 a[0:3], v[34:35], v[18:19], a[0:3] cbsz:4 abid:3
	v_cvt_pk_f32_fp8_e32 v[18:19], v7
	v_cvt_pk_f32_fp8_sdwa v[6:7], v7 src0_sel:WORD_1
	v_perm_b32 v2, v3, v2, s5
	v_perm_b32 v3, v5, v4, s5
	;; [unrolled: 1-line block ×4, first 2 shown]
	v_mfma_f32_4x4x4_16b_bf16 a[0:3], v[34:35], v[2:3], a[0:3] cbsz:4 abid:4
	v_cvt_pk_f32_fp8_e32 v[2:3], v8
	v_cvt_pk_f32_fp8_e32 v[6:7], v9
	v_mfma_f32_4x4x4_16b_bf16 a[0:3], v[34:35], v[4:5], a[0:3] cbsz:4 abid:5
	v_cvt_pk_f32_fp8_sdwa v[4:5], v8 src0_sel:WORD_1
	v_cvt_pk_f32_fp8_sdwa v[8:9], v9 src0_sel:WORD_1
	v_perm_b32 v2, v3, v2, s5
	v_perm_b32 v3, v5, v4, s5
	v_perm_b32 v4, v7, v6, s5
	s_nop 0
	v_mfma_f32_4x4x4_16b_bf16 a[0:3], v[34:35], v[2:3], a[0:3] cbsz:4 abid:6
	v_perm_b32 v5, v9, v8, s5
	v_cvt_pk_f32_fp8_e32 v[2:3], v10
	v_cvt_pk_f32_fp8_e32 v[6:7], v11
	v_mfma_f32_4x4x4_16b_bf16 a[0:3], v[34:35], v[4:5], a[0:3] cbsz:4 abid:7
	v_cvt_pk_f32_fp8_sdwa v[4:5], v10 src0_sel:WORD_1
	v_cvt_pk_f32_fp8_sdwa v[8:9], v11 src0_sel:WORD_1
	v_perm_b32 v2, v3, v2, s5
	v_perm_b32 v3, v5, v4, s5
	v_perm_b32 v4, v7, v6, s5
	s_nop 0
	v_mfma_f32_4x4x4_16b_bf16 a[0:3], v[34:35], v[2:3], a[0:3] cbsz:4 abid:8
	v_perm_b32 v5, v9, v8, s5
	;; [unrolled: 11-line block ×3, first 2 shown]
	s_waitcnt vmcnt(0)
	v_cvt_pk_f32_fp8_e32 v[2:3], v14
	v_cvt_pk_f32_fp8_e32 v[6:7], v15
	v_mfma_f32_4x4x4_16b_bf16 a[0:3], v[34:35], v[4:5], a[0:3] cbsz:4 abid:11
	v_cvt_pk_f32_fp8_sdwa v[4:5], v14 src0_sel:WORD_1
	v_cvt_pk_f32_fp8_sdwa v[8:9], v15 src0_sel:WORD_1
	v_perm_b32 v2, v3, v2, s5
	v_perm_b32 v3, v5, v4, s5
	v_perm_b32 v4, v7, v6, s5
	s_nop 0
	v_mfma_f32_4x4x4_16b_bf16 a[0:3], v[34:35], v[2:3], a[0:3] cbsz:4 abid:12
	v_perm_b32 v5, v9, v8, s5
	v_cvt_pk_f32_fp8_e32 v[2:3], v16
	v_cvt_pk_f32_fp8_e32 v[6:7], v17
	v_mfma_f32_4x4x4_16b_bf16 a[0:3], v[34:35], v[4:5], a[0:3] cbsz:4 abid:13
	v_cvt_pk_f32_fp8_sdwa v[4:5], v16 src0_sel:WORD_1
	v_cvt_pk_f32_fp8_sdwa v[8:9], v17 src0_sel:WORD_1
	v_perm_b32 v2, v3, v2, s5
	v_perm_b32 v3, v5, v4, s5
	;; [unrolled: 1-line block ×3, first 2 shown]
	s_nop 0
	v_mfma_f32_4x4x4_16b_bf16 a[0:3], v[34:35], v[2:3], a[0:3] cbsz:4 abid:14
	v_perm_b32 v5, v9, v8, s5
	s_nop 1
	v_mfma_f32_4x4x4_16b_bf16 a[0:3], v[34:35], v[4:5], a[0:3] cbsz:4 abid:15
	s_nop 4
	v_accvgpr_read_b32 v5, a1
	v_accvgpr_read_b32 v4, a0
	v_accvgpr_read_b32 v3, a3
	v_accvgpr_read_b32 v2, a2
	v_pk_mul_f32 v[4:5], v[4:5], s[4:5] op_sel_hi:[1,0]
	v_pk_mul_f32 v[2:3], v[2:3], s[4:5] op_sel_hi:[1,0]
	v_bfe_u32 v6, v5, 16, 1
	v_bfe_u32 v7, v4, 16, 1
	v_add3_u32 v4, v4, v7, s1
	v_add3_u32 v5, v5, v6, s1
	v_bfe_u32 v6, v3, 16, 1
	v_bfe_u32 v7, v2, 16, 1
	v_add3_u32 v2, v2, v7, s1
	v_add3_u32 v3, v3, v6, s1
	v_perm_b32 v39, v3, v2, s5
	v_perm_b32 v38, v5, v4, s5
.LBB1289_25:
	s_or_b64 exec, exec, s[2:3]
	s_waitcnt vmcnt(6)
	v_mad_u32_u24 v2, v1, 40, v40
	v_cmp_gt_u32_e32 vcc, 64, v0
	ds_write_b64 v2, v[38:39] offset:2560
	s_waitcnt lgkmcnt(0)
	s_barrier
	s_and_saveexec_b64 s[2:3], vcc
	s_cbranch_execz .LBB1289_27
; %bb.26:
	s_waitcnt vmcnt(4)
	v_mul_u32_u24_e32 v6, 40, v1
	ds_read2_b64 v[2:5], v6 offset1:1
	ds_read2_b64 v[6:9], v6 offset0:2 offset1:3
	s_mov_b32 s1, 0
	s_lshl_b32 s0, s0, 7
	s_lshl_b64 s[2:3], s[0:1], 1
	s_waitcnt lgkmcnt(1)
	v_and_b32_e32 v3, 0xffff0000, v2
	v_add_f32_e32 v3, 0, v3
	v_and_b32_e32 v5, 0xffff0000, v4
	v_and_b32_e32 v3, 0xffff0000, v3
	v_add_f32_e32 v3, v3, v5
	s_waitcnt lgkmcnt(0)
	v_and_b32_e32 v7, 0xffff0000, v6
	v_and_b32_e32 v3, 0xffff0000, v3
	v_add_f32_e32 v3, v3, v7
	v_mov_b32_e32 v7, 0xa00
	v_mad_u32_u24 v7, v1, 40, v7
	s_waitcnt vmcnt(2)
	ds_read2_b64 v[10:13], v7 offset1:1
	v_and_b32_e32 v3, 0xffff0000, v3
	v_and_b32_e32 v5, 0xffff0000, v8
	v_add_f32_e32 v7, v3, v5
	v_mov_b32_e32 v3, 0xa10
	v_mad_u32_u24 v1, v1, 40, v3
	s_waitcnt vmcnt(0)
	ds_read2_b64 v[14:17], v1 offset1:1
	s_waitcnt lgkmcnt(1)
	v_lshlrev_b32_e32 v1, 16, v10
	v_add_f32_e32 v1, 0, v1
	v_and_b32_e32 v3, 0xffff0000, v10
	v_and_b32_e32 v1, 0xffff0000, v1
	v_add_f32_e32 v3, 0, v3
	v_lshlrev_b32_e32 v5, 16, v12
	v_and_b32_e32 v3, 0xffff0000, v3
	v_add_f32_e32 v1, v1, v5
	v_and_b32_e32 v5, 0xffff0000, v12
	v_and_b32_e32 v1, 0xffff0000, v1
	v_add_f32_e32 v3, v3, v5
	s_waitcnt lgkmcnt(0)
	v_lshlrev_b32_e32 v5, 16, v14
	v_and_b32_e32 v3, 0xffff0000, v3
	v_add_f32_e32 v1, v1, v5
	v_and_b32_e32 v5, 0xffff0000, v14
	v_and_b32_e32 v1, 0xffff0000, v1
	v_add_f32_e32 v3, v3, v5
	v_lshlrev_b32_e32 v5, 16, v16
	v_and_b32_e32 v3, 0xffff0000, v3
	v_add_f32_e32 v9, v1, v5
	v_and_b32_e32 v1, 0xffff0000, v16
	v_add_f32_e32 v10, v3, v1
	v_lshlrev_b32_e32 v1, 16, v2
	s_add_u32 s2, s22, s2
	v_add_f32_e32 v1, 0, v1
	s_addc_u32 s3, s23, s3
	s_lshl_b32 s0, s20, 7
	v_and_b32_e32 v1, 0xffff0000, v1
	v_lshlrev_b32_e32 v2, 16, v4
	s_lshl_b64 s[0:1], s[0:1], 1
	v_add_f32_e32 v1, v1, v2
	s_add_u32 s0, s2, s0
	v_and_b32_e32 v1, 0xffff0000, v1
	v_lshlrev_b32_e32 v2, 16, v6
	s_addc_u32 s1, s3, s1
	s_lshl_b32 s2, s38, 7
	v_add_f32_e32 v1, v1, v2
	v_and_b32_e32 v1, 0xffff0000, v1
	v_lshlrev_b32_e32 v2, 16, v8
	s_mul_i32 s3, s2, s33
	v_add_f32_e32 v1, v1, v2
	v_or_b32_e32 v2, s3, v0
	v_mov_b32_e32 v3, 0
	s_add_i32 s3, s3, s2
	v_lshl_add_u64 v[4:5], v[2:3], 1, s[0:1]
	v_or_b32_e32 v2, s3, v0
	global_store_short_d16_hi v[4:5], v1, off
	v_lshl_add_u64 v[0:1], v[2:3], 1, s[0:1]
	global_store_short_d16_hi v[0:1], v7, off
	global_store_short_d16_hi v[4:5], v9, off offset:128
	global_store_short_d16_hi v[0:1], v10, off offset:128
.LBB1289_27:
	s_endpgm
	.section	.rodata,"a",@progbits
	.p2align	6, 0x0
	.amdhsa_kernel _Z38paged_attention_ll4mi_QKV_mfma4_kernelI14__hip_bfloat16hLN4vllm18Fp8KVCacheDataTypeE1ES0_Li16ELi128ELi256ELb1ELi2EEvPKT_PKT0_S8_ifPKiSA_SA_iPKfiiiPfSD_PS3_PT2_iSC_SC_
		.amdhsa_group_segment_fixed_size 5280
		.amdhsa_private_segment_fixed_size 0
		.amdhsa_kernarg_size 400
		.amdhsa_user_sgpr_count 2
		.amdhsa_user_sgpr_dispatch_ptr 0
		.amdhsa_user_sgpr_queue_ptr 0
		.amdhsa_user_sgpr_kernarg_segment_ptr 1
		.amdhsa_user_sgpr_dispatch_id 0
		.amdhsa_user_sgpr_kernarg_preload_length 0
		.amdhsa_user_sgpr_kernarg_preload_offset 0
		.amdhsa_user_sgpr_private_segment_size 0
		.amdhsa_uses_dynamic_stack 0
		.amdhsa_enable_private_segment 0
		.amdhsa_system_sgpr_workgroup_id_x 1
		.amdhsa_system_sgpr_workgroup_id_y 1
		.amdhsa_system_sgpr_workgroup_id_z 1
		.amdhsa_system_sgpr_workgroup_info 0
		.amdhsa_system_vgpr_workitem_id 0
		.amdhsa_next_free_vgpr 60
		.amdhsa_next_free_sgpr 44
		.amdhsa_accum_offset 56
		.amdhsa_reserve_vcc 1
		.amdhsa_float_round_mode_32 0
		.amdhsa_float_round_mode_16_64 0
		.amdhsa_float_denorm_mode_32 3
		.amdhsa_float_denorm_mode_16_64 3
		.amdhsa_dx10_clamp 1
		.amdhsa_ieee_mode 1
		.amdhsa_fp16_overflow 0
		.amdhsa_tg_split 0
		.amdhsa_exception_fp_ieee_invalid_op 0
		.amdhsa_exception_fp_denorm_src 0
		.amdhsa_exception_fp_ieee_div_zero 0
		.amdhsa_exception_fp_ieee_overflow 0
		.amdhsa_exception_fp_ieee_underflow 0
		.amdhsa_exception_fp_ieee_inexact 0
		.amdhsa_exception_int_div_zero 0
	.end_amdhsa_kernel
	.section	.text._Z38paged_attention_ll4mi_QKV_mfma4_kernelI14__hip_bfloat16hLN4vllm18Fp8KVCacheDataTypeE1ES0_Li16ELi128ELi256ELb1ELi2EEvPKT_PKT0_S8_ifPKiSA_SA_iPKfiiiPfSD_PS3_PT2_iSC_SC_,"axG",@progbits,_Z38paged_attention_ll4mi_QKV_mfma4_kernelI14__hip_bfloat16hLN4vllm18Fp8KVCacheDataTypeE1ES0_Li16ELi128ELi256ELb1ELi2EEvPKT_PKT0_S8_ifPKiSA_SA_iPKfiiiPfSD_PS3_PT2_iSC_SC_,comdat
.Lfunc_end1289:
	.size	_Z38paged_attention_ll4mi_QKV_mfma4_kernelI14__hip_bfloat16hLN4vllm18Fp8KVCacheDataTypeE1ES0_Li16ELi128ELi256ELb1ELi2EEvPKT_PKT0_S8_ifPKiSA_SA_iPKfiiiPfSD_PS3_PT2_iSC_SC_, .Lfunc_end1289-_Z38paged_attention_ll4mi_QKV_mfma4_kernelI14__hip_bfloat16hLN4vllm18Fp8KVCacheDataTypeE1ES0_Li16ELi128ELi256ELb1ELi2EEvPKT_PKT0_S8_ifPKiSA_SA_iPKfiiiPfSD_PS3_PT2_iSC_SC_
                                        ; -- End function
	.section	.AMDGPU.csdata,"",@progbits
; Kernel info:
; codeLenInByte = 5872
; NumSgprs: 50
; NumVgprs: 56
; NumAgprs: 4
; TotalNumVgprs: 60
; ScratchSize: 0
; MemoryBound: 0
; FloatMode: 240
; IeeeMode: 1
; LDSByteSize: 5280 bytes/workgroup (compile time only)
; SGPRBlocks: 6
; VGPRBlocks: 7
; NumSGPRsForWavesPerEU: 50
; NumVGPRsForWavesPerEU: 60
; AccumOffset: 56
; Occupancy: 8
; WaveLimiterHint : 1
; COMPUTE_PGM_RSRC2:SCRATCH_EN: 0
; COMPUTE_PGM_RSRC2:USER_SGPR: 2
; COMPUTE_PGM_RSRC2:TRAP_HANDLER: 0
; COMPUTE_PGM_RSRC2:TGID_X_EN: 1
; COMPUTE_PGM_RSRC2:TGID_Y_EN: 1
; COMPUTE_PGM_RSRC2:TGID_Z_EN: 1
; COMPUTE_PGM_RSRC2:TIDIG_COMP_CNT: 0
; COMPUTE_PGM_RSRC3_GFX90A:ACCUM_OFFSET: 13
; COMPUTE_PGM_RSRC3_GFX90A:TG_SPLIT: 0
	.section	.text._Z38paged_attention_ll4mi_QKV_mfma4_kernelI14__hip_bfloat16hLN4vllm18Fp8KVCacheDataTypeE1ES0_Li16ELi128ELi256ELb1ELi3EEvPKT_PKT0_S8_ifPKiSA_SA_iPKfiiiPfSD_PS3_PT2_iSC_SC_,"axG",@progbits,_Z38paged_attention_ll4mi_QKV_mfma4_kernelI14__hip_bfloat16hLN4vllm18Fp8KVCacheDataTypeE1ES0_Li16ELi128ELi256ELb1ELi3EEvPKT_PKT0_S8_ifPKiSA_SA_iPKfiiiPfSD_PS3_PT2_iSC_SC_,comdat
	.protected	_Z38paged_attention_ll4mi_QKV_mfma4_kernelI14__hip_bfloat16hLN4vllm18Fp8KVCacheDataTypeE1ES0_Li16ELi128ELi256ELb1ELi3EEvPKT_PKT0_S8_ifPKiSA_SA_iPKfiiiPfSD_PS3_PT2_iSC_SC_ ; -- Begin function _Z38paged_attention_ll4mi_QKV_mfma4_kernelI14__hip_bfloat16hLN4vllm18Fp8KVCacheDataTypeE1ES0_Li16ELi128ELi256ELb1ELi3EEvPKT_PKT0_S8_ifPKiSA_SA_iPKfiiiPfSD_PS3_PT2_iSC_SC_
	.globl	_Z38paged_attention_ll4mi_QKV_mfma4_kernelI14__hip_bfloat16hLN4vllm18Fp8KVCacheDataTypeE1ES0_Li16ELi128ELi256ELb1ELi3EEvPKT_PKT0_S8_ifPKiSA_SA_iPKfiiiPfSD_PS3_PT2_iSC_SC_
	.p2align	8
	.type	_Z38paged_attention_ll4mi_QKV_mfma4_kernelI14__hip_bfloat16hLN4vllm18Fp8KVCacheDataTypeE1ES0_Li16ELi128ELi256ELb1ELi3EEvPKT_PKT0_S8_ifPKiSA_SA_iPKfiiiPfSD_PS3_PT2_iSC_SC_,@function
_Z38paged_attention_ll4mi_QKV_mfma4_kernelI14__hip_bfloat16hLN4vllm18Fp8KVCacheDataTypeE1ES0_Li16ELi128ELi256ELb1ELi3EEvPKT_PKT0_S8_ifPKiSA_SA_iPKfiiiPfSD_PS3_PT2_iSC_SC_: ; @_Z38paged_attention_ll4mi_QKV_mfma4_kernelI14__hip_bfloat16hLN4vllm18Fp8KVCacheDataTypeE1ES0_Li16ELi128ELi256ELb1ELi3EEvPKT_PKT0_S8_ifPKiSA_SA_iPKfiiiPfSD_PS3_PT2_iSC_SC_
; %bb.0:
	s_load_dwordx2 s[16:17], s[0:1], 0x30
	s_mov_b32 s20, s3
	s_mov_b64 s[6:7], 0
	s_waitcnt lgkmcnt(0)
	s_cmp_lg_u64 s[16:17], 0
	s_cselect_b64 s[18:19], -1, 0
	s_and_b64 vcc, exec, s[18:19]
	s_cbranch_vccz .LBB1290_10
; %bb.1:
	s_add_i32 s8, s2, 1
	s_mov_b32 s9, 0
	s_lshl_b64 s[10:11], s[8:9], 2
	s_add_u32 s10, s16, s10
	s_mov_b32 s3, s9
	s_addc_u32 s11, s17, s11
	s_lshl_b64 s[8:9], s[2:3], 2
	s_add_u32 s8, s16, s8
	s_addc_u32 s9, s17, s9
	s_load_dword s5, s[10:11], 0x0
	s_load_dword s12, s[8:9], 0x0
	s_waitcnt lgkmcnt(0)
	s_sub_i32 s5, s5, s12
	s_cmp_eq_u32 s5, 1
	s_cselect_b64 s[8:9], -1, 0
	s_andn2_b64 vcc, exec, s[6:7]
	s_cbranch_vccnz .LBB1290_3
.LBB1290_2:
	s_mov_b32 s3, 0
	s_mov_b64 s[8:9], -1
.LBB1290_3:
	s_andn2_b64 vcc, exec, s[8:9]
	s_cbranch_vccnz .LBB1290_27
; %bb.4:
	s_load_dword s5, s[0:1], 0x9c
	s_load_dwordx2 s[6:7], s[0:1], 0x28
	s_add_u32 s24, s0, 0x90
	s_addc_u32 s25, s1, 0
	s_lshl_b64 s[28:29], s[2:3], 2
	s_waitcnt lgkmcnt(0)
	s_and_b32 s5, s5, 0xffff
	s_add_u32 s6, s6, s28
	s_addc_u32 s7, s7, s29
	s_load_dword s3, s[6:7], 0x0
	s_mul_i32 s5, s20, s5
	s_waitcnt lgkmcnt(0)
	s_cmp_ge_i32 s5, s3
	s_cbranch_scc1 .LBB1290_27
; %bb.5:
	v_and_b32_e32 v1, 0xc0, v0
	v_add_u32_e32 v4, s5, v1
	v_lshrrev_b32_e32 v42, 6, v0
	v_cmp_le_i32_e64 s[6:7], s3, v4
                                        ; implicit-def: $sgpr30
                                        ; implicit-def: $sgpr21
	s_and_saveexec_b64 s[8:9], s[6:7]
	s_xor_b64 s[8:9], exec, s[8:9]
	s_cbranch_execz .LBB1290_7
; %bb.6:
	v_mul_u32_u24_e32 v1, 20, v42
	v_or_b32_e32 v1, 0x1400, v1
	v_mov_b32_e32 v2, 0x1450
	v_mov_b32_e32 v3, 0xff7fffff
	v_mad_u32_u24 v2, v42, 20, v2
	ds_write2_b32 v1, v3, v3 offset1:1
	v_mov_b32_e32 v1, 0
	ds_write2_b32 v2, v1, v1 offset1:1
	v_mov_b32_e32 v2, 0x1408
	v_mov_b32_e32 v4, 0x1458
	s_mov_b32 s21, 0xff7fffff
	s_mov_b32 s30, 0
	v_mad_u32_u24 v2, v42, 20, v2
	v_mad_u32_u24 v4, v42, 20, v4
	ds_write2_b32 v2, v3, v3 offset1:1
	ds_write2_b32 v4, v1, v1 offset1:1
                                        ; implicit-def: $vgpr4
.LBB1290_7:
	s_or_saveexec_b64 s[26:27], s[8:9]
	s_load_dwordx2 s[22:23], s[0:1], 0x68
	s_load_dwordx4 s[12:15], s[0:1], 0x58
	s_load_dword s38, s[24:25], 0x4
	s_load_dwordx4 s[8:11], s[0:1], 0x80
	v_and_b32_e32 v1, 63, v0
	v_and_b32_e32 v43, 3, v0
	s_mul_i32 s33, s4, 3
	v_mov_b32_e32 v37, s30
	v_mov_b32_e32 v41, s21
	;; [unrolled: 1-line block ×5, first 2 shown]
                                        ; implicit-def: $vgpr18_vgpr19
                                        ; implicit-def: $vgpr22_vgpr23
                                        ; implicit-def: $vgpr26_vgpr27
                                        ; implicit-def: $vgpr30_vgpr31
                                        ; implicit-def: $vgpr2_vgpr3
                                        ; implicit-def: $vgpr6_vgpr7
                                        ; implicit-def: $vgpr10_vgpr11
                                        ; implicit-def: $vgpr14_vgpr15
	s_xor_b64 exec, exec, s[26:27]
	s_cbranch_execz .LBB1290_19
; %bb.8:
	s_load_dwordx2 s[30:31], s[0:1], 0x20
	s_load_dword s21, s[0:1], 0x38
	s_add_i32 s34, s3, 15
	s_ashr_i32 s35, s34, 31
	s_lshr_b32 s35, s35, 28
	v_add_u32_e32 v44, s5, v0
	s_add_i32 s34, s34, s35
	v_ashrrev_i32_e32 v2, 31, v44
	s_ashr_i32 s34, s34, 4
	v_lshrrev_b32_e32 v2, 28, v2
	s_add_i32 s36, s34, -1
	s_waitcnt lgkmcnt(0)
	s_mul_i32 s34, s2, s21
	s_mov_b32 s35, 0
	v_add_u32_e32 v2, v44, v2
	s_lshl_b64 s[34:35], s[34:35], 2
	v_ashrrev_i32_e32 v2, 4, v2
	v_mov_b32_e32 v3, s36
	v_cmp_gt_i32_e32 vcc, s3, v44
	s_add_u32 s30, s30, s34
	s_addc_u32 s31, s31, s35
	v_cndmask_b32_e32 v2, v3, v2, vcc
	v_ashrrev_i32_e32 v3, 31, v2
	v_lshl_add_u64 v[6:7], v[2:3], 2, s[30:31]
	v_ashrrev_i32_e32 v2, 31, v4
	v_lshrrev_b32_e32 v2, 28, v2
	v_add_u32_e32 v2, v4, v2
	v_ashrrev_i32_e32 v12, 4, v2
	v_min_i32_e32 v2, s36, v12
	v_ashrrev_i32_e32 v3, 31, v2
	v_lshl_add_u64 v[4:5], v[2:3], 2, s[30:31]
	v_add_u32_e32 v2, 1, v12
	v_min_i32_e32 v2, s36, v2
	v_ashrrev_i32_e32 v3, 31, v2
	v_lshl_add_u64 v[8:9], v[2:3], 2, s[30:31]
	v_add_u32_e32 v2, 2, v12
	;; [unrolled: 4-line block ×3, first 2 shown]
	v_min_i32_e32 v2, s36, v2
	v_ashrrev_i32_e32 v3, 31, v2
	v_lshl_add_u64 v[12:13], v[2:3], 2, s[30:31]
	global_load_dword v2, v[6:7], off
	global_load_dword v48, v[4:5], off
	;; [unrolled: 1-line block ×5, first 2 shown]
	s_load_dwordx2 s[30:31], s[0:1], 0x8
	s_andn2_b64 vcc, exec, s[18:19]
	s_cbranch_vccnz .LBB1290_11
; %bb.9:
	s_add_u32 s16, s16, s28
	s_addc_u32 s17, s17, s29
	s_load_dword s5, s[16:17], 0x0
	s_branch .LBB1290_12
.LBB1290_10:
	s_mov_b64 s[8:9], 0
	s_branch .LBB1290_2
.LBB1290_11:
	s_mov_b32 s5, s2
.LBB1290_12:
	s_load_dwordx2 s[28:29], s[0:1], 0x10
	s_load_dwordx4 s[16:19], s[0:1], 0x48
	v_cmp_ne_u32_e32 vcc, 3, v43
	s_mov_b32 s37, 0
	v_mov_b32_e32 v41, 0
	v_mov_b32_e32 v14, 0
	;; [unrolled: 1-line block ×5, first 2 shown]
	s_and_saveexec_b64 s[34:35], vcc
	s_cbranch_execz .LBB1290_14
; %bb.13:
	s_load_dwordx2 s[40:41], s[0:1], 0x0
	s_waitcnt lgkmcnt(0)
	s_ashr_i32 s19, s16, 31
	s_mul_hi_u32 s21, s5, s16
	s_mul_i32 s19, s5, s19
	s_add_i32 s43, s21, s19
	s_mul_i32 s42, s5, s16
	s_lshl_b64 s[42:43], s[42:43], 1
	s_add_u32 s5, s40, s42
	s_mul_i32 s36, s4, 0x180
	s_addc_u32 s16, s41, s43
	s_lshl_b64 s[36:37], s[36:37], 1
	v_lshlrev_b32_e32 v3, 2, v1
	s_add_u32 s36, s5, s36
	v_and_b32_e32 v3, 0xf0, v3
	s_addc_u32 s37, s16, s37
	v_lshl_or_b32 v3, v43, 8, v3
	global_load_dwordx4 v[14:17], v3, s[36:37]
.LBB1290_14:
	s_or_b64 exec, exec, s[34:35]
	s_waitcnt lgkmcnt(0)
	s_mul_i32 s16, s4, s18
	s_add_u32 s4, s16, s30
	s_addc_u32 s5, 0, s31
	v_mov_b64_e32 v[4:5], s[4:5]
	s_waitcnt vmcnt(4)
	v_mad_i64_i32 v[2:3], s[4:5], v2, s17, v[4:5]
	v_lshlrev_b32_e32 v4, 4, v0
	v_and_b32_e32 v40, 0xf0, v4
	v_lshl_add_u64 v[38:39], v[2:3], 0, v[40:41]
	global_load_dwordx4 v[22:25], v[38:39], off
	global_load_dwordx4 v[18:21], v[38:39], off offset:256
	global_load_dwordx4 v[2:5], v[38:39], off offset:512
	;; [unrolled: 1-line block ×7, first 2 shown]
	v_mov_b32_e32 v39, 1.0
	v_mov_b32_e32 v38, 0
	s_and_saveexec_b64 s[4:5], vcc
	s_cbranch_execz .LBB1290_16
; %bb.15:
	s_load_dwordx2 s[18:19], s[0:1], 0x40
	v_add_u32_e32 v38, s33, v43
	v_mov_b32_e32 v39, 0
	s_waitcnt lgkmcnt(0)
	v_lshl_add_u64 v[50:51], v[38:39], 2, s[18:19]
	global_load_dword v38, v[50:51], off
.LBB1290_16:
	s_or_b64 exec, exec, s[4:5]
	s_waitcnt vmcnt(11)
	v_mul_hi_i32 v40, v48, s17
	v_ashrrev_i32_e32 v40, 31, v40
	v_lshrrev_b32_e32 v50, 29, v40
	s_waitcnt vmcnt(10)
	v_mul_hi_i32 v40, v47, s17
	v_mov_b32_e32 v51, 0
	v_ashrrev_i32_e32 v40, 31, v40
	v_mad_i64_i32 v[48:49], s[4:5], v48, s17, v[50:51]
	v_lshrrev_b32_e32 v50, 29, v40
	s_waitcnt vmcnt(9)
	v_mul_hi_i32 v40, v46, s17
	v_ashrrev_i32_e32 v40, 31, v40
	v_mad_i64_i32 v[52:53], s[4:5], v47, s17, v[50:51]
	v_lshrrev_b32_e32 v50, 29, v40
	s_waitcnt vmcnt(8)
	v_mul_hi_i32 v40, v45, s17
	v_ashrrev_i32_e32 v40, 31, v40
	v_mad_i64_i32 v[46:47], s[4:5], v46, s17, v[50:51]
	v_lshrrev_b32_e32 v50, 29, v40
	v_mad_i64_i32 v[50:51], s[4:5], v45, s17, v[50:51]
	s_add_u32 s4, s28, s16
	s_addc_u32 s5, s29, 0
	v_and_b32_e32 v48, -8, v48
	v_and_b32_e32 v52, -8, v52
	;; [unrolled: 1-line block ×4, first 2 shown]
	v_lshl_add_u64 v[48:49], s[4:5], 0, v[48:49]
	v_lshlrev_b32_e32 v40, 4, v1
	v_lshl_add_u64 v[52:53], s[4:5], 0, v[52:53]
	v_lshl_add_u64 v[46:47], s[4:5], 0, v[46:47]
	;; [unrolled: 1-line block ×7, first 2 shown]
	s_waitcnt vmcnt(7)
	v_cvt_pk_f32_fp8_e32 v[50:51], v22
	v_cvt_pk_f32_fp8_sdwa v[54:55], v22 src0_sel:WORD_1
	s_mov_b32 s4, 0x7060302
	s_load_dword s0, s[0:1], 0x1c
	v_perm_b32 v50, v51, v50, s4
	v_perm_b32 v51, v55, v54, s4
	s_waitcnt vmcnt(5)
	v_cvt_pk_f32_fp8_sdwa v[54:55], v5 src0_sel:WORD_1
	s_load_dword s1, s[8:9], 0x0
	v_mfma_f32_4x4x4_16b_bf16 a[0:3], v[14:15], v[50:51], 0 cbsz:4
	v_cvt_pk_f32_fp8_e32 v[50:51], v23
	v_cmp_eq_u32_e32 vcc, 0, v43
	v_perm_b32 v22, v51, v50, s4
	v_cvt_pk_f32_fp8_sdwa v[50:51], v23 src0_sel:WORD_1
	s_nop 0
	v_perm_b32 v23, v51, v50, s4
	s_nop 1
	v_mfma_f32_4x4x4_16b_bf16 a[0:3], v[16:17], v[22:23], a[0:3] cbsz:4
	v_cvt_pk_f32_fp8_e32 v[22:23], v24
	v_cvt_pk_f32_fp8_sdwa v[50:51], v24 src0_sel:WORD_1
	v_perm_b32 v22, v23, v22, s4
	v_perm_b32 v23, v51, v50, s4
	v_cvt_pk_f32_fp8_e32 v[50:51], v25
	v_cvt_pk_f32_fp8_sdwa v[24:25], v25 src0_sel:WORD_1
	v_mfma_f32_4x4x4_16b_bf16 a[0:3], v[14:15], v[22:23], a[0:3] cbsz:4 abid:1
	v_cvt_pk_f32_fp8_e32 v[22:23], v18
	v_perm_b32 v50, v51, v50, s4
	v_perm_b32 v51, v25, v24, s4
	v_cvt_pk_f32_fp8_sdwa v[24:25], v18 src0_sel:WORD_1
	v_perm_b32 v22, v23, v22, s4
	v_mfma_f32_4x4x4_16b_bf16 a[0:3], v[16:17], v[50:51], a[0:3] cbsz:4 abid:1
	v_cvt_pk_f32_fp8_e32 v[50:51], v19
	v_cvt_pk_f32_fp8_sdwa v[18:19], v19 src0_sel:WORD_1
	v_perm_b32 v23, v25, v24, s4
	v_perm_b32 v24, v51, v50, s4
	s_nop 0
	v_mfma_f32_4x4x4_16b_bf16 a[0:3], v[14:15], v[22:23], a[0:3] cbsz:4 abid:2
	v_perm_b32 v25, v19, v18, s4
	v_cvt_pk_f32_fp8_e32 v[18:19], v20
	v_cvt_pk_f32_fp8_sdwa v[22:23], v20 src0_sel:WORD_1
	v_mfma_f32_4x4x4_16b_bf16 a[0:3], v[16:17], v[24:25], a[0:3] cbsz:4 abid:2
	v_cvt_pk_f32_fp8_e32 v[24:25], v21
	v_cvt_pk_f32_fp8_sdwa v[20:21], v21 src0_sel:WORD_1
	v_perm_b32 v18, v19, v18, s4
	v_perm_b32 v19, v23, v22, s4
	;; [unrolled: 1-line block ×4, first 2 shown]
	v_mfma_f32_4x4x4_16b_bf16 a[0:3], v[14:15], v[18:19], a[0:3] cbsz:4 abid:3
	v_cvt_pk_f32_fp8_e32 v[18:19], v2
	v_cvt_pk_f32_fp8_sdwa v[20:21], v2 src0_sel:WORD_1
	v_mfma_f32_4x4x4_16b_bf16 a[0:3], v[16:17], v[22:23], a[0:3] cbsz:4 abid:3
	v_cvt_pk_f32_fp8_e32 v[22:23], v3
	v_cvt_pk_f32_fp8_sdwa v[24:25], v3 src0_sel:WORD_1
	v_perm_b32 v2, v19, v18, s4
	v_perm_b32 v3, v21, v20, s4
	;; [unrolled: 1-line block ×4, first 2 shown]
	v_mfma_f32_4x4x4_16b_bf16 a[0:3], v[14:15], v[2:3], a[0:3] cbsz:4 abid:4
	v_cvt_pk_f32_fp8_sdwa v[24:25], v4 src0_sel:WORD_1
	v_cvt_pk_f32_fp8_e32 v[50:51], v5
	v_mfma_f32_4x4x4_16b_bf16 a[0:3], v[16:17], v[22:23], a[0:3] cbsz:4 abid:4
	v_cvt_pk_f32_fp8_e32 v[22:23], v4
	global_load_dwordx4 v[18:21], v[48:49], off
	global_load_dwordx4 v[2:5], v[48:49], off offset:1024
	s_waitcnt vmcnt(6)
	v_cvt_pk_f32_fp8_e32 v[48:49], v7
	v_perm_b32 v22, v23, v22, s4
	v_perm_b32 v23, v25, v24, s4
	;; [unrolled: 1-line block ×4, first 2 shown]
	v_mfma_f32_4x4x4_16b_bf16 a[0:3], v[14:15], v[22:23], a[0:3] cbsz:4 abid:5
	v_cvt_pk_f32_fp8_e32 v[22:23], v6
	s_waitcnt vmcnt(5)
	v_cvt_pk_f32_fp8_sdwa v[50:51], v26 src0_sel:WORD_1
	v_mfma_f32_4x4x4_16b_bf16 a[0:3], v[16:17], v[24:25], a[0:3] cbsz:4 abid:5
	v_cvt_pk_f32_fp8_sdwa v[24:25], v6 src0_sel:WORD_1
	v_cvt_pk_f32_fp8_sdwa v[6:7], v7 src0_sel:WORD_1
	v_perm_b32 v22, v23, v22, s4
	v_cvt_pk_f32_fp8_e32 v[54:55], v27
	v_perm_b32 v23, v25, v24, s4
	v_perm_b32 v25, v7, v6, s4
	v_cvt_pk_f32_fp8_e32 v[6:7], v8
	v_mfma_f32_4x4x4_16b_bf16 a[0:3], v[14:15], v[22:23], a[0:3] cbsz:4 abid:6
	v_cvt_pk_f32_fp8_sdwa v[22:23], v8 src0_sel:WORD_1
	v_perm_b32 v24, v49, v48, s4
	v_cvt_pk_f32_fp8_e32 v[48:49], v9
	v_cvt_pk_f32_fp8_sdwa v[8:9], v9 src0_sel:WORD_1
	v_mfma_f32_4x4x4_16b_bf16 a[0:3], v[16:17], v[24:25], a[0:3] cbsz:4 abid:6
	v_perm_b32 v6, v7, v6, s4
	v_perm_b32 v7, v23, v22, s4
	;; [unrolled: 1-line block ×4, first 2 shown]
	v_mfma_f32_4x4x4_16b_bf16 a[0:3], v[14:15], v[6:7], a[0:3] cbsz:4 abid:7
	v_cvt_pk_f32_fp8_e32 v[6:7], v26
	v_cvt_pk_f32_fp8_sdwa v[26:27], v27 src0_sel:WORD_1
	v_mfma_f32_4x4x4_16b_bf16 a[0:3], v[16:17], v[48:49], a[0:3] cbsz:4 abid:7
	v_perm_b32 v49, v51, v50, s4
	v_perm_b32 v48, v7, v6, s4
	v_perm_b32 v50, v55, v54, s4
	v_perm_b32 v51, v27, v26, s4
	v_mfma_f32_4x4x4_16b_bf16 a[0:3], v[14:15], v[48:49], a[0:3] cbsz:4 abid:8
	v_cvt_pk_f32_fp8_e32 v[26:27], v28
	v_cvt_pk_f32_fp8_sdwa v[48:49], v28 src0_sel:WORD_1
	v_mfma_f32_4x4x4_16b_bf16 a[0:3], v[16:17], v[50:51], a[0:3] cbsz:4 abid:8
	v_cvt_pk_f32_fp8_e32 v[50:51], v29
	v_cvt_pk_f32_fp8_sdwa v[28:29], v29 src0_sel:WORD_1
	v_perm_b32 v26, v27, v26, s4
	v_perm_b32 v27, v49, v48, s4
	;; [unrolled: 1-line block ×4, first 2 shown]
	v_mfma_f32_4x4x4_16b_bf16 a[0:3], v[14:15], v[26:27], a[0:3] cbsz:4 abid:9
	s_waitcnt vmcnt(4)
	v_cvt_pk_f32_fp8_e32 v[26:27], v10
	v_cvt_pk_f32_fp8_sdwa v[28:29], v10 src0_sel:WORD_1
	v_mfma_f32_4x4x4_16b_bf16 a[0:3], v[16:17], v[48:49], a[0:3] cbsz:4 abid:9
	v_cvt_pk_f32_fp8_e32 v[48:49], v11
	v_cvt_pk_f32_fp8_sdwa v[50:51], v11 src0_sel:WORD_1
	v_perm_b32 v10, v27, v26, s4
	v_perm_b32 v11, v29, v28, s4
	;; [unrolled: 1-line block ×4, first 2 shown]
	v_mfma_f32_4x4x4_16b_bf16 a[0:3], v[14:15], v[10:11], a[0:3] cbsz:4 abid:10
	v_cvt_pk_f32_fp8_sdwa v[50:51], v12 src0_sel:WORD_1
	global_load_dwordx4 v[22:25], v[52:53], off
	global_load_dwordx4 v[6:9], v[52:53], off offset:1024
	v_mfma_f32_4x4x4_16b_bf16 a[0:3], v[16:17], v[48:49], a[0:3] cbsz:4 abid:10
	v_cvt_pk_f32_fp8_e32 v[48:49], v12
	v_cvt_pk_f32_fp8_e32 v[52:53], v13
	v_cvt_pk_f32_fp8_sdwa v[54:55], v13 src0_sel:WORD_1
	global_load_dwordx4 v[26:29], v[46:47], off
	global_load_dwordx4 v[10:13], v[46:47], off offset:1024
	v_perm_b32 v46, v49, v48, s4
	v_perm_b32 v47, v51, v50, s4
	;; [unrolled: 1-line block ×4, first 2 shown]
	v_mfma_f32_4x4x4_16b_bf16 a[0:3], v[14:15], v[46:47], a[0:3] cbsz:4 abid:11
	s_waitcnt vmcnt(7)
	v_cvt_pk_f32_fp8_e32 v[46:47], v34
	v_cvt_pk_f32_fp8_e32 v[50:51], v35
	v_mfma_f32_4x4x4_16b_bf16 a[0:3], v[16:17], v[48:49], a[0:3] cbsz:4 abid:11
	v_cvt_pk_f32_fp8_sdwa v[48:49], v34 src0_sel:WORD_1
	v_perm_b32 v34, v47, v46, s4
	v_cvt_pk_f32_fp8_sdwa v[46:47], v35 src0_sel:WORD_1
	v_perm_b32 v35, v49, v48, s4
	v_perm_b32 v48, v51, v50, s4
	s_nop 0
	v_mfma_f32_4x4x4_16b_bf16 a[0:3], v[14:15], v[34:35], a[0:3] cbsz:4 abid:12
	v_perm_b32 v49, v47, v46, s4
	v_cvt_pk_f32_fp8_e32 v[34:35], v36
	v_cvt_pk_f32_fp8_sdwa v[46:47], v36 src0_sel:WORD_1
	v_mfma_f32_4x4x4_16b_bf16 a[0:3], v[16:17], v[48:49], a[0:3] cbsz:4 abid:12
	v_cvt_pk_f32_fp8_e32 v[48:49], v37
	v_cvt_pk_f32_fp8_sdwa v[36:37], v37 src0_sel:WORD_1
	v_perm_b32 v34, v35, v34, s4
	v_perm_b32 v35, v47, v46, s4
	;; [unrolled: 1-line block ×4, first 2 shown]
	v_mfma_f32_4x4x4_16b_bf16 a[0:3], v[14:15], v[34:35], a[0:3] cbsz:4 abid:13
	s_waitcnt vmcnt(6)
	v_cvt_pk_f32_fp8_e32 v[34:35], v30
	v_cvt_pk_f32_fp8_sdwa v[36:37], v30 src0_sel:WORD_1
	v_mfma_f32_4x4x4_16b_bf16 a[0:3], v[16:17], v[46:47], a[0:3] cbsz:4 abid:13
	v_cvt_pk_f32_fp8_e32 v[46:47], v31
	v_perm_b32 v30, v35, v34, s4
	v_cvt_pk_f32_fp8_sdwa v[34:35], v31 src0_sel:WORD_1
	v_perm_b32 v31, v37, v36, s4
	v_perm_b32 v36, v47, v46, s4
	;; [unrolled: 1-line block ×3, first 2 shown]
	v_mfma_f32_4x4x4_16b_bf16 a[0:3], v[14:15], v[30:31], a[0:3] cbsz:4 abid:14
	v_cvt_pk_f32_fp8_e32 v[30:31], v32
	v_cvt_pk_f32_fp8_sdwa v[34:35], v32 src0_sel:WORD_1
	v_mfma_f32_4x4x4_16b_bf16 a[0:3], v[16:17], v[36:37], a[0:3] cbsz:4 abid:14
	v_cvt_pk_f32_fp8_e32 v[36:37], v33
	v_cvt_pk_f32_fp8_sdwa v[32:33], v33 src0_sel:WORD_1
	v_perm_b32 v30, v31, v30, s4
	v_perm_b32 v31, v35, v34, s4
	v_perm_b32 v34, v37, v36, s4
	v_perm_b32 v35, v33, v32, s4
	v_mfma_f32_4x4x4_16b_bf16 a[0:3], v[14:15], v[30:31], a[0:3] cbsz:4 abid:15
	s_waitcnt lgkmcnt(0)
	v_mov_b32_e32 v14, s0
	v_mfma_f32_4x4x4_16b_bf16 a[0:3], v[16:17], v[34:35], a[0:3] cbsz:4 abid:15
	v_mul_f32_e32 v16, s1, v14
	s_nop 3
	v_accvgpr_read_b32 v31, a1
	v_accvgpr_read_b32 v30, a0
	v_pk_mul_f32 v[30:31], v[30:31], v[16:17] op_sel_hi:[1,0]
	v_accvgpr_read_b32 v15, a3
	v_accvgpr_read_b32 v14, a2
	v_pk_mul_f32 v[34:35], v[14:15], v[16:17] op_sel_hi:[1,0]
	v_cndmask_b32_e64 v14, 0, 1.0, vcc
	v_cmp_eq_u32_e32 vcc, 1, v43
	s_nop 0
	v_mfma_f32_4x4x1_16b_f32 a[0:3], v30, v14, 0
	v_cndmask_b32_e64 v14, 0, 1.0, vcc
	v_cmp_eq_u32_e32 vcc, 2, v43
	s_nop 0
	v_mfma_f32_4x4x1_16b_f32 a[0:3], v31, v14, a[0:3]
	v_cndmask_b32_e64 v14, 0, 1.0, vcc
	s_nop 1
	v_mfma_f32_4x4x1_16b_f32 a[0:3], v34, v14, a[0:3]
	global_load_dwordx4 v[30:33], v[40:41], off
	global_load_dwordx4 v[14:17], v[40:41], off offset:1024
	v_and_b32_e32 v34, -4, v44
	v_mfma_f32_4x4x1_16b_f32 a[0:3], v35, v39, a[0:3]
	v_subrev_u32_e32 v35, s3, v34
	v_add_u32_e32 v36, 1, v35
	v_cvt_f32_i32_e32 v36, v36
	v_add_u32_e32 v37, 2, v35
	v_cvt_f32_i32_e32 v37, v37
	v_accvgpr_read_b32 v39, a0
	v_fma_f32 v36, v38, v36, v39
	v_accvgpr_read_b32 v39, a1
	v_fma_f32 v37, v38, v37, v39
	v_add_u32_e32 v39, 3, v35
	v_cvt_f32_i32_e32 v39, v39
	v_add_u32_e32 v35, 4, v35
	v_cvt_f32_i32_e32 v35, v35
	v_accvgpr_read_b32 v40, a2
	v_fma_f32 v39, v38, v39, v40
	v_accvgpr_read_b32 v40, a3
	v_fmac_f32_e32 v40, v38, v35
	v_max_f32_e32 v38, 0xff7fffff, v36
	v_mov_b32_e32 v41, 0xff7fffff
	v_cmp_gt_i32_e32 vcc, s3, v34
	v_lshlrev_b32_e32 v35, 2, v0
	v_and_or_b32 v35, v35, 48, v43
	v_cndmask_b32_e32 v38, v41, v38, vcc
	v_or_b32_e32 v41, 1, v34
	v_max_f32_e32 v45, v38, v37
	v_cmp_gt_i32_e64 s[0:1], s3, v41
	v_or_b32_e32 v34, 2, v34
	v_cmp_gt_i32_e64 s[4:5], s3, v34
	v_cndmask_b32_e64 v38, v38, v45, s[0:1]
	v_max_f32_e32 v41, v38, v39
	v_cndmask_b32_e64 v34, v38, v41, s[4:5]
	v_or_b32_e32 v38, 3, v44
	v_max_f32_e32 v41, v34, v40
	v_cmp_gt_i32_e64 s[8:9], s3, v38
	v_lshlrev_b32_e32 v38, 2, v35
	s_nop 0
	v_cndmask_b32_e64 v34, v34, v41, s[8:9]
	;;#ASMSTART
	v_nop
 v_nop
 v_max_f32_dpp v34, v34, v34 row_ror:4
	;;#ASMEND
	s_nop 0
	;;#ASMSTART
	v_nop
 v_nop
 v_max_f32_dpp v34, v34, v34 row_ror:8
	;;#ASMEND
	ds_bpermute_b32 v34, v38, v34
	s_waitcnt lgkmcnt(0)
	;;#ASMSTART
	v_nop
 v_nop
 v_max_f32_dpp v34, v34, v34 row_ror:4
	;;#ASMEND
	s_nop 0
	;;#ASMSTART
	v_nop
 v_nop
 v_max_f32_dpp v41, v34, v34 row_ror:8
	;;#ASMEND
	s_nop 0
	v_sub_f32_e32 v34, v36, v41
	v_mul_f32_e32 v34, 0x3fb8aa3b, v34
	v_sub_f32_e32 v35, v37, v41
	v_exp_f32_e32 v34, v34
	v_mul_f32_e32 v35, 0x3fb8aa3b, v35
	v_sub_f32_e32 v37, v39, v41
	v_exp_f32_e32 v35, v35
	;; [unrolled: 3-line block ×3, first 2 shown]
	v_mul_f32_e32 v39, 0x3fb8aa3b, v39
	v_exp_f32_e32 v39, v39
	v_cndmask_b32_e32 v34, 0, v34, vcc
	v_add_f32_e32 v36, 0, v34
	v_cndmask_b32_e64 v35, 0, v35, s[0:1]
	v_add_f32_e32 v40, v36, v35
	v_cndmask_b32_e64 v36, 0, v37, s[4:5]
	;; [unrolled: 2-line block ×3, first 2 shown]
	v_add_f32_e32 v39, v40, v37
	;;#ASMSTART
	v_nop
 v_nop
 v_add_f32_dpp v39, v39, v39 row_ror:4
	;;#ASMEND
	v_cmp_gt_u32_e32 vcc, 4, v1
	;;#ASMSTART
	v_nop
 v_nop
 v_add_f32_dpp v39, v39, v39 row_ror:8
	;;#ASMEND
	ds_bpermute_b32 v38, v38, v39
	s_waitcnt lgkmcnt(0)
	;;#ASMSTART
	v_nop
 v_nop
 v_add_f32_dpp v38, v38, v38 row_ror:4
	;;#ASMEND
	s_nop 0
	;;#ASMSTART
	v_nop
 v_nop
 v_add_f32_dpp v38, v38, v38 row_ror:8
	;;#ASMEND
	s_and_saveexec_b64 s[0:1], vcc
	s_cbranch_execz .LBB1290_18
; %bb.17:
	v_mul_u32_u24_e32 v39, 20, v42
	v_lshl_add_u32 v39, v43, 2, v39
	v_add_u32_e32 v39, 0x1400, v39
	ds_write2_b32 v39, v41, v38 offset1:20
.LBB1290_18:
	s_or_b64 exec, exec, s[0:1]
.LBB1290_19:
	s_or_b64 exec, exec, s[26:27]
	s_waitcnt lgkmcnt(0)
	s_barrier
	s_load_dword s0, s[24:25], 0x8
	v_lshlrev_b32_e32 v38, 2, v43
	v_add_u32_e32 v40, 0x1400, v38
	ds_read2_b32 v[38:39], v40 offset1:5
	ds_read2_b32 v[46:47], v40 offset0:10 offset1:15
	s_mul_i32 s1, s2, s38
	s_waitcnt lgkmcnt(0)
	s_mul_i32 s0, s1, s0
	s_mov_b32 s1, 0xff7fffff
	v_max3_f32 v44, v38, s1, v39
	v_max3_f32 v44, v44, v46, v47
	v_sub_f32_e32 v38, v38, v44
	v_mul_f32_e32 v38, 0x3fb8aa3b, v38
	v_exp_f32_e32 v45, v38
	v_sub_f32_e32 v38, v39, v44
	ds_read2_b32 v[48:49], v40 offset0:20 offset1:25
	v_mul_f32_e32 v38, 0x3fb8aa3b, v38
	v_exp_f32_e32 v50, v38
	ds_read2_b32 v[38:39], v40 offset0:30 offset1:35
	v_sub_f32_e32 v40, v46, v44
	v_mul_f32_e32 v40, 0x3fb8aa3b, v40
	v_sub_f32_e32 v46, v47, v44
	v_exp_f32_e32 v40, v40
	v_mul_f32_e32 v46, 0x3fb8aa3b, v46
	v_exp_f32_e32 v46, v46
	s_waitcnt lgkmcnt(1)
	v_fma_f32 v45, v45, v48, 0
	v_fmac_f32_e32 v45, v50, v49
	s_waitcnt lgkmcnt(0)
	v_fmac_f32_e32 v45, v40, v38
	s_mul_i32 s0, s0, 3
	v_fmac_f32_e32 v45, v46, v39
	v_cmp_ne_u32_e32 vcc, 3, v43
	s_and_saveexec_b64 s[2:3], vcc
	s_cbranch_execz .LBB1290_21
; %bb.20:
	s_mov_b32 s1, 0
	s_lshl_b64 s[4:5], s[0:1], 2
	s_add_u32 s12, s12, s4
	s_mov_b32 s21, s1
	s_addc_u32 s13, s13, s5
	s_lshl_b64 s[8:9], s[20:21], 2
	s_add_u32 s12, s12, s8
	s_addc_u32 s13, s13, s9
	s_add_u32 s1, s14, s4
	s_addc_u32 s5, s15, s5
	v_add_u32_e32 v38, s33, v43
	s_add_u32 s4, s1, s8
	v_mul_lo_u32 v38, s38, v38
	v_mov_b32_e32 v39, 0
	s_addc_u32 s5, s5, s9
	v_lshlrev_b64 v[38:39], 2, v[38:39]
	v_lshl_add_u64 v[46:47], s[12:13], 0, v[38:39]
	v_lshl_add_u64 v[38:39], s[4:5], 0, v[38:39]
	global_store_dword v[38:39], v44, off
	global_store_dword v[46:47], v45, off
.LBB1290_21:
	s_or_b64 exec, exec, s[2:3]
	v_lshlrev_b32_e32 v40, 3, v42
                                        ; implicit-def: $sgpr1
	s_and_saveexec_b64 s[2:3], s[6:7]
	s_xor_b64 s[2:3], exec, s[2:3]
	s_cbranch_execz .LBB1290_23
; %bb.22:
	s_waitcnt vmcnt(6)
	v_mov_b32_e32 v2, 0
	v_mad_u32_u24 v4, v1, 40, v40
	s_mov_b32 s1, 0
	v_mov_b32_e32 v3, v2
	ds_write_b64 v4, v[2:3]
                                        ; implicit-def: $vgpr37
                                        ; implicit-def: $vgpr35
                                        ; implicit-def: $vgpr41
                                        ; implicit-def: $vgpr18_vgpr19
                                        ; implicit-def: $vgpr22_vgpr23
                                        ; implicit-def: $vgpr26_vgpr27
                                        ; implicit-def: $vgpr30_vgpr31
                                        ; implicit-def: $vgpr2_vgpr3
                                        ; implicit-def: $vgpr6_vgpr7
                                        ; implicit-def: $vgpr10_vgpr11
                                        ; implicit-def: $vgpr14_vgpr15
                                        ; implicit-def: $vgpr44
                                        ; implicit-def: $vgpr45
.LBB1290_23:
	s_or_saveexec_b64 s[2:3], s[2:3]
	v_mov_b32_e32 v38, s1
	v_mov_b32_e32 v39, s1
	s_xor_b64 exec, exec, s[2:3]
	s_cbranch_execz .LBB1290_25
; %bb.24:
	v_add_f32_e32 v38, 0x358637bd, v45
	v_div_scale_f32 v39, s[4:5], v38, v38, 1.0
	v_rcp_f32_e32 v42, v39
	v_sub_f32_e32 v41, v41, v44
	v_mul_f32_e32 v41, 0x3fb8aa3b, v41
	v_exp_f32_e32 v41, v41
	v_fma_f32 v43, -v39, v42, 1.0
	v_fmac_f32_e32 v42, v43, v42
	v_div_scale_f32 v43, vcc, 1.0, v38, 1.0
	v_mul_f32_e32 v44, v43, v42
	v_fma_f32 v45, -v39, v44, v43
	v_fmac_f32_e32 v44, v45, v42
	v_fma_f32 v39, -v39, v44, v43
	v_div_fmas_f32 v39, v39, v42, v44
	v_div_fixup_f32 v38, v39, v38, 1.0
	v_mul_f32_e32 v38, v41, v38
	v_pk_mul_f32 v[34:35], v[34:35], v[38:39] op_sel_hi:[1,0]
	v_pk_mul_f32 v[36:37], v[36:37], v[38:39] op_sel_hi:[1,0]
	v_bfe_u32 v38, v35, 16, 1
	v_bfe_u32 v39, v34, 16, 1
	s_movk_i32 s1, 0x7fff
	v_add3_u32 v34, v34, v39, s1
	v_add3_u32 v35, v35, v38, s1
	s_mov_b32 s5, 0x7060302
	v_perm_b32 v34, v35, v34, s5
	v_bfe_u32 v35, v37, 16, 1
	v_bfe_u32 v38, v36, 16, 1
	v_add3_u32 v36, v36, v38, s1
	v_add3_u32 v35, v37, v35, s1
	v_perm_b32 v35, v35, v36, s5
	s_waitcnt vmcnt(7)
	v_cvt_pk_f32_fp8_e32 v[36:37], v18
	v_cvt_pk_f32_fp8_sdwa v[38:39], v18 src0_sel:WORD_1
	v_cvt_pk_f32_fp8_e32 v[42:43], v19
	v_cvt_pk_f32_fp8_sdwa v[18:19], v19 src0_sel:WORD_1
	v_perm_b32 v36, v37, v36, s5
	v_perm_b32 v37, v39, v38, s5
	;; [unrolled: 1-line block ×4, first 2 shown]
	v_mfma_f32_4x4x4_16b_bf16 a[0:3], v[34:35], v[36:37], 0 cbsz:4
	v_cvt_pk_f32_fp8_e32 v[18:19], v20
	v_cvt_pk_f32_fp8_sdwa v[36:37], v20 src0_sel:WORD_1
	v_mfma_f32_4x4x4_16b_bf16 a[0:3], v[34:35], v[38:39], a[0:3] cbsz:4 abid:1
	v_cvt_pk_f32_fp8_e32 v[38:39], v21
	v_cvt_pk_f32_fp8_sdwa v[20:21], v21 src0_sel:WORD_1
	v_perm_b32 v18, v19, v18, s5
	v_perm_b32 v19, v37, v36, s5
	;; [unrolled: 1-line block ×4, first 2 shown]
	v_mfma_f32_4x4x4_16b_bf16 a[0:3], v[34:35], v[18:19], a[0:3] cbsz:4 abid:2
	s_waitcnt vmcnt(5)
	v_cvt_pk_f32_fp8_e32 v[18:19], v22
	v_cvt_pk_f32_fp8_sdwa v[20:21], v22 src0_sel:WORD_1
	v_mfma_f32_4x4x4_16b_bf16 a[0:3], v[34:35], v[36:37], a[0:3] cbsz:4 abid:3
	v_cvt_pk_f32_fp8_e32 v[36:37], v23
	v_cvt_pk_f32_fp8_sdwa v[22:23], v23 src0_sel:WORD_1
	v_perm_b32 v18, v19, v18, s5
	v_perm_b32 v19, v21, v20, s5
	;; [unrolled: 1-line block ×4, first 2 shown]
	v_mfma_f32_4x4x4_16b_bf16 a[0:3], v[34:35], v[18:19], a[0:3] cbsz:4 abid:4
	v_cvt_pk_f32_fp8_e32 v[18:19], v24
	v_cvt_pk_f32_fp8_e32 v[22:23], v25
	v_mfma_f32_4x4x4_16b_bf16 a[0:3], v[34:35], v[20:21], a[0:3] cbsz:4 abid:5
	v_cvt_pk_f32_fp8_sdwa v[20:21], v24 src0_sel:WORD_1
	v_cvt_pk_f32_fp8_sdwa v[24:25], v25 src0_sel:WORD_1
	v_perm_b32 v18, v19, v18, s5
	s_load_dword s4, s[10:11], 0x0
	v_perm_b32 v19, v21, v20, s5
	v_perm_b32 v20, v23, v22, s5
	;; [unrolled: 1-line block ×3, first 2 shown]
	v_mfma_f32_4x4x4_16b_bf16 a[0:3], v[34:35], v[18:19], a[0:3] cbsz:4 abid:6
	s_waitcnt vmcnt(3)
	v_cvt_pk_f32_fp8_e32 v[18:19], v26
	v_cvt_pk_f32_fp8_e32 v[22:23], v27
	v_mfma_f32_4x4x4_16b_bf16 a[0:3], v[34:35], v[20:21], a[0:3] cbsz:4 abid:7
	v_cvt_pk_f32_fp8_sdwa v[20:21], v26 src0_sel:WORD_1
	v_cvt_pk_f32_fp8_sdwa v[24:25], v27 src0_sel:WORD_1
	v_perm_b32 v18, v19, v18, s5
	v_perm_b32 v19, v21, v20, s5
	;; [unrolled: 1-line block ×3, first 2 shown]
	s_nop 0
	v_mfma_f32_4x4x4_16b_bf16 a[0:3], v[34:35], v[18:19], a[0:3] cbsz:4 abid:8
	v_perm_b32 v21, v25, v24, s5
	v_cvt_pk_f32_fp8_e32 v[18:19], v28
	v_cvt_pk_f32_fp8_e32 v[22:23], v29
	v_mfma_f32_4x4x4_16b_bf16 a[0:3], v[34:35], v[20:21], a[0:3] cbsz:4 abid:9
	v_cvt_pk_f32_fp8_sdwa v[20:21], v28 src0_sel:WORD_1
	v_cvt_pk_f32_fp8_sdwa v[24:25], v29 src0_sel:WORD_1
	v_perm_b32 v18, v19, v18, s5
	v_perm_b32 v19, v21, v20, s5
	;; [unrolled: 1-line block ×3, first 2 shown]
	s_nop 0
	v_mfma_f32_4x4x4_16b_bf16 a[0:3], v[34:35], v[18:19], a[0:3] cbsz:4 abid:10
	v_perm_b32 v21, v25, v24, s5
	s_waitcnt vmcnt(1)
	v_cvt_pk_f32_fp8_e32 v[18:19], v30
	v_cvt_pk_f32_fp8_e32 v[22:23], v31
	v_mfma_f32_4x4x4_16b_bf16 a[0:3], v[34:35], v[20:21], a[0:3] cbsz:4 abid:11
	v_cvt_pk_f32_fp8_sdwa v[20:21], v30 src0_sel:WORD_1
	v_cvt_pk_f32_fp8_sdwa v[24:25], v31 src0_sel:WORD_1
	v_perm_b32 v18, v19, v18, s5
	v_perm_b32 v19, v21, v20, s5
	;; [unrolled: 1-line block ×3, first 2 shown]
	s_nop 0
	v_mfma_f32_4x4x4_16b_bf16 a[0:3], v[34:35], v[18:19], a[0:3] cbsz:4 abid:12
	v_perm_b32 v21, v25, v24, s5
	v_cvt_pk_f32_fp8_e32 v[18:19], v32
	v_cvt_pk_f32_fp8_e32 v[22:23], v33
	v_mfma_f32_4x4x4_16b_bf16 a[0:3], v[34:35], v[20:21], a[0:3] cbsz:4 abid:13
	v_cvt_pk_f32_fp8_sdwa v[20:21], v32 src0_sel:WORD_1
	v_cvt_pk_f32_fp8_sdwa v[24:25], v33 src0_sel:WORD_1
	v_perm_b32 v18, v19, v18, s5
	v_perm_b32 v19, v21, v20, s5
	;; [unrolled: 1-line block ×3, first 2 shown]
	s_nop 0
	v_mfma_f32_4x4x4_16b_bf16 a[0:3], v[34:35], v[18:19], a[0:3] cbsz:4 abid:14
	v_perm_b32 v21, v25, v24, s5
	s_nop 1
	v_mfma_f32_4x4x4_16b_bf16 a[0:3], v[34:35], v[20:21], a[0:3] cbsz:4 abid:15
	s_nop 4
	v_accvgpr_read_b32 v21, a1
	v_accvgpr_read_b32 v20, a0
	s_waitcnt lgkmcnt(0)
	v_pk_mul_f32 v[20:21], v[20:21], s[4:5] op_sel_hi:[1,0]
	v_accvgpr_read_b32 v19, a3
	v_accvgpr_read_b32 v18, a2
	v_bfe_u32 v22, v21, 16, 1
	v_bfe_u32 v23, v20, 16, 1
	v_pk_mul_f32 v[18:19], v[18:19], s[4:5] op_sel_hi:[1,0]
	v_add3_u32 v20, v20, v23, s1
	v_add3_u32 v21, v21, v22, s1
	v_perm_b32 v20, v21, v20, s5
	v_bfe_u32 v21, v19, 16, 1
	v_bfe_u32 v22, v18, 16, 1
	v_add3_u32 v18, v18, v22, s1
	v_add3_u32 v19, v19, v21, s1
	v_perm_b32 v21, v19, v18, s5
	v_mad_u32_u24 v18, v1, 40, v40
	ds_write_b64 v18, v[20:21]
	v_cvt_pk_f32_fp8_e32 v[18:19], v2
	v_cvt_pk_f32_fp8_sdwa v[20:21], v2 src0_sel:WORD_1
	v_cvt_pk_f32_fp8_e32 v[22:23], v3
	v_cvt_pk_f32_fp8_sdwa v[2:3], v3 src0_sel:WORD_1
	v_perm_b32 v18, v19, v18, s5
	v_perm_b32 v19, v21, v20, s5
	;; [unrolled: 1-line block ×4, first 2 shown]
	v_mfma_f32_4x4x4_16b_bf16 a[0:3], v[34:35], v[18:19], 0 cbsz:4
	v_cvt_pk_f32_fp8_e32 v[2:3], v4
	v_cvt_pk_f32_fp8_sdwa v[18:19], v4 src0_sel:WORD_1
	v_mfma_f32_4x4x4_16b_bf16 a[0:3], v[34:35], v[20:21], a[0:3] cbsz:4 abid:1
	v_cvt_pk_f32_fp8_e32 v[20:21], v5
	v_cvt_pk_f32_fp8_sdwa v[4:5], v5 src0_sel:WORD_1
	v_perm_b32 v2, v3, v2, s5
	v_perm_b32 v3, v19, v18, s5
	;; [unrolled: 1-line block ×4, first 2 shown]
	v_mfma_f32_4x4x4_16b_bf16 a[0:3], v[34:35], v[2:3], a[0:3] cbsz:4 abid:2
	v_cvt_pk_f32_fp8_e32 v[2:3], v6
	v_cvt_pk_f32_fp8_sdwa v[4:5], v6 src0_sel:WORD_1
	v_mfma_f32_4x4x4_16b_bf16 a[0:3], v[34:35], v[18:19], a[0:3] cbsz:4 abid:3
	v_cvt_pk_f32_fp8_e32 v[18:19], v7
	v_cvt_pk_f32_fp8_sdwa v[6:7], v7 src0_sel:WORD_1
	v_perm_b32 v2, v3, v2, s5
	v_perm_b32 v3, v5, v4, s5
	;; [unrolled: 1-line block ×4, first 2 shown]
	v_mfma_f32_4x4x4_16b_bf16 a[0:3], v[34:35], v[2:3], a[0:3] cbsz:4 abid:4
	v_cvt_pk_f32_fp8_e32 v[2:3], v8
	v_cvt_pk_f32_fp8_e32 v[6:7], v9
	v_mfma_f32_4x4x4_16b_bf16 a[0:3], v[34:35], v[4:5], a[0:3] cbsz:4 abid:5
	v_cvt_pk_f32_fp8_sdwa v[4:5], v8 src0_sel:WORD_1
	v_cvt_pk_f32_fp8_sdwa v[8:9], v9 src0_sel:WORD_1
	v_perm_b32 v2, v3, v2, s5
	v_perm_b32 v3, v5, v4, s5
	v_perm_b32 v4, v7, v6, s5
	s_nop 0
	v_mfma_f32_4x4x4_16b_bf16 a[0:3], v[34:35], v[2:3], a[0:3] cbsz:4 abid:6
	v_perm_b32 v5, v9, v8, s5
	v_cvt_pk_f32_fp8_e32 v[2:3], v10
	v_cvt_pk_f32_fp8_e32 v[6:7], v11
	v_mfma_f32_4x4x4_16b_bf16 a[0:3], v[34:35], v[4:5], a[0:3] cbsz:4 abid:7
	v_cvt_pk_f32_fp8_sdwa v[4:5], v10 src0_sel:WORD_1
	v_cvt_pk_f32_fp8_sdwa v[8:9], v11 src0_sel:WORD_1
	v_perm_b32 v2, v3, v2, s5
	v_perm_b32 v3, v5, v4, s5
	v_perm_b32 v4, v7, v6, s5
	s_nop 0
	v_mfma_f32_4x4x4_16b_bf16 a[0:3], v[34:35], v[2:3], a[0:3] cbsz:4 abid:8
	v_perm_b32 v5, v9, v8, s5
	;; [unrolled: 11-line block ×3, first 2 shown]
	s_waitcnt vmcnt(0)
	v_cvt_pk_f32_fp8_e32 v[2:3], v14
	v_cvt_pk_f32_fp8_e32 v[6:7], v15
	v_mfma_f32_4x4x4_16b_bf16 a[0:3], v[34:35], v[4:5], a[0:3] cbsz:4 abid:11
	v_cvt_pk_f32_fp8_sdwa v[4:5], v14 src0_sel:WORD_1
	v_cvt_pk_f32_fp8_sdwa v[8:9], v15 src0_sel:WORD_1
	v_perm_b32 v2, v3, v2, s5
	v_perm_b32 v3, v5, v4, s5
	;; [unrolled: 1-line block ×3, first 2 shown]
	s_nop 0
	v_mfma_f32_4x4x4_16b_bf16 a[0:3], v[34:35], v[2:3], a[0:3] cbsz:4 abid:12
	v_perm_b32 v5, v9, v8, s5
	v_cvt_pk_f32_fp8_e32 v[2:3], v16
	v_cvt_pk_f32_fp8_e32 v[6:7], v17
	v_mfma_f32_4x4x4_16b_bf16 a[0:3], v[34:35], v[4:5], a[0:3] cbsz:4 abid:13
	v_cvt_pk_f32_fp8_sdwa v[4:5], v16 src0_sel:WORD_1
	v_cvt_pk_f32_fp8_sdwa v[8:9], v17 src0_sel:WORD_1
	v_perm_b32 v2, v3, v2, s5
	v_perm_b32 v3, v5, v4, s5
	v_perm_b32 v4, v7, v6, s5
	s_nop 0
	v_mfma_f32_4x4x4_16b_bf16 a[0:3], v[34:35], v[2:3], a[0:3] cbsz:4 abid:14
	v_perm_b32 v5, v9, v8, s5
	s_nop 1
	v_mfma_f32_4x4x4_16b_bf16 a[0:3], v[34:35], v[4:5], a[0:3] cbsz:4 abid:15
	s_nop 4
	v_accvgpr_read_b32 v5, a1
	v_accvgpr_read_b32 v4, a0
	;; [unrolled: 1-line block ×4, first 2 shown]
	v_pk_mul_f32 v[4:5], v[4:5], s[4:5] op_sel_hi:[1,0]
	v_pk_mul_f32 v[2:3], v[2:3], s[4:5] op_sel_hi:[1,0]
	v_bfe_u32 v6, v5, 16, 1
	v_bfe_u32 v7, v4, 16, 1
	v_add3_u32 v4, v4, v7, s1
	v_add3_u32 v5, v5, v6, s1
	v_bfe_u32 v6, v3, 16, 1
	v_bfe_u32 v7, v2, 16, 1
	v_add3_u32 v2, v2, v7, s1
	v_add3_u32 v3, v3, v6, s1
	v_perm_b32 v39, v3, v2, s5
	v_perm_b32 v38, v5, v4, s5
.LBB1290_25:
	s_or_b64 exec, exec, s[2:3]
	s_waitcnt vmcnt(6)
	v_mad_u32_u24 v2, v1, 40, v40
	v_cmp_gt_u32_e32 vcc, 64, v0
	ds_write_b64 v2, v[38:39] offset:2560
	s_waitcnt lgkmcnt(0)
	s_barrier
	s_and_saveexec_b64 s[2:3], vcc
	s_cbranch_execz .LBB1290_27
; %bb.26:
	s_waitcnt vmcnt(4)
	v_mul_u32_u24_e32 v6, 40, v1
	ds_read2_b64 v[2:5], v6 offset1:1
	ds_read2_b64 v[6:9], v6 offset0:2 offset1:3
	s_mov_b32 s1, 0
	s_lshl_b32 s0, s0, 7
	s_lshl_b64 s[2:3], s[0:1], 1
	s_waitcnt vmcnt(2) lgkmcnt(1)
	v_and_b32_e32 v10, 0xffff0000, v2
	v_lshlrev_b32_e32 v3, 16, v3
	v_add_f32_e32 v10, 0, v10
	v_add_f32_e32 v3, 0, v3
	v_and_b32_e32 v10, 0xffff0000, v10
	v_and_b32_e32 v11, 0xffff0000, v4
	v_and_b32_e32 v3, 0xffff0000, v3
	v_add_f32_e32 v10, v10, v11
	v_lshlrev_b32_e32 v5, 16, v5
	v_and_b32_e32 v10, 0xffff0000, v10
	v_add_f32_e32 v3, v3, v5
	s_waitcnt lgkmcnt(0)
	v_and_b32_e32 v5, 0xffff0000, v6
	v_and_b32_e32 v3, 0xffff0000, v3
	v_add_f32_e32 v5, v10, v5
	v_lshlrev_b32_e32 v7, 16, v7
	v_and_b32_e32 v5, 0xffff0000, v5
	v_add_f32_e32 v3, v3, v7
	v_and_b32_e32 v7, 0xffff0000, v8
	v_add_f32_e32 v18, v5, v7
	v_mov_b32_e32 v7, 0xa00
	v_mad_u32_u24 v7, v1, 40, v7
	ds_read2_b64 v[10:13], v7 offset1:1
	v_and_b32_e32 v3, 0xffff0000, v3
	v_lshlrev_b32_e32 v5, 16, v9
	v_add_f32_e32 v9, v3, v5
	v_mov_b32_e32 v3, 0xa10
	v_mad_u32_u24 v1, v1, 40, v3
	s_waitcnt vmcnt(0)
	ds_read2_b64 v[14:17], v1 offset1:1
	s_waitcnt lgkmcnt(1)
	v_lshlrev_b32_e32 v1, 16, v10
	v_add_f32_e32 v1, 0, v1
	v_and_b32_e32 v3, 0xffff0000, v10
	v_and_b32_e32 v1, 0xffff0000, v1
	v_add_f32_e32 v3, 0, v3
	v_lshlrev_b32_e32 v5, 16, v11
	v_lshlrev_b32_e32 v7, 16, v12
	v_and_b32_e32 v3, 0xffff0000, v3
	v_add_f32_e32 v5, 0, v5
	v_add_f32_e32 v1, v1, v7
	v_and_b32_e32 v7, 0xffff0000, v12
	v_and_b32_e32 v5, 0xffff0000, v5
	v_add_f32_e32 v3, v3, v7
	v_lshlrev_b32_e32 v7, 16, v13
	v_and_b32_e32 v1, 0xffff0000, v1
	v_add_f32_e32 v5, v5, v7
	s_waitcnt lgkmcnt(0)
	v_lshlrev_b32_e32 v7, 16, v14
	v_and_b32_e32 v3, 0xffff0000, v3
	v_add_f32_e32 v1, v1, v7
	v_and_b32_e32 v7, 0xffff0000, v14
	v_and_b32_e32 v5, 0xffff0000, v5
	v_add_f32_e32 v3, v3, v7
	v_lshlrev_b32_e32 v7, 16, v15
	v_and_b32_e32 v1, 0xffff0000, v1
	v_add_f32_e32 v5, v5, v7
	v_lshlrev_b32_e32 v7, 16, v16
	v_and_b32_e32 v3, 0xffff0000, v3
	v_add_f32_e32 v10, v1, v7
	v_and_b32_e32 v1, 0xffff0000, v16
	v_and_b32_e32 v5, 0xffff0000, v5
	v_add_f32_e32 v11, v3, v1
	v_lshlrev_b32_e32 v1, 16, v17
	v_add_f32_e32 v12, v5, v1
	v_lshlrev_b32_e32 v1, 16, v2
	s_add_u32 s2, s22, s2
	v_add_f32_e32 v1, 0, v1
	s_addc_u32 s3, s23, s3
	s_lshl_b32 s0, s20, 7
	v_and_b32_e32 v1, 0xffff0000, v1
	v_lshlrev_b32_e32 v2, 16, v4
	s_lshl_b64 s[0:1], s[0:1], 1
	v_add_f32_e32 v1, v1, v2
	s_add_u32 s0, s2, s0
	v_and_b32_e32 v1, 0xffff0000, v1
	v_lshlrev_b32_e32 v2, 16, v6
	s_addc_u32 s1, s3, s1
	s_lshl_b32 s2, s38, 7
	v_add_f32_e32 v1, v1, v2
	v_and_b32_e32 v1, 0xffff0000, v1
	v_lshlrev_b32_e32 v2, 16, v8
	s_mul_i32 s3, s2, s33
	v_add_f32_e32 v1, v1, v2
	v_or_b32_e32 v2, s3, v0
	v_mov_b32_e32 v3, 0
	s_add_i32 s3, s3, s2
	v_lshl_add_u64 v[4:5], v[2:3], 1, s[0:1]
	v_or_b32_e32 v2, s3, v0
	s_add_i32 s3, s3, s2
	v_lshl_add_u64 v[6:7], v[2:3], 1, s[0:1]
	v_or_b32_e32 v2, s3, v0
	global_store_short_d16_hi v[4:5], v1, off
	v_lshl_add_u64 v[0:1], v[2:3], 1, s[0:1]
	global_store_short_d16_hi v[6:7], v18, off
	global_store_short_d16_hi v[0:1], v9, off
	global_store_short_d16_hi v[4:5], v10, off offset:128
	global_store_short_d16_hi v[6:7], v11, off offset:128
	;; [unrolled: 1-line block ×3, first 2 shown]
.LBB1290_27:
	s_endpgm
	.section	.rodata,"a",@progbits
	.p2align	6, 0x0
	.amdhsa_kernel _Z38paged_attention_ll4mi_QKV_mfma4_kernelI14__hip_bfloat16hLN4vllm18Fp8KVCacheDataTypeE1ES0_Li16ELi128ELi256ELb1ELi3EEvPKT_PKT0_S8_ifPKiSA_SA_iPKfiiiPfSD_PS3_PT2_iSC_SC_
		.amdhsa_group_segment_fixed_size 5280
		.amdhsa_private_segment_fixed_size 0
		.amdhsa_kernarg_size 400
		.amdhsa_user_sgpr_count 2
		.amdhsa_user_sgpr_dispatch_ptr 0
		.amdhsa_user_sgpr_queue_ptr 0
		.amdhsa_user_sgpr_kernarg_segment_ptr 1
		.amdhsa_user_sgpr_dispatch_id 0
		.amdhsa_user_sgpr_kernarg_preload_length 0
		.amdhsa_user_sgpr_kernarg_preload_offset 0
		.amdhsa_user_sgpr_private_segment_size 0
		.amdhsa_uses_dynamic_stack 0
		.amdhsa_enable_private_segment 0
		.amdhsa_system_sgpr_workgroup_id_x 1
		.amdhsa_system_sgpr_workgroup_id_y 1
		.amdhsa_system_sgpr_workgroup_id_z 1
		.amdhsa_system_sgpr_workgroup_info 0
		.amdhsa_system_vgpr_workitem_id 0
		.amdhsa_next_free_vgpr 60
		.amdhsa_next_free_sgpr 44
		.amdhsa_accum_offset 56
		.amdhsa_reserve_vcc 1
		.amdhsa_float_round_mode_32 0
		.amdhsa_float_round_mode_16_64 0
		.amdhsa_float_denorm_mode_32 3
		.amdhsa_float_denorm_mode_16_64 3
		.amdhsa_dx10_clamp 1
		.amdhsa_ieee_mode 1
		.amdhsa_fp16_overflow 0
		.amdhsa_tg_split 0
		.amdhsa_exception_fp_ieee_invalid_op 0
		.amdhsa_exception_fp_denorm_src 0
		.amdhsa_exception_fp_ieee_div_zero 0
		.amdhsa_exception_fp_ieee_overflow 0
		.amdhsa_exception_fp_ieee_underflow 0
		.amdhsa_exception_fp_ieee_inexact 0
		.amdhsa_exception_int_div_zero 0
	.end_amdhsa_kernel
	.section	.text._Z38paged_attention_ll4mi_QKV_mfma4_kernelI14__hip_bfloat16hLN4vllm18Fp8KVCacheDataTypeE1ES0_Li16ELi128ELi256ELb1ELi3EEvPKT_PKT0_S8_ifPKiSA_SA_iPKfiiiPfSD_PS3_PT2_iSC_SC_,"axG",@progbits,_Z38paged_attention_ll4mi_QKV_mfma4_kernelI14__hip_bfloat16hLN4vllm18Fp8KVCacheDataTypeE1ES0_Li16ELi128ELi256ELb1ELi3EEvPKT_PKT0_S8_ifPKiSA_SA_iPKfiiiPfSD_PS3_PT2_iSC_SC_,comdat
.Lfunc_end1290:
	.size	_Z38paged_attention_ll4mi_QKV_mfma4_kernelI14__hip_bfloat16hLN4vllm18Fp8KVCacheDataTypeE1ES0_Li16ELi128ELi256ELb1ELi3EEvPKT_PKT0_S8_ifPKiSA_SA_iPKfiiiPfSD_PS3_PT2_iSC_SC_, .Lfunc_end1290-_Z38paged_attention_ll4mi_QKV_mfma4_kernelI14__hip_bfloat16hLN4vllm18Fp8KVCacheDataTypeE1ES0_Li16ELi128ELi256ELb1ELi3EEvPKT_PKT0_S8_ifPKiSA_SA_iPKfiiiPfSD_PS3_PT2_iSC_SC_
                                        ; -- End function
	.section	.AMDGPU.csdata,"",@progbits
; Kernel info:
; codeLenInByte = 6024
; NumSgprs: 50
; NumVgprs: 56
; NumAgprs: 4
; TotalNumVgprs: 60
; ScratchSize: 0
; MemoryBound: 0
; FloatMode: 240
; IeeeMode: 1
; LDSByteSize: 5280 bytes/workgroup (compile time only)
; SGPRBlocks: 6
; VGPRBlocks: 7
; NumSGPRsForWavesPerEU: 50
; NumVGPRsForWavesPerEU: 60
; AccumOffset: 56
; Occupancy: 8
; WaveLimiterHint : 1
; COMPUTE_PGM_RSRC2:SCRATCH_EN: 0
; COMPUTE_PGM_RSRC2:USER_SGPR: 2
; COMPUTE_PGM_RSRC2:TRAP_HANDLER: 0
; COMPUTE_PGM_RSRC2:TGID_X_EN: 1
; COMPUTE_PGM_RSRC2:TGID_Y_EN: 1
; COMPUTE_PGM_RSRC2:TGID_Z_EN: 1
; COMPUTE_PGM_RSRC2:TIDIG_COMP_CNT: 0
; COMPUTE_PGM_RSRC3_GFX90A:ACCUM_OFFSET: 13
; COMPUTE_PGM_RSRC3_GFX90A:TG_SPLIT: 0
	.section	.text._Z38paged_attention_ll4mi_QKV_mfma4_kernelI14__hip_bfloat16hLN4vllm18Fp8KVCacheDataTypeE1ES0_Li16ELi128ELi256ELb1ELi4EEvPKT_PKT0_S8_ifPKiSA_SA_iPKfiiiPfSD_PS3_PT2_iSC_SC_,"axG",@progbits,_Z38paged_attention_ll4mi_QKV_mfma4_kernelI14__hip_bfloat16hLN4vllm18Fp8KVCacheDataTypeE1ES0_Li16ELi128ELi256ELb1ELi4EEvPKT_PKT0_S8_ifPKiSA_SA_iPKfiiiPfSD_PS3_PT2_iSC_SC_,comdat
	.protected	_Z38paged_attention_ll4mi_QKV_mfma4_kernelI14__hip_bfloat16hLN4vllm18Fp8KVCacheDataTypeE1ES0_Li16ELi128ELi256ELb1ELi4EEvPKT_PKT0_S8_ifPKiSA_SA_iPKfiiiPfSD_PS3_PT2_iSC_SC_ ; -- Begin function _Z38paged_attention_ll4mi_QKV_mfma4_kernelI14__hip_bfloat16hLN4vllm18Fp8KVCacheDataTypeE1ES0_Li16ELi128ELi256ELb1ELi4EEvPKT_PKT0_S8_ifPKiSA_SA_iPKfiiiPfSD_PS3_PT2_iSC_SC_
	.globl	_Z38paged_attention_ll4mi_QKV_mfma4_kernelI14__hip_bfloat16hLN4vllm18Fp8KVCacheDataTypeE1ES0_Li16ELi128ELi256ELb1ELi4EEvPKT_PKT0_S8_ifPKiSA_SA_iPKfiiiPfSD_PS3_PT2_iSC_SC_
	.p2align	8
	.type	_Z38paged_attention_ll4mi_QKV_mfma4_kernelI14__hip_bfloat16hLN4vllm18Fp8KVCacheDataTypeE1ES0_Li16ELi128ELi256ELb1ELi4EEvPKT_PKT0_S8_ifPKiSA_SA_iPKfiiiPfSD_PS3_PT2_iSC_SC_,@function
_Z38paged_attention_ll4mi_QKV_mfma4_kernelI14__hip_bfloat16hLN4vllm18Fp8KVCacheDataTypeE1ES0_Li16ELi128ELi256ELb1ELi4EEvPKT_PKT0_S8_ifPKiSA_SA_iPKfiiiPfSD_PS3_PT2_iSC_SC_: ; @_Z38paged_attention_ll4mi_QKV_mfma4_kernelI14__hip_bfloat16hLN4vllm18Fp8KVCacheDataTypeE1ES0_Li16ELi128ELi256ELb1ELi4EEvPKT_PKT0_S8_ifPKiSA_SA_iPKfiiiPfSD_PS3_PT2_iSC_SC_
; %bb.0:
	s_load_dwordx2 s[16:17], s[0:1], 0x30
	s_mov_b32 s24, s3
	s_mov_b64 s[6:7], 0
	s_waitcnt lgkmcnt(0)
	s_cmp_lg_u64 s[16:17], 0
	s_cselect_b64 s[18:19], -1, 0
	s_and_b64 vcc, exec, s[18:19]
	s_cbranch_vccz .LBB1291_20
; %bb.1:
	s_add_i32 s8, s2, 1
	s_mov_b32 s9, 0
	s_lshl_b64 s[10:11], s[8:9], 2
	s_add_u32 s10, s16, s10
	s_mov_b32 s3, s9
	s_addc_u32 s11, s17, s11
	s_lshl_b64 s[8:9], s[2:3], 2
	s_add_u32 s8, s16, s8
	s_addc_u32 s9, s17, s9
	s_load_dword s5, s[10:11], 0x0
	s_load_dword s12, s[8:9], 0x0
	s_mov_b64 s[34:35], s[2:3]
	s_waitcnt lgkmcnt(0)
	s_sub_i32 s5, s5, s12
	s_cmp_eq_u32 s5, 1
	s_cselect_b64 s[8:9], -1, 0
	s_andn2_b64 vcc, exec, s[6:7]
	s_cbranch_vccnz .LBB1291_3
.LBB1291_2:
	s_mov_b32 s3, 0
	s_mov_b64 s[8:9], -1
	s_mov_b64 s[34:35], s[2:3]
.LBB1291_3:
	s_andn2_b64 vcc, exec, s[8:9]
	s_cbranch_vccnz .LBB1291_19
; %bb.4:
	s_load_dword s3, s[0:1], 0x9c
	s_load_dwordx2 s[6:7], s[0:1], 0x28
	s_add_u32 s28, s0, 0x90
	s_addc_u32 s29, s1, 0
	s_lshl_b64 s[42:43], s[34:35], 2
	s_waitcnt lgkmcnt(0)
	s_and_b32 s5, s3, 0xffff
	s_add_u32 s6, s6, s42
	s_addc_u32 s7, s7, s43
	s_load_dword s3, s[6:7], 0x0
	s_mul_i32 s5, s24, s5
	s_waitcnt lgkmcnt(0)
	s_cmp_ge_i32 s5, s3
	s_cbranch_scc1 .LBB1291_19
; %bb.5:
	v_and_b32_e32 v1, 0xc0, v0
	v_and_b32_e32 v41, 3, v0
	s_lshl_b32 s33, s4, 2
	v_add_u32_e32 v4, s5, v1
	v_lshrrev_b32_e32 v40, 6, v0
	v_cmp_le_i32_e64 s[6:7], s3, v4
	v_or_b32_e32 v38, s33, v41
                                        ; implicit-def: $sgpr21
                                        ; implicit-def: $sgpr20
	s_and_saveexec_b64 s[8:9], s[6:7]
	s_xor_b64 s[8:9], exec, s[8:9]
	s_cbranch_execz .LBB1291_7
; %bb.6:
	v_mul_u32_u24_e32 v1, 20, v40
	v_or_b32_e32 v1, 0x1400, v1
	v_mov_b32_e32 v2, 0x1450
	v_mov_b32_e32 v3, 0xff7fffff
	v_mad_u32_u24 v2, v40, 20, v2
	ds_write2_b32 v1, v3, v3 offset1:1
	v_mov_b32_e32 v1, 0
	ds_write2_b32 v2, v1, v1 offset1:1
	v_mov_b32_e32 v2, 0x1408
	v_mov_b32_e32 v4, 0x1458
	s_mov_b32 s20, 0xff7fffff
	s_mov_b32 s21, 0
	v_mad_u32_u24 v2, v40, 20, v2
	v_mad_u32_u24 v4, v40, 20, v4
	v_or_b32_e32 v38, s33, v41
	ds_write2_b32 v2, v3, v3 offset1:1
	ds_write2_b32 v4, v1, v1 offset1:1
                                        ; implicit-def: $vgpr4
.LBB1291_7:
	s_or_saveexec_b64 s[30:31], s[8:9]
	s_load_dwordx2 s[26:27], s[0:1], 0x68
	s_load_dwordx4 s[12:15], s[0:1], 0x58
	s_load_dword s44, s[28:29], 0x4
	s_load_dwordx4 s[8:11], s[0:1], 0x80
	v_and_b32_e32 v1, 63, v0
	v_mov_b32_e32 v37, s21
	v_mov_b32_e32 v42, s20
	;; [unrolled: 1-line block ×5, first 2 shown]
                                        ; implicit-def: $vgpr22_vgpr23
                                        ; implicit-def: $vgpr18_vgpr19
                                        ; implicit-def: $vgpr26_vgpr27
                                        ; implicit-def: $vgpr30_vgpr31
                                        ; implicit-def: $vgpr6_vgpr7
                                        ; implicit-def: $vgpr2_vgpr3
                                        ; implicit-def: $vgpr10_vgpr11
                                        ; implicit-def: $vgpr14_vgpr15
	s_xor_b64 exec, exec, s[30:31]
	s_cbranch_execz .LBB1291_13
; %bb.8:
	s_load_dwordx2 s[20:21], s[0:1], 0x20
	s_load_dword s22, s[0:1], 0x38
	s_add_i32 s23, s3, 15
	s_ashr_i32 s25, s23, 31
	s_lshr_b32 s25, s25, 28
	v_add_u32_e32 v42, s5, v0
	s_add_i32 s23, s23, s25
	v_ashrrev_i32_e32 v2, 31, v42
	s_ashr_i32 s23, s23, 4
	v_lshrrev_b32_e32 v2, 28, v2
	s_add_i32 s25, s23, -1
	s_waitcnt lgkmcnt(0)
	s_mul_i32 s36, s2, s22
	s_mov_b32 s37, 0
	v_add_u32_e32 v2, v42, v2
	s_lshl_b64 s[22:23], s[36:37], 2
	v_ashrrev_i32_e32 v2, 4, v2
	v_mov_b32_e32 v3, s25
	v_cmp_gt_i32_e32 vcc, s3, v42
	s_add_u32 s20, s20, s22
	s_addc_u32 s21, s21, s23
	v_cndmask_b32_e32 v2, v3, v2, vcc
	v_ashrrev_i32_e32 v3, 31, v2
	v_lshl_add_u64 v[8:9], v[2:3], 2, s[20:21]
	v_ashrrev_i32_e32 v2, 31, v4
	v_lshrrev_b32_e32 v2, 28, v2
	v_add_u32_e32 v2, v4, v2
	v_ashrrev_i32_e32 v4, 4, v2
	v_min_i32_e32 v2, s25, v4
	v_ashrrev_i32_e32 v3, 31, v2
	v_lshl_add_u64 v[10:11], v[2:3], 2, s[20:21]
	v_add_u32_e32 v2, 1, v4
	v_min_i32_e32 v2, s25, v2
	v_ashrrev_i32_e32 v3, 31, v2
	v_lshl_add_u64 v[12:13], v[2:3], 2, s[20:21]
	v_add_u32_e32 v2, 2, v4
	;; [unrolled: 4-line block ×3, first 2 shown]
	v_min_i32_e32 v2, s25, v2
	v_ashrrev_i32_e32 v3, 31, v2
	v_lshl_add_u64 v[16:17], v[2:3], 2, s[20:21]
	global_load_dword v6, v[8:9], off
	global_load_dword v2, v[10:11], off
	;; [unrolled: 1-line block ×5, first 2 shown]
	s_load_dwordx2 s[40:41], s[0:1], 0x40
	s_load_dwordx4 s[20:23], s[0:1], 0x0
	s_load_dwordx2 s[38:39], s[0:1], 0x10
	s_andn2_b64 vcc, exec, s[18:19]
	s_cbranch_vccnz .LBB1291_10
; %bb.9:
	s_add_u32 s16, s16, s42
	s_addc_u32 s17, s17, s43
	s_load_dword s36, s[16:17], 0x0
	s_waitcnt lgkmcnt(0)
	s_mov_b64 s[34:35], s[36:37]
.LBB1291_10:
	s_load_dwordx4 s[16:19], s[0:1], 0x48
	s_load_dword s5, s[0:1], 0x1c
	v_lshlrev_b32_e32 v14, 2, v1
	v_mov_b32_e32 v19, 0
	v_and_b32_e32 v14, 0xf0, v14
	s_waitcnt lgkmcnt(0)
	s_ashr_i32 s1, s16, 31
	s_mul_hi_u32 s19, s34, s16
	s_mul_i32 s1, s34, s1
	s_mul_i32 s25, s35, s16
	s_add_i32 s1, s19, s1
	s_mul_i32 s0, s34, s16
	s_add_i32 s1, s1, s25
	s_lshl_b64 s[0:1], s[0:1], 1
	s_add_u32 s16, s20, s0
	s_addc_u32 s19, s21, s1
	s_lshl_b32 s36, s4, 9
	s_lshl_b64 s[0:1], s[36:37], 1
	s_add_u32 s0, s16, s0
	s_addc_u32 s1, s19, s1
	s_mul_i32 s4, s4, s18
	s_add_u32 s18, s4, s22
	s_addc_u32 s19, 0, s23
	v_mov_b64_e32 v[8:9], s[18:19]
	s_waitcnt vmcnt(4)
	v_mad_i64_i32 v[6:7], s[18:19], v6, s17, v[8:9]
	v_lshlrev_b32_e32 v8, 4, v0
	v_and_b32_e32 v18, 0xf0, v8
	v_lshl_add_u64 v[20:21], v[6:7], 0, v[18:19]
	v_lshl_or_b32 v14, v41, 8, v14
	global_load_dwordx4 v[6:9], v[20:21], off
	global_load_dwordx4 v[10:13], v[20:21], off offset:256
	global_load_dwordx4 v[44:47], v14, s[0:1]
	v_mov_b32_e32 v39, v19
	v_lshl_add_u64 v[14:15], v[38:39], 2, s[40:41]
	global_load_dword v39, v[14:15], off
	s_waitcnt vmcnt(7)
	v_mul_hi_i32 v14, v2, s17
	v_ashrrev_i32_e32 v32, 31, v14
	global_load_dwordx4 v[14:17], v[20:21], off offset:512
	s_waitcnt vmcnt(6)
	v_mul_hi_i32 v22, v4, s17
	s_waitcnt vmcnt(5)
	v_mul_hi_i32 v24, v5, s17
	v_ashrrev_i32_e32 v26, 31, v22
	v_ashrrev_i32_e32 v28, 31, v24
	v_lshrrev_b32_e32 v24, 29, v26
	v_lshrrev_b32_e32 v26, 29, v28
	global_load_dwordx4 v[28:31], v[20:21], off offset:768
	global_load_dwordx4 v[48:51], v[20:21], off offset:1024
	global_load_dwordx4 v[52:55], v[20:21], off offset:1280
	global_load_dwordx4 v[56:59], v[20:21], off offset:1536
	global_load_dwordx4 v[34:37], v[20:21], off offset:1792
	v_mul_hi_i32 v18, v3, s17
	v_ashrrev_i32_e32 v18, 31, v18
	v_mov_b32_e32 v23, v19
	v_mov_b32_e32 v25, v19
	;; [unrolled: 1-line block ×3, first 2 shown]
	v_lshrrev_b32_e32 v22, 29, v18
	v_mad_i64_i32 v[22:23], s[18:19], v3, s17, v[22:23]
	v_mad_i64_i32 v[24:25], s[18:19], v4, s17, v[24:25]
	;; [unrolled: 1-line block ×3, first 2 shown]
	v_lshrrev_b32_e32 v18, 29, v32
	s_add_u32 s18, s38, s4
	v_mad_i64_i32 v[2:3], s[16:17], v2, s17, v[18:19]
	v_and_b32_e32 v22, -8, v22
	v_and_b32_e32 v24, -8, v24
	v_and_b32_e32 v4, -8, v4
	s_addc_u32 s19, s39, 0
	v_and_b32_e32 v2, -8, v2
	v_lshl_add_u64 v[22:23], s[18:19], 0, v[22:23]
	v_lshl_add_u64 v[24:25], s[18:19], 0, v[24:25]
	;; [unrolled: 1-line block ×3, first 2 shown]
	v_lshlrev_b32_e32 v18, 4, v1
	v_lshl_add_u64 v[2:3], s[18:19], 0, v[2:3]
	v_lshl_add_u64 v[26:27], v[22:23], 0, v[18:19]
	;; [unrolled: 1-line block ×5, first 2 shown]
	s_mov_b32 s0, 0x7060302
	v_cmp_eq_u32_e32 vcc, 0, v41
	s_waitcnt vmcnt(9)
	v_cvt_pk_f32_fp8_e32 v[4:5], v6
	v_cvt_pk_f32_fp8_sdwa v[18:19], v6 src0_sel:WORD_1
	v_cvt_pk_f32_fp8_e32 v[20:21], v7
	v_cvt_pk_f32_fp8_sdwa v[62:63], v7 src0_sel:WORD_1
	;; [unrolled: 2-line block ×3, first 2 shown]
	v_perm_b32 v4, v5, v4, s0
	v_perm_b32 v5, v19, v18, s0
	v_cvt_pk_f32_fp8_e32 v[68:69], v9
	v_cvt_pk_f32_fp8_sdwa v[70:71], v9 src0_sel:WORD_1
	s_waitcnt vmcnt(7)
	v_mfma_f32_4x4x4_16b_bf16 a[0:3], v[44:45], v[4:5], 0 cbsz:4
	global_load_dwordx4 v[22:25], v[2:3], off
	global_load_dwordx4 v[6:9], v[2:3], off offset:1024
	v_perm_b32 v2, v21, v20, s0
	v_perm_b32 v3, v63, v62, s0
	v_cvt_pk_f32_fp8_e32 v[72:73], v10
	v_cvt_pk_f32_fp8_sdwa v[74:75], v10 src0_sel:WORD_1
	v_mfma_f32_4x4x4_16b_bf16 a[0:3], v[46:47], v[2:3], a[0:3] cbsz:4
	v_perm_b32 v18, v65, v64, s0
	v_perm_b32 v19, v67, v66, s0
	v_cvt_pk_f32_fp8_e32 v[76:77], v11
	v_cvt_pk_f32_fp8_sdwa v[10:11], v11 src0_sel:WORD_1
	v_mfma_f32_4x4x4_16b_bf16 a[0:3], v[44:45], v[18:19], a[0:3] cbsz:4 abid:1
	v_perm_b32 v20, v69, v68, s0
	v_perm_b32 v21, v71, v70, s0
	v_cvt_pk_f32_fp8_e32 v[78:79], v12
	v_cvt_pk_f32_fp8_sdwa v[80:81], v12 src0_sel:WORD_1
	v_mfma_f32_4x4x4_16b_bf16 a[0:3], v[46:47], v[20:21], a[0:3] cbsz:4 abid:1
	;; [unrolled: 5-line block ×3, first 2 shown]
	v_perm_b32 v4, v77, v76, s0
	v_perm_b32 v5, v11, v10, s0
	;; [unrolled: 1-line block ×4, first 2 shown]
	v_mfma_f32_4x4x4_16b_bf16 a[0:3], v[46:47], v[4:5], a[0:3] cbsz:4 abid:2
	global_load_dwordx4 v[18:21], v[26:27], off
	global_load_dwordx4 v[2:5], v[26:27], off offset:1024
	v_mfma_f32_4x4x4_16b_bf16 a[0:3], v[44:45], v[10:11], a[0:3] cbsz:4 abid:3
	v_perm_b32 v26, v83, v82, s0
	v_perm_b32 v27, v13, v12, s0
	s_waitcnt vmcnt(9)
	v_cvt_pk_f32_fp8_e32 v[10:11], v14
	v_cvt_pk_f32_fp8_sdwa v[12:13], v14 src0_sel:WORD_1
	v_mfma_f32_4x4x4_16b_bf16 a[0:3], v[46:47], v[26:27], a[0:3] cbsz:4 abid:3
	v_cvt_pk_f32_fp8_e32 v[26:27], v15
	v_cvt_pk_f32_fp8_sdwa v[14:15], v15 src0_sel:WORD_1
	v_perm_b32 v10, v11, v10, s0
	v_perm_b32 v11, v13, v12, s0
	;; [unrolled: 1-line block ×4, first 2 shown]
	v_mfma_f32_4x4x4_16b_bf16 a[0:3], v[44:45], v[10:11], a[0:3] cbsz:4 abid:4
	v_cvt_pk_f32_fp8_e32 v[10:11], v16
	v_cvt_pk_f32_fp8_sdwa v[14:15], v16 src0_sel:WORD_1
	v_mfma_f32_4x4x4_16b_bf16 a[0:3], v[46:47], v[12:13], a[0:3] cbsz:4 abid:4
	v_cvt_pk_f32_fp8_e32 v[12:13], v17
	v_perm_b32 v10, v11, v10, s0
	v_perm_b32 v11, v15, v14, s0
	v_cvt_pk_f32_fp8_sdwa v[14:15], v17 src0_sel:WORD_1
	s_waitcnt vmcnt(8)
	v_cvt_pk_f32_fp8_sdwa v[16:17], v28 src0_sel:WORD_1
	v_mfma_f32_4x4x4_16b_bf16 a[0:3], v[44:45], v[10:11], a[0:3] cbsz:4 abid:5
	v_cvt_pk_f32_fp8_e32 v[10:11], v28
	v_perm_b32 v12, v13, v12, s0
	v_perm_b32 v13, v15, v14, s0
	;; [unrolled: 1-line block ×3, first 2 shown]
	v_cvt_pk_f32_fp8_e32 v[16:17], v29
	v_cvt_pk_f32_fp8_sdwa v[62:63], v29 src0_sel:WORD_1
	v_mfma_f32_4x4x4_16b_bf16 a[0:3], v[46:47], v[12:13], a[0:3] cbsz:4 abid:5
	v_perm_b32 v14, v11, v10, s0
	v_perm_b32 v16, v17, v16, s0
	;; [unrolled: 1-line block ×3, first 2 shown]
	v_mfma_f32_4x4x4_16b_bf16 a[0:3], v[44:45], v[14:15], a[0:3] cbsz:4 abid:6
	v_cvt_pk_f32_fp8_e32 v[14:15], v30
	global_load_dwordx4 v[26:29], v[32:33], off
	global_load_dwordx4 v[10:13], v[32:33], off offset:1024
	v_mfma_f32_4x4x4_16b_bf16 a[0:3], v[46:47], v[16:17], a[0:3] cbsz:4 abid:6
	v_cvt_pk_f32_fp8_sdwa v[16:17], v30 src0_sel:WORD_1
	v_cvt_pk_f32_fp8_e32 v[32:33], v31
	v_cvt_pk_f32_fp8_sdwa v[30:31], v31 src0_sel:WORD_1
	v_perm_b32 v14, v15, v14, s0
	v_perm_b32 v15, v17, v16, s0
	;; [unrolled: 1-line block ×4, first 2 shown]
	v_mfma_f32_4x4x4_16b_bf16 a[0:3], v[44:45], v[14:15], a[0:3] cbsz:4 abid:7
	s_waitcnt vmcnt(9)
	v_cvt_pk_f32_fp8_e32 v[14:15], v48
	v_cvt_pk_f32_fp8_e32 v[30:31], v49
	v_mfma_f32_4x4x4_16b_bf16 a[0:3], v[46:47], v[16:17], a[0:3] cbsz:4 abid:7
	v_cvt_pk_f32_fp8_sdwa v[16:17], v48 src0_sel:WORD_1
	v_cvt_pk_f32_fp8_sdwa v[32:33], v49 src0_sel:WORD_1
	v_perm_b32 v14, v15, v14, s0
	v_cvt_pk_f32_fp8_e32 v[48:49], v50
	v_perm_b32 v15, v17, v16, s0
	v_cvt_pk_f32_fp8_sdwa v[62:63], v50 src0_sel:WORD_1
	v_cvt_pk_f32_fp8_e32 v[64:65], v51
	v_mfma_f32_4x4x4_16b_bf16 a[0:3], v[44:45], v[14:15], a[0:3] cbsz:4 abid:8
	v_cvt_pk_f32_fp8_sdwa v[50:51], v51 src0_sel:WORD_1
	v_perm_b32 v16, v31, v30, s0
	v_perm_b32 v17, v33, v32, s0
	v_perm_b32 v48, v49, v48, s0
	v_perm_b32 v49, v63, v62, s0
	v_mfma_f32_4x4x4_16b_bf16 a[0:3], v[46:47], v[16:17], a[0:3] cbsz:4 abid:8
	global_load_dwordx4 v[30:33], v[60:61], off
	global_load_dwordx4 v[14:17], v[60:61], off offset:1024
	v_perm_b32 v61, v51, v50, s0
	v_mfma_f32_4x4x4_16b_bf16 a[0:3], v[44:45], v[48:49], a[0:3] cbsz:4 abid:9
	s_waitcnt vmcnt(10)
	v_cvt_pk_f32_fp8_e32 v[48:49], v52
	v_cvt_pk_f32_fp8_sdwa v[50:51], v52 src0_sel:WORD_1
	v_perm_b32 v60, v65, v64, s0
	v_perm_b32 v48, v49, v48, s0
	s_nop 0
	v_mfma_f32_4x4x4_16b_bf16 a[0:3], v[46:47], v[60:61], a[0:3] cbsz:4 abid:9
	v_cvt_pk_f32_fp8_e32 v[60:61], v53
	v_cvt_pk_f32_fp8_sdwa v[52:53], v53 src0_sel:WORD_1
	v_perm_b32 v49, v51, v50, s0
	v_perm_b32 v50, v61, v60, s0
	s_nop 0
	v_mfma_f32_4x4x4_16b_bf16 a[0:3], v[44:45], v[48:49], a[0:3] cbsz:4 abid:10
	v_perm_b32 v51, v53, v52, s0
	v_cvt_pk_f32_fp8_e32 v[48:49], v54
	v_cvt_pk_f32_fp8_e32 v[52:53], v55
	v_mfma_f32_4x4x4_16b_bf16 a[0:3], v[46:47], v[50:51], a[0:3] cbsz:4 abid:10
	v_cvt_pk_f32_fp8_sdwa v[50:51], v54 src0_sel:WORD_1
	v_cvt_pk_f32_fp8_sdwa v[54:55], v55 src0_sel:WORD_1
	v_perm_b32 v48, v49, v48, s0
	v_perm_b32 v49, v51, v50, s0
	;; [unrolled: 1-line block ×3, first 2 shown]
	s_nop 0
	v_mfma_f32_4x4x4_16b_bf16 a[0:3], v[44:45], v[48:49], a[0:3] cbsz:4 abid:11
	v_perm_b32 v51, v55, v54, s0
	s_waitcnt vmcnt(9)
	v_cvt_pk_f32_fp8_e32 v[48:49], v56
	v_cvt_pk_f32_fp8_e32 v[52:53], v57
	v_mfma_f32_4x4x4_16b_bf16 a[0:3], v[46:47], v[50:51], a[0:3] cbsz:4 abid:11
	v_cvt_pk_f32_fp8_sdwa v[50:51], v56 src0_sel:WORD_1
	v_cvt_pk_f32_fp8_sdwa v[54:55], v57 src0_sel:WORD_1
	v_perm_b32 v48, v49, v48, s0
	v_perm_b32 v49, v51, v50, s0
	;; [unrolled: 1-line block ×3, first 2 shown]
	s_nop 0
	v_mfma_f32_4x4x4_16b_bf16 a[0:3], v[44:45], v[48:49], a[0:3] cbsz:4 abid:12
	v_perm_b32 v51, v55, v54, s0
	v_cvt_pk_f32_fp8_e32 v[48:49], v58
	v_cvt_pk_f32_fp8_e32 v[52:53], v59
	v_mfma_f32_4x4x4_16b_bf16 a[0:3], v[46:47], v[50:51], a[0:3] cbsz:4 abid:12
	v_cvt_pk_f32_fp8_sdwa v[50:51], v58 src0_sel:WORD_1
	v_cvt_pk_f32_fp8_sdwa v[54:55], v59 src0_sel:WORD_1
	v_perm_b32 v48, v49, v48, s0
	v_perm_b32 v49, v51, v50, s0
	;; [unrolled: 1-line block ×3, first 2 shown]
	s_nop 0
	v_mfma_f32_4x4x4_16b_bf16 a[0:3], v[44:45], v[48:49], a[0:3] cbsz:4 abid:13
	s_waitcnt vmcnt(8)
	v_cvt_pk_f32_fp8_e32 v[48:49], v34
	v_perm_b32 v51, v55, v54, s0
	v_cvt_pk_f32_fp8_e32 v[52:53], v35
	s_nop 0
	v_mfma_f32_4x4x4_16b_bf16 a[0:3], v[46:47], v[50:51], a[0:3] cbsz:4 abid:13
	v_cvt_pk_f32_fp8_sdwa v[50:51], v34 src0_sel:WORD_1
	v_perm_b32 v34, v49, v48, s0
	v_cvt_pk_f32_fp8_sdwa v[48:49], v35 src0_sel:WORD_1
	v_perm_b32 v35, v51, v50, s0
	v_perm_b32 v50, v53, v52, s0
	s_nop 0
	v_mfma_f32_4x4x4_16b_bf16 a[0:3], v[44:45], v[34:35], a[0:3] cbsz:4 abid:14
	v_perm_b32 v51, v49, v48, s0
	v_cvt_pk_f32_fp8_e32 v[34:35], v36
	v_cvt_pk_f32_fp8_sdwa v[48:49], v36 src0_sel:WORD_1
	v_mfma_f32_4x4x4_16b_bf16 a[0:3], v[46:47], v[50:51], a[0:3] cbsz:4 abid:14
	v_cvt_pk_f32_fp8_e32 v[50:51], v37
	v_cvt_pk_f32_fp8_sdwa v[36:37], v37 src0_sel:WORD_1
	v_perm_b32 v34, v35, v34, s0
	v_perm_b32 v35, v49, v48, s0
	;; [unrolled: 1-line block ×4, first 2 shown]
	v_mfma_f32_4x4x4_16b_bf16 a[0:3], v[44:45], v[34:35], a[0:3] cbsz:4 abid:15
	s_load_dword s0, s[8:9], 0x0
	v_mov_b32_e32 v34, s5
	v_mfma_f32_4x4x4_16b_bf16 a[0:3], v[46:47], v[48:49], a[0:3] cbsz:4 abid:15
	s_waitcnt lgkmcnt(0)
	v_mul_f32_e32 v36, s0, v34
	s_nop 2
	v_accvgpr_read_b32 v45, a1
	v_accvgpr_read_b32 v44, a0
	v_pk_mul_f32 v[44:45], v[44:45], v[36:37] op_sel_hi:[1,0]
	v_accvgpr_read_b32 v35, a3
	v_accvgpr_read_b32 v34, a2
	v_pk_mul_f32 v[34:35], v[34:35], v[36:37] op_sel_hi:[1,0]
	v_cndmask_b32_e64 v36, 0, 1.0, vcc
	v_cmp_eq_u32_e32 vcc, 1, v41
	s_nop 0
	v_mfma_f32_4x4x1_16b_f32 a[0:3], v44, v36, 0
	v_cndmask_b32_e64 v36, 0, 1.0, vcc
	v_cmp_eq_u32_e32 vcc, 2, v41
	s_nop 0
	v_mfma_f32_4x4x1_16b_f32 a[0:3], v45, v36, a[0:3]
	v_cndmask_b32_e64 v36, 0, 1.0, vcc
	v_cmp_eq_u32_e32 vcc, 3, v41
	v_mov_b32_e32 v45, 0xff7fffff
	v_mfma_f32_4x4x1_16b_f32 a[0:3], v34, v36, a[0:3]
	v_cndmask_b32_e64 v34, 0, 1.0, vcc
	s_nop 1
	v_mfma_f32_4x4x1_16b_f32 a[0:3], v35, v34, a[0:3]
	v_and_b32_e32 v34, -4, v42
	v_subrev_u32_e32 v35, s3, v34
	v_add_u32_e32 v36, 1, v35
	v_cvt_f32_i32_e32 v36, v36
	v_add_u32_e32 v37, 2, v35
	v_cvt_f32_i32_e32 v37, v37
	v_accvgpr_read_b32 v43, a0
	v_fma_f32 v36, v39, v36, v43
	v_accvgpr_read_b32 v43, a1
	v_fma_f32 v37, v39, v37, v43
	v_add_u32_e32 v43, 3, v35
	v_cvt_f32_i32_e32 v43, v43
	v_add_u32_e32 v35, 4, v35
	v_cvt_f32_i32_e32 v35, v35
	v_accvgpr_read_b32 v44, a2
	v_fma_f32 v43, v39, v43, v44
	v_accvgpr_read_b32 v44, a3
	v_fmac_f32_e32 v44, v39, v35
	v_max_f32_e32 v39, 0xff7fffff, v36
	v_cmp_gt_i32_e32 vcc, s3, v34
	v_lshlrev_b32_e32 v35, 2, v0
	v_and_or_b32 v35, v35, 48, v41
	v_cndmask_b32_e32 v39, v45, v39, vcc
	v_or_b32_e32 v45, 1, v34
	v_max_f32_e32 v46, v39, v37
	v_cmp_gt_i32_e64 s[0:1], s3, v45
	v_or_b32_e32 v34, 2, v34
	v_cmp_gt_i32_e64 s[4:5], s3, v34
	v_cndmask_b32_e64 v39, v39, v46, s[0:1]
	v_max_f32_e32 v45, v39, v43
	v_cndmask_b32_e64 v34, v39, v45, s[4:5]
	v_or_b32_e32 v39, 3, v42
	v_max_f32_e32 v42, v34, v44
	v_cmp_gt_i32_e64 s[8:9], s3, v39
	v_lshlrev_b32_e32 v39, 2, v35
	s_nop 0
	v_cndmask_b32_e64 v34, v34, v42, s[8:9]
	;;#ASMSTART
	v_nop
 v_nop
 v_max_f32_dpp v34, v34, v34 row_ror:4
	;;#ASMEND
	s_nop 0
	;;#ASMSTART
	v_nop
 v_nop
 v_max_f32_dpp v34, v34, v34 row_ror:8
	;;#ASMEND
	ds_bpermute_b32 v34, v39, v34
	s_waitcnt lgkmcnt(0)
	;;#ASMSTART
	v_nop
 v_nop
 v_max_f32_dpp v34, v34, v34 row_ror:4
	;;#ASMEND
	s_nop 0
	;;#ASMSTART
	v_nop
 v_nop
 v_max_f32_dpp v42, v34, v34 row_ror:8
	;;#ASMEND
	s_nop 0
	v_sub_f32_e32 v34, v36, v42
	v_mul_f32_e32 v34, 0x3fb8aa3b, v34
	v_sub_f32_e32 v35, v37, v42
	v_exp_f32_e32 v34, v34
	v_mul_f32_e32 v35, 0x3fb8aa3b, v35
	v_sub_f32_e32 v37, v43, v42
	v_exp_f32_e32 v35, v35
	;; [unrolled: 3-line block ×3, first 2 shown]
	v_mul_f32_e32 v43, 0x3fb8aa3b, v43
	v_exp_f32_e32 v43, v43
	v_cndmask_b32_e32 v34, 0, v34, vcc
	v_add_f32_e32 v36, 0, v34
	v_cndmask_b32_e64 v35, 0, v35, s[0:1]
	v_add_f32_e32 v44, v36, v35
	v_cndmask_b32_e64 v36, 0, v37, s[4:5]
	;; [unrolled: 2-line block ×3, first 2 shown]
	v_add_f32_e32 v43, v44, v37
	;;#ASMSTART
	v_nop
 v_nop
 v_add_f32_dpp v43, v43, v43 row_ror:4
	;;#ASMEND
	v_cmp_gt_u32_e32 vcc, 4, v1
	;;#ASMSTART
	v_nop
 v_nop
 v_add_f32_dpp v43, v43, v43 row_ror:8
	;;#ASMEND
	ds_bpermute_b32 v39, v39, v43
	s_waitcnt lgkmcnt(0)
	;;#ASMSTART
	v_nop
 v_nop
 v_add_f32_dpp v39, v39, v39 row_ror:4
	;;#ASMEND
	s_nop 0
	;;#ASMSTART
	v_nop
 v_nop
 v_add_f32_dpp v39, v39, v39 row_ror:8
	;;#ASMEND
	s_and_saveexec_b64 s[0:1], vcc
	s_cbranch_execz .LBB1291_12
; %bb.11:
	v_mul_u32_u24_e32 v43, 20, v40
	v_lshl_add_u32 v43, v41, 2, v43
	v_add_u32_e32 v43, 0x1400, v43
	ds_write2_b32 v43, v42, v39 offset1:20
.LBB1291_12:
	s_or_b64 exec, exec, s[0:1]
.LBB1291_13:
	s_or_b64 exec, exec, s[30:31]
	v_lshlrev_b32_e32 v39, 2, v41
	v_add_u32_e32 v39, 0x1400, v39
	s_waitcnt lgkmcnt(0)
	s_barrier
	s_load_dword s0, s[28:29], 0x8
	ds_read2_b32 v[44:45], v39 offset1:5
	ds_read2_b32 v[46:47], v39 offset0:10 offset1:15
	s_mov_b32 s4, 0xff7fffff
	s_mul_i32 s1, s2, s44
	ds_read2_b32 v[48:49], v39 offset0:20 offset1:25
	s_waitcnt lgkmcnt(0)
	v_max3_f32 v41, v44, s4, v45
	s_mul_i32 s1, s1, s0
	v_max3_f32 v41, v41, v46, v47
	s_lshl_b32 s0, s1, 2
	s_mov_b32 s1, 0
	v_sub_f32_e32 v43, v44, v41
	v_sub_f32_e32 v44, v45, v41
	s_lshl_b64 s[2:3], s[0:1], 2
	v_mul_f32_e32 v43, 0x3fb8aa3b, v43
	v_mul_f32_e32 v44, 0x3fb8aa3b, v44
	s_add_u32 s8, s12, s2
	v_exp_f32_e32 v43, v43
	v_exp_f32_e32 v50, v44
	ds_read2_b32 v[44:45], v39 offset0:30 offset1:35
	v_sub_f32_e32 v39, v46, v41
	s_addc_u32 s9, s13, s3
	v_mul_f32_e32 v39, 0x3fb8aa3b, v39
	v_sub_f32_e32 v46, v47, v41
	s_mov_b32 s25, s1
	s_add_u32 s4, s14, s2
	v_exp_f32_e32 v39, v39
	v_mul_f32_e32 v46, 0x3fb8aa3b, v46
	s_addc_u32 s5, s15, s3
	s_lshl_b64 s[2:3], s[24:25], 2
	v_exp_f32_e32 v46, v46
	s_add_u32 s4, s4, s2
	v_fma_f32 v43, v43, v48, 0
	s_addc_u32 s5, s5, s3
	v_fmac_f32_e32 v43, v50, v49
	s_waitcnt lgkmcnt(0)
	v_fmac_f32_e32 v43, v39, v44
	s_add_u32 s2, s8, s2
	v_mul_lo_u32 v38, s44, v38
	v_mov_b32_e32 v39, 0
	v_fmac_f32_e32 v43, v46, v45
	s_addc_u32 s3, s9, s3
	v_lshlrev_b64 v[44:45], 2, v[38:39]
	v_lshl_add_u64 v[46:47], s[4:5], 0, v[44:45]
	v_lshl_add_u64 v[44:45], s[2:3], 0, v[44:45]
	v_lshlrev_b32_e32 v40, 3, v40
	global_store_dword v[46:47], v41, off
	global_store_dword v[44:45], v43, off
	s_and_saveexec_b64 s[2:3], s[6:7]
	s_xor_b64 s[2:3], exec, s[2:3]
	s_cbranch_execz .LBB1291_15
; %bb.14:
	s_waitcnt vmcnt(6)
	v_mad_u32_u24 v2, v1, 40, v40
	v_mov_b32_e32 v38, v39
	ds_write_b64 v2, v[38:39]
                                        ; implicit-def: $vgpr37
                                        ; implicit-def: $vgpr35
                                        ; implicit-def: $vgpr42
                                        ; implicit-def: $vgpr22_vgpr23
                                        ; implicit-def: $vgpr18_vgpr19
                                        ; implicit-def: $vgpr26_vgpr27
                                        ; implicit-def: $vgpr30_vgpr31
                                        ; implicit-def: $vgpr6_vgpr7
                                        ; implicit-def: $vgpr2_vgpr3
                                        ; implicit-def: $vgpr10_vgpr11
                                        ; implicit-def: $vgpr14_vgpr15
                                        ; implicit-def: $vgpr41
                                        ; implicit-def: $vgpr43
.LBB1291_15:
	s_or_saveexec_b64 s[2:3], s[2:3]
	v_mov_b32_e32 v38, s1
	v_mov_b32_e32 v39, s1
	s_xor_b64 exec, exec, s[2:3]
	s_cbranch_execz .LBB1291_17
; %bb.16:
	v_add_f32_e32 v38, 0x358637bd, v43
	v_div_scale_f32 v39, s[4:5], v38, v38, 1.0
	v_rcp_f32_e32 v43, v39
	v_sub_f32_e32 v41, v42, v41
	v_mul_f32_e32 v41, 0x3fb8aa3b, v41
	v_exp_f32_e32 v41, v41
	v_fma_f32 v42, -v39, v43, 1.0
	v_fmac_f32_e32 v43, v42, v43
	v_div_scale_f32 v42, vcc, 1.0, v38, 1.0
	v_mul_f32_e32 v44, v42, v43
	v_fma_f32 v45, -v39, v44, v42
	v_fmac_f32_e32 v44, v45, v43
	v_fma_f32 v39, -v39, v44, v42
	v_div_fmas_f32 v39, v39, v43, v44
	v_div_fixup_f32 v38, v39, v38, 1.0
	v_mul_f32_e32 v38, v41, v38
	v_pk_mul_f32 v[34:35], v[34:35], v[38:39] op_sel_hi:[1,0]
	v_pk_mul_f32 v[36:37], v[36:37], v[38:39] op_sel_hi:[1,0]
	v_bfe_u32 v38, v35, 16, 1
	v_bfe_u32 v39, v34, 16, 1
	s_movk_i32 s1, 0x7fff
	v_add3_u32 v34, v34, v39, s1
	v_add3_u32 v35, v35, v38, s1
	s_mov_b32 s5, 0x7060302
	v_perm_b32 v34, v35, v34, s5
	v_bfe_u32 v35, v37, 16, 1
	v_bfe_u32 v38, v36, 16, 1
	v_add3_u32 v36, v36, v38, s1
	v_add3_u32 v35, v37, v35, s1
	v_perm_b32 v35, v35, v36, s5
	s_waitcnt vmcnt(9)
	v_cvt_pk_f32_fp8_e32 v[36:37], v22
	v_cvt_pk_f32_fp8_sdwa v[38:39], v22 src0_sel:WORD_1
	v_cvt_pk_f32_fp8_e32 v[42:43], v23
	v_cvt_pk_f32_fp8_sdwa v[22:23], v23 src0_sel:WORD_1
	v_perm_b32 v36, v37, v36, s5
	v_perm_b32 v37, v39, v38, s5
	;; [unrolled: 1-line block ×4, first 2 shown]
	v_mfma_f32_4x4x4_16b_bf16 a[0:3], v[34:35], v[36:37], 0 cbsz:4
	v_cvt_pk_f32_fp8_e32 v[22:23], v24
	v_cvt_pk_f32_fp8_sdwa v[36:37], v24 src0_sel:WORD_1
	v_mfma_f32_4x4x4_16b_bf16 a[0:3], v[34:35], v[38:39], a[0:3] cbsz:4 abid:1
	v_cvt_pk_f32_fp8_e32 v[38:39], v25
	v_cvt_pk_f32_fp8_sdwa v[24:25], v25 src0_sel:WORD_1
	v_perm_b32 v22, v23, v22, s5
	v_perm_b32 v23, v37, v36, s5
	;; [unrolled: 1-line block ×4, first 2 shown]
	v_mfma_f32_4x4x4_16b_bf16 a[0:3], v[34:35], v[22:23], a[0:3] cbsz:4 abid:2
	s_waitcnt vmcnt(7)
	v_cvt_pk_f32_fp8_e32 v[22:23], v18
	v_cvt_pk_f32_fp8_sdwa v[24:25], v18 src0_sel:WORD_1
	v_mfma_f32_4x4x4_16b_bf16 a[0:3], v[34:35], v[36:37], a[0:3] cbsz:4 abid:3
	v_cvt_pk_f32_fp8_e32 v[36:37], v19
	v_cvt_pk_f32_fp8_sdwa v[18:19], v19 src0_sel:WORD_1
	v_perm_b32 v22, v23, v22, s5
	v_perm_b32 v23, v25, v24, s5
	v_perm_b32 v24, v37, v36, s5
	v_perm_b32 v25, v19, v18, s5
	v_mfma_f32_4x4x4_16b_bf16 a[0:3], v[34:35], v[22:23], a[0:3] cbsz:4 abid:4
	v_cvt_pk_f32_fp8_e32 v[18:19], v20
	v_cvt_pk_f32_fp8_sdwa v[22:23], v20 src0_sel:WORD_1
	v_mfma_f32_4x4x4_16b_bf16 a[0:3], v[34:35], v[24:25], a[0:3] cbsz:4 abid:5
	v_cvt_pk_f32_fp8_e32 v[24:25], v21
	v_cvt_pk_f32_fp8_sdwa v[20:21], v21 src0_sel:WORD_1
	v_perm_b32 v18, v19, v18, s5
	v_perm_b32 v19, v23, v22, s5
	;; [unrolled: 1-line block ×4, first 2 shown]
	v_mfma_f32_4x4x4_16b_bf16 a[0:3], v[34:35], v[18:19], a[0:3] cbsz:4 abid:6
	s_waitcnt vmcnt(5)
	v_cvt_pk_f32_fp8_e32 v[18:19], v26
	v_cvt_pk_f32_fp8_sdwa v[20:21], v26 src0_sel:WORD_1
	v_mfma_f32_4x4x4_16b_bf16 a[0:3], v[34:35], v[22:23], a[0:3] cbsz:4 abid:7
	v_cvt_pk_f32_fp8_e32 v[22:23], v27
	v_cvt_pk_f32_fp8_sdwa v[24:25], v27 src0_sel:WORD_1
	v_perm_b32 v18, v19, v18, s5
	v_perm_b32 v19, v21, v20, s5
	;; [unrolled: 1-line block ×4, first 2 shown]
	v_mfma_f32_4x4x4_16b_bf16 a[0:3], v[34:35], v[18:19], a[0:3] cbsz:4 abid:8
	v_cvt_pk_f32_fp8_e32 v[18:19], v28
	v_cvt_pk_f32_fp8_e32 v[22:23], v29
	v_mfma_f32_4x4x4_16b_bf16 a[0:3], v[34:35], v[20:21], a[0:3] cbsz:4 abid:9
	v_cvt_pk_f32_fp8_sdwa v[20:21], v28 src0_sel:WORD_1
	v_cvt_pk_f32_fp8_sdwa v[24:25], v29 src0_sel:WORD_1
	v_perm_b32 v18, v19, v18, s5
	s_load_dword s4, s[10:11], 0x0
	v_perm_b32 v19, v21, v20, s5
	v_perm_b32 v20, v23, v22, s5
	v_perm_b32 v21, v25, v24, s5
	v_mfma_f32_4x4x4_16b_bf16 a[0:3], v[34:35], v[18:19], a[0:3] cbsz:4 abid:10
	s_waitcnt vmcnt(3)
	v_cvt_pk_f32_fp8_e32 v[18:19], v30
	v_cvt_pk_f32_fp8_e32 v[22:23], v31
	v_mfma_f32_4x4x4_16b_bf16 a[0:3], v[34:35], v[20:21], a[0:3] cbsz:4 abid:11
	v_cvt_pk_f32_fp8_sdwa v[20:21], v30 src0_sel:WORD_1
	v_cvt_pk_f32_fp8_sdwa v[24:25], v31 src0_sel:WORD_1
	v_perm_b32 v18, v19, v18, s5
	v_perm_b32 v19, v21, v20, s5
	;; [unrolled: 1-line block ×3, first 2 shown]
	s_nop 0
	v_mfma_f32_4x4x4_16b_bf16 a[0:3], v[34:35], v[18:19], a[0:3] cbsz:4 abid:12
	v_perm_b32 v21, v25, v24, s5
	v_cvt_pk_f32_fp8_e32 v[18:19], v32
	v_cvt_pk_f32_fp8_e32 v[22:23], v33
	v_mfma_f32_4x4x4_16b_bf16 a[0:3], v[34:35], v[20:21], a[0:3] cbsz:4 abid:13
	v_cvt_pk_f32_fp8_sdwa v[20:21], v32 src0_sel:WORD_1
	v_cvt_pk_f32_fp8_sdwa v[24:25], v33 src0_sel:WORD_1
	v_perm_b32 v18, v19, v18, s5
	v_perm_b32 v19, v21, v20, s5
	;; [unrolled: 1-line block ×3, first 2 shown]
	s_nop 0
	v_mfma_f32_4x4x4_16b_bf16 a[0:3], v[34:35], v[18:19], a[0:3] cbsz:4 abid:14
	v_perm_b32 v21, v25, v24, s5
	s_nop 1
	v_mfma_f32_4x4x4_16b_bf16 a[0:3], v[34:35], v[20:21], a[0:3] cbsz:4 abid:15
	s_nop 4
	v_accvgpr_read_b32 v21, a1
	v_accvgpr_read_b32 v20, a0
	s_waitcnt lgkmcnt(0)
	v_pk_mul_f32 v[20:21], v[20:21], s[4:5] op_sel_hi:[1,0]
	v_accvgpr_read_b32 v19, a3
	v_accvgpr_read_b32 v18, a2
	v_bfe_u32 v22, v21, 16, 1
	v_bfe_u32 v23, v20, 16, 1
	v_pk_mul_f32 v[18:19], v[18:19], s[4:5] op_sel_hi:[1,0]
	v_add3_u32 v20, v20, v23, s1
	v_add3_u32 v21, v21, v22, s1
	v_perm_b32 v20, v21, v20, s5
	v_bfe_u32 v21, v19, 16, 1
	v_bfe_u32 v22, v18, 16, 1
	v_add3_u32 v18, v18, v22, s1
	v_add3_u32 v19, v19, v21, s1
	v_perm_b32 v21, v19, v18, s5
	v_mad_u32_u24 v18, v1, 40, v40
	ds_write_b64 v18, v[20:21]
	v_cvt_pk_f32_fp8_e32 v[18:19], v6
	v_cvt_pk_f32_fp8_sdwa v[20:21], v6 src0_sel:WORD_1
	v_cvt_pk_f32_fp8_e32 v[22:23], v7
	v_cvt_pk_f32_fp8_sdwa v[6:7], v7 src0_sel:WORD_1
	v_perm_b32 v18, v19, v18, s5
	v_perm_b32 v19, v21, v20, s5
	;; [unrolled: 1-line block ×4, first 2 shown]
	v_mfma_f32_4x4x4_16b_bf16 a[0:3], v[34:35], v[18:19], 0 cbsz:4
	v_cvt_pk_f32_fp8_e32 v[6:7], v8
	v_cvt_pk_f32_fp8_sdwa v[18:19], v8 src0_sel:WORD_1
	v_mfma_f32_4x4x4_16b_bf16 a[0:3], v[34:35], v[20:21], a[0:3] cbsz:4 abid:1
	v_cvt_pk_f32_fp8_e32 v[20:21], v9
	v_cvt_pk_f32_fp8_sdwa v[8:9], v9 src0_sel:WORD_1
	v_perm_b32 v6, v7, v6, s5
	v_perm_b32 v7, v19, v18, s5
	v_perm_b32 v18, v21, v20, s5
	v_perm_b32 v19, v9, v8, s5
	v_mfma_f32_4x4x4_16b_bf16 a[0:3], v[34:35], v[6:7], a[0:3] cbsz:4 abid:2
	v_cvt_pk_f32_fp8_e32 v[6:7], v2
	v_cvt_pk_f32_fp8_sdwa v[8:9], v2 src0_sel:WORD_1
	v_mfma_f32_4x4x4_16b_bf16 a[0:3], v[34:35], v[18:19], a[0:3] cbsz:4 abid:3
	v_cvt_pk_f32_fp8_e32 v[18:19], v3
	v_cvt_pk_f32_fp8_sdwa v[2:3], v3 src0_sel:WORD_1
	v_perm_b32 v6, v7, v6, s5
	v_perm_b32 v7, v9, v8, s5
	v_perm_b32 v8, v19, v18, s5
	v_perm_b32 v9, v3, v2, s5
	v_mfma_f32_4x4x4_16b_bf16 a[0:3], v[34:35], v[6:7], a[0:3] cbsz:4 abid:4
	;; [unrolled: 10-line block ×4, first 2 shown]
	v_cvt_pk_f32_fp8_e32 v[2:3], v12
	v_cvt_pk_f32_fp8_e32 v[6:7], v13
	v_mfma_f32_4x4x4_16b_bf16 a[0:3], v[34:35], v[4:5], a[0:3] cbsz:4 abid:9
	v_cvt_pk_f32_fp8_sdwa v[4:5], v12 src0_sel:WORD_1
	v_cvt_pk_f32_fp8_sdwa v[8:9], v13 src0_sel:WORD_1
	v_perm_b32 v2, v3, v2, s5
	v_perm_b32 v3, v5, v4, s5
	;; [unrolled: 1-line block ×3, first 2 shown]
	s_nop 0
	v_mfma_f32_4x4x4_16b_bf16 a[0:3], v[34:35], v[2:3], a[0:3] cbsz:4 abid:10
	v_perm_b32 v5, v9, v8, s5
	s_waitcnt vmcnt(2)
	v_cvt_pk_f32_fp8_e32 v[2:3], v14
	v_cvt_pk_f32_fp8_e32 v[6:7], v15
	v_mfma_f32_4x4x4_16b_bf16 a[0:3], v[34:35], v[4:5], a[0:3] cbsz:4 abid:11
	v_cvt_pk_f32_fp8_sdwa v[4:5], v14 src0_sel:WORD_1
	v_cvt_pk_f32_fp8_sdwa v[8:9], v15 src0_sel:WORD_1
	v_perm_b32 v2, v3, v2, s5
	v_perm_b32 v3, v5, v4, s5
	;; [unrolled: 1-line block ×3, first 2 shown]
	s_nop 0
	v_mfma_f32_4x4x4_16b_bf16 a[0:3], v[34:35], v[2:3], a[0:3] cbsz:4 abid:12
	v_perm_b32 v5, v9, v8, s5
	v_cvt_pk_f32_fp8_e32 v[2:3], v16
	v_cvt_pk_f32_fp8_e32 v[6:7], v17
	v_mfma_f32_4x4x4_16b_bf16 a[0:3], v[34:35], v[4:5], a[0:3] cbsz:4 abid:13
	v_cvt_pk_f32_fp8_sdwa v[4:5], v16 src0_sel:WORD_1
	v_cvt_pk_f32_fp8_sdwa v[8:9], v17 src0_sel:WORD_1
	v_perm_b32 v2, v3, v2, s5
	v_perm_b32 v3, v5, v4, s5
	;; [unrolled: 1-line block ×3, first 2 shown]
	s_nop 0
	v_mfma_f32_4x4x4_16b_bf16 a[0:3], v[34:35], v[2:3], a[0:3] cbsz:4 abid:14
	v_perm_b32 v5, v9, v8, s5
	s_nop 1
	v_mfma_f32_4x4x4_16b_bf16 a[0:3], v[34:35], v[4:5], a[0:3] cbsz:4 abid:15
	s_nop 4
	v_accvgpr_read_b32 v5, a1
	v_accvgpr_read_b32 v4, a0
	;; [unrolled: 1-line block ×4, first 2 shown]
	v_pk_mul_f32 v[4:5], v[4:5], s[4:5] op_sel_hi:[1,0]
	v_pk_mul_f32 v[2:3], v[2:3], s[4:5] op_sel_hi:[1,0]
	v_bfe_u32 v6, v5, 16, 1
	v_bfe_u32 v7, v4, 16, 1
	v_add3_u32 v4, v4, v7, s1
	v_add3_u32 v5, v5, v6, s1
	v_bfe_u32 v6, v3, 16, 1
	v_bfe_u32 v7, v2, 16, 1
	v_add3_u32 v2, v2, v7, s1
	v_add3_u32 v3, v3, v6, s1
	v_perm_b32 v39, v3, v2, s5
	v_perm_b32 v38, v5, v4, s5
.LBB1291_17:
	s_or_b64 exec, exec, s[2:3]
	s_waitcnt vmcnt(6)
	v_mad_u32_u24 v2, v1, 40, v40
	v_cmp_gt_u32_e32 vcc, 64, v0
	ds_write_b64 v2, v[38:39] offset:2560
	s_waitcnt lgkmcnt(0)
	s_barrier
	s_and_saveexec_b64 s[2:3], vcc
	s_cbranch_execz .LBB1291_19
; %bb.18:
	v_mul_u32_u24_e32 v6, 40, v1
	ds_read2_b64 v[2:5], v6 offset1:1
	ds_read2_b64 v[6:9], v6 offset0:2 offset1:3
	s_mov_b32 s1, 0
	s_lshl_b32 s0, s0, 7
	s_lshl_b64 s[2:3], s[0:1], 1
	s_waitcnt vmcnt(4) lgkmcnt(1)
	v_lshlrev_b32_e32 v10, 16, v2
	v_and_b32_e32 v2, 0xffff0000, v2
	v_add_f32_e32 v2, 0, v2
	v_lshlrev_b32_e32 v11, 16, v3
	v_and_b32_e32 v3, 0xffff0000, v3
	v_and_b32_e32 v2, 0xffff0000, v2
	v_add_f32_e32 v11, 0, v11
	v_add_f32_e32 v3, 0, v3
	v_lshlrev_b32_e32 v12, 16, v4
	v_and_b32_e32 v4, 0xffff0000, v4
	v_add_f32_e32 v10, 0, v10
	v_and_b32_e32 v11, 0xffff0000, v11
	v_and_b32_e32 v3, 0xffff0000, v3
	v_add_f32_e32 v2, v2, v4
	v_lshlrev_b32_e32 v4, 16, v5
	v_and_b32_e32 v5, 0xffff0000, v5
	v_and_b32_e32 v10, 0xffff0000, v10
	;; [unrolled: 1-line block ×3, first 2 shown]
	v_add_f32_e32 v4, v11, v4
	v_add_f32_e32 v3, v3, v5
	s_waitcnt lgkmcnt(0)
	v_lshlrev_b32_e32 v5, 16, v6
	v_and_b32_e32 v6, 0xffff0000, v6
	v_add_f32_e32 v10, v10, v12
	v_and_b32_e32 v4, 0xffff0000, v4
	v_add_f32_e32 v2, v2, v6
	v_lshlrev_b32_e32 v6, 16, v7
	v_and_b32_e32 v10, 0xffff0000, v10
	v_and_b32_e32 v3, 0xffff0000, v3
	v_add_f32_e32 v4, v4, v6
	v_and_b32_e32 v6, 0xffff0000, v7
	v_add_f32_e32 v5, v10, v5
	v_add_f32_e32 v3, v3, v6
	v_and_b32_e32 v5, 0xffff0000, v5
	v_and_b32_e32 v6, 0xffff0000, v3
	v_lshlrev_b32_e32 v3, 16, v8
	v_and_b32_e32 v2, 0xffff0000, v2
	v_add_f32_e32 v10, v5, v3
	v_and_b32_e32 v3, 0xffff0000, v8
	v_and_b32_e32 v4, 0xffff0000, v4
	v_add_f32_e32 v11, v2, v3
	v_lshlrev_b32_e32 v2, 16, v9
	v_add_f32_e32 v12, v4, v2
	v_mov_b32_e32 v2, 0xa00
	v_mad_u32_u24 v2, v1, 40, v2
	ds_read2_b64 v[2:5], v2 offset1:1
	v_and_b32_e32 v7, 0xffff0000, v9
	v_add_f32_e32 v13, v6, v7
	v_mov_b32_e32 v6, 0xa10
	v_mad_u32_u24 v1, v1, 40, v6
	ds_read2_b64 v[6:9], v1 offset1:1
	s_waitcnt lgkmcnt(1)
	v_lshlrev_b32_e32 v1, 16, v2
	v_and_b32_e32 v2, 0xffff0000, v2
	v_add_f32_e32 v1, 0, v1
	v_add_f32_e32 v2, 0, v2
	s_waitcnt vmcnt(2)
	v_lshlrev_b32_e32 v14, 16, v3
	v_and_b32_e32 v3, 0xffff0000, v3
	v_and_b32_e32 v1, 0xffff0000, v1
	;; [unrolled: 1-line block ×3, first 2 shown]
	v_add_f32_e32 v3, 0, v3
	v_lshlrev_b32_e32 v15, 16, v4
	v_and_b32_e32 v4, 0xffff0000, v4
	v_add_f32_e32 v14, 0, v14
	v_and_b32_e32 v3, 0xffff0000, v3
	v_add_f32_e32 v1, v1, v15
	v_add_f32_e32 v2, v2, v4
	v_lshlrev_b32_e32 v4, 16, v5
	v_and_b32_e32 v5, 0xffff0000, v5
	v_and_b32_e32 v14, 0xffff0000, v14
	;; [unrolled: 1-line block ×3, first 2 shown]
	v_add_f32_e32 v3, v3, v5
	s_waitcnt lgkmcnt(0)
	v_lshlrev_b32_e32 v5, 16, v6
	v_and_b32_e32 v2, 0xffff0000, v2
	v_add_f32_e32 v4, v14, v4
	v_add_f32_e32 v1, v1, v5
	v_and_b32_e32 v5, 0xffff0000, v6
	v_and_b32_e32 v4, 0xffff0000, v4
	v_add_f32_e32 v2, v2, v5
	v_lshlrev_b32_e32 v5, 16, v7
	s_add_u32 s2, s26, s2
	v_and_b32_e32 v3, 0xffff0000, v3
	v_add_f32_e32 v4, v4, v5
	v_and_b32_e32 v5, 0xffff0000, v7
	s_addc_u32 s3, s27, s3
	s_lshl_b32 s0, s24, 7
	v_and_b32_e32 v1, 0xffff0000, v1
	v_add_f32_e32 v3, v3, v5
	v_lshlrev_b32_e32 v5, 16, v8
	s_lshl_b64 s[0:1], s[0:1], 1
	v_and_b32_e32 v2, 0xffff0000, v2
	v_add_f32_e32 v14, v1, v5
	v_and_b32_e32 v1, 0xffff0000, v8
	s_add_u32 s0, s2, s0
	v_and_b32_e32 v4, 0xffff0000, v4
	v_add_f32_e32 v15, v2, v1
	v_lshlrev_b32_e32 v1, 16, v9
	s_addc_u32 s1, s3, s1
	s_lshl_b32 s2, s44, 7
	v_and_b32_e32 v3, 0xffff0000, v3
	v_add_f32_e32 v16, v4, v1
	v_and_b32_e32 v1, 0xffff0000, v9
	s_mul_i32 s3, s2, s33
	v_add_f32_e32 v17, v3, v1
	v_or_b32_e32 v2, s3, v0
	v_mov_b32_e32 v3, 0
	s_add_i32 s3, s3, s2
	v_lshl_add_u64 v[4:5], v[2:3], 1, s[0:1]
	v_or_b32_e32 v2, s3, v0
	s_add_i32 s3, s3, s2
	v_lshl_add_u64 v[6:7], v[2:3], 1, s[0:1]
	v_or_b32_e32 v2, s3, v0
	;; [unrolled: 3-line block ×3, first 2 shown]
	v_lshl_add_u64 v[0:1], v[2:3], 1, s[0:1]
	global_store_short_d16_hi v[4:5], v10, off
	global_store_short_d16_hi v[6:7], v11, off
	;; [unrolled: 1-line block ×4, first 2 shown]
	global_store_short_d16_hi v[4:5], v14, off offset:128
	global_store_short_d16_hi v[6:7], v15, off offset:128
	global_store_short_d16_hi v[8:9], v16, off offset:128
	global_store_short_d16_hi v[0:1], v17, off offset:128
.LBB1291_19:
	s_endpgm
.LBB1291_20:
	s_mov_b64 s[8:9], 0
                                        ; implicit-def: $sgpr34_sgpr35
	s_branch .LBB1291_2
	.section	.rodata,"a",@progbits
	.p2align	6, 0x0
	.amdhsa_kernel _Z38paged_attention_ll4mi_QKV_mfma4_kernelI14__hip_bfloat16hLN4vllm18Fp8KVCacheDataTypeE1ES0_Li16ELi128ELi256ELb1ELi4EEvPKT_PKT0_S8_ifPKiSA_SA_iPKfiiiPfSD_PS3_PT2_iSC_SC_
		.amdhsa_group_segment_fixed_size 5280
		.amdhsa_private_segment_fixed_size 0
		.amdhsa_kernarg_size 400
		.amdhsa_user_sgpr_count 2
		.amdhsa_user_sgpr_dispatch_ptr 0
		.amdhsa_user_sgpr_queue_ptr 0
		.amdhsa_user_sgpr_kernarg_segment_ptr 1
		.amdhsa_user_sgpr_dispatch_id 0
		.amdhsa_user_sgpr_kernarg_preload_length 0
		.amdhsa_user_sgpr_kernarg_preload_offset 0
		.amdhsa_user_sgpr_private_segment_size 0
		.amdhsa_uses_dynamic_stack 0
		.amdhsa_enable_private_segment 0
		.amdhsa_system_sgpr_workgroup_id_x 1
		.amdhsa_system_sgpr_workgroup_id_y 1
		.amdhsa_system_sgpr_workgroup_id_z 1
		.amdhsa_system_sgpr_workgroup_info 0
		.amdhsa_system_vgpr_workitem_id 0
		.amdhsa_next_free_vgpr 88
		.amdhsa_next_free_sgpr 45
		.amdhsa_accum_offset 84
		.amdhsa_reserve_vcc 1
		.amdhsa_float_round_mode_32 0
		.amdhsa_float_round_mode_16_64 0
		.amdhsa_float_denorm_mode_32 3
		.amdhsa_float_denorm_mode_16_64 3
		.amdhsa_dx10_clamp 1
		.amdhsa_ieee_mode 1
		.amdhsa_fp16_overflow 0
		.amdhsa_tg_split 0
		.amdhsa_exception_fp_ieee_invalid_op 0
		.amdhsa_exception_fp_denorm_src 0
		.amdhsa_exception_fp_ieee_div_zero 0
		.amdhsa_exception_fp_ieee_overflow 0
		.amdhsa_exception_fp_ieee_underflow 0
		.amdhsa_exception_fp_ieee_inexact 0
		.amdhsa_exception_int_div_zero 0
	.end_amdhsa_kernel
	.section	.text._Z38paged_attention_ll4mi_QKV_mfma4_kernelI14__hip_bfloat16hLN4vllm18Fp8KVCacheDataTypeE1ES0_Li16ELi128ELi256ELb1ELi4EEvPKT_PKT0_S8_ifPKiSA_SA_iPKfiiiPfSD_PS3_PT2_iSC_SC_,"axG",@progbits,_Z38paged_attention_ll4mi_QKV_mfma4_kernelI14__hip_bfloat16hLN4vllm18Fp8KVCacheDataTypeE1ES0_Li16ELi128ELi256ELb1ELi4EEvPKT_PKT0_S8_ifPKiSA_SA_iPKfiiiPfSD_PS3_PT2_iSC_SC_,comdat
.Lfunc_end1291:
	.size	_Z38paged_attention_ll4mi_QKV_mfma4_kernelI14__hip_bfloat16hLN4vllm18Fp8KVCacheDataTypeE1ES0_Li16ELi128ELi256ELb1ELi4EEvPKT_PKT0_S8_ifPKiSA_SA_iPKfiiiPfSD_PS3_PT2_iSC_SC_, .Lfunc_end1291-_Z38paged_attention_ll4mi_QKV_mfma4_kernelI14__hip_bfloat16hLN4vllm18Fp8KVCacheDataTypeE1ES0_Li16ELi128ELi256ELb1ELi4EEvPKT_PKT0_S8_ifPKiSA_SA_iPKfiiiPfSD_PS3_PT2_iSC_SC_
                                        ; -- End function
	.section	.AMDGPU.csdata,"",@progbits
; Kernel info:
; codeLenInByte = 6124
; NumSgprs: 51
; NumVgprs: 84
; NumAgprs: 4
; TotalNumVgprs: 88
; ScratchSize: 0
; MemoryBound: 0
; FloatMode: 240
; IeeeMode: 1
; LDSByteSize: 5280 bytes/workgroup (compile time only)
; SGPRBlocks: 6
; VGPRBlocks: 10
; NumSGPRsForWavesPerEU: 51
; NumVGPRsForWavesPerEU: 88
; AccumOffset: 84
; Occupancy: 5
; WaveLimiterHint : 1
; COMPUTE_PGM_RSRC2:SCRATCH_EN: 0
; COMPUTE_PGM_RSRC2:USER_SGPR: 2
; COMPUTE_PGM_RSRC2:TRAP_HANDLER: 0
; COMPUTE_PGM_RSRC2:TGID_X_EN: 1
; COMPUTE_PGM_RSRC2:TGID_Y_EN: 1
; COMPUTE_PGM_RSRC2:TGID_Z_EN: 1
; COMPUTE_PGM_RSRC2:TIDIG_COMP_CNT: 0
; COMPUTE_PGM_RSRC3_GFX90A:ACCUM_OFFSET: 20
; COMPUTE_PGM_RSRC3_GFX90A:TG_SPLIT: 0
	.section	.text._Z39paged_attention_ll4mi_QKV_mfma16_kernelI14__hip_bfloat16hLN4vllm18Fp8KVCacheDataTypeE1ES0_Li16ELi128ELi256ELb1ELi5EEvPKT_PKT0_S8_ifPKiSA_SA_iPKfiiiPfSD_PS3_PT2_iSC_SC_,"axG",@progbits,_Z39paged_attention_ll4mi_QKV_mfma16_kernelI14__hip_bfloat16hLN4vllm18Fp8KVCacheDataTypeE1ES0_Li16ELi128ELi256ELb1ELi5EEvPKT_PKT0_S8_ifPKiSA_SA_iPKfiiiPfSD_PS3_PT2_iSC_SC_,comdat
	.protected	_Z39paged_attention_ll4mi_QKV_mfma16_kernelI14__hip_bfloat16hLN4vllm18Fp8KVCacheDataTypeE1ES0_Li16ELi128ELi256ELb1ELi5EEvPKT_PKT0_S8_ifPKiSA_SA_iPKfiiiPfSD_PS3_PT2_iSC_SC_ ; -- Begin function _Z39paged_attention_ll4mi_QKV_mfma16_kernelI14__hip_bfloat16hLN4vllm18Fp8KVCacheDataTypeE1ES0_Li16ELi128ELi256ELb1ELi5EEvPKT_PKT0_S8_ifPKiSA_SA_iPKfiiiPfSD_PS3_PT2_iSC_SC_
	.globl	_Z39paged_attention_ll4mi_QKV_mfma16_kernelI14__hip_bfloat16hLN4vllm18Fp8KVCacheDataTypeE1ES0_Li16ELi128ELi256ELb1ELi5EEvPKT_PKT0_S8_ifPKiSA_SA_iPKfiiiPfSD_PS3_PT2_iSC_SC_
	.p2align	8
	.type	_Z39paged_attention_ll4mi_QKV_mfma16_kernelI14__hip_bfloat16hLN4vllm18Fp8KVCacheDataTypeE1ES0_Li16ELi128ELi256ELb1ELi5EEvPKT_PKT0_S8_ifPKiSA_SA_iPKfiiiPfSD_PS3_PT2_iSC_SC_,@function
_Z39paged_attention_ll4mi_QKV_mfma16_kernelI14__hip_bfloat16hLN4vllm18Fp8KVCacheDataTypeE1ES0_Li16ELi128ELi256ELb1ELi5EEvPKT_PKT0_S8_ifPKiSA_SA_iPKfiiiPfSD_PS3_PT2_iSC_SC_: ; @_Z39paged_attention_ll4mi_QKV_mfma16_kernelI14__hip_bfloat16hLN4vllm18Fp8KVCacheDataTypeE1ES0_Li16ELi128ELi256ELb1ELi5EEvPKT_PKT0_S8_ifPKiSA_SA_iPKfiiiPfSD_PS3_PT2_iSC_SC_
; %bb.0:
	s_load_dwordx2 s[10:11], s[0:1], 0x30
	s_mov_b32 s6, s3
	s_mov_b64 s[8:9], 0
	s_waitcnt lgkmcnt(0)
	s_cmp_lg_u64 s[10:11], 0
	s_cselect_b64 s[12:13], -1, 0
	s_and_b64 vcc, exec, s[12:13]
	s_cbranch_vccz .LBB1292_7
; %bb.1:
	s_add_i32 s14, s2, 1
	s_mov_b32 s15, 0
	s_lshl_b64 s[16:17], s[14:15], 2
	s_add_u32 s16, s10, s16
	s_mov_b32 s3, s15
	s_addc_u32 s17, s11, s17
	s_lshl_b64 s[14:15], s[2:3], 2
	s_add_u32 s14, s10, s14
	s_addc_u32 s15, s11, s15
	s_load_dword s5, s[16:17], 0x0
	s_load_dword s7, s[14:15], 0x0
	s_waitcnt lgkmcnt(0)
	s_sub_i32 s5, s5, s7
	s_cmp_eq_u32 s5, 1
	s_cselect_b64 s[14:15], -1, 0
	s_andn2_b64 vcc, exec, s[8:9]
	s_cbranch_vccnz .LBB1292_3
.LBB1292_2:
	s_mov_b32 s3, 0
	s_mov_b64 s[14:15], -1
.LBB1292_3:
	s_andn2_b64 vcc, exec, s[14:15]
	s_cbranch_vccnz .LBB1292_20
; %bb.4:
	s_load_dwordx2 s[8:9], s[0:1], 0x28
	s_lshl_b64 s[14:15], s[2:3], 2
	s_waitcnt lgkmcnt(0)
	s_add_u32 s8, s8, s14
	s_addc_u32 s9, s9, s15
	s_load_dword s7, s[8:9], 0x0
	s_lshl_b32 s18, s6, 8
	s_waitcnt lgkmcnt(0)
	s_cmp_ge_i32 s18, s7
	s_cbranch_scc1 .LBB1292_20
; %bb.5:
	s_load_dwordx2 s[8:9], s[0:1], 0x20
	s_load_dword s5, s[0:1], 0x38
	s_add_i32 s16, s7, 15
	s_ashr_i32 s17, s16, 31
	v_and_b32_e32 v1, 0xcf, v0
	s_lshr_b32 s17, s17, 28
	v_add_u32_e32 v1, s18, v1
	s_add_i32 s16, s16, s17
	v_ashrrev_i32_e32 v2, 31, v1
	s_ashr_i32 s19, s16, 4
	v_lshrrev_b32_e32 v4, 28, v2
	s_add_i32 s19, s19, -1
	s_waitcnt lgkmcnt(0)
	s_mul_i32 s16, s2, s5
	s_mov_b32 s17, 0
	v_add_u32_e32 v2, v1, v4
	s_lshl_b64 s[16:17], s[16:17], 2
	v_ashrrev_i32_e32 v2, 4, v2
	v_mov_b32_e32 v5, s19
	v_cmp_gt_i32_e32 vcc, s7, v1
	s_add_u32 s8, s8, s16
	s_addc_u32 s9, s9, s17
	v_cndmask_b32_e32 v2, v5, v2, vcc
	v_ashrrev_i32_e32 v3, 31, v2
	v_lshl_add_u64 v[6:7], v[2:3], 2, s[8:9]
	v_or_b32_e32 v2, 16, v1
	v_add_u32_e32 v3, v2, v4
	v_ashrrev_i32_e32 v3, 4, v3
	v_cmp_gt_i32_e32 vcc, s7, v2
	s_load_dwordx2 s[16:17], s[0:1], 0x8
	s_nop 0
	v_cndmask_b32_e32 v2, v5, v3, vcc
	v_ashrrev_i32_e32 v3, 31, v2
	v_lshl_add_u64 v[8:9], v[2:3], 2, s[8:9]
	v_or_b32_e32 v2, 32, v1
	v_add_u32_e32 v3, v2, v4
	v_ashrrev_i32_e32 v3, 4, v3
	v_cmp_gt_i32_e32 vcc, s7, v2
	v_or_b32_e32 v1, 48, v1
	s_nop 0
	v_cndmask_b32_e32 v2, v5, v3, vcc
	v_ashrrev_i32_e32 v3, 31, v2
	v_lshl_add_u64 v[12:13], v[2:3], 2, s[8:9]
	v_add_u32_e32 v2, v1, v4
	v_ashrrev_i32_e32 v2, 4, v2
	v_cmp_gt_i32_e32 vcc, s7, v1
	s_nop 1
	v_cndmask_b32_e32 v2, v5, v2, vcc
	v_ashrrev_i32_e32 v3, 31, v2
	v_lshl_add_u64 v[14:15], v[2:3], 2, s[8:9]
	global_load_dword v4, v[6:7], off
	global_load_dword v3, v[8:9], off
	;; [unrolled: 1-line block ×4, first 2 shown]
	s_andn2_b64 vcc, exec, s[12:13]
	s_cbranch_vccnz .LBB1292_8
; %bb.6:
	s_add_u32 s10, s10, s14
	s_addc_u32 s11, s11, s15
	s_load_dword s5, s[10:11], 0x0
	s_branch .LBB1292_9
.LBB1292_7:
	s_mov_b64 s[14:15], 0
	s_branch .LBB1292_2
.LBB1292_8:
	s_mov_b32 s5, s2
.LBB1292_9:
	s_load_dwordx2 s[10:11], s[0:1], 0x10
	s_load_dwordx4 s[44:47], s[0:1], 0x48
	v_lshrrev_b32_e32 v57, 6, v0
	v_bfe_u32 v60, v0, 4, 2
	v_and_b32_e32 v56, 15, v0
	v_lshl_or_b32 v5, v57, 2, v60
	v_lshlrev_b32_e32 v1, 3, v56
	s_mul_i32 s48, s4, 5
	v_cmp_gt_u32_e32 vcc, 5, v5
	v_lshlrev_b32_e32 v54, 1, v1
	v_lshlrev_b32_e32 v1, 4, v0
	s_and_saveexec_b64 s[12:13], vcc
	s_cbranch_execz .LBB1292_11
; %bb.10:
	s_load_dwordx2 s[14:15], s[0:1], 0x0
	s_waitcnt lgkmcnt(0)
	s_ashr_i32 s20, s44, 31
	s_mul_hi_u32 s21, s5, s44
	s_mul_i32 s20, s5, s20
	s_add_i32 s21, s21, s20
	s_mul_i32 s20, s5, s44
	s_lshl_b64 s[20:21], s[20:21], 1
	s_add_u32 s14, s14, s20
	v_add_lshl_u32 v6, v5, s48, 7
	s_addc_u32 s15, s15, s21
	v_ashrrev_i32_e32 v7, 31, v6
	v_lshl_add_u64 v[6:7], v[6:7], 1, s[14:15]
	v_mov_b32_e32 v55, 0
	v_lshl_add_u64 v[6:7], v[6:7], 0, v[54:55]
	global_load_dwordx4 v[6:9], v[6:7], off
	v_lshlrev_b32_e32 v12, 8, v0
	v_lshlrev_b32_e32 v11, 8, v56
	v_and_b32_e32 v12, 0x600, v12
	s_movk_i32 s5, 0x800
	v_and_or_b32 v11, v11, s5, v12
	v_lshlrev_b32_e32 v5, 5, v5
	v_and_b32_e32 v12, 16, v1
	v_or3_b32 v5, v11, v5, v12
	s_waitcnt vmcnt(0)
	ds_write_b128 v5, v[6:9]
.LBB1292_11:
	s_or_b64 exec, exec, s[12:13]
	s_waitcnt lgkmcnt(0)
	s_mul_i32 s12, s4, s46
	s_add_u32 s4, s16, s12
	s_addc_u32 s5, s17, 0
	v_and_b32_e32 v58, 0xf0, v1
	v_mov_b32_e32 v59, 0
	v_and_b32_e32 v34, 48, v0
	v_lshl_add_u64 v[12:13], s[4:5], 0, v[58:59]
	v_lshlrev_b32_e32 v58, 4, v34
	s_waitcnt vmcnt(3)
	v_mad_i64_i32 v[4:5], s[4:5], v4, s45, v[12:13]
	v_lshl_add_u64 v[4:5], v[4:5], 0, v[58:59]
	s_barrier
	global_load_dwordx4 v[50:53], v[4:5], off
	global_load_dwordx4 v[46:49], v[4:5], off offset:1024
	s_waitcnt vmcnt(4)
	v_mad_i64_i32 v[4:5], s[4:5], v3, s45, v[12:13]
	s_waitcnt vmcnt(3)
	v_mad_i64_i32 v[2:3], s[4:5], v2, s45, v[12:13]
	v_lshl_add_u64 v[4:5], v[4:5], 0, v[58:59]
	v_lshl_add_u64 v[14:15], v[2:3], 0, v[58:59]
	s_waitcnt vmcnt(2)
	v_mad_i64_i32 v[10:11], s[4:5], v10, s45, v[12:13]
	global_load_dwordx4 v[36:39], v[4:5], off
	global_load_dwordx4 v[6:9], v[4:5], off offset:1024
	s_nop 0
	global_load_dwordx4 v[2:5], v[14:15], off
	global_load_dwordx4 v[42:45], v[14:15], off offset:1024
	v_lshl_add_u64 v[14:15], v[10:11], 0, v[58:59]
	global_load_dwordx4 v[22:25], v[14:15], off
	global_load_dwordx4 v[10:13], v[14:15], off offset:1024
	v_mul_lo_u16_e32 v14, 52, v56
	v_mov_b32_e32 v15, 5
	v_mul_lo_u16_sdwa v14, v14, v15 dst_sel:DWORD dst_unused:UNUSED_PAD src0_sel:BYTE_1 src1_sel:DWORD
	v_sub_u16_e32 v14, v56, v14
	v_lshlrev_b32_sdwa v14, v15, v14 dst_sel:DWORD dst_unused:UNUSED_PAD src0_sel:DWORD src1_sel:BYTE_0
	v_lshl_add_u32 v14, v60, 9, v14
	ds_read_b128 v[30:33], v14
	ds_read_b128 v[26:29], v14 offset:16
	ds_read_b128 v[18:21], v14 offset:2048
	;; [unrolled: 1-line block ×3, first 2 shown]
	v_and_b32_e32 v55, 63, v0
	v_cmp_gt_u32_e32 vcc, 5, v56
	v_mov_b32_e32 v61, 0
	s_and_saveexec_b64 s[4:5], vcc
	s_cbranch_execz .LBB1292_13
; %bb.12:
	s_load_dwordx2 s[14:15], s[0:1], 0x40
	v_add_u32_e32 v40, s48, v56
	v_ashrrev_i32_e32 v41, 31, v40
	s_waitcnt lgkmcnt(0)
	v_lshl_add_u64 v[40:41], v[40:41], 2, s[14:15]
	global_load_dword v61, v[40:41], off
.LBB1292_13:
	s_or_b64 exec, exec, s[4:5]
	v_or_b32_e32 v58, s18, v34
	v_ashrrev_i32_e32 v34, 4, v58
	v_mov_b32_e32 v63, s19
	v_cmp_gt_i32_e32 vcc, s7, v58
	s_waitcnt vmcnt(7)
	v_cvt_pk_f32_fp8_e32 v[40:41], v50
	v_cvt_pk_f32_fp8_sdwa v[64:65], v50 src0_sel:WORD_1
	v_cndmask_b32_e32 v34, v63, v34, vcc
	v_ashrrev_i32_e32 v35, 31, v34
	v_lshl_add_u64 v[34:35], v[34:35], 2, s[8:9]
	global_load_dword v62, v[34:35], off
	v_or_b32_e32 v34, 64, v58
	v_ashrrev_i32_e32 v35, 4, v34
	v_cmp_gt_i32_e32 vcc, s7, v34
	v_or_b32_e32 v66, 0x80, v58
	v_ashrrev_i32_e32 v67, 4, v66
	v_cndmask_b32_e32 v34, v63, v35, vcc
	v_cmp_gt_i32_e32 vcc, s7, v66
	s_mov_b32 s33, 0x7060302
	v_perm_b32 v40, v41, v40, s33
	v_cndmask_b32_e32 v50, v63, v67, vcc
	v_perm_b32 v41, v65, v64, s33
	v_cvt_pk_f32_fp8_e32 v[64:65], v51
	v_cvt_pk_f32_fp8_sdwa v[66:67], v51 src0_sel:WORD_1
	v_ashrrev_i32_e32 v51, 31, v50
	v_lshl_add_u64 v[68:69], v[50:51], 2, s[8:9]
	v_perm_b32 v50, v65, v64, s33
	v_perm_b32 v51, v67, v66, s33
	s_waitcnt lgkmcnt(3)
	v_mfma_f32_16x16x16_bf16 v[64:67], v[40:41], v[30:31], 0
	v_cvt_pk_f32_fp8_e32 v[40:41], v52
	v_cvt_pk_f32_fp8_sdwa v[70:71], v52 src0_sel:WORD_1
	s_waitcnt vmcnt(7)
	v_cvt_pk_f32_fp8_e32 v[72:73], v46
	v_mfma_f32_16x16x16_bf16 v[64:67], v[50:51], v[32:33], v[64:67]
	v_cvt_pk_f32_fp8_e32 v[50:51], v53
	v_perm_b32 v40, v41, v40, s33
	v_perm_b32 v41, v71, v70, s33
	v_cvt_pk_f32_fp8_sdwa v[52:53], v53 src0_sel:WORD_1
	v_perm_b32 v70, v51, v50, s33
	v_cvt_pk_f32_fp8_sdwa v[74:75], v46 src0_sel:WORD_1
	v_ashrrev_i32_e32 v35, 31, v34
	v_perm_b32 v71, v53, v52, s33
	s_waitcnt lgkmcnt(2)
	v_mfma_f32_16x16x16_bf16 v[50:53], v[40:41], v[26:27], v[64:67]
	v_perm_b32 v40, v73, v72, s33
	v_perm_b32 v41, v75, v74, s33
	v_or_b32_e32 v58, 0xc0, v58
	v_cvt_pk_f32_fp8_e32 v[64:65], v47
	v_cvt_pk_f32_fp8_sdwa v[46:47], v47 src0_sel:WORD_1
	v_mfma_f32_16x16x16_bf16 v[50:53], v[70:71], v[28:29], v[50:53]
	v_lshl_add_u64 v[34:35], v[34:35], 2, s[8:9]
	v_perm_b32 v64, v65, v64, s33
	v_perm_b32 v65, v47, v46, s33
	s_waitcnt lgkmcnt(1)
	v_mfma_f32_16x16x16_bf16 v[50:53], v[40:41], v[18:19], v[50:53]
	v_ashrrev_i32_e32 v66, 4, v58
	v_cmp_gt_i32_e32 vcc, s7, v58
	v_cvt_pk_f32_fp8_e32 v[46:47], v48
	s_waitcnt vmcnt(6)
	v_cvt_pk_f32_fp8_sdwa v[70:71], v36 src0_sel:WORD_1
	v_cndmask_b32_e32 v40, v63, v66, vcc
	v_mfma_f32_16x16x16_bf16 v[64:67], v[64:65], v[20:21], v[50:53]
	v_ashrrev_i32_e32 v41, 31, v40
	v_lshl_add_u64 v[40:41], v[40:41], 2, s[8:9]
	v_perm_b32 v46, v47, v46, s33
	global_load_dword v53, v[34:35], off
	global_load_dword v63, v[40:41], off
	v_cvt_pk_f32_fp8_sdwa v[50:51], v48 src0_sel:WORD_1
	v_cvt_pk_f32_fp8_e32 v[34:35], v49
	v_cvt_pk_f32_fp8_sdwa v[48:49], v49 src0_sel:WORD_1
	s_add_u32 s46, s10, s12
	v_perm_b32 v47, v51, v50, s33
	v_perm_b32 v34, v35, v34, s33
	;; [unrolled: 1-line block ×3, first 2 shown]
	s_waitcnt lgkmcnt(0)
	v_mfma_f32_16x16x16_bf16 v[46:49], v[46:47], v[14:15], v[64:67]
	v_cvt_pk_f32_fp8_e32 v[50:51], v36
	s_nop 1
	global_load_dword v64, v[68:69], off
	v_cvt_pk_f32_fp8_e32 v[66:67], v37
	s_waitcnt vmcnt(8)
	v_cvt_pk_f32_fp8_e32 v[68:69], v6
	v_perm_b32 v50, v51, v50, s33
	v_perm_b32 v51, v71, v70, s33
	v_cvt_pk_f32_fp8_sdwa v[70:71], v37 src0_sel:WORD_1
	v_perm_b32 v40, v67, v66, s33
	v_mfma_f32_16x16x16_bf16 v[34:37], v[34:35], v[16:17], v[46:49]
	v_cvt_pk_f32_fp8_sdwa v[66:67], v38 src0_sel:WORD_1
	v_perm_b32 v41, v71, v70, s33
	v_cvt_pk_f32_fp8_sdwa v[70:71], v6 src0_sel:WORD_1
	v_mfma_f32_16x16x16_bf16 v[46:49], v[50:51], v[30:31], 0
	v_cvt_pk_f32_fp8_e32 v[50:51], v38
	v_lshl_or_b32 v52, v57, 4, v56
	s_waitcnt vmcnt(6)
	v_cvt_pk_f32_fp8_e32 v[72:73], v43
	v_mfma_f32_16x16x16_bf16 v[46:49], v[40:41], v[32:33], v[46:49]
	v_cvt_pk_f32_fp8_e32 v[40:41], v39
	v_perm_b32 v50, v51, v50, s33
	v_perm_b32 v51, v67, v66, s33
	v_cvt_pk_f32_fp8_sdwa v[38:39], v39 src0_sel:WORD_1
	v_perm_b32 v66, v41, v40, s33
	s_addc_u32 s47, s11, 0
	v_lshlrev_b32_e32 v58, 4, v52
	v_perm_b32 v67, v39, v38, s33
	v_mfma_f32_16x16x16_bf16 v[38:41], v[50:51], v[26:27], v[46:49]
	v_cvt_pk_f32_fp8_sdwa v[50:51], v2 src0_sel:WORD_1
	s_nop 1
	v_perm_b32 v46, v69, v68, s33
	v_perm_b32 v47, v71, v70, s33
	v_cvt_pk_f32_fp8_e32 v[48:49], v7
	v_cvt_pk_f32_fp8_sdwa v[6:7], v7 src0_sel:WORD_1
	v_mfma_f32_16x16x16_bf16 v[38:41], v[66:67], v[28:29], v[38:41]
	v_lshl_add_u64 v[70:71], s[46:47], 0, v[58:59]
	v_perm_b32 v48, v49, v48, s33
	v_perm_b32 v49, v7, v6, s33
	v_mfma_f32_16x16x16_bf16 v[38:41], v[46:47], v[18:19], v[38:41]
	v_cvt_pk_f32_fp8_e32 v[6:7], v8
	v_cvt_pk_f32_fp8_sdwa v[46:47], v8 src0_sel:WORD_1
	v_or_b32_e32 v58, 0x400, v58
	v_mfma_f32_16x16x16_bf16 v[38:41], v[48:49], v[20:21], v[38:41]
	v_cvt_pk_f32_fp8_e32 v[48:49], v9
	v_perm_b32 v6, v7, v6, s33
	v_perm_b32 v7, v47, v46, s33
	v_cvt_pk_f32_fp8_sdwa v[8:9], v9 src0_sel:WORD_1
	v_perm_b32 v46, v49, v48, s33
	v_cvt_pk_f32_fp8_e32 v[48:49], v2
	v_perm_b32 v47, v9, v8, s33
	v_mfma_f32_16x16x16_bf16 v[6:9], v[6:7], v[14:15], v[38:41]
	v_perm_b32 v48, v49, v48, s33
	v_perm_b32 v49, v51, v50, s33
	v_cvt_pk_f32_fp8_e32 v[50:51], v3
	v_cvt_pk_f32_fp8_sdwa v[2:3], v3 src0_sel:WORD_1
	v_mfma_f32_16x16x16_bf16 v[38:41], v[46:47], v[16:17], v[6:9]
	v_perm_b32 v46, v51, v50, s33
	v_perm_b32 v47, v3, v2, s33
	v_mfma_f32_16x16x16_bf16 v[6:9], v[48:49], v[30:31], 0
	v_cvt_pk_f32_fp8_e32 v[2:3], v4
	v_cvt_pk_f32_fp8_sdwa v[48:49], v4 src0_sel:WORD_1
	s_waitcnt vmcnt(3)
	v_mad_i64_i32 v[50:51], s[4:5], v62, s45, v[70:71]
	v_perm_b32 v2, v3, v2, s33
	v_perm_b32 v3, v49, v48, s33
	v_mfma_f32_16x16x16_bf16 v[6:9], v[46:47], v[32:33], v[6:9]
	v_cvt_pk_f32_fp8_e32 v[46:47], v5
	v_cvt_pk_f32_fp8_sdwa v[4:5], v5 src0_sel:WORD_1
	s_waitcnt vmcnt(2)
	v_mad_i64_i32 v[66:67], s[4:5], v53, s45, v[70:71]
	v_perm_b32 v46, v47, v46, s33
	v_perm_b32 v47, v5, v4, s33
	v_mfma_f32_16x16x16_bf16 v[2:5], v[2:3], v[26:27], v[6:9]
	s_nop 2
	v_cvt_pk_f32_fp8_e32 v[6:7], v42
	v_cvt_pk_f32_fp8_sdwa v[8:9], v42 src0_sel:WORD_1
	v_cvt_pk_f32_fp8_sdwa v[42:43], v43 src0_sel:WORD_1
	v_mfma_f32_16x16x16_bf16 v[46:49], v[46:47], v[28:29], v[2:5]
	v_perm_b32 v68, v7, v6, s33
	v_perm_b32 v69, v9, v8, s33
	global_load_dwordx4 v[6:9], v[50:51], off
	global_load_dwordx4 v[2:5], v[66:67], off
	v_perm_b32 v66, v73, v72, s33
	v_perm_b32 v67, v43, v42, s33
	v_mfma_f32_16x16x16_bf16 v[48:51], v[68:69], v[18:19], v[46:49]
	v_cvt_pk_f32_fp8_e32 v[42:43], v44
	v_cvt_pk_f32_fp8_sdwa v[72:73], v44 src0_sel:WORD_1
	s_waitcnt vmcnt(2)
	v_mad_i64_i32 v[46:47], s[4:5], v64, s45, v[70:71]
	v_mfma_f32_16x16x16_bf16 v[66:69], v[66:67], v[20:21], v[48:51]
	v_perm_b32 v42, v43, v42, s33
	v_perm_b32 v43, v73, v72, s33
	v_cvt_pk_f32_fp8_sdwa v[72:73], v22 src0_sel:WORD_1
	v_cvt_pk_f32_fp8_e32 v[50:51], v45
	v_cvt_pk_f32_fp8_sdwa v[44:45], v45 src0_sel:WORD_1
	v_mad_i64_i32 v[48:49], s[4:5], v63, s45, v[70:71]
	v_perm_b32 v50, v51, v50, s33
	v_perm_b32 v51, v45, v44, s33
	v_mfma_f32_16x16x16_bf16 v[42:45], v[42:43], v[14:15], v[66:69]
	v_cvt_pk_f32_fp8_e32 v[70:71], v22
	s_load_dword s4, s[0:1], 0x1c
	s_load_dwordx4 s[40:43], s[0:1], 0x80
	s_load_dword s44, s[0:1], 0x98
	s_waitcnt lgkmcnt(0)
	s_load_dword s5, s[40:41], 0x0
	v_mfma_f32_16x16x16_bf16 v[66:69], v[50:51], v[16:17], v[42:45]
	s_mov_b32 s40, 0xff7fffff
	s_nop 1
	v_cvt_pk_f32_fp8_e32 v[42:43], v23
	v_perm_b32 v44, v71, v70, s33
	v_perm_b32 v45, v73, v72, s33
	v_cvt_pk_f32_fp8_sdwa v[22:23], v23 src0_sel:WORD_1
	v_perm_b32 v50, v43, v42, s33
	v_cvt_pk_f32_fp8_e32 v[70:71], v24
	v_cvt_pk_f32_fp8_sdwa v[72:73], v24 src0_sel:WORD_1
	v_perm_b32 v51, v23, v22, s33
	v_mfma_f32_16x16x16_bf16 v[42:45], v[44:45], v[30:31], 0
	v_perm_b32 v30, v71, v70, s33
	v_perm_b32 v31, v73, v72, s33
	v_cvt_pk_f32_fp8_e32 v[70:71], v25
	v_cvt_pk_f32_fp8_sdwa v[72:73], v25 src0_sel:WORD_1
	v_mfma_f32_16x16x16_bf16 v[22:25], v[50:51], v[32:33], v[42:45]
	v_mov_b32_e32 v32, s4
	s_waitcnt lgkmcnt(0)
	v_mul_f32_e32 v50, s5, v32
	v_pk_mul_f32 v[32:33], v[50:51], v[34:35] op_sel_hi:[0,1]
	v_perm_b32 v42, v71, v70, s33
	v_perm_b32 v43, v73, v72, s33
	v_mfma_f32_16x16x16_bf16 v[22:25], v[30:31], v[26:27], v[22:25]
	v_pk_mul_f32 v[30:31], v[50:51], v[36:37] op_sel_hi:[0,1]
	v_cvt_pk_f32_fp8_e32 v[26:27], v11
	v_cvt_pk_f32_fp8_sdwa v[70:71], v12 src0_sel:WORD_1
	v_mfma_f32_16x16x16_bf16 v[34:37], v[42:43], v[28:29], v[22:25]
	v_pk_mul_f32 v[40:41], v[50:51], v[40:41] op_sel_hi:[0,1]
	v_perm_b32 v44, v27, v26, s33
	s_nop 0
	v_cvt_pk_f32_fp8_e32 v[22:23], v10
	v_cvt_pk_f32_fp8_sdwa v[24:25], v10 src0_sel:WORD_1
	v_cvt_pk_f32_fp8_sdwa v[10:11], v11 src0_sel:WORD_1
	v_perm_b32 v42, v23, v22, s33
	v_perm_b32 v43, v25, v24, s33
	;; [unrolled: 1-line block ×3, first 2 shown]
	v_cvt_pk_f32_fp8_e32 v[10:11], v12
	v_mfma_f32_16x16x16_bf16 v[34:37], v[42:43], v[18:19], v[34:37]
	global_load_dwordx4 v[26:29], v[46:47], off
	global_load_dwordx4 v[22:25], v[48:49], off
	v_perm_b32 v18, v11, v10, s33
	v_perm_b32 v19, v71, v70, s33
	v_cvt_pk_f32_fp8_e32 v[42:43], v13
	v_cvt_pk_f32_fp8_sdwa v[46:47], v13 src0_sel:WORD_1
	v_mfma_f32_16x16x16_bf16 v[10:13], v[44:45], v[20:21], v[34:37]
	v_pk_mul_f32 v[44:45], v[50:51], v[38:39] op_sel_hi:[0,1]
	v_perm_b32 v20, v43, v42, s33
	v_perm_b32 v21, v47, v46, s33
	v_mfma_f32_16x16x16_bf16 v[10:13], v[18:19], v[14:15], v[10:13]
	v_pk_mul_f32 v[38:39], v[50:51], v[68:69] op_sel_hi:[0,1]
	v_pk_mul_f32 v[42:43], v[50:51], v[66:67] op_sel_hi:[0,1]
	v_mfma_f32_16x16x16_bf16 v[10:13], v[20:21], v[16:17], v[10:13]
	s_nop 6
	v_pk_mul_f32 v[36:37], v[50:51], v[10:11] op_sel_hi:[0,1]
	v_and_b32_e32 v10, 0xc0, v0
	v_add_u32_e32 v10, s18, v10
	v_lshl_or_b32 v10, v60, 2, v10
	v_or_b32_e32 v11, 1, v10
	v_pk_mul_f32 v[34:35], v[50:51], v[12:13] op_sel_hi:[0,1]
	v_subrev_u32_e32 v12, s7, v11
	v_add_u32_e32 v14, 1, v12
	v_add_u32_e32 v15, 2, v12
	v_cvt_f32_i32_e32 v13, v12
	v_cvt_f32_i32_e32 v14, v14
	;; [unrolled: 1-line block ×3, first 2 shown]
	v_add_u32_e32 v16, 3, v12
	v_fma_f32 v18, v61, v13, v32
	v_fmac_f32_e32 v33, v61, v14
	v_fma_f32 v48, v61, v15, v30
	v_add_u32_e32 v13, 16, v12
	v_add_u32_e32 v14, 17, v12
	;; [unrolled: 1-line block ×3, first 2 shown]
	v_cvt_f32_i32_e32 v16, v16
	v_cvt_f32_i32_e32 v13, v13
	;; [unrolled: 1-line block ×4, first 2 shown]
	v_fmac_f32_e32 v31, v61, v16
	v_add_u32_e32 v16, 19, v12
	v_fma_f32 v44, v61, v13, v44
	v_fmac_f32_e32 v45, v61, v14
	v_fma_f32 v40, v61, v15, v40
	v_add_u32_e32 v13, 32, v12
	v_add_u32_e32 v14, 33, v12
	;; [unrolled: 1-line block ×3, first 2 shown]
	v_cvt_f32_i32_e32 v16, v16
	v_cvt_f32_i32_e32 v13, v13
	;; [unrolled: 1-line block ×4, first 2 shown]
	v_fmac_f32_e32 v41, v61, v16
	v_add_u32_e32 v16, 35, v12
	v_fma_f32 v42, v61, v13, v42
	v_fmac_f32_e32 v43, v61, v14
	v_fma_f32 v38, v61, v15, v38
	v_add_u32_e32 v13, 48, v12
	v_add_u32_e32 v14, 49, v12
	;; [unrolled: 1-line block ×4, first 2 shown]
	v_cvt_f32_i32_e32 v12, v12
	v_cvt_f32_i32_e32 v13, v13
	;; [unrolled: 1-line block ×3, first 2 shown]
	v_cmp_gt_i32_e64 s[8:9], s7, v10
	v_fmac_f32_e32 v35, v61, v12
	v_mov_b32_e32 v12, 0xff7fffff
	v_cmp_gt_i32_e64 s[10:11], s7, v11
	v_fma_f32 v36, v61, v13, v36
	v_cndmask_b32_e64 v13, v12, v18, s[8:9]
	v_cndmask_b32_e64 v11, v12, v33, s[10:11]
	v_fmac_f32_e32 v37, v61, v14
	v_max3_f32 v11, v13, s40, v11
	v_or_b32_e32 v13, 2, v10
	v_or_b32_e32 v14, 3, v10
	v_cmp_gt_i32_e64 s[12:13], s7, v13
	v_cmp_gt_i32_e64 s[14:15], s7, v14
	v_cvt_f32_i32_e32 v16, v16
	v_cndmask_b32_e64 v13, v12, v48, s[12:13]
	v_cndmask_b32_e64 v14, v12, v31, s[14:15]
	v_max3_f32 v11, v11, v13, v14
	v_or_b32_e32 v13, 16, v10
	v_or_b32_e32 v14, 17, v10
	v_cmp_gt_i32_e64 s[16:17], s7, v13
	v_cmp_gt_i32_e64 s[18:19], s7, v14
	v_fmac_f32_e32 v39, v61, v16
	v_cndmask_b32_e64 v13, v12, v44, s[16:17]
	v_cndmask_b32_e64 v14, v12, v45, s[18:19]
	v_max3_f32 v11, v11, v13, v14
	v_or_b32_e32 v13, 18, v10
	v_or_b32_e32 v14, 19, v10
	v_cmp_gt_i32_e64 s[20:21], s7, v13
	v_cmp_gt_i32_e64 s[22:23], s7, v14
	v_cvt_f32_i32_e32 v15, v15
	v_cndmask_b32_e64 v13, v12, v40, s[20:21]
	v_cndmask_b32_e64 v14, v12, v41, s[22:23]
	v_max3_f32 v11, v11, v13, v14
	v_or_b32_e32 v13, 32, v10
	v_or_b32_e32 v14, 33, v10
	v_cmp_gt_i32_e64 s[24:25], s7, v13
	v_cmp_gt_i32_e64 s[26:27], s7, v14
	v_fma_f32 v34, v61, v15, v34
	v_cndmask_b32_e64 v13, v12, v42, s[24:25]
	v_cndmask_b32_e64 v14, v12, v43, s[26:27]
	v_max3_f32 v11, v11, v13, v14
	v_or_b32_e32 v13, 34, v10
	v_or_b32_e32 v14, 35, v10
	v_cmp_gt_i32_e64 s[28:29], s7, v13
	v_cmp_gt_i32_e64 s[30:31], s7, v14
	s_nop 0
	v_cndmask_b32_e64 v13, v12, v38, s[28:29]
	v_cndmask_b32_e64 v14, v12, v39, s[30:31]
	v_max3_f32 v11, v11, v13, v14
	v_or_b32_e32 v13, 48, v10
	v_or_b32_e32 v14, 49, v10
	v_cmp_gt_i32_e64 s[34:35], s7, v13
	v_cmp_gt_i32_e64 s[36:37], s7, v14
	s_nop 0
	v_cndmask_b32_e64 v13, v12, v36, s[34:35]
	v_cndmask_b32_e64 v14, v12, v37, s[36:37]
	v_max3_f32 v11, v11, v13, v14
	v_or_b32_e32 v13, 50, v10
	v_or_b32_e32 v10, 51, v10
	v_cmp_gt_i32_e32 vcc, s7, v13
	v_cmp_gt_i32_e64 s[4:5], s7, v10
	s_nop 0
	v_cndmask_b32_e32 v13, v12, v34, vcc
	v_cndmask_b32_e64 v10, v12, v35, s[4:5]
	v_max3_f32 v14, v11, v13, v10
	v_mbcnt_lo_u32_b32 v10, -1, 0
	v_mbcnt_hi_u32_b32 v15, -1, v10
	v_and_b32_e32 v10, 64, v15
	v_add_u32_e32 v16, 64, v10
	v_xor_b32_e32 v10, 32, v15
	v_cmp_lt_i32_e64 s[38:39], v10, v16
	s_nop 1
	v_cndmask_b32_e64 v10, v15, v10, s[38:39]
	v_lshlrev_b32_e32 v51, 2, v10
	ds_bpermute_b32 v17, v51, v14
	v_lshl_add_u64 v[10:11], s[46:47], 0, v[58:59]
	v_mad_i64_i32 v[12:13], s[38:39], v62, s45, v[10:11]
	s_waitcnt lgkmcnt(0)
	v_max_f32_e32 v17, v17, v17
	v_max_f32_e32 v19, v14, v17
	v_xor_b32_e32 v14, 16, v15
	v_cmp_lt_i32_e64 s[38:39], v14, v16
	s_nop 1
	v_cndmask_b32_e64 v14, v15, v14, s[38:39]
	v_lshlrev_b32_e32 v58, 2, v14
	ds_bpermute_b32 v20, v58, v19
	v_mad_i64_i32 v[14:15], s[38:39], v53, s45, v[10:11]
	v_mad_i64_i32 v[16:17], s[38:39], v64, s45, v[10:11]
	s_waitcnt lgkmcnt(0)
	v_max_f32_e32 v20, v20, v20
	v_max_f32_e32 v50, v19, v20
	v_sub_f32_e32 v18, v18, v50
	v_sub_f32_e32 v19, v33, v50
	v_mul_f32_e32 v18, 0x3fb8aa3b, v18
	v_mul_f32_e32 v19, 0x3fb8aa3b, v19
	v_exp_f32_e32 v18, v18
	v_exp_f32_e32 v19, v19
	v_sub_f32_e32 v49, v31, v50
	v_mad_i64_i32 v[10:11], s[38:39], v63, s45, v[10:11]
	v_cndmask_b32_e64 v46, 0, v18, s[8:9]
	v_cndmask_b32_e64 v47, 0, v19, s[10:11]
	global_load_dwordx4 v[30:33], v[12:13], off
	global_load_dwordx4 v[18:21], v[14:15], off
	v_sub_f32_e32 v12, v48, v50
	v_mul_f32_e32 v12, 0x3fb8aa3b, v12
	v_exp_f32_e32 v48, v12
	global_load_dwordx4 v[14:17], v[16:17], off
	s_nop 0
	global_load_dwordx4 v[10:13], v[10:11], off
	v_sub_f32_e32 v40, v40, v50
	v_sub_f32_e32 v42, v42, v50
	v_mul_f32_e32 v40, 0x3fb8aa3b, v40
	v_mul_f32_e32 v42, 0x3fb8aa3b, v42
	v_exp_f32_e32 v40, v40
	v_exp_f32_e32 v53, v42
	v_mul_f32_e32 v49, 0x3fb8aa3b, v49
	v_sub_f32_e32 v44, v44, v50
	v_exp_f32_e32 v49, v49
	v_mul_f32_e32 v44, 0x3fb8aa3b, v44
	v_sub_f32_e32 v45, v45, v50
	v_sub_f32_e32 v42, v43, v50
	v_exp_f32_e32 v44, v44
	v_mul_f32_e32 v45, 0x3fb8aa3b, v45
	v_mul_f32_e32 v42, 0x3fb8aa3b, v42
	v_exp_f32_e32 v45, v45
	v_sub_f32_e32 v41, v41, v50
	v_exp_f32_e32 v59, v42
	v_cndmask_b32_e64 v42, 0, v40, s[20:21]
	v_cndmask_b32_e64 v40, 0, v53, s[24:25]
	v_add_f32_e32 v53, 0, v46
	v_cndmask_b32_e64 v48, 0, v48, s[12:13]
	v_mul_f32_e32 v41, 0x3fb8aa3b, v41
	v_add_f32_e32 v53, v53, v47
	v_cndmask_b32_e64 v49, 0, v49, s[14:15]
	v_exp_f32_e32 v41, v41
	v_add_f32_e32 v53, v53, v48
	v_cndmask_b32_e64 v44, 0, v44, s[16:17]
	v_sub_f32_e32 v38, v38, v50
	v_add_f32_e32 v53, v53, v49
	v_cndmask_b32_e64 v45, 0, v45, s[18:19]
	v_sub_f32_e32 v39, v39, v50
	v_mul_f32_e32 v38, 0x3fb8aa3b, v38
	v_add_f32_e32 v53, v53, v44
	v_exp_f32_e32 v38, v38
	v_mul_f32_e32 v39, 0x3fb8aa3b, v39
	v_sub_f32_e32 v36, v36, v50
	v_add_f32_e32 v53, v53, v45
	v_cndmask_b32_e64 v43, 0, v41, s[22:23]
	v_exp_f32_e32 v39, v39
	v_mul_f32_e32 v36, 0x3fb8aa3b, v36
	v_sub_f32_e32 v37, v37, v50
	v_add_f32_e32 v53, v53, v42
	v_exp_f32_e32 v36, v36
	v_mul_f32_e32 v37, 0x3fb8aa3b, v37
	v_add_f32_e32 v53, v53, v43
	v_sub_f32_e32 v34, v34, v50
	v_cndmask_b32_e64 v41, 0, v59, s[26:27]
	v_exp_f32_e32 v37, v37
	v_add_f32_e32 v53, v53, v40
	v_mul_f32_e32 v34, 0x3fb8aa3b, v34
	v_sub_f32_e32 v35, v35, v50
	v_cndmask_b32_e64 v38, 0, v38, s[28:29]
	v_add_f32_e32 v53, v53, v41
	v_exp_f32_e32 v34, v34
	v_mul_f32_e32 v35, 0x3fb8aa3b, v35
	v_cndmask_b32_e64 v39, 0, v39, s[30:31]
	v_add_f32_e32 v53, v53, v38
	v_exp_f32_e32 v35, v35
	v_cndmask_b32_e64 v36, 0, v36, s[34:35]
	v_add_f32_e32 v53, v53, v39
	v_cndmask_b32_e64 v37, 0, v37, s[36:37]
	v_add_f32_e32 v53, v53, v36
	v_add_f32_e32 v53, v53, v37
	v_cndmask_b32_e32 v34, 0, v34, vcc
	v_add_f32_e32 v53, v53, v34
	v_cndmask_b32_e64 v35, 0, v35, s[4:5]
	v_add_f32_e32 v53, v53, v35
	ds_bpermute_b32 v51, v51, v53
	v_cmp_gt_u32_e64 s[4:5], 16, v55
	s_waitcnt lgkmcnt(0)
	s_barrier
	v_add_f32_e32 v51, v53, v51
	ds_bpermute_b32 v53, v58, v51
	s_and_saveexec_b64 s[8:9], s[4:5]
	s_cbranch_execz .LBB1292_15
; %bb.14:
	s_waitcnt lgkmcnt(0)
	v_add_f32_e32 v51, v51, v53
	v_lshlrev_b32_e32 v52, 2, v52
	ds_write2st64_b32 v52, v50, v51 offset1:1
.LBB1292_15:
	s_or_b64 exec, exec, s[8:9]
	v_lshlrev_b32_e32 v51, 2, v56
	s_load_dword s7, s[0:1], 0x94
	s_waitcnt lgkmcnt(0)
	s_barrier
	ds_read2_b32 v[52:53], v51 offset1:16
	ds_read2_b32 v[58:59], v51 offset0:32 offset1:48
	ds_read2_b32 v[62:63], v51 offset0:64 offset1:80
	s_movk_i32 s11, 0x7fff
	s_mul_i32 s10, s44, 5
	s_waitcnt lgkmcnt(2)
	v_max3_f32 v50, v52, s40, v53
	s_waitcnt lgkmcnt(1)
	v_max3_f32 v50, v50, v58, v59
	v_sub_f32_e32 v52, v52, v50
	v_mul_f32_e32 v52, 0x3fb8aa3b, v52
	v_exp_f32_e32 v55, v52
	v_sub_f32_e32 v52, v53, v50
	v_mul_f32_e32 v52, 0x3fb8aa3b, v52
	v_exp_f32_e32 v61, v52
	v_sub_f32_e32 v52, v58, v50
	v_mul_f32_e32 v52, 0x3fb8aa3b, v52
	v_exp_f32_e32 v58, v52
	ds_read2_b32 v[52:53], v51 offset0:96 offset1:112
	v_sub_f32_e32 v51, v59, v50
	v_mul_f32_e32 v51, 0x3fb8aa3b, v51
	v_exp_f32_e32 v59, v51
	s_waitcnt lgkmcnt(1)
	v_fma_f32 v51, v55, v62, 0
	v_fmac_f32_e32 v51, v61, v63
	s_waitcnt lgkmcnt(0)
	v_fmac_f32_e32 v51, v58, v52
	v_fmac_f32_e32 v51, v59, v53
	v_add_f32_e32 v52, 0x358637bd, v51
	v_div_scale_f32 v53, s[8:9], v52, v52, 1.0
	v_rcp_f32_e32 v62, v53
	s_barrier
	v_fma_f32 v63, -v53, v62, 1.0
	v_fmac_f32_e32 v62, v63, v62
	v_div_scale_f32 v63, vcc, 1.0, v52, 1.0
	v_mul_f32_e32 v64, v63, v62
	v_fma_f32 v65, -v53, v64, v63
	v_fmac_f32_e32 v64, v65, v62
	v_fma_f32 v53, -v53, v64, v63
	v_div_fmas_f32 v53, v53, v62, v64
	v_cmp_eq_u32_e32 vcc, 1, v57
	v_div_fixup_f32 v52, v53, v52, 1.0
	s_nop 0
	v_cndmask_b32_e32 v53, v55, v61, vcc
	v_cmp_eq_u32_e32 vcc, 2, v57
	s_nop 1
	v_cndmask_b32_e32 v53, v53, v58, vcc
	v_cmp_eq_u32_e32 vcc, 3, v57
	s_nop 1
	v_cndmask_b32_e32 v53, v53, v59, vcc
	v_mul_f32_e32 v52, v53, v52
	v_pk_mul_f32 v[46:47], v[52:53], v[46:47] op_sel_hi:[0,1]
	v_pk_mul_f32 v[48:49], v[52:53], v[48:49] op_sel_hi:[0,1]
	v_bfe_u32 v53, v47, 16, 1
	v_bfe_u32 v55, v46, 16, 1
	v_add3_u32 v46, v46, v55, s11
	v_add3_u32 v47, v47, v53, s11
	v_perm_b32 v58, v47, v46, s33
	v_bfe_u32 v46, v49, 16, 1
	v_bfe_u32 v47, v48, 16, 1
	v_add3_u32 v47, v48, v47, s11
	v_add3_u32 v46, v49, v46, s11
	v_perm_b32 v59, v46, v47, s33
	v_lshlrev_b32_e32 v47, 3, v60
	v_lshlrev_b32_e32 v46, 5, v56
	;; [unrolled: 1-line block ×3, first 2 shown]
	v_pk_mul_f32 v[44:45], v[52:53], v[44:45] op_sel_hi:[0,1]
	v_or3_b32 v55, v48, v46, v47
	v_bfe_u32 v47, v45, 16, 1
	v_bfe_u32 v48, v44, 16, 1
	v_pk_mul_f32 v[42:43], v[52:53], v[42:43] op_sel_hi:[0,1]
	v_add3_u32 v44, v44, v48, s11
	v_add3_u32 v45, v45, v47, s11
	v_perm_b32 v44, v45, v44, s33
	v_bfe_u32 v45, v43, 16, 1
	v_bfe_u32 v47, v42, 16, 1
	v_add3_u32 v42, v42, v47, s11
	v_add3_u32 v43, v43, v45, s11
	v_pk_mul_f32 v[40:41], v[52:53], v[40:41] op_sel_hi:[0,1]
	v_perm_b32 v45, v43, v42, s33
	v_bfe_u32 v42, v41, 16, 1
	v_bfe_u32 v43, v40, 16, 1
	v_pk_mul_f32 v[38:39], v[52:53], v[38:39] op_sel_hi:[0,1]
	v_add3_u32 v40, v40, v43, s11
	v_add3_u32 v41, v41, v42, s11
	v_perm_b32 v40, v41, v40, s33
	v_bfe_u32 v41, v39, 16, 1
	v_bfe_u32 v42, v38, 16, 1
	v_add3_u32 v38, v38, v42, s11
	v_add3_u32 v39, v39, v41, s11
	v_pk_mul_f32 v[36:37], v[52:53], v[36:37] op_sel_hi:[0,1]
	v_perm_b32 v41, v39, v38, s33
	v_bfe_u32 v38, v37, 16, 1
	v_bfe_u32 v39, v36, 16, 1
	v_pk_mul_f32 v[34:35], v[52:53], v[34:35] op_sel_hi:[0,1]
	v_add3_u32 v36, v36, v39, s11
	v_add3_u32 v37, v37, v38, s11
	v_perm_b32 v36, v37, v36, s33
	v_bfe_u32 v37, v35, 16, 1
	v_bfe_u32 v38, v34, 16, 1
	v_add3_u32 v34, v34, v38, s11
	v_add3_u32 v35, v35, v37, s11
	v_perm_b32 v37, v35, v34, s33
	v_cmp_gt_u32_e32 vcc, 5, v0
	ds_write2st64_b64 v55, v[58:59], v[44:45] offset1:1
	ds_write2st64_b64 v55, v[40:41], v[36:37] offset0:2 offset1:3
	s_and_saveexec_b64 s[8:9], vcc
	s_cbranch_execz .LBB1292_17
; %bb.16:
	s_mov_b32 s49, 0
	v_mov_b32_e32 v57, 0
	v_lshl_add_u64 v[34:35], s[48:49], 0, v[56:57]
	v_mov_b32_e32 v36, s10
	v_mad_u64_u32 v[34:35], s[16:17], s2, v36, v[34:35]
	s_mul_i32 s3, s3, s10
	v_mov_b32_e32 v36, s6
	v_mov_b32_e32 v37, v57
	s_load_dwordx4 s[12:15], s[0:1], 0x58
	v_add_u32_e32 v38, s3, v35
	v_mad_u64_u32 v[34:35], s[16:17], v34, s7, v[36:37]
	v_mov_b32_e32 v36, v35
	v_mad_u64_u32 v[36:37], s[16:17], v38, s7, v[36:37]
	v_mov_b32_e32 v35, v36
	v_lshlrev_b64 v[34:35], 2, v[34:35]
	s_waitcnt lgkmcnt(0)
	v_lshl_add_u64 v[36:37], s[14:15], 0, v[34:35]
	v_lshl_add_u64 v[34:35], s[12:13], 0, v[34:35]
	global_store_dword v[36:37], v50, off
	global_store_dword v[34:35], v51, off
.LBB1292_17:
	s_or_b64 exec, exec, s[8:9]
	s_waitcnt vmcnt(7)
	v_cvt_pk_f32_fp8_e32 v[34:35], v6
	v_cvt_pk_f32_fp8_sdwa v[36:37], v6 src0_sel:WORD_1
	v_lshl_or_b32 v50, v60, 9, v46
	s_mov_b32 s9, 0x7060302
	s_waitcnt lgkmcnt(0)
	s_barrier
	v_cvt_pk_f32_fp8_e32 v[38:39], v7
	v_perm_b32 v6, v35, v34, s9
	v_cvt_pk_f32_fp8_sdwa v[40:41], v7 src0_sel:WORD_1
	v_perm_b32 v7, v37, v36, s9
	ds_read_b128 v[34:37], v50
	v_perm_b32 v46, v39, v38, s9
	v_perm_b32 v47, v41, v40, s9
	ds_read_b128 v[38:41], v50 offset:16
	v_cvt_pk_f32_fp8_e32 v[48:49], v8
	v_cvt_pk_f32_fp8_sdwa v[52:53], v8 src0_sel:WORD_1
	s_waitcnt lgkmcnt(1)
	v_mfma_f32_16x16x16_bf16 v[42:45], v[6:7], v[34:35], 0
	s_waitcnt vmcnt(6)
	v_cvt_pk_f32_fp8_e32 v[58:59], v4
	v_perm_b32 v6, v49, v48, s9
	v_perm_b32 v7, v53, v52, s9
	v_cvt_pk_f32_fp8_e32 v[48:49], v9
	v_mfma_f32_16x16x16_bf16 v[42:45], v[46:47], v[36:37], v[42:45]
	v_cvt_pk_f32_fp8_sdwa v[46:47], v9 src0_sel:WORD_1
	v_cvt_pk_f32_fp8_sdwa v[62:63], v4 src0_sel:WORD_1
	v_perm_b32 v48, v49, v48, s9
	s_waitcnt lgkmcnt(0)
	v_mfma_f32_16x16x16_bf16 v[6:9], v[6:7], v[38:39], v[42:45]
	v_perm_b32 v49, v47, v46, s9
	s_waitcnt vmcnt(5)
	v_cvt_pk_f32_fp8_sdwa v[66:67], v28 src0_sel:WORD_1
	s_waitcnt vmcnt(4)
	v_cvt_pk_f32_fp8_sdwa v[68:69], v24 src0_sel:WORD_1
	v_cvt_pk_f32_fp8_e32 v[42:43], v2
	v_mfma_f32_16x16x16_bf16 v[46:49], v[48:49], v[40:41], v[6:9]
	s_load_dword s8, s[42:43], 0x0
	s_waitcnt vmcnt(3)
	v_cvt_pk_f32_fp8_sdwa v[70:71], v32 src0_sel:WORD_1
	v_cvt_pk_f32_fp8_sdwa v[6:7], v2 src0_sel:WORD_1
	v_cvt_pk_f32_fp8_e32 v[8:9], v3
	v_perm_b32 v2, v43, v42, s9
	v_cvt_pk_f32_fp8_sdwa v[42:43], v3 src0_sel:WORD_1
	v_perm_b32 v3, v7, v6, s9
	v_perm_b32 v52, v9, v8, s9
	ds_read_b128 v[6:9], v50 offset:2048
	v_perm_b32 v53, v43, v42, s9
	ds_read_b128 v[42:45], v50 offset:2064
	s_waitcnt lgkmcnt(0)
	v_mfma_f32_16x16x16_bf16 v[46:49], v[2:3], v[6:7], v[46:49]
	v_perm_b32 v2, v59, v58, s9
	v_perm_b32 v3, v63, v62, s9
	v_cvt_pk_f32_fp8_e32 v[58:59], v5
	v_mfma_f32_16x16x16_bf16 v[46:49], v[52:53], v[8:9], v[46:49]
	v_cvt_pk_f32_fp8_sdwa v[52:53], v5 src0_sel:WORD_1
	s_mov_b32 s3, 0
	v_perm_b32 v58, v59, v58, s9
	v_mfma_f32_16x16x16_bf16 v[2:5], v[2:3], v[42:43], v[46:49]
	v_perm_b32 v59, v53, v52, s9
	v_cmp_gt_u32_e32 vcc, 64, v0
	s_nop 0
	v_cvt_pk_f32_fp8_e32 v[46:47], v26
	v_mfma_f32_16x16x16_bf16 v[62:65], v[58:59], v[44:45], v[2:5]
	v_cvt_pk_f32_fp8_e32 v[58:59], v28
	s_nop 1
	v_cvt_pk_f32_fp8_sdwa v[2:3], v26 src0_sel:WORD_1
	v_cvt_pk_f32_fp8_e32 v[4:5], v27
	v_perm_b32 v26, v47, v46, s9
	v_cvt_pk_f32_fp8_sdwa v[46:47], v27 src0_sel:WORD_1
	v_perm_b32 v27, v3, v2, s9
	v_perm_b32 v52, v5, v4, s9
	ds_read_b128 v[2:5], v50 offset:4096
	v_perm_b32 v53, v47, v46, s9
	ds_read_b128 v[46:49], v50 offset:4112
	s_waitcnt lgkmcnt(1)
	v_mfma_f32_16x16x16_bf16 v[62:65], v[26:27], v[2:3], v[62:65]
	v_perm_b32 v26, v59, v58, s9
	v_perm_b32 v27, v67, v66, s9
	v_cvt_pk_f32_fp8_e32 v[58:59], v29
	v_mfma_f32_16x16x16_bf16 v[62:65], v[52:53], v[4:5], v[62:65]
	v_cvt_pk_f32_fp8_sdwa v[52:53], v29 src0_sel:WORD_1
	v_cvt_pk_f32_fp8_e32 v[66:67], v24
	v_perm_b32 v58, v59, v58, s9
	s_waitcnt lgkmcnt(0)
	v_mfma_f32_16x16x16_bf16 v[26:29], v[26:27], v[46:47], v[62:65]
	v_perm_b32 v59, v53, v52, s9
	v_cvt_pk_f32_fp8_e32 v[52:53], v22
	s_nop 0
	v_mfma_f32_16x16x16_bf16 v[62:65], v[58:59], v[48:49], v[26:29]
	s_nop 2
	v_cvt_pk_f32_fp8_sdwa v[26:27], v22 src0_sel:WORD_1
	v_cvt_pk_f32_fp8_e32 v[28:29], v23
	v_perm_b32 v22, v53, v52, s9
	v_cvt_pk_f32_fp8_sdwa v[52:53], v23 src0_sel:WORD_1
	v_perm_b32 v23, v27, v26, s9
	v_perm_b32 v58, v29, v28, s9
	ds_read_b128 v[26:29], v50 offset:6144
	v_perm_b32 v59, v53, v52, s9
	s_waitcnt lgkmcnt(0)
	v_mfma_f32_16x16x16_bf16 v[62:65], v[22:23], v[26:27], v[62:65]
	ds_read_b128 v[50:53], v50 offset:6160
	v_perm_b32 v22, v67, v66, s9
	v_perm_b32 v23, v69, v68, s9
	v_cvt_pk_f32_fp8_e32 v[66:67], v25
	v_mfma_f32_16x16x16_bf16 v[62:65], v[58:59], v[28:29], v[62:65]
	v_cvt_pk_f32_fp8_sdwa v[58:59], v25 src0_sel:WORD_1
	v_cvt_pk_f32_fp8_e32 v[68:69], v32
	v_perm_b32 v66, v67, v66, s9
	s_waitcnt lgkmcnt(0)
	v_mfma_f32_16x16x16_bf16 v[22:25], v[22:23], v[50:51], v[62:65]
	v_perm_b32 v67, v59, v58, s9
	v_cvt_pk_f32_fp8_sdwa v[58:59], v30 src0_sel:WORD_1
	s_nop 0
	v_mfma_f32_16x16x16_bf16 v[62:65], v[66:67], v[52:53], v[22:25]
	s_barrier
	s_nop 1
	v_cvt_pk_f32_fp8_e32 v[24:25], v30
	s_nop 2
	v_pk_mul_f32 v[66:67], v[62:63], s[8:9] op_sel_hi:[1,0]
	v_cvt_pk_f32_fp8_e32 v[62:63], v31
	v_perm_b32 v24, v25, v24, s9
	v_perm_b32 v25, v59, v58, s9
	v_cvt_pk_f32_fp8_sdwa v[30:31], v31 src0_sel:WORD_1
	v_perm_b32 v58, v63, v62, s9
	v_pk_mul_f32 v[22:23], v[64:65], s[8:9] op_sel_hi:[1,0]
	v_mfma_f32_16x16x16_bf16 v[62:65], v[24:25], v[34:35], 0
	v_perm_b32 v59, v31, v30, s9
	v_perm_b32 v24, v69, v68, s9
	;; [unrolled: 1-line block ×3, first 2 shown]
	v_cvt_pk_f32_fp8_e32 v[34:35], v33
	v_cvt_pk_f32_fp8_sdwa v[68:69], v33 src0_sel:WORD_1
	v_mfma_f32_16x16x16_bf16 v[30:33], v[58:59], v[36:37], v[62:65]
	s_waitcnt vmcnt(2)
	v_cvt_pk_f32_fp8_sdwa v[36:37], v18 src0_sel:WORD_1
	v_perm_b32 v34, v35, v34, s9
	v_perm_b32 v35, v69, v68, s9
	v_mfma_f32_16x16x16_bf16 v[30:33], v[24:25], v[38:39], v[30:33]
	v_cvt_pk_f32_fp8_e32 v[24:25], v18
	v_cvt_pk_f32_fp8_sdwa v[38:39], v20 src0_sel:WORD_1
	v_bfe_u32 v57, v67, 16, 1
	v_mfma_f32_16x16x16_bf16 v[30:33], v[34:35], v[40:41], v[30:33]
	v_cvt_pk_f32_fp8_e32 v[34:35], v19
	v_perm_b32 v24, v25, v24, s9
	v_perm_b32 v25, v37, v36, s9
	v_cvt_pk_f32_fp8_sdwa v[18:19], v19 src0_sel:WORD_1
	v_perm_b32 v34, v35, v34, s9
	v_cvt_pk_f32_fp8_e32 v[36:37], v20
	v_mfma_f32_16x16x16_bf16 v[30:33], v[24:25], v[6:7], v[30:33]
	v_perm_b32 v35, v19, v18, s9
	v_perm_b32 v18, v37, v36, s9
	;; [unrolled: 1-line block ×3, first 2 shown]
	v_cvt_pk_f32_fp8_e32 v[24:25], v21
	v_cvt_pk_f32_fp8_sdwa v[20:21], v21 src0_sel:WORD_1
	v_mfma_f32_16x16x16_bf16 v[6:9], v[34:35], v[8:9], v[30:33]
	v_bfe_u32 v58, v66, 16, 1
	v_perm_b32 v24, v25, v24, s9
	v_perm_b32 v25, v21, v20, s9
	v_mfma_f32_16x16x16_bf16 v[6:9], v[18:19], v[42:43], v[6:9]
	s_waitcnt vmcnt(1)
	v_cvt_pk_f32_fp8_e32 v[18:19], v14
	v_cvt_pk_f32_fp8_sdwa v[20:21], v14 src0_sel:WORD_1
	v_cvt_pk_f32_fp8_sdwa v[30:31], v16 src0_sel:WORD_1
	v_mfma_f32_16x16x16_bf16 v[6:9], v[24:25], v[44:45], v[6:9]
	v_cvt_pk_f32_fp8_e32 v[24:25], v15
	v_perm_b32 v18, v19, v18, s9
	v_perm_b32 v19, v21, v20, s9
	v_cvt_pk_f32_fp8_sdwa v[14:15], v15 src0_sel:WORD_1
	v_perm_b32 v20, v25, v24, s9
	v_cvt_pk_f32_fp8_e32 v[24:25], v16
	v_mfma_f32_16x16x16_bf16 v[6:9], v[18:19], v[2:3], v[6:9]
	v_perm_b32 v21, v15, v14, s9
	v_perm_b32 v14, v25, v24, s9
	;; [unrolled: 1-line block ×3, first 2 shown]
	v_cvt_pk_f32_fp8_e32 v[18:19], v17
	v_cvt_pk_f32_fp8_sdwa v[16:17], v17 src0_sel:WORD_1
	v_mfma_f32_16x16x16_bf16 v[2:5], v[20:21], v[4:5], v[6:9]
	v_add3_u32 v32, v66, v58, s11
	v_add3_u32 v33, v67, v57, s11
	s_nop 0
	v_perm_b32 v8, v19, v18, s9
	v_perm_b32 v9, v17, v16, s9
	v_mfma_f32_16x16x16_bf16 v[2:5], v[14:15], v[46:47], v[2:5]
	s_waitcnt vmcnt(0)
	v_cvt_pk_f32_fp8_e32 v[14:15], v10
	v_cvt_pk_f32_fp8_sdwa v[16:17], v10 src0_sel:WORD_1
	v_cvt_pk_f32_fp8_sdwa v[18:19], v12 src0_sel:WORD_1
	v_mfma_f32_16x16x16_bf16 v[2:5], v[8:9], v[48:49], v[2:5]
	v_cvt_pk_f32_fp8_e32 v[8:9], v11
	v_perm_b32 v14, v15, v14, s9
	v_perm_b32 v15, v17, v16, s9
	v_cvt_pk_f32_fp8_sdwa v[10:11], v11 src0_sel:WORD_1
	v_perm_b32 v8, v9, v8, s9
	v_cvt_pk_f32_fp8_e32 v[16:17], v12
	v_mfma_f32_16x16x16_bf16 v[2:5], v[14:15], v[26:27], v[2:5]
	v_perm_b32 v9, v11, v10, s9
	v_perm_b32 v10, v17, v16, s9
	;; [unrolled: 1-line block ×3, first 2 shown]
	v_cvt_pk_f32_fp8_e32 v[14:15], v13
	v_cvt_pk_f32_fp8_sdwa v[12:13], v13 src0_sel:WORD_1
	v_mfma_f32_16x16x16_bf16 v[2:5], v[8:9], v[28:29], v[2:5]
	v_bfe_u32 v7, v23, 16, 1
	v_perm_b32 v8, v15, v14, s9
	v_perm_b32 v9, v13, v12, s9
	v_mfma_f32_16x16x16_bf16 v[2:5], v[10:11], v[50:51], v[2:5]
	v_bfe_u32 v16, v22, 16, 1
	v_add3_u32 v10, v22, v16, s11
	v_add3_u32 v7, v23, v7, s11
	v_mfma_f32_16x16x16_bf16 v[2:5], v[8:9], v[52:53], v[2:5]
	v_perm_b32 v6, v33, v32, s9
	v_perm_b32 v7, v7, v10, s9
	s_nop 4
	v_pk_mul_f32 v[2:3], v[2:3], s[8:9] op_sel_hi:[1,0]
	v_pk_mul_f32 v[4:5], v[4:5], s[8:9] op_sel_hi:[1,0]
	v_bfe_u32 v8, v3, 16, 1
	v_bfe_u32 v9, v2, 16, 1
	v_add3_u32 v2, v2, v9, s11
	v_add3_u32 v3, v3, v8, s11
	v_perm_b32 v2, v3, v2, s9
	v_bfe_u32 v3, v5, 16, 1
	v_bfe_u32 v8, v4, 16, 1
	v_add3_u32 v4, v4, v8, s11
	v_add3_u32 v3, v5, v3, s11
	v_perm_b32 v3, v3, v4, s9
	ds_write2st64_b64 v55, v[6:7], v[2:3] offset1:1
	s_waitcnt lgkmcnt(0)
	s_barrier
	s_and_saveexec_b64 s[8:9], vcc
	s_cbranch_execz .LBB1292_20
; %bb.18:
	s_load_dwordx2 s[8:9], s[0:1], 0x68
	s_lshl_b32 s0, s7, 7
	s_mul_i32 s1, s10, s2
	v_lshlrev_b32_e32 v3, 6, v56
	s_mul_hi_u32 s11, s1, s0
	s_mul_i32 s10, s1, s0
	v_lshl_or_b32 v0, v0, 10, v3
	s_lshl_b64 s[10:11], s[10:11], 1
	v_lshlrev_b32_e32 v2, 5, v60
	v_and_b32_e32 v1, 16, v1
	v_and_b32_e32 v0, 0x1a00, v0
	s_waitcnt lgkmcnt(0)
	s_add_u32 s1, s8, s10
	v_or3_b32 v2, v0, v2, v1
	s_addc_u32 s7, s9, s11
	s_lshl_b32 s2, s6, 7
	s_lshl_b64 s[2:3], s[2:3], 1
	ds_read_b128 v[4:7], v2
	s_add_u32 s2, s1, s2
	s_addc_u32 s3, s7, s3
	v_mov_b32_e32 v55, 0
	v_add_u32_e32 v3, s48, v60
	v_lshl_add_u64 v[0:1], s[2:3], 0, v[54:55]
	v_mad_u64_u32 v[8:9], s[2:3], v3, s0, 0
	v_lshl_add_u64 v[8:9], v[8:9], 1, v[0:1]
	s_waitcnt lgkmcnt(0)
	global_store_dwordx4 v[8:9], v[4:7], off
	s_and_b64 exec, exec, s[4:5]
	s_cbranch_execz .LBB1292_20
; %bb.19:
	ds_read_b128 v[2:5], v2 offset:128
	v_add3_u32 v6, s48, v60, 4
	v_mad_u64_u32 v[6:7], s[0:1], v6, s0, 0
	v_lshl_add_u64 v[0:1], v[6:7], 1, v[0:1]
	s_waitcnt lgkmcnt(0)
	global_store_dwordx4 v[0:1], v[2:5], off
.LBB1292_20:
	s_endpgm
	.section	.rodata,"a",@progbits
	.p2align	6, 0x0
	.amdhsa_kernel _Z39paged_attention_ll4mi_QKV_mfma16_kernelI14__hip_bfloat16hLN4vllm18Fp8KVCacheDataTypeE1ES0_Li16ELi128ELi256ELb1ELi5EEvPKT_PKT0_S8_ifPKiSA_SA_iPKfiiiPfSD_PS3_PT2_iSC_SC_
		.amdhsa_group_segment_fixed_size 8192
		.amdhsa_private_segment_fixed_size 0
		.amdhsa_kernarg_size 400
		.amdhsa_user_sgpr_count 2
		.amdhsa_user_sgpr_dispatch_ptr 0
		.amdhsa_user_sgpr_queue_ptr 0
		.amdhsa_user_sgpr_kernarg_segment_ptr 1
		.amdhsa_user_sgpr_dispatch_id 0
		.amdhsa_user_sgpr_kernarg_preload_length 0
		.amdhsa_user_sgpr_kernarg_preload_offset 0
		.amdhsa_user_sgpr_private_segment_size 0
		.amdhsa_uses_dynamic_stack 0
		.amdhsa_enable_private_segment 0
		.amdhsa_system_sgpr_workgroup_id_x 1
		.amdhsa_system_sgpr_workgroup_id_y 1
		.amdhsa_system_sgpr_workgroup_id_z 1
		.amdhsa_system_sgpr_workgroup_info 0
		.amdhsa_system_vgpr_workitem_id 0
		.amdhsa_next_free_vgpr 76
		.amdhsa_next_free_sgpr 50
		.amdhsa_accum_offset 76
		.amdhsa_reserve_vcc 1
		.amdhsa_float_round_mode_32 0
		.amdhsa_float_round_mode_16_64 0
		.amdhsa_float_denorm_mode_32 3
		.amdhsa_float_denorm_mode_16_64 3
		.amdhsa_dx10_clamp 1
		.amdhsa_ieee_mode 1
		.amdhsa_fp16_overflow 0
		.amdhsa_tg_split 0
		.amdhsa_exception_fp_ieee_invalid_op 0
		.amdhsa_exception_fp_denorm_src 0
		.amdhsa_exception_fp_ieee_div_zero 0
		.amdhsa_exception_fp_ieee_overflow 0
		.amdhsa_exception_fp_ieee_underflow 0
		.amdhsa_exception_fp_ieee_inexact 0
		.amdhsa_exception_int_div_zero 0
	.end_amdhsa_kernel
	.section	.text._Z39paged_attention_ll4mi_QKV_mfma16_kernelI14__hip_bfloat16hLN4vllm18Fp8KVCacheDataTypeE1ES0_Li16ELi128ELi256ELb1ELi5EEvPKT_PKT0_S8_ifPKiSA_SA_iPKfiiiPfSD_PS3_PT2_iSC_SC_,"axG",@progbits,_Z39paged_attention_ll4mi_QKV_mfma16_kernelI14__hip_bfloat16hLN4vllm18Fp8KVCacheDataTypeE1ES0_Li16ELi128ELi256ELb1ELi5EEvPKT_PKT0_S8_ifPKiSA_SA_iPKfiiiPfSD_PS3_PT2_iSC_SC_,comdat
.Lfunc_end1292:
	.size	_Z39paged_attention_ll4mi_QKV_mfma16_kernelI14__hip_bfloat16hLN4vllm18Fp8KVCacheDataTypeE1ES0_Li16ELi128ELi256ELb1ELi5EEvPKT_PKT0_S8_ifPKiSA_SA_iPKfiiiPfSD_PS3_PT2_iSC_SC_, .Lfunc_end1292-_Z39paged_attention_ll4mi_QKV_mfma16_kernelI14__hip_bfloat16hLN4vllm18Fp8KVCacheDataTypeE1ES0_Li16ELi128ELi256ELb1ELi5EEvPKT_PKT0_S8_ifPKiSA_SA_iPKfiiiPfSD_PS3_PT2_iSC_SC_
                                        ; -- End function
	.section	.AMDGPU.csdata,"",@progbits
; Kernel info:
; codeLenInByte = 6596
; NumSgprs: 56
; NumVgprs: 76
; NumAgprs: 0
; TotalNumVgprs: 76
; ScratchSize: 0
; MemoryBound: 0
; FloatMode: 240
; IeeeMode: 1
; LDSByteSize: 8192 bytes/workgroup (compile time only)
; SGPRBlocks: 6
; VGPRBlocks: 9
; NumSGPRsForWavesPerEU: 56
; NumVGPRsForWavesPerEU: 76
; AccumOffset: 76
; Occupancy: 6
; WaveLimiterHint : 1
; COMPUTE_PGM_RSRC2:SCRATCH_EN: 0
; COMPUTE_PGM_RSRC2:USER_SGPR: 2
; COMPUTE_PGM_RSRC2:TRAP_HANDLER: 0
; COMPUTE_PGM_RSRC2:TGID_X_EN: 1
; COMPUTE_PGM_RSRC2:TGID_Y_EN: 1
; COMPUTE_PGM_RSRC2:TGID_Z_EN: 1
; COMPUTE_PGM_RSRC2:TIDIG_COMP_CNT: 0
; COMPUTE_PGM_RSRC3_GFX90A:ACCUM_OFFSET: 18
; COMPUTE_PGM_RSRC3_GFX90A:TG_SPLIT: 0
	.section	.text._Z39paged_attention_ll4mi_QKV_mfma16_kernelI14__hip_bfloat16hLN4vllm18Fp8KVCacheDataTypeE1ES0_Li16ELi128ELi256ELb1ELi6EEvPKT_PKT0_S8_ifPKiSA_SA_iPKfiiiPfSD_PS3_PT2_iSC_SC_,"axG",@progbits,_Z39paged_attention_ll4mi_QKV_mfma16_kernelI14__hip_bfloat16hLN4vllm18Fp8KVCacheDataTypeE1ES0_Li16ELi128ELi256ELb1ELi6EEvPKT_PKT0_S8_ifPKiSA_SA_iPKfiiiPfSD_PS3_PT2_iSC_SC_,comdat
	.protected	_Z39paged_attention_ll4mi_QKV_mfma16_kernelI14__hip_bfloat16hLN4vllm18Fp8KVCacheDataTypeE1ES0_Li16ELi128ELi256ELb1ELi6EEvPKT_PKT0_S8_ifPKiSA_SA_iPKfiiiPfSD_PS3_PT2_iSC_SC_ ; -- Begin function _Z39paged_attention_ll4mi_QKV_mfma16_kernelI14__hip_bfloat16hLN4vllm18Fp8KVCacheDataTypeE1ES0_Li16ELi128ELi256ELb1ELi6EEvPKT_PKT0_S8_ifPKiSA_SA_iPKfiiiPfSD_PS3_PT2_iSC_SC_
	.globl	_Z39paged_attention_ll4mi_QKV_mfma16_kernelI14__hip_bfloat16hLN4vllm18Fp8KVCacheDataTypeE1ES0_Li16ELi128ELi256ELb1ELi6EEvPKT_PKT0_S8_ifPKiSA_SA_iPKfiiiPfSD_PS3_PT2_iSC_SC_
	.p2align	8
	.type	_Z39paged_attention_ll4mi_QKV_mfma16_kernelI14__hip_bfloat16hLN4vllm18Fp8KVCacheDataTypeE1ES0_Li16ELi128ELi256ELb1ELi6EEvPKT_PKT0_S8_ifPKiSA_SA_iPKfiiiPfSD_PS3_PT2_iSC_SC_,@function
_Z39paged_attention_ll4mi_QKV_mfma16_kernelI14__hip_bfloat16hLN4vllm18Fp8KVCacheDataTypeE1ES0_Li16ELi128ELi256ELb1ELi6EEvPKT_PKT0_S8_ifPKiSA_SA_iPKfiiiPfSD_PS3_PT2_iSC_SC_: ; @_Z39paged_attention_ll4mi_QKV_mfma16_kernelI14__hip_bfloat16hLN4vllm18Fp8KVCacheDataTypeE1ES0_Li16ELi128ELi256ELb1ELi6EEvPKT_PKT0_S8_ifPKiSA_SA_iPKfiiiPfSD_PS3_PT2_iSC_SC_
; %bb.0:
	s_load_dwordx2 s[10:11], s[0:1], 0x30
	s_mov_b32 s6, s3
	s_mov_b64 s[8:9], 0
	s_waitcnt lgkmcnt(0)
	s_cmp_lg_u64 s[10:11], 0
	s_cselect_b64 s[12:13], -1, 0
	s_and_b64 vcc, exec, s[12:13]
	s_cbranch_vccz .LBB1293_7
; %bb.1:
	s_add_i32 s14, s2, 1
	s_mov_b32 s15, 0
	s_lshl_b64 s[16:17], s[14:15], 2
	s_add_u32 s16, s10, s16
	s_mov_b32 s3, s15
	s_addc_u32 s17, s11, s17
	s_lshl_b64 s[14:15], s[2:3], 2
	s_add_u32 s14, s10, s14
	s_addc_u32 s15, s11, s15
	s_load_dword s5, s[16:17], 0x0
	s_load_dword s7, s[14:15], 0x0
	s_waitcnt lgkmcnt(0)
	s_sub_i32 s5, s5, s7
	s_cmp_eq_u32 s5, 1
	s_cselect_b64 s[14:15], -1, 0
	s_andn2_b64 vcc, exec, s[8:9]
	s_cbranch_vccnz .LBB1293_3
.LBB1293_2:
	s_mov_b32 s3, 0
	s_mov_b64 s[14:15], -1
.LBB1293_3:
	s_andn2_b64 vcc, exec, s[14:15]
	s_cbranch_vccnz .LBB1293_20
; %bb.4:
	s_load_dwordx2 s[8:9], s[0:1], 0x28
	s_lshl_b64 s[16:17], s[2:3], 2
	s_waitcnt lgkmcnt(0)
	s_add_u32 s8, s8, s16
	s_addc_u32 s9, s9, s17
	s_load_dword s7, s[8:9], 0x0
	s_lshl_b32 s18, s6, 8
	s_waitcnt lgkmcnt(0)
	s_cmp_ge_i32 s18, s7
	s_cbranch_scc1 .LBB1293_20
; %bb.5:
	s_load_dwordx2 s[8:9], s[0:1], 0x20
	s_load_dword s5, s[0:1], 0x38
	s_add_i32 s14, s7, 15
	s_ashr_i32 s15, s14, 31
	v_and_b32_e32 v1, 0xcf, v0
	s_lshr_b32 s15, s15, 28
	v_add_u32_e32 v1, s18, v1
	s_add_i32 s14, s14, s15
	v_ashrrev_i32_e32 v2, 31, v1
	s_ashr_i32 s19, s14, 4
	v_lshrrev_b32_e32 v4, 28, v2
	s_add_i32 s19, s19, -1
	s_waitcnt lgkmcnt(0)
	s_mul_i32 s14, s2, s5
	s_mov_b32 s15, 0
	v_add_u32_e32 v2, v1, v4
	s_lshl_b64 s[14:15], s[14:15], 2
	v_ashrrev_i32_e32 v2, 4, v2
	v_mov_b32_e32 v5, s19
	v_cmp_gt_i32_e32 vcc, s7, v1
	s_add_u32 s8, s8, s14
	s_addc_u32 s9, s9, s15
	v_cndmask_b32_e32 v2, v5, v2, vcc
	v_ashrrev_i32_e32 v3, 31, v2
	v_lshl_add_u64 v[6:7], v[2:3], 2, s[8:9]
	v_or_b32_e32 v2, 16, v1
	v_add_u32_e32 v3, v2, v4
	v_ashrrev_i32_e32 v3, 4, v3
	v_cmp_gt_i32_e32 vcc, s7, v2
	s_load_dwordx2 s[14:15], s[0:1], 0x8
	s_nop 0
	v_cndmask_b32_e32 v2, v5, v3, vcc
	v_ashrrev_i32_e32 v3, 31, v2
	v_lshl_add_u64 v[8:9], v[2:3], 2, s[8:9]
	v_or_b32_e32 v2, 32, v1
	v_add_u32_e32 v3, v2, v4
	v_ashrrev_i32_e32 v3, 4, v3
	v_cmp_gt_i32_e32 vcc, s7, v2
	v_or_b32_e32 v1, 48, v1
	s_nop 0
	v_cndmask_b32_e32 v2, v5, v3, vcc
	v_ashrrev_i32_e32 v3, 31, v2
	v_lshl_add_u64 v[12:13], v[2:3], 2, s[8:9]
	v_add_u32_e32 v2, v1, v4
	v_ashrrev_i32_e32 v2, 4, v2
	v_cmp_gt_i32_e32 vcc, s7, v1
	s_nop 1
	v_cndmask_b32_e32 v2, v5, v2, vcc
	v_ashrrev_i32_e32 v3, 31, v2
	v_lshl_add_u64 v[14:15], v[2:3], 2, s[8:9]
	global_load_dword v4, v[6:7], off
	global_load_dword v3, v[8:9], off
	global_load_dword v2, v[12:13], off
	global_load_dword v10, v[14:15], off
	s_andn2_b64 vcc, exec, s[12:13]
	s_cbranch_vccnz .LBB1293_8
; %bb.6:
	s_add_u32 s10, s10, s16
	s_addc_u32 s11, s11, s17
	s_load_dword s5, s[10:11], 0x0
	s_branch .LBB1293_9
.LBB1293_7:
	s_mov_b64 s[14:15], 0
	s_branch .LBB1293_2
.LBB1293_8:
	s_mov_b32 s5, s2
.LBB1293_9:
	s_load_dwordx2 s[10:11], s[0:1], 0x10
	s_load_dwordx4 s[44:47], s[0:1], 0x48
	v_lshrrev_b32_e32 v57, 6, v0
	v_bfe_u32 v60, v0, 4, 2
	v_and_b32_e32 v56, 15, v0
	v_lshl_or_b32 v5, v57, 2, v60
	v_lshlrev_b32_e32 v1, 3, v56
	s_mul_i32 s48, s4, 6
	v_cmp_gt_u32_e32 vcc, 6, v5
	v_lshlrev_b32_e32 v54, 1, v1
	v_lshlrev_b32_e32 v1, 4, v0
	s_and_saveexec_b64 s[12:13], vcc
	s_cbranch_execz .LBB1293_11
; %bb.10:
	s_load_dwordx2 s[16:17], s[0:1], 0x0
	s_waitcnt lgkmcnt(0)
	s_ashr_i32 s20, s44, 31
	s_mul_hi_u32 s21, s5, s44
	s_mul_i32 s20, s5, s20
	s_add_i32 s21, s21, s20
	s_mul_i32 s20, s5, s44
	s_lshl_b64 s[20:21], s[20:21], 1
	s_add_u32 s16, s16, s20
	v_add_lshl_u32 v6, v5, s48, 7
	s_addc_u32 s17, s17, s21
	v_ashrrev_i32_e32 v7, 31, v6
	v_lshl_add_u64 v[6:7], v[6:7], 1, s[16:17]
	v_mov_b32_e32 v55, 0
	v_lshl_add_u64 v[6:7], v[6:7], 0, v[54:55]
	global_load_dwordx4 v[6:9], v[6:7], off
	v_lshlrev_b32_e32 v12, 8, v0
	v_lshlrev_b32_e32 v11, 8, v56
	v_and_b32_e32 v12, 0x600, v12
	s_movk_i32 s5, 0x800
	v_and_or_b32 v11, v11, s5, v12
	v_lshlrev_b32_e32 v5, 5, v5
	v_and_b32_e32 v12, 16, v1
	v_or3_b32 v5, v11, v5, v12
	s_waitcnt vmcnt(0)
	ds_write_b128 v5, v[6:9]
.LBB1293_11:
	s_or_b64 exec, exec, s[12:13]
	s_waitcnt lgkmcnt(0)
	s_mul_i32 s12, s4, s46
	s_add_u32 s4, s14, s12
	s_addc_u32 s5, s15, 0
	v_and_b32_e32 v58, 0xf0, v1
	v_mov_b32_e32 v59, 0
	v_and_b32_e32 v34, 48, v0
	v_lshl_add_u64 v[12:13], s[4:5], 0, v[58:59]
	v_lshlrev_b32_e32 v58, 4, v34
	s_waitcnt vmcnt(3)
	v_mad_i64_i32 v[4:5], s[4:5], v4, s45, v[12:13]
	v_lshl_add_u64 v[4:5], v[4:5], 0, v[58:59]
	s_barrier
	global_load_dwordx4 v[50:53], v[4:5], off
	global_load_dwordx4 v[46:49], v[4:5], off offset:1024
	s_waitcnt vmcnt(4)
	v_mad_i64_i32 v[4:5], s[4:5], v3, s45, v[12:13]
	s_waitcnt vmcnt(3)
	v_mad_i64_i32 v[2:3], s[4:5], v2, s45, v[12:13]
	v_lshl_add_u64 v[4:5], v[4:5], 0, v[58:59]
	v_lshl_add_u64 v[14:15], v[2:3], 0, v[58:59]
	s_waitcnt vmcnt(2)
	v_mad_i64_i32 v[10:11], s[4:5], v10, s45, v[12:13]
	global_load_dwordx4 v[36:39], v[4:5], off
	global_load_dwordx4 v[6:9], v[4:5], off offset:1024
	s_nop 0
	global_load_dwordx4 v[2:5], v[14:15], off
	global_load_dwordx4 v[42:45], v[14:15], off offset:1024
	v_lshl_add_u64 v[14:15], v[10:11], 0, v[58:59]
	global_load_dwordx4 v[22:25], v[14:15], off
	global_load_dwordx4 v[10:13], v[14:15], off offset:1024
	v_mul_lo_u16_e32 v14, 43, v56
	v_mov_b32_e32 v15, 6
	v_mul_lo_u16_sdwa v14, v14, v15 dst_sel:DWORD dst_unused:UNUSED_PAD src0_sel:BYTE_1 src1_sel:DWORD
	v_sub_u16_e32 v14, v56, v14
	v_mov_b32_e32 v15, 5
	v_lshlrev_b32_sdwa v14, v15, v14 dst_sel:DWORD dst_unused:UNUSED_PAD src0_sel:DWORD src1_sel:BYTE_0
	v_lshl_add_u32 v14, v60, 9, v14
	ds_read_b128 v[30:33], v14
	ds_read_b128 v[26:29], v14 offset:16
	ds_read_b128 v[18:21], v14 offset:2048
	;; [unrolled: 1-line block ×3, first 2 shown]
	v_and_b32_e32 v55, 63, v0
	v_cmp_gt_u32_e32 vcc, 6, v56
	v_mov_b32_e32 v61, 0
	s_and_saveexec_b64 s[4:5], vcc
	s_cbranch_execz .LBB1293_13
; %bb.12:
	s_load_dwordx2 s[14:15], s[0:1], 0x40
	v_add_u32_e32 v40, s48, v56
	v_ashrrev_i32_e32 v41, 31, v40
	s_waitcnt lgkmcnt(0)
	v_lshl_add_u64 v[40:41], v[40:41], 2, s[14:15]
	global_load_dword v61, v[40:41], off
.LBB1293_13:
	s_or_b64 exec, exec, s[4:5]
	v_or_b32_e32 v58, s18, v34
	v_ashrrev_i32_e32 v34, 4, v58
	v_mov_b32_e32 v63, s19
	v_cmp_gt_i32_e32 vcc, s7, v58
	s_waitcnt vmcnt(7)
	v_cvt_pk_f32_fp8_e32 v[40:41], v50
	v_cvt_pk_f32_fp8_sdwa v[64:65], v50 src0_sel:WORD_1
	v_cndmask_b32_e32 v34, v63, v34, vcc
	v_ashrrev_i32_e32 v35, 31, v34
	v_lshl_add_u64 v[34:35], v[34:35], 2, s[8:9]
	global_load_dword v62, v[34:35], off
	v_or_b32_e32 v34, 64, v58
	v_ashrrev_i32_e32 v35, 4, v34
	v_cmp_gt_i32_e32 vcc, s7, v34
	v_or_b32_e32 v66, 0x80, v58
	v_ashrrev_i32_e32 v67, 4, v66
	v_cndmask_b32_e32 v34, v63, v35, vcc
	v_cmp_gt_i32_e32 vcc, s7, v66
	s_mov_b32 s33, 0x7060302
	v_perm_b32 v40, v41, v40, s33
	v_cndmask_b32_e32 v50, v63, v67, vcc
	v_perm_b32 v41, v65, v64, s33
	v_cvt_pk_f32_fp8_e32 v[64:65], v51
	v_cvt_pk_f32_fp8_sdwa v[66:67], v51 src0_sel:WORD_1
	v_ashrrev_i32_e32 v51, 31, v50
	v_lshl_add_u64 v[68:69], v[50:51], 2, s[8:9]
	v_perm_b32 v50, v65, v64, s33
	v_perm_b32 v51, v67, v66, s33
	s_waitcnt lgkmcnt(3)
	v_mfma_f32_16x16x16_bf16 v[64:67], v[40:41], v[30:31], 0
	v_cvt_pk_f32_fp8_e32 v[40:41], v52
	v_cvt_pk_f32_fp8_sdwa v[70:71], v52 src0_sel:WORD_1
	s_waitcnt vmcnt(7)
	v_cvt_pk_f32_fp8_e32 v[72:73], v46
	v_mfma_f32_16x16x16_bf16 v[64:67], v[50:51], v[32:33], v[64:67]
	v_cvt_pk_f32_fp8_e32 v[50:51], v53
	v_perm_b32 v40, v41, v40, s33
	v_perm_b32 v41, v71, v70, s33
	v_cvt_pk_f32_fp8_sdwa v[52:53], v53 src0_sel:WORD_1
	v_perm_b32 v70, v51, v50, s33
	v_cvt_pk_f32_fp8_sdwa v[74:75], v46 src0_sel:WORD_1
	v_ashrrev_i32_e32 v35, 31, v34
	v_perm_b32 v71, v53, v52, s33
	s_waitcnt lgkmcnt(2)
	v_mfma_f32_16x16x16_bf16 v[50:53], v[40:41], v[26:27], v[64:67]
	v_perm_b32 v40, v73, v72, s33
	v_perm_b32 v41, v75, v74, s33
	v_or_b32_e32 v58, 0xc0, v58
	v_cvt_pk_f32_fp8_e32 v[64:65], v47
	v_cvt_pk_f32_fp8_sdwa v[46:47], v47 src0_sel:WORD_1
	v_mfma_f32_16x16x16_bf16 v[50:53], v[70:71], v[28:29], v[50:53]
	v_lshl_add_u64 v[34:35], v[34:35], 2, s[8:9]
	v_perm_b32 v64, v65, v64, s33
	v_perm_b32 v65, v47, v46, s33
	s_waitcnt lgkmcnt(1)
	v_mfma_f32_16x16x16_bf16 v[50:53], v[40:41], v[18:19], v[50:53]
	v_ashrrev_i32_e32 v66, 4, v58
	v_cmp_gt_i32_e32 vcc, s7, v58
	v_cvt_pk_f32_fp8_e32 v[46:47], v48
	s_waitcnt vmcnt(6)
	v_cvt_pk_f32_fp8_sdwa v[70:71], v36 src0_sel:WORD_1
	v_cndmask_b32_e32 v40, v63, v66, vcc
	v_mfma_f32_16x16x16_bf16 v[64:67], v[64:65], v[20:21], v[50:53]
	v_ashrrev_i32_e32 v41, 31, v40
	v_lshl_add_u64 v[40:41], v[40:41], 2, s[8:9]
	v_perm_b32 v46, v47, v46, s33
	global_load_dword v53, v[34:35], off
	global_load_dword v63, v[40:41], off
	v_cvt_pk_f32_fp8_sdwa v[50:51], v48 src0_sel:WORD_1
	v_cvt_pk_f32_fp8_e32 v[34:35], v49
	v_cvt_pk_f32_fp8_sdwa v[48:49], v49 src0_sel:WORD_1
	s_add_u32 s46, s10, s12
	v_perm_b32 v47, v51, v50, s33
	v_perm_b32 v34, v35, v34, s33
	;; [unrolled: 1-line block ×3, first 2 shown]
	s_waitcnt lgkmcnt(0)
	v_mfma_f32_16x16x16_bf16 v[46:49], v[46:47], v[14:15], v[64:67]
	v_cvt_pk_f32_fp8_e32 v[50:51], v36
	s_nop 1
	global_load_dword v64, v[68:69], off
	v_cvt_pk_f32_fp8_e32 v[66:67], v37
	s_waitcnt vmcnt(8)
	v_cvt_pk_f32_fp8_e32 v[68:69], v6
	v_perm_b32 v50, v51, v50, s33
	v_perm_b32 v51, v71, v70, s33
	v_cvt_pk_f32_fp8_sdwa v[70:71], v37 src0_sel:WORD_1
	v_perm_b32 v40, v67, v66, s33
	v_mfma_f32_16x16x16_bf16 v[34:37], v[34:35], v[16:17], v[46:49]
	v_cvt_pk_f32_fp8_sdwa v[66:67], v38 src0_sel:WORD_1
	v_perm_b32 v41, v71, v70, s33
	v_cvt_pk_f32_fp8_sdwa v[70:71], v6 src0_sel:WORD_1
	v_mfma_f32_16x16x16_bf16 v[46:49], v[50:51], v[30:31], 0
	v_cvt_pk_f32_fp8_e32 v[50:51], v38
	v_lshl_or_b32 v52, v57, 4, v56
	s_waitcnt vmcnt(6)
	v_cvt_pk_f32_fp8_e32 v[72:73], v43
	v_mfma_f32_16x16x16_bf16 v[46:49], v[40:41], v[32:33], v[46:49]
	v_cvt_pk_f32_fp8_e32 v[40:41], v39
	v_perm_b32 v50, v51, v50, s33
	v_perm_b32 v51, v67, v66, s33
	v_cvt_pk_f32_fp8_sdwa v[38:39], v39 src0_sel:WORD_1
	v_perm_b32 v66, v41, v40, s33
	s_addc_u32 s47, s11, 0
	v_lshlrev_b32_e32 v58, 4, v52
	v_perm_b32 v67, v39, v38, s33
	v_mfma_f32_16x16x16_bf16 v[38:41], v[50:51], v[26:27], v[46:49]
	v_cvt_pk_f32_fp8_sdwa v[50:51], v2 src0_sel:WORD_1
	s_nop 1
	v_perm_b32 v46, v69, v68, s33
	v_perm_b32 v47, v71, v70, s33
	v_cvt_pk_f32_fp8_e32 v[48:49], v7
	v_cvt_pk_f32_fp8_sdwa v[6:7], v7 src0_sel:WORD_1
	v_mfma_f32_16x16x16_bf16 v[38:41], v[66:67], v[28:29], v[38:41]
	v_lshl_add_u64 v[70:71], s[46:47], 0, v[58:59]
	v_perm_b32 v48, v49, v48, s33
	v_perm_b32 v49, v7, v6, s33
	v_mfma_f32_16x16x16_bf16 v[38:41], v[46:47], v[18:19], v[38:41]
	v_cvt_pk_f32_fp8_e32 v[6:7], v8
	v_cvt_pk_f32_fp8_sdwa v[46:47], v8 src0_sel:WORD_1
	v_or_b32_e32 v58, 0x400, v58
	v_mfma_f32_16x16x16_bf16 v[38:41], v[48:49], v[20:21], v[38:41]
	v_cvt_pk_f32_fp8_e32 v[48:49], v9
	v_perm_b32 v6, v7, v6, s33
	v_perm_b32 v7, v47, v46, s33
	v_cvt_pk_f32_fp8_sdwa v[8:9], v9 src0_sel:WORD_1
	v_perm_b32 v46, v49, v48, s33
	v_cvt_pk_f32_fp8_e32 v[48:49], v2
	v_perm_b32 v47, v9, v8, s33
	v_mfma_f32_16x16x16_bf16 v[6:9], v[6:7], v[14:15], v[38:41]
	v_perm_b32 v48, v49, v48, s33
	v_perm_b32 v49, v51, v50, s33
	v_cvt_pk_f32_fp8_e32 v[50:51], v3
	v_cvt_pk_f32_fp8_sdwa v[2:3], v3 src0_sel:WORD_1
	v_mfma_f32_16x16x16_bf16 v[38:41], v[46:47], v[16:17], v[6:9]
	v_perm_b32 v46, v51, v50, s33
	v_perm_b32 v47, v3, v2, s33
	v_mfma_f32_16x16x16_bf16 v[6:9], v[48:49], v[30:31], 0
	v_cvt_pk_f32_fp8_e32 v[2:3], v4
	v_cvt_pk_f32_fp8_sdwa v[48:49], v4 src0_sel:WORD_1
	s_waitcnt vmcnt(3)
	v_mad_i64_i32 v[50:51], s[4:5], v62, s45, v[70:71]
	v_perm_b32 v2, v3, v2, s33
	v_perm_b32 v3, v49, v48, s33
	v_mfma_f32_16x16x16_bf16 v[6:9], v[46:47], v[32:33], v[6:9]
	v_cvt_pk_f32_fp8_e32 v[46:47], v5
	v_cvt_pk_f32_fp8_sdwa v[4:5], v5 src0_sel:WORD_1
	s_waitcnt vmcnt(2)
	v_mad_i64_i32 v[66:67], s[4:5], v53, s45, v[70:71]
	v_perm_b32 v46, v47, v46, s33
	v_perm_b32 v47, v5, v4, s33
	v_mfma_f32_16x16x16_bf16 v[2:5], v[2:3], v[26:27], v[6:9]
	s_nop 2
	v_cvt_pk_f32_fp8_e32 v[6:7], v42
	v_cvt_pk_f32_fp8_sdwa v[8:9], v42 src0_sel:WORD_1
	v_cvt_pk_f32_fp8_sdwa v[42:43], v43 src0_sel:WORD_1
	v_mfma_f32_16x16x16_bf16 v[46:49], v[46:47], v[28:29], v[2:5]
	v_perm_b32 v68, v7, v6, s33
	v_perm_b32 v69, v9, v8, s33
	global_load_dwordx4 v[6:9], v[50:51], off
	global_load_dwordx4 v[2:5], v[66:67], off
	v_perm_b32 v66, v73, v72, s33
	v_perm_b32 v67, v43, v42, s33
	v_mfma_f32_16x16x16_bf16 v[48:51], v[68:69], v[18:19], v[46:49]
	v_cvt_pk_f32_fp8_e32 v[42:43], v44
	v_cvt_pk_f32_fp8_sdwa v[72:73], v44 src0_sel:WORD_1
	s_waitcnt vmcnt(2)
	v_mad_i64_i32 v[46:47], s[4:5], v64, s45, v[70:71]
	v_mfma_f32_16x16x16_bf16 v[66:69], v[66:67], v[20:21], v[48:51]
	v_perm_b32 v42, v43, v42, s33
	v_perm_b32 v43, v73, v72, s33
	v_cvt_pk_f32_fp8_sdwa v[72:73], v22 src0_sel:WORD_1
	v_cvt_pk_f32_fp8_e32 v[50:51], v45
	v_cvt_pk_f32_fp8_sdwa v[44:45], v45 src0_sel:WORD_1
	v_mad_i64_i32 v[48:49], s[4:5], v63, s45, v[70:71]
	v_perm_b32 v50, v51, v50, s33
	v_perm_b32 v51, v45, v44, s33
	v_mfma_f32_16x16x16_bf16 v[42:45], v[42:43], v[14:15], v[66:69]
	v_cvt_pk_f32_fp8_e32 v[70:71], v22
	s_load_dword s4, s[0:1], 0x1c
	s_load_dwordx4 s[40:43], s[0:1], 0x80
	s_load_dword s44, s[0:1], 0x98
	s_waitcnt lgkmcnt(0)
	s_load_dword s5, s[40:41], 0x0
	v_mfma_f32_16x16x16_bf16 v[66:69], v[50:51], v[16:17], v[42:45]
	s_mov_b32 s40, 0xff7fffff
	s_nop 1
	v_cvt_pk_f32_fp8_e32 v[42:43], v23
	v_perm_b32 v44, v71, v70, s33
	v_perm_b32 v45, v73, v72, s33
	v_cvt_pk_f32_fp8_sdwa v[22:23], v23 src0_sel:WORD_1
	v_perm_b32 v50, v43, v42, s33
	v_cvt_pk_f32_fp8_e32 v[70:71], v24
	v_cvt_pk_f32_fp8_sdwa v[72:73], v24 src0_sel:WORD_1
	v_perm_b32 v51, v23, v22, s33
	v_mfma_f32_16x16x16_bf16 v[42:45], v[44:45], v[30:31], 0
	v_perm_b32 v30, v71, v70, s33
	v_perm_b32 v31, v73, v72, s33
	v_cvt_pk_f32_fp8_e32 v[70:71], v25
	v_cvt_pk_f32_fp8_sdwa v[72:73], v25 src0_sel:WORD_1
	v_mfma_f32_16x16x16_bf16 v[22:25], v[50:51], v[32:33], v[42:45]
	v_mov_b32_e32 v32, s4
	s_waitcnt lgkmcnt(0)
	v_mul_f32_e32 v50, s5, v32
	v_pk_mul_f32 v[32:33], v[50:51], v[34:35] op_sel_hi:[0,1]
	v_perm_b32 v42, v71, v70, s33
	v_perm_b32 v43, v73, v72, s33
	v_mfma_f32_16x16x16_bf16 v[22:25], v[30:31], v[26:27], v[22:25]
	v_pk_mul_f32 v[30:31], v[50:51], v[36:37] op_sel_hi:[0,1]
	v_cvt_pk_f32_fp8_e32 v[26:27], v11
	v_cvt_pk_f32_fp8_sdwa v[70:71], v12 src0_sel:WORD_1
	v_mfma_f32_16x16x16_bf16 v[34:37], v[42:43], v[28:29], v[22:25]
	v_pk_mul_f32 v[40:41], v[50:51], v[40:41] op_sel_hi:[0,1]
	v_perm_b32 v44, v27, v26, s33
	s_nop 0
	v_cvt_pk_f32_fp8_e32 v[22:23], v10
	v_cvt_pk_f32_fp8_sdwa v[24:25], v10 src0_sel:WORD_1
	v_cvt_pk_f32_fp8_sdwa v[10:11], v11 src0_sel:WORD_1
	v_perm_b32 v42, v23, v22, s33
	v_perm_b32 v43, v25, v24, s33
	;; [unrolled: 1-line block ×3, first 2 shown]
	v_cvt_pk_f32_fp8_e32 v[10:11], v12
	v_mfma_f32_16x16x16_bf16 v[34:37], v[42:43], v[18:19], v[34:37]
	global_load_dwordx4 v[26:29], v[46:47], off
	global_load_dwordx4 v[22:25], v[48:49], off
	v_perm_b32 v18, v11, v10, s33
	v_perm_b32 v19, v71, v70, s33
	v_cvt_pk_f32_fp8_e32 v[42:43], v13
	v_cvt_pk_f32_fp8_sdwa v[46:47], v13 src0_sel:WORD_1
	v_mfma_f32_16x16x16_bf16 v[10:13], v[44:45], v[20:21], v[34:37]
	v_pk_mul_f32 v[44:45], v[50:51], v[38:39] op_sel_hi:[0,1]
	v_perm_b32 v20, v43, v42, s33
	v_perm_b32 v21, v47, v46, s33
	v_mfma_f32_16x16x16_bf16 v[10:13], v[18:19], v[14:15], v[10:13]
	v_pk_mul_f32 v[38:39], v[50:51], v[68:69] op_sel_hi:[0,1]
	v_pk_mul_f32 v[42:43], v[50:51], v[66:67] op_sel_hi:[0,1]
	v_mfma_f32_16x16x16_bf16 v[10:13], v[20:21], v[16:17], v[10:13]
	s_nop 6
	v_pk_mul_f32 v[36:37], v[50:51], v[10:11] op_sel_hi:[0,1]
	v_and_b32_e32 v10, 0xc0, v0
	v_add_u32_e32 v10, s18, v10
	v_lshl_or_b32 v10, v60, 2, v10
	v_or_b32_e32 v11, 1, v10
	v_pk_mul_f32 v[34:35], v[50:51], v[12:13] op_sel_hi:[0,1]
	v_subrev_u32_e32 v12, s7, v11
	v_add_u32_e32 v14, 1, v12
	v_add_u32_e32 v15, 2, v12
	v_cvt_f32_i32_e32 v13, v12
	v_cvt_f32_i32_e32 v14, v14
	;; [unrolled: 1-line block ×3, first 2 shown]
	v_add_u32_e32 v16, 3, v12
	v_fma_f32 v18, v61, v13, v32
	v_fmac_f32_e32 v33, v61, v14
	v_fma_f32 v48, v61, v15, v30
	v_add_u32_e32 v13, 16, v12
	v_add_u32_e32 v14, 17, v12
	;; [unrolled: 1-line block ×3, first 2 shown]
	v_cvt_f32_i32_e32 v16, v16
	v_cvt_f32_i32_e32 v13, v13
	;; [unrolled: 1-line block ×4, first 2 shown]
	v_fmac_f32_e32 v31, v61, v16
	v_add_u32_e32 v16, 19, v12
	v_fma_f32 v44, v61, v13, v44
	v_fmac_f32_e32 v45, v61, v14
	v_fma_f32 v40, v61, v15, v40
	v_add_u32_e32 v13, 32, v12
	v_add_u32_e32 v14, 33, v12
	;; [unrolled: 1-line block ×3, first 2 shown]
	v_cvt_f32_i32_e32 v16, v16
	v_cvt_f32_i32_e32 v13, v13
	;; [unrolled: 1-line block ×4, first 2 shown]
	v_fmac_f32_e32 v41, v61, v16
	v_add_u32_e32 v16, 35, v12
	v_fma_f32 v42, v61, v13, v42
	v_fmac_f32_e32 v43, v61, v14
	v_fma_f32 v38, v61, v15, v38
	v_add_u32_e32 v13, 48, v12
	v_add_u32_e32 v14, 49, v12
	;; [unrolled: 1-line block ×4, first 2 shown]
	v_cvt_f32_i32_e32 v12, v12
	v_cvt_f32_i32_e32 v13, v13
	;; [unrolled: 1-line block ×3, first 2 shown]
	v_cmp_gt_i32_e64 s[8:9], s7, v10
	v_fmac_f32_e32 v35, v61, v12
	v_mov_b32_e32 v12, 0xff7fffff
	v_cmp_gt_i32_e64 s[10:11], s7, v11
	v_fma_f32 v36, v61, v13, v36
	v_cndmask_b32_e64 v13, v12, v18, s[8:9]
	v_cndmask_b32_e64 v11, v12, v33, s[10:11]
	v_fmac_f32_e32 v37, v61, v14
	v_max3_f32 v11, v13, s40, v11
	v_or_b32_e32 v13, 2, v10
	v_or_b32_e32 v14, 3, v10
	v_cmp_gt_i32_e64 s[12:13], s7, v13
	v_cmp_gt_i32_e64 s[14:15], s7, v14
	v_cvt_f32_i32_e32 v16, v16
	v_cndmask_b32_e64 v13, v12, v48, s[12:13]
	v_cndmask_b32_e64 v14, v12, v31, s[14:15]
	v_max3_f32 v11, v11, v13, v14
	v_or_b32_e32 v13, 16, v10
	v_or_b32_e32 v14, 17, v10
	v_cmp_gt_i32_e64 s[16:17], s7, v13
	v_cmp_gt_i32_e64 s[18:19], s7, v14
	v_fmac_f32_e32 v39, v61, v16
	v_cndmask_b32_e64 v13, v12, v44, s[16:17]
	v_cndmask_b32_e64 v14, v12, v45, s[18:19]
	v_max3_f32 v11, v11, v13, v14
	v_or_b32_e32 v13, 18, v10
	v_or_b32_e32 v14, 19, v10
	v_cmp_gt_i32_e64 s[20:21], s7, v13
	v_cmp_gt_i32_e64 s[22:23], s7, v14
	v_cvt_f32_i32_e32 v15, v15
	v_cndmask_b32_e64 v13, v12, v40, s[20:21]
	v_cndmask_b32_e64 v14, v12, v41, s[22:23]
	v_max3_f32 v11, v11, v13, v14
	v_or_b32_e32 v13, 32, v10
	v_or_b32_e32 v14, 33, v10
	v_cmp_gt_i32_e64 s[24:25], s7, v13
	v_cmp_gt_i32_e64 s[26:27], s7, v14
	v_fma_f32 v34, v61, v15, v34
	v_cndmask_b32_e64 v13, v12, v42, s[24:25]
	v_cndmask_b32_e64 v14, v12, v43, s[26:27]
	v_max3_f32 v11, v11, v13, v14
	v_or_b32_e32 v13, 34, v10
	v_or_b32_e32 v14, 35, v10
	v_cmp_gt_i32_e64 s[28:29], s7, v13
	v_cmp_gt_i32_e64 s[30:31], s7, v14
	s_nop 0
	v_cndmask_b32_e64 v13, v12, v38, s[28:29]
	v_cndmask_b32_e64 v14, v12, v39, s[30:31]
	v_max3_f32 v11, v11, v13, v14
	v_or_b32_e32 v13, 48, v10
	v_or_b32_e32 v14, 49, v10
	v_cmp_gt_i32_e64 s[34:35], s7, v13
	v_cmp_gt_i32_e64 s[36:37], s7, v14
	s_nop 0
	v_cndmask_b32_e64 v13, v12, v36, s[34:35]
	v_cndmask_b32_e64 v14, v12, v37, s[36:37]
	v_max3_f32 v11, v11, v13, v14
	v_or_b32_e32 v13, 50, v10
	v_or_b32_e32 v10, 51, v10
	v_cmp_gt_i32_e32 vcc, s7, v13
	v_cmp_gt_i32_e64 s[4:5], s7, v10
	s_nop 0
	v_cndmask_b32_e32 v13, v12, v34, vcc
	v_cndmask_b32_e64 v10, v12, v35, s[4:5]
	v_max3_f32 v14, v11, v13, v10
	v_mbcnt_lo_u32_b32 v10, -1, 0
	v_mbcnt_hi_u32_b32 v15, -1, v10
	v_and_b32_e32 v10, 64, v15
	v_add_u32_e32 v16, 64, v10
	v_xor_b32_e32 v10, 32, v15
	v_cmp_lt_i32_e64 s[38:39], v10, v16
	s_nop 1
	v_cndmask_b32_e64 v10, v15, v10, s[38:39]
	v_lshlrev_b32_e32 v51, 2, v10
	ds_bpermute_b32 v17, v51, v14
	v_lshl_add_u64 v[10:11], s[46:47], 0, v[58:59]
	v_mad_i64_i32 v[12:13], s[38:39], v62, s45, v[10:11]
	s_waitcnt lgkmcnt(0)
	v_max_f32_e32 v17, v17, v17
	v_max_f32_e32 v19, v14, v17
	v_xor_b32_e32 v14, 16, v15
	v_cmp_lt_i32_e64 s[38:39], v14, v16
	s_nop 1
	v_cndmask_b32_e64 v14, v15, v14, s[38:39]
	v_lshlrev_b32_e32 v58, 2, v14
	ds_bpermute_b32 v20, v58, v19
	v_mad_i64_i32 v[14:15], s[38:39], v53, s45, v[10:11]
	v_mad_i64_i32 v[16:17], s[38:39], v64, s45, v[10:11]
	s_waitcnt lgkmcnt(0)
	v_max_f32_e32 v20, v20, v20
	v_max_f32_e32 v50, v19, v20
	v_sub_f32_e32 v18, v18, v50
	v_sub_f32_e32 v19, v33, v50
	v_mul_f32_e32 v18, 0x3fb8aa3b, v18
	v_mul_f32_e32 v19, 0x3fb8aa3b, v19
	v_exp_f32_e32 v18, v18
	v_exp_f32_e32 v19, v19
	v_sub_f32_e32 v49, v31, v50
	v_mad_i64_i32 v[10:11], s[38:39], v63, s45, v[10:11]
	v_cndmask_b32_e64 v46, 0, v18, s[8:9]
	v_cndmask_b32_e64 v47, 0, v19, s[10:11]
	global_load_dwordx4 v[30:33], v[12:13], off
	global_load_dwordx4 v[18:21], v[14:15], off
	v_sub_f32_e32 v12, v48, v50
	v_mul_f32_e32 v12, 0x3fb8aa3b, v12
	v_exp_f32_e32 v48, v12
	global_load_dwordx4 v[14:17], v[16:17], off
	s_nop 0
	global_load_dwordx4 v[10:13], v[10:11], off
	v_sub_f32_e32 v40, v40, v50
	v_sub_f32_e32 v42, v42, v50
	v_mul_f32_e32 v40, 0x3fb8aa3b, v40
	v_mul_f32_e32 v42, 0x3fb8aa3b, v42
	v_exp_f32_e32 v40, v40
	v_exp_f32_e32 v53, v42
	v_mul_f32_e32 v49, 0x3fb8aa3b, v49
	v_sub_f32_e32 v44, v44, v50
	v_exp_f32_e32 v49, v49
	v_mul_f32_e32 v44, 0x3fb8aa3b, v44
	v_sub_f32_e32 v45, v45, v50
	v_sub_f32_e32 v42, v43, v50
	v_exp_f32_e32 v44, v44
	v_mul_f32_e32 v45, 0x3fb8aa3b, v45
	v_mul_f32_e32 v42, 0x3fb8aa3b, v42
	v_exp_f32_e32 v45, v45
	v_sub_f32_e32 v41, v41, v50
	v_exp_f32_e32 v59, v42
	v_cndmask_b32_e64 v42, 0, v40, s[20:21]
	v_cndmask_b32_e64 v40, 0, v53, s[24:25]
	v_add_f32_e32 v53, 0, v46
	v_cndmask_b32_e64 v48, 0, v48, s[12:13]
	v_mul_f32_e32 v41, 0x3fb8aa3b, v41
	v_add_f32_e32 v53, v53, v47
	v_cndmask_b32_e64 v49, 0, v49, s[14:15]
	v_exp_f32_e32 v41, v41
	v_add_f32_e32 v53, v53, v48
	v_cndmask_b32_e64 v44, 0, v44, s[16:17]
	v_sub_f32_e32 v38, v38, v50
	v_add_f32_e32 v53, v53, v49
	v_cndmask_b32_e64 v45, 0, v45, s[18:19]
	v_sub_f32_e32 v39, v39, v50
	v_mul_f32_e32 v38, 0x3fb8aa3b, v38
	v_add_f32_e32 v53, v53, v44
	v_exp_f32_e32 v38, v38
	v_mul_f32_e32 v39, 0x3fb8aa3b, v39
	v_sub_f32_e32 v36, v36, v50
	v_add_f32_e32 v53, v53, v45
	v_cndmask_b32_e64 v43, 0, v41, s[22:23]
	v_exp_f32_e32 v39, v39
	v_mul_f32_e32 v36, 0x3fb8aa3b, v36
	v_sub_f32_e32 v37, v37, v50
	v_add_f32_e32 v53, v53, v42
	v_exp_f32_e32 v36, v36
	v_mul_f32_e32 v37, 0x3fb8aa3b, v37
	v_add_f32_e32 v53, v53, v43
	v_sub_f32_e32 v34, v34, v50
	v_cndmask_b32_e64 v41, 0, v59, s[26:27]
	v_exp_f32_e32 v37, v37
	v_add_f32_e32 v53, v53, v40
	v_mul_f32_e32 v34, 0x3fb8aa3b, v34
	v_sub_f32_e32 v35, v35, v50
	v_cndmask_b32_e64 v38, 0, v38, s[28:29]
	v_add_f32_e32 v53, v53, v41
	v_exp_f32_e32 v34, v34
	v_mul_f32_e32 v35, 0x3fb8aa3b, v35
	v_cndmask_b32_e64 v39, 0, v39, s[30:31]
	v_add_f32_e32 v53, v53, v38
	v_exp_f32_e32 v35, v35
	v_cndmask_b32_e64 v36, 0, v36, s[34:35]
	v_add_f32_e32 v53, v53, v39
	v_cndmask_b32_e64 v37, 0, v37, s[36:37]
	v_add_f32_e32 v53, v53, v36
	v_add_f32_e32 v53, v53, v37
	v_cndmask_b32_e32 v34, 0, v34, vcc
	v_add_f32_e32 v53, v53, v34
	v_cndmask_b32_e64 v35, 0, v35, s[4:5]
	v_add_f32_e32 v53, v53, v35
	ds_bpermute_b32 v51, v51, v53
	v_cmp_gt_u32_e32 vcc, 16, v55
	s_waitcnt lgkmcnt(0)
	s_barrier
	v_add_f32_e32 v51, v53, v51
	ds_bpermute_b32 v53, v58, v51
	s_and_saveexec_b64 s[4:5], vcc
	s_cbranch_execz .LBB1293_15
; %bb.14:
	s_waitcnt lgkmcnt(0)
	v_add_f32_e32 v51, v51, v53
	v_lshlrev_b32_e32 v52, 2, v52
	ds_write2st64_b32 v52, v50, v51 offset1:1
.LBB1293_15:
	s_or_b64 exec, exec, s[4:5]
	v_lshlrev_b32_e32 v51, 2, v56
	s_load_dword s7, s[0:1], 0x94
	s_waitcnt lgkmcnt(0)
	s_barrier
	ds_read2_b32 v[52:53], v51 offset1:16
	ds_read2_b32 v[58:59], v51 offset0:32 offset1:48
	ds_read2_b32 v[62:63], v51 offset0:64 offset1:80
	s_movk_i32 s9, 0x7fff
	s_mul_i32 s8, s44, 6
	s_waitcnt lgkmcnt(2)
	v_max3_f32 v50, v52, s40, v53
	s_waitcnt lgkmcnt(1)
	v_max3_f32 v50, v50, v58, v59
	v_sub_f32_e32 v52, v52, v50
	v_mul_f32_e32 v52, 0x3fb8aa3b, v52
	v_exp_f32_e32 v55, v52
	v_sub_f32_e32 v52, v53, v50
	v_mul_f32_e32 v52, 0x3fb8aa3b, v52
	v_exp_f32_e32 v61, v52
	;; [unrolled: 3-line block ×3, first 2 shown]
	ds_read2_b32 v[52:53], v51 offset0:96 offset1:112
	v_sub_f32_e32 v51, v59, v50
	v_mul_f32_e32 v51, 0x3fb8aa3b, v51
	v_exp_f32_e32 v59, v51
	s_waitcnt lgkmcnt(1)
	v_fma_f32 v51, v55, v62, 0
	v_fmac_f32_e32 v51, v61, v63
	s_waitcnt lgkmcnt(0)
	v_fmac_f32_e32 v51, v58, v52
	v_fmac_f32_e32 v51, v59, v53
	v_add_f32_e32 v52, 0x358637bd, v51
	v_div_scale_f32 v53, s[4:5], v52, v52, 1.0
	v_rcp_f32_e32 v62, v53
	s_barrier
	v_fma_f32 v63, -v53, v62, 1.0
	v_fmac_f32_e32 v62, v63, v62
	v_div_scale_f32 v63, vcc, 1.0, v52, 1.0
	v_mul_f32_e32 v64, v63, v62
	v_fma_f32 v65, -v53, v64, v63
	v_fmac_f32_e32 v64, v65, v62
	v_fma_f32 v53, -v53, v64, v63
	v_div_fmas_f32 v53, v53, v62, v64
	v_cmp_eq_u32_e32 vcc, 1, v57
	v_div_fixup_f32 v52, v53, v52, 1.0
	s_nop 0
	v_cndmask_b32_e32 v53, v55, v61, vcc
	v_cmp_eq_u32_e32 vcc, 2, v57
	s_nop 1
	v_cndmask_b32_e32 v53, v53, v58, vcc
	v_cmp_eq_u32_e32 vcc, 3, v57
	s_nop 1
	v_cndmask_b32_e32 v53, v53, v59, vcc
	v_mul_f32_e32 v52, v53, v52
	v_pk_mul_f32 v[46:47], v[52:53], v[46:47] op_sel_hi:[0,1]
	v_pk_mul_f32 v[48:49], v[52:53], v[48:49] op_sel_hi:[0,1]
	v_bfe_u32 v53, v47, 16, 1
	v_bfe_u32 v55, v46, 16, 1
	v_add3_u32 v46, v46, v55, s9
	v_add3_u32 v47, v47, v53, s9
	v_perm_b32 v58, v47, v46, s33
	v_bfe_u32 v46, v49, 16, 1
	v_bfe_u32 v47, v48, 16, 1
	v_add3_u32 v47, v48, v47, s9
	v_add3_u32 v46, v49, v46, s9
	v_perm_b32 v59, v46, v47, s33
	v_lshlrev_b32_e32 v47, 3, v60
	v_lshlrev_b32_e32 v46, 5, v56
	;; [unrolled: 1-line block ×3, first 2 shown]
	v_pk_mul_f32 v[44:45], v[52:53], v[44:45] op_sel_hi:[0,1]
	v_or3_b32 v55, v48, v46, v47
	v_bfe_u32 v47, v45, 16, 1
	v_bfe_u32 v48, v44, 16, 1
	v_pk_mul_f32 v[42:43], v[52:53], v[42:43] op_sel_hi:[0,1]
	v_add3_u32 v44, v44, v48, s9
	v_add3_u32 v45, v45, v47, s9
	v_perm_b32 v44, v45, v44, s33
	v_bfe_u32 v45, v43, 16, 1
	v_bfe_u32 v47, v42, 16, 1
	v_add3_u32 v42, v42, v47, s9
	v_add3_u32 v43, v43, v45, s9
	v_pk_mul_f32 v[40:41], v[52:53], v[40:41] op_sel_hi:[0,1]
	v_perm_b32 v45, v43, v42, s33
	v_bfe_u32 v42, v41, 16, 1
	v_bfe_u32 v43, v40, 16, 1
	v_pk_mul_f32 v[38:39], v[52:53], v[38:39] op_sel_hi:[0,1]
	v_add3_u32 v40, v40, v43, s9
	v_add3_u32 v41, v41, v42, s9
	v_perm_b32 v40, v41, v40, s33
	v_bfe_u32 v41, v39, 16, 1
	v_bfe_u32 v42, v38, 16, 1
	v_add3_u32 v38, v38, v42, s9
	v_add3_u32 v39, v39, v41, s9
	v_pk_mul_f32 v[36:37], v[52:53], v[36:37] op_sel_hi:[0,1]
	v_perm_b32 v41, v39, v38, s33
	v_bfe_u32 v38, v37, 16, 1
	v_bfe_u32 v39, v36, 16, 1
	v_pk_mul_f32 v[34:35], v[52:53], v[34:35] op_sel_hi:[0,1]
	v_add3_u32 v36, v36, v39, s9
	v_add3_u32 v37, v37, v38, s9
	v_perm_b32 v36, v37, v36, s33
	v_bfe_u32 v37, v35, 16, 1
	v_bfe_u32 v38, v34, 16, 1
	v_add3_u32 v34, v34, v38, s9
	v_add3_u32 v35, v35, v37, s9
	v_perm_b32 v37, v35, v34, s33
	v_cmp_gt_u32_e32 vcc, 6, v0
	ds_write2st64_b64 v55, v[58:59], v[44:45] offset1:1
	ds_write2st64_b64 v55, v[40:41], v[36:37] offset0:2 offset1:3
	s_and_saveexec_b64 s[4:5], vcc
	s_cbranch_execz .LBB1293_17
; %bb.16:
	s_mov_b32 s49, 0
	v_mov_b32_e32 v57, 0
	v_lshl_add_u64 v[34:35], s[48:49], 0, v[56:57]
	v_mov_b32_e32 v36, s8
	v_mad_u64_u32 v[34:35], s[10:11], s2, v36, v[34:35]
	s_mul_i32 s3, s3, s8
	v_mov_b32_e32 v36, s6
	v_mov_b32_e32 v37, v57
	s_load_dwordx4 s[12:15], s[0:1], 0x58
	v_add_u32_e32 v38, s3, v35
	v_mad_u64_u32 v[34:35], s[10:11], v34, s7, v[36:37]
	v_mov_b32_e32 v36, v35
	v_mad_u64_u32 v[36:37], s[10:11], v38, s7, v[36:37]
	v_mov_b32_e32 v35, v36
	v_lshlrev_b64 v[34:35], 2, v[34:35]
	s_waitcnt lgkmcnt(0)
	v_lshl_add_u64 v[36:37], s[14:15], 0, v[34:35]
	v_lshl_add_u64 v[34:35], s[12:13], 0, v[34:35]
	global_store_dword v[36:37], v50, off
	global_store_dword v[34:35], v51, off
.LBB1293_17:
	s_or_b64 exec, exec, s[4:5]
	s_waitcnt vmcnt(7)
	v_cvt_pk_f32_fp8_e32 v[34:35], v6
	v_cvt_pk_f32_fp8_sdwa v[36:37], v6 src0_sel:WORD_1
	v_lshl_or_b32 v50, v60, 9, v46
	s_mov_b32 s5, 0x7060302
	s_waitcnt lgkmcnt(0)
	s_barrier
	v_cvt_pk_f32_fp8_e32 v[38:39], v7
	v_perm_b32 v6, v35, v34, s5
	v_cvt_pk_f32_fp8_sdwa v[40:41], v7 src0_sel:WORD_1
	v_perm_b32 v7, v37, v36, s5
	ds_read_b128 v[34:37], v50
	v_perm_b32 v46, v39, v38, s5
	v_perm_b32 v47, v41, v40, s5
	ds_read_b128 v[38:41], v50 offset:16
	v_cvt_pk_f32_fp8_e32 v[48:49], v8
	v_cvt_pk_f32_fp8_sdwa v[52:53], v8 src0_sel:WORD_1
	s_waitcnt lgkmcnt(1)
	v_mfma_f32_16x16x16_bf16 v[42:45], v[6:7], v[34:35], 0
	s_waitcnt vmcnt(6)
	v_cvt_pk_f32_fp8_e32 v[58:59], v4
	v_perm_b32 v6, v49, v48, s5
	v_perm_b32 v7, v53, v52, s5
	v_cvt_pk_f32_fp8_e32 v[48:49], v9
	v_mfma_f32_16x16x16_bf16 v[42:45], v[46:47], v[36:37], v[42:45]
	v_cvt_pk_f32_fp8_sdwa v[46:47], v9 src0_sel:WORD_1
	v_cvt_pk_f32_fp8_sdwa v[62:63], v4 src0_sel:WORD_1
	v_perm_b32 v48, v49, v48, s5
	s_waitcnt lgkmcnt(0)
	v_mfma_f32_16x16x16_bf16 v[6:9], v[6:7], v[38:39], v[42:45]
	v_perm_b32 v49, v47, v46, s5
	s_waitcnt vmcnt(5)
	v_cvt_pk_f32_fp8_sdwa v[66:67], v28 src0_sel:WORD_1
	s_waitcnt vmcnt(4)
	v_cvt_pk_f32_fp8_sdwa v[68:69], v24 src0_sel:WORD_1
	v_cvt_pk_f32_fp8_e32 v[42:43], v2
	v_mfma_f32_16x16x16_bf16 v[46:49], v[48:49], v[40:41], v[6:9]
	s_load_dword s4, s[42:43], 0x0
	s_waitcnt vmcnt(3)
	v_cvt_pk_f32_fp8_sdwa v[70:71], v32 src0_sel:WORD_1
	v_cvt_pk_f32_fp8_sdwa v[6:7], v2 src0_sel:WORD_1
	v_cvt_pk_f32_fp8_e32 v[8:9], v3
	v_perm_b32 v2, v43, v42, s5
	v_cvt_pk_f32_fp8_sdwa v[42:43], v3 src0_sel:WORD_1
	v_perm_b32 v3, v7, v6, s5
	v_perm_b32 v52, v9, v8, s5
	ds_read_b128 v[6:9], v50 offset:2048
	v_perm_b32 v53, v43, v42, s5
	ds_read_b128 v[42:45], v50 offset:2064
	s_waitcnt lgkmcnt(0)
	v_mfma_f32_16x16x16_bf16 v[46:49], v[2:3], v[6:7], v[46:49]
	v_perm_b32 v2, v59, v58, s5
	v_perm_b32 v3, v63, v62, s5
	v_cvt_pk_f32_fp8_e32 v[58:59], v5
	v_mfma_f32_16x16x16_bf16 v[46:49], v[52:53], v[8:9], v[46:49]
	v_cvt_pk_f32_fp8_sdwa v[52:53], v5 src0_sel:WORD_1
	s_mov_b32 s3, 0
	v_perm_b32 v58, v59, v58, s5
	v_mfma_f32_16x16x16_bf16 v[2:5], v[2:3], v[42:43], v[46:49]
	v_perm_b32 v59, v53, v52, s5
	v_cmp_gt_u32_e32 vcc, 64, v0
	s_nop 0
	v_cvt_pk_f32_fp8_e32 v[46:47], v26
	v_mfma_f32_16x16x16_bf16 v[62:65], v[58:59], v[44:45], v[2:5]
	v_cvt_pk_f32_fp8_e32 v[58:59], v28
	s_nop 1
	v_cvt_pk_f32_fp8_sdwa v[2:3], v26 src0_sel:WORD_1
	v_cvt_pk_f32_fp8_e32 v[4:5], v27
	v_perm_b32 v26, v47, v46, s5
	v_cvt_pk_f32_fp8_sdwa v[46:47], v27 src0_sel:WORD_1
	v_perm_b32 v27, v3, v2, s5
	v_perm_b32 v52, v5, v4, s5
	ds_read_b128 v[2:5], v50 offset:4096
	v_perm_b32 v53, v47, v46, s5
	ds_read_b128 v[46:49], v50 offset:4112
	s_waitcnt lgkmcnt(1)
	v_mfma_f32_16x16x16_bf16 v[62:65], v[26:27], v[2:3], v[62:65]
	v_perm_b32 v26, v59, v58, s5
	v_perm_b32 v27, v67, v66, s5
	v_cvt_pk_f32_fp8_e32 v[58:59], v29
	v_mfma_f32_16x16x16_bf16 v[62:65], v[52:53], v[4:5], v[62:65]
	v_cvt_pk_f32_fp8_sdwa v[52:53], v29 src0_sel:WORD_1
	v_cvt_pk_f32_fp8_e32 v[66:67], v24
	v_perm_b32 v58, v59, v58, s5
	s_waitcnt lgkmcnt(0)
	v_mfma_f32_16x16x16_bf16 v[26:29], v[26:27], v[46:47], v[62:65]
	v_perm_b32 v59, v53, v52, s5
	v_cvt_pk_f32_fp8_e32 v[52:53], v22
	s_nop 0
	v_mfma_f32_16x16x16_bf16 v[62:65], v[58:59], v[48:49], v[26:29]
	s_nop 2
	v_cvt_pk_f32_fp8_sdwa v[26:27], v22 src0_sel:WORD_1
	v_cvt_pk_f32_fp8_e32 v[28:29], v23
	v_perm_b32 v22, v53, v52, s5
	v_cvt_pk_f32_fp8_sdwa v[52:53], v23 src0_sel:WORD_1
	v_perm_b32 v23, v27, v26, s5
	v_perm_b32 v58, v29, v28, s5
	ds_read_b128 v[26:29], v50 offset:6144
	v_perm_b32 v59, v53, v52, s5
	s_waitcnt lgkmcnt(0)
	v_mfma_f32_16x16x16_bf16 v[62:65], v[22:23], v[26:27], v[62:65]
	ds_read_b128 v[50:53], v50 offset:6160
	v_perm_b32 v22, v67, v66, s5
	v_perm_b32 v23, v69, v68, s5
	v_cvt_pk_f32_fp8_e32 v[66:67], v25
	v_mfma_f32_16x16x16_bf16 v[62:65], v[58:59], v[28:29], v[62:65]
	v_cvt_pk_f32_fp8_sdwa v[58:59], v25 src0_sel:WORD_1
	v_cvt_pk_f32_fp8_e32 v[68:69], v32
	v_perm_b32 v66, v67, v66, s5
	s_waitcnt lgkmcnt(0)
	v_mfma_f32_16x16x16_bf16 v[22:25], v[22:23], v[50:51], v[62:65]
	v_perm_b32 v67, v59, v58, s5
	v_cvt_pk_f32_fp8_sdwa v[58:59], v30 src0_sel:WORD_1
	s_nop 0
	v_mfma_f32_16x16x16_bf16 v[62:65], v[66:67], v[52:53], v[22:25]
	s_barrier
	s_nop 1
	v_cvt_pk_f32_fp8_e32 v[24:25], v30
	s_nop 2
	v_pk_mul_f32 v[66:67], v[62:63], s[4:5] op_sel_hi:[1,0]
	v_cvt_pk_f32_fp8_e32 v[62:63], v31
	v_perm_b32 v24, v25, v24, s5
	v_perm_b32 v25, v59, v58, s5
	v_cvt_pk_f32_fp8_sdwa v[30:31], v31 src0_sel:WORD_1
	v_perm_b32 v58, v63, v62, s5
	v_pk_mul_f32 v[22:23], v[64:65], s[4:5] op_sel_hi:[1,0]
	v_mfma_f32_16x16x16_bf16 v[62:65], v[24:25], v[34:35], 0
	v_perm_b32 v59, v31, v30, s5
	v_perm_b32 v24, v69, v68, s5
	;; [unrolled: 1-line block ×3, first 2 shown]
	v_cvt_pk_f32_fp8_e32 v[34:35], v33
	v_cvt_pk_f32_fp8_sdwa v[68:69], v33 src0_sel:WORD_1
	v_mfma_f32_16x16x16_bf16 v[30:33], v[58:59], v[36:37], v[62:65]
	s_waitcnt vmcnt(2)
	v_cvt_pk_f32_fp8_sdwa v[36:37], v18 src0_sel:WORD_1
	v_perm_b32 v34, v35, v34, s5
	v_perm_b32 v35, v69, v68, s5
	v_mfma_f32_16x16x16_bf16 v[30:33], v[24:25], v[38:39], v[30:33]
	v_cvt_pk_f32_fp8_e32 v[24:25], v18
	v_cvt_pk_f32_fp8_sdwa v[38:39], v20 src0_sel:WORD_1
	v_bfe_u32 v57, v67, 16, 1
	v_mfma_f32_16x16x16_bf16 v[30:33], v[34:35], v[40:41], v[30:33]
	v_cvt_pk_f32_fp8_e32 v[34:35], v19
	v_perm_b32 v24, v25, v24, s5
	v_perm_b32 v25, v37, v36, s5
	v_cvt_pk_f32_fp8_sdwa v[18:19], v19 src0_sel:WORD_1
	v_perm_b32 v34, v35, v34, s5
	v_cvt_pk_f32_fp8_e32 v[36:37], v20
	v_mfma_f32_16x16x16_bf16 v[30:33], v[24:25], v[6:7], v[30:33]
	v_perm_b32 v35, v19, v18, s5
	v_perm_b32 v18, v37, v36, s5
	;; [unrolled: 1-line block ×3, first 2 shown]
	v_cvt_pk_f32_fp8_e32 v[24:25], v21
	v_cvt_pk_f32_fp8_sdwa v[20:21], v21 src0_sel:WORD_1
	v_mfma_f32_16x16x16_bf16 v[6:9], v[34:35], v[8:9], v[30:33]
	v_bfe_u32 v58, v66, 16, 1
	v_perm_b32 v24, v25, v24, s5
	v_perm_b32 v25, v21, v20, s5
	v_mfma_f32_16x16x16_bf16 v[6:9], v[18:19], v[42:43], v[6:9]
	s_waitcnt vmcnt(1)
	v_cvt_pk_f32_fp8_e32 v[18:19], v14
	v_cvt_pk_f32_fp8_sdwa v[20:21], v14 src0_sel:WORD_1
	v_cvt_pk_f32_fp8_sdwa v[30:31], v16 src0_sel:WORD_1
	v_mfma_f32_16x16x16_bf16 v[6:9], v[24:25], v[44:45], v[6:9]
	v_cvt_pk_f32_fp8_e32 v[24:25], v15
	v_perm_b32 v18, v19, v18, s5
	v_perm_b32 v19, v21, v20, s5
	v_cvt_pk_f32_fp8_sdwa v[14:15], v15 src0_sel:WORD_1
	v_perm_b32 v20, v25, v24, s5
	v_cvt_pk_f32_fp8_e32 v[24:25], v16
	v_mfma_f32_16x16x16_bf16 v[6:9], v[18:19], v[2:3], v[6:9]
	v_perm_b32 v21, v15, v14, s5
	v_perm_b32 v14, v25, v24, s5
	;; [unrolled: 1-line block ×3, first 2 shown]
	v_cvt_pk_f32_fp8_e32 v[18:19], v17
	v_cvt_pk_f32_fp8_sdwa v[16:17], v17 src0_sel:WORD_1
	v_mfma_f32_16x16x16_bf16 v[2:5], v[20:21], v[4:5], v[6:9]
	v_add3_u32 v32, v66, v58, s9
	v_add3_u32 v33, v67, v57, s9
	s_nop 0
	v_perm_b32 v8, v19, v18, s5
	v_perm_b32 v9, v17, v16, s5
	v_mfma_f32_16x16x16_bf16 v[2:5], v[14:15], v[46:47], v[2:5]
	s_waitcnt vmcnt(0)
	v_cvt_pk_f32_fp8_e32 v[14:15], v10
	v_cvt_pk_f32_fp8_sdwa v[16:17], v10 src0_sel:WORD_1
	v_cvt_pk_f32_fp8_sdwa v[18:19], v12 src0_sel:WORD_1
	v_mfma_f32_16x16x16_bf16 v[2:5], v[8:9], v[48:49], v[2:5]
	v_cvt_pk_f32_fp8_e32 v[8:9], v11
	v_perm_b32 v14, v15, v14, s5
	v_perm_b32 v15, v17, v16, s5
	v_cvt_pk_f32_fp8_sdwa v[10:11], v11 src0_sel:WORD_1
	v_perm_b32 v8, v9, v8, s5
	v_cvt_pk_f32_fp8_e32 v[16:17], v12
	v_mfma_f32_16x16x16_bf16 v[2:5], v[14:15], v[26:27], v[2:5]
	v_perm_b32 v9, v11, v10, s5
	v_perm_b32 v10, v17, v16, s5
	;; [unrolled: 1-line block ×3, first 2 shown]
	v_cvt_pk_f32_fp8_e32 v[14:15], v13
	v_cvt_pk_f32_fp8_sdwa v[12:13], v13 src0_sel:WORD_1
	v_mfma_f32_16x16x16_bf16 v[2:5], v[8:9], v[28:29], v[2:5]
	v_bfe_u32 v7, v23, 16, 1
	v_perm_b32 v8, v15, v14, s5
	v_perm_b32 v9, v13, v12, s5
	v_mfma_f32_16x16x16_bf16 v[2:5], v[10:11], v[50:51], v[2:5]
	v_bfe_u32 v16, v22, 16, 1
	v_add3_u32 v10, v22, v16, s9
	v_add3_u32 v7, v23, v7, s9
	v_mfma_f32_16x16x16_bf16 v[2:5], v[8:9], v[52:53], v[2:5]
	v_perm_b32 v6, v33, v32, s5
	v_perm_b32 v7, v7, v10, s5
	s_nop 4
	v_pk_mul_f32 v[2:3], v[2:3], s[4:5] op_sel_hi:[1,0]
	v_pk_mul_f32 v[4:5], v[4:5], s[4:5] op_sel_hi:[1,0]
	v_bfe_u32 v8, v3, 16, 1
	v_bfe_u32 v9, v2, 16, 1
	v_add3_u32 v2, v2, v9, s9
	v_add3_u32 v3, v3, v8, s9
	v_perm_b32 v2, v3, v2, s5
	v_bfe_u32 v3, v5, 16, 1
	v_bfe_u32 v8, v4, 16, 1
	v_add3_u32 v4, v4, v8, s9
	v_add3_u32 v3, v5, v3, s9
	v_perm_b32 v3, v3, v4, s5
	ds_write2st64_b64 v55, v[6:7], v[2:3] offset1:1
	s_waitcnt lgkmcnt(0)
	s_barrier
	s_and_saveexec_b64 s[4:5], vcc
	s_cbranch_execz .LBB1293_20
; %bb.18:
	s_load_dwordx2 s[4:5], s[0:1], 0x68
	s_lshl_b32 s0, s7, 7
	s_mul_i32 s1, s8, s2
	v_lshlrev_b32_e32 v4, 6, v56
	s_mul_hi_u32 s9, s1, s0
	s_mul_i32 s8, s1, s0
	v_lshl_or_b32 v0, v0, 10, v4
	s_lshl_b64 s[8:9], s[8:9], 1
	v_lshlrev_b32_e32 v3, 5, v60
	v_and_b32_e32 v1, 16, v1
	v_and_b32_e32 v0, 0x1a00, v0
	s_waitcnt lgkmcnt(0)
	s_add_u32 s1, s4, s8
	v_or3_b32 v3, v0, v3, v1
	s_addc_u32 s4, s5, s9
	s_lshl_b32 s2, s6, 7
	s_lshl_b64 s[2:3], s[2:3], 1
	ds_read_b128 v[4:7], v3
	s_add_u32 s2, s1, s2
	s_addc_u32 s3, s4, s3
	v_mov_b32_e32 v55, 0
	v_add_u32_e32 v8, s48, v60
	v_or_b32_e32 v2, 4, v60
	v_lshl_add_u64 v[0:1], s[2:3], 0, v[54:55]
	v_mad_u64_u32 v[8:9], s[2:3], v8, s0, 0
	v_lshl_add_u64 v[8:9], v[8:9], 1, v[0:1]
	v_cmp_gt_u32_e32 vcc, 6, v2
	s_waitcnt lgkmcnt(0)
	global_store_dwordx4 v[8:9], v[4:7], off
	s_and_b64 exec, exec, vcc
	s_cbranch_execz .LBB1293_20
; %bb.19:
	ds_read_b128 v[4:7], v3 offset:128
	v_add_u32_e32 v2, s48, v2
	v_mad_u64_u32 v[2:3], s[0:1], v2, s0, 0
	v_lshl_add_u64 v[0:1], v[2:3], 1, v[0:1]
	s_waitcnt lgkmcnt(0)
	global_store_dwordx4 v[0:1], v[4:7], off
.LBB1293_20:
	s_endpgm
	.section	.rodata,"a",@progbits
	.p2align	6, 0x0
	.amdhsa_kernel _Z39paged_attention_ll4mi_QKV_mfma16_kernelI14__hip_bfloat16hLN4vllm18Fp8KVCacheDataTypeE1ES0_Li16ELi128ELi256ELb1ELi6EEvPKT_PKT0_S8_ifPKiSA_SA_iPKfiiiPfSD_PS3_PT2_iSC_SC_
		.amdhsa_group_segment_fixed_size 8192
		.amdhsa_private_segment_fixed_size 0
		.amdhsa_kernarg_size 400
		.amdhsa_user_sgpr_count 2
		.amdhsa_user_sgpr_dispatch_ptr 0
		.amdhsa_user_sgpr_queue_ptr 0
		.amdhsa_user_sgpr_kernarg_segment_ptr 1
		.amdhsa_user_sgpr_dispatch_id 0
		.amdhsa_user_sgpr_kernarg_preload_length 0
		.amdhsa_user_sgpr_kernarg_preload_offset 0
		.amdhsa_user_sgpr_private_segment_size 0
		.amdhsa_uses_dynamic_stack 0
		.amdhsa_enable_private_segment 0
		.amdhsa_system_sgpr_workgroup_id_x 1
		.amdhsa_system_sgpr_workgroup_id_y 1
		.amdhsa_system_sgpr_workgroup_id_z 1
		.amdhsa_system_sgpr_workgroup_info 0
		.amdhsa_system_vgpr_workitem_id 0
		.amdhsa_next_free_vgpr 76
		.amdhsa_next_free_sgpr 50
		.amdhsa_accum_offset 76
		.amdhsa_reserve_vcc 1
		.amdhsa_float_round_mode_32 0
		.amdhsa_float_round_mode_16_64 0
		.amdhsa_float_denorm_mode_32 3
		.amdhsa_float_denorm_mode_16_64 3
		.amdhsa_dx10_clamp 1
		.amdhsa_ieee_mode 1
		.amdhsa_fp16_overflow 0
		.amdhsa_tg_split 0
		.amdhsa_exception_fp_ieee_invalid_op 0
		.amdhsa_exception_fp_denorm_src 0
		.amdhsa_exception_fp_ieee_div_zero 0
		.amdhsa_exception_fp_ieee_overflow 0
		.amdhsa_exception_fp_ieee_underflow 0
		.amdhsa_exception_fp_ieee_inexact 0
		.amdhsa_exception_int_div_zero 0
	.end_amdhsa_kernel
	.section	.text._Z39paged_attention_ll4mi_QKV_mfma16_kernelI14__hip_bfloat16hLN4vllm18Fp8KVCacheDataTypeE1ES0_Li16ELi128ELi256ELb1ELi6EEvPKT_PKT0_S8_ifPKiSA_SA_iPKfiiiPfSD_PS3_PT2_iSC_SC_,"axG",@progbits,_Z39paged_attention_ll4mi_QKV_mfma16_kernelI14__hip_bfloat16hLN4vllm18Fp8KVCacheDataTypeE1ES0_Li16ELi128ELi256ELb1ELi6EEvPKT_PKT0_S8_ifPKiSA_SA_iPKfiiiPfSD_PS3_PT2_iSC_SC_,comdat
.Lfunc_end1293:
	.size	_Z39paged_attention_ll4mi_QKV_mfma16_kernelI14__hip_bfloat16hLN4vllm18Fp8KVCacheDataTypeE1ES0_Li16ELi128ELi256ELb1ELi6EEvPKT_PKT0_S8_ifPKiSA_SA_iPKfiiiPfSD_PS3_PT2_iSC_SC_, .Lfunc_end1293-_Z39paged_attention_ll4mi_QKV_mfma16_kernelI14__hip_bfloat16hLN4vllm18Fp8KVCacheDataTypeE1ES0_Li16ELi128ELi256ELb1ELi6EEvPKT_PKT0_S8_ifPKiSA_SA_iPKfiiiPfSD_PS3_PT2_iSC_SC_
                                        ; -- End function
	.section	.AMDGPU.csdata,"",@progbits
; Kernel info:
; codeLenInByte = 6600
; NumSgprs: 56
; NumVgprs: 76
; NumAgprs: 0
; TotalNumVgprs: 76
; ScratchSize: 0
; MemoryBound: 0
; FloatMode: 240
; IeeeMode: 1
; LDSByteSize: 8192 bytes/workgroup (compile time only)
; SGPRBlocks: 6
; VGPRBlocks: 9
; NumSGPRsForWavesPerEU: 56
; NumVGPRsForWavesPerEU: 76
; AccumOffset: 76
; Occupancy: 6
; WaveLimiterHint : 1
; COMPUTE_PGM_RSRC2:SCRATCH_EN: 0
; COMPUTE_PGM_RSRC2:USER_SGPR: 2
; COMPUTE_PGM_RSRC2:TRAP_HANDLER: 0
; COMPUTE_PGM_RSRC2:TGID_X_EN: 1
; COMPUTE_PGM_RSRC2:TGID_Y_EN: 1
; COMPUTE_PGM_RSRC2:TGID_Z_EN: 1
; COMPUTE_PGM_RSRC2:TIDIG_COMP_CNT: 0
; COMPUTE_PGM_RSRC3_GFX90A:ACCUM_OFFSET: 18
; COMPUTE_PGM_RSRC3_GFX90A:TG_SPLIT: 0
	.section	.text._Z39paged_attention_ll4mi_QKV_mfma16_kernelI14__hip_bfloat16hLN4vllm18Fp8KVCacheDataTypeE1ES0_Li16ELi128ELi256ELb1ELi7EEvPKT_PKT0_S8_ifPKiSA_SA_iPKfiiiPfSD_PS3_PT2_iSC_SC_,"axG",@progbits,_Z39paged_attention_ll4mi_QKV_mfma16_kernelI14__hip_bfloat16hLN4vllm18Fp8KVCacheDataTypeE1ES0_Li16ELi128ELi256ELb1ELi7EEvPKT_PKT0_S8_ifPKiSA_SA_iPKfiiiPfSD_PS3_PT2_iSC_SC_,comdat
	.protected	_Z39paged_attention_ll4mi_QKV_mfma16_kernelI14__hip_bfloat16hLN4vllm18Fp8KVCacheDataTypeE1ES0_Li16ELi128ELi256ELb1ELi7EEvPKT_PKT0_S8_ifPKiSA_SA_iPKfiiiPfSD_PS3_PT2_iSC_SC_ ; -- Begin function _Z39paged_attention_ll4mi_QKV_mfma16_kernelI14__hip_bfloat16hLN4vllm18Fp8KVCacheDataTypeE1ES0_Li16ELi128ELi256ELb1ELi7EEvPKT_PKT0_S8_ifPKiSA_SA_iPKfiiiPfSD_PS3_PT2_iSC_SC_
	.globl	_Z39paged_attention_ll4mi_QKV_mfma16_kernelI14__hip_bfloat16hLN4vllm18Fp8KVCacheDataTypeE1ES0_Li16ELi128ELi256ELb1ELi7EEvPKT_PKT0_S8_ifPKiSA_SA_iPKfiiiPfSD_PS3_PT2_iSC_SC_
	.p2align	8
	.type	_Z39paged_attention_ll4mi_QKV_mfma16_kernelI14__hip_bfloat16hLN4vllm18Fp8KVCacheDataTypeE1ES0_Li16ELi128ELi256ELb1ELi7EEvPKT_PKT0_S8_ifPKiSA_SA_iPKfiiiPfSD_PS3_PT2_iSC_SC_,@function
_Z39paged_attention_ll4mi_QKV_mfma16_kernelI14__hip_bfloat16hLN4vllm18Fp8KVCacheDataTypeE1ES0_Li16ELi128ELi256ELb1ELi7EEvPKT_PKT0_S8_ifPKiSA_SA_iPKfiiiPfSD_PS3_PT2_iSC_SC_: ; @_Z39paged_attention_ll4mi_QKV_mfma16_kernelI14__hip_bfloat16hLN4vllm18Fp8KVCacheDataTypeE1ES0_Li16ELi128ELi256ELb1ELi7EEvPKT_PKT0_S8_ifPKiSA_SA_iPKfiiiPfSD_PS3_PT2_iSC_SC_
; %bb.0:
	s_load_dwordx2 s[10:11], s[0:1], 0x30
	s_mov_b32 s6, s3
	s_mov_b64 s[8:9], 0
	s_waitcnt lgkmcnt(0)
	s_cmp_lg_u64 s[10:11], 0
	s_cselect_b64 s[12:13], -1, 0
	s_and_b64 vcc, exec, s[12:13]
	s_cbranch_vccz .LBB1294_7
; %bb.1:
	s_add_i32 s14, s2, 1
	s_mov_b32 s15, 0
	s_lshl_b64 s[16:17], s[14:15], 2
	s_add_u32 s16, s10, s16
	s_mov_b32 s3, s15
	s_addc_u32 s17, s11, s17
	s_lshl_b64 s[14:15], s[2:3], 2
	s_add_u32 s14, s10, s14
	s_addc_u32 s15, s11, s15
	s_load_dword s5, s[16:17], 0x0
	s_load_dword s7, s[14:15], 0x0
	s_waitcnt lgkmcnt(0)
	s_sub_i32 s5, s5, s7
	s_cmp_eq_u32 s5, 1
	s_cselect_b64 s[14:15], -1, 0
	s_andn2_b64 vcc, exec, s[8:9]
	s_cbranch_vccnz .LBB1294_3
.LBB1294_2:
	s_mov_b32 s3, 0
	s_mov_b64 s[14:15], -1
.LBB1294_3:
	s_andn2_b64 vcc, exec, s[14:15]
	s_cbranch_vccnz .LBB1294_20
; %bb.4:
	s_load_dwordx2 s[8:9], s[0:1], 0x28
	s_lshl_b64 s[16:17], s[2:3], 2
	s_waitcnt lgkmcnt(0)
	s_add_u32 s8, s8, s16
	s_addc_u32 s9, s9, s17
	s_load_dword s7, s[8:9], 0x0
	s_lshl_b32 s18, s6, 8
	s_waitcnt lgkmcnt(0)
	s_cmp_ge_i32 s18, s7
	s_cbranch_scc1 .LBB1294_20
; %bb.5:
	s_load_dwordx2 s[8:9], s[0:1], 0x20
	s_load_dword s5, s[0:1], 0x38
	s_add_i32 s14, s7, 15
	s_ashr_i32 s15, s14, 31
	v_and_b32_e32 v1, 0xcf, v0
	s_lshr_b32 s15, s15, 28
	v_add_u32_e32 v1, s18, v1
	s_add_i32 s14, s14, s15
	v_ashrrev_i32_e32 v2, 31, v1
	s_ashr_i32 s19, s14, 4
	v_lshrrev_b32_e32 v4, 28, v2
	s_add_i32 s19, s19, -1
	s_waitcnt lgkmcnt(0)
	s_mul_i32 s14, s2, s5
	s_mov_b32 s15, 0
	v_add_u32_e32 v2, v1, v4
	s_lshl_b64 s[14:15], s[14:15], 2
	v_ashrrev_i32_e32 v2, 4, v2
	v_mov_b32_e32 v5, s19
	v_cmp_gt_i32_e32 vcc, s7, v1
	s_add_u32 s8, s8, s14
	s_addc_u32 s9, s9, s15
	v_cndmask_b32_e32 v2, v5, v2, vcc
	v_ashrrev_i32_e32 v3, 31, v2
	v_lshl_add_u64 v[6:7], v[2:3], 2, s[8:9]
	v_or_b32_e32 v2, 16, v1
	v_add_u32_e32 v3, v2, v4
	v_ashrrev_i32_e32 v3, 4, v3
	v_cmp_gt_i32_e32 vcc, s7, v2
	s_load_dwordx2 s[14:15], s[0:1], 0x8
	s_nop 0
	v_cndmask_b32_e32 v2, v5, v3, vcc
	v_ashrrev_i32_e32 v3, 31, v2
	v_lshl_add_u64 v[8:9], v[2:3], 2, s[8:9]
	v_or_b32_e32 v2, 32, v1
	v_add_u32_e32 v3, v2, v4
	v_ashrrev_i32_e32 v3, 4, v3
	v_cmp_gt_i32_e32 vcc, s7, v2
	v_or_b32_e32 v1, 48, v1
	s_nop 0
	v_cndmask_b32_e32 v2, v5, v3, vcc
	v_ashrrev_i32_e32 v3, 31, v2
	v_lshl_add_u64 v[12:13], v[2:3], 2, s[8:9]
	v_add_u32_e32 v2, v1, v4
	v_ashrrev_i32_e32 v2, 4, v2
	v_cmp_gt_i32_e32 vcc, s7, v1
	s_nop 1
	v_cndmask_b32_e32 v2, v5, v2, vcc
	v_ashrrev_i32_e32 v3, 31, v2
	v_lshl_add_u64 v[14:15], v[2:3], 2, s[8:9]
	global_load_dword v4, v[6:7], off
	global_load_dword v3, v[8:9], off
	;; [unrolled: 1-line block ×4, first 2 shown]
	s_andn2_b64 vcc, exec, s[12:13]
	s_cbranch_vccnz .LBB1294_8
; %bb.6:
	s_add_u32 s10, s10, s16
	s_addc_u32 s11, s11, s17
	s_load_dword s5, s[10:11], 0x0
	s_branch .LBB1294_9
.LBB1294_7:
	s_mov_b64 s[14:15], 0
	s_branch .LBB1294_2
.LBB1294_8:
	s_mov_b32 s5, s2
.LBB1294_9:
	s_load_dwordx2 s[10:11], s[0:1], 0x10
	s_load_dwordx4 s[44:47], s[0:1], 0x48
	v_lshrrev_b32_e32 v57, 6, v0
	v_bfe_u32 v60, v0, 4, 2
	v_and_b32_e32 v56, 15, v0
	v_lshl_or_b32 v5, v57, 2, v60
	v_lshlrev_b32_e32 v1, 3, v56
	s_mul_i32 s48, s4, 7
	v_cmp_gt_u32_e32 vcc, 7, v5
	v_lshlrev_b32_e32 v54, 1, v1
	v_lshlrev_b32_e32 v1, 4, v0
	s_and_saveexec_b64 s[12:13], vcc
	s_cbranch_execz .LBB1294_11
; %bb.10:
	s_load_dwordx2 s[16:17], s[0:1], 0x0
	s_waitcnt lgkmcnt(0)
	s_ashr_i32 s20, s44, 31
	s_mul_hi_u32 s21, s5, s44
	s_mul_i32 s20, s5, s20
	s_add_i32 s21, s21, s20
	s_mul_i32 s20, s5, s44
	s_lshl_b64 s[20:21], s[20:21], 1
	s_add_u32 s16, s16, s20
	v_add_lshl_u32 v6, v5, s48, 7
	s_addc_u32 s17, s17, s21
	v_ashrrev_i32_e32 v7, 31, v6
	v_lshl_add_u64 v[6:7], v[6:7], 1, s[16:17]
	v_mov_b32_e32 v55, 0
	v_lshl_add_u64 v[6:7], v[6:7], 0, v[54:55]
	global_load_dwordx4 v[6:9], v[6:7], off
	v_lshlrev_b32_e32 v12, 8, v0
	v_lshlrev_b32_e32 v11, 8, v56
	v_and_b32_e32 v12, 0x600, v12
	s_movk_i32 s5, 0x800
	v_and_or_b32 v11, v11, s5, v12
	v_lshlrev_b32_e32 v5, 5, v5
	v_and_b32_e32 v12, 16, v1
	v_or3_b32 v5, v11, v5, v12
	s_waitcnt vmcnt(0)
	ds_write_b128 v5, v[6:9]
.LBB1294_11:
	s_or_b64 exec, exec, s[12:13]
	s_waitcnt lgkmcnt(0)
	s_mul_i32 s12, s4, s46
	s_add_u32 s4, s14, s12
	s_addc_u32 s5, s15, 0
	v_and_b32_e32 v58, 0xf0, v1
	v_mov_b32_e32 v59, 0
	v_and_b32_e32 v34, 48, v0
	v_lshl_add_u64 v[12:13], s[4:5], 0, v[58:59]
	v_lshlrev_b32_e32 v58, 4, v34
	s_waitcnt vmcnt(3)
	v_mad_i64_i32 v[4:5], s[4:5], v4, s45, v[12:13]
	v_lshl_add_u64 v[4:5], v[4:5], 0, v[58:59]
	s_barrier
	global_load_dwordx4 v[50:53], v[4:5], off
	global_load_dwordx4 v[46:49], v[4:5], off offset:1024
	s_waitcnt vmcnt(4)
	v_mad_i64_i32 v[4:5], s[4:5], v3, s45, v[12:13]
	s_waitcnt vmcnt(3)
	v_mad_i64_i32 v[2:3], s[4:5], v2, s45, v[12:13]
	v_lshl_add_u64 v[4:5], v[4:5], 0, v[58:59]
	v_lshl_add_u64 v[14:15], v[2:3], 0, v[58:59]
	s_waitcnt vmcnt(2)
	v_mad_i64_i32 v[10:11], s[4:5], v10, s45, v[12:13]
	global_load_dwordx4 v[36:39], v[4:5], off
	global_load_dwordx4 v[6:9], v[4:5], off offset:1024
	s_nop 0
	global_load_dwordx4 v[2:5], v[14:15], off
	global_load_dwordx4 v[42:45], v[14:15], off offset:1024
	v_lshl_add_u64 v[14:15], v[10:11], 0, v[58:59]
	global_load_dwordx4 v[22:25], v[14:15], off
	global_load_dwordx4 v[10:13], v[14:15], off offset:1024
	v_mul_lo_u16_e32 v14, 37, v56
	v_mov_b32_e32 v15, 7
	v_mul_lo_u16_sdwa v14, v14, v15 dst_sel:DWORD dst_unused:UNUSED_PAD src0_sel:BYTE_1 src1_sel:DWORD
	v_sub_u16_e32 v14, v56, v14
	v_mov_b32_e32 v15, 5
	v_lshlrev_b32_sdwa v14, v15, v14 dst_sel:DWORD dst_unused:UNUSED_PAD src0_sel:DWORD src1_sel:BYTE_0
	v_lshl_add_u32 v14, v60, 9, v14
	ds_read_b128 v[30:33], v14
	ds_read_b128 v[26:29], v14 offset:16
	ds_read_b128 v[18:21], v14 offset:2048
	;; [unrolled: 1-line block ×3, first 2 shown]
	v_and_b32_e32 v55, 63, v0
	v_cmp_gt_u32_e32 vcc, 7, v56
	v_mov_b32_e32 v61, 0
	s_and_saveexec_b64 s[4:5], vcc
	s_cbranch_execz .LBB1294_13
; %bb.12:
	s_load_dwordx2 s[14:15], s[0:1], 0x40
	v_add_u32_e32 v40, s48, v56
	v_ashrrev_i32_e32 v41, 31, v40
	s_waitcnt lgkmcnt(0)
	v_lshl_add_u64 v[40:41], v[40:41], 2, s[14:15]
	global_load_dword v61, v[40:41], off
.LBB1294_13:
	s_or_b64 exec, exec, s[4:5]
	v_or_b32_e32 v58, s18, v34
	v_ashrrev_i32_e32 v34, 4, v58
	v_mov_b32_e32 v63, s19
	v_cmp_gt_i32_e32 vcc, s7, v58
	s_waitcnt vmcnt(7)
	v_cvt_pk_f32_fp8_e32 v[40:41], v50
	v_cvt_pk_f32_fp8_sdwa v[64:65], v50 src0_sel:WORD_1
	v_cndmask_b32_e32 v34, v63, v34, vcc
	v_ashrrev_i32_e32 v35, 31, v34
	v_lshl_add_u64 v[34:35], v[34:35], 2, s[8:9]
	global_load_dword v62, v[34:35], off
	v_or_b32_e32 v34, 64, v58
	v_ashrrev_i32_e32 v35, 4, v34
	v_cmp_gt_i32_e32 vcc, s7, v34
	v_or_b32_e32 v66, 0x80, v58
	v_ashrrev_i32_e32 v67, 4, v66
	v_cndmask_b32_e32 v34, v63, v35, vcc
	v_cmp_gt_i32_e32 vcc, s7, v66
	s_mov_b32 s33, 0x7060302
	v_perm_b32 v40, v41, v40, s33
	v_cndmask_b32_e32 v50, v63, v67, vcc
	v_perm_b32 v41, v65, v64, s33
	v_cvt_pk_f32_fp8_e32 v[64:65], v51
	v_cvt_pk_f32_fp8_sdwa v[66:67], v51 src0_sel:WORD_1
	v_ashrrev_i32_e32 v51, 31, v50
	v_lshl_add_u64 v[68:69], v[50:51], 2, s[8:9]
	v_perm_b32 v50, v65, v64, s33
	v_perm_b32 v51, v67, v66, s33
	s_waitcnt lgkmcnt(3)
	v_mfma_f32_16x16x16_bf16 v[64:67], v[40:41], v[30:31], 0
	v_cvt_pk_f32_fp8_e32 v[40:41], v52
	v_cvt_pk_f32_fp8_sdwa v[70:71], v52 src0_sel:WORD_1
	s_waitcnt vmcnt(7)
	v_cvt_pk_f32_fp8_e32 v[72:73], v46
	v_mfma_f32_16x16x16_bf16 v[64:67], v[50:51], v[32:33], v[64:67]
	v_cvt_pk_f32_fp8_e32 v[50:51], v53
	v_perm_b32 v40, v41, v40, s33
	v_perm_b32 v41, v71, v70, s33
	v_cvt_pk_f32_fp8_sdwa v[52:53], v53 src0_sel:WORD_1
	v_perm_b32 v70, v51, v50, s33
	v_cvt_pk_f32_fp8_sdwa v[74:75], v46 src0_sel:WORD_1
	v_ashrrev_i32_e32 v35, 31, v34
	v_perm_b32 v71, v53, v52, s33
	s_waitcnt lgkmcnt(2)
	v_mfma_f32_16x16x16_bf16 v[50:53], v[40:41], v[26:27], v[64:67]
	v_perm_b32 v40, v73, v72, s33
	v_perm_b32 v41, v75, v74, s33
	v_or_b32_e32 v58, 0xc0, v58
	v_cvt_pk_f32_fp8_e32 v[64:65], v47
	v_cvt_pk_f32_fp8_sdwa v[46:47], v47 src0_sel:WORD_1
	v_mfma_f32_16x16x16_bf16 v[50:53], v[70:71], v[28:29], v[50:53]
	v_lshl_add_u64 v[34:35], v[34:35], 2, s[8:9]
	v_perm_b32 v64, v65, v64, s33
	v_perm_b32 v65, v47, v46, s33
	s_waitcnt lgkmcnt(1)
	v_mfma_f32_16x16x16_bf16 v[50:53], v[40:41], v[18:19], v[50:53]
	v_ashrrev_i32_e32 v66, 4, v58
	v_cmp_gt_i32_e32 vcc, s7, v58
	v_cvt_pk_f32_fp8_e32 v[46:47], v48
	s_waitcnt vmcnt(6)
	v_cvt_pk_f32_fp8_sdwa v[70:71], v36 src0_sel:WORD_1
	v_cndmask_b32_e32 v40, v63, v66, vcc
	v_mfma_f32_16x16x16_bf16 v[64:67], v[64:65], v[20:21], v[50:53]
	v_ashrrev_i32_e32 v41, 31, v40
	v_lshl_add_u64 v[40:41], v[40:41], 2, s[8:9]
	v_perm_b32 v46, v47, v46, s33
	global_load_dword v53, v[34:35], off
	global_load_dword v63, v[40:41], off
	v_cvt_pk_f32_fp8_sdwa v[50:51], v48 src0_sel:WORD_1
	v_cvt_pk_f32_fp8_e32 v[34:35], v49
	v_cvt_pk_f32_fp8_sdwa v[48:49], v49 src0_sel:WORD_1
	s_add_u32 s46, s10, s12
	v_perm_b32 v47, v51, v50, s33
	v_perm_b32 v34, v35, v34, s33
	;; [unrolled: 1-line block ×3, first 2 shown]
	s_waitcnt lgkmcnt(0)
	v_mfma_f32_16x16x16_bf16 v[46:49], v[46:47], v[14:15], v[64:67]
	v_cvt_pk_f32_fp8_e32 v[50:51], v36
	s_nop 1
	global_load_dword v64, v[68:69], off
	v_cvt_pk_f32_fp8_e32 v[66:67], v37
	s_waitcnt vmcnt(8)
	v_cvt_pk_f32_fp8_e32 v[68:69], v6
	v_perm_b32 v50, v51, v50, s33
	v_perm_b32 v51, v71, v70, s33
	v_cvt_pk_f32_fp8_sdwa v[70:71], v37 src0_sel:WORD_1
	v_perm_b32 v40, v67, v66, s33
	v_mfma_f32_16x16x16_bf16 v[34:37], v[34:35], v[16:17], v[46:49]
	v_cvt_pk_f32_fp8_sdwa v[66:67], v38 src0_sel:WORD_1
	v_perm_b32 v41, v71, v70, s33
	v_cvt_pk_f32_fp8_sdwa v[70:71], v6 src0_sel:WORD_1
	v_mfma_f32_16x16x16_bf16 v[46:49], v[50:51], v[30:31], 0
	v_cvt_pk_f32_fp8_e32 v[50:51], v38
	v_lshl_or_b32 v52, v57, 4, v56
	s_waitcnt vmcnt(6)
	v_cvt_pk_f32_fp8_e32 v[72:73], v43
	v_mfma_f32_16x16x16_bf16 v[46:49], v[40:41], v[32:33], v[46:49]
	v_cvt_pk_f32_fp8_e32 v[40:41], v39
	v_perm_b32 v50, v51, v50, s33
	v_perm_b32 v51, v67, v66, s33
	v_cvt_pk_f32_fp8_sdwa v[38:39], v39 src0_sel:WORD_1
	v_perm_b32 v66, v41, v40, s33
	s_addc_u32 s47, s11, 0
	v_lshlrev_b32_e32 v58, 4, v52
	v_perm_b32 v67, v39, v38, s33
	v_mfma_f32_16x16x16_bf16 v[38:41], v[50:51], v[26:27], v[46:49]
	v_cvt_pk_f32_fp8_sdwa v[50:51], v2 src0_sel:WORD_1
	s_nop 1
	v_perm_b32 v46, v69, v68, s33
	v_perm_b32 v47, v71, v70, s33
	v_cvt_pk_f32_fp8_e32 v[48:49], v7
	v_cvt_pk_f32_fp8_sdwa v[6:7], v7 src0_sel:WORD_1
	v_mfma_f32_16x16x16_bf16 v[38:41], v[66:67], v[28:29], v[38:41]
	v_lshl_add_u64 v[70:71], s[46:47], 0, v[58:59]
	v_perm_b32 v48, v49, v48, s33
	v_perm_b32 v49, v7, v6, s33
	v_mfma_f32_16x16x16_bf16 v[38:41], v[46:47], v[18:19], v[38:41]
	v_cvt_pk_f32_fp8_e32 v[6:7], v8
	v_cvt_pk_f32_fp8_sdwa v[46:47], v8 src0_sel:WORD_1
	v_or_b32_e32 v58, 0x400, v58
	v_mfma_f32_16x16x16_bf16 v[38:41], v[48:49], v[20:21], v[38:41]
	v_cvt_pk_f32_fp8_e32 v[48:49], v9
	v_perm_b32 v6, v7, v6, s33
	v_perm_b32 v7, v47, v46, s33
	v_cvt_pk_f32_fp8_sdwa v[8:9], v9 src0_sel:WORD_1
	v_perm_b32 v46, v49, v48, s33
	v_cvt_pk_f32_fp8_e32 v[48:49], v2
	v_perm_b32 v47, v9, v8, s33
	v_mfma_f32_16x16x16_bf16 v[6:9], v[6:7], v[14:15], v[38:41]
	v_perm_b32 v48, v49, v48, s33
	v_perm_b32 v49, v51, v50, s33
	v_cvt_pk_f32_fp8_e32 v[50:51], v3
	v_cvt_pk_f32_fp8_sdwa v[2:3], v3 src0_sel:WORD_1
	v_mfma_f32_16x16x16_bf16 v[38:41], v[46:47], v[16:17], v[6:9]
	v_perm_b32 v46, v51, v50, s33
	v_perm_b32 v47, v3, v2, s33
	v_mfma_f32_16x16x16_bf16 v[6:9], v[48:49], v[30:31], 0
	v_cvt_pk_f32_fp8_e32 v[2:3], v4
	v_cvt_pk_f32_fp8_sdwa v[48:49], v4 src0_sel:WORD_1
	s_waitcnt vmcnt(3)
	v_mad_i64_i32 v[50:51], s[4:5], v62, s45, v[70:71]
	v_perm_b32 v2, v3, v2, s33
	v_perm_b32 v3, v49, v48, s33
	v_mfma_f32_16x16x16_bf16 v[6:9], v[46:47], v[32:33], v[6:9]
	v_cvt_pk_f32_fp8_e32 v[46:47], v5
	v_cvt_pk_f32_fp8_sdwa v[4:5], v5 src0_sel:WORD_1
	s_waitcnt vmcnt(2)
	v_mad_i64_i32 v[66:67], s[4:5], v53, s45, v[70:71]
	v_perm_b32 v46, v47, v46, s33
	v_perm_b32 v47, v5, v4, s33
	v_mfma_f32_16x16x16_bf16 v[2:5], v[2:3], v[26:27], v[6:9]
	s_nop 2
	v_cvt_pk_f32_fp8_e32 v[6:7], v42
	v_cvt_pk_f32_fp8_sdwa v[8:9], v42 src0_sel:WORD_1
	v_cvt_pk_f32_fp8_sdwa v[42:43], v43 src0_sel:WORD_1
	v_mfma_f32_16x16x16_bf16 v[46:49], v[46:47], v[28:29], v[2:5]
	v_perm_b32 v68, v7, v6, s33
	v_perm_b32 v69, v9, v8, s33
	global_load_dwordx4 v[6:9], v[50:51], off
	global_load_dwordx4 v[2:5], v[66:67], off
	v_perm_b32 v66, v73, v72, s33
	v_perm_b32 v67, v43, v42, s33
	v_mfma_f32_16x16x16_bf16 v[48:51], v[68:69], v[18:19], v[46:49]
	v_cvt_pk_f32_fp8_e32 v[42:43], v44
	v_cvt_pk_f32_fp8_sdwa v[72:73], v44 src0_sel:WORD_1
	s_waitcnt vmcnt(2)
	v_mad_i64_i32 v[46:47], s[4:5], v64, s45, v[70:71]
	v_mfma_f32_16x16x16_bf16 v[66:69], v[66:67], v[20:21], v[48:51]
	v_perm_b32 v42, v43, v42, s33
	v_perm_b32 v43, v73, v72, s33
	v_cvt_pk_f32_fp8_sdwa v[72:73], v22 src0_sel:WORD_1
	v_cvt_pk_f32_fp8_e32 v[50:51], v45
	v_cvt_pk_f32_fp8_sdwa v[44:45], v45 src0_sel:WORD_1
	v_mad_i64_i32 v[48:49], s[4:5], v63, s45, v[70:71]
	v_perm_b32 v50, v51, v50, s33
	v_perm_b32 v51, v45, v44, s33
	v_mfma_f32_16x16x16_bf16 v[42:45], v[42:43], v[14:15], v[66:69]
	v_cvt_pk_f32_fp8_e32 v[70:71], v22
	s_load_dword s4, s[0:1], 0x1c
	s_load_dwordx4 s[40:43], s[0:1], 0x80
	s_load_dword s44, s[0:1], 0x98
	s_waitcnt lgkmcnt(0)
	s_load_dword s5, s[40:41], 0x0
	v_mfma_f32_16x16x16_bf16 v[66:69], v[50:51], v[16:17], v[42:45]
	s_mov_b32 s40, 0xff7fffff
	s_nop 1
	v_cvt_pk_f32_fp8_e32 v[42:43], v23
	v_perm_b32 v44, v71, v70, s33
	v_perm_b32 v45, v73, v72, s33
	v_cvt_pk_f32_fp8_sdwa v[22:23], v23 src0_sel:WORD_1
	v_perm_b32 v50, v43, v42, s33
	v_cvt_pk_f32_fp8_e32 v[70:71], v24
	v_cvt_pk_f32_fp8_sdwa v[72:73], v24 src0_sel:WORD_1
	v_perm_b32 v51, v23, v22, s33
	v_mfma_f32_16x16x16_bf16 v[42:45], v[44:45], v[30:31], 0
	v_perm_b32 v30, v71, v70, s33
	v_perm_b32 v31, v73, v72, s33
	v_cvt_pk_f32_fp8_e32 v[70:71], v25
	v_cvt_pk_f32_fp8_sdwa v[72:73], v25 src0_sel:WORD_1
	v_mfma_f32_16x16x16_bf16 v[22:25], v[50:51], v[32:33], v[42:45]
	v_mov_b32_e32 v32, s4
	s_waitcnt lgkmcnt(0)
	v_mul_f32_e32 v50, s5, v32
	v_pk_mul_f32 v[32:33], v[50:51], v[34:35] op_sel_hi:[0,1]
	v_perm_b32 v42, v71, v70, s33
	v_perm_b32 v43, v73, v72, s33
	v_mfma_f32_16x16x16_bf16 v[22:25], v[30:31], v[26:27], v[22:25]
	v_pk_mul_f32 v[30:31], v[50:51], v[36:37] op_sel_hi:[0,1]
	v_cvt_pk_f32_fp8_e32 v[26:27], v11
	v_cvt_pk_f32_fp8_sdwa v[70:71], v12 src0_sel:WORD_1
	v_mfma_f32_16x16x16_bf16 v[34:37], v[42:43], v[28:29], v[22:25]
	v_pk_mul_f32 v[40:41], v[50:51], v[40:41] op_sel_hi:[0,1]
	v_perm_b32 v44, v27, v26, s33
	s_nop 0
	v_cvt_pk_f32_fp8_e32 v[22:23], v10
	v_cvt_pk_f32_fp8_sdwa v[24:25], v10 src0_sel:WORD_1
	v_cvt_pk_f32_fp8_sdwa v[10:11], v11 src0_sel:WORD_1
	v_perm_b32 v42, v23, v22, s33
	v_perm_b32 v43, v25, v24, s33
	;; [unrolled: 1-line block ×3, first 2 shown]
	v_cvt_pk_f32_fp8_e32 v[10:11], v12
	v_mfma_f32_16x16x16_bf16 v[34:37], v[42:43], v[18:19], v[34:37]
	global_load_dwordx4 v[26:29], v[46:47], off
	global_load_dwordx4 v[22:25], v[48:49], off
	v_perm_b32 v18, v11, v10, s33
	v_perm_b32 v19, v71, v70, s33
	v_cvt_pk_f32_fp8_e32 v[42:43], v13
	v_cvt_pk_f32_fp8_sdwa v[46:47], v13 src0_sel:WORD_1
	v_mfma_f32_16x16x16_bf16 v[10:13], v[44:45], v[20:21], v[34:37]
	v_pk_mul_f32 v[44:45], v[50:51], v[38:39] op_sel_hi:[0,1]
	v_perm_b32 v20, v43, v42, s33
	v_perm_b32 v21, v47, v46, s33
	v_mfma_f32_16x16x16_bf16 v[10:13], v[18:19], v[14:15], v[10:13]
	v_pk_mul_f32 v[38:39], v[50:51], v[68:69] op_sel_hi:[0,1]
	v_pk_mul_f32 v[42:43], v[50:51], v[66:67] op_sel_hi:[0,1]
	v_mfma_f32_16x16x16_bf16 v[10:13], v[20:21], v[16:17], v[10:13]
	s_nop 6
	v_pk_mul_f32 v[36:37], v[50:51], v[10:11] op_sel_hi:[0,1]
	v_and_b32_e32 v10, 0xc0, v0
	v_add_u32_e32 v10, s18, v10
	v_lshl_or_b32 v10, v60, 2, v10
	v_or_b32_e32 v11, 1, v10
	v_pk_mul_f32 v[34:35], v[50:51], v[12:13] op_sel_hi:[0,1]
	v_subrev_u32_e32 v12, s7, v11
	v_add_u32_e32 v14, 1, v12
	v_add_u32_e32 v15, 2, v12
	v_cvt_f32_i32_e32 v13, v12
	v_cvt_f32_i32_e32 v14, v14
	;; [unrolled: 1-line block ×3, first 2 shown]
	v_add_u32_e32 v16, 3, v12
	v_fma_f32 v18, v61, v13, v32
	v_fmac_f32_e32 v33, v61, v14
	v_fma_f32 v48, v61, v15, v30
	v_add_u32_e32 v13, 16, v12
	v_add_u32_e32 v14, 17, v12
	v_add_u32_e32 v15, 18, v12
	v_cvt_f32_i32_e32 v16, v16
	v_cvt_f32_i32_e32 v13, v13
	;; [unrolled: 1-line block ×4, first 2 shown]
	v_fmac_f32_e32 v31, v61, v16
	v_add_u32_e32 v16, 19, v12
	v_fma_f32 v44, v61, v13, v44
	v_fmac_f32_e32 v45, v61, v14
	v_fma_f32 v40, v61, v15, v40
	v_add_u32_e32 v13, 32, v12
	v_add_u32_e32 v14, 33, v12
	;; [unrolled: 1-line block ×3, first 2 shown]
	v_cvt_f32_i32_e32 v16, v16
	v_cvt_f32_i32_e32 v13, v13
	;; [unrolled: 1-line block ×4, first 2 shown]
	v_fmac_f32_e32 v41, v61, v16
	v_add_u32_e32 v16, 35, v12
	v_fma_f32 v42, v61, v13, v42
	v_fmac_f32_e32 v43, v61, v14
	v_fma_f32 v38, v61, v15, v38
	v_add_u32_e32 v13, 48, v12
	v_add_u32_e32 v14, 49, v12
	;; [unrolled: 1-line block ×4, first 2 shown]
	v_cvt_f32_i32_e32 v12, v12
	v_cvt_f32_i32_e32 v13, v13
	;; [unrolled: 1-line block ×3, first 2 shown]
	v_cmp_gt_i32_e64 s[8:9], s7, v10
	v_fmac_f32_e32 v35, v61, v12
	v_mov_b32_e32 v12, 0xff7fffff
	v_cmp_gt_i32_e64 s[10:11], s7, v11
	v_fma_f32 v36, v61, v13, v36
	v_cndmask_b32_e64 v13, v12, v18, s[8:9]
	v_cndmask_b32_e64 v11, v12, v33, s[10:11]
	v_fmac_f32_e32 v37, v61, v14
	v_max3_f32 v11, v13, s40, v11
	v_or_b32_e32 v13, 2, v10
	v_or_b32_e32 v14, 3, v10
	v_cmp_gt_i32_e64 s[12:13], s7, v13
	v_cmp_gt_i32_e64 s[14:15], s7, v14
	v_cvt_f32_i32_e32 v16, v16
	v_cndmask_b32_e64 v13, v12, v48, s[12:13]
	v_cndmask_b32_e64 v14, v12, v31, s[14:15]
	v_max3_f32 v11, v11, v13, v14
	v_or_b32_e32 v13, 16, v10
	v_or_b32_e32 v14, 17, v10
	v_cmp_gt_i32_e64 s[16:17], s7, v13
	v_cmp_gt_i32_e64 s[18:19], s7, v14
	v_fmac_f32_e32 v39, v61, v16
	v_cndmask_b32_e64 v13, v12, v44, s[16:17]
	v_cndmask_b32_e64 v14, v12, v45, s[18:19]
	v_max3_f32 v11, v11, v13, v14
	v_or_b32_e32 v13, 18, v10
	v_or_b32_e32 v14, 19, v10
	v_cmp_gt_i32_e64 s[20:21], s7, v13
	v_cmp_gt_i32_e64 s[22:23], s7, v14
	v_cvt_f32_i32_e32 v15, v15
	v_cndmask_b32_e64 v13, v12, v40, s[20:21]
	v_cndmask_b32_e64 v14, v12, v41, s[22:23]
	v_max3_f32 v11, v11, v13, v14
	v_or_b32_e32 v13, 32, v10
	v_or_b32_e32 v14, 33, v10
	v_cmp_gt_i32_e64 s[24:25], s7, v13
	v_cmp_gt_i32_e64 s[26:27], s7, v14
	v_fma_f32 v34, v61, v15, v34
	v_cndmask_b32_e64 v13, v12, v42, s[24:25]
	v_cndmask_b32_e64 v14, v12, v43, s[26:27]
	v_max3_f32 v11, v11, v13, v14
	v_or_b32_e32 v13, 34, v10
	v_or_b32_e32 v14, 35, v10
	v_cmp_gt_i32_e64 s[28:29], s7, v13
	v_cmp_gt_i32_e64 s[30:31], s7, v14
	s_nop 0
	v_cndmask_b32_e64 v13, v12, v38, s[28:29]
	v_cndmask_b32_e64 v14, v12, v39, s[30:31]
	v_max3_f32 v11, v11, v13, v14
	v_or_b32_e32 v13, 48, v10
	v_or_b32_e32 v14, 49, v10
	v_cmp_gt_i32_e64 s[34:35], s7, v13
	v_cmp_gt_i32_e64 s[36:37], s7, v14
	s_nop 0
	v_cndmask_b32_e64 v13, v12, v36, s[34:35]
	v_cndmask_b32_e64 v14, v12, v37, s[36:37]
	v_max3_f32 v11, v11, v13, v14
	v_or_b32_e32 v13, 50, v10
	v_or_b32_e32 v10, 51, v10
	v_cmp_gt_i32_e32 vcc, s7, v13
	v_cmp_gt_i32_e64 s[4:5], s7, v10
	s_nop 0
	v_cndmask_b32_e32 v13, v12, v34, vcc
	v_cndmask_b32_e64 v10, v12, v35, s[4:5]
	v_max3_f32 v14, v11, v13, v10
	v_mbcnt_lo_u32_b32 v10, -1, 0
	v_mbcnt_hi_u32_b32 v15, -1, v10
	v_and_b32_e32 v10, 64, v15
	v_add_u32_e32 v16, 64, v10
	v_xor_b32_e32 v10, 32, v15
	v_cmp_lt_i32_e64 s[38:39], v10, v16
	s_nop 1
	v_cndmask_b32_e64 v10, v15, v10, s[38:39]
	v_lshlrev_b32_e32 v51, 2, v10
	ds_bpermute_b32 v17, v51, v14
	v_lshl_add_u64 v[10:11], s[46:47], 0, v[58:59]
	v_mad_i64_i32 v[12:13], s[38:39], v62, s45, v[10:11]
	s_waitcnt lgkmcnt(0)
	v_max_f32_e32 v17, v17, v17
	v_max_f32_e32 v19, v14, v17
	v_xor_b32_e32 v14, 16, v15
	v_cmp_lt_i32_e64 s[38:39], v14, v16
	s_nop 1
	v_cndmask_b32_e64 v14, v15, v14, s[38:39]
	v_lshlrev_b32_e32 v58, 2, v14
	ds_bpermute_b32 v20, v58, v19
	v_mad_i64_i32 v[14:15], s[38:39], v53, s45, v[10:11]
	v_mad_i64_i32 v[16:17], s[38:39], v64, s45, v[10:11]
	s_waitcnt lgkmcnt(0)
	v_max_f32_e32 v20, v20, v20
	v_max_f32_e32 v50, v19, v20
	v_sub_f32_e32 v18, v18, v50
	v_sub_f32_e32 v19, v33, v50
	v_mul_f32_e32 v18, 0x3fb8aa3b, v18
	v_mul_f32_e32 v19, 0x3fb8aa3b, v19
	v_exp_f32_e32 v18, v18
	v_exp_f32_e32 v19, v19
	v_sub_f32_e32 v49, v31, v50
	v_mad_i64_i32 v[10:11], s[38:39], v63, s45, v[10:11]
	v_cndmask_b32_e64 v46, 0, v18, s[8:9]
	v_cndmask_b32_e64 v47, 0, v19, s[10:11]
	global_load_dwordx4 v[30:33], v[12:13], off
	global_load_dwordx4 v[18:21], v[14:15], off
	v_sub_f32_e32 v12, v48, v50
	v_mul_f32_e32 v12, 0x3fb8aa3b, v12
	v_exp_f32_e32 v48, v12
	global_load_dwordx4 v[14:17], v[16:17], off
	s_nop 0
	global_load_dwordx4 v[10:13], v[10:11], off
	v_sub_f32_e32 v40, v40, v50
	v_sub_f32_e32 v42, v42, v50
	v_mul_f32_e32 v40, 0x3fb8aa3b, v40
	v_mul_f32_e32 v42, 0x3fb8aa3b, v42
	v_exp_f32_e32 v40, v40
	v_exp_f32_e32 v53, v42
	v_mul_f32_e32 v49, 0x3fb8aa3b, v49
	v_sub_f32_e32 v44, v44, v50
	v_exp_f32_e32 v49, v49
	v_mul_f32_e32 v44, 0x3fb8aa3b, v44
	v_sub_f32_e32 v45, v45, v50
	v_sub_f32_e32 v42, v43, v50
	v_exp_f32_e32 v44, v44
	v_mul_f32_e32 v45, 0x3fb8aa3b, v45
	v_mul_f32_e32 v42, 0x3fb8aa3b, v42
	v_exp_f32_e32 v45, v45
	v_sub_f32_e32 v41, v41, v50
	v_exp_f32_e32 v59, v42
	v_cndmask_b32_e64 v42, 0, v40, s[20:21]
	v_cndmask_b32_e64 v40, 0, v53, s[24:25]
	v_add_f32_e32 v53, 0, v46
	v_cndmask_b32_e64 v48, 0, v48, s[12:13]
	v_mul_f32_e32 v41, 0x3fb8aa3b, v41
	v_add_f32_e32 v53, v53, v47
	v_cndmask_b32_e64 v49, 0, v49, s[14:15]
	v_exp_f32_e32 v41, v41
	v_add_f32_e32 v53, v53, v48
	v_cndmask_b32_e64 v44, 0, v44, s[16:17]
	v_sub_f32_e32 v38, v38, v50
	v_add_f32_e32 v53, v53, v49
	v_cndmask_b32_e64 v45, 0, v45, s[18:19]
	v_sub_f32_e32 v39, v39, v50
	v_mul_f32_e32 v38, 0x3fb8aa3b, v38
	v_add_f32_e32 v53, v53, v44
	v_exp_f32_e32 v38, v38
	v_mul_f32_e32 v39, 0x3fb8aa3b, v39
	v_sub_f32_e32 v36, v36, v50
	v_add_f32_e32 v53, v53, v45
	v_cndmask_b32_e64 v43, 0, v41, s[22:23]
	v_exp_f32_e32 v39, v39
	v_mul_f32_e32 v36, 0x3fb8aa3b, v36
	v_sub_f32_e32 v37, v37, v50
	v_add_f32_e32 v53, v53, v42
	v_exp_f32_e32 v36, v36
	v_mul_f32_e32 v37, 0x3fb8aa3b, v37
	v_add_f32_e32 v53, v53, v43
	v_sub_f32_e32 v34, v34, v50
	v_cndmask_b32_e64 v41, 0, v59, s[26:27]
	v_exp_f32_e32 v37, v37
	v_add_f32_e32 v53, v53, v40
	v_mul_f32_e32 v34, 0x3fb8aa3b, v34
	v_sub_f32_e32 v35, v35, v50
	v_cndmask_b32_e64 v38, 0, v38, s[28:29]
	v_add_f32_e32 v53, v53, v41
	v_exp_f32_e32 v34, v34
	v_mul_f32_e32 v35, 0x3fb8aa3b, v35
	v_cndmask_b32_e64 v39, 0, v39, s[30:31]
	v_add_f32_e32 v53, v53, v38
	v_exp_f32_e32 v35, v35
	v_cndmask_b32_e64 v36, 0, v36, s[34:35]
	v_add_f32_e32 v53, v53, v39
	v_cndmask_b32_e64 v37, 0, v37, s[36:37]
	v_add_f32_e32 v53, v53, v36
	v_add_f32_e32 v53, v53, v37
	v_cndmask_b32_e32 v34, 0, v34, vcc
	v_add_f32_e32 v53, v53, v34
	v_cndmask_b32_e64 v35, 0, v35, s[4:5]
	v_add_f32_e32 v53, v53, v35
	ds_bpermute_b32 v51, v51, v53
	v_cmp_gt_u32_e32 vcc, 16, v55
	s_waitcnt lgkmcnt(0)
	s_barrier
	v_add_f32_e32 v51, v53, v51
	ds_bpermute_b32 v53, v58, v51
	s_and_saveexec_b64 s[4:5], vcc
	s_cbranch_execz .LBB1294_15
; %bb.14:
	s_waitcnt lgkmcnt(0)
	v_add_f32_e32 v51, v51, v53
	v_lshlrev_b32_e32 v52, 2, v52
	ds_write2st64_b32 v52, v50, v51 offset1:1
.LBB1294_15:
	s_or_b64 exec, exec, s[4:5]
	v_lshlrev_b32_e32 v51, 2, v56
	s_load_dword s7, s[0:1], 0x94
	s_waitcnt lgkmcnt(0)
	s_barrier
	ds_read2_b32 v[52:53], v51 offset1:16
	ds_read2_b32 v[58:59], v51 offset0:32 offset1:48
	ds_read2_b32 v[62:63], v51 offset0:64 offset1:80
	s_movk_i32 s9, 0x7fff
	s_mul_i32 s8, s44, 7
	s_waitcnt lgkmcnt(2)
	v_max3_f32 v50, v52, s40, v53
	s_waitcnt lgkmcnt(1)
	v_max3_f32 v50, v50, v58, v59
	v_sub_f32_e32 v52, v52, v50
	v_mul_f32_e32 v52, 0x3fb8aa3b, v52
	v_exp_f32_e32 v55, v52
	v_sub_f32_e32 v52, v53, v50
	v_mul_f32_e32 v52, 0x3fb8aa3b, v52
	v_exp_f32_e32 v61, v52
	;; [unrolled: 3-line block ×3, first 2 shown]
	ds_read2_b32 v[52:53], v51 offset0:96 offset1:112
	v_sub_f32_e32 v51, v59, v50
	v_mul_f32_e32 v51, 0x3fb8aa3b, v51
	v_exp_f32_e32 v59, v51
	s_waitcnt lgkmcnt(1)
	v_fma_f32 v51, v55, v62, 0
	v_fmac_f32_e32 v51, v61, v63
	s_waitcnt lgkmcnt(0)
	v_fmac_f32_e32 v51, v58, v52
	v_fmac_f32_e32 v51, v59, v53
	v_add_f32_e32 v52, 0x358637bd, v51
	v_div_scale_f32 v53, s[4:5], v52, v52, 1.0
	v_rcp_f32_e32 v62, v53
	s_barrier
	v_fma_f32 v63, -v53, v62, 1.0
	v_fmac_f32_e32 v62, v63, v62
	v_div_scale_f32 v63, vcc, 1.0, v52, 1.0
	v_mul_f32_e32 v64, v63, v62
	v_fma_f32 v65, -v53, v64, v63
	v_fmac_f32_e32 v64, v65, v62
	v_fma_f32 v53, -v53, v64, v63
	v_div_fmas_f32 v53, v53, v62, v64
	v_cmp_eq_u32_e32 vcc, 1, v57
	v_div_fixup_f32 v52, v53, v52, 1.0
	s_nop 0
	v_cndmask_b32_e32 v53, v55, v61, vcc
	v_cmp_eq_u32_e32 vcc, 2, v57
	s_nop 1
	v_cndmask_b32_e32 v53, v53, v58, vcc
	v_cmp_eq_u32_e32 vcc, 3, v57
	s_nop 1
	v_cndmask_b32_e32 v53, v53, v59, vcc
	v_mul_f32_e32 v52, v53, v52
	v_pk_mul_f32 v[46:47], v[52:53], v[46:47] op_sel_hi:[0,1]
	v_pk_mul_f32 v[48:49], v[52:53], v[48:49] op_sel_hi:[0,1]
	v_bfe_u32 v53, v47, 16, 1
	v_bfe_u32 v55, v46, 16, 1
	v_add3_u32 v46, v46, v55, s9
	v_add3_u32 v47, v47, v53, s9
	v_perm_b32 v58, v47, v46, s33
	v_bfe_u32 v46, v49, 16, 1
	v_bfe_u32 v47, v48, 16, 1
	v_add3_u32 v47, v48, v47, s9
	v_add3_u32 v46, v49, v46, s9
	v_perm_b32 v59, v46, v47, s33
	v_lshlrev_b32_e32 v47, 3, v60
	v_lshlrev_b32_e32 v46, 5, v56
	;; [unrolled: 1-line block ×3, first 2 shown]
	v_pk_mul_f32 v[44:45], v[52:53], v[44:45] op_sel_hi:[0,1]
	v_or3_b32 v55, v48, v46, v47
	v_bfe_u32 v47, v45, 16, 1
	v_bfe_u32 v48, v44, 16, 1
	v_pk_mul_f32 v[42:43], v[52:53], v[42:43] op_sel_hi:[0,1]
	v_add3_u32 v44, v44, v48, s9
	v_add3_u32 v45, v45, v47, s9
	v_perm_b32 v44, v45, v44, s33
	v_bfe_u32 v45, v43, 16, 1
	v_bfe_u32 v47, v42, 16, 1
	v_add3_u32 v42, v42, v47, s9
	v_add3_u32 v43, v43, v45, s9
	v_pk_mul_f32 v[40:41], v[52:53], v[40:41] op_sel_hi:[0,1]
	v_perm_b32 v45, v43, v42, s33
	v_bfe_u32 v42, v41, 16, 1
	v_bfe_u32 v43, v40, 16, 1
	v_pk_mul_f32 v[38:39], v[52:53], v[38:39] op_sel_hi:[0,1]
	v_add3_u32 v40, v40, v43, s9
	v_add3_u32 v41, v41, v42, s9
	v_perm_b32 v40, v41, v40, s33
	v_bfe_u32 v41, v39, 16, 1
	v_bfe_u32 v42, v38, 16, 1
	v_add3_u32 v38, v38, v42, s9
	v_add3_u32 v39, v39, v41, s9
	v_pk_mul_f32 v[36:37], v[52:53], v[36:37] op_sel_hi:[0,1]
	v_perm_b32 v41, v39, v38, s33
	v_bfe_u32 v38, v37, 16, 1
	v_bfe_u32 v39, v36, 16, 1
	v_pk_mul_f32 v[34:35], v[52:53], v[34:35] op_sel_hi:[0,1]
	v_add3_u32 v36, v36, v39, s9
	v_add3_u32 v37, v37, v38, s9
	v_perm_b32 v36, v37, v36, s33
	v_bfe_u32 v37, v35, 16, 1
	v_bfe_u32 v38, v34, 16, 1
	v_add3_u32 v34, v34, v38, s9
	v_add3_u32 v35, v35, v37, s9
	v_perm_b32 v37, v35, v34, s33
	v_cmp_gt_u32_e32 vcc, 7, v0
	ds_write2st64_b64 v55, v[58:59], v[44:45] offset1:1
	ds_write2st64_b64 v55, v[40:41], v[36:37] offset0:2 offset1:3
	s_and_saveexec_b64 s[4:5], vcc
	s_cbranch_execz .LBB1294_17
; %bb.16:
	s_mov_b32 s49, 0
	v_mov_b32_e32 v57, 0
	v_lshl_add_u64 v[34:35], s[48:49], 0, v[56:57]
	v_mov_b32_e32 v36, s8
	v_mad_u64_u32 v[34:35], s[10:11], s2, v36, v[34:35]
	s_mul_i32 s3, s3, s8
	v_mov_b32_e32 v36, s6
	v_mov_b32_e32 v37, v57
	s_load_dwordx4 s[12:15], s[0:1], 0x58
	v_add_u32_e32 v38, s3, v35
	v_mad_u64_u32 v[34:35], s[10:11], v34, s7, v[36:37]
	v_mov_b32_e32 v36, v35
	v_mad_u64_u32 v[36:37], s[10:11], v38, s7, v[36:37]
	v_mov_b32_e32 v35, v36
	v_lshlrev_b64 v[34:35], 2, v[34:35]
	s_waitcnt lgkmcnt(0)
	v_lshl_add_u64 v[36:37], s[14:15], 0, v[34:35]
	v_lshl_add_u64 v[34:35], s[12:13], 0, v[34:35]
	global_store_dword v[36:37], v50, off
	global_store_dword v[34:35], v51, off
.LBB1294_17:
	s_or_b64 exec, exec, s[4:5]
	s_waitcnt vmcnt(7)
	v_cvt_pk_f32_fp8_e32 v[34:35], v6
	v_cvt_pk_f32_fp8_sdwa v[36:37], v6 src0_sel:WORD_1
	v_lshl_or_b32 v50, v60, 9, v46
	s_mov_b32 s5, 0x7060302
	s_waitcnt lgkmcnt(0)
	s_barrier
	v_cvt_pk_f32_fp8_e32 v[38:39], v7
	v_perm_b32 v6, v35, v34, s5
	v_cvt_pk_f32_fp8_sdwa v[40:41], v7 src0_sel:WORD_1
	v_perm_b32 v7, v37, v36, s5
	ds_read_b128 v[34:37], v50
	v_perm_b32 v46, v39, v38, s5
	v_perm_b32 v47, v41, v40, s5
	ds_read_b128 v[38:41], v50 offset:16
	v_cvt_pk_f32_fp8_e32 v[48:49], v8
	v_cvt_pk_f32_fp8_sdwa v[52:53], v8 src0_sel:WORD_1
	s_waitcnt lgkmcnt(1)
	v_mfma_f32_16x16x16_bf16 v[42:45], v[6:7], v[34:35], 0
	s_waitcnt vmcnt(6)
	v_cvt_pk_f32_fp8_e32 v[58:59], v4
	v_perm_b32 v6, v49, v48, s5
	v_perm_b32 v7, v53, v52, s5
	v_cvt_pk_f32_fp8_e32 v[48:49], v9
	v_mfma_f32_16x16x16_bf16 v[42:45], v[46:47], v[36:37], v[42:45]
	v_cvt_pk_f32_fp8_sdwa v[46:47], v9 src0_sel:WORD_1
	v_cvt_pk_f32_fp8_sdwa v[62:63], v4 src0_sel:WORD_1
	v_perm_b32 v48, v49, v48, s5
	s_waitcnt lgkmcnt(0)
	v_mfma_f32_16x16x16_bf16 v[6:9], v[6:7], v[38:39], v[42:45]
	v_perm_b32 v49, v47, v46, s5
	s_waitcnt vmcnt(5)
	v_cvt_pk_f32_fp8_sdwa v[66:67], v28 src0_sel:WORD_1
	s_waitcnt vmcnt(4)
	v_cvt_pk_f32_fp8_sdwa v[68:69], v24 src0_sel:WORD_1
	v_cvt_pk_f32_fp8_e32 v[42:43], v2
	v_mfma_f32_16x16x16_bf16 v[46:49], v[48:49], v[40:41], v[6:9]
	s_load_dword s4, s[42:43], 0x0
	s_waitcnt vmcnt(3)
	v_cvt_pk_f32_fp8_sdwa v[70:71], v32 src0_sel:WORD_1
	v_cvt_pk_f32_fp8_sdwa v[6:7], v2 src0_sel:WORD_1
	v_cvt_pk_f32_fp8_e32 v[8:9], v3
	v_perm_b32 v2, v43, v42, s5
	v_cvt_pk_f32_fp8_sdwa v[42:43], v3 src0_sel:WORD_1
	v_perm_b32 v3, v7, v6, s5
	v_perm_b32 v52, v9, v8, s5
	ds_read_b128 v[6:9], v50 offset:2048
	v_perm_b32 v53, v43, v42, s5
	ds_read_b128 v[42:45], v50 offset:2064
	s_waitcnt lgkmcnt(0)
	v_mfma_f32_16x16x16_bf16 v[46:49], v[2:3], v[6:7], v[46:49]
	v_perm_b32 v2, v59, v58, s5
	v_perm_b32 v3, v63, v62, s5
	v_cvt_pk_f32_fp8_e32 v[58:59], v5
	v_mfma_f32_16x16x16_bf16 v[46:49], v[52:53], v[8:9], v[46:49]
	v_cvt_pk_f32_fp8_sdwa v[52:53], v5 src0_sel:WORD_1
	s_mov_b32 s3, 0
	v_perm_b32 v58, v59, v58, s5
	v_mfma_f32_16x16x16_bf16 v[2:5], v[2:3], v[42:43], v[46:49]
	v_perm_b32 v59, v53, v52, s5
	v_cmp_gt_u32_e32 vcc, 64, v0
	s_nop 0
	v_cvt_pk_f32_fp8_e32 v[46:47], v26
	v_mfma_f32_16x16x16_bf16 v[62:65], v[58:59], v[44:45], v[2:5]
	v_cvt_pk_f32_fp8_e32 v[58:59], v28
	s_nop 1
	v_cvt_pk_f32_fp8_sdwa v[2:3], v26 src0_sel:WORD_1
	v_cvt_pk_f32_fp8_e32 v[4:5], v27
	v_perm_b32 v26, v47, v46, s5
	v_cvt_pk_f32_fp8_sdwa v[46:47], v27 src0_sel:WORD_1
	v_perm_b32 v27, v3, v2, s5
	v_perm_b32 v52, v5, v4, s5
	ds_read_b128 v[2:5], v50 offset:4096
	v_perm_b32 v53, v47, v46, s5
	ds_read_b128 v[46:49], v50 offset:4112
	s_waitcnt lgkmcnt(1)
	v_mfma_f32_16x16x16_bf16 v[62:65], v[26:27], v[2:3], v[62:65]
	v_perm_b32 v26, v59, v58, s5
	v_perm_b32 v27, v67, v66, s5
	v_cvt_pk_f32_fp8_e32 v[58:59], v29
	v_mfma_f32_16x16x16_bf16 v[62:65], v[52:53], v[4:5], v[62:65]
	v_cvt_pk_f32_fp8_sdwa v[52:53], v29 src0_sel:WORD_1
	v_cvt_pk_f32_fp8_e32 v[66:67], v24
	v_perm_b32 v58, v59, v58, s5
	s_waitcnt lgkmcnt(0)
	v_mfma_f32_16x16x16_bf16 v[26:29], v[26:27], v[46:47], v[62:65]
	v_perm_b32 v59, v53, v52, s5
	v_cvt_pk_f32_fp8_e32 v[52:53], v22
	s_nop 0
	v_mfma_f32_16x16x16_bf16 v[62:65], v[58:59], v[48:49], v[26:29]
	s_nop 2
	v_cvt_pk_f32_fp8_sdwa v[26:27], v22 src0_sel:WORD_1
	v_cvt_pk_f32_fp8_e32 v[28:29], v23
	v_perm_b32 v22, v53, v52, s5
	v_cvt_pk_f32_fp8_sdwa v[52:53], v23 src0_sel:WORD_1
	v_perm_b32 v23, v27, v26, s5
	v_perm_b32 v58, v29, v28, s5
	ds_read_b128 v[26:29], v50 offset:6144
	v_perm_b32 v59, v53, v52, s5
	s_waitcnt lgkmcnt(0)
	v_mfma_f32_16x16x16_bf16 v[62:65], v[22:23], v[26:27], v[62:65]
	ds_read_b128 v[50:53], v50 offset:6160
	v_perm_b32 v22, v67, v66, s5
	v_perm_b32 v23, v69, v68, s5
	v_cvt_pk_f32_fp8_e32 v[66:67], v25
	v_mfma_f32_16x16x16_bf16 v[62:65], v[58:59], v[28:29], v[62:65]
	v_cvt_pk_f32_fp8_sdwa v[58:59], v25 src0_sel:WORD_1
	v_cvt_pk_f32_fp8_e32 v[68:69], v32
	v_perm_b32 v66, v67, v66, s5
	s_waitcnt lgkmcnt(0)
	v_mfma_f32_16x16x16_bf16 v[22:25], v[22:23], v[50:51], v[62:65]
	v_perm_b32 v67, v59, v58, s5
	v_cvt_pk_f32_fp8_sdwa v[58:59], v30 src0_sel:WORD_1
	s_nop 0
	v_mfma_f32_16x16x16_bf16 v[62:65], v[66:67], v[52:53], v[22:25]
	s_barrier
	s_nop 1
	v_cvt_pk_f32_fp8_e32 v[24:25], v30
	s_nop 2
	v_pk_mul_f32 v[66:67], v[62:63], s[4:5] op_sel_hi:[1,0]
	v_cvt_pk_f32_fp8_e32 v[62:63], v31
	v_perm_b32 v24, v25, v24, s5
	v_perm_b32 v25, v59, v58, s5
	v_cvt_pk_f32_fp8_sdwa v[30:31], v31 src0_sel:WORD_1
	v_perm_b32 v58, v63, v62, s5
	v_pk_mul_f32 v[22:23], v[64:65], s[4:5] op_sel_hi:[1,0]
	v_mfma_f32_16x16x16_bf16 v[62:65], v[24:25], v[34:35], 0
	v_perm_b32 v59, v31, v30, s5
	v_perm_b32 v24, v69, v68, s5
	;; [unrolled: 1-line block ×3, first 2 shown]
	v_cvt_pk_f32_fp8_e32 v[34:35], v33
	v_cvt_pk_f32_fp8_sdwa v[68:69], v33 src0_sel:WORD_1
	v_mfma_f32_16x16x16_bf16 v[30:33], v[58:59], v[36:37], v[62:65]
	s_waitcnt vmcnt(2)
	v_cvt_pk_f32_fp8_sdwa v[36:37], v18 src0_sel:WORD_1
	v_perm_b32 v34, v35, v34, s5
	v_perm_b32 v35, v69, v68, s5
	v_mfma_f32_16x16x16_bf16 v[30:33], v[24:25], v[38:39], v[30:33]
	v_cvt_pk_f32_fp8_e32 v[24:25], v18
	v_cvt_pk_f32_fp8_sdwa v[38:39], v20 src0_sel:WORD_1
	v_bfe_u32 v57, v67, 16, 1
	v_mfma_f32_16x16x16_bf16 v[30:33], v[34:35], v[40:41], v[30:33]
	v_cvt_pk_f32_fp8_e32 v[34:35], v19
	v_perm_b32 v24, v25, v24, s5
	v_perm_b32 v25, v37, v36, s5
	v_cvt_pk_f32_fp8_sdwa v[18:19], v19 src0_sel:WORD_1
	v_perm_b32 v34, v35, v34, s5
	v_cvt_pk_f32_fp8_e32 v[36:37], v20
	v_mfma_f32_16x16x16_bf16 v[30:33], v[24:25], v[6:7], v[30:33]
	v_perm_b32 v35, v19, v18, s5
	v_perm_b32 v18, v37, v36, s5
	;; [unrolled: 1-line block ×3, first 2 shown]
	v_cvt_pk_f32_fp8_e32 v[24:25], v21
	v_cvt_pk_f32_fp8_sdwa v[20:21], v21 src0_sel:WORD_1
	v_mfma_f32_16x16x16_bf16 v[6:9], v[34:35], v[8:9], v[30:33]
	v_bfe_u32 v58, v66, 16, 1
	v_perm_b32 v24, v25, v24, s5
	v_perm_b32 v25, v21, v20, s5
	v_mfma_f32_16x16x16_bf16 v[6:9], v[18:19], v[42:43], v[6:9]
	s_waitcnt vmcnt(1)
	v_cvt_pk_f32_fp8_e32 v[18:19], v14
	v_cvt_pk_f32_fp8_sdwa v[20:21], v14 src0_sel:WORD_1
	v_cvt_pk_f32_fp8_sdwa v[30:31], v16 src0_sel:WORD_1
	v_mfma_f32_16x16x16_bf16 v[6:9], v[24:25], v[44:45], v[6:9]
	v_cvt_pk_f32_fp8_e32 v[24:25], v15
	v_perm_b32 v18, v19, v18, s5
	v_perm_b32 v19, v21, v20, s5
	v_cvt_pk_f32_fp8_sdwa v[14:15], v15 src0_sel:WORD_1
	v_perm_b32 v20, v25, v24, s5
	v_cvt_pk_f32_fp8_e32 v[24:25], v16
	v_mfma_f32_16x16x16_bf16 v[6:9], v[18:19], v[2:3], v[6:9]
	v_perm_b32 v21, v15, v14, s5
	v_perm_b32 v14, v25, v24, s5
	;; [unrolled: 1-line block ×3, first 2 shown]
	v_cvt_pk_f32_fp8_e32 v[18:19], v17
	v_cvt_pk_f32_fp8_sdwa v[16:17], v17 src0_sel:WORD_1
	v_mfma_f32_16x16x16_bf16 v[2:5], v[20:21], v[4:5], v[6:9]
	v_add3_u32 v32, v66, v58, s9
	v_add3_u32 v33, v67, v57, s9
	s_nop 0
	v_perm_b32 v8, v19, v18, s5
	v_perm_b32 v9, v17, v16, s5
	v_mfma_f32_16x16x16_bf16 v[2:5], v[14:15], v[46:47], v[2:5]
	s_waitcnt vmcnt(0)
	v_cvt_pk_f32_fp8_e32 v[14:15], v10
	v_cvt_pk_f32_fp8_sdwa v[16:17], v10 src0_sel:WORD_1
	v_cvt_pk_f32_fp8_sdwa v[18:19], v12 src0_sel:WORD_1
	v_mfma_f32_16x16x16_bf16 v[2:5], v[8:9], v[48:49], v[2:5]
	v_cvt_pk_f32_fp8_e32 v[8:9], v11
	v_perm_b32 v14, v15, v14, s5
	v_perm_b32 v15, v17, v16, s5
	v_cvt_pk_f32_fp8_sdwa v[10:11], v11 src0_sel:WORD_1
	v_perm_b32 v8, v9, v8, s5
	v_cvt_pk_f32_fp8_e32 v[16:17], v12
	v_mfma_f32_16x16x16_bf16 v[2:5], v[14:15], v[26:27], v[2:5]
	v_perm_b32 v9, v11, v10, s5
	v_perm_b32 v10, v17, v16, s5
	;; [unrolled: 1-line block ×3, first 2 shown]
	v_cvt_pk_f32_fp8_e32 v[14:15], v13
	v_cvt_pk_f32_fp8_sdwa v[12:13], v13 src0_sel:WORD_1
	v_mfma_f32_16x16x16_bf16 v[2:5], v[8:9], v[28:29], v[2:5]
	v_bfe_u32 v7, v23, 16, 1
	v_perm_b32 v8, v15, v14, s5
	v_perm_b32 v9, v13, v12, s5
	v_mfma_f32_16x16x16_bf16 v[2:5], v[10:11], v[50:51], v[2:5]
	v_bfe_u32 v16, v22, 16, 1
	v_add3_u32 v10, v22, v16, s9
	v_add3_u32 v7, v23, v7, s9
	v_mfma_f32_16x16x16_bf16 v[2:5], v[8:9], v[52:53], v[2:5]
	v_perm_b32 v6, v33, v32, s5
	v_perm_b32 v7, v7, v10, s5
	s_nop 4
	v_pk_mul_f32 v[2:3], v[2:3], s[4:5] op_sel_hi:[1,0]
	v_pk_mul_f32 v[4:5], v[4:5], s[4:5] op_sel_hi:[1,0]
	v_bfe_u32 v8, v3, 16, 1
	v_bfe_u32 v9, v2, 16, 1
	v_add3_u32 v2, v2, v9, s9
	v_add3_u32 v3, v3, v8, s9
	v_perm_b32 v2, v3, v2, s5
	v_bfe_u32 v3, v5, 16, 1
	v_bfe_u32 v8, v4, 16, 1
	v_add3_u32 v4, v4, v8, s9
	v_add3_u32 v3, v5, v3, s9
	v_perm_b32 v3, v3, v4, s5
	ds_write2st64_b64 v55, v[6:7], v[2:3] offset1:1
	s_waitcnt lgkmcnt(0)
	s_barrier
	s_and_saveexec_b64 s[4:5], vcc
	s_cbranch_execz .LBB1294_20
; %bb.18:
	s_load_dwordx2 s[4:5], s[0:1], 0x68
	s_lshl_b32 s0, s7, 7
	s_mul_i32 s1, s8, s2
	v_lshlrev_b32_e32 v3, 6, v56
	s_mul_hi_u32 s9, s1, s0
	s_mul_i32 s8, s1, s0
	v_lshl_or_b32 v0, v0, 10, v3
	s_lshl_b64 s[8:9], s[8:9], 1
	v_lshlrev_b32_e32 v2, 5, v60
	v_and_b32_e32 v1, 16, v1
	v_and_b32_e32 v0, 0x1a00, v0
	s_waitcnt lgkmcnt(0)
	s_add_u32 s1, s4, s8
	v_or3_b32 v2, v0, v2, v1
	s_addc_u32 s4, s5, s9
	s_lshl_b32 s2, s6, 7
	s_lshl_b64 s[2:3], s[2:3], 1
	ds_read_b128 v[4:7], v2
	s_add_u32 s2, s1, s2
	s_addc_u32 s3, s4, s3
	v_mov_b32_e32 v55, 0
	v_add_u32_e32 v3, s48, v60
	v_lshl_add_u64 v[0:1], s[2:3], 0, v[54:55]
	v_mad_u64_u32 v[8:9], s[2:3], v3, s0, 0
	v_lshl_add_u64 v[8:9], v[8:9], 1, v[0:1]
	v_cmp_ne_u32_e32 vcc, 3, v60
	s_waitcnt lgkmcnt(0)
	global_store_dwordx4 v[8:9], v[4:7], off
	s_and_b64 exec, exec, vcc
	s_cbranch_execz .LBB1294_20
; %bb.19:
	ds_read_b128 v[2:5], v2 offset:128
	v_add3_u32 v6, s48, v60, 4
	v_mad_u64_u32 v[6:7], s[0:1], v6, s0, 0
	v_lshl_add_u64 v[0:1], v[6:7], 1, v[0:1]
	s_waitcnt lgkmcnt(0)
	global_store_dwordx4 v[0:1], v[2:5], off
.LBB1294_20:
	s_endpgm
	.section	.rodata,"a",@progbits
	.p2align	6, 0x0
	.amdhsa_kernel _Z39paged_attention_ll4mi_QKV_mfma16_kernelI14__hip_bfloat16hLN4vllm18Fp8KVCacheDataTypeE1ES0_Li16ELi128ELi256ELb1ELi7EEvPKT_PKT0_S8_ifPKiSA_SA_iPKfiiiPfSD_PS3_PT2_iSC_SC_
		.amdhsa_group_segment_fixed_size 8192
		.amdhsa_private_segment_fixed_size 0
		.amdhsa_kernarg_size 400
		.amdhsa_user_sgpr_count 2
		.amdhsa_user_sgpr_dispatch_ptr 0
		.amdhsa_user_sgpr_queue_ptr 0
		.amdhsa_user_sgpr_kernarg_segment_ptr 1
		.amdhsa_user_sgpr_dispatch_id 0
		.amdhsa_user_sgpr_kernarg_preload_length 0
		.amdhsa_user_sgpr_kernarg_preload_offset 0
		.amdhsa_user_sgpr_private_segment_size 0
		.amdhsa_uses_dynamic_stack 0
		.amdhsa_enable_private_segment 0
		.amdhsa_system_sgpr_workgroup_id_x 1
		.amdhsa_system_sgpr_workgroup_id_y 1
		.amdhsa_system_sgpr_workgroup_id_z 1
		.amdhsa_system_sgpr_workgroup_info 0
		.amdhsa_system_vgpr_workitem_id 0
		.amdhsa_next_free_vgpr 76
		.amdhsa_next_free_sgpr 50
		.amdhsa_accum_offset 76
		.amdhsa_reserve_vcc 1
		.amdhsa_float_round_mode_32 0
		.amdhsa_float_round_mode_16_64 0
		.amdhsa_float_denorm_mode_32 3
		.amdhsa_float_denorm_mode_16_64 3
		.amdhsa_dx10_clamp 1
		.amdhsa_ieee_mode 1
		.amdhsa_fp16_overflow 0
		.amdhsa_tg_split 0
		.amdhsa_exception_fp_ieee_invalid_op 0
		.amdhsa_exception_fp_denorm_src 0
		.amdhsa_exception_fp_ieee_div_zero 0
		.amdhsa_exception_fp_ieee_overflow 0
		.amdhsa_exception_fp_ieee_underflow 0
		.amdhsa_exception_fp_ieee_inexact 0
		.amdhsa_exception_int_div_zero 0
	.end_amdhsa_kernel
	.section	.text._Z39paged_attention_ll4mi_QKV_mfma16_kernelI14__hip_bfloat16hLN4vllm18Fp8KVCacheDataTypeE1ES0_Li16ELi128ELi256ELb1ELi7EEvPKT_PKT0_S8_ifPKiSA_SA_iPKfiiiPfSD_PS3_PT2_iSC_SC_,"axG",@progbits,_Z39paged_attention_ll4mi_QKV_mfma16_kernelI14__hip_bfloat16hLN4vllm18Fp8KVCacheDataTypeE1ES0_Li16ELi128ELi256ELb1ELi7EEvPKT_PKT0_S8_ifPKiSA_SA_iPKfiiiPfSD_PS3_PT2_iSC_SC_,comdat
.Lfunc_end1294:
	.size	_Z39paged_attention_ll4mi_QKV_mfma16_kernelI14__hip_bfloat16hLN4vllm18Fp8KVCacheDataTypeE1ES0_Li16ELi128ELi256ELb1ELi7EEvPKT_PKT0_S8_ifPKiSA_SA_iPKfiiiPfSD_PS3_PT2_iSC_SC_, .Lfunc_end1294-_Z39paged_attention_ll4mi_QKV_mfma16_kernelI14__hip_bfloat16hLN4vllm18Fp8KVCacheDataTypeE1ES0_Li16ELi128ELi256ELb1ELi7EEvPKT_PKT0_S8_ifPKiSA_SA_iPKfiiiPfSD_PS3_PT2_iSC_SC_
                                        ; -- End function
	.section	.AMDGPU.csdata,"",@progbits
; Kernel info:
; codeLenInByte = 6600
; NumSgprs: 56
; NumVgprs: 76
; NumAgprs: 0
; TotalNumVgprs: 76
; ScratchSize: 0
; MemoryBound: 0
; FloatMode: 240
; IeeeMode: 1
; LDSByteSize: 8192 bytes/workgroup (compile time only)
; SGPRBlocks: 6
; VGPRBlocks: 9
; NumSGPRsForWavesPerEU: 56
; NumVGPRsForWavesPerEU: 76
; AccumOffset: 76
; Occupancy: 6
; WaveLimiterHint : 1
; COMPUTE_PGM_RSRC2:SCRATCH_EN: 0
; COMPUTE_PGM_RSRC2:USER_SGPR: 2
; COMPUTE_PGM_RSRC2:TRAP_HANDLER: 0
; COMPUTE_PGM_RSRC2:TGID_X_EN: 1
; COMPUTE_PGM_RSRC2:TGID_Y_EN: 1
; COMPUTE_PGM_RSRC2:TGID_Z_EN: 1
; COMPUTE_PGM_RSRC2:TIDIG_COMP_CNT: 0
; COMPUTE_PGM_RSRC3_GFX90A:ACCUM_OFFSET: 18
; COMPUTE_PGM_RSRC3_GFX90A:TG_SPLIT: 0
	.section	.text._Z39paged_attention_ll4mi_QKV_mfma16_kernelI14__hip_bfloat16hLN4vllm18Fp8KVCacheDataTypeE1ES0_Li16ELi128ELi256ELb1ELi8EEvPKT_PKT0_S8_ifPKiSA_SA_iPKfiiiPfSD_PS3_PT2_iSC_SC_,"axG",@progbits,_Z39paged_attention_ll4mi_QKV_mfma16_kernelI14__hip_bfloat16hLN4vllm18Fp8KVCacheDataTypeE1ES0_Li16ELi128ELi256ELb1ELi8EEvPKT_PKT0_S8_ifPKiSA_SA_iPKfiiiPfSD_PS3_PT2_iSC_SC_,comdat
	.protected	_Z39paged_attention_ll4mi_QKV_mfma16_kernelI14__hip_bfloat16hLN4vllm18Fp8KVCacheDataTypeE1ES0_Li16ELi128ELi256ELb1ELi8EEvPKT_PKT0_S8_ifPKiSA_SA_iPKfiiiPfSD_PS3_PT2_iSC_SC_ ; -- Begin function _Z39paged_attention_ll4mi_QKV_mfma16_kernelI14__hip_bfloat16hLN4vllm18Fp8KVCacheDataTypeE1ES0_Li16ELi128ELi256ELb1ELi8EEvPKT_PKT0_S8_ifPKiSA_SA_iPKfiiiPfSD_PS3_PT2_iSC_SC_
	.globl	_Z39paged_attention_ll4mi_QKV_mfma16_kernelI14__hip_bfloat16hLN4vllm18Fp8KVCacheDataTypeE1ES0_Li16ELi128ELi256ELb1ELi8EEvPKT_PKT0_S8_ifPKiSA_SA_iPKfiiiPfSD_PS3_PT2_iSC_SC_
	.p2align	8
	.type	_Z39paged_attention_ll4mi_QKV_mfma16_kernelI14__hip_bfloat16hLN4vllm18Fp8KVCacheDataTypeE1ES0_Li16ELi128ELi256ELb1ELi8EEvPKT_PKT0_S8_ifPKiSA_SA_iPKfiiiPfSD_PS3_PT2_iSC_SC_,@function
_Z39paged_attention_ll4mi_QKV_mfma16_kernelI14__hip_bfloat16hLN4vllm18Fp8KVCacheDataTypeE1ES0_Li16ELi128ELi256ELb1ELi8EEvPKT_PKT0_S8_ifPKiSA_SA_iPKfiiiPfSD_PS3_PT2_iSC_SC_: ; @_Z39paged_attention_ll4mi_QKV_mfma16_kernelI14__hip_bfloat16hLN4vllm18Fp8KVCacheDataTypeE1ES0_Li16ELi128ELi256ELb1ELi8EEvPKT_PKT0_S8_ifPKiSA_SA_iPKfiiiPfSD_PS3_PT2_iSC_SC_
; %bb.0:
	s_load_dwordx2 s[8:9], s[0:1], 0x30
	s_mov_b32 s10, s3
	s_mov_b64 s[6:7], 0
	s_waitcnt lgkmcnt(0)
	s_cmp_lg_u64 s[8:9], 0
	s_cselect_b64 s[12:13], -1, 0
	s_and_b64 vcc, exec, s[12:13]
	s_cbranch_vccz .LBB1295_7
; %bb.1:
	s_add_i32 s14, s2, 1
	s_mov_b32 s15, 0
	s_lshl_b64 s[16:17], s[14:15], 2
	s_add_u32 s16, s8, s16
	s_mov_b32 s3, s15
	s_addc_u32 s17, s9, s17
	s_lshl_b64 s[14:15], s[2:3], 2
	s_add_u32 s14, s8, s14
	s_addc_u32 s15, s9, s15
	s_load_dword s5, s[16:17], 0x0
	s_load_dword s11, s[14:15], 0x0
	s_waitcnt lgkmcnt(0)
	s_sub_i32 s5, s5, s11
	s_cmp_eq_u32 s5, 1
	s_cselect_b64 s[14:15], -1, 0
	s_andn2_b64 vcc, exec, s[6:7]
	s_cbranch_vccnz .LBB1295_3
.LBB1295_2:
	s_mov_b32 s3, 0
	s_mov_b64 s[14:15], -1
.LBB1295_3:
	s_andn2_b64 vcc, exec, s[14:15]
	s_cbranch_vccnz .LBB1295_19
; %bb.4:
	s_load_dwordx2 s[6:7], s[0:1], 0x28
	s_lshl_b64 s[14:15], s[2:3], 2
	s_waitcnt lgkmcnt(0)
	s_add_u32 s6, s6, s14
	s_addc_u32 s7, s7, s15
	s_load_dword s33, s[6:7], 0x0
	s_lshl_b32 s18, s10, 8
	s_waitcnt lgkmcnt(0)
	s_cmp_ge_i32 s18, s33
	s_cbranch_scc1 .LBB1295_19
; %bb.5:
	s_load_dwordx2 s[6:7], s[0:1], 0x20
	s_load_dword s5, s[0:1], 0x38
	s_add_i32 s11, s33, 15
	s_ashr_i32 s16, s11, 31
	v_and_b32_e32 v1, 0xcf, v0
	s_lshr_b32 s16, s16, 28
	v_add_u32_e32 v1, s18, v1
	s_add_i32 s11, s11, s16
	v_ashrrev_i32_e32 v2, 31, v1
	s_ashr_i32 s19, s11, 4
	v_lshrrev_b32_e32 v4, 28, v2
	s_add_i32 s19, s19, -1
	s_waitcnt lgkmcnt(0)
	s_mul_i32 s16, s2, s5
	s_mov_b32 s17, 0
	v_add_u32_e32 v2, v1, v4
	s_lshl_b64 s[16:17], s[16:17], 2
	v_ashrrev_i32_e32 v2, 4, v2
	v_mov_b32_e32 v5, s19
	v_cmp_gt_i32_e32 vcc, s33, v1
	s_add_u32 s6, s6, s16
	s_addc_u32 s7, s7, s17
	v_cndmask_b32_e32 v2, v5, v2, vcc
	v_ashrrev_i32_e32 v3, 31, v2
	v_lshl_add_u64 v[6:7], v[2:3], 2, s[6:7]
	v_or_b32_e32 v2, 16, v1
	v_add_u32_e32 v3, v2, v4
	v_ashrrev_i32_e32 v3, 4, v3
	v_cmp_gt_i32_e32 vcc, s33, v2
	s_load_dwordx2 s[16:17], s[0:1], 0x8
	s_nop 0
	v_cndmask_b32_e32 v2, v5, v3, vcc
	v_ashrrev_i32_e32 v3, 31, v2
	v_lshl_add_u64 v[8:9], v[2:3], 2, s[6:7]
	v_or_b32_e32 v2, 32, v1
	v_add_u32_e32 v3, v2, v4
	v_ashrrev_i32_e32 v3, 4, v3
	v_cmp_gt_i32_e32 vcc, s33, v2
	v_or_b32_e32 v1, 48, v1
	s_nop 0
	v_cndmask_b32_e32 v2, v5, v3, vcc
	v_ashrrev_i32_e32 v3, 31, v2
	v_lshl_add_u64 v[10:11], v[2:3], 2, s[6:7]
	v_add_u32_e32 v2, v1, v4
	v_ashrrev_i32_e32 v2, 4, v2
	v_cmp_gt_i32_e32 vcc, s33, v1
	s_nop 1
	v_cndmask_b32_e32 v2, v5, v2, vcc
	v_ashrrev_i32_e32 v3, 31, v2
	v_lshl_add_u64 v[12:13], v[2:3], 2, s[6:7]
	global_load_dword v4, v[6:7], off
	global_load_dword v3, v[8:9], off
	;; [unrolled: 1-line block ×4, first 2 shown]
	s_andn2_b64 vcc, exec, s[12:13]
	s_cbranch_vccnz .LBB1295_8
; %bb.6:
	s_add_u32 s8, s8, s14
	s_addc_u32 s9, s9, s15
	s_load_dword s5, s[8:9], 0x0
	s_branch .LBB1295_9
.LBB1295_7:
	s_mov_b64 s[14:15], 0
	s_branch .LBB1295_2
.LBB1295_8:
	s_mov_b32 s5, s2
.LBB1295_9:
	s_load_dwordx2 s[8:9], s[0:1], 0x10
	s_load_dwordx4 s[44:47], s[0:1], 0x48
	v_and_b32_e32 v60, 15, v0
	v_lshlrev_b32_e32 v5, 3, v60
	s_movk_i32 s12, 0x80
	v_lshrrev_b32_e32 v62, 6, v0
	v_bfe_u32 v1, v0, 4, 2
	s_lshl_b32 s11, s4, 3
	v_cmp_gt_u32_e32 vcc, s12, v0
	v_lshlrev_b32_e32 v54, 1, v5
	v_lshlrev_b32_e32 v61, 4, v0
	s_and_saveexec_b64 s[12:13], vcc
	s_cbranch_execz .LBB1295_11
; %bb.10:
	s_load_dwordx2 s[14:15], s[0:1], 0x0
	s_waitcnt lgkmcnt(0)
	s_ashr_i32 s20, s44, 31
	s_mul_hi_u32 s21, s5, s44
	s_mul_i32 s20, s5, s20
	s_add_i32 s21, s21, s20
	s_mul_i32 s20, s5, s44
	v_lshl_or_b32 v5, v62, 2, v1
	s_lshl_b64 s[20:21], s[20:21], 1
	s_add_u32 s14, s14, s20
	v_add_lshl_u32 v6, v5, s11, 7
	s_addc_u32 s15, s15, s21
	v_ashrrev_i32_e32 v7, 31, v6
	v_lshl_add_u64 v[6:7], v[6:7], 1, s[14:15]
	v_mov_b32_e32 v55, 0
	v_lshl_add_u64 v[6:7], v[6:7], 0, v[54:55]
	global_load_dwordx4 v[6:9], v[6:7], off
	v_lshlrev_b32_e32 v11, 8, v0
	v_lshlrev_b32_e32 v10, 8, v60
	v_and_b32_e32 v11, 0x600, v11
	s_movk_i32 s5, 0x800
	v_and_or_b32 v10, v10, s5, v11
	v_lshlrev_b32_e32 v5, 5, v5
	v_and_b32_e32 v11, 16, v61
	v_or3_b32 v5, v10, v5, v11
	s_waitcnt vmcnt(0)
	ds_write_b128 v5, v[6:9]
.LBB1295_11:
	s_or_b64 exec, exec, s[12:13]
	s_waitcnt lgkmcnt(0)
	s_mul_i32 s12, s4, s46
	s_add_u32 s4, s16, s12
	s_addc_u32 s5, s17, 0
	v_and_b32_e32 v56, 0xf0, v61
	v_mov_b32_e32 v57, 0
	v_and_b32_e32 v46, 48, v0
	v_lshl_add_u64 v[20:21], s[4:5], 0, v[56:57]
	v_lshlrev_b32_e32 v56, 4, v46
	s_waitcnt vmcnt(3)
	v_mad_i64_i32 v[4:5], s[4:5], v4, s45, v[20:21]
	v_lshl_add_u64 v[4:5], v[4:5], 0, v[56:57]
	s_barrier
	global_load_dwordx4 v[42:45], v[4:5], off
	global_load_dwordx4 v[14:17], v[4:5], off offset:1024
	s_waitcnt vmcnt(4)
	v_mad_i64_i32 v[4:5], s[4:5], v3, s45, v[20:21]
	s_waitcnt vmcnt(3)
	v_mad_i64_i32 v[2:3], s[4:5], v2, s45, v[20:21]
	;; [unrolled: 2-line block ×3, first 2 shown]
	v_lshl_add_u64 v[4:5], v[4:5], 0, v[56:57]
	v_lshl_add_u64 v[22:23], v[2:3], 0, v[56:57]
	;; [unrolled: 1-line block ×3, first 2 shown]
	global_load_dwordx4 v[10:13], v[4:5], off
	global_load_dwordx4 v[6:9], v[4:5], off offset:1024
	s_nop 0
	global_load_dwordx4 v[2:5], v[22:23], off
	global_load_dwordx4 v[50:53], v[22:23], off offset:1024
	global_load_dwordx4 v[34:37], v[18:19], off
	s_nop 0
	global_load_dwordx4 v[22:25], v[18:19], off offset:1024
	v_and_b32_e32 v18, 7, v0
	v_lshlrev_b32_e32 v18, 5, v18
	v_lshl_or_b32 v18, v1, 9, v18
	ds_read_b128 v[38:41], v18
	ds_read_b128 v[30:33], v18 offset:16
	ds_read_b128 v[26:29], v18 offset:2048
	;; [unrolled: 1-line block ×3, first 2 shown]
	v_and_b32_e32 v55, 63, v0
	v_cmp_gt_u32_e32 vcc, 8, v60
	v_mov_b32_e32 v63, 0
	s_and_saveexec_b64 s[4:5], vcc
	s_cbranch_execz .LBB1295_13
; %bb.12:
	s_load_dwordx2 s[14:15], s[0:1], 0x40
	v_or_b32_e32 v48, s11, v60
	v_ashrrev_i32_e32 v49, 31, v48
	s_waitcnt lgkmcnt(0)
	v_lshl_add_u64 v[48:49], v[48:49], 2, s[14:15]
	global_load_dword v63, v[48:49], off
.LBB1295_13:
	s_or_b64 exec, exec, s[4:5]
	s_waitcnt vmcnt(7)
	v_cvt_pk_f32_fp8_e32 v[58:59], v42
	v_cvt_pk_f32_fp8_sdwa v[66:67], v42 src0_sel:WORD_1
	s_mov_b32 s44, 0x7060302
	v_cvt_pk_f32_fp8_e32 v[68:69], v43
	v_perm_b32 v58, v59, v58, s44
	v_perm_b32 v59, v67, v66, s44
	v_cvt_pk_f32_fp8_sdwa v[42:43], v43 src0_sel:WORD_1
	v_perm_b32 v70, v69, v68, s44
	v_cvt_pk_f32_fp8_e32 v[72:73], v44
	v_cvt_pk_f32_fp8_sdwa v[74:75], v44 src0_sel:WORD_1
	v_perm_b32 v71, v43, v42, s44
	s_waitcnt lgkmcnt(3)
	v_mfma_f32_16x16x16_bf16 v[66:69], v[58:59], v[38:39], 0
	v_or_b32_e32 v56, s18, v46
	v_ashrrev_i32_e32 v46, 4, v56
	v_mov_b32_e32 v65, s19
	v_cmp_gt_i32_e32 vcc, s33, v56
	v_perm_b32 v58, v73, v72, s44
	v_perm_b32 v59, v75, v74, s44
	v_cvt_pk_f32_fp8_e32 v[72:73], v45
	v_cvt_pk_f32_fp8_sdwa v[74:75], v45 src0_sel:WORD_1
	v_cndmask_b32_e32 v46, v65, v46, vcc
	v_mfma_f32_16x16x16_bf16 v[42:45], v[70:71], v[40:41], v[66:69]
	v_ashrrev_i32_e32 v47, 31, v46
	v_lshl_add_u64 v[46:47], v[46:47], 2, s[6:7]
	global_load_dword v64, v[46:47], off
	v_or_b32_e32 v46, 64, v56
	v_perm_b32 v66, v73, v72, s44
	v_perm_b32 v67, v75, v74, s44
	v_ashrrev_i32_e32 v47, 4, v46
	v_cmp_gt_i32_e32 vcc, s33, v46
	s_waitcnt lgkmcnt(2)
	v_mfma_f32_16x16x16_bf16 v[42:45], v[58:59], v[30:31], v[42:45]
	s_waitcnt vmcnt(7)
	v_cvt_pk_f32_fp8_sdwa v[70:71], v14 src0_sel:WORD_1
	v_cndmask_b32_e32 v46, v65, v47, vcc
	v_ashrrev_i32_e32 v47, 31, v46
	v_lshl_add_u64 v[48:49], v[46:47], 2, s[6:7]
	v_or_b32_e32 v46, 0x80, v56
	v_mfma_f32_16x16x16_bf16 v[42:45], v[66:67], v[32:33], v[42:45]
	global_load_dword v66, v[48:49], off
	v_ashrrev_i32_e32 v47, 4, v46
	v_cmp_gt_i32_e32 vcc, s33, v46
	v_or_b32_e32 v56, 0xc0, v56
	v_ashrrev_i32_e32 v68, 4, v56
	v_cndmask_b32_e32 v46, v65, v47, vcc
	v_cmp_gt_i32_e32 vcc, s33, v56
	v_ashrrev_i32_e32 v47, 31, v46
	v_lshl_add_u64 v[46:47], v[46:47], 2, s[6:7]
	v_cndmask_b32_e32 v58, v65, v68, vcc
	v_cvt_pk_f32_fp8_e32 v[68:69], v14
	v_ashrrev_i32_e32 v59, 31, v58
	v_lshl_add_u64 v[58:59], v[58:59], 2, s[6:7]
	v_cvt_pk_f32_fp8_sdwa v[72:73], v16 src0_sel:WORD_1
	v_perm_b32 v68, v69, v68, s44
	v_perm_b32 v69, v71, v70, s44
	v_cvt_pk_f32_fp8_e32 v[70:71], v16
	v_cvt_pk_f32_fp8_sdwa v[74:75], v17 src0_sel:WORD_1
	s_waitcnt lgkmcnt(1)
	v_mfma_f32_16x16x16_bf16 v[42:45], v[68:69], v[26:27], v[42:45]
	global_load_dword v68, v[58:59], off
	global_load_dword v67, v[46:47], off
	v_cvt_pk_f32_fp8_e32 v[48:49], v15
	v_cvt_pk_f32_fp8_sdwa v[14:15], v15 src0_sel:WORD_1
	v_perm_b32 v70, v71, v70, s44
	v_perm_b32 v71, v73, v72, s44
	;; [unrolled: 1-line block ×4, first 2 shown]
	v_cvt_pk_f32_fp8_e32 v[72:73], v17
	s_waitcnt vmcnt(9)
	v_cvt_pk_f32_fp8_e32 v[46:47], v10
	v_mfma_f32_16x16x16_bf16 v[14:17], v[48:49], v[28:29], v[42:45]
	v_cvt_pk_f32_fp8_sdwa v[48:49], v10 src0_sel:WORD_1
	s_nop 1
	v_perm_b32 v42, v73, v72, s44
	v_perm_b32 v43, v75, v74, s44
	s_waitcnt lgkmcnt(0)
	v_mfma_f32_16x16x16_bf16 v[14:17], v[70:71], v[18:19], v[14:17]
	v_cvt_pk_f32_fp8_sdwa v[58:59], v12 src0_sel:WORD_1
	v_cvt_pk_f32_fp8_sdwa v[70:71], v13 src0_sel:WORD_1
	s_add_u32 s4, s8, s12
	v_mfma_f32_16x16x16_bf16 v[42:45], v[42:43], v[20:21], v[14:17]
	v_lshl_or_b32 v65, v62, 4, v60
	s_waitcnt vmcnt(7)
	v_cvt_pk_f32_fp8_e32 v[72:73], v5
	s_addc_u32 s5, s9, 0
	v_cvt_pk_f32_fp8_e32 v[14:15], v11
	v_perm_b32 v16, v47, v46, s44
	v_perm_b32 v17, v49, v48, s44
	v_cvt_pk_f32_fp8_sdwa v[10:11], v11 src0_sel:WORD_1
	v_perm_b32 v46, v15, v14, s44
	v_cvt_pk_f32_fp8_e32 v[48:49], v12
	v_mfma_f32_16x16x16_bf16 v[14:17], v[16:17], v[38:39], 0
	v_perm_b32 v47, v11, v10, s44
	v_perm_b32 v48, v49, v48, s44
	;; [unrolled: 1-line block ×3, first 2 shown]
	v_cvt_pk_f32_fp8_e32 v[58:59], v13
	v_mfma_f32_16x16x16_bf16 v[10:13], v[46:47], v[40:41], v[14:17]
	v_cvt_pk_f32_fp8_sdwa v[46:47], v6 src0_sel:WORD_1
	v_lshlrev_b32_e32 v56, 4, v65
	s_nop 0
	v_perm_b32 v14, v59, v58, s44
	v_perm_b32 v15, v71, v70, s44
	v_mfma_f32_16x16x16_bf16 v[10:13], v[48:49], v[30:31], v[10:13]
	v_cvt_pk_f32_fp8_e32 v[16:17], v6
	v_cvt_pk_f32_fp8_sdwa v[48:49], v8 src0_sel:WORD_1
	v_lshl_add_u64 v[58:59], s[4:5], 0, v[56:57]
	v_mfma_f32_16x16x16_bf16 v[10:13], v[14:15], v[32:33], v[10:13]
	v_cvt_pk_f32_fp8_e32 v[14:15], v7
	v_perm_b32 v16, v17, v16, s44
	v_perm_b32 v17, v47, v46, s44
	v_cvt_pk_f32_fp8_sdwa v[6:7], v7 src0_sel:WORD_1
	v_perm_b32 v14, v15, v14, s44
	v_cvt_pk_f32_fp8_e32 v[46:47], v8
	v_mfma_f32_16x16x16_bf16 v[10:13], v[16:17], v[26:27], v[10:13]
	v_perm_b32 v15, v7, v6, s44
	v_perm_b32 v16, v47, v46, s44
	;; [unrolled: 1-line block ×3, first 2 shown]
	v_cvt_pk_f32_fp8_e32 v[46:47], v9
	v_cvt_pk_f32_fp8_sdwa v[48:49], v9 src0_sel:WORD_1
	v_mfma_f32_16x16x16_bf16 v[6:9], v[14:15], v[28:29], v[10:13]
	v_cvt_pk_f32_fp8_sdwa v[14:15], v2 src0_sel:WORD_1
	s_waitcnt vmcnt(2)
	v_mad_i64_i32 v[70:71], s[6:7], v66, s45, v[58:59]
	v_perm_b32 v10, v47, v46, s44
	v_perm_b32 v11, v49, v48, s44
	v_mfma_f32_16x16x16_bf16 v[6:9], v[16:17], v[18:19], v[6:9]
	v_cvt_pk_f32_fp8_e32 v[12:13], v2
	v_cvt_pk_f32_fp8_sdwa v[78:79], v52 src0_sel:WORD_1
	v_or_b32_e32 v56, 0x400, v56
	v_mfma_f32_16x16x16_bf16 v[46:49], v[10:11], v[20:21], v[6:9]
	v_mad_i64_i32 v[10:11], s[6:7], v64, s45, v[58:59]
	s_waitcnt vmcnt(0)
	v_mad_i64_i32 v[74:75], s[6:7], v67, s45, v[58:59]
	v_perm_b32 v6, v13, v12, s44
	v_perm_b32 v7, v15, v14, s44
	v_cvt_pk_f32_fp8_e32 v[8:9], v3
	v_cvt_pk_f32_fp8_sdwa v[2:3], v3 src0_sel:WORD_1
	v_cvt_pk_f32_fp8_sdwa v[14:15], v4 src0_sel:WORD_1
	v_mad_i64_i32 v[58:59], s[6:7], v68, s45, v[58:59]
	v_perm_b32 v12, v9, v8, s44
	v_perm_b32 v13, v3, v2, s44
	v_cvt_pk_f32_fp8_e32 v[2:3], v4
	v_mfma_f32_16x16x16_bf16 v[6:9], v[6:7], v[38:39], 0
	v_cvt_pk_f32_fp8_sdwa v[4:5], v5 src0_sel:WORD_1
	v_perm_b32 v2, v3, v2, s44
	v_perm_b32 v3, v15, v14, s44
	v_mfma_f32_16x16x16_bf16 v[6:9], v[12:13], v[40:41], v[6:9]
	global_load_dwordx4 v[14:17], v[10:11], off
	s_nop 0
	global_load_dwordx4 v[10:13], v[70:71], off
	v_perm_b32 v70, v73, v72, s44
	v_perm_b32 v71, v5, v4, s44
	v_mfma_f32_16x16x16_bf16 v[2:5], v[2:3], v[30:31], v[6:9]
	s_nop 2
	v_cvt_pk_f32_fp8_e32 v[6:7], v50
	v_cvt_pk_f32_fp8_sdwa v[8:9], v50 src0_sel:WORD_1
	v_mfma_f32_16x16x16_bf16 v[2:5], v[70:71], v[32:33], v[2:5]
	v_perm_b32 v6, v7, v6, s44
	v_perm_b32 v7, v9, v8, s44
	v_cvt_pk_f32_fp8_e32 v[8:9], v51
	v_cvt_pk_f32_fp8_sdwa v[50:51], v51 src0_sel:WORD_1
	v_mfma_f32_16x16x16_bf16 v[70:73], v[6:7], v[26:27], v[2:5]
	v_perm_b32 v76, v9, v8, s44
	v_perm_b32 v77, v51, v50, s44
	v_cvt_pk_f32_fp8_e32 v[50:51], v52
	global_load_dwordx4 v[6:9], v[74:75], off
	global_load_dwordx4 v[2:5], v[58:59], off
	v_perm_b32 v75, v79, v78, s44
	v_cvt_pk_f32_fp8_e32 v[58:59], v53
	v_perm_b32 v74, v51, v50, s44
	v_cvt_pk_f32_fp8_sdwa v[78:79], v53 src0_sel:WORD_1
	v_mfma_f32_16x16x16_bf16 v[50:53], v[76:77], v[28:29], v[70:73]
	v_perm_b32 v58, v59, v58, s44
	v_cvt_pk_f32_fp8_sdwa v[76:77], v36 src0_sel:WORD_1
	v_perm_b32 v59, v79, v78, s44
	v_mfma_f32_16x16x16_bf16 v[50:53], v[74:75], v[18:19], v[50:53]
	v_cvt_pk_f32_fp8_e32 v[70:71], v34
	v_cvt_pk_f32_fp8_sdwa v[72:73], v34 src0_sel:WORD_1
	v_cvt_pk_f32_fp8_e32 v[74:75], v36
	v_mfma_f32_16x16x16_bf16 v[50:53], v[58:59], v[20:21], v[50:53]
	v_cvt_pk_f32_fp8_e32 v[58:59], v35
	v_perm_b32 v70, v71, v70, s44
	v_perm_b32 v71, v73, v72, s44
	v_cvt_pk_f32_fp8_sdwa v[34:35], v35 src0_sel:WORD_1
	v_perm_b32 v58, v59, v58, s44
	v_mfma_f32_16x16x16_bf16 v[70:73], v[70:71], v[38:39], 0
	v_perm_b32 v59, v35, v34, s44
	v_perm_b32 v38, v75, v74, s44
	v_perm_b32 v39, v77, v76, s44
	v_cvt_pk_f32_fp8_e32 v[74:75], v37
	v_cvt_pk_f32_fp8_sdwa v[76:77], v37 src0_sel:WORD_1
	v_mfma_f32_16x16x16_bf16 v[34:37], v[58:59], v[40:41], v[70:73]
	s_load_dword s6, s[0:1], 0x1c
	s_load_dwordx4 s[40:43], s[0:1], 0x80
	v_perm_b32 v58, v75, v74, s44
	v_perm_b32 v59, v77, v76, s44
	v_mfma_f32_16x16x16_bf16 v[34:37], v[38:39], v[30:31], v[34:37]
	s_load_dword s46, s[0:1], 0x98
	s_waitcnt lgkmcnt(0)
	s_load_dword s7, s[40:41], 0x0
	v_cvt_pk_f32_fp8_sdwa v[38:39], v22 src0_sel:WORD_1
	v_mfma_f32_16x16x16_bf16 v[32:35], v[58:59], v[32:33], v[34:37]
	v_mov_b32_e32 v40, s6
	s_mov_b32 s40, 0xff7fffff
	s_waitcnt lgkmcnt(0)
	v_mul_f32_e32 v70, s7, v40
	v_cvt_pk_f32_fp8_e32 v[36:37], v22
	v_pk_mul_f32 v[30:31], v[70:71], v[42:43] op_sel_hi:[0,1]
	v_cvt_pk_f32_fp8_e32 v[42:43], v23
	v_cvt_pk_f32_fp8_sdwa v[22:23], v23 src0_sel:WORD_1
	v_perm_b32 v36, v37, v36, s44
	v_perm_b32 v37, v39, v38, s44
	v_pk_mul_f32 v[40:41], v[70:71], v[44:45] op_sel_hi:[0,1]
	v_perm_b32 v38, v43, v42, s44
	v_perm_b32 v39, v23, v22, s44
	v_cvt_pk_f32_fp8_e32 v[42:43], v24
	v_cvt_pk_f32_fp8_sdwa v[44:45], v24 src0_sel:WORD_1
	v_mfma_f32_16x16x16_bf16 v[32:35], v[36:37], v[26:27], v[32:35]
	v_lshl_add_u64 v[22:23], s[4:5], 0, v[56:57]
	v_perm_b32 v36, v43, v42, s44
	v_perm_b32 v37, v45, v44, s44
	v_cvt_pk_f32_fp8_e32 v[42:43], v25
	v_cvt_pk_f32_fp8_sdwa v[56:57], v25 src0_sel:WORD_1
	v_mfma_f32_16x16x16_bf16 v[24:27], v[38:39], v[28:29], v[32:35]
	v_pk_mul_f32 v[44:45], v[70:71], v[48:49] op_sel_hi:[0,1]
	v_perm_b32 v28, v43, v42, s44
	v_perm_b32 v29, v57, v56, s44
	v_mfma_f32_16x16x16_bf16 v[24:27], v[36:37], v[18:19], v[24:27]
	v_pk_mul_f32 v[42:43], v[70:71], v[50:51] op_sel_hi:[0,1]
	v_pk_mul_f32 v[46:47], v[70:71], v[46:47] op_sel_hi:[0,1]
	;; [unrolled: 1-line block ×3, first 2 shown]
	v_mfma_f32_16x16x16_bf16 v[18:21], v[28:29], v[20:21], v[24:27]
	s_nop 6
	v_pk_mul_f32 v[36:37], v[70:71], v[18:19] op_sel_hi:[0,1]
	v_and_b32_e32 v18, 0xc0, v0
	v_add_u32_e32 v18, s18, v18
	v_lshl_or_b32 v18, v1, 2, v18
	v_or_b32_e32 v19, 1, v18
	v_pk_mul_f32 v[34:35], v[70:71], v[20:21] op_sel_hi:[0,1]
	v_subrev_u32_e32 v20, s33, v19
	v_add_u32_e32 v24, 1, v20
	v_add_u32_e32 v25, 2, v20
	v_cvt_f32_i32_e32 v21, v20
	v_cvt_f32_i32_e32 v24, v24
	;; [unrolled: 1-line block ×3, first 2 shown]
	v_add_u32_e32 v26, 3, v20
	v_fma_f32 v50, v63, v21, v30
	v_fmac_f32_e32 v31, v63, v24
	v_fma_f32 v40, v63, v25, v40
	v_add_u32_e32 v21, 16, v20
	v_add_u32_e32 v24, 17, v20
	;; [unrolled: 1-line block ×3, first 2 shown]
	v_cvt_f32_i32_e32 v26, v26
	v_cvt_f32_i32_e32 v21, v21
	;; [unrolled: 1-line block ×4, first 2 shown]
	v_fmac_f32_e32 v41, v63, v26
	v_add_u32_e32 v26, 19, v20
	v_fma_f32 v52, v63, v21, v46
	v_fmac_f32_e32 v47, v63, v24
	v_fma_f32 v44, v63, v25, v44
	v_add_u32_e32 v21, 32, v20
	v_add_u32_e32 v24, 33, v20
	;; [unrolled: 1-line block ×3, first 2 shown]
	v_cvt_f32_i32_e32 v26, v26
	v_cvt_f32_i32_e32 v21, v21
	;; [unrolled: 1-line block ×4, first 2 shown]
	v_fmac_f32_e32 v45, v63, v26
	v_add_u32_e32 v26, 35, v20
	v_fma_f32 v42, v63, v21, v42
	v_fmac_f32_e32 v43, v63, v24
	v_fma_f32 v38, v63, v25, v38
	v_add_u32_e32 v21, 48, v20
	v_add_u32_e32 v24, 49, v20
	v_add_u32_e32 v25, 50, v20
	v_add_u32_e32 v20, 51, v20
	v_cvt_f32_i32_e32 v20, v20
	v_cvt_f32_i32_e32 v21, v21
	;; [unrolled: 1-line block ×3, first 2 shown]
	v_cmp_gt_i32_e64 s[12:13], s33, v18
	v_fmac_f32_e32 v35, v63, v20
	v_mov_b32_e32 v20, 0xff7fffff
	v_cmp_gt_i32_e64 s[14:15], s33, v19
	v_fma_f32 v36, v63, v21, v36
	v_cndmask_b32_e64 v21, v20, v50, s[12:13]
	v_cndmask_b32_e64 v19, v20, v31, s[14:15]
	v_fmac_f32_e32 v37, v63, v24
	v_max3_f32 v19, v21, s40, v19
	v_or_b32_e32 v21, 2, v18
	v_or_b32_e32 v24, 3, v18
	v_cmp_gt_i32_e64 s[16:17], s33, v21
	v_cmp_gt_i32_e64 s[18:19], s33, v24
	v_cvt_f32_i32_e32 v26, v26
	v_cndmask_b32_e64 v21, v20, v40, s[16:17]
	v_cndmask_b32_e64 v24, v20, v41, s[18:19]
	v_max3_f32 v19, v19, v21, v24
	v_or_b32_e32 v21, 16, v18
	v_or_b32_e32 v24, 17, v18
	v_cmp_gt_i32_e64 s[20:21], s33, v21
	v_cmp_gt_i32_e64 s[22:23], s33, v24
	v_fmac_f32_e32 v39, v63, v26
	v_cndmask_b32_e64 v21, v20, v52, s[20:21]
	v_cndmask_b32_e64 v24, v20, v47, s[22:23]
	v_max3_f32 v19, v19, v21, v24
	v_or_b32_e32 v21, 18, v18
	v_or_b32_e32 v24, 19, v18
	v_cmp_gt_i32_e64 s[24:25], s33, v21
	v_cmp_gt_i32_e64 s[26:27], s33, v24
	v_cvt_f32_i32_e32 v25, v25
	v_cndmask_b32_e64 v21, v20, v44, s[24:25]
	v_cndmask_b32_e64 v24, v20, v45, s[26:27]
	v_max3_f32 v19, v19, v21, v24
	v_or_b32_e32 v21, 32, v18
	v_or_b32_e32 v24, 33, v18
	v_cmp_gt_i32_e64 s[28:29], s33, v21
	v_cmp_gt_i32_e64 s[30:31], s33, v24
	v_fma_f32 v34, v63, v25, v34
	v_cndmask_b32_e64 v21, v20, v42, s[28:29]
	v_cndmask_b32_e64 v24, v20, v43, s[30:31]
	v_max3_f32 v19, v19, v21, v24
	v_or_b32_e32 v21, 34, v18
	v_or_b32_e32 v24, 35, v18
	v_cmp_gt_i32_e64 s[34:35], s33, v21
	v_cmp_gt_i32_e64 s[36:37], s33, v24
	s_nop 0
	v_cndmask_b32_e64 v21, v20, v38, s[34:35]
	v_cndmask_b32_e64 v24, v20, v39, s[36:37]
	v_max3_f32 v19, v19, v21, v24
	v_or_b32_e32 v21, 48, v18
	v_or_b32_e32 v24, 49, v18
	v_cmp_gt_i32_e64 s[6:7], s33, v21
	v_cmp_gt_i32_e64 s[8:9], s33, v24
	s_nop 0
	v_cndmask_b32_e64 v21, v20, v36, s[6:7]
	v_cndmask_b32_e64 v24, v20, v37, s[8:9]
	v_max3_f32 v19, v19, v21, v24
	v_or_b32_e32 v21, 50, v18
	v_or_b32_e32 v18, 51, v18
	v_cmp_gt_i32_e32 vcc, s33, v21
	v_cmp_gt_i32_e64 s[4:5], s33, v18
	s_nop 0
	v_cndmask_b32_e32 v21, v20, v34, vcc
	v_cndmask_b32_e64 v18, v20, v35, s[4:5]
	v_max3_f32 v24, v19, v21, v18
	v_mbcnt_lo_u32_b32 v18, -1, 0
	v_mbcnt_hi_u32_b32 v25, -1, v18
	v_and_b32_e32 v18, 64, v25
	v_add_u32_e32 v26, 64, v18
	v_xor_b32_e32 v18, 32, v25
	v_cmp_lt_i32_e64 s[38:39], v18, v26
	s_nop 1
	v_cndmask_b32_e64 v18, v25, v18, s[38:39]
	v_lshlrev_b32_e32 v53, 2, v18
	ds_bpermute_b32 v27, v53, v24
	v_mad_i64_i32 v[18:19], s[38:39], v64, s45, v[22:23]
	v_mad_i64_i32 v[20:21], s[38:39], v66, s45, v[22:23]
	s_waitcnt lgkmcnt(0)
	v_max_f32_e32 v27, v27, v27
	v_max_f32_e32 v27, v24, v27
	v_xor_b32_e32 v24, 16, v25
	v_cmp_lt_i32_e64 s[38:39], v24, v26
	s_nop 1
	v_cndmask_b32_e64 v24, v25, v24, s[38:39]
	v_lshlrev_b32_e32 v56, 2, v24
	ds_bpermute_b32 v26, v56, v27
	v_mad_i64_i32 v[24:25], s[38:39], v67, s45, v[22:23]
	v_mad_i64_i32 v[48:49], s[38:39], v68, s45, v[22:23]
	s_waitcnt lgkmcnt(0)
	v_max_f32_e32 v22, v26, v26
	v_max_f32_e32 v46, v27, v22
	v_sub_f32_e32 v22, v31, v46
	global_load_dwordx4 v[30:33], v[18:19], off
	global_load_dwordx4 v[26:29], v[20:21], off
	v_sub_f32_e32 v18, v50, v46
	v_mul_f32_e32 v18, 0x3fb8aa3b, v18
	v_exp_f32_e32 v50, v18
	v_mul_f32_e32 v18, 0x3fb8aa3b, v22
	v_exp_f32_e32 v51, v18
	v_sub_f32_e32 v18, v40, v46
	v_mul_f32_e32 v18, 0x3fb8aa3b, v18
	v_exp_f32_e32 v40, v18
	v_sub_f32_e32 v18, v41, v46
	v_mul_f32_e32 v18, 0x3fb8aa3b, v18
	v_exp_f32_e32 v41, v18
	global_load_dwordx4 v[22:25], v[24:25], off
	s_nop 0
	global_load_dwordx4 v[18:21], v[48:49], off
	v_sub_f32_e32 v42, v42, v46
	v_sub_f32_e32 v38, v38, v46
	v_mul_f32_e32 v42, 0x3fb8aa3b, v42
	v_mul_f32_e32 v38, 0x3fb8aa3b, v38
	v_cndmask_b32_e64 v49, 0, v51, s[14:15]
	v_cndmask_b32_e64 v51, 0, v41, s[18:19]
	v_sub_f32_e32 v41, v47, v46
	v_exp_f32_e32 v42, v42
	v_exp_f32_e32 v47, v38
	v_cndmask_b32_e64 v48, 0, v50, s[12:13]
	v_cndmask_b32_e64 v50, 0, v40, s[16:17]
	v_sub_f32_e32 v40, v52, v46
	v_mul_f32_e32 v40, 0x3fb8aa3b, v40
	v_sub_f32_e32 v38, v39, v46
	v_exp_f32_e32 v40, v40
	v_mul_f32_e32 v41, 0x3fb8aa3b, v41
	v_sub_f32_e32 v44, v44, v46
	v_mul_f32_e32 v38, 0x3fb8aa3b, v38
	v_exp_f32_e32 v41, v41
	v_mul_f32_e32 v44, 0x3fb8aa3b, v44
	v_sub_f32_e32 v45, v45, v46
	v_exp_f32_e32 v52, v38
	v_cndmask_b32_e64 v38, 0, v42, s[28:29]
	v_cndmask_b32_e64 v42, 0, v47, s[34:35]
	v_add_f32_e32 v47, 0, v48
	v_exp_f32_e32 v44, v44
	v_mul_f32_e32 v45, 0x3fb8aa3b, v45
	v_add_f32_e32 v47, v47, v49
	v_exp_f32_e32 v45, v45
	v_sub_f32_e32 v43, v43, v46
	v_add_f32_e32 v47, v47, v50
	v_cndmask_b32_e64 v40, 0, v40, s[20:21]
	v_mul_f32_e32 v43, 0x3fb8aa3b, v43
	v_add_f32_e32 v47, v47, v51
	v_cndmask_b32_e64 v41, 0, v41, s[22:23]
	v_exp_f32_e32 v43, v43
	v_add_f32_e32 v47, v47, v40
	v_cndmask_b32_e64 v44, 0, v44, s[24:25]
	v_add_f32_e32 v47, v47, v41
	v_sub_f32_e32 v36, v36, v46
	v_cndmask_b32_e64 v45, 0, v45, s[26:27]
	v_add_f32_e32 v47, v47, v44
	v_mul_f32_e32 v36, 0x3fb8aa3b, v36
	v_sub_f32_e32 v37, v37, v46
	v_add_f32_e32 v47, v47, v45
	v_exp_f32_e32 v36, v36
	v_mul_f32_e32 v37, 0x3fb8aa3b, v37
	v_sub_f32_e32 v34, v34, v46
	v_cndmask_b32_e64 v39, 0, v43, s[30:31]
	v_add_f32_e32 v47, v47, v38
	v_exp_f32_e32 v37, v37
	v_mul_f32_e32 v34, 0x3fb8aa3b, v34
	v_sub_f32_e32 v35, v35, v46
	v_add_f32_e32 v47, v47, v39
	v_exp_f32_e32 v34, v34
	v_mul_f32_e32 v35, 0x3fb8aa3b, v35
	v_cndmask_b32_e64 v43, 0, v52, s[36:37]
	v_add_f32_e32 v47, v47, v42
	v_exp_f32_e32 v35, v35
	v_add_f32_e32 v47, v47, v43
	v_cndmask_b32_e64 v36, 0, v36, s[6:7]
	v_add_f32_e32 v47, v47, v36
	v_cndmask_b32_e64 v37, 0, v37, s[8:9]
	v_add_f32_e32 v47, v47, v37
	v_cndmask_b32_e32 v34, 0, v34, vcc
	v_add_f32_e32 v47, v47, v34
	v_cndmask_b32_e64 v35, 0, v35, s[4:5]
	v_add_f32_e32 v47, v47, v35
	ds_bpermute_b32 v52, v53, v47
	v_cmp_gt_u32_e32 vcc, 16, v55
	s_waitcnt lgkmcnt(0)
	s_barrier
	v_add_f32_e32 v47, v47, v52
	ds_bpermute_b32 v52, v56, v47
	s_and_saveexec_b64 s[4:5], vcc
	s_cbranch_execz .LBB1295_15
; %bb.14:
	s_waitcnt lgkmcnt(0)
	v_add_f32_e32 v47, v47, v52
	v_lshlrev_b32_e32 v52, 2, v65
	ds_write2st64_b32 v52, v46, v47 offset1:1
.LBB1295_15:
	s_or_b64 exec, exec, s[4:5]
	v_lshlrev_b32_e32 v47, 2, v60
	s_load_dword s6, s[0:1], 0x94
	s_waitcnt lgkmcnt(0)
	s_barrier
	ds_read2_b32 v[52:53], v47 offset1:16
	ds_read2_b32 v[56:57], v47 offset0:32 offset1:48
	ds_read2_b32 v[58:59], v47 offset0:64 offset1:80
	s_movk_i32 s8, 0x7fff
	s_lshl_b32 s7, s46, 3
	s_waitcnt lgkmcnt(2)
	v_max3_f32 v46, v52, s40, v53
	s_waitcnt lgkmcnt(1)
	v_max3_f32 v46, v46, v56, v57
	v_sub_f32_e32 v52, v52, v46
	v_mul_f32_e32 v52, 0x3fb8aa3b, v52
	v_exp_f32_e32 v55, v52
	v_sub_f32_e32 v52, v53, v46
	v_mul_f32_e32 v52, 0x3fb8aa3b, v52
	v_exp_f32_e32 v63, v52
	;; [unrolled: 3-line block ×3, first 2 shown]
	ds_read2_b32 v[52:53], v47 offset0:96 offset1:112
	v_sub_f32_e32 v47, v57, v46
	v_mul_f32_e32 v47, 0x3fb8aa3b, v47
	v_exp_f32_e32 v57, v47
	s_waitcnt lgkmcnt(1)
	v_fma_f32 v47, v55, v58, 0
	v_fmac_f32_e32 v47, v63, v59
	s_waitcnt lgkmcnt(0)
	v_fmac_f32_e32 v47, v56, v52
	v_fmac_f32_e32 v47, v57, v53
	v_add_f32_e32 v52, 0x358637bd, v47
	v_div_scale_f32 v53, s[4:5], v52, v52, 1.0
	v_rcp_f32_e32 v58, v53
	s_barrier
	v_fma_f32 v59, -v53, v58, 1.0
	v_fmac_f32_e32 v58, v59, v58
	v_div_scale_f32 v59, vcc, 1.0, v52, 1.0
	v_mul_f32_e32 v64, v59, v58
	v_fma_f32 v65, -v53, v64, v59
	v_fmac_f32_e32 v64, v65, v58
	v_fma_f32 v53, -v53, v64, v59
	v_div_fmas_f32 v53, v53, v58, v64
	v_cmp_eq_u32_e32 vcc, 1, v62
	v_div_fixup_f32 v52, v53, v52, 1.0
	s_nop 0
	v_cndmask_b32_e32 v53, v55, v63, vcc
	v_cmp_eq_u32_e32 vcc, 2, v62
	s_nop 1
	v_cndmask_b32_e32 v53, v53, v56, vcc
	v_cmp_eq_u32_e32 vcc, 3, v62
	s_nop 1
	v_cndmask_b32_e32 v53, v53, v57, vcc
	v_mul_f32_e32 v52, v53, v52
	v_pk_mul_f32 v[48:49], v[52:53], v[48:49] op_sel_hi:[0,1]
	v_pk_mul_f32 v[50:51], v[52:53], v[50:51] op_sel_hi:[0,1]
	v_bfe_u32 v53, v49, 16, 1
	v_bfe_u32 v55, v48, 16, 1
	v_add3_u32 v48, v48, v55, s8
	v_add3_u32 v49, v49, v53, s8
	v_perm_b32 v56, v49, v48, s44
	v_bfe_u32 v48, v51, 16, 1
	v_bfe_u32 v49, v50, 16, 1
	v_add3_u32 v49, v50, v49, s8
	v_add3_u32 v48, v51, v48, s8
	v_perm_b32 v57, v48, v49, s44
	v_lshlrev_b32_e32 v49, 3, v1
	v_lshlrev_b32_e32 v48, 5, v60
	;; [unrolled: 1-line block ×3, first 2 shown]
	v_pk_mul_f32 v[40:41], v[52:53], v[40:41] op_sel_hi:[0,1]
	v_or3_b32 v55, v50, v48, v49
	v_bfe_u32 v49, v41, 16, 1
	v_bfe_u32 v50, v40, 16, 1
	v_pk_mul_f32 v[44:45], v[52:53], v[44:45] op_sel_hi:[0,1]
	v_add3_u32 v40, v40, v50, s8
	v_add3_u32 v41, v41, v49, s8
	v_perm_b32 v40, v41, v40, s44
	v_bfe_u32 v41, v45, 16, 1
	v_bfe_u32 v49, v44, 16, 1
	v_add3_u32 v44, v44, v49, s8
	v_add3_u32 v41, v45, v41, s8
	v_perm_b32 v41, v41, v44, s44
	v_pk_mul_f32 v[38:39], v[52:53], v[38:39] op_sel_hi:[0,1]
	ds_write2st64_b64 v55, v[56:57], v[40:41] offset1:1
	v_pk_mul_f32 v[40:41], v[52:53], v[42:43] op_sel_hi:[0,1]
	v_bfe_u32 v42, v39, 16, 1
	v_bfe_u32 v43, v38, 16, 1
	v_add3_u32 v38, v38, v43, s8
	v_add3_u32 v39, v39, v42, s8
	v_perm_b32 v38, v39, v38, s44
	v_bfe_u32 v39, v41, 16, 1
	v_bfe_u32 v42, v40, 16, 1
	v_add3_u32 v40, v40, v42, s8
	v_add3_u32 v39, v41, v39, s8
	v_pk_mul_f32 v[36:37], v[52:53], v[36:37] op_sel_hi:[0,1]
	v_perm_b32 v39, v39, v40, s44
	v_bfe_u32 v40, v37, 16, 1
	v_bfe_u32 v41, v36, 16, 1
	v_pk_mul_f32 v[34:35], v[52:53], v[34:35] op_sel_hi:[0,1]
	v_add3_u32 v36, v36, v41, s8
	v_add3_u32 v37, v37, v40, s8
	v_perm_b32 v36, v37, v36, s44
	v_bfe_u32 v37, v35, 16, 1
	v_bfe_u32 v40, v34, 16, 1
	v_add3_u32 v34, v34, v40, s8
	v_add3_u32 v35, v35, v37, s8
	v_perm_b32 v37, v35, v34, s44
	v_cmp_gt_u32_e32 vcc, 8, v0
	ds_write2st64_b64 v55, v[38:39], v[36:37] offset0:2 offset1:3
	s_and_saveexec_b64 s[4:5], vcc
	s_cbranch_execz .LBB1295_17
; %bb.16:
	v_or_b32_e32 v34, s11, v0
	v_mov_b32_e32 v35, 0
	v_mov_b32_e32 v36, s7
	v_mad_u64_u32 v[36:37], s[16:17], s2, v36, v[34:35]
	v_mov_b32_e32 v34, s10
	s_load_dwordx4 s[12:15], s[0:1], 0x58
	s_mul_i32 s3, s3, s7
	v_mad_u64_u32 v[34:35], s[16:17], v36, s6, v[34:35]
	v_add_u32_e32 v37, s3, v37
	v_mov_b32_e32 v36, v35
	v_mad_u64_u32 v[36:37], s[16:17], v37, s6, v[36:37]
	v_mov_b32_e32 v35, v36
	v_lshlrev_b64 v[34:35], 2, v[34:35]
	s_waitcnt lgkmcnt(0)
	v_lshl_add_u64 v[36:37], s[14:15], 0, v[34:35]
	v_lshl_add_u64 v[34:35], s[12:13], 0, v[34:35]
	global_store_dword v[36:37], v46, off
	global_store_dword v[34:35], v47, off
.LBB1295_17:
	s_or_b64 exec, exec, s[4:5]
	s_waitcnt vmcnt(7)
	v_cvt_pk_f32_fp8_e32 v[34:35], v14
	v_cvt_pk_f32_fp8_sdwa v[36:37], v14 src0_sel:WORD_1
	v_lshl_or_b32 v50, v1, 9, v48
	s_mov_b32 s5, 0x7060302
	s_waitcnt lgkmcnt(0)
	s_barrier
	v_cvt_pk_f32_fp8_e32 v[38:39], v15
	v_perm_b32 v14, v35, v34, s5
	v_cvt_pk_f32_fp8_sdwa v[40:41], v15 src0_sel:WORD_1
	v_perm_b32 v15, v37, v36, s5
	ds_read_b128 v[34:37], v50
	v_perm_b32 v46, v39, v38, s5
	v_perm_b32 v47, v41, v40, s5
	ds_read_b128 v[38:41], v50 offset:16
	v_cvt_pk_f32_fp8_e32 v[48:49], v16
	v_cvt_pk_f32_fp8_sdwa v[52:53], v16 src0_sel:WORD_1
	s_waitcnt lgkmcnt(1)
	v_mfma_f32_16x16x16_bf16 v[42:45], v[14:15], v[34:35], 0
	s_waitcnt vmcnt(6)
	v_cvt_pk_f32_fp8_e32 v[56:57], v12
	v_perm_b32 v14, v49, v48, s5
	v_perm_b32 v15, v53, v52, s5
	v_cvt_pk_f32_fp8_e32 v[48:49], v17
	v_mfma_f32_16x16x16_bf16 v[42:45], v[46:47], v[36:37], v[42:45]
	v_cvt_pk_f32_fp8_sdwa v[46:47], v17 src0_sel:WORD_1
	v_cvt_pk_f32_fp8_sdwa v[58:59], v12 src0_sel:WORD_1
	v_perm_b32 v48, v49, v48, s5
	s_waitcnt lgkmcnt(0)
	v_mfma_f32_16x16x16_bf16 v[14:17], v[14:15], v[38:39], v[42:45]
	v_perm_b32 v49, v47, v46, s5
	s_waitcnt vmcnt(5)
	v_cvt_pk_f32_fp8_e32 v[62:63], v8
	v_cvt_pk_f32_fp8_sdwa v[64:65], v8 src0_sel:WORD_1
	v_cvt_pk_f32_fp8_e32 v[42:43], v10
	v_mfma_f32_16x16x16_bf16 v[46:49], v[48:49], v[40:41], v[14:17]
	s_waitcnt vmcnt(4)
	v_cvt_pk_f32_fp8_sdwa v[66:67], v4 src0_sel:WORD_1
	s_load_dword s4, s[42:43], 0x0
	v_cvt_pk_f32_fp8_sdwa v[14:15], v10 src0_sel:WORD_1
	v_cvt_pk_f32_fp8_e32 v[16:17], v11
	v_perm_b32 v10, v43, v42, s5
	v_cvt_pk_f32_fp8_sdwa v[42:43], v11 src0_sel:WORD_1
	v_perm_b32 v11, v15, v14, s5
	v_perm_b32 v52, v17, v16, s5
	ds_read_b128 v[14:17], v50 offset:2048
	v_perm_b32 v53, v43, v42, s5
	ds_read_b128 v[42:45], v50 offset:2064
	s_waitcnt lgkmcnt(0)
	v_mfma_f32_16x16x16_bf16 v[46:49], v[10:11], v[14:15], v[46:49]
	v_perm_b32 v10, v57, v56, s5
	v_perm_b32 v11, v59, v58, s5
	v_cvt_pk_f32_fp8_e32 v[56:57], v13
	v_mfma_f32_16x16x16_bf16 v[46:49], v[52:53], v[16:17], v[46:49]
	v_cvt_pk_f32_fp8_sdwa v[52:53], v13 src0_sel:WORD_1
	s_waitcnt vmcnt(3)
	v_cvt_pk_f32_fp8_sdwa v[68:69], v32 src0_sel:WORD_1
	v_perm_b32 v56, v57, v56, s5
	v_mfma_f32_16x16x16_bf16 v[10:13], v[10:11], v[42:43], v[46:49]
	v_perm_b32 v57, v53, v52, s5
	s_mov_b32 s3, 0
	v_cmp_gt_u32_e32 vcc, 64, v0
	v_cvt_pk_f32_fp8_e32 v[46:47], v6
	v_mfma_f32_16x16x16_bf16 v[56:59], v[56:57], v[44:45], v[10:13]
	s_nop 2
	v_cvt_pk_f32_fp8_sdwa v[10:11], v6 src0_sel:WORD_1
	v_cvt_pk_f32_fp8_e32 v[12:13], v7
	v_perm_b32 v6, v47, v46, s5
	v_cvt_pk_f32_fp8_sdwa v[46:47], v7 src0_sel:WORD_1
	v_perm_b32 v7, v11, v10, s5
	v_perm_b32 v52, v13, v12, s5
	ds_read_b128 v[10:13], v50 offset:4096
	v_perm_b32 v53, v47, v46, s5
	ds_read_b128 v[46:49], v50 offset:4112
	s_waitcnt lgkmcnt(1)
	v_mfma_f32_16x16x16_bf16 v[56:59], v[6:7], v[10:11], v[56:59]
	v_perm_b32 v6, v63, v62, s5
	v_perm_b32 v7, v65, v64, s5
	v_cvt_pk_f32_fp8_e32 v[62:63], v9
	v_mfma_f32_16x16x16_bf16 v[56:59], v[52:53], v[12:13], v[56:59]
	v_cvt_pk_f32_fp8_sdwa v[52:53], v9 src0_sel:WORD_1
	v_cvt_pk_f32_fp8_e32 v[64:65], v4
	v_perm_b32 v62, v63, v62, s5
	s_waitcnt lgkmcnt(0)
	v_mfma_f32_16x16x16_bf16 v[6:9], v[6:7], v[46:47], v[56:59]
	v_perm_b32 v63, v53, v52, s5
	v_cvt_pk_f32_fp8_e32 v[52:53], v2
	s_nop 0
	v_mfma_f32_16x16x16_bf16 v[56:59], v[62:63], v[48:49], v[6:9]
	s_nop 2
	v_cvt_pk_f32_fp8_sdwa v[6:7], v2 src0_sel:WORD_1
	v_cvt_pk_f32_fp8_e32 v[8:9], v3
	v_perm_b32 v2, v53, v52, s5
	v_cvt_pk_f32_fp8_sdwa v[52:53], v3 src0_sel:WORD_1
	v_perm_b32 v3, v7, v6, s5
	v_perm_b32 v62, v9, v8, s5
	ds_read_b128 v[6:9], v50 offset:6144
	v_perm_b32 v63, v53, v52, s5
	s_waitcnt lgkmcnt(0)
	v_mfma_f32_16x16x16_bf16 v[56:59], v[2:3], v[6:7], v[56:59]
	ds_read_b128 v[50:53], v50 offset:6160
	v_perm_b32 v2, v65, v64, s5
	v_perm_b32 v3, v67, v66, s5
	v_cvt_pk_f32_fp8_e32 v[64:65], v5
	v_mfma_f32_16x16x16_bf16 v[56:59], v[62:63], v[8:9], v[56:59]
	v_cvt_pk_f32_fp8_sdwa v[62:63], v5 src0_sel:WORD_1
	v_cvt_pk_f32_fp8_e32 v[66:67], v32
	v_perm_b32 v64, v65, v64, s5
	s_waitcnt lgkmcnt(0)
	v_mfma_f32_16x16x16_bf16 v[2:5], v[2:3], v[50:51], v[56:59]
	v_perm_b32 v65, v63, v62, s5
	s_barrier
	s_nop 0
	v_mfma_f32_16x16x16_bf16 v[56:59], v[64:65], v[52:53], v[2:5]
	s_nop 2
	v_cvt_pk_f32_fp8_e32 v[4:5], v30
	v_perm_b32 v4, v5, v4, s5
	s_nop 1
	v_pk_mul_f32 v[2:3], v[58:59], s[4:5] op_sel_hi:[1,0]
	v_cvt_pk_f32_fp8_sdwa v[58:59], v30 src0_sel:WORD_1
	v_pk_mul_f32 v[62:63], v[56:57], s[4:5] op_sel_hi:[1,0]
	v_cvt_pk_f32_fp8_e32 v[56:57], v31
	v_cvt_pk_f32_fp8_sdwa v[30:31], v31 src0_sel:WORD_1
	v_perm_b32 v5, v59, v58, s5
	v_perm_b32 v64, v57, v56, s5
	;; [unrolled: 1-line block ×3, first 2 shown]
	v_mfma_f32_16x16x16_bf16 v[56:59], v[4:5], v[34:35], 0
	v_perm_b32 v4, v67, v66, s5
	v_perm_b32 v5, v69, v68, s5
	v_cvt_pk_f32_fp8_e32 v[34:35], v33
	v_cvt_pk_f32_fp8_sdwa v[66:67], v33 src0_sel:WORD_1
	v_mfma_f32_16x16x16_bf16 v[30:33], v[64:65], v[36:37], v[56:59]
	s_waitcnt vmcnt(2)
	v_cvt_pk_f32_fp8_sdwa v[36:37], v26 src0_sel:WORD_1
	v_perm_b32 v34, v35, v34, s5
	v_perm_b32 v35, v67, v66, s5
	v_mfma_f32_16x16x16_bf16 v[30:33], v[4:5], v[38:39], v[30:33]
	v_cvt_pk_f32_fp8_e32 v[4:5], v26
	v_cvt_pk_f32_fp8_sdwa v[38:39], v28 src0_sel:WORD_1
	v_bfe_u32 v56, v63, 16, 1
	v_mfma_f32_16x16x16_bf16 v[30:33], v[34:35], v[40:41], v[30:33]
	v_cvt_pk_f32_fp8_e32 v[34:35], v27
	v_perm_b32 v4, v5, v4, s5
	v_perm_b32 v5, v37, v36, s5
	v_cvt_pk_f32_fp8_sdwa v[26:27], v27 src0_sel:WORD_1
	v_perm_b32 v34, v35, v34, s5
	v_cvt_pk_f32_fp8_e32 v[36:37], v28
	v_mfma_f32_16x16x16_bf16 v[30:33], v[4:5], v[14:15], v[30:33]
	v_perm_b32 v35, v27, v26, s5
	v_perm_b32 v4, v37, v36, s5
	;; [unrolled: 1-line block ×3, first 2 shown]
	v_cvt_pk_f32_fp8_e32 v[26:27], v29
	v_cvt_pk_f32_fp8_sdwa v[28:29], v29 src0_sel:WORD_1
	v_mfma_f32_16x16x16_bf16 v[14:17], v[34:35], v[16:17], v[30:33]
	v_bfe_u32 v57, v62, 16, 1
	v_perm_b32 v26, v27, v26, s5
	v_perm_b32 v27, v29, v28, s5
	v_mfma_f32_16x16x16_bf16 v[14:17], v[4:5], v[42:43], v[14:17]
	s_waitcnt vmcnt(1)
	v_cvt_pk_f32_fp8_e32 v[4:5], v22
	v_cvt_pk_f32_fp8_sdwa v[28:29], v22 src0_sel:WORD_1
	v_cvt_pk_f32_fp8_sdwa v[30:31], v24 src0_sel:WORD_1
	v_mfma_f32_16x16x16_bf16 v[14:17], v[26:27], v[44:45], v[14:17]
	v_cvt_pk_f32_fp8_e32 v[26:27], v23
	v_perm_b32 v4, v5, v4, s5
	v_perm_b32 v5, v29, v28, s5
	v_cvt_pk_f32_fp8_sdwa v[22:23], v23 src0_sel:WORD_1
	v_perm_b32 v26, v27, v26, s5
	v_cvt_pk_f32_fp8_e32 v[28:29], v24
	v_mfma_f32_16x16x16_bf16 v[14:17], v[4:5], v[10:11], v[14:17]
	v_perm_b32 v27, v23, v22, s5
	v_perm_b32 v4, v29, v28, s5
	;; [unrolled: 1-line block ×3, first 2 shown]
	v_cvt_pk_f32_fp8_e32 v[22:23], v25
	v_cvt_pk_f32_fp8_sdwa v[24:25], v25 src0_sel:WORD_1
	v_mfma_f32_16x16x16_bf16 v[10:13], v[26:27], v[12:13], v[14:17]
	v_add3_u32 v32, v62, v57, s8
	v_add3_u32 v33, v63, v56, s8
	s_nop 0
	v_perm_b32 v16, v23, v22, s5
	v_perm_b32 v17, v25, v24, s5
	v_mfma_f32_16x16x16_bf16 v[10:13], v[4:5], v[46:47], v[10:13]
	s_waitcnt vmcnt(0)
	v_cvt_pk_f32_fp8_e32 v[4:5], v18
	v_cvt_pk_f32_fp8_sdwa v[22:23], v18 src0_sel:WORD_1
	v_cvt_pk_f32_fp8_sdwa v[24:25], v20 src0_sel:WORD_1
	v_mfma_f32_16x16x16_bf16 v[10:13], v[16:17], v[48:49], v[10:13]
	v_cvt_pk_f32_fp8_e32 v[16:17], v19
	v_perm_b32 v4, v5, v4, s5
	v_perm_b32 v5, v23, v22, s5
	v_cvt_pk_f32_fp8_sdwa v[18:19], v19 src0_sel:WORD_1
	v_perm_b32 v16, v17, v16, s5
	v_cvt_pk_f32_fp8_e32 v[22:23], v20
	v_mfma_f32_16x16x16_bf16 v[4:7], v[4:5], v[6:7], v[10:13]
	v_perm_b32 v17, v19, v18, s5
	v_cvt_pk_f32_fp8_sdwa v[18:19], v21 src0_sel:WORD_1
	s_nop 0
	v_perm_b32 v10, v23, v22, s5
	v_perm_b32 v11, v25, v24, s5
	v_cvt_pk_f32_fp8_e32 v[12:13], v21
	v_mfma_f32_16x16x16_bf16 v[4:7], v[16:17], v[8:9], v[4:7]
	v_perm_b32 v9, v19, v18, s5
	v_bfe_u32 v15, v3, 16, 1
	v_perm_b32 v8, v13, v12, s5
	v_mfma_f32_16x16x16_bf16 v[4:7], v[10:11], v[50:51], v[4:7]
	v_bfe_u32 v16, v2, 16, 1
	v_add3_u32 v2, v2, v16, s8
	v_add3_u32 v3, v3, v15, s8
	v_perm_b32 v15, v3, v2, s5
	v_mfma_f32_16x16x16_bf16 v[2:5], v[8:9], v[52:53], v[4:7]
	v_perm_b32 v14, v33, v32, s5
	s_nop 5
	v_pk_mul_f32 v[2:3], v[2:3], s[4:5] op_sel_hi:[1,0]
	v_pk_mul_f32 v[4:5], v[4:5], s[4:5] op_sel_hi:[1,0]
	v_bfe_u32 v6, v3, 16, 1
	v_bfe_u32 v7, v2, 16, 1
	v_add3_u32 v2, v2, v7, s8
	v_add3_u32 v3, v3, v6, s8
	v_perm_b32 v2, v3, v2, s5
	v_bfe_u32 v3, v5, 16, 1
	v_bfe_u32 v6, v4, 16, 1
	v_add3_u32 v4, v4, v6, s8
	v_add3_u32 v3, v5, v3, s8
	v_perm_b32 v3, v3, v4, s5
	ds_write2st64_b64 v55, v[14:15], v[2:3] offset1:1
	s_waitcnt lgkmcnt(0)
	s_barrier
	s_and_saveexec_b64 s[4:5], vcc
	s_cbranch_execz .LBB1295_19
; %bb.18:
	s_load_dwordx2 s[0:1], s[0:1], 0x68
	s_lshl_b32 s6, s6, 7
	s_mul_i32 s2, s7, s2
	s_mul_hi_u32 s5, s2, s6
	s_mul_i32 s4, s2, s6
	v_lshlrev_b32_e32 v4, 6, v60
	s_lshl_b64 s[4:5], s[4:5], 1
	v_lshl_or_b32 v0, v0, 10, v4
	s_waitcnt lgkmcnt(0)
	s_add_u32 s4, s0, s4
	v_lshlrev_b32_e32 v2, 5, v1
	v_and_b32_e32 v3, 16, v61
	v_and_b32_e32 v0, 0x1a00, v0
	s_addc_u32 s5, s1, s5
	s_lshl_b32 s2, s10, 7
	v_or3_b32 v0, v0, v2, v3
	s_lshl_b64 s[0:1], s[2:3], 1
	ds_read_b128 v[2:5], v0
	ds_read_b128 v[6:9], v0 offset:128
	s_add_u32 s0, s4, s0
	s_addc_u32 s1, s5, s1
	v_mov_b32_e32 v55, 0
	v_or_b32_e32 v12, s11, v1
	v_lshl_add_u64 v[10:11], s[0:1], 0, v[54:55]
	v_mad_u64_u32 v[0:1], s[0:1], v12, s6, 0
	v_lshl_add_u64 v[0:1], v[0:1], 1, v[10:11]
	s_waitcnt lgkmcnt(1)
	global_store_dwordx4 v[0:1], v[2:5], off
	v_or_b32_e32 v0, 4, v12
	v_mad_u64_u32 v[0:1], s[0:1], v0, s6, 0
	v_lshl_add_u64 v[0:1], v[0:1], 1, v[10:11]
	s_waitcnt lgkmcnt(0)
	global_store_dwordx4 v[0:1], v[6:9], off
.LBB1295_19:
	s_endpgm
	.section	.rodata,"a",@progbits
	.p2align	6, 0x0
	.amdhsa_kernel _Z39paged_attention_ll4mi_QKV_mfma16_kernelI14__hip_bfloat16hLN4vllm18Fp8KVCacheDataTypeE1ES0_Li16ELi128ELi256ELb1ELi8EEvPKT_PKT0_S8_ifPKiSA_SA_iPKfiiiPfSD_PS3_PT2_iSC_SC_
		.amdhsa_group_segment_fixed_size 8192
		.amdhsa_private_segment_fixed_size 0
		.amdhsa_kernarg_size 400
		.amdhsa_user_sgpr_count 2
		.amdhsa_user_sgpr_dispatch_ptr 0
		.amdhsa_user_sgpr_queue_ptr 0
		.amdhsa_user_sgpr_kernarg_segment_ptr 1
		.amdhsa_user_sgpr_dispatch_id 0
		.amdhsa_user_sgpr_kernarg_preload_length 0
		.amdhsa_user_sgpr_kernarg_preload_offset 0
		.amdhsa_user_sgpr_private_segment_size 0
		.amdhsa_uses_dynamic_stack 0
		.amdhsa_enable_private_segment 0
		.amdhsa_system_sgpr_workgroup_id_x 1
		.amdhsa_system_sgpr_workgroup_id_y 1
		.amdhsa_system_sgpr_workgroup_id_z 1
		.amdhsa_system_sgpr_workgroup_info 0
		.amdhsa_system_vgpr_workitem_id 0
		.amdhsa_next_free_vgpr 80
		.amdhsa_next_free_sgpr 48
		.amdhsa_accum_offset 80
		.amdhsa_reserve_vcc 1
		.amdhsa_float_round_mode_32 0
		.amdhsa_float_round_mode_16_64 0
		.amdhsa_float_denorm_mode_32 3
		.amdhsa_float_denorm_mode_16_64 3
		.amdhsa_dx10_clamp 1
		.amdhsa_ieee_mode 1
		.amdhsa_fp16_overflow 0
		.amdhsa_tg_split 0
		.amdhsa_exception_fp_ieee_invalid_op 0
		.amdhsa_exception_fp_denorm_src 0
		.amdhsa_exception_fp_ieee_div_zero 0
		.amdhsa_exception_fp_ieee_overflow 0
		.amdhsa_exception_fp_ieee_underflow 0
		.amdhsa_exception_fp_ieee_inexact 0
		.amdhsa_exception_int_div_zero 0
	.end_amdhsa_kernel
	.section	.text._Z39paged_attention_ll4mi_QKV_mfma16_kernelI14__hip_bfloat16hLN4vllm18Fp8KVCacheDataTypeE1ES0_Li16ELi128ELi256ELb1ELi8EEvPKT_PKT0_S8_ifPKiSA_SA_iPKfiiiPfSD_PS3_PT2_iSC_SC_,"axG",@progbits,_Z39paged_attention_ll4mi_QKV_mfma16_kernelI14__hip_bfloat16hLN4vllm18Fp8KVCacheDataTypeE1ES0_Li16ELi128ELi256ELb1ELi8EEvPKT_PKT0_S8_ifPKiSA_SA_iPKfiiiPfSD_PS3_PT2_iSC_SC_,comdat
.Lfunc_end1295:
	.size	_Z39paged_attention_ll4mi_QKV_mfma16_kernelI14__hip_bfloat16hLN4vllm18Fp8KVCacheDataTypeE1ES0_Li16ELi128ELi256ELb1ELi8EEvPKT_PKT0_S8_ifPKiSA_SA_iPKfiiiPfSD_PS3_PT2_iSC_SC_, .Lfunc_end1295-_Z39paged_attention_ll4mi_QKV_mfma16_kernelI14__hip_bfloat16hLN4vllm18Fp8KVCacheDataTypeE1ES0_Li16ELi128ELi256ELb1ELi8EEvPKT_PKT0_S8_ifPKiSA_SA_iPKfiiiPfSD_PS3_PT2_iSC_SC_
                                        ; -- End function
	.section	.AMDGPU.csdata,"",@progbits
; Kernel info:
; codeLenInByte = 6544
; NumSgprs: 54
; NumVgprs: 80
; NumAgprs: 0
; TotalNumVgprs: 80
; ScratchSize: 0
; MemoryBound: 0
; FloatMode: 240
; IeeeMode: 1
; LDSByteSize: 8192 bytes/workgroup (compile time only)
; SGPRBlocks: 6
; VGPRBlocks: 9
; NumSGPRsForWavesPerEU: 54
; NumVGPRsForWavesPerEU: 80
; AccumOffset: 80
; Occupancy: 6
; WaveLimiterHint : 1
; COMPUTE_PGM_RSRC2:SCRATCH_EN: 0
; COMPUTE_PGM_RSRC2:USER_SGPR: 2
; COMPUTE_PGM_RSRC2:TRAP_HANDLER: 0
; COMPUTE_PGM_RSRC2:TGID_X_EN: 1
; COMPUTE_PGM_RSRC2:TGID_Y_EN: 1
; COMPUTE_PGM_RSRC2:TGID_Z_EN: 1
; COMPUTE_PGM_RSRC2:TIDIG_COMP_CNT: 0
; COMPUTE_PGM_RSRC3_GFX90A:ACCUM_OFFSET: 19
; COMPUTE_PGM_RSRC3_GFX90A:TG_SPLIT: 0
	.section	.text._Z39paged_attention_ll4mi_QKV_mfma16_kernelI14__hip_bfloat16hLN4vllm18Fp8KVCacheDataTypeE1ES0_Li16ELi128ELi256ELb1ELi9EEvPKT_PKT0_S8_ifPKiSA_SA_iPKfiiiPfSD_PS3_PT2_iSC_SC_,"axG",@progbits,_Z39paged_attention_ll4mi_QKV_mfma16_kernelI14__hip_bfloat16hLN4vllm18Fp8KVCacheDataTypeE1ES0_Li16ELi128ELi256ELb1ELi9EEvPKT_PKT0_S8_ifPKiSA_SA_iPKfiiiPfSD_PS3_PT2_iSC_SC_,comdat
	.protected	_Z39paged_attention_ll4mi_QKV_mfma16_kernelI14__hip_bfloat16hLN4vllm18Fp8KVCacheDataTypeE1ES0_Li16ELi128ELi256ELb1ELi9EEvPKT_PKT0_S8_ifPKiSA_SA_iPKfiiiPfSD_PS3_PT2_iSC_SC_ ; -- Begin function _Z39paged_attention_ll4mi_QKV_mfma16_kernelI14__hip_bfloat16hLN4vllm18Fp8KVCacheDataTypeE1ES0_Li16ELi128ELi256ELb1ELi9EEvPKT_PKT0_S8_ifPKiSA_SA_iPKfiiiPfSD_PS3_PT2_iSC_SC_
	.globl	_Z39paged_attention_ll4mi_QKV_mfma16_kernelI14__hip_bfloat16hLN4vllm18Fp8KVCacheDataTypeE1ES0_Li16ELi128ELi256ELb1ELi9EEvPKT_PKT0_S8_ifPKiSA_SA_iPKfiiiPfSD_PS3_PT2_iSC_SC_
	.p2align	8
	.type	_Z39paged_attention_ll4mi_QKV_mfma16_kernelI14__hip_bfloat16hLN4vllm18Fp8KVCacheDataTypeE1ES0_Li16ELi128ELi256ELb1ELi9EEvPKT_PKT0_S8_ifPKiSA_SA_iPKfiiiPfSD_PS3_PT2_iSC_SC_,@function
_Z39paged_attention_ll4mi_QKV_mfma16_kernelI14__hip_bfloat16hLN4vllm18Fp8KVCacheDataTypeE1ES0_Li16ELi128ELi256ELb1ELi9EEvPKT_PKT0_S8_ifPKiSA_SA_iPKfiiiPfSD_PS3_PT2_iSC_SC_: ; @_Z39paged_attention_ll4mi_QKV_mfma16_kernelI14__hip_bfloat16hLN4vllm18Fp8KVCacheDataTypeE1ES0_Li16ELi128ELi256ELb1ELi9EEvPKT_PKT0_S8_ifPKiSA_SA_iPKfiiiPfSD_PS3_PT2_iSC_SC_
; %bb.0:
	s_load_dwordx2 s[10:11], s[0:1], 0x30
	s_mov_b32 s6, s3
	s_mov_b64 s[8:9], 0
	s_waitcnt lgkmcnt(0)
	s_cmp_lg_u64 s[10:11], 0
	s_cselect_b64 s[12:13], -1, 0
	s_and_b64 vcc, exec, s[12:13]
	s_cbranch_vccz .LBB1296_7
; %bb.1:
	s_add_i32 s14, s2, 1
	s_mov_b32 s15, 0
	s_lshl_b64 s[16:17], s[14:15], 2
	s_add_u32 s16, s10, s16
	s_mov_b32 s3, s15
	s_addc_u32 s17, s11, s17
	s_lshl_b64 s[14:15], s[2:3], 2
	s_add_u32 s14, s10, s14
	s_addc_u32 s15, s11, s15
	s_load_dword s5, s[16:17], 0x0
	s_load_dword s7, s[14:15], 0x0
	s_waitcnt lgkmcnt(0)
	s_sub_i32 s5, s5, s7
	s_cmp_eq_u32 s5, 1
	s_cselect_b64 s[14:15], -1, 0
	s_andn2_b64 vcc, exec, s[8:9]
	s_cbranch_vccnz .LBB1296_3
.LBB1296_2:
	s_mov_b32 s3, 0
	s_mov_b64 s[14:15], -1
.LBB1296_3:
	s_andn2_b64 vcc, exec, s[14:15]
	s_cbranch_vccnz .LBB1296_20
; %bb.4:
	s_load_dwordx2 s[8:9], s[0:1], 0x28
	s_lshl_b64 s[14:15], s[2:3], 2
	s_waitcnt lgkmcnt(0)
	s_add_u32 s8, s8, s14
	s_addc_u32 s9, s9, s15
	s_load_dword s7, s[8:9], 0x0
	s_lshl_b32 s18, s6, 8
	s_waitcnt lgkmcnt(0)
	s_cmp_ge_i32 s18, s7
	s_cbranch_scc1 .LBB1296_20
; %bb.5:
	s_load_dwordx2 s[8:9], s[0:1], 0x20
	s_load_dword s5, s[0:1], 0x38
	s_add_i32 s16, s7, 15
	s_ashr_i32 s17, s16, 31
	v_and_b32_e32 v1, 0xcf, v0
	s_lshr_b32 s17, s17, 28
	v_add_u32_e32 v1, s18, v1
	s_add_i32 s16, s16, s17
	v_ashrrev_i32_e32 v2, 31, v1
	s_ashr_i32 s19, s16, 4
	v_lshrrev_b32_e32 v4, 28, v2
	s_add_i32 s19, s19, -1
	s_waitcnt lgkmcnt(0)
	s_mul_i32 s16, s2, s5
	s_mov_b32 s17, 0
	v_add_u32_e32 v2, v1, v4
	s_lshl_b64 s[16:17], s[16:17], 2
	v_ashrrev_i32_e32 v2, 4, v2
	v_mov_b32_e32 v5, s19
	v_cmp_gt_i32_e32 vcc, s7, v1
	s_add_u32 s8, s8, s16
	s_addc_u32 s9, s9, s17
	v_cndmask_b32_e32 v2, v5, v2, vcc
	v_ashrrev_i32_e32 v3, 31, v2
	v_lshl_add_u64 v[6:7], v[2:3], 2, s[8:9]
	v_or_b32_e32 v2, 16, v1
	v_add_u32_e32 v3, v2, v4
	v_ashrrev_i32_e32 v3, 4, v3
	v_cmp_gt_i32_e32 vcc, s7, v2
	s_load_dwordx2 s[16:17], s[0:1], 0x8
	s_nop 0
	v_cndmask_b32_e32 v2, v5, v3, vcc
	v_ashrrev_i32_e32 v3, 31, v2
	v_lshl_add_u64 v[8:9], v[2:3], 2, s[8:9]
	v_or_b32_e32 v2, 32, v1
	v_add_u32_e32 v3, v2, v4
	v_ashrrev_i32_e32 v3, 4, v3
	v_cmp_gt_i32_e32 vcc, s7, v2
	v_or_b32_e32 v1, 48, v1
	s_nop 0
	v_cndmask_b32_e32 v2, v5, v3, vcc
	v_ashrrev_i32_e32 v3, 31, v2
	v_lshl_add_u64 v[12:13], v[2:3], 2, s[8:9]
	v_add_u32_e32 v2, v1, v4
	v_ashrrev_i32_e32 v2, 4, v2
	v_cmp_gt_i32_e32 vcc, s7, v1
	s_nop 1
	v_cndmask_b32_e32 v2, v5, v2, vcc
	v_ashrrev_i32_e32 v3, 31, v2
	v_lshl_add_u64 v[14:15], v[2:3], 2, s[8:9]
	global_load_dword v4, v[6:7], off
	global_load_dword v3, v[8:9], off
	;; [unrolled: 1-line block ×4, first 2 shown]
	s_andn2_b64 vcc, exec, s[12:13]
	s_cbranch_vccnz .LBB1296_8
; %bb.6:
	s_add_u32 s10, s10, s14
	s_addc_u32 s11, s11, s15
	s_load_dword s5, s[10:11], 0x0
	s_branch .LBB1296_9
.LBB1296_7:
	s_mov_b64 s[14:15], 0
	s_branch .LBB1296_2
.LBB1296_8:
	s_mov_b32 s5, s2
.LBB1296_9:
	s_load_dwordx2 s[10:11], s[0:1], 0x10
	s_load_dwordx4 s[44:47], s[0:1], 0x48
	v_lshrrev_b32_e32 v57, 6, v0
	v_bfe_u32 v60, v0, 4, 2
	v_and_b32_e32 v56, 15, v0
	v_lshl_or_b32 v5, v57, 2, v60
	v_lshlrev_b32_e32 v1, 3, v56
	s_mul_i32 s48, s4, 9
	v_cmp_gt_u32_e32 vcc, 9, v5
	v_lshlrev_b32_e32 v54, 1, v1
	v_lshlrev_b32_e32 v1, 4, v0
	s_and_saveexec_b64 s[12:13], vcc
	s_cbranch_execz .LBB1296_11
; %bb.10:
	s_load_dwordx2 s[14:15], s[0:1], 0x0
	s_waitcnt lgkmcnt(0)
	s_ashr_i32 s20, s44, 31
	s_mul_hi_u32 s21, s5, s44
	s_mul_i32 s20, s5, s20
	s_add_i32 s21, s21, s20
	s_mul_i32 s20, s5, s44
	s_lshl_b64 s[20:21], s[20:21], 1
	s_add_u32 s14, s14, s20
	v_add_lshl_u32 v6, v5, s48, 7
	s_addc_u32 s15, s15, s21
	v_ashrrev_i32_e32 v7, 31, v6
	v_lshl_add_u64 v[6:7], v[6:7], 1, s[14:15]
	v_mov_b32_e32 v55, 0
	v_lshl_add_u64 v[6:7], v[6:7], 0, v[54:55]
	global_load_dwordx4 v[6:9], v[6:7], off
	v_lshlrev_b32_e32 v12, 8, v0
	v_lshlrev_b32_e32 v11, 8, v56
	v_and_b32_e32 v12, 0x600, v12
	s_movk_i32 s5, 0x800
	v_and_or_b32 v11, v11, s5, v12
	v_lshlrev_b32_e32 v5, 5, v5
	v_and_b32_e32 v12, 16, v1
	v_or3_b32 v5, v11, v5, v12
	s_waitcnt vmcnt(0)
	ds_write_b128 v5, v[6:9]
.LBB1296_11:
	s_or_b64 exec, exec, s[12:13]
	s_waitcnt lgkmcnt(0)
	s_mul_i32 s12, s4, s46
	s_add_u32 s4, s16, s12
	s_addc_u32 s5, s17, 0
	v_and_b32_e32 v58, 0xf0, v1
	v_mov_b32_e32 v59, 0
	v_and_b32_e32 v34, 48, v0
	v_lshl_add_u64 v[12:13], s[4:5], 0, v[58:59]
	v_lshlrev_b32_e32 v58, 4, v34
	s_waitcnt vmcnt(3)
	v_mad_i64_i32 v[4:5], s[4:5], v4, s45, v[12:13]
	v_lshl_add_u64 v[4:5], v[4:5], 0, v[58:59]
	s_barrier
	global_load_dwordx4 v[50:53], v[4:5], off
	global_load_dwordx4 v[46:49], v[4:5], off offset:1024
	s_waitcnt vmcnt(4)
	v_mad_i64_i32 v[4:5], s[4:5], v3, s45, v[12:13]
	s_waitcnt vmcnt(3)
	v_mad_i64_i32 v[2:3], s[4:5], v2, s45, v[12:13]
	v_lshl_add_u64 v[4:5], v[4:5], 0, v[58:59]
	v_lshl_add_u64 v[14:15], v[2:3], 0, v[58:59]
	s_waitcnt vmcnt(2)
	v_mad_i64_i32 v[10:11], s[4:5], v10, s45, v[12:13]
	global_load_dwordx4 v[36:39], v[4:5], off
	global_load_dwordx4 v[6:9], v[4:5], off offset:1024
	s_nop 0
	global_load_dwordx4 v[2:5], v[14:15], off
	global_load_dwordx4 v[42:45], v[14:15], off offset:1024
	v_lshl_add_u64 v[14:15], v[10:11], 0, v[58:59]
	global_load_dwordx4 v[26:29], v[14:15], off
	global_load_dwordx4 v[10:13], v[14:15], off offset:1024
	v_add_u32_e32 v14, -9, v56
	v_cmp_gt_u32_e32 vcc, 9, v56
	v_and_b32_e32 v55, 63, v0
	v_mov_b32_e32 v61, 0
	v_cndmask_b32_e32 v14, v14, v56, vcc
	v_lshlrev_b32_e32 v14, 5, v14
	v_lshl_add_u32 v14, v60, 9, v14
	ds_read_b128 v[30:33], v14
	ds_read_b128 v[22:25], v14 offset:16
	ds_read_b128 v[18:21], v14 offset:2048
	;; [unrolled: 1-line block ×3, first 2 shown]
	s_and_saveexec_b64 s[4:5], vcc
	s_cbranch_execz .LBB1296_13
; %bb.12:
	s_load_dwordx2 s[14:15], s[0:1], 0x40
	v_add_u32_e32 v40, s48, v56
	v_ashrrev_i32_e32 v41, 31, v40
	s_waitcnt lgkmcnt(0)
	v_lshl_add_u64 v[40:41], v[40:41], 2, s[14:15]
	global_load_dword v61, v[40:41], off
.LBB1296_13:
	s_or_b64 exec, exec, s[4:5]
	v_or_b32_e32 v58, s18, v34
	v_ashrrev_i32_e32 v34, 4, v58
	v_mov_b32_e32 v63, s19
	v_cmp_gt_i32_e32 vcc, s7, v58
	s_waitcnt vmcnt(7)
	v_cvt_pk_f32_fp8_e32 v[40:41], v50
	v_cvt_pk_f32_fp8_sdwa v[64:65], v50 src0_sel:WORD_1
	v_cndmask_b32_e32 v34, v63, v34, vcc
	v_ashrrev_i32_e32 v35, 31, v34
	v_lshl_add_u64 v[34:35], v[34:35], 2, s[8:9]
	global_load_dword v62, v[34:35], off
	v_or_b32_e32 v34, 64, v58
	v_ashrrev_i32_e32 v35, 4, v34
	v_cmp_gt_i32_e32 vcc, s7, v34
	v_or_b32_e32 v66, 0x80, v58
	v_ashrrev_i32_e32 v67, 4, v66
	v_cndmask_b32_e32 v34, v63, v35, vcc
	v_cmp_gt_i32_e32 vcc, s7, v66
	s_mov_b32 s33, 0x7060302
	v_perm_b32 v40, v41, v40, s33
	v_cndmask_b32_e32 v50, v63, v67, vcc
	v_perm_b32 v41, v65, v64, s33
	v_cvt_pk_f32_fp8_e32 v[64:65], v51
	v_cvt_pk_f32_fp8_sdwa v[66:67], v51 src0_sel:WORD_1
	v_ashrrev_i32_e32 v51, 31, v50
	v_lshl_add_u64 v[68:69], v[50:51], 2, s[8:9]
	v_perm_b32 v50, v65, v64, s33
	v_perm_b32 v51, v67, v66, s33
	s_waitcnt lgkmcnt(3)
	v_mfma_f32_16x16x16_bf16 v[64:67], v[40:41], v[30:31], 0
	v_cvt_pk_f32_fp8_e32 v[40:41], v52
	v_cvt_pk_f32_fp8_sdwa v[70:71], v52 src0_sel:WORD_1
	s_waitcnt vmcnt(7)
	v_cvt_pk_f32_fp8_e32 v[72:73], v46
	v_mfma_f32_16x16x16_bf16 v[64:67], v[50:51], v[32:33], v[64:67]
	v_cvt_pk_f32_fp8_e32 v[50:51], v53
	v_perm_b32 v40, v41, v40, s33
	v_perm_b32 v41, v71, v70, s33
	v_cvt_pk_f32_fp8_sdwa v[52:53], v53 src0_sel:WORD_1
	v_perm_b32 v70, v51, v50, s33
	v_cvt_pk_f32_fp8_sdwa v[74:75], v46 src0_sel:WORD_1
	v_ashrrev_i32_e32 v35, 31, v34
	v_perm_b32 v71, v53, v52, s33
	s_waitcnt lgkmcnt(2)
	v_mfma_f32_16x16x16_bf16 v[50:53], v[40:41], v[22:23], v[64:67]
	v_perm_b32 v40, v73, v72, s33
	v_perm_b32 v41, v75, v74, s33
	v_or_b32_e32 v58, 0xc0, v58
	v_cvt_pk_f32_fp8_e32 v[64:65], v47
	v_cvt_pk_f32_fp8_sdwa v[46:47], v47 src0_sel:WORD_1
	v_mfma_f32_16x16x16_bf16 v[50:53], v[70:71], v[24:25], v[50:53]
	v_lshl_add_u64 v[34:35], v[34:35], 2, s[8:9]
	v_perm_b32 v64, v65, v64, s33
	v_perm_b32 v65, v47, v46, s33
	s_waitcnt lgkmcnt(1)
	v_mfma_f32_16x16x16_bf16 v[50:53], v[40:41], v[18:19], v[50:53]
	v_ashrrev_i32_e32 v66, 4, v58
	v_cmp_gt_i32_e32 vcc, s7, v58
	v_cvt_pk_f32_fp8_e32 v[46:47], v48
	s_waitcnt vmcnt(6)
	v_cvt_pk_f32_fp8_sdwa v[70:71], v36 src0_sel:WORD_1
	v_cndmask_b32_e32 v40, v63, v66, vcc
	v_mfma_f32_16x16x16_bf16 v[64:67], v[64:65], v[20:21], v[50:53]
	v_ashrrev_i32_e32 v41, 31, v40
	v_lshl_add_u64 v[40:41], v[40:41], 2, s[8:9]
	v_perm_b32 v46, v47, v46, s33
	global_load_dword v53, v[34:35], off
	global_load_dword v63, v[40:41], off
	v_cvt_pk_f32_fp8_sdwa v[50:51], v48 src0_sel:WORD_1
	v_cvt_pk_f32_fp8_e32 v[34:35], v49
	v_cvt_pk_f32_fp8_sdwa v[48:49], v49 src0_sel:WORD_1
	s_add_u32 s46, s10, s12
	v_perm_b32 v47, v51, v50, s33
	v_perm_b32 v34, v35, v34, s33
	;; [unrolled: 1-line block ×3, first 2 shown]
	s_waitcnt lgkmcnt(0)
	v_mfma_f32_16x16x16_bf16 v[46:49], v[46:47], v[14:15], v[64:67]
	v_cvt_pk_f32_fp8_e32 v[50:51], v36
	s_nop 1
	global_load_dword v64, v[68:69], off
	v_cvt_pk_f32_fp8_e32 v[66:67], v37
	s_waitcnt vmcnt(8)
	v_cvt_pk_f32_fp8_e32 v[68:69], v6
	v_perm_b32 v50, v51, v50, s33
	v_perm_b32 v51, v71, v70, s33
	v_cvt_pk_f32_fp8_sdwa v[70:71], v37 src0_sel:WORD_1
	v_perm_b32 v40, v67, v66, s33
	v_mfma_f32_16x16x16_bf16 v[34:37], v[34:35], v[16:17], v[46:49]
	v_cvt_pk_f32_fp8_sdwa v[66:67], v38 src0_sel:WORD_1
	v_perm_b32 v41, v71, v70, s33
	v_cvt_pk_f32_fp8_sdwa v[70:71], v6 src0_sel:WORD_1
	v_mfma_f32_16x16x16_bf16 v[46:49], v[50:51], v[30:31], 0
	v_cvt_pk_f32_fp8_e32 v[50:51], v38
	v_lshl_or_b32 v52, v57, 4, v56
	s_waitcnt vmcnt(6)
	v_cvt_pk_f32_fp8_e32 v[72:73], v43
	v_mfma_f32_16x16x16_bf16 v[46:49], v[40:41], v[32:33], v[46:49]
	v_cvt_pk_f32_fp8_e32 v[40:41], v39
	v_perm_b32 v50, v51, v50, s33
	v_perm_b32 v51, v67, v66, s33
	v_cvt_pk_f32_fp8_sdwa v[38:39], v39 src0_sel:WORD_1
	v_perm_b32 v66, v41, v40, s33
	s_addc_u32 s47, s11, 0
	v_lshlrev_b32_e32 v58, 4, v52
	v_perm_b32 v67, v39, v38, s33
	v_mfma_f32_16x16x16_bf16 v[38:41], v[50:51], v[22:23], v[46:49]
	v_cvt_pk_f32_fp8_sdwa v[50:51], v2 src0_sel:WORD_1
	s_nop 1
	v_perm_b32 v46, v69, v68, s33
	v_perm_b32 v47, v71, v70, s33
	v_cvt_pk_f32_fp8_e32 v[48:49], v7
	v_cvt_pk_f32_fp8_sdwa v[6:7], v7 src0_sel:WORD_1
	v_mfma_f32_16x16x16_bf16 v[38:41], v[66:67], v[24:25], v[38:41]
	v_lshl_add_u64 v[70:71], s[46:47], 0, v[58:59]
	v_perm_b32 v48, v49, v48, s33
	v_perm_b32 v49, v7, v6, s33
	v_mfma_f32_16x16x16_bf16 v[38:41], v[46:47], v[18:19], v[38:41]
	v_cvt_pk_f32_fp8_e32 v[6:7], v8
	v_cvt_pk_f32_fp8_sdwa v[46:47], v8 src0_sel:WORD_1
	v_or_b32_e32 v58, 0x400, v58
	v_mfma_f32_16x16x16_bf16 v[38:41], v[48:49], v[20:21], v[38:41]
	v_cvt_pk_f32_fp8_e32 v[48:49], v9
	v_perm_b32 v6, v7, v6, s33
	v_perm_b32 v7, v47, v46, s33
	v_cvt_pk_f32_fp8_sdwa v[8:9], v9 src0_sel:WORD_1
	v_perm_b32 v46, v49, v48, s33
	v_cvt_pk_f32_fp8_e32 v[48:49], v2
	v_perm_b32 v47, v9, v8, s33
	v_mfma_f32_16x16x16_bf16 v[6:9], v[6:7], v[14:15], v[38:41]
	v_perm_b32 v48, v49, v48, s33
	v_perm_b32 v49, v51, v50, s33
	v_cvt_pk_f32_fp8_e32 v[50:51], v3
	v_cvt_pk_f32_fp8_sdwa v[2:3], v3 src0_sel:WORD_1
	v_mfma_f32_16x16x16_bf16 v[38:41], v[46:47], v[16:17], v[6:9]
	v_perm_b32 v46, v51, v50, s33
	v_perm_b32 v47, v3, v2, s33
	v_mfma_f32_16x16x16_bf16 v[6:9], v[48:49], v[30:31], 0
	v_cvt_pk_f32_fp8_e32 v[2:3], v4
	v_cvt_pk_f32_fp8_sdwa v[48:49], v4 src0_sel:WORD_1
	s_waitcnt vmcnt(3)
	v_mad_i64_i32 v[50:51], s[4:5], v62, s45, v[70:71]
	v_perm_b32 v2, v3, v2, s33
	v_perm_b32 v3, v49, v48, s33
	v_mfma_f32_16x16x16_bf16 v[6:9], v[46:47], v[32:33], v[6:9]
	v_cvt_pk_f32_fp8_e32 v[46:47], v5
	v_cvt_pk_f32_fp8_sdwa v[4:5], v5 src0_sel:WORD_1
	s_waitcnt vmcnt(2)
	v_mad_i64_i32 v[66:67], s[4:5], v53, s45, v[70:71]
	v_perm_b32 v46, v47, v46, s33
	v_perm_b32 v47, v5, v4, s33
	v_mfma_f32_16x16x16_bf16 v[2:5], v[2:3], v[22:23], v[6:9]
	s_nop 2
	v_cvt_pk_f32_fp8_e32 v[6:7], v42
	v_cvt_pk_f32_fp8_sdwa v[8:9], v42 src0_sel:WORD_1
	v_cvt_pk_f32_fp8_sdwa v[42:43], v43 src0_sel:WORD_1
	v_mfma_f32_16x16x16_bf16 v[46:49], v[46:47], v[24:25], v[2:5]
	v_perm_b32 v68, v7, v6, s33
	v_perm_b32 v69, v9, v8, s33
	global_load_dwordx4 v[6:9], v[50:51], off
	global_load_dwordx4 v[2:5], v[66:67], off
	v_perm_b32 v66, v73, v72, s33
	v_perm_b32 v67, v43, v42, s33
	v_mfma_f32_16x16x16_bf16 v[48:51], v[68:69], v[18:19], v[46:49]
	v_cvt_pk_f32_fp8_e32 v[42:43], v44
	v_cvt_pk_f32_fp8_sdwa v[72:73], v44 src0_sel:WORD_1
	s_waitcnt vmcnt(2)
	v_mad_i64_i32 v[46:47], s[4:5], v64, s45, v[70:71]
	v_mfma_f32_16x16x16_bf16 v[66:69], v[66:67], v[20:21], v[48:51]
	v_perm_b32 v42, v43, v42, s33
	v_perm_b32 v43, v73, v72, s33
	v_cvt_pk_f32_fp8_sdwa v[72:73], v26 src0_sel:WORD_1
	v_cvt_pk_f32_fp8_e32 v[50:51], v45
	v_cvt_pk_f32_fp8_sdwa v[44:45], v45 src0_sel:WORD_1
	v_mad_i64_i32 v[48:49], s[4:5], v63, s45, v[70:71]
	v_perm_b32 v50, v51, v50, s33
	v_perm_b32 v51, v45, v44, s33
	v_mfma_f32_16x16x16_bf16 v[42:45], v[42:43], v[14:15], v[66:69]
	v_cvt_pk_f32_fp8_e32 v[70:71], v26
	s_load_dword s4, s[0:1], 0x1c
	s_load_dwordx4 s[40:43], s[0:1], 0x80
	s_load_dword s44, s[0:1], 0x98
	s_waitcnt lgkmcnt(0)
	s_load_dword s5, s[40:41], 0x0
	v_mfma_f32_16x16x16_bf16 v[66:69], v[50:51], v[16:17], v[42:45]
	s_mov_b32 s40, 0xff7fffff
	s_nop 1
	v_cvt_pk_f32_fp8_e32 v[42:43], v27
	v_perm_b32 v44, v71, v70, s33
	v_perm_b32 v45, v73, v72, s33
	v_cvt_pk_f32_fp8_sdwa v[26:27], v27 src0_sel:WORD_1
	v_perm_b32 v50, v43, v42, s33
	v_cvt_pk_f32_fp8_e32 v[70:71], v28
	v_cvt_pk_f32_fp8_sdwa v[72:73], v28 src0_sel:WORD_1
	v_perm_b32 v51, v27, v26, s33
	v_mfma_f32_16x16x16_bf16 v[42:45], v[44:45], v[30:31], 0
	v_perm_b32 v30, v71, v70, s33
	v_perm_b32 v31, v73, v72, s33
	v_cvt_pk_f32_fp8_e32 v[70:71], v29
	v_cvt_pk_f32_fp8_sdwa v[72:73], v29 src0_sel:WORD_1
	v_mfma_f32_16x16x16_bf16 v[26:29], v[50:51], v[32:33], v[42:45]
	v_mov_b32_e32 v32, s4
	s_waitcnt lgkmcnt(0)
	v_mul_f32_e32 v50, s5, v32
	v_pk_mul_f32 v[32:33], v[50:51], v[34:35] op_sel_hi:[0,1]
	v_perm_b32 v42, v71, v70, s33
	v_perm_b32 v43, v73, v72, s33
	v_mfma_f32_16x16x16_bf16 v[26:29], v[30:31], v[22:23], v[26:29]
	v_pk_mul_f32 v[30:31], v[50:51], v[36:37] op_sel_hi:[0,1]
	v_cvt_pk_f32_fp8_e32 v[22:23], v10
	v_cvt_pk_f32_fp8_sdwa v[70:71], v12 src0_sel:WORD_1
	v_mfma_f32_16x16x16_bf16 v[34:37], v[42:43], v[24:25], v[26:29]
	v_cvt_pk_f32_fp8_sdwa v[24:25], v10 src0_sel:WORD_1
	v_perm_b32 v42, v23, v22, s33
	v_pk_mul_f32 v[40:41], v[50:51], v[40:41] op_sel_hi:[0,1]
	v_cvt_pk_f32_fp8_e32 v[26:27], v11
	v_cvt_pk_f32_fp8_sdwa v[10:11], v11 src0_sel:WORD_1
	v_perm_b32 v43, v25, v24, s33
	v_perm_b32 v44, v27, v26, s33
	;; [unrolled: 1-line block ×3, first 2 shown]
	v_cvt_pk_f32_fp8_e32 v[10:11], v12
	v_mfma_f32_16x16x16_bf16 v[34:37], v[42:43], v[18:19], v[34:37]
	global_load_dwordx4 v[26:29], v[46:47], off
	global_load_dwordx4 v[22:25], v[48:49], off
	v_perm_b32 v19, v71, v70, s33
	v_perm_b32 v18, v11, v10, s33
	v_cvt_pk_f32_fp8_e32 v[42:43], v13
	v_cvt_pk_f32_fp8_sdwa v[46:47], v13 src0_sel:WORD_1
	v_mfma_f32_16x16x16_bf16 v[10:13], v[44:45], v[20:21], v[34:37]
	v_pk_mul_f32 v[44:45], v[50:51], v[38:39] op_sel_hi:[0,1]
	v_perm_b32 v20, v43, v42, s33
	v_perm_b32 v21, v47, v46, s33
	v_mfma_f32_16x16x16_bf16 v[10:13], v[18:19], v[14:15], v[10:13]
	v_pk_mul_f32 v[38:39], v[50:51], v[68:69] op_sel_hi:[0,1]
	v_pk_mul_f32 v[42:43], v[50:51], v[66:67] op_sel_hi:[0,1]
	v_mfma_f32_16x16x16_bf16 v[10:13], v[20:21], v[16:17], v[10:13]
	s_nop 6
	v_pk_mul_f32 v[36:37], v[50:51], v[10:11] op_sel_hi:[0,1]
	v_and_b32_e32 v10, 0xc0, v0
	v_add_u32_e32 v10, s18, v10
	v_lshl_or_b32 v10, v60, 2, v10
	v_or_b32_e32 v11, 1, v10
	v_pk_mul_f32 v[34:35], v[50:51], v[12:13] op_sel_hi:[0,1]
	v_subrev_u32_e32 v12, s7, v11
	v_add_u32_e32 v14, 1, v12
	v_add_u32_e32 v15, 2, v12
	v_cvt_f32_i32_e32 v13, v12
	v_cvt_f32_i32_e32 v14, v14
	;; [unrolled: 1-line block ×3, first 2 shown]
	v_add_u32_e32 v16, 3, v12
	v_fma_f32 v18, v61, v13, v32
	v_fmac_f32_e32 v33, v61, v14
	v_fma_f32 v48, v61, v15, v30
	v_add_u32_e32 v13, 16, v12
	v_add_u32_e32 v14, 17, v12
	;; [unrolled: 1-line block ×3, first 2 shown]
	v_cvt_f32_i32_e32 v16, v16
	v_cvt_f32_i32_e32 v13, v13
	v_cvt_f32_i32_e32 v14, v14
	v_cvt_f32_i32_e32 v15, v15
	v_fmac_f32_e32 v31, v61, v16
	v_add_u32_e32 v16, 19, v12
	v_fma_f32 v44, v61, v13, v44
	v_fmac_f32_e32 v45, v61, v14
	v_fma_f32 v40, v61, v15, v40
	v_add_u32_e32 v13, 32, v12
	v_add_u32_e32 v14, 33, v12
	;; [unrolled: 1-line block ×3, first 2 shown]
	v_cvt_f32_i32_e32 v16, v16
	v_cvt_f32_i32_e32 v13, v13
	;; [unrolled: 1-line block ×4, first 2 shown]
	v_fmac_f32_e32 v41, v61, v16
	v_add_u32_e32 v16, 35, v12
	v_fma_f32 v42, v61, v13, v42
	v_fmac_f32_e32 v43, v61, v14
	v_fma_f32 v38, v61, v15, v38
	v_add_u32_e32 v13, 48, v12
	v_add_u32_e32 v14, 49, v12
	;; [unrolled: 1-line block ×4, first 2 shown]
	v_cvt_f32_i32_e32 v12, v12
	v_cvt_f32_i32_e32 v13, v13
	;; [unrolled: 1-line block ×3, first 2 shown]
	v_cmp_gt_i32_e64 s[8:9], s7, v10
	v_fmac_f32_e32 v35, v61, v12
	v_mov_b32_e32 v12, 0xff7fffff
	v_cmp_gt_i32_e64 s[10:11], s7, v11
	v_fma_f32 v36, v61, v13, v36
	v_cndmask_b32_e64 v13, v12, v18, s[8:9]
	v_cndmask_b32_e64 v11, v12, v33, s[10:11]
	v_fmac_f32_e32 v37, v61, v14
	v_max3_f32 v11, v13, s40, v11
	v_or_b32_e32 v13, 2, v10
	v_or_b32_e32 v14, 3, v10
	v_cmp_gt_i32_e64 s[12:13], s7, v13
	v_cmp_gt_i32_e64 s[14:15], s7, v14
	v_cvt_f32_i32_e32 v16, v16
	v_cndmask_b32_e64 v13, v12, v48, s[12:13]
	v_cndmask_b32_e64 v14, v12, v31, s[14:15]
	v_max3_f32 v11, v11, v13, v14
	v_or_b32_e32 v13, 16, v10
	v_or_b32_e32 v14, 17, v10
	v_cmp_gt_i32_e64 s[16:17], s7, v13
	v_cmp_gt_i32_e64 s[18:19], s7, v14
	v_fmac_f32_e32 v39, v61, v16
	v_cndmask_b32_e64 v13, v12, v44, s[16:17]
	v_cndmask_b32_e64 v14, v12, v45, s[18:19]
	v_max3_f32 v11, v11, v13, v14
	v_or_b32_e32 v13, 18, v10
	v_or_b32_e32 v14, 19, v10
	v_cmp_gt_i32_e64 s[20:21], s7, v13
	v_cmp_gt_i32_e64 s[22:23], s7, v14
	v_cvt_f32_i32_e32 v15, v15
	v_cndmask_b32_e64 v13, v12, v40, s[20:21]
	v_cndmask_b32_e64 v14, v12, v41, s[22:23]
	v_max3_f32 v11, v11, v13, v14
	v_or_b32_e32 v13, 32, v10
	v_or_b32_e32 v14, 33, v10
	v_cmp_gt_i32_e64 s[24:25], s7, v13
	v_cmp_gt_i32_e64 s[26:27], s7, v14
	v_fma_f32 v34, v61, v15, v34
	v_cndmask_b32_e64 v13, v12, v42, s[24:25]
	v_cndmask_b32_e64 v14, v12, v43, s[26:27]
	v_max3_f32 v11, v11, v13, v14
	v_or_b32_e32 v13, 34, v10
	v_or_b32_e32 v14, 35, v10
	v_cmp_gt_i32_e64 s[28:29], s7, v13
	v_cmp_gt_i32_e64 s[30:31], s7, v14
	s_nop 0
	v_cndmask_b32_e64 v13, v12, v38, s[28:29]
	v_cndmask_b32_e64 v14, v12, v39, s[30:31]
	v_max3_f32 v11, v11, v13, v14
	v_or_b32_e32 v13, 48, v10
	v_or_b32_e32 v14, 49, v10
	v_cmp_gt_i32_e64 s[34:35], s7, v13
	v_cmp_gt_i32_e64 s[36:37], s7, v14
	s_nop 0
	v_cndmask_b32_e64 v13, v12, v36, s[34:35]
	v_cndmask_b32_e64 v14, v12, v37, s[36:37]
	v_max3_f32 v11, v11, v13, v14
	v_or_b32_e32 v13, 50, v10
	v_or_b32_e32 v10, 51, v10
	v_cmp_gt_i32_e32 vcc, s7, v13
	v_cmp_gt_i32_e64 s[4:5], s7, v10
	s_nop 0
	v_cndmask_b32_e32 v13, v12, v34, vcc
	v_cndmask_b32_e64 v10, v12, v35, s[4:5]
	v_max3_f32 v14, v11, v13, v10
	v_mbcnt_lo_u32_b32 v10, -1, 0
	v_mbcnt_hi_u32_b32 v15, -1, v10
	v_and_b32_e32 v10, 64, v15
	v_add_u32_e32 v16, 64, v10
	v_xor_b32_e32 v10, 32, v15
	v_cmp_lt_i32_e64 s[38:39], v10, v16
	s_nop 1
	v_cndmask_b32_e64 v10, v15, v10, s[38:39]
	v_lshlrev_b32_e32 v51, 2, v10
	ds_bpermute_b32 v17, v51, v14
	v_lshl_add_u64 v[10:11], s[46:47], 0, v[58:59]
	v_mad_i64_i32 v[12:13], s[38:39], v62, s45, v[10:11]
	s_waitcnt lgkmcnt(0)
	v_max_f32_e32 v17, v17, v17
	v_max_f32_e32 v19, v14, v17
	v_xor_b32_e32 v14, 16, v15
	v_cmp_lt_i32_e64 s[38:39], v14, v16
	s_nop 1
	v_cndmask_b32_e64 v14, v15, v14, s[38:39]
	v_lshlrev_b32_e32 v58, 2, v14
	ds_bpermute_b32 v20, v58, v19
	v_mad_i64_i32 v[14:15], s[38:39], v53, s45, v[10:11]
	v_mad_i64_i32 v[16:17], s[38:39], v64, s45, v[10:11]
	s_waitcnt lgkmcnt(0)
	v_max_f32_e32 v20, v20, v20
	v_max_f32_e32 v50, v19, v20
	v_sub_f32_e32 v18, v18, v50
	v_sub_f32_e32 v19, v33, v50
	v_mul_f32_e32 v18, 0x3fb8aa3b, v18
	v_mul_f32_e32 v19, 0x3fb8aa3b, v19
	v_exp_f32_e32 v18, v18
	v_exp_f32_e32 v19, v19
	v_sub_f32_e32 v49, v31, v50
	v_mad_i64_i32 v[10:11], s[38:39], v63, s45, v[10:11]
	v_cndmask_b32_e64 v46, 0, v18, s[8:9]
	v_cndmask_b32_e64 v47, 0, v19, s[10:11]
	global_load_dwordx4 v[30:33], v[12:13], off
	global_load_dwordx4 v[18:21], v[14:15], off
	v_sub_f32_e32 v12, v48, v50
	v_mul_f32_e32 v12, 0x3fb8aa3b, v12
	v_exp_f32_e32 v48, v12
	global_load_dwordx4 v[14:17], v[16:17], off
	s_nop 0
	global_load_dwordx4 v[10:13], v[10:11], off
	v_sub_f32_e32 v40, v40, v50
	v_sub_f32_e32 v42, v42, v50
	v_mul_f32_e32 v40, 0x3fb8aa3b, v40
	v_mul_f32_e32 v42, 0x3fb8aa3b, v42
	v_exp_f32_e32 v40, v40
	v_exp_f32_e32 v53, v42
	v_mul_f32_e32 v49, 0x3fb8aa3b, v49
	v_sub_f32_e32 v44, v44, v50
	v_exp_f32_e32 v49, v49
	v_mul_f32_e32 v44, 0x3fb8aa3b, v44
	v_sub_f32_e32 v45, v45, v50
	v_sub_f32_e32 v42, v43, v50
	v_exp_f32_e32 v44, v44
	v_mul_f32_e32 v45, 0x3fb8aa3b, v45
	v_mul_f32_e32 v42, 0x3fb8aa3b, v42
	v_exp_f32_e32 v45, v45
	v_sub_f32_e32 v41, v41, v50
	v_exp_f32_e32 v59, v42
	v_cndmask_b32_e64 v42, 0, v40, s[20:21]
	v_cndmask_b32_e64 v40, 0, v53, s[24:25]
	v_add_f32_e32 v53, 0, v46
	v_cndmask_b32_e64 v48, 0, v48, s[12:13]
	v_mul_f32_e32 v41, 0x3fb8aa3b, v41
	v_add_f32_e32 v53, v53, v47
	v_cndmask_b32_e64 v49, 0, v49, s[14:15]
	v_exp_f32_e32 v41, v41
	v_add_f32_e32 v53, v53, v48
	v_cndmask_b32_e64 v44, 0, v44, s[16:17]
	v_sub_f32_e32 v38, v38, v50
	v_add_f32_e32 v53, v53, v49
	v_cndmask_b32_e64 v45, 0, v45, s[18:19]
	v_sub_f32_e32 v39, v39, v50
	v_mul_f32_e32 v38, 0x3fb8aa3b, v38
	v_add_f32_e32 v53, v53, v44
	v_exp_f32_e32 v38, v38
	v_mul_f32_e32 v39, 0x3fb8aa3b, v39
	v_sub_f32_e32 v36, v36, v50
	v_add_f32_e32 v53, v53, v45
	v_cndmask_b32_e64 v43, 0, v41, s[22:23]
	v_exp_f32_e32 v39, v39
	v_mul_f32_e32 v36, 0x3fb8aa3b, v36
	v_sub_f32_e32 v37, v37, v50
	v_add_f32_e32 v53, v53, v42
	v_exp_f32_e32 v36, v36
	v_mul_f32_e32 v37, 0x3fb8aa3b, v37
	v_add_f32_e32 v53, v53, v43
	v_sub_f32_e32 v34, v34, v50
	v_cndmask_b32_e64 v41, 0, v59, s[26:27]
	v_exp_f32_e32 v37, v37
	v_add_f32_e32 v53, v53, v40
	v_mul_f32_e32 v34, 0x3fb8aa3b, v34
	v_sub_f32_e32 v35, v35, v50
	v_cndmask_b32_e64 v38, 0, v38, s[28:29]
	v_add_f32_e32 v53, v53, v41
	v_exp_f32_e32 v34, v34
	v_mul_f32_e32 v35, 0x3fb8aa3b, v35
	v_cndmask_b32_e64 v39, 0, v39, s[30:31]
	v_add_f32_e32 v53, v53, v38
	v_exp_f32_e32 v35, v35
	v_cndmask_b32_e64 v36, 0, v36, s[34:35]
	v_add_f32_e32 v53, v53, v39
	v_cndmask_b32_e64 v37, 0, v37, s[36:37]
	v_add_f32_e32 v53, v53, v36
	v_add_f32_e32 v53, v53, v37
	v_cndmask_b32_e32 v34, 0, v34, vcc
	v_add_f32_e32 v53, v53, v34
	v_cndmask_b32_e64 v35, 0, v35, s[4:5]
	v_add_f32_e32 v53, v53, v35
	ds_bpermute_b32 v51, v51, v53
	v_cmp_gt_u32_e64 s[4:5], 16, v55
	s_waitcnt lgkmcnt(0)
	s_barrier
	v_add_f32_e32 v51, v53, v51
	ds_bpermute_b32 v53, v58, v51
	s_and_saveexec_b64 s[8:9], s[4:5]
	s_cbranch_execz .LBB1296_15
; %bb.14:
	s_waitcnt lgkmcnt(0)
	v_add_f32_e32 v51, v51, v53
	v_lshlrev_b32_e32 v52, 2, v52
	ds_write2st64_b32 v52, v50, v51 offset1:1
.LBB1296_15:
	s_or_b64 exec, exec, s[8:9]
	v_lshlrev_b32_e32 v51, 2, v56
	s_load_dword s7, s[0:1], 0x94
	s_waitcnt lgkmcnt(0)
	s_barrier
	ds_read2_b32 v[52:53], v51 offset1:16
	ds_read2_b32 v[58:59], v51 offset0:32 offset1:48
	ds_read2_b32 v[62:63], v51 offset0:64 offset1:80
	s_movk_i32 s11, 0x7fff
	s_mul_i32 s10, s44, 9
	s_waitcnt lgkmcnt(2)
	v_max3_f32 v50, v52, s40, v53
	s_waitcnt lgkmcnt(1)
	v_max3_f32 v50, v50, v58, v59
	v_sub_f32_e32 v52, v52, v50
	v_mul_f32_e32 v52, 0x3fb8aa3b, v52
	v_exp_f32_e32 v55, v52
	v_sub_f32_e32 v52, v53, v50
	v_mul_f32_e32 v52, 0x3fb8aa3b, v52
	v_exp_f32_e32 v61, v52
	;; [unrolled: 3-line block ×3, first 2 shown]
	ds_read2_b32 v[52:53], v51 offset0:96 offset1:112
	v_sub_f32_e32 v51, v59, v50
	v_mul_f32_e32 v51, 0x3fb8aa3b, v51
	v_exp_f32_e32 v59, v51
	s_waitcnt lgkmcnt(1)
	v_fma_f32 v51, v55, v62, 0
	v_fmac_f32_e32 v51, v61, v63
	s_waitcnt lgkmcnt(0)
	v_fmac_f32_e32 v51, v58, v52
	v_fmac_f32_e32 v51, v59, v53
	v_add_f32_e32 v52, 0x358637bd, v51
	v_div_scale_f32 v53, s[8:9], v52, v52, 1.0
	v_rcp_f32_e32 v62, v53
	s_barrier
	v_fma_f32 v63, -v53, v62, 1.0
	v_fmac_f32_e32 v62, v63, v62
	v_div_scale_f32 v63, vcc, 1.0, v52, 1.0
	v_mul_f32_e32 v64, v63, v62
	v_fma_f32 v65, -v53, v64, v63
	v_fmac_f32_e32 v64, v65, v62
	v_fma_f32 v53, -v53, v64, v63
	v_div_fmas_f32 v53, v53, v62, v64
	v_cmp_eq_u32_e32 vcc, 1, v57
	v_div_fixup_f32 v52, v53, v52, 1.0
	s_nop 0
	v_cndmask_b32_e32 v53, v55, v61, vcc
	v_cmp_eq_u32_e32 vcc, 2, v57
	s_nop 1
	v_cndmask_b32_e32 v53, v53, v58, vcc
	v_cmp_eq_u32_e32 vcc, 3, v57
	s_nop 1
	v_cndmask_b32_e32 v53, v53, v59, vcc
	v_mul_f32_e32 v52, v53, v52
	v_pk_mul_f32 v[46:47], v[52:53], v[46:47] op_sel_hi:[0,1]
	v_pk_mul_f32 v[48:49], v[52:53], v[48:49] op_sel_hi:[0,1]
	v_bfe_u32 v53, v47, 16, 1
	v_bfe_u32 v55, v46, 16, 1
	v_add3_u32 v46, v46, v55, s11
	v_add3_u32 v47, v47, v53, s11
	v_perm_b32 v58, v47, v46, s33
	v_bfe_u32 v46, v49, 16, 1
	v_bfe_u32 v47, v48, 16, 1
	v_add3_u32 v47, v48, v47, s11
	v_add3_u32 v46, v49, v46, s11
	v_perm_b32 v59, v46, v47, s33
	v_lshlrev_b32_e32 v47, 3, v60
	v_lshlrev_b32_e32 v46, 5, v56
	;; [unrolled: 1-line block ×3, first 2 shown]
	v_pk_mul_f32 v[44:45], v[52:53], v[44:45] op_sel_hi:[0,1]
	v_or3_b32 v55, v48, v46, v47
	v_bfe_u32 v47, v45, 16, 1
	v_bfe_u32 v48, v44, 16, 1
	v_pk_mul_f32 v[42:43], v[52:53], v[42:43] op_sel_hi:[0,1]
	v_add3_u32 v44, v44, v48, s11
	v_add3_u32 v45, v45, v47, s11
	v_perm_b32 v44, v45, v44, s33
	v_bfe_u32 v45, v43, 16, 1
	v_bfe_u32 v47, v42, 16, 1
	v_add3_u32 v42, v42, v47, s11
	v_add3_u32 v43, v43, v45, s11
	v_pk_mul_f32 v[40:41], v[52:53], v[40:41] op_sel_hi:[0,1]
	v_perm_b32 v45, v43, v42, s33
	v_bfe_u32 v42, v41, 16, 1
	v_bfe_u32 v43, v40, 16, 1
	v_pk_mul_f32 v[38:39], v[52:53], v[38:39] op_sel_hi:[0,1]
	v_add3_u32 v40, v40, v43, s11
	v_add3_u32 v41, v41, v42, s11
	v_perm_b32 v40, v41, v40, s33
	v_bfe_u32 v41, v39, 16, 1
	v_bfe_u32 v42, v38, 16, 1
	v_add3_u32 v38, v38, v42, s11
	v_add3_u32 v39, v39, v41, s11
	v_pk_mul_f32 v[36:37], v[52:53], v[36:37] op_sel_hi:[0,1]
	v_perm_b32 v41, v39, v38, s33
	v_bfe_u32 v38, v37, 16, 1
	v_bfe_u32 v39, v36, 16, 1
	v_pk_mul_f32 v[34:35], v[52:53], v[34:35] op_sel_hi:[0,1]
	v_add3_u32 v36, v36, v39, s11
	v_add3_u32 v37, v37, v38, s11
	v_perm_b32 v36, v37, v36, s33
	v_bfe_u32 v37, v35, 16, 1
	v_bfe_u32 v38, v34, 16, 1
	v_add3_u32 v34, v34, v38, s11
	v_add3_u32 v35, v35, v37, s11
	v_perm_b32 v37, v35, v34, s33
	v_cmp_gt_u32_e32 vcc, 9, v0
	ds_write2st64_b64 v55, v[58:59], v[44:45] offset1:1
	ds_write2st64_b64 v55, v[40:41], v[36:37] offset0:2 offset1:3
	s_and_saveexec_b64 s[8:9], vcc
	s_cbranch_execz .LBB1296_17
; %bb.16:
	s_mov_b32 s49, 0
	v_mov_b32_e32 v57, 0
	v_lshl_add_u64 v[34:35], s[48:49], 0, v[56:57]
	v_mov_b32_e32 v36, s10
	v_mad_u64_u32 v[34:35], s[16:17], s2, v36, v[34:35]
	s_mul_i32 s3, s3, s10
	v_mov_b32_e32 v36, s6
	v_mov_b32_e32 v37, v57
	s_load_dwordx4 s[12:15], s[0:1], 0x58
	v_add_u32_e32 v38, s3, v35
	v_mad_u64_u32 v[34:35], s[16:17], v34, s7, v[36:37]
	v_mov_b32_e32 v36, v35
	v_mad_u64_u32 v[36:37], s[16:17], v38, s7, v[36:37]
	v_mov_b32_e32 v35, v36
	v_lshlrev_b64 v[34:35], 2, v[34:35]
	s_waitcnt lgkmcnt(0)
	v_lshl_add_u64 v[36:37], s[14:15], 0, v[34:35]
	v_lshl_add_u64 v[34:35], s[12:13], 0, v[34:35]
	global_store_dword v[36:37], v50, off
	global_store_dword v[34:35], v51, off
.LBB1296_17:
	s_or_b64 exec, exec, s[8:9]
	s_waitcnt vmcnt(7)
	v_cvt_pk_f32_fp8_e32 v[34:35], v6
	v_cvt_pk_f32_fp8_sdwa v[36:37], v6 src0_sel:WORD_1
	v_lshl_or_b32 v50, v60, 9, v46
	s_mov_b32 s9, 0x7060302
	s_waitcnt lgkmcnt(0)
	s_barrier
	v_cvt_pk_f32_fp8_e32 v[38:39], v7
	v_perm_b32 v6, v35, v34, s9
	v_cvt_pk_f32_fp8_sdwa v[40:41], v7 src0_sel:WORD_1
	v_perm_b32 v7, v37, v36, s9
	ds_read_b128 v[34:37], v50
	v_perm_b32 v46, v39, v38, s9
	v_perm_b32 v47, v41, v40, s9
	ds_read_b128 v[38:41], v50 offset:16
	v_cvt_pk_f32_fp8_e32 v[48:49], v8
	v_cvt_pk_f32_fp8_sdwa v[52:53], v8 src0_sel:WORD_1
	s_waitcnt lgkmcnt(1)
	v_mfma_f32_16x16x16_bf16 v[42:45], v[6:7], v[34:35], 0
	s_waitcnt vmcnt(6)
	v_cvt_pk_f32_fp8_e32 v[58:59], v4
	v_perm_b32 v6, v49, v48, s9
	v_perm_b32 v7, v53, v52, s9
	v_cvt_pk_f32_fp8_e32 v[48:49], v9
	v_mfma_f32_16x16x16_bf16 v[42:45], v[46:47], v[36:37], v[42:45]
	v_cvt_pk_f32_fp8_sdwa v[46:47], v9 src0_sel:WORD_1
	v_cvt_pk_f32_fp8_sdwa v[62:63], v4 src0_sel:WORD_1
	v_perm_b32 v48, v49, v48, s9
	s_waitcnt lgkmcnt(0)
	v_mfma_f32_16x16x16_bf16 v[6:9], v[6:7], v[38:39], v[42:45]
	v_perm_b32 v49, v47, v46, s9
	s_waitcnt vmcnt(5)
	v_cvt_pk_f32_fp8_sdwa v[66:67], v28 src0_sel:WORD_1
	s_waitcnt vmcnt(4)
	v_cvt_pk_f32_fp8_sdwa v[68:69], v24 src0_sel:WORD_1
	v_cvt_pk_f32_fp8_e32 v[42:43], v2
	v_mfma_f32_16x16x16_bf16 v[46:49], v[48:49], v[40:41], v[6:9]
	s_load_dword s8, s[42:43], 0x0
	s_waitcnt vmcnt(3)
	v_cvt_pk_f32_fp8_sdwa v[70:71], v32 src0_sel:WORD_1
	v_cvt_pk_f32_fp8_sdwa v[6:7], v2 src0_sel:WORD_1
	v_cvt_pk_f32_fp8_e32 v[8:9], v3
	v_perm_b32 v2, v43, v42, s9
	v_cvt_pk_f32_fp8_sdwa v[42:43], v3 src0_sel:WORD_1
	v_perm_b32 v3, v7, v6, s9
	v_perm_b32 v52, v9, v8, s9
	ds_read_b128 v[6:9], v50 offset:2048
	v_perm_b32 v53, v43, v42, s9
	ds_read_b128 v[42:45], v50 offset:2064
	s_waitcnt lgkmcnt(0)
	v_mfma_f32_16x16x16_bf16 v[46:49], v[2:3], v[6:7], v[46:49]
	v_perm_b32 v2, v59, v58, s9
	v_perm_b32 v3, v63, v62, s9
	v_cvt_pk_f32_fp8_e32 v[58:59], v5
	v_mfma_f32_16x16x16_bf16 v[46:49], v[52:53], v[8:9], v[46:49]
	v_cvt_pk_f32_fp8_sdwa v[52:53], v5 src0_sel:WORD_1
	s_mov_b32 s3, 0
	v_perm_b32 v58, v59, v58, s9
	v_mfma_f32_16x16x16_bf16 v[2:5], v[2:3], v[42:43], v[46:49]
	v_perm_b32 v59, v53, v52, s9
	v_cmp_gt_u32_e32 vcc, 64, v0
	s_nop 0
	v_cvt_pk_f32_fp8_e32 v[46:47], v26
	v_mfma_f32_16x16x16_bf16 v[62:65], v[58:59], v[44:45], v[2:5]
	v_cvt_pk_f32_fp8_e32 v[58:59], v28
	s_nop 1
	v_cvt_pk_f32_fp8_sdwa v[2:3], v26 src0_sel:WORD_1
	v_cvt_pk_f32_fp8_e32 v[4:5], v27
	v_perm_b32 v26, v47, v46, s9
	v_cvt_pk_f32_fp8_sdwa v[46:47], v27 src0_sel:WORD_1
	v_perm_b32 v27, v3, v2, s9
	v_perm_b32 v52, v5, v4, s9
	ds_read_b128 v[2:5], v50 offset:4096
	v_perm_b32 v53, v47, v46, s9
	ds_read_b128 v[46:49], v50 offset:4112
	s_waitcnt lgkmcnt(1)
	v_mfma_f32_16x16x16_bf16 v[62:65], v[26:27], v[2:3], v[62:65]
	v_perm_b32 v26, v59, v58, s9
	v_perm_b32 v27, v67, v66, s9
	v_cvt_pk_f32_fp8_e32 v[58:59], v29
	v_mfma_f32_16x16x16_bf16 v[62:65], v[52:53], v[4:5], v[62:65]
	v_cvt_pk_f32_fp8_sdwa v[52:53], v29 src0_sel:WORD_1
	v_cvt_pk_f32_fp8_e32 v[66:67], v24
	v_perm_b32 v58, v59, v58, s9
	s_waitcnt lgkmcnt(0)
	v_mfma_f32_16x16x16_bf16 v[26:29], v[26:27], v[46:47], v[62:65]
	v_perm_b32 v59, v53, v52, s9
	v_cvt_pk_f32_fp8_e32 v[52:53], v22
	s_nop 0
	v_mfma_f32_16x16x16_bf16 v[62:65], v[58:59], v[48:49], v[26:29]
	s_nop 2
	v_cvt_pk_f32_fp8_sdwa v[26:27], v22 src0_sel:WORD_1
	v_cvt_pk_f32_fp8_e32 v[28:29], v23
	v_perm_b32 v22, v53, v52, s9
	v_cvt_pk_f32_fp8_sdwa v[52:53], v23 src0_sel:WORD_1
	v_perm_b32 v23, v27, v26, s9
	v_perm_b32 v58, v29, v28, s9
	ds_read_b128 v[26:29], v50 offset:6144
	v_perm_b32 v59, v53, v52, s9
	s_waitcnt lgkmcnt(0)
	v_mfma_f32_16x16x16_bf16 v[62:65], v[22:23], v[26:27], v[62:65]
	ds_read_b128 v[50:53], v50 offset:6160
	v_perm_b32 v22, v67, v66, s9
	v_perm_b32 v23, v69, v68, s9
	v_cvt_pk_f32_fp8_e32 v[66:67], v25
	v_mfma_f32_16x16x16_bf16 v[62:65], v[58:59], v[28:29], v[62:65]
	v_cvt_pk_f32_fp8_sdwa v[58:59], v25 src0_sel:WORD_1
	v_cvt_pk_f32_fp8_e32 v[68:69], v32
	v_perm_b32 v66, v67, v66, s9
	s_waitcnt lgkmcnt(0)
	v_mfma_f32_16x16x16_bf16 v[22:25], v[22:23], v[50:51], v[62:65]
	v_perm_b32 v67, v59, v58, s9
	v_cvt_pk_f32_fp8_sdwa v[58:59], v30 src0_sel:WORD_1
	s_nop 0
	v_mfma_f32_16x16x16_bf16 v[62:65], v[66:67], v[52:53], v[22:25]
	s_barrier
	s_nop 1
	v_cvt_pk_f32_fp8_e32 v[24:25], v30
	s_nop 2
	v_pk_mul_f32 v[66:67], v[62:63], s[8:9] op_sel_hi:[1,0]
	v_cvt_pk_f32_fp8_e32 v[62:63], v31
	v_perm_b32 v24, v25, v24, s9
	v_perm_b32 v25, v59, v58, s9
	v_cvt_pk_f32_fp8_sdwa v[30:31], v31 src0_sel:WORD_1
	v_perm_b32 v58, v63, v62, s9
	v_pk_mul_f32 v[22:23], v[64:65], s[8:9] op_sel_hi:[1,0]
	v_mfma_f32_16x16x16_bf16 v[62:65], v[24:25], v[34:35], 0
	v_perm_b32 v59, v31, v30, s9
	v_perm_b32 v24, v69, v68, s9
	;; [unrolled: 1-line block ×3, first 2 shown]
	v_cvt_pk_f32_fp8_e32 v[34:35], v33
	v_cvt_pk_f32_fp8_sdwa v[68:69], v33 src0_sel:WORD_1
	v_mfma_f32_16x16x16_bf16 v[30:33], v[58:59], v[36:37], v[62:65]
	s_waitcnt vmcnt(2)
	v_cvt_pk_f32_fp8_sdwa v[36:37], v18 src0_sel:WORD_1
	v_perm_b32 v34, v35, v34, s9
	v_perm_b32 v35, v69, v68, s9
	v_mfma_f32_16x16x16_bf16 v[30:33], v[24:25], v[38:39], v[30:33]
	v_cvt_pk_f32_fp8_e32 v[24:25], v18
	v_cvt_pk_f32_fp8_sdwa v[38:39], v20 src0_sel:WORD_1
	v_bfe_u32 v57, v67, 16, 1
	v_mfma_f32_16x16x16_bf16 v[30:33], v[34:35], v[40:41], v[30:33]
	v_cvt_pk_f32_fp8_e32 v[34:35], v19
	v_perm_b32 v24, v25, v24, s9
	v_perm_b32 v25, v37, v36, s9
	v_cvt_pk_f32_fp8_sdwa v[18:19], v19 src0_sel:WORD_1
	v_perm_b32 v34, v35, v34, s9
	v_cvt_pk_f32_fp8_e32 v[36:37], v20
	v_mfma_f32_16x16x16_bf16 v[30:33], v[24:25], v[6:7], v[30:33]
	v_perm_b32 v35, v19, v18, s9
	v_perm_b32 v18, v37, v36, s9
	;; [unrolled: 1-line block ×3, first 2 shown]
	v_cvt_pk_f32_fp8_e32 v[24:25], v21
	v_cvt_pk_f32_fp8_sdwa v[20:21], v21 src0_sel:WORD_1
	v_mfma_f32_16x16x16_bf16 v[6:9], v[34:35], v[8:9], v[30:33]
	v_bfe_u32 v58, v66, 16, 1
	v_perm_b32 v24, v25, v24, s9
	v_perm_b32 v25, v21, v20, s9
	v_mfma_f32_16x16x16_bf16 v[6:9], v[18:19], v[42:43], v[6:9]
	s_waitcnt vmcnt(1)
	v_cvt_pk_f32_fp8_e32 v[18:19], v14
	v_cvt_pk_f32_fp8_sdwa v[20:21], v14 src0_sel:WORD_1
	v_cvt_pk_f32_fp8_sdwa v[30:31], v16 src0_sel:WORD_1
	v_mfma_f32_16x16x16_bf16 v[6:9], v[24:25], v[44:45], v[6:9]
	v_cvt_pk_f32_fp8_e32 v[24:25], v15
	v_perm_b32 v18, v19, v18, s9
	v_perm_b32 v19, v21, v20, s9
	v_cvt_pk_f32_fp8_sdwa v[14:15], v15 src0_sel:WORD_1
	v_perm_b32 v20, v25, v24, s9
	v_cvt_pk_f32_fp8_e32 v[24:25], v16
	v_mfma_f32_16x16x16_bf16 v[6:9], v[18:19], v[2:3], v[6:9]
	v_perm_b32 v21, v15, v14, s9
	v_perm_b32 v14, v25, v24, s9
	;; [unrolled: 1-line block ×3, first 2 shown]
	v_cvt_pk_f32_fp8_e32 v[18:19], v17
	v_cvt_pk_f32_fp8_sdwa v[16:17], v17 src0_sel:WORD_1
	v_mfma_f32_16x16x16_bf16 v[2:5], v[20:21], v[4:5], v[6:9]
	v_add3_u32 v32, v66, v58, s11
	v_add3_u32 v33, v67, v57, s11
	s_nop 0
	v_perm_b32 v8, v19, v18, s9
	v_perm_b32 v9, v17, v16, s9
	v_mfma_f32_16x16x16_bf16 v[2:5], v[14:15], v[46:47], v[2:5]
	s_waitcnt vmcnt(0)
	v_cvt_pk_f32_fp8_e32 v[14:15], v10
	v_cvt_pk_f32_fp8_sdwa v[16:17], v10 src0_sel:WORD_1
	v_cvt_pk_f32_fp8_sdwa v[18:19], v12 src0_sel:WORD_1
	v_mfma_f32_16x16x16_bf16 v[2:5], v[8:9], v[48:49], v[2:5]
	v_cvt_pk_f32_fp8_e32 v[8:9], v11
	v_perm_b32 v14, v15, v14, s9
	v_perm_b32 v15, v17, v16, s9
	v_cvt_pk_f32_fp8_sdwa v[10:11], v11 src0_sel:WORD_1
	v_perm_b32 v8, v9, v8, s9
	v_cvt_pk_f32_fp8_e32 v[16:17], v12
	v_mfma_f32_16x16x16_bf16 v[2:5], v[14:15], v[26:27], v[2:5]
	v_perm_b32 v9, v11, v10, s9
	v_perm_b32 v10, v17, v16, s9
	;; [unrolled: 1-line block ×3, first 2 shown]
	v_cvt_pk_f32_fp8_e32 v[14:15], v13
	v_cvt_pk_f32_fp8_sdwa v[12:13], v13 src0_sel:WORD_1
	v_mfma_f32_16x16x16_bf16 v[2:5], v[8:9], v[28:29], v[2:5]
	v_bfe_u32 v7, v23, 16, 1
	v_perm_b32 v8, v15, v14, s9
	v_perm_b32 v9, v13, v12, s9
	v_mfma_f32_16x16x16_bf16 v[2:5], v[10:11], v[50:51], v[2:5]
	v_bfe_u32 v16, v22, 16, 1
	v_add3_u32 v10, v22, v16, s11
	v_add3_u32 v7, v23, v7, s11
	v_mfma_f32_16x16x16_bf16 v[2:5], v[8:9], v[52:53], v[2:5]
	v_perm_b32 v6, v33, v32, s9
	v_perm_b32 v7, v7, v10, s9
	s_nop 4
	v_pk_mul_f32 v[2:3], v[2:3], s[8:9] op_sel_hi:[1,0]
	v_pk_mul_f32 v[4:5], v[4:5], s[8:9] op_sel_hi:[1,0]
	v_bfe_u32 v8, v3, 16, 1
	v_bfe_u32 v9, v2, 16, 1
	v_add3_u32 v2, v2, v9, s11
	v_add3_u32 v3, v3, v8, s11
	v_perm_b32 v2, v3, v2, s9
	v_bfe_u32 v3, v5, 16, 1
	v_bfe_u32 v8, v4, 16, 1
	v_add3_u32 v4, v4, v8, s11
	v_add3_u32 v3, v5, v3, s11
	v_perm_b32 v3, v3, v4, s9
	ds_write2st64_b64 v55, v[6:7], v[2:3] offset1:1
	s_waitcnt lgkmcnt(0)
	s_barrier
	s_and_saveexec_b64 s[8:9], vcc
	s_cbranch_execz .LBB1296_20
; %bb.18:
	s_load_dwordx2 s[8:9], s[0:1], 0x68
	s_lshl_b32 s0, s7, 7
	s_mul_i32 s1, s10, s2
	v_lshlrev_b32_e32 v3, 6, v56
	s_mul_hi_u32 s11, s1, s0
	s_mul_i32 s10, s1, s0
	v_lshl_or_b32 v0, v0, 10, v3
	s_lshl_b64 s[10:11], s[10:11], 1
	v_lshlrev_b32_e32 v2, 5, v60
	v_and_b32_e32 v1, 16, v1
	v_and_b32_e32 v0, 0x1a00, v0
	s_waitcnt lgkmcnt(0)
	s_add_u32 s1, s8, s10
	v_or3_b32 v2, v0, v2, v1
	s_addc_u32 s7, s9, s11
	s_lshl_b32 s2, s6, 7
	s_lshl_b64 s[2:3], s[2:3], 1
	ds_read_b128 v[4:7], v2 offset:128
	ds_read_b128 v[8:11], v2
	s_add_u32 s2, s1, s2
	s_addc_u32 s3, s7, s3
	v_mov_b32_e32 v55, 0
	v_add_u32_e32 v3, s48, v60
	v_lshl_add_u64 v[0:1], s[2:3], 0, v[54:55]
	v_mad_u64_u32 v[12:13], s[2:3], v3, s0, 0
	v_lshl_add_u64 v[12:13], v[12:13], 1, v[0:1]
	v_add_u32_e32 v3, 4, v3
	s_waitcnt lgkmcnt(0)
	global_store_dwordx4 v[12:13], v[8:11], off
	s_nop 1
	v_mad_u64_u32 v[8:9], s[2:3], v3, s0, 0
	v_lshl_add_u64 v[8:9], v[8:9], 1, v[0:1]
	global_store_dwordx4 v[8:9], v[4:7], off
	s_and_b64 exec, exec, s[4:5]
	s_cbranch_execz .LBB1296_20
; %bb.19:
	ds_read_b128 v[2:5], v2 offset:256
	v_add3_u32 v6, s48, v60, 8
	v_mad_u64_u32 v[6:7], s[0:1], v6, s0, 0
	v_lshl_add_u64 v[0:1], v[6:7], 1, v[0:1]
	s_waitcnt lgkmcnt(0)
	global_store_dwordx4 v[0:1], v[2:5], off
.LBB1296_20:
	s_endpgm
	.section	.rodata,"a",@progbits
	.p2align	6, 0x0
	.amdhsa_kernel _Z39paged_attention_ll4mi_QKV_mfma16_kernelI14__hip_bfloat16hLN4vllm18Fp8KVCacheDataTypeE1ES0_Li16ELi128ELi256ELb1ELi9EEvPKT_PKT0_S8_ifPKiSA_SA_iPKfiiiPfSD_PS3_PT2_iSC_SC_
		.amdhsa_group_segment_fixed_size 8192
		.amdhsa_private_segment_fixed_size 0
		.amdhsa_kernarg_size 400
		.amdhsa_user_sgpr_count 2
		.amdhsa_user_sgpr_dispatch_ptr 0
		.amdhsa_user_sgpr_queue_ptr 0
		.amdhsa_user_sgpr_kernarg_segment_ptr 1
		.amdhsa_user_sgpr_dispatch_id 0
		.amdhsa_user_sgpr_kernarg_preload_length 0
		.amdhsa_user_sgpr_kernarg_preload_offset 0
		.amdhsa_user_sgpr_private_segment_size 0
		.amdhsa_uses_dynamic_stack 0
		.amdhsa_enable_private_segment 0
		.amdhsa_system_sgpr_workgroup_id_x 1
		.amdhsa_system_sgpr_workgroup_id_y 1
		.amdhsa_system_sgpr_workgroup_id_z 1
		.amdhsa_system_sgpr_workgroup_info 0
		.amdhsa_system_vgpr_workitem_id 0
		.amdhsa_next_free_vgpr 76
		.amdhsa_next_free_sgpr 50
		.amdhsa_accum_offset 76
		.amdhsa_reserve_vcc 1
		.amdhsa_float_round_mode_32 0
		.amdhsa_float_round_mode_16_64 0
		.amdhsa_float_denorm_mode_32 3
		.amdhsa_float_denorm_mode_16_64 3
		.amdhsa_dx10_clamp 1
		.amdhsa_ieee_mode 1
		.amdhsa_fp16_overflow 0
		.amdhsa_tg_split 0
		.amdhsa_exception_fp_ieee_invalid_op 0
		.amdhsa_exception_fp_denorm_src 0
		.amdhsa_exception_fp_ieee_div_zero 0
		.amdhsa_exception_fp_ieee_overflow 0
		.amdhsa_exception_fp_ieee_underflow 0
		.amdhsa_exception_fp_ieee_inexact 0
		.amdhsa_exception_int_div_zero 0
	.end_amdhsa_kernel
	.section	.text._Z39paged_attention_ll4mi_QKV_mfma16_kernelI14__hip_bfloat16hLN4vllm18Fp8KVCacheDataTypeE1ES0_Li16ELi128ELi256ELb1ELi9EEvPKT_PKT0_S8_ifPKiSA_SA_iPKfiiiPfSD_PS3_PT2_iSC_SC_,"axG",@progbits,_Z39paged_attention_ll4mi_QKV_mfma16_kernelI14__hip_bfloat16hLN4vllm18Fp8KVCacheDataTypeE1ES0_Li16ELi128ELi256ELb1ELi9EEvPKT_PKT0_S8_ifPKiSA_SA_iPKfiiiPfSD_PS3_PT2_iSC_SC_,comdat
.Lfunc_end1296:
	.size	_Z39paged_attention_ll4mi_QKV_mfma16_kernelI14__hip_bfloat16hLN4vllm18Fp8KVCacheDataTypeE1ES0_Li16ELi128ELi256ELb1ELi9EEvPKT_PKT0_S8_ifPKiSA_SA_iPKfiiiPfSD_PS3_PT2_iSC_SC_, .Lfunc_end1296-_Z39paged_attention_ll4mi_QKV_mfma16_kernelI14__hip_bfloat16hLN4vllm18Fp8KVCacheDataTypeE1ES0_Li16ELi128ELi256ELb1ELi9EEvPKT_PKT0_S8_ifPKiSA_SA_iPKfiiiPfSD_PS3_PT2_iSC_SC_
                                        ; -- End function
	.section	.AMDGPU.csdata,"",@progbits
; Kernel info:
; codeLenInByte = 6616
; NumSgprs: 56
; NumVgprs: 76
; NumAgprs: 0
; TotalNumVgprs: 76
; ScratchSize: 0
; MemoryBound: 0
; FloatMode: 240
; IeeeMode: 1
; LDSByteSize: 8192 bytes/workgroup (compile time only)
; SGPRBlocks: 6
; VGPRBlocks: 9
; NumSGPRsForWavesPerEU: 56
; NumVGPRsForWavesPerEU: 76
; AccumOffset: 76
; Occupancy: 6
; WaveLimiterHint : 1
; COMPUTE_PGM_RSRC2:SCRATCH_EN: 0
; COMPUTE_PGM_RSRC2:USER_SGPR: 2
; COMPUTE_PGM_RSRC2:TRAP_HANDLER: 0
; COMPUTE_PGM_RSRC2:TGID_X_EN: 1
; COMPUTE_PGM_RSRC2:TGID_Y_EN: 1
; COMPUTE_PGM_RSRC2:TGID_Z_EN: 1
; COMPUTE_PGM_RSRC2:TIDIG_COMP_CNT: 0
; COMPUTE_PGM_RSRC3_GFX90A:ACCUM_OFFSET: 18
; COMPUTE_PGM_RSRC3_GFX90A:TG_SPLIT: 0
	.section	.text._Z39paged_attention_ll4mi_QKV_mfma16_kernelI14__hip_bfloat16hLN4vllm18Fp8KVCacheDataTypeE1ES0_Li16ELi128ELi256ELb1ELi10EEvPKT_PKT0_S8_ifPKiSA_SA_iPKfiiiPfSD_PS3_PT2_iSC_SC_,"axG",@progbits,_Z39paged_attention_ll4mi_QKV_mfma16_kernelI14__hip_bfloat16hLN4vllm18Fp8KVCacheDataTypeE1ES0_Li16ELi128ELi256ELb1ELi10EEvPKT_PKT0_S8_ifPKiSA_SA_iPKfiiiPfSD_PS3_PT2_iSC_SC_,comdat
	.protected	_Z39paged_attention_ll4mi_QKV_mfma16_kernelI14__hip_bfloat16hLN4vllm18Fp8KVCacheDataTypeE1ES0_Li16ELi128ELi256ELb1ELi10EEvPKT_PKT0_S8_ifPKiSA_SA_iPKfiiiPfSD_PS3_PT2_iSC_SC_ ; -- Begin function _Z39paged_attention_ll4mi_QKV_mfma16_kernelI14__hip_bfloat16hLN4vllm18Fp8KVCacheDataTypeE1ES0_Li16ELi128ELi256ELb1ELi10EEvPKT_PKT0_S8_ifPKiSA_SA_iPKfiiiPfSD_PS3_PT2_iSC_SC_
	.globl	_Z39paged_attention_ll4mi_QKV_mfma16_kernelI14__hip_bfloat16hLN4vllm18Fp8KVCacheDataTypeE1ES0_Li16ELi128ELi256ELb1ELi10EEvPKT_PKT0_S8_ifPKiSA_SA_iPKfiiiPfSD_PS3_PT2_iSC_SC_
	.p2align	8
	.type	_Z39paged_attention_ll4mi_QKV_mfma16_kernelI14__hip_bfloat16hLN4vllm18Fp8KVCacheDataTypeE1ES0_Li16ELi128ELi256ELb1ELi10EEvPKT_PKT0_S8_ifPKiSA_SA_iPKfiiiPfSD_PS3_PT2_iSC_SC_,@function
_Z39paged_attention_ll4mi_QKV_mfma16_kernelI14__hip_bfloat16hLN4vllm18Fp8KVCacheDataTypeE1ES0_Li16ELi128ELi256ELb1ELi10EEvPKT_PKT0_S8_ifPKiSA_SA_iPKfiiiPfSD_PS3_PT2_iSC_SC_: ; @_Z39paged_attention_ll4mi_QKV_mfma16_kernelI14__hip_bfloat16hLN4vllm18Fp8KVCacheDataTypeE1ES0_Li16ELi128ELi256ELb1ELi10EEvPKT_PKT0_S8_ifPKiSA_SA_iPKfiiiPfSD_PS3_PT2_iSC_SC_
; %bb.0:
	s_load_dwordx2 s[10:11], s[0:1], 0x30
	s_mov_b32 s6, s3
	s_mov_b64 s[8:9], 0
	s_waitcnt lgkmcnt(0)
	s_cmp_lg_u64 s[10:11], 0
	s_cselect_b64 s[12:13], -1, 0
	s_and_b64 vcc, exec, s[12:13]
	s_cbranch_vccz .LBB1297_7
; %bb.1:
	s_add_i32 s14, s2, 1
	s_mov_b32 s15, 0
	s_lshl_b64 s[16:17], s[14:15], 2
	s_add_u32 s16, s10, s16
	s_mov_b32 s3, s15
	s_addc_u32 s17, s11, s17
	s_lshl_b64 s[14:15], s[2:3], 2
	s_add_u32 s14, s10, s14
	s_addc_u32 s15, s11, s15
	s_load_dword s5, s[16:17], 0x0
	s_load_dword s7, s[14:15], 0x0
	s_waitcnt lgkmcnt(0)
	s_sub_i32 s5, s5, s7
	s_cmp_eq_u32 s5, 1
	s_cselect_b64 s[14:15], -1, 0
	s_andn2_b64 vcc, exec, s[8:9]
	s_cbranch_vccnz .LBB1297_3
.LBB1297_2:
	s_mov_b32 s3, 0
	s_mov_b64 s[14:15], -1
.LBB1297_3:
	s_andn2_b64 vcc, exec, s[14:15]
	s_cbranch_vccnz .LBB1297_20
; %bb.4:
	s_load_dwordx2 s[8:9], s[0:1], 0x28
	s_lshl_b64 s[14:15], s[2:3], 2
	s_waitcnt lgkmcnt(0)
	s_add_u32 s8, s8, s14
	s_addc_u32 s9, s9, s15
	s_load_dword s7, s[8:9], 0x0
	s_lshl_b32 s18, s6, 8
	s_waitcnt lgkmcnt(0)
	s_cmp_ge_i32 s18, s7
	s_cbranch_scc1 .LBB1297_20
; %bb.5:
	s_load_dwordx2 s[8:9], s[0:1], 0x20
	s_load_dword s5, s[0:1], 0x38
	s_add_i32 s16, s7, 15
	s_ashr_i32 s17, s16, 31
	v_and_b32_e32 v1, 0xcf, v0
	s_lshr_b32 s17, s17, 28
	v_add_u32_e32 v1, s18, v1
	s_add_i32 s16, s16, s17
	v_ashrrev_i32_e32 v2, 31, v1
	s_ashr_i32 s19, s16, 4
	v_lshrrev_b32_e32 v4, 28, v2
	s_add_i32 s19, s19, -1
	s_waitcnt lgkmcnt(0)
	s_mul_i32 s16, s2, s5
	s_mov_b32 s17, 0
	v_add_u32_e32 v2, v1, v4
	s_lshl_b64 s[16:17], s[16:17], 2
	v_ashrrev_i32_e32 v2, 4, v2
	v_mov_b32_e32 v5, s19
	v_cmp_gt_i32_e32 vcc, s7, v1
	s_add_u32 s8, s8, s16
	s_addc_u32 s9, s9, s17
	v_cndmask_b32_e32 v2, v5, v2, vcc
	v_ashrrev_i32_e32 v3, 31, v2
	v_lshl_add_u64 v[6:7], v[2:3], 2, s[8:9]
	v_or_b32_e32 v2, 16, v1
	v_add_u32_e32 v3, v2, v4
	v_ashrrev_i32_e32 v3, 4, v3
	v_cmp_gt_i32_e32 vcc, s7, v2
	s_load_dwordx2 s[16:17], s[0:1], 0x8
	s_nop 0
	v_cndmask_b32_e32 v2, v5, v3, vcc
	v_ashrrev_i32_e32 v3, 31, v2
	v_lshl_add_u64 v[8:9], v[2:3], 2, s[8:9]
	v_or_b32_e32 v2, 32, v1
	v_add_u32_e32 v3, v2, v4
	v_ashrrev_i32_e32 v3, 4, v3
	v_cmp_gt_i32_e32 vcc, s7, v2
	v_or_b32_e32 v1, 48, v1
	s_nop 0
	v_cndmask_b32_e32 v2, v5, v3, vcc
	v_ashrrev_i32_e32 v3, 31, v2
	v_lshl_add_u64 v[12:13], v[2:3], 2, s[8:9]
	v_add_u32_e32 v2, v1, v4
	v_ashrrev_i32_e32 v2, 4, v2
	v_cmp_gt_i32_e32 vcc, s7, v1
	s_nop 1
	v_cndmask_b32_e32 v2, v5, v2, vcc
	v_ashrrev_i32_e32 v3, 31, v2
	v_lshl_add_u64 v[14:15], v[2:3], 2, s[8:9]
	global_load_dword v4, v[6:7], off
	global_load_dword v3, v[8:9], off
	;; [unrolled: 1-line block ×4, first 2 shown]
	s_andn2_b64 vcc, exec, s[12:13]
	s_cbranch_vccnz .LBB1297_8
; %bb.6:
	s_add_u32 s10, s10, s14
	s_addc_u32 s11, s11, s15
	s_load_dword s5, s[10:11], 0x0
	s_branch .LBB1297_9
.LBB1297_7:
	s_mov_b64 s[14:15], 0
	s_branch .LBB1297_2
.LBB1297_8:
	s_mov_b32 s5, s2
.LBB1297_9:
	s_load_dwordx2 s[10:11], s[0:1], 0x10
	s_load_dwordx4 s[44:47], s[0:1], 0x48
	v_lshrrev_b32_e32 v57, 6, v0
	v_bfe_u32 v60, v0, 4, 2
	v_and_b32_e32 v56, 15, v0
	v_lshl_or_b32 v5, v57, 2, v60
	v_lshlrev_b32_e32 v1, 3, v56
	s_mul_i32 s48, s4, 10
	v_cmp_gt_u32_e32 vcc, 10, v5
	v_lshlrev_b32_e32 v54, 1, v1
	v_lshlrev_b32_e32 v1, 4, v0
	s_and_saveexec_b64 s[12:13], vcc
	s_cbranch_execz .LBB1297_11
; %bb.10:
	s_load_dwordx2 s[14:15], s[0:1], 0x0
	s_waitcnt lgkmcnt(0)
	s_ashr_i32 s20, s44, 31
	s_mul_hi_u32 s21, s5, s44
	s_mul_i32 s20, s5, s20
	s_add_i32 s21, s21, s20
	s_mul_i32 s20, s5, s44
	s_lshl_b64 s[20:21], s[20:21], 1
	s_add_u32 s14, s14, s20
	v_add_lshl_u32 v6, v5, s48, 7
	s_addc_u32 s15, s15, s21
	v_ashrrev_i32_e32 v7, 31, v6
	v_lshl_add_u64 v[6:7], v[6:7], 1, s[14:15]
	v_mov_b32_e32 v55, 0
	v_lshl_add_u64 v[6:7], v[6:7], 0, v[54:55]
	global_load_dwordx4 v[6:9], v[6:7], off
	v_lshlrev_b32_e32 v12, 8, v0
	v_lshlrev_b32_e32 v11, 8, v56
	v_and_b32_e32 v12, 0x600, v12
	s_movk_i32 s5, 0x800
	v_and_or_b32 v11, v11, s5, v12
	v_lshlrev_b32_e32 v5, 5, v5
	v_and_b32_e32 v12, 16, v1
	v_or3_b32 v5, v11, v5, v12
	s_waitcnt vmcnt(0)
	ds_write_b128 v5, v[6:9]
.LBB1297_11:
	s_or_b64 exec, exec, s[12:13]
	s_waitcnt lgkmcnt(0)
	s_mul_i32 s12, s4, s46
	s_add_u32 s4, s16, s12
	s_addc_u32 s5, s17, 0
	v_and_b32_e32 v58, 0xf0, v1
	v_mov_b32_e32 v59, 0
	v_and_b32_e32 v34, 48, v0
	v_lshl_add_u64 v[12:13], s[4:5], 0, v[58:59]
	v_lshlrev_b32_e32 v58, 4, v34
	s_waitcnt vmcnt(3)
	v_mad_i64_i32 v[4:5], s[4:5], v4, s45, v[12:13]
	v_lshl_add_u64 v[4:5], v[4:5], 0, v[58:59]
	s_barrier
	global_load_dwordx4 v[50:53], v[4:5], off
	global_load_dwordx4 v[46:49], v[4:5], off offset:1024
	s_waitcnt vmcnt(4)
	v_mad_i64_i32 v[4:5], s[4:5], v3, s45, v[12:13]
	s_waitcnt vmcnt(3)
	v_mad_i64_i32 v[2:3], s[4:5], v2, s45, v[12:13]
	v_lshl_add_u64 v[4:5], v[4:5], 0, v[58:59]
	v_lshl_add_u64 v[14:15], v[2:3], 0, v[58:59]
	s_waitcnt vmcnt(2)
	v_mad_i64_i32 v[10:11], s[4:5], v10, s45, v[12:13]
	global_load_dwordx4 v[36:39], v[4:5], off
	global_load_dwordx4 v[6:9], v[4:5], off offset:1024
	s_nop 0
	global_load_dwordx4 v[2:5], v[14:15], off
	global_load_dwordx4 v[42:45], v[14:15], off offset:1024
	v_lshl_add_u64 v[14:15], v[10:11], 0, v[58:59]
	global_load_dwordx4 v[26:29], v[14:15], off
	global_load_dwordx4 v[10:13], v[14:15], off offset:1024
	v_add_u32_e32 v14, -10, v56
	v_cmp_gt_u32_e32 vcc, 10, v56
	v_and_b32_e32 v55, 63, v0
	v_mov_b32_e32 v61, 0
	v_cndmask_b32_e32 v14, v14, v56, vcc
	v_lshlrev_b32_e32 v14, 5, v14
	v_lshl_add_u32 v14, v60, 9, v14
	ds_read_b128 v[30:33], v14
	ds_read_b128 v[22:25], v14 offset:16
	ds_read_b128 v[18:21], v14 offset:2048
	;; [unrolled: 1-line block ×3, first 2 shown]
	s_and_saveexec_b64 s[4:5], vcc
	s_cbranch_execz .LBB1297_13
; %bb.12:
	s_load_dwordx2 s[14:15], s[0:1], 0x40
	v_add_u32_e32 v40, s48, v56
	v_ashrrev_i32_e32 v41, 31, v40
	s_waitcnt lgkmcnt(0)
	v_lshl_add_u64 v[40:41], v[40:41], 2, s[14:15]
	global_load_dword v61, v[40:41], off
.LBB1297_13:
	s_or_b64 exec, exec, s[4:5]
	v_or_b32_e32 v58, s18, v34
	v_ashrrev_i32_e32 v34, 4, v58
	v_mov_b32_e32 v63, s19
	v_cmp_gt_i32_e32 vcc, s7, v58
	s_waitcnt vmcnt(7)
	v_cvt_pk_f32_fp8_e32 v[40:41], v50
	v_cvt_pk_f32_fp8_sdwa v[64:65], v50 src0_sel:WORD_1
	v_cndmask_b32_e32 v34, v63, v34, vcc
	v_ashrrev_i32_e32 v35, 31, v34
	v_lshl_add_u64 v[34:35], v[34:35], 2, s[8:9]
	global_load_dword v62, v[34:35], off
	v_or_b32_e32 v34, 64, v58
	v_ashrrev_i32_e32 v35, 4, v34
	v_cmp_gt_i32_e32 vcc, s7, v34
	v_or_b32_e32 v66, 0x80, v58
	v_ashrrev_i32_e32 v67, 4, v66
	v_cndmask_b32_e32 v34, v63, v35, vcc
	v_cmp_gt_i32_e32 vcc, s7, v66
	s_mov_b32 s33, 0x7060302
	v_perm_b32 v40, v41, v40, s33
	v_cndmask_b32_e32 v50, v63, v67, vcc
	v_perm_b32 v41, v65, v64, s33
	v_cvt_pk_f32_fp8_e32 v[64:65], v51
	v_cvt_pk_f32_fp8_sdwa v[66:67], v51 src0_sel:WORD_1
	v_ashrrev_i32_e32 v51, 31, v50
	v_lshl_add_u64 v[68:69], v[50:51], 2, s[8:9]
	v_perm_b32 v50, v65, v64, s33
	v_perm_b32 v51, v67, v66, s33
	s_waitcnt lgkmcnt(3)
	v_mfma_f32_16x16x16_bf16 v[64:67], v[40:41], v[30:31], 0
	v_cvt_pk_f32_fp8_e32 v[40:41], v52
	v_cvt_pk_f32_fp8_sdwa v[70:71], v52 src0_sel:WORD_1
	s_waitcnt vmcnt(7)
	v_cvt_pk_f32_fp8_e32 v[72:73], v46
	v_mfma_f32_16x16x16_bf16 v[64:67], v[50:51], v[32:33], v[64:67]
	v_cvt_pk_f32_fp8_e32 v[50:51], v53
	v_perm_b32 v40, v41, v40, s33
	v_perm_b32 v41, v71, v70, s33
	v_cvt_pk_f32_fp8_sdwa v[52:53], v53 src0_sel:WORD_1
	v_perm_b32 v70, v51, v50, s33
	v_cvt_pk_f32_fp8_sdwa v[74:75], v46 src0_sel:WORD_1
	v_ashrrev_i32_e32 v35, 31, v34
	v_perm_b32 v71, v53, v52, s33
	s_waitcnt lgkmcnt(2)
	v_mfma_f32_16x16x16_bf16 v[50:53], v[40:41], v[22:23], v[64:67]
	v_perm_b32 v40, v73, v72, s33
	v_perm_b32 v41, v75, v74, s33
	v_or_b32_e32 v58, 0xc0, v58
	v_cvt_pk_f32_fp8_e32 v[64:65], v47
	v_cvt_pk_f32_fp8_sdwa v[46:47], v47 src0_sel:WORD_1
	v_mfma_f32_16x16x16_bf16 v[50:53], v[70:71], v[24:25], v[50:53]
	v_lshl_add_u64 v[34:35], v[34:35], 2, s[8:9]
	v_perm_b32 v64, v65, v64, s33
	v_perm_b32 v65, v47, v46, s33
	s_waitcnt lgkmcnt(1)
	v_mfma_f32_16x16x16_bf16 v[50:53], v[40:41], v[18:19], v[50:53]
	v_ashrrev_i32_e32 v66, 4, v58
	v_cmp_gt_i32_e32 vcc, s7, v58
	v_cvt_pk_f32_fp8_e32 v[46:47], v48
	s_waitcnt vmcnt(6)
	v_cvt_pk_f32_fp8_sdwa v[70:71], v36 src0_sel:WORD_1
	v_cndmask_b32_e32 v40, v63, v66, vcc
	v_mfma_f32_16x16x16_bf16 v[64:67], v[64:65], v[20:21], v[50:53]
	v_ashrrev_i32_e32 v41, 31, v40
	v_lshl_add_u64 v[40:41], v[40:41], 2, s[8:9]
	v_perm_b32 v46, v47, v46, s33
	global_load_dword v53, v[34:35], off
	global_load_dword v63, v[40:41], off
	v_cvt_pk_f32_fp8_sdwa v[50:51], v48 src0_sel:WORD_1
	v_cvt_pk_f32_fp8_e32 v[34:35], v49
	v_cvt_pk_f32_fp8_sdwa v[48:49], v49 src0_sel:WORD_1
	s_add_u32 s46, s10, s12
	v_perm_b32 v47, v51, v50, s33
	v_perm_b32 v34, v35, v34, s33
	;; [unrolled: 1-line block ×3, first 2 shown]
	s_waitcnt lgkmcnt(0)
	v_mfma_f32_16x16x16_bf16 v[46:49], v[46:47], v[14:15], v[64:67]
	v_cvt_pk_f32_fp8_e32 v[50:51], v36
	s_nop 1
	global_load_dword v64, v[68:69], off
	v_cvt_pk_f32_fp8_e32 v[66:67], v37
	s_waitcnt vmcnt(8)
	v_cvt_pk_f32_fp8_e32 v[68:69], v6
	v_perm_b32 v50, v51, v50, s33
	v_perm_b32 v51, v71, v70, s33
	v_cvt_pk_f32_fp8_sdwa v[70:71], v37 src0_sel:WORD_1
	v_perm_b32 v40, v67, v66, s33
	v_mfma_f32_16x16x16_bf16 v[34:37], v[34:35], v[16:17], v[46:49]
	v_cvt_pk_f32_fp8_sdwa v[66:67], v38 src0_sel:WORD_1
	v_perm_b32 v41, v71, v70, s33
	v_cvt_pk_f32_fp8_sdwa v[70:71], v6 src0_sel:WORD_1
	v_mfma_f32_16x16x16_bf16 v[46:49], v[50:51], v[30:31], 0
	v_cvt_pk_f32_fp8_e32 v[50:51], v38
	v_lshl_or_b32 v52, v57, 4, v56
	s_waitcnt vmcnt(6)
	v_cvt_pk_f32_fp8_e32 v[72:73], v43
	v_mfma_f32_16x16x16_bf16 v[46:49], v[40:41], v[32:33], v[46:49]
	v_cvt_pk_f32_fp8_e32 v[40:41], v39
	v_perm_b32 v50, v51, v50, s33
	v_perm_b32 v51, v67, v66, s33
	v_cvt_pk_f32_fp8_sdwa v[38:39], v39 src0_sel:WORD_1
	v_perm_b32 v66, v41, v40, s33
	s_addc_u32 s47, s11, 0
	v_lshlrev_b32_e32 v58, 4, v52
	v_perm_b32 v67, v39, v38, s33
	v_mfma_f32_16x16x16_bf16 v[38:41], v[50:51], v[22:23], v[46:49]
	v_cvt_pk_f32_fp8_sdwa v[50:51], v2 src0_sel:WORD_1
	s_nop 1
	v_perm_b32 v46, v69, v68, s33
	v_perm_b32 v47, v71, v70, s33
	v_cvt_pk_f32_fp8_e32 v[48:49], v7
	v_cvt_pk_f32_fp8_sdwa v[6:7], v7 src0_sel:WORD_1
	v_mfma_f32_16x16x16_bf16 v[38:41], v[66:67], v[24:25], v[38:41]
	v_lshl_add_u64 v[70:71], s[46:47], 0, v[58:59]
	v_perm_b32 v48, v49, v48, s33
	v_perm_b32 v49, v7, v6, s33
	v_mfma_f32_16x16x16_bf16 v[38:41], v[46:47], v[18:19], v[38:41]
	v_cvt_pk_f32_fp8_e32 v[6:7], v8
	v_cvt_pk_f32_fp8_sdwa v[46:47], v8 src0_sel:WORD_1
	v_or_b32_e32 v58, 0x400, v58
	v_mfma_f32_16x16x16_bf16 v[38:41], v[48:49], v[20:21], v[38:41]
	v_cvt_pk_f32_fp8_e32 v[48:49], v9
	v_perm_b32 v6, v7, v6, s33
	v_perm_b32 v7, v47, v46, s33
	v_cvt_pk_f32_fp8_sdwa v[8:9], v9 src0_sel:WORD_1
	v_perm_b32 v46, v49, v48, s33
	v_cvt_pk_f32_fp8_e32 v[48:49], v2
	v_perm_b32 v47, v9, v8, s33
	v_mfma_f32_16x16x16_bf16 v[6:9], v[6:7], v[14:15], v[38:41]
	v_perm_b32 v48, v49, v48, s33
	v_perm_b32 v49, v51, v50, s33
	v_cvt_pk_f32_fp8_e32 v[50:51], v3
	v_cvt_pk_f32_fp8_sdwa v[2:3], v3 src0_sel:WORD_1
	v_mfma_f32_16x16x16_bf16 v[38:41], v[46:47], v[16:17], v[6:9]
	v_perm_b32 v46, v51, v50, s33
	v_perm_b32 v47, v3, v2, s33
	v_mfma_f32_16x16x16_bf16 v[6:9], v[48:49], v[30:31], 0
	v_cvt_pk_f32_fp8_e32 v[2:3], v4
	v_cvt_pk_f32_fp8_sdwa v[48:49], v4 src0_sel:WORD_1
	s_waitcnt vmcnt(3)
	v_mad_i64_i32 v[50:51], s[4:5], v62, s45, v[70:71]
	v_perm_b32 v2, v3, v2, s33
	v_perm_b32 v3, v49, v48, s33
	v_mfma_f32_16x16x16_bf16 v[6:9], v[46:47], v[32:33], v[6:9]
	v_cvt_pk_f32_fp8_e32 v[46:47], v5
	v_cvt_pk_f32_fp8_sdwa v[4:5], v5 src0_sel:WORD_1
	s_waitcnt vmcnt(2)
	v_mad_i64_i32 v[66:67], s[4:5], v53, s45, v[70:71]
	v_perm_b32 v46, v47, v46, s33
	v_perm_b32 v47, v5, v4, s33
	v_mfma_f32_16x16x16_bf16 v[2:5], v[2:3], v[22:23], v[6:9]
	s_nop 2
	v_cvt_pk_f32_fp8_e32 v[6:7], v42
	v_cvt_pk_f32_fp8_sdwa v[8:9], v42 src0_sel:WORD_1
	v_cvt_pk_f32_fp8_sdwa v[42:43], v43 src0_sel:WORD_1
	v_mfma_f32_16x16x16_bf16 v[46:49], v[46:47], v[24:25], v[2:5]
	v_perm_b32 v68, v7, v6, s33
	v_perm_b32 v69, v9, v8, s33
	global_load_dwordx4 v[6:9], v[50:51], off
	global_load_dwordx4 v[2:5], v[66:67], off
	v_perm_b32 v66, v73, v72, s33
	v_perm_b32 v67, v43, v42, s33
	v_mfma_f32_16x16x16_bf16 v[48:51], v[68:69], v[18:19], v[46:49]
	v_cvt_pk_f32_fp8_e32 v[42:43], v44
	v_cvt_pk_f32_fp8_sdwa v[72:73], v44 src0_sel:WORD_1
	s_waitcnt vmcnt(2)
	v_mad_i64_i32 v[46:47], s[4:5], v64, s45, v[70:71]
	v_mfma_f32_16x16x16_bf16 v[66:69], v[66:67], v[20:21], v[48:51]
	v_perm_b32 v42, v43, v42, s33
	v_perm_b32 v43, v73, v72, s33
	v_cvt_pk_f32_fp8_sdwa v[72:73], v26 src0_sel:WORD_1
	v_cvt_pk_f32_fp8_e32 v[50:51], v45
	v_cvt_pk_f32_fp8_sdwa v[44:45], v45 src0_sel:WORD_1
	v_mad_i64_i32 v[48:49], s[4:5], v63, s45, v[70:71]
	v_perm_b32 v50, v51, v50, s33
	v_perm_b32 v51, v45, v44, s33
	v_mfma_f32_16x16x16_bf16 v[42:45], v[42:43], v[14:15], v[66:69]
	v_cvt_pk_f32_fp8_e32 v[70:71], v26
	s_load_dword s4, s[0:1], 0x1c
	s_load_dwordx4 s[40:43], s[0:1], 0x80
	s_load_dword s44, s[0:1], 0x98
	s_waitcnt lgkmcnt(0)
	s_load_dword s5, s[40:41], 0x0
	v_mfma_f32_16x16x16_bf16 v[66:69], v[50:51], v[16:17], v[42:45]
	s_mov_b32 s40, 0xff7fffff
	s_nop 1
	v_cvt_pk_f32_fp8_e32 v[42:43], v27
	v_perm_b32 v44, v71, v70, s33
	v_perm_b32 v45, v73, v72, s33
	v_cvt_pk_f32_fp8_sdwa v[26:27], v27 src0_sel:WORD_1
	v_perm_b32 v50, v43, v42, s33
	v_cvt_pk_f32_fp8_e32 v[70:71], v28
	v_cvt_pk_f32_fp8_sdwa v[72:73], v28 src0_sel:WORD_1
	v_perm_b32 v51, v27, v26, s33
	v_mfma_f32_16x16x16_bf16 v[42:45], v[44:45], v[30:31], 0
	v_perm_b32 v30, v71, v70, s33
	v_perm_b32 v31, v73, v72, s33
	v_cvt_pk_f32_fp8_e32 v[70:71], v29
	v_cvt_pk_f32_fp8_sdwa v[72:73], v29 src0_sel:WORD_1
	v_mfma_f32_16x16x16_bf16 v[26:29], v[50:51], v[32:33], v[42:45]
	v_mov_b32_e32 v32, s4
	s_waitcnt lgkmcnt(0)
	v_mul_f32_e32 v50, s5, v32
	v_pk_mul_f32 v[32:33], v[50:51], v[34:35] op_sel_hi:[0,1]
	v_perm_b32 v42, v71, v70, s33
	v_perm_b32 v43, v73, v72, s33
	v_mfma_f32_16x16x16_bf16 v[26:29], v[30:31], v[22:23], v[26:29]
	v_pk_mul_f32 v[30:31], v[50:51], v[36:37] op_sel_hi:[0,1]
	v_cvt_pk_f32_fp8_e32 v[22:23], v10
	v_cvt_pk_f32_fp8_sdwa v[70:71], v12 src0_sel:WORD_1
	v_mfma_f32_16x16x16_bf16 v[34:37], v[42:43], v[24:25], v[26:29]
	v_cvt_pk_f32_fp8_sdwa v[24:25], v10 src0_sel:WORD_1
	v_perm_b32 v42, v23, v22, s33
	v_pk_mul_f32 v[40:41], v[50:51], v[40:41] op_sel_hi:[0,1]
	v_cvt_pk_f32_fp8_e32 v[26:27], v11
	v_cvt_pk_f32_fp8_sdwa v[10:11], v11 src0_sel:WORD_1
	v_perm_b32 v43, v25, v24, s33
	v_perm_b32 v44, v27, v26, s33
	;; [unrolled: 1-line block ×3, first 2 shown]
	v_cvt_pk_f32_fp8_e32 v[10:11], v12
	v_mfma_f32_16x16x16_bf16 v[34:37], v[42:43], v[18:19], v[34:37]
	global_load_dwordx4 v[26:29], v[46:47], off
	global_load_dwordx4 v[22:25], v[48:49], off
	v_perm_b32 v19, v71, v70, s33
	v_perm_b32 v18, v11, v10, s33
	v_cvt_pk_f32_fp8_e32 v[42:43], v13
	v_cvt_pk_f32_fp8_sdwa v[46:47], v13 src0_sel:WORD_1
	v_mfma_f32_16x16x16_bf16 v[10:13], v[44:45], v[20:21], v[34:37]
	v_pk_mul_f32 v[44:45], v[50:51], v[38:39] op_sel_hi:[0,1]
	v_perm_b32 v20, v43, v42, s33
	v_perm_b32 v21, v47, v46, s33
	v_mfma_f32_16x16x16_bf16 v[10:13], v[18:19], v[14:15], v[10:13]
	v_pk_mul_f32 v[38:39], v[50:51], v[68:69] op_sel_hi:[0,1]
	v_pk_mul_f32 v[42:43], v[50:51], v[66:67] op_sel_hi:[0,1]
	v_mfma_f32_16x16x16_bf16 v[10:13], v[20:21], v[16:17], v[10:13]
	s_nop 6
	v_pk_mul_f32 v[36:37], v[50:51], v[10:11] op_sel_hi:[0,1]
	v_and_b32_e32 v10, 0xc0, v0
	v_add_u32_e32 v10, s18, v10
	v_lshl_or_b32 v10, v60, 2, v10
	v_or_b32_e32 v11, 1, v10
	v_pk_mul_f32 v[34:35], v[50:51], v[12:13] op_sel_hi:[0,1]
	v_subrev_u32_e32 v12, s7, v11
	v_add_u32_e32 v14, 1, v12
	v_add_u32_e32 v15, 2, v12
	v_cvt_f32_i32_e32 v13, v12
	v_cvt_f32_i32_e32 v14, v14
	v_cvt_f32_i32_e32 v15, v15
	v_add_u32_e32 v16, 3, v12
	v_fma_f32 v18, v61, v13, v32
	v_fmac_f32_e32 v33, v61, v14
	v_fma_f32 v48, v61, v15, v30
	v_add_u32_e32 v13, 16, v12
	v_add_u32_e32 v14, 17, v12
	;; [unrolled: 1-line block ×3, first 2 shown]
	v_cvt_f32_i32_e32 v16, v16
	v_cvt_f32_i32_e32 v13, v13
	;; [unrolled: 1-line block ×4, first 2 shown]
	v_fmac_f32_e32 v31, v61, v16
	v_add_u32_e32 v16, 19, v12
	v_fma_f32 v44, v61, v13, v44
	v_fmac_f32_e32 v45, v61, v14
	v_fma_f32 v40, v61, v15, v40
	v_add_u32_e32 v13, 32, v12
	v_add_u32_e32 v14, 33, v12
	;; [unrolled: 1-line block ×3, first 2 shown]
	v_cvt_f32_i32_e32 v16, v16
	v_cvt_f32_i32_e32 v13, v13
	;; [unrolled: 1-line block ×4, first 2 shown]
	v_fmac_f32_e32 v41, v61, v16
	v_add_u32_e32 v16, 35, v12
	v_fma_f32 v42, v61, v13, v42
	v_fmac_f32_e32 v43, v61, v14
	v_fma_f32 v38, v61, v15, v38
	v_add_u32_e32 v13, 48, v12
	v_add_u32_e32 v14, 49, v12
	;; [unrolled: 1-line block ×4, first 2 shown]
	v_cvt_f32_i32_e32 v12, v12
	v_cvt_f32_i32_e32 v13, v13
	;; [unrolled: 1-line block ×3, first 2 shown]
	v_cmp_gt_i32_e64 s[8:9], s7, v10
	v_fmac_f32_e32 v35, v61, v12
	v_mov_b32_e32 v12, 0xff7fffff
	v_cmp_gt_i32_e64 s[10:11], s7, v11
	v_fma_f32 v36, v61, v13, v36
	v_cndmask_b32_e64 v13, v12, v18, s[8:9]
	v_cndmask_b32_e64 v11, v12, v33, s[10:11]
	v_fmac_f32_e32 v37, v61, v14
	v_max3_f32 v11, v13, s40, v11
	v_or_b32_e32 v13, 2, v10
	v_or_b32_e32 v14, 3, v10
	v_cmp_gt_i32_e64 s[12:13], s7, v13
	v_cmp_gt_i32_e64 s[14:15], s7, v14
	v_cvt_f32_i32_e32 v16, v16
	v_cndmask_b32_e64 v13, v12, v48, s[12:13]
	v_cndmask_b32_e64 v14, v12, v31, s[14:15]
	v_max3_f32 v11, v11, v13, v14
	v_or_b32_e32 v13, 16, v10
	v_or_b32_e32 v14, 17, v10
	v_cmp_gt_i32_e64 s[16:17], s7, v13
	v_cmp_gt_i32_e64 s[18:19], s7, v14
	v_fmac_f32_e32 v39, v61, v16
	v_cndmask_b32_e64 v13, v12, v44, s[16:17]
	v_cndmask_b32_e64 v14, v12, v45, s[18:19]
	v_max3_f32 v11, v11, v13, v14
	v_or_b32_e32 v13, 18, v10
	v_or_b32_e32 v14, 19, v10
	v_cmp_gt_i32_e64 s[20:21], s7, v13
	v_cmp_gt_i32_e64 s[22:23], s7, v14
	v_cvt_f32_i32_e32 v15, v15
	v_cndmask_b32_e64 v13, v12, v40, s[20:21]
	v_cndmask_b32_e64 v14, v12, v41, s[22:23]
	v_max3_f32 v11, v11, v13, v14
	v_or_b32_e32 v13, 32, v10
	v_or_b32_e32 v14, 33, v10
	v_cmp_gt_i32_e64 s[24:25], s7, v13
	v_cmp_gt_i32_e64 s[26:27], s7, v14
	v_fma_f32 v34, v61, v15, v34
	v_cndmask_b32_e64 v13, v12, v42, s[24:25]
	v_cndmask_b32_e64 v14, v12, v43, s[26:27]
	v_max3_f32 v11, v11, v13, v14
	v_or_b32_e32 v13, 34, v10
	v_or_b32_e32 v14, 35, v10
	v_cmp_gt_i32_e64 s[28:29], s7, v13
	v_cmp_gt_i32_e64 s[30:31], s7, v14
	s_nop 0
	v_cndmask_b32_e64 v13, v12, v38, s[28:29]
	v_cndmask_b32_e64 v14, v12, v39, s[30:31]
	v_max3_f32 v11, v11, v13, v14
	v_or_b32_e32 v13, 48, v10
	v_or_b32_e32 v14, 49, v10
	v_cmp_gt_i32_e64 s[34:35], s7, v13
	v_cmp_gt_i32_e64 s[36:37], s7, v14
	s_nop 0
	v_cndmask_b32_e64 v13, v12, v36, s[34:35]
	v_cndmask_b32_e64 v14, v12, v37, s[36:37]
	v_max3_f32 v11, v11, v13, v14
	v_or_b32_e32 v13, 50, v10
	v_or_b32_e32 v10, 51, v10
	v_cmp_gt_i32_e32 vcc, s7, v13
	v_cmp_gt_i32_e64 s[4:5], s7, v10
	s_nop 0
	v_cndmask_b32_e32 v13, v12, v34, vcc
	v_cndmask_b32_e64 v10, v12, v35, s[4:5]
	v_max3_f32 v14, v11, v13, v10
	v_mbcnt_lo_u32_b32 v10, -1, 0
	v_mbcnt_hi_u32_b32 v15, -1, v10
	v_and_b32_e32 v10, 64, v15
	v_add_u32_e32 v16, 64, v10
	v_xor_b32_e32 v10, 32, v15
	v_cmp_lt_i32_e64 s[38:39], v10, v16
	s_nop 1
	v_cndmask_b32_e64 v10, v15, v10, s[38:39]
	v_lshlrev_b32_e32 v51, 2, v10
	ds_bpermute_b32 v17, v51, v14
	v_lshl_add_u64 v[10:11], s[46:47], 0, v[58:59]
	v_mad_i64_i32 v[12:13], s[38:39], v62, s45, v[10:11]
	s_waitcnt lgkmcnt(0)
	v_max_f32_e32 v17, v17, v17
	v_max_f32_e32 v19, v14, v17
	v_xor_b32_e32 v14, 16, v15
	v_cmp_lt_i32_e64 s[38:39], v14, v16
	s_nop 1
	v_cndmask_b32_e64 v14, v15, v14, s[38:39]
	v_lshlrev_b32_e32 v58, 2, v14
	ds_bpermute_b32 v20, v58, v19
	v_mad_i64_i32 v[14:15], s[38:39], v53, s45, v[10:11]
	v_mad_i64_i32 v[16:17], s[38:39], v64, s45, v[10:11]
	s_waitcnt lgkmcnt(0)
	v_max_f32_e32 v20, v20, v20
	v_max_f32_e32 v50, v19, v20
	v_sub_f32_e32 v18, v18, v50
	v_sub_f32_e32 v19, v33, v50
	v_mul_f32_e32 v18, 0x3fb8aa3b, v18
	v_mul_f32_e32 v19, 0x3fb8aa3b, v19
	v_exp_f32_e32 v18, v18
	v_exp_f32_e32 v19, v19
	v_sub_f32_e32 v49, v31, v50
	v_mad_i64_i32 v[10:11], s[38:39], v63, s45, v[10:11]
	v_cndmask_b32_e64 v46, 0, v18, s[8:9]
	v_cndmask_b32_e64 v47, 0, v19, s[10:11]
	global_load_dwordx4 v[30:33], v[12:13], off
	global_load_dwordx4 v[18:21], v[14:15], off
	v_sub_f32_e32 v12, v48, v50
	v_mul_f32_e32 v12, 0x3fb8aa3b, v12
	v_exp_f32_e32 v48, v12
	global_load_dwordx4 v[14:17], v[16:17], off
	s_nop 0
	global_load_dwordx4 v[10:13], v[10:11], off
	v_sub_f32_e32 v40, v40, v50
	v_sub_f32_e32 v42, v42, v50
	v_mul_f32_e32 v40, 0x3fb8aa3b, v40
	v_mul_f32_e32 v42, 0x3fb8aa3b, v42
	v_exp_f32_e32 v40, v40
	v_exp_f32_e32 v53, v42
	v_mul_f32_e32 v49, 0x3fb8aa3b, v49
	v_sub_f32_e32 v44, v44, v50
	v_exp_f32_e32 v49, v49
	v_mul_f32_e32 v44, 0x3fb8aa3b, v44
	v_sub_f32_e32 v45, v45, v50
	v_sub_f32_e32 v42, v43, v50
	v_exp_f32_e32 v44, v44
	v_mul_f32_e32 v45, 0x3fb8aa3b, v45
	v_mul_f32_e32 v42, 0x3fb8aa3b, v42
	v_exp_f32_e32 v45, v45
	v_sub_f32_e32 v41, v41, v50
	v_exp_f32_e32 v59, v42
	v_cndmask_b32_e64 v42, 0, v40, s[20:21]
	v_cndmask_b32_e64 v40, 0, v53, s[24:25]
	v_add_f32_e32 v53, 0, v46
	v_cndmask_b32_e64 v48, 0, v48, s[12:13]
	v_mul_f32_e32 v41, 0x3fb8aa3b, v41
	v_add_f32_e32 v53, v53, v47
	v_cndmask_b32_e64 v49, 0, v49, s[14:15]
	v_exp_f32_e32 v41, v41
	v_add_f32_e32 v53, v53, v48
	v_cndmask_b32_e64 v44, 0, v44, s[16:17]
	v_sub_f32_e32 v38, v38, v50
	v_add_f32_e32 v53, v53, v49
	v_cndmask_b32_e64 v45, 0, v45, s[18:19]
	v_sub_f32_e32 v39, v39, v50
	v_mul_f32_e32 v38, 0x3fb8aa3b, v38
	v_add_f32_e32 v53, v53, v44
	v_exp_f32_e32 v38, v38
	v_mul_f32_e32 v39, 0x3fb8aa3b, v39
	v_sub_f32_e32 v36, v36, v50
	v_add_f32_e32 v53, v53, v45
	v_cndmask_b32_e64 v43, 0, v41, s[22:23]
	v_exp_f32_e32 v39, v39
	v_mul_f32_e32 v36, 0x3fb8aa3b, v36
	v_sub_f32_e32 v37, v37, v50
	v_add_f32_e32 v53, v53, v42
	v_exp_f32_e32 v36, v36
	v_mul_f32_e32 v37, 0x3fb8aa3b, v37
	v_add_f32_e32 v53, v53, v43
	v_sub_f32_e32 v34, v34, v50
	v_cndmask_b32_e64 v41, 0, v59, s[26:27]
	v_exp_f32_e32 v37, v37
	v_add_f32_e32 v53, v53, v40
	v_mul_f32_e32 v34, 0x3fb8aa3b, v34
	v_sub_f32_e32 v35, v35, v50
	v_cndmask_b32_e64 v38, 0, v38, s[28:29]
	v_add_f32_e32 v53, v53, v41
	v_exp_f32_e32 v34, v34
	v_mul_f32_e32 v35, 0x3fb8aa3b, v35
	v_cndmask_b32_e64 v39, 0, v39, s[30:31]
	v_add_f32_e32 v53, v53, v38
	v_exp_f32_e32 v35, v35
	v_cndmask_b32_e64 v36, 0, v36, s[34:35]
	v_add_f32_e32 v53, v53, v39
	v_cndmask_b32_e64 v37, 0, v37, s[36:37]
	v_add_f32_e32 v53, v53, v36
	v_add_f32_e32 v53, v53, v37
	v_cndmask_b32_e32 v34, 0, v34, vcc
	v_add_f32_e32 v53, v53, v34
	v_cndmask_b32_e64 v35, 0, v35, s[4:5]
	v_add_f32_e32 v53, v53, v35
	ds_bpermute_b32 v51, v51, v53
	v_cmp_gt_u32_e32 vcc, 16, v55
	s_waitcnt lgkmcnt(0)
	s_barrier
	v_add_f32_e32 v51, v53, v51
	ds_bpermute_b32 v53, v58, v51
	s_and_saveexec_b64 s[4:5], vcc
	s_cbranch_execz .LBB1297_15
; %bb.14:
	s_waitcnt lgkmcnt(0)
	v_add_f32_e32 v51, v51, v53
	v_lshlrev_b32_e32 v52, 2, v52
	ds_write2st64_b32 v52, v50, v51 offset1:1
.LBB1297_15:
	s_or_b64 exec, exec, s[4:5]
	v_lshlrev_b32_e32 v51, 2, v56
	s_load_dword s7, s[0:1], 0x94
	s_waitcnt lgkmcnt(0)
	s_barrier
	ds_read2_b32 v[52:53], v51 offset1:16
	ds_read2_b32 v[58:59], v51 offset0:32 offset1:48
	ds_read2_b32 v[62:63], v51 offset0:64 offset1:80
	s_movk_i32 s9, 0x7fff
	s_mul_i32 s8, s44, 10
	s_waitcnt lgkmcnt(2)
	v_max3_f32 v50, v52, s40, v53
	s_waitcnt lgkmcnt(1)
	v_max3_f32 v50, v50, v58, v59
	v_sub_f32_e32 v52, v52, v50
	v_mul_f32_e32 v52, 0x3fb8aa3b, v52
	v_exp_f32_e32 v55, v52
	v_sub_f32_e32 v52, v53, v50
	v_mul_f32_e32 v52, 0x3fb8aa3b, v52
	v_exp_f32_e32 v61, v52
	;; [unrolled: 3-line block ×3, first 2 shown]
	ds_read2_b32 v[52:53], v51 offset0:96 offset1:112
	v_sub_f32_e32 v51, v59, v50
	v_mul_f32_e32 v51, 0x3fb8aa3b, v51
	v_exp_f32_e32 v59, v51
	s_waitcnt lgkmcnt(1)
	v_fma_f32 v51, v55, v62, 0
	v_fmac_f32_e32 v51, v61, v63
	s_waitcnt lgkmcnt(0)
	v_fmac_f32_e32 v51, v58, v52
	v_fmac_f32_e32 v51, v59, v53
	v_add_f32_e32 v52, 0x358637bd, v51
	v_div_scale_f32 v53, s[4:5], v52, v52, 1.0
	v_rcp_f32_e32 v62, v53
	s_barrier
	v_fma_f32 v63, -v53, v62, 1.0
	v_fmac_f32_e32 v62, v63, v62
	v_div_scale_f32 v63, vcc, 1.0, v52, 1.0
	v_mul_f32_e32 v64, v63, v62
	v_fma_f32 v65, -v53, v64, v63
	v_fmac_f32_e32 v64, v65, v62
	v_fma_f32 v53, -v53, v64, v63
	v_div_fmas_f32 v53, v53, v62, v64
	v_cmp_eq_u32_e32 vcc, 1, v57
	v_div_fixup_f32 v52, v53, v52, 1.0
	s_nop 0
	v_cndmask_b32_e32 v53, v55, v61, vcc
	v_cmp_eq_u32_e32 vcc, 2, v57
	s_nop 1
	v_cndmask_b32_e32 v53, v53, v58, vcc
	v_cmp_eq_u32_e32 vcc, 3, v57
	s_nop 1
	v_cndmask_b32_e32 v53, v53, v59, vcc
	v_mul_f32_e32 v52, v53, v52
	v_pk_mul_f32 v[46:47], v[52:53], v[46:47] op_sel_hi:[0,1]
	v_pk_mul_f32 v[48:49], v[52:53], v[48:49] op_sel_hi:[0,1]
	v_bfe_u32 v53, v47, 16, 1
	v_bfe_u32 v55, v46, 16, 1
	v_add3_u32 v46, v46, v55, s9
	v_add3_u32 v47, v47, v53, s9
	v_perm_b32 v58, v47, v46, s33
	v_bfe_u32 v46, v49, 16, 1
	v_bfe_u32 v47, v48, 16, 1
	v_add3_u32 v47, v48, v47, s9
	v_add3_u32 v46, v49, v46, s9
	v_perm_b32 v59, v46, v47, s33
	v_lshlrev_b32_e32 v47, 3, v60
	v_lshlrev_b32_e32 v46, 5, v56
	;; [unrolled: 1-line block ×3, first 2 shown]
	v_pk_mul_f32 v[44:45], v[52:53], v[44:45] op_sel_hi:[0,1]
	v_or3_b32 v55, v48, v46, v47
	v_bfe_u32 v47, v45, 16, 1
	v_bfe_u32 v48, v44, 16, 1
	v_pk_mul_f32 v[42:43], v[52:53], v[42:43] op_sel_hi:[0,1]
	v_add3_u32 v44, v44, v48, s9
	v_add3_u32 v45, v45, v47, s9
	v_perm_b32 v44, v45, v44, s33
	v_bfe_u32 v45, v43, 16, 1
	v_bfe_u32 v47, v42, 16, 1
	v_add3_u32 v42, v42, v47, s9
	v_add3_u32 v43, v43, v45, s9
	v_pk_mul_f32 v[40:41], v[52:53], v[40:41] op_sel_hi:[0,1]
	v_perm_b32 v45, v43, v42, s33
	v_bfe_u32 v42, v41, 16, 1
	v_bfe_u32 v43, v40, 16, 1
	v_pk_mul_f32 v[38:39], v[52:53], v[38:39] op_sel_hi:[0,1]
	v_add3_u32 v40, v40, v43, s9
	v_add3_u32 v41, v41, v42, s9
	v_perm_b32 v40, v41, v40, s33
	v_bfe_u32 v41, v39, 16, 1
	v_bfe_u32 v42, v38, 16, 1
	v_add3_u32 v38, v38, v42, s9
	v_add3_u32 v39, v39, v41, s9
	v_pk_mul_f32 v[36:37], v[52:53], v[36:37] op_sel_hi:[0,1]
	v_perm_b32 v41, v39, v38, s33
	v_bfe_u32 v38, v37, 16, 1
	v_bfe_u32 v39, v36, 16, 1
	v_pk_mul_f32 v[34:35], v[52:53], v[34:35] op_sel_hi:[0,1]
	v_add3_u32 v36, v36, v39, s9
	v_add3_u32 v37, v37, v38, s9
	v_perm_b32 v36, v37, v36, s33
	v_bfe_u32 v37, v35, 16, 1
	v_bfe_u32 v38, v34, 16, 1
	v_add3_u32 v34, v34, v38, s9
	v_add3_u32 v35, v35, v37, s9
	v_perm_b32 v37, v35, v34, s33
	v_cmp_gt_u32_e32 vcc, 10, v0
	ds_write2st64_b64 v55, v[58:59], v[44:45] offset1:1
	ds_write2st64_b64 v55, v[40:41], v[36:37] offset0:2 offset1:3
	s_and_saveexec_b64 s[4:5], vcc
	s_cbranch_execz .LBB1297_17
; %bb.16:
	s_mov_b32 s49, 0
	v_mov_b32_e32 v57, 0
	v_lshl_add_u64 v[34:35], s[48:49], 0, v[56:57]
	v_mov_b32_e32 v36, s8
	v_mad_u64_u32 v[34:35], s[10:11], s2, v36, v[34:35]
	s_mul_i32 s3, s3, s8
	v_mov_b32_e32 v36, s6
	v_mov_b32_e32 v37, v57
	s_load_dwordx4 s[12:15], s[0:1], 0x58
	v_add_u32_e32 v38, s3, v35
	v_mad_u64_u32 v[34:35], s[10:11], v34, s7, v[36:37]
	v_mov_b32_e32 v36, v35
	v_mad_u64_u32 v[36:37], s[10:11], v38, s7, v[36:37]
	v_mov_b32_e32 v35, v36
	v_lshlrev_b64 v[34:35], 2, v[34:35]
	s_waitcnt lgkmcnt(0)
	v_lshl_add_u64 v[36:37], s[14:15], 0, v[34:35]
	v_lshl_add_u64 v[34:35], s[12:13], 0, v[34:35]
	global_store_dword v[36:37], v50, off
	global_store_dword v[34:35], v51, off
.LBB1297_17:
	s_or_b64 exec, exec, s[4:5]
	s_waitcnt vmcnt(7)
	v_cvt_pk_f32_fp8_e32 v[34:35], v6
	v_cvt_pk_f32_fp8_sdwa v[36:37], v6 src0_sel:WORD_1
	v_lshl_or_b32 v50, v60, 9, v46
	s_mov_b32 s5, 0x7060302
	s_waitcnt lgkmcnt(0)
	s_barrier
	v_cvt_pk_f32_fp8_e32 v[38:39], v7
	v_perm_b32 v6, v35, v34, s5
	v_cvt_pk_f32_fp8_sdwa v[40:41], v7 src0_sel:WORD_1
	v_perm_b32 v7, v37, v36, s5
	ds_read_b128 v[34:37], v50
	v_perm_b32 v46, v39, v38, s5
	v_perm_b32 v47, v41, v40, s5
	ds_read_b128 v[38:41], v50 offset:16
	v_cvt_pk_f32_fp8_e32 v[48:49], v8
	v_cvt_pk_f32_fp8_sdwa v[52:53], v8 src0_sel:WORD_1
	s_waitcnt lgkmcnt(1)
	v_mfma_f32_16x16x16_bf16 v[42:45], v[6:7], v[34:35], 0
	s_waitcnt vmcnt(6)
	v_cvt_pk_f32_fp8_e32 v[58:59], v4
	v_perm_b32 v6, v49, v48, s5
	v_perm_b32 v7, v53, v52, s5
	v_cvt_pk_f32_fp8_e32 v[48:49], v9
	v_mfma_f32_16x16x16_bf16 v[42:45], v[46:47], v[36:37], v[42:45]
	v_cvt_pk_f32_fp8_sdwa v[46:47], v9 src0_sel:WORD_1
	v_cvt_pk_f32_fp8_sdwa v[62:63], v4 src0_sel:WORD_1
	v_perm_b32 v48, v49, v48, s5
	s_waitcnt lgkmcnt(0)
	v_mfma_f32_16x16x16_bf16 v[6:9], v[6:7], v[38:39], v[42:45]
	v_perm_b32 v49, v47, v46, s5
	s_waitcnt vmcnt(5)
	v_cvt_pk_f32_fp8_sdwa v[66:67], v28 src0_sel:WORD_1
	s_waitcnt vmcnt(4)
	v_cvt_pk_f32_fp8_sdwa v[68:69], v24 src0_sel:WORD_1
	v_cvt_pk_f32_fp8_e32 v[42:43], v2
	v_mfma_f32_16x16x16_bf16 v[46:49], v[48:49], v[40:41], v[6:9]
	s_load_dword s4, s[42:43], 0x0
	s_waitcnt vmcnt(3)
	v_cvt_pk_f32_fp8_sdwa v[70:71], v32 src0_sel:WORD_1
	v_cvt_pk_f32_fp8_sdwa v[6:7], v2 src0_sel:WORD_1
	v_cvt_pk_f32_fp8_e32 v[8:9], v3
	v_perm_b32 v2, v43, v42, s5
	v_cvt_pk_f32_fp8_sdwa v[42:43], v3 src0_sel:WORD_1
	v_perm_b32 v3, v7, v6, s5
	v_perm_b32 v52, v9, v8, s5
	ds_read_b128 v[6:9], v50 offset:2048
	v_perm_b32 v53, v43, v42, s5
	ds_read_b128 v[42:45], v50 offset:2064
	s_waitcnt lgkmcnt(0)
	v_mfma_f32_16x16x16_bf16 v[46:49], v[2:3], v[6:7], v[46:49]
	v_perm_b32 v2, v59, v58, s5
	v_perm_b32 v3, v63, v62, s5
	v_cvt_pk_f32_fp8_e32 v[58:59], v5
	v_mfma_f32_16x16x16_bf16 v[46:49], v[52:53], v[8:9], v[46:49]
	v_cvt_pk_f32_fp8_sdwa v[52:53], v5 src0_sel:WORD_1
	s_mov_b32 s3, 0
	v_perm_b32 v58, v59, v58, s5
	v_mfma_f32_16x16x16_bf16 v[2:5], v[2:3], v[42:43], v[46:49]
	v_perm_b32 v59, v53, v52, s5
	v_cmp_gt_u32_e32 vcc, 64, v0
	s_nop 0
	v_cvt_pk_f32_fp8_e32 v[46:47], v26
	v_mfma_f32_16x16x16_bf16 v[62:65], v[58:59], v[44:45], v[2:5]
	v_cvt_pk_f32_fp8_e32 v[58:59], v28
	s_nop 1
	v_cvt_pk_f32_fp8_sdwa v[2:3], v26 src0_sel:WORD_1
	v_cvt_pk_f32_fp8_e32 v[4:5], v27
	v_perm_b32 v26, v47, v46, s5
	v_cvt_pk_f32_fp8_sdwa v[46:47], v27 src0_sel:WORD_1
	v_perm_b32 v27, v3, v2, s5
	v_perm_b32 v52, v5, v4, s5
	ds_read_b128 v[2:5], v50 offset:4096
	v_perm_b32 v53, v47, v46, s5
	ds_read_b128 v[46:49], v50 offset:4112
	s_waitcnt lgkmcnt(1)
	v_mfma_f32_16x16x16_bf16 v[62:65], v[26:27], v[2:3], v[62:65]
	v_perm_b32 v26, v59, v58, s5
	v_perm_b32 v27, v67, v66, s5
	v_cvt_pk_f32_fp8_e32 v[58:59], v29
	v_mfma_f32_16x16x16_bf16 v[62:65], v[52:53], v[4:5], v[62:65]
	v_cvt_pk_f32_fp8_sdwa v[52:53], v29 src0_sel:WORD_1
	v_cvt_pk_f32_fp8_e32 v[66:67], v24
	v_perm_b32 v58, v59, v58, s5
	s_waitcnt lgkmcnt(0)
	v_mfma_f32_16x16x16_bf16 v[26:29], v[26:27], v[46:47], v[62:65]
	v_perm_b32 v59, v53, v52, s5
	v_cvt_pk_f32_fp8_e32 v[52:53], v22
	s_nop 0
	v_mfma_f32_16x16x16_bf16 v[62:65], v[58:59], v[48:49], v[26:29]
	s_nop 2
	v_cvt_pk_f32_fp8_sdwa v[26:27], v22 src0_sel:WORD_1
	v_cvt_pk_f32_fp8_e32 v[28:29], v23
	v_perm_b32 v22, v53, v52, s5
	v_cvt_pk_f32_fp8_sdwa v[52:53], v23 src0_sel:WORD_1
	v_perm_b32 v23, v27, v26, s5
	v_perm_b32 v58, v29, v28, s5
	ds_read_b128 v[26:29], v50 offset:6144
	v_perm_b32 v59, v53, v52, s5
	s_waitcnt lgkmcnt(0)
	v_mfma_f32_16x16x16_bf16 v[62:65], v[22:23], v[26:27], v[62:65]
	ds_read_b128 v[50:53], v50 offset:6160
	v_perm_b32 v22, v67, v66, s5
	v_perm_b32 v23, v69, v68, s5
	v_cvt_pk_f32_fp8_e32 v[66:67], v25
	v_mfma_f32_16x16x16_bf16 v[62:65], v[58:59], v[28:29], v[62:65]
	v_cvt_pk_f32_fp8_sdwa v[58:59], v25 src0_sel:WORD_1
	v_cvt_pk_f32_fp8_e32 v[68:69], v32
	v_perm_b32 v66, v67, v66, s5
	s_waitcnt lgkmcnt(0)
	v_mfma_f32_16x16x16_bf16 v[22:25], v[22:23], v[50:51], v[62:65]
	v_perm_b32 v67, v59, v58, s5
	v_cvt_pk_f32_fp8_sdwa v[58:59], v30 src0_sel:WORD_1
	s_nop 0
	v_mfma_f32_16x16x16_bf16 v[62:65], v[66:67], v[52:53], v[22:25]
	s_barrier
	s_nop 1
	v_cvt_pk_f32_fp8_e32 v[24:25], v30
	s_nop 2
	v_pk_mul_f32 v[66:67], v[62:63], s[4:5] op_sel_hi:[1,0]
	v_cvt_pk_f32_fp8_e32 v[62:63], v31
	v_perm_b32 v24, v25, v24, s5
	v_perm_b32 v25, v59, v58, s5
	v_cvt_pk_f32_fp8_sdwa v[30:31], v31 src0_sel:WORD_1
	v_perm_b32 v58, v63, v62, s5
	v_pk_mul_f32 v[22:23], v[64:65], s[4:5] op_sel_hi:[1,0]
	v_mfma_f32_16x16x16_bf16 v[62:65], v[24:25], v[34:35], 0
	v_perm_b32 v59, v31, v30, s5
	v_perm_b32 v24, v69, v68, s5
	;; [unrolled: 1-line block ×3, first 2 shown]
	v_cvt_pk_f32_fp8_e32 v[34:35], v33
	v_cvt_pk_f32_fp8_sdwa v[68:69], v33 src0_sel:WORD_1
	v_mfma_f32_16x16x16_bf16 v[30:33], v[58:59], v[36:37], v[62:65]
	s_waitcnt vmcnt(2)
	v_cvt_pk_f32_fp8_sdwa v[36:37], v18 src0_sel:WORD_1
	v_perm_b32 v34, v35, v34, s5
	v_perm_b32 v35, v69, v68, s5
	v_mfma_f32_16x16x16_bf16 v[30:33], v[24:25], v[38:39], v[30:33]
	v_cvt_pk_f32_fp8_e32 v[24:25], v18
	v_cvt_pk_f32_fp8_sdwa v[38:39], v20 src0_sel:WORD_1
	v_bfe_u32 v57, v67, 16, 1
	v_mfma_f32_16x16x16_bf16 v[30:33], v[34:35], v[40:41], v[30:33]
	v_cvt_pk_f32_fp8_e32 v[34:35], v19
	v_perm_b32 v24, v25, v24, s5
	v_perm_b32 v25, v37, v36, s5
	v_cvt_pk_f32_fp8_sdwa v[18:19], v19 src0_sel:WORD_1
	v_perm_b32 v34, v35, v34, s5
	v_cvt_pk_f32_fp8_e32 v[36:37], v20
	v_mfma_f32_16x16x16_bf16 v[30:33], v[24:25], v[6:7], v[30:33]
	v_perm_b32 v35, v19, v18, s5
	v_perm_b32 v18, v37, v36, s5
	;; [unrolled: 1-line block ×3, first 2 shown]
	v_cvt_pk_f32_fp8_e32 v[24:25], v21
	v_cvt_pk_f32_fp8_sdwa v[20:21], v21 src0_sel:WORD_1
	v_mfma_f32_16x16x16_bf16 v[6:9], v[34:35], v[8:9], v[30:33]
	v_bfe_u32 v58, v66, 16, 1
	v_perm_b32 v24, v25, v24, s5
	v_perm_b32 v25, v21, v20, s5
	v_mfma_f32_16x16x16_bf16 v[6:9], v[18:19], v[42:43], v[6:9]
	s_waitcnt vmcnt(1)
	v_cvt_pk_f32_fp8_e32 v[18:19], v14
	v_cvt_pk_f32_fp8_sdwa v[20:21], v14 src0_sel:WORD_1
	v_cvt_pk_f32_fp8_sdwa v[30:31], v16 src0_sel:WORD_1
	v_mfma_f32_16x16x16_bf16 v[6:9], v[24:25], v[44:45], v[6:9]
	v_cvt_pk_f32_fp8_e32 v[24:25], v15
	v_perm_b32 v18, v19, v18, s5
	v_perm_b32 v19, v21, v20, s5
	v_cvt_pk_f32_fp8_sdwa v[14:15], v15 src0_sel:WORD_1
	v_perm_b32 v20, v25, v24, s5
	v_cvt_pk_f32_fp8_e32 v[24:25], v16
	v_mfma_f32_16x16x16_bf16 v[6:9], v[18:19], v[2:3], v[6:9]
	v_perm_b32 v21, v15, v14, s5
	v_perm_b32 v14, v25, v24, s5
	;; [unrolled: 1-line block ×3, first 2 shown]
	v_cvt_pk_f32_fp8_e32 v[18:19], v17
	v_cvt_pk_f32_fp8_sdwa v[16:17], v17 src0_sel:WORD_1
	v_mfma_f32_16x16x16_bf16 v[2:5], v[20:21], v[4:5], v[6:9]
	v_add3_u32 v32, v66, v58, s9
	v_add3_u32 v33, v67, v57, s9
	s_nop 0
	v_perm_b32 v8, v19, v18, s5
	v_perm_b32 v9, v17, v16, s5
	v_mfma_f32_16x16x16_bf16 v[2:5], v[14:15], v[46:47], v[2:5]
	s_waitcnt vmcnt(0)
	v_cvt_pk_f32_fp8_e32 v[14:15], v10
	v_cvt_pk_f32_fp8_sdwa v[16:17], v10 src0_sel:WORD_1
	v_cvt_pk_f32_fp8_sdwa v[18:19], v12 src0_sel:WORD_1
	v_mfma_f32_16x16x16_bf16 v[2:5], v[8:9], v[48:49], v[2:5]
	v_cvt_pk_f32_fp8_e32 v[8:9], v11
	v_perm_b32 v14, v15, v14, s5
	v_perm_b32 v15, v17, v16, s5
	v_cvt_pk_f32_fp8_sdwa v[10:11], v11 src0_sel:WORD_1
	v_perm_b32 v8, v9, v8, s5
	v_cvt_pk_f32_fp8_e32 v[16:17], v12
	v_mfma_f32_16x16x16_bf16 v[2:5], v[14:15], v[26:27], v[2:5]
	v_perm_b32 v9, v11, v10, s5
	v_perm_b32 v10, v17, v16, s5
	;; [unrolled: 1-line block ×3, first 2 shown]
	v_cvt_pk_f32_fp8_e32 v[14:15], v13
	v_cvt_pk_f32_fp8_sdwa v[12:13], v13 src0_sel:WORD_1
	v_mfma_f32_16x16x16_bf16 v[2:5], v[8:9], v[28:29], v[2:5]
	v_bfe_u32 v7, v23, 16, 1
	v_perm_b32 v8, v15, v14, s5
	v_perm_b32 v9, v13, v12, s5
	v_mfma_f32_16x16x16_bf16 v[2:5], v[10:11], v[50:51], v[2:5]
	v_bfe_u32 v16, v22, 16, 1
	v_add3_u32 v10, v22, v16, s9
	v_add3_u32 v7, v23, v7, s9
	v_mfma_f32_16x16x16_bf16 v[2:5], v[8:9], v[52:53], v[2:5]
	v_perm_b32 v6, v33, v32, s5
	v_perm_b32 v7, v7, v10, s5
	s_nop 4
	v_pk_mul_f32 v[2:3], v[2:3], s[4:5] op_sel_hi:[1,0]
	v_pk_mul_f32 v[4:5], v[4:5], s[4:5] op_sel_hi:[1,0]
	v_bfe_u32 v8, v3, 16, 1
	v_bfe_u32 v9, v2, 16, 1
	v_add3_u32 v2, v2, v9, s9
	v_add3_u32 v3, v3, v8, s9
	v_perm_b32 v2, v3, v2, s5
	v_bfe_u32 v3, v5, 16, 1
	v_bfe_u32 v8, v4, 16, 1
	v_add3_u32 v4, v4, v8, s9
	v_add3_u32 v3, v5, v3, s9
	v_perm_b32 v3, v3, v4, s5
	ds_write2st64_b64 v55, v[6:7], v[2:3] offset1:1
	s_waitcnt lgkmcnt(0)
	s_barrier
	s_and_saveexec_b64 s[4:5], vcc
	s_cbranch_execz .LBB1297_20
; %bb.18:
	s_load_dwordx2 s[4:5], s[0:1], 0x68
	s_lshl_b32 s0, s7, 7
	s_mul_i32 s1, s8, s2
	v_lshlrev_b32_e32 v3, 6, v56
	s_mul_hi_u32 s9, s1, s0
	s_mul_i32 s8, s1, s0
	v_lshl_or_b32 v0, v0, 10, v3
	s_lshl_b64 s[8:9], s[8:9], 1
	v_lshlrev_b32_e32 v2, 5, v60
	v_and_b32_e32 v1, 16, v1
	v_and_b32_e32 v0, 0x1a00, v0
	s_waitcnt lgkmcnt(0)
	s_add_u32 s1, s4, s8
	v_or3_b32 v2, v0, v2, v1
	s_addc_u32 s4, s5, s9
	s_lshl_b32 s2, s6, 7
	s_lshl_b64 s[2:3], s[2:3], 1
	ds_read_b128 v[4:7], v2 offset:128
	ds_read_b128 v[8:11], v2
	s_add_u32 s2, s1, s2
	s_addc_u32 s3, s4, s3
	v_mov_b32_e32 v55, 0
	v_add_u32_e32 v14, s48, v60
	v_lshl_add_u64 v[0:1], s[2:3], 0, v[54:55]
	v_mad_u64_u32 v[12:13], s[2:3], v14, s0, 0
	v_lshl_add_u64 v[12:13], v[12:13], 1, v[0:1]
	s_waitcnt lgkmcnt(0)
	global_store_dwordx4 v[12:13], v[8:11], off
	v_or_b32_e32 v3, 8, v60
	v_cmp_gt_u32_e32 vcc, 10, v3
	v_add_u32_e32 v8, 4, v14
	v_mad_u64_u32 v[8:9], s[2:3], v8, s0, 0
	v_lshl_add_u64 v[8:9], v[8:9], 1, v[0:1]
	global_store_dwordx4 v[8:9], v[4:7], off
	s_and_b64 exec, exec, vcc
	s_cbranch_execz .LBB1297_20
; %bb.19:
	ds_read_b128 v[4:7], v2 offset:256
	v_add_u32_e32 v2, s48, v3
	v_mad_u64_u32 v[2:3], s[0:1], v2, s0, 0
	v_lshl_add_u64 v[0:1], v[2:3], 1, v[0:1]
	s_waitcnt lgkmcnt(0)
	global_store_dwordx4 v[0:1], v[4:7], off
.LBB1297_20:
	s_endpgm
	.section	.rodata,"a",@progbits
	.p2align	6, 0x0
	.amdhsa_kernel _Z39paged_attention_ll4mi_QKV_mfma16_kernelI14__hip_bfloat16hLN4vllm18Fp8KVCacheDataTypeE1ES0_Li16ELi128ELi256ELb1ELi10EEvPKT_PKT0_S8_ifPKiSA_SA_iPKfiiiPfSD_PS3_PT2_iSC_SC_
		.amdhsa_group_segment_fixed_size 8192
		.amdhsa_private_segment_fixed_size 0
		.amdhsa_kernarg_size 400
		.amdhsa_user_sgpr_count 2
		.amdhsa_user_sgpr_dispatch_ptr 0
		.amdhsa_user_sgpr_queue_ptr 0
		.amdhsa_user_sgpr_kernarg_segment_ptr 1
		.amdhsa_user_sgpr_dispatch_id 0
		.amdhsa_user_sgpr_kernarg_preload_length 0
		.amdhsa_user_sgpr_kernarg_preload_offset 0
		.amdhsa_user_sgpr_private_segment_size 0
		.amdhsa_uses_dynamic_stack 0
		.amdhsa_enable_private_segment 0
		.amdhsa_system_sgpr_workgroup_id_x 1
		.amdhsa_system_sgpr_workgroup_id_y 1
		.amdhsa_system_sgpr_workgroup_id_z 1
		.amdhsa_system_sgpr_workgroup_info 0
		.amdhsa_system_vgpr_workitem_id 0
		.amdhsa_next_free_vgpr 76
		.amdhsa_next_free_sgpr 50
		.amdhsa_accum_offset 76
		.amdhsa_reserve_vcc 1
		.amdhsa_float_round_mode_32 0
		.amdhsa_float_round_mode_16_64 0
		.amdhsa_float_denorm_mode_32 3
		.amdhsa_float_denorm_mode_16_64 3
		.amdhsa_dx10_clamp 1
		.amdhsa_ieee_mode 1
		.amdhsa_fp16_overflow 0
		.amdhsa_tg_split 0
		.amdhsa_exception_fp_ieee_invalid_op 0
		.amdhsa_exception_fp_denorm_src 0
		.amdhsa_exception_fp_ieee_div_zero 0
		.amdhsa_exception_fp_ieee_overflow 0
		.amdhsa_exception_fp_ieee_underflow 0
		.amdhsa_exception_fp_ieee_inexact 0
		.amdhsa_exception_int_div_zero 0
	.end_amdhsa_kernel
	.section	.text._Z39paged_attention_ll4mi_QKV_mfma16_kernelI14__hip_bfloat16hLN4vllm18Fp8KVCacheDataTypeE1ES0_Li16ELi128ELi256ELb1ELi10EEvPKT_PKT0_S8_ifPKiSA_SA_iPKfiiiPfSD_PS3_PT2_iSC_SC_,"axG",@progbits,_Z39paged_attention_ll4mi_QKV_mfma16_kernelI14__hip_bfloat16hLN4vllm18Fp8KVCacheDataTypeE1ES0_Li16ELi128ELi256ELb1ELi10EEvPKT_PKT0_S8_ifPKiSA_SA_iPKfiiiPfSD_PS3_PT2_iSC_SC_,comdat
.Lfunc_end1297:
	.size	_Z39paged_attention_ll4mi_QKV_mfma16_kernelI14__hip_bfloat16hLN4vllm18Fp8KVCacheDataTypeE1ES0_Li16ELi128ELi256ELb1ELi10EEvPKT_PKT0_S8_ifPKiSA_SA_iPKfiiiPfSD_PS3_PT2_iSC_SC_, .Lfunc_end1297-_Z39paged_attention_ll4mi_QKV_mfma16_kernelI14__hip_bfloat16hLN4vllm18Fp8KVCacheDataTypeE1ES0_Li16ELi128ELi256ELb1ELi10EEvPKT_PKT0_S8_ifPKiSA_SA_iPKfiiiPfSD_PS3_PT2_iSC_SC_
                                        ; -- End function
	.section	.AMDGPU.csdata,"",@progbits
; Kernel info:
; codeLenInByte = 6612
; NumSgprs: 56
; NumVgprs: 76
; NumAgprs: 0
; TotalNumVgprs: 76
; ScratchSize: 0
; MemoryBound: 0
; FloatMode: 240
; IeeeMode: 1
; LDSByteSize: 8192 bytes/workgroup (compile time only)
; SGPRBlocks: 6
; VGPRBlocks: 9
; NumSGPRsForWavesPerEU: 56
; NumVGPRsForWavesPerEU: 76
; AccumOffset: 76
; Occupancy: 6
; WaveLimiterHint : 1
; COMPUTE_PGM_RSRC2:SCRATCH_EN: 0
; COMPUTE_PGM_RSRC2:USER_SGPR: 2
; COMPUTE_PGM_RSRC2:TRAP_HANDLER: 0
; COMPUTE_PGM_RSRC2:TGID_X_EN: 1
; COMPUTE_PGM_RSRC2:TGID_Y_EN: 1
; COMPUTE_PGM_RSRC2:TGID_Z_EN: 1
; COMPUTE_PGM_RSRC2:TIDIG_COMP_CNT: 0
; COMPUTE_PGM_RSRC3_GFX90A:ACCUM_OFFSET: 18
; COMPUTE_PGM_RSRC3_GFX90A:TG_SPLIT: 0
	.section	.text._Z39paged_attention_ll4mi_QKV_mfma16_kernelI14__hip_bfloat16hLN4vllm18Fp8KVCacheDataTypeE1ES0_Li16ELi128ELi256ELb1ELi11EEvPKT_PKT0_S8_ifPKiSA_SA_iPKfiiiPfSD_PS3_PT2_iSC_SC_,"axG",@progbits,_Z39paged_attention_ll4mi_QKV_mfma16_kernelI14__hip_bfloat16hLN4vllm18Fp8KVCacheDataTypeE1ES0_Li16ELi128ELi256ELb1ELi11EEvPKT_PKT0_S8_ifPKiSA_SA_iPKfiiiPfSD_PS3_PT2_iSC_SC_,comdat
	.protected	_Z39paged_attention_ll4mi_QKV_mfma16_kernelI14__hip_bfloat16hLN4vllm18Fp8KVCacheDataTypeE1ES0_Li16ELi128ELi256ELb1ELi11EEvPKT_PKT0_S8_ifPKiSA_SA_iPKfiiiPfSD_PS3_PT2_iSC_SC_ ; -- Begin function _Z39paged_attention_ll4mi_QKV_mfma16_kernelI14__hip_bfloat16hLN4vllm18Fp8KVCacheDataTypeE1ES0_Li16ELi128ELi256ELb1ELi11EEvPKT_PKT0_S8_ifPKiSA_SA_iPKfiiiPfSD_PS3_PT2_iSC_SC_
	.globl	_Z39paged_attention_ll4mi_QKV_mfma16_kernelI14__hip_bfloat16hLN4vllm18Fp8KVCacheDataTypeE1ES0_Li16ELi128ELi256ELb1ELi11EEvPKT_PKT0_S8_ifPKiSA_SA_iPKfiiiPfSD_PS3_PT2_iSC_SC_
	.p2align	8
	.type	_Z39paged_attention_ll4mi_QKV_mfma16_kernelI14__hip_bfloat16hLN4vllm18Fp8KVCacheDataTypeE1ES0_Li16ELi128ELi256ELb1ELi11EEvPKT_PKT0_S8_ifPKiSA_SA_iPKfiiiPfSD_PS3_PT2_iSC_SC_,@function
_Z39paged_attention_ll4mi_QKV_mfma16_kernelI14__hip_bfloat16hLN4vllm18Fp8KVCacheDataTypeE1ES0_Li16ELi128ELi256ELb1ELi11EEvPKT_PKT0_S8_ifPKiSA_SA_iPKfiiiPfSD_PS3_PT2_iSC_SC_: ; @_Z39paged_attention_ll4mi_QKV_mfma16_kernelI14__hip_bfloat16hLN4vllm18Fp8KVCacheDataTypeE1ES0_Li16ELi128ELi256ELb1ELi11EEvPKT_PKT0_S8_ifPKiSA_SA_iPKfiiiPfSD_PS3_PT2_iSC_SC_
; %bb.0:
	s_load_dwordx2 s[10:11], s[0:1], 0x30
	s_mov_b32 s6, s3
	s_mov_b64 s[8:9], 0
	s_waitcnt lgkmcnt(0)
	s_cmp_lg_u64 s[10:11], 0
	s_cselect_b64 s[12:13], -1, 0
	s_and_b64 vcc, exec, s[12:13]
	s_cbranch_vccz .LBB1298_7
; %bb.1:
	s_add_i32 s14, s2, 1
	s_mov_b32 s15, 0
	s_lshl_b64 s[16:17], s[14:15], 2
	s_add_u32 s16, s10, s16
	s_mov_b32 s3, s15
	s_addc_u32 s17, s11, s17
	s_lshl_b64 s[14:15], s[2:3], 2
	s_add_u32 s14, s10, s14
	s_addc_u32 s15, s11, s15
	s_load_dword s5, s[16:17], 0x0
	s_load_dword s7, s[14:15], 0x0
	s_waitcnt lgkmcnt(0)
	s_sub_i32 s5, s5, s7
	s_cmp_eq_u32 s5, 1
	s_cselect_b64 s[14:15], -1, 0
	s_andn2_b64 vcc, exec, s[8:9]
	s_cbranch_vccnz .LBB1298_3
.LBB1298_2:
	s_mov_b32 s3, 0
	s_mov_b64 s[14:15], -1
.LBB1298_3:
	s_andn2_b64 vcc, exec, s[14:15]
	s_cbranch_vccnz .LBB1298_20
; %bb.4:
	s_load_dwordx2 s[8:9], s[0:1], 0x28
	s_lshl_b64 s[14:15], s[2:3], 2
	s_waitcnt lgkmcnt(0)
	s_add_u32 s8, s8, s14
	s_addc_u32 s9, s9, s15
	s_load_dword s7, s[8:9], 0x0
	s_lshl_b32 s18, s6, 8
	s_waitcnt lgkmcnt(0)
	s_cmp_ge_i32 s18, s7
	s_cbranch_scc1 .LBB1298_20
; %bb.5:
	s_load_dwordx2 s[8:9], s[0:1], 0x20
	s_load_dword s5, s[0:1], 0x38
	s_add_i32 s16, s7, 15
	s_ashr_i32 s17, s16, 31
	v_and_b32_e32 v1, 0xcf, v0
	s_lshr_b32 s17, s17, 28
	v_add_u32_e32 v1, s18, v1
	s_add_i32 s16, s16, s17
	v_ashrrev_i32_e32 v2, 31, v1
	s_ashr_i32 s19, s16, 4
	v_lshrrev_b32_e32 v4, 28, v2
	s_add_i32 s19, s19, -1
	s_waitcnt lgkmcnt(0)
	s_mul_i32 s16, s2, s5
	s_mov_b32 s17, 0
	v_add_u32_e32 v2, v1, v4
	s_lshl_b64 s[16:17], s[16:17], 2
	v_ashrrev_i32_e32 v2, 4, v2
	v_mov_b32_e32 v5, s19
	v_cmp_gt_i32_e32 vcc, s7, v1
	s_add_u32 s8, s8, s16
	s_addc_u32 s9, s9, s17
	v_cndmask_b32_e32 v2, v5, v2, vcc
	v_ashrrev_i32_e32 v3, 31, v2
	v_lshl_add_u64 v[6:7], v[2:3], 2, s[8:9]
	v_or_b32_e32 v2, 16, v1
	v_add_u32_e32 v3, v2, v4
	v_ashrrev_i32_e32 v3, 4, v3
	v_cmp_gt_i32_e32 vcc, s7, v2
	s_load_dwordx2 s[16:17], s[0:1], 0x8
	s_nop 0
	v_cndmask_b32_e32 v2, v5, v3, vcc
	v_ashrrev_i32_e32 v3, 31, v2
	v_lshl_add_u64 v[8:9], v[2:3], 2, s[8:9]
	v_or_b32_e32 v2, 32, v1
	v_add_u32_e32 v3, v2, v4
	v_ashrrev_i32_e32 v3, 4, v3
	v_cmp_gt_i32_e32 vcc, s7, v2
	v_or_b32_e32 v1, 48, v1
	s_nop 0
	v_cndmask_b32_e32 v2, v5, v3, vcc
	v_ashrrev_i32_e32 v3, 31, v2
	v_lshl_add_u64 v[12:13], v[2:3], 2, s[8:9]
	v_add_u32_e32 v2, v1, v4
	v_ashrrev_i32_e32 v2, 4, v2
	v_cmp_gt_i32_e32 vcc, s7, v1
	s_nop 1
	v_cndmask_b32_e32 v2, v5, v2, vcc
	v_ashrrev_i32_e32 v3, 31, v2
	v_lshl_add_u64 v[14:15], v[2:3], 2, s[8:9]
	global_load_dword v4, v[6:7], off
	global_load_dword v3, v[8:9], off
	;; [unrolled: 1-line block ×4, first 2 shown]
	s_andn2_b64 vcc, exec, s[12:13]
	s_cbranch_vccnz .LBB1298_8
; %bb.6:
	s_add_u32 s10, s10, s14
	s_addc_u32 s11, s11, s15
	s_load_dword s5, s[10:11], 0x0
	s_branch .LBB1298_9
.LBB1298_7:
	s_mov_b64 s[14:15], 0
	s_branch .LBB1298_2
.LBB1298_8:
	s_mov_b32 s5, s2
.LBB1298_9:
	s_load_dwordx2 s[10:11], s[0:1], 0x10
	s_load_dwordx4 s[44:47], s[0:1], 0x48
	v_lshrrev_b32_e32 v57, 6, v0
	v_bfe_u32 v60, v0, 4, 2
	v_and_b32_e32 v56, 15, v0
	v_lshl_or_b32 v5, v57, 2, v60
	v_lshlrev_b32_e32 v1, 3, v56
	s_mul_i32 s48, s4, 11
	v_cmp_gt_u32_e32 vcc, 11, v5
	v_lshlrev_b32_e32 v54, 1, v1
	v_lshlrev_b32_e32 v1, 4, v0
	s_and_saveexec_b64 s[12:13], vcc
	s_cbranch_execz .LBB1298_11
; %bb.10:
	s_load_dwordx2 s[14:15], s[0:1], 0x0
	s_waitcnt lgkmcnt(0)
	s_ashr_i32 s20, s44, 31
	s_mul_hi_u32 s21, s5, s44
	s_mul_i32 s20, s5, s20
	s_add_i32 s21, s21, s20
	s_mul_i32 s20, s5, s44
	s_lshl_b64 s[20:21], s[20:21], 1
	s_add_u32 s14, s14, s20
	v_add_lshl_u32 v6, v5, s48, 7
	s_addc_u32 s15, s15, s21
	v_ashrrev_i32_e32 v7, 31, v6
	v_lshl_add_u64 v[6:7], v[6:7], 1, s[14:15]
	v_mov_b32_e32 v55, 0
	v_lshl_add_u64 v[6:7], v[6:7], 0, v[54:55]
	global_load_dwordx4 v[6:9], v[6:7], off
	v_lshlrev_b32_e32 v12, 8, v0
	v_lshlrev_b32_e32 v11, 8, v56
	v_and_b32_e32 v12, 0x600, v12
	s_movk_i32 s5, 0x800
	v_and_or_b32 v11, v11, s5, v12
	v_lshlrev_b32_e32 v5, 5, v5
	v_and_b32_e32 v12, 16, v1
	v_or3_b32 v5, v11, v5, v12
	s_waitcnt vmcnt(0)
	ds_write_b128 v5, v[6:9]
.LBB1298_11:
	s_or_b64 exec, exec, s[12:13]
	s_waitcnt lgkmcnt(0)
	s_mul_i32 s12, s4, s46
	s_add_u32 s4, s16, s12
	s_addc_u32 s5, s17, 0
	v_and_b32_e32 v58, 0xf0, v1
	v_mov_b32_e32 v59, 0
	v_and_b32_e32 v34, 48, v0
	v_lshl_add_u64 v[12:13], s[4:5], 0, v[58:59]
	v_lshlrev_b32_e32 v58, 4, v34
	s_waitcnt vmcnt(3)
	v_mad_i64_i32 v[4:5], s[4:5], v4, s45, v[12:13]
	v_lshl_add_u64 v[4:5], v[4:5], 0, v[58:59]
	s_barrier
	global_load_dwordx4 v[50:53], v[4:5], off
	global_load_dwordx4 v[46:49], v[4:5], off offset:1024
	s_waitcnt vmcnt(4)
	v_mad_i64_i32 v[4:5], s[4:5], v3, s45, v[12:13]
	s_waitcnt vmcnt(3)
	v_mad_i64_i32 v[2:3], s[4:5], v2, s45, v[12:13]
	v_lshl_add_u64 v[4:5], v[4:5], 0, v[58:59]
	v_lshl_add_u64 v[14:15], v[2:3], 0, v[58:59]
	s_waitcnt vmcnt(2)
	v_mad_i64_i32 v[10:11], s[4:5], v10, s45, v[12:13]
	global_load_dwordx4 v[36:39], v[4:5], off
	global_load_dwordx4 v[6:9], v[4:5], off offset:1024
	s_nop 0
	global_load_dwordx4 v[2:5], v[14:15], off
	global_load_dwordx4 v[42:45], v[14:15], off offset:1024
	v_lshl_add_u64 v[14:15], v[10:11], 0, v[58:59]
	global_load_dwordx4 v[26:29], v[14:15], off
	global_load_dwordx4 v[10:13], v[14:15], off offset:1024
	v_add_u32_e32 v14, -11, v56
	v_cmp_gt_u32_e32 vcc, 11, v56
	v_and_b32_e32 v55, 63, v0
	v_mov_b32_e32 v61, 0
	v_cndmask_b32_e32 v14, v14, v56, vcc
	v_lshlrev_b32_e32 v14, 5, v14
	v_lshl_add_u32 v14, v60, 9, v14
	ds_read_b128 v[30:33], v14
	ds_read_b128 v[22:25], v14 offset:16
	ds_read_b128 v[18:21], v14 offset:2048
	;; [unrolled: 1-line block ×3, first 2 shown]
	s_and_saveexec_b64 s[4:5], vcc
	s_cbranch_execz .LBB1298_13
; %bb.12:
	s_load_dwordx2 s[14:15], s[0:1], 0x40
	v_add_u32_e32 v40, s48, v56
	v_ashrrev_i32_e32 v41, 31, v40
	s_waitcnt lgkmcnt(0)
	v_lshl_add_u64 v[40:41], v[40:41], 2, s[14:15]
	global_load_dword v61, v[40:41], off
.LBB1298_13:
	s_or_b64 exec, exec, s[4:5]
	v_or_b32_e32 v58, s18, v34
	v_ashrrev_i32_e32 v34, 4, v58
	v_mov_b32_e32 v63, s19
	v_cmp_gt_i32_e32 vcc, s7, v58
	s_waitcnt vmcnt(7)
	v_cvt_pk_f32_fp8_e32 v[40:41], v50
	v_cvt_pk_f32_fp8_sdwa v[64:65], v50 src0_sel:WORD_1
	v_cndmask_b32_e32 v34, v63, v34, vcc
	v_ashrrev_i32_e32 v35, 31, v34
	v_lshl_add_u64 v[34:35], v[34:35], 2, s[8:9]
	global_load_dword v62, v[34:35], off
	v_or_b32_e32 v34, 64, v58
	v_ashrrev_i32_e32 v35, 4, v34
	v_cmp_gt_i32_e32 vcc, s7, v34
	v_or_b32_e32 v66, 0x80, v58
	v_ashrrev_i32_e32 v67, 4, v66
	v_cndmask_b32_e32 v34, v63, v35, vcc
	v_cmp_gt_i32_e32 vcc, s7, v66
	s_mov_b32 s33, 0x7060302
	v_perm_b32 v40, v41, v40, s33
	v_cndmask_b32_e32 v50, v63, v67, vcc
	v_perm_b32 v41, v65, v64, s33
	v_cvt_pk_f32_fp8_e32 v[64:65], v51
	v_cvt_pk_f32_fp8_sdwa v[66:67], v51 src0_sel:WORD_1
	v_ashrrev_i32_e32 v51, 31, v50
	v_lshl_add_u64 v[68:69], v[50:51], 2, s[8:9]
	v_perm_b32 v50, v65, v64, s33
	v_perm_b32 v51, v67, v66, s33
	s_waitcnt lgkmcnt(3)
	v_mfma_f32_16x16x16_bf16 v[64:67], v[40:41], v[30:31], 0
	v_cvt_pk_f32_fp8_e32 v[40:41], v52
	v_cvt_pk_f32_fp8_sdwa v[70:71], v52 src0_sel:WORD_1
	s_waitcnt vmcnt(7)
	v_cvt_pk_f32_fp8_e32 v[72:73], v46
	v_mfma_f32_16x16x16_bf16 v[64:67], v[50:51], v[32:33], v[64:67]
	v_cvt_pk_f32_fp8_e32 v[50:51], v53
	v_perm_b32 v40, v41, v40, s33
	v_perm_b32 v41, v71, v70, s33
	v_cvt_pk_f32_fp8_sdwa v[52:53], v53 src0_sel:WORD_1
	v_perm_b32 v70, v51, v50, s33
	v_cvt_pk_f32_fp8_sdwa v[74:75], v46 src0_sel:WORD_1
	v_ashrrev_i32_e32 v35, 31, v34
	v_perm_b32 v71, v53, v52, s33
	s_waitcnt lgkmcnt(2)
	v_mfma_f32_16x16x16_bf16 v[50:53], v[40:41], v[22:23], v[64:67]
	v_perm_b32 v40, v73, v72, s33
	v_perm_b32 v41, v75, v74, s33
	v_or_b32_e32 v58, 0xc0, v58
	v_cvt_pk_f32_fp8_e32 v[64:65], v47
	v_cvt_pk_f32_fp8_sdwa v[46:47], v47 src0_sel:WORD_1
	v_mfma_f32_16x16x16_bf16 v[50:53], v[70:71], v[24:25], v[50:53]
	v_lshl_add_u64 v[34:35], v[34:35], 2, s[8:9]
	v_perm_b32 v64, v65, v64, s33
	v_perm_b32 v65, v47, v46, s33
	s_waitcnt lgkmcnt(1)
	v_mfma_f32_16x16x16_bf16 v[50:53], v[40:41], v[18:19], v[50:53]
	v_ashrrev_i32_e32 v66, 4, v58
	v_cmp_gt_i32_e32 vcc, s7, v58
	v_cvt_pk_f32_fp8_e32 v[46:47], v48
	s_waitcnt vmcnt(6)
	v_cvt_pk_f32_fp8_sdwa v[70:71], v36 src0_sel:WORD_1
	v_cndmask_b32_e32 v40, v63, v66, vcc
	v_mfma_f32_16x16x16_bf16 v[64:67], v[64:65], v[20:21], v[50:53]
	v_ashrrev_i32_e32 v41, 31, v40
	v_lshl_add_u64 v[40:41], v[40:41], 2, s[8:9]
	v_perm_b32 v46, v47, v46, s33
	global_load_dword v53, v[34:35], off
	global_load_dword v63, v[40:41], off
	v_cvt_pk_f32_fp8_sdwa v[50:51], v48 src0_sel:WORD_1
	v_cvt_pk_f32_fp8_e32 v[34:35], v49
	v_cvt_pk_f32_fp8_sdwa v[48:49], v49 src0_sel:WORD_1
	s_add_u32 s46, s10, s12
	v_perm_b32 v47, v51, v50, s33
	v_perm_b32 v34, v35, v34, s33
	;; [unrolled: 1-line block ×3, first 2 shown]
	s_waitcnt lgkmcnt(0)
	v_mfma_f32_16x16x16_bf16 v[46:49], v[46:47], v[14:15], v[64:67]
	v_cvt_pk_f32_fp8_e32 v[50:51], v36
	s_nop 1
	global_load_dword v64, v[68:69], off
	v_cvt_pk_f32_fp8_e32 v[66:67], v37
	s_waitcnt vmcnt(8)
	v_cvt_pk_f32_fp8_e32 v[68:69], v6
	v_perm_b32 v50, v51, v50, s33
	v_perm_b32 v51, v71, v70, s33
	v_cvt_pk_f32_fp8_sdwa v[70:71], v37 src0_sel:WORD_1
	v_perm_b32 v40, v67, v66, s33
	v_mfma_f32_16x16x16_bf16 v[34:37], v[34:35], v[16:17], v[46:49]
	v_cvt_pk_f32_fp8_sdwa v[66:67], v38 src0_sel:WORD_1
	v_perm_b32 v41, v71, v70, s33
	v_cvt_pk_f32_fp8_sdwa v[70:71], v6 src0_sel:WORD_1
	v_mfma_f32_16x16x16_bf16 v[46:49], v[50:51], v[30:31], 0
	v_cvt_pk_f32_fp8_e32 v[50:51], v38
	v_lshl_or_b32 v52, v57, 4, v56
	s_waitcnt vmcnt(6)
	v_cvt_pk_f32_fp8_e32 v[72:73], v43
	v_mfma_f32_16x16x16_bf16 v[46:49], v[40:41], v[32:33], v[46:49]
	v_cvt_pk_f32_fp8_e32 v[40:41], v39
	v_perm_b32 v50, v51, v50, s33
	v_perm_b32 v51, v67, v66, s33
	v_cvt_pk_f32_fp8_sdwa v[38:39], v39 src0_sel:WORD_1
	v_perm_b32 v66, v41, v40, s33
	s_addc_u32 s47, s11, 0
	v_lshlrev_b32_e32 v58, 4, v52
	v_perm_b32 v67, v39, v38, s33
	v_mfma_f32_16x16x16_bf16 v[38:41], v[50:51], v[22:23], v[46:49]
	v_cvt_pk_f32_fp8_sdwa v[50:51], v2 src0_sel:WORD_1
	s_nop 1
	v_perm_b32 v46, v69, v68, s33
	v_perm_b32 v47, v71, v70, s33
	v_cvt_pk_f32_fp8_e32 v[48:49], v7
	v_cvt_pk_f32_fp8_sdwa v[6:7], v7 src0_sel:WORD_1
	v_mfma_f32_16x16x16_bf16 v[38:41], v[66:67], v[24:25], v[38:41]
	v_lshl_add_u64 v[70:71], s[46:47], 0, v[58:59]
	v_perm_b32 v48, v49, v48, s33
	v_perm_b32 v49, v7, v6, s33
	v_mfma_f32_16x16x16_bf16 v[38:41], v[46:47], v[18:19], v[38:41]
	v_cvt_pk_f32_fp8_e32 v[6:7], v8
	v_cvt_pk_f32_fp8_sdwa v[46:47], v8 src0_sel:WORD_1
	v_or_b32_e32 v58, 0x400, v58
	v_mfma_f32_16x16x16_bf16 v[38:41], v[48:49], v[20:21], v[38:41]
	v_cvt_pk_f32_fp8_e32 v[48:49], v9
	v_perm_b32 v6, v7, v6, s33
	v_perm_b32 v7, v47, v46, s33
	v_cvt_pk_f32_fp8_sdwa v[8:9], v9 src0_sel:WORD_1
	v_perm_b32 v46, v49, v48, s33
	v_cvt_pk_f32_fp8_e32 v[48:49], v2
	v_perm_b32 v47, v9, v8, s33
	v_mfma_f32_16x16x16_bf16 v[6:9], v[6:7], v[14:15], v[38:41]
	v_perm_b32 v48, v49, v48, s33
	v_perm_b32 v49, v51, v50, s33
	v_cvt_pk_f32_fp8_e32 v[50:51], v3
	v_cvt_pk_f32_fp8_sdwa v[2:3], v3 src0_sel:WORD_1
	v_mfma_f32_16x16x16_bf16 v[38:41], v[46:47], v[16:17], v[6:9]
	v_perm_b32 v46, v51, v50, s33
	v_perm_b32 v47, v3, v2, s33
	v_mfma_f32_16x16x16_bf16 v[6:9], v[48:49], v[30:31], 0
	v_cvt_pk_f32_fp8_e32 v[2:3], v4
	v_cvt_pk_f32_fp8_sdwa v[48:49], v4 src0_sel:WORD_1
	s_waitcnt vmcnt(3)
	v_mad_i64_i32 v[50:51], s[4:5], v62, s45, v[70:71]
	v_perm_b32 v2, v3, v2, s33
	v_perm_b32 v3, v49, v48, s33
	v_mfma_f32_16x16x16_bf16 v[6:9], v[46:47], v[32:33], v[6:9]
	v_cvt_pk_f32_fp8_e32 v[46:47], v5
	v_cvt_pk_f32_fp8_sdwa v[4:5], v5 src0_sel:WORD_1
	s_waitcnt vmcnt(2)
	v_mad_i64_i32 v[66:67], s[4:5], v53, s45, v[70:71]
	v_perm_b32 v46, v47, v46, s33
	v_perm_b32 v47, v5, v4, s33
	v_mfma_f32_16x16x16_bf16 v[2:5], v[2:3], v[22:23], v[6:9]
	s_nop 2
	v_cvt_pk_f32_fp8_e32 v[6:7], v42
	v_cvt_pk_f32_fp8_sdwa v[8:9], v42 src0_sel:WORD_1
	v_cvt_pk_f32_fp8_sdwa v[42:43], v43 src0_sel:WORD_1
	v_mfma_f32_16x16x16_bf16 v[46:49], v[46:47], v[24:25], v[2:5]
	v_perm_b32 v68, v7, v6, s33
	v_perm_b32 v69, v9, v8, s33
	global_load_dwordx4 v[6:9], v[50:51], off
	global_load_dwordx4 v[2:5], v[66:67], off
	v_perm_b32 v66, v73, v72, s33
	v_perm_b32 v67, v43, v42, s33
	v_mfma_f32_16x16x16_bf16 v[48:51], v[68:69], v[18:19], v[46:49]
	v_cvt_pk_f32_fp8_e32 v[42:43], v44
	v_cvt_pk_f32_fp8_sdwa v[72:73], v44 src0_sel:WORD_1
	s_waitcnt vmcnt(2)
	v_mad_i64_i32 v[46:47], s[4:5], v64, s45, v[70:71]
	v_mfma_f32_16x16x16_bf16 v[66:69], v[66:67], v[20:21], v[48:51]
	v_perm_b32 v42, v43, v42, s33
	v_perm_b32 v43, v73, v72, s33
	v_cvt_pk_f32_fp8_sdwa v[72:73], v26 src0_sel:WORD_1
	v_cvt_pk_f32_fp8_e32 v[50:51], v45
	v_cvt_pk_f32_fp8_sdwa v[44:45], v45 src0_sel:WORD_1
	v_mad_i64_i32 v[48:49], s[4:5], v63, s45, v[70:71]
	v_perm_b32 v50, v51, v50, s33
	v_perm_b32 v51, v45, v44, s33
	v_mfma_f32_16x16x16_bf16 v[42:45], v[42:43], v[14:15], v[66:69]
	v_cvt_pk_f32_fp8_e32 v[70:71], v26
	s_load_dword s4, s[0:1], 0x1c
	s_load_dwordx4 s[40:43], s[0:1], 0x80
	s_load_dword s44, s[0:1], 0x98
	s_waitcnt lgkmcnt(0)
	s_load_dword s5, s[40:41], 0x0
	v_mfma_f32_16x16x16_bf16 v[66:69], v[50:51], v[16:17], v[42:45]
	s_mov_b32 s40, 0xff7fffff
	s_nop 1
	v_cvt_pk_f32_fp8_e32 v[42:43], v27
	v_perm_b32 v44, v71, v70, s33
	v_perm_b32 v45, v73, v72, s33
	v_cvt_pk_f32_fp8_sdwa v[26:27], v27 src0_sel:WORD_1
	v_perm_b32 v50, v43, v42, s33
	v_cvt_pk_f32_fp8_e32 v[70:71], v28
	v_cvt_pk_f32_fp8_sdwa v[72:73], v28 src0_sel:WORD_1
	v_perm_b32 v51, v27, v26, s33
	v_mfma_f32_16x16x16_bf16 v[42:45], v[44:45], v[30:31], 0
	v_perm_b32 v30, v71, v70, s33
	v_perm_b32 v31, v73, v72, s33
	v_cvt_pk_f32_fp8_e32 v[70:71], v29
	v_cvt_pk_f32_fp8_sdwa v[72:73], v29 src0_sel:WORD_1
	v_mfma_f32_16x16x16_bf16 v[26:29], v[50:51], v[32:33], v[42:45]
	v_mov_b32_e32 v32, s4
	s_waitcnt lgkmcnt(0)
	v_mul_f32_e32 v50, s5, v32
	v_pk_mul_f32 v[32:33], v[50:51], v[34:35] op_sel_hi:[0,1]
	v_perm_b32 v42, v71, v70, s33
	v_perm_b32 v43, v73, v72, s33
	v_mfma_f32_16x16x16_bf16 v[26:29], v[30:31], v[22:23], v[26:29]
	v_pk_mul_f32 v[30:31], v[50:51], v[36:37] op_sel_hi:[0,1]
	v_cvt_pk_f32_fp8_e32 v[22:23], v10
	v_cvt_pk_f32_fp8_sdwa v[70:71], v12 src0_sel:WORD_1
	v_mfma_f32_16x16x16_bf16 v[34:37], v[42:43], v[24:25], v[26:29]
	v_cvt_pk_f32_fp8_sdwa v[24:25], v10 src0_sel:WORD_1
	v_perm_b32 v42, v23, v22, s33
	v_pk_mul_f32 v[40:41], v[50:51], v[40:41] op_sel_hi:[0,1]
	v_cvt_pk_f32_fp8_e32 v[26:27], v11
	v_cvt_pk_f32_fp8_sdwa v[10:11], v11 src0_sel:WORD_1
	v_perm_b32 v43, v25, v24, s33
	v_perm_b32 v44, v27, v26, s33
	;; [unrolled: 1-line block ×3, first 2 shown]
	v_cvt_pk_f32_fp8_e32 v[10:11], v12
	v_mfma_f32_16x16x16_bf16 v[34:37], v[42:43], v[18:19], v[34:37]
	global_load_dwordx4 v[26:29], v[46:47], off
	global_load_dwordx4 v[22:25], v[48:49], off
	v_perm_b32 v19, v71, v70, s33
	v_perm_b32 v18, v11, v10, s33
	v_cvt_pk_f32_fp8_e32 v[42:43], v13
	v_cvt_pk_f32_fp8_sdwa v[46:47], v13 src0_sel:WORD_1
	v_mfma_f32_16x16x16_bf16 v[10:13], v[44:45], v[20:21], v[34:37]
	v_pk_mul_f32 v[44:45], v[50:51], v[38:39] op_sel_hi:[0,1]
	v_perm_b32 v20, v43, v42, s33
	v_perm_b32 v21, v47, v46, s33
	v_mfma_f32_16x16x16_bf16 v[10:13], v[18:19], v[14:15], v[10:13]
	v_pk_mul_f32 v[38:39], v[50:51], v[68:69] op_sel_hi:[0,1]
	v_pk_mul_f32 v[42:43], v[50:51], v[66:67] op_sel_hi:[0,1]
	v_mfma_f32_16x16x16_bf16 v[10:13], v[20:21], v[16:17], v[10:13]
	s_nop 6
	v_pk_mul_f32 v[36:37], v[50:51], v[10:11] op_sel_hi:[0,1]
	v_and_b32_e32 v10, 0xc0, v0
	v_add_u32_e32 v10, s18, v10
	v_lshl_or_b32 v10, v60, 2, v10
	v_or_b32_e32 v11, 1, v10
	v_pk_mul_f32 v[34:35], v[50:51], v[12:13] op_sel_hi:[0,1]
	v_subrev_u32_e32 v12, s7, v11
	v_add_u32_e32 v14, 1, v12
	v_add_u32_e32 v15, 2, v12
	v_cvt_f32_i32_e32 v13, v12
	v_cvt_f32_i32_e32 v14, v14
	;; [unrolled: 1-line block ×3, first 2 shown]
	v_add_u32_e32 v16, 3, v12
	v_fma_f32 v18, v61, v13, v32
	v_fmac_f32_e32 v33, v61, v14
	v_fma_f32 v48, v61, v15, v30
	v_add_u32_e32 v13, 16, v12
	v_add_u32_e32 v14, 17, v12
	;; [unrolled: 1-line block ×3, first 2 shown]
	v_cvt_f32_i32_e32 v16, v16
	v_cvt_f32_i32_e32 v13, v13
	;; [unrolled: 1-line block ×4, first 2 shown]
	v_fmac_f32_e32 v31, v61, v16
	v_add_u32_e32 v16, 19, v12
	v_fma_f32 v44, v61, v13, v44
	v_fmac_f32_e32 v45, v61, v14
	v_fma_f32 v40, v61, v15, v40
	v_add_u32_e32 v13, 32, v12
	v_add_u32_e32 v14, 33, v12
	;; [unrolled: 1-line block ×3, first 2 shown]
	v_cvt_f32_i32_e32 v16, v16
	v_cvt_f32_i32_e32 v13, v13
	;; [unrolled: 1-line block ×4, first 2 shown]
	v_fmac_f32_e32 v41, v61, v16
	v_add_u32_e32 v16, 35, v12
	v_fma_f32 v42, v61, v13, v42
	v_fmac_f32_e32 v43, v61, v14
	v_fma_f32 v38, v61, v15, v38
	v_add_u32_e32 v13, 48, v12
	v_add_u32_e32 v14, 49, v12
	;; [unrolled: 1-line block ×4, first 2 shown]
	v_cvt_f32_i32_e32 v12, v12
	v_cvt_f32_i32_e32 v13, v13
	;; [unrolled: 1-line block ×3, first 2 shown]
	v_cmp_gt_i32_e64 s[8:9], s7, v10
	v_fmac_f32_e32 v35, v61, v12
	v_mov_b32_e32 v12, 0xff7fffff
	v_cmp_gt_i32_e64 s[10:11], s7, v11
	v_fma_f32 v36, v61, v13, v36
	v_cndmask_b32_e64 v13, v12, v18, s[8:9]
	v_cndmask_b32_e64 v11, v12, v33, s[10:11]
	v_fmac_f32_e32 v37, v61, v14
	v_max3_f32 v11, v13, s40, v11
	v_or_b32_e32 v13, 2, v10
	v_or_b32_e32 v14, 3, v10
	v_cmp_gt_i32_e64 s[12:13], s7, v13
	v_cmp_gt_i32_e64 s[14:15], s7, v14
	v_cvt_f32_i32_e32 v16, v16
	v_cndmask_b32_e64 v13, v12, v48, s[12:13]
	v_cndmask_b32_e64 v14, v12, v31, s[14:15]
	v_max3_f32 v11, v11, v13, v14
	v_or_b32_e32 v13, 16, v10
	v_or_b32_e32 v14, 17, v10
	v_cmp_gt_i32_e64 s[16:17], s7, v13
	v_cmp_gt_i32_e64 s[18:19], s7, v14
	v_fmac_f32_e32 v39, v61, v16
	v_cndmask_b32_e64 v13, v12, v44, s[16:17]
	v_cndmask_b32_e64 v14, v12, v45, s[18:19]
	v_max3_f32 v11, v11, v13, v14
	v_or_b32_e32 v13, 18, v10
	v_or_b32_e32 v14, 19, v10
	v_cmp_gt_i32_e64 s[20:21], s7, v13
	v_cmp_gt_i32_e64 s[22:23], s7, v14
	v_cvt_f32_i32_e32 v15, v15
	v_cndmask_b32_e64 v13, v12, v40, s[20:21]
	v_cndmask_b32_e64 v14, v12, v41, s[22:23]
	v_max3_f32 v11, v11, v13, v14
	v_or_b32_e32 v13, 32, v10
	v_or_b32_e32 v14, 33, v10
	v_cmp_gt_i32_e64 s[24:25], s7, v13
	v_cmp_gt_i32_e64 s[26:27], s7, v14
	v_fma_f32 v34, v61, v15, v34
	v_cndmask_b32_e64 v13, v12, v42, s[24:25]
	v_cndmask_b32_e64 v14, v12, v43, s[26:27]
	v_max3_f32 v11, v11, v13, v14
	v_or_b32_e32 v13, 34, v10
	v_or_b32_e32 v14, 35, v10
	v_cmp_gt_i32_e64 s[28:29], s7, v13
	v_cmp_gt_i32_e64 s[30:31], s7, v14
	s_nop 0
	v_cndmask_b32_e64 v13, v12, v38, s[28:29]
	v_cndmask_b32_e64 v14, v12, v39, s[30:31]
	v_max3_f32 v11, v11, v13, v14
	v_or_b32_e32 v13, 48, v10
	v_or_b32_e32 v14, 49, v10
	v_cmp_gt_i32_e64 s[34:35], s7, v13
	v_cmp_gt_i32_e64 s[36:37], s7, v14
	s_nop 0
	v_cndmask_b32_e64 v13, v12, v36, s[34:35]
	v_cndmask_b32_e64 v14, v12, v37, s[36:37]
	v_max3_f32 v11, v11, v13, v14
	v_or_b32_e32 v13, 50, v10
	v_or_b32_e32 v10, 51, v10
	v_cmp_gt_i32_e32 vcc, s7, v13
	v_cmp_gt_i32_e64 s[4:5], s7, v10
	s_nop 0
	v_cndmask_b32_e32 v13, v12, v34, vcc
	v_cndmask_b32_e64 v10, v12, v35, s[4:5]
	v_max3_f32 v14, v11, v13, v10
	v_mbcnt_lo_u32_b32 v10, -1, 0
	v_mbcnt_hi_u32_b32 v15, -1, v10
	v_and_b32_e32 v10, 64, v15
	v_add_u32_e32 v16, 64, v10
	v_xor_b32_e32 v10, 32, v15
	v_cmp_lt_i32_e64 s[38:39], v10, v16
	s_nop 1
	v_cndmask_b32_e64 v10, v15, v10, s[38:39]
	v_lshlrev_b32_e32 v51, 2, v10
	ds_bpermute_b32 v17, v51, v14
	v_lshl_add_u64 v[10:11], s[46:47], 0, v[58:59]
	v_mad_i64_i32 v[12:13], s[38:39], v62, s45, v[10:11]
	s_waitcnt lgkmcnt(0)
	v_max_f32_e32 v17, v17, v17
	v_max_f32_e32 v19, v14, v17
	v_xor_b32_e32 v14, 16, v15
	v_cmp_lt_i32_e64 s[38:39], v14, v16
	s_nop 1
	v_cndmask_b32_e64 v14, v15, v14, s[38:39]
	v_lshlrev_b32_e32 v58, 2, v14
	ds_bpermute_b32 v20, v58, v19
	v_mad_i64_i32 v[14:15], s[38:39], v53, s45, v[10:11]
	v_mad_i64_i32 v[16:17], s[38:39], v64, s45, v[10:11]
	s_waitcnt lgkmcnt(0)
	v_max_f32_e32 v20, v20, v20
	v_max_f32_e32 v50, v19, v20
	v_sub_f32_e32 v18, v18, v50
	v_sub_f32_e32 v19, v33, v50
	v_mul_f32_e32 v18, 0x3fb8aa3b, v18
	v_mul_f32_e32 v19, 0x3fb8aa3b, v19
	v_exp_f32_e32 v18, v18
	v_exp_f32_e32 v19, v19
	v_sub_f32_e32 v49, v31, v50
	v_mad_i64_i32 v[10:11], s[38:39], v63, s45, v[10:11]
	v_cndmask_b32_e64 v46, 0, v18, s[8:9]
	v_cndmask_b32_e64 v47, 0, v19, s[10:11]
	global_load_dwordx4 v[30:33], v[12:13], off
	global_load_dwordx4 v[18:21], v[14:15], off
	v_sub_f32_e32 v12, v48, v50
	v_mul_f32_e32 v12, 0x3fb8aa3b, v12
	v_exp_f32_e32 v48, v12
	global_load_dwordx4 v[14:17], v[16:17], off
	s_nop 0
	global_load_dwordx4 v[10:13], v[10:11], off
	v_sub_f32_e32 v40, v40, v50
	v_sub_f32_e32 v42, v42, v50
	v_mul_f32_e32 v40, 0x3fb8aa3b, v40
	v_mul_f32_e32 v42, 0x3fb8aa3b, v42
	v_exp_f32_e32 v40, v40
	v_exp_f32_e32 v53, v42
	v_mul_f32_e32 v49, 0x3fb8aa3b, v49
	v_sub_f32_e32 v44, v44, v50
	v_exp_f32_e32 v49, v49
	v_mul_f32_e32 v44, 0x3fb8aa3b, v44
	v_sub_f32_e32 v45, v45, v50
	v_sub_f32_e32 v42, v43, v50
	v_exp_f32_e32 v44, v44
	v_mul_f32_e32 v45, 0x3fb8aa3b, v45
	v_mul_f32_e32 v42, 0x3fb8aa3b, v42
	v_exp_f32_e32 v45, v45
	v_sub_f32_e32 v41, v41, v50
	v_exp_f32_e32 v59, v42
	v_cndmask_b32_e64 v42, 0, v40, s[20:21]
	v_cndmask_b32_e64 v40, 0, v53, s[24:25]
	v_add_f32_e32 v53, 0, v46
	v_cndmask_b32_e64 v48, 0, v48, s[12:13]
	v_mul_f32_e32 v41, 0x3fb8aa3b, v41
	v_add_f32_e32 v53, v53, v47
	v_cndmask_b32_e64 v49, 0, v49, s[14:15]
	v_exp_f32_e32 v41, v41
	v_add_f32_e32 v53, v53, v48
	v_cndmask_b32_e64 v44, 0, v44, s[16:17]
	v_sub_f32_e32 v38, v38, v50
	v_add_f32_e32 v53, v53, v49
	v_cndmask_b32_e64 v45, 0, v45, s[18:19]
	v_sub_f32_e32 v39, v39, v50
	v_mul_f32_e32 v38, 0x3fb8aa3b, v38
	v_add_f32_e32 v53, v53, v44
	v_exp_f32_e32 v38, v38
	v_mul_f32_e32 v39, 0x3fb8aa3b, v39
	v_sub_f32_e32 v36, v36, v50
	v_add_f32_e32 v53, v53, v45
	v_cndmask_b32_e64 v43, 0, v41, s[22:23]
	v_exp_f32_e32 v39, v39
	v_mul_f32_e32 v36, 0x3fb8aa3b, v36
	v_sub_f32_e32 v37, v37, v50
	v_add_f32_e32 v53, v53, v42
	v_exp_f32_e32 v36, v36
	v_mul_f32_e32 v37, 0x3fb8aa3b, v37
	v_add_f32_e32 v53, v53, v43
	v_sub_f32_e32 v34, v34, v50
	v_cndmask_b32_e64 v41, 0, v59, s[26:27]
	v_exp_f32_e32 v37, v37
	v_add_f32_e32 v53, v53, v40
	v_mul_f32_e32 v34, 0x3fb8aa3b, v34
	v_sub_f32_e32 v35, v35, v50
	v_cndmask_b32_e64 v38, 0, v38, s[28:29]
	v_add_f32_e32 v53, v53, v41
	v_exp_f32_e32 v34, v34
	v_mul_f32_e32 v35, 0x3fb8aa3b, v35
	v_cndmask_b32_e64 v39, 0, v39, s[30:31]
	v_add_f32_e32 v53, v53, v38
	v_exp_f32_e32 v35, v35
	v_cndmask_b32_e64 v36, 0, v36, s[34:35]
	v_add_f32_e32 v53, v53, v39
	v_cndmask_b32_e64 v37, 0, v37, s[36:37]
	v_add_f32_e32 v53, v53, v36
	v_add_f32_e32 v53, v53, v37
	v_cndmask_b32_e32 v34, 0, v34, vcc
	v_add_f32_e32 v53, v53, v34
	v_cndmask_b32_e64 v35, 0, v35, s[4:5]
	v_add_f32_e32 v53, v53, v35
	ds_bpermute_b32 v51, v51, v53
	v_cmp_gt_u32_e32 vcc, 16, v55
	s_waitcnt lgkmcnt(0)
	s_barrier
	v_add_f32_e32 v51, v53, v51
	ds_bpermute_b32 v53, v58, v51
	s_and_saveexec_b64 s[4:5], vcc
	s_cbranch_execz .LBB1298_15
; %bb.14:
	s_waitcnt lgkmcnt(0)
	v_add_f32_e32 v51, v51, v53
	v_lshlrev_b32_e32 v52, 2, v52
	ds_write2st64_b32 v52, v50, v51 offset1:1
.LBB1298_15:
	s_or_b64 exec, exec, s[4:5]
	v_lshlrev_b32_e32 v51, 2, v56
	s_load_dword s7, s[0:1], 0x94
	s_waitcnt lgkmcnt(0)
	s_barrier
	ds_read2_b32 v[52:53], v51 offset1:16
	ds_read2_b32 v[58:59], v51 offset0:32 offset1:48
	ds_read2_b32 v[62:63], v51 offset0:64 offset1:80
	s_movk_i32 s9, 0x7fff
	s_mul_i32 s8, s44, 11
	s_waitcnt lgkmcnt(2)
	v_max3_f32 v50, v52, s40, v53
	s_waitcnt lgkmcnt(1)
	v_max3_f32 v50, v50, v58, v59
	v_sub_f32_e32 v52, v52, v50
	v_mul_f32_e32 v52, 0x3fb8aa3b, v52
	v_exp_f32_e32 v55, v52
	v_sub_f32_e32 v52, v53, v50
	v_mul_f32_e32 v52, 0x3fb8aa3b, v52
	v_exp_f32_e32 v61, v52
	;; [unrolled: 3-line block ×3, first 2 shown]
	ds_read2_b32 v[52:53], v51 offset0:96 offset1:112
	v_sub_f32_e32 v51, v59, v50
	v_mul_f32_e32 v51, 0x3fb8aa3b, v51
	v_exp_f32_e32 v59, v51
	s_waitcnt lgkmcnt(1)
	v_fma_f32 v51, v55, v62, 0
	v_fmac_f32_e32 v51, v61, v63
	s_waitcnt lgkmcnt(0)
	v_fmac_f32_e32 v51, v58, v52
	v_fmac_f32_e32 v51, v59, v53
	v_add_f32_e32 v52, 0x358637bd, v51
	v_div_scale_f32 v53, s[4:5], v52, v52, 1.0
	v_rcp_f32_e32 v62, v53
	s_barrier
	v_fma_f32 v63, -v53, v62, 1.0
	v_fmac_f32_e32 v62, v63, v62
	v_div_scale_f32 v63, vcc, 1.0, v52, 1.0
	v_mul_f32_e32 v64, v63, v62
	v_fma_f32 v65, -v53, v64, v63
	v_fmac_f32_e32 v64, v65, v62
	v_fma_f32 v53, -v53, v64, v63
	v_div_fmas_f32 v53, v53, v62, v64
	v_cmp_eq_u32_e32 vcc, 1, v57
	v_div_fixup_f32 v52, v53, v52, 1.0
	s_nop 0
	v_cndmask_b32_e32 v53, v55, v61, vcc
	v_cmp_eq_u32_e32 vcc, 2, v57
	s_nop 1
	v_cndmask_b32_e32 v53, v53, v58, vcc
	v_cmp_eq_u32_e32 vcc, 3, v57
	s_nop 1
	v_cndmask_b32_e32 v53, v53, v59, vcc
	v_mul_f32_e32 v52, v53, v52
	v_pk_mul_f32 v[46:47], v[52:53], v[46:47] op_sel_hi:[0,1]
	v_pk_mul_f32 v[48:49], v[52:53], v[48:49] op_sel_hi:[0,1]
	v_bfe_u32 v53, v47, 16, 1
	v_bfe_u32 v55, v46, 16, 1
	v_add3_u32 v46, v46, v55, s9
	v_add3_u32 v47, v47, v53, s9
	v_perm_b32 v58, v47, v46, s33
	v_bfe_u32 v46, v49, 16, 1
	v_bfe_u32 v47, v48, 16, 1
	v_add3_u32 v47, v48, v47, s9
	v_add3_u32 v46, v49, v46, s9
	v_perm_b32 v59, v46, v47, s33
	v_lshlrev_b32_e32 v47, 3, v60
	v_lshlrev_b32_e32 v46, 5, v56
	;; [unrolled: 1-line block ×3, first 2 shown]
	v_pk_mul_f32 v[44:45], v[52:53], v[44:45] op_sel_hi:[0,1]
	v_or3_b32 v55, v48, v46, v47
	v_bfe_u32 v47, v45, 16, 1
	v_bfe_u32 v48, v44, 16, 1
	v_pk_mul_f32 v[42:43], v[52:53], v[42:43] op_sel_hi:[0,1]
	v_add3_u32 v44, v44, v48, s9
	v_add3_u32 v45, v45, v47, s9
	v_perm_b32 v44, v45, v44, s33
	v_bfe_u32 v45, v43, 16, 1
	v_bfe_u32 v47, v42, 16, 1
	v_add3_u32 v42, v42, v47, s9
	v_add3_u32 v43, v43, v45, s9
	v_pk_mul_f32 v[40:41], v[52:53], v[40:41] op_sel_hi:[0,1]
	v_perm_b32 v45, v43, v42, s33
	v_bfe_u32 v42, v41, 16, 1
	v_bfe_u32 v43, v40, 16, 1
	v_pk_mul_f32 v[38:39], v[52:53], v[38:39] op_sel_hi:[0,1]
	v_add3_u32 v40, v40, v43, s9
	v_add3_u32 v41, v41, v42, s9
	v_perm_b32 v40, v41, v40, s33
	v_bfe_u32 v41, v39, 16, 1
	v_bfe_u32 v42, v38, 16, 1
	v_add3_u32 v38, v38, v42, s9
	v_add3_u32 v39, v39, v41, s9
	v_pk_mul_f32 v[36:37], v[52:53], v[36:37] op_sel_hi:[0,1]
	v_perm_b32 v41, v39, v38, s33
	v_bfe_u32 v38, v37, 16, 1
	v_bfe_u32 v39, v36, 16, 1
	v_pk_mul_f32 v[34:35], v[52:53], v[34:35] op_sel_hi:[0,1]
	v_add3_u32 v36, v36, v39, s9
	v_add3_u32 v37, v37, v38, s9
	v_perm_b32 v36, v37, v36, s33
	v_bfe_u32 v37, v35, 16, 1
	v_bfe_u32 v38, v34, 16, 1
	v_add3_u32 v34, v34, v38, s9
	v_add3_u32 v35, v35, v37, s9
	v_perm_b32 v37, v35, v34, s33
	v_cmp_gt_u32_e32 vcc, 11, v0
	ds_write2st64_b64 v55, v[58:59], v[44:45] offset1:1
	ds_write2st64_b64 v55, v[40:41], v[36:37] offset0:2 offset1:3
	s_and_saveexec_b64 s[4:5], vcc
	s_cbranch_execz .LBB1298_17
; %bb.16:
	s_mov_b32 s49, 0
	v_mov_b32_e32 v57, 0
	v_lshl_add_u64 v[34:35], s[48:49], 0, v[56:57]
	v_mov_b32_e32 v36, s8
	v_mad_u64_u32 v[34:35], s[10:11], s2, v36, v[34:35]
	s_mul_i32 s3, s3, s8
	v_mov_b32_e32 v36, s6
	v_mov_b32_e32 v37, v57
	s_load_dwordx4 s[12:15], s[0:1], 0x58
	v_add_u32_e32 v38, s3, v35
	v_mad_u64_u32 v[34:35], s[10:11], v34, s7, v[36:37]
	v_mov_b32_e32 v36, v35
	v_mad_u64_u32 v[36:37], s[10:11], v38, s7, v[36:37]
	v_mov_b32_e32 v35, v36
	v_lshlrev_b64 v[34:35], 2, v[34:35]
	s_waitcnt lgkmcnt(0)
	v_lshl_add_u64 v[36:37], s[14:15], 0, v[34:35]
	v_lshl_add_u64 v[34:35], s[12:13], 0, v[34:35]
	global_store_dword v[36:37], v50, off
	global_store_dword v[34:35], v51, off
.LBB1298_17:
	s_or_b64 exec, exec, s[4:5]
	s_waitcnt vmcnt(7)
	v_cvt_pk_f32_fp8_e32 v[34:35], v6
	v_cvt_pk_f32_fp8_sdwa v[36:37], v6 src0_sel:WORD_1
	v_lshl_or_b32 v50, v60, 9, v46
	s_mov_b32 s5, 0x7060302
	s_waitcnt lgkmcnt(0)
	s_barrier
	v_cvt_pk_f32_fp8_e32 v[38:39], v7
	v_perm_b32 v6, v35, v34, s5
	v_cvt_pk_f32_fp8_sdwa v[40:41], v7 src0_sel:WORD_1
	v_perm_b32 v7, v37, v36, s5
	ds_read_b128 v[34:37], v50
	v_perm_b32 v46, v39, v38, s5
	v_perm_b32 v47, v41, v40, s5
	ds_read_b128 v[38:41], v50 offset:16
	v_cvt_pk_f32_fp8_e32 v[48:49], v8
	v_cvt_pk_f32_fp8_sdwa v[52:53], v8 src0_sel:WORD_1
	s_waitcnt lgkmcnt(1)
	v_mfma_f32_16x16x16_bf16 v[42:45], v[6:7], v[34:35], 0
	s_waitcnt vmcnt(6)
	v_cvt_pk_f32_fp8_e32 v[58:59], v4
	v_perm_b32 v6, v49, v48, s5
	v_perm_b32 v7, v53, v52, s5
	v_cvt_pk_f32_fp8_e32 v[48:49], v9
	v_mfma_f32_16x16x16_bf16 v[42:45], v[46:47], v[36:37], v[42:45]
	v_cvt_pk_f32_fp8_sdwa v[46:47], v9 src0_sel:WORD_1
	v_cvt_pk_f32_fp8_sdwa v[62:63], v4 src0_sel:WORD_1
	v_perm_b32 v48, v49, v48, s5
	s_waitcnt lgkmcnt(0)
	v_mfma_f32_16x16x16_bf16 v[6:9], v[6:7], v[38:39], v[42:45]
	v_perm_b32 v49, v47, v46, s5
	s_waitcnt vmcnt(5)
	v_cvt_pk_f32_fp8_sdwa v[66:67], v28 src0_sel:WORD_1
	s_waitcnt vmcnt(4)
	v_cvt_pk_f32_fp8_sdwa v[68:69], v24 src0_sel:WORD_1
	v_cvt_pk_f32_fp8_e32 v[42:43], v2
	v_mfma_f32_16x16x16_bf16 v[46:49], v[48:49], v[40:41], v[6:9]
	s_load_dword s4, s[42:43], 0x0
	s_waitcnt vmcnt(3)
	v_cvt_pk_f32_fp8_sdwa v[70:71], v32 src0_sel:WORD_1
	v_cvt_pk_f32_fp8_sdwa v[6:7], v2 src0_sel:WORD_1
	v_cvt_pk_f32_fp8_e32 v[8:9], v3
	v_perm_b32 v2, v43, v42, s5
	v_cvt_pk_f32_fp8_sdwa v[42:43], v3 src0_sel:WORD_1
	v_perm_b32 v3, v7, v6, s5
	v_perm_b32 v52, v9, v8, s5
	ds_read_b128 v[6:9], v50 offset:2048
	v_perm_b32 v53, v43, v42, s5
	ds_read_b128 v[42:45], v50 offset:2064
	s_waitcnt lgkmcnt(0)
	v_mfma_f32_16x16x16_bf16 v[46:49], v[2:3], v[6:7], v[46:49]
	v_perm_b32 v2, v59, v58, s5
	v_perm_b32 v3, v63, v62, s5
	v_cvt_pk_f32_fp8_e32 v[58:59], v5
	v_mfma_f32_16x16x16_bf16 v[46:49], v[52:53], v[8:9], v[46:49]
	v_cvt_pk_f32_fp8_sdwa v[52:53], v5 src0_sel:WORD_1
	s_mov_b32 s3, 0
	v_perm_b32 v58, v59, v58, s5
	v_mfma_f32_16x16x16_bf16 v[2:5], v[2:3], v[42:43], v[46:49]
	v_perm_b32 v59, v53, v52, s5
	v_cmp_gt_u32_e32 vcc, 64, v0
	s_nop 0
	v_cvt_pk_f32_fp8_e32 v[46:47], v26
	v_mfma_f32_16x16x16_bf16 v[62:65], v[58:59], v[44:45], v[2:5]
	v_cvt_pk_f32_fp8_e32 v[58:59], v28
	s_nop 1
	v_cvt_pk_f32_fp8_sdwa v[2:3], v26 src0_sel:WORD_1
	v_cvt_pk_f32_fp8_e32 v[4:5], v27
	v_perm_b32 v26, v47, v46, s5
	v_cvt_pk_f32_fp8_sdwa v[46:47], v27 src0_sel:WORD_1
	v_perm_b32 v27, v3, v2, s5
	v_perm_b32 v52, v5, v4, s5
	ds_read_b128 v[2:5], v50 offset:4096
	v_perm_b32 v53, v47, v46, s5
	ds_read_b128 v[46:49], v50 offset:4112
	s_waitcnt lgkmcnt(1)
	v_mfma_f32_16x16x16_bf16 v[62:65], v[26:27], v[2:3], v[62:65]
	v_perm_b32 v26, v59, v58, s5
	v_perm_b32 v27, v67, v66, s5
	v_cvt_pk_f32_fp8_e32 v[58:59], v29
	v_mfma_f32_16x16x16_bf16 v[62:65], v[52:53], v[4:5], v[62:65]
	v_cvt_pk_f32_fp8_sdwa v[52:53], v29 src0_sel:WORD_1
	v_cvt_pk_f32_fp8_e32 v[66:67], v24
	v_perm_b32 v58, v59, v58, s5
	s_waitcnt lgkmcnt(0)
	v_mfma_f32_16x16x16_bf16 v[26:29], v[26:27], v[46:47], v[62:65]
	v_perm_b32 v59, v53, v52, s5
	v_cvt_pk_f32_fp8_e32 v[52:53], v22
	s_nop 0
	v_mfma_f32_16x16x16_bf16 v[62:65], v[58:59], v[48:49], v[26:29]
	s_nop 2
	v_cvt_pk_f32_fp8_sdwa v[26:27], v22 src0_sel:WORD_1
	v_cvt_pk_f32_fp8_e32 v[28:29], v23
	v_perm_b32 v22, v53, v52, s5
	v_cvt_pk_f32_fp8_sdwa v[52:53], v23 src0_sel:WORD_1
	v_perm_b32 v23, v27, v26, s5
	v_perm_b32 v58, v29, v28, s5
	ds_read_b128 v[26:29], v50 offset:6144
	v_perm_b32 v59, v53, v52, s5
	s_waitcnt lgkmcnt(0)
	v_mfma_f32_16x16x16_bf16 v[62:65], v[22:23], v[26:27], v[62:65]
	ds_read_b128 v[50:53], v50 offset:6160
	v_perm_b32 v22, v67, v66, s5
	v_perm_b32 v23, v69, v68, s5
	v_cvt_pk_f32_fp8_e32 v[66:67], v25
	v_mfma_f32_16x16x16_bf16 v[62:65], v[58:59], v[28:29], v[62:65]
	v_cvt_pk_f32_fp8_sdwa v[58:59], v25 src0_sel:WORD_1
	v_cvt_pk_f32_fp8_e32 v[68:69], v32
	v_perm_b32 v66, v67, v66, s5
	s_waitcnt lgkmcnt(0)
	v_mfma_f32_16x16x16_bf16 v[22:25], v[22:23], v[50:51], v[62:65]
	v_perm_b32 v67, v59, v58, s5
	v_cvt_pk_f32_fp8_sdwa v[58:59], v30 src0_sel:WORD_1
	s_nop 0
	v_mfma_f32_16x16x16_bf16 v[62:65], v[66:67], v[52:53], v[22:25]
	s_barrier
	s_nop 1
	v_cvt_pk_f32_fp8_e32 v[24:25], v30
	s_nop 2
	v_pk_mul_f32 v[66:67], v[62:63], s[4:5] op_sel_hi:[1,0]
	v_cvt_pk_f32_fp8_e32 v[62:63], v31
	v_perm_b32 v24, v25, v24, s5
	v_perm_b32 v25, v59, v58, s5
	v_cvt_pk_f32_fp8_sdwa v[30:31], v31 src0_sel:WORD_1
	v_perm_b32 v58, v63, v62, s5
	v_pk_mul_f32 v[22:23], v[64:65], s[4:5] op_sel_hi:[1,0]
	v_mfma_f32_16x16x16_bf16 v[62:65], v[24:25], v[34:35], 0
	v_perm_b32 v59, v31, v30, s5
	v_perm_b32 v24, v69, v68, s5
	;; [unrolled: 1-line block ×3, first 2 shown]
	v_cvt_pk_f32_fp8_e32 v[34:35], v33
	v_cvt_pk_f32_fp8_sdwa v[68:69], v33 src0_sel:WORD_1
	v_mfma_f32_16x16x16_bf16 v[30:33], v[58:59], v[36:37], v[62:65]
	s_waitcnt vmcnt(2)
	v_cvt_pk_f32_fp8_sdwa v[36:37], v18 src0_sel:WORD_1
	v_perm_b32 v34, v35, v34, s5
	v_perm_b32 v35, v69, v68, s5
	v_mfma_f32_16x16x16_bf16 v[30:33], v[24:25], v[38:39], v[30:33]
	v_cvt_pk_f32_fp8_e32 v[24:25], v18
	v_cvt_pk_f32_fp8_sdwa v[38:39], v20 src0_sel:WORD_1
	v_bfe_u32 v57, v67, 16, 1
	v_mfma_f32_16x16x16_bf16 v[30:33], v[34:35], v[40:41], v[30:33]
	v_cvt_pk_f32_fp8_e32 v[34:35], v19
	v_perm_b32 v24, v25, v24, s5
	v_perm_b32 v25, v37, v36, s5
	v_cvt_pk_f32_fp8_sdwa v[18:19], v19 src0_sel:WORD_1
	v_perm_b32 v34, v35, v34, s5
	v_cvt_pk_f32_fp8_e32 v[36:37], v20
	v_mfma_f32_16x16x16_bf16 v[30:33], v[24:25], v[6:7], v[30:33]
	v_perm_b32 v35, v19, v18, s5
	v_perm_b32 v18, v37, v36, s5
	;; [unrolled: 1-line block ×3, first 2 shown]
	v_cvt_pk_f32_fp8_e32 v[24:25], v21
	v_cvt_pk_f32_fp8_sdwa v[20:21], v21 src0_sel:WORD_1
	v_mfma_f32_16x16x16_bf16 v[6:9], v[34:35], v[8:9], v[30:33]
	v_bfe_u32 v58, v66, 16, 1
	v_perm_b32 v24, v25, v24, s5
	v_perm_b32 v25, v21, v20, s5
	v_mfma_f32_16x16x16_bf16 v[6:9], v[18:19], v[42:43], v[6:9]
	s_waitcnt vmcnt(1)
	v_cvt_pk_f32_fp8_e32 v[18:19], v14
	v_cvt_pk_f32_fp8_sdwa v[20:21], v14 src0_sel:WORD_1
	v_cvt_pk_f32_fp8_sdwa v[30:31], v16 src0_sel:WORD_1
	v_mfma_f32_16x16x16_bf16 v[6:9], v[24:25], v[44:45], v[6:9]
	v_cvt_pk_f32_fp8_e32 v[24:25], v15
	v_perm_b32 v18, v19, v18, s5
	v_perm_b32 v19, v21, v20, s5
	v_cvt_pk_f32_fp8_sdwa v[14:15], v15 src0_sel:WORD_1
	v_perm_b32 v20, v25, v24, s5
	v_cvt_pk_f32_fp8_e32 v[24:25], v16
	v_mfma_f32_16x16x16_bf16 v[6:9], v[18:19], v[2:3], v[6:9]
	v_perm_b32 v21, v15, v14, s5
	v_perm_b32 v14, v25, v24, s5
	;; [unrolled: 1-line block ×3, first 2 shown]
	v_cvt_pk_f32_fp8_e32 v[18:19], v17
	v_cvt_pk_f32_fp8_sdwa v[16:17], v17 src0_sel:WORD_1
	v_mfma_f32_16x16x16_bf16 v[2:5], v[20:21], v[4:5], v[6:9]
	v_add3_u32 v32, v66, v58, s9
	v_add3_u32 v33, v67, v57, s9
	s_nop 0
	v_perm_b32 v8, v19, v18, s5
	v_perm_b32 v9, v17, v16, s5
	v_mfma_f32_16x16x16_bf16 v[2:5], v[14:15], v[46:47], v[2:5]
	s_waitcnt vmcnt(0)
	v_cvt_pk_f32_fp8_e32 v[14:15], v10
	v_cvt_pk_f32_fp8_sdwa v[16:17], v10 src0_sel:WORD_1
	v_cvt_pk_f32_fp8_sdwa v[18:19], v12 src0_sel:WORD_1
	v_mfma_f32_16x16x16_bf16 v[2:5], v[8:9], v[48:49], v[2:5]
	v_cvt_pk_f32_fp8_e32 v[8:9], v11
	v_perm_b32 v14, v15, v14, s5
	v_perm_b32 v15, v17, v16, s5
	v_cvt_pk_f32_fp8_sdwa v[10:11], v11 src0_sel:WORD_1
	v_perm_b32 v8, v9, v8, s5
	v_cvt_pk_f32_fp8_e32 v[16:17], v12
	v_mfma_f32_16x16x16_bf16 v[2:5], v[14:15], v[26:27], v[2:5]
	v_perm_b32 v9, v11, v10, s5
	v_perm_b32 v10, v17, v16, s5
	;; [unrolled: 1-line block ×3, first 2 shown]
	v_cvt_pk_f32_fp8_e32 v[14:15], v13
	v_cvt_pk_f32_fp8_sdwa v[12:13], v13 src0_sel:WORD_1
	v_mfma_f32_16x16x16_bf16 v[2:5], v[8:9], v[28:29], v[2:5]
	v_bfe_u32 v7, v23, 16, 1
	v_perm_b32 v8, v15, v14, s5
	v_perm_b32 v9, v13, v12, s5
	v_mfma_f32_16x16x16_bf16 v[2:5], v[10:11], v[50:51], v[2:5]
	v_bfe_u32 v16, v22, 16, 1
	v_add3_u32 v10, v22, v16, s9
	v_add3_u32 v7, v23, v7, s9
	v_mfma_f32_16x16x16_bf16 v[2:5], v[8:9], v[52:53], v[2:5]
	v_perm_b32 v6, v33, v32, s5
	v_perm_b32 v7, v7, v10, s5
	s_nop 4
	v_pk_mul_f32 v[2:3], v[2:3], s[4:5] op_sel_hi:[1,0]
	v_pk_mul_f32 v[4:5], v[4:5], s[4:5] op_sel_hi:[1,0]
	v_bfe_u32 v8, v3, 16, 1
	v_bfe_u32 v9, v2, 16, 1
	v_add3_u32 v2, v2, v9, s9
	v_add3_u32 v3, v3, v8, s9
	v_perm_b32 v2, v3, v2, s5
	v_bfe_u32 v3, v5, 16, 1
	v_bfe_u32 v8, v4, 16, 1
	v_add3_u32 v4, v4, v8, s9
	v_add3_u32 v3, v5, v3, s9
	v_perm_b32 v3, v3, v4, s5
	ds_write2st64_b64 v55, v[6:7], v[2:3] offset1:1
	s_waitcnt lgkmcnt(0)
	s_barrier
	s_and_saveexec_b64 s[4:5], vcc
	s_cbranch_execz .LBB1298_20
; %bb.18:
	s_load_dwordx2 s[4:5], s[0:1], 0x68
	s_lshl_b32 s0, s7, 7
	s_mul_i32 s1, s8, s2
	v_lshlrev_b32_e32 v3, 6, v56
	s_mul_hi_u32 s9, s1, s0
	s_mul_i32 s8, s1, s0
	v_lshl_or_b32 v0, v0, 10, v3
	s_lshl_b64 s[8:9], s[8:9], 1
	v_lshlrev_b32_e32 v2, 5, v60
	v_and_b32_e32 v1, 16, v1
	v_and_b32_e32 v0, 0x1a00, v0
	s_waitcnt lgkmcnt(0)
	s_add_u32 s1, s4, s8
	v_or3_b32 v2, v0, v2, v1
	s_addc_u32 s4, s5, s9
	s_lshl_b32 s2, s6, 7
	s_lshl_b64 s[2:3], s[2:3], 1
	ds_read_b128 v[4:7], v2 offset:128
	ds_read_b128 v[8:11], v2
	s_add_u32 s2, s1, s2
	s_addc_u32 s3, s4, s3
	v_mov_b32_e32 v55, 0
	v_add_u32_e32 v3, s48, v60
	v_lshl_add_u64 v[0:1], s[2:3], 0, v[54:55]
	v_mad_u64_u32 v[12:13], s[2:3], v3, s0, 0
	v_lshl_add_u64 v[12:13], v[12:13], 1, v[0:1]
	v_add_u32_e32 v3, 4, v3
	s_waitcnt lgkmcnt(0)
	global_store_dwordx4 v[12:13], v[8:11], off
	v_cmp_ne_u32_e32 vcc, 3, v60
	s_nop 0
	v_mad_u64_u32 v[8:9], s[2:3], v3, s0, 0
	v_lshl_add_u64 v[8:9], v[8:9], 1, v[0:1]
	global_store_dwordx4 v[8:9], v[4:7], off
	s_and_b64 exec, exec, vcc
	s_cbranch_execz .LBB1298_20
; %bb.19:
	ds_read_b128 v[2:5], v2 offset:256
	v_add3_u32 v6, s48, v60, 8
	v_mad_u64_u32 v[6:7], s[0:1], v6, s0, 0
	v_lshl_add_u64 v[0:1], v[6:7], 1, v[0:1]
	s_waitcnt lgkmcnt(0)
	global_store_dwordx4 v[0:1], v[2:5], off
.LBB1298_20:
	s_endpgm
	.section	.rodata,"a",@progbits
	.p2align	6, 0x0
	.amdhsa_kernel _Z39paged_attention_ll4mi_QKV_mfma16_kernelI14__hip_bfloat16hLN4vllm18Fp8KVCacheDataTypeE1ES0_Li16ELi128ELi256ELb1ELi11EEvPKT_PKT0_S8_ifPKiSA_SA_iPKfiiiPfSD_PS3_PT2_iSC_SC_
		.amdhsa_group_segment_fixed_size 8192
		.amdhsa_private_segment_fixed_size 0
		.amdhsa_kernarg_size 400
		.amdhsa_user_sgpr_count 2
		.amdhsa_user_sgpr_dispatch_ptr 0
		.amdhsa_user_sgpr_queue_ptr 0
		.amdhsa_user_sgpr_kernarg_segment_ptr 1
		.amdhsa_user_sgpr_dispatch_id 0
		.amdhsa_user_sgpr_kernarg_preload_length 0
		.amdhsa_user_sgpr_kernarg_preload_offset 0
		.amdhsa_user_sgpr_private_segment_size 0
		.amdhsa_uses_dynamic_stack 0
		.amdhsa_enable_private_segment 0
		.amdhsa_system_sgpr_workgroup_id_x 1
		.amdhsa_system_sgpr_workgroup_id_y 1
		.amdhsa_system_sgpr_workgroup_id_z 1
		.amdhsa_system_sgpr_workgroup_info 0
		.amdhsa_system_vgpr_workitem_id 0
		.amdhsa_next_free_vgpr 76
		.amdhsa_next_free_sgpr 50
		.amdhsa_accum_offset 76
		.amdhsa_reserve_vcc 1
		.amdhsa_float_round_mode_32 0
		.amdhsa_float_round_mode_16_64 0
		.amdhsa_float_denorm_mode_32 3
		.amdhsa_float_denorm_mode_16_64 3
		.amdhsa_dx10_clamp 1
		.amdhsa_ieee_mode 1
		.amdhsa_fp16_overflow 0
		.amdhsa_tg_split 0
		.amdhsa_exception_fp_ieee_invalid_op 0
		.amdhsa_exception_fp_denorm_src 0
		.amdhsa_exception_fp_ieee_div_zero 0
		.amdhsa_exception_fp_ieee_overflow 0
		.amdhsa_exception_fp_ieee_underflow 0
		.amdhsa_exception_fp_ieee_inexact 0
		.amdhsa_exception_int_div_zero 0
	.end_amdhsa_kernel
	.section	.text._Z39paged_attention_ll4mi_QKV_mfma16_kernelI14__hip_bfloat16hLN4vllm18Fp8KVCacheDataTypeE1ES0_Li16ELi128ELi256ELb1ELi11EEvPKT_PKT0_S8_ifPKiSA_SA_iPKfiiiPfSD_PS3_PT2_iSC_SC_,"axG",@progbits,_Z39paged_attention_ll4mi_QKV_mfma16_kernelI14__hip_bfloat16hLN4vllm18Fp8KVCacheDataTypeE1ES0_Li16ELi128ELi256ELb1ELi11EEvPKT_PKT0_S8_ifPKiSA_SA_iPKfiiiPfSD_PS3_PT2_iSC_SC_,comdat
.Lfunc_end1298:
	.size	_Z39paged_attention_ll4mi_QKV_mfma16_kernelI14__hip_bfloat16hLN4vllm18Fp8KVCacheDataTypeE1ES0_Li16ELi128ELi256ELb1ELi11EEvPKT_PKT0_S8_ifPKiSA_SA_iPKfiiiPfSD_PS3_PT2_iSC_SC_, .Lfunc_end1298-_Z39paged_attention_ll4mi_QKV_mfma16_kernelI14__hip_bfloat16hLN4vllm18Fp8KVCacheDataTypeE1ES0_Li16ELi128ELi256ELb1ELi11EEvPKT_PKT0_S8_ifPKiSA_SA_iPKfiiiPfSD_PS3_PT2_iSC_SC_
                                        ; -- End function
	.section	.AMDGPU.csdata,"",@progbits
; Kernel info:
; codeLenInByte = 6616
; NumSgprs: 56
; NumVgprs: 76
; NumAgprs: 0
; TotalNumVgprs: 76
; ScratchSize: 0
; MemoryBound: 0
; FloatMode: 240
; IeeeMode: 1
; LDSByteSize: 8192 bytes/workgroup (compile time only)
; SGPRBlocks: 6
; VGPRBlocks: 9
; NumSGPRsForWavesPerEU: 56
; NumVGPRsForWavesPerEU: 76
; AccumOffset: 76
; Occupancy: 6
; WaveLimiterHint : 1
; COMPUTE_PGM_RSRC2:SCRATCH_EN: 0
; COMPUTE_PGM_RSRC2:USER_SGPR: 2
; COMPUTE_PGM_RSRC2:TRAP_HANDLER: 0
; COMPUTE_PGM_RSRC2:TGID_X_EN: 1
; COMPUTE_PGM_RSRC2:TGID_Y_EN: 1
; COMPUTE_PGM_RSRC2:TGID_Z_EN: 1
; COMPUTE_PGM_RSRC2:TIDIG_COMP_CNT: 0
; COMPUTE_PGM_RSRC3_GFX90A:ACCUM_OFFSET: 18
; COMPUTE_PGM_RSRC3_GFX90A:TG_SPLIT: 0
	.section	.text._Z39paged_attention_ll4mi_QKV_mfma16_kernelI14__hip_bfloat16hLN4vllm18Fp8KVCacheDataTypeE1ES0_Li16ELi128ELi256ELb1ELi12EEvPKT_PKT0_S8_ifPKiSA_SA_iPKfiiiPfSD_PS3_PT2_iSC_SC_,"axG",@progbits,_Z39paged_attention_ll4mi_QKV_mfma16_kernelI14__hip_bfloat16hLN4vllm18Fp8KVCacheDataTypeE1ES0_Li16ELi128ELi256ELb1ELi12EEvPKT_PKT0_S8_ifPKiSA_SA_iPKfiiiPfSD_PS3_PT2_iSC_SC_,comdat
	.protected	_Z39paged_attention_ll4mi_QKV_mfma16_kernelI14__hip_bfloat16hLN4vllm18Fp8KVCacheDataTypeE1ES0_Li16ELi128ELi256ELb1ELi12EEvPKT_PKT0_S8_ifPKiSA_SA_iPKfiiiPfSD_PS3_PT2_iSC_SC_ ; -- Begin function _Z39paged_attention_ll4mi_QKV_mfma16_kernelI14__hip_bfloat16hLN4vllm18Fp8KVCacheDataTypeE1ES0_Li16ELi128ELi256ELb1ELi12EEvPKT_PKT0_S8_ifPKiSA_SA_iPKfiiiPfSD_PS3_PT2_iSC_SC_
	.globl	_Z39paged_attention_ll4mi_QKV_mfma16_kernelI14__hip_bfloat16hLN4vllm18Fp8KVCacheDataTypeE1ES0_Li16ELi128ELi256ELb1ELi12EEvPKT_PKT0_S8_ifPKiSA_SA_iPKfiiiPfSD_PS3_PT2_iSC_SC_
	.p2align	8
	.type	_Z39paged_attention_ll4mi_QKV_mfma16_kernelI14__hip_bfloat16hLN4vllm18Fp8KVCacheDataTypeE1ES0_Li16ELi128ELi256ELb1ELi12EEvPKT_PKT0_S8_ifPKiSA_SA_iPKfiiiPfSD_PS3_PT2_iSC_SC_,@function
_Z39paged_attention_ll4mi_QKV_mfma16_kernelI14__hip_bfloat16hLN4vllm18Fp8KVCacheDataTypeE1ES0_Li16ELi128ELi256ELb1ELi12EEvPKT_PKT0_S8_ifPKiSA_SA_iPKfiiiPfSD_PS3_PT2_iSC_SC_: ; @_Z39paged_attention_ll4mi_QKV_mfma16_kernelI14__hip_bfloat16hLN4vllm18Fp8KVCacheDataTypeE1ES0_Li16ELi128ELi256ELb1ELi12EEvPKT_PKT0_S8_ifPKiSA_SA_iPKfiiiPfSD_PS3_PT2_iSC_SC_
; %bb.0:
	s_load_dwordx2 s[10:11], s[0:1], 0x30
	s_mov_b32 s6, s3
	s_mov_b64 s[8:9], 0
	s_waitcnt lgkmcnt(0)
	s_cmp_lg_u64 s[10:11], 0
	s_cselect_b64 s[12:13], -1, 0
	s_and_b64 vcc, exec, s[12:13]
	s_cbranch_vccz .LBB1299_7
; %bb.1:
	s_add_i32 s14, s2, 1
	s_mov_b32 s15, 0
	s_lshl_b64 s[16:17], s[14:15], 2
	s_add_u32 s16, s10, s16
	s_mov_b32 s3, s15
	s_addc_u32 s17, s11, s17
	s_lshl_b64 s[14:15], s[2:3], 2
	s_add_u32 s14, s10, s14
	s_addc_u32 s15, s11, s15
	s_load_dword s5, s[16:17], 0x0
	s_load_dword s7, s[14:15], 0x0
	s_waitcnt lgkmcnt(0)
	s_sub_i32 s5, s5, s7
	s_cmp_eq_u32 s5, 1
	s_cselect_b64 s[14:15], -1, 0
	s_andn2_b64 vcc, exec, s[8:9]
	s_cbranch_vccnz .LBB1299_3
.LBB1299_2:
	s_mov_b32 s3, 0
	s_mov_b64 s[14:15], -1
.LBB1299_3:
	s_andn2_b64 vcc, exec, s[14:15]
	s_cbranch_vccnz .LBB1299_19
; %bb.4:
	s_load_dwordx2 s[8:9], s[0:1], 0x28
	s_lshl_b64 s[14:15], s[2:3], 2
	s_waitcnt lgkmcnt(0)
	s_add_u32 s8, s8, s14
	s_addc_u32 s9, s9, s15
	s_load_dword s7, s[8:9], 0x0
	s_lshl_b32 s18, s6, 8
	s_waitcnt lgkmcnt(0)
	s_cmp_ge_i32 s18, s7
	s_cbranch_scc1 .LBB1299_19
; %bb.5:
	s_load_dwordx2 s[8:9], s[0:1], 0x20
	s_load_dword s5, s[0:1], 0x38
	s_add_i32 s16, s7, 15
	s_ashr_i32 s17, s16, 31
	v_and_b32_e32 v1, 0xcf, v0
	s_lshr_b32 s17, s17, 28
	v_add_u32_e32 v1, s18, v1
	s_add_i32 s16, s16, s17
	v_ashrrev_i32_e32 v2, 31, v1
	s_ashr_i32 s19, s16, 4
	v_lshrrev_b32_e32 v4, 28, v2
	s_add_i32 s19, s19, -1
	s_waitcnt lgkmcnt(0)
	s_mul_i32 s16, s2, s5
	s_mov_b32 s17, 0
	v_add_u32_e32 v2, v1, v4
	s_lshl_b64 s[16:17], s[16:17], 2
	v_ashrrev_i32_e32 v2, 4, v2
	v_mov_b32_e32 v5, s19
	v_cmp_gt_i32_e32 vcc, s7, v1
	s_add_u32 s8, s8, s16
	s_addc_u32 s9, s9, s17
	v_cndmask_b32_e32 v2, v5, v2, vcc
	v_ashrrev_i32_e32 v3, 31, v2
	v_lshl_add_u64 v[6:7], v[2:3], 2, s[8:9]
	v_or_b32_e32 v2, 16, v1
	v_add_u32_e32 v3, v2, v4
	v_ashrrev_i32_e32 v3, 4, v3
	v_cmp_gt_i32_e32 vcc, s7, v2
	s_load_dwordx2 s[16:17], s[0:1], 0x8
	s_nop 0
	v_cndmask_b32_e32 v2, v5, v3, vcc
	v_ashrrev_i32_e32 v3, 31, v2
	v_lshl_add_u64 v[8:9], v[2:3], 2, s[8:9]
	v_or_b32_e32 v2, 32, v1
	v_add_u32_e32 v3, v2, v4
	v_ashrrev_i32_e32 v3, 4, v3
	v_cmp_gt_i32_e32 vcc, s7, v2
	v_or_b32_e32 v1, 48, v1
	s_nop 0
	v_cndmask_b32_e32 v2, v5, v3, vcc
	v_ashrrev_i32_e32 v3, 31, v2
	v_lshl_add_u64 v[12:13], v[2:3], 2, s[8:9]
	v_add_u32_e32 v2, v1, v4
	v_ashrrev_i32_e32 v2, 4, v2
	v_cmp_gt_i32_e32 vcc, s7, v1
	s_nop 1
	v_cndmask_b32_e32 v2, v5, v2, vcc
	v_ashrrev_i32_e32 v3, 31, v2
	v_lshl_add_u64 v[14:15], v[2:3], 2, s[8:9]
	global_load_dword v4, v[6:7], off
	global_load_dword v3, v[8:9], off
	;; [unrolled: 1-line block ×4, first 2 shown]
	s_andn2_b64 vcc, exec, s[12:13]
	s_cbranch_vccnz .LBB1299_8
; %bb.6:
	s_add_u32 s10, s10, s14
	s_addc_u32 s11, s11, s15
	s_load_dword s5, s[10:11], 0x0
	s_branch .LBB1299_9
.LBB1299_7:
	s_mov_b64 s[14:15], 0
	s_branch .LBB1299_2
.LBB1299_8:
	s_mov_b32 s5, s2
.LBB1299_9:
	s_load_dwordx2 s[10:11], s[0:1], 0x10
	s_load_dwordx4 s[44:47], s[0:1], 0x48
	v_and_b32_e32 v56, 15, v0
	v_lshlrev_b32_e32 v5, 3, v56
	s_movk_i32 s12, 0xc0
	v_lshrrev_b32_e32 v57, 6, v0
	v_bfe_u32 v1, v0, 4, 2
	s_mul_i32 s48, s4, 12
	v_cmp_gt_u32_e32 vcc, s12, v0
	v_lshlrev_b32_e32 v54, 1, v5
	v_lshlrev_b32_e32 v60, 4, v0
	s_and_saveexec_b64 s[12:13], vcc
	s_cbranch_execz .LBB1299_11
; %bb.10:
	s_load_dwordx2 s[14:15], s[0:1], 0x0
	s_waitcnt lgkmcnt(0)
	s_ashr_i32 s20, s44, 31
	s_mul_hi_u32 s21, s5, s44
	s_mul_i32 s20, s5, s20
	s_add_i32 s21, s21, s20
	s_mul_i32 s20, s5, s44
	v_lshl_or_b32 v5, v57, 2, v1
	s_lshl_b64 s[20:21], s[20:21], 1
	s_add_u32 s14, s14, s20
	v_add_lshl_u32 v6, v5, s48, 7
	s_addc_u32 s15, s15, s21
	v_ashrrev_i32_e32 v7, 31, v6
	v_lshl_add_u64 v[6:7], v[6:7], 1, s[14:15]
	v_mov_b32_e32 v55, 0
	v_lshl_add_u64 v[6:7], v[6:7], 0, v[54:55]
	global_load_dwordx4 v[6:9], v[6:7], off
	v_lshlrev_b32_e32 v12, 8, v0
	v_lshlrev_b32_e32 v11, 8, v56
	v_and_b32_e32 v12, 0x600, v12
	s_movk_i32 s5, 0x800
	v_and_or_b32 v11, v11, s5, v12
	v_lshlrev_b32_e32 v5, 5, v5
	v_and_b32_e32 v12, 16, v60
	v_or3_b32 v5, v11, v5, v12
	s_waitcnt vmcnt(0)
	ds_write_b128 v5, v[6:9]
.LBB1299_11:
	s_or_b64 exec, exec, s[12:13]
	s_waitcnt lgkmcnt(0)
	s_mul_i32 s12, s4, s46
	s_add_u32 s4, s16, s12
	s_addc_u32 s5, s17, 0
	v_and_b32_e32 v58, 0xf0, v60
	v_mov_b32_e32 v59, 0
	v_and_b32_e32 v34, 48, v0
	v_lshl_add_u64 v[12:13], s[4:5], 0, v[58:59]
	v_lshlrev_b32_e32 v58, 4, v34
	s_waitcnt vmcnt(3)
	v_mad_i64_i32 v[4:5], s[4:5], v4, s45, v[12:13]
	v_lshl_add_u64 v[4:5], v[4:5], 0, v[58:59]
	s_barrier
	global_load_dwordx4 v[50:53], v[4:5], off
	global_load_dwordx4 v[46:49], v[4:5], off offset:1024
	s_waitcnt vmcnt(4)
	v_mad_i64_i32 v[4:5], s[4:5], v3, s45, v[12:13]
	s_waitcnt vmcnt(3)
	v_mad_i64_i32 v[2:3], s[4:5], v2, s45, v[12:13]
	v_lshl_add_u64 v[4:5], v[4:5], 0, v[58:59]
	v_lshl_add_u64 v[14:15], v[2:3], 0, v[58:59]
	s_waitcnt vmcnt(2)
	v_mad_i64_i32 v[10:11], s[4:5], v10, s45, v[12:13]
	global_load_dwordx4 v[36:39], v[4:5], off
	global_load_dwordx4 v[6:9], v[4:5], off offset:1024
	s_nop 0
	global_load_dwordx4 v[2:5], v[14:15], off
	global_load_dwordx4 v[42:45], v[14:15], off offset:1024
	v_lshl_add_u64 v[14:15], v[10:11], 0, v[58:59]
	global_load_dwordx4 v[26:29], v[14:15], off
	global_load_dwordx4 v[10:13], v[14:15], off offset:1024
	v_add_u32_e32 v14, -12, v56
	v_cmp_gt_u32_e32 vcc, 12, v56
	v_and_b32_e32 v55, 63, v0
	v_mov_b32_e32 v61, 0
	v_cndmask_b32_e32 v14, v14, v56, vcc
	v_lshlrev_b32_e32 v14, 5, v14
	v_lshl_add_u32 v14, v1, 9, v14
	ds_read_b128 v[30:33], v14
	ds_read_b128 v[22:25], v14 offset:16
	ds_read_b128 v[18:21], v14 offset:2048
	;; [unrolled: 1-line block ×3, first 2 shown]
	s_and_saveexec_b64 s[4:5], vcc
	s_cbranch_execz .LBB1299_13
; %bb.12:
	s_load_dwordx2 s[14:15], s[0:1], 0x40
	v_add_u32_e32 v40, s48, v56
	v_ashrrev_i32_e32 v41, 31, v40
	s_waitcnt lgkmcnt(0)
	v_lshl_add_u64 v[40:41], v[40:41], 2, s[14:15]
	global_load_dword v61, v[40:41], off
.LBB1299_13:
	s_or_b64 exec, exec, s[4:5]
	v_or_b32_e32 v58, s18, v34
	v_ashrrev_i32_e32 v34, 4, v58
	v_mov_b32_e32 v63, s19
	v_cmp_gt_i32_e32 vcc, s7, v58
	s_waitcnt vmcnt(7)
	v_cvt_pk_f32_fp8_e32 v[40:41], v50
	v_cvt_pk_f32_fp8_sdwa v[64:65], v50 src0_sel:WORD_1
	v_cndmask_b32_e32 v34, v63, v34, vcc
	v_ashrrev_i32_e32 v35, 31, v34
	v_lshl_add_u64 v[34:35], v[34:35], 2, s[8:9]
	global_load_dword v62, v[34:35], off
	v_or_b32_e32 v34, 64, v58
	v_ashrrev_i32_e32 v35, 4, v34
	v_cmp_gt_i32_e32 vcc, s7, v34
	v_or_b32_e32 v66, 0x80, v58
	v_ashrrev_i32_e32 v67, 4, v66
	v_cndmask_b32_e32 v34, v63, v35, vcc
	v_cmp_gt_i32_e32 vcc, s7, v66
	s_mov_b32 s33, 0x7060302
	v_perm_b32 v40, v41, v40, s33
	v_cndmask_b32_e32 v50, v63, v67, vcc
	v_perm_b32 v41, v65, v64, s33
	v_cvt_pk_f32_fp8_e32 v[64:65], v51
	v_cvt_pk_f32_fp8_sdwa v[66:67], v51 src0_sel:WORD_1
	v_ashrrev_i32_e32 v51, 31, v50
	v_lshl_add_u64 v[68:69], v[50:51], 2, s[8:9]
	v_perm_b32 v50, v65, v64, s33
	v_perm_b32 v51, v67, v66, s33
	s_waitcnt lgkmcnt(3)
	v_mfma_f32_16x16x16_bf16 v[64:67], v[40:41], v[30:31], 0
	v_cvt_pk_f32_fp8_e32 v[40:41], v52
	v_cvt_pk_f32_fp8_sdwa v[70:71], v52 src0_sel:WORD_1
	s_waitcnt vmcnt(7)
	v_cvt_pk_f32_fp8_e32 v[72:73], v46
	v_mfma_f32_16x16x16_bf16 v[64:67], v[50:51], v[32:33], v[64:67]
	v_cvt_pk_f32_fp8_e32 v[50:51], v53
	v_perm_b32 v40, v41, v40, s33
	v_perm_b32 v41, v71, v70, s33
	v_cvt_pk_f32_fp8_sdwa v[52:53], v53 src0_sel:WORD_1
	v_perm_b32 v70, v51, v50, s33
	v_cvt_pk_f32_fp8_sdwa v[74:75], v46 src0_sel:WORD_1
	v_ashrrev_i32_e32 v35, 31, v34
	v_perm_b32 v71, v53, v52, s33
	s_waitcnt lgkmcnt(2)
	v_mfma_f32_16x16x16_bf16 v[50:53], v[40:41], v[22:23], v[64:67]
	v_perm_b32 v40, v73, v72, s33
	v_perm_b32 v41, v75, v74, s33
	v_or_b32_e32 v58, 0xc0, v58
	v_cvt_pk_f32_fp8_e32 v[64:65], v47
	v_cvt_pk_f32_fp8_sdwa v[46:47], v47 src0_sel:WORD_1
	v_mfma_f32_16x16x16_bf16 v[50:53], v[70:71], v[24:25], v[50:53]
	v_lshl_add_u64 v[34:35], v[34:35], 2, s[8:9]
	v_perm_b32 v64, v65, v64, s33
	v_perm_b32 v65, v47, v46, s33
	s_waitcnt lgkmcnt(1)
	v_mfma_f32_16x16x16_bf16 v[50:53], v[40:41], v[18:19], v[50:53]
	v_ashrrev_i32_e32 v66, 4, v58
	v_cmp_gt_i32_e32 vcc, s7, v58
	v_cvt_pk_f32_fp8_e32 v[46:47], v48
	s_waitcnt vmcnt(6)
	v_cvt_pk_f32_fp8_sdwa v[70:71], v36 src0_sel:WORD_1
	v_cndmask_b32_e32 v40, v63, v66, vcc
	v_mfma_f32_16x16x16_bf16 v[64:67], v[64:65], v[20:21], v[50:53]
	v_ashrrev_i32_e32 v41, 31, v40
	v_lshl_add_u64 v[40:41], v[40:41], 2, s[8:9]
	v_perm_b32 v46, v47, v46, s33
	global_load_dword v53, v[34:35], off
	global_load_dword v63, v[40:41], off
	v_cvt_pk_f32_fp8_sdwa v[50:51], v48 src0_sel:WORD_1
	v_cvt_pk_f32_fp8_e32 v[34:35], v49
	v_cvt_pk_f32_fp8_sdwa v[48:49], v49 src0_sel:WORD_1
	s_add_u32 s46, s10, s12
	v_perm_b32 v47, v51, v50, s33
	v_perm_b32 v34, v35, v34, s33
	;; [unrolled: 1-line block ×3, first 2 shown]
	s_waitcnt lgkmcnt(0)
	v_mfma_f32_16x16x16_bf16 v[46:49], v[46:47], v[14:15], v[64:67]
	v_cvt_pk_f32_fp8_e32 v[50:51], v36
	s_nop 1
	global_load_dword v64, v[68:69], off
	v_cvt_pk_f32_fp8_e32 v[66:67], v37
	s_waitcnt vmcnt(8)
	v_cvt_pk_f32_fp8_e32 v[68:69], v6
	v_perm_b32 v50, v51, v50, s33
	v_perm_b32 v51, v71, v70, s33
	v_cvt_pk_f32_fp8_sdwa v[70:71], v37 src0_sel:WORD_1
	v_perm_b32 v40, v67, v66, s33
	v_mfma_f32_16x16x16_bf16 v[34:37], v[34:35], v[16:17], v[46:49]
	v_cvt_pk_f32_fp8_sdwa v[66:67], v38 src0_sel:WORD_1
	v_perm_b32 v41, v71, v70, s33
	v_cvt_pk_f32_fp8_sdwa v[70:71], v6 src0_sel:WORD_1
	v_mfma_f32_16x16x16_bf16 v[46:49], v[50:51], v[30:31], 0
	v_cvt_pk_f32_fp8_e32 v[50:51], v38
	v_lshl_or_b32 v52, v57, 4, v56
	s_waitcnt vmcnt(6)
	v_cvt_pk_f32_fp8_e32 v[72:73], v43
	v_mfma_f32_16x16x16_bf16 v[46:49], v[40:41], v[32:33], v[46:49]
	v_cvt_pk_f32_fp8_e32 v[40:41], v39
	v_perm_b32 v50, v51, v50, s33
	v_perm_b32 v51, v67, v66, s33
	v_cvt_pk_f32_fp8_sdwa v[38:39], v39 src0_sel:WORD_1
	v_perm_b32 v66, v41, v40, s33
	s_addc_u32 s47, s11, 0
	v_lshlrev_b32_e32 v58, 4, v52
	v_perm_b32 v67, v39, v38, s33
	v_mfma_f32_16x16x16_bf16 v[38:41], v[50:51], v[22:23], v[46:49]
	v_cvt_pk_f32_fp8_sdwa v[50:51], v2 src0_sel:WORD_1
	s_nop 1
	v_perm_b32 v46, v69, v68, s33
	v_perm_b32 v47, v71, v70, s33
	v_cvt_pk_f32_fp8_e32 v[48:49], v7
	v_cvt_pk_f32_fp8_sdwa v[6:7], v7 src0_sel:WORD_1
	v_mfma_f32_16x16x16_bf16 v[38:41], v[66:67], v[24:25], v[38:41]
	v_lshl_add_u64 v[70:71], s[46:47], 0, v[58:59]
	v_perm_b32 v48, v49, v48, s33
	v_perm_b32 v49, v7, v6, s33
	v_mfma_f32_16x16x16_bf16 v[38:41], v[46:47], v[18:19], v[38:41]
	v_cvt_pk_f32_fp8_e32 v[6:7], v8
	v_cvt_pk_f32_fp8_sdwa v[46:47], v8 src0_sel:WORD_1
	v_or_b32_e32 v58, 0x400, v58
	v_mfma_f32_16x16x16_bf16 v[38:41], v[48:49], v[20:21], v[38:41]
	v_cvt_pk_f32_fp8_e32 v[48:49], v9
	v_perm_b32 v6, v7, v6, s33
	v_perm_b32 v7, v47, v46, s33
	v_cvt_pk_f32_fp8_sdwa v[8:9], v9 src0_sel:WORD_1
	v_perm_b32 v46, v49, v48, s33
	v_cvt_pk_f32_fp8_e32 v[48:49], v2
	v_perm_b32 v47, v9, v8, s33
	v_mfma_f32_16x16x16_bf16 v[6:9], v[6:7], v[14:15], v[38:41]
	v_perm_b32 v48, v49, v48, s33
	v_perm_b32 v49, v51, v50, s33
	v_cvt_pk_f32_fp8_e32 v[50:51], v3
	v_cvt_pk_f32_fp8_sdwa v[2:3], v3 src0_sel:WORD_1
	v_mfma_f32_16x16x16_bf16 v[38:41], v[46:47], v[16:17], v[6:9]
	v_perm_b32 v46, v51, v50, s33
	v_perm_b32 v47, v3, v2, s33
	v_mfma_f32_16x16x16_bf16 v[6:9], v[48:49], v[30:31], 0
	v_cvt_pk_f32_fp8_e32 v[2:3], v4
	v_cvt_pk_f32_fp8_sdwa v[48:49], v4 src0_sel:WORD_1
	s_waitcnt vmcnt(3)
	v_mad_i64_i32 v[50:51], s[4:5], v62, s45, v[70:71]
	v_perm_b32 v2, v3, v2, s33
	v_perm_b32 v3, v49, v48, s33
	v_mfma_f32_16x16x16_bf16 v[6:9], v[46:47], v[32:33], v[6:9]
	v_cvt_pk_f32_fp8_e32 v[46:47], v5
	v_cvt_pk_f32_fp8_sdwa v[4:5], v5 src0_sel:WORD_1
	s_waitcnt vmcnt(2)
	v_mad_i64_i32 v[66:67], s[4:5], v53, s45, v[70:71]
	v_perm_b32 v46, v47, v46, s33
	v_perm_b32 v47, v5, v4, s33
	v_mfma_f32_16x16x16_bf16 v[2:5], v[2:3], v[22:23], v[6:9]
	s_nop 2
	v_cvt_pk_f32_fp8_e32 v[6:7], v42
	v_cvt_pk_f32_fp8_sdwa v[8:9], v42 src0_sel:WORD_1
	v_cvt_pk_f32_fp8_sdwa v[42:43], v43 src0_sel:WORD_1
	v_mfma_f32_16x16x16_bf16 v[46:49], v[46:47], v[24:25], v[2:5]
	v_perm_b32 v68, v7, v6, s33
	v_perm_b32 v69, v9, v8, s33
	global_load_dwordx4 v[6:9], v[50:51], off
	global_load_dwordx4 v[2:5], v[66:67], off
	v_perm_b32 v66, v73, v72, s33
	v_perm_b32 v67, v43, v42, s33
	v_mfma_f32_16x16x16_bf16 v[48:51], v[68:69], v[18:19], v[46:49]
	v_cvt_pk_f32_fp8_e32 v[42:43], v44
	v_cvt_pk_f32_fp8_sdwa v[72:73], v44 src0_sel:WORD_1
	s_waitcnt vmcnt(2)
	v_mad_i64_i32 v[46:47], s[4:5], v64, s45, v[70:71]
	v_mfma_f32_16x16x16_bf16 v[66:69], v[66:67], v[20:21], v[48:51]
	v_perm_b32 v42, v43, v42, s33
	v_perm_b32 v43, v73, v72, s33
	v_cvt_pk_f32_fp8_sdwa v[72:73], v26 src0_sel:WORD_1
	v_cvt_pk_f32_fp8_e32 v[50:51], v45
	v_cvt_pk_f32_fp8_sdwa v[44:45], v45 src0_sel:WORD_1
	v_mad_i64_i32 v[48:49], s[4:5], v63, s45, v[70:71]
	v_perm_b32 v50, v51, v50, s33
	v_perm_b32 v51, v45, v44, s33
	v_mfma_f32_16x16x16_bf16 v[42:45], v[42:43], v[14:15], v[66:69]
	v_cvt_pk_f32_fp8_e32 v[70:71], v26
	s_load_dword s4, s[0:1], 0x1c
	s_load_dwordx4 s[40:43], s[0:1], 0x80
	s_load_dword s44, s[0:1], 0x98
	s_waitcnt lgkmcnt(0)
	s_load_dword s5, s[40:41], 0x0
	v_mfma_f32_16x16x16_bf16 v[66:69], v[50:51], v[16:17], v[42:45]
	s_mov_b32 s40, 0xff7fffff
	s_nop 1
	v_cvt_pk_f32_fp8_e32 v[42:43], v27
	v_perm_b32 v44, v71, v70, s33
	v_perm_b32 v45, v73, v72, s33
	v_cvt_pk_f32_fp8_sdwa v[26:27], v27 src0_sel:WORD_1
	v_perm_b32 v50, v43, v42, s33
	v_cvt_pk_f32_fp8_e32 v[70:71], v28
	v_cvt_pk_f32_fp8_sdwa v[72:73], v28 src0_sel:WORD_1
	v_perm_b32 v51, v27, v26, s33
	v_mfma_f32_16x16x16_bf16 v[42:45], v[44:45], v[30:31], 0
	v_perm_b32 v30, v71, v70, s33
	v_perm_b32 v31, v73, v72, s33
	v_cvt_pk_f32_fp8_e32 v[70:71], v29
	v_cvt_pk_f32_fp8_sdwa v[72:73], v29 src0_sel:WORD_1
	v_mfma_f32_16x16x16_bf16 v[26:29], v[50:51], v[32:33], v[42:45]
	v_mov_b32_e32 v32, s4
	s_waitcnt lgkmcnt(0)
	v_mul_f32_e32 v50, s5, v32
	v_pk_mul_f32 v[32:33], v[50:51], v[34:35] op_sel_hi:[0,1]
	v_perm_b32 v42, v71, v70, s33
	v_perm_b32 v43, v73, v72, s33
	v_mfma_f32_16x16x16_bf16 v[26:29], v[30:31], v[22:23], v[26:29]
	v_pk_mul_f32 v[30:31], v[50:51], v[36:37] op_sel_hi:[0,1]
	v_cvt_pk_f32_fp8_e32 v[22:23], v10
	v_cvt_pk_f32_fp8_sdwa v[70:71], v12 src0_sel:WORD_1
	v_mfma_f32_16x16x16_bf16 v[34:37], v[42:43], v[24:25], v[26:29]
	v_cvt_pk_f32_fp8_sdwa v[24:25], v10 src0_sel:WORD_1
	v_perm_b32 v42, v23, v22, s33
	v_pk_mul_f32 v[40:41], v[50:51], v[40:41] op_sel_hi:[0,1]
	v_cvt_pk_f32_fp8_e32 v[26:27], v11
	v_cvt_pk_f32_fp8_sdwa v[10:11], v11 src0_sel:WORD_1
	v_perm_b32 v43, v25, v24, s33
	v_perm_b32 v44, v27, v26, s33
	;; [unrolled: 1-line block ×3, first 2 shown]
	v_cvt_pk_f32_fp8_e32 v[10:11], v12
	v_mfma_f32_16x16x16_bf16 v[34:37], v[42:43], v[18:19], v[34:37]
	global_load_dwordx4 v[26:29], v[46:47], off
	global_load_dwordx4 v[22:25], v[48:49], off
	v_perm_b32 v19, v71, v70, s33
	v_perm_b32 v18, v11, v10, s33
	v_cvt_pk_f32_fp8_e32 v[42:43], v13
	v_cvt_pk_f32_fp8_sdwa v[46:47], v13 src0_sel:WORD_1
	v_mfma_f32_16x16x16_bf16 v[10:13], v[44:45], v[20:21], v[34:37]
	v_pk_mul_f32 v[44:45], v[50:51], v[38:39] op_sel_hi:[0,1]
	v_perm_b32 v20, v43, v42, s33
	v_perm_b32 v21, v47, v46, s33
	v_mfma_f32_16x16x16_bf16 v[10:13], v[18:19], v[14:15], v[10:13]
	v_pk_mul_f32 v[38:39], v[50:51], v[68:69] op_sel_hi:[0,1]
	v_pk_mul_f32 v[42:43], v[50:51], v[66:67] op_sel_hi:[0,1]
	v_mfma_f32_16x16x16_bf16 v[10:13], v[20:21], v[16:17], v[10:13]
	s_nop 6
	v_pk_mul_f32 v[36:37], v[50:51], v[10:11] op_sel_hi:[0,1]
	v_and_b32_e32 v10, 0xc0, v0
	v_add_u32_e32 v10, s18, v10
	v_lshl_or_b32 v10, v1, 2, v10
	v_or_b32_e32 v11, 1, v10
	v_pk_mul_f32 v[34:35], v[50:51], v[12:13] op_sel_hi:[0,1]
	v_subrev_u32_e32 v12, s7, v11
	v_add_u32_e32 v14, 1, v12
	v_add_u32_e32 v15, 2, v12
	v_cvt_f32_i32_e32 v13, v12
	v_cvt_f32_i32_e32 v14, v14
	;; [unrolled: 1-line block ×3, first 2 shown]
	v_add_u32_e32 v16, 3, v12
	v_fma_f32 v18, v61, v13, v32
	v_fmac_f32_e32 v33, v61, v14
	v_fma_f32 v48, v61, v15, v30
	v_add_u32_e32 v13, 16, v12
	v_add_u32_e32 v14, 17, v12
	;; [unrolled: 1-line block ×3, first 2 shown]
	v_cvt_f32_i32_e32 v16, v16
	v_cvt_f32_i32_e32 v13, v13
	;; [unrolled: 1-line block ×4, first 2 shown]
	v_fmac_f32_e32 v31, v61, v16
	v_add_u32_e32 v16, 19, v12
	v_fma_f32 v44, v61, v13, v44
	v_fmac_f32_e32 v45, v61, v14
	v_fma_f32 v40, v61, v15, v40
	v_add_u32_e32 v13, 32, v12
	v_add_u32_e32 v14, 33, v12
	;; [unrolled: 1-line block ×3, first 2 shown]
	v_cvt_f32_i32_e32 v16, v16
	v_cvt_f32_i32_e32 v13, v13
	v_cvt_f32_i32_e32 v14, v14
	v_cvt_f32_i32_e32 v15, v15
	v_fmac_f32_e32 v41, v61, v16
	v_add_u32_e32 v16, 35, v12
	v_fma_f32 v42, v61, v13, v42
	v_fmac_f32_e32 v43, v61, v14
	v_fma_f32 v38, v61, v15, v38
	v_add_u32_e32 v13, 48, v12
	v_add_u32_e32 v14, 49, v12
	;; [unrolled: 1-line block ×4, first 2 shown]
	v_cvt_f32_i32_e32 v12, v12
	v_cvt_f32_i32_e32 v13, v13
	v_cvt_f32_i32_e32 v14, v14
	v_cmp_gt_i32_e64 s[8:9], s7, v10
	v_fmac_f32_e32 v35, v61, v12
	v_mov_b32_e32 v12, 0xff7fffff
	v_cmp_gt_i32_e64 s[10:11], s7, v11
	v_fma_f32 v36, v61, v13, v36
	v_cndmask_b32_e64 v13, v12, v18, s[8:9]
	v_cndmask_b32_e64 v11, v12, v33, s[10:11]
	v_fmac_f32_e32 v37, v61, v14
	v_max3_f32 v11, v13, s40, v11
	v_or_b32_e32 v13, 2, v10
	v_or_b32_e32 v14, 3, v10
	v_cmp_gt_i32_e64 s[12:13], s7, v13
	v_cmp_gt_i32_e64 s[14:15], s7, v14
	v_cvt_f32_i32_e32 v16, v16
	v_cndmask_b32_e64 v13, v12, v48, s[12:13]
	v_cndmask_b32_e64 v14, v12, v31, s[14:15]
	v_max3_f32 v11, v11, v13, v14
	v_or_b32_e32 v13, 16, v10
	v_or_b32_e32 v14, 17, v10
	v_cmp_gt_i32_e64 s[16:17], s7, v13
	v_cmp_gt_i32_e64 s[18:19], s7, v14
	v_fmac_f32_e32 v39, v61, v16
	v_cndmask_b32_e64 v13, v12, v44, s[16:17]
	v_cndmask_b32_e64 v14, v12, v45, s[18:19]
	v_max3_f32 v11, v11, v13, v14
	v_or_b32_e32 v13, 18, v10
	v_or_b32_e32 v14, 19, v10
	v_cmp_gt_i32_e64 s[20:21], s7, v13
	v_cmp_gt_i32_e64 s[22:23], s7, v14
	v_cvt_f32_i32_e32 v15, v15
	v_cndmask_b32_e64 v13, v12, v40, s[20:21]
	v_cndmask_b32_e64 v14, v12, v41, s[22:23]
	v_max3_f32 v11, v11, v13, v14
	v_or_b32_e32 v13, 32, v10
	v_or_b32_e32 v14, 33, v10
	v_cmp_gt_i32_e64 s[24:25], s7, v13
	v_cmp_gt_i32_e64 s[26:27], s7, v14
	v_fma_f32 v34, v61, v15, v34
	v_cndmask_b32_e64 v13, v12, v42, s[24:25]
	v_cndmask_b32_e64 v14, v12, v43, s[26:27]
	v_max3_f32 v11, v11, v13, v14
	v_or_b32_e32 v13, 34, v10
	v_or_b32_e32 v14, 35, v10
	v_cmp_gt_i32_e64 s[28:29], s7, v13
	v_cmp_gt_i32_e64 s[30:31], s7, v14
	s_nop 0
	v_cndmask_b32_e64 v13, v12, v38, s[28:29]
	v_cndmask_b32_e64 v14, v12, v39, s[30:31]
	v_max3_f32 v11, v11, v13, v14
	v_or_b32_e32 v13, 48, v10
	v_or_b32_e32 v14, 49, v10
	v_cmp_gt_i32_e64 s[34:35], s7, v13
	v_cmp_gt_i32_e64 s[36:37], s7, v14
	s_nop 0
	v_cndmask_b32_e64 v13, v12, v36, s[34:35]
	v_cndmask_b32_e64 v14, v12, v37, s[36:37]
	v_max3_f32 v11, v11, v13, v14
	v_or_b32_e32 v13, 50, v10
	v_or_b32_e32 v10, 51, v10
	v_cmp_gt_i32_e32 vcc, s7, v13
	v_cmp_gt_i32_e64 s[4:5], s7, v10
	s_nop 0
	v_cndmask_b32_e32 v13, v12, v34, vcc
	v_cndmask_b32_e64 v10, v12, v35, s[4:5]
	v_max3_f32 v14, v11, v13, v10
	v_mbcnt_lo_u32_b32 v10, -1, 0
	v_mbcnt_hi_u32_b32 v15, -1, v10
	v_and_b32_e32 v10, 64, v15
	v_add_u32_e32 v16, 64, v10
	v_xor_b32_e32 v10, 32, v15
	v_cmp_lt_i32_e64 s[38:39], v10, v16
	s_nop 1
	v_cndmask_b32_e64 v10, v15, v10, s[38:39]
	v_lshlrev_b32_e32 v51, 2, v10
	ds_bpermute_b32 v17, v51, v14
	v_lshl_add_u64 v[10:11], s[46:47], 0, v[58:59]
	v_mad_i64_i32 v[12:13], s[38:39], v62, s45, v[10:11]
	s_waitcnt lgkmcnt(0)
	v_max_f32_e32 v17, v17, v17
	v_max_f32_e32 v19, v14, v17
	v_xor_b32_e32 v14, 16, v15
	v_cmp_lt_i32_e64 s[38:39], v14, v16
	s_nop 1
	v_cndmask_b32_e64 v14, v15, v14, s[38:39]
	v_lshlrev_b32_e32 v58, 2, v14
	ds_bpermute_b32 v20, v58, v19
	v_mad_i64_i32 v[14:15], s[38:39], v53, s45, v[10:11]
	v_mad_i64_i32 v[16:17], s[38:39], v64, s45, v[10:11]
	s_waitcnt lgkmcnt(0)
	v_max_f32_e32 v20, v20, v20
	v_max_f32_e32 v50, v19, v20
	v_sub_f32_e32 v18, v18, v50
	v_sub_f32_e32 v19, v33, v50
	v_mul_f32_e32 v18, 0x3fb8aa3b, v18
	v_mul_f32_e32 v19, 0x3fb8aa3b, v19
	v_exp_f32_e32 v18, v18
	v_exp_f32_e32 v19, v19
	v_sub_f32_e32 v49, v31, v50
	v_mad_i64_i32 v[10:11], s[38:39], v63, s45, v[10:11]
	v_cndmask_b32_e64 v46, 0, v18, s[8:9]
	v_cndmask_b32_e64 v47, 0, v19, s[10:11]
	global_load_dwordx4 v[30:33], v[12:13], off
	global_load_dwordx4 v[18:21], v[14:15], off
	v_sub_f32_e32 v12, v48, v50
	v_mul_f32_e32 v12, 0x3fb8aa3b, v12
	v_exp_f32_e32 v48, v12
	global_load_dwordx4 v[14:17], v[16:17], off
	s_nop 0
	global_load_dwordx4 v[10:13], v[10:11], off
	v_sub_f32_e32 v40, v40, v50
	v_sub_f32_e32 v42, v42, v50
	v_mul_f32_e32 v40, 0x3fb8aa3b, v40
	v_mul_f32_e32 v42, 0x3fb8aa3b, v42
	v_exp_f32_e32 v40, v40
	v_exp_f32_e32 v53, v42
	v_mul_f32_e32 v49, 0x3fb8aa3b, v49
	v_sub_f32_e32 v44, v44, v50
	v_exp_f32_e32 v49, v49
	v_mul_f32_e32 v44, 0x3fb8aa3b, v44
	v_sub_f32_e32 v45, v45, v50
	v_sub_f32_e32 v42, v43, v50
	v_exp_f32_e32 v44, v44
	v_mul_f32_e32 v45, 0x3fb8aa3b, v45
	v_mul_f32_e32 v42, 0x3fb8aa3b, v42
	v_exp_f32_e32 v45, v45
	v_sub_f32_e32 v41, v41, v50
	v_exp_f32_e32 v59, v42
	v_cndmask_b32_e64 v42, 0, v40, s[20:21]
	v_cndmask_b32_e64 v40, 0, v53, s[24:25]
	v_add_f32_e32 v53, 0, v46
	v_cndmask_b32_e64 v48, 0, v48, s[12:13]
	v_mul_f32_e32 v41, 0x3fb8aa3b, v41
	v_add_f32_e32 v53, v53, v47
	v_cndmask_b32_e64 v49, 0, v49, s[14:15]
	v_exp_f32_e32 v41, v41
	v_add_f32_e32 v53, v53, v48
	v_cndmask_b32_e64 v44, 0, v44, s[16:17]
	v_sub_f32_e32 v38, v38, v50
	v_add_f32_e32 v53, v53, v49
	v_cndmask_b32_e64 v45, 0, v45, s[18:19]
	v_sub_f32_e32 v39, v39, v50
	v_mul_f32_e32 v38, 0x3fb8aa3b, v38
	v_add_f32_e32 v53, v53, v44
	v_exp_f32_e32 v38, v38
	v_mul_f32_e32 v39, 0x3fb8aa3b, v39
	v_sub_f32_e32 v36, v36, v50
	v_add_f32_e32 v53, v53, v45
	v_cndmask_b32_e64 v43, 0, v41, s[22:23]
	v_exp_f32_e32 v39, v39
	v_mul_f32_e32 v36, 0x3fb8aa3b, v36
	v_sub_f32_e32 v37, v37, v50
	v_add_f32_e32 v53, v53, v42
	v_exp_f32_e32 v36, v36
	v_mul_f32_e32 v37, 0x3fb8aa3b, v37
	v_add_f32_e32 v53, v53, v43
	v_sub_f32_e32 v34, v34, v50
	v_cndmask_b32_e64 v41, 0, v59, s[26:27]
	v_exp_f32_e32 v37, v37
	v_add_f32_e32 v53, v53, v40
	v_mul_f32_e32 v34, 0x3fb8aa3b, v34
	v_sub_f32_e32 v35, v35, v50
	v_cndmask_b32_e64 v38, 0, v38, s[28:29]
	v_add_f32_e32 v53, v53, v41
	v_exp_f32_e32 v34, v34
	v_mul_f32_e32 v35, 0x3fb8aa3b, v35
	v_cndmask_b32_e64 v39, 0, v39, s[30:31]
	v_add_f32_e32 v53, v53, v38
	v_exp_f32_e32 v35, v35
	v_cndmask_b32_e64 v36, 0, v36, s[34:35]
	v_add_f32_e32 v53, v53, v39
	v_cndmask_b32_e64 v37, 0, v37, s[36:37]
	v_add_f32_e32 v53, v53, v36
	v_add_f32_e32 v53, v53, v37
	v_cndmask_b32_e32 v34, 0, v34, vcc
	v_add_f32_e32 v53, v53, v34
	v_cndmask_b32_e64 v35, 0, v35, s[4:5]
	v_add_f32_e32 v53, v53, v35
	ds_bpermute_b32 v51, v51, v53
	v_cmp_gt_u32_e32 vcc, 16, v55
	s_waitcnt lgkmcnt(0)
	s_barrier
	v_add_f32_e32 v51, v53, v51
	ds_bpermute_b32 v53, v58, v51
	s_and_saveexec_b64 s[4:5], vcc
	s_cbranch_execz .LBB1299_15
; %bb.14:
	s_waitcnt lgkmcnt(0)
	v_add_f32_e32 v51, v51, v53
	v_lshlrev_b32_e32 v52, 2, v52
	ds_write2st64_b32 v52, v50, v51 offset1:1
.LBB1299_15:
	s_or_b64 exec, exec, s[4:5]
	v_lshlrev_b32_e32 v51, 2, v56
	s_load_dword s7, s[0:1], 0x94
	s_waitcnt lgkmcnt(0)
	s_barrier
	ds_read2_b32 v[52:53], v51 offset1:16
	ds_read2_b32 v[58:59], v51 offset0:32 offset1:48
	ds_read2_b32 v[62:63], v51 offset0:64 offset1:80
	s_movk_i32 s9, 0x7fff
	s_mul_i32 s8, s44, 12
	s_waitcnt lgkmcnt(2)
	v_max3_f32 v50, v52, s40, v53
	s_waitcnt lgkmcnt(1)
	v_max3_f32 v50, v50, v58, v59
	v_sub_f32_e32 v52, v52, v50
	v_mul_f32_e32 v52, 0x3fb8aa3b, v52
	v_exp_f32_e32 v55, v52
	v_sub_f32_e32 v52, v53, v50
	v_mul_f32_e32 v52, 0x3fb8aa3b, v52
	v_exp_f32_e32 v61, v52
	;; [unrolled: 3-line block ×3, first 2 shown]
	ds_read2_b32 v[52:53], v51 offset0:96 offset1:112
	v_sub_f32_e32 v51, v59, v50
	v_mul_f32_e32 v51, 0x3fb8aa3b, v51
	v_exp_f32_e32 v59, v51
	s_waitcnt lgkmcnt(1)
	v_fma_f32 v51, v55, v62, 0
	v_fmac_f32_e32 v51, v61, v63
	s_waitcnt lgkmcnt(0)
	v_fmac_f32_e32 v51, v58, v52
	v_fmac_f32_e32 v51, v59, v53
	v_add_f32_e32 v52, 0x358637bd, v51
	v_div_scale_f32 v53, s[4:5], v52, v52, 1.0
	v_rcp_f32_e32 v62, v53
	s_barrier
	v_fma_f32 v63, -v53, v62, 1.0
	v_fmac_f32_e32 v62, v63, v62
	v_div_scale_f32 v63, vcc, 1.0, v52, 1.0
	v_mul_f32_e32 v64, v63, v62
	v_fma_f32 v65, -v53, v64, v63
	v_fmac_f32_e32 v64, v65, v62
	v_fma_f32 v53, -v53, v64, v63
	v_div_fmas_f32 v53, v53, v62, v64
	v_cmp_eq_u32_e32 vcc, 1, v57
	v_div_fixup_f32 v52, v53, v52, 1.0
	s_nop 0
	v_cndmask_b32_e32 v53, v55, v61, vcc
	v_cmp_eq_u32_e32 vcc, 2, v57
	s_nop 1
	v_cndmask_b32_e32 v53, v53, v58, vcc
	v_cmp_eq_u32_e32 vcc, 3, v57
	s_nop 1
	v_cndmask_b32_e32 v53, v53, v59, vcc
	v_mul_f32_e32 v52, v53, v52
	v_pk_mul_f32 v[46:47], v[52:53], v[46:47] op_sel_hi:[0,1]
	v_pk_mul_f32 v[48:49], v[52:53], v[48:49] op_sel_hi:[0,1]
	v_bfe_u32 v53, v47, 16, 1
	v_bfe_u32 v55, v46, 16, 1
	v_add3_u32 v46, v46, v55, s9
	v_add3_u32 v47, v47, v53, s9
	v_perm_b32 v58, v47, v46, s33
	v_bfe_u32 v46, v49, 16, 1
	v_bfe_u32 v47, v48, 16, 1
	v_add3_u32 v47, v48, v47, s9
	v_add3_u32 v46, v49, v46, s9
	v_perm_b32 v59, v46, v47, s33
	v_lshlrev_b32_e32 v47, 3, v1
	v_lshlrev_b32_e32 v46, 5, v56
	;; [unrolled: 1-line block ×3, first 2 shown]
	v_pk_mul_f32 v[44:45], v[52:53], v[44:45] op_sel_hi:[0,1]
	v_or3_b32 v55, v48, v46, v47
	v_bfe_u32 v47, v45, 16, 1
	v_bfe_u32 v48, v44, 16, 1
	v_pk_mul_f32 v[42:43], v[52:53], v[42:43] op_sel_hi:[0,1]
	v_add3_u32 v44, v44, v48, s9
	v_add3_u32 v45, v45, v47, s9
	v_perm_b32 v44, v45, v44, s33
	v_bfe_u32 v45, v43, 16, 1
	v_bfe_u32 v47, v42, 16, 1
	v_add3_u32 v42, v42, v47, s9
	v_add3_u32 v43, v43, v45, s9
	v_pk_mul_f32 v[40:41], v[52:53], v[40:41] op_sel_hi:[0,1]
	v_perm_b32 v45, v43, v42, s33
	v_bfe_u32 v42, v41, 16, 1
	v_bfe_u32 v43, v40, 16, 1
	v_pk_mul_f32 v[38:39], v[52:53], v[38:39] op_sel_hi:[0,1]
	v_add3_u32 v40, v40, v43, s9
	v_add3_u32 v41, v41, v42, s9
	v_perm_b32 v40, v41, v40, s33
	v_bfe_u32 v41, v39, 16, 1
	v_bfe_u32 v42, v38, 16, 1
	v_add3_u32 v38, v38, v42, s9
	v_add3_u32 v39, v39, v41, s9
	v_pk_mul_f32 v[36:37], v[52:53], v[36:37] op_sel_hi:[0,1]
	v_perm_b32 v41, v39, v38, s33
	v_bfe_u32 v38, v37, 16, 1
	v_bfe_u32 v39, v36, 16, 1
	v_pk_mul_f32 v[34:35], v[52:53], v[34:35] op_sel_hi:[0,1]
	v_add3_u32 v36, v36, v39, s9
	v_add3_u32 v37, v37, v38, s9
	v_perm_b32 v36, v37, v36, s33
	v_bfe_u32 v37, v35, 16, 1
	v_bfe_u32 v38, v34, 16, 1
	v_add3_u32 v34, v34, v38, s9
	v_add3_u32 v35, v35, v37, s9
	v_perm_b32 v37, v35, v34, s33
	v_cmp_gt_u32_e32 vcc, 12, v0
	ds_write2st64_b64 v55, v[58:59], v[44:45] offset1:1
	ds_write2st64_b64 v55, v[40:41], v[36:37] offset0:2 offset1:3
	s_and_saveexec_b64 s[4:5], vcc
	s_cbranch_execz .LBB1299_17
; %bb.16:
	s_mov_b32 s49, 0
	v_mov_b32_e32 v57, 0
	v_lshl_add_u64 v[34:35], s[48:49], 0, v[56:57]
	v_mov_b32_e32 v36, s8
	v_mad_u64_u32 v[34:35], s[10:11], s2, v36, v[34:35]
	s_mul_i32 s3, s3, s8
	v_mov_b32_e32 v36, s6
	v_mov_b32_e32 v37, v57
	s_load_dwordx4 s[12:15], s[0:1], 0x58
	v_add_u32_e32 v38, s3, v35
	v_mad_u64_u32 v[34:35], s[10:11], v34, s7, v[36:37]
	v_mov_b32_e32 v36, v35
	v_mad_u64_u32 v[36:37], s[10:11], v38, s7, v[36:37]
	v_mov_b32_e32 v35, v36
	v_lshlrev_b64 v[34:35], 2, v[34:35]
	s_waitcnt lgkmcnt(0)
	v_lshl_add_u64 v[36:37], s[14:15], 0, v[34:35]
	v_lshl_add_u64 v[34:35], s[12:13], 0, v[34:35]
	global_store_dword v[36:37], v50, off
	global_store_dword v[34:35], v51, off
.LBB1299_17:
	s_or_b64 exec, exec, s[4:5]
	s_waitcnt vmcnt(7)
	v_cvt_pk_f32_fp8_e32 v[34:35], v6
	v_cvt_pk_f32_fp8_sdwa v[36:37], v6 src0_sel:WORD_1
	v_lshl_or_b32 v50, v1, 9, v46
	s_mov_b32 s5, 0x7060302
	s_waitcnt lgkmcnt(0)
	s_barrier
	v_cvt_pk_f32_fp8_e32 v[38:39], v7
	v_perm_b32 v6, v35, v34, s5
	v_cvt_pk_f32_fp8_sdwa v[40:41], v7 src0_sel:WORD_1
	v_perm_b32 v7, v37, v36, s5
	ds_read_b128 v[34:37], v50
	v_perm_b32 v46, v39, v38, s5
	v_perm_b32 v47, v41, v40, s5
	ds_read_b128 v[38:41], v50 offset:16
	v_cvt_pk_f32_fp8_e32 v[48:49], v8
	v_cvt_pk_f32_fp8_sdwa v[52:53], v8 src0_sel:WORD_1
	s_waitcnt lgkmcnt(1)
	v_mfma_f32_16x16x16_bf16 v[42:45], v[6:7], v[34:35], 0
	s_waitcnt vmcnt(6)
	v_cvt_pk_f32_fp8_e32 v[58:59], v4
	v_perm_b32 v6, v49, v48, s5
	v_perm_b32 v7, v53, v52, s5
	v_cvt_pk_f32_fp8_e32 v[48:49], v9
	v_mfma_f32_16x16x16_bf16 v[42:45], v[46:47], v[36:37], v[42:45]
	v_cvt_pk_f32_fp8_sdwa v[46:47], v9 src0_sel:WORD_1
	v_cvt_pk_f32_fp8_sdwa v[62:63], v4 src0_sel:WORD_1
	v_perm_b32 v48, v49, v48, s5
	s_waitcnt lgkmcnt(0)
	v_mfma_f32_16x16x16_bf16 v[6:9], v[6:7], v[38:39], v[42:45]
	v_perm_b32 v49, v47, v46, s5
	s_waitcnt vmcnt(5)
	v_cvt_pk_f32_fp8_sdwa v[66:67], v28 src0_sel:WORD_1
	s_waitcnt vmcnt(4)
	v_cvt_pk_f32_fp8_sdwa v[68:69], v24 src0_sel:WORD_1
	v_cvt_pk_f32_fp8_e32 v[42:43], v2
	v_mfma_f32_16x16x16_bf16 v[46:49], v[48:49], v[40:41], v[6:9]
	s_load_dword s4, s[42:43], 0x0
	s_waitcnt vmcnt(3)
	v_cvt_pk_f32_fp8_sdwa v[70:71], v32 src0_sel:WORD_1
	v_cvt_pk_f32_fp8_sdwa v[6:7], v2 src0_sel:WORD_1
	v_cvt_pk_f32_fp8_e32 v[8:9], v3
	v_perm_b32 v2, v43, v42, s5
	v_cvt_pk_f32_fp8_sdwa v[42:43], v3 src0_sel:WORD_1
	v_perm_b32 v3, v7, v6, s5
	v_perm_b32 v52, v9, v8, s5
	ds_read_b128 v[6:9], v50 offset:2048
	v_perm_b32 v53, v43, v42, s5
	ds_read_b128 v[42:45], v50 offset:2064
	s_waitcnt lgkmcnt(0)
	v_mfma_f32_16x16x16_bf16 v[46:49], v[2:3], v[6:7], v[46:49]
	v_perm_b32 v2, v59, v58, s5
	v_perm_b32 v3, v63, v62, s5
	v_cvt_pk_f32_fp8_e32 v[58:59], v5
	v_mfma_f32_16x16x16_bf16 v[46:49], v[52:53], v[8:9], v[46:49]
	v_cvt_pk_f32_fp8_sdwa v[52:53], v5 src0_sel:WORD_1
	s_mov_b32 s3, 0
	v_perm_b32 v58, v59, v58, s5
	v_mfma_f32_16x16x16_bf16 v[2:5], v[2:3], v[42:43], v[46:49]
	v_perm_b32 v59, v53, v52, s5
	v_cmp_gt_u32_e32 vcc, 64, v0
	s_nop 0
	v_cvt_pk_f32_fp8_e32 v[46:47], v26
	v_mfma_f32_16x16x16_bf16 v[62:65], v[58:59], v[44:45], v[2:5]
	v_cvt_pk_f32_fp8_e32 v[58:59], v28
	s_nop 1
	v_cvt_pk_f32_fp8_sdwa v[2:3], v26 src0_sel:WORD_1
	v_cvt_pk_f32_fp8_e32 v[4:5], v27
	v_perm_b32 v26, v47, v46, s5
	v_cvt_pk_f32_fp8_sdwa v[46:47], v27 src0_sel:WORD_1
	v_perm_b32 v27, v3, v2, s5
	v_perm_b32 v52, v5, v4, s5
	ds_read_b128 v[2:5], v50 offset:4096
	v_perm_b32 v53, v47, v46, s5
	ds_read_b128 v[46:49], v50 offset:4112
	s_waitcnt lgkmcnt(1)
	v_mfma_f32_16x16x16_bf16 v[62:65], v[26:27], v[2:3], v[62:65]
	v_perm_b32 v26, v59, v58, s5
	v_perm_b32 v27, v67, v66, s5
	v_cvt_pk_f32_fp8_e32 v[58:59], v29
	v_mfma_f32_16x16x16_bf16 v[62:65], v[52:53], v[4:5], v[62:65]
	v_cvt_pk_f32_fp8_sdwa v[52:53], v29 src0_sel:WORD_1
	v_cvt_pk_f32_fp8_e32 v[66:67], v24
	v_perm_b32 v58, v59, v58, s5
	s_waitcnt lgkmcnt(0)
	v_mfma_f32_16x16x16_bf16 v[26:29], v[26:27], v[46:47], v[62:65]
	v_perm_b32 v59, v53, v52, s5
	v_cvt_pk_f32_fp8_e32 v[52:53], v22
	s_nop 0
	v_mfma_f32_16x16x16_bf16 v[62:65], v[58:59], v[48:49], v[26:29]
	s_nop 2
	v_cvt_pk_f32_fp8_sdwa v[26:27], v22 src0_sel:WORD_1
	v_cvt_pk_f32_fp8_e32 v[28:29], v23
	v_perm_b32 v22, v53, v52, s5
	v_cvt_pk_f32_fp8_sdwa v[52:53], v23 src0_sel:WORD_1
	v_perm_b32 v23, v27, v26, s5
	v_perm_b32 v58, v29, v28, s5
	ds_read_b128 v[26:29], v50 offset:6144
	v_perm_b32 v59, v53, v52, s5
	s_waitcnt lgkmcnt(0)
	v_mfma_f32_16x16x16_bf16 v[62:65], v[22:23], v[26:27], v[62:65]
	ds_read_b128 v[50:53], v50 offset:6160
	v_perm_b32 v22, v67, v66, s5
	v_perm_b32 v23, v69, v68, s5
	v_cvt_pk_f32_fp8_e32 v[66:67], v25
	v_mfma_f32_16x16x16_bf16 v[62:65], v[58:59], v[28:29], v[62:65]
	v_cvt_pk_f32_fp8_sdwa v[58:59], v25 src0_sel:WORD_1
	v_cvt_pk_f32_fp8_e32 v[68:69], v32
	v_perm_b32 v66, v67, v66, s5
	s_waitcnt lgkmcnt(0)
	v_mfma_f32_16x16x16_bf16 v[22:25], v[22:23], v[50:51], v[62:65]
	v_perm_b32 v67, v59, v58, s5
	v_cvt_pk_f32_fp8_sdwa v[58:59], v30 src0_sel:WORD_1
	s_nop 0
	v_mfma_f32_16x16x16_bf16 v[62:65], v[66:67], v[52:53], v[22:25]
	s_barrier
	s_nop 1
	v_cvt_pk_f32_fp8_e32 v[24:25], v30
	s_nop 2
	v_pk_mul_f32 v[66:67], v[62:63], s[4:5] op_sel_hi:[1,0]
	v_cvt_pk_f32_fp8_e32 v[62:63], v31
	v_perm_b32 v24, v25, v24, s5
	v_perm_b32 v25, v59, v58, s5
	v_cvt_pk_f32_fp8_sdwa v[30:31], v31 src0_sel:WORD_1
	v_perm_b32 v58, v63, v62, s5
	v_pk_mul_f32 v[22:23], v[64:65], s[4:5] op_sel_hi:[1,0]
	v_mfma_f32_16x16x16_bf16 v[62:65], v[24:25], v[34:35], 0
	v_perm_b32 v59, v31, v30, s5
	v_perm_b32 v24, v69, v68, s5
	;; [unrolled: 1-line block ×3, first 2 shown]
	v_cvt_pk_f32_fp8_e32 v[34:35], v33
	v_cvt_pk_f32_fp8_sdwa v[68:69], v33 src0_sel:WORD_1
	v_mfma_f32_16x16x16_bf16 v[30:33], v[58:59], v[36:37], v[62:65]
	s_waitcnt vmcnt(2)
	v_cvt_pk_f32_fp8_sdwa v[36:37], v18 src0_sel:WORD_1
	v_perm_b32 v34, v35, v34, s5
	v_perm_b32 v35, v69, v68, s5
	v_mfma_f32_16x16x16_bf16 v[30:33], v[24:25], v[38:39], v[30:33]
	v_cvt_pk_f32_fp8_e32 v[24:25], v18
	v_cvt_pk_f32_fp8_sdwa v[38:39], v20 src0_sel:WORD_1
	v_bfe_u32 v57, v67, 16, 1
	v_mfma_f32_16x16x16_bf16 v[30:33], v[34:35], v[40:41], v[30:33]
	v_cvt_pk_f32_fp8_e32 v[34:35], v19
	v_perm_b32 v24, v25, v24, s5
	v_perm_b32 v25, v37, v36, s5
	v_cvt_pk_f32_fp8_sdwa v[18:19], v19 src0_sel:WORD_1
	v_perm_b32 v34, v35, v34, s5
	v_cvt_pk_f32_fp8_e32 v[36:37], v20
	v_mfma_f32_16x16x16_bf16 v[30:33], v[24:25], v[6:7], v[30:33]
	v_perm_b32 v35, v19, v18, s5
	v_perm_b32 v18, v37, v36, s5
	;; [unrolled: 1-line block ×3, first 2 shown]
	v_cvt_pk_f32_fp8_e32 v[24:25], v21
	v_cvt_pk_f32_fp8_sdwa v[20:21], v21 src0_sel:WORD_1
	v_mfma_f32_16x16x16_bf16 v[6:9], v[34:35], v[8:9], v[30:33]
	v_bfe_u32 v58, v66, 16, 1
	v_perm_b32 v24, v25, v24, s5
	v_perm_b32 v25, v21, v20, s5
	v_mfma_f32_16x16x16_bf16 v[6:9], v[18:19], v[42:43], v[6:9]
	s_waitcnt vmcnt(1)
	v_cvt_pk_f32_fp8_e32 v[18:19], v14
	v_cvt_pk_f32_fp8_sdwa v[20:21], v14 src0_sel:WORD_1
	v_cvt_pk_f32_fp8_sdwa v[30:31], v16 src0_sel:WORD_1
	v_mfma_f32_16x16x16_bf16 v[6:9], v[24:25], v[44:45], v[6:9]
	v_cvt_pk_f32_fp8_e32 v[24:25], v15
	v_perm_b32 v18, v19, v18, s5
	v_perm_b32 v19, v21, v20, s5
	v_cvt_pk_f32_fp8_sdwa v[14:15], v15 src0_sel:WORD_1
	v_perm_b32 v20, v25, v24, s5
	v_cvt_pk_f32_fp8_e32 v[24:25], v16
	v_mfma_f32_16x16x16_bf16 v[6:9], v[18:19], v[2:3], v[6:9]
	v_perm_b32 v21, v15, v14, s5
	v_perm_b32 v14, v25, v24, s5
	;; [unrolled: 1-line block ×3, first 2 shown]
	v_cvt_pk_f32_fp8_e32 v[18:19], v17
	v_cvt_pk_f32_fp8_sdwa v[16:17], v17 src0_sel:WORD_1
	v_mfma_f32_16x16x16_bf16 v[2:5], v[20:21], v[4:5], v[6:9]
	v_add3_u32 v32, v66, v58, s9
	v_add3_u32 v33, v67, v57, s9
	s_nop 0
	v_perm_b32 v8, v19, v18, s5
	v_perm_b32 v9, v17, v16, s5
	v_mfma_f32_16x16x16_bf16 v[2:5], v[14:15], v[46:47], v[2:5]
	s_waitcnt vmcnt(0)
	v_cvt_pk_f32_fp8_e32 v[14:15], v10
	v_cvt_pk_f32_fp8_sdwa v[16:17], v10 src0_sel:WORD_1
	v_cvt_pk_f32_fp8_sdwa v[18:19], v12 src0_sel:WORD_1
	v_mfma_f32_16x16x16_bf16 v[2:5], v[8:9], v[48:49], v[2:5]
	v_cvt_pk_f32_fp8_e32 v[8:9], v11
	v_perm_b32 v14, v15, v14, s5
	v_perm_b32 v15, v17, v16, s5
	v_cvt_pk_f32_fp8_sdwa v[10:11], v11 src0_sel:WORD_1
	v_perm_b32 v8, v9, v8, s5
	v_cvt_pk_f32_fp8_e32 v[16:17], v12
	v_mfma_f32_16x16x16_bf16 v[2:5], v[14:15], v[26:27], v[2:5]
	v_perm_b32 v9, v11, v10, s5
	v_perm_b32 v10, v17, v16, s5
	;; [unrolled: 1-line block ×3, first 2 shown]
	v_cvt_pk_f32_fp8_e32 v[14:15], v13
	v_cvt_pk_f32_fp8_sdwa v[12:13], v13 src0_sel:WORD_1
	v_mfma_f32_16x16x16_bf16 v[2:5], v[8:9], v[28:29], v[2:5]
	v_bfe_u32 v7, v23, 16, 1
	v_perm_b32 v8, v15, v14, s5
	v_perm_b32 v9, v13, v12, s5
	v_mfma_f32_16x16x16_bf16 v[2:5], v[10:11], v[50:51], v[2:5]
	v_bfe_u32 v16, v22, 16, 1
	v_add3_u32 v10, v22, v16, s9
	v_add3_u32 v7, v23, v7, s9
	v_mfma_f32_16x16x16_bf16 v[2:5], v[8:9], v[52:53], v[2:5]
	v_perm_b32 v6, v33, v32, s5
	v_perm_b32 v7, v7, v10, s5
	s_nop 4
	v_pk_mul_f32 v[2:3], v[2:3], s[4:5] op_sel_hi:[1,0]
	v_pk_mul_f32 v[4:5], v[4:5], s[4:5] op_sel_hi:[1,0]
	v_bfe_u32 v8, v3, 16, 1
	v_bfe_u32 v9, v2, 16, 1
	v_add3_u32 v2, v2, v9, s9
	v_add3_u32 v3, v3, v8, s9
	v_perm_b32 v2, v3, v2, s5
	v_bfe_u32 v3, v5, 16, 1
	v_bfe_u32 v8, v4, 16, 1
	v_add3_u32 v4, v4, v8, s9
	v_add3_u32 v3, v5, v3, s9
	v_perm_b32 v3, v3, v4, s5
	ds_write2st64_b64 v55, v[6:7], v[2:3] offset1:1
	s_waitcnt lgkmcnt(0)
	s_barrier
	s_and_saveexec_b64 s[4:5], vcc
	s_cbranch_execz .LBB1299_19
; %bb.18:
	s_load_dwordx2 s[0:1], s[0:1], 0x68
	s_lshl_b32 s7, s7, 7
	s_mul_i32 s2, s8, s2
	s_mul_hi_u32 s5, s2, s7
	s_mul_i32 s4, s2, s7
	s_lshl_b64 s[4:5], s[4:5], 1
	v_lshlrev_b32_e32 v4, 6, v56
	s_waitcnt lgkmcnt(0)
	s_add_u32 s4, s0, s4
	v_lshl_or_b32 v0, v0, 10, v4
	s_addc_u32 s5, s1, s5
	s_lshl_b32 s2, s6, 7
	v_lshlrev_b32_e32 v2, 5, v1
	v_and_b32_e32 v3, 16, v60
	v_and_b32_e32 v0, 0x1a00, v0
	s_lshl_b64 s[0:1], s[2:3], 1
	v_or3_b32 v0, v0, v2, v3
	s_add_u32 s0, s4, s0
	ds_read_b128 v[2:5], v0
	ds_read_b128 v[6:9], v0 offset:128
	ds_read_b128 v[10:13], v0 offset:256
	s_addc_u32 s1, s5, s1
	v_or_b32_e32 v16, s48, v1
	v_mov_b32_e32 v55, 0
	v_lshl_add_u64 v[0:1], s[0:1], 0, v[54:55]
	v_mad_u64_u32 v[14:15], s[0:1], v16, s7, 0
	v_lshl_add_u64 v[14:15], v[14:15], 1, v[0:1]
	s_waitcnt lgkmcnt(2)
	global_store_dwordx4 v[14:15], v[2:5], off
	s_nop 1
	v_add_u32_e32 v2, 4, v16
	v_mad_u64_u32 v[2:3], s[0:1], v2, s7, 0
	v_lshl_add_u64 v[2:3], v[2:3], 1, v[0:1]
	s_waitcnt lgkmcnt(1)
	global_store_dwordx4 v[2:3], v[6:9], off
	v_add_u32_e32 v2, 8, v16
	v_mad_u64_u32 v[2:3], s[0:1], v2, s7, 0
	v_lshl_add_u64 v[0:1], v[2:3], 1, v[0:1]
	s_waitcnt lgkmcnt(0)
	global_store_dwordx4 v[0:1], v[10:13], off
.LBB1299_19:
	s_endpgm
	.section	.rodata,"a",@progbits
	.p2align	6, 0x0
	.amdhsa_kernel _Z39paged_attention_ll4mi_QKV_mfma16_kernelI14__hip_bfloat16hLN4vllm18Fp8KVCacheDataTypeE1ES0_Li16ELi128ELi256ELb1ELi12EEvPKT_PKT0_S8_ifPKiSA_SA_iPKfiiiPfSD_PS3_PT2_iSC_SC_
		.amdhsa_group_segment_fixed_size 8192
		.amdhsa_private_segment_fixed_size 0
		.amdhsa_kernarg_size 400
		.amdhsa_user_sgpr_count 2
		.amdhsa_user_sgpr_dispatch_ptr 0
		.amdhsa_user_sgpr_queue_ptr 0
		.amdhsa_user_sgpr_kernarg_segment_ptr 1
		.amdhsa_user_sgpr_dispatch_id 0
		.amdhsa_user_sgpr_kernarg_preload_length 0
		.amdhsa_user_sgpr_kernarg_preload_offset 0
		.amdhsa_user_sgpr_private_segment_size 0
		.amdhsa_uses_dynamic_stack 0
		.amdhsa_enable_private_segment 0
		.amdhsa_system_sgpr_workgroup_id_x 1
		.amdhsa_system_sgpr_workgroup_id_y 1
		.amdhsa_system_sgpr_workgroup_id_z 1
		.amdhsa_system_sgpr_workgroup_info 0
		.amdhsa_system_vgpr_workitem_id 0
		.amdhsa_next_free_vgpr 76
		.amdhsa_next_free_sgpr 50
		.amdhsa_accum_offset 76
		.amdhsa_reserve_vcc 1
		.amdhsa_float_round_mode_32 0
		.amdhsa_float_round_mode_16_64 0
		.amdhsa_float_denorm_mode_32 3
		.amdhsa_float_denorm_mode_16_64 3
		.amdhsa_dx10_clamp 1
		.amdhsa_ieee_mode 1
		.amdhsa_fp16_overflow 0
		.amdhsa_tg_split 0
		.amdhsa_exception_fp_ieee_invalid_op 0
		.amdhsa_exception_fp_denorm_src 0
		.amdhsa_exception_fp_ieee_div_zero 0
		.amdhsa_exception_fp_ieee_overflow 0
		.amdhsa_exception_fp_ieee_underflow 0
		.amdhsa_exception_fp_ieee_inexact 0
		.amdhsa_exception_int_div_zero 0
	.end_amdhsa_kernel
	.section	.text._Z39paged_attention_ll4mi_QKV_mfma16_kernelI14__hip_bfloat16hLN4vllm18Fp8KVCacheDataTypeE1ES0_Li16ELi128ELi256ELb1ELi12EEvPKT_PKT0_S8_ifPKiSA_SA_iPKfiiiPfSD_PS3_PT2_iSC_SC_,"axG",@progbits,_Z39paged_attention_ll4mi_QKV_mfma16_kernelI14__hip_bfloat16hLN4vllm18Fp8KVCacheDataTypeE1ES0_Li16ELi128ELi256ELb1ELi12EEvPKT_PKT0_S8_ifPKiSA_SA_iPKfiiiPfSD_PS3_PT2_iSC_SC_,comdat
.Lfunc_end1299:
	.size	_Z39paged_attention_ll4mi_QKV_mfma16_kernelI14__hip_bfloat16hLN4vllm18Fp8KVCacheDataTypeE1ES0_Li16ELi128ELi256ELb1ELi12EEvPKT_PKT0_S8_ifPKiSA_SA_iPKfiiiPfSD_PS3_PT2_iSC_SC_, .Lfunc_end1299-_Z39paged_attention_ll4mi_QKV_mfma16_kernelI14__hip_bfloat16hLN4vllm18Fp8KVCacheDataTypeE1ES0_Li16ELi128ELi256ELb1ELi12EEvPKT_PKT0_S8_ifPKiSA_SA_iPKfiiiPfSD_PS3_PT2_iSC_SC_
                                        ; -- End function
	.section	.AMDGPU.csdata,"",@progbits
; Kernel info:
; codeLenInByte = 6608
; NumSgprs: 56
; NumVgprs: 76
; NumAgprs: 0
; TotalNumVgprs: 76
; ScratchSize: 0
; MemoryBound: 0
; FloatMode: 240
; IeeeMode: 1
; LDSByteSize: 8192 bytes/workgroup (compile time only)
; SGPRBlocks: 6
; VGPRBlocks: 9
; NumSGPRsForWavesPerEU: 56
; NumVGPRsForWavesPerEU: 76
; AccumOffset: 76
; Occupancy: 6
; WaveLimiterHint : 1
; COMPUTE_PGM_RSRC2:SCRATCH_EN: 0
; COMPUTE_PGM_RSRC2:USER_SGPR: 2
; COMPUTE_PGM_RSRC2:TRAP_HANDLER: 0
; COMPUTE_PGM_RSRC2:TGID_X_EN: 1
; COMPUTE_PGM_RSRC2:TGID_Y_EN: 1
; COMPUTE_PGM_RSRC2:TGID_Z_EN: 1
; COMPUTE_PGM_RSRC2:TIDIG_COMP_CNT: 0
; COMPUTE_PGM_RSRC3_GFX90A:ACCUM_OFFSET: 18
; COMPUTE_PGM_RSRC3_GFX90A:TG_SPLIT: 0
	.section	.text._Z39paged_attention_ll4mi_QKV_mfma16_kernelI14__hip_bfloat16hLN4vllm18Fp8KVCacheDataTypeE1ES0_Li16ELi128ELi256ELb1ELi13EEvPKT_PKT0_S8_ifPKiSA_SA_iPKfiiiPfSD_PS3_PT2_iSC_SC_,"axG",@progbits,_Z39paged_attention_ll4mi_QKV_mfma16_kernelI14__hip_bfloat16hLN4vllm18Fp8KVCacheDataTypeE1ES0_Li16ELi128ELi256ELb1ELi13EEvPKT_PKT0_S8_ifPKiSA_SA_iPKfiiiPfSD_PS3_PT2_iSC_SC_,comdat
	.protected	_Z39paged_attention_ll4mi_QKV_mfma16_kernelI14__hip_bfloat16hLN4vllm18Fp8KVCacheDataTypeE1ES0_Li16ELi128ELi256ELb1ELi13EEvPKT_PKT0_S8_ifPKiSA_SA_iPKfiiiPfSD_PS3_PT2_iSC_SC_ ; -- Begin function _Z39paged_attention_ll4mi_QKV_mfma16_kernelI14__hip_bfloat16hLN4vllm18Fp8KVCacheDataTypeE1ES0_Li16ELi128ELi256ELb1ELi13EEvPKT_PKT0_S8_ifPKiSA_SA_iPKfiiiPfSD_PS3_PT2_iSC_SC_
	.globl	_Z39paged_attention_ll4mi_QKV_mfma16_kernelI14__hip_bfloat16hLN4vllm18Fp8KVCacheDataTypeE1ES0_Li16ELi128ELi256ELb1ELi13EEvPKT_PKT0_S8_ifPKiSA_SA_iPKfiiiPfSD_PS3_PT2_iSC_SC_
	.p2align	8
	.type	_Z39paged_attention_ll4mi_QKV_mfma16_kernelI14__hip_bfloat16hLN4vllm18Fp8KVCacheDataTypeE1ES0_Li16ELi128ELi256ELb1ELi13EEvPKT_PKT0_S8_ifPKiSA_SA_iPKfiiiPfSD_PS3_PT2_iSC_SC_,@function
_Z39paged_attention_ll4mi_QKV_mfma16_kernelI14__hip_bfloat16hLN4vllm18Fp8KVCacheDataTypeE1ES0_Li16ELi128ELi256ELb1ELi13EEvPKT_PKT0_S8_ifPKiSA_SA_iPKfiiiPfSD_PS3_PT2_iSC_SC_: ; @_Z39paged_attention_ll4mi_QKV_mfma16_kernelI14__hip_bfloat16hLN4vllm18Fp8KVCacheDataTypeE1ES0_Li16ELi128ELi256ELb1ELi13EEvPKT_PKT0_S8_ifPKiSA_SA_iPKfiiiPfSD_PS3_PT2_iSC_SC_
; %bb.0:
	s_load_dwordx2 s[10:11], s[0:1], 0x30
	s_mov_b32 s6, s3
	s_mov_b64 s[8:9], 0
	s_waitcnt lgkmcnt(0)
	s_cmp_lg_u64 s[10:11], 0
	s_cselect_b64 s[12:13], -1, 0
	s_and_b64 vcc, exec, s[12:13]
	s_cbranch_vccz .LBB1300_7
; %bb.1:
	s_add_i32 s14, s2, 1
	s_mov_b32 s15, 0
	s_lshl_b64 s[16:17], s[14:15], 2
	s_add_u32 s16, s10, s16
	s_mov_b32 s3, s15
	s_addc_u32 s17, s11, s17
	s_lshl_b64 s[14:15], s[2:3], 2
	s_add_u32 s14, s10, s14
	s_addc_u32 s15, s11, s15
	s_load_dword s5, s[16:17], 0x0
	s_load_dword s7, s[14:15], 0x0
	s_waitcnt lgkmcnt(0)
	s_sub_i32 s5, s5, s7
	s_cmp_eq_u32 s5, 1
	s_cselect_b64 s[14:15], -1, 0
	s_andn2_b64 vcc, exec, s[8:9]
	s_cbranch_vccnz .LBB1300_3
.LBB1300_2:
	s_mov_b32 s3, 0
	s_mov_b64 s[14:15], -1
.LBB1300_3:
	s_andn2_b64 vcc, exec, s[14:15]
	s_cbranch_vccnz .LBB1300_20
; %bb.4:
	s_load_dwordx2 s[8:9], s[0:1], 0x28
	s_lshl_b64 s[14:15], s[2:3], 2
	s_waitcnt lgkmcnt(0)
	s_add_u32 s8, s8, s14
	s_addc_u32 s9, s9, s15
	s_load_dword s7, s[8:9], 0x0
	s_lshl_b32 s18, s6, 8
	s_waitcnt lgkmcnt(0)
	s_cmp_ge_i32 s18, s7
	s_cbranch_scc1 .LBB1300_20
; %bb.5:
	s_load_dwordx2 s[8:9], s[0:1], 0x20
	s_load_dword s5, s[0:1], 0x38
	s_add_i32 s16, s7, 15
	s_ashr_i32 s17, s16, 31
	v_and_b32_e32 v1, 0xcf, v0
	s_lshr_b32 s17, s17, 28
	v_add_u32_e32 v1, s18, v1
	s_add_i32 s16, s16, s17
	v_ashrrev_i32_e32 v2, 31, v1
	s_ashr_i32 s19, s16, 4
	v_lshrrev_b32_e32 v4, 28, v2
	s_add_i32 s19, s19, -1
	s_waitcnt lgkmcnt(0)
	s_mul_i32 s16, s2, s5
	s_mov_b32 s17, 0
	v_add_u32_e32 v2, v1, v4
	s_lshl_b64 s[16:17], s[16:17], 2
	v_ashrrev_i32_e32 v2, 4, v2
	v_mov_b32_e32 v5, s19
	v_cmp_gt_i32_e32 vcc, s7, v1
	s_add_u32 s8, s8, s16
	s_addc_u32 s9, s9, s17
	v_cndmask_b32_e32 v2, v5, v2, vcc
	v_ashrrev_i32_e32 v3, 31, v2
	v_lshl_add_u64 v[6:7], v[2:3], 2, s[8:9]
	v_or_b32_e32 v2, 16, v1
	v_add_u32_e32 v3, v2, v4
	v_ashrrev_i32_e32 v3, 4, v3
	v_cmp_gt_i32_e32 vcc, s7, v2
	s_load_dwordx2 s[16:17], s[0:1], 0x8
	s_nop 0
	v_cndmask_b32_e32 v2, v5, v3, vcc
	v_ashrrev_i32_e32 v3, 31, v2
	v_lshl_add_u64 v[8:9], v[2:3], 2, s[8:9]
	v_or_b32_e32 v2, 32, v1
	v_add_u32_e32 v3, v2, v4
	v_ashrrev_i32_e32 v3, 4, v3
	v_cmp_gt_i32_e32 vcc, s7, v2
	v_or_b32_e32 v1, 48, v1
	s_nop 0
	v_cndmask_b32_e32 v2, v5, v3, vcc
	v_ashrrev_i32_e32 v3, 31, v2
	v_lshl_add_u64 v[12:13], v[2:3], 2, s[8:9]
	v_add_u32_e32 v2, v1, v4
	v_ashrrev_i32_e32 v2, 4, v2
	v_cmp_gt_i32_e32 vcc, s7, v1
	s_nop 1
	v_cndmask_b32_e32 v2, v5, v2, vcc
	v_ashrrev_i32_e32 v3, 31, v2
	v_lshl_add_u64 v[14:15], v[2:3], 2, s[8:9]
	global_load_dword v4, v[6:7], off
	global_load_dword v3, v[8:9], off
	;; [unrolled: 1-line block ×4, first 2 shown]
	s_andn2_b64 vcc, exec, s[12:13]
	s_cbranch_vccnz .LBB1300_8
; %bb.6:
	s_add_u32 s10, s10, s14
	s_addc_u32 s11, s11, s15
	s_load_dword s5, s[10:11], 0x0
	s_branch .LBB1300_9
.LBB1300_7:
	s_mov_b64 s[14:15], 0
	s_branch .LBB1300_2
.LBB1300_8:
	s_mov_b32 s5, s2
.LBB1300_9:
	s_load_dwordx2 s[10:11], s[0:1], 0x10
	s_load_dwordx4 s[44:47], s[0:1], 0x48
	v_lshrrev_b32_e32 v57, 6, v0
	v_bfe_u32 v60, v0, 4, 2
	v_and_b32_e32 v56, 15, v0
	v_lshl_or_b32 v5, v57, 2, v60
	v_lshlrev_b32_e32 v1, 3, v56
	s_mul_i32 s48, s4, 13
	v_cmp_gt_u32_e32 vcc, 13, v5
	v_lshlrev_b32_e32 v54, 1, v1
	v_lshlrev_b32_e32 v1, 4, v0
	s_and_saveexec_b64 s[12:13], vcc
	s_cbranch_execz .LBB1300_11
; %bb.10:
	s_load_dwordx2 s[14:15], s[0:1], 0x0
	s_waitcnt lgkmcnt(0)
	s_ashr_i32 s20, s44, 31
	s_mul_hi_u32 s21, s5, s44
	s_mul_i32 s20, s5, s20
	s_add_i32 s21, s21, s20
	s_mul_i32 s20, s5, s44
	s_lshl_b64 s[20:21], s[20:21], 1
	s_add_u32 s14, s14, s20
	v_add_lshl_u32 v6, v5, s48, 7
	s_addc_u32 s15, s15, s21
	v_ashrrev_i32_e32 v7, 31, v6
	v_lshl_add_u64 v[6:7], v[6:7], 1, s[14:15]
	v_mov_b32_e32 v55, 0
	v_lshl_add_u64 v[6:7], v[6:7], 0, v[54:55]
	global_load_dwordx4 v[6:9], v[6:7], off
	v_lshlrev_b32_e32 v12, 8, v0
	v_lshlrev_b32_e32 v11, 8, v56
	v_and_b32_e32 v12, 0x600, v12
	s_movk_i32 s5, 0x800
	v_and_or_b32 v11, v11, s5, v12
	v_lshlrev_b32_e32 v5, 5, v5
	v_and_b32_e32 v12, 16, v1
	v_or3_b32 v5, v11, v5, v12
	s_waitcnt vmcnt(0)
	ds_write_b128 v5, v[6:9]
.LBB1300_11:
	s_or_b64 exec, exec, s[12:13]
	s_waitcnt lgkmcnt(0)
	s_mul_i32 s12, s4, s46
	s_add_u32 s4, s16, s12
	s_addc_u32 s5, s17, 0
	v_and_b32_e32 v58, 0xf0, v1
	v_mov_b32_e32 v59, 0
	v_and_b32_e32 v34, 48, v0
	v_lshl_add_u64 v[12:13], s[4:5], 0, v[58:59]
	v_lshlrev_b32_e32 v58, 4, v34
	s_waitcnt vmcnt(3)
	v_mad_i64_i32 v[4:5], s[4:5], v4, s45, v[12:13]
	v_lshl_add_u64 v[4:5], v[4:5], 0, v[58:59]
	s_barrier
	global_load_dwordx4 v[50:53], v[4:5], off
	global_load_dwordx4 v[46:49], v[4:5], off offset:1024
	s_waitcnt vmcnt(4)
	v_mad_i64_i32 v[4:5], s[4:5], v3, s45, v[12:13]
	s_waitcnt vmcnt(3)
	v_mad_i64_i32 v[2:3], s[4:5], v2, s45, v[12:13]
	v_lshl_add_u64 v[4:5], v[4:5], 0, v[58:59]
	v_lshl_add_u64 v[14:15], v[2:3], 0, v[58:59]
	s_waitcnt vmcnt(2)
	v_mad_i64_i32 v[10:11], s[4:5], v10, s45, v[12:13]
	global_load_dwordx4 v[36:39], v[4:5], off
	global_load_dwordx4 v[6:9], v[4:5], off offset:1024
	s_nop 0
	global_load_dwordx4 v[2:5], v[14:15], off
	global_load_dwordx4 v[42:45], v[14:15], off offset:1024
	v_lshl_add_u64 v[14:15], v[10:11], 0, v[58:59]
	global_load_dwordx4 v[26:29], v[14:15], off
	global_load_dwordx4 v[10:13], v[14:15], off offset:1024
	v_add_u32_e32 v14, -13, v56
	v_cmp_gt_u32_e32 vcc, 13, v56
	v_and_b32_e32 v55, 63, v0
	v_mov_b32_e32 v61, 0
	v_cndmask_b32_e32 v14, v14, v56, vcc
	v_lshlrev_b32_e32 v14, 5, v14
	v_lshl_add_u32 v14, v60, 9, v14
	ds_read_b128 v[30:33], v14
	ds_read_b128 v[22:25], v14 offset:16
	ds_read_b128 v[18:21], v14 offset:2048
	;; [unrolled: 1-line block ×3, first 2 shown]
	s_and_saveexec_b64 s[4:5], vcc
	s_cbranch_execz .LBB1300_13
; %bb.12:
	s_load_dwordx2 s[14:15], s[0:1], 0x40
	v_add_u32_e32 v40, s48, v56
	v_ashrrev_i32_e32 v41, 31, v40
	s_waitcnt lgkmcnt(0)
	v_lshl_add_u64 v[40:41], v[40:41], 2, s[14:15]
	global_load_dword v61, v[40:41], off
.LBB1300_13:
	s_or_b64 exec, exec, s[4:5]
	v_or_b32_e32 v58, s18, v34
	v_ashrrev_i32_e32 v34, 4, v58
	v_mov_b32_e32 v63, s19
	v_cmp_gt_i32_e32 vcc, s7, v58
	s_waitcnt vmcnt(7)
	v_cvt_pk_f32_fp8_e32 v[40:41], v50
	v_cvt_pk_f32_fp8_sdwa v[64:65], v50 src0_sel:WORD_1
	v_cndmask_b32_e32 v34, v63, v34, vcc
	v_ashrrev_i32_e32 v35, 31, v34
	v_lshl_add_u64 v[34:35], v[34:35], 2, s[8:9]
	global_load_dword v62, v[34:35], off
	v_or_b32_e32 v34, 64, v58
	v_ashrrev_i32_e32 v35, 4, v34
	v_cmp_gt_i32_e32 vcc, s7, v34
	v_or_b32_e32 v66, 0x80, v58
	v_ashrrev_i32_e32 v67, 4, v66
	v_cndmask_b32_e32 v34, v63, v35, vcc
	v_cmp_gt_i32_e32 vcc, s7, v66
	s_mov_b32 s33, 0x7060302
	v_perm_b32 v40, v41, v40, s33
	v_cndmask_b32_e32 v50, v63, v67, vcc
	v_perm_b32 v41, v65, v64, s33
	v_cvt_pk_f32_fp8_e32 v[64:65], v51
	v_cvt_pk_f32_fp8_sdwa v[66:67], v51 src0_sel:WORD_1
	v_ashrrev_i32_e32 v51, 31, v50
	v_lshl_add_u64 v[68:69], v[50:51], 2, s[8:9]
	v_perm_b32 v50, v65, v64, s33
	v_perm_b32 v51, v67, v66, s33
	s_waitcnt lgkmcnt(3)
	v_mfma_f32_16x16x16_bf16 v[64:67], v[40:41], v[30:31], 0
	v_cvt_pk_f32_fp8_e32 v[40:41], v52
	v_cvt_pk_f32_fp8_sdwa v[70:71], v52 src0_sel:WORD_1
	s_waitcnt vmcnt(7)
	v_cvt_pk_f32_fp8_e32 v[72:73], v46
	v_mfma_f32_16x16x16_bf16 v[64:67], v[50:51], v[32:33], v[64:67]
	v_cvt_pk_f32_fp8_e32 v[50:51], v53
	v_perm_b32 v40, v41, v40, s33
	v_perm_b32 v41, v71, v70, s33
	v_cvt_pk_f32_fp8_sdwa v[52:53], v53 src0_sel:WORD_1
	v_perm_b32 v70, v51, v50, s33
	v_cvt_pk_f32_fp8_sdwa v[74:75], v46 src0_sel:WORD_1
	v_ashrrev_i32_e32 v35, 31, v34
	v_perm_b32 v71, v53, v52, s33
	s_waitcnt lgkmcnt(2)
	v_mfma_f32_16x16x16_bf16 v[50:53], v[40:41], v[22:23], v[64:67]
	v_perm_b32 v40, v73, v72, s33
	v_perm_b32 v41, v75, v74, s33
	v_or_b32_e32 v58, 0xc0, v58
	v_cvt_pk_f32_fp8_e32 v[64:65], v47
	v_cvt_pk_f32_fp8_sdwa v[46:47], v47 src0_sel:WORD_1
	v_mfma_f32_16x16x16_bf16 v[50:53], v[70:71], v[24:25], v[50:53]
	v_lshl_add_u64 v[34:35], v[34:35], 2, s[8:9]
	v_perm_b32 v64, v65, v64, s33
	v_perm_b32 v65, v47, v46, s33
	s_waitcnt lgkmcnt(1)
	v_mfma_f32_16x16x16_bf16 v[50:53], v[40:41], v[18:19], v[50:53]
	v_ashrrev_i32_e32 v66, 4, v58
	v_cmp_gt_i32_e32 vcc, s7, v58
	v_cvt_pk_f32_fp8_e32 v[46:47], v48
	s_waitcnt vmcnt(6)
	v_cvt_pk_f32_fp8_sdwa v[70:71], v36 src0_sel:WORD_1
	v_cndmask_b32_e32 v40, v63, v66, vcc
	v_mfma_f32_16x16x16_bf16 v[64:67], v[64:65], v[20:21], v[50:53]
	v_ashrrev_i32_e32 v41, 31, v40
	v_lshl_add_u64 v[40:41], v[40:41], 2, s[8:9]
	v_perm_b32 v46, v47, v46, s33
	global_load_dword v53, v[34:35], off
	global_load_dword v63, v[40:41], off
	v_cvt_pk_f32_fp8_sdwa v[50:51], v48 src0_sel:WORD_1
	v_cvt_pk_f32_fp8_e32 v[34:35], v49
	v_cvt_pk_f32_fp8_sdwa v[48:49], v49 src0_sel:WORD_1
	s_add_u32 s46, s10, s12
	v_perm_b32 v47, v51, v50, s33
	v_perm_b32 v34, v35, v34, s33
	;; [unrolled: 1-line block ×3, first 2 shown]
	s_waitcnt lgkmcnt(0)
	v_mfma_f32_16x16x16_bf16 v[46:49], v[46:47], v[14:15], v[64:67]
	v_cvt_pk_f32_fp8_e32 v[50:51], v36
	s_nop 1
	global_load_dword v64, v[68:69], off
	v_cvt_pk_f32_fp8_e32 v[66:67], v37
	s_waitcnt vmcnt(8)
	v_cvt_pk_f32_fp8_e32 v[68:69], v6
	v_perm_b32 v50, v51, v50, s33
	v_perm_b32 v51, v71, v70, s33
	v_cvt_pk_f32_fp8_sdwa v[70:71], v37 src0_sel:WORD_1
	v_perm_b32 v40, v67, v66, s33
	v_mfma_f32_16x16x16_bf16 v[34:37], v[34:35], v[16:17], v[46:49]
	v_cvt_pk_f32_fp8_sdwa v[66:67], v38 src0_sel:WORD_1
	v_perm_b32 v41, v71, v70, s33
	v_cvt_pk_f32_fp8_sdwa v[70:71], v6 src0_sel:WORD_1
	v_mfma_f32_16x16x16_bf16 v[46:49], v[50:51], v[30:31], 0
	v_cvt_pk_f32_fp8_e32 v[50:51], v38
	v_lshl_or_b32 v52, v57, 4, v56
	s_waitcnt vmcnt(6)
	v_cvt_pk_f32_fp8_e32 v[72:73], v43
	v_mfma_f32_16x16x16_bf16 v[46:49], v[40:41], v[32:33], v[46:49]
	v_cvt_pk_f32_fp8_e32 v[40:41], v39
	v_perm_b32 v50, v51, v50, s33
	v_perm_b32 v51, v67, v66, s33
	v_cvt_pk_f32_fp8_sdwa v[38:39], v39 src0_sel:WORD_1
	v_perm_b32 v66, v41, v40, s33
	s_addc_u32 s47, s11, 0
	v_lshlrev_b32_e32 v58, 4, v52
	v_perm_b32 v67, v39, v38, s33
	v_mfma_f32_16x16x16_bf16 v[38:41], v[50:51], v[22:23], v[46:49]
	v_cvt_pk_f32_fp8_sdwa v[50:51], v2 src0_sel:WORD_1
	s_nop 1
	v_perm_b32 v46, v69, v68, s33
	v_perm_b32 v47, v71, v70, s33
	v_cvt_pk_f32_fp8_e32 v[48:49], v7
	v_cvt_pk_f32_fp8_sdwa v[6:7], v7 src0_sel:WORD_1
	v_mfma_f32_16x16x16_bf16 v[38:41], v[66:67], v[24:25], v[38:41]
	v_lshl_add_u64 v[70:71], s[46:47], 0, v[58:59]
	v_perm_b32 v48, v49, v48, s33
	v_perm_b32 v49, v7, v6, s33
	v_mfma_f32_16x16x16_bf16 v[38:41], v[46:47], v[18:19], v[38:41]
	v_cvt_pk_f32_fp8_e32 v[6:7], v8
	v_cvt_pk_f32_fp8_sdwa v[46:47], v8 src0_sel:WORD_1
	v_or_b32_e32 v58, 0x400, v58
	v_mfma_f32_16x16x16_bf16 v[38:41], v[48:49], v[20:21], v[38:41]
	v_cvt_pk_f32_fp8_e32 v[48:49], v9
	v_perm_b32 v6, v7, v6, s33
	v_perm_b32 v7, v47, v46, s33
	v_cvt_pk_f32_fp8_sdwa v[8:9], v9 src0_sel:WORD_1
	v_perm_b32 v46, v49, v48, s33
	v_cvt_pk_f32_fp8_e32 v[48:49], v2
	v_perm_b32 v47, v9, v8, s33
	v_mfma_f32_16x16x16_bf16 v[6:9], v[6:7], v[14:15], v[38:41]
	v_perm_b32 v48, v49, v48, s33
	v_perm_b32 v49, v51, v50, s33
	v_cvt_pk_f32_fp8_e32 v[50:51], v3
	v_cvt_pk_f32_fp8_sdwa v[2:3], v3 src0_sel:WORD_1
	v_mfma_f32_16x16x16_bf16 v[38:41], v[46:47], v[16:17], v[6:9]
	v_perm_b32 v46, v51, v50, s33
	v_perm_b32 v47, v3, v2, s33
	v_mfma_f32_16x16x16_bf16 v[6:9], v[48:49], v[30:31], 0
	v_cvt_pk_f32_fp8_e32 v[2:3], v4
	v_cvt_pk_f32_fp8_sdwa v[48:49], v4 src0_sel:WORD_1
	s_waitcnt vmcnt(3)
	v_mad_i64_i32 v[50:51], s[4:5], v62, s45, v[70:71]
	v_perm_b32 v2, v3, v2, s33
	v_perm_b32 v3, v49, v48, s33
	v_mfma_f32_16x16x16_bf16 v[6:9], v[46:47], v[32:33], v[6:9]
	v_cvt_pk_f32_fp8_e32 v[46:47], v5
	v_cvt_pk_f32_fp8_sdwa v[4:5], v5 src0_sel:WORD_1
	s_waitcnt vmcnt(2)
	v_mad_i64_i32 v[66:67], s[4:5], v53, s45, v[70:71]
	v_perm_b32 v46, v47, v46, s33
	v_perm_b32 v47, v5, v4, s33
	v_mfma_f32_16x16x16_bf16 v[2:5], v[2:3], v[22:23], v[6:9]
	s_nop 2
	v_cvt_pk_f32_fp8_e32 v[6:7], v42
	v_cvt_pk_f32_fp8_sdwa v[8:9], v42 src0_sel:WORD_1
	v_cvt_pk_f32_fp8_sdwa v[42:43], v43 src0_sel:WORD_1
	v_mfma_f32_16x16x16_bf16 v[46:49], v[46:47], v[24:25], v[2:5]
	v_perm_b32 v68, v7, v6, s33
	v_perm_b32 v69, v9, v8, s33
	global_load_dwordx4 v[6:9], v[50:51], off
	global_load_dwordx4 v[2:5], v[66:67], off
	v_perm_b32 v66, v73, v72, s33
	v_perm_b32 v67, v43, v42, s33
	v_mfma_f32_16x16x16_bf16 v[48:51], v[68:69], v[18:19], v[46:49]
	v_cvt_pk_f32_fp8_e32 v[42:43], v44
	v_cvt_pk_f32_fp8_sdwa v[72:73], v44 src0_sel:WORD_1
	s_waitcnt vmcnt(2)
	v_mad_i64_i32 v[46:47], s[4:5], v64, s45, v[70:71]
	v_mfma_f32_16x16x16_bf16 v[66:69], v[66:67], v[20:21], v[48:51]
	v_perm_b32 v42, v43, v42, s33
	v_perm_b32 v43, v73, v72, s33
	v_cvt_pk_f32_fp8_sdwa v[72:73], v26 src0_sel:WORD_1
	v_cvt_pk_f32_fp8_e32 v[50:51], v45
	v_cvt_pk_f32_fp8_sdwa v[44:45], v45 src0_sel:WORD_1
	v_mad_i64_i32 v[48:49], s[4:5], v63, s45, v[70:71]
	v_perm_b32 v50, v51, v50, s33
	v_perm_b32 v51, v45, v44, s33
	v_mfma_f32_16x16x16_bf16 v[42:45], v[42:43], v[14:15], v[66:69]
	v_cvt_pk_f32_fp8_e32 v[70:71], v26
	s_load_dword s4, s[0:1], 0x1c
	s_load_dwordx4 s[40:43], s[0:1], 0x80
	s_load_dword s44, s[0:1], 0x98
	s_waitcnt lgkmcnt(0)
	s_load_dword s5, s[40:41], 0x0
	v_mfma_f32_16x16x16_bf16 v[66:69], v[50:51], v[16:17], v[42:45]
	s_mov_b32 s40, 0xff7fffff
	s_nop 1
	v_cvt_pk_f32_fp8_e32 v[42:43], v27
	v_perm_b32 v44, v71, v70, s33
	v_perm_b32 v45, v73, v72, s33
	v_cvt_pk_f32_fp8_sdwa v[26:27], v27 src0_sel:WORD_1
	v_perm_b32 v50, v43, v42, s33
	v_cvt_pk_f32_fp8_e32 v[70:71], v28
	v_cvt_pk_f32_fp8_sdwa v[72:73], v28 src0_sel:WORD_1
	v_perm_b32 v51, v27, v26, s33
	v_mfma_f32_16x16x16_bf16 v[42:45], v[44:45], v[30:31], 0
	v_perm_b32 v30, v71, v70, s33
	v_perm_b32 v31, v73, v72, s33
	v_cvt_pk_f32_fp8_e32 v[70:71], v29
	v_cvt_pk_f32_fp8_sdwa v[72:73], v29 src0_sel:WORD_1
	v_mfma_f32_16x16x16_bf16 v[26:29], v[50:51], v[32:33], v[42:45]
	v_mov_b32_e32 v32, s4
	s_waitcnt lgkmcnt(0)
	v_mul_f32_e32 v50, s5, v32
	v_pk_mul_f32 v[32:33], v[50:51], v[34:35] op_sel_hi:[0,1]
	v_perm_b32 v42, v71, v70, s33
	v_perm_b32 v43, v73, v72, s33
	v_mfma_f32_16x16x16_bf16 v[26:29], v[30:31], v[22:23], v[26:29]
	v_pk_mul_f32 v[30:31], v[50:51], v[36:37] op_sel_hi:[0,1]
	v_cvt_pk_f32_fp8_e32 v[22:23], v10
	v_cvt_pk_f32_fp8_sdwa v[70:71], v12 src0_sel:WORD_1
	v_mfma_f32_16x16x16_bf16 v[34:37], v[42:43], v[24:25], v[26:29]
	v_cvt_pk_f32_fp8_sdwa v[24:25], v10 src0_sel:WORD_1
	v_perm_b32 v42, v23, v22, s33
	v_pk_mul_f32 v[40:41], v[50:51], v[40:41] op_sel_hi:[0,1]
	v_cvt_pk_f32_fp8_e32 v[26:27], v11
	v_cvt_pk_f32_fp8_sdwa v[10:11], v11 src0_sel:WORD_1
	v_perm_b32 v43, v25, v24, s33
	v_perm_b32 v44, v27, v26, s33
	;; [unrolled: 1-line block ×3, first 2 shown]
	v_cvt_pk_f32_fp8_e32 v[10:11], v12
	v_mfma_f32_16x16x16_bf16 v[34:37], v[42:43], v[18:19], v[34:37]
	global_load_dwordx4 v[26:29], v[46:47], off
	global_load_dwordx4 v[22:25], v[48:49], off
	v_perm_b32 v19, v71, v70, s33
	v_perm_b32 v18, v11, v10, s33
	v_cvt_pk_f32_fp8_e32 v[42:43], v13
	v_cvt_pk_f32_fp8_sdwa v[46:47], v13 src0_sel:WORD_1
	v_mfma_f32_16x16x16_bf16 v[10:13], v[44:45], v[20:21], v[34:37]
	v_pk_mul_f32 v[44:45], v[50:51], v[38:39] op_sel_hi:[0,1]
	v_perm_b32 v20, v43, v42, s33
	v_perm_b32 v21, v47, v46, s33
	v_mfma_f32_16x16x16_bf16 v[10:13], v[18:19], v[14:15], v[10:13]
	v_pk_mul_f32 v[38:39], v[50:51], v[68:69] op_sel_hi:[0,1]
	v_pk_mul_f32 v[42:43], v[50:51], v[66:67] op_sel_hi:[0,1]
	v_mfma_f32_16x16x16_bf16 v[10:13], v[20:21], v[16:17], v[10:13]
	s_nop 6
	v_pk_mul_f32 v[36:37], v[50:51], v[10:11] op_sel_hi:[0,1]
	v_and_b32_e32 v10, 0xc0, v0
	v_add_u32_e32 v10, s18, v10
	v_lshl_or_b32 v10, v60, 2, v10
	v_or_b32_e32 v11, 1, v10
	v_pk_mul_f32 v[34:35], v[50:51], v[12:13] op_sel_hi:[0,1]
	v_subrev_u32_e32 v12, s7, v11
	v_add_u32_e32 v14, 1, v12
	v_add_u32_e32 v15, 2, v12
	v_cvt_f32_i32_e32 v13, v12
	v_cvt_f32_i32_e32 v14, v14
	;; [unrolled: 1-line block ×3, first 2 shown]
	v_add_u32_e32 v16, 3, v12
	v_fma_f32 v18, v61, v13, v32
	v_fmac_f32_e32 v33, v61, v14
	v_fma_f32 v48, v61, v15, v30
	v_add_u32_e32 v13, 16, v12
	v_add_u32_e32 v14, 17, v12
	;; [unrolled: 1-line block ×3, first 2 shown]
	v_cvt_f32_i32_e32 v16, v16
	v_cvt_f32_i32_e32 v13, v13
	;; [unrolled: 1-line block ×4, first 2 shown]
	v_fmac_f32_e32 v31, v61, v16
	v_add_u32_e32 v16, 19, v12
	v_fma_f32 v44, v61, v13, v44
	v_fmac_f32_e32 v45, v61, v14
	v_fma_f32 v40, v61, v15, v40
	v_add_u32_e32 v13, 32, v12
	v_add_u32_e32 v14, 33, v12
	;; [unrolled: 1-line block ×3, first 2 shown]
	v_cvt_f32_i32_e32 v16, v16
	v_cvt_f32_i32_e32 v13, v13
	;; [unrolled: 1-line block ×4, first 2 shown]
	v_fmac_f32_e32 v41, v61, v16
	v_add_u32_e32 v16, 35, v12
	v_fma_f32 v42, v61, v13, v42
	v_fmac_f32_e32 v43, v61, v14
	v_fma_f32 v38, v61, v15, v38
	v_add_u32_e32 v13, 48, v12
	v_add_u32_e32 v14, 49, v12
	;; [unrolled: 1-line block ×4, first 2 shown]
	v_cvt_f32_i32_e32 v12, v12
	v_cvt_f32_i32_e32 v13, v13
	;; [unrolled: 1-line block ×3, first 2 shown]
	v_cmp_gt_i32_e64 s[8:9], s7, v10
	v_fmac_f32_e32 v35, v61, v12
	v_mov_b32_e32 v12, 0xff7fffff
	v_cmp_gt_i32_e64 s[10:11], s7, v11
	v_fma_f32 v36, v61, v13, v36
	v_cndmask_b32_e64 v13, v12, v18, s[8:9]
	v_cndmask_b32_e64 v11, v12, v33, s[10:11]
	v_fmac_f32_e32 v37, v61, v14
	v_max3_f32 v11, v13, s40, v11
	v_or_b32_e32 v13, 2, v10
	v_or_b32_e32 v14, 3, v10
	v_cmp_gt_i32_e64 s[12:13], s7, v13
	v_cmp_gt_i32_e64 s[14:15], s7, v14
	v_cvt_f32_i32_e32 v16, v16
	v_cndmask_b32_e64 v13, v12, v48, s[12:13]
	v_cndmask_b32_e64 v14, v12, v31, s[14:15]
	v_max3_f32 v11, v11, v13, v14
	v_or_b32_e32 v13, 16, v10
	v_or_b32_e32 v14, 17, v10
	v_cmp_gt_i32_e64 s[16:17], s7, v13
	v_cmp_gt_i32_e64 s[18:19], s7, v14
	v_fmac_f32_e32 v39, v61, v16
	v_cndmask_b32_e64 v13, v12, v44, s[16:17]
	v_cndmask_b32_e64 v14, v12, v45, s[18:19]
	v_max3_f32 v11, v11, v13, v14
	v_or_b32_e32 v13, 18, v10
	v_or_b32_e32 v14, 19, v10
	v_cmp_gt_i32_e64 s[20:21], s7, v13
	v_cmp_gt_i32_e64 s[22:23], s7, v14
	v_cvt_f32_i32_e32 v15, v15
	v_cndmask_b32_e64 v13, v12, v40, s[20:21]
	v_cndmask_b32_e64 v14, v12, v41, s[22:23]
	v_max3_f32 v11, v11, v13, v14
	v_or_b32_e32 v13, 32, v10
	v_or_b32_e32 v14, 33, v10
	v_cmp_gt_i32_e64 s[24:25], s7, v13
	v_cmp_gt_i32_e64 s[26:27], s7, v14
	v_fma_f32 v34, v61, v15, v34
	v_cndmask_b32_e64 v13, v12, v42, s[24:25]
	v_cndmask_b32_e64 v14, v12, v43, s[26:27]
	v_max3_f32 v11, v11, v13, v14
	v_or_b32_e32 v13, 34, v10
	v_or_b32_e32 v14, 35, v10
	v_cmp_gt_i32_e64 s[28:29], s7, v13
	v_cmp_gt_i32_e64 s[30:31], s7, v14
	s_nop 0
	v_cndmask_b32_e64 v13, v12, v38, s[28:29]
	v_cndmask_b32_e64 v14, v12, v39, s[30:31]
	v_max3_f32 v11, v11, v13, v14
	v_or_b32_e32 v13, 48, v10
	v_or_b32_e32 v14, 49, v10
	v_cmp_gt_i32_e64 s[34:35], s7, v13
	v_cmp_gt_i32_e64 s[36:37], s7, v14
	s_nop 0
	v_cndmask_b32_e64 v13, v12, v36, s[34:35]
	v_cndmask_b32_e64 v14, v12, v37, s[36:37]
	v_max3_f32 v11, v11, v13, v14
	v_or_b32_e32 v13, 50, v10
	v_or_b32_e32 v10, 51, v10
	v_cmp_gt_i32_e32 vcc, s7, v13
	v_cmp_gt_i32_e64 s[4:5], s7, v10
	s_nop 0
	v_cndmask_b32_e32 v13, v12, v34, vcc
	v_cndmask_b32_e64 v10, v12, v35, s[4:5]
	v_max3_f32 v14, v11, v13, v10
	v_mbcnt_lo_u32_b32 v10, -1, 0
	v_mbcnt_hi_u32_b32 v15, -1, v10
	v_and_b32_e32 v10, 64, v15
	v_add_u32_e32 v16, 64, v10
	v_xor_b32_e32 v10, 32, v15
	v_cmp_lt_i32_e64 s[38:39], v10, v16
	s_nop 1
	v_cndmask_b32_e64 v10, v15, v10, s[38:39]
	v_lshlrev_b32_e32 v51, 2, v10
	ds_bpermute_b32 v17, v51, v14
	v_lshl_add_u64 v[10:11], s[46:47], 0, v[58:59]
	v_mad_i64_i32 v[12:13], s[38:39], v62, s45, v[10:11]
	s_waitcnt lgkmcnt(0)
	v_max_f32_e32 v17, v17, v17
	v_max_f32_e32 v19, v14, v17
	v_xor_b32_e32 v14, 16, v15
	v_cmp_lt_i32_e64 s[38:39], v14, v16
	s_nop 1
	v_cndmask_b32_e64 v14, v15, v14, s[38:39]
	v_lshlrev_b32_e32 v58, 2, v14
	ds_bpermute_b32 v20, v58, v19
	v_mad_i64_i32 v[14:15], s[38:39], v53, s45, v[10:11]
	v_mad_i64_i32 v[16:17], s[38:39], v64, s45, v[10:11]
	s_waitcnt lgkmcnt(0)
	v_max_f32_e32 v20, v20, v20
	v_max_f32_e32 v50, v19, v20
	v_sub_f32_e32 v18, v18, v50
	v_sub_f32_e32 v19, v33, v50
	v_mul_f32_e32 v18, 0x3fb8aa3b, v18
	v_mul_f32_e32 v19, 0x3fb8aa3b, v19
	v_exp_f32_e32 v18, v18
	v_exp_f32_e32 v19, v19
	v_sub_f32_e32 v49, v31, v50
	v_mad_i64_i32 v[10:11], s[38:39], v63, s45, v[10:11]
	v_cndmask_b32_e64 v46, 0, v18, s[8:9]
	v_cndmask_b32_e64 v47, 0, v19, s[10:11]
	global_load_dwordx4 v[30:33], v[12:13], off
	global_load_dwordx4 v[18:21], v[14:15], off
	v_sub_f32_e32 v12, v48, v50
	v_mul_f32_e32 v12, 0x3fb8aa3b, v12
	v_exp_f32_e32 v48, v12
	global_load_dwordx4 v[14:17], v[16:17], off
	s_nop 0
	global_load_dwordx4 v[10:13], v[10:11], off
	v_sub_f32_e32 v40, v40, v50
	v_sub_f32_e32 v42, v42, v50
	v_mul_f32_e32 v40, 0x3fb8aa3b, v40
	v_mul_f32_e32 v42, 0x3fb8aa3b, v42
	v_exp_f32_e32 v40, v40
	v_exp_f32_e32 v53, v42
	v_mul_f32_e32 v49, 0x3fb8aa3b, v49
	v_sub_f32_e32 v44, v44, v50
	v_exp_f32_e32 v49, v49
	v_mul_f32_e32 v44, 0x3fb8aa3b, v44
	v_sub_f32_e32 v45, v45, v50
	v_sub_f32_e32 v42, v43, v50
	v_exp_f32_e32 v44, v44
	v_mul_f32_e32 v45, 0x3fb8aa3b, v45
	v_mul_f32_e32 v42, 0x3fb8aa3b, v42
	v_exp_f32_e32 v45, v45
	v_sub_f32_e32 v41, v41, v50
	v_exp_f32_e32 v59, v42
	v_cndmask_b32_e64 v42, 0, v40, s[20:21]
	v_cndmask_b32_e64 v40, 0, v53, s[24:25]
	v_add_f32_e32 v53, 0, v46
	v_cndmask_b32_e64 v48, 0, v48, s[12:13]
	v_mul_f32_e32 v41, 0x3fb8aa3b, v41
	v_add_f32_e32 v53, v53, v47
	v_cndmask_b32_e64 v49, 0, v49, s[14:15]
	v_exp_f32_e32 v41, v41
	v_add_f32_e32 v53, v53, v48
	v_cndmask_b32_e64 v44, 0, v44, s[16:17]
	v_sub_f32_e32 v38, v38, v50
	v_add_f32_e32 v53, v53, v49
	v_cndmask_b32_e64 v45, 0, v45, s[18:19]
	v_sub_f32_e32 v39, v39, v50
	v_mul_f32_e32 v38, 0x3fb8aa3b, v38
	v_add_f32_e32 v53, v53, v44
	v_exp_f32_e32 v38, v38
	v_mul_f32_e32 v39, 0x3fb8aa3b, v39
	v_sub_f32_e32 v36, v36, v50
	v_add_f32_e32 v53, v53, v45
	v_cndmask_b32_e64 v43, 0, v41, s[22:23]
	v_exp_f32_e32 v39, v39
	v_mul_f32_e32 v36, 0x3fb8aa3b, v36
	v_sub_f32_e32 v37, v37, v50
	v_add_f32_e32 v53, v53, v42
	v_exp_f32_e32 v36, v36
	v_mul_f32_e32 v37, 0x3fb8aa3b, v37
	v_add_f32_e32 v53, v53, v43
	v_sub_f32_e32 v34, v34, v50
	v_cndmask_b32_e64 v41, 0, v59, s[26:27]
	v_exp_f32_e32 v37, v37
	v_add_f32_e32 v53, v53, v40
	v_mul_f32_e32 v34, 0x3fb8aa3b, v34
	v_sub_f32_e32 v35, v35, v50
	v_cndmask_b32_e64 v38, 0, v38, s[28:29]
	v_add_f32_e32 v53, v53, v41
	v_exp_f32_e32 v34, v34
	v_mul_f32_e32 v35, 0x3fb8aa3b, v35
	v_cndmask_b32_e64 v39, 0, v39, s[30:31]
	v_add_f32_e32 v53, v53, v38
	v_exp_f32_e32 v35, v35
	v_cndmask_b32_e64 v36, 0, v36, s[34:35]
	v_add_f32_e32 v53, v53, v39
	v_cndmask_b32_e64 v37, 0, v37, s[36:37]
	v_add_f32_e32 v53, v53, v36
	v_add_f32_e32 v53, v53, v37
	v_cndmask_b32_e32 v34, 0, v34, vcc
	v_add_f32_e32 v53, v53, v34
	v_cndmask_b32_e64 v35, 0, v35, s[4:5]
	v_add_f32_e32 v53, v53, v35
	ds_bpermute_b32 v51, v51, v53
	v_cmp_gt_u32_e64 s[4:5], 16, v55
	s_waitcnt lgkmcnt(0)
	s_barrier
	v_add_f32_e32 v51, v53, v51
	ds_bpermute_b32 v53, v58, v51
	s_and_saveexec_b64 s[8:9], s[4:5]
	s_cbranch_execz .LBB1300_15
; %bb.14:
	s_waitcnt lgkmcnt(0)
	v_add_f32_e32 v51, v51, v53
	v_lshlrev_b32_e32 v52, 2, v52
	ds_write2st64_b32 v52, v50, v51 offset1:1
.LBB1300_15:
	s_or_b64 exec, exec, s[8:9]
	v_lshlrev_b32_e32 v51, 2, v56
	s_load_dword s7, s[0:1], 0x94
	s_waitcnt lgkmcnt(0)
	s_barrier
	ds_read2_b32 v[52:53], v51 offset1:16
	ds_read2_b32 v[58:59], v51 offset0:32 offset1:48
	ds_read2_b32 v[62:63], v51 offset0:64 offset1:80
	s_movk_i32 s11, 0x7fff
	s_mul_i32 s10, s44, 13
	s_waitcnt lgkmcnt(2)
	v_max3_f32 v50, v52, s40, v53
	s_waitcnt lgkmcnt(1)
	v_max3_f32 v50, v50, v58, v59
	v_sub_f32_e32 v52, v52, v50
	v_mul_f32_e32 v52, 0x3fb8aa3b, v52
	v_exp_f32_e32 v55, v52
	v_sub_f32_e32 v52, v53, v50
	v_mul_f32_e32 v52, 0x3fb8aa3b, v52
	v_exp_f32_e32 v61, v52
	;; [unrolled: 3-line block ×3, first 2 shown]
	ds_read2_b32 v[52:53], v51 offset0:96 offset1:112
	v_sub_f32_e32 v51, v59, v50
	v_mul_f32_e32 v51, 0x3fb8aa3b, v51
	v_exp_f32_e32 v59, v51
	s_waitcnt lgkmcnt(1)
	v_fma_f32 v51, v55, v62, 0
	v_fmac_f32_e32 v51, v61, v63
	s_waitcnt lgkmcnt(0)
	v_fmac_f32_e32 v51, v58, v52
	v_fmac_f32_e32 v51, v59, v53
	v_add_f32_e32 v52, 0x358637bd, v51
	v_div_scale_f32 v53, s[8:9], v52, v52, 1.0
	v_rcp_f32_e32 v62, v53
	s_barrier
	v_fma_f32 v63, -v53, v62, 1.0
	v_fmac_f32_e32 v62, v63, v62
	v_div_scale_f32 v63, vcc, 1.0, v52, 1.0
	v_mul_f32_e32 v64, v63, v62
	v_fma_f32 v65, -v53, v64, v63
	v_fmac_f32_e32 v64, v65, v62
	v_fma_f32 v53, -v53, v64, v63
	v_div_fmas_f32 v53, v53, v62, v64
	v_cmp_eq_u32_e32 vcc, 1, v57
	v_div_fixup_f32 v52, v53, v52, 1.0
	s_nop 0
	v_cndmask_b32_e32 v53, v55, v61, vcc
	v_cmp_eq_u32_e32 vcc, 2, v57
	s_nop 1
	v_cndmask_b32_e32 v53, v53, v58, vcc
	v_cmp_eq_u32_e32 vcc, 3, v57
	s_nop 1
	v_cndmask_b32_e32 v53, v53, v59, vcc
	v_mul_f32_e32 v52, v53, v52
	v_pk_mul_f32 v[46:47], v[52:53], v[46:47] op_sel_hi:[0,1]
	v_pk_mul_f32 v[48:49], v[52:53], v[48:49] op_sel_hi:[0,1]
	v_bfe_u32 v53, v47, 16, 1
	v_bfe_u32 v55, v46, 16, 1
	v_add3_u32 v46, v46, v55, s11
	v_add3_u32 v47, v47, v53, s11
	v_perm_b32 v58, v47, v46, s33
	v_bfe_u32 v46, v49, 16, 1
	v_bfe_u32 v47, v48, 16, 1
	v_add3_u32 v47, v48, v47, s11
	v_add3_u32 v46, v49, v46, s11
	v_perm_b32 v59, v46, v47, s33
	v_lshlrev_b32_e32 v47, 3, v60
	v_lshlrev_b32_e32 v46, 5, v56
	;; [unrolled: 1-line block ×3, first 2 shown]
	v_pk_mul_f32 v[44:45], v[52:53], v[44:45] op_sel_hi:[0,1]
	v_or3_b32 v55, v48, v46, v47
	v_bfe_u32 v47, v45, 16, 1
	v_bfe_u32 v48, v44, 16, 1
	v_pk_mul_f32 v[42:43], v[52:53], v[42:43] op_sel_hi:[0,1]
	v_add3_u32 v44, v44, v48, s11
	v_add3_u32 v45, v45, v47, s11
	v_perm_b32 v44, v45, v44, s33
	v_bfe_u32 v45, v43, 16, 1
	v_bfe_u32 v47, v42, 16, 1
	v_add3_u32 v42, v42, v47, s11
	v_add3_u32 v43, v43, v45, s11
	v_pk_mul_f32 v[40:41], v[52:53], v[40:41] op_sel_hi:[0,1]
	v_perm_b32 v45, v43, v42, s33
	v_bfe_u32 v42, v41, 16, 1
	v_bfe_u32 v43, v40, 16, 1
	v_pk_mul_f32 v[38:39], v[52:53], v[38:39] op_sel_hi:[0,1]
	v_add3_u32 v40, v40, v43, s11
	v_add3_u32 v41, v41, v42, s11
	v_perm_b32 v40, v41, v40, s33
	v_bfe_u32 v41, v39, 16, 1
	v_bfe_u32 v42, v38, 16, 1
	v_add3_u32 v38, v38, v42, s11
	v_add3_u32 v39, v39, v41, s11
	v_pk_mul_f32 v[36:37], v[52:53], v[36:37] op_sel_hi:[0,1]
	v_perm_b32 v41, v39, v38, s33
	v_bfe_u32 v38, v37, 16, 1
	v_bfe_u32 v39, v36, 16, 1
	v_pk_mul_f32 v[34:35], v[52:53], v[34:35] op_sel_hi:[0,1]
	v_add3_u32 v36, v36, v39, s11
	v_add3_u32 v37, v37, v38, s11
	v_perm_b32 v36, v37, v36, s33
	v_bfe_u32 v37, v35, 16, 1
	v_bfe_u32 v38, v34, 16, 1
	v_add3_u32 v34, v34, v38, s11
	v_add3_u32 v35, v35, v37, s11
	v_perm_b32 v37, v35, v34, s33
	v_cmp_gt_u32_e32 vcc, 13, v0
	ds_write2st64_b64 v55, v[58:59], v[44:45] offset1:1
	ds_write2st64_b64 v55, v[40:41], v[36:37] offset0:2 offset1:3
	s_and_saveexec_b64 s[8:9], vcc
	s_cbranch_execz .LBB1300_17
; %bb.16:
	s_mov_b32 s49, 0
	v_mov_b32_e32 v57, 0
	v_lshl_add_u64 v[34:35], s[48:49], 0, v[56:57]
	v_mov_b32_e32 v36, s10
	v_mad_u64_u32 v[34:35], s[16:17], s2, v36, v[34:35]
	s_mul_i32 s3, s3, s10
	v_mov_b32_e32 v36, s6
	v_mov_b32_e32 v37, v57
	s_load_dwordx4 s[12:15], s[0:1], 0x58
	v_add_u32_e32 v38, s3, v35
	v_mad_u64_u32 v[34:35], s[16:17], v34, s7, v[36:37]
	v_mov_b32_e32 v36, v35
	v_mad_u64_u32 v[36:37], s[16:17], v38, s7, v[36:37]
	v_mov_b32_e32 v35, v36
	v_lshlrev_b64 v[34:35], 2, v[34:35]
	s_waitcnt lgkmcnt(0)
	v_lshl_add_u64 v[36:37], s[14:15], 0, v[34:35]
	v_lshl_add_u64 v[34:35], s[12:13], 0, v[34:35]
	global_store_dword v[36:37], v50, off
	global_store_dword v[34:35], v51, off
.LBB1300_17:
	s_or_b64 exec, exec, s[8:9]
	s_waitcnt vmcnt(7)
	v_cvt_pk_f32_fp8_e32 v[34:35], v6
	v_cvt_pk_f32_fp8_sdwa v[36:37], v6 src0_sel:WORD_1
	v_lshl_or_b32 v50, v60, 9, v46
	s_mov_b32 s9, 0x7060302
	s_waitcnt lgkmcnt(0)
	s_barrier
	v_cvt_pk_f32_fp8_e32 v[38:39], v7
	v_perm_b32 v6, v35, v34, s9
	v_cvt_pk_f32_fp8_sdwa v[40:41], v7 src0_sel:WORD_1
	v_perm_b32 v7, v37, v36, s9
	ds_read_b128 v[34:37], v50
	v_perm_b32 v46, v39, v38, s9
	v_perm_b32 v47, v41, v40, s9
	ds_read_b128 v[38:41], v50 offset:16
	v_cvt_pk_f32_fp8_e32 v[48:49], v8
	v_cvt_pk_f32_fp8_sdwa v[52:53], v8 src0_sel:WORD_1
	s_waitcnt lgkmcnt(1)
	v_mfma_f32_16x16x16_bf16 v[42:45], v[6:7], v[34:35], 0
	s_waitcnt vmcnt(6)
	v_cvt_pk_f32_fp8_e32 v[58:59], v4
	v_perm_b32 v6, v49, v48, s9
	v_perm_b32 v7, v53, v52, s9
	v_cvt_pk_f32_fp8_e32 v[48:49], v9
	v_mfma_f32_16x16x16_bf16 v[42:45], v[46:47], v[36:37], v[42:45]
	v_cvt_pk_f32_fp8_sdwa v[46:47], v9 src0_sel:WORD_1
	v_cvt_pk_f32_fp8_sdwa v[62:63], v4 src0_sel:WORD_1
	v_perm_b32 v48, v49, v48, s9
	s_waitcnt lgkmcnt(0)
	v_mfma_f32_16x16x16_bf16 v[6:9], v[6:7], v[38:39], v[42:45]
	v_perm_b32 v49, v47, v46, s9
	s_waitcnt vmcnt(5)
	v_cvt_pk_f32_fp8_sdwa v[66:67], v28 src0_sel:WORD_1
	s_waitcnt vmcnt(4)
	v_cvt_pk_f32_fp8_sdwa v[68:69], v24 src0_sel:WORD_1
	v_cvt_pk_f32_fp8_e32 v[42:43], v2
	v_mfma_f32_16x16x16_bf16 v[46:49], v[48:49], v[40:41], v[6:9]
	s_load_dword s8, s[42:43], 0x0
	s_waitcnt vmcnt(3)
	v_cvt_pk_f32_fp8_sdwa v[70:71], v32 src0_sel:WORD_1
	v_cvt_pk_f32_fp8_sdwa v[6:7], v2 src0_sel:WORD_1
	v_cvt_pk_f32_fp8_e32 v[8:9], v3
	v_perm_b32 v2, v43, v42, s9
	v_cvt_pk_f32_fp8_sdwa v[42:43], v3 src0_sel:WORD_1
	v_perm_b32 v3, v7, v6, s9
	v_perm_b32 v52, v9, v8, s9
	ds_read_b128 v[6:9], v50 offset:2048
	v_perm_b32 v53, v43, v42, s9
	ds_read_b128 v[42:45], v50 offset:2064
	s_waitcnt lgkmcnt(0)
	v_mfma_f32_16x16x16_bf16 v[46:49], v[2:3], v[6:7], v[46:49]
	v_perm_b32 v2, v59, v58, s9
	v_perm_b32 v3, v63, v62, s9
	v_cvt_pk_f32_fp8_e32 v[58:59], v5
	v_mfma_f32_16x16x16_bf16 v[46:49], v[52:53], v[8:9], v[46:49]
	v_cvt_pk_f32_fp8_sdwa v[52:53], v5 src0_sel:WORD_1
	s_mov_b32 s3, 0
	v_perm_b32 v58, v59, v58, s9
	v_mfma_f32_16x16x16_bf16 v[2:5], v[2:3], v[42:43], v[46:49]
	v_perm_b32 v59, v53, v52, s9
	v_cmp_gt_u32_e32 vcc, 64, v0
	s_nop 0
	v_cvt_pk_f32_fp8_e32 v[46:47], v26
	v_mfma_f32_16x16x16_bf16 v[62:65], v[58:59], v[44:45], v[2:5]
	v_cvt_pk_f32_fp8_e32 v[58:59], v28
	s_nop 1
	v_cvt_pk_f32_fp8_sdwa v[2:3], v26 src0_sel:WORD_1
	v_cvt_pk_f32_fp8_e32 v[4:5], v27
	v_perm_b32 v26, v47, v46, s9
	v_cvt_pk_f32_fp8_sdwa v[46:47], v27 src0_sel:WORD_1
	v_perm_b32 v27, v3, v2, s9
	v_perm_b32 v52, v5, v4, s9
	ds_read_b128 v[2:5], v50 offset:4096
	v_perm_b32 v53, v47, v46, s9
	ds_read_b128 v[46:49], v50 offset:4112
	s_waitcnt lgkmcnt(1)
	v_mfma_f32_16x16x16_bf16 v[62:65], v[26:27], v[2:3], v[62:65]
	v_perm_b32 v26, v59, v58, s9
	v_perm_b32 v27, v67, v66, s9
	v_cvt_pk_f32_fp8_e32 v[58:59], v29
	v_mfma_f32_16x16x16_bf16 v[62:65], v[52:53], v[4:5], v[62:65]
	v_cvt_pk_f32_fp8_sdwa v[52:53], v29 src0_sel:WORD_1
	v_cvt_pk_f32_fp8_e32 v[66:67], v24
	v_perm_b32 v58, v59, v58, s9
	s_waitcnt lgkmcnt(0)
	v_mfma_f32_16x16x16_bf16 v[26:29], v[26:27], v[46:47], v[62:65]
	v_perm_b32 v59, v53, v52, s9
	v_cvt_pk_f32_fp8_e32 v[52:53], v22
	s_nop 0
	v_mfma_f32_16x16x16_bf16 v[62:65], v[58:59], v[48:49], v[26:29]
	s_nop 2
	v_cvt_pk_f32_fp8_sdwa v[26:27], v22 src0_sel:WORD_1
	v_cvt_pk_f32_fp8_e32 v[28:29], v23
	v_perm_b32 v22, v53, v52, s9
	v_cvt_pk_f32_fp8_sdwa v[52:53], v23 src0_sel:WORD_1
	v_perm_b32 v23, v27, v26, s9
	v_perm_b32 v58, v29, v28, s9
	ds_read_b128 v[26:29], v50 offset:6144
	v_perm_b32 v59, v53, v52, s9
	s_waitcnt lgkmcnt(0)
	v_mfma_f32_16x16x16_bf16 v[62:65], v[22:23], v[26:27], v[62:65]
	ds_read_b128 v[50:53], v50 offset:6160
	v_perm_b32 v22, v67, v66, s9
	v_perm_b32 v23, v69, v68, s9
	v_cvt_pk_f32_fp8_e32 v[66:67], v25
	v_mfma_f32_16x16x16_bf16 v[62:65], v[58:59], v[28:29], v[62:65]
	v_cvt_pk_f32_fp8_sdwa v[58:59], v25 src0_sel:WORD_1
	v_cvt_pk_f32_fp8_e32 v[68:69], v32
	v_perm_b32 v66, v67, v66, s9
	s_waitcnt lgkmcnt(0)
	v_mfma_f32_16x16x16_bf16 v[22:25], v[22:23], v[50:51], v[62:65]
	v_perm_b32 v67, v59, v58, s9
	v_cvt_pk_f32_fp8_sdwa v[58:59], v30 src0_sel:WORD_1
	s_nop 0
	v_mfma_f32_16x16x16_bf16 v[62:65], v[66:67], v[52:53], v[22:25]
	s_barrier
	s_nop 1
	v_cvt_pk_f32_fp8_e32 v[24:25], v30
	s_nop 2
	v_pk_mul_f32 v[66:67], v[62:63], s[8:9] op_sel_hi:[1,0]
	v_cvt_pk_f32_fp8_e32 v[62:63], v31
	v_perm_b32 v24, v25, v24, s9
	v_perm_b32 v25, v59, v58, s9
	v_cvt_pk_f32_fp8_sdwa v[30:31], v31 src0_sel:WORD_1
	v_perm_b32 v58, v63, v62, s9
	v_pk_mul_f32 v[22:23], v[64:65], s[8:9] op_sel_hi:[1,0]
	v_mfma_f32_16x16x16_bf16 v[62:65], v[24:25], v[34:35], 0
	v_perm_b32 v59, v31, v30, s9
	v_perm_b32 v24, v69, v68, s9
	;; [unrolled: 1-line block ×3, first 2 shown]
	v_cvt_pk_f32_fp8_e32 v[34:35], v33
	v_cvt_pk_f32_fp8_sdwa v[68:69], v33 src0_sel:WORD_1
	v_mfma_f32_16x16x16_bf16 v[30:33], v[58:59], v[36:37], v[62:65]
	s_waitcnt vmcnt(2)
	v_cvt_pk_f32_fp8_sdwa v[36:37], v18 src0_sel:WORD_1
	v_perm_b32 v34, v35, v34, s9
	v_perm_b32 v35, v69, v68, s9
	v_mfma_f32_16x16x16_bf16 v[30:33], v[24:25], v[38:39], v[30:33]
	v_cvt_pk_f32_fp8_e32 v[24:25], v18
	v_cvt_pk_f32_fp8_sdwa v[38:39], v20 src0_sel:WORD_1
	v_bfe_u32 v57, v67, 16, 1
	v_mfma_f32_16x16x16_bf16 v[30:33], v[34:35], v[40:41], v[30:33]
	v_cvt_pk_f32_fp8_e32 v[34:35], v19
	v_perm_b32 v24, v25, v24, s9
	v_perm_b32 v25, v37, v36, s9
	v_cvt_pk_f32_fp8_sdwa v[18:19], v19 src0_sel:WORD_1
	v_perm_b32 v34, v35, v34, s9
	v_cvt_pk_f32_fp8_e32 v[36:37], v20
	v_mfma_f32_16x16x16_bf16 v[30:33], v[24:25], v[6:7], v[30:33]
	v_perm_b32 v35, v19, v18, s9
	v_perm_b32 v18, v37, v36, s9
	v_perm_b32 v19, v39, v38, s9
	v_cvt_pk_f32_fp8_e32 v[24:25], v21
	v_cvt_pk_f32_fp8_sdwa v[20:21], v21 src0_sel:WORD_1
	v_mfma_f32_16x16x16_bf16 v[6:9], v[34:35], v[8:9], v[30:33]
	v_bfe_u32 v58, v66, 16, 1
	v_perm_b32 v24, v25, v24, s9
	v_perm_b32 v25, v21, v20, s9
	v_mfma_f32_16x16x16_bf16 v[6:9], v[18:19], v[42:43], v[6:9]
	s_waitcnt vmcnt(1)
	v_cvt_pk_f32_fp8_e32 v[18:19], v14
	v_cvt_pk_f32_fp8_sdwa v[20:21], v14 src0_sel:WORD_1
	v_cvt_pk_f32_fp8_sdwa v[30:31], v16 src0_sel:WORD_1
	v_mfma_f32_16x16x16_bf16 v[6:9], v[24:25], v[44:45], v[6:9]
	v_cvt_pk_f32_fp8_e32 v[24:25], v15
	v_perm_b32 v18, v19, v18, s9
	v_perm_b32 v19, v21, v20, s9
	v_cvt_pk_f32_fp8_sdwa v[14:15], v15 src0_sel:WORD_1
	v_perm_b32 v20, v25, v24, s9
	v_cvt_pk_f32_fp8_e32 v[24:25], v16
	v_mfma_f32_16x16x16_bf16 v[6:9], v[18:19], v[2:3], v[6:9]
	v_perm_b32 v21, v15, v14, s9
	v_perm_b32 v14, v25, v24, s9
	;; [unrolled: 1-line block ×3, first 2 shown]
	v_cvt_pk_f32_fp8_e32 v[18:19], v17
	v_cvt_pk_f32_fp8_sdwa v[16:17], v17 src0_sel:WORD_1
	v_mfma_f32_16x16x16_bf16 v[2:5], v[20:21], v[4:5], v[6:9]
	v_add3_u32 v32, v66, v58, s11
	v_add3_u32 v33, v67, v57, s11
	s_nop 0
	v_perm_b32 v8, v19, v18, s9
	v_perm_b32 v9, v17, v16, s9
	v_mfma_f32_16x16x16_bf16 v[2:5], v[14:15], v[46:47], v[2:5]
	s_waitcnt vmcnt(0)
	v_cvt_pk_f32_fp8_e32 v[14:15], v10
	v_cvt_pk_f32_fp8_sdwa v[16:17], v10 src0_sel:WORD_1
	v_cvt_pk_f32_fp8_sdwa v[18:19], v12 src0_sel:WORD_1
	v_mfma_f32_16x16x16_bf16 v[2:5], v[8:9], v[48:49], v[2:5]
	v_cvt_pk_f32_fp8_e32 v[8:9], v11
	v_perm_b32 v14, v15, v14, s9
	v_perm_b32 v15, v17, v16, s9
	v_cvt_pk_f32_fp8_sdwa v[10:11], v11 src0_sel:WORD_1
	v_perm_b32 v8, v9, v8, s9
	v_cvt_pk_f32_fp8_e32 v[16:17], v12
	v_mfma_f32_16x16x16_bf16 v[2:5], v[14:15], v[26:27], v[2:5]
	v_perm_b32 v9, v11, v10, s9
	v_perm_b32 v10, v17, v16, s9
	;; [unrolled: 1-line block ×3, first 2 shown]
	v_cvt_pk_f32_fp8_e32 v[14:15], v13
	v_cvt_pk_f32_fp8_sdwa v[12:13], v13 src0_sel:WORD_1
	v_mfma_f32_16x16x16_bf16 v[2:5], v[8:9], v[28:29], v[2:5]
	v_bfe_u32 v7, v23, 16, 1
	v_perm_b32 v8, v15, v14, s9
	v_perm_b32 v9, v13, v12, s9
	v_mfma_f32_16x16x16_bf16 v[2:5], v[10:11], v[50:51], v[2:5]
	v_bfe_u32 v16, v22, 16, 1
	v_add3_u32 v10, v22, v16, s11
	v_add3_u32 v7, v23, v7, s11
	v_mfma_f32_16x16x16_bf16 v[2:5], v[8:9], v[52:53], v[2:5]
	v_perm_b32 v6, v33, v32, s9
	v_perm_b32 v7, v7, v10, s9
	s_nop 4
	v_pk_mul_f32 v[2:3], v[2:3], s[8:9] op_sel_hi:[1,0]
	v_pk_mul_f32 v[4:5], v[4:5], s[8:9] op_sel_hi:[1,0]
	v_bfe_u32 v8, v3, 16, 1
	v_bfe_u32 v9, v2, 16, 1
	v_add3_u32 v2, v2, v9, s11
	v_add3_u32 v3, v3, v8, s11
	v_perm_b32 v2, v3, v2, s9
	v_bfe_u32 v3, v5, 16, 1
	v_bfe_u32 v8, v4, 16, 1
	v_add3_u32 v4, v4, v8, s11
	v_add3_u32 v3, v5, v3, s11
	v_perm_b32 v3, v3, v4, s9
	ds_write2st64_b64 v55, v[6:7], v[2:3] offset1:1
	s_waitcnt lgkmcnt(0)
	s_barrier
	s_and_saveexec_b64 s[8:9], vcc
	s_cbranch_execz .LBB1300_20
; %bb.18:
	s_load_dwordx2 s[8:9], s[0:1], 0x68
	s_lshl_b32 s0, s7, 7
	s_mul_i32 s1, s10, s2
	v_lshlrev_b32_e32 v3, 6, v56
	s_mul_hi_u32 s11, s1, s0
	s_mul_i32 s10, s1, s0
	v_lshl_or_b32 v0, v0, 10, v3
	s_lshl_b64 s[10:11], s[10:11], 1
	v_lshlrev_b32_e32 v2, 5, v60
	v_and_b32_e32 v1, 16, v1
	v_and_b32_e32 v0, 0x1a00, v0
	s_waitcnt lgkmcnt(0)
	s_add_u32 s1, s8, s10
	v_or3_b32 v2, v0, v2, v1
	s_addc_u32 s7, s9, s11
	s_lshl_b32 s2, s6, 7
	ds_read_b128 v[4:7], v2 offset:256
	s_lshl_b64 s[2:3], s[2:3], 1
	ds_read_b128 v[8:11], v2 offset:128
	ds_read_b128 v[12:15], v2
	s_add_u32 s2, s1, s2
	s_addc_u32 s3, s7, s3
	v_mov_b32_e32 v55, 0
	v_add_u32_e32 v3, s48, v60
	v_lshl_add_u64 v[0:1], s[2:3], 0, v[54:55]
	v_mad_u64_u32 v[16:17], s[2:3], v3, s0, 0
	v_lshl_add_u64 v[16:17], v[16:17], 1, v[0:1]
	s_waitcnt lgkmcnt(0)
	global_store_dwordx4 v[16:17], v[12:15], off
	s_nop 1
	v_add_u32_e32 v12, 4, v3
	v_mad_u64_u32 v[12:13], s[2:3], v12, s0, 0
	v_lshl_add_u64 v[12:13], v[12:13], 1, v[0:1]
	v_add_u32_e32 v3, 8, v3
	global_store_dwordx4 v[12:13], v[8:11], off
	s_nop 1
	v_mad_u64_u32 v[8:9], s[2:3], v3, s0, 0
	v_lshl_add_u64 v[8:9], v[8:9], 1, v[0:1]
	global_store_dwordx4 v[8:9], v[4:7], off
	s_and_b64 exec, exec, s[4:5]
	s_cbranch_execz .LBB1300_20
; %bb.19:
	ds_read_b128 v[2:5], v2 offset:384
	v_add3_u32 v6, s48, v60, 12
	v_mad_u64_u32 v[6:7], s[0:1], v6, s0, 0
	v_lshl_add_u64 v[0:1], v[6:7], 1, v[0:1]
	s_waitcnt lgkmcnt(0)
	global_store_dwordx4 v[0:1], v[2:5], off
.LBB1300_20:
	s_endpgm
	.section	.rodata,"a",@progbits
	.p2align	6, 0x0
	.amdhsa_kernel _Z39paged_attention_ll4mi_QKV_mfma16_kernelI14__hip_bfloat16hLN4vllm18Fp8KVCacheDataTypeE1ES0_Li16ELi128ELi256ELb1ELi13EEvPKT_PKT0_S8_ifPKiSA_SA_iPKfiiiPfSD_PS3_PT2_iSC_SC_
		.amdhsa_group_segment_fixed_size 8192
		.amdhsa_private_segment_fixed_size 0
		.amdhsa_kernarg_size 400
		.amdhsa_user_sgpr_count 2
		.amdhsa_user_sgpr_dispatch_ptr 0
		.amdhsa_user_sgpr_queue_ptr 0
		.amdhsa_user_sgpr_kernarg_segment_ptr 1
		.amdhsa_user_sgpr_dispatch_id 0
		.amdhsa_user_sgpr_kernarg_preload_length 0
		.amdhsa_user_sgpr_kernarg_preload_offset 0
		.amdhsa_user_sgpr_private_segment_size 0
		.amdhsa_uses_dynamic_stack 0
		.amdhsa_enable_private_segment 0
		.amdhsa_system_sgpr_workgroup_id_x 1
		.amdhsa_system_sgpr_workgroup_id_y 1
		.amdhsa_system_sgpr_workgroup_id_z 1
		.amdhsa_system_sgpr_workgroup_info 0
		.amdhsa_system_vgpr_workitem_id 0
		.amdhsa_next_free_vgpr 76
		.amdhsa_next_free_sgpr 50
		.amdhsa_accum_offset 76
		.amdhsa_reserve_vcc 1
		.amdhsa_float_round_mode_32 0
		.amdhsa_float_round_mode_16_64 0
		.amdhsa_float_denorm_mode_32 3
		.amdhsa_float_denorm_mode_16_64 3
		.amdhsa_dx10_clamp 1
		.amdhsa_ieee_mode 1
		.amdhsa_fp16_overflow 0
		.amdhsa_tg_split 0
		.amdhsa_exception_fp_ieee_invalid_op 0
		.amdhsa_exception_fp_denorm_src 0
		.amdhsa_exception_fp_ieee_div_zero 0
		.amdhsa_exception_fp_ieee_overflow 0
		.amdhsa_exception_fp_ieee_underflow 0
		.amdhsa_exception_fp_ieee_inexact 0
		.amdhsa_exception_int_div_zero 0
	.end_amdhsa_kernel
	.section	.text._Z39paged_attention_ll4mi_QKV_mfma16_kernelI14__hip_bfloat16hLN4vllm18Fp8KVCacheDataTypeE1ES0_Li16ELi128ELi256ELb1ELi13EEvPKT_PKT0_S8_ifPKiSA_SA_iPKfiiiPfSD_PS3_PT2_iSC_SC_,"axG",@progbits,_Z39paged_attention_ll4mi_QKV_mfma16_kernelI14__hip_bfloat16hLN4vllm18Fp8KVCacheDataTypeE1ES0_Li16ELi128ELi256ELb1ELi13EEvPKT_PKT0_S8_ifPKiSA_SA_iPKfiiiPfSD_PS3_PT2_iSC_SC_,comdat
.Lfunc_end1300:
	.size	_Z39paged_attention_ll4mi_QKV_mfma16_kernelI14__hip_bfloat16hLN4vllm18Fp8KVCacheDataTypeE1ES0_Li16ELi128ELi256ELb1ELi13EEvPKT_PKT0_S8_ifPKiSA_SA_iPKfiiiPfSD_PS3_PT2_iSC_SC_, .Lfunc_end1300-_Z39paged_attention_ll4mi_QKV_mfma16_kernelI14__hip_bfloat16hLN4vllm18Fp8KVCacheDataTypeE1ES0_Li16ELi128ELi256ELb1ELi13EEvPKT_PKT0_S8_ifPKiSA_SA_iPKfiiiPfSD_PS3_PT2_iSC_SC_
                                        ; -- End function
	.section	.AMDGPU.csdata,"",@progbits
; Kernel info:
; codeLenInByte = 6656
; NumSgprs: 56
; NumVgprs: 76
; NumAgprs: 0
; TotalNumVgprs: 76
; ScratchSize: 0
; MemoryBound: 0
; FloatMode: 240
; IeeeMode: 1
; LDSByteSize: 8192 bytes/workgroup (compile time only)
; SGPRBlocks: 6
; VGPRBlocks: 9
; NumSGPRsForWavesPerEU: 56
; NumVGPRsForWavesPerEU: 76
; AccumOffset: 76
; Occupancy: 6
; WaveLimiterHint : 1
; COMPUTE_PGM_RSRC2:SCRATCH_EN: 0
; COMPUTE_PGM_RSRC2:USER_SGPR: 2
; COMPUTE_PGM_RSRC2:TRAP_HANDLER: 0
; COMPUTE_PGM_RSRC2:TGID_X_EN: 1
; COMPUTE_PGM_RSRC2:TGID_Y_EN: 1
; COMPUTE_PGM_RSRC2:TGID_Z_EN: 1
; COMPUTE_PGM_RSRC2:TIDIG_COMP_CNT: 0
; COMPUTE_PGM_RSRC3_GFX90A:ACCUM_OFFSET: 18
; COMPUTE_PGM_RSRC3_GFX90A:TG_SPLIT: 0
	.section	.text._Z39paged_attention_ll4mi_QKV_mfma16_kernelI14__hip_bfloat16hLN4vllm18Fp8KVCacheDataTypeE1ES0_Li16ELi128ELi256ELb1ELi14EEvPKT_PKT0_S8_ifPKiSA_SA_iPKfiiiPfSD_PS3_PT2_iSC_SC_,"axG",@progbits,_Z39paged_attention_ll4mi_QKV_mfma16_kernelI14__hip_bfloat16hLN4vllm18Fp8KVCacheDataTypeE1ES0_Li16ELi128ELi256ELb1ELi14EEvPKT_PKT0_S8_ifPKiSA_SA_iPKfiiiPfSD_PS3_PT2_iSC_SC_,comdat
	.protected	_Z39paged_attention_ll4mi_QKV_mfma16_kernelI14__hip_bfloat16hLN4vllm18Fp8KVCacheDataTypeE1ES0_Li16ELi128ELi256ELb1ELi14EEvPKT_PKT0_S8_ifPKiSA_SA_iPKfiiiPfSD_PS3_PT2_iSC_SC_ ; -- Begin function _Z39paged_attention_ll4mi_QKV_mfma16_kernelI14__hip_bfloat16hLN4vllm18Fp8KVCacheDataTypeE1ES0_Li16ELi128ELi256ELb1ELi14EEvPKT_PKT0_S8_ifPKiSA_SA_iPKfiiiPfSD_PS3_PT2_iSC_SC_
	.globl	_Z39paged_attention_ll4mi_QKV_mfma16_kernelI14__hip_bfloat16hLN4vllm18Fp8KVCacheDataTypeE1ES0_Li16ELi128ELi256ELb1ELi14EEvPKT_PKT0_S8_ifPKiSA_SA_iPKfiiiPfSD_PS3_PT2_iSC_SC_
	.p2align	8
	.type	_Z39paged_attention_ll4mi_QKV_mfma16_kernelI14__hip_bfloat16hLN4vllm18Fp8KVCacheDataTypeE1ES0_Li16ELi128ELi256ELb1ELi14EEvPKT_PKT0_S8_ifPKiSA_SA_iPKfiiiPfSD_PS3_PT2_iSC_SC_,@function
_Z39paged_attention_ll4mi_QKV_mfma16_kernelI14__hip_bfloat16hLN4vllm18Fp8KVCacheDataTypeE1ES0_Li16ELi128ELi256ELb1ELi14EEvPKT_PKT0_S8_ifPKiSA_SA_iPKfiiiPfSD_PS3_PT2_iSC_SC_: ; @_Z39paged_attention_ll4mi_QKV_mfma16_kernelI14__hip_bfloat16hLN4vllm18Fp8KVCacheDataTypeE1ES0_Li16ELi128ELi256ELb1ELi14EEvPKT_PKT0_S8_ifPKiSA_SA_iPKfiiiPfSD_PS3_PT2_iSC_SC_
; %bb.0:
	s_load_dwordx2 s[10:11], s[0:1], 0x30
	s_mov_b32 s6, s3
	s_mov_b64 s[8:9], 0
	s_waitcnt lgkmcnt(0)
	s_cmp_lg_u64 s[10:11], 0
	s_cselect_b64 s[12:13], -1, 0
	s_and_b64 vcc, exec, s[12:13]
	s_cbranch_vccz .LBB1301_7
; %bb.1:
	s_add_i32 s14, s2, 1
	s_mov_b32 s15, 0
	s_lshl_b64 s[16:17], s[14:15], 2
	s_add_u32 s16, s10, s16
	s_mov_b32 s3, s15
	s_addc_u32 s17, s11, s17
	s_lshl_b64 s[14:15], s[2:3], 2
	s_add_u32 s14, s10, s14
	s_addc_u32 s15, s11, s15
	s_load_dword s5, s[16:17], 0x0
	s_load_dword s7, s[14:15], 0x0
	s_waitcnt lgkmcnt(0)
	s_sub_i32 s5, s5, s7
	s_cmp_eq_u32 s5, 1
	s_cselect_b64 s[14:15], -1, 0
	s_andn2_b64 vcc, exec, s[8:9]
	s_cbranch_vccnz .LBB1301_3
.LBB1301_2:
	s_mov_b32 s3, 0
	s_mov_b64 s[14:15], -1
.LBB1301_3:
	s_andn2_b64 vcc, exec, s[14:15]
	s_cbranch_vccnz .LBB1301_20
; %bb.4:
	s_load_dwordx2 s[8:9], s[0:1], 0x28
	s_lshl_b64 s[14:15], s[2:3], 2
	s_waitcnt lgkmcnt(0)
	s_add_u32 s8, s8, s14
	s_addc_u32 s9, s9, s15
	s_load_dword s7, s[8:9], 0x0
	s_lshl_b32 s18, s6, 8
	s_waitcnt lgkmcnt(0)
	s_cmp_ge_i32 s18, s7
	s_cbranch_scc1 .LBB1301_20
; %bb.5:
	s_load_dwordx2 s[8:9], s[0:1], 0x20
	s_load_dword s5, s[0:1], 0x38
	s_add_i32 s16, s7, 15
	s_ashr_i32 s17, s16, 31
	v_and_b32_e32 v1, 0xcf, v0
	s_lshr_b32 s17, s17, 28
	v_add_u32_e32 v1, s18, v1
	s_add_i32 s16, s16, s17
	v_ashrrev_i32_e32 v2, 31, v1
	s_ashr_i32 s19, s16, 4
	v_lshrrev_b32_e32 v4, 28, v2
	s_add_i32 s19, s19, -1
	s_waitcnt lgkmcnt(0)
	s_mul_i32 s16, s2, s5
	s_mov_b32 s17, 0
	v_add_u32_e32 v2, v1, v4
	s_lshl_b64 s[16:17], s[16:17], 2
	v_ashrrev_i32_e32 v2, 4, v2
	v_mov_b32_e32 v5, s19
	v_cmp_gt_i32_e32 vcc, s7, v1
	s_add_u32 s8, s8, s16
	s_addc_u32 s9, s9, s17
	v_cndmask_b32_e32 v2, v5, v2, vcc
	v_ashrrev_i32_e32 v3, 31, v2
	v_lshl_add_u64 v[6:7], v[2:3], 2, s[8:9]
	v_or_b32_e32 v2, 16, v1
	v_add_u32_e32 v3, v2, v4
	v_ashrrev_i32_e32 v3, 4, v3
	v_cmp_gt_i32_e32 vcc, s7, v2
	s_load_dwordx2 s[16:17], s[0:1], 0x8
	s_nop 0
	v_cndmask_b32_e32 v2, v5, v3, vcc
	v_ashrrev_i32_e32 v3, 31, v2
	v_lshl_add_u64 v[8:9], v[2:3], 2, s[8:9]
	v_or_b32_e32 v2, 32, v1
	v_add_u32_e32 v3, v2, v4
	v_ashrrev_i32_e32 v3, 4, v3
	v_cmp_gt_i32_e32 vcc, s7, v2
	v_or_b32_e32 v1, 48, v1
	s_nop 0
	v_cndmask_b32_e32 v2, v5, v3, vcc
	v_ashrrev_i32_e32 v3, 31, v2
	v_lshl_add_u64 v[12:13], v[2:3], 2, s[8:9]
	v_add_u32_e32 v2, v1, v4
	v_ashrrev_i32_e32 v2, 4, v2
	v_cmp_gt_i32_e32 vcc, s7, v1
	s_nop 1
	v_cndmask_b32_e32 v2, v5, v2, vcc
	v_ashrrev_i32_e32 v3, 31, v2
	v_lshl_add_u64 v[14:15], v[2:3], 2, s[8:9]
	global_load_dword v4, v[6:7], off
	global_load_dword v3, v[8:9], off
	;; [unrolled: 1-line block ×4, first 2 shown]
	s_andn2_b64 vcc, exec, s[12:13]
	s_cbranch_vccnz .LBB1301_8
; %bb.6:
	s_add_u32 s10, s10, s14
	s_addc_u32 s11, s11, s15
	s_load_dword s5, s[10:11], 0x0
	s_branch .LBB1301_9
.LBB1301_7:
	s_mov_b64 s[14:15], 0
	s_branch .LBB1301_2
.LBB1301_8:
	s_mov_b32 s5, s2
.LBB1301_9:
	s_load_dwordx2 s[10:11], s[0:1], 0x10
	s_load_dwordx4 s[44:47], s[0:1], 0x48
	v_lshrrev_b32_e32 v57, 6, v0
	v_bfe_u32 v60, v0, 4, 2
	v_and_b32_e32 v56, 15, v0
	v_lshl_or_b32 v5, v57, 2, v60
	v_lshlrev_b32_e32 v1, 3, v56
	s_mul_i32 s48, s4, 14
	v_cmp_gt_u32_e32 vcc, 14, v5
	v_lshlrev_b32_e32 v54, 1, v1
	v_lshlrev_b32_e32 v1, 4, v0
	s_and_saveexec_b64 s[12:13], vcc
	s_cbranch_execz .LBB1301_11
; %bb.10:
	s_load_dwordx2 s[14:15], s[0:1], 0x0
	s_waitcnt lgkmcnt(0)
	s_ashr_i32 s20, s44, 31
	s_mul_hi_u32 s21, s5, s44
	s_mul_i32 s20, s5, s20
	s_add_i32 s21, s21, s20
	s_mul_i32 s20, s5, s44
	s_lshl_b64 s[20:21], s[20:21], 1
	s_add_u32 s14, s14, s20
	v_add_lshl_u32 v6, v5, s48, 7
	s_addc_u32 s15, s15, s21
	v_ashrrev_i32_e32 v7, 31, v6
	v_lshl_add_u64 v[6:7], v[6:7], 1, s[14:15]
	v_mov_b32_e32 v55, 0
	v_lshl_add_u64 v[6:7], v[6:7], 0, v[54:55]
	global_load_dwordx4 v[6:9], v[6:7], off
	v_lshlrev_b32_e32 v12, 8, v0
	v_lshlrev_b32_e32 v11, 8, v56
	v_and_b32_e32 v12, 0x600, v12
	s_movk_i32 s5, 0x800
	v_and_or_b32 v11, v11, s5, v12
	v_lshlrev_b32_e32 v5, 5, v5
	v_and_b32_e32 v12, 16, v1
	v_or3_b32 v5, v11, v5, v12
	s_waitcnt vmcnt(0)
	ds_write_b128 v5, v[6:9]
.LBB1301_11:
	s_or_b64 exec, exec, s[12:13]
	s_waitcnt lgkmcnt(0)
	s_mul_i32 s12, s4, s46
	s_add_u32 s4, s16, s12
	s_addc_u32 s5, s17, 0
	v_and_b32_e32 v58, 0xf0, v1
	v_mov_b32_e32 v59, 0
	v_and_b32_e32 v34, 48, v0
	v_lshl_add_u64 v[12:13], s[4:5], 0, v[58:59]
	v_lshlrev_b32_e32 v58, 4, v34
	s_waitcnt vmcnt(3)
	v_mad_i64_i32 v[4:5], s[4:5], v4, s45, v[12:13]
	v_lshl_add_u64 v[4:5], v[4:5], 0, v[58:59]
	s_barrier
	global_load_dwordx4 v[50:53], v[4:5], off
	global_load_dwordx4 v[46:49], v[4:5], off offset:1024
	s_waitcnt vmcnt(4)
	v_mad_i64_i32 v[4:5], s[4:5], v3, s45, v[12:13]
	s_waitcnt vmcnt(3)
	v_mad_i64_i32 v[2:3], s[4:5], v2, s45, v[12:13]
	v_lshl_add_u64 v[4:5], v[4:5], 0, v[58:59]
	v_lshl_add_u64 v[14:15], v[2:3], 0, v[58:59]
	s_waitcnt vmcnt(2)
	v_mad_i64_i32 v[10:11], s[4:5], v10, s45, v[12:13]
	global_load_dwordx4 v[36:39], v[4:5], off
	global_load_dwordx4 v[6:9], v[4:5], off offset:1024
	s_nop 0
	global_load_dwordx4 v[2:5], v[14:15], off
	global_load_dwordx4 v[42:45], v[14:15], off offset:1024
	v_lshl_add_u64 v[14:15], v[10:11], 0, v[58:59]
	global_load_dwordx4 v[26:29], v[14:15], off
	global_load_dwordx4 v[10:13], v[14:15], off offset:1024
	v_add_u32_e32 v14, -14, v56
	v_cmp_gt_u32_e32 vcc, 14, v56
	v_and_b32_e32 v55, 63, v0
	v_mov_b32_e32 v61, 0
	v_cndmask_b32_e32 v14, v14, v56, vcc
	v_lshlrev_b32_e32 v14, 5, v14
	v_lshl_add_u32 v14, v60, 9, v14
	ds_read_b128 v[30:33], v14
	ds_read_b128 v[22:25], v14 offset:16
	ds_read_b128 v[18:21], v14 offset:2048
	;; [unrolled: 1-line block ×3, first 2 shown]
	s_and_saveexec_b64 s[4:5], vcc
	s_cbranch_execz .LBB1301_13
; %bb.12:
	s_load_dwordx2 s[14:15], s[0:1], 0x40
	v_add_u32_e32 v40, s48, v56
	v_ashrrev_i32_e32 v41, 31, v40
	s_waitcnt lgkmcnt(0)
	v_lshl_add_u64 v[40:41], v[40:41], 2, s[14:15]
	global_load_dword v61, v[40:41], off
.LBB1301_13:
	s_or_b64 exec, exec, s[4:5]
	v_or_b32_e32 v58, s18, v34
	v_ashrrev_i32_e32 v34, 4, v58
	v_mov_b32_e32 v63, s19
	v_cmp_gt_i32_e32 vcc, s7, v58
	s_waitcnt vmcnt(7)
	v_cvt_pk_f32_fp8_e32 v[40:41], v50
	v_cvt_pk_f32_fp8_sdwa v[64:65], v50 src0_sel:WORD_1
	v_cndmask_b32_e32 v34, v63, v34, vcc
	v_ashrrev_i32_e32 v35, 31, v34
	v_lshl_add_u64 v[34:35], v[34:35], 2, s[8:9]
	global_load_dword v62, v[34:35], off
	v_or_b32_e32 v34, 64, v58
	v_ashrrev_i32_e32 v35, 4, v34
	v_cmp_gt_i32_e32 vcc, s7, v34
	v_or_b32_e32 v66, 0x80, v58
	v_ashrrev_i32_e32 v67, 4, v66
	v_cndmask_b32_e32 v34, v63, v35, vcc
	v_cmp_gt_i32_e32 vcc, s7, v66
	s_mov_b32 s33, 0x7060302
	v_perm_b32 v40, v41, v40, s33
	v_cndmask_b32_e32 v50, v63, v67, vcc
	v_perm_b32 v41, v65, v64, s33
	v_cvt_pk_f32_fp8_e32 v[64:65], v51
	v_cvt_pk_f32_fp8_sdwa v[66:67], v51 src0_sel:WORD_1
	v_ashrrev_i32_e32 v51, 31, v50
	v_lshl_add_u64 v[68:69], v[50:51], 2, s[8:9]
	v_perm_b32 v50, v65, v64, s33
	v_perm_b32 v51, v67, v66, s33
	s_waitcnt lgkmcnt(3)
	v_mfma_f32_16x16x16_bf16 v[64:67], v[40:41], v[30:31], 0
	v_cvt_pk_f32_fp8_e32 v[40:41], v52
	v_cvt_pk_f32_fp8_sdwa v[70:71], v52 src0_sel:WORD_1
	s_waitcnt vmcnt(7)
	v_cvt_pk_f32_fp8_e32 v[72:73], v46
	v_mfma_f32_16x16x16_bf16 v[64:67], v[50:51], v[32:33], v[64:67]
	v_cvt_pk_f32_fp8_e32 v[50:51], v53
	v_perm_b32 v40, v41, v40, s33
	v_perm_b32 v41, v71, v70, s33
	v_cvt_pk_f32_fp8_sdwa v[52:53], v53 src0_sel:WORD_1
	v_perm_b32 v70, v51, v50, s33
	v_cvt_pk_f32_fp8_sdwa v[74:75], v46 src0_sel:WORD_1
	v_ashrrev_i32_e32 v35, 31, v34
	v_perm_b32 v71, v53, v52, s33
	s_waitcnt lgkmcnt(2)
	v_mfma_f32_16x16x16_bf16 v[50:53], v[40:41], v[22:23], v[64:67]
	v_perm_b32 v40, v73, v72, s33
	v_perm_b32 v41, v75, v74, s33
	v_or_b32_e32 v58, 0xc0, v58
	v_cvt_pk_f32_fp8_e32 v[64:65], v47
	v_cvt_pk_f32_fp8_sdwa v[46:47], v47 src0_sel:WORD_1
	v_mfma_f32_16x16x16_bf16 v[50:53], v[70:71], v[24:25], v[50:53]
	v_lshl_add_u64 v[34:35], v[34:35], 2, s[8:9]
	v_perm_b32 v64, v65, v64, s33
	v_perm_b32 v65, v47, v46, s33
	s_waitcnt lgkmcnt(1)
	v_mfma_f32_16x16x16_bf16 v[50:53], v[40:41], v[18:19], v[50:53]
	v_ashrrev_i32_e32 v66, 4, v58
	v_cmp_gt_i32_e32 vcc, s7, v58
	v_cvt_pk_f32_fp8_e32 v[46:47], v48
	s_waitcnt vmcnt(6)
	v_cvt_pk_f32_fp8_sdwa v[70:71], v36 src0_sel:WORD_1
	v_cndmask_b32_e32 v40, v63, v66, vcc
	v_mfma_f32_16x16x16_bf16 v[64:67], v[64:65], v[20:21], v[50:53]
	v_ashrrev_i32_e32 v41, 31, v40
	v_lshl_add_u64 v[40:41], v[40:41], 2, s[8:9]
	v_perm_b32 v46, v47, v46, s33
	global_load_dword v53, v[34:35], off
	global_load_dword v63, v[40:41], off
	v_cvt_pk_f32_fp8_sdwa v[50:51], v48 src0_sel:WORD_1
	v_cvt_pk_f32_fp8_e32 v[34:35], v49
	v_cvt_pk_f32_fp8_sdwa v[48:49], v49 src0_sel:WORD_1
	s_add_u32 s46, s10, s12
	v_perm_b32 v47, v51, v50, s33
	v_perm_b32 v34, v35, v34, s33
	;; [unrolled: 1-line block ×3, first 2 shown]
	s_waitcnt lgkmcnt(0)
	v_mfma_f32_16x16x16_bf16 v[46:49], v[46:47], v[14:15], v[64:67]
	v_cvt_pk_f32_fp8_e32 v[50:51], v36
	s_nop 1
	global_load_dword v64, v[68:69], off
	v_cvt_pk_f32_fp8_e32 v[66:67], v37
	s_waitcnt vmcnt(8)
	v_cvt_pk_f32_fp8_e32 v[68:69], v6
	v_perm_b32 v50, v51, v50, s33
	v_perm_b32 v51, v71, v70, s33
	v_cvt_pk_f32_fp8_sdwa v[70:71], v37 src0_sel:WORD_1
	v_perm_b32 v40, v67, v66, s33
	v_mfma_f32_16x16x16_bf16 v[34:37], v[34:35], v[16:17], v[46:49]
	v_cvt_pk_f32_fp8_sdwa v[66:67], v38 src0_sel:WORD_1
	v_perm_b32 v41, v71, v70, s33
	v_cvt_pk_f32_fp8_sdwa v[70:71], v6 src0_sel:WORD_1
	v_mfma_f32_16x16x16_bf16 v[46:49], v[50:51], v[30:31], 0
	v_cvt_pk_f32_fp8_e32 v[50:51], v38
	v_lshl_or_b32 v52, v57, 4, v56
	s_waitcnt vmcnt(6)
	v_cvt_pk_f32_fp8_e32 v[72:73], v43
	v_mfma_f32_16x16x16_bf16 v[46:49], v[40:41], v[32:33], v[46:49]
	v_cvt_pk_f32_fp8_e32 v[40:41], v39
	v_perm_b32 v50, v51, v50, s33
	v_perm_b32 v51, v67, v66, s33
	v_cvt_pk_f32_fp8_sdwa v[38:39], v39 src0_sel:WORD_1
	v_perm_b32 v66, v41, v40, s33
	s_addc_u32 s47, s11, 0
	v_lshlrev_b32_e32 v58, 4, v52
	v_perm_b32 v67, v39, v38, s33
	v_mfma_f32_16x16x16_bf16 v[38:41], v[50:51], v[22:23], v[46:49]
	v_cvt_pk_f32_fp8_sdwa v[50:51], v2 src0_sel:WORD_1
	s_nop 1
	v_perm_b32 v46, v69, v68, s33
	v_perm_b32 v47, v71, v70, s33
	v_cvt_pk_f32_fp8_e32 v[48:49], v7
	v_cvt_pk_f32_fp8_sdwa v[6:7], v7 src0_sel:WORD_1
	v_mfma_f32_16x16x16_bf16 v[38:41], v[66:67], v[24:25], v[38:41]
	v_lshl_add_u64 v[70:71], s[46:47], 0, v[58:59]
	v_perm_b32 v48, v49, v48, s33
	v_perm_b32 v49, v7, v6, s33
	v_mfma_f32_16x16x16_bf16 v[38:41], v[46:47], v[18:19], v[38:41]
	v_cvt_pk_f32_fp8_e32 v[6:7], v8
	v_cvt_pk_f32_fp8_sdwa v[46:47], v8 src0_sel:WORD_1
	v_or_b32_e32 v58, 0x400, v58
	v_mfma_f32_16x16x16_bf16 v[38:41], v[48:49], v[20:21], v[38:41]
	v_cvt_pk_f32_fp8_e32 v[48:49], v9
	v_perm_b32 v6, v7, v6, s33
	v_perm_b32 v7, v47, v46, s33
	v_cvt_pk_f32_fp8_sdwa v[8:9], v9 src0_sel:WORD_1
	v_perm_b32 v46, v49, v48, s33
	v_cvt_pk_f32_fp8_e32 v[48:49], v2
	v_perm_b32 v47, v9, v8, s33
	v_mfma_f32_16x16x16_bf16 v[6:9], v[6:7], v[14:15], v[38:41]
	v_perm_b32 v48, v49, v48, s33
	v_perm_b32 v49, v51, v50, s33
	v_cvt_pk_f32_fp8_e32 v[50:51], v3
	v_cvt_pk_f32_fp8_sdwa v[2:3], v3 src0_sel:WORD_1
	v_mfma_f32_16x16x16_bf16 v[38:41], v[46:47], v[16:17], v[6:9]
	v_perm_b32 v46, v51, v50, s33
	v_perm_b32 v47, v3, v2, s33
	v_mfma_f32_16x16x16_bf16 v[6:9], v[48:49], v[30:31], 0
	v_cvt_pk_f32_fp8_e32 v[2:3], v4
	v_cvt_pk_f32_fp8_sdwa v[48:49], v4 src0_sel:WORD_1
	s_waitcnt vmcnt(3)
	v_mad_i64_i32 v[50:51], s[4:5], v62, s45, v[70:71]
	v_perm_b32 v2, v3, v2, s33
	v_perm_b32 v3, v49, v48, s33
	v_mfma_f32_16x16x16_bf16 v[6:9], v[46:47], v[32:33], v[6:9]
	v_cvt_pk_f32_fp8_e32 v[46:47], v5
	v_cvt_pk_f32_fp8_sdwa v[4:5], v5 src0_sel:WORD_1
	s_waitcnt vmcnt(2)
	v_mad_i64_i32 v[66:67], s[4:5], v53, s45, v[70:71]
	v_perm_b32 v46, v47, v46, s33
	v_perm_b32 v47, v5, v4, s33
	v_mfma_f32_16x16x16_bf16 v[2:5], v[2:3], v[22:23], v[6:9]
	s_nop 2
	v_cvt_pk_f32_fp8_e32 v[6:7], v42
	v_cvt_pk_f32_fp8_sdwa v[8:9], v42 src0_sel:WORD_1
	v_cvt_pk_f32_fp8_sdwa v[42:43], v43 src0_sel:WORD_1
	v_mfma_f32_16x16x16_bf16 v[46:49], v[46:47], v[24:25], v[2:5]
	v_perm_b32 v68, v7, v6, s33
	v_perm_b32 v69, v9, v8, s33
	global_load_dwordx4 v[6:9], v[50:51], off
	global_load_dwordx4 v[2:5], v[66:67], off
	v_perm_b32 v66, v73, v72, s33
	v_perm_b32 v67, v43, v42, s33
	v_mfma_f32_16x16x16_bf16 v[48:51], v[68:69], v[18:19], v[46:49]
	v_cvt_pk_f32_fp8_e32 v[42:43], v44
	v_cvt_pk_f32_fp8_sdwa v[72:73], v44 src0_sel:WORD_1
	s_waitcnt vmcnt(2)
	v_mad_i64_i32 v[46:47], s[4:5], v64, s45, v[70:71]
	v_mfma_f32_16x16x16_bf16 v[66:69], v[66:67], v[20:21], v[48:51]
	v_perm_b32 v42, v43, v42, s33
	v_perm_b32 v43, v73, v72, s33
	v_cvt_pk_f32_fp8_sdwa v[72:73], v26 src0_sel:WORD_1
	v_cvt_pk_f32_fp8_e32 v[50:51], v45
	v_cvt_pk_f32_fp8_sdwa v[44:45], v45 src0_sel:WORD_1
	v_mad_i64_i32 v[48:49], s[4:5], v63, s45, v[70:71]
	v_perm_b32 v50, v51, v50, s33
	v_perm_b32 v51, v45, v44, s33
	v_mfma_f32_16x16x16_bf16 v[42:45], v[42:43], v[14:15], v[66:69]
	v_cvt_pk_f32_fp8_e32 v[70:71], v26
	s_load_dword s4, s[0:1], 0x1c
	s_load_dwordx4 s[40:43], s[0:1], 0x80
	s_load_dword s44, s[0:1], 0x98
	s_waitcnt lgkmcnt(0)
	s_load_dword s5, s[40:41], 0x0
	v_mfma_f32_16x16x16_bf16 v[66:69], v[50:51], v[16:17], v[42:45]
	s_mov_b32 s40, 0xff7fffff
	s_nop 1
	v_cvt_pk_f32_fp8_e32 v[42:43], v27
	v_perm_b32 v44, v71, v70, s33
	v_perm_b32 v45, v73, v72, s33
	v_cvt_pk_f32_fp8_sdwa v[26:27], v27 src0_sel:WORD_1
	v_perm_b32 v50, v43, v42, s33
	v_cvt_pk_f32_fp8_e32 v[70:71], v28
	v_cvt_pk_f32_fp8_sdwa v[72:73], v28 src0_sel:WORD_1
	v_perm_b32 v51, v27, v26, s33
	v_mfma_f32_16x16x16_bf16 v[42:45], v[44:45], v[30:31], 0
	v_perm_b32 v30, v71, v70, s33
	v_perm_b32 v31, v73, v72, s33
	v_cvt_pk_f32_fp8_e32 v[70:71], v29
	v_cvt_pk_f32_fp8_sdwa v[72:73], v29 src0_sel:WORD_1
	v_mfma_f32_16x16x16_bf16 v[26:29], v[50:51], v[32:33], v[42:45]
	v_mov_b32_e32 v32, s4
	s_waitcnt lgkmcnt(0)
	v_mul_f32_e32 v50, s5, v32
	v_pk_mul_f32 v[32:33], v[50:51], v[34:35] op_sel_hi:[0,1]
	v_perm_b32 v42, v71, v70, s33
	v_perm_b32 v43, v73, v72, s33
	v_mfma_f32_16x16x16_bf16 v[26:29], v[30:31], v[22:23], v[26:29]
	v_pk_mul_f32 v[30:31], v[50:51], v[36:37] op_sel_hi:[0,1]
	v_cvt_pk_f32_fp8_e32 v[22:23], v10
	v_cvt_pk_f32_fp8_sdwa v[70:71], v12 src0_sel:WORD_1
	v_mfma_f32_16x16x16_bf16 v[34:37], v[42:43], v[24:25], v[26:29]
	v_cvt_pk_f32_fp8_sdwa v[24:25], v10 src0_sel:WORD_1
	v_perm_b32 v42, v23, v22, s33
	v_pk_mul_f32 v[40:41], v[50:51], v[40:41] op_sel_hi:[0,1]
	v_cvt_pk_f32_fp8_e32 v[26:27], v11
	v_cvt_pk_f32_fp8_sdwa v[10:11], v11 src0_sel:WORD_1
	v_perm_b32 v43, v25, v24, s33
	v_perm_b32 v44, v27, v26, s33
	;; [unrolled: 1-line block ×3, first 2 shown]
	v_cvt_pk_f32_fp8_e32 v[10:11], v12
	v_mfma_f32_16x16x16_bf16 v[34:37], v[42:43], v[18:19], v[34:37]
	global_load_dwordx4 v[26:29], v[46:47], off
	global_load_dwordx4 v[22:25], v[48:49], off
	v_perm_b32 v19, v71, v70, s33
	v_perm_b32 v18, v11, v10, s33
	v_cvt_pk_f32_fp8_e32 v[42:43], v13
	v_cvt_pk_f32_fp8_sdwa v[46:47], v13 src0_sel:WORD_1
	v_mfma_f32_16x16x16_bf16 v[10:13], v[44:45], v[20:21], v[34:37]
	v_pk_mul_f32 v[44:45], v[50:51], v[38:39] op_sel_hi:[0,1]
	v_perm_b32 v20, v43, v42, s33
	v_perm_b32 v21, v47, v46, s33
	v_mfma_f32_16x16x16_bf16 v[10:13], v[18:19], v[14:15], v[10:13]
	v_pk_mul_f32 v[38:39], v[50:51], v[68:69] op_sel_hi:[0,1]
	v_pk_mul_f32 v[42:43], v[50:51], v[66:67] op_sel_hi:[0,1]
	v_mfma_f32_16x16x16_bf16 v[10:13], v[20:21], v[16:17], v[10:13]
	s_nop 6
	v_pk_mul_f32 v[36:37], v[50:51], v[10:11] op_sel_hi:[0,1]
	v_and_b32_e32 v10, 0xc0, v0
	v_add_u32_e32 v10, s18, v10
	v_lshl_or_b32 v10, v60, 2, v10
	v_or_b32_e32 v11, 1, v10
	v_pk_mul_f32 v[34:35], v[50:51], v[12:13] op_sel_hi:[0,1]
	v_subrev_u32_e32 v12, s7, v11
	v_add_u32_e32 v14, 1, v12
	v_add_u32_e32 v15, 2, v12
	v_cvt_f32_i32_e32 v13, v12
	v_cvt_f32_i32_e32 v14, v14
	;; [unrolled: 1-line block ×3, first 2 shown]
	v_add_u32_e32 v16, 3, v12
	v_fma_f32 v18, v61, v13, v32
	v_fmac_f32_e32 v33, v61, v14
	v_fma_f32 v48, v61, v15, v30
	v_add_u32_e32 v13, 16, v12
	v_add_u32_e32 v14, 17, v12
	v_add_u32_e32 v15, 18, v12
	v_cvt_f32_i32_e32 v16, v16
	v_cvt_f32_i32_e32 v13, v13
	;; [unrolled: 1-line block ×4, first 2 shown]
	v_fmac_f32_e32 v31, v61, v16
	v_add_u32_e32 v16, 19, v12
	v_fma_f32 v44, v61, v13, v44
	v_fmac_f32_e32 v45, v61, v14
	v_fma_f32 v40, v61, v15, v40
	v_add_u32_e32 v13, 32, v12
	v_add_u32_e32 v14, 33, v12
	;; [unrolled: 1-line block ×3, first 2 shown]
	v_cvt_f32_i32_e32 v16, v16
	v_cvt_f32_i32_e32 v13, v13
	;; [unrolled: 1-line block ×4, first 2 shown]
	v_fmac_f32_e32 v41, v61, v16
	v_add_u32_e32 v16, 35, v12
	v_fma_f32 v42, v61, v13, v42
	v_fmac_f32_e32 v43, v61, v14
	v_fma_f32 v38, v61, v15, v38
	v_add_u32_e32 v13, 48, v12
	v_add_u32_e32 v14, 49, v12
	;; [unrolled: 1-line block ×4, first 2 shown]
	v_cvt_f32_i32_e32 v12, v12
	v_cvt_f32_i32_e32 v13, v13
	;; [unrolled: 1-line block ×3, first 2 shown]
	v_cmp_gt_i32_e64 s[8:9], s7, v10
	v_fmac_f32_e32 v35, v61, v12
	v_mov_b32_e32 v12, 0xff7fffff
	v_cmp_gt_i32_e64 s[10:11], s7, v11
	v_fma_f32 v36, v61, v13, v36
	v_cndmask_b32_e64 v13, v12, v18, s[8:9]
	v_cndmask_b32_e64 v11, v12, v33, s[10:11]
	v_fmac_f32_e32 v37, v61, v14
	v_max3_f32 v11, v13, s40, v11
	v_or_b32_e32 v13, 2, v10
	v_or_b32_e32 v14, 3, v10
	v_cmp_gt_i32_e64 s[12:13], s7, v13
	v_cmp_gt_i32_e64 s[14:15], s7, v14
	v_cvt_f32_i32_e32 v16, v16
	v_cndmask_b32_e64 v13, v12, v48, s[12:13]
	v_cndmask_b32_e64 v14, v12, v31, s[14:15]
	v_max3_f32 v11, v11, v13, v14
	v_or_b32_e32 v13, 16, v10
	v_or_b32_e32 v14, 17, v10
	v_cmp_gt_i32_e64 s[16:17], s7, v13
	v_cmp_gt_i32_e64 s[18:19], s7, v14
	v_fmac_f32_e32 v39, v61, v16
	v_cndmask_b32_e64 v13, v12, v44, s[16:17]
	v_cndmask_b32_e64 v14, v12, v45, s[18:19]
	v_max3_f32 v11, v11, v13, v14
	v_or_b32_e32 v13, 18, v10
	v_or_b32_e32 v14, 19, v10
	v_cmp_gt_i32_e64 s[20:21], s7, v13
	v_cmp_gt_i32_e64 s[22:23], s7, v14
	v_cvt_f32_i32_e32 v15, v15
	v_cndmask_b32_e64 v13, v12, v40, s[20:21]
	v_cndmask_b32_e64 v14, v12, v41, s[22:23]
	v_max3_f32 v11, v11, v13, v14
	v_or_b32_e32 v13, 32, v10
	v_or_b32_e32 v14, 33, v10
	v_cmp_gt_i32_e64 s[24:25], s7, v13
	v_cmp_gt_i32_e64 s[26:27], s7, v14
	v_fma_f32 v34, v61, v15, v34
	v_cndmask_b32_e64 v13, v12, v42, s[24:25]
	v_cndmask_b32_e64 v14, v12, v43, s[26:27]
	v_max3_f32 v11, v11, v13, v14
	v_or_b32_e32 v13, 34, v10
	v_or_b32_e32 v14, 35, v10
	v_cmp_gt_i32_e64 s[28:29], s7, v13
	v_cmp_gt_i32_e64 s[30:31], s7, v14
	s_nop 0
	v_cndmask_b32_e64 v13, v12, v38, s[28:29]
	v_cndmask_b32_e64 v14, v12, v39, s[30:31]
	v_max3_f32 v11, v11, v13, v14
	v_or_b32_e32 v13, 48, v10
	v_or_b32_e32 v14, 49, v10
	v_cmp_gt_i32_e64 s[34:35], s7, v13
	v_cmp_gt_i32_e64 s[36:37], s7, v14
	s_nop 0
	v_cndmask_b32_e64 v13, v12, v36, s[34:35]
	v_cndmask_b32_e64 v14, v12, v37, s[36:37]
	v_max3_f32 v11, v11, v13, v14
	v_or_b32_e32 v13, 50, v10
	v_or_b32_e32 v10, 51, v10
	v_cmp_gt_i32_e32 vcc, s7, v13
	v_cmp_gt_i32_e64 s[4:5], s7, v10
	s_nop 0
	v_cndmask_b32_e32 v13, v12, v34, vcc
	v_cndmask_b32_e64 v10, v12, v35, s[4:5]
	v_max3_f32 v14, v11, v13, v10
	v_mbcnt_lo_u32_b32 v10, -1, 0
	v_mbcnt_hi_u32_b32 v15, -1, v10
	v_and_b32_e32 v10, 64, v15
	v_add_u32_e32 v16, 64, v10
	v_xor_b32_e32 v10, 32, v15
	v_cmp_lt_i32_e64 s[38:39], v10, v16
	s_nop 1
	v_cndmask_b32_e64 v10, v15, v10, s[38:39]
	v_lshlrev_b32_e32 v51, 2, v10
	ds_bpermute_b32 v17, v51, v14
	v_lshl_add_u64 v[10:11], s[46:47], 0, v[58:59]
	v_mad_i64_i32 v[12:13], s[38:39], v62, s45, v[10:11]
	s_waitcnt lgkmcnt(0)
	v_max_f32_e32 v17, v17, v17
	v_max_f32_e32 v19, v14, v17
	v_xor_b32_e32 v14, 16, v15
	v_cmp_lt_i32_e64 s[38:39], v14, v16
	s_nop 1
	v_cndmask_b32_e64 v14, v15, v14, s[38:39]
	v_lshlrev_b32_e32 v58, 2, v14
	ds_bpermute_b32 v20, v58, v19
	v_mad_i64_i32 v[14:15], s[38:39], v53, s45, v[10:11]
	v_mad_i64_i32 v[16:17], s[38:39], v64, s45, v[10:11]
	s_waitcnt lgkmcnt(0)
	v_max_f32_e32 v20, v20, v20
	v_max_f32_e32 v50, v19, v20
	v_sub_f32_e32 v18, v18, v50
	v_sub_f32_e32 v19, v33, v50
	v_mul_f32_e32 v18, 0x3fb8aa3b, v18
	v_mul_f32_e32 v19, 0x3fb8aa3b, v19
	v_exp_f32_e32 v18, v18
	v_exp_f32_e32 v19, v19
	v_sub_f32_e32 v49, v31, v50
	v_mad_i64_i32 v[10:11], s[38:39], v63, s45, v[10:11]
	v_cndmask_b32_e64 v46, 0, v18, s[8:9]
	v_cndmask_b32_e64 v47, 0, v19, s[10:11]
	global_load_dwordx4 v[30:33], v[12:13], off
	global_load_dwordx4 v[18:21], v[14:15], off
	v_sub_f32_e32 v12, v48, v50
	v_mul_f32_e32 v12, 0x3fb8aa3b, v12
	v_exp_f32_e32 v48, v12
	global_load_dwordx4 v[14:17], v[16:17], off
	s_nop 0
	global_load_dwordx4 v[10:13], v[10:11], off
	v_sub_f32_e32 v40, v40, v50
	v_sub_f32_e32 v42, v42, v50
	v_mul_f32_e32 v40, 0x3fb8aa3b, v40
	v_mul_f32_e32 v42, 0x3fb8aa3b, v42
	v_exp_f32_e32 v40, v40
	v_exp_f32_e32 v53, v42
	v_mul_f32_e32 v49, 0x3fb8aa3b, v49
	v_sub_f32_e32 v44, v44, v50
	v_exp_f32_e32 v49, v49
	v_mul_f32_e32 v44, 0x3fb8aa3b, v44
	v_sub_f32_e32 v45, v45, v50
	v_sub_f32_e32 v42, v43, v50
	v_exp_f32_e32 v44, v44
	v_mul_f32_e32 v45, 0x3fb8aa3b, v45
	v_mul_f32_e32 v42, 0x3fb8aa3b, v42
	v_exp_f32_e32 v45, v45
	v_sub_f32_e32 v41, v41, v50
	v_exp_f32_e32 v59, v42
	v_cndmask_b32_e64 v42, 0, v40, s[20:21]
	v_cndmask_b32_e64 v40, 0, v53, s[24:25]
	v_add_f32_e32 v53, 0, v46
	v_cndmask_b32_e64 v48, 0, v48, s[12:13]
	v_mul_f32_e32 v41, 0x3fb8aa3b, v41
	v_add_f32_e32 v53, v53, v47
	v_cndmask_b32_e64 v49, 0, v49, s[14:15]
	v_exp_f32_e32 v41, v41
	v_add_f32_e32 v53, v53, v48
	v_cndmask_b32_e64 v44, 0, v44, s[16:17]
	v_sub_f32_e32 v38, v38, v50
	v_add_f32_e32 v53, v53, v49
	v_cndmask_b32_e64 v45, 0, v45, s[18:19]
	v_sub_f32_e32 v39, v39, v50
	v_mul_f32_e32 v38, 0x3fb8aa3b, v38
	v_add_f32_e32 v53, v53, v44
	v_exp_f32_e32 v38, v38
	v_mul_f32_e32 v39, 0x3fb8aa3b, v39
	v_sub_f32_e32 v36, v36, v50
	v_add_f32_e32 v53, v53, v45
	v_cndmask_b32_e64 v43, 0, v41, s[22:23]
	v_exp_f32_e32 v39, v39
	v_mul_f32_e32 v36, 0x3fb8aa3b, v36
	v_sub_f32_e32 v37, v37, v50
	v_add_f32_e32 v53, v53, v42
	v_exp_f32_e32 v36, v36
	v_mul_f32_e32 v37, 0x3fb8aa3b, v37
	v_add_f32_e32 v53, v53, v43
	v_sub_f32_e32 v34, v34, v50
	v_cndmask_b32_e64 v41, 0, v59, s[26:27]
	v_exp_f32_e32 v37, v37
	v_add_f32_e32 v53, v53, v40
	v_mul_f32_e32 v34, 0x3fb8aa3b, v34
	v_sub_f32_e32 v35, v35, v50
	v_cndmask_b32_e64 v38, 0, v38, s[28:29]
	v_add_f32_e32 v53, v53, v41
	v_exp_f32_e32 v34, v34
	v_mul_f32_e32 v35, 0x3fb8aa3b, v35
	v_cndmask_b32_e64 v39, 0, v39, s[30:31]
	v_add_f32_e32 v53, v53, v38
	v_exp_f32_e32 v35, v35
	v_cndmask_b32_e64 v36, 0, v36, s[34:35]
	v_add_f32_e32 v53, v53, v39
	v_cndmask_b32_e64 v37, 0, v37, s[36:37]
	v_add_f32_e32 v53, v53, v36
	v_add_f32_e32 v53, v53, v37
	v_cndmask_b32_e32 v34, 0, v34, vcc
	v_add_f32_e32 v53, v53, v34
	v_cndmask_b32_e64 v35, 0, v35, s[4:5]
	v_add_f32_e32 v53, v53, v35
	ds_bpermute_b32 v51, v51, v53
	v_cmp_gt_u32_e32 vcc, 16, v55
	s_waitcnt lgkmcnt(0)
	s_barrier
	v_add_f32_e32 v51, v53, v51
	ds_bpermute_b32 v53, v58, v51
	s_and_saveexec_b64 s[4:5], vcc
	s_cbranch_execz .LBB1301_15
; %bb.14:
	s_waitcnt lgkmcnt(0)
	v_add_f32_e32 v51, v51, v53
	v_lshlrev_b32_e32 v52, 2, v52
	ds_write2st64_b32 v52, v50, v51 offset1:1
.LBB1301_15:
	s_or_b64 exec, exec, s[4:5]
	v_lshlrev_b32_e32 v51, 2, v56
	s_load_dword s7, s[0:1], 0x94
	s_waitcnt lgkmcnt(0)
	s_barrier
	ds_read2_b32 v[52:53], v51 offset1:16
	ds_read2_b32 v[58:59], v51 offset0:32 offset1:48
	ds_read2_b32 v[62:63], v51 offset0:64 offset1:80
	s_movk_i32 s9, 0x7fff
	s_mul_i32 s8, s44, 14
	s_waitcnt lgkmcnt(2)
	v_max3_f32 v50, v52, s40, v53
	s_waitcnt lgkmcnt(1)
	v_max3_f32 v50, v50, v58, v59
	v_sub_f32_e32 v52, v52, v50
	v_mul_f32_e32 v52, 0x3fb8aa3b, v52
	v_exp_f32_e32 v55, v52
	v_sub_f32_e32 v52, v53, v50
	v_mul_f32_e32 v52, 0x3fb8aa3b, v52
	v_exp_f32_e32 v61, v52
	;; [unrolled: 3-line block ×3, first 2 shown]
	ds_read2_b32 v[52:53], v51 offset0:96 offset1:112
	v_sub_f32_e32 v51, v59, v50
	v_mul_f32_e32 v51, 0x3fb8aa3b, v51
	v_exp_f32_e32 v59, v51
	s_waitcnt lgkmcnt(1)
	v_fma_f32 v51, v55, v62, 0
	v_fmac_f32_e32 v51, v61, v63
	s_waitcnt lgkmcnt(0)
	v_fmac_f32_e32 v51, v58, v52
	v_fmac_f32_e32 v51, v59, v53
	v_add_f32_e32 v52, 0x358637bd, v51
	v_div_scale_f32 v53, s[4:5], v52, v52, 1.0
	v_rcp_f32_e32 v62, v53
	s_barrier
	v_fma_f32 v63, -v53, v62, 1.0
	v_fmac_f32_e32 v62, v63, v62
	v_div_scale_f32 v63, vcc, 1.0, v52, 1.0
	v_mul_f32_e32 v64, v63, v62
	v_fma_f32 v65, -v53, v64, v63
	v_fmac_f32_e32 v64, v65, v62
	v_fma_f32 v53, -v53, v64, v63
	v_div_fmas_f32 v53, v53, v62, v64
	v_cmp_eq_u32_e32 vcc, 1, v57
	v_div_fixup_f32 v52, v53, v52, 1.0
	s_nop 0
	v_cndmask_b32_e32 v53, v55, v61, vcc
	v_cmp_eq_u32_e32 vcc, 2, v57
	s_nop 1
	v_cndmask_b32_e32 v53, v53, v58, vcc
	v_cmp_eq_u32_e32 vcc, 3, v57
	s_nop 1
	v_cndmask_b32_e32 v53, v53, v59, vcc
	v_mul_f32_e32 v52, v53, v52
	v_pk_mul_f32 v[46:47], v[52:53], v[46:47] op_sel_hi:[0,1]
	v_pk_mul_f32 v[48:49], v[52:53], v[48:49] op_sel_hi:[0,1]
	v_bfe_u32 v53, v47, 16, 1
	v_bfe_u32 v55, v46, 16, 1
	v_add3_u32 v46, v46, v55, s9
	v_add3_u32 v47, v47, v53, s9
	v_perm_b32 v58, v47, v46, s33
	v_bfe_u32 v46, v49, 16, 1
	v_bfe_u32 v47, v48, 16, 1
	v_add3_u32 v47, v48, v47, s9
	v_add3_u32 v46, v49, v46, s9
	v_perm_b32 v59, v46, v47, s33
	v_lshlrev_b32_e32 v47, 3, v60
	v_lshlrev_b32_e32 v46, 5, v56
	;; [unrolled: 1-line block ×3, first 2 shown]
	v_pk_mul_f32 v[44:45], v[52:53], v[44:45] op_sel_hi:[0,1]
	v_or3_b32 v55, v48, v46, v47
	v_bfe_u32 v47, v45, 16, 1
	v_bfe_u32 v48, v44, 16, 1
	v_pk_mul_f32 v[42:43], v[52:53], v[42:43] op_sel_hi:[0,1]
	v_add3_u32 v44, v44, v48, s9
	v_add3_u32 v45, v45, v47, s9
	v_perm_b32 v44, v45, v44, s33
	v_bfe_u32 v45, v43, 16, 1
	v_bfe_u32 v47, v42, 16, 1
	v_add3_u32 v42, v42, v47, s9
	v_add3_u32 v43, v43, v45, s9
	v_pk_mul_f32 v[40:41], v[52:53], v[40:41] op_sel_hi:[0,1]
	v_perm_b32 v45, v43, v42, s33
	v_bfe_u32 v42, v41, 16, 1
	v_bfe_u32 v43, v40, 16, 1
	v_pk_mul_f32 v[38:39], v[52:53], v[38:39] op_sel_hi:[0,1]
	v_add3_u32 v40, v40, v43, s9
	v_add3_u32 v41, v41, v42, s9
	v_perm_b32 v40, v41, v40, s33
	v_bfe_u32 v41, v39, 16, 1
	v_bfe_u32 v42, v38, 16, 1
	v_add3_u32 v38, v38, v42, s9
	v_add3_u32 v39, v39, v41, s9
	v_pk_mul_f32 v[36:37], v[52:53], v[36:37] op_sel_hi:[0,1]
	v_perm_b32 v41, v39, v38, s33
	v_bfe_u32 v38, v37, 16, 1
	v_bfe_u32 v39, v36, 16, 1
	v_pk_mul_f32 v[34:35], v[52:53], v[34:35] op_sel_hi:[0,1]
	v_add3_u32 v36, v36, v39, s9
	v_add3_u32 v37, v37, v38, s9
	v_perm_b32 v36, v37, v36, s33
	v_bfe_u32 v37, v35, 16, 1
	v_bfe_u32 v38, v34, 16, 1
	v_add3_u32 v34, v34, v38, s9
	v_add3_u32 v35, v35, v37, s9
	v_perm_b32 v37, v35, v34, s33
	v_cmp_gt_u32_e32 vcc, 14, v0
	ds_write2st64_b64 v55, v[58:59], v[44:45] offset1:1
	ds_write2st64_b64 v55, v[40:41], v[36:37] offset0:2 offset1:3
	s_and_saveexec_b64 s[4:5], vcc
	s_cbranch_execz .LBB1301_17
; %bb.16:
	s_mov_b32 s49, 0
	v_mov_b32_e32 v57, 0
	v_lshl_add_u64 v[34:35], s[48:49], 0, v[56:57]
	v_mov_b32_e32 v36, s8
	v_mad_u64_u32 v[34:35], s[10:11], s2, v36, v[34:35]
	s_mul_i32 s3, s3, s8
	v_mov_b32_e32 v36, s6
	v_mov_b32_e32 v37, v57
	s_load_dwordx4 s[12:15], s[0:1], 0x58
	v_add_u32_e32 v38, s3, v35
	v_mad_u64_u32 v[34:35], s[10:11], v34, s7, v[36:37]
	v_mov_b32_e32 v36, v35
	v_mad_u64_u32 v[36:37], s[10:11], v38, s7, v[36:37]
	v_mov_b32_e32 v35, v36
	v_lshlrev_b64 v[34:35], 2, v[34:35]
	s_waitcnt lgkmcnt(0)
	v_lshl_add_u64 v[36:37], s[14:15], 0, v[34:35]
	v_lshl_add_u64 v[34:35], s[12:13], 0, v[34:35]
	global_store_dword v[36:37], v50, off
	global_store_dword v[34:35], v51, off
.LBB1301_17:
	s_or_b64 exec, exec, s[4:5]
	s_waitcnt vmcnt(7)
	v_cvt_pk_f32_fp8_e32 v[34:35], v6
	v_cvt_pk_f32_fp8_sdwa v[36:37], v6 src0_sel:WORD_1
	v_lshl_or_b32 v50, v60, 9, v46
	s_mov_b32 s5, 0x7060302
	s_waitcnt lgkmcnt(0)
	s_barrier
	v_cvt_pk_f32_fp8_e32 v[38:39], v7
	v_perm_b32 v6, v35, v34, s5
	v_cvt_pk_f32_fp8_sdwa v[40:41], v7 src0_sel:WORD_1
	v_perm_b32 v7, v37, v36, s5
	ds_read_b128 v[34:37], v50
	v_perm_b32 v46, v39, v38, s5
	v_perm_b32 v47, v41, v40, s5
	ds_read_b128 v[38:41], v50 offset:16
	v_cvt_pk_f32_fp8_e32 v[48:49], v8
	v_cvt_pk_f32_fp8_sdwa v[52:53], v8 src0_sel:WORD_1
	s_waitcnt lgkmcnt(1)
	v_mfma_f32_16x16x16_bf16 v[42:45], v[6:7], v[34:35], 0
	s_waitcnt vmcnt(6)
	v_cvt_pk_f32_fp8_e32 v[58:59], v4
	v_perm_b32 v6, v49, v48, s5
	v_perm_b32 v7, v53, v52, s5
	v_cvt_pk_f32_fp8_e32 v[48:49], v9
	v_mfma_f32_16x16x16_bf16 v[42:45], v[46:47], v[36:37], v[42:45]
	v_cvt_pk_f32_fp8_sdwa v[46:47], v9 src0_sel:WORD_1
	v_cvt_pk_f32_fp8_sdwa v[62:63], v4 src0_sel:WORD_1
	v_perm_b32 v48, v49, v48, s5
	s_waitcnt lgkmcnt(0)
	v_mfma_f32_16x16x16_bf16 v[6:9], v[6:7], v[38:39], v[42:45]
	v_perm_b32 v49, v47, v46, s5
	s_waitcnt vmcnt(5)
	v_cvt_pk_f32_fp8_sdwa v[66:67], v28 src0_sel:WORD_1
	s_waitcnt vmcnt(4)
	v_cvt_pk_f32_fp8_sdwa v[68:69], v24 src0_sel:WORD_1
	v_cvt_pk_f32_fp8_e32 v[42:43], v2
	v_mfma_f32_16x16x16_bf16 v[46:49], v[48:49], v[40:41], v[6:9]
	s_load_dword s4, s[42:43], 0x0
	s_waitcnt vmcnt(3)
	v_cvt_pk_f32_fp8_sdwa v[70:71], v32 src0_sel:WORD_1
	v_cvt_pk_f32_fp8_sdwa v[6:7], v2 src0_sel:WORD_1
	v_cvt_pk_f32_fp8_e32 v[8:9], v3
	v_perm_b32 v2, v43, v42, s5
	v_cvt_pk_f32_fp8_sdwa v[42:43], v3 src0_sel:WORD_1
	v_perm_b32 v3, v7, v6, s5
	v_perm_b32 v52, v9, v8, s5
	ds_read_b128 v[6:9], v50 offset:2048
	v_perm_b32 v53, v43, v42, s5
	ds_read_b128 v[42:45], v50 offset:2064
	s_waitcnt lgkmcnt(0)
	v_mfma_f32_16x16x16_bf16 v[46:49], v[2:3], v[6:7], v[46:49]
	v_perm_b32 v2, v59, v58, s5
	v_perm_b32 v3, v63, v62, s5
	v_cvt_pk_f32_fp8_e32 v[58:59], v5
	v_mfma_f32_16x16x16_bf16 v[46:49], v[52:53], v[8:9], v[46:49]
	v_cvt_pk_f32_fp8_sdwa v[52:53], v5 src0_sel:WORD_1
	s_mov_b32 s3, 0
	v_perm_b32 v58, v59, v58, s5
	v_mfma_f32_16x16x16_bf16 v[2:5], v[2:3], v[42:43], v[46:49]
	v_perm_b32 v59, v53, v52, s5
	v_cmp_gt_u32_e32 vcc, 64, v0
	s_nop 0
	v_cvt_pk_f32_fp8_e32 v[46:47], v26
	v_mfma_f32_16x16x16_bf16 v[62:65], v[58:59], v[44:45], v[2:5]
	v_cvt_pk_f32_fp8_e32 v[58:59], v28
	s_nop 1
	v_cvt_pk_f32_fp8_sdwa v[2:3], v26 src0_sel:WORD_1
	v_cvt_pk_f32_fp8_e32 v[4:5], v27
	v_perm_b32 v26, v47, v46, s5
	v_cvt_pk_f32_fp8_sdwa v[46:47], v27 src0_sel:WORD_1
	v_perm_b32 v27, v3, v2, s5
	v_perm_b32 v52, v5, v4, s5
	ds_read_b128 v[2:5], v50 offset:4096
	v_perm_b32 v53, v47, v46, s5
	ds_read_b128 v[46:49], v50 offset:4112
	s_waitcnt lgkmcnt(1)
	v_mfma_f32_16x16x16_bf16 v[62:65], v[26:27], v[2:3], v[62:65]
	v_perm_b32 v26, v59, v58, s5
	v_perm_b32 v27, v67, v66, s5
	v_cvt_pk_f32_fp8_e32 v[58:59], v29
	v_mfma_f32_16x16x16_bf16 v[62:65], v[52:53], v[4:5], v[62:65]
	v_cvt_pk_f32_fp8_sdwa v[52:53], v29 src0_sel:WORD_1
	v_cvt_pk_f32_fp8_e32 v[66:67], v24
	v_perm_b32 v58, v59, v58, s5
	s_waitcnt lgkmcnt(0)
	v_mfma_f32_16x16x16_bf16 v[26:29], v[26:27], v[46:47], v[62:65]
	v_perm_b32 v59, v53, v52, s5
	v_cvt_pk_f32_fp8_e32 v[52:53], v22
	s_nop 0
	v_mfma_f32_16x16x16_bf16 v[62:65], v[58:59], v[48:49], v[26:29]
	s_nop 2
	v_cvt_pk_f32_fp8_sdwa v[26:27], v22 src0_sel:WORD_1
	v_cvt_pk_f32_fp8_e32 v[28:29], v23
	v_perm_b32 v22, v53, v52, s5
	v_cvt_pk_f32_fp8_sdwa v[52:53], v23 src0_sel:WORD_1
	v_perm_b32 v23, v27, v26, s5
	v_perm_b32 v58, v29, v28, s5
	ds_read_b128 v[26:29], v50 offset:6144
	v_perm_b32 v59, v53, v52, s5
	s_waitcnt lgkmcnt(0)
	v_mfma_f32_16x16x16_bf16 v[62:65], v[22:23], v[26:27], v[62:65]
	ds_read_b128 v[50:53], v50 offset:6160
	v_perm_b32 v22, v67, v66, s5
	v_perm_b32 v23, v69, v68, s5
	v_cvt_pk_f32_fp8_e32 v[66:67], v25
	v_mfma_f32_16x16x16_bf16 v[62:65], v[58:59], v[28:29], v[62:65]
	v_cvt_pk_f32_fp8_sdwa v[58:59], v25 src0_sel:WORD_1
	v_cvt_pk_f32_fp8_e32 v[68:69], v32
	v_perm_b32 v66, v67, v66, s5
	s_waitcnt lgkmcnt(0)
	v_mfma_f32_16x16x16_bf16 v[22:25], v[22:23], v[50:51], v[62:65]
	v_perm_b32 v67, v59, v58, s5
	v_cvt_pk_f32_fp8_sdwa v[58:59], v30 src0_sel:WORD_1
	s_nop 0
	v_mfma_f32_16x16x16_bf16 v[62:65], v[66:67], v[52:53], v[22:25]
	s_barrier
	s_nop 1
	v_cvt_pk_f32_fp8_e32 v[24:25], v30
	s_nop 2
	v_pk_mul_f32 v[66:67], v[62:63], s[4:5] op_sel_hi:[1,0]
	v_cvt_pk_f32_fp8_e32 v[62:63], v31
	v_perm_b32 v24, v25, v24, s5
	v_perm_b32 v25, v59, v58, s5
	v_cvt_pk_f32_fp8_sdwa v[30:31], v31 src0_sel:WORD_1
	v_perm_b32 v58, v63, v62, s5
	v_pk_mul_f32 v[22:23], v[64:65], s[4:5] op_sel_hi:[1,0]
	v_mfma_f32_16x16x16_bf16 v[62:65], v[24:25], v[34:35], 0
	v_perm_b32 v59, v31, v30, s5
	v_perm_b32 v24, v69, v68, s5
	;; [unrolled: 1-line block ×3, first 2 shown]
	v_cvt_pk_f32_fp8_e32 v[34:35], v33
	v_cvt_pk_f32_fp8_sdwa v[68:69], v33 src0_sel:WORD_1
	v_mfma_f32_16x16x16_bf16 v[30:33], v[58:59], v[36:37], v[62:65]
	s_waitcnt vmcnt(2)
	v_cvt_pk_f32_fp8_sdwa v[36:37], v18 src0_sel:WORD_1
	v_perm_b32 v34, v35, v34, s5
	v_perm_b32 v35, v69, v68, s5
	v_mfma_f32_16x16x16_bf16 v[30:33], v[24:25], v[38:39], v[30:33]
	v_cvt_pk_f32_fp8_e32 v[24:25], v18
	v_cvt_pk_f32_fp8_sdwa v[38:39], v20 src0_sel:WORD_1
	v_bfe_u32 v57, v67, 16, 1
	v_mfma_f32_16x16x16_bf16 v[30:33], v[34:35], v[40:41], v[30:33]
	v_cvt_pk_f32_fp8_e32 v[34:35], v19
	v_perm_b32 v24, v25, v24, s5
	v_perm_b32 v25, v37, v36, s5
	v_cvt_pk_f32_fp8_sdwa v[18:19], v19 src0_sel:WORD_1
	v_perm_b32 v34, v35, v34, s5
	v_cvt_pk_f32_fp8_e32 v[36:37], v20
	v_mfma_f32_16x16x16_bf16 v[30:33], v[24:25], v[6:7], v[30:33]
	v_perm_b32 v35, v19, v18, s5
	v_perm_b32 v18, v37, v36, s5
	;; [unrolled: 1-line block ×3, first 2 shown]
	v_cvt_pk_f32_fp8_e32 v[24:25], v21
	v_cvt_pk_f32_fp8_sdwa v[20:21], v21 src0_sel:WORD_1
	v_mfma_f32_16x16x16_bf16 v[6:9], v[34:35], v[8:9], v[30:33]
	v_bfe_u32 v58, v66, 16, 1
	v_perm_b32 v24, v25, v24, s5
	v_perm_b32 v25, v21, v20, s5
	v_mfma_f32_16x16x16_bf16 v[6:9], v[18:19], v[42:43], v[6:9]
	s_waitcnt vmcnt(1)
	v_cvt_pk_f32_fp8_e32 v[18:19], v14
	v_cvt_pk_f32_fp8_sdwa v[20:21], v14 src0_sel:WORD_1
	v_cvt_pk_f32_fp8_sdwa v[30:31], v16 src0_sel:WORD_1
	v_mfma_f32_16x16x16_bf16 v[6:9], v[24:25], v[44:45], v[6:9]
	v_cvt_pk_f32_fp8_e32 v[24:25], v15
	v_perm_b32 v18, v19, v18, s5
	v_perm_b32 v19, v21, v20, s5
	v_cvt_pk_f32_fp8_sdwa v[14:15], v15 src0_sel:WORD_1
	v_perm_b32 v20, v25, v24, s5
	v_cvt_pk_f32_fp8_e32 v[24:25], v16
	v_mfma_f32_16x16x16_bf16 v[6:9], v[18:19], v[2:3], v[6:9]
	v_perm_b32 v21, v15, v14, s5
	v_perm_b32 v14, v25, v24, s5
	;; [unrolled: 1-line block ×3, first 2 shown]
	v_cvt_pk_f32_fp8_e32 v[18:19], v17
	v_cvt_pk_f32_fp8_sdwa v[16:17], v17 src0_sel:WORD_1
	v_mfma_f32_16x16x16_bf16 v[2:5], v[20:21], v[4:5], v[6:9]
	v_add3_u32 v32, v66, v58, s9
	v_add3_u32 v33, v67, v57, s9
	s_nop 0
	v_perm_b32 v8, v19, v18, s5
	v_perm_b32 v9, v17, v16, s5
	v_mfma_f32_16x16x16_bf16 v[2:5], v[14:15], v[46:47], v[2:5]
	s_waitcnt vmcnt(0)
	v_cvt_pk_f32_fp8_e32 v[14:15], v10
	v_cvt_pk_f32_fp8_sdwa v[16:17], v10 src0_sel:WORD_1
	v_cvt_pk_f32_fp8_sdwa v[18:19], v12 src0_sel:WORD_1
	v_mfma_f32_16x16x16_bf16 v[2:5], v[8:9], v[48:49], v[2:5]
	v_cvt_pk_f32_fp8_e32 v[8:9], v11
	v_perm_b32 v14, v15, v14, s5
	v_perm_b32 v15, v17, v16, s5
	v_cvt_pk_f32_fp8_sdwa v[10:11], v11 src0_sel:WORD_1
	v_perm_b32 v8, v9, v8, s5
	v_cvt_pk_f32_fp8_e32 v[16:17], v12
	v_mfma_f32_16x16x16_bf16 v[2:5], v[14:15], v[26:27], v[2:5]
	v_perm_b32 v9, v11, v10, s5
	v_perm_b32 v10, v17, v16, s5
	;; [unrolled: 1-line block ×3, first 2 shown]
	v_cvt_pk_f32_fp8_e32 v[14:15], v13
	v_cvt_pk_f32_fp8_sdwa v[12:13], v13 src0_sel:WORD_1
	v_mfma_f32_16x16x16_bf16 v[2:5], v[8:9], v[28:29], v[2:5]
	v_bfe_u32 v7, v23, 16, 1
	v_perm_b32 v8, v15, v14, s5
	v_perm_b32 v9, v13, v12, s5
	v_mfma_f32_16x16x16_bf16 v[2:5], v[10:11], v[50:51], v[2:5]
	v_bfe_u32 v16, v22, 16, 1
	v_add3_u32 v10, v22, v16, s9
	v_add3_u32 v7, v23, v7, s9
	v_mfma_f32_16x16x16_bf16 v[2:5], v[8:9], v[52:53], v[2:5]
	v_perm_b32 v6, v33, v32, s5
	v_perm_b32 v7, v7, v10, s5
	s_nop 4
	v_pk_mul_f32 v[2:3], v[2:3], s[4:5] op_sel_hi:[1,0]
	v_pk_mul_f32 v[4:5], v[4:5], s[4:5] op_sel_hi:[1,0]
	v_bfe_u32 v8, v3, 16, 1
	v_bfe_u32 v9, v2, 16, 1
	v_add3_u32 v2, v2, v9, s9
	v_add3_u32 v3, v3, v8, s9
	v_perm_b32 v2, v3, v2, s5
	v_bfe_u32 v3, v5, 16, 1
	v_bfe_u32 v8, v4, 16, 1
	v_add3_u32 v4, v4, v8, s9
	v_add3_u32 v3, v5, v3, s9
	v_perm_b32 v3, v3, v4, s5
	ds_write2st64_b64 v55, v[6:7], v[2:3] offset1:1
	s_waitcnt lgkmcnt(0)
	s_barrier
	s_and_saveexec_b64 s[4:5], vcc
	s_cbranch_execz .LBB1301_20
; %bb.18:
	s_load_dwordx2 s[4:5], s[0:1], 0x68
	s_lshl_b32 s0, s7, 7
	s_mul_i32 s1, s8, s2
	v_lshlrev_b32_e32 v3, 6, v56
	s_mul_hi_u32 s9, s1, s0
	s_mul_i32 s8, s1, s0
	v_lshl_or_b32 v0, v0, 10, v3
	s_lshl_b64 s[8:9], s[8:9], 1
	v_lshlrev_b32_e32 v2, 5, v60
	v_and_b32_e32 v1, 16, v1
	v_and_b32_e32 v0, 0x1a00, v0
	s_waitcnt lgkmcnt(0)
	s_add_u32 s1, s4, s8
	v_or3_b32 v2, v0, v2, v1
	s_addc_u32 s4, s5, s9
	s_lshl_b32 s2, s6, 7
	ds_read_b128 v[4:7], v2 offset:256
	s_lshl_b64 s[2:3], s[2:3], 1
	ds_read_b128 v[8:11], v2 offset:128
	ds_read_b128 v[12:15], v2
	s_add_u32 s2, s1, s2
	s_addc_u32 s3, s4, s3
	v_mov_b32_e32 v55, 0
	v_add_u32_e32 v18, s48, v60
	v_lshl_add_u64 v[0:1], s[2:3], 0, v[54:55]
	v_mad_u64_u32 v[16:17], s[2:3], v18, s0, 0
	v_lshl_add_u64 v[16:17], v[16:17], 1, v[0:1]
	s_waitcnt lgkmcnt(0)
	global_store_dwordx4 v[16:17], v[12:15], off
	v_or_b32_e32 v3, 12, v60
	v_cmp_gt_u32_e32 vcc, 14, v3
	v_add_u32_e32 v12, 4, v18
	v_mad_u64_u32 v[12:13], s[2:3], v12, s0, 0
	v_lshl_add_u64 v[12:13], v[12:13], 1, v[0:1]
	global_store_dwordx4 v[12:13], v[8:11], off
	s_nop 1
	v_add_u32_e32 v8, 8, v18
	v_mad_u64_u32 v[8:9], s[2:3], v8, s0, 0
	v_lshl_add_u64 v[8:9], v[8:9], 1, v[0:1]
	global_store_dwordx4 v[8:9], v[4:7], off
	s_and_b64 exec, exec, vcc
	s_cbranch_execz .LBB1301_20
; %bb.19:
	ds_read_b128 v[4:7], v2 offset:384
	v_add_u32_e32 v2, s48, v3
	v_mad_u64_u32 v[2:3], s[0:1], v2, s0, 0
	v_lshl_add_u64 v[0:1], v[2:3], 1, v[0:1]
	s_waitcnt lgkmcnt(0)
	global_store_dwordx4 v[0:1], v[4:7], off
.LBB1301_20:
	s_endpgm
	.section	.rodata,"a",@progbits
	.p2align	6, 0x0
	.amdhsa_kernel _Z39paged_attention_ll4mi_QKV_mfma16_kernelI14__hip_bfloat16hLN4vllm18Fp8KVCacheDataTypeE1ES0_Li16ELi128ELi256ELb1ELi14EEvPKT_PKT0_S8_ifPKiSA_SA_iPKfiiiPfSD_PS3_PT2_iSC_SC_
		.amdhsa_group_segment_fixed_size 8192
		.amdhsa_private_segment_fixed_size 0
		.amdhsa_kernarg_size 400
		.amdhsa_user_sgpr_count 2
		.amdhsa_user_sgpr_dispatch_ptr 0
		.amdhsa_user_sgpr_queue_ptr 0
		.amdhsa_user_sgpr_kernarg_segment_ptr 1
		.amdhsa_user_sgpr_dispatch_id 0
		.amdhsa_user_sgpr_kernarg_preload_length 0
		.amdhsa_user_sgpr_kernarg_preload_offset 0
		.amdhsa_user_sgpr_private_segment_size 0
		.amdhsa_uses_dynamic_stack 0
		.amdhsa_enable_private_segment 0
		.amdhsa_system_sgpr_workgroup_id_x 1
		.amdhsa_system_sgpr_workgroup_id_y 1
		.amdhsa_system_sgpr_workgroup_id_z 1
		.amdhsa_system_sgpr_workgroup_info 0
		.amdhsa_system_vgpr_workitem_id 0
		.amdhsa_next_free_vgpr 76
		.amdhsa_next_free_sgpr 50
		.amdhsa_accum_offset 76
		.amdhsa_reserve_vcc 1
		.amdhsa_float_round_mode_32 0
		.amdhsa_float_round_mode_16_64 0
		.amdhsa_float_denorm_mode_32 3
		.amdhsa_float_denorm_mode_16_64 3
		.amdhsa_dx10_clamp 1
		.amdhsa_ieee_mode 1
		.amdhsa_fp16_overflow 0
		.amdhsa_tg_split 0
		.amdhsa_exception_fp_ieee_invalid_op 0
		.amdhsa_exception_fp_denorm_src 0
		.amdhsa_exception_fp_ieee_div_zero 0
		.amdhsa_exception_fp_ieee_overflow 0
		.amdhsa_exception_fp_ieee_underflow 0
		.amdhsa_exception_fp_ieee_inexact 0
		.amdhsa_exception_int_div_zero 0
	.end_amdhsa_kernel
	.section	.text._Z39paged_attention_ll4mi_QKV_mfma16_kernelI14__hip_bfloat16hLN4vllm18Fp8KVCacheDataTypeE1ES0_Li16ELi128ELi256ELb1ELi14EEvPKT_PKT0_S8_ifPKiSA_SA_iPKfiiiPfSD_PS3_PT2_iSC_SC_,"axG",@progbits,_Z39paged_attention_ll4mi_QKV_mfma16_kernelI14__hip_bfloat16hLN4vllm18Fp8KVCacheDataTypeE1ES0_Li16ELi128ELi256ELb1ELi14EEvPKT_PKT0_S8_ifPKiSA_SA_iPKfiiiPfSD_PS3_PT2_iSC_SC_,comdat
.Lfunc_end1301:
	.size	_Z39paged_attention_ll4mi_QKV_mfma16_kernelI14__hip_bfloat16hLN4vllm18Fp8KVCacheDataTypeE1ES0_Li16ELi128ELi256ELb1ELi14EEvPKT_PKT0_S8_ifPKiSA_SA_iPKfiiiPfSD_PS3_PT2_iSC_SC_, .Lfunc_end1301-_Z39paged_attention_ll4mi_QKV_mfma16_kernelI14__hip_bfloat16hLN4vllm18Fp8KVCacheDataTypeE1ES0_Li16ELi128ELi256ELb1ELi14EEvPKT_PKT0_S8_ifPKiSA_SA_iPKfiiiPfSD_PS3_PT2_iSC_SC_
                                        ; -- End function
	.section	.AMDGPU.csdata,"",@progbits
; Kernel info:
; codeLenInByte = 6652
; NumSgprs: 56
; NumVgprs: 76
; NumAgprs: 0
; TotalNumVgprs: 76
; ScratchSize: 0
; MemoryBound: 0
; FloatMode: 240
; IeeeMode: 1
; LDSByteSize: 8192 bytes/workgroup (compile time only)
; SGPRBlocks: 6
; VGPRBlocks: 9
; NumSGPRsForWavesPerEU: 56
; NumVGPRsForWavesPerEU: 76
; AccumOffset: 76
; Occupancy: 6
; WaveLimiterHint : 1
; COMPUTE_PGM_RSRC2:SCRATCH_EN: 0
; COMPUTE_PGM_RSRC2:USER_SGPR: 2
; COMPUTE_PGM_RSRC2:TRAP_HANDLER: 0
; COMPUTE_PGM_RSRC2:TGID_X_EN: 1
; COMPUTE_PGM_RSRC2:TGID_Y_EN: 1
; COMPUTE_PGM_RSRC2:TGID_Z_EN: 1
; COMPUTE_PGM_RSRC2:TIDIG_COMP_CNT: 0
; COMPUTE_PGM_RSRC3_GFX90A:ACCUM_OFFSET: 18
; COMPUTE_PGM_RSRC3_GFX90A:TG_SPLIT: 0
	.section	.text._Z39paged_attention_ll4mi_QKV_mfma16_kernelI14__hip_bfloat16hLN4vllm18Fp8KVCacheDataTypeE1ES0_Li16ELi128ELi256ELb1ELi15EEvPKT_PKT0_S8_ifPKiSA_SA_iPKfiiiPfSD_PS3_PT2_iSC_SC_,"axG",@progbits,_Z39paged_attention_ll4mi_QKV_mfma16_kernelI14__hip_bfloat16hLN4vllm18Fp8KVCacheDataTypeE1ES0_Li16ELi128ELi256ELb1ELi15EEvPKT_PKT0_S8_ifPKiSA_SA_iPKfiiiPfSD_PS3_PT2_iSC_SC_,comdat
	.protected	_Z39paged_attention_ll4mi_QKV_mfma16_kernelI14__hip_bfloat16hLN4vllm18Fp8KVCacheDataTypeE1ES0_Li16ELi128ELi256ELb1ELi15EEvPKT_PKT0_S8_ifPKiSA_SA_iPKfiiiPfSD_PS3_PT2_iSC_SC_ ; -- Begin function _Z39paged_attention_ll4mi_QKV_mfma16_kernelI14__hip_bfloat16hLN4vllm18Fp8KVCacheDataTypeE1ES0_Li16ELi128ELi256ELb1ELi15EEvPKT_PKT0_S8_ifPKiSA_SA_iPKfiiiPfSD_PS3_PT2_iSC_SC_
	.globl	_Z39paged_attention_ll4mi_QKV_mfma16_kernelI14__hip_bfloat16hLN4vllm18Fp8KVCacheDataTypeE1ES0_Li16ELi128ELi256ELb1ELi15EEvPKT_PKT0_S8_ifPKiSA_SA_iPKfiiiPfSD_PS3_PT2_iSC_SC_
	.p2align	8
	.type	_Z39paged_attention_ll4mi_QKV_mfma16_kernelI14__hip_bfloat16hLN4vllm18Fp8KVCacheDataTypeE1ES0_Li16ELi128ELi256ELb1ELi15EEvPKT_PKT0_S8_ifPKiSA_SA_iPKfiiiPfSD_PS3_PT2_iSC_SC_,@function
_Z39paged_attention_ll4mi_QKV_mfma16_kernelI14__hip_bfloat16hLN4vllm18Fp8KVCacheDataTypeE1ES0_Li16ELi128ELi256ELb1ELi15EEvPKT_PKT0_S8_ifPKiSA_SA_iPKfiiiPfSD_PS3_PT2_iSC_SC_: ; @_Z39paged_attention_ll4mi_QKV_mfma16_kernelI14__hip_bfloat16hLN4vllm18Fp8KVCacheDataTypeE1ES0_Li16ELi128ELi256ELb1ELi15EEvPKT_PKT0_S8_ifPKiSA_SA_iPKfiiiPfSD_PS3_PT2_iSC_SC_
; %bb.0:
	s_load_dwordx2 s[10:11], s[0:1], 0x30
	s_mov_b32 s6, s3
	s_mov_b64 s[8:9], 0
	s_waitcnt lgkmcnt(0)
	s_cmp_lg_u64 s[10:11], 0
	s_cselect_b64 s[12:13], -1, 0
	s_and_b64 vcc, exec, s[12:13]
	s_cbranch_vccz .LBB1302_7
; %bb.1:
	s_add_i32 s14, s2, 1
	s_mov_b32 s15, 0
	s_lshl_b64 s[16:17], s[14:15], 2
	s_add_u32 s16, s10, s16
	s_mov_b32 s3, s15
	s_addc_u32 s17, s11, s17
	s_lshl_b64 s[14:15], s[2:3], 2
	s_add_u32 s14, s10, s14
	s_addc_u32 s15, s11, s15
	s_load_dword s5, s[16:17], 0x0
	s_load_dword s7, s[14:15], 0x0
	s_waitcnt lgkmcnt(0)
	s_sub_i32 s5, s5, s7
	s_cmp_eq_u32 s5, 1
	s_cselect_b64 s[14:15], -1, 0
	s_andn2_b64 vcc, exec, s[8:9]
	s_cbranch_vccnz .LBB1302_3
.LBB1302_2:
	s_mov_b32 s3, 0
	s_mov_b64 s[14:15], -1
.LBB1302_3:
	s_andn2_b64 vcc, exec, s[14:15]
	s_cbranch_vccnz .LBB1302_20
; %bb.4:
	s_load_dwordx2 s[8:9], s[0:1], 0x28
	s_lshl_b64 s[14:15], s[2:3], 2
	s_waitcnt lgkmcnt(0)
	s_add_u32 s8, s8, s14
	s_addc_u32 s9, s9, s15
	s_load_dword s7, s[8:9], 0x0
	s_lshl_b32 s18, s6, 8
	s_waitcnt lgkmcnt(0)
	s_cmp_ge_i32 s18, s7
	s_cbranch_scc1 .LBB1302_20
; %bb.5:
	s_load_dwordx2 s[8:9], s[0:1], 0x20
	s_load_dword s5, s[0:1], 0x38
	s_add_i32 s16, s7, 15
	s_ashr_i32 s17, s16, 31
	v_and_b32_e32 v1, 0xcf, v0
	s_lshr_b32 s17, s17, 28
	v_add_u32_e32 v1, s18, v1
	s_add_i32 s16, s16, s17
	v_ashrrev_i32_e32 v2, 31, v1
	s_ashr_i32 s19, s16, 4
	v_lshrrev_b32_e32 v4, 28, v2
	s_add_i32 s19, s19, -1
	s_waitcnt lgkmcnt(0)
	s_mul_i32 s16, s2, s5
	s_mov_b32 s17, 0
	v_add_u32_e32 v2, v1, v4
	s_lshl_b64 s[16:17], s[16:17], 2
	v_ashrrev_i32_e32 v2, 4, v2
	v_mov_b32_e32 v5, s19
	v_cmp_gt_i32_e32 vcc, s7, v1
	s_add_u32 s8, s8, s16
	s_addc_u32 s9, s9, s17
	v_cndmask_b32_e32 v2, v5, v2, vcc
	v_ashrrev_i32_e32 v3, 31, v2
	v_lshl_add_u64 v[6:7], v[2:3], 2, s[8:9]
	v_or_b32_e32 v2, 16, v1
	v_add_u32_e32 v3, v2, v4
	v_ashrrev_i32_e32 v3, 4, v3
	v_cmp_gt_i32_e32 vcc, s7, v2
	s_load_dwordx2 s[16:17], s[0:1], 0x8
	s_nop 0
	v_cndmask_b32_e32 v2, v5, v3, vcc
	v_ashrrev_i32_e32 v3, 31, v2
	v_lshl_add_u64 v[8:9], v[2:3], 2, s[8:9]
	v_or_b32_e32 v2, 32, v1
	v_add_u32_e32 v3, v2, v4
	v_ashrrev_i32_e32 v3, 4, v3
	v_cmp_gt_i32_e32 vcc, s7, v2
	v_or_b32_e32 v1, 48, v1
	s_nop 0
	v_cndmask_b32_e32 v2, v5, v3, vcc
	v_ashrrev_i32_e32 v3, 31, v2
	v_lshl_add_u64 v[12:13], v[2:3], 2, s[8:9]
	v_add_u32_e32 v2, v1, v4
	v_ashrrev_i32_e32 v2, 4, v2
	v_cmp_gt_i32_e32 vcc, s7, v1
	s_nop 1
	v_cndmask_b32_e32 v2, v5, v2, vcc
	v_ashrrev_i32_e32 v3, 31, v2
	v_lshl_add_u64 v[14:15], v[2:3], 2, s[8:9]
	global_load_dword v4, v[6:7], off
	global_load_dword v3, v[8:9], off
	;; [unrolled: 1-line block ×4, first 2 shown]
	s_andn2_b64 vcc, exec, s[12:13]
	s_cbranch_vccnz .LBB1302_8
; %bb.6:
	s_add_u32 s10, s10, s14
	s_addc_u32 s11, s11, s15
	s_load_dword s5, s[10:11], 0x0
	s_branch .LBB1302_9
.LBB1302_7:
	s_mov_b64 s[14:15], 0
	s_branch .LBB1302_2
.LBB1302_8:
	s_mov_b32 s5, s2
.LBB1302_9:
	s_load_dwordx2 s[10:11], s[0:1], 0x10
	s_load_dwordx4 s[44:47], s[0:1], 0x48
	v_lshrrev_b32_e32 v57, 6, v0
	v_bfe_u32 v60, v0, 4, 2
	v_and_b32_e32 v56, 15, v0
	v_lshl_or_b32 v5, v57, 2, v60
	v_lshlrev_b32_e32 v1, 3, v56
	s_mul_i32 s48, s4, 15
	v_cmp_gt_u32_e32 vcc, 15, v5
	v_lshlrev_b32_e32 v54, 1, v1
	v_lshlrev_b32_e32 v1, 4, v0
	s_and_saveexec_b64 s[12:13], vcc
	s_cbranch_execz .LBB1302_11
; %bb.10:
	s_load_dwordx2 s[14:15], s[0:1], 0x0
	s_waitcnt lgkmcnt(0)
	s_ashr_i32 s20, s44, 31
	s_mul_hi_u32 s21, s5, s44
	s_mul_i32 s20, s5, s20
	s_add_i32 s21, s21, s20
	s_mul_i32 s20, s5, s44
	s_lshl_b64 s[20:21], s[20:21], 1
	s_add_u32 s14, s14, s20
	v_add_lshl_u32 v6, v5, s48, 7
	s_addc_u32 s15, s15, s21
	v_ashrrev_i32_e32 v7, 31, v6
	v_lshl_add_u64 v[6:7], v[6:7], 1, s[14:15]
	v_mov_b32_e32 v55, 0
	v_lshl_add_u64 v[6:7], v[6:7], 0, v[54:55]
	global_load_dwordx4 v[6:9], v[6:7], off
	v_lshlrev_b32_e32 v12, 8, v0
	v_lshlrev_b32_e32 v11, 8, v56
	v_and_b32_e32 v12, 0x600, v12
	s_movk_i32 s5, 0x800
	v_and_or_b32 v11, v11, s5, v12
	v_lshlrev_b32_e32 v5, 5, v5
	v_and_b32_e32 v12, 16, v1
	v_or3_b32 v5, v11, v5, v12
	s_waitcnt vmcnt(0)
	ds_write_b128 v5, v[6:9]
.LBB1302_11:
	s_or_b64 exec, exec, s[12:13]
	s_waitcnt lgkmcnt(0)
	s_mul_i32 s12, s4, s46
	s_add_u32 s4, s16, s12
	v_mov_b32_e32 v59, 0
	s_addc_u32 s5, s17, 0
	v_and_b32_e32 v58, 0xf0, v1
	v_and_b32_e32 v34, 48, v0
	v_lshl_add_u64 v[12:13], s[4:5], 0, v[58:59]
	v_lshlrev_b32_e32 v58, 4, v34
	s_waitcnt vmcnt(3)
	v_mad_i64_i32 v[4:5], s[4:5], v4, s45, v[12:13]
	v_lshl_add_u64 v[4:5], v[4:5], 0, v[58:59]
	s_barrier
	global_load_dwordx4 v[50:53], v[4:5], off
	global_load_dwordx4 v[46:49], v[4:5], off offset:1024
	s_waitcnt vmcnt(4)
	v_mad_i64_i32 v[4:5], s[4:5], v3, s45, v[12:13]
	s_waitcnt vmcnt(3)
	v_mad_i64_i32 v[2:3], s[4:5], v2, s45, v[12:13]
	;; [unrolled: 2-line block ×3, first 2 shown]
	v_lshl_add_u64 v[4:5], v[4:5], 0, v[58:59]
	v_lshl_add_u64 v[14:15], v[2:3], 0, v[58:59]
	;; [unrolled: 1-line block ×3, first 2 shown]
	global_load_dwordx4 v[36:39], v[4:5], off
	global_load_dwordx4 v[6:9], v[4:5], off offset:1024
	s_nop 0
	global_load_dwordx4 v[2:5], v[14:15], off
	global_load_dwordx4 v[42:45], v[14:15], off offset:1024
	global_load_dwordx4 v[26:29], v[10:11], off
	s_nop 0
	global_load_dwordx4 v[14:17], v[10:11], off offset:1024
	v_cmp_ne_u32_e32 vcc, 15, v56
	v_and_b32_e32 v55, 63, v0
	v_mov_b32_e32 v61, 0
	v_cndmask_b32_e32 v10, 0, v56, vcc
	v_lshlrev_b32_e32 v10, 5, v10
	v_lshl_or_b32 v10, v60, 9, v10
	ds_read_b128 v[30:33], v10
	ds_read_b128 v[22:25], v10 offset:16
	ds_read_b128 v[18:21], v10 offset:2048
	;; [unrolled: 1-line block ×3, first 2 shown]
	s_and_saveexec_b64 s[4:5], vcc
	s_cbranch_execz .LBB1302_13
; %bb.12:
	s_load_dwordx2 s[14:15], s[0:1], 0x40
	v_add_u32_e32 v40, s48, v56
	v_ashrrev_i32_e32 v41, 31, v40
	s_waitcnt lgkmcnt(0)
	v_lshl_add_u64 v[40:41], v[40:41], 2, s[14:15]
	global_load_dword v61, v[40:41], off
.LBB1302_13:
	s_or_b64 exec, exec, s[4:5]
	v_or_b32_e32 v58, s18, v34
	v_ashrrev_i32_e32 v34, 4, v58
	v_mov_b32_e32 v63, s19
	v_cmp_gt_i32_e32 vcc, s7, v58
	s_waitcnt vmcnt(7)
	v_cvt_pk_f32_fp8_e32 v[40:41], v50
	v_cvt_pk_f32_fp8_sdwa v[64:65], v50 src0_sel:WORD_1
	v_cndmask_b32_e32 v34, v63, v34, vcc
	v_ashrrev_i32_e32 v35, 31, v34
	v_lshl_add_u64 v[34:35], v[34:35], 2, s[8:9]
	global_load_dword v62, v[34:35], off
	v_or_b32_e32 v34, 64, v58
	v_ashrrev_i32_e32 v35, 4, v34
	v_cmp_gt_i32_e32 vcc, s7, v34
	v_or_b32_e32 v66, 0x80, v58
	v_ashrrev_i32_e32 v67, 4, v66
	v_cndmask_b32_e32 v34, v63, v35, vcc
	v_cmp_gt_i32_e32 vcc, s7, v66
	s_mov_b32 s33, 0x7060302
	v_perm_b32 v40, v41, v40, s33
	v_cndmask_b32_e32 v50, v63, v67, vcc
	v_perm_b32 v41, v65, v64, s33
	v_cvt_pk_f32_fp8_e32 v[64:65], v51
	v_cvt_pk_f32_fp8_sdwa v[66:67], v51 src0_sel:WORD_1
	v_ashrrev_i32_e32 v51, 31, v50
	v_lshl_add_u64 v[68:69], v[50:51], 2, s[8:9]
	v_perm_b32 v50, v65, v64, s33
	v_perm_b32 v51, v67, v66, s33
	s_waitcnt lgkmcnt(3)
	v_mfma_f32_16x16x16_bf16 v[64:67], v[40:41], v[30:31], 0
	v_cvt_pk_f32_fp8_e32 v[40:41], v52
	v_cvt_pk_f32_fp8_sdwa v[70:71], v52 src0_sel:WORD_1
	s_waitcnt vmcnt(7)
	v_cvt_pk_f32_fp8_e32 v[72:73], v46
	v_mfma_f32_16x16x16_bf16 v[64:67], v[50:51], v[32:33], v[64:67]
	v_cvt_pk_f32_fp8_e32 v[50:51], v53
	v_perm_b32 v40, v41, v40, s33
	v_perm_b32 v41, v71, v70, s33
	v_cvt_pk_f32_fp8_sdwa v[52:53], v53 src0_sel:WORD_1
	v_perm_b32 v70, v51, v50, s33
	v_cvt_pk_f32_fp8_sdwa v[74:75], v46 src0_sel:WORD_1
	v_ashrrev_i32_e32 v35, 31, v34
	v_perm_b32 v71, v53, v52, s33
	s_waitcnt lgkmcnt(2)
	v_mfma_f32_16x16x16_bf16 v[50:53], v[40:41], v[22:23], v[64:67]
	v_perm_b32 v40, v73, v72, s33
	v_perm_b32 v41, v75, v74, s33
	v_or_b32_e32 v58, 0xc0, v58
	v_cvt_pk_f32_fp8_e32 v[64:65], v47
	v_cvt_pk_f32_fp8_sdwa v[46:47], v47 src0_sel:WORD_1
	v_mfma_f32_16x16x16_bf16 v[50:53], v[70:71], v[24:25], v[50:53]
	v_lshl_add_u64 v[34:35], v[34:35], 2, s[8:9]
	v_perm_b32 v64, v65, v64, s33
	v_perm_b32 v65, v47, v46, s33
	s_waitcnt lgkmcnt(1)
	v_mfma_f32_16x16x16_bf16 v[50:53], v[40:41], v[18:19], v[50:53]
	v_ashrrev_i32_e32 v66, 4, v58
	v_cmp_gt_i32_e32 vcc, s7, v58
	v_cvt_pk_f32_fp8_e32 v[46:47], v48
	s_waitcnt vmcnt(6)
	v_cvt_pk_f32_fp8_sdwa v[70:71], v36 src0_sel:WORD_1
	v_cndmask_b32_e32 v40, v63, v66, vcc
	v_mfma_f32_16x16x16_bf16 v[64:67], v[64:65], v[20:21], v[50:53]
	v_ashrrev_i32_e32 v41, 31, v40
	v_lshl_add_u64 v[40:41], v[40:41], 2, s[8:9]
	v_perm_b32 v46, v47, v46, s33
	global_load_dword v53, v[34:35], off
	global_load_dword v63, v[40:41], off
	v_cvt_pk_f32_fp8_sdwa v[50:51], v48 src0_sel:WORD_1
	v_cvt_pk_f32_fp8_e32 v[34:35], v49
	v_cvt_pk_f32_fp8_sdwa v[48:49], v49 src0_sel:WORD_1
	s_add_u32 s46, s10, s12
	v_perm_b32 v47, v51, v50, s33
	v_perm_b32 v34, v35, v34, s33
	;; [unrolled: 1-line block ×3, first 2 shown]
	s_waitcnt lgkmcnt(0)
	v_mfma_f32_16x16x16_bf16 v[46:49], v[46:47], v[10:11], v[64:67]
	v_cvt_pk_f32_fp8_e32 v[50:51], v36
	s_nop 1
	global_load_dword v64, v[68:69], off
	v_cvt_pk_f32_fp8_e32 v[66:67], v37
	s_waitcnt vmcnt(8)
	v_cvt_pk_f32_fp8_e32 v[68:69], v6
	v_perm_b32 v50, v51, v50, s33
	v_perm_b32 v51, v71, v70, s33
	v_cvt_pk_f32_fp8_sdwa v[70:71], v37 src0_sel:WORD_1
	v_perm_b32 v40, v67, v66, s33
	v_mfma_f32_16x16x16_bf16 v[34:37], v[34:35], v[12:13], v[46:49]
	v_cvt_pk_f32_fp8_sdwa v[66:67], v38 src0_sel:WORD_1
	v_perm_b32 v41, v71, v70, s33
	v_cvt_pk_f32_fp8_sdwa v[70:71], v6 src0_sel:WORD_1
	v_mfma_f32_16x16x16_bf16 v[46:49], v[50:51], v[30:31], 0
	v_cvt_pk_f32_fp8_e32 v[50:51], v38
	v_lshl_or_b32 v52, v57, 4, v56
	s_waitcnt vmcnt(6)
	v_cvt_pk_f32_fp8_e32 v[72:73], v43
	v_mfma_f32_16x16x16_bf16 v[46:49], v[40:41], v[32:33], v[46:49]
	v_cvt_pk_f32_fp8_e32 v[40:41], v39
	v_perm_b32 v50, v51, v50, s33
	v_perm_b32 v51, v67, v66, s33
	v_cvt_pk_f32_fp8_sdwa v[38:39], v39 src0_sel:WORD_1
	v_perm_b32 v66, v41, v40, s33
	s_addc_u32 s47, s11, 0
	v_lshlrev_b32_e32 v58, 4, v52
	v_perm_b32 v67, v39, v38, s33
	v_mfma_f32_16x16x16_bf16 v[38:41], v[50:51], v[22:23], v[46:49]
	v_cvt_pk_f32_fp8_sdwa v[50:51], v2 src0_sel:WORD_1
	s_nop 1
	v_perm_b32 v46, v69, v68, s33
	v_perm_b32 v47, v71, v70, s33
	v_cvt_pk_f32_fp8_e32 v[48:49], v7
	v_cvt_pk_f32_fp8_sdwa v[6:7], v7 src0_sel:WORD_1
	v_mfma_f32_16x16x16_bf16 v[38:41], v[66:67], v[24:25], v[38:41]
	v_lshl_add_u64 v[70:71], s[46:47], 0, v[58:59]
	v_perm_b32 v48, v49, v48, s33
	v_perm_b32 v49, v7, v6, s33
	v_mfma_f32_16x16x16_bf16 v[38:41], v[46:47], v[18:19], v[38:41]
	v_cvt_pk_f32_fp8_e32 v[6:7], v8
	v_cvt_pk_f32_fp8_sdwa v[46:47], v8 src0_sel:WORD_1
	v_or_b32_e32 v58, 0x400, v58
	v_mfma_f32_16x16x16_bf16 v[38:41], v[48:49], v[20:21], v[38:41]
	v_cvt_pk_f32_fp8_e32 v[48:49], v9
	v_perm_b32 v6, v7, v6, s33
	v_perm_b32 v7, v47, v46, s33
	v_cvt_pk_f32_fp8_sdwa v[8:9], v9 src0_sel:WORD_1
	v_perm_b32 v46, v49, v48, s33
	v_cvt_pk_f32_fp8_e32 v[48:49], v2
	v_perm_b32 v47, v9, v8, s33
	v_mfma_f32_16x16x16_bf16 v[6:9], v[6:7], v[10:11], v[38:41]
	v_perm_b32 v48, v49, v48, s33
	v_perm_b32 v49, v51, v50, s33
	v_cvt_pk_f32_fp8_e32 v[50:51], v3
	v_cvt_pk_f32_fp8_sdwa v[2:3], v3 src0_sel:WORD_1
	v_mfma_f32_16x16x16_bf16 v[38:41], v[46:47], v[12:13], v[6:9]
	v_perm_b32 v46, v51, v50, s33
	v_perm_b32 v47, v3, v2, s33
	v_mfma_f32_16x16x16_bf16 v[6:9], v[48:49], v[30:31], 0
	v_cvt_pk_f32_fp8_e32 v[2:3], v4
	v_cvt_pk_f32_fp8_sdwa v[48:49], v4 src0_sel:WORD_1
	s_waitcnt vmcnt(3)
	v_mad_i64_i32 v[50:51], s[4:5], v62, s45, v[70:71]
	v_perm_b32 v2, v3, v2, s33
	v_perm_b32 v3, v49, v48, s33
	v_mfma_f32_16x16x16_bf16 v[6:9], v[46:47], v[32:33], v[6:9]
	v_cvt_pk_f32_fp8_e32 v[46:47], v5
	v_cvt_pk_f32_fp8_sdwa v[4:5], v5 src0_sel:WORD_1
	s_waitcnt vmcnt(2)
	v_mad_i64_i32 v[66:67], s[4:5], v53, s45, v[70:71]
	v_perm_b32 v46, v47, v46, s33
	v_perm_b32 v47, v5, v4, s33
	v_mfma_f32_16x16x16_bf16 v[2:5], v[2:3], v[22:23], v[6:9]
	s_nop 2
	v_cvt_pk_f32_fp8_e32 v[6:7], v42
	v_cvt_pk_f32_fp8_sdwa v[8:9], v42 src0_sel:WORD_1
	v_cvt_pk_f32_fp8_sdwa v[42:43], v43 src0_sel:WORD_1
	v_mfma_f32_16x16x16_bf16 v[46:49], v[46:47], v[24:25], v[2:5]
	v_perm_b32 v68, v7, v6, s33
	v_perm_b32 v69, v9, v8, s33
	global_load_dwordx4 v[6:9], v[50:51], off
	global_load_dwordx4 v[2:5], v[66:67], off
	v_perm_b32 v66, v73, v72, s33
	v_perm_b32 v67, v43, v42, s33
	v_mfma_f32_16x16x16_bf16 v[48:51], v[68:69], v[18:19], v[46:49]
	v_cvt_pk_f32_fp8_e32 v[42:43], v44
	v_cvt_pk_f32_fp8_sdwa v[72:73], v44 src0_sel:WORD_1
	s_waitcnt vmcnt(2)
	v_mad_i64_i32 v[46:47], s[4:5], v64, s45, v[70:71]
	v_mfma_f32_16x16x16_bf16 v[66:69], v[66:67], v[20:21], v[48:51]
	v_perm_b32 v42, v43, v42, s33
	v_perm_b32 v43, v73, v72, s33
	v_cvt_pk_f32_fp8_sdwa v[72:73], v26 src0_sel:WORD_1
	v_cvt_pk_f32_fp8_e32 v[50:51], v45
	v_cvt_pk_f32_fp8_sdwa v[44:45], v45 src0_sel:WORD_1
	v_mad_i64_i32 v[48:49], s[4:5], v63, s45, v[70:71]
	v_perm_b32 v50, v51, v50, s33
	v_perm_b32 v51, v45, v44, s33
	v_mfma_f32_16x16x16_bf16 v[42:45], v[42:43], v[10:11], v[66:69]
	v_cvt_pk_f32_fp8_e32 v[70:71], v26
	s_load_dword s4, s[0:1], 0x1c
	s_load_dwordx4 s[40:43], s[0:1], 0x80
	s_load_dword s44, s[0:1], 0x98
	s_waitcnt lgkmcnt(0)
	s_load_dword s5, s[40:41], 0x0
	v_mfma_f32_16x16x16_bf16 v[66:69], v[50:51], v[12:13], v[42:45]
	s_mov_b32 s40, 0xff7fffff
	s_nop 1
	v_cvt_pk_f32_fp8_e32 v[42:43], v27
	v_perm_b32 v44, v71, v70, s33
	v_perm_b32 v45, v73, v72, s33
	v_cvt_pk_f32_fp8_sdwa v[26:27], v27 src0_sel:WORD_1
	v_perm_b32 v50, v43, v42, s33
	v_cvt_pk_f32_fp8_e32 v[70:71], v28
	v_cvt_pk_f32_fp8_sdwa v[72:73], v28 src0_sel:WORD_1
	v_perm_b32 v51, v27, v26, s33
	v_mfma_f32_16x16x16_bf16 v[42:45], v[44:45], v[30:31], 0
	v_perm_b32 v30, v71, v70, s33
	v_perm_b32 v31, v73, v72, s33
	v_cvt_pk_f32_fp8_e32 v[70:71], v29
	v_cvt_pk_f32_fp8_sdwa v[72:73], v29 src0_sel:WORD_1
	v_mfma_f32_16x16x16_bf16 v[26:29], v[50:51], v[32:33], v[42:45]
	v_mov_b32_e32 v32, s4
	s_waitcnt lgkmcnt(0)
	v_mul_f32_e32 v50, s5, v32
	v_pk_mul_f32 v[32:33], v[50:51], v[34:35] op_sel_hi:[0,1]
	v_perm_b32 v42, v71, v70, s33
	v_perm_b32 v43, v73, v72, s33
	v_mfma_f32_16x16x16_bf16 v[26:29], v[30:31], v[22:23], v[26:29]
	v_pk_mul_f32 v[30:31], v[50:51], v[36:37] op_sel_hi:[0,1]
	v_cvt_pk_f32_fp8_e32 v[22:23], v14
	v_cvt_pk_f32_fp8_sdwa v[70:71], v16 src0_sel:WORD_1
	v_mfma_f32_16x16x16_bf16 v[34:37], v[42:43], v[24:25], v[26:29]
	v_cvt_pk_f32_fp8_sdwa v[24:25], v14 src0_sel:WORD_1
	v_perm_b32 v42, v23, v22, s33
	v_pk_mul_f32 v[40:41], v[50:51], v[40:41] op_sel_hi:[0,1]
	v_cvt_pk_f32_fp8_e32 v[26:27], v15
	v_cvt_pk_f32_fp8_sdwa v[14:15], v15 src0_sel:WORD_1
	v_perm_b32 v43, v25, v24, s33
	v_perm_b32 v44, v27, v26, s33
	;; [unrolled: 1-line block ×3, first 2 shown]
	v_cvt_pk_f32_fp8_e32 v[14:15], v16
	v_mfma_f32_16x16x16_bf16 v[34:37], v[42:43], v[18:19], v[34:37]
	global_load_dwordx4 v[26:29], v[46:47], off
	global_load_dwordx4 v[22:25], v[48:49], off
	v_perm_b32 v19, v71, v70, s33
	v_perm_b32 v18, v15, v14, s33
	v_cvt_pk_f32_fp8_e32 v[42:43], v17
	v_cvt_pk_f32_fp8_sdwa v[46:47], v17 src0_sel:WORD_1
	v_mfma_f32_16x16x16_bf16 v[14:17], v[44:45], v[20:21], v[34:37]
	v_pk_mul_f32 v[44:45], v[50:51], v[38:39] op_sel_hi:[0,1]
	v_perm_b32 v20, v43, v42, s33
	v_perm_b32 v21, v47, v46, s33
	v_mfma_f32_16x16x16_bf16 v[14:17], v[18:19], v[10:11], v[14:17]
	v_pk_mul_f32 v[38:39], v[50:51], v[68:69] op_sel_hi:[0,1]
	v_pk_mul_f32 v[42:43], v[50:51], v[66:67] op_sel_hi:[0,1]
	v_mfma_f32_16x16x16_bf16 v[10:13], v[20:21], v[12:13], v[14:17]
	s_nop 6
	v_pk_mul_f32 v[36:37], v[50:51], v[10:11] op_sel_hi:[0,1]
	v_and_b32_e32 v10, 0xc0, v0
	v_add_u32_e32 v10, s18, v10
	v_lshl_or_b32 v10, v60, 2, v10
	v_or_b32_e32 v11, 1, v10
	v_pk_mul_f32 v[34:35], v[50:51], v[12:13] op_sel_hi:[0,1]
	v_subrev_u32_e32 v12, s7, v11
	v_add_u32_e32 v14, 1, v12
	v_add_u32_e32 v15, 2, v12
	v_cvt_f32_i32_e32 v13, v12
	v_cvt_f32_i32_e32 v14, v14
	;; [unrolled: 1-line block ×3, first 2 shown]
	v_add_u32_e32 v16, 3, v12
	v_fma_f32 v18, v61, v13, v32
	v_fmac_f32_e32 v33, v61, v14
	v_fma_f32 v48, v61, v15, v30
	v_add_u32_e32 v13, 16, v12
	v_add_u32_e32 v14, 17, v12
	;; [unrolled: 1-line block ×3, first 2 shown]
	v_cvt_f32_i32_e32 v16, v16
	v_cvt_f32_i32_e32 v13, v13
	;; [unrolled: 1-line block ×4, first 2 shown]
	v_fmac_f32_e32 v31, v61, v16
	v_add_u32_e32 v16, 19, v12
	v_fma_f32 v44, v61, v13, v44
	v_fmac_f32_e32 v45, v61, v14
	v_fma_f32 v40, v61, v15, v40
	v_add_u32_e32 v13, 32, v12
	v_add_u32_e32 v14, 33, v12
	;; [unrolled: 1-line block ×3, first 2 shown]
	v_cvt_f32_i32_e32 v16, v16
	v_cvt_f32_i32_e32 v13, v13
	;; [unrolled: 1-line block ×4, first 2 shown]
	v_fmac_f32_e32 v41, v61, v16
	v_add_u32_e32 v16, 35, v12
	v_fma_f32 v42, v61, v13, v42
	v_fmac_f32_e32 v43, v61, v14
	v_fma_f32 v38, v61, v15, v38
	v_add_u32_e32 v13, 48, v12
	v_add_u32_e32 v14, 49, v12
	;; [unrolled: 1-line block ×4, first 2 shown]
	v_cvt_f32_i32_e32 v12, v12
	v_cvt_f32_i32_e32 v13, v13
	;; [unrolled: 1-line block ×3, first 2 shown]
	v_cmp_gt_i32_e64 s[8:9], s7, v10
	v_fmac_f32_e32 v35, v61, v12
	v_mov_b32_e32 v12, 0xff7fffff
	v_cmp_gt_i32_e64 s[10:11], s7, v11
	v_fma_f32 v36, v61, v13, v36
	v_cndmask_b32_e64 v13, v12, v18, s[8:9]
	v_cndmask_b32_e64 v11, v12, v33, s[10:11]
	v_fmac_f32_e32 v37, v61, v14
	v_max3_f32 v11, v13, s40, v11
	v_or_b32_e32 v13, 2, v10
	v_or_b32_e32 v14, 3, v10
	v_cmp_gt_i32_e64 s[12:13], s7, v13
	v_cmp_gt_i32_e64 s[14:15], s7, v14
	v_cvt_f32_i32_e32 v16, v16
	v_cndmask_b32_e64 v13, v12, v48, s[12:13]
	v_cndmask_b32_e64 v14, v12, v31, s[14:15]
	v_max3_f32 v11, v11, v13, v14
	v_or_b32_e32 v13, 16, v10
	v_or_b32_e32 v14, 17, v10
	v_cmp_gt_i32_e64 s[16:17], s7, v13
	v_cmp_gt_i32_e64 s[18:19], s7, v14
	v_fmac_f32_e32 v39, v61, v16
	v_cndmask_b32_e64 v13, v12, v44, s[16:17]
	v_cndmask_b32_e64 v14, v12, v45, s[18:19]
	v_max3_f32 v11, v11, v13, v14
	v_or_b32_e32 v13, 18, v10
	v_or_b32_e32 v14, 19, v10
	v_cmp_gt_i32_e64 s[20:21], s7, v13
	v_cmp_gt_i32_e64 s[22:23], s7, v14
	v_cvt_f32_i32_e32 v15, v15
	v_cndmask_b32_e64 v13, v12, v40, s[20:21]
	v_cndmask_b32_e64 v14, v12, v41, s[22:23]
	v_max3_f32 v11, v11, v13, v14
	v_or_b32_e32 v13, 32, v10
	v_or_b32_e32 v14, 33, v10
	v_cmp_gt_i32_e64 s[24:25], s7, v13
	v_cmp_gt_i32_e64 s[26:27], s7, v14
	v_fma_f32 v34, v61, v15, v34
	v_cndmask_b32_e64 v13, v12, v42, s[24:25]
	v_cndmask_b32_e64 v14, v12, v43, s[26:27]
	v_max3_f32 v11, v11, v13, v14
	v_or_b32_e32 v13, 34, v10
	v_or_b32_e32 v14, 35, v10
	v_cmp_gt_i32_e64 s[28:29], s7, v13
	v_cmp_gt_i32_e64 s[30:31], s7, v14
	s_nop 0
	v_cndmask_b32_e64 v13, v12, v38, s[28:29]
	v_cndmask_b32_e64 v14, v12, v39, s[30:31]
	v_max3_f32 v11, v11, v13, v14
	v_or_b32_e32 v13, 48, v10
	v_or_b32_e32 v14, 49, v10
	v_cmp_gt_i32_e64 s[34:35], s7, v13
	v_cmp_gt_i32_e64 s[36:37], s7, v14
	s_nop 0
	v_cndmask_b32_e64 v13, v12, v36, s[34:35]
	v_cndmask_b32_e64 v14, v12, v37, s[36:37]
	v_max3_f32 v11, v11, v13, v14
	v_or_b32_e32 v13, 50, v10
	v_or_b32_e32 v10, 51, v10
	v_cmp_gt_i32_e32 vcc, s7, v13
	v_cmp_gt_i32_e64 s[4:5], s7, v10
	s_nop 0
	v_cndmask_b32_e32 v13, v12, v34, vcc
	v_cndmask_b32_e64 v10, v12, v35, s[4:5]
	v_max3_f32 v14, v11, v13, v10
	v_mbcnt_lo_u32_b32 v10, -1, 0
	v_mbcnt_hi_u32_b32 v15, -1, v10
	v_and_b32_e32 v10, 64, v15
	v_add_u32_e32 v16, 64, v10
	v_xor_b32_e32 v10, 32, v15
	v_cmp_lt_i32_e64 s[38:39], v10, v16
	s_nop 1
	v_cndmask_b32_e64 v10, v15, v10, s[38:39]
	v_lshlrev_b32_e32 v51, 2, v10
	ds_bpermute_b32 v17, v51, v14
	v_lshl_add_u64 v[10:11], s[46:47], 0, v[58:59]
	v_mad_i64_i32 v[12:13], s[38:39], v62, s45, v[10:11]
	s_waitcnt lgkmcnt(0)
	v_max_f32_e32 v17, v17, v17
	v_max_f32_e32 v19, v14, v17
	v_xor_b32_e32 v14, 16, v15
	v_cmp_lt_i32_e64 s[38:39], v14, v16
	s_nop 1
	v_cndmask_b32_e64 v14, v15, v14, s[38:39]
	v_lshlrev_b32_e32 v58, 2, v14
	ds_bpermute_b32 v20, v58, v19
	v_mad_i64_i32 v[14:15], s[38:39], v53, s45, v[10:11]
	v_mad_i64_i32 v[16:17], s[38:39], v64, s45, v[10:11]
	s_waitcnt lgkmcnt(0)
	v_max_f32_e32 v20, v20, v20
	v_max_f32_e32 v50, v19, v20
	v_sub_f32_e32 v18, v18, v50
	v_sub_f32_e32 v19, v33, v50
	v_mul_f32_e32 v18, 0x3fb8aa3b, v18
	v_mul_f32_e32 v19, 0x3fb8aa3b, v19
	v_exp_f32_e32 v18, v18
	v_exp_f32_e32 v19, v19
	v_sub_f32_e32 v49, v31, v50
	v_mad_i64_i32 v[10:11], s[38:39], v63, s45, v[10:11]
	v_cndmask_b32_e64 v46, 0, v18, s[8:9]
	v_cndmask_b32_e64 v47, 0, v19, s[10:11]
	global_load_dwordx4 v[30:33], v[12:13], off
	global_load_dwordx4 v[18:21], v[14:15], off
	v_sub_f32_e32 v12, v48, v50
	v_mul_f32_e32 v12, 0x3fb8aa3b, v12
	v_exp_f32_e32 v48, v12
	global_load_dwordx4 v[14:17], v[16:17], off
	s_nop 0
	global_load_dwordx4 v[10:13], v[10:11], off
	v_sub_f32_e32 v40, v40, v50
	v_sub_f32_e32 v42, v42, v50
	v_mul_f32_e32 v40, 0x3fb8aa3b, v40
	v_mul_f32_e32 v42, 0x3fb8aa3b, v42
	v_exp_f32_e32 v40, v40
	v_exp_f32_e32 v53, v42
	v_mul_f32_e32 v49, 0x3fb8aa3b, v49
	v_sub_f32_e32 v44, v44, v50
	v_exp_f32_e32 v49, v49
	v_mul_f32_e32 v44, 0x3fb8aa3b, v44
	v_sub_f32_e32 v45, v45, v50
	v_sub_f32_e32 v42, v43, v50
	v_exp_f32_e32 v44, v44
	v_mul_f32_e32 v45, 0x3fb8aa3b, v45
	v_mul_f32_e32 v42, 0x3fb8aa3b, v42
	v_exp_f32_e32 v45, v45
	v_sub_f32_e32 v41, v41, v50
	v_exp_f32_e32 v59, v42
	v_cndmask_b32_e64 v42, 0, v40, s[20:21]
	v_cndmask_b32_e64 v40, 0, v53, s[24:25]
	v_add_f32_e32 v53, 0, v46
	v_cndmask_b32_e64 v48, 0, v48, s[12:13]
	v_mul_f32_e32 v41, 0x3fb8aa3b, v41
	v_add_f32_e32 v53, v53, v47
	v_cndmask_b32_e64 v49, 0, v49, s[14:15]
	v_exp_f32_e32 v41, v41
	v_add_f32_e32 v53, v53, v48
	v_cndmask_b32_e64 v44, 0, v44, s[16:17]
	v_sub_f32_e32 v38, v38, v50
	v_add_f32_e32 v53, v53, v49
	v_cndmask_b32_e64 v45, 0, v45, s[18:19]
	v_sub_f32_e32 v39, v39, v50
	v_mul_f32_e32 v38, 0x3fb8aa3b, v38
	v_add_f32_e32 v53, v53, v44
	v_exp_f32_e32 v38, v38
	v_mul_f32_e32 v39, 0x3fb8aa3b, v39
	v_sub_f32_e32 v36, v36, v50
	v_add_f32_e32 v53, v53, v45
	v_cndmask_b32_e64 v43, 0, v41, s[22:23]
	v_exp_f32_e32 v39, v39
	v_mul_f32_e32 v36, 0x3fb8aa3b, v36
	v_sub_f32_e32 v37, v37, v50
	v_add_f32_e32 v53, v53, v42
	v_exp_f32_e32 v36, v36
	v_mul_f32_e32 v37, 0x3fb8aa3b, v37
	v_add_f32_e32 v53, v53, v43
	v_sub_f32_e32 v34, v34, v50
	v_cndmask_b32_e64 v41, 0, v59, s[26:27]
	v_exp_f32_e32 v37, v37
	v_add_f32_e32 v53, v53, v40
	v_mul_f32_e32 v34, 0x3fb8aa3b, v34
	v_sub_f32_e32 v35, v35, v50
	v_cndmask_b32_e64 v38, 0, v38, s[28:29]
	v_add_f32_e32 v53, v53, v41
	v_exp_f32_e32 v34, v34
	v_mul_f32_e32 v35, 0x3fb8aa3b, v35
	v_cndmask_b32_e64 v39, 0, v39, s[30:31]
	v_add_f32_e32 v53, v53, v38
	v_exp_f32_e32 v35, v35
	v_cndmask_b32_e64 v36, 0, v36, s[34:35]
	v_add_f32_e32 v53, v53, v39
	v_cndmask_b32_e64 v37, 0, v37, s[36:37]
	v_add_f32_e32 v53, v53, v36
	v_add_f32_e32 v53, v53, v37
	v_cndmask_b32_e32 v34, 0, v34, vcc
	v_add_f32_e32 v53, v53, v34
	v_cndmask_b32_e64 v35, 0, v35, s[4:5]
	v_add_f32_e32 v53, v53, v35
	ds_bpermute_b32 v51, v51, v53
	v_cmp_gt_u32_e32 vcc, 16, v55
	s_waitcnt lgkmcnt(0)
	s_barrier
	v_add_f32_e32 v51, v53, v51
	ds_bpermute_b32 v53, v58, v51
	s_and_saveexec_b64 s[4:5], vcc
	s_cbranch_execz .LBB1302_15
; %bb.14:
	s_waitcnt lgkmcnt(0)
	v_add_f32_e32 v51, v51, v53
	v_lshlrev_b32_e32 v52, 2, v52
	ds_write2st64_b32 v52, v50, v51 offset1:1
.LBB1302_15:
	s_or_b64 exec, exec, s[4:5]
	v_lshlrev_b32_e32 v51, 2, v56
	s_load_dword s7, s[0:1], 0x94
	s_waitcnt lgkmcnt(0)
	s_barrier
	ds_read2_b32 v[52:53], v51 offset1:16
	ds_read2_b32 v[58:59], v51 offset0:32 offset1:48
	ds_read2_b32 v[62:63], v51 offset0:64 offset1:80
	s_movk_i32 s9, 0x7fff
	s_mul_i32 s8, s44, 15
	s_waitcnt lgkmcnt(2)
	v_max3_f32 v50, v52, s40, v53
	s_waitcnt lgkmcnt(1)
	v_max3_f32 v50, v50, v58, v59
	v_sub_f32_e32 v52, v52, v50
	v_mul_f32_e32 v52, 0x3fb8aa3b, v52
	v_exp_f32_e32 v55, v52
	v_sub_f32_e32 v52, v53, v50
	v_mul_f32_e32 v52, 0x3fb8aa3b, v52
	v_exp_f32_e32 v61, v52
	;; [unrolled: 3-line block ×3, first 2 shown]
	ds_read2_b32 v[52:53], v51 offset0:96 offset1:112
	v_sub_f32_e32 v51, v59, v50
	v_mul_f32_e32 v51, 0x3fb8aa3b, v51
	v_exp_f32_e32 v59, v51
	s_waitcnt lgkmcnt(1)
	v_fma_f32 v51, v55, v62, 0
	v_fmac_f32_e32 v51, v61, v63
	s_waitcnt lgkmcnt(0)
	v_fmac_f32_e32 v51, v58, v52
	v_fmac_f32_e32 v51, v59, v53
	v_add_f32_e32 v52, 0x358637bd, v51
	v_div_scale_f32 v53, s[4:5], v52, v52, 1.0
	v_rcp_f32_e32 v62, v53
	s_barrier
	v_fma_f32 v63, -v53, v62, 1.0
	v_fmac_f32_e32 v62, v63, v62
	v_div_scale_f32 v63, vcc, 1.0, v52, 1.0
	v_mul_f32_e32 v64, v63, v62
	v_fma_f32 v65, -v53, v64, v63
	v_fmac_f32_e32 v64, v65, v62
	v_fma_f32 v53, -v53, v64, v63
	v_div_fmas_f32 v53, v53, v62, v64
	v_cmp_eq_u32_e32 vcc, 1, v57
	v_div_fixup_f32 v52, v53, v52, 1.0
	s_nop 0
	v_cndmask_b32_e32 v53, v55, v61, vcc
	v_cmp_eq_u32_e32 vcc, 2, v57
	s_nop 1
	v_cndmask_b32_e32 v53, v53, v58, vcc
	v_cmp_eq_u32_e32 vcc, 3, v57
	s_nop 1
	v_cndmask_b32_e32 v53, v53, v59, vcc
	v_mul_f32_e32 v52, v53, v52
	v_pk_mul_f32 v[46:47], v[52:53], v[46:47] op_sel_hi:[0,1]
	v_pk_mul_f32 v[48:49], v[52:53], v[48:49] op_sel_hi:[0,1]
	v_bfe_u32 v53, v47, 16, 1
	v_bfe_u32 v55, v46, 16, 1
	v_add3_u32 v46, v46, v55, s9
	v_add3_u32 v47, v47, v53, s9
	v_perm_b32 v58, v47, v46, s33
	v_bfe_u32 v46, v49, 16, 1
	v_bfe_u32 v47, v48, 16, 1
	v_add3_u32 v47, v48, v47, s9
	v_add3_u32 v46, v49, v46, s9
	v_perm_b32 v59, v46, v47, s33
	v_lshlrev_b32_e32 v47, 3, v60
	v_lshlrev_b32_e32 v46, 5, v56
	;; [unrolled: 1-line block ×3, first 2 shown]
	v_pk_mul_f32 v[44:45], v[52:53], v[44:45] op_sel_hi:[0,1]
	v_or3_b32 v55, v48, v46, v47
	v_bfe_u32 v47, v45, 16, 1
	v_bfe_u32 v48, v44, 16, 1
	v_pk_mul_f32 v[42:43], v[52:53], v[42:43] op_sel_hi:[0,1]
	v_add3_u32 v44, v44, v48, s9
	v_add3_u32 v45, v45, v47, s9
	v_perm_b32 v44, v45, v44, s33
	v_bfe_u32 v45, v43, 16, 1
	v_bfe_u32 v47, v42, 16, 1
	v_add3_u32 v42, v42, v47, s9
	v_add3_u32 v43, v43, v45, s9
	v_pk_mul_f32 v[40:41], v[52:53], v[40:41] op_sel_hi:[0,1]
	v_perm_b32 v45, v43, v42, s33
	v_bfe_u32 v42, v41, 16, 1
	v_bfe_u32 v43, v40, 16, 1
	v_pk_mul_f32 v[38:39], v[52:53], v[38:39] op_sel_hi:[0,1]
	v_add3_u32 v40, v40, v43, s9
	v_add3_u32 v41, v41, v42, s9
	v_perm_b32 v40, v41, v40, s33
	v_bfe_u32 v41, v39, 16, 1
	v_bfe_u32 v42, v38, 16, 1
	v_add3_u32 v38, v38, v42, s9
	v_add3_u32 v39, v39, v41, s9
	v_pk_mul_f32 v[36:37], v[52:53], v[36:37] op_sel_hi:[0,1]
	v_perm_b32 v41, v39, v38, s33
	v_bfe_u32 v38, v37, 16, 1
	v_bfe_u32 v39, v36, 16, 1
	v_pk_mul_f32 v[34:35], v[52:53], v[34:35] op_sel_hi:[0,1]
	v_add3_u32 v36, v36, v39, s9
	v_add3_u32 v37, v37, v38, s9
	v_perm_b32 v36, v37, v36, s33
	v_bfe_u32 v37, v35, 16, 1
	v_bfe_u32 v38, v34, 16, 1
	v_add3_u32 v34, v34, v38, s9
	v_add3_u32 v35, v35, v37, s9
	v_perm_b32 v37, v35, v34, s33
	v_cmp_gt_u32_e32 vcc, 15, v0
	ds_write2st64_b64 v55, v[58:59], v[44:45] offset1:1
	ds_write2st64_b64 v55, v[40:41], v[36:37] offset0:2 offset1:3
	s_and_saveexec_b64 s[4:5], vcc
	s_cbranch_execz .LBB1302_17
; %bb.16:
	s_mov_b32 s49, 0
	v_mov_b32_e32 v57, 0
	v_lshl_add_u64 v[34:35], s[48:49], 0, v[56:57]
	v_mov_b32_e32 v36, s8
	v_mad_u64_u32 v[34:35], s[10:11], s2, v36, v[34:35]
	s_mul_i32 s3, s3, s8
	v_mov_b32_e32 v36, s6
	v_mov_b32_e32 v37, v57
	s_load_dwordx4 s[12:15], s[0:1], 0x58
	v_add_u32_e32 v38, s3, v35
	v_mad_u64_u32 v[34:35], s[10:11], v34, s7, v[36:37]
	v_mov_b32_e32 v36, v35
	v_mad_u64_u32 v[36:37], s[10:11], v38, s7, v[36:37]
	v_mov_b32_e32 v35, v36
	v_lshlrev_b64 v[34:35], 2, v[34:35]
	s_waitcnt lgkmcnt(0)
	v_lshl_add_u64 v[36:37], s[14:15], 0, v[34:35]
	v_lshl_add_u64 v[34:35], s[12:13], 0, v[34:35]
	global_store_dword v[36:37], v50, off
	global_store_dword v[34:35], v51, off
.LBB1302_17:
	s_or_b64 exec, exec, s[4:5]
	s_waitcnt vmcnt(7)
	v_cvt_pk_f32_fp8_e32 v[34:35], v6
	v_cvt_pk_f32_fp8_sdwa v[36:37], v6 src0_sel:WORD_1
	v_lshl_or_b32 v50, v60, 9, v46
	s_mov_b32 s5, 0x7060302
	s_waitcnt lgkmcnt(0)
	s_barrier
	v_cvt_pk_f32_fp8_e32 v[38:39], v7
	v_perm_b32 v6, v35, v34, s5
	v_cvt_pk_f32_fp8_sdwa v[40:41], v7 src0_sel:WORD_1
	v_perm_b32 v7, v37, v36, s5
	ds_read_b128 v[34:37], v50
	v_perm_b32 v46, v39, v38, s5
	v_perm_b32 v47, v41, v40, s5
	ds_read_b128 v[38:41], v50 offset:16
	v_cvt_pk_f32_fp8_e32 v[48:49], v8
	v_cvt_pk_f32_fp8_sdwa v[52:53], v8 src0_sel:WORD_1
	s_waitcnt lgkmcnt(1)
	v_mfma_f32_16x16x16_bf16 v[42:45], v[6:7], v[34:35], 0
	s_waitcnt vmcnt(6)
	v_cvt_pk_f32_fp8_e32 v[58:59], v4
	v_perm_b32 v6, v49, v48, s5
	v_perm_b32 v7, v53, v52, s5
	v_cvt_pk_f32_fp8_e32 v[48:49], v9
	v_mfma_f32_16x16x16_bf16 v[42:45], v[46:47], v[36:37], v[42:45]
	v_cvt_pk_f32_fp8_sdwa v[46:47], v9 src0_sel:WORD_1
	v_cvt_pk_f32_fp8_sdwa v[62:63], v4 src0_sel:WORD_1
	v_perm_b32 v48, v49, v48, s5
	s_waitcnt lgkmcnt(0)
	v_mfma_f32_16x16x16_bf16 v[6:9], v[6:7], v[38:39], v[42:45]
	v_perm_b32 v49, v47, v46, s5
	s_waitcnt vmcnt(5)
	v_cvt_pk_f32_fp8_sdwa v[66:67], v28 src0_sel:WORD_1
	s_waitcnt vmcnt(4)
	v_cvt_pk_f32_fp8_sdwa v[68:69], v24 src0_sel:WORD_1
	v_cvt_pk_f32_fp8_e32 v[42:43], v2
	v_mfma_f32_16x16x16_bf16 v[46:49], v[48:49], v[40:41], v[6:9]
	s_load_dword s4, s[42:43], 0x0
	s_waitcnt vmcnt(3)
	v_cvt_pk_f32_fp8_sdwa v[70:71], v32 src0_sel:WORD_1
	v_cvt_pk_f32_fp8_sdwa v[6:7], v2 src0_sel:WORD_1
	v_cvt_pk_f32_fp8_e32 v[8:9], v3
	v_perm_b32 v2, v43, v42, s5
	v_cvt_pk_f32_fp8_sdwa v[42:43], v3 src0_sel:WORD_1
	v_perm_b32 v3, v7, v6, s5
	v_perm_b32 v52, v9, v8, s5
	ds_read_b128 v[6:9], v50 offset:2048
	v_perm_b32 v53, v43, v42, s5
	ds_read_b128 v[42:45], v50 offset:2064
	s_waitcnt lgkmcnt(0)
	v_mfma_f32_16x16x16_bf16 v[46:49], v[2:3], v[6:7], v[46:49]
	v_perm_b32 v2, v59, v58, s5
	v_perm_b32 v3, v63, v62, s5
	v_cvt_pk_f32_fp8_e32 v[58:59], v5
	v_mfma_f32_16x16x16_bf16 v[46:49], v[52:53], v[8:9], v[46:49]
	v_cvt_pk_f32_fp8_sdwa v[52:53], v5 src0_sel:WORD_1
	s_mov_b32 s3, 0
	v_perm_b32 v58, v59, v58, s5
	v_mfma_f32_16x16x16_bf16 v[2:5], v[2:3], v[42:43], v[46:49]
	v_perm_b32 v59, v53, v52, s5
	v_cmp_gt_u32_e32 vcc, 64, v0
	s_nop 0
	v_cvt_pk_f32_fp8_e32 v[46:47], v26
	v_mfma_f32_16x16x16_bf16 v[62:65], v[58:59], v[44:45], v[2:5]
	v_cvt_pk_f32_fp8_e32 v[58:59], v28
	s_nop 1
	v_cvt_pk_f32_fp8_sdwa v[2:3], v26 src0_sel:WORD_1
	v_cvt_pk_f32_fp8_e32 v[4:5], v27
	v_perm_b32 v26, v47, v46, s5
	v_cvt_pk_f32_fp8_sdwa v[46:47], v27 src0_sel:WORD_1
	v_perm_b32 v27, v3, v2, s5
	v_perm_b32 v52, v5, v4, s5
	ds_read_b128 v[2:5], v50 offset:4096
	v_perm_b32 v53, v47, v46, s5
	ds_read_b128 v[46:49], v50 offset:4112
	s_waitcnt lgkmcnt(1)
	v_mfma_f32_16x16x16_bf16 v[62:65], v[26:27], v[2:3], v[62:65]
	v_perm_b32 v26, v59, v58, s5
	v_perm_b32 v27, v67, v66, s5
	v_cvt_pk_f32_fp8_e32 v[58:59], v29
	v_mfma_f32_16x16x16_bf16 v[62:65], v[52:53], v[4:5], v[62:65]
	v_cvt_pk_f32_fp8_sdwa v[52:53], v29 src0_sel:WORD_1
	v_cvt_pk_f32_fp8_e32 v[66:67], v24
	v_perm_b32 v58, v59, v58, s5
	s_waitcnt lgkmcnt(0)
	v_mfma_f32_16x16x16_bf16 v[26:29], v[26:27], v[46:47], v[62:65]
	v_perm_b32 v59, v53, v52, s5
	v_cvt_pk_f32_fp8_e32 v[52:53], v22
	s_nop 0
	v_mfma_f32_16x16x16_bf16 v[62:65], v[58:59], v[48:49], v[26:29]
	s_nop 2
	v_cvt_pk_f32_fp8_sdwa v[26:27], v22 src0_sel:WORD_1
	v_cvt_pk_f32_fp8_e32 v[28:29], v23
	v_perm_b32 v22, v53, v52, s5
	v_cvt_pk_f32_fp8_sdwa v[52:53], v23 src0_sel:WORD_1
	v_perm_b32 v23, v27, v26, s5
	v_perm_b32 v58, v29, v28, s5
	ds_read_b128 v[26:29], v50 offset:6144
	v_perm_b32 v59, v53, v52, s5
	s_waitcnt lgkmcnt(0)
	v_mfma_f32_16x16x16_bf16 v[62:65], v[22:23], v[26:27], v[62:65]
	ds_read_b128 v[50:53], v50 offset:6160
	v_perm_b32 v22, v67, v66, s5
	v_perm_b32 v23, v69, v68, s5
	v_cvt_pk_f32_fp8_e32 v[66:67], v25
	v_mfma_f32_16x16x16_bf16 v[62:65], v[58:59], v[28:29], v[62:65]
	v_cvt_pk_f32_fp8_sdwa v[58:59], v25 src0_sel:WORD_1
	v_cvt_pk_f32_fp8_e32 v[68:69], v32
	v_perm_b32 v66, v67, v66, s5
	s_waitcnt lgkmcnt(0)
	v_mfma_f32_16x16x16_bf16 v[22:25], v[22:23], v[50:51], v[62:65]
	v_perm_b32 v67, v59, v58, s5
	v_cvt_pk_f32_fp8_sdwa v[58:59], v30 src0_sel:WORD_1
	s_nop 0
	v_mfma_f32_16x16x16_bf16 v[62:65], v[66:67], v[52:53], v[22:25]
	s_barrier
	s_nop 1
	v_cvt_pk_f32_fp8_e32 v[24:25], v30
	s_nop 2
	v_pk_mul_f32 v[66:67], v[62:63], s[4:5] op_sel_hi:[1,0]
	v_cvt_pk_f32_fp8_e32 v[62:63], v31
	v_perm_b32 v24, v25, v24, s5
	v_perm_b32 v25, v59, v58, s5
	v_cvt_pk_f32_fp8_sdwa v[30:31], v31 src0_sel:WORD_1
	v_perm_b32 v58, v63, v62, s5
	v_pk_mul_f32 v[22:23], v[64:65], s[4:5] op_sel_hi:[1,0]
	v_mfma_f32_16x16x16_bf16 v[62:65], v[24:25], v[34:35], 0
	v_perm_b32 v59, v31, v30, s5
	v_perm_b32 v24, v69, v68, s5
	;; [unrolled: 1-line block ×3, first 2 shown]
	v_cvt_pk_f32_fp8_e32 v[34:35], v33
	v_cvt_pk_f32_fp8_sdwa v[68:69], v33 src0_sel:WORD_1
	v_mfma_f32_16x16x16_bf16 v[30:33], v[58:59], v[36:37], v[62:65]
	s_waitcnt vmcnt(2)
	v_cvt_pk_f32_fp8_sdwa v[36:37], v18 src0_sel:WORD_1
	v_perm_b32 v34, v35, v34, s5
	v_perm_b32 v35, v69, v68, s5
	v_mfma_f32_16x16x16_bf16 v[30:33], v[24:25], v[38:39], v[30:33]
	v_cvt_pk_f32_fp8_e32 v[24:25], v18
	v_cvt_pk_f32_fp8_sdwa v[38:39], v20 src0_sel:WORD_1
	v_bfe_u32 v57, v67, 16, 1
	v_mfma_f32_16x16x16_bf16 v[30:33], v[34:35], v[40:41], v[30:33]
	v_cvt_pk_f32_fp8_e32 v[34:35], v19
	v_perm_b32 v24, v25, v24, s5
	v_perm_b32 v25, v37, v36, s5
	v_cvt_pk_f32_fp8_sdwa v[18:19], v19 src0_sel:WORD_1
	v_perm_b32 v34, v35, v34, s5
	v_cvt_pk_f32_fp8_e32 v[36:37], v20
	v_mfma_f32_16x16x16_bf16 v[30:33], v[24:25], v[6:7], v[30:33]
	v_perm_b32 v35, v19, v18, s5
	v_perm_b32 v18, v37, v36, s5
	;; [unrolled: 1-line block ×3, first 2 shown]
	v_cvt_pk_f32_fp8_e32 v[24:25], v21
	v_cvt_pk_f32_fp8_sdwa v[20:21], v21 src0_sel:WORD_1
	v_mfma_f32_16x16x16_bf16 v[6:9], v[34:35], v[8:9], v[30:33]
	v_bfe_u32 v58, v66, 16, 1
	v_perm_b32 v24, v25, v24, s5
	v_perm_b32 v25, v21, v20, s5
	v_mfma_f32_16x16x16_bf16 v[6:9], v[18:19], v[42:43], v[6:9]
	s_waitcnt vmcnt(1)
	v_cvt_pk_f32_fp8_e32 v[18:19], v14
	v_cvt_pk_f32_fp8_sdwa v[20:21], v14 src0_sel:WORD_1
	v_cvt_pk_f32_fp8_sdwa v[30:31], v16 src0_sel:WORD_1
	v_mfma_f32_16x16x16_bf16 v[6:9], v[24:25], v[44:45], v[6:9]
	v_cvt_pk_f32_fp8_e32 v[24:25], v15
	v_perm_b32 v18, v19, v18, s5
	v_perm_b32 v19, v21, v20, s5
	v_cvt_pk_f32_fp8_sdwa v[14:15], v15 src0_sel:WORD_1
	v_perm_b32 v20, v25, v24, s5
	v_cvt_pk_f32_fp8_e32 v[24:25], v16
	v_mfma_f32_16x16x16_bf16 v[6:9], v[18:19], v[2:3], v[6:9]
	v_perm_b32 v21, v15, v14, s5
	v_perm_b32 v14, v25, v24, s5
	;; [unrolled: 1-line block ×3, first 2 shown]
	v_cvt_pk_f32_fp8_e32 v[18:19], v17
	v_cvt_pk_f32_fp8_sdwa v[16:17], v17 src0_sel:WORD_1
	v_mfma_f32_16x16x16_bf16 v[2:5], v[20:21], v[4:5], v[6:9]
	v_add3_u32 v32, v66, v58, s9
	v_add3_u32 v33, v67, v57, s9
	s_nop 0
	v_perm_b32 v8, v19, v18, s5
	v_perm_b32 v9, v17, v16, s5
	v_mfma_f32_16x16x16_bf16 v[2:5], v[14:15], v[46:47], v[2:5]
	s_waitcnt vmcnt(0)
	v_cvt_pk_f32_fp8_e32 v[14:15], v10
	v_cvt_pk_f32_fp8_sdwa v[16:17], v10 src0_sel:WORD_1
	v_cvt_pk_f32_fp8_sdwa v[18:19], v12 src0_sel:WORD_1
	v_mfma_f32_16x16x16_bf16 v[2:5], v[8:9], v[48:49], v[2:5]
	v_cvt_pk_f32_fp8_e32 v[8:9], v11
	v_perm_b32 v14, v15, v14, s5
	v_perm_b32 v15, v17, v16, s5
	v_cvt_pk_f32_fp8_sdwa v[10:11], v11 src0_sel:WORD_1
	v_perm_b32 v8, v9, v8, s5
	v_cvt_pk_f32_fp8_e32 v[16:17], v12
	v_mfma_f32_16x16x16_bf16 v[2:5], v[14:15], v[26:27], v[2:5]
	v_perm_b32 v9, v11, v10, s5
	v_perm_b32 v10, v17, v16, s5
	v_perm_b32 v11, v19, v18, s5
	v_cvt_pk_f32_fp8_e32 v[14:15], v13
	v_cvt_pk_f32_fp8_sdwa v[12:13], v13 src0_sel:WORD_1
	v_mfma_f32_16x16x16_bf16 v[2:5], v[8:9], v[28:29], v[2:5]
	v_bfe_u32 v7, v23, 16, 1
	v_perm_b32 v8, v15, v14, s5
	v_perm_b32 v9, v13, v12, s5
	v_mfma_f32_16x16x16_bf16 v[2:5], v[10:11], v[50:51], v[2:5]
	v_bfe_u32 v16, v22, 16, 1
	v_add3_u32 v10, v22, v16, s9
	v_add3_u32 v7, v23, v7, s9
	v_mfma_f32_16x16x16_bf16 v[2:5], v[8:9], v[52:53], v[2:5]
	v_perm_b32 v6, v33, v32, s5
	v_perm_b32 v7, v7, v10, s5
	s_nop 4
	v_pk_mul_f32 v[2:3], v[2:3], s[4:5] op_sel_hi:[1,0]
	v_pk_mul_f32 v[4:5], v[4:5], s[4:5] op_sel_hi:[1,0]
	v_bfe_u32 v8, v3, 16, 1
	v_bfe_u32 v9, v2, 16, 1
	v_add3_u32 v2, v2, v9, s9
	v_add3_u32 v3, v3, v8, s9
	v_perm_b32 v2, v3, v2, s5
	v_bfe_u32 v3, v5, 16, 1
	v_bfe_u32 v8, v4, 16, 1
	v_add3_u32 v4, v4, v8, s9
	v_add3_u32 v3, v5, v3, s9
	v_perm_b32 v3, v3, v4, s5
	ds_write2st64_b64 v55, v[6:7], v[2:3] offset1:1
	s_waitcnt lgkmcnt(0)
	s_barrier
	s_and_saveexec_b64 s[4:5], vcc
	s_cbranch_execz .LBB1302_20
; %bb.18:
	s_load_dwordx2 s[4:5], s[0:1], 0x68
	s_lshl_b32 s0, s7, 7
	s_mul_i32 s1, s8, s2
	v_lshlrev_b32_e32 v3, 6, v56
	s_mul_hi_u32 s9, s1, s0
	s_mul_i32 s8, s1, s0
	v_lshl_or_b32 v0, v0, 10, v3
	s_lshl_b64 s[8:9], s[8:9], 1
	v_lshlrev_b32_e32 v2, 5, v60
	v_and_b32_e32 v1, 16, v1
	v_and_b32_e32 v0, 0x1a00, v0
	s_waitcnt lgkmcnt(0)
	s_add_u32 s1, s4, s8
	v_or3_b32 v2, v0, v2, v1
	s_addc_u32 s4, s5, s9
	s_lshl_b32 s2, s6, 7
	ds_read_b128 v[4:7], v2 offset:256
	s_lshl_b64 s[2:3], s[2:3], 1
	ds_read_b128 v[8:11], v2 offset:128
	ds_read_b128 v[12:15], v2
	s_add_u32 s2, s1, s2
	s_addc_u32 s3, s4, s3
	v_mov_b32_e32 v55, 0
	v_add_u32_e32 v3, s48, v60
	v_lshl_add_u64 v[0:1], s[2:3], 0, v[54:55]
	v_mad_u64_u32 v[16:17], s[2:3], v3, s0, 0
	v_lshl_add_u64 v[16:17], v[16:17], 1, v[0:1]
	s_waitcnt lgkmcnt(0)
	global_store_dwordx4 v[16:17], v[12:15], off
	v_cmp_ne_u32_e32 vcc, 3, v60
	s_nop 0
	v_add_u32_e32 v12, 4, v3
	v_mad_u64_u32 v[12:13], s[2:3], v12, s0, 0
	v_lshl_add_u64 v[12:13], v[12:13], 1, v[0:1]
	v_add_u32_e32 v3, 8, v3
	global_store_dwordx4 v[12:13], v[8:11], off
	s_nop 1
	v_mad_u64_u32 v[8:9], s[2:3], v3, s0, 0
	v_lshl_add_u64 v[8:9], v[8:9], 1, v[0:1]
	global_store_dwordx4 v[8:9], v[4:7], off
	s_and_b64 exec, exec, vcc
	s_cbranch_execz .LBB1302_20
; %bb.19:
	ds_read_b128 v[2:5], v2 offset:384
	v_add3_u32 v6, s48, v60, 12
	v_mad_u64_u32 v[6:7], s[0:1], v6, s0, 0
	v_lshl_add_u64 v[0:1], v[6:7], 1, v[0:1]
	s_waitcnt lgkmcnt(0)
	global_store_dwordx4 v[0:1], v[2:5], off
.LBB1302_20:
	s_endpgm
	.section	.rodata,"a",@progbits
	.p2align	6, 0x0
	.amdhsa_kernel _Z39paged_attention_ll4mi_QKV_mfma16_kernelI14__hip_bfloat16hLN4vllm18Fp8KVCacheDataTypeE1ES0_Li16ELi128ELi256ELb1ELi15EEvPKT_PKT0_S8_ifPKiSA_SA_iPKfiiiPfSD_PS3_PT2_iSC_SC_
		.amdhsa_group_segment_fixed_size 8192
		.amdhsa_private_segment_fixed_size 0
		.amdhsa_kernarg_size 400
		.amdhsa_user_sgpr_count 2
		.amdhsa_user_sgpr_dispatch_ptr 0
		.amdhsa_user_sgpr_queue_ptr 0
		.amdhsa_user_sgpr_kernarg_segment_ptr 1
		.amdhsa_user_sgpr_dispatch_id 0
		.amdhsa_user_sgpr_kernarg_preload_length 0
		.amdhsa_user_sgpr_kernarg_preload_offset 0
		.amdhsa_user_sgpr_private_segment_size 0
		.amdhsa_uses_dynamic_stack 0
		.amdhsa_enable_private_segment 0
		.amdhsa_system_sgpr_workgroup_id_x 1
		.amdhsa_system_sgpr_workgroup_id_y 1
		.amdhsa_system_sgpr_workgroup_id_z 1
		.amdhsa_system_sgpr_workgroup_info 0
		.amdhsa_system_vgpr_workitem_id 0
		.amdhsa_next_free_vgpr 76
		.amdhsa_next_free_sgpr 50
		.amdhsa_accum_offset 76
		.amdhsa_reserve_vcc 1
		.amdhsa_float_round_mode_32 0
		.amdhsa_float_round_mode_16_64 0
		.amdhsa_float_denorm_mode_32 3
		.amdhsa_float_denorm_mode_16_64 3
		.amdhsa_dx10_clamp 1
		.amdhsa_ieee_mode 1
		.amdhsa_fp16_overflow 0
		.amdhsa_tg_split 0
		.amdhsa_exception_fp_ieee_invalid_op 0
		.amdhsa_exception_fp_denorm_src 0
		.amdhsa_exception_fp_ieee_div_zero 0
		.amdhsa_exception_fp_ieee_overflow 0
		.amdhsa_exception_fp_ieee_underflow 0
		.amdhsa_exception_fp_ieee_inexact 0
		.amdhsa_exception_int_div_zero 0
	.end_amdhsa_kernel
	.section	.text._Z39paged_attention_ll4mi_QKV_mfma16_kernelI14__hip_bfloat16hLN4vllm18Fp8KVCacheDataTypeE1ES0_Li16ELi128ELi256ELb1ELi15EEvPKT_PKT0_S8_ifPKiSA_SA_iPKfiiiPfSD_PS3_PT2_iSC_SC_,"axG",@progbits,_Z39paged_attention_ll4mi_QKV_mfma16_kernelI14__hip_bfloat16hLN4vllm18Fp8KVCacheDataTypeE1ES0_Li16ELi128ELi256ELb1ELi15EEvPKT_PKT0_S8_ifPKiSA_SA_iPKfiiiPfSD_PS3_PT2_iSC_SC_,comdat
.Lfunc_end1302:
	.size	_Z39paged_attention_ll4mi_QKV_mfma16_kernelI14__hip_bfloat16hLN4vllm18Fp8KVCacheDataTypeE1ES0_Li16ELi128ELi256ELb1ELi15EEvPKT_PKT0_S8_ifPKiSA_SA_iPKfiiiPfSD_PS3_PT2_iSC_SC_, .Lfunc_end1302-_Z39paged_attention_ll4mi_QKV_mfma16_kernelI14__hip_bfloat16hLN4vllm18Fp8KVCacheDataTypeE1ES0_Li16ELi128ELi256ELb1ELi15EEvPKT_PKT0_S8_ifPKiSA_SA_iPKfiiiPfSD_PS3_PT2_iSC_SC_
                                        ; -- End function
	.section	.AMDGPU.csdata,"",@progbits
; Kernel info:
; codeLenInByte = 6656
; NumSgprs: 56
; NumVgprs: 76
; NumAgprs: 0
; TotalNumVgprs: 76
; ScratchSize: 0
; MemoryBound: 0
; FloatMode: 240
; IeeeMode: 1
; LDSByteSize: 8192 bytes/workgroup (compile time only)
; SGPRBlocks: 6
; VGPRBlocks: 9
; NumSGPRsForWavesPerEU: 56
; NumVGPRsForWavesPerEU: 76
; AccumOffset: 76
; Occupancy: 6
; WaveLimiterHint : 1
; COMPUTE_PGM_RSRC2:SCRATCH_EN: 0
; COMPUTE_PGM_RSRC2:USER_SGPR: 2
; COMPUTE_PGM_RSRC2:TRAP_HANDLER: 0
; COMPUTE_PGM_RSRC2:TGID_X_EN: 1
; COMPUTE_PGM_RSRC2:TGID_Y_EN: 1
; COMPUTE_PGM_RSRC2:TGID_Z_EN: 1
; COMPUTE_PGM_RSRC2:TIDIG_COMP_CNT: 0
; COMPUTE_PGM_RSRC3_GFX90A:ACCUM_OFFSET: 18
; COMPUTE_PGM_RSRC3_GFX90A:TG_SPLIT: 0
	.section	.text._Z39paged_attention_ll4mi_QKV_mfma16_kernelI14__hip_bfloat16hLN4vllm18Fp8KVCacheDataTypeE1ES0_Li16ELi128ELi256ELb1ELi16EEvPKT_PKT0_S8_ifPKiSA_SA_iPKfiiiPfSD_PS3_PT2_iSC_SC_,"axG",@progbits,_Z39paged_attention_ll4mi_QKV_mfma16_kernelI14__hip_bfloat16hLN4vllm18Fp8KVCacheDataTypeE1ES0_Li16ELi128ELi256ELb1ELi16EEvPKT_PKT0_S8_ifPKiSA_SA_iPKfiiiPfSD_PS3_PT2_iSC_SC_,comdat
	.protected	_Z39paged_attention_ll4mi_QKV_mfma16_kernelI14__hip_bfloat16hLN4vllm18Fp8KVCacheDataTypeE1ES0_Li16ELi128ELi256ELb1ELi16EEvPKT_PKT0_S8_ifPKiSA_SA_iPKfiiiPfSD_PS3_PT2_iSC_SC_ ; -- Begin function _Z39paged_attention_ll4mi_QKV_mfma16_kernelI14__hip_bfloat16hLN4vllm18Fp8KVCacheDataTypeE1ES0_Li16ELi128ELi256ELb1ELi16EEvPKT_PKT0_S8_ifPKiSA_SA_iPKfiiiPfSD_PS3_PT2_iSC_SC_
	.globl	_Z39paged_attention_ll4mi_QKV_mfma16_kernelI14__hip_bfloat16hLN4vllm18Fp8KVCacheDataTypeE1ES0_Li16ELi128ELi256ELb1ELi16EEvPKT_PKT0_S8_ifPKiSA_SA_iPKfiiiPfSD_PS3_PT2_iSC_SC_
	.p2align	8
	.type	_Z39paged_attention_ll4mi_QKV_mfma16_kernelI14__hip_bfloat16hLN4vllm18Fp8KVCacheDataTypeE1ES0_Li16ELi128ELi256ELb1ELi16EEvPKT_PKT0_S8_ifPKiSA_SA_iPKfiiiPfSD_PS3_PT2_iSC_SC_,@function
_Z39paged_attention_ll4mi_QKV_mfma16_kernelI14__hip_bfloat16hLN4vllm18Fp8KVCacheDataTypeE1ES0_Li16ELi128ELi256ELb1ELi16EEvPKT_PKT0_S8_ifPKiSA_SA_iPKfiiiPfSD_PS3_PT2_iSC_SC_: ; @_Z39paged_attention_ll4mi_QKV_mfma16_kernelI14__hip_bfloat16hLN4vllm18Fp8KVCacheDataTypeE1ES0_Li16ELi128ELi256ELb1ELi16EEvPKT_PKT0_S8_ifPKiSA_SA_iPKfiiiPfSD_PS3_PT2_iSC_SC_
; %bb.0:
	s_load_dwordx2 s[14:15], s[0:1], 0x30
	s_mov_b32 s30, s3
	s_mov_b64 s[6:7], 0
	s_waitcnt lgkmcnt(0)
	s_cmp_lg_u64 s[14:15], 0
	s_cselect_b64 s[16:17], -1, 0
	s_and_b64 vcc, exec, s[16:17]
	s_cbranch_vccz .LBB1303_7
; %bb.1:
	s_add_i32 s8, s2, 1
	s_mov_b32 s9, 0
	s_lshl_b64 s[10:11], s[8:9], 2
	s_add_u32 s10, s14, s10
	s_mov_b32 s3, s9
	s_addc_u32 s11, s15, s11
	s_lshl_b64 s[8:9], s[2:3], 2
	s_add_u32 s8, s14, s8
	s_addc_u32 s9, s15, s9
	s_load_dword s5, s[10:11], 0x0
	s_load_dword s12, s[8:9], 0x0
	s_waitcnt lgkmcnt(0)
	s_sub_i32 s5, s5, s12
	s_cmp_eq_u32 s5, 1
	s_cselect_b64 s[8:9], -1, 0
	s_andn2_b64 vcc, exec, s[6:7]
	s_cbranch_vccnz .LBB1303_3
.LBB1303_2:
	s_mov_b32 s3, 0
	s_mov_b64 s[8:9], -1
.LBB1303_3:
	s_andn2_b64 vcc, exec, s[8:9]
	s_cbranch_vccnz .LBB1303_17
; %bb.4:
	s_load_dwordx2 s[6:7], s[0:1], 0x28
	s_lshl_b64 s[18:19], s[2:3], 2
	s_waitcnt lgkmcnt(0)
	s_add_u32 s6, s6, s18
	s_addc_u32 s7, s7, s19
	s_load_dword s5, s[6:7], 0x0
	s_lshl_b32 s20, s30, 8
	s_waitcnt lgkmcnt(0)
	s_cmp_ge_i32 s20, s5
	s_cbranch_scc1 .LBB1303_17
; %bb.5:
	s_load_dwordx2 s[6:7], s[0:1], 0x20
	s_load_dword s8, s[0:1], 0x38
	s_add_i32 s9, s5, 15
	s_ashr_i32 s10, s9, 31
	v_and_b32_e32 v1, 0xcf, v0
	s_lshr_b32 s10, s10, 28
	v_add_u32_e32 v1, s20, v1
	s_add_i32 s9, s9, s10
	v_ashrrev_i32_e32 v2, 31, v1
	s_ashr_i32 s21, s9, 4
	v_lshrrev_b32_e32 v10, 28, v2
	s_add_i32 s21, s21, -1
	s_waitcnt lgkmcnt(0)
	s_mul_i32 s8, s2, s8
	s_mov_b32 s9, 0
	v_add_u32_e32 v2, v1, v10
	s_lshl_b64 s[8:9], s[8:9], 2
	v_ashrrev_i32_e32 v2, 4, v2
	v_mov_b32_e32 v11, s21
	v_cmp_gt_i32_e32 vcc, s5, v1
	s_add_u32 s6, s6, s8
	s_addc_u32 s7, s7, s9
	v_cndmask_b32_e32 v2, v11, v2, vcc
	v_ashrrev_i32_e32 v3, 31, v2
	v_lshl_add_u64 v[4:5], v[2:3], 2, s[6:7]
	v_or_b32_e32 v2, 16, v1
	v_add_u32_e32 v3, v2, v10
	v_ashrrev_i32_e32 v3, 4, v3
	v_cmp_gt_i32_e32 vcc, s5, v2
	s_nop 1
	v_cndmask_b32_e32 v2, v11, v3, vcc
	v_ashrrev_i32_e32 v3, 31, v2
	v_lshl_add_u64 v[6:7], v[2:3], 2, s[6:7]
	v_or_b32_e32 v2, 32, v1
	v_add_u32_e32 v3, v2, v10
	v_ashrrev_i32_e32 v3, 4, v3
	v_cmp_gt_i32_e32 vcc, s5, v2
	v_or_b32_e32 v1, 48, v1
	s_nop 0
	v_cndmask_b32_e32 v2, v11, v3, vcc
	v_ashrrev_i32_e32 v3, 31, v2
	v_lshl_add_u64 v[8:9], v[2:3], 2, s[6:7]
	v_add_u32_e32 v2, v1, v10
	v_ashrrev_i32_e32 v2, 4, v2
	v_cmp_gt_i32_e32 vcc, s5, v1
	s_nop 1
	v_cndmask_b32_e32 v2, v11, v2, vcc
	v_ashrrev_i32_e32 v3, 31, v2
	v_lshl_add_u64 v[10:11], v[2:3], 2, s[6:7]
	global_load_dword v3, v[4:5], off
	global_load_dword v2, v[6:7], off
	;; [unrolled: 1-line block ×4, first 2 shown]
	s_load_dwordx2 s[12:13], s[0:1], 0x40
	s_load_dwordx4 s[8:11], s[0:1], 0x8
	s_andn2_b64 vcc, exec, s[16:17]
	s_cbranch_vccnz .LBB1303_8
; %bb.6:
	s_add_u32 s14, s14, s18
	s_addc_u32 s15, s15, s19
	s_load_dword s16, s[14:15], 0x0
	s_branch .LBB1303_9
.LBB1303_7:
	s_mov_b64 s[8:9], 0
	s_branch .LBB1303_2
.LBB1303_8:
	s_mov_b32 s16, s2
.LBB1303_9:
	s_load_dwordx4 s[44:47], s[0:1], 0x48
	v_and_b32_e32 v56, 15, v0
	v_lshlrev_b32_e32 v4, 3, v56
	s_movk_i32 s14, 0x100
	v_lshrrev_b32_e32 v58, 6, v0
	v_and_b32_e32 v59, 63, v0
	v_bfe_u32 v1, v0, 4, 2
	s_lshl_b32 s31, s4, 4
	v_cmp_gt_u32_e32 vcc, s14, v0
	v_lshlrev_b32_e32 v54, 1, v4
	v_lshlrev_b32_e32 v57, 4, v0
	s_and_saveexec_b64 s[14:15], vcc
	s_cbranch_execz .LBB1303_11
; %bb.10:
	s_load_dwordx2 s[18:19], s[0:1], 0x0
	s_waitcnt lgkmcnt(0)
	s_ashr_i32 s17, s44, 31
	s_mul_hi_u32 s22, s16, s44
	s_mul_i32 s17, s16, s17
	s_add_i32 s17, s22, s17
	s_mul_i32 s16, s16, s44
	v_lshl_or_b32 v8, v58, 2, v1
	s_lshl_b64 s[16:17], s[16:17], 1
	s_add_u32 s16, s18, s16
	v_add_lshl_u32 v4, v8, s31, 7
	s_addc_u32 s17, s19, s17
	v_ashrrev_i32_e32 v5, 31, v4
	v_lshl_add_u64 v[4:5], v[4:5], 1, s[16:17]
	v_mov_b32_e32 v55, 0
	v_lshl_add_u64 v[4:5], v[4:5], 0, v[54:55]
	global_load_dwordx4 v[4:7], v[4:5], off
	v_lshlrev_b32_e32 v10, 8, v0
	v_lshlrev_b32_e32 v9, 8, v56
	v_and_b32_e32 v10, 0x600, v10
	s_movk_i32 s16, 0x800
	v_and_or_b32 v9, v9, s16, v10
	v_lshlrev_b32_e32 v8, 5, v8
	v_and_b32_e32 v10, 16, v57
	v_or3_b32 v8, v9, v8, v10
	s_waitcnt vmcnt(0)
	ds_write_b128 v8, v[4:7]
.LBB1303_11:
	s_or_b64 exec, exec, s[14:15]
	s_waitcnt lgkmcnt(0)
	s_mul_i32 s14, s4, s46
	s_add_u32 s8, s8, s14
	s_addc_u32 s9, s9, 0
	v_and_b32_e32 v52, 0xf0, v57
	v_mov_b32_e32 v53, 0
	v_and_b32_e32 v6, 48, v0
	v_lshl_add_u64 v[30:31], s[8:9], 0, v[52:53]
	v_lshlrev_b32_e32 v52, 4, v6
	s_waitcnt vmcnt(3)
	v_mad_i64_i32 v[4:5], s[8:9], v3, s45, v[30:31]
	v_lshl_add_u64 v[4:5], v[4:5], 0, v[52:53]
	s_load_dword s33, s[0:1], 0x98
	s_load_dwordx4 s[40:43], s[0:1], 0x80
	s_waitcnt lgkmcnt(0)
	s_barrier
	global_load_dwordx4 v[26:29], v[4:5], off
	global_load_dwordx4 v[22:25], v[4:5], off offset:1024
	s_waitcnt vmcnt(4)
	v_mad_i64_i32 v[2:3], s[8:9], v2, s45, v[30:31]
	v_lshl_add_u64 v[32:33], v[2:3], 0, v[52:53]
	global_load_dwordx4 v[18:21], v[32:33], off
	v_or_b32_e32 v50, s31, v56
	v_lshlrev_b32_e32 v60, 5, v56
	v_ashrrev_i32_e32 v51, 31, v50
	v_or_b32_e32 v37, s20, v6
	v_mov_b32_e32 v36, s21
	v_lshl_or_b32 v55, v1, 9, v60
	v_lshl_add_u64 v[38:39], v[50:51], 2, s[12:13]
	v_ashrrev_i32_e32 v40, 4, v37
	v_cmp_gt_i32_e32 vcc, s5, v37
	ds_read_b128 v[14:17], v55
	ds_read_b128 v[10:13], v55 offset:16
	ds_read_b128 v[6:9], v55 offset:2048
	;; [unrolled: 1-line block ×3, first 2 shown]
	global_load_dword v63, v[38:39], off
	v_cndmask_b32_e32 v42, v36, v40, vcc
	global_load_dwordx4 v[38:41], v[32:33], off offset:1024
	v_or_b32_e32 v46, 64, v37
	v_or_b32_e32 v47, 0x80, v37
	v_ashrrev_i32_e32 v49, 4, v46
	v_cmp_gt_i32_e32 vcc, s5, v46
	v_or_b32_e32 v48, 0xc0, v37
	v_ashrrev_i32_e32 v51, 4, v47
	s_waitcnt vmcnt(6)
	v_mad_i64_i32 v[44:45], s[8:9], v34, s45, v[30:31]
	s_waitcnt vmcnt(5)
	v_mad_i64_i32 v[30:31], s[8:9], v35, s45, v[30:31]
	v_cndmask_b32_e32 v32, v36, v49, vcc
	v_cmp_gt_i32_e32 vcc, s5, v47
	v_ashrrev_i32_e32 v37, 4, v48
	v_ashrrev_i32_e32 v43, 31, v42
	v_cndmask_b32_e32 v64, v36, v51, vcc
	v_cmp_gt_i32_e32 vcc, s5, v48
	v_lshl_add_u64 v[34:35], v[44:45], 0, v[52:53]
	v_ashrrev_i32_e32 v33, 31, v32
	v_lshl_add_u64 v[30:31], v[30:31], 0, v[52:53]
	v_cndmask_b32_e32 v70, v36, v37, vcc
	v_lshl_add_u64 v[72:73], v[42:43], 2, s[6:7]
	v_lshl_add_u64 v[74:75], v[32:33], 2, s[6:7]
	global_load_dwordx4 v[46:49], v[34:35], off
	global_load_dwordx4 v[42:45], v[34:35], off offset:1024
	s_nop 0
	global_load_dwordx4 v[34:37], v[30:31], off
	s_nop 0
	global_load_dwordx4 v[30:33], v[30:31], off offset:1024
	v_ashrrev_i32_e32 v65, 31, v64
	v_lshl_add_u64 v[76:77], v[64:65], 2, s[6:7]
	s_mov_b32 s44, 0x7060302
	v_ashrrev_i32_e32 v71, 31, v70
	s_add_u32 s46, s10, s14
	v_lshl_or_b32 v51, v58, 4, v56
	s_addc_u32 s47, s11, 0
	v_lshlrev_b32_e32 v52, 4, v51
	s_load_dword s4, s[0:1], 0x1c
	s_waitcnt vmcnt(8)
	v_cvt_pk_f32_fp8_e32 v[64:65], v26
	v_cvt_pk_f32_fp8_sdwa v[66:67], v26 src0_sel:WORD_1
	v_cvt_pk_f32_fp8_e32 v[68:69], v27
	v_cvt_pk_f32_fp8_sdwa v[78:79], v27 src0_sel:WORD_1
	v_perm_b32 v64, v65, v64, s44
	v_perm_b32 v65, v67, v66, s44
	v_cvt_pk_f32_fp8_e32 v[80:81], v28
	v_cvt_pk_f32_fp8_sdwa v[82:83], v28 src0_sel:WORD_1
	v_cvt_pk_f32_fp8_e32 v[84:85], v29
	v_cvt_pk_f32_fp8_sdwa v[86:87], v29 src0_sel:WORD_1
	s_waitcnt vmcnt(6)
	v_cvt_pk_f32_fp8_e32 v[26:27], v18
	v_cvt_pk_f32_fp8_sdwa v[28:29], v18 src0_sel:WORD_1
	v_cvt_pk_f32_fp8_e32 v[88:89], v22
	v_cvt_pk_f32_fp8_sdwa v[90:91], v22 src0_sel:WORD_1
	v_perm_b32 v66, v27, v26, s44
	v_perm_b32 v67, v29, v28, s44
	s_waitcnt lgkmcnt(0)
	v_mfma_f32_16x16x16_bf16 v[26:29], v[64:65], v[14:15], 0
	v_perm_b32 v64, v69, v68, s44
	v_perm_b32 v65, v79, v78, s44
	;; [unrolled: 1-line block ×4, first 2 shown]
	v_mfma_f32_16x16x16_bf16 v[26:29], v[64:65], v[16:17], v[26:29]
	global_load_dword v64, v[72:73], off
	v_perm_b32 v82, v85, v84, s44
	v_perm_b32 v83, v87, v86, s44
	v_mfma_f32_16x16x16_bf16 v[26:29], v[78:79], v[10:11], v[26:29]
	v_cvt_pk_f32_fp8_e32 v[92:93], v23
	v_cvt_pk_f32_fp8_sdwa v[22:23], v23 src0_sel:WORD_1
	v_perm_b32 v84, v89, v88, s44
	v_perm_b32 v85, v91, v90, s44
	v_mfma_f32_16x16x16_bf16 v[26:29], v[82:83], v[12:13], v[26:29]
	v_cvt_pk_f32_fp8_e32 v[80:81], v24
	v_cvt_pk_f32_fp8_sdwa v[72:73], v24 src0_sel:WORD_1
	v_perm_b32 v86, v93, v92, s44
	v_perm_b32 v87, v23, v22, s44
	v_cvt_pk_f32_fp8_e32 v[78:79], v25
	v_cvt_pk_f32_fp8_sdwa v[82:83], v25 src0_sel:WORD_1
	v_mfma_f32_16x16x16_bf16 v[22:25], v[84:85], v[6:7], v[26:29]
	s_nop 2
	v_cvt_pk_f32_fp8_e32 v[26:27], v19
	v_perm_b32 v28, v81, v80, s44
	v_perm_b32 v29, v73, v72, s44
	v_cvt_pk_f32_fp8_sdwa v[18:19], v19 src0_sel:WORD_1
	v_mfma_f32_16x16x16_bf16 v[22:25], v[86:87], v[8:9], v[22:25]
	v_perm_b32 v26, v27, v26, s44
	v_perm_b32 v72, v79, v78, s44
	;; [unrolled: 1-line block ×3, first 2 shown]
	v_mfma_f32_16x16x16_bf16 v[66:69], v[66:67], v[14:15], 0
	v_cvt_pk_f32_fp8_e32 v[18:19], v20
	v_perm_b32 v73, v83, v82, s44
	v_perm_b32 v18, v19, v18, s44
	v_mfma_f32_16x16x16_bf16 v[22:25], v[28:29], v[2:3], v[22:25]
	v_lshl_add_u64 v[28:29], v[70:71], 2, s[6:7]
	v_cvt_pk_f32_fp8_sdwa v[70:71], v20 src0_sel:WORD_1
	global_load_dword v65, v[74:75], off
	global_load_dword v61, v[76:77], off
	;; [unrolled: 1-line block ×3, first 2 shown]
	v_mfma_f32_16x16x16_bf16 v[26:29], v[26:27], v[16:17], v[66:69]
	v_perm_b32 v19, v71, v70, s44
	s_waitcnt vmcnt(8)
	v_cvt_pk_f32_fp8_sdwa v[70:71], v38 src0_sel:WORD_1
	v_cvt_pk_f32_fp8_e32 v[66:67], v21
	v_cvt_pk_f32_fp8_sdwa v[20:21], v21 src0_sel:WORD_1
	v_cvt_pk_f32_fp8_e32 v[68:69], v38
	v_mfma_f32_16x16x16_bf16 v[22:25], v[72:73], v[4:5], v[22:25]
	v_perm_b32 v66, v67, v66, s44
	v_perm_b32 v67, v21, v20, s44
	v_mfma_f32_16x16x16_bf16 v[18:21], v[18:19], v[10:11], v[26:29]
	s_nop 2
	v_perm_b32 v26, v69, v68, s44
	v_perm_b32 v27, v71, v70, s44
	v_cvt_pk_f32_fp8_e32 v[28:29], v39
	v_cvt_pk_f32_fp8_sdwa v[38:39], v39 src0_sel:WORD_1
	v_mfma_f32_16x16x16_bf16 v[18:21], v[66:67], v[12:13], v[18:21]
	s_waitcnt vmcnt(7)
	v_cvt_pk_f32_fp8_sdwa v[66:67], v46 src0_sel:WORD_1
	v_perm_b32 v28, v29, v28, s44
	v_perm_b32 v29, v39, v38, s44
	v_mfma_f32_16x16x16_bf16 v[18:21], v[26:27], v[6:7], v[18:21]
	v_cvt_pk_f32_fp8_e32 v[26:27], v40
	v_cvt_pk_f32_fp8_sdwa v[38:39], v40 src0_sel:WORD_1
	v_cvt_pk_f32_fp8_sdwa v[68:69], v48 src0_sel:WORD_1
	v_mfma_f32_16x16x16_bf16 v[18:21], v[28:29], v[8:9], v[18:21]
	v_perm_b32 v26, v27, v26, s44
	v_perm_b32 v27, v39, v38, s44
	v_cvt_pk_f32_fp8_e32 v[28:29], v41
	v_cvt_pk_f32_fp8_sdwa v[38:39], v41 src0_sel:WORD_1
	v_cvt_pk_f32_fp8_e32 v[40:41], v46
	v_mfma_f32_16x16x16_bf16 v[18:21], v[26:27], v[2:3], v[18:21]
	v_perm_b32 v28, v29, v28, s44
	v_perm_b32 v29, v39, v38, s44
	;; [unrolled: 1-line block ×4, first 2 shown]
	v_cvt_pk_f32_fp8_e32 v[38:39], v47
	v_cvt_pk_f32_fp8_sdwa v[40:41], v47 src0_sel:WORD_1
	v_mfma_f32_16x16x16_bf16 v[18:21], v[28:29], v[4:5], v[18:21]
	v_cvt_pk_f32_fp8_e32 v[66:67], v48
	v_perm_b32 v38, v39, v38, s44
	v_perm_b32 v39, v41, v40, s44
	v_mfma_f32_16x16x16_bf16 v[26:29], v[26:27], v[14:15], 0
	v_lshl_add_u64 v[46:47], s[46:47], 0, v[52:53]
	v_or_b32_e32 v52, 0x400, v52
	v_mfma_f32_16x16x16_bf16 v[38:41], v[38:39], v[16:17], v[26:29]
	s_nop 3
	v_perm_b32 v28, v67, v66, s44
	v_perm_b32 v29, v69, v68, s44
	v_cvt_pk_f32_fp8_e32 v[66:67], v49
	v_cvt_pk_f32_fp8_sdwa v[48:49], v49 src0_sel:WORD_1
	v_mfma_f32_16x16x16_bf16 v[38:41], v[28:29], v[10:11], v[38:41]
	v_perm_b32 v66, v67, v66, s44
	v_perm_b32 v67, v49, v48, s44
	s_waitcnt vmcnt(6)
	v_cvt_pk_f32_fp8_e32 v[28:29], v42
	v_cvt_pk_f32_fp8_sdwa v[48:49], v42 src0_sel:WORD_1
	v_mfma_f32_16x16x16_bf16 v[38:41], v[66:67], v[12:13], v[38:41]
	v_cvt_pk_f32_fp8_e32 v[66:67], v43
	v_perm_b32 v28, v29, v28, s44
	v_perm_b32 v29, v49, v48, s44
	v_cvt_pk_f32_fp8_sdwa v[42:43], v43 src0_sel:WORD_1
	v_perm_b32 v48, v67, v66, s44
	v_cvt_pk_f32_fp8_e32 v[66:67], v44
	v_cvt_pk_f32_fp8_sdwa v[68:69], v44 src0_sel:WORD_1
	v_perm_b32 v49, v43, v42, s44
	v_mfma_f32_16x16x16_bf16 v[38:41], v[28:29], v[6:7], v[38:41]
	s_waitcnt vmcnt(3)
	v_mad_i64_i32 v[26:27], s[6:7], v64, s45, v[46:47]
	s_load_dword s6, s[40:41], 0x0
	v_perm_b32 v28, v67, v66, s44
	v_perm_b32 v29, v69, v68, s44
	v_cvt_pk_f32_fp8_e32 v[42:43], v45
	v_cvt_pk_f32_fp8_sdwa v[44:45], v45 src0_sel:WORD_1
	v_mfma_f32_16x16x16_bf16 v[38:41], v[48:49], v[8:9], v[38:41]
	v_mov_b32_e32 v48, s4
	v_perm_b32 v42, v43, v42, s44
	v_perm_b32 v43, v45, v44, s44
	v_mfma_f32_16x16x16_bf16 v[38:41], v[28:29], v[2:3], v[38:41]
	s_waitcnt lgkmcnt(0)
	v_mul_f32_e32 v28, s6, v48
	v_cvt_pk_f32_fp8_e32 v[44:45], v34
	v_cvt_pk_f32_fp8_sdwa v[48:49], v34 src0_sel:WORD_1
	v_mfma_f32_16x16x16_bf16 v[66:69], v[42:43], v[4:5], v[38:41]
	s_mov_b32 s40, 0xff7fffff
	s_nop 1
	v_cvt_pk_f32_fp8_e32 v[38:39], v35
	v_perm_b32 v40, v45, v44, s44
	v_perm_b32 v41, v49, v48, s44
	v_cvt_pk_f32_fp8_sdwa v[34:35], v35 src0_sel:WORD_1
	v_perm_b32 v42, v39, v38, s44
	v_cvt_pk_f32_fp8_e32 v[44:45], v36
	v_cvt_pk_f32_fp8_sdwa v[48:49], v36 src0_sel:WORD_1
	v_perm_b32 v43, v35, v34, s44
	v_mfma_f32_16x16x16_bf16 v[38:41], v[40:41], v[14:15], 0
	v_perm_b32 v34, v45, v44, s44
	v_perm_b32 v35, v49, v48, s44
	v_cvt_pk_f32_fp8_e32 v[44:45], v37
	v_cvt_pk_f32_fp8_sdwa v[36:37], v37 src0_sel:WORD_1
	v_mfma_f32_16x16x16_bf16 v[14:17], v[42:43], v[16:17], v[38:41]
	v_pk_mul_f32 v[48:49], v[28:29], v[24:25] op_sel_hi:[0,1]
	v_perm_b32 v24, v45, v44, s44
	v_perm_b32 v25, v37, v36, s44
	v_mfma_f32_16x16x16_bf16 v[14:17], v[34:35], v[10:11], v[14:17]
	v_pk_mul_f32 v[10:11], v[28:29], v[22:23] op_sel_hi:[0,1]
	v_cvt_pk_f32_fp8_e32 v[22:23], v30
	v_cvt_pk_f32_fp8_sdwa v[34:35], v30 src0_sel:WORD_1
	v_mfma_f32_16x16x16_bf16 v[12:15], v[24:25], v[12:13], v[14:17]
	v_cvt_pk_f32_fp8_sdwa v[24:25], v31 src0_sel:WORD_1
	v_perm_b32 v22, v23, v22, s44
	v_perm_b32 v23, v35, v34, s44
	v_cvt_pk_f32_fp8_e32 v[16:17], v31
	v_cvt_pk_f32_fp8_e32 v[30:31], v32
	v_cvt_pk_f32_fp8_sdwa v[34:35], v32 src0_sel:WORD_1
	v_mfma_f32_16x16x16_bf16 v[12:15], v[22:23], v[6:7], v[12:15]
	v_perm_b32 v16, v17, v16, s44
	v_perm_b32 v17, v25, v24, s44
	;; [unrolled: 1-line block ×4, first 2 shown]
	v_cvt_pk_f32_fp8_e32 v[24:25], v33
	v_cvt_pk_f32_fp8_sdwa v[30:31], v33 src0_sel:WORD_1
	v_mfma_f32_16x16x16_bf16 v[6:9], v[16:17], v[8:9], v[12:15]
	v_pk_mul_f32 v[40:41], v[28:29], v[20:21] op_sel_hi:[0,1]
	v_pk_mul_f32 v[44:45], v[28:29], v[18:19] op_sel_hi:[0,1]
	v_pk_mul_f32 v[38:39], v[28:29], v[68:69] op_sel_hi:[0,1]
	v_perm_b32 v12, v25, v24, s44
	v_perm_b32 v13, v31, v30, s44
	v_mfma_f32_16x16x16_bf16 v[6:9], v[22:23], v[2:3], v[6:9]
	v_pk_mul_f32 v[42:43], v[28:29], v[66:67] op_sel_hi:[0,1]
	v_mfma_f32_16x16x16_bf16 v[2:5], v[12:13], v[4:5], v[6:9]
	s_nop 6
	v_pk_mul_f32 v[36:37], v[28:29], v[2:3] op_sel_hi:[0,1]
	v_and_b32_e32 v2, 0xc0, v0
	v_add_u32_e32 v2, s20, v2
	v_lshl_or_b32 v2, v1, 2, v2
	v_or_b32_e32 v3, 1, v2
	v_pk_mul_f32 v[34:35], v[28:29], v[4:5] op_sel_hi:[0,1]
	v_subrev_u32_e32 v4, s5, v3
	v_add_u32_e32 v6, 1, v4
	v_add_u32_e32 v7, 2, v4
	v_cvt_f32_i32_e32 v5, v4
	v_cvt_f32_i32_e32 v6, v6
	;; [unrolled: 1-line block ×3, first 2 shown]
	v_add_u32_e32 v8, 3, v4
	v_fma_f32 v9, v63, v5, v10
	v_fmac_f32_e32 v11, v63, v6
	v_fma_f32 v10, v63, v7, v48
	v_add_u32_e32 v5, 16, v4
	v_add_u32_e32 v6, 17, v4
	;; [unrolled: 1-line block ×3, first 2 shown]
	v_cvt_f32_i32_e32 v8, v8
	v_cvt_f32_i32_e32 v5, v5
	;; [unrolled: 1-line block ×4, first 2 shown]
	v_fmac_f32_e32 v49, v63, v8
	v_add_u32_e32 v8, 19, v4
	v_fma_f32 v44, v63, v5, v44
	v_fmac_f32_e32 v45, v63, v6
	v_fma_f32 v40, v63, v7, v40
	v_add_u32_e32 v5, 32, v4
	v_add_u32_e32 v6, 33, v4
	;; [unrolled: 1-line block ×3, first 2 shown]
	v_cvt_f32_i32_e32 v8, v8
	v_cvt_f32_i32_e32 v5, v5
	;; [unrolled: 1-line block ×4, first 2 shown]
	v_fmac_f32_e32 v41, v63, v8
	v_add_u32_e32 v8, 35, v4
	v_fma_f32 v42, v63, v5, v42
	v_fmac_f32_e32 v43, v63, v6
	v_fma_f32 v38, v63, v7, v38
	v_add_u32_e32 v5, 48, v4
	v_add_u32_e32 v6, 49, v4
	;; [unrolled: 1-line block ×4, first 2 shown]
	v_cvt_f32_i32_e32 v4, v4
	v_cvt_f32_i32_e32 v5, v5
	;; [unrolled: 1-line block ×3, first 2 shown]
	v_cmp_gt_i32_e64 s[34:35], s5, v2
	v_fmac_f32_e32 v35, v63, v4
	v_mov_b32_e32 v4, 0xff7fffff
	v_cmp_gt_i32_e64 s[36:37], s5, v3
	v_fma_f32 v36, v63, v5, v36
	v_cndmask_b32_e64 v5, v4, v9, s[34:35]
	v_cndmask_b32_e64 v3, v4, v11, s[36:37]
	v_fmac_f32_e32 v37, v63, v6
	v_max3_f32 v3, v5, s40, v3
	v_or_b32_e32 v5, 2, v2
	v_or_b32_e32 v6, 3, v2
	v_cmp_gt_i32_e64 s[12:13], s5, v5
	v_cmp_gt_i32_e64 s[18:19], s5, v6
	v_cvt_f32_i32_e32 v8, v8
	v_cndmask_b32_e64 v5, v4, v10, s[12:13]
	v_cndmask_b32_e64 v6, v4, v49, s[18:19]
	v_max3_f32 v3, v3, v5, v6
	v_or_b32_e32 v5, 16, v2
	v_or_b32_e32 v6, 17, v2
	v_cmp_gt_i32_e64 s[24:25], s5, v5
	v_cmp_gt_i32_e64 s[28:29], s5, v6
	v_fmac_f32_e32 v39, v63, v8
	v_cndmask_b32_e64 v5, v4, v44, s[24:25]
	v_cndmask_b32_e64 v6, v4, v45, s[28:29]
	v_max3_f32 v3, v3, v5, v6
	v_or_b32_e32 v5, 18, v2
	v_or_b32_e32 v6, 19, v2
	v_cmp_gt_i32_e64 s[8:9], s5, v5
	v_cmp_gt_i32_e64 s[14:15], s5, v6
	v_cvt_f32_i32_e32 v7, v7
	v_cndmask_b32_e64 v5, v4, v40, s[8:9]
	v_cndmask_b32_e64 v6, v4, v41, s[14:15]
	v_max3_f32 v3, v3, v5, v6
	v_or_b32_e32 v5, 32, v2
	v_or_b32_e32 v6, 33, v2
	v_cmp_gt_i32_e64 s[20:21], s5, v5
	v_cmp_gt_i32_e64 s[26:27], s5, v6
	v_fma_f32 v34, v63, v7, v34
	v_cndmask_b32_e64 v5, v4, v42, s[20:21]
	v_cndmask_b32_e64 v6, v4, v43, s[26:27]
	v_max3_f32 v3, v3, v5, v6
	v_or_b32_e32 v5, 34, v2
	v_or_b32_e32 v6, 35, v2
	v_cmp_gt_i32_e64 s[6:7], s5, v5
	v_cmp_gt_i32_e64 s[10:11], s5, v6
	s_nop 0
	v_cndmask_b32_e64 v5, v4, v38, s[6:7]
	v_cndmask_b32_e64 v6, v4, v39, s[10:11]
	v_max3_f32 v3, v3, v5, v6
	v_or_b32_e32 v5, 48, v2
	v_or_b32_e32 v6, 49, v2
	v_cmp_gt_i32_e64 s[16:17], s5, v5
	v_cmp_gt_i32_e64 s[22:23], s5, v6
	s_nop 0
	v_cndmask_b32_e64 v5, v4, v36, s[16:17]
	v_cndmask_b32_e64 v6, v4, v37, s[22:23]
	v_max3_f32 v3, v3, v5, v6
	v_or_b32_e32 v5, 50, v2
	v_or_b32_e32 v2, 51, v2
	v_cmp_gt_i32_e32 vcc, s5, v5
	v_cmp_gt_i32_e64 s[4:5], s5, v2
	s_nop 0
	v_cndmask_b32_e32 v5, v4, v34, vcc
	v_cndmask_b32_e64 v2, v4, v35, s[4:5]
	v_max3_f32 v4, v3, v5, v2
	v_mbcnt_lo_u32_b32 v2, -1, 0
	v_mbcnt_hi_u32_b32 v5, -1, v2
	v_and_b32_e32 v2, 64, v5
	v_add_u32_e32 v6, 64, v2
	v_xor_b32_e32 v2, 32, v5
	v_cmp_lt_i32_e64 s[38:39], v2, v6
	s_nop 1
	v_cndmask_b32_e64 v2, v5, v2, s[38:39]
	v_lshlrev_b32_e32 v66, 2, v2
	ds_bpermute_b32 v7, v66, v4
	s_waitcnt vmcnt(2)
	v_mad_i64_i32 v[2:3], s[38:39], v65, s45, v[46:47]
	global_load_dwordx4 v[30:33], v[26:27], off
	s_nop 0
	global_load_dwordx4 v[26:29], v[2:3], off
	s_waitcnt lgkmcnt(0)
	v_max_f32_e32 v2, v7, v7
	v_max_f32_e32 v7, v4, v2
	v_xor_b32_e32 v2, 16, v5
	v_cmp_lt_i32_e64 s[38:39], v2, v6
	s_nop 1
	v_cndmask_b32_e64 v2, v5, v2, s[38:39]
	v_lshlrev_b32_e32 v67, 2, v2
	ds_bpermute_b32 v6, v67, v7
	s_waitcnt vmcnt(3)
	v_mad_i64_i32 v[2:3], s[38:39], v61, s45, v[46:47]
	s_waitcnt vmcnt(2)
	v_mad_i64_i32 v[4:5], s[38:39], v62, s45, v[46:47]
	s_waitcnt lgkmcnt(0)
	v_max_f32_e32 v6, v6, v6
	v_max_f32_e32 v63, v7, v6
	global_load_dwordx4 v[22:25], v[2:3], off
	global_load_dwordx4 v[14:17], v[4:5], off
	v_sub_f32_e32 v2, v9, v63
	v_mul_f32_e32 v2, 0x3fb8aa3b, v2
	v_exp_f32_e32 v4, v2
	v_sub_f32_e32 v2, v11, v63
	v_mul_f32_e32 v2, 0x3fb8aa3b, v2
	v_exp_f32_e32 v5, v2
	v_lshl_add_u64 v[2:3], s[46:47], 0, v[52:53]
	v_sub_f32_e32 v8, v10, v63
	v_cndmask_b32_e64 v46, 0, v4, s[34:35]
	v_cndmask_b32_e64 v47, 0, v5, s[36:37]
	v_mad_i64_i32 v[4:5], s[34:35], v64, s45, v[2:3]
	v_mad_i64_i32 v[6:7], s[34:35], v65, s45, v[2:3]
	v_mul_f32_e32 v8, 0x3fb8aa3b, v8
	v_sub_f32_e32 v48, v49, v63
	v_exp_f32_e32 v49, v8
	global_load_dwordx4 v[18:21], v[4:5], off
	s_nop 0
	global_load_dwordx4 v[6:9], v[6:7], off
	v_mad_i64_i32 v[4:5], s[34:35], v61, s45, v[2:3]
	v_mad_i64_i32 v[2:3], s[34:35], v62, s45, v[2:3]
	global_load_dwordx4 v[10:13], v[4:5], off
	s_nop 0
	global_load_dwordx4 v[2:5], v[2:3], off
	v_mul_f32_e32 v48, 0x3fb8aa3b, v48
	v_exp_f32_e32 v52, v48
	v_sub_f32_e32 v40, v40, v63
	v_sub_f32_e32 v42, v42, v63
	v_mul_f32_e32 v40, 0x3fb8aa3b, v40
	v_mul_f32_e32 v42, 0x3fb8aa3b, v42
	v_cndmask_b32_e64 v48, 0, v49, s[12:13]
	v_cndmask_b32_e64 v49, 0, v52, s[18:19]
	v_exp_f32_e32 v40, v40
	v_exp_f32_e32 v52, v42
	v_sub_f32_e32 v44, v44, v63
	v_mul_f32_e32 v44, 0x3fb8aa3b, v44
	v_sub_f32_e32 v45, v45, v63
	v_sub_f32_e32 v42, v43, v63
	v_exp_f32_e32 v44, v44
	v_mul_f32_e32 v45, 0x3fb8aa3b, v45
	v_mul_f32_e32 v42, 0x3fb8aa3b, v42
	v_exp_f32_e32 v45, v45
	v_sub_f32_e32 v41, v41, v63
	v_exp_f32_e32 v53, v42
	v_cndmask_b32_e64 v42, 0, v40, s[8:9]
	v_cndmask_b32_e64 v40, 0, v52, s[20:21]
	v_add_f32_e32 v52, 0, v46
	v_mul_f32_e32 v41, 0x3fb8aa3b, v41
	v_add_f32_e32 v52, v52, v47
	v_exp_f32_e32 v41, v41
	v_add_f32_e32 v52, v52, v48
	v_cndmask_b32_e64 v44, 0, v44, s[24:25]
	v_sub_f32_e32 v38, v38, v63
	v_add_f32_e32 v52, v52, v49
	v_cndmask_b32_e64 v45, 0, v45, s[28:29]
	v_sub_f32_e32 v39, v39, v63
	v_mul_f32_e32 v38, 0x3fb8aa3b, v38
	v_add_f32_e32 v52, v52, v44
	v_exp_f32_e32 v38, v38
	v_mul_f32_e32 v39, 0x3fb8aa3b, v39
	v_sub_f32_e32 v36, v36, v63
	v_add_f32_e32 v52, v52, v45
	v_cndmask_b32_e64 v43, 0, v41, s[14:15]
	v_exp_f32_e32 v39, v39
	v_mul_f32_e32 v36, 0x3fb8aa3b, v36
	v_sub_f32_e32 v37, v37, v63
	v_add_f32_e32 v52, v52, v42
	v_exp_f32_e32 v36, v36
	v_mul_f32_e32 v37, 0x3fb8aa3b, v37
	v_add_f32_e32 v52, v52, v43
	v_sub_f32_e32 v34, v34, v63
	v_cndmask_b32_e64 v41, 0, v53, s[26:27]
	v_exp_f32_e32 v37, v37
	v_add_f32_e32 v52, v52, v40
	v_mul_f32_e32 v34, 0x3fb8aa3b, v34
	v_sub_f32_e32 v35, v35, v63
	v_cndmask_b32_e64 v38, 0, v38, s[6:7]
	v_add_f32_e32 v52, v52, v41
	v_exp_f32_e32 v34, v34
	v_mul_f32_e32 v35, 0x3fb8aa3b, v35
	v_cndmask_b32_e64 v39, 0, v39, s[10:11]
	v_add_f32_e32 v52, v52, v38
	v_exp_f32_e32 v35, v35
	v_cndmask_b32_e64 v36, 0, v36, s[16:17]
	v_add_f32_e32 v52, v52, v39
	v_cndmask_b32_e64 v37, 0, v37, s[22:23]
	v_add_f32_e32 v52, v52, v36
	v_add_f32_e32 v52, v52, v37
	v_cndmask_b32_e32 v34, 0, v34, vcc
	v_add_f32_e32 v52, v52, v34
	v_cndmask_b32_e64 v35, 0, v35, s[4:5]
	v_add_f32_e32 v52, v52, v35
	ds_bpermute_b32 v53, v66, v52
	v_cmp_gt_u32_e32 vcc, 16, v59
	s_waitcnt lgkmcnt(0)
	s_barrier
	v_add_f32_e32 v52, v52, v53
	ds_bpermute_b32 v53, v67, v52
	s_and_saveexec_b64 s[4:5], vcc
	s_cbranch_execz .LBB1303_13
; %bb.12:
	s_waitcnt lgkmcnt(0)
	v_add_f32_e32 v52, v52, v53
	v_lshlrev_b32_e32 v51, 2, v51
	ds_write2st64_b32 v51, v63, v52 offset1:1
.LBB1303_13:
	s_or_b64 exec, exec, s[4:5]
	v_lshlrev_b32_e32 v51, 2, v56
	s_load_dword s6, s[0:1], 0x94
	s_waitcnt lgkmcnt(0)
	s_barrier
	ds_read2_b32 v[62:63], v51 offset1:16
	ds_read2_b32 v[64:65], v51 offset0:32 offset1:48
	ds_read2_b32 v[66:67], v51 offset0:64 offset1:80
	s_movk_i32 s8, 0x7fff
	s_lshl_b32 s7, s33, 4
	s_waitcnt lgkmcnt(2)
	v_max3_f32 v52, v62, s40, v63
	s_waitcnt lgkmcnt(1)
	v_max3_f32 v52, v52, v64, v65
	v_sub_f32_e32 v53, v62, v52
	v_mul_f32_e32 v53, 0x3fb8aa3b, v53
	v_exp_f32_e32 v59, v53
	v_sub_f32_e32 v53, v63, v52
	v_mul_f32_e32 v53, 0x3fb8aa3b, v53
	v_exp_f32_e32 v61, v53
	v_sub_f32_e32 v53, v64, v52
	v_mul_f32_e32 v53, 0x3fb8aa3b, v53
	ds_read2_b32 v[62:63], v51 offset0:96 offset1:112
	v_sub_f32_e32 v51, v65, v52
	v_exp_f32_e32 v64, v53
	v_mul_f32_e32 v51, 0x3fb8aa3b, v51
	v_exp_f32_e32 v51, v51
	s_waitcnt lgkmcnt(1)
	v_fma_f32 v53, v59, v66, 0
	v_fmac_f32_e32 v53, v61, v67
	s_waitcnt lgkmcnt(0)
	v_fmac_f32_e32 v53, v64, v62
	v_fmac_f32_e32 v53, v51, v63
	v_add_f32_e32 v62, 0x358637bd, v53
	v_div_scale_f32 v63, s[4:5], v62, v62, 1.0
	v_rcp_f32_e32 v65, v63
	s_barrier
	v_fma_f32 v66, -v63, v65, 1.0
	v_fmac_f32_e32 v65, v66, v65
	v_div_scale_f32 v66, vcc, 1.0, v62, 1.0
	v_mul_f32_e32 v67, v66, v65
	v_fma_f32 v68, -v63, v67, v66
	v_fmac_f32_e32 v67, v68, v65
	v_fma_f32 v63, -v63, v67, v66
	v_div_fmas_f32 v63, v63, v65, v67
	v_cmp_eq_u32_e32 vcc, 1, v58
	v_div_fixup_f32 v62, v63, v62, 1.0
	s_nop 0
	v_cndmask_b32_e32 v59, v59, v61, vcc
	v_cmp_eq_u32_e32 vcc, 2, v58
	s_nop 1
	v_cndmask_b32_e32 v59, v59, v64, vcc
	v_cmp_eq_u32_e32 vcc, 3, v58
	s_nop 1
	v_cndmask_b32_e32 v51, v59, v51, vcc
	v_mul_f32_e32 v62, v51, v62
	v_pk_mul_f32 v[46:47], v[62:63], v[46:47] op_sel_hi:[0,1]
	v_bfe_u32 v51, v47, 16, 1
	v_bfe_u32 v59, v46, 16, 1
	v_pk_mul_f32 v[48:49], v[62:63], v[48:49] op_sel_hi:[0,1]
	v_add3_u32 v46, v46, v59, s8
	v_add3_u32 v47, v47, v51, s8
	v_perm_b32 v46, v47, v46, s44
	v_bfe_u32 v47, v49, 16, 1
	v_bfe_u32 v51, v48, 16, 1
	v_add3_u32 v48, v48, v51, s8
	v_add3_u32 v47, v49, v47, s8
	v_perm_b32 v47, v47, v48, s44
	v_lshlrev_b32_e32 v48, 3, v1
	v_lshlrev_b32_e32 v49, 11, v58
	v_pk_mul_f32 v[44:45], v[62:63], v[44:45] op_sel_hi:[0,1]
	v_or3_b32 v58, v49, v60, v48
	v_bfe_u32 v48, v45, 16, 1
	v_bfe_u32 v49, v44, 16, 1
	v_pk_mul_f32 v[42:43], v[62:63], v[42:43] op_sel_hi:[0,1]
	v_add3_u32 v44, v44, v49, s8
	v_add3_u32 v45, v45, v48, s8
	v_perm_b32 v44, v45, v44, s44
	v_bfe_u32 v45, v43, 16, 1
	v_bfe_u32 v48, v42, 16, 1
	v_add3_u32 v42, v42, v48, s8
	v_add3_u32 v43, v43, v45, s8
	v_pk_mul_f32 v[40:41], v[62:63], v[40:41] op_sel_hi:[0,1]
	v_perm_b32 v45, v43, v42, s44
	v_bfe_u32 v42, v41, 16, 1
	v_bfe_u32 v43, v40, 16, 1
	v_pk_mul_f32 v[38:39], v[62:63], v[38:39] op_sel_hi:[0,1]
	v_add3_u32 v40, v40, v43, s8
	v_add3_u32 v41, v41, v42, s8
	v_perm_b32 v40, v41, v40, s44
	v_bfe_u32 v41, v39, 16, 1
	v_bfe_u32 v42, v38, 16, 1
	v_add3_u32 v38, v38, v42, s8
	v_add3_u32 v39, v39, v41, s8
	v_pk_mul_f32 v[36:37], v[62:63], v[36:37] op_sel_hi:[0,1]
	v_perm_b32 v41, v39, v38, s44
	v_bfe_u32 v38, v37, 16, 1
	v_bfe_u32 v39, v36, 16, 1
	v_pk_mul_f32 v[34:35], v[62:63], v[34:35] op_sel_hi:[0,1]
	v_add3_u32 v36, v36, v39, s8
	v_add3_u32 v37, v37, v38, s8
	v_perm_b32 v36, v37, v36, s44
	v_bfe_u32 v37, v35, 16, 1
	v_bfe_u32 v38, v34, 16, 1
	v_add3_u32 v34, v34, v38, s8
	v_add3_u32 v35, v35, v37, s8
	v_perm_b32 v37, v35, v34, s44
	v_cmp_gt_u32_e32 vcc, 16, v0
	ds_write2st64_b64 v58, v[46:47], v[44:45] offset1:1
	ds_write2st64_b64 v58, v[40:41], v[36:37] offset0:2 offset1:3
	s_and_saveexec_b64 s[4:5], vcc
	s_cbranch_execz .LBB1303_15
; %bb.14:
	v_mov_b32_e32 v51, 0
	v_mov_b32_e32 v34, s7
	s_mul_i32 s3, s3, s7
	v_mad_u64_u32 v[34:35], s[10:11], s2, v34, v[50:51]
	v_mov_b32_e32 v50, s30
	s_load_dwordx4 s[12:15], s[0:1], 0x58
	v_add_u32_e32 v37, s3, v35
	v_mad_u64_u32 v[34:35], s[10:11], v34, s6, v[50:51]
	v_mov_b32_e32 v36, v35
	v_mad_u64_u32 v[36:37], s[10:11], v37, s6, v[36:37]
	v_mov_b32_e32 v35, v36
	v_lshlrev_b64 v[34:35], 2, v[34:35]
	s_waitcnt lgkmcnt(0)
	v_lshl_add_u64 v[36:37], s[14:15], 0, v[34:35]
	v_lshl_add_u64 v[34:35], s[12:13], 0, v[34:35]
	global_store_dword v[36:37], v52, off
	global_store_dword v[34:35], v53, off
.LBB1303_15:
	s_or_b64 exec, exec, s[4:5]
	s_waitcnt vmcnt(7)
	v_cvt_pk_f32_fp8_e32 v[34:35], v30
	v_cvt_pk_f32_fp8_sdwa v[36:37], v30 src0_sel:WORD_1
	s_mov_b32 s5, 0x7060302
	s_waitcnt lgkmcnt(0)
	s_barrier
	v_cvt_pk_f32_fp8_e32 v[38:39], v31
	v_perm_b32 v30, v35, v34, s5
	v_cvt_pk_f32_fp8_sdwa v[40:41], v31 src0_sel:WORD_1
	v_perm_b32 v31, v37, v36, s5
	ds_read_b128 v[34:37], v55
	v_perm_b32 v46, v39, v38, s5
	v_perm_b32 v47, v41, v40, s5
	ds_read_b128 v[38:41], v55 offset:16
	v_cvt_pk_f32_fp8_e32 v[48:49], v32
	v_cvt_pk_f32_fp8_sdwa v[50:51], v32 src0_sel:WORD_1
	s_waitcnt lgkmcnt(1)
	v_mfma_f32_16x16x16_bf16 v[42:45], v[30:31], v[34:35], 0
	s_waitcnt vmcnt(6)
	v_cvt_pk_f32_fp8_e32 v[52:53], v28
	v_perm_b32 v30, v49, v48, s5
	v_perm_b32 v31, v51, v50, s5
	v_cvt_pk_f32_fp8_e32 v[48:49], v33
	v_mfma_f32_16x16x16_bf16 v[42:45], v[46:47], v[36:37], v[42:45]
	v_cvt_pk_f32_fp8_sdwa v[46:47], v33 src0_sel:WORD_1
	v_cvt_pk_f32_fp8_sdwa v[60:61], v28 src0_sel:WORD_1
	v_perm_b32 v48, v49, v48, s5
	s_waitcnt lgkmcnt(0)
	v_mfma_f32_16x16x16_bf16 v[30:33], v[30:31], v[38:39], v[42:45]
	v_perm_b32 v49, v47, v46, s5
	s_waitcnt vmcnt(5)
	v_cvt_pk_f32_fp8_e32 v[62:63], v24
	v_cvt_pk_f32_fp8_sdwa v[64:65], v24 src0_sel:WORD_1
	v_cvt_pk_f32_fp8_e32 v[42:43], v26
	v_mfma_f32_16x16x16_bf16 v[46:49], v[48:49], v[40:41], v[30:33]
	s_waitcnt vmcnt(4)
	v_cvt_pk_f32_fp8_e32 v[66:67], v16
	v_cvt_pk_f32_fp8_sdwa v[68:69], v16 src0_sel:WORD_1
	v_cvt_pk_f32_fp8_sdwa v[30:31], v26 src0_sel:WORD_1
	v_cvt_pk_f32_fp8_e32 v[32:33], v27
	v_perm_b32 v26, v43, v42, s5
	v_cvt_pk_f32_fp8_sdwa v[42:43], v27 src0_sel:WORD_1
	v_perm_b32 v27, v31, v30, s5
	v_perm_b32 v50, v33, v32, s5
	ds_read_b128 v[30:33], v55 offset:2048
	v_perm_b32 v51, v43, v42, s5
	ds_read_b128 v[42:45], v55 offset:2064
	s_waitcnt lgkmcnt(1)
	v_mfma_f32_16x16x16_bf16 v[46:49], v[26:27], v[30:31], v[46:49]
	v_perm_b32 v26, v53, v52, s5
	v_perm_b32 v27, v61, v60, s5
	v_cvt_pk_f32_fp8_e32 v[52:53], v29
	v_mfma_f32_16x16x16_bf16 v[46:49], v[50:51], v[32:33], v[46:49]
	v_cvt_pk_f32_fp8_sdwa v[50:51], v29 src0_sel:WORD_1
	s_load_dword s4, s[42:43], 0x0
	v_perm_b32 v52, v53, v52, s5
	s_waitcnt lgkmcnt(0)
	v_mfma_f32_16x16x16_bf16 v[26:29], v[26:27], v[42:43], v[46:49]
	v_perm_b32 v53, v51, v50, s5
	s_mov_b32 s3, 0
	v_cmp_gt_u32_e32 vcc, 64, v0
	v_cvt_pk_f32_fp8_e32 v[46:47], v22
	v_mfma_f32_16x16x16_bf16 v[50:53], v[52:53], v[44:45], v[26:29]
	s_nop 2
	v_cvt_pk_f32_fp8_sdwa v[26:27], v22 src0_sel:WORD_1
	v_cvt_pk_f32_fp8_e32 v[28:29], v23
	v_perm_b32 v22, v47, v46, s5
	v_cvt_pk_f32_fp8_sdwa v[46:47], v23 src0_sel:WORD_1
	v_perm_b32 v23, v27, v26, s5
	v_perm_b32 v60, v29, v28, s5
	ds_read_b128 v[26:29], v55 offset:4096
	v_perm_b32 v61, v47, v46, s5
	ds_read_b128 v[46:49], v55 offset:4112
	s_waitcnt lgkmcnt(1)
	v_mfma_f32_16x16x16_bf16 v[50:53], v[22:23], v[26:27], v[50:53]
	v_perm_b32 v22, v63, v62, s5
	v_perm_b32 v23, v65, v64, s5
	v_cvt_pk_f32_fp8_e32 v[62:63], v25
	v_mfma_f32_16x16x16_bf16 v[50:53], v[60:61], v[28:29], v[50:53]
	v_cvt_pk_f32_fp8_sdwa v[60:61], v25 src0_sel:WORD_1
	v_perm_b32 v62, v63, v62, s5
	s_waitcnt lgkmcnt(0)
	v_mfma_f32_16x16x16_bf16 v[22:25], v[22:23], v[46:47], v[50:53]
	v_perm_b32 v63, v61, v60, s5
	s_nop 1
	v_cvt_pk_f32_fp8_e32 v[50:51], v14
	v_mfma_f32_16x16x16_bf16 v[60:63], v[62:63], v[48:49], v[22:25]
	s_nop 2
	v_cvt_pk_f32_fp8_sdwa v[22:23], v14 src0_sel:WORD_1
	v_cvt_pk_f32_fp8_e32 v[24:25], v15
	v_perm_b32 v14, v51, v50, s5
	v_cvt_pk_f32_fp8_sdwa v[50:51], v15 src0_sel:WORD_1
	v_perm_b32 v15, v23, v22, s5
	v_perm_b32 v64, v25, v24, s5
	ds_read_b128 v[22:25], v55 offset:6144
	v_perm_b32 v65, v51, v50, s5
	ds_read_b128 v[50:53], v55 offset:6160
	s_waitcnt lgkmcnt(1)
	v_mfma_f32_16x16x16_bf16 v[60:63], v[14:15], v[22:23], v[60:63]
	v_perm_b32 v14, v67, v66, s5
	v_perm_b32 v15, v69, v68, s5
	v_cvt_pk_f32_fp8_e32 v[66:67], v17
	v_mfma_f32_16x16x16_bf16 v[60:63], v[64:65], v[24:25], v[60:63]
	v_cvt_pk_f32_fp8_sdwa v[64:65], v17 src0_sel:WORD_1
	s_waitcnt lgkmcnt(0)
	v_perm_b32 v66, v67, v66, s5
	v_mfma_f32_16x16x16_bf16 v[14:17], v[14:15], v[50:51], v[60:63]
	v_perm_b32 v67, v65, v64, s5
	s_waitcnt vmcnt(3)
	v_cvt_pk_f32_fp8_e32 v[64:65], v19
	s_barrier
	v_mfma_f32_16x16x16_bf16 v[60:63], v[66:67], v[52:53], v[14:17]
	v_cvt_pk_f32_fp8_sdwa v[66:67], v20 src0_sel:WORD_1
	s_nop 1
	v_cvt_pk_f32_fp8_e32 v[16:17], v18
	s_nop 2
	v_pk_mul_f32 v[14:15], v[62:63], s[4:5] op_sel_hi:[1,0]
	v_cvt_pk_f32_fp8_sdwa v[62:63], v18 src0_sel:WORD_1
	v_perm_b32 v16, v17, v16, s5
	v_cvt_pk_f32_fp8_sdwa v[18:19], v19 src0_sel:WORD_1
	v_pk_mul_f32 v[60:61], v[60:61], s[4:5] op_sel_hi:[1,0]
	v_perm_b32 v17, v63, v62, s5
	v_perm_b32 v62, v65, v64, s5
	v_cvt_pk_f32_fp8_e32 v[64:65], v20
	v_perm_b32 v63, v19, v18, s5
	v_mfma_f32_16x16x16_bf16 v[16:19], v[16:17], v[34:35], 0
	v_perm_b32 v34, v65, v64, s5
	v_perm_b32 v35, v67, v66, s5
	v_cvt_pk_f32_fp8_e32 v[64:65], v21
	v_cvt_pk_f32_fp8_sdwa v[20:21], v21 src0_sel:WORD_1
	v_mfma_f32_16x16x16_bf16 v[16:19], v[62:63], v[36:37], v[16:19]
	v_bfe_u32 v55, v61, 16, 1
	v_perm_b32 v36, v65, v64, s5
	v_perm_b32 v37, v21, v20, s5
	v_mfma_f32_16x16x16_bf16 v[16:19], v[34:35], v[38:39], v[16:19]
	s_waitcnt vmcnt(2)
	v_cvt_pk_f32_fp8_e32 v[20:21], v6
	v_cvt_pk_f32_fp8_sdwa v[34:35], v6 src0_sel:WORD_1
	v_cvt_pk_f32_fp8_sdwa v[38:39], v8 src0_sel:WORD_1
	v_mfma_f32_16x16x16_bf16 v[16:19], v[36:37], v[40:41], v[16:19]
	v_cvt_pk_f32_fp8_e32 v[36:37], v7
	v_perm_b32 v20, v21, v20, s5
	v_perm_b32 v21, v35, v34, s5
	v_cvt_pk_f32_fp8_sdwa v[6:7], v7 src0_sel:WORD_1
	v_perm_b32 v34, v37, v36, s5
	v_cvt_pk_f32_fp8_e32 v[36:37], v8
	v_mfma_f32_16x16x16_bf16 v[16:19], v[20:21], v[30:31], v[16:19]
	v_perm_b32 v35, v7, v6, s5
	v_perm_b32 v20, v37, v36, s5
	;; [unrolled: 1-line block ×3, first 2 shown]
	v_cvt_pk_f32_fp8_e32 v[30:31], v9
	v_cvt_pk_f32_fp8_sdwa v[36:37], v9 src0_sel:WORD_1
	v_mfma_f32_16x16x16_bf16 v[6:9], v[34:35], v[32:33], v[16:19]
	v_bfe_u32 v59, v60, 16, 1
	v_add3_u32 v32, v60, v59, s8
	v_add3_u32 v33, v61, v55, s8
	v_perm_b32 v16, v31, v30, s5
	v_perm_b32 v17, v37, v36, s5
	v_mfma_f32_16x16x16_bf16 v[6:9], v[20:21], v[42:43], v[6:9]
	s_waitcnt vmcnt(1)
	v_cvt_pk_f32_fp8_e32 v[18:19], v10
	v_cvt_pk_f32_fp8_sdwa v[20:21], v10 src0_sel:WORD_1
	v_cvt_pk_f32_fp8_sdwa v[30:31], v12 src0_sel:WORD_1
	v_mfma_f32_16x16x16_bf16 v[6:9], v[16:17], v[44:45], v[6:9]
	v_cvt_pk_f32_fp8_e32 v[16:17], v11
	v_perm_b32 v18, v19, v18, s5
	v_perm_b32 v19, v21, v20, s5
	v_cvt_pk_f32_fp8_sdwa v[10:11], v11 src0_sel:WORD_1
	v_perm_b32 v16, v17, v16, s5
	v_cvt_pk_f32_fp8_e32 v[20:21], v12
	v_mfma_f32_16x16x16_bf16 v[6:9], v[18:19], v[26:27], v[6:9]
	v_perm_b32 v17, v11, v10, s5
	v_perm_b32 v10, v21, v20, s5
	;; [unrolled: 1-line block ×3, first 2 shown]
	v_cvt_pk_f32_fp8_e32 v[18:19], v13
	v_cvt_pk_f32_fp8_sdwa v[12:13], v13 src0_sel:WORD_1
	v_mfma_f32_16x16x16_bf16 v[6:9], v[16:17], v[28:29], v[6:9]
	s_waitcnt vmcnt(0)
	v_cvt_pk_f32_fp8_sdwa v[20:21], v4 src0_sel:WORD_1
	v_perm_b32 v18, v19, v18, s5
	v_perm_b32 v19, v13, v12, s5
	v_mfma_f32_16x16x16_bf16 v[6:9], v[10:11], v[46:47], v[6:9]
	v_cvt_pk_f32_fp8_e32 v[10:11], v2
	v_cvt_pk_f32_fp8_sdwa v[12:13], v2 src0_sel:WORD_1
	v_bfe_u32 v17, v15, 16, 1
	v_mfma_f32_16x16x16_bf16 v[6:9], v[18:19], v[48:49], v[6:9]
	v_cvt_pk_f32_fp8_e32 v[18:19], v3
	v_perm_b32 v10, v11, v10, s5
	v_perm_b32 v11, v13, v12, s5
	v_cvt_pk_f32_fp8_sdwa v[2:3], v3 src0_sel:WORD_1
	v_perm_b32 v12, v19, v18, s5
	v_cvt_pk_f32_fp8_e32 v[18:19], v4
	v_mfma_f32_16x16x16_bf16 v[6:9], v[10:11], v[22:23], v[6:9]
	v_perm_b32 v13, v3, v2, s5
	v_perm_b32 v10, v19, v18, s5
	;; [unrolled: 1-line block ×3, first 2 shown]
	v_cvt_pk_f32_fp8_e32 v[18:19], v5
	v_cvt_pk_f32_fp8_sdwa v[20:21], v5 src0_sel:WORD_1
	v_mfma_f32_16x16x16_bf16 v[2:5], v[12:13], v[24:25], v[6:9]
	v_perm_b32 v16, v33, v32, s5
	s_nop 1
	v_perm_b32 v6, v19, v18, s5
	v_perm_b32 v7, v21, v20, s5
	v_mfma_f32_16x16x16_bf16 v[2:5], v[10:11], v[50:51], v[2:5]
	v_bfe_u32 v8, v14, 16, 1
	v_add3_u32 v8, v14, v8, s8
	v_add3_u32 v9, v15, v17, s8
	v_mfma_f32_16x16x16_bf16 v[2:5], v[6:7], v[52:53], v[2:5]
	v_perm_b32 v17, v9, v8, s5
	s_nop 5
	v_pk_mul_f32 v[2:3], v[2:3], s[4:5] op_sel_hi:[1,0]
	v_pk_mul_f32 v[4:5], v[4:5], s[4:5] op_sel_hi:[1,0]
	v_bfe_u32 v6, v3, 16, 1
	v_bfe_u32 v7, v2, 16, 1
	v_add3_u32 v2, v2, v7, s8
	v_add3_u32 v3, v3, v6, s8
	v_perm_b32 v2, v3, v2, s5
	v_bfe_u32 v3, v5, 16, 1
	v_bfe_u32 v6, v4, 16, 1
	v_add3_u32 v4, v4, v6, s8
	v_add3_u32 v3, v5, v3, s8
	v_perm_b32 v3, v3, v4, s5
	ds_write2st64_b64 v58, v[16:17], v[2:3] offset1:1
	s_waitcnt lgkmcnt(0)
	s_barrier
	s_and_saveexec_b64 s[4:5], vcc
	s_cbranch_execz .LBB1303_17
; %bb.16:
	s_load_dwordx2 s[0:1], s[0:1], 0x68
	s_lshl_b32 s6, s6, 7
	s_mul_i32 s2, s7, s2
	s_mul_hi_u32 s5, s2, s6
	s_mul_i32 s4, s2, s6
	s_lshl_b64 s[4:5], s[4:5], 1
	s_waitcnt lgkmcnt(0)
	s_add_u32 s4, s0, s4
	v_lshlrev_b32_e32 v4, 6, v56
	s_addc_u32 s5, s1, s5
	s_lshl_b32 s2, s30, 7
	v_lshl_or_b32 v0, v0, 10, v4
	s_lshl_b64 s[0:1], s[2:3], 1
	v_lshlrev_b32_e32 v2, 5, v1
	v_and_b32_e32 v3, 16, v57
	v_and_b32_e32 v0, 0x1a00, v0
	s_add_u32 s0, s4, s0
	v_or3_b32 v0, v0, v2, v3
	s_addc_u32 s1, s5, s1
	v_mov_b32_e32 v55, 0
	v_or_b32_e32 v20, s31, v1
	ds_read_b128 v[2:5], v0
	ds_read_b128 v[6:9], v0 offset:128
	ds_read_b128 v[10:13], v0 offset:256
	;; [unrolled: 1-line block ×3, first 2 shown]
	v_lshl_add_u64 v[18:19], s[0:1], 0, v[54:55]
	v_mad_u64_u32 v[0:1], s[0:1], v20, s6, 0
	v_lshl_add_u64 v[0:1], v[0:1], 1, v[18:19]
	s_waitcnt lgkmcnt(3)
	global_store_dwordx4 v[0:1], v[2:5], off
	v_or_b32_e32 v0, 4, v20
	v_mad_u64_u32 v[0:1], s[0:1], v0, s6, 0
	v_lshl_add_u64 v[0:1], v[0:1], 1, v[18:19]
	s_waitcnt lgkmcnt(2)
	global_store_dwordx4 v[0:1], v[6:9], off
	v_or_b32_e32 v0, 8, v20
	v_mad_u64_u32 v[0:1], s[0:1], v0, s6, 0
	v_lshl_add_u64 v[0:1], v[0:1], 1, v[18:19]
	s_waitcnt lgkmcnt(1)
	global_store_dwordx4 v[0:1], v[10:13], off
	v_or_b32_e32 v0, 12, v20
	v_mad_u64_u32 v[0:1], s[0:1], v0, s6, 0
	v_lshl_add_u64 v[0:1], v[0:1], 1, v[18:19]
	s_waitcnt lgkmcnt(0)
	global_store_dwordx4 v[0:1], v[14:17], off
.LBB1303_17:
	s_endpgm
	.section	.rodata,"a",@progbits
	.p2align	6, 0x0
	.amdhsa_kernel _Z39paged_attention_ll4mi_QKV_mfma16_kernelI14__hip_bfloat16hLN4vllm18Fp8KVCacheDataTypeE1ES0_Li16ELi128ELi256ELb1ELi16EEvPKT_PKT0_S8_ifPKiSA_SA_iPKfiiiPfSD_PS3_PT2_iSC_SC_
		.amdhsa_group_segment_fixed_size 8192
		.amdhsa_private_segment_fixed_size 0
		.amdhsa_kernarg_size 400
		.amdhsa_user_sgpr_count 2
		.amdhsa_user_sgpr_dispatch_ptr 0
		.amdhsa_user_sgpr_queue_ptr 0
		.amdhsa_user_sgpr_kernarg_segment_ptr 1
		.amdhsa_user_sgpr_dispatch_id 0
		.amdhsa_user_sgpr_kernarg_preload_length 0
		.amdhsa_user_sgpr_kernarg_preload_offset 0
		.amdhsa_user_sgpr_private_segment_size 0
		.amdhsa_uses_dynamic_stack 0
		.amdhsa_enable_private_segment 0
		.amdhsa_system_sgpr_workgroup_id_x 1
		.amdhsa_system_sgpr_workgroup_id_y 1
		.amdhsa_system_sgpr_workgroup_id_z 1
		.amdhsa_system_sgpr_workgroup_info 0
		.amdhsa_system_vgpr_workitem_id 0
		.amdhsa_next_free_vgpr 94
		.amdhsa_next_free_sgpr 48
		.amdhsa_accum_offset 96
		.amdhsa_reserve_vcc 1
		.amdhsa_float_round_mode_32 0
		.amdhsa_float_round_mode_16_64 0
		.amdhsa_float_denorm_mode_32 3
		.amdhsa_float_denorm_mode_16_64 3
		.amdhsa_dx10_clamp 1
		.amdhsa_ieee_mode 1
		.amdhsa_fp16_overflow 0
		.amdhsa_tg_split 0
		.amdhsa_exception_fp_ieee_invalid_op 0
		.amdhsa_exception_fp_denorm_src 0
		.amdhsa_exception_fp_ieee_div_zero 0
		.amdhsa_exception_fp_ieee_overflow 0
		.amdhsa_exception_fp_ieee_underflow 0
		.amdhsa_exception_fp_ieee_inexact 0
		.amdhsa_exception_int_div_zero 0
	.end_amdhsa_kernel
	.section	.text._Z39paged_attention_ll4mi_QKV_mfma16_kernelI14__hip_bfloat16hLN4vllm18Fp8KVCacheDataTypeE1ES0_Li16ELi128ELi256ELb1ELi16EEvPKT_PKT0_S8_ifPKiSA_SA_iPKfiiiPfSD_PS3_PT2_iSC_SC_,"axG",@progbits,_Z39paged_attention_ll4mi_QKV_mfma16_kernelI14__hip_bfloat16hLN4vllm18Fp8KVCacheDataTypeE1ES0_Li16ELi128ELi256ELb1ELi16EEvPKT_PKT0_S8_ifPKiSA_SA_iPKfiiiPfSD_PS3_PT2_iSC_SC_,comdat
.Lfunc_end1303:
	.size	_Z39paged_attention_ll4mi_QKV_mfma16_kernelI14__hip_bfloat16hLN4vllm18Fp8KVCacheDataTypeE1ES0_Li16ELi128ELi256ELb1ELi16EEvPKT_PKT0_S8_ifPKiSA_SA_iPKfiiiPfSD_PS3_PT2_iSC_SC_, .Lfunc_end1303-_Z39paged_attention_ll4mi_QKV_mfma16_kernelI14__hip_bfloat16hLN4vllm18Fp8KVCacheDataTypeE1ES0_Li16ELi128ELi256ELb1ELi16EEvPKT_PKT0_S8_ifPKiSA_SA_iPKfiiiPfSD_PS3_PT2_iSC_SC_
                                        ; -- End function
	.section	.AMDGPU.csdata,"",@progbits
; Kernel info:
; codeLenInByte = 6576
; NumSgprs: 54
; NumVgprs: 94
; NumAgprs: 0
; TotalNumVgprs: 94
; ScratchSize: 0
; MemoryBound: 0
; FloatMode: 240
; IeeeMode: 1
; LDSByteSize: 8192 bytes/workgroup (compile time only)
; SGPRBlocks: 6
; VGPRBlocks: 11
; NumSGPRsForWavesPerEU: 54
; NumVGPRsForWavesPerEU: 94
; AccumOffset: 96
; Occupancy: 5
; WaveLimiterHint : 1
; COMPUTE_PGM_RSRC2:SCRATCH_EN: 0
; COMPUTE_PGM_RSRC2:USER_SGPR: 2
; COMPUTE_PGM_RSRC2:TRAP_HANDLER: 0
; COMPUTE_PGM_RSRC2:TGID_X_EN: 1
; COMPUTE_PGM_RSRC2:TGID_Y_EN: 1
; COMPUTE_PGM_RSRC2:TGID_Z_EN: 1
; COMPUTE_PGM_RSRC2:TIDIG_COMP_CNT: 0
; COMPUTE_PGM_RSRC3_GFX90A:ACCUM_OFFSET: 23
; COMPUTE_PGM_RSRC3_GFX90A:TG_SPLIT: 0
	.section	.text._Z39paged_attention_ll4mi_QKV_mfma16_kernelI14__hip_bfloat16hLN4vllm18Fp8KVCacheDataTypeE1ES0_Li16ELi128ELi256ELb1ELi1EEvPKT_PKT0_S8_ifPKiSA_SA_iPKfiiiPfSD_PS3_PT2_iSC_SC_,"axG",@progbits,_Z39paged_attention_ll4mi_QKV_mfma16_kernelI14__hip_bfloat16hLN4vllm18Fp8KVCacheDataTypeE1ES0_Li16ELi128ELi256ELb1ELi1EEvPKT_PKT0_S8_ifPKiSA_SA_iPKfiiiPfSD_PS3_PT2_iSC_SC_,comdat
	.protected	_Z39paged_attention_ll4mi_QKV_mfma16_kernelI14__hip_bfloat16hLN4vllm18Fp8KVCacheDataTypeE1ES0_Li16ELi128ELi256ELb1ELi1EEvPKT_PKT0_S8_ifPKiSA_SA_iPKfiiiPfSD_PS3_PT2_iSC_SC_ ; -- Begin function _Z39paged_attention_ll4mi_QKV_mfma16_kernelI14__hip_bfloat16hLN4vllm18Fp8KVCacheDataTypeE1ES0_Li16ELi128ELi256ELb1ELi1EEvPKT_PKT0_S8_ifPKiSA_SA_iPKfiiiPfSD_PS3_PT2_iSC_SC_
	.globl	_Z39paged_attention_ll4mi_QKV_mfma16_kernelI14__hip_bfloat16hLN4vllm18Fp8KVCacheDataTypeE1ES0_Li16ELi128ELi256ELb1ELi1EEvPKT_PKT0_S8_ifPKiSA_SA_iPKfiiiPfSD_PS3_PT2_iSC_SC_
	.p2align	8
	.type	_Z39paged_attention_ll4mi_QKV_mfma16_kernelI14__hip_bfloat16hLN4vllm18Fp8KVCacheDataTypeE1ES0_Li16ELi128ELi256ELb1ELi1EEvPKT_PKT0_S8_ifPKiSA_SA_iPKfiiiPfSD_PS3_PT2_iSC_SC_,@function
_Z39paged_attention_ll4mi_QKV_mfma16_kernelI14__hip_bfloat16hLN4vllm18Fp8KVCacheDataTypeE1ES0_Li16ELi128ELi256ELb1ELi1EEvPKT_PKT0_S8_ifPKiSA_SA_iPKfiiiPfSD_PS3_PT2_iSC_SC_: ; @_Z39paged_attention_ll4mi_QKV_mfma16_kernelI14__hip_bfloat16hLN4vllm18Fp8KVCacheDataTypeE1ES0_Li16ELi128ELi256ELb1ELi1EEvPKT_PKT0_S8_ifPKiSA_SA_iPKfiiiPfSD_PS3_PT2_iSC_SC_
; %bb.0:
	s_load_dwordx2 s[8:9], s[0:1], 0x30
	s_mov_b32 s33, s3
	s_mov_b64 s[6:7], 0
	s_waitcnt lgkmcnt(0)
	s_cmp_lg_u64 s[8:9], 0
	s_cselect_b64 s[10:11], -1, 0
	s_and_b64 vcc, exec, s[10:11]
	s_cbranch_vccz .LBB1304_7
; %bb.1:
	s_add_i32 s12, s2, 1
	s_mov_b32 s13, 0
	s_lshl_b64 s[14:15], s[12:13], 2
	s_add_u32 s14, s8, s14
	s_mov_b32 s3, s13
	s_addc_u32 s15, s9, s15
	s_lshl_b64 s[12:13], s[2:3], 2
	s_add_u32 s12, s8, s12
	s_addc_u32 s13, s9, s13
	s_load_dword s5, s[14:15], 0x0
	s_load_dword s16, s[12:13], 0x0
	s_waitcnt lgkmcnt(0)
	s_sub_i32 s5, s5, s16
	s_cmp_eq_u32 s5, 1
	s_cselect_b64 s[12:13], -1, 0
	s_andn2_b64 vcc, exec, s[6:7]
	s_cbranch_vccnz .LBB1304_3
.LBB1304_2:
	s_mov_b32 s3, 0
	s_mov_b64 s[12:13], -1
.LBB1304_3:
	s_andn2_b64 vcc, exec, s[12:13]
	s_cbranch_vccnz .LBB1304_19
; %bb.4:
	s_load_dwordx2 s[6:7], s[0:1], 0x28
	s_lshl_b64 s[12:13], s[2:3], 2
	s_waitcnt lgkmcnt(0)
	s_add_u32 s6, s6, s12
	s_addc_u32 s7, s7, s13
	s_load_dword s38, s[6:7], 0x0
	s_lshl_b32 s16, s33, 8
	s_waitcnt lgkmcnt(0)
	s_cmp_ge_i32 s16, s38
	s_cbranch_scc1 .LBB1304_19
; %bb.5:
	s_load_dwordx2 s[6:7], s[0:1], 0x20
	s_load_dword s5, s[0:1], 0x38
	s_add_i32 s14, s38, 15
	s_ashr_i32 s15, s14, 31
	v_and_b32_e32 v1, 0xcf, v0
	s_lshr_b32 s15, s15, 28
	v_add_u32_e32 v1, s16, v1
	s_add_i32 s14, s14, s15
	v_ashrrev_i32_e32 v2, 31, v1
	s_ashr_i32 s17, s14, 4
	v_lshrrev_b32_e32 v4, 28, v2
	s_add_i32 s17, s17, -1
	s_waitcnt lgkmcnt(0)
	s_mul_i32 s14, s2, s5
	s_mov_b32 s15, 0
	v_add_u32_e32 v2, v1, v4
	s_lshl_b64 s[14:15], s[14:15], 2
	v_ashrrev_i32_e32 v2, 4, v2
	v_mov_b32_e32 v5, s17
	v_cmp_gt_i32_e32 vcc, s38, v1
	s_add_u32 s6, s6, s14
	s_addc_u32 s7, s7, s15
	v_cndmask_b32_e32 v2, v5, v2, vcc
	v_ashrrev_i32_e32 v3, 31, v2
	v_lshl_add_u64 v[6:7], v[2:3], 2, s[6:7]
	v_or_b32_e32 v2, 16, v1
	v_add_u32_e32 v3, v2, v4
	v_ashrrev_i32_e32 v3, 4, v3
	v_cmp_gt_i32_e32 vcc, s38, v2
	s_load_dwordx2 s[14:15], s[0:1], 0x8
	s_nop 0
	v_cndmask_b32_e32 v2, v5, v3, vcc
	v_ashrrev_i32_e32 v3, 31, v2
	v_lshl_add_u64 v[8:9], v[2:3], 2, s[6:7]
	v_or_b32_e32 v2, 32, v1
	v_add_u32_e32 v3, v2, v4
	v_ashrrev_i32_e32 v3, 4, v3
	v_cmp_gt_i32_e32 vcc, s38, v2
	v_or_b32_e32 v1, 48, v1
	s_nop 0
	v_cndmask_b32_e32 v2, v5, v3, vcc
	v_ashrrev_i32_e32 v3, 31, v2
	v_lshl_add_u64 v[10:11], v[2:3], 2, s[6:7]
	v_add_u32_e32 v2, v1, v4
	v_ashrrev_i32_e32 v2, 4, v2
	v_cmp_gt_i32_e32 vcc, s38, v1
	s_nop 1
	v_cndmask_b32_e32 v2, v5, v2, vcc
	v_ashrrev_i32_e32 v3, 31, v2
	v_lshl_add_u64 v[12:13], v[2:3], 2, s[6:7]
	global_load_dword v4, v[6:7], off
	global_load_dword v3, v[8:9], off
	;; [unrolled: 1-line block ×4, first 2 shown]
	s_andn2_b64 vcc, exec, s[10:11]
	s_cbranch_vccnz .LBB1304_8
; %bb.6:
	s_add_u32 s8, s8, s12
	s_addc_u32 s9, s9, s13
	s_load_dword s5, s[8:9], 0x0
	s_branch .LBB1304_9
.LBB1304_7:
	s_mov_b64 s[12:13], 0
	s_branch .LBB1304_2
.LBB1304_8:
	s_mov_b32 s5, s2
.LBB1304_9:
	s_load_dwordx2 s[8:9], s[0:1], 0x10
	s_load_dwordx4 s[44:47], s[0:1], 0x48
	v_lshrrev_b32_e32 v59, 6, v0
	v_bfe_u32 v56, v0, 4, 2
	v_and_b32_e32 v57, 15, v0
	v_lshl_or_b32 v1, v59, 2, v56
	v_lshlrev_b32_e32 v5, 3, v57
	v_cmp_eq_u32_e32 vcc, 0, v1
	v_lshlrev_b32_e32 v1, 1, v5
	v_lshlrev_b32_e32 v58, 4, v0
	s_and_saveexec_b64 s[10:11], vcc
	s_cbranch_execz .LBB1304_11
; %bb.10:
	s_load_dwordx2 s[12:13], s[0:1], 0x0
	s_waitcnt lgkmcnt(0)
	s_ashr_i32 s18, s44, 31
	s_mul_hi_u32 s19, s5, s44
	s_mul_i32 s18, s5, s18
	s_add_i32 s19, s19, s18
	s_mul_i32 s18, s5, s44
	s_lshl_b64 s[18:19], s[18:19], 1
	s_add_u32 s5, s12, s18
	s_addc_u32 s18, s13, s19
	s_lshl_b32 s12, s4, 7
	s_ashr_i32 s13, s12, 31
	s_lshl_b64 s[12:13], s[12:13], 1
	s_add_u32 s12, s5, s12
	s_addc_u32 s13, s18, s13
	global_load_dwordx4 v[6:9], v1, s[12:13]
	v_lshlrev_b32_e32 v5, 8, v0
	v_lshlrev_b32_e32 v10, 8, v57
	v_and_b32_e32 v5, 0x600, v5
	v_and_b32_e32 v10, 0x800, v10
	;; [unrolled: 1-line block ×3, first 2 shown]
	v_or3_b32 v5, v10, v5, v11
	s_waitcnt vmcnt(0)
	ds_write_b128 v5, v[6:9]
.LBB1304_11:
	s_or_b64 exec, exec, s[10:11]
	s_waitcnt lgkmcnt(0)
	s_mul_i32 s12, s4, s46
	s_add_u32 s10, s14, s12
	s_addc_u32 s11, s15, 0
	v_and_b32_e32 v54, 0xf0, v58
	v_mov_b32_e32 v55, 0
	v_and_b32_e32 v50, 48, v0
	v_lshl_add_u64 v[16:17], s[10:11], 0, v[54:55]
	v_lshlrev_b32_e32 v54, 4, v50
	s_waitcnt vmcnt(3)
	v_mad_i64_i32 v[4:5], s[10:11], v4, s45, v[16:17]
	v_lshl_add_u64 v[4:5], v[4:5], 0, v[54:55]
	s_barrier
	global_load_dwordx4 v[46:49], v[4:5], off
	global_load_dwordx4 v[18:21], v[4:5], off offset:1024
	s_waitcnt vmcnt(4)
	v_mad_i64_i32 v[4:5], s[10:11], v3, s45, v[16:17]
	s_waitcnt vmcnt(3)
	v_mad_i64_i32 v[2:3], s[10:11], v2, s45, v[16:17]
	;; [unrolled: 2-line block ×3, first 2 shown]
	v_lshl_add_u64 v[4:5], v[4:5], 0, v[54:55]
	v_lshl_add_u64 v[22:23], v[2:3], 0, v[54:55]
	v_lshl_add_u64 v[14:15], v[14:15], 0, v[54:55]
	global_load_dwordx4 v[10:13], v[4:5], off
	global_load_dwordx4 v[6:9], v[4:5], off offset:1024
	s_nop 0
	global_load_dwordx4 v[2:5], v[22:23], off
	global_load_dwordx4 v[42:45], v[22:23], off offset:1024
	global_load_dwordx4 v[34:37], v[14:15], off
	s_nop 0
	global_load_dwordx4 v[22:25], v[14:15], off offset:1024
	v_lshlrev_b32_e32 v14, 9, v56
	ds_read_b128 v[38:41], v14
	ds_read_b128 v[30:33], v14 offset:16
	ds_read_b128 v[26:29], v14 offset:2048
	;; [unrolled: 1-line block ×3, first 2 shown]
	v_and_b32_e32 v60, 63, v0
	v_cmp_eq_u32_e32 vcc, 0, v57
	v_mov_b32_e32 v61, 0
	s_and_saveexec_b64 s[10:11], vcc
	s_cbranch_execz .LBB1304_13
; %bb.12:
	s_load_dwordx2 s[14:15], s[0:1], 0x40
	s_ashr_i32 s5, s4, 31
	s_lshl_b64 s[18:19], s[4:5], 2
	s_waitcnt lgkmcnt(0)
	s_add_u32 s14, s14, s18
	s_addc_u32 s15, s15, s19
	s_load_dword s5, s[14:15], 0x0
	s_waitcnt lgkmcnt(0)
	v_mov_b32_e32 v61, s5
.LBB1304_13:
	s_or_b64 exec, exec, s[10:11]
	s_waitcnt vmcnt(7)
	v_cvt_pk_f32_fp8_e32 v[64:65], v46
	v_cvt_pk_f32_fp8_sdwa v[66:67], v46 src0_sel:WORD_1
	s_mov_b32 s5, 0x7060302
	v_cvt_pk_f32_fp8_e32 v[68:69], v47
	v_perm_b32 v64, v65, v64, s5
	v_perm_b32 v65, v67, v66, s5
	v_cvt_pk_f32_fp8_sdwa v[46:47], v47 src0_sel:WORD_1
	v_perm_b32 v68, v69, v68, s5
	v_cvt_pk_f32_fp8_e32 v[70:71], v48
	v_cvt_pk_f32_fp8_sdwa v[72:73], v48 src0_sel:WORD_1
	v_perm_b32 v69, v47, v46, s5
	s_waitcnt lgkmcnt(3)
	v_mfma_f32_16x16x16_bf16 v[64:67], v[64:65], v[38:39], 0
	v_or_b32_e32 v54, s16, v50
	v_ashrrev_i32_e32 v50, 4, v54
	v_mov_b32_e32 v63, s17
	v_cmp_gt_i32_e32 vcc, s38, v54
	v_perm_b32 v70, v71, v70, s5
	v_perm_b32 v71, v73, v72, s5
	v_cvt_pk_f32_fp8_e32 v[72:73], v49
	v_cvt_pk_f32_fp8_sdwa v[74:75], v49 src0_sel:WORD_1
	v_cndmask_b32_e32 v50, v63, v50, vcc
	v_mfma_f32_16x16x16_bf16 v[46:49], v[68:69], v[40:41], v[64:67]
	v_ashrrev_i32_e32 v51, 31, v50
	v_lshl_add_u64 v[50:51], v[50:51], 2, s[6:7]
	s_load_dword s10, s[0:1], 0x1c
	s_load_dwordx4 s[40:43], s[0:1], 0x80
	global_load_dword v62, v[50:51], off
	v_or_b32_e32 v50, 64, v54
	v_perm_b32 v64, v73, v72, s5
	v_perm_b32 v65, v75, v74, s5
	v_ashrrev_i32_e32 v51, 4, v50
	v_cmp_gt_i32_e32 vcc, s38, v50
	s_waitcnt lgkmcnt(0)
	v_mfma_f32_16x16x16_bf16 v[46:49], v[70:71], v[30:31], v[46:49]
	s_waitcnt vmcnt(7)
	v_cvt_pk_f32_fp8_e32 v[68:69], v18
	v_cndmask_b32_e32 v50, v63, v51, vcc
	v_ashrrev_i32_e32 v51, 31, v50
	v_lshl_add_u64 v[52:53], v[50:51], 2, s[6:7]
	v_mfma_f32_16x16x16_bf16 v[46:49], v[64:65], v[32:33], v[46:49]
	global_load_dword v64, v[52:53], off
	v_or_b32_e32 v50, 0x80, v54
	v_ashrrev_i32_e32 v51, 4, v50
	v_cmp_gt_i32_e32 vcc, s38, v50
	v_or_b32_e32 v54, 0xc0, v54
	v_ashrrev_i32_e32 v66, 4, v54
	v_cndmask_b32_e32 v50, v63, v51, vcc
	v_cmp_gt_i32_e32 vcc, s38, v54
	v_ashrrev_i32_e32 v51, 31, v50
	v_lshl_add_u64 v[50:51], v[50:51], 2, s[6:7]
	v_cndmask_b32_e32 v66, v63, v66, vcc
	v_ashrrev_i32_e32 v67, 31, v66
	v_lshl_add_u64 v[66:67], v[66:67], 2, s[6:7]
	global_load_dword v66, v[66:67], off
	v_cvt_pk_f32_fp8_sdwa v[70:71], v18 src0_sel:WORD_1
	global_load_dword v65, v[50:51], off
	v_cvt_pk_f32_fp8_e32 v[52:53], v19
	v_perm_b32 v68, v69, v68, s5
	v_perm_b32 v69, v71, v70, s5
	v_cvt_pk_f32_fp8_sdwa v[18:19], v19 src0_sel:WORD_1
	v_perm_b32 v52, v53, v52, s5
	v_cvt_pk_f32_fp8_e32 v[70:71], v20
	v_cvt_pk_f32_fp8_sdwa v[72:73], v20 src0_sel:WORD_1
	v_perm_b32 v53, v19, v18, s5
	v_mfma_f32_16x16x16_bf16 v[46:49], v[68:69], v[26:27], v[46:49]
	v_perm_b32 v68, v71, v70, s5
	v_perm_b32 v69, v73, v72, s5
	v_cvt_pk_f32_fp8_e32 v[70:71], v21
	v_cvt_pk_f32_fp8_sdwa v[72:73], v21 src0_sel:WORD_1
	v_mfma_f32_16x16x16_bf16 v[18:21], v[52:53], v[28:29], v[46:49]
	s_waitcnt vmcnt(9)
	v_cvt_pk_f32_fp8_e32 v[50:51], v10
	v_cvt_pk_f32_fp8_sdwa v[52:53], v10 src0_sel:WORD_1
	s_add_u32 s6, s8, s12
	v_perm_b32 v46, v71, v70, s5
	v_perm_b32 v47, v73, v72, s5
	v_mfma_f32_16x16x16_bf16 v[18:21], v[68:69], v[14:15], v[18:21]
	v_cvt_pk_f32_fp8_sdwa v[68:69], v12 src0_sel:WORD_1
	v_cvt_pk_f32_fp8_sdwa v[70:71], v13 src0_sel:WORD_1
	v_lshl_or_b32 v63, v59, 4, v57
	v_mfma_f32_16x16x16_bf16 v[46:49], v[46:47], v[16:17], v[18:21]
	s_waitcnt vmcnt(7)
	v_cvt_pk_f32_fp8_e32 v[72:73], v5
	s_addc_u32 s7, s9, 0
	v_lshlrev_b32_e32 v54, 4, v63
	v_cvt_pk_f32_fp8_e32 v[18:19], v11
	v_perm_b32 v20, v51, v50, s5
	v_perm_b32 v21, v53, v52, s5
	v_cvt_pk_f32_fp8_sdwa v[10:11], v11 src0_sel:WORD_1
	v_perm_b32 v50, v19, v18, s5
	v_cvt_pk_f32_fp8_e32 v[52:53], v12
	v_mfma_f32_16x16x16_bf16 v[18:21], v[20:21], v[38:39], 0
	v_perm_b32 v51, v11, v10, s5
	v_perm_b32 v52, v53, v52, s5
	;; [unrolled: 1-line block ×3, first 2 shown]
	v_cvt_pk_f32_fp8_e32 v[68:69], v13
	v_mfma_f32_16x16x16_bf16 v[10:13], v[50:51], v[40:41], v[18:21]
	v_cvt_pk_f32_fp8_sdwa v[50:51], v6 src0_sel:WORD_1
	s_waitcnt vmcnt(6)
	v_cvt_pk_f32_fp8_sdwa v[78:79], v44 src0_sel:WORD_1
	v_perm_b32 v18, v69, v68, s5
	v_perm_b32 v19, v71, v70, s5
	v_mfma_f32_16x16x16_bf16 v[10:13], v[52:53], v[30:31], v[10:13]
	v_cvt_pk_f32_fp8_e32 v[20:21], v6
	v_cvt_pk_f32_fp8_sdwa v[52:53], v8 src0_sel:WORD_1
	v_lshl_add_u64 v[68:69], s[6:7], 0, v[54:55]
	v_mfma_f32_16x16x16_bf16 v[10:13], v[18:19], v[32:33], v[10:13]
	v_cvt_pk_f32_fp8_e32 v[18:19], v7
	v_perm_b32 v20, v21, v20, s5
	v_perm_b32 v21, v51, v50, s5
	v_cvt_pk_f32_fp8_sdwa v[6:7], v7 src0_sel:WORD_1
	v_perm_b32 v18, v19, v18, s5
	v_cvt_pk_f32_fp8_e32 v[50:51], v8
	v_mfma_f32_16x16x16_bf16 v[10:13], v[20:21], v[26:27], v[10:13]
	v_perm_b32 v19, v7, v6, s5
	v_perm_b32 v20, v51, v50, s5
	;; [unrolled: 1-line block ×3, first 2 shown]
	v_cvt_pk_f32_fp8_e32 v[50:51], v9
	v_cvt_pk_f32_fp8_sdwa v[52:53], v9 src0_sel:WORD_1
	v_mfma_f32_16x16x16_bf16 v[6:9], v[18:19], v[28:29], v[10:13]
	v_cvt_pk_f32_fp8_sdwa v[18:19], v2 src0_sel:WORD_1
	s_waitcnt vmcnt(2)
	v_mad_i64_i32 v[70:71], s[8:9], v64, s45, v[68:69]
	v_perm_b32 v10, v51, v50, s5
	v_perm_b32 v11, v53, v52, s5
	v_mfma_f32_16x16x16_bf16 v[6:9], v[20:21], v[14:15], v[6:9]
	v_cvt_pk_f32_fp8_e32 v[12:13], v2
	v_or_b32_e32 v54, 0x400, v54
	s_waitcnt vmcnt(1)
	v_mad_i64_i32 v[74:75], s[8:9], v66, s45, v[68:69]
	v_mfma_f32_16x16x16_bf16 v[50:53], v[10:11], v[16:17], v[6:9]
	v_mad_i64_i32 v[10:11], s[8:9], v62, s45, v[68:69]
	s_nop 1
	v_perm_b32 v6, v13, v12, s5
	v_perm_b32 v7, v19, v18, s5
	v_cvt_pk_f32_fp8_e32 v[8:9], v3
	v_cvt_pk_f32_fp8_sdwa v[2:3], v3 src0_sel:WORD_1
	v_cvt_pk_f32_fp8_sdwa v[18:19], v4 src0_sel:WORD_1
	v_perm_b32 v12, v9, v8, s5
	v_perm_b32 v13, v3, v2, s5
	v_cvt_pk_f32_fp8_e32 v[2:3], v4
	v_mfma_f32_16x16x16_bf16 v[6:9], v[6:7], v[38:39], 0
	v_cvt_pk_f32_fp8_sdwa v[4:5], v5 src0_sel:WORD_1
	v_perm_b32 v2, v3, v2, s5
	v_perm_b32 v3, v19, v18, s5
	v_mfma_f32_16x16x16_bf16 v[6:9], v[12:13], v[40:41], v[6:9]
	global_load_dwordx4 v[18:21], v[10:11], off
	s_nop 0
	global_load_dwordx4 v[10:13], v[70:71], off
	v_perm_b32 v70, v73, v72, s5
	v_perm_b32 v71, v5, v4, s5
	v_mfma_f32_16x16x16_bf16 v[2:5], v[2:3], v[30:31], v[6:9]
	s_waitcnt vmcnt(2)
	v_mad_i64_i32 v[72:73], s[8:9], v65, s45, v[68:69]
	s_nop 0
	v_cvt_pk_f32_fp8_e32 v[6:7], v42
	v_cvt_pk_f32_fp8_sdwa v[8:9], v42 src0_sel:WORD_1
	v_mfma_f32_16x16x16_bf16 v[2:5], v[70:71], v[32:33], v[2:5]
	v_perm_b32 v6, v7, v6, s5
	v_perm_b32 v7, v9, v8, s5
	v_cvt_pk_f32_fp8_e32 v[8:9], v43
	v_cvt_pk_f32_fp8_sdwa v[42:43], v43 src0_sel:WORD_1
	v_mfma_f32_16x16x16_bf16 v[68:71], v[6:7], v[26:27], v[2:5]
	v_perm_b32 v76, v9, v8, s5
	v_perm_b32 v77, v43, v42, s5
	v_cvt_pk_f32_fp8_e32 v[42:43], v44
	global_load_dwordx4 v[6:9], v[72:73], off
	global_load_dwordx4 v[2:5], v[74:75], off
	v_perm_b32 v73, v79, v78, s5
	v_cvt_pk_f32_fp8_e32 v[74:75], v45
	v_perm_b32 v72, v43, v42, s5
	v_cvt_pk_f32_fp8_sdwa v[78:79], v45 src0_sel:WORD_1
	v_mfma_f32_16x16x16_bf16 v[42:45], v[76:77], v[28:29], v[68:71]
	v_cvt_pk_f32_fp8_sdwa v[76:77], v36 src0_sel:WORD_1
	s_load_dword s8, s[40:41], 0x0
	s_mov_b32 s40, 0xff7fffff
	v_perm_b32 v68, v75, v74, s5
	v_perm_b32 v69, v79, v78, s5
	v_mfma_f32_16x16x16_bf16 v[42:45], v[72:73], v[14:15], v[42:45]
	v_cvt_pk_f32_fp8_e32 v[72:73], v34
	v_cvt_pk_f32_fp8_sdwa v[74:75], v34 src0_sel:WORD_1
	v_mfma_f32_16x16x16_bf16 v[68:71], v[68:69], v[16:17], v[42:45]
	s_nop 3
	v_cvt_pk_f32_fp8_e32 v[42:43], v35
	v_perm_b32 v44, v73, v72, s5
	v_perm_b32 v45, v75, v74, s5
	v_cvt_pk_f32_fp8_sdwa v[34:35], v35 src0_sel:WORD_1
	v_perm_b32 v72, v43, v42, s5
	v_cvt_pk_f32_fp8_e32 v[74:75], v36
	v_mfma_f32_16x16x16_bf16 v[42:45], v[44:45], v[38:39], 0
	v_perm_b32 v73, v35, v34, s5
	v_perm_b32 v38, v75, v74, s5
	;; [unrolled: 1-line block ×3, first 2 shown]
	v_cvt_pk_f32_fp8_e32 v[74:75], v37
	v_cvt_pk_f32_fp8_sdwa v[76:77], v37 src0_sel:WORD_1
	v_mfma_f32_16x16x16_bf16 v[34:37], v[72:73], v[40:41], v[42:45]
	v_perm_b32 v40, v75, v74, s5
	v_perm_b32 v41, v77, v76, s5
	v_mfma_f32_16x16x16_bf16 v[34:37], v[38:39], v[30:31], v[34:37]
	v_cvt_pk_f32_fp8_sdwa v[38:39], v22 src0_sel:WORD_1
	v_mov_b32_e32 v42, s10
	s_waitcnt lgkmcnt(0)
	v_mul_f32_e32 v72, s8, v42
	v_mfma_f32_16x16x16_bf16 v[32:35], v[40:41], v[32:33], v[34:37]
	v_cvt_pk_f32_fp8_e32 v[40:41], v23
	v_cvt_pk_f32_fp8_sdwa v[42:43], v24 src0_sel:WORD_1
	v_cvt_pk_f32_fp8_sdwa v[44:45], v25 src0_sel:WORD_1
	v_cvt_pk_f32_fp8_e32 v[36:37], v22
	v_cvt_pk_f32_fp8_sdwa v[22:23], v23 src0_sel:WORD_1
	v_pk_mul_f32 v[48:49], v[72:73], v[48:49] op_sel_hi:[0,1]
	v_pk_mul_f32 v[30:31], v[72:73], v[46:47] op_sel_hi:[0,1]
	v_perm_b32 v36, v37, v36, s5
	v_perm_b32 v37, v39, v38, s5
	;; [unrolled: 1-line block ×4, first 2 shown]
	v_cvt_pk_f32_fp8_e32 v[40:41], v24
	v_mfma_f32_16x16x16_bf16 v[32:35], v[36:37], v[26:27], v[32:35]
	v_perm_b32 v37, v43, v42, s5
	v_perm_b32 v36, v41, v40, s5
	v_cvt_pk_f32_fp8_e32 v[42:43], v25
	v_mfma_f32_16x16x16_bf16 v[24:27], v[38:39], v[28:29], v[32:35]
	v_perm_b32 v29, v45, v44, s5
	v_pk_mul_f32 v[40:41], v[72:73], v[52:53] op_sel_hi:[0,1]
	v_perm_b32 v28, v43, v42, s5
	v_mfma_f32_16x16x16_bf16 v[24:27], v[36:37], v[14:15], v[24:27]
	v_pk_mul_f32 v[44:45], v[72:73], v[50:51] op_sel_hi:[0,1]
	v_pk_mul_f32 v[38:39], v[72:73], v[70:71] op_sel_hi:[0,1]
	;; [unrolled: 1-line block ×3, first 2 shown]
	v_mfma_f32_16x16x16_bf16 v[14:17], v[28:29], v[16:17], v[24:27]
	v_lshl_add_u64 v[22:23], s[6:7], 0, v[54:55]
	s_nop 5
	v_pk_mul_f32 v[36:37], v[72:73], v[14:15] op_sel_hi:[0,1]
	v_and_b32_e32 v14, 0xc0, v0
	v_add_u32_e32 v14, s16, v14
	v_lshl_or_b32 v14, v56, 2, v14
	v_or_b32_e32 v15, 1, v14
	v_pk_mul_f32 v[34:35], v[72:73], v[16:17] op_sel_hi:[0,1]
	v_subrev_u32_e32 v16, s38, v15
	v_add_u32_e32 v24, 1, v16
	v_add_u32_e32 v25, 2, v16
	v_cvt_f32_i32_e32 v17, v16
	v_cvt_f32_i32_e32 v24, v24
	;; [unrolled: 1-line block ×3, first 2 shown]
	v_add_u32_e32 v26, 3, v16
	v_fma_f32 v28, v61, v17, v30
	v_fmac_f32_e32 v31, v61, v24
	v_fma_f32 v29, v61, v25, v48
	v_add_u32_e32 v17, 16, v16
	v_add_u32_e32 v24, 17, v16
	;; [unrolled: 1-line block ×3, first 2 shown]
	v_cvt_f32_i32_e32 v26, v26
	v_cvt_f32_i32_e32 v17, v17
	;; [unrolled: 1-line block ×4, first 2 shown]
	v_fmac_f32_e32 v49, v61, v26
	v_add_u32_e32 v26, 19, v16
	v_fma_f32 v44, v61, v17, v44
	v_fmac_f32_e32 v45, v61, v24
	v_fma_f32 v40, v61, v25, v40
	v_add_u32_e32 v17, 32, v16
	v_add_u32_e32 v24, 33, v16
	v_add_u32_e32 v25, 34, v16
	v_cvt_f32_i32_e32 v26, v26
	v_cvt_f32_i32_e32 v17, v17
	;; [unrolled: 1-line block ×4, first 2 shown]
	v_fmac_f32_e32 v41, v61, v26
	v_add_u32_e32 v26, 35, v16
	v_fma_f32 v42, v61, v17, v42
	v_fmac_f32_e32 v43, v61, v24
	v_fma_f32 v38, v61, v25, v38
	v_add_u32_e32 v17, 48, v16
	v_add_u32_e32 v24, 49, v16
	;; [unrolled: 1-line block ×4, first 2 shown]
	v_cvt_f32_i32_e32 v16, v16
	v_cvt_f32_i32_e32 v17, v17
	;; [unrolled: 1-line block ×3, first 2 shown]
	v_cmp_gt_i32_e64 s[36:37], s38, v14
	v_fmac_f32_e32 v35, v61, v16
	v_mov_b32_e32 v16, 0xff7fffff
	v_cmp_gt_i32_e64 s[24:25], s38, v15
	v_fma_f32 v36, v61, v17, v36
	v_cndmask_b32_e64 v17, v16, v28, s[36:37]
	v_cndmask_b32_e64 v15, v16, v31, s[24:25]
	v_fmac_f32_e32 v37, v61, v24
	v_max3_f32 v15, v17, s40, v15
	v_or_b32_e32 v17, 2, v14
	v_or_b32_e32 v24, 3, v14
	v_cmp_gt_i32_e64 s[28:29], s38, v17
	v_cmp_gt_i32_e64 s[34:35], s38, v24
	v_cvt_f32_i32_e32 v26, v26
	v_cndmask_b32_e64 v17, v16, v29, s[28:29]
	v_cndmask_b32_e64 v24, v16, v49, s[34:35]
	v_max3_f32 v15, v15, v17, v24
	v_or_b32_e32 v17, 16, v14
	v_or_b32_e32 v24, 17, v14
	v_cmp_gt_i32_e64 s[18:19], s38, v17
	v_cmp_gt_i32_e64 s[22:23], s38, v24
	v_fmac_f32_e32 v39, v61, v26
	v_cndmask_b32_e64 v17, v16, v44, s[18:19]
	v_cndmask_b32_e64 v24, v16, v45, s[22:23]
	v_max3_f32 v15, v15, v17, v24
	v_or_b32_e32 v17, 18, v14
	v_or_b32_e32 v24, 19, v14
	v_cmp_gt_i32_e64 s[26:27], s38, v17
	v_cmp_gt_i32_e64 s[30:31], s38, v24
	v_cvt_f32_i32_e32 v25, v25
	v_cndmask_b32_e64 v17, v16, v40, s[26:27]
	v_cndmask_b32_e64 v24, v16, v41, s[30:31]
	v_max3_f32 v15, v15, v17, v24
	v_or_b32_e32 v17, 32, v14
	v_or_b32_e32 v24, 33, v14
	v_cmp_gt_i32_e64 s[12:13], s38, v17
	v_cmp_gt_i32_e64 s[14:15], s38, v24
	v_fma_f32 v34, v61, v25, v34
	v_cndmask_b32_e64 v17, v16, v42, s[12:13]
	v_cndmask_b32_e64 v24, v16, v43, s[14:15]
	v_max3_f32 v15, v15, v17, v24
	v_or_b32_e32 v17, 34, v14
	v_or_b32_e32 v24, 35, v14
	v_cmp_gt_i32_e64 s[16:17], s38, v17
	v_cmp_gt_i32_e64 s[20:21], s38, v24
	s_nop 0
	v_cndmask_b32_e64 v17, v16, v38, s[16:17]
	v_cndmask_b32_e64 v24, v16, v39, s[20:21]
	v_max3_f32 v15, v15, v17, v24
	v_or_b32_e32 v17, 48, v14
	v_or_b32_e32 v24, 49, v14
	v_cmp_gt_i32_e64 s[8:9], s38, v17
	v_cmp_gt_i32_e64 s[10:11], s38, v24
	s_nop 0
	v_cndmask_b32_e64 v17, v16, v36, s[8:9]
	v_cndmask_b32_e64 v24, v16, v37, s[10:11]
	v_max3_f32 v15, v15, v17, v24
	v_or_b32_e32 v17, 50, v14
	v_or_b32_e32 v14, 51, v14
	v_cmp_gt_i32_e32 vcc, s38, v17
	v_cmp_gt_i32_e64 s[6:7], s38, v14
	s_nop 0
	v_cndmask_b32_e32 v17, v16, v34, vcc
	v_cndmask_b32_e64 v14, v16, v35, s[6:7]
	v_max3_f32 v24, v15, v17, v14
	v_mbcnt_lo_u32_b32 v14, -1, 0
	v_mbcnt_hi_u32_b32 v25, -1, v14
	v_and_b32_e32 v14, 64, v25
	v_add_u32_e32 v26, 64, v14
	v_xor_b32_e32 v14, 32, v25
	v_cmp_lt_i32_e64 s[38:39], v14, v26
	s_nop 1
	v_cndmask_b32_e64 v14, v25, v14, s[38:39]
	v_lshlrev_b32_e32 v51, 2, v14
	ds_bpermute_b32 v27, v51, v24
	v_mad_i64_i32 v[14:15], s[38:39], v62, s45, v[22:23]
	v_mad_i64_i32 v[16:17], s[38:39], v64, s45, v[22:23]
	s_waitcnt lgkmcnt(0)
	v_max_f32_e32 v27, v27, v27
	v_max_f32_e32 v24, v24, v27
	v_xor_b32_e32 v27, 16, v25
	v_cmp_lt_i32_e64 s[38:39], v27, v26
	s_nop 1
	v_cndmask_b32_e64 v25, v25, v27, s[38:39]
	v_lshlrev_b32_e32 v54, 2, v25
	ds_bpermute_b32 v25, v54, v24
	v_mad_i64_i32 v[26:27], s[38:39], v65, s45, v[22:23]
	v_mad_i64_i32 v[52:53], s[38:39], v66, s45, v[22:23]
	s_waitcnt lgkmcnt(0)
	v_max_f32_e32 v22, v25, v25
	v_max_f32_e32 v50, v24, v22
	v_sub_f32_e32 v46, v31, v50
	global_load_dwordx4 v[30:33], v[14:15], off
	global_load_dwordx4 v[22:25], v[16:17], off
	v_sub_f32_e32 v14, v28, v50
	v_mul_f32_e32 v14, 0x3fb8aa3b, v14
	v_mul_f32_e32 v15, 0x3fb8aa3b, v46
	v_exp_f32_e32 v14, v14
	v_exp_f32_e32 v47, v15
	v_sub_f32_e32 v15, v29, v50
	v_mul_f32_e32 v15, 0x3fb8aa3b, v15
	v_exp_f32_e32 v48, v15
	v_sub_f32_e32 v15, v49, v50
	v_mul_f32_e32 v15, 0x3fb8aa3b, v15
	v_exp_f32_e32 v49, v15
	v_cndmask_b32_e64 v46, 0, v14, s[36:37]
	global_load_dwordx4 v[26:29], v[26:27], off
	s_nop 0
	global_load_dwordx4 v[14:17], v[52:53], off
	v_sub_f32_e32 v44, v44, v50
	v_sub_f32_e32 v40, v40, v50
	v_mul_f32_e32 v44, 0x3fb8aa3b, v44
	v_mul_f32_e32 v40, 0x3fb8aa3b, v40
	v_exp_f32_e32 v44, v44
	v_exp_f32_e32 v52, v40
	v_sub_f32_e32 v45, v45, v50
	v_sub_f32_e32 v40, v41, v50
	;; [unrolled: 1-line block ×4, first 2 shown]
	v_mul_f32_e32 v45, 0x3fb8aa3b, v45
	v_mul_f32_e32 v40, 0x3fb8aa3b, v40
	;; [unrolled: 1-line block ×4, first 2 shown]
	v_exp_f32_e32 v45, v45
	v_exp_f32_e32 v53, v40
	v_cndmask_b32_e64 v40, 0, v44, s[18:19]
	v_cndmask_b32_e64 v44, 0, v52, s[26:27]
	v_exp_f32_e32 v42, v42
	v_exp_f32_e32 v52, v38
	v_sub_f32_e32 v38, v39, v50
	v_mul_f32_e32 v38, 0x3fb8aa3b, v38
	v_cndmask_b32_e64 v47, 0, v47, s[24:25]
	v_cndmask_b32_e64 v41, 0, v45, s[22:23]
	;; [unrolled: 1-line block ×3, first 2 shown]
	v_exp_f32_e32 v53, v38
	v_cndmask_b32_e64 v38, 0, v42, s[12:13]
	v_cndmask_b32_e64 v42, 0, v52, s[16:17]
	v_add_f32_e32 v52, 0, v46
	v_cndmask_b32_e64 v48, 0, v48, s[28:29]
	v_add_f32_e32 v52, v52, v47
	v_cndmask_b32_e64 v49, 0, v49, s[34:35]
	v_sub_f32_e32 v43, v43, v50
	v_add_f32_e32 v52, v52, v48
	v_mul_f32_e32 v43, 0x3fb8aa3b, v43
	v_add_f32_e32 v52, v52, v49
	v_exp_f32_e32 v43, v43
	v_add_f32_e32 v52, v52, v40
	v_add_f32_e32 v52, v52, v41
	v_sub_f32_e32 v36, v36, v50
	v_add_f32_e32 v52, v52, v44
	v_mul_f32_e32 v36, 0x3fb8aa3b, v36
	v_sub_f32_e32 v37, v37, v50
	v_add_f32_e32 v52, v52, v45
	v_exp_f32_e32 v36, v36
	v_mul_f32_e32 v37, 0x3fb8aa3b, v37
	v_sub_f32_e32 v34, v34, v50
	v_cndmask_b32_e64 v39, 0, v43, s[14:15]
	v_add_f32_e32 v52, v52, v38
	v_exp_f32_e32 v37, v37
	v_mul_f32_e32 v34, 0x3fb8aa3b, v34
	v_sub_f32_e32 v35, v35, v50
	v_add_f32_e32 v52, v52, v39
	v_exp_f32_e32 v34, v34
	v_mul_f32_e32 v35, 0x3fb8aa3b, v35
	v_cndmask_b32_e64 v43, 0, v53, s[20:21]
	v_add_f32_e32 v52, v52, v42
	v_exp_f32_e32 v35, v35
	v_add_f32_e32 v52, v52, v43
	v_cndmask_b32_e64 v36, 0, v36, s[8:9]
	v_add_f32_e32 v52, v52, v36
	v_cndmask_b32_e64 v37, 0, v37, s[10:11]
	v_add_f32_e32 v52, v52, v37
	v_cndmask_b32_e32 v34, 0, v34, vcc
	v_add_f32_e32 v52, v52, v34
	v_cndmask_b32_e64 v35, 0, v35, s[6:7]
	v_add_f32_e32 v52, v52, v35
	ds_bpermute_b32 v51, v51, v52
	v_cmp_lt_u32_e64 s[6:7], 15, v60
	v_cmp_gt_u32_e32 vcc, 16, v60
	s_waitcnt lgkmcnt(0)
	s_barrier
	v_add_f32_e32 v51, v52, v51
	ds_bpermute_b32 v52, v54, v51
	s_waitcnt lgkmcnt(0)
	s_and_saveexec_b64 s[8:9], vcc
	s_cbranch_execz .LBB1304_15
; %bb.14:
	v_add_f32_e32 v51, v51, v52
	v_lshlrev_b32_e32 v52, 2, v63
	ds_write2st64_b32 v52, v50, v51 offset1:1
.LBB1304_15:
	s_or_b64 exec, exec, s[8:9]
	v_lshlrev_b32_e32 v51, 2, v57
	s_load_dwordx2 s[8:9], s[0:1], 0x94
	s_waitcnt lgkmcnt(0)
	s_barrier
	ds_read2_b32 v[52:53], v51 offset1:16
	ds_read2_b32 v[54:55], v51 offset0:32 offset1:48
	ds_read2_b32 v[60:61], v51 offset0:64 offset1:80
	s_movk_i32 s12, 0x7fff
	s_waitcnt lgkmcnt(2)
	v_max3_f32 v50, v52, s40, v53
	s_waitcnt lgkmcnt(1)
	v_max3_f32 v50, v50, v54, v55
	v_sub_f32_e32 v52, v52, v50
	v_mul_f32_e32 v52, 0x3fb8aa3b, v52
	v_exp_f32_e32 v62, v52
	v_sub_f32_e32 v52, v53, v50
	v_mul_f32_e32 v52, 0x3fb8aa3b, v52
	v_exp_f32_e32 v63, v52
	;; [unrolled: 3-line block ×3, first 2 shown]
	ds_read2_b32 v[52:53], v51 offset0:96 offset1:112
	v_sub_f32_e32 v51, v55, v50
	v_mul_f32_e32 v51, 0x3fb8aa3b, v51
	v_exp_f32_e32 v55, v51
	s_waitcnt lgkmcnt(1)
	v_fma_f32 v51, v62, v60, 0
	v_fmac_f32_e32 v51, v63, v61
	s_waitcnt lgkmcnt(0)
	v_fmac_f32_e32 v51, v54, v52
	v_fmac_f32_e32 v51, v55, v53
	v_add_f32_e32 v53, 0x358637bd, v51
	v_div_scale_f32 v60, s[10:11], v53, v53, 1.0
	v_rcp_f32_e32 v61, v60
	s_barrier
	v_fma_f32 v64, -v60, v61, 1.0
	v_fmac_f32_e32 v61, v64, v61
	v_div_scale_f32 v64, vcc, 1.0, v53, 1.0
	v_mul_f32_e32 v65, v64, v61
	v_fma_f32 v66, -v60, v65, v64
	v_fmac_f32_e32 v65, v66, v61
	v_fma_f32 v60, -v60, v65, v64
	v_div_fmas_f32 v60, v60, v61, v65
	v_cmp_eq_u32_e32 vcc, 1, v59
	v_div_fixup_f32 v53, v60, v53, 1.0
	v_mov_b32_e32 v52, 0
	v_cndmask_b32_e32 v60, v62, v63, vcc
	v_cmp_eq_u32_e32 vcc, 2, v59
	s_nop 1
	v_cndmask_b32_e32 v54, v60, v54, vcc
	v_cmp_eq_u32_e32 vcc, 3, v59
	s_nop 1
	v_cndmask_b32_e32 v54, v54, v55, vcc
	v_mul_f32_e32 v60, v54, v53
	v_pk_mul_f32 v[46:47], v[60:61], v[46:47] op_sel_hi:[0,1]
	v_bfe_u32 v53, v47, 16, 1
	v_bfe_u32 v54, v46, 16, 1
	v_pk_mul_f32 v[48:49], v[60:61], v[48:49] op_sel_hi:[0,1]
	v_add3_u32 v46, v46, v54, s12
	v_add3_u32 v47, v47, v53, s12
	v_perm_b32 v62, v47, v46, s5
	v_bfe_u32 v46, v49, 16, 1
	v_bfe_u32 v47, v48, 16, 1
	v_add3_u32 v47, v48, v47, s12
	v_add3_u32 v46, v49, v46, s12
	v_perm_b32 v63, v46, v47, s5
	v_lshlrev_b32_e32 v47, 3, v56
	v_lshlrev_b32_e32 v46, 5, v57
	v_lshlrev_b32_e32 v48, 11, v59
	v_pk_mul_f32 v[40:41], v[60:61], v[40:41] op_sel_hi:[0,1]
	v_or3_b32 v54, v48, v46, v47
	v_bfe_u32 v47, v41, 16, 1
	v_bfe_u32 v48, v40, 16, 1
	v_pk_mul_f32 v[44:45], v[60:61], v[44:45] op_sel_hi:[0,1]
	v_add3_u32 v40, v40, v48, s12
	v_add3_u32 v41, v41, v47, s12
	v_perm_b32 v40, v41, v40, s5
	v_bfe_u32 v41, v45, 16, 1
	v_bfe_u32 v47, v44, 16, 1
	v_add3_u32 v44, v44, v47, s12
	v_add3_u32 v41, v45, v41, s12
	v_perm_b32 v41, v41, v44, s5
	v_pk_mul_f32 v[38:39], v[60:61], v[38:39] op_sel_hi:[0,1]
	ds_write2st64_b64 v54, v[62:63], v[40:41] offset1:1
	v_pk_mul_f32 v[40:41], v[60:61], v[42:43] op_sel_hi:[0,1]
	v_bfe_u32 v42, v39, 16, 1
	v_bfe_u32 v43, v38, 16, 1
	v_add3_u32 v38, v38, v43, s12
	v_add3_u32 v39, v39, v42, s12
	v_perm_b32 v38, v39, v38, s5
	v_bfe_u32 v39, v41, 16, 1
	v_bfe_u32 v42, v40, 16, 1
	v_add3_u32 v40, v40, v42, s12
	v_add3_u32 v39, v41, v39, s12
	v_pk_mul_f32 v[36:37], v[60:61], v[36:37] op_sel_hi:[0,1]
	v_perm_b32 v39, v39, v40, s5
	v_bfe_u32 v40, v37, 16, 1
	v_bfe_u32 v41, v36, 16, 1
	v_pk_mul_f32 v[34:35], v[60:61], v[34:35] op_sel_hi:[0,1]
	v_add3_u32 v36, v36, v41, s12
	v_add3_u32 v37, v37, v40, s12
	v_perm_b32 v36, v37, v36, s5
	v_bfe_u32 v37, v35, 16, 1
	v_bfe_u32 v40, v34, 16, 1
	v_add3_u32 v34, v34, v40, s12
	v_add3_u32 v35, v35, v37, s12
	v_perm_b32 v37, v35, v34, s5
	v_cmp_eq_u32_e32 vcc, 0, v0
	ds_write2st64_b64 v54, v[38:39], v[36:37] offset0:2 offset1:3
	s_and_saveexec_b64 s[10:11], vcc
	s_cbranch_execz .LBB1304_17
; %bb.16:
	s_mul_i32 s3, s3, s9
	s_mul_hi_u32 s5, s2, s9
	s_add_i32 s5, s5, s3
	s_mul_i32 s3, s2, s9
	s_add_u32 s3, s3, s4
	s_addc_u32 s5, s5, 0
	s_load_dwordx4 s[16:19], s[0:1], 0x58
	s_mul_i32 s5, s5, s8
	s_mul_hi_u32 s13, s3, s8
	s_add_i32 s13, s13, s5
	s_mul_i32 s3, s3, s8
	s_add_u32 s14, s3, s33
	s_addc_u32 s15, s13, 0
	s_lshl_b64 s[14:15], s[14:15], 2
	s_waitcnt lgkmcnt(0)
	s_add_u32 s18, s18, s14
	s_addc_u32 s19, s19, s15
	s_add_u32 s14, s16, s14
	s_addc_u32 s15, s17, s15
	global_store_dword v52, v50, s[18:19]
	global_store_dword v52, v51, s[14:15]
.LBB1304_17:
	s_or_b64 exec, exec, s[10:11]
	s_waitcnt vmcnt(7)
	v_cvt_pk_f32_fp8_e32 v[34:35], v18
	v_cvt_pk_f32_fp8_sdwa v[36:37], v18 src0_sel:WORD_1
	v_lshl_or_b32 v50, v56, 9, v46
	s_mov_b32 s5, 0x7060302
	s_waitcnt lgkmcnt(0)
	s_barrier
	v_cvt_pk_f32_fp8_e32 v[38:39], v19
	v_perm_b32 v18, v35, v34, s5
	v_cvt_pk_f32_fp8_sdwa v[40:41], v19 src0_sel:WORD_1
	v_perm_b32 v19, v37, v36, s5
	ds_read_b128 v[34:37], v50
	v_perm_b32 v46, v39, v38, s5
	v_perm_b32 v47, v41, v40, s5
	ds_read_b128 v[38:41], v50 offset:16
	v_cvt_pk_f32_fp8_e32 v[48:49], v20
	v_cvt_pk_f32_fp8_sdwa v[52:53], v20 src0_sel:WORD_1
	s_waitcnt lgkmcnt(1)
	v_mfma_f32_16x16x16_bf16 v[42:45], v[18:19], v[34:35], 0
	s_waitcnt vmcnt(6)
	v_cvt_pk_f32_fp8_e32 v[60:61], v12
	v_perm_b32 v18, v49, v48, s5
	v_perm_b32 v19, v53, v52, s5
	v_cvt_pk_f32_fp8_e32 v[48:49], v21
	v_mfma_f32_16x16x16_bf16 v[42:45], v[46:47], v[36:37], v[42:45]
	v_cvt_pk_f32_fp8_sdwa v[46:47], v21 src0_sel:WORD_1
	v_cvt_pk_f32_fp8_sdwa v[62:63], v12 src0_sel:WORD_1
	v_perm_b32 v48, v49, v48, s5
	s_waitcnt lgkmcnt(0)
	v_mfma_f32_16x16x16_bf16 v[18:21], v[18:19], v[38:39], v[42:45]
	v_perm_b32 v49, v47, v46, s5
	s_waitcnt vmcnt(5)
	v_cvt_pk_f32_fp8_e32 v[64:65], v8
	v_cvt_pk_f32_fp8_sdwa v[66:67], v8 src0_sel:WORD_1
	v_cvt_pk_f32_fp8_e32 v[42:43], v10
	v_mfma_f32_16x16x16_bf16 v[46:49], v[48:49], v[40:41], v[18:21]
	s_waitcnt vmcnt(4)
	v_cvt_pk_f32_fp8_sdwa v[68:69], v4 src0_sel:WORD_1
	s_load_dword s10, s[42:43], 0x0
	v_cvt_pk_f32_fp8_sdwa v[18:19], v10 src0_sel:WORD_1
	v_cvt_pk_f32_fp8_e32 v[20:21], v11
	v_perm_b32 v10, v43, v42, s5
	v_cvt_pk_f32_fp8_sdwa v[42:43], v11 src0_sel:WORD_1
	v_perm_b32 v11, v19, v18, s5
	v_perm_b32 v52, v21, v20, s5
	ds_read_b128 v[18:21], v50 offset:2048
	v_perm_b32 v53, v43, v42, s5
	ds_read_b128 v[42:45], v50 offset:2064
	s_waitcnt lgkmcnt(0)
	v_mfma_f32_16x16x16_bf16 v[46:49], v[10:11], v[18:19], v[46:49]
	v_perm_b32 v10, v61, v60, s5
	v_perm_b32 v11, v63, v62, s5
	v_cvt_pk_f32_fp8_e32 v[60:61], v13
	v_mfma_f32_16x16x16_bf16 v[46:49], v[52:53], v[20:21], v[46:49]
	v_cvt_pk_f32_fp8_sdwa v[52:53], v13 src0_sel:WORD_1
	s_waitcnt vmcnt(3)
	v_cvt_pk_f32_fp8_sdwa v[70:71], v32 src0_sel:WORD_1
	v_perm_b32 v60, v61, v60, s5
	v_mfma_f32_16x16x16_bf16 v[10:13], v[10:11], v[42:43], v[46:49]
	v_perm_b32 v61, v53, v52, s5
	v_cmp_gt_u32_e32 vcc, 64, v0
	s_xor_b64 s[6:7], s[6:7], -1
	v_cvt_pk_f32_fp8_e32 v[46:47], v6
	v_mfma_f32_16x16x16_bf16 v[60:63], v[60:61], v[44:45], v[10:13]
	s_mov_b32 s3, 0
	s_and_b64 s[6:7], vcc, s[6:7]
	s_nop 0
	v_cvt_pk_f32_fp8_sdwa v[10:11], v6 src0_sel:WORD_1
	v_cvt_pk_f32_fp8_e32 v[12:13], v7
	v_perm_b32 v6, v47, v46, s5
	v_cvt_pk_f32_fp8_sdwa v[46:47], v7 src0_sel:WORD_1
	v_perm_b32 v7, v11, v10, s5
	v_perm_b32 v52, v13, v12, s5
	ds_read_b128 v[10:13], v50 offset:4096
	v_perm_b32 v53, v47, v46, s5
	ds_read_b128 v[46:49], v50 offset:4112
	s_waitcnt lgkmcnt(1)
	v_mfma_f32_16x16x16_bf16 v[60:63], v[6:7], v[10:11], v[60:63]
	v_perm_b32 v6, v65, v64, s5
	v_perm_b32 v7, v67, v66, s5
	v_cvt_pk_f32_fp8_e32 v[64:65], v9
	v_mfma_f32_16x16x16_bf16 v[60:63], v[52:53], v[12:13], v[60:63]
	v_cvt_pk_f32_fp8_sdwa v[52:53], v9 src0_sel:WORD_1
	v_cvt_pk_f32_fp8_e32 v[66:67], v4
	v_perm_b32 v64, v65, v64, s5
	s_waitcnt lgkmcnt(0)
	v_mfma_f32_16x16x16_bf16 v[6:9], v[6:7], v[46:47], v[60:63]
	v_perm_b32 v65, v53, v52, s5
	v_cvt_pk_f32_fp8_e32 v[52:53], v2
	s_nop 0
	v_mfma_f32_16x16x16_bf16 v[60:63], v[64:65], v[48:49], v[6:9]
	s_nop 2
	v_cvt_pk_f32_fp8_sdwa v[6:7], v2 src0_sel:WORD_1
	v_cvt_pk_f32_fp8_e32 v[8:9], v3
	v_perm_b32 v2, v53, v52, s5
	v_cvt_pk_f32_fp8_sdwa v[52:53], v3 src0_sel:WORD_1
	v_perm_b32 v3, v7, v6, s5
	v_perm_b32 v64, v9, v8, s5
	ds_read_b128 v[6:9], v50 offset:6144
	v_perm_b32 v65, v53, v52, s5
	s_waitcnt lgkmcnt(0)
	v_mfma_f32_16x16x16_bf16 v[60:63], v[2:3], v[6:7], v[60:63]
	ds_read_b128 v[50:53], v50 offset:6160
	v_perm_b32 v2, v67, v66, s5
	v_perm_b32 v3, v69, v68, s5
	v_cvt_pk_f32_fp8_e32 v[66:67], v5
	v_mfma_f32_16x16x16_bf16 v[60:63], v[64:65], v[8:9], v[60:63]
	v_cvt_pk_f32_fp8_sdwa v[64:65], v5 src0_sel:WORD_1
	v_cvt_pk_f32_fp8_e32 v[68:69], v32
	v_perm_b32 v66, v67, v66, s5
	s_waitcnt lgkmcnt(0)
	v_mfma_f32_16x16x16_bf16 v[2:5], v[2:3], v[50:51], v[60:63]
	v_perm_b32 v67, v65, v64, s5
	s_barrier
	s_nop 0
	v_mfma_f32_16x16x16_bf16 v[60:63], v[66:67], v[52:53], v[2:5]
	s_nop 2
	v_cvt_pk_f32_fp8_e32 v[4:5], v30
	v_perm_b32 v4, v5, v4, s5
	s_nop 1
	v_pk_mul_f32 v[2:3], v[62:63], s[10:11] op_sel_hi:[1,0]
	v_cvt_pk_f32_fp8_sdwa v[62:63], v30 src0_sel:WORD_1
	v_pk_mul_f32 v[64:65], v[60:61], s[10:11] op_sel_hi:[1,0]
	v_cvt_pk_f32_fp8_e32 v[60:61], v31
	v_cvt_pk_f32_fp8_sdwa v[30:31], v31 src0_sel:WORD_1
	v_perm_b32 v5, v63, v62, s5
	v_bfe_u32 v55, v65, 16, 1
	v_perm_b32 v66, v61, v60, s5
	v_perm_b32 v67, v31, v30, s5
	v_mfma_f32_16x16x16_bf16 v[60:63], v[4:5], v[34:35], 0
	v_perm_b32 v4, v69, v68, s5
	v_perm_b32 v5, v71, v70, s5
	v_cvt_pk_f32_fp8_e32 v[34:35], v33
	v_cvt_pk_f32_fp8_sdwa v[68:69], v33 src0_sel:WORD_1
	v_mfma_f32_16x16x16_bf16 v[30:33], v[66:67], v[36:37], v[60:63]
	s_waitcnt vmcnt(2)
	v_cvt_pk_f32_fp8_sdwa v[36:37], v22 src0_sel:WORD_1
	v_perm_b32 v34, v35, v34, s5
	v_perm_b32 v35, v69, v68, s5
	v_mfma_f32_16x16x16_bf16 v[30:33], v[4:5], v[38:39], v[30:33]
	v_cvt_pk_f32_fp8_e32 v[4:5], v22
	v_cvt_pk_f32_fp8_sdwa v[38:39], v24 src0_sel:WORD_1
	v_bfe_u32 v59, v64, 16, 1
	v_mfma_f32_16x16x16_bf16 v[30:33], v[34:35], v[40:41], v[30:33]
	v_cvt_pk_f32_fp8_e32 v[34:35], v23
	v_perm_b32 v4, v5, v4, s5
	v_perm_b32 v5, v37, v36, s5
	v_cvt_pk_f32_fp8_sdwa v[22:23], v23 src0_sel:WORD_1
	v_perm_b32 v34, v35, v34, s5
	v_cvt_pk_f32_fp8_e32 v[36:37], v24
	v_mfma_f32_16x16x16_bf16 v[30:33], v[4:5], v[18:19], v[30:33]
	v_perm_b32 v35, v23, v22, s5
	v_perm_b32 v4, v37, v36, s5
	;; [unrolled: 1-line block ×3, first 2 shown]
	v_cvt_pk_f32_fp8_e32 v[22:23], v25
	v_cvt_pk_f32_fp8_sdwa v[24:25], v25 src0_sel:WORD_1
	v_mfma_f32_16x16x16_bf16 v[18:21], v[34:35], v[20:21], v[30:33]
	v_perm_b32 v22, v23, v22, s5
	v_perm_b32 v23, v25, v24, s5
	v_mfma_f32_16x16x16_bf16 v[18:21], v[4:5], v[42:43], v[18:21]
	s_waitcnt vmcnt(1)
	v_cvt_pk_f32_fp8_e32 v[4:5], v26
	v_cvt_pk_f32_fp8_sdwa v[24:25], v26 src0_sel:WORD_1
	v_cvt_pk_f32_fp8_sdwa v[30:31], v28 src0_sel:WORD_1
	v_mfma_f32_16x16x16_bf16 v[18:21], v[22:23], v[44:45], v[18:21]
	v_cvt_pk_f32_fp8_e32 v[22:23], v27
	v_perm_b32 v4, v5, v4, s5
	v_perm_b32 v5, v25, v24, s5
	v_cvt_pk_f32_fp8_sdwa v[24:25], v27 src0_sel:WORD_1
	v_perm_b32 v22, v23, v22, s5
	v_cvt_pk_f32_fp8_e32 v[26:27], v28
	v_mfma_f32_16x16x16_bf16 v[18:21], v[4:5], v[10:11], v[18:21]
	v_perm_b32 v23, v25, v24, s5
	v_perm_b32 v4, v27, v26, s5
	;; [unrolled: 1-line block ×3, first 2 shown]
	v_cvt_pk_f32_fp8_e32 v[24:25], v29
	v_cvt_pk_f32_fp8_sdwa v[26:27], v29 src0_sel:WORD_1
	v_mfma_f32_16x16x16_bf16 v[10:13], v[22:23], v[12:13], v[18:21]
	s_waitcnt vmcnt(0)
	v_cvt_pk_f32_fp8_sdwa v[22:23], v14 src0_sel:WORD_1
	v_add3_u32 v32, v64, v59, s12
	v_add3_u32 v33, v65, v55, s12
	v_perm_b32 v20, v25, v24, s5
	v_perm_b32 v21, v27, v26, s5
	v_mfma_f32_16x16x16_bf16 v[10:13], v[4:5], v[46:47], v[10:13]
	v_cvt_pk_f32_fp8_e32 v[4:5], v14
	v_cvt_pk_f32_fp8_sdwa v[24:25], v16 src0_sel:WORD_1
	v_bfe_u32 v19, v3, 16, 1
	v_mfma_f32_16x16x16_bf16 v[10:13], v[20:21], v[48:49], v[10:13]
	v_cvt_pk_f32_fp8_e32 v[20:21], v15
	v_perm_b32 v4, v5, v4, s5
	v_perm_b32 v5, v23, v22, s5
	v_cvt_pk_f32_fp8_sdwa v[14:15], v15 src0_sel:WORD_1
	v_perm_b32 v20, v21, v20, s5
	v_cvt_pk_f32_fp8_e32 v[22:23], v16
	v_mfma_f32_16x16x16_bf16 v[4:7], v[4:5], v[6:7], v[10:13]
	v_perm_b32 v21, v15, v14, s5
	v_cvt_pk_f32_fp8_sdwa v[14:15], v17 src0_sel:WORD_1
	s_nop 0
	v_perm_b32 v10, v23, v22, s5
	v_perm_b32 v11, v25, v24, s5
	v_cvt_pk_f32_fp8_e32 v[12:13], v17
	v_mfma_f32_16x16x16_bf16 v[4:7], v[20:21], v[8:9], v[4:7]
	v_perm_b32 v9, v15, v14, s5
	v_bfe_u32 v16, v2, 16, 1
	v_perm_b32 v8, v13, v12, s5
	v_mfma_f32_16x16x16_bf16 v[4:7], v[10:11], v[50:51], v[4:7]
	v_add3_u32 v2, v2, v16, s12
	v_add3_u32 v3, v3, v19, s12
	v_perm_b32 v19, v3, v2, s5
	v_mfma_f32_16x16x16_bf16 v[2:5], v[8:9], v[52:53], v[4:7]
	v_perm_b32 v18, v33, v32, s5
	s_nop 5
	v_pk_mul_f32 v[2:3], v[2:3], s[10:11] op_sel_hi:[1,0]
	v_pk_mul_f32 v[4:5], v[4:5], s[10:11] op_sel_hi:[1,0]
	v_bfe_u32 v6, v3, 16, 1
	v_bfe_u32 v7, v2, 16, 1
	v_add3_u32 v2, v2, v7, s12
	v_add3_u32 v3, v3, v6, s12
	v_perm_b32 v2, v3, v2, s5
	v_bfe_u32 v3, v5, 16, 1
	v_bfe_u32 v6, v4, 16, 1
	v_add3_u32 v4, v4, v6, s12
	v_add3_u32 v3, v5, v3, s12
	v_perm_b32 v3, v3, v4, s5
	ds_write2st64_b64 v54, v[18:19], v[2:3] offset1:1
	s_waitcnt lgkmcnt(0)
	s_barrier
	s_and_saveexec_b64 s[10:11], s[6:7]
	s_cbranch_execz .LBB1304_19
; %bb.18:
	s_load_dwordx2 s[0:1], s[0:1], 0x68
	s_mul_i32 s2, s9, s2
	s_lshl_b32 s5, s8, 7
	s_mul_hi_u32 s7, s2, s5
	s_mul_i32 s6, s2, s5
	v_lshlrev_b32_e32 v4, 6, v57
	s_lshl_b64 s[6:7], s[6:7], 1
	v_lshl_or_b32 v0, v0, 10, v4
	s_waitcnt lgkmcnt(0)
	s_add_u32 s6, s0, s6
	v_lshlrev_b32_e32 v2, 5, v56
	v_and_b32_e32 v3, 16, v58
	v_and_b32_e32 v0, 0x1a00, v0
	s_addc_u32 s7, s1, s7
	s_lshl_b32 s2, s33, 7
	v_or3_b32 v0, v0, v2, v3
	s_lshl_b64 s[0:1], s[2:3], 1
	ds_read_b128 v[2:5], v0
	s_add_u32 s2, s6, s0
	s_addc_u32 s3, s7, s1
	s_mul_hi_u32 s1, s5, s4
	s_mul_i32 s0, s5, s4
	s_lshl_b64 s[0:1], s[0:1], 1
	s_add_u32 s0, s2, s0
	s_addc_u32 s1, s3, s1
	s_waitcnt lgkmcnt(0)
	global_store_dwordx4 v1, v[2:5], s[0:1]
.LBB1304_19:
	s_endpgm
	.section	.rodata,"a",@progbits
	.p2align	6, 0x0
	.amdhsa_kernel _Z39paged_attention_ll4mi_QKV_mfma16_kernelI14__hip_bfloat16hLN4vllm18Fp8KVCacheDataTypeE1ES0_Li16ELi128ELi256ELb1ELi1EEvPKT_PKT0_S8_ifPKiSA_SA_iPKfiiiPfSD_PS3_PT2_iSC_SC_
		.amdhsa_group_segment_fixed_size 8192
		.amdhsa_private_segment_fixed_size 0
		.amdhsa_kernarg_size 400
		.amdhsa_user_sgpr_count 2
		.amdhsa_user_sgpr_dispatch_ptr 0
		.amdhsa_user_sgpr_queue_ptr 0
		.amdhsa_user_sgpr_kernarg_segment_ptr 1
		.amdhsa_user_sgpr_dispatch_id 0
		.amdhsa_user_sgpr_kernarg_preload_length 0
		.amdhsa_user_sgpr_kernarg_preload_offset 0
		.amdhsa_user_sgpr_private_segment_size 0
		.amdhsa_uses_dynamic_stack 0
		.amdhsa_enable_private_segment 0
		.amdhsa_system_sgpr_workgroup_id_x 1
		.amdhsa_system_sgpr_workgroup_id_y 1
		.amdhsa_system_sgpr_workgroup_id_z 1
		.amdhsa_system_sgpr_workgroup_info 0
		.amdhsa_system_vgpr_workitem_id 0
		.amdhsa_next_free_vgpr 80
		.amdhsa_next_free_sgpr 48
		.amdhsa_accum_offset 80
		.amdhsa_reserve_vcc 1
		.amdhsa_float_round_mode_32 0
		.amdhsa_float_round_mode_16_64 0
		.amdhsa_float_denorm_mode_32 3
		.amdhsa_float_denorm_mode_16_64 3
		.amdhsa_dx10_clamp 1
		.amdhsa_ieee_mode 1
		.amdhsa_fp16_overflow 0
		.amdhsa_tg_split 0
		.amdhsa_exception_fp_ieee_invalid_op 0
		.amdhsa_exception_fp_denorm_src 0
		.amdhsa_exception_fp_ieee_div_zero 0
		.amdhsa_exception_fp_ieee_overflow 0
		.amdhsa_exception_fp_ieee_underflow 0
		.amdhsa_exception_fp_ieee_inexact 0
		.amdhsa_exception_int_div_zero 0
	.end_amdhsa_kernel
	.section	.text._Z39paged_attention_ll4mi_QKV_mfma16_kernelI14__hip_bfloat16hLN4vllm18Fp8KVCacheDataTypeE1ES0_Li16ELi128ELi256ELb1ELi1EEvPKT_PKT0_S8_ifPKiSA_SA_iPKfiiiPfSD_PS3_PT2_iSC_SC_,"axG",@progbits,_Z39paged_attention_ll4mi_QKV_mfma16_kernelI14__hip_bfloat16hLN4vllm18Fp8KVCacheDataTypeE1ES0_Li16ELi128ELi256ELb1ELi1EEvPKT_PKT0_S8_ifPKiSA_SA_iPKfiiiPfSD_PS3_PT2_iSC_SC_,comdat
.Lfunc_end1304:
	.size	_Z39paged_attention_ll4mi_QKV_mfma16_kernelI14__hip_bfloat16hLN4vllm18Fp8KVCacheDataTypeE1ES0_Li16ELi128ELi256ELb1ELi1EEvPKT_PKT0_S8_ifPKiSA_SA_iPKfiiiPfSD_PS3_PT2_iSC_SC_, .Lfunc_end1304-_Z39paged_attention_ll4mi_QKV_mfma16_kernelI14__hip_bfloat16hLN4vllm18Fp8KVCacheDataTypeE1ES0_Li16ELi128ELi256ELb1ELi1EEvPKT_PKT0_S8_ifPKiSA_SA_iPKfiiiPfSD_PS3_PT2_iSC_SC_
                                        ; -- End function
	.section	.AMDGPU.csdata,"",@progbits
; Kernel info:
; codeLenInByte = 6444
; NumSgprs: 54
; NumVgprs: 80
; NumAgprs: 0
; TotalNumVgprs: 80
; ScratchSize: 0
; MemoryBound: 0
; FloatMode: 240
; IeeeMode: 1
; LDSByteSize: 8192 bytes/workgroup (compile time only)
; SGPRBlocks: 6
; VGPRBlocks: 9
; NumSGPRsForWavesPerEU: 54
; NumVGPRsForWavesPerEU: 80
; AccumOffset: 80
; Occupancy: 6
; WaveLimiterHint : 1
; COMPUTE_PGM_RSRC2:SCRATCH_EN: 0
; COMPUTE_PGM_RSRC2:USER_SGPR: 2
; COMPUTE_PGM_RSRC2:TRAP_HANDLER: 0
; COMPUTE_PGM_RSRC2:TGID_X_EN: 1
; COMPUTE_PGM_RSRC2:TGID_Y_EN: 1
; COMPUTE_PGM_RSRC2:TGID_Z_EN: 1
; COMPUTE_PGM_RSRC2:TIDIG_COMP_CNT: 0
; COMPUTE_PGM_RSRC3_GFX90A:ACCUM_OFFSET: 19
; COMPUTE_PGM_RSRC3_GFX90A:TG_SPLIT: 0
	.section	.text._Z39paged_attention_ll4mi_QKV_mfma16_kernelI14__hip_bfloat16hLN4vllm18Fp8KVCacheDataTypeE1ES0_Li16ELi128ELi256ELb1ELi2EEvPKT_PKT0_S8_ifPKiSA_SA_iPKfiiiPfSD_PS3_PT2_iSC_SC_,"axG",@progbits,_Z39paged_attention_ll4mi_QKV_mfma16_kernelI14__hip_bfloat16hLN4vllm18Fp8KVCacheDataTypeE1ES0_Li16ELi128ELi256ELb1ELi2EEvPKT_PKT0_S8_ifPKiSA_SA_iPKfiiiPfSD_PS3_PT2_iSC_SC_,comdat
	.protected	_Z39paged_attention_ll4mi_QKV_mfma16_kernelI14__hip_bfloat16hLN4vllm18Fp8KVCacheDataTypeE1ES0_Li16ELi128ELi256ELb1ELi2EEvPKT_PKT0_S8_ifPKiSA_SA_iPKfiiiPfSD_PS3_PT2_iSC_SC_ ; -- Begin function _Z39paged_attention_ll4mi_QKV_mfma16_kernelI14__hip_bfloat16hLN4vllm18Fp8KVCacheDataTypeE1ES0_Li16ELi128ELi256ELb1ELi2EEvPKT_PKT0_S8_ifPKiSA_SA_iPKfiiiPfSD_PS3_PT2_iSC_SC_
	.globl	_Z39paged_attention_ll4mi_QKV_mfma16_kernelI14__hip_bfloat16hLN4vllm18Fp8KVCacheDataTypeE1ES0_Li16ELi128ELi256ELb1ELi2EEvPKT_PKT0_S8_ifPKiSA_SA_iPKfiiiPfSD_PS3_PT2_iSC_SC_
	.p2align	8
	.type	_Z39paged_attention_ll4mi_QKV_mfma16_kernelI14__hip_bfloat16hLN4vllm18Fp8KVCacheDataTypeE1ES0_Li16ELi128ELi256ELb1ELi2EEvPKT_PKT0_S8_ifPKiSA_SA_iPKfiiiPfSD_PS3_PT2_iSC_SC_,@function
_Z39paged_attention_ll4mi_QKV_mfma16_kernelI14__hip_bfloat16hLN4vllm18Fp8KVCacheDataTypeE1ES0_Li16ELi128ELi256ELb1ELi2EEvPKT_PKT0_S8_ifPKiSA_SA_iPKfiiiPfSD_PS3_PT2_iSC_SC_: ; @_Z39paged_attention_ll4mi_QKV_mfma16_kernelI14__hip_bfloat16hLN4vllm18Fp8KVCacheDataTypeE1ES0_Li16ELi128ELi256ELb1ELi2EEvPKT_PKT0_S8_ifPKiSA_SA_iPKfiiiPfSD_PS3_PT2_iSC_SC_
; %bb.0:
	s_load_dwordx2 s[8:9], s[0:1], 0x30
	s_mov_b32 s10, s3
	s_mov_b64 s[6:7], 0
	s_waitcnt lgkmcnt(0)
	s_cmp_lg_u64 s[8:9], 0
	s_cselect_b64 s[12:13], -1, 0
	s_and_b64 vcc, exec, s[12:13]
	s_cbranch_vccz .LBB1305_7
; %bb.1:
	s_add_i32 s14, s2, 1
	s_mov_b32 s15, 0
	s_lshl_b64 s[16:17], s[14:15], 2
	s_add_u32 s16, s8, s16
	s_mov_b32 s3, s15
	s_addc_u32 s17, s9, s17
	s_lshl_b64 s[14:15], s[2:3], 2
	s_add_u32 s14, s8, s14
	s_addc_u32 s15, s9, s15
	s_load_dword s5, s[16:17], 0x0
	s_load_dword s11, s[14:15], 0x0
	s_waitcnt lgkmcnt(0)
	s_sub_i32 s5, s5, s11
	s_cmp_eq_u32 s5, 1
	s_cselect_b64 s[14:15], -1, 0
	s_andn2_b64 vcc, exec, s[6:7]
	s_cbranch_vccnz .LBB1305_3
.LBB1305_2:
	s_mov_b32 s3, 0
	s_mov_b64 s[14:15], -1
.LBB1305_3:
	s_andn2_b64 vcc, exec, s[14:15]
	s_cbranch_vccnz .LBB1305_19
; %bb.4:
	s_load_dwordx2 s[6:7], s[0:1], 0x28
	s_lshl_b64 s[14:15], s[2:3], 2
	s_waitcnt lgkmcnt(0)
	s_add_u32 s6, s6, s14
	s_addc_u32 s7, s7, s15
	s_load_dword s33, s[6:7], 0x0
	s_lshl_b32 s18, s10, 8
	s_waitcnt lgkmcnt(0)
	s_cmp_ge_i32 s18, s33
	s_cbranch_scc1 .LBB1305_19
; %bb.5:
	s_load_dwordx2 s[6:7], s[0:1], 0x20
	s_load_dword s5, s[0:1], 0x38
	s_add_i32 s11, s33, 15
	s_ashr_i32 s16, s11, 31
	v_and_b32_e32 v1, 0xcf, v0
	s_lshr_b32 s16, s16, 28
	v_add_u32_e32 v1, s18, v1
	s_add_i32 s11, s11, s16
	v_ashrrev_i32_e32 v2, 31, v1
	s_ashr_i32 s19, s11, 4
	v_lshrrev_b32_e32 v4, 28, v2
	s_add_i32 s19, s19, -1
	s_waitcnt lgkmcnt(0)
	s_mul_i32 s16, s2, s5
	s_mov_b32 s17, 0
	v_add_u32_e32 v2, v1, v4
	s_lshl_b64 s[16:17], s[16:17], 2
	v_ashrrev_i32_e32 v2, 4, v2
	v_mov_b32_e32 v5, s19
	v_cmp_gt_i32_e32 vcc, s33, v1
	s_add_u32 s6, s6, s16
	s_addc_u32 s7, s7, s17
	v_cndmask_b32_e32 v2, v5, v2, vcc
	v_ashrrev_i32_e32 v3, 31, v2
	v_lshl_add_u64 v[6:7], v[2:3], 2, s[6:7]
	v_or_b32_e32 v2, 16, v1
	v_add_u32_e32 v3, v2, v4
	v_ashrrev_i32_e32 v3, 4, v3
	v_cmp_gt_i32_e32 vcc, s33, v2
	s_load_dwordx2 s[16:17], s[0:1], 0x8
	s_nop 0
	v_cndmask_b32_e32 v2, v5, v3, vcc
	v_ashrrev_i32_e32 v3, 31, v2
	v_lshl_add_u64 v[8:9], v[2:3], 2, s[6:7]
	v_or_b32_e32 v2, 32, v1
	v_add_u32_e32 v3, v2, v4
	v_ashrrev_i32_e32 v3, 4, v3
	v_cmp_gt_i32_e32 vcc, s33, v2
	v_or_b32_e32 v1, 48, v1
	s_nop 0
	v_cndmask_b32_e32 v2, v5, v3, vcc
	v_ashrrev_i32_e32 v3, 31, v2
	v_lshl_add_u64 v[10:11], v[2:3], 2, s[6:7]
	v_add_u32_e32 v2, v1, v4
	v_ashrrev_i32_e32 v2, 4, v2
	v_cmp_gt_i32_e32 vcc, s33, v1
	s_nop 1
	v_cndmask_b32_e32 v2, v5, v2, vcc
	v_ashrrev_i32_e32 v3, 31, v2
	v_lshl_add_u64 v[12:13], v[2:3], 2, s[6:7]
	global_load_dword v4, v[6:7], off
	global_load_dword v3, v[8:9], off
	;; [unrolled: 1-line block ×4, first 2 shown]
	s_andn2_b64 vcc, exec, s[12:13]
	s_cbranch_vccnz .LBB1305_8
; %bb.6:
	s_add_u32 s8, s8, s14
	s_addc_u32 s9, s9, s15
	s_load_dword s5, s[8:9], 0x0
	s_branch .LBB1305_9
.LBB1305_7:
	s_mov_b64 s[14:15], 0
	s_branch .LBB1305_2
.LBB1305_8:
	s_mov_b32 s5, s2
.LBB1305_9:
	s_load_dwordx2 s[8:9], s[0:1], 0x10
	s_load_dwordx4 s[44:47], s[0:1], 0x48
	v_lshrrev_b32_e32 v62, 6, v0
	v_bfe_u32 v1, v0, 4, 2
	v_and_b32_e32 v60, 15, v0
	v_lshl_or_b32 v5, v62, 2, v1
	v_lshlrev_b32_e32 v6, 3, v60
	s_lshl_b32 s11, s4, 1
	v_cmp_gt_u32_e32 vcc, 2, v5
	v_lshlrev_b32_e32 v54, 1, v6
	v_lshlrev_b32_e32 v61, 4, v0
	s_and_saveexec_b64 s[12:13], vcc
	s_cbranch_execz .LBB1305_11
; %bb.10:
	s_load_dwordx2 s[14:15], s[0:1], 0x0
	s_waitcnt lgkmcnt(0)
	s_ashr_i32 s20, s44, 31
	s_mul_hi_u32 s21, s5, s44
	s_mul_i32 s20, s5, s20
	s_add_i32 s21, s21, s20
	s_mul_i32 s20, s5, s44
	s_lshl_b64 s[20:21], s[20:21], 1
	s_add_u32 s14, s14, s20
	v_add_lshl_u32 v6, v1, s11, 7
	s_addc_u32 s15, s15, s21
	v_ashrrev_i32_e32 v7, 31, v6
	v_lshl_add_u64 v[6:7], v[6:7], 1, s[14:15]
	v_mov_b32_e32 v55, 0
	v_lshl_add_u64 v[6:7], v[6:7], 0, v[54:55]
	global_load_dwordx4 v[6:9], v[6:7], off
	v_lshlrev_b32_e32 v11, 8, v0
	v_lshlrev_b32_e32 v10, 8, v60
	v_and_b32_e32 v11, 0x600, v11
	s_movk_i32 s5, 0x800
	v_and_or_b32 v10, v10, s5, v11
	v_lshlrev_b32_e32 v5, 5, v5
	v_and_b32_e32 v11, 16, v61
	v_or3_b32 v5, v10, v5, v11
	s_waitcnt vmcnt(0)
	ds_write_b128 v5, v[6:9]
.LBB1305_11:
	s_or_b64 exec, exec, s[12:13]
	s_waitcnt lgkmcnt(0)
	s_mul_i32 s12, s4, s46
	s_add_u32 s4, s16, s12
	s_addc_u32 s5, s17, 0
	v_and_b32_e32 v56, 0xf0, v61
	v_mov_b32_e32 v57, 0
	v_and_b32_e32 v46, 48, v0
	v_lshl_add_u64 v[20:21], s[4:5], 0, v[56:57]
	v_lshlrev_b32_e32 v56, 4, v46
	s_waitcnt vmcnt(3)
	v_mad_i64_i32 v[4:5], s[4:5], v4, s45, v[20:21]
	v_lshl_add_u64 v[4:5], v[4:5], 0, v[56:57]
	s_barrier
	global_load_dwordx4 v[42:45], v[4:5], off
	global_load_dwordx4 v[14:17], v[4:5], off offset:1024
	s_waitcnt vmcnt(4)
	v_mad_i64_i32 v[4:5], s[4:5], v3, s45, v[20:21]
	s_waitcnt vmcnt(3)
	v_mad_i64_i32 v[2:3], s[4:5], v2, s45, v[20:21]
	;; [unrolled: 2-line block ×3, first 2 shown]
	v_lshl_add_u64 v[4:5], v[4:5], 0, v[56:57]
	v_lshl_add_u64 v[22:23], v[2:3], 0, v[56:57]
	;; [unrolled: 1-line block ×3, first 2 shown]
	global_load_dwordx4 v[10:13], v[4:5], off
	global_load_dwordx4 v[6:9], v[4:5], off offset:1024
	s_nop 0
	global_load_dwordx4 v[2:5], v[22:23], off
	global_load_dwordx4 v[50:53], v[22:23], off offset:1024
	global_load_dwordx4 v[34:37], v[18:19], off
	s_nop 0
	global_load_dwordx4 v[22:25], v[18:19], off offset:1024
	v_and_b32_e32 v18, 1, v0
	v_lshlrev_b32_e32 v18, 5, v18
	v_lshl_or_b32 v18, v1, 9, v18
	ds_read_b128 v[38:41], v18
	ds_read_b128 v[30:33], v18 offset:16
	ds_read_b128 v[26:29], v18 offset:2048
	;; [unrolled: 1-line block ×3, first 2 shown]
	v_and_b32_e32 v55, 63, v0
	v_cmp_gt_u32_e32 vcc, 2, v60
	v_mov_b32_e32 v63, 0
	s_and_saveexec_b64 s[4:5], vcc
	s_cbranch_execz .LBB1305_13
; %bb.12:
	s_load_dwordx2 s[14:15], s[0:1], 0x40
	v_or_b32_e32 v48, s11, v60
	v_ashrrev_i32_e32 v49, 31, v48
	s_waitcnt lgkmcnt(0)
	v_lshl_add_u64 v[48:49], v[48:49], 2, s[14:15]
	global_load_dword v63, v[48:49], off
.LBB1305_13:
	s_or_b64 exec, exec, s[4:5]
	s_waitcnt vmcnt(7)
	v_cvt_pk_f32_fp8_e32 v[58:59], v42
	v_cvt_pk_f32_fp8_sdwa v[66:67], v42 src0_sel:WORD_1
	s_mov_b32 s44, 0x7060302
	v_cvt_pk_f32_fp8_e32 v[68:69], v43
	v_perm_b32 v58, v59, v58, s44
	v_perm_b32 v59, v67, v66, s44
	v_cvt_pk_f32_fp8_sdwa v[42:43], v43 src0_sel:WORD_1
	v_perm_b32 v70, v69, v68, s44
	v_cvt_pk_f32_fp8_e32 v[72:73], v44
	v_cvt_pk_f32_fp8_sdwa v[74:75], v44 src0_sel:WORD_1
	v_perm_b32 v71, v43, v42, s44
	s_waitcnt lgkmcnt(3)
	v_mfma_f32_16x16x16_bf16 v[66:69], v[58:59], v[38:39], 0
	v_or_b32_e32 v56, s18, v46
	v_ashrrev_i32_e32 v46, 4, v56
	v_mov_b32_e32 v65, s19
	v_cmp_gt_i32_e32 vcc, s33, v56
	v_perm_b32 v58, v73, v72, s44
	v_perm_b32 v59, v75, v74, s44
	v_cvt_pk_f32_fp8_e32 v[72:73], v45
	v_cvt_pk_f32_fp8_sdwa v[74:75], v45 src0_sel:WORD_1
	v_cndmask_b32_e32 v46, v65, v46, vcc
	v_mfma_f32_16x16x16_bf16 v[42:45], v[70:71], v[40:41], v[66:69]
	v_ashrrev_i32_e32 v47, 31, v46
	v_lshl_add_u64 v[46:47], v[46:47], 2, s[6:7]
	global_load_dword v64, v[46:47], off
	v_or_b32_e32 v46, 64, v56
	v_perm_b32 v66, v73, v72, s44
	v_perm_b32 v67, v75, v74, s44
	v_ashrrev_i32_e32 v47, 4, v46
	v_cmp_gt_i32_e32 vcc, s33, v46
	s_waitcnt lgkmcnt(2)
	v_mfma_f32_16x16x16_bf16 v[42:45], v[58:59], v[30:31], v[42:45]
	s_waitcnt vmcnt(7)
	v_cvt_pk_f32_fp8_sdwa v[70:71], v14 src0_sel:WORD_1
	v_cndmask_b32_e32 v46, v65, v47, vcc
	v_ashrrev_i32_e32 v47, 31, v46
	v_lshl_add_u64 v[48:49], v[46:47], 2, s[6:7]
	v_or_b32_e32 v46, 0x80, v56
	v_mfma_f32_16x16x16_bf16 v[42:45], v[66:67], v[32:33], v[42:45]
	global_load_dword v66, v[48:49], off
	v_ashrrev_i32_e32 v47, 4, v46
	v_cmp_gt_i32_e32 vcc, s33, v46
	v_or_b32_e32 v56, 0xc0, v56
	v_ashrrev_i32_e32 v68, 4, v56
	v_cndmask_b32_e32 v46, v65, v47, vcc
	v_cmp_gt_i32_e32 vcc, s33, v56
	v_ashrrev_i32_e32 v47, 31, v46
	v_lshl_add_u64 v[46:47], v[46:47], 2, s[6:7]
	v_cndmask_b32_e32 v58, v65, v68, vcc
	v_cvt_pk_f32_fp8_e32 v[68:69], v14
	v_ashrrev_i32_e32 v59, 31, v58
	v_lshl_add_u64 v[58:59], v[58:59], 2, s[6:7]
	v_cvt_pk_f32_fp8_sdwa v[72:73], v16 src0_sel:WORD_1
	v_perm_b32 v68, v69, v68, s44
	v_perm_b32 v69, v71, v70, s44
	v_cvt_pk_f32_fp8_e32 v[70:71], v16
	v_cvt_pk_f32_fp8_sdwa v[74:75], v17 src0_sel:WORD_1
	s_waitcnt lgkmcnt(1)
	v_mfma_f32_16x16x16_bf16 v[42:45], v[68:69], v[26:27], v[42:45]
	global_load_dword v68, v[58:59], off
	global_load_dword v67, v[46:47], off
	v_cvt_pk_f32_fp8_e32 v[48:49], v15
	v_cvt_pk_f32_fp8_sdwa v[14:15], v15 src0_sel:WORD_1
	v_perm_b32 v70, v71, v70, s44
	v_perm_b32 v71, v73, v72, s44
	;; [unrolled: 1-line block ×4, first 2 shown]
	v_cvt_pk_f32_fp8_e32 v[72:73], v17
	s_waitcnt vmcnt(9)
	v_cvt_pk_f32_fp8_e32 v[46:47], v10
	v_mfma_f32_16x16x16_bf16 v[14:17], v[48:49], v[28:29], v[42:45]
	v_cvt_pk_f32_fp8_sdwa v[48:49], v10 src0_sel:WORD_1
	s_nop 1
	v_perm_b32 v42, v73, v72, s44
	v_perm_b32 v43, v75, v74, s44
	s_waitcnt lgkmcnt(0)
	v_mfma_f32_16x16x16_bf16 v[14:17], v[70:71], v[18:19], v[14:17]
	v_cvt_pk_f32_fp8_sdwa v[58:59], v12 src0_sel:WORD_1
	v_cvt_pk_f32_fp8_sdwa v[70:71], v13 src0_sel:WORD_1
	s_add_u32 s4, s8, s12
	v_mfma_f32_16x16x16_bf16 v[42:45], v[42:43], v[20:21], v[14:17]
	v_lshl_or_b32 v65, v62, 4, v60
	s_waitcnt vmcnt(7)
	v_cvt_pk_f32_fp8_e32 v[72:73], v5
	s_addc_u32 s5, s9, 0
	v_cvt_pk_f32_fp8_e32 v[14:15], v11
	v_perm_b32 v16, v47, v46, s44
	v_perm_b32 v17, v49, v48, s44
	v_cvt_pk_f32_fp8_sdwa v[10:11], v11 src0_sel:WORD_1
	v_perm_b32 v46, v15, v14, s44
	v_cvt_pk_f32_fp8_e32 v[48:49], v12
	v_mfma_f32_16x16x16_bf16 v[14:17], v[16:17], v[38:39], 0
	v_perm_b32 v47, v11, v10, s44
	v_perm_b32 v48, v49, v48, s44
	;; [unrolled: 1-line block ×3, first 2 shown]
	v_cvt_pk_f32_fp8_e32 v[58:59], v13
	v_mfma_f32_16x16x16_bf16 v[10:13], v[46:47], v[40:41], v[14:17]
	v_cvt_pk_f32_fp8_sdwa v[46:47], v6 src0_sel:WORD_1
	v_lshlrev_b32_e32 v56, 4, v65
	s_nop 0
	v_perm_b32 v14, v59, v58, s44
	v_perm_b32 v15, v71, v70, s44
	v_mfma_f32_16x16x16_bf16 v[10:13], v[48:49], v[30:31], v[10:13]
	v_cvt_pk_f32_fp8_e32 v[16:17], v6
	v_cvt_pk_f32_fp8_sdwa v[48:49], v8 src0_sel:WORD_1
	v_lshl_add_u64 v[58:59], s[4:5], 0, v[56:57]
	v_mfma_f32_16x16x16_bf16 v[10:13], v[14:15], v[32:33], v[10:13]
	v_cvt_pk_f32_fp8_e32 v[14:15], v7
	v_perm_b32 v16, v17, v16, s44
	v_perm_b32 v17, v47, v46, s44
	v_cvt_pk_f32_fp8_sdwa v[6:7], v7 src0_sel:WORD_1
	v_perm_b32 v14, v15, v14, s44
	v_cvt_pk_f32_fp8_e32 v[46:47], v8
	v_mfma_f32_16x16x16_bf16 v[10:13], v[16:17], v[26:27], v[10:13]
	v_perm_b32 v15, v7, v6, s44
	v_perm_b32 v16, v47, v46, s44
	;; [unrolled: 1-line block ×3, first 2 shown]
	v_cvt_pk_f32_fp8_e32 v[46:47], v9
	v_cvt_pk_f32_fp8_sdwa v[48:49], v9 src0_sel:WORD_1
	v_mfma_f32_16x16x16_bf16 v[6:9], v[14:15], v[28:29], v[10:13]
	v_cvt_pk_f32_fp8_sdwa v[14:15], v2 src0_sel:WORD_1
	s_waitcnt vmcnt(2)
	v_mad_i64_i32 v[70:71], s[6:7], v66, s45, v[58:59]
	v_perm_b32 v10, v47, v46, s44
	v_perm_b32 v11, v49, v48, s44
	v_mfma_f32_16x16x16_bf16 v[6:9], v[16:17], v[18:19], v[6:9]
	v_cvt_pk_f32_fp8_e32 v[12:13], v2
	v_cvt_pk_f32_fp8_sdwa v[78:79], v52 src0_sel:WORD_1
	v_or_b32_e32 v56, 0x400, v56
	v_mfma_f32_16x16x16_bf16 v[46:49], v[10:11], v[20:21], v[6:9]
	v_mad_i64_i32 v[10:11], s[6:7], v64, s45, v[58:59]
	s_waitcnt vmcnt(0)
	v_mad_i64_i32 v[74:75], s[6:7], v67, s45, v[58:59]
	v_perm_b32 v6, v13, v12, s44
	v_perm_b32 v7, v15, v14, s44
	v_cvt_pk_f32_fp8_e32 v[8:9], v3
	v_cvt_pk_f32_fp8_sdwa v[2:3], v3 src0_sel:WORD_1
	v_cvt_pk_f32_fp8_sdwa v[14:15], v4 src0_sel:WORD_1
	v_mad_i64_i32 v[58:59], s[6:7], v68, s45, v[58:59]
	v_perm_b32 v12, v9, v8, s44
	v_perm_b32 v13, v3, v2, s44
	v_cvt_pk_f32_fp8_e32 v[2:3], v4
	v_mfma_f32_16x16x16_bf16 v[6:9], v[6:7], v[38:39], 0
	v_cvt_pk_f32_fp8_sdwa v[4:5], v5 src0_sel:WORD_1
	v_perm_b32 v2, v3, v2, s44
	v_perm_b32 v3, v15, v14, s44
	v_mfma_f32_16x16x16_bf16 v[6:9], v[12:13], v[40:41], v[6:9]
	global_load_dwordx4 v[14:17], v[10:11], off
	s_nop 0
	global_load_dwordx4 v[10:13], v[70:71], off
	v_perm_b32 v70, v73, v72, s44
	v_perm_b32 v71, v5, v4, s44
	v_mfma_f32_16x16x16_bf16 v[2:5], v[2:3], v[30:31], v[6:9]
	s_nop 2
	v_cvt_pk_f32_fp8_e32 v[6:7], v50
	v_cvt_pk_f32_fp8_sdwa v[8:9], v50 src0_sel:WORD_1
	v_mfma_f32_16x16x16_bf16 v[2:5], v[70:71], v[32:33], v[2:5]
	v_perm_b32 v6, v7, v6, s44
	v_perm_b32 v7, v9, v8, s44
	v_cvt_pk_f32_fp8_e32 v[8:9], v51
	v_cvt_pk_f32_fp8_sdwa v[50:51], v51 src0_sel:WORD_1
	v_mfma_f32_16x16x16_bf16 v[70:73], v[6:7], v[26:27], v[2:5]
	v_perm_b32 v76, v9, v8, s44
	v_perm_b32 v77, v51, v50, s44
	v_cvt_pk_f32_fp8_e32 v[50:51], v52
	global_load_dwordx4 v[6:9], v[74:75], off
	global_load_dwordx4 v[2:5], v[58:59], off
	v_perm_b32 v75, v79, v78, s44
	v_cvt_pk_f32_fp8_e32 v[58:59], v53
	v_perm_b32 v74, v51, v50, s44
	v_cvt_pk_f32_fp8_sdwa v[78:79], v53 src0_sel:WORD_1
	v_mfma_f32_16x16x16_bf16 v[50:53], v[76:77], v[28:29], v[70:73]
	v_perm_b32 v58, v59, v58, s44
	v_cvt_pk_f32_fp8_sdwa v[76:77], v36 src0_sel:WORD_1
	v_perm_b32 v59, v79, v78, s44
	v_mfma_f32_16x16x16_bf16 v[50:53], v[74:75], v[18:19], v[50:53]
	v_cvt_pk_f32_fp8_e32 v[70:71], v34
	v_cvt_pk_f32_fp8_sdwa v[72:73], v34 src0_sel:WORD_1
	v_cvt_pk_f32_fp8_e32 v[74:75], v36
	v_mfma_f32_16x16x16_bf16 v[50:53], v[58:59], v[20:21], v[50:53]
	v_cvt_pk_f32_fp8_e32 v[58:59], v35
	v_perm_b32 v70, v71, v70, s44
	v_perm_b32 v71, v73, v72, s44
	v_cvt_pk_f32_fp8_sdwa v[34:35], v35 src0_sel:WORD_1
	v_perm_b32 v58, v59, v58, s44
	v_mfma_f32_16x16x16_bf16 v[70:73], v[70:71], v[38:39], 0
	v_perm_b32 v59, v35, v34, s44
	v_perm_b32 v38, v75, v74, s44
	;; [unrolled: 1-line block ×3, first 2 shown]
	v_cvt_pk_f32_fp8_e32 v[74:75], v37
	v_cvt_pk_f32_fp8_sdwa v[76:77], v37 src0_sel:WORD_1
	v_mfma_f32_16x16x16_bf16 v[34:37], v[58:59], v[40:41], v[70:73]
	s_load_dword s6, s[0:1], 0x1c
	s_load_dwordx4 s[40:43], s[0:1], 0x80
	v_perm_b32 v58, v75, v74, s44
	v_perm_b32 v59, v77, v76, s44
	v_mfma_f32_16x16x16_bf16 v[34:37], v[38:39], v[30:31], v[34:37]
	s_load_dword s46, s[0:1], 0x98
	s_waitcnt lgkmcnt(0)
	s_load_dword s7, s[40:41], 0x0
	v_cvt_pk_f32_fp8_sdwa v[38:39], v22 src0_sel:WORD_1
	v_mfma_f32_16x16x16_bf16 v[32:35], v[58:59], v[32:33], v[34:37]
	v_mov_b32_e32 v40, s6
	s_mov_b32 s40, 0xff7fffff
	s_waitcnt lgkmcnt(0)
	v_mul_f32_e32 v70, s7, v40
	v_cvt_pk_f32_fp8_e32 v[36:37], v22
	v_pk_mul_f32 v[30:31], v[70:71], v[42:43] op_sel_hi:[0,1]
	v_cvt_pk_f32_fp8_e32 v[42:43], v23
	v_cvt_pk_f32_fp8_sdwa v[22:23], v23 src0_sel:WORD_1
	v_perm_b32 v36, v37, v36, s44
	v_perm_b32 v37, v39, v38, s44
	v_pk_mul_f32 v[40:41], v[70:71], v[44:45] op_sel_hi:[0,1]
	v_perm_b32 v38, v43, v42, s44
	v_perm_b32 v39, v23, v22, s44
	v_cvt_pk_f32_fp8_e32 v[42:43], v24
	v_cvt_pk_f32_fp8_sdwa v[44:45], v24 src0_sel:WORD_1
	v_mfma_f32_16x16x16_bf16 v[32:35], v[36:37], v[26:27], v[32:35]
	v_lshl_add_u64 v[22:23], s[4:5], 0, v[56:57]
	v_perm_b32 v36, v43, v42, s44
	v_perm_b32 v37, v45, v44, s44
	v_cvt_pk_f32_fp8_e32 v[42:43], v25
	v_cvt_pk_f32_fp8_sdwa v[56:57], v25 src0_sel:WORD_1
	v_mfma_f32_16x16x16_bf16 v[24:27], v[38:39], v[28:29], v[32:35]
	v_pk_mul_f32 v[44:45], v[70:71], v[48:49] op_sel_hi:[0,1]
	v_perm_b32 v28, v43, v42, s44
	v_perm_b32 v29, v57, v56, s44
	v_mfma_f32_16x16x16_bf16 v[24:27], v[36:37], v[18:19], v[24:27]
	v_pk_mul_f32 v[42:43], v[70:71], v[50:51] op_sel_hi:[0,1]
	v_pk_mul_f32 v[46:47], v[70:71], v[46:47] op_sel_hi:[0,1]
	;; [unrolled: 1-line block ×3, first 2 shown]
	v_mfma_f32_16x16x16_bf16 v[18:21], v[28:29], v[20:21], v[24:27]
	s_nop 6
	v_pk_mul_f32 v[36:37], v[70:71], v[18:19] op_sel_hi:[0,1]
	v_and_b32_e32 v18, 0xc0, v0
	v_add_u32_e32 v18, s18, v18
	v_lshl_or_b32 v18, v1, 2, v18
	v_or_b32_e32 v19, 1, v18
	v_pk_mul_f32 v[34:35], v[70:71], v[20:21] op_sel_hi:[0,1]
	v_subrev_u32_e32 v20, s33, v19
	v_add_u32_e32 v24, 1, v20
	v_add_u32_e32 v25, 2, v20
	v_cvt_f32_i32_e32 v21, v20
	v_cvt_f32_i32_e32 v24, v24
	;; [unrolled: 1-line block ×3, first 2 shown]
	v_add_u32_e32 v26, 3, v20
	v_fma_f32 v50, v63, v21, v30
	v_fmac_f32_e32 v31, v63, v24
	v_fma_f32 v40, v63, v25, v40
	v_add_u32_e32 v21, 16, v20
	v_add_u32_e32 v24, 17, v20
	;; [unrolled: 1-line block ×3, first 2 shown]
	v_cvt_f32_i32_e32 v26, v26
	v_cvt_f32_i32_e32 v21, v21
	;; [unrolled: 1-line block ×4, first 2 shown]
	v_fmac_f32_e32 v41, v63, v26
	v_add_u32_e32 v26, 19, v20
	v_fma_f32 v52, v63, v21, v46
	v_fmac_f32_e32 v47, v63, v24
	v_fma_f32 v44, v63, v25, v44
	v_add_u32_e32 v21, 32, v20
	v_add_u32_e32 v24, 33, v20
	v_add_u32_e32 v25, 34, v20
	v_cvt_f32_i32_e32 v26, v26
	v_cvt_f32_i32_e32 v21, v21
	;; [unrolled: 1-line block ×4, first 2 shown]
	v_fmac_f32_e32 v45, v63, v26
	v_add_u32_e32 v26, 35, v20
	v_fma_f32 v42, v63, v21, v42
	v_fmac_f32_e32 v43, v63, v24
	v_fma_f32 v38, v63, v25, v38
	v_add_u32_e32 v21, 48, v20
	v_add_u32_e32 v24, 49, v20
	;; [unrolled: 1-line block ×4, first 2 shown]
	v_cvt_f32_i32_e32 v20, v20
	v_cvt_f32_i32_e32 v21, v21
	;; [unrolled: 1-line block ×3, first 2 shown]
	v_cmp_gt_i32_e64 s[12:13], s33, v18
	v_fmac_f32_e32 v35, v63, v20
	v_mov_b32_e32 v20, 0xff7fffff
	v_cmp_gt_i32_e64 s[14:15], s33, v19
	v_fma_f32 v36, v63, v21, v36
	v_cndmask_b32_e64 v21, v20, v50, s[12:13]
	v_cndmask_b32_e64 v19, v20, v31, s[14:15]
	v_fmac_f32_e32 v37, v63, v24
	v_max3_f32 v19, v21, s40, v19
	v_or_b32_e32 v21, 2, v18
	v_or_b32_e32 v24, 3, v18
	v_cmp_gt_i32_e64 s[16:17], s33, v21
	v_cmp_gt_i32_e64 s[18:19], s33, v24
	v_cvt_f32_i32_e32 v26, v26
	v_cndmask_b32_e64 v21, v20, v40, s[16:17]
	v_cndmask_b32_e64 v24, v20, v41, s[18:19]
	v_max3_f32 v19, v19, v21, v24
	v_or_b32_e32 v21, 16, v18
	v_or_b32_e32 v24, 17, v18
	v_cmp_gt_i32_e64 s[20:21], s33, v21
	v_cmp_gt_i32_e64 s[22:23], s33, v24
	v_fmac_f32_e32 v39, v63, v26
	v_cndmask_b32_e64 v21, v20, v52, s[20:21]
	v_cndmask_b32_e64 v24, v20, v47, s[22:23]
	v_max3_f32 v19, v19, v21, v24
	v_or_b32_e32 v21, 18, v18
	v_or_b32_e32 v24, 19, v18
	v_cmp_gt_i32_e64 s[24:25], s33, v21
	v_cmp_gt_i32_e64 s[26:27], s33, v24
	v_cvt_f32_i32_e32 v25, v25
	v_cndmask_b32_e64 v21, v20, v44, s[24:25]
	v_cndmask_b32_e64 v24, v20, v45, s[26:27]
	v_max3_f32 v19, v19, v21, v24
	v_or_b32_e32 v21, 32, v18
	v_or_b32_e32 v24, 33, v18
	v_cmp_gt_i32_e64 s[28:29], s33, v21
	v_cmp_gt_i32_e64 s[30:31], s33, v24
	v_fma_f32 v34, v63, v25, v34
	v_cndmask_b32_e64 v21, v20, v42, s[28:29]
	v_cndmask_b32_e64 v24, v20, v43, s[30:31]
	v_max3_f32 v19, v19, v21, v24
	v_or_b32_e32 v21, 34, v18
	v_or_b32_e32 v24, 35, v18
	v_cmp_gt_i32_e64 s[34:35], s33, v21
	v_cmp_gt_i32_e64 s[36:37], s33, v24
	s_nop 0
	v_cndmask_b32_e64 v21, v20, v38, s[34:35]
	v_cndmask_b32_e64 v24, v20, v39, s[36:37]
	v_max3_f32 v19, v19, v21, v24
	v_or_b32_e32 v21, 48, v18
	v_or_b32_e32 v24, 49, v18
	v_cmp_gt_i32_e64 s[6:7], s33, v21
	v_cmp_gt_i32_e64 s[8:9], s33, v24
	s_nop 0
	v_cndmask_b32_e64 v21, v20, v36, s[6:7]
	v_cndmask_b32_e64 v24, v20, v37, s[8:9]
	v_max3_f32 v19, v19, v21, v24
	v_or_b32_e32 v21, 50, v18
	v_or_b32_e32 v18, 51, v18
	v_cmp_gt_i32_e32 vcc, s33, v21
	v_cmp_gt_i32_e64 s[4:5], s33, v18
	s_nop 0
	v_cndmask_b32_e32 v21, v20, v34, vcc
	v_cndmask_b32_e64 v18, v20, v35, s[4:5]
	v_max3_f32 v24, v19, v21, v18
	v_mbcnt_lo_u32_b32 v18, -1, 0
	v_mbcnt_hi_u32_b32 v25, -1, v18
	v_and_b32_e32 v18, 64, v25
	v_add_u32_e32 v26, 64, v18
	v_xor_b32_e32 v18, 32, v25
	v_cmp_lt_i32_e64 s[38:39], v18, v26
	s_nop 1
	v_cndmask_b32_e64 v18, v25, v18, s[38:39]
	v_lshlrev_b32_e32 v53, 2, v18
	ds_bpermute_b32 v27, v53, v24
	v_mad_i64_i32 v[18:19], s[38:39], v64, s45, v[22:23]
	v_mad_i64_i32 v[20:21], s[38:39], v66, s45, v[22:23]
	s_waitcnt lgkmcnt(0)
	v_max_f32_e32 v27, v27, v27
	v_max_f32_e32 v27, v24, v27
	v_xor_b32_e32 v24, 16, v25
	v_cmp_lt_i32_e64 s[38:39], v24, v26
	s_nop 1
	v_cndmask_b32_e64 v24, v25, v24, s[38:39]
	v_lshlrev_b32_e32 v56, 2, v24
	ds_bpermute_b32 v26, v56, v27
	v_mad_i64_i32 v[24:25], s[38:39], v67, s45, v[22:23]
	v_mad_i64_i32 v[48:49], s[38:39], v68, s45, v[22:23]
	s_waitcnt lgkmcnt(0)
	v_max_f32_e32 v22, v26, v26
	v_max_f32_e32 v46, v27, v22
	v_sub_f32_e32 v22, v31, v46
	global_load_dwordx4 v[30:33], v[18:19], off
	global_load_dwordx4 v[26:29], v[20:21], off
	v_sub_f32_e32 v18, v50, v46
	v_mul_f32_e32 v18, 0x3fb8aa3b, v18
	v_exp_f32_e32 v50, v18
	v_mul_f32_e32 v18, 0x3fb8aa3b, v22
	v_exp_f32_e32 v51, v18
	v_sub_f32_e32 v18, v40, v46
	v_mul_f32_e32 v18, 0x3fb8aa3b, v18
	v_exp_f32_e32 v40, v18
	v_sub_f32_e32 v18, v41, v46
	v_mul_f32_e32 v18, 0x3fb8aa3b, v18
	v_exp_f32_e32 v41, v18
	global_load_dwordx4 v[22:25], v[24:25], off
	s_nop 0
	global_load_dwordx4 v[18:21], v[48:49], off
	v_sub_f32_e32 v42, v42, v46
	v_sub_f32_e32 v38, v38, v46
	v_mul_f32_e32 v42, 0x3fb8aa3b, v42
	v_mul_f32_e32 v38, 0x3fb8aa3b, v38
	v_cndmask_b32_e64 v49, 0, v51, s[14:15]
	v_cndmask_b32_e64 v51, 0, v41, s[18:19]
	v_sub_f32_e32 v41, v47, v46
	v_exp_f32_e32 v42, v42
	v_exp_f32_e32 v47, v38
	v_cndmask_b32_e64 v48, 0, v50, s[12:13]
	v_cndmask_b32_e64 v50, 0, v40, s[16:17]
	v_sub_f32_e32 v40, v52, v46
	v_mul_f32_e32 v40, 0x3fb8aa3b, v40
	v_sub_f32_e32 v38, v39, v46
	v_exp_f32_e32 v40, v40
	v_mul_f32_e32 v41, 0x3fb8aa3b, v41
	v_sub_f32_e32 v44, v44, v46
	v_mul_f32_e32 v38, 0x3fb8aa3b, v38
	v_exp_f32_e32 v41, v41
	v_mul_f32_e32 v44, 0x3fb8aa3b, v44
	v_sub_f32_e32 v45, v45, v46
	v_exp_f32_e32 v52, v38
	v_cndmask_b32_e64 v38, 0, v42, s[28:29]
	v_cndmask_b32_e64 v42, 0, v47, s[34:35]
	v_add_f32_e32 v47, 0, v48
	v_exp_f32_e32 v44, v44
	v_mul_f32_e32 v45, 0x3fb8aa3b, v45
	v_add_f32_e32 v47, v47, v49
	v_exp_f32_e32 v45, v45
	v_sub_f32_e32 v43, v43, v46
	v_add_f32_e32 v47, v47, v50
	v_cndmask_b32_e64 v40, 0, v40, s[20:21]
	v_mul_f32_e32 v43, 0x3fb8aa3b, v43
	v_add_f32_e32 v47, v47, v51
	v_cndmask_b32_e64 v41, 0, v41, s[22:23]
	v_exp_f32_e32 v43, v43
	v_add_f32_e32 v47, v47, v40
	v_cndmask_b32_e64 v44, 0, v44, s[24:25]
	v_add_f32_e32 v47, v47, v41
	v_sub_f32_e32 v36, v36, v46
	v_cndmask_b32_e64 v45, 0, v45, s[26:27]
	v_add_f32_e32 v47, v47, v44
	v_mul_f32_e32 v36, 0x3fb8aa3b, v36
	v_sub_f32_e32 v37, v37, v46
	v_add_f32_e32 v47, v47, v45
	v_exp_f32_e32 v36, v36
	v_mul_f32_e32 v37, 0x3fb8aa3b, v37
	v_sub_f32_e32 v34, v34, v46
	v_cndmask_b32_e64 v39, 0, v43, s[30:31]
	v_add_f32_e32 v47, v47, v38
	v_exp_f32_e32 v37, v37
	v_mul_f32_e32 v34, 0x3fb8aa3b, v34
	v_sub_f32_e32 v35, v35, v46
	v_add_f32_e32 v47, v47, v39
	v_exp_f32_e32 v34, v34
	v_mul_f32_e32 v35, 0x3fb8aa3b, v35
	v_cndmask_b32_e64 v43, 0, v52, s[36:37]
	v_add_f32_e32 v47, v47, v42
	v_exp_f32_e32 v35, v35
	v_add_f32_e32 v47, v47, v43
	v_cndmask_b32_e64 v36, 0, v36, s[6:7]
	v_add_f32_e32 v47, v47, v36
	v_cndmask_b32_e64 v37, 0, v37, s[8:9]
	v_add_f32_e32 v47, v47, v37
	v_cndmask_b32_e32 v34, 0, v34, vcc
	v_add_f32_e32 v47, v47, v34
	v_cndmask_b32_e64 v35, 0, v35, s[4:5]
	v_add_f32_e32 v47, v47, v35
	ds_bpermute_b32 v52, v53, v47
	v_cmp_gt_u32_e32 vcc, 16, v55
	s_waitcnt lgkmcnt(0)
	s_barrier
	v_add_f32_e32 v47, v47, v52
	ds_bpermute_b32 v52, v56, v47
	s_and_saveexec_b64 s[4:5], vcc
	s_cbranch_execz .LBB1305_15
; %bb.14:
	s_waitcnt lgkmcnt(0)
	v_add_f32_e32 v47, v47, v52
	v_lshlrev_b32_e32 v52, 2, v65
	ds_write2st64_b32 v52, v46, v47 offset1:1
.LBB1305_15:
	s_or_b64 exec, exec, s[4:5]
	v_lshlrev_b32_e32 v47, 2, v60
	s_load_dword s6, s[0:1], 0x94
	s_waitcnt lgkmcnt(0)
	s_barrier
	ds_read2_b32 v[52:53], v47 offset1:16
	ds_read2_b32 v[56:57], v47 offset0:32 offset1:48
	ds_read2_b32 v[58:59], v47 offset0:64 offset1:80
	s_movk_i32 s8, 0x7fff
	s_lshl_b32 s7, s46, 1
	s_waitcnt lgkmcnt(2)
	v_max3_f32 v46, v52, s40, v53
	s_waitcnt lgkmcnt(1)
	v_max3_f32 v46, v46, v56, v57
	v_sub_f32_e32 v52, v52, v46
	v_mul_f32_e32 v52, 0x3fb8aa3b, v52
	v_exp_f32_e32 v63, v52
	v_sub_f32_e32 v52, v53, v46
	v_mul_f32_e32 v52, 0x3fb8aa3b, v52
	v_exp_f32_e32 v64, v52
	;; [unrolled: 3-line block ×3, first 2 shown]
	ds_read2_b32 v[52:53], v47 offset0:96 offset1:112
	v_sub_f32_e32 v47, v57, v46
	v_mul_f32_e32 v47, 0x3fb8aa3b, v47
	v_exp_f32_e32 v57, v47
	s_waitcnt lgkmcnt(1)
	v_fma_f32 v47, v63, v58, 0
	v_fmac_f32_e32 v47, v64, v59
	s_waitcnt lgkmcnt(0)
	v_fmac_f32_e32 v47, v56, v52
	v_fmac_f32_e32 v47, v57, v53
	v_add_f32_e32 v52, 0x358637bd, v47
	v_div_scale_f32 v53, s[4:5], v52, v52, 1.0
	v_rcp_f32_e32 v58, v53
	s_barrier
	v_fma_f32 v59, -v53, v58, 1.0
	v_fmac_f32_e32 v58, v59, v58
	v_div_scale_f32 v59, vcc, 1.0, v52, 1.0
	v_mul_f32_e32 v65, v59, v58
	v_fma_f32 v66, -v53, v65, v59
	v_fmac_f32_e32 v65, v66, v58
	v_fma_f32 v53, -v53, v65, v59
	v_div_fmas_f32 v53, v53, v58, v65
	v_cmp_eq_u32_e32 vcc, 1, v62
	v_div_fixup_f32 v52, v53, v52, 1.0
	s_nop 0
	v_cndmask_b32_e32 v53, v63, v64, vcc
	v_cmp_eq_u32_e32 vcc, 2, v62
	s_nop 1
	v_cndmask_b32_e32 v53, v53, v56, vcc
	v_cmp_eq_u32_e32 vcc, 3, v62
	s_nop 1
	v_cndmask_b32_e32 v53, v53, v57, vcc
	v_mul_f32_e32 v52, v53, v52
	v_pk_mul_f32 v[48:49], v[52:53], v[48:49] op_sel_hi:[0,1]
	v_pk_mul_f32 v[50:51], v[52:53], v[50:51] op_sel_hi:[0,1]
	v_bfe_u32 v53, v49, 16, 1
	v_bfe_u32 v56, v48, 16, 1
	v_add3_u32 v48, v48, v56, s8
	v_add3_u32 v49, v49, v53, s8
	v_perm_b32 v58, v49, v48, s44
	v_bfe_u32 v48, v51, 16, 1
	v_bfe_u32 v49, v50, 16, 1
	v_add3_u32 v49, v50, v49, s8
	v_add3_u32 v48, v51, v48, s8
	v_perm_b32 v59, v48, v49, s44
	v_lshlrev_b32_e32 v49, 3, v1
	v_lshlrev_b32_e32 v48, 5, v60
	;; [unrolled: 1-line block ×3, first 2 shown]
	v_pk_mul_f32 v[40:41], v[52:53], v[40:41] op_sel_hi:[0,1]
	v_or3_b32 v56, v50, v48, v49
	v_bfe_u32 v49, v41, 16, 1
	v_bfe_u32 v50, v40, 16, 1
	v_pk_mul_f32 v[44:45], v[52:53], v[44:45] op_sel_hi:[0,1]
	v_add3_u32 v40, v40, v50, s8
	v_add3_u32 v41, v41, v49, s8
	v_perm_b32 v40, v41, v40, s44
	v_bfe_u32 v41, v45, 16, 1
	v_bfe_u32 v49, v44, 16, 1
	v_add3_u32 v44, v44, v49, s8
	v_add3_u32 v41, v45, v41, s8
	v_perm_b32 v41, v41, v44, s44
	v_pk_mul_f32 v[38:39], v[52:53], v[38:39] op_sel_hi:[0,1]
	ds_write2st64_b64 v56, v[58:59], v[40:41] offset1:1
	v_pk_mul_f32 v[40:41], v[52:53], v[42:43] op_sel_hi:[0,1]
	v_bfe_u32 v42, v39, 16, 1
	v_bfe_u32 v43, v38, 16, 1
	v_add3_u32 v38, v38, v43, s8
	v_add3_u32 v39, v39, v42, s8
	v_perm_b32 v38, v39, v38, s44
	v_bfe_u32 v39, v41, 16, 1
	v_bfe_u32 v42, v40, 16, 1
	v_add3_u32 v40, v40, v42, s8
	v_add3_u32 v39, v41, v39, s8
	v_pk_mul_f32 v[36:37], v[52:53], v[36:37] op_sel_hi:[0,1]
	v_perm_b32 v39, v39, v40, s44
	v_bfe_u32 v40, v37, 16, 1
	v_bfe_u32 v41, v36, 16, 1
	v_pk_mul_f32 v[34:35], v[52:53], v[34:35] op_sel_hi:[0,1]
	v_add3_u32 v36, v36, v41, s8
	v_add3_u32 v37, v37, v40, s8
	v_perm_b32 v36, v37, v36, s44
	v_bfe_u32 v37, v35, 16, 1
	v_bfe_u32 v40, v34, 16, 1
	v_add3_u32 v34, v34, v40, s8
	v_add3_u32 v35, v35, v37, s8
	v_perm_b32 v37, v35, v34, s44
	v_cmp_gt_u32_e32 vcc, 2, v0
	ds_write2st64_b64 v56, v[38:39], v[36:37] offset0:2 offset1:3
	s_and_saveexec_b64 s[4:5], vcc
	s_cbranch_execz .LBB1305_17
; %bb.16:
	v_or_b32_e32 v34, s11, v0
	v_mov_b32_e32 v35, 0
	v_mov_b32_e32 v36, s7
	v_mad_u64_u32 v[36:37], s[16:17], s2, v36, v[34:35]
	v_mov_b32_e32 v34, s10
	s_load_dwordx4 s[12:15], s[0:1], 0x58
	s_mul_i32 s3, s3, s7
	v_mad_u64_u32 v[34:35], s[16:17], v36, s6, v[34:35]
	v_add_u32_e32 v37, s3, v37
	v_mov_b32_e32 v36, v35
	v_mad_u64_u32 v[36:37], s[16:17], v37, s6, v[36:37]
	v_mov_b32_e32 v35, v36
	v_lshlrev_b64 v[34:35], 2, v[34:35]
	s_waitcnt lgkmcnt(0)
	v_lshl_add_u64 v[36:37], s[14:15], 0, v[34:35]
	v_lshl_add_u64 v[34:35], s[12:13], 0, v[34:35]
	global_store_dword v[36:37], v46, off
	global_store_dword v[34:35], v47, off
.LBB1305_17:
	s_or_b64 exec, exec, s[4:5]
	s_waitcnt vmcnt(7)
	v_cvt_pk_f32_fp8_e32 v[34:35], v14
	v_cvt_pk_f32_fp8_sdwa v[36:37], v14 src0_sel:WORD_1
	v_lshl_or_b32 v50, v1, 9, v48
	s_mov_b32 s5, 0x7060302
	s_waitcnt lgkmcnt(0)
	s_barrier
	v_cvt_pk_f32_fp8_e32 v[38:39], v15
	v_perm_b32 v14, v35, v34, s5
	v_cvt_pk_f32_fp8_sdwa v[40:41], v15 src0_sel:WORD_1
	v_perm_b32 v15, v37, v36, s5
	ds_read_b128 v[34:37], v50
	v_perm_b32 v46, v39, v38, s5
	v_perm_b32 v47, v41, v40, s5
	ds_read_b128 v[38:41], v50 offset:16
	v_cvt_pk_f32_fp8_e32 v[48:49], v16
	v_cvt_pk_f32_fp8_sdwa v[52:53], v16 src0_sel:WORD_1
	s_waitcnt lgkmcnt(1)
	v_mfma_f32_16x16x16_bf16 v[42:45], v[14:15], v[34:35], 0
	s_waitcnt vmcnt(6)
	v_cvt_pk_f32_fp8_e32 v[58:59], v12
	v_perm_b32 v14, v49, v48, s5
	v_perm_b32 v15, v53, v52, s5
	v_cvt_pk_f32_fp8_e32 v[48:49], v17
	v_mfma_f32_16x16x16_bf16 v[42:45], v[46:47], v[36:37], v[42:45]
	v_cvt_pk_f32_fp8_sdwa v[46:47], v17 src0_sel:WORD_1
	v_cvt_pk_f32_fp8_sdwa v[62:63], v12 src0_sel:WORD_1
	v_perm_b32 v48, v49, v48, s5
	s_waitcnt lgkmcnt(0)
	v_mfma_f32_16x16x16_bf16 v[14:17], v[14:15], v[38:39], v[42:45]
	v_perm_b32 v49, v47, v46, s5
	s_waitcnt vmcnt(5)
	v_cvt_pk_f32_fp8_sdwa v[66:67], v8 src0_sel:WORD_1
	s_waitcnt vmcnt(4)
	v_cvt_pk_f32_fp8_sdwa v[68:69], v4 src0_sel:WORD_1
	v_cvt_pk_f32_fp8_e32 v[42:43], v10
	v_mfma_f32_16x16x16_bf16 v[46:49], v[48:49], v[40:41], v[14:17]
	s_load_dword s4, s[42:43], 0x0
	s_waitcnt vmcnt(3)
	v_cvt_pk_f32_fp8_sdwa v[70:71], v32 src0_sel:WORD_1
	v_cvt_pk_f32_fp8_sdwa v[14:15], v10 src0_sel:WORD_1
	v_cvt_pk_f32_fp8_e32 v[16:17], v11
	v_perm_b32 v10, v43, v42, s5
	v_cvt_pk_f32_fp8_sdwa v[42:43], v11 src0_sel:WORD_1
	v_perm_b32 v11, v15, v14, s5
	v_perm_b32 v52, v17, v16, s5
	ds_read_b128 v[14:17], v50 offset:2048
	v_perm_b32 v53, v43, v42, s5
	ds_read_b128 v[42:45], v50 offset:2064
	s_waitcnt lgkmcnt(0)
	v_mfma_f32_16x16x16_bf16 v[46:49], v[10:11], v[14:15], v[46:49]
	v_perm_b32 v10, v59, v58, s5
	v_perm_b32 v11, v63, v62, s5
	v_cvt_pk_f32_fp8_e32 v[58:59], v13
	v_mfma_f32_16x16x16_bf16 v[46:49], v[52:53], v[16:17], v[46:49]
	v_cvt_pk_f32_fp8_sdwa v[52:53], v13 src0_sel:WORD_1
	v_cmp_gt_u32_e32 vcc, 64, v0
	v_perm_b32 v58, v59, v58, s5
	v_mfma_f32_16x16x16_bf16 v[10:13], v[10:11], v[42:43], v[46:49]
	v_perm_b32 v59, v53, v52, s5
	s_mov_b32 s3, 0
	s_nop 0
	v_cvt_pk_f32_fp8_e32 v[46:47], v6
	v_mfma_f32_16x16x16_bf16 v[62:65], v[58:59], v[44:45], v[10:13]
	v_cvt_pk_f32_fp8_e32 v[58:59], v8
	s_nop 1
	v_cvt_pk_f32_fp8_sdwa v[10:11], v6 src0_sel:WORD_1
	v_cvt_pk_f32_fp8_e32 v[12:13], v7
	v_perm_b32 v6, v47, v46, s5
	v_cvt_pk_f32_fp8_sdwa v[46:47], v7 src0_sel:WORD_1
	v_perm_b32 v7, v11, v10, s5
	v_perm_b32 v52, v13, v12, s5
	ds_read_b128 v[10:13], v50 offset:4096
	v_perm_b32 v53, v47, v46, s5
	ds_read_b128 v[46:49], v50 offset:4112
	s_waitcnt lgkmcnt(1)
	v_mfma_f32_16x16x16_bf16 v[62:65], v[6:7], v[10:11], v[62:65]
	v_perm_b32 v6, v59, v58, s5
	v_perm_b32 v7, v67, v66, s5
	v_cvt_pk_f32_fp8_e32 v[58:59], v9
	v_mfma_f32_16x16x16_bf16 v[62:65], v[52:53], v[12:13], v[62:65]
	v_cvt_pk_f32_fp8_sdwa v[52:53], v9 src0_sel:WORD_1
	v_cvt_pk_f32_fp8_e32 v[66:67], v4
	v_perm_b32 v58, v59, v58, s5
	s_waitcnt lgkmcnt(0)
	v_mfma_f32_16x16x16_bf16 v[6:9], v[6:7], v[46:47], v[62:65]
	v_perm_b32 v59, v53, v52, s5
	v_cvt_pk_f32_fp8_e32 v[52:53], v2
	s_nop 0
	v_mfma_f32_16x16x16_bf16 v[62:65], v[58:59], v[48:49], v[6:9]
	s_nop 2
	v_cvt_pk_f32_fp8_sdwa v[6:7], v2 src0_sel:WORD_1
	v_cvt_pk_f32_fp8_e32 v[8:9], v3
	v_perm_b32 v2, v53, v52, s5
	v_cvt_pk_f32_fp8_sdwa v[52:53], v3 src0_sel:WORD_1
	v_perm_b32 v3, v7, v6, s5
	v_perm_b32 v58, v9, v8, s5
	ds_read_b128 v[6:9], v50 offset:6144
	v_perm_b32 v59, v53, v52, s5
	s_waitcnt lgkmcnt(0)
	v_mfma_f32_16x16x16_bf16 v[62:65], v[2:3], v[6:7], v[62:65]
	ds_read_b128 v[50:53], v50 offset:6160
	v_perm_b32 v2, v67, v66, s5
	v_perm_b32 v3, v69, v68, s5
	v_cvt_pk_f32_fp8_e32 v[66:67], v5
	v_mfma_f32_16x16x16_bf16 v[62:65], v[58:59], v[8:9], v[62:65]
	v_cvt_pk_f32_fp8_sdwa v[58:59], v5 src0_sel:WORD_1
	v_cvt_pk_f32_fp8_e32 v[68:69], v32
	v_perm_b32 v66, v67, v66, s5
	s_waitcnt lgkmcnt(0)
	v_mfma_f32_16x16x16_bf16 v[2:5], v[2:3], v[50:51], v[62:65]
	v_perm_b32 v67, v59, v58, s5
	v_cvt_pk_f32_fp8_sdwa v[58:59], v30 src0_sel:WORD_1
	s_nop 0
	v_mfma_f32_16x16x16_bf16 v[62:65], v[66:67], v[52:53], v[2:5]
	s_barrier
	s_nop 1
	v_cvt_pk_f32_fp8_e32 v[4:5], v30
	s_nop 2
	v_pk_mul_f32 v[66:67], v[62:63], s[4:5] op_sel_hi:[1,0]
	v_cvt_pk_f32_fp8_e32 v[62:63], v31
	v_perm_b32 v4, v5, v4, s5
	v_perm_b32 v5, v59, v58, s5
	v_cvt_pk_f32_fp8_sdwa v[30:31], v31 src0_sel:WORD_1
	v_perm_b32 v58, v63, v62, s5
	v_pk_mul_f32 v[2:3], v[64:65], s[4:5] op_sel_hi:[1,0]
	v_mfma_f32_16x16x16_bf16 v[62:65], v[4:5], v[34:35], 0
	v_perm_b32 v59, v31, v30, s5
	v_perm_b32 v4, v69, v68, s5
	;; [unrolled: 1-line block ×3, first 2 shown]
	v_cvt_pk_f32_fp8_e32 v[34:35], v33
	v_cvt_pk_f32_fp8_sdwa v[68:69], v33 src0_sel:WORD_1
	v_mfma_f32_16x16x16_bf16 v[30:33], v[58:59], v[36:37], v[62:65]
	s_waitcnt vmcnt(2)
	v_cvt_pk_f32_fp8_sdwa v[36:37], v26 src0_sel:WORD_1
	v_perm_b32 v34, v35, v34, s5
	v_perm_b32 v35, v69, v68, s5
	v_mfma_f32_16x16x16_bf16 v[30:33], v[4:5], v[38:39], v[30:33]
	v_cvt_pk_f32_fp8_e32 v[4:5], v26
	v_cvt_pk_f32_fp8_sdwa v[38:39], v28 src0_sel:WORD_1
	v_bfe_u32 v57, v67, 16, 1
	v_mfma_f32_16x16x16_bf16 v[30:33], v[34:35], v[40:41], v[30:33]
	v_cvt_pk_f32_fp8_e32 v[34:35], v27
	v_perm_b32 v4, v5, v4, s5
	v_perm_b32 v5, v37, v36, s5
	v_cvt_pk_f32_fp8_sdwa v[26:27], v27 src0_sel:WORD_1
	v_perm_b32 v34, v35, v34, s5
	v_cvt_pk_f32_fp8_e32 v[36:37], v28
	v_mfma_f32_16x16x16_bf16 v[30:33], v[4:5], v[14:15], v[30:33]
	v_perm_b32 v35, v27, v26, s5
	v_perm_b32 v4, v37, v36, s5
	;; [unrolled: 1-line block ×3, first 2 shown]
	v_cvt_pk_f32_fp8_e32 v[26:27], v29
	v_cvt_pk_f32_fp8_sdwa v[28:29], v29 src0_sel:WORD_1
	v_mfma_f32_16x16x16_bf16 v[14:17], v[34:35], v[16:17], v[30:33]
	v_bfe_u32 v58, v66, 16, 1
	v_perm_b32 v26, v27, v26, s5
	v_perm_b32 v27, v29, v28, s5
	v_mfma_f32_16x16x16_bf16 v[14:17], v[4:5], v[42:43], v[14:17]
	s_waitcnt vmcnt(1)
	v_cvt_pk_f32_fp8_e32 v[4:5], v22
	v_cvt_pk_f32_fp8_sdwa v[28:29], v22 src0_sel:WORD_1
	v_cvt_pk_f32_fp8_sdwa v[30:31], v24 src0_sel:WORD_1
	v_mfma_f32_16x16x16_bf16 v[14:17], v[26:27], v[44:45], v[14:17]
	v_cvt_pk_f32_fp8_e32 v[26:27], v23
	v_perm_b32 v4, v5, v4, s5
	v_perm_b32 v5, v29, v28, s5
	v_cvt_pk_f32_fp8_sdwa v[22:23], v23 src0_sel:WORD_1
	v_perm_b32 v26, v27, v26, s5
	v_cvt_pk_f32_fp8_e32 v[28:29], v24
	v_mfma_f32_16x16x16_bf16 v[14:17], v[4:5], v[10:11], v[14:17]
	v_perm_b32 v27, v23, v22, s5
	v_perm_b32 v4, v29, v28, s5
	;; [unrolled: 1-line block ×3, first 2 shown]
	v_cvt_pk_f32_fp8_e32 v[22:23], v25
	v_cvt_pk_f32_fp8_sdwa v[24:25], v25 src0_sel:WORD_1
	v_mfma_f32_16x16x16_bf16 v[10:13], v[26:27], v[12:13], v[14:17]
	v_add3_u32 v32, v66, v58, s8
	v_add3_u32 v33, v67, v57, s8
	s_nop 0
	v_perm_b32 v16, v23, v22, s5
	v_perm_b32 v17, v25, v24, s5
	v_mfma_f32_16x16x16_bf16 v[10:13], v[4:5], v[46:47], v[10:13]
	s_waitcnt vmcnt(0)
	v_cvt_pk_f32_fp8_e32 v[4:5], v18
	v_cvt_pk_f32_fp8_sdwa v[22:23], v18 src0_sel:WORD_1
	v_cvt_pk_f32_fp8_sdwa v[24:25], v20 src0_sel:WORD_1
	v_mfma_f32_16x16x16_bf16 v[10:13], v[16:17], v[48:49], v[10:13]
	v_cvt_pk_f32_fp8_e32 v[16:17], v19
	v_perm_b32 v4, v5, v4, s5
	v_perm_b32 v5, v23, v22, s5
	v_cvt_pk_f32_fp8_sdwa v[18:19], v19 src0_sel:WORD_1
	v_perm_b32 v16, v17, v16, s5
	v_cvt_pk_f32_fp8_e32 v[22:23], v20
	v_mfma_f32_16x16x16_bf16 v[4:7], v[4:5], v[6:7], v[10:13]
	v_perm_b32 v17, v19, v18, s5
	v_cvt_pk_f32_fp8_sdwa v[18:19], v21 src0_sel:WORD_1
	s_nop 0
	v_perm_b32 v10, v23, v22, s5
	v_perm_b32 v11, v25, v24, s5
	v_cvt_pk_f32_fp8_e32 v[12:13], v21
	v_mfma_f32_16x16x16_bf16 v[4:7], v[16:17], v[8:9], v[4:7]
	v_perm_b32 v9, v19, v18, s5
	v_bfe_u32 v15, v3, 16, 1
	v_perm_b32 v8, v13, v12, s5
	v_mfma_f32_16x16x16_bf16 v[4:7], v[10:11], v[50:51], v[4:7]
	v_bfe_u32 v16, v2, 16, 1
	v_add3_u32 v2, v2, v16, s8
	v_add3_u32 v3, v3, v15, s8
	v_perm_b32 v15, v3, v2, s5
	v_mfma_f32_16x16x16_bf16 v[2:5], v[8:9], v[52:53], v[4:7]
	v_perm_b32 v14, v33, v32, s5
	s_nop 5
	v_pk_mul_f32 v[2:3], v[2:3], s[4:5] op_sel_hi:[1,0]
	v_pk_mul_f32 v[4:5], v[4:5], s[4:5] op_sel_hi:[1,0]
	v_bfe_u32 v6, v3, 16, 1
	v_bfe_u32 v7, v2, 16, 1
	v_add3_u32 v2, v2, v7, s8
	v_add3_u32 v3, v3, v6, s8
	v_perm_b32 v2, v3, v2, s5
	v_bfe_u32 v3, v5, 16, 1
	v_bfe_u32 v6, v4, 16, 1
	v_add3_u32 v4, v4, v6, s8
	v_add3_u32 v3, v5, v3, s8
	v_perm_b32 v3, v3, v4, s5
	v_cmp_gt_u32_e64 s[4:5], 32, v55
	s_and_b64 s[4:5], vcc, s[4:5]
	ds_write2st64_b64 v56, v[14:15], v[2:3] offset1:1
	s_waitcnt lgkmcnt(0)
	s_barrier
	s_and_saveexec_b64 s[8:9], s[4:5]
	s_cbranch_execz .LBB1305_19
; %bb.18:
	s_load_dwordx2 s[0:1], s[0:1], 0x68
	s_mul_i32 s2, s7, s2
	s_lshl_b32 s6, s6, 7
	v_lshlrev_b32_e32 v4, 6, v60
	s_mul_hi_u32 s5, s2, s6
	s_mul_i32 s4, s2, s6
	v_lshl_or_b32 v0, v0, 10, v4
	s_lshl_b64 s[4:5], s[4:5], 1
	v_lshlrev_b32_e32 v2, 5, v1
	v_and_b32_e32 v3, 16, v61
	v_and_b32_e32 v0, 0x1a00, v0
	s_waitcnt lgkmcnt(0)
	s_add_u32 s4, s0, s4
	v_or3_b32 v0, v0, v2, v3
	s_addc_u32 s5, s1, s5
	s_lshl_b32 s2, s10, 7
	ds_read_b128 v[2:5], v0
	s_lshl_b64 s[0:1], s[2:3], 1
	s_add_u32 s0, s4, s0
	v_or_b32_e32 v0, s11, v1
	s_addc_u32 s1, s5, s1
	v_mad_u64_u32 v[0:1], s[2:3], s6, v0, 0
	v_lshl_add_u64 v[0:1], v[0:1], 1, s[0:1]
	v_mov_b32_e32 v55, 0
	v_lshl_add_u64 v[0:1], v[0:1], 0, v[54:55]
	s_waitcnt lgkmcnt(0)
	global_store_dwordx4 v[0:1], v[2:5], off
.LBB1305_19:
	s_endpgm
	.section	.rodata,"a",@progbits
	.p2align	6, 0x0
	.amdhsa_kernel _Z39paged_attention_ll4mi_QKV_mfma16_kernelI14__hip_bfloat16hLN4vllm18Fp8KVCacheDataTypeE1ES0_Li16ELi128ELi256ELb1ELi2EEvPKT_PKT0_S8_ifPKiSA_SA_iPKfiiiPfSD_PS3_PT2_iSC_SC_
		.amdhsa_group_segment_fixed_size 8192
		.amdhsa_private_segment_fixed_size 0
		.amdhsa_kernarg_size 400
		.amdhsa_user_sgpr_count 2
		.amdhsa_user_sgpr_dispatch_ptr 0
		.amdhsa_user_sgpr_queue_ptr 0
		.amdhsa_user_sgpr_kernarg_segment_ptr 1
		.amdhsa_user_sgpr_dispatch_id 0
		.amdhsa_user_sgpr_kernarg_preload_length 0
		.amdhsa_user_sgpr_kernarg_preload_offset 0
		.amdhsa_user_sgpr_private_segment_size 0
		.amdhsa_uses_dynamic_stack 0
		.amdhsa_enable_private_segment 0
		.amdhsa_system_sgpr_workgroup_id_x 1
		.amdhsa_system_sgpr_workgroup_id_y 1
		.amdhsa_system_sgpr_workgroup_id_z 1
		.amdhsa_system_sgpr_workgroup_info 0
		.amdhsa_system_vgpr_workitem_id 0
		.amdhsa_next_free_vgpr 80
		.amdhsa_next_free_sgpr 48
		.amdhsa_accum_offset 80
		.amdhsa_reserve_vcc 1
		.amdhsa_float_round_mode_32 0
		.amdhsa_float_round_mode_16_64 0
		.amdhsa_float_denorm_mode_32 3
		.amdhsa_float_denorm_mode_16_64 3
		.amdhsa_dx10_clamp 1
		.amdhsa_ieee_mode 1
		.amdhsa_fp16_overflow 0
		.amdhsa_tg_split 0
		.amdhsa_exception_fp_ieee_invalid_op 0
		.amdhsa_exception_fp_denorm_src 0
		.amdhsa_exception_fp_ieee_div_zero 0
		.amdhsa_exception_fp_ieee_overflow 0
		.amdhsa_exception_fp_ieee_underflow 0
		.amdhsa_exception_fp_ieee_inexact 0
		.amdhsa_exception_int_div_zero 0
	.end_amdhsa_kernel
	.section	.text._Z39paged_attention_ll4mi_QKV_mfma16_kernelI14__hip_bfloat16hLN4vllm18Fp8KVCacheDataTypeE1ES0_Li16ELi128ELi256ELb1ELi2EEvPKT_PKT0_S8_ifPKiSA_SA_iPKfiiiPfSD_PS3_PT2_iSC_SC_,"axG",@progbits,_Z39paged_attention_ll4mi_QKV_mfma16_kernelI14__hip_bfloat16hLN4vllm18Fp8KVCacheDataTypeE1ES0_Li16ELi128ELi256ELb1ELi2EEvPKT_PKT0_S8_ifPKiSA_SA_iPKfiiiPfSD_PS3_PT2_iSC_SC_,comdat
.Lfunc_end1305:
	.size	_Z39paged_attention_ll4mi_QKV_mfma16_kernelI14__hip_bfloat16hLN4vllm18Fp8KVCacheDataTypeE1ES0_Li16ELi128ELi256ELb1ELi2EEvPKT_PKT0_S8_ifPKiSA_SA_iPKfiiiPfSD_PS3_PT2_iSC_SC_, .Lfunc_end1305-_Z39paged_attention_ll4mi_QKV_mfma16_kernelI14__hip_bfloat16hLN4vllm18Fp8KVCacheDataTypeE1ES0_Li16ELi128ELi256ELb1ELi2EEvPKT_PKT0_S8_ifPKiSA_SA_iPKfiiiPfSD_PS3_PT2_iSC_SC_
                                        ; -- End function
	.section	.AMDGPU.csdata,"",@progbits
; Kernel info:
; codeLenInByte = 6516
; NumSgprs: 54
; NumVgprs: 80
; NumAgprs: 0
; TotalNumVgprs: 80
; ScratchSize: 0
; MemoryBound: 0
; FloatMode: 240
; IeeeMode: 1
; LDSByteSize: 8192 bytes/workgroup (compile time only)
; SGPRBlocks: 6
; VGPRBlocks: 9
; NumSGPRsForWavesPerEU: 54
; NumVGPRsForWavesPerEU: 80
; AccumOffset: 80
; Occupancy: 6
; WaveLimiterHint : 1
; COMPUTE_PGM_RSRC2:SCRATCH_EN: 0
; COMPUTE_PGM_RSRC2:USER_SGPR: 2
; COMPUTE_PGM_RSRC2:TRAP_HANDLER: 0
; COMPUTE_PGM_RSRC2:TGID_X_EN: 1
; COMPUTE_PGM_RSRC2:TGID_Y_EN: 1
; COMPUTE_PGM_RSRC2:TGID_Z_EN: 1
; COMPUTE_PGM_RSRC2:TIDIG_COMP_CNT: 0
; COMPUTE_PGM_RSRC3_GFX90A:ACCUM_OFFSET: 19
; COMPUTE_PGM_RSRC3_GFX90A:TG_SPLIT: 0
	.section	.text._Z39paged_attention_ll4mi_QKV_mfma16_kernelI14__hip_bfloat16hLN4vllm18Fp8KVCacheDataTypeE1ES0_Li16ELi128ELi256ELb1ELi3EEvPKT_PKT0_S8_ifPKiSA_SA_iPKfiiiPfSD_PS3_PT2_iSC_SC_,"axG",@progbits,_Z39paged_attention_ll4mi_QKV_mfma16_kernelI14__hip_bfloat16hLN4vllm18Fp8KVCacheDataTypeE1ES0_Li16ELi128ELi256ELb1ELi3EEvPKT_PKT0_S8_ifPKiSA_SA_iPKfiiiPfSD_PS3_PT2_iSC_SC_,comdat
	.protected	_Z39paged_attention_ll4mi_QKV_mfma16_kernelI14__hip_bfloat16hLN4vllm18Fp8KVCacheDataTypeE1ES0_Li16ELi128ELi256ELb1ELi3EEvPKT_PKT0_S8_ifPKiSA_SA_iPKfiiiPfSD_PS3_PT2_iSC_SC_ ; -- Begin function _Z39paged_attention_ll4mi_QKV_mfma16_kernelI14__hip_bfloat16hLN4vllm18Fp8KVCacheDataTypeE1ES0_Li16ELi128ELi256ELb1ELi3EEvPKT_PKT0_S8_ifPKiSA_SA_iPKfiiiPfSD_PS3_PT2_iSC_SC_
	.globl	_Z39paged_attention_ll4mi_QKV_mfma16_kernelI14__hip_bfloat16hLN4vllm18Fp8KVCacheDataTypeE1ES0_Li16ELi128ELi256ELb1ELi3EEvPKT_PKT0_S8_ifPKiSA_SA_iPKfiiiPfSD_PS3_PT2_iSC_SC_
	.p2align	8
	.type	_Z39paged_attention_ll4mi_QKV_mfma16_kernelI14__hip_bfloat16hLN4vllm18Fp8KVCacheDataTypeE1ES0_Li16ELi128ELi256ELb1ELi3EEvPKT_PKT0_S8_ifPKiSA_SA_iPKfiiiPfSD_PS3_PT2_iSC_SC_,@function
_Z39paged_attention_ll4mi_QKV_mfma16_kernelI14__hip_bfloat16hLN4vllm18Fp8KVCacheDataTypeE1ES0_Li16ELi128ELi256ELb1ELi3EEvPKT_PKT0_S8_ifPKiSA_SA_iPKfiiiPfSD_PS3_PT2_iSC_SC_: ; @_Z39paged_attention_ll4mi_QKV_mfma16_kernelI14__hip_bfloat16hLN4vllm18Fp8KVCacheDataTypeE1ES0_Li16ELi128ELi256ELb1ELi3EEvPKT_PKT0_S8_ifPKiSA_SA_iPKfiiiPfSD_PS3_PT2_iSC_SC_
; %bb.0:
	s_load_dwordx2 s[10:11], s[0:1], 0x30
	s_mov_b32 s6, s3
	s_mov_b64 s[8:9], 0
	s_waitcnt lgkmcnt(0)
	s_cmp_lg_u64 s[10:11], 0
	s_cselect_b64 s[12:13], -1, 0
	s_and_b64 vcc, exec, s[12:13]
	s_cbranch_vccz .LBB1306_7
; %bb.1:
	s_add_i32 s14, s2, 1
	s_mov_b32 s15, 0
	s_lshl_b64 s[16:17], s[14:15], 2
	s_add_u32 s16, s10, s16
	s_mov_b32 s3, s15
	s_addc_u32 s17, s11, s17
	s_lshl_b64 s[14:15], s[2:3], 2
	s_add_u32 s14, s10, s14
	s_addc_u32 s15, s11, s15
	s_load_dword s5, s[16:17], 0x0
	s_load_dword s7, s[14:15], 0x0
	s_waitcnt lgkmcnt(0)
	s_sub_i32 s5, s5, s7
	s_cmp_eq_u32 s5, 1
	s_cselect_b64 s[14:15], -1, 0
	s_andn2_b64 vcc, exec, s[8:9]
	s_cbranch_vccnz .LBB1306_3
.LBB1306_2:
	s_mov_b32 s3, 0
	s_mov_b64 s[14:15], -1
.LBB1306_3:
	s_andn2_b64 vcc, exec, s[14:15]
	s_cbranch_vccnz .LBB1306_19
; %bb.4:
	s_load_dwordx2 s[8:9], s[0:1], 0x28
	s_lshl_b64 s[16:17], s[2:3], 2
	s_waitcnt lgkmcnt(0)
	s_add_u32 s8, s8, s16
	s_addc_u32 s9, s9, s17
	s_load_dword s7, s[8:9], 0x0
	s_lshl_b32 s18, s6, 8
	s_waitcnt lgkmcnt(0)
	s_cmp_ge_i32 s18, s7
	s_cbranch_scc1 .LBB1306_19
; %bb.5:
	s_load_dwordx2 s[8:9], s[0:1], 0x20
	s_load_dword s5, s[0:1], 0x38
	s_add_i32 s14, s7, 15
	s_ashr_i32 s15, s14, 31
	v_and_b32_e32 v1, 0xcf, v0
	s_lshr_b32 s15, s15, 28
	v_add_u32_e32 v1, s18, v1
	s_add_i32 s14, s14, s15
	v_ashrrev_i32_e32 v2, 31, v1
	s_ashr_i32 s19, s14, 4
	v_lshrrev_b32_e32 v4, 28, v2
	s_add_i32 s19, s19, -1
	s_waitcnt lgkmcnt(0)
	s_mul_i32 s14, s2, s5
	s_mov_b32 s15, 0
	v_add_u32_e32 v2, v1, v4
	s_lshl_b64 s[14:15], s[14:15], 2
	v_ashrrev_i32_e32 v2, 4, v2
	v_mov_b32_e32 v5, s19
	v_cmp_gt_i32_e32 vcc, s7, v1
	s_add_u32 s8, s8, s14
	s_addc_u32 s9, s9, s15
	v_cndmask_b32_e32 v2, v5, v2, vcc
	v_ashrrev_i32_e32 v3, 31, v2
	v_lshl_add_u64 v[6:7], v[2:3], 2, s[8:9]
	v_or_b32_e32 v2, 16, v1
	v_add_u32_e32 v3, v2, v4
	v_ashrrev_i32_e32 v3, 4, v3
	v_cmp_gt_i32_e32 vcc, s7, v2
	s_load_dwordx2 s[14:15], s[0:1], 0x8
	s_nop 0
	v_cndmask_b32_e32 v2, v5, v3, vcc
	v_ashrrev_i32_e32 v3, 31, v2
	v_lshl_add_u64 v[8:9], v[2:3], 2, s[8:9]
	v_or_b32_e32 v2, 32, v1
	v_add_u32_e32 v3, v2, v4
	v_ashrrev_i32_e32 v3, 4, v3
	v_cmp_gt_i32_e32 vcc, s7, v2
	v_or_b32_e32 v1, 48, v1
	s_nop 0
	v_cndmask_b32_e32 v2, v5, v3, vcc
	v_ashrrev_i32_e32 v3, 31, v2
	v_lshl_add_u64 v[12:13], v[2:3], 2, s[8:9]
	v_add_u32_e32 v2, v1, v4
	v_ashrrev_i32_e32 v2, 4, v2
	v_cmp_gt_i32_e32 vcc, s7, v1
	s_nop 1
	v_cndmask_b32_e32 v2, v5, v2, vcc
	v_ashrrev_i32_e32 v3, 31, v2
	v_lshl_add_u64 v[14:15], v[2:3], 2, s[8:9]
	global_load_dword v4, v[6:7], off
	global_load_dword v3, v[8:9], off
	;; [unrolled: 1-line block ×4, first 2 shown]
	s_andn2_b64 vcc, exec, s[12:13]
	s_cbranch_vccnz .LBB1306_8
; %bb.6:
	s_add_u32 s10, s10, s16
	s_addc_u32 s11, s11, s17
	s_load_dword s5, s[10:11], 0x0
	s_branch .LBB1306_9
.LBB1306_7:
	s_mov_b64 s[14:15], 0
	s_branch .LBB1306_2
.LBB1306_8:
	s_mov_b32 s5, s2
.LBB1306_9:
	s_load_dwordx2 s[10:11], s[0:1], 0x10
	s_load_dwordx4 s[44:47], s[0:1], 0x48
	v_lshrrev_b32_e32 v57, 6, v0
	v_bfe_u32 v60, v0, 4, 2
	v_and_b32_e32 v56, 15, v0
	s_mul_i32 s48, s4, 3
	v_lshl_or_b32 v5, v57, 2, v60
	v_lshlrev_b32_e32 v6, 3, v56
	v_add_u32_e32 v1, s48, v60
	v_cmp_gt_u32_e32 vcc, 3, v5
	v_lshlrev_b32_e32 v54, 1, v6
	v_lshlrev_b32_e32 v61, 4, v0
	s_and_saveexec_b64 s[12:13], vcc
	s_cbranch_execz .LBB1306_11
; %bb.10:
	s_load_dwordx2 s[16:17], s[0:1], 0x0
	s_waitcnt lgkmcnt(0)
	s_ashr_i32 s20, s44, 31
	s_mul_hi_u32 s21, s5, s44
	s_mul_i32 s20, s5, s20
	s_add_i32 s21, s21, s20
	s_mul_i32 s20, s5, s44
	s_lshl_b64 s[20:21], s[20:21], 1
	s_add_u32 s16, s16, s20
	v_lshlrev_b32_e32 v6, 7, v1
	s_addc_u32 s17, s17, s21
	v_ashrrev_i32_e32 v7, 31, v6
	v_lshl_add_u64 v[6:7], v[6:7], 1, s[16:17]
	v_mov_b32_e32 v55, 0
	v_lshl_add_u64 v[6:7], v[6:7], 0, v[54:55]
	global_load_dwordx4 v[6:9], v[6:7], off
	v_lshlrev_b32_e32 v12, 8, v0
	v_lshlrev_b32_e32 v11, 8, v56
	v_and_b32_e32 v12, 0x600, v12
	s_movk_i32 s5, 0x800
	v_and_or_b32 v11, v11, s5, v12
	v_lshlrev_b32_e32 v5, 5, v5
	v_and_b32_e32 v12, 16, v61
	v_or3_b32 v5, v11, v5, v12
	s_waitcnt vmcnt(0)
	ds_write_b128 v5, v[6:9]
.LBB1306_11:
	s_or_b64 exec, exec, s[12:13]
	s_waitcnt lgkmcnt(0)
	s_mul_i32 s12, s4, s46
	s_add_u32 s4, s14, s12
	s_addc_u32 s5, s15, 0
	v_and_b32_e32 v58, 0xf0, v61
	v_mov_b32_e32 v59, 0
	v_and_b32_e32 v34, 48, v0
	v_lshl_add_u64 v[12:13], s[4:5], 0, v[58:59]
	v_lshlrev_b32_e32 v58, 4, v34
	s_waitcnt vmcnt(3)
	v_mad_i64_i32 v[4:5], s[4:5], v4, s45, v[12:13]
	v_lshl_add_u64 v[4:5], v[4:5], 0, v[58:59]
	s_barrier
	global_load_dwordx4 v[50:53], v[4:5], off
	global_load_dwordx4 v[46:49], v[4:5], off offset:1024
	s_waitcnt vmcnt(4)
	v_mad_i64_i32 v[4:5], s[4:5], v3, s45, v[12:13]
	s_waitcnt vmcnt(3)
	v_mad_i64_i32 v[2:3], s[4:5], v2, s45, v[12:13]
	v_lshl_add_u64 v[4:5], v[4:5], 0, v[58:59]
	v_lshl_add_u64 v[14:15], v[2:3], 0, v[58:59]
	s_waitcnt vmcnt(2)
	v_mad_i64_i32 v[10:11], s[4:5], v10, s45, v[12:13]
	global_load_dwordx4 v[36:39], v[4:5], off
	global_load_dwordx4 v[6:9], v[4:5], off offset:1024
	s_nop 0
	global_load_dwordx4 v[2:5], v[14:15], off
	global_load_dwordx4 v[42:45], v[14:15], off offset:1024
	v_lshl_add_u64 v[14:15], v[10:11], 0, v[58:59]
	global_load_dwordx4 v[22:25], v[14:15], off
	global_load_dwordx4 v[10:13], v[14:15], off offset:1024
	v_mul_lo_u16_e32 v14, 0x56, v56
	v_mov_b32_e32 v15, 3
	v_mul_lo_u16_sdwa v14, v14, v15 dst_sel:DWORD dst_unused:UNUSED_PAD src0_sel:BYTE_1 src1_sel:DWORD
	v_sub_u16_e32 v14, v56, v14
	v_mov_b32_e32 v15, 5
	v_lshlrev_b32_sdwa v14, v15, v14 dst_sel:DWORD dst_unused:UNUSED_PAD src0_sel:DWORD src1_sel:BYTE_0
	v_lshl_add_u32 v14, v60, 9, v14
	ds_read_b128 v[30:33], v14
	ds_read_b128 v[26:29], v14 offset:16
	ds_read_b128 v[18:21], v14 offset:2048
	;; [unrolled: 1-line block ×3, first 2 shown]
	v_and_b32_e32 v55, 63, v0
	v_cmp_gt_u32_e32 vcc, 3, v56
	v_mov_b32_e32 v62, 0
	s_and_saveexec_b64 s[4:5], vcc
	s_cbranch_execz .LBB1306_13
; %bb.12:
	s_load_dwordx2 s[14:15], s[0:1], 0x40
	v_add_u32_e32 v40, s48, v56
	v_ashrrev_i32_e32 v41, 31, v40
	s_waitcnt lgkmcnt(0)
	v_lshl_add_u64 v[40:41], v[40:41], 2, s[14:15]
	global_load_dword v62, v[40:41], off
.LBB1306_13:
	s_or_b64 exec, exec, s[4:5]
	v_or_b32_e32 v58, s18, v34
	v_ashrrev_i32_e32 v34, 4, v58
	v_mov_b32_e32 v76, s19
	v_cmp_gt_i32_e32 vcc, s7, v58
	s_waitcnt vmcnt(7)
	v_cvt_pk_f32_fp8_e32 v[40:41], v50
	v_cvt_pk_f32_fp8_sdwa v[64:65], v50 src0_sel:WORD_1
	v_cndmask_b32_e32 v34, v76, v34, vcc
	v_ashrrev_i32_e32 v35, 31, v34
	v_lshl_add_u64 v[34:35], v[34:35], 2, s[8:9]
	global_load_dword v63, v[34:35], off
	v_or_b32_e32 v34, 64, v58
	v_ashrrev_i32_e32 v35, 4, v34
	v_cmp_gt_i32_e32 vcc, s7, v34
	v_or_b32_e32 v66, 0x80, v58
	v_ashrrev_i32_e32 v67, 4, v66
	v_cndmask_b32_e32 v34, v76, v35, vcc
	v_cmp_gt_i32_e32 vcc, s7, v66
	s_mov_b32 s33, 0x7060302
	v_perm_b32 v40, v41, v40, s33
	v_cndmask_b32_e32 v50, v76, v67, vcc
	v_perm_b32 v41, v65, v64, s33
	v_cvt_pk_f32_fp8_e32 v[64:65], v51
	v_cvt_pk_f32_fp8_sdwa v[66:67], v51 src0_sel:WORD_1
	v_ashrrev_i32_e32 v51, 31, v50
	v_lshl_add_u64 v[68:69], v[50:51], 2, s[8:9]
	v_perm_b32 v50, v65, v64, s33
	v_perm_b32 v51, v67, v66, s33
	s_waitcnt lgkmcnt(3)
	v_mfma_f32_16x16x16_bf16 v[64:67], v[40:41], v[30:31], 0
	v_cvt_pk_f32_fp8_e32 v[40:41], v52
	v_cvt_pk_f32_fp8_sdwa v[70:71], v52 src0_sel:WORD_1
	s_waitcnt vmcnt(7)
	v_cvt_pk_f32_fp8_e32 v[72:73], v46
	v_mfma_f32_16x16x16_bf16 v[64:67], v[50:51], v[32:33], v[64:67]
	v_cvt_pk_f32_fp8_e32 v[50:51], v53
	v_perm_b32 v40, v41, v40, s33
	v_perm_b32 v41, v71, v70, s33
	v_cvt_pk_f32_fp8_sdwa v[52:53], v53 src0_sel:WORD_1
	v_perm_b32 v70, v51, v50, s33
	v_cvt_pk_f32_fp8_sdwa v[74:75], v46 src0_sel:WORD_1
	v_ashrrev_i32_e32 v35, 31, v34
	v_perm_b32 v71, v53, v52, s33
	s_waitcnt lgkmcnt(2)
	v_mfma_f32_16x16x16_bf16 v[50:53], v[40:41], v[26:27], v[64:67]
	v_perm_b32 v40, v73, v72, s33
	v_perm_b32 v41, v75, v74, s33
	v_or_b32_e32 v58, 0xc0, v58
	v_cvt_pk_f32_fp8_e32 v[64:65], v47
	v_cvt_pk_f32_fp8_sdwa v[46:47], v47 src0_sel:WORD_1
	v_mfma_f32_16x16x16_bf16 v[50:53], v[70:71], v[28:29], v[50:53]
	v_lshl_add_u64 v[34:35], v[34:35], 2, s[8:9]
	v_perm_b32 v64, v65, v64, s33
	v_perm_b32 v65, v47, v46, s33
	s_waitcnt lgkmcnt(1)
	v_mfma_f32_16x16x16_bf16 v[50:53], v[40:41], v[18:19], v[50:53]
	v_ashrrev_i32_e32 v66, 4, v58
	v_cmp_gt_i32_e32 vcc, s7, v58
	v_cvt_pk_f32_fp8_e32 v[46:47], v48
	s_waitcnt vmcnt(6)
	v_cvt_pk_f32_fp8_sdwa v[70:71], v36 src0_sel:WORD_1
	v_cndmask_b32_e32 v40, v76, v66, vcc
	v_mfma_f32_16x16x16_bf16 v[64:67], v[64:65], v[20:21], v[50:53]
	v_perm_b32 v46, v47, v46, s33
	v_ashrrev_i32_e32 v41, 31, v40
	v_lshl_add_u64 v[40:41], v[40:41], 2, s[8:9]
	global_load_dword v53, v[34:35], off
	v_cvt_pk_f32_fp8_sdwa v[50:51], v48 src0_sel:WORD_1
	v_cvt_pk_f32_fp8_e32 v[34:35], v49
	v_cvt_pk_f32_fp8_sdwa v[48:49], v49 src0_sel:WORD_1
	s_add_u32 s46, s10, s12
	v_perm_b32 v47, v51, v50, s33
	v_perm_b32 v34, v35, v34, s33
	;; [unrolled: 1-line block ×3, first 2 shown]
	s_waitcnt lgkmcnt(0)
	v_mfma_f32_16x16x16_bf16 v[46:49], v[46:47], v[14:15], v[64:67]
	v_cvt_pk_f32_fp8_e32 v[50:51], v36
	s_nop 1
	global_load_dword v65, v[68:69], off
	global_load_dword v64, v[40:41], off
	v_cvt_pk_f32_fp8_e32 v[66:67], v37
	v_perm_b32 v50, v51, v50, s33
	v_perm_b32 v51, v71, v70, s33
	v_cvt_pk_f32_fp8_sdwa v[70:71], v37 src0_sel:WORD_1
	v_perm_b32 v40, v67, v66, s33
	v_mfma_f32_16x16x16_bf16 v[34:37], v[34:35], v[16:17], v[46:49]
	v_cvt_pk_f32_fp8_sdwa v[66:67], v38 src0_sel:WORD_1
	v_perm_b32 v41, v71, v70, s33
	s_waitcnt vmcnt(8)
	v_cvt_pk_f32_fp8_e32 v[68:69], v6
	v_mfma_f32_16x16x16_bf16 v[46:49], v[50:51], v[30:31], 0
	v_cvt_pk_f32_fp8_e32 v[50:51], v38
	v_cvt_pk_f32_fp8_sdwa v[70:71], v6 src0_sel:WORD_1
	v_lshl_or_b32 v52, v57, 4, v56
	v_mfma_f32_16x16x16_bf16 v[46:49], v[40:41], v[32:33], v[46:49]
	v_cvt_pk_f32_fp8_e32 v[40:41], v39
	v_perm_b32 v50, v51, v50, s33
	v_perm_b32 v51, v67, v66, s33
	v_cvt_pk_f32_fp8_sdwa v[38:39], v39 src0_sel:WORD_1
	v_perm_b32 v66, v41, v40, s33
	s_waitcnt vmcnt(6)
	v_cvt_pk_f32_fp8_e32 v[72:73], v43
	s_addc_u32 s47, s11, 0
	v_perm_b32 v67, v39, v38, s33
	v_mfma_f32_16x16x16_bf16 v[38:41], v[50:51], v[26:27], v[46:49]
	v_cvt_pk_f32_fp8_sdwa v[50:51], v2 src0_sel:WORD_1
	v_lshlrev_b32_e32 v58, 4, v52
	s_nop 0
	v_perm_b32 v46, v69, v68, s33
	v_perm_b32 v47, v71, v70, s33
	v_cvt_pk_f32_fp8_e32 v[48:49], v7
	v_cvt_pk_f32_fp8_sdwa v[6:7], v7 src0_sel:WORD_1
	v_mfma_f32_16x16x16_bf16 v[38:41], v[66:67], v[28:29], v[38:41]
	v_lshl_add_u64 v[70:71], s[46:47], 0, v[58:59]
	v_perm_b32 v48, v49, v48, s33
	v_perm_b32 v49, v7, v6, s33
	v_mfma_f32_16x16x16_bf16 v[38:41], v[46:47], v[18:19], v[38:41]
	v_cvt_pk_f32_fp8_e32 v[6:7], v8
	v_cvt_pk_f32_fp8_sdwa v[46:47], v8 src0_sel:WORD_1
	v_or_b32_e32 v58, 0x400, v58
	v_mfma_f32_16x16x16_bf16 v[38:41], v[48:49], v[20:21], v[38:41]
	v_cvt_pk_f32_fp8_e32 v[48:49], v9
	v_perm_b32 v6, v7, v6, s33
	v_perm_b32 v7, v47, v46, s33
	v_cvt_pk_f32_fp8_sdwa v[8:9], v9 src0_sel:WORD_1
	v_perm_b32 v46, v49, v48, s33
	v_cvt_pk_f32_fp8_e32 v[48:49], v2
	v_perm_b32 v47, v9, v8, s33
	v_mfma_f32_16x16x16_bf16 v[6:9], v[6:7], v[14:15], v[38:41]
	v_perm_b32 v48, v49, v48, s33
	v_perm_b32 v49, v51, v50, s33
	v_cvt_pk_f32_fp8_e32 v[50:51], v3
	v_cvt_pk_f32_fp8_sdwa v[2:3], v3 src0_sel:WORD_1
	v_mfma_f32_16x16x16_bf16 v[38:41], v[46:47], v[16:17], v[6:9]
	v_perm_b32 v46, v51, v50, s33
	v_perm_b32 v47, v3, v2, s33
	v_mfma_f32_16x16x16_bf16 v[6:9], v[48:49], v[30:31], 0
	v_cvt_pk_f32_fp8_e32 v[2:3], v4
	v_cvt_pk_f32_fp8_sdwa v[48:49], v4 src0_sel:WORD_1
	s_waitcnt vmcnt(3)
	v_mad_i64_i32 v[50:51], s[4:5], v63, s45, v[70:71]
	v_perm_b32 v2, v3, v2, s33
	v_perm_b32 v3, v49, v48, s33
	v_mfma_f32_16x16x16_bf16 v[6:9], v[46:47], v[32:33], v[6:9]
	v_cvt_pk_f32_fp8_e32 v[46:47], v5
	v_cvt_pk_f32_fp8_sdwa v[4:5], v5 src0_sel:WORD_1
	s_waitcnt vmcnt(2)
	v_mad_i64_i32 v[66:67], s[4:5], v53, s45, v[70:71]
	v_perm_b32 v46, v47, v46, s33
	v_perm_b32 v47, v5, v4, s33
	v_mfma_f32_16x16x16_bf16 v[2:5], v[2:3], v[26:27], v[6:9]
	s_nop 2
	v_cvt_pk_f32_fp8_e32 v[6:7], v42
	v_cvt_pk_f32_fp8_sdwa v[8:9], v42 src0_sel:WORD_1
	v_cvt_pk_f32_fp8_sdwa v[42:43], v43 src0_sel:WORD_1
	v_mfma_f32_16x16x16_bf16 v[46:49], v[46:47], v[28:29], v[2:5]
	v_perm_b32 v68, v7, v6, s33
	v_perm_b32 v69, v9, v8, s33
	global_load_dwordx4 v[6:9], v[50:51], off
	global_load_dwordx4 v[2:5], v[66:67], off
	v_perm_b32 v66, v73, v72, s33
	v_perm_b32 v67, v43, v42, s33
	v_mfma_f32_16x16x16_bf16 v[48:51], v[68:69], v[18:19], v[46:49]
	v_cvt_pk_f32_fp8_e32 v[42:43], v44
	v_cvt_pk_f32_fp8_sdwa v[72:73], v44 src0_sel:WORD_1
	s_waitcnt vmcnt(3)
	v_mad_i64_i32 v[46:47], s[4:5], v65, s45, v[70:71]
	v_mfma_f32_16x16x16_bf16 v[66:69], v[66:67], v[20:21], v[48:51]
	v_perm_b32 v42, v43, v42, s33
	v_perm_b32 v43, v73, v72, s33
	v_cvt_pk_f32_fp8_sdwa v[72:73], v22 src0_sel:WORD_1
	v_cvt_pk_f32_fp8_e32 v[50:51], v45
	v_cvt_pk_f32_fp8_sdwa v[44:45], v45 src0_sel:WORD_1
	s_waitcnt vmcnt(2)
	v_mad_i64_i32 v[48:49], s[4:5], v64, s45, v[70:71]
	v_perm_b32 v50, v51, v50, s33
	v_perm_b32 v51, v45, v44, s33
	v_mfma_f32_16x16x16_bf16 v[42:45], v[42:43], v[14:15], v[66:69]
	v_cvt_pk_f32_fp8_e32 v[70:71], v22
	s_load_dword s4, s[0:1], 0x1c
	s_load_dwordx4 s[40:43], s[0:1], 0x80
	s_load_dword s44, s[0:1], 0x98
	s_waitcnt lgkmcnt(0)
	s_load_dword s5, s[40:41], 0x0
	v_mfma_f32_16x16x16_bf16 v[66:69], v[50:51], v[16:17], v[42:45]
	s_mov_b32 s40, 0xff7fffff
	s_nop 1
	v_cvt_pk_f32_fp8_e32 v[42:43], v23
	v_perm_b32 v44, v71, v70, s33
	v_perm_b32 v45, v73, v72, s33
	v_cvt_pk_f32_fp8_sdwa v[22:23], v23 src0_sel:WORD_1
	v_perm_b32 v50, v43, v42, s33
	v_cvt_pk_f32_fp8_e32 v[70:71], v24
	v_cvt_pk_f32_fp8_sdwa v[72:73], v24 src0_sel:WORD_1
	v_perm_b32 v51, v23, v22, s33
	v_mfma_f32_16x16x16_bf16 v[42:45], v[44:45], v[30:31], 0
	v_perm_b32 v30, v71, v70, s33
	v_perm_b32 v31, v73, v72, s33
	v_cvt_pk_f32_fp8_e32 v[70:71], v25
	v_cvt_pk_f32_fp8_sdwa v[72:73], v25 src0_sel:WORD_1
	v_mfma_f32_16x16x16_bf16 v[22:25], v[50:51], v[32:33], v[42:45]
	v_mov_b32_e32 v32, s4
	s_waitcnt lgkmcnt(0)
	v_mul_f32_e32 v50, s5, v32
	v_pk_mul_f32 v[32:33], v[50:51], v[34:35] op_sel_hi:[0,1]
	v_perm_b32 v42, v71, v70, s33
	v_perm_b32 v43, v73, v72, s33
	v_mfma_f32_16x16x16_bf16 v[22:25], v[30:31], v[26:27], v[22:25]
	v_pk_mul_f32 v[30:31], v[50:51], v[36:37] op_sel_hi:[0,1]
	v_cvt_pk_f32_fp8_e32 v[26:27], v11
	v_cvt_pk_f32_fp8_sdwa v[70:71], v12 src0_sel:WORD_1
	v_mfma_f32_16x16x16_bf16 v[34:37], v[42:43], v[28:29], v[22:25]
	v_pk_mul_f32 v[40:41], v[50:51], v[40:41] op_sel_hi:[0,1]
	v_perm_b32 v44, v27, v26, s33
	s_nop 0
	v_cvt_pk_f32_fp8_e32 v[22:23], v10
	v_cvt_pk_f32_fp8_sdwa v[24:25], v10 src0_sel:WORD_1
	v_cvt_pk_f32_fp8_sdwa v[10:11], v11 src0_sel:WORD_1
	v_perm_b32 v42, v23, v22, s33
	v_perm_b32 v43, v25, v24, s33
	;; [unrolled: 1-line block ×3, first 2 shown]
	v_cvt_pk_f32_fp8_e32 v[10:11], v12
	v_mfma_f32_16x16x16_bf16 v[34:37], v[42:43], v[18:19], v[34:37]
	global_load_dwordx4 v[26:29], v[46:47], off
	global_load_dwordx4 v[22:25], v[48:49], off
	v_perm_b32 v18, v11, v10, s33
	v_perm_b32 v19, v71, v70, s33
	v_cvt_pk_f32_fp8_e32 v[42:43], v13
	v_cvt_pk_f32_fp8_sdwa v[46:47], v13 src0_sel:WORD_1
	v_mfma_f32_16x16x16_bf16 v[10:13], v[44:45], v[20:21], v[34:37]
	v_pk_mul_f32 v[44:45], v[50:51], v[38:39] op_sel_hi:[0,1]
	v_perm_b32 v20, v43, v42, s33
	v_perm_b32 v21, v47, v46, s33
	v_mfma_f32_16x16x16_bf16 v[10:13], v[18:19], v[14:15], v[10:13]
	v_pk_mul_f32 v[38:39], v[50:51], v[68:69] op_sel_hi:[0,1]
	v_pk_mul_f32 v[42:43], v[50:51], v[66:67] op_sel_hi:[0,1]
	v_mfma_f32_16x16x16_bf16 v[10:13], v[20:21], v[16:17], v[10:13]
	s_nop 6
	v_pk_mul_f32 v[36:37], v[50:51], v[10:11] op_sel_hi:[0,1]
	v_and_b32_e32 v10, 0xc0, v0
	v_add_u32_e32 v10, s18, v10
	v_lshl_or_b32 v10, v60, 2, v10
	v_or_b32_e32 v11, 1, v10
	v_pk_mul_f32 v[34:35], v[50:51], v[12:13] op_sel_hi:[0,1]
	v_subrev_u32_e32 v12, s7, v11
	v_add_u32_e32 v14, 1, v12
	v_add_u32_e32 v15, 2, v12
	v_cvt_f32_i32_e32 v13, v12
	v_cvt_f32_i32_e32 v14, v14
	;; [unrolled: 1-line block ×3, first 2 shown]
	v_add_u32_e32 v16, 3, v12
	v_fma_f32 v18, v62, v13, v32
	v_fmac_f32_e32 v33, v62, v14
	v_fma_f32 v48, v62, v15, v30
	v_add_u32_e32 v13, 16, v12
	v_add_u32_e32 v14, 17, v12
	;; [unrolled: 1-line block ×3, first 2 shown]
	v_cvt_f32_i32_e32 v16, v16
	v_cvt_f32_i32_e32 v13, v13
	v_cvt_f32_i32_e32 v14, v14
	v_cvt_f32_i32_e32 v15, v15
	v_fmac_f32_e32 v31, v62, v16
	v_add_u32_e32 v16, 19, v12
	v_fma_f32 v44, v62, v13, v44
	v_fmac_f32_e32 v45, v62, v14
	v_fma_f32 v40, v62, v15, v40
	v_add_u32_e32 v13, 32, v12
	v_add_u32_e32 v14, 33, v12
	;; [unrolled: 1-line block ×3, first 2 shown]
	v_cvt_f32_i32_e32 v16, v16
	v_cvt_f32_i32_e32 v13, v13
	;; [unrolled: 1-line block ×4, first 2 shown]
	v_fmac_f32_e32 v41, v62, v16
	v_add_u32_e32 v16, 35, v12
	v_fma_f32 v42, v62, v13, v42
	v_fmac_f32_e32 v43, v62, v14
	v_fma_f32 v38, v62, v15, v38
	v_add_u32_e32 v13, 48, v12
	v_add_u32_e32 v14, 49, v12
	;; [unrolled: 1-line block ×4, first 2 shown]
	v_cvt_f32_i32_e32 v12, v12
	v_cvt_f32_i32_e32 v13, v13
	v_cvt_f32_i32_e32 v14, v14
	v_cmp_gt_i32_e64 s[8:9], s7, v10
	v_fmac_f32_e32 v35, v62, v12
	v_mov_b32_e32 v12, 0xff7fffff
	v_cmp_gt_i32_e64 s[10:11], s7, v11
	v_fma_f32 v36, v62, v13, v36
	v_cndmask_b32_e64 v13, v12, v18, s[8:9]
	v_cndmask_b32_e64 v11, v12, v33, s[10:11]
	v_fmac_f32_e32 v37, v62, v14
	v_max3_f32 v11, v13, s40, v11
	v_or_b32_e32 v13, 2, v10
	v_or_b32_e32 v14, 3, v10
	v_cmp_gt_i32_e64 s[12:13], s7, v13
	v_cmp_gt_i32_e64 s[14:15], s7, v14
	v_cvt_f32_i32_e32 v16, v16
	v_cndmask_b32_e64 v13, v12, v48, s[12:13]
	v_cndmask_b32_e64 v14, v12, v31, s[14:15]
	v_max3_f32 v11, v11, v13, v14
	v_or_b32_e32 v13, 16, v10
	v_or_b32_e32 v14, 17, v10
	v_cmp_gt_i32_e64 s[16:17], s7, v13
	v_cmp_gt_i32_e64 s[18:19], s7, v14
	v_fmac_f32_e32 v39, v62, v16
	v_cndmask_b32_e64 v13, v12, v44, s[16:17]
	v_cndmask_b32_e64 v14, v12, v45, s[18:19]
	v_max3_f32 v11, v11, v13, v14
	v_or_b32_e32 v13, 18, v10
	v_or_b32_e32 v14, 19, v10
	v_cmp_gt_i32_e64 s[20:21], s7, v13
	v_cmp_gt_i32_e64 s[22:23], s7, v14
	v_cvt_f32_i32_e32 v15, v15
	v_cndmask_b32_e64 v13, v12, v40, s[20:21]
	v_cndmask_b32_e64 v14, v12, v41, s[22:23]
	v_max3_f32 v11, v11, v13, v14
	v_or_b32_e32 v13, 32, v10
	v_or_b32_e32 v14, 33, v10
	v_cmp_gt_i32_e64 s[24:25], s7, v13
	v_cmp_gt_i32_e64 s[26:27], s7, v14
	v_fma_f32 v34, v62, v15, v34
	v_cndmask_b32_e64 v13, v12, v42, s[24:25]
	v_cndmask_b32_e64 v14, v12, v43, s[26:27]
	v_max3_f32 v11, v11, v13, v14
	v_or_b32_e32 v13, 34, v10
	v_or_b32_e32 v14, 35, v10
	v_cmp_gt_i32_e64 s[28:29], s7, v13
	v_cmp_gt_i32_e64 s[30:31], s7, v14
	s_nop 0
	v_cndmask_b32_e64 v13, v12, v38, s[28:29]
	v_cndmask_b32_e64 v14, v12, v39, s[30:31]
	v_max3_f32 v11, v11, v13, v14
	v_or_b32_e32 v13, 48, v10
	v_or_b32_e32 v14, 49, v10
	v_cmp_gt_i32_e64 s[34:35], s7, v13
	v_cmp_gt_i32_e64 s[36:37], s7, v14
	s_nop 0
	v_cndmask_b32_e64 v13, v12, v36, s[34:35]
	v_cndmask_b32_e64 v14, v12, v37, s[36:37]
	v_max3_f32 v11, v11, v13, v14
	v_or_b32_e32 v13, 50, v10
	v_or_b32_e32 v10, 51, v10
	v_cmp_gt_i32_e32 vcc, s7, v13
	v_cmp_gt_i32_e64 s[4:5], s7, v10
	s_nop 0
	v_cndmask_b32_e32 v13, v12, v34, vcc
	v_cndmask_b32_e64 v10, v12, v35, s[4:5]
	v_max3_f32 v14, v11, v13, v10
	v_mbcnt_lo_u32_b32 v10, -1, 0
	v_mbcnt_hi_u32_b32 v15, -1, v10
	v_and_b32_e32 v10, 64, v15
	v_add_u32_e32 v16, 64, v10
	v_xor_b32_e32 v10, 32, v15
	v_cmp_lt_i32_e64 s[38:39], v10, v16
	s_nop 1
	v_cndmask_b32_e64 v10, v15, v10, s[38:39]
	v_lshlrev_b32_e32 v51, 2, v10
	ds_bpermute_b32 v17, v51, v14
	v_lshl_add_u64 v[10:11], s[46:47], 0, v[58:59]
	v_mad_i64_i32 v[12:13], s[38:39], v63, s45, v[10:11]
	s_waitcnt lgkmcnt(0)
	v_max_f32_e32 v17, v17, v17
	v_max_f32_e32 v19, v14, v17
	v_xor_b32_e32 v14, 16, v15
	v_cmp_lt_i32_e64 s[38:39], v14, v16
	s_nop 1
	v_cndmask_b32_e64 v14, v15, v14, s[38:39]
	v_lshlrev_b32_e32 v58, 2, v14
	ds_bpermute_b32 v20, v58, v19
	v_mad_i64_i32 v[14:15], s[38:39], v53, s45, v[10:11]
	v_mad_i64_i32 v[16:17], s[38:39], v65, s45, v[10:11]
	s_waitcnt lgkmcnt(0)
	v_max_f32_e32 v20, v20, v20
	v_max_f32_e32 v50, v19, v20
	v_sub_f32_e32 v18, v18, v50
	v_sub_f32_e32 v19, v33, v50
	v_mul_f32_e32 v18, 0x3fb8aa3b, v18
	v_mul_f32_e32 v19, 0x3fb8aa3b, v19
	v_exp_f32_e32 v18, v18
	v_exp_f32_e32 v19, v19
	v_sub_f32_e32 v49, v31, v50
	v_mad_i64_i32 v[10:11], s[38:39], v64, s45, v[10:11]
	v_cndmask_b32_e64 v46, 0, v18, s[8:9]
	v_cndmask_b32_e64 v47, 0, v19, s[10:11]
	global_load_dwordx4 v[30:33], v[12:13], off
	global_load_dwordx4 v[18:21], v[14:15], off
	v_sub_f32_e32 v12, v48, v50
	v_mul_f32_e32 v12, 0x3fb8aa3b, v12
	v_exp_f32_e32 v48, v12
	global_load_dwordx4 v[14:17], v[16:17], off
	s_nop 0
	global_load_dwordx4 v[10:13], v[10:11], off
	v_sub_f32_e32 v40, v40, v50
	v_sub_f32_e32 v42, v42, v50
	v_mul_f32_e32 v40, 0x3fb8aa3b, v40
	v_mul_f32_e32 v42, 0x3fb8aa3b, v42
	v_exp_f32_e32 v40, v40
	v_exp_f32_e32 v53, v42
	v_mul_f32_e32 v49, 0x3fb8aa3b, v49
	v_sub_f32_e32 v44, v44, v50
	v_exp_f32_e32 v49, v49
	v_mul_f32_e32 v44, 0x3fb8aa3b, v44
	v_sub_f32_e32 v45, v45, v50
	v_sub_f32_e32 v42, v43, v50
	v_exp_f32_e32 v44, v44
	v_mul_f32_e32 v45, 0x3fb8aa3b, v45
	v_mul_f32_e32 v42, 0x3fb8aa3b, v42
	v_exp_f32_e32 v45, v45
	v_sub_f32_e32 v41, v41, v50
	v_exp_f32_e32 v59, v42
	v_cndmask_b32_e64 v42, 0, v40, s[20:21]
	v_cndmask_b32_e64 v40, 0, v53, s[24:25]
	v_add_f32_e32 v53, 0, v46
	v_cndmask_b32_e64 v48, 0, v48, s[12:13]
	v_mul_f32_e32 v41, 0x3fb8aa3b, v41
	v_add_f32_e32 v53, v53, v47
	v_cndmask_b32_e64 v49, 0, v49, s[14:15]
	v_exp_f32_e32 v41, v41
	v_add_f32_e32 v53, v53, v48
	v_cndmask_b32_e64 v44, 0, v44, s[16:17]
	v_sub_f32_e32 v38, v38, v50
	v_add_f32_e32 v53, v53, v49
	v_cndmask_b32_e64 v45, 0, v45, s[18:19]
	v_sub_f32_e32 v39, v39, v50
	v_mul_f32_e32 v38, 0x3fb8aa3b, v38
	v_add_f32_e32 v53, v53, v44
	v_exp_f32_e32 v38, v38
	v_mul_f32_e32 v39, 0x3fb8aa3b, v39
	v_sub_f32_e32 v36, v36, v50
	v_add_f32_e32 v53, v53, v45
	v_cndmask_b32_e64 v43, 0, v41, s[22:23]
	v_exp_f32_e32 v39, v39
	v_mul_f32_e32 v36, 0x3fb8aa3b, v36
	v_sub_f32_e32 v37, v37, v50
	v_add_f32_e32 v53, v53, v42
	v_exp_f32_e32 v36, v36
	v_mul_f32_e32 v37, 0x3fb8aa3b, v37
	v_add_f32_e32 v53, v53, v43
	v_sub_f32_e32 v34, v34, v50
	v_cndmask_b32_e64 v41, 0, v59, s[26:27]
	v_exp_f32_e32 v37, v37
	v_add_f32_e32 v53, v53, v40
	v_mul_f32_e32 v34, 0x3fb8aa3b, v34
	v_sub_f32_e32 v35, v35, v50
	v_cndmask_b32_e64 v38, 0, v38, s[28:29]
	v_add_f32_e32 v53, v53, v41
	v_exp_f32_e32 v34, v34
	v_mul_f32_e32 v35, 0x3fb8aa3b, v35
	v_cndmask_b32_e64 v39, 0, v39, s[30:31]
	v_add_f32_e32 v53, v53, v38
	v_exp_f32_e32 v35, v35
	v_cndmask_b32_e64 v36, 0, v36, s[34:35]
	v_add_f32_e32 v53, v53, v39
	v_cndmask_b32_e64 v37, 0, v37, s[36:37]
	v_add_f32_e32 v53, v53, v36
	v_add_f32_e32 v53, v53, v37
	v_cndmask_b32_e32 v34, 0, v34, vcc
	v_add_f32_e32 v53, v53, v34
	v_cndmask_b32_e64 v35, 0, v35, s[4:5]
	v_add_f32_e32 v53, v53, v35
	ds_bpermute_b32 v51, v51, v53
	v_cmp_gt_u32_e32 vcc, 16, v55
	s_waitcnt lgkmcnt(0)
	s_barrier
	v_add_f32_e32 v51, v53, v51
	ds_bpermute_b32 v53, v58, v51
	s_and_saveexec_b64 s[4:5], vcc
	s_cbranch_execz .LBB1306_15
; %bb.14:
	s_waitcnt lgkmcnt(0)
	v_add_f32_e32 v51, v51, v53
	v_lshlrev_b32_e32 v52, 2, v52
	ds_write2st64_b32 v52, v50, v51 offset1:1
.LBB1306_15:
	s_or_b64 exec, exec, s[4:5]
	v_lshlrev_b32_e32 v51, 2, v56
	s_load_dword s7, s[0:1], 0x94
	s_waitcnt lgkmcnt(0)
	s_barrier
	ds_read2_b32 v[52:53], v51 offset1:16
	ds_read2_b32 v[58:59], v51 offset0:32 offset1:48
	ds_read2_b32 v[62:63], v51 offset0:64 offset1:80
	s_movk_i32 s9, 0x7fff
	s_mul_i32 s8, s44, 3
	s_waitcnt lgkmcnt(2)
	v_max3_f32 v50, v52, s40, v53
	s_waitcnt lgkmcnt(1)
	v_max3_f32 v50, v50, v58, v59
	v_sub_f32_e32 v52, v52, v50
	v_mul_f32_e32 v52, 0x3fb8aa3b, v52
	v_exp_f32_e32 v55, v52
	v_sub_f32_e32 v52, v53, v50
	v_mul_f32_e32 v52, 0x3fb8aa3b, v52
	v_exp_f32_e32 v64, v52
	;; [unrolled: 3-line block ×3, first 2 shown]
	ds_read2_b32 v[52:53], v51 offset0:96 offset1:112
	v_sub_f32_e32 v51, v59, v50
	v_mul_f32_e32 v51, 0x3fb8aa3b, v51
	v_exp_f32_e32 v59, v51
	s_waitcnt lgkmcnt(1)
	v_fma_f32 v51, v55, v62, 0
	v_fmac_f32_e32 v51, v64, v63
	s_waitcnt lgkmcnt(0)
	v_fmac_f32_e32 v51, v58, v52
	v_fmac_f32_e32 v51, v59, v53
	v_add_f32_e32 v52, 0x358637bd, v51
	v_div_scale_f32 v53, s[4:5], v52, v52, 1.0
	v_rcp_f32_e32 v62, v53
	s_barrier
	v_fma_f32 v63, -v53, v62, 1.0
	v_fmac_f32_e32 v62, v63, v62
	v_div_scale_f32 v63, vcc, 1.0, v52, 1.0
	v_mul_f32_e32 v65, v63, v62
	v_fma_f32 v66, -v53, v65, v63
	v_fmac_f32_e32 v65, v66, v62
	v_fma_f32 v53, -v53, v65, v63
	v_div_fmas_f32 v53, v53, v62, v65
	v_cmp_eq_u32_e32 vcc, 1, v57
	v_div_fixup_f32 v52, v53, v52, 1.0
	s_nop 0
	v_cndmask_b32_e32 v53, v55, v64, vcc
	v_cmp_eq_u32_e32 vcc, 2, v57
	s_nop 1
	v_cndmask_b32_e32 v53, v53, v58, vcc
	v_cmp_eq_u32_e32 vcc, 3, v57
	s_nop 1
	v_cndmask_b32_e32 v53, v53, v59, vcc
	v_mul_f32_e32 v52, v53, v52
	v_pk_mul_f32 v[46:47], v[52:53], v[46:47] op_sel_hi:[0,1]
	v_pk_mul_f32 v[48:49], v[52:53], v[48:49] op_sel_hi:[0,1]
	v_bfe_u32 v53, v47, 16, 1
	v_bfe_u32 v55, v46, 16, 1
	v_add3_u32 v46, v46, v55, s9
	v_add3_u32 v47, v47, v53, s9
	v_perm_b32 v58, v47, v46, s33
	v_bfe_u32 v46, v49, 16, 1
	v_bfe_u32 v47, v48, 16, 1
	v_add3_u32 v47, v48, v47, s9
	v_add3_u32 v46, v49, v46, s9
	v_perm_b32 v59, v46, v47, s33
	v_lshlrev_b32_e32 v47, 3, v60
	v_lshlrev_b32_e32 v46, 5, v56
	;; [unrolled: 1-line block ×3, first 2 shown]
	v_pk_mul_f32 v[44:45], v[52:53], v[44:45] op_sel_hi:[0,1]
	v_or3_b32 v55, v48, v46, v47
	v_bfe_u32 v47, v45, 16, 1
	v_bfe_u32 v48, v44, 16, 1
	v_pk_mul_f32 v[42:43], v[52:53], v[42:43] op_sel_hi:[0,1]
	v_add3_u32 v44, v44, v48, s9
	v_add3_u32 v45, v45, v47, s9
	v_perm_b32 v44, v45, v44, s33
	v_bfe_u32 v45, v43, 16, 1
	v_bfe_u32 v47, v42, 16, 1
	v_add3_u32 v42, v42, v47, s9
	v_add3_u32 v43, v43, v45, s9
	v_pk_mul_f32 v[40:41], v[52:53], v[40:41] op_sel_hi:[0,1]
	v_perm_b32 v45, v43, v42, s33
	v_bfe_u32 v42, v41, 16, 1
	v_bfe_u32 v43, v40, 16, 1
	v_pk_mul_f32 v[38:39], v[52:53], v[38:39] op_sel_hi:[0,1]
	v_add3_u32 v40, v40, v43, s9
	v_add3_u32 v41, v41, v42, s9
	v_perm_b32 v40, v41, v40, s33
	v_bfe_u32 v41, v39, 16, 1
	v_bfe_u32 v42, v38, 16, 1
	v_add3_u32 v38, v38, v42, s9
	v_add3_u32 v39, v39, v41, s9
	v_pk_mul_f32 v[36:37], v[52:53], v[36:37] op_sel_hi:[0,1]
	v_perm_b32 v41, v39, v38, s33
	v_bfe_u32 v38, v37, 16, 1
	v_bfe_u32 v39, v36, 16, 1
	v_pk_mul_f32 v[34:35], v[52:53], v[34:35] op_sel_hi:[0,1]
	v_add3_u32 v36, v36, v39, s9
	v_add3_u32 v37, v37, v38, s9
	v_perm_b32 v36, v37, v36, s33
	v_bfe_u32 v37, v35, 16, 1
	v_bfe_u32 v38, v34, 16, 1
	v_add3_u32 v34, v34, v38, s9
	v_add3_u32 v35, v35, v37, s9
	v_perm_b32 v37, v35, v34, s33
	v_cmp_gt_u32_e32 vcc, 3, v0
	ds_write2st64_b64 v55, v[58:59], v[44:45] offset1:1
	ds_write2st64_b64 v55, v[40:41], v[36:37] offset0:2 offset1:3
	s_and_saveexec_b64 s[4:5], vcc
	s_cbranch_execz .LBB1306_17
; %bb.16:
	s_mov_b32 s49, 0
	v_mov_b32_e32 v57, 0
	v_lshl_add_u64 v[34:35], s[48:49], 0, v[56:57]
	v_mov_b32_e32 v36, s8
	v_mad_u64_u32 v[34:35], s[10:11], s2, v36, v[34:35]
	s_mul_i32 s3, s3, s8
	v_mov_b32_e32 v36, s6
	v_mov_b32_e32 v37, v57
	s_load_dwordx4 s[12:15], s[0:1], 0x58
	v_add_u32_e32 v38, s3, v35
	v_mad_u64_u32 v[34:35], s[10:11], v34, s7, v[36:37]
	v_mov_b32_e32 v36, v35
	v_mad_u64_u32 v[36:37], s[10:11], v38, s7, v[36:37]
	v_mov_b32_e32 v35, v36
	v_lshlrev_b64 v[34:35], 2, v[34:35]
	s_waitcnt lgkmcnt(0)
	v_lshl_add_u64 v[36:37], s[14:15], 0, v[34:35]
	v_lshl_add_u64 v[34:35], s[12:13], 0, v[34:35]
	global_store_dword v[36:37], v50, off
	global_store_dword v[34:35], v51, off
.LBB1306_17:
	s_or_b64 exec, exec, s[4:5]
	s_waitcnt vmcnt(7)
	v_cvt_pk_f32_fp8_e32 v[34:35], v6
	v_cvt_pk_f32_fp8_sdwa v[36:37], v6 src0_sel:WORD_1
	v_lshl_or_b32 v50, v60, 9, v46
	s_mov_b32 s5, 0x7060302
	s_waitcnt lgkmcnt(0)
	s_barrier
	v_cvt_pk_f32_fp8_e32 v[38:39], v7
	v_perm_b32 v6, v35, v34, s5
	v_cvt_pk_f32_fp8_sdwa v[40:41], v7 src0_sel:WORD_1
	v_perm_b32 v7, v37, v36, s5
	ds_read_b128 v[34:37], v50
	v_perm_b32 v46, v39, v38, s5
	v_perm_b32 v47, v41, v40, s5
	ds_read_b128 v[38:41], v50 offset:16
	v_cvt_pk_f32_fp8_e32 v[48:49], v8
	v_cvt_pk_f32_fp8_sdwa v[52:53], v8 src0_sel:WORD_1
	s_waitcnt lgkmcnt(1)
	v_mfma_f32_16x16x16_bf16 v[42:45], v[6:7], v[34:35], 0
	s_waitcnt vmcnt(6)
	v_cvt_pk_f32_fp8_e32 v[58:59], v4
	v_perm_b32 v6, v49, v48, s5
	v_perm_b32 v7, v53, v52, s5
	v_cvt_pk_f32_fp8_e32 v[48:49], v9
	v_mfma_f32_16x16x16_bf16 v[42:45], v[46:47], v[36:37], v[42:45]
	v_cvt_pk_f32_fp8_sdwa v[46:47], v9 src0_sel:WORD_1
	v_cvt_pk_f32_fp8_sdwa v[62:63], v4 src0_sel:WORD_1
	v_perm_b32 v48, v49, v48, s5
	s_waitcnt lgkmcnt(0)
	v_mfma_f32_16x16x16_bf16 v[6:9], v[6:7], v[38:39], v[42:45]
	v_perm_b32 v49, v47, v46, s5
	s_waitcnt vmcnt(5)
	v_cvt_pk_f32_fp8_sdwa v[66:67], v28 src0_sel:WORD_1
	s_waitcnt vmcnt(4)
	v_cvt_pk_f32_fp8_sdwa v[68:69], v24 src0_sel:WORD_1
	v_cvt_pk_f32_fp8_e32 v[42:43], v2
	v_mfma_f32_16x16x16_bf16 v[46:49], v[48:49], v[40:41], v[6:9]
	s_load_dword s4, s[42:43], 0x0
	s_waitcnt vmcnt(3)
	v_cvt_pk_f32_fp8_sdwa v[70:71], v32 src0_sel:WORD_1
	v_cvt_pk_f32_fp8_sdwa v[6:7], v2 src0_sel:WORD_1
	v_cvt_pk_f32_fp8_e32 v[8:9], v3
	v_perm_b32 v2, v43, v42, s5
	v_cvt_pk_f32_fp8_sdwa v[42:43], v3 src0_sel:WORD_1
	v_perm_b32 v3, v7, v6, s5
	v_perm_b32 v52, v9, v8, s5
	ds_read_b128 v[6:9], v50 offset:2048
	v_perm_b32 v53, v43, v42, s5
	ds_read_b128 v[42:45], v50 offset:2064
	s_waitcnt lgkmcnt(0)
	v_mfma_f32_16x16x16_bf16 v[46:49], v[2:3], v[6:7], v[46:49]
	v_perm_b32 v2, v59, v58, s5
	v_perm_b32 v3, v63, v62, s5
	v_cvt_pk_f32_fp8_e32 v[58:59], v5
	v_mfma_f32_16x16x16_bf16 v[46:49], v[52:53], v[8:9], v[46:49]
	v_cvt_pk_f32_fp8_sdwa v[52:53], v5 src0_sel:WORD_1
	v_cmp_gt_u32_e32 vcc, 64, v0
	v_perm_b32 v58, v59, v58, s5
	v_mfma_f32_16x16x16_bf16 v[2:5], v[2:3], v[42:43], v[46:49]
	v_perm_b32 v59, v53, v52, s5
	s_mov_b32 s3, 0
	s_nop 0
	v_cvt_pk_f32_fp8_e32 v[46:47], v26
	v_mfma_f32_16x16x16_bf16 v[62:65], v[58:59], v[44:45], v[2:5]
	v_cvt_pk_f32_fp8_e32 v[58:59], v28
	s_nop 1
	v_cvt_pk_f32_fp8_sdwa v[2:3], v26 src0_sel:WORD_1
	v_cvt_pk_f32_fp8_e32 v[4:5], v27
	v_perm_b32 v26, v47, v46, s5
	v_cvt_pk_f32_fp8_sdwa v[46:47], v27 src0_sel:WORD_1
	v_perm_b32 v27, v3, v2, s5
	v_perm_b32 v52, v5, v4, s5
	ds_read_b128 v[2:5], v50 offset:4096
	v_perm_b32 v53, v47, v46, s5
	ds_read_b128 v[46:49], v50 offset:4112
	s_waitcnt lgkmcnt(1)
	v_mfma_f32_16x16x16_bf16 v[62:65], v[26:27], v[2:3], v[62:65]
	v_perm_b32 v26, v59, v58, s5
	v_perm_b32 v27, v67, v66, s5
	v_cvt_pk_f32_fp8_e32 v[58:59], v29
	v_mfma_f32_16x16x16_bf16 v[62:65], v[52:53], v[4:5], v[62:65]
	v_cvt_pk_f32_fp8_sdwa v[52:53], v29 src0_sel:WORD_1
	v_cvt_pk_f32_fp8_e32 v[66:67], v24
	v_perm_b32 v58, v59, v58, s5
	s_waitcnt lgkmcnt(0)
	v_mfma_f32_16x16x16_bf16 v[26:29], v[26:27], v[46:47], v[62:65]
	v_perm_b32 v59, v53, v52, s5
	v_cvt_pk_f32_fp8_e32 v[52:53], v22
	s_nop 0
	v_mfma_f32_16x16x16_bf16 v[62:65], v[58:59], v[48:49], v[26:29]
	s_nop 2
	v_cvt_pk_f32_fp8_sdwa v[26:27], v22 src0_sel:WORD_1
	v_cvt_pk_f32_fp8_e32 v[28:29], v23
	v_perm_b32 v22, v53, v52, s5
	v_cvt_pk_f32_fp8_sdwa v[52:53], v23 src0_sel:WORD_1
	v_perm_b32 v23, v27, v26, s5
	v_perm_b32 v58, v29, v28, s5
	ds_read_b128 v[26:29], v50 offset:6144
	v_perm_b32 v59, v53, v52, s5
	s_waitcnt lgkmcnt(0)
	v_mfma_f32_16x16x16_bf16 v[62:65], v[22:23], v[26:27], v[62:65]
	ds_read_b128 v[50:53], v50 offset:6160
	v_perm_b32 v22, v67, v66, s5
	v_perm_b32 v23, v69, v68, s5
	v_cvt_pk_f32_fp8_e32 v[66:67], v25
	v_mfma_f32_16x16x16_bf16 v[62:65], v[58:59], v[28:29], v[62:65]
	v_cvt_pk_f32_fp8_sdwa v[58:59], v25 src0_sel:WORD_1
	v_cvt_pk_f32_fp8_e32 v[68:69], v32
	v_perm_b32 v66, v67, v66, s5
	s_waitcnt lgkmcnt(0)
	v_mfma_f32_16x16x16_bf16 v[22:25], v[22:23], v[50:51], v[62:65]
	v_perm_b32 v67, v59, v58, s5
	v_cvt_pk_f32_fp8_sdwa v[58:59], v30 src0_sel:WORD_1
	s_nop 0
	v_mfma_f32_16x16x16_bf16 v[62:65], v[66:67], v[52:53], v[22:25]
	s_barrier
	s_nop 1
	v_cvt_pk_f32_fp8_e32 v[24:25], v30
	s_nop 2
	v_pk_mul_f32 v[66:67], v[62:63], s[4:5] op_sel_hi:[1,0]
	v_cvt_pk_f32_fp8_e32 v[62:63], v31
	v_perm_b32 v24, v25, v24, s5
	v_perm_b32 v25, v59, v58, s5
	v_cvt_pk_f32_fp8_sdwa v[30:31], v31 src0_sel:WORD_1
	v_perm_b32 v58, v63, v62, s5
	v_pk_mul_f32 v[22:23], v[64:65], s[4:5] op_sel_hi:[1,0]
	v_mfma_f32_16x16x16_bf16 v[62:65], v[24:25], v[34:35], 0
	v_perm_b32 v59, v31, v30, s5
	v_perm_b32 v24, v69, v68, s5
	;; [unrolled: 1-line block ×3, first 2 shown]
	v_cvt_pk_f32_fp8_e32 v[34:35], v33
	v_cvt_pk_f32_fp8_sdwa v[68:69], v33 src0_sel:WORD_1
	v_mfma_f32_16x16x16_bf16 v[30:33], v[58:59], v[36:37], v[62:65]
	s_waitcnt vmcnt(2)
	v_cvt_pk_f32_fp8_sdwa v[36:37], v18 src0_sel:WORD_1
	v_perm_b32 v34, v35, v34, s5
	v_perm_b32 v35, v69, v68, s5
	v_mfma_f32_16x16x16_bf16 v[30:33], v[24:25], v[38:39], v[30:33]
	v_cvt_pk_f32_fp8_e32 v[24:25], v18
	v_cvt_pk_f32_fp8_sdwa v[38:39], v20 src0_sel:WORD_1
	v_bfe_u32 v57, v67, 16, 1
	v_mfma_f32_16x16x16_bf16 v[30:33], v[34:35], v[40:41], v[30:33]
	v_cvt_pk_f32_fp8_e32 v[34:35], v19
	v_perm_b32 v24, v25, v24, s5
	v_perm_b32 v25, v37, v36, s5
	v_cvt_pk_f32_fp8_sdwa v[18:19], v19 src0_sel:WORD_1
	v_perm_b32 v34, v35, v34, s5
	v_cvt_pk_f32_fp8_e32 v[36:37], v20
	v_mfma_f32_16x16x16_bf16 v[30:33], v[24:25], v[6:7], v[30:33]
	v_perm_b32 v35, v19, v18, s5
	v_perm_b32 v18, v37, v36, s5
	;; [unrolled: 1-line block ×3, first 2 shown]
	v_cvt_pk_f32_fp8_e32 v[24:25], v21
	v_cvt_pk_f32_fp8_sdwa v[20:21], v21 src0_sel:WORD_1
	v_mfma_f32_16x16x16_bf16 v[6:9], v[34:35], v[8:9], v[30:33]
	v_bfe_u32 v58, v66, 16, 1
	v_perm_b32 v24, v25, v24, s5
	v_perm_b32 v25, v21, v20, s5
	v_mfma_f32_16x16x16_bf16 v[6:9], v[18:19], v[42:43], v[6:9]
	s_waitcnt vmcnt(1)
	v_cvt_pk_f32_fp8_e32 v[18:19], v14
	v_cvt_pk_f32_fp8_sdwa v[20:21], v14 src0_sel:WORD_1
	v_cvt_pk_f32_fp8_sdwa v[30:31], v16 src0_sel:WORD_1
	v_mfma_f32_16x16x16_bf16 v[6:9], v[24:25], v[44:45], v[6:9]
	v_cvt_pk_f32_fp8_e32 v[24:25], v15
	v_perm_b32 v18, v19, v18, s5
	v_perm_b32 v19, v21, v20, s5
	v_cvt_pk_f32_fp8_sdwa v[14:15], v15 src0_sel:WORD_1
	v_perm_b32 v20, v25, v24, s5
	v_cvt_pk_f32_fp8_e32 v[24:25], v16
	v_mfma_f32_16x16x16_bf16 v[6:9], v[18:19], v[2:3], v[6:9]
	v_perm_b32 v21, v15, v14, s5
	v_perm_b32 v14, v25, v24, s5
	v_perm_b32 v15, v31, v30, s5
	v_cvt_pk_f32_fp8_e32 v[18:19], v17
	v_cvt_pk_f32_fp8_sdwa v[16:17], v17 src0_sel:WORD_1
	v_mfma_f32_16x16x16_bf16 v[2:5], v[20:21], v[4:5], v[6:9]
	v_add3_u32 v32, v66, v58, s9
	v_add3_u32 v33, v67, v57, s9
	s_nop 0
	v_perm_b32 v8, v19, v18, s5
	v_perm_b32 v9, v17, v16, s5
	v_mfma_f32_16x16x16_bf16 v[2:5], v[14:15], v[46:47], v[2:5]
	s_waitcnt vmcnt(0)
	v_cvt_pk_f32_fp8_e32 v[14:15], v10
	v_cvt_pk_f32_fp8_sdwa v[16:17], v10 src0_sel:WORD_1
	v_cvt_pk_f32_fp8_sdwa v[18:19], v12 src0_sel:WORD_1
	v_mfma_f32_16x16x16_bf16 v[2:5], v[8:9], v[48:49], v[2:5]
	v_cvt_pk_f32_fp8_e32 v[8:9], v11
	v_perm_b32 v14, v15, v14, s5
	v_perm_b32 v15, v17, v16, s5
	v_cvt_pk_f32_fp8_sdwa v[10:11], v11 src0_sel:WORD_1
	v_perm_b32 v8, v9, v8, s5
	v_cvt_pk_f32_fp8_e32 v[16:17], v12
	v_mfma_f32_16x16x16_bf16 v[2:5], v[14:15], v[26:27], v[2:5]
	v_perm_b32 v9, v11, v10, s5
	v_perm_b32 v10, v17, v16, s5
	;; [unrolled: 1-line block ×3, first 2 shown]
	v_cvt_pk_f32_fp8_e32 v[14:15], v13
	v_cvt_pk_f32_fp8_sdwa v[12:13], v13 src0_sel:WORD_1
	v_mfma_f32_16x16x16_bf16 v[2:5], v[8:9], v[28:29], v[2:5]
	v_bfe_u32 v7, v23, 16, 1
	v_perm_b32 v8, v15, v14, s5
	v_perm_b32 v9, v13, v12, s5
	v_mfma_f32_16x16x16_bf16 v[2:5], v[10:11], v[50:51], v[2:5]
	v_bfe_u32 v16, v22, 16, 1
	v_add3_u32 v10, v22, v16, s9
	v_add3_u32 v7, v23, v7, s9
	v_mfma_f32_16x16x16_bf16 v[2:5], v[8:9], v[52:53], v[2:5]
	v_perm_b32 v6, v33, v32, s5
	v_perm_b32 v7, v7, v10, s5
	s_nop 4
	v_pk_mul_f32 v[2:3], v[2:3], s[4:5] op_sel_hi:[1,0]
	v_pk_mul_f32 v[4:5], v[4:5], s[4:5] op_sel_hi:[1,0]
	v_bfe_u32 v8, v3, 16, 1
	v_bfe_u32 v9, v2, 16, 1
	v_add3_u32 v2, v2, v9, s9
	v_add3_u32 v3, v3, v8, s9
	v_perm_b32 v2, v3, v2, s5
	v_bfe_u32 v3, v5, 16, 1
	v_bfe_u32 v8, v4, 16, 1
	v_add3_u32 v4, v4, v8, s9
	v_add3_u32 v3, v5, v3, s9
	v_perm_b32 v3, v3, v4, s5
	v_cmp_ne_u32_e64 s[4:5], 3, v60
	s_and_b64 s[4:5], vcc, s[4:5]
	ds_write2st64_b64 v55, v[6:7], v[2:3] offset1:1
	s_waitcnt lgkmcnt(0)
	s_barrier
	s_and_saveexec_b64 s[10:11], s[4:5]
	s_cbranch_execz .LBB1306_19
; %bb.18:
	s_load_dwordx2 s[0:1], s[0:1], 0x68
	s_mul_i32 s2, s8, s2
	s_lshl_b32 s7, s7, 7
	v_lshlrev_b32_e32 v4, 6, v56
	s_mul_hi_u32 s5, s2, s7
	s_mul_i32 s4, s2, s7
	v_lshl_or_b32 v0, v0, 10, v4
	s_lshl_b64 s[4:5], s[4:5], 1
	v_lshlrev_b32_e32 v2, 5, v60
	v_and_b32_e32 v3, 16, v61
	v_and_b32_e32 v0, 0x1a00, v0
	s_waitcnt lgkmcnt(0)
	s_add_u32 s4, s0, s4
	v_or3_b32 v0, v0, v2, v3
	s_addc_u32 s5, s1, s5
	s_lshl_b32 s2, s6, 7
	ds_read_b128 v[2:5], v0
	s_lshl_b64 s[0:1], s[2:3], 1
	s_add_u32 s0, s4, s0
	s_addc_u32 s1, s5, s1
	v_mad_u64_u32 v[0:1], s[2:3], s7, v1, 0
	v_lshl_add_u64 v[0:1], v[0:1], 1, s[0:1]
	v_mov_b32_e32 v55, 0
	v_lshl_add_u64 v[0:1], v[0:1], 0, v[54:55]
	s_waitcnt lgkmcnt(0)
	global_store_dwordx4 v[0:1], v[2:5], off
.LBB1306_19:
	s_endpgm
	.section	.rodata,"a",@progbits
	.p2align	6, 0x0
	.amdhsa_kernel _Z39paged_attention_ll4mi_QKV_mfma16_kernelI14__hip_bfloat16hLN4vllm18Fp8KVCacheDataTypeE1ES0_Li16ELi128ELi256ELb1ELi3EEvPKT_PKT0_S8_ifPKiSA_SA_iPKfiiiPfSD_PS3_PT2_iSC_SC_
		.amdhsa_group_segment_fixed_size 8192
		.amdhsa_private_segment_fixed_size 0
		.amdhsa_kernarg_size 400
		.amdhsa_user_sgpr_count 2
		.amdhsa_user_sgpr_dispatch_ptr 0
		.amdhsa_user_sgpr_queue_ptr 0
		.amdhsa_user_sgpr_kernarg_segment_ptr 1
		.amdhsa_user_sgpr_dispatch_id 0
		.amdhsa_user_sgpr_kernarg_preload_length 0
		.amdhsa_user_sgpr_kernarg_preload_offset 0
		.amdhsa_user_sgpr_private_segment_size 0
		.amdhsa_uses_dynamic_stack 0
		.amdhsa_enable_private_segment 0
		.amdhsa_system_sgpr_workgroup_id_x 1
		.amdhsa_system_sgpr_workgroup_id_y 1
		.amdhsa_system_sgpr_workgroup_id_z 1
		.amdhsa_system_sgpr_workgroup_info 0
		.amdhsa_system_vgpr_workitem_id 0
		.amdhsa_next_free_vgpr 77
		.amdhsa_next_free_sgpr 50
		.amdhsa_accum_offset 80
		.amdhsa_reserve_vcc 1
		.amdhsa_float_round_mode_32 0
		.amdhsa_float_round_mode_16_64 0
		.amdhsa_float_denorm_mode_32 3
		.amdhsa_float_denorm_mode_16_64 3
		.amdhsa_dx10_clamp 1
		.amdhsa_ieee_mode 1
		.amdhsa_fp16_overflow 0
		.amdhsa_tg_split 0
		.amdhsa_exception_fp_ieee_invalid_op 0
		.amdhsa_exception_fp_denorm_src 0
		.amdhsa_exception_fp_ieee_div_zero 0
		.amdhsa_exception_fp_ieee_overflow 0
		.amdhsa_exception_fp_ieee_underflow 0
		.amdhsa_exception_fp_ieee_inexact 0
		.amdhsa_exception_int_div_zero 0
	.end_amdhsa_kernel
	.section	.text._Z39paged_attention_ll4mi_QKV_mfma16_kernelI14__hip_bfloat16hLN4vllm18Fp8KVCacheDataTypeE1ES0_Li16ELi128ELi256ELb1ELi3EEvPKT_PKT0_S8_ifPKiSA_SA_iPKfiiiPfSD_PS3_PT2_iSC_SC_,"axG",@progbits,_Z39paged_attention_ll4mi_QKV_mfma16_kernelI14__hip_bfloat16hLN4vllm18Fp8KVCacheDataTypeE1ES0_Li16ELi128ELi256ELb1ELi3EEvPKT_PKT0_S8_ifPKiSA_SA_iPKfiiiPfSD_PS3_PT2_iSC_SC_,comdat
.Lfunc_end1306:
	.size	_Z39paged_attention_ll4mi_QKV_mfma16_kernelI14__hip_bfloat16hLN4vllm18Fp8KVCacheDataTypeE1ES0_Li16ELi128ELi256ELb1ELi3EEvPKT_PKT0_S8_ifPKiSA_SA_iPKfiiiPfSD_PS3_PT2_iSC_SC_, .Lfunc_end1306-_Z39paged_attention_ll4mi_QKV_mfma16_kernelI14__hip_bfloat16hLN4vllm18Fp8KVCacheDataTypeE1ES0_Li16ELi128ELi256ELb1ELi3EEvPKT_PKT0_S8_ifPKiSA_SA_iPKfiiiPfSD_PS3_PT2_iSC_SC_
                                        ; -- End function
	.section	.AMDGPU.csdata,"",@progbits
; Kernel info:
; codeLenInByte = 6560
; NumSgprs: 56
; NumVgprs: 77
; NumAgprs: 0
; TotalNumVgprs: 77
; ScratchSize: 0
; MemoryBound: 0
; FloatMode: 240
; IeeeMode: 1
; LDSByteSize: 8192 bytes/workgroup (compile time only)
; SGPRBlocks: 6
; VGPRBlocks: 9
; NumSGPRsForWavesPerEU: 56
; NumVGPRsForWavesPerEU: 77
; AccumOffset: 80
; Occupancy: 6
; WaveLimiterHint : 1
; COMPUTE_PGM_RSRC2:SCRATCH_EN: 0
; COMPUTE_PGM_RSRC2:USER_SGPR: 2
; COMPUTE_PGM_RSRC2:TRAP_HANDLER: 0
; COMPUTE_PGM_RSRC2:TGID_X_EN: 1
; COMPUTE_PGM_RSRC2:TGID_Y_EN: 1
; COMPUTE_PGM_RSRC2:TGID_Z_EN: 1
; COMPUTE_PGM_RSRC2:TIDIG_COMP_CNT: 0
; COMPUTE_PGM_RSRC3_GFX90A:ACCUM_OFFSET: 19
; COMPUTE_PGM_RSRC3_GFX90A:TG_SPLIT: 0
	.section	.text._Z39paged_attention_ll4mi_QKV_mfma16_kernelI14__hip_bfloat16hLN4vllm18Fp8KVCacheDataTypeE1ES0_Li16ELi128ELi256ELb1ELi4EEvPKT_PKT0_S8_ifPKiSA_SA_iPKfiiiPfSD_PS3_PT2_iSC_SC_,"axG",@progbits,_Z39paged_attention_ll4mi_QKV_mfma16_kernelI14__hip_bfloat16hLN4vllm18Fp8KVCacheDataTypeE1ES0_Li16ELi128ELi256ELb1ELi4EEvPKT_PKT0_S8_ifPKiSA_SA_iPKfiiiPfSD_PS3_PT2_iSC_SC_,comdat
	.protected	_Z39paged_attention_ll4mi_QKV_mfma16_kernelI14__hip_bfloat16hLN4vllm18Fp8KVCacheDataTypeE1ES0_Li16ELi128ELi256ELb1ELi4EEvPKT_PKT0_S8_ifPKiSA_SA_iPKfiiiPfSD_PS3_PT2_iSC_SC_ ; -- Begin function _Z39paged_attention_ll4mi_QKV_mfma16_kernelI14__hip_bfloat16hLN4vllm18Fp8KVCacheDataTypeE1ES0_Li16ELi128ELi256ELb1ELi4EEvPKT_PKT0_S8_ifPKiSA_SA_iPKfiiiPfSD_PS3_PT2_iSC_SC_
	.globl	_Z39paged_attention_ll4mi_QKV_mfma16_kernelI14__hip_bfloat16hLN4vllm18Fp8KVCacheDataTypeE1ES0_Li16ELi128ELi256ELb1ELi4EEvPKT_PKT0_S8_ifPKiSA_SA_iPKfiiiPfSD_PS3_PT2_iSC_SC_
	.p2align	8
	.type	_Z39paged_attention_ll4mi_QKV_mfma16_kernelI14__hip_bfloat16hLN4vllm18Fp8KVCacheDataTypeE1ES0_Li16ELi128ELi256ELb1ELi4EEvPKT_PKT0_S8_ifPKiSA_SA_iPKfiiiPfSD_PS3_PT2_iSC_SC_,@function
_Z39paged_attention_ll4mi_QKV_mfma16_kernelI14__hip_bfloat16hLN4vllm18Fp8KVCacheDataTypeE1ES0_Li16ELi128ELi256ELb1ELi4EEvPKT_PKT0_S8_ifPKiSA_SA_iPKfiiiPfSD_PS3_PT2_iSC_SC_: ; @_Z39paged_attention_ll4mi_QKV_mfma16_kernelI14__hip_bfloat16hLN4vllm18Fp8KVCacheDataTypeE1ES0_Li16ELi128ELi256ELb1ELi4EEvPKT_PKT0_S8_ifPKiSA_SA_iPKfiiiPfSD_PS3_PT2_iSC_SC_
; %bb.0:
	s_load_dwordx2 s[8:9], s[0:1], 0x30
	s_mov_b32 s12, s3
	s_mov_b64 s[6:7], 0
	s_waitcnt lgkmcnt(0)
	s_cmp_lg_u64 s[8:9], 0
	s_cselect_b64 s[10:11], -1, 0
	s_and_b64 vcc, exec, s[10:11]
	s_cbranch_vccz .LBB1307_7
; %bb.1:
	s_add_i32 s14, s2, 1
	s_mov_b32 s15, 0
	s_lshl_b64 s[16:17], s[14:15], 2
	s_add_u32 s16, s8, s16
	s_mov_b32 s3, s15
	s_addc_u32 s17, s9, s17
	s_lshl_b64 s[14:15], s[2:3], 2
	s_add_u32 s14, s8, s14
	s_addc_u32 s15, s9, s15
	s_load_dword s5, s[16:17], 0x0
	s_load_dword s13, s[14:15], 0x0
	s_waitcnt lgkmcnt(0)
	s_sub_i32 s5, s5, s13
	s_cmp_eq_u32 s5, 1
	s_cselect_b64 s[14:15], -1, 0
	s_andn2_b64 vcc, exec, s[6:7]
	s_cbranch_vccnz .LBB1307_3
.LBB1307_2:
	s_mov_b32 s3, 0
	s_mov_b64 s[14:15], -1
.LBB1307_3:
	s_andn2_b64 vcc, exec, s[14:15]
	s_cbranch_vccnz .LBB1307_19
; %bb.4:
	s_load_dwordx2 s[6:7], s[0:1], 0x28
	s_lshl_b64 s[14:15], s[2:3], 2
	s_waitcnt lgkmcnt(0)
	s_add_u32 s6, s6, s14
	s_addc_u32 s7, s7, s15
	s_load_dword s33, s[6:7], 0x0
	s_lshl_b32 s18, s12, 8
	s_waitcnt lgkmcnt(0)
	s_cmp_ge_i32 s18, s33
	s_cbranch_scc1 .LBB1307_19
; %bb.5:
	s_load_dwordx2 s[6:7], s[0:1], 0x20
	s_load_dword s5, s[0:1], 0x38
	s_add_i32 s13, s33, 15
	s_ashr_i32 s16, s13, 31
	v_and_b32_e32 v1, 0xcf, v0
	s_lshr_b32 s16, s16, 28
	v_add_u32_e32 v1, s18, v1
	s_add_i32 s13, s13, s16
	v_ashrrev_i32_e32 v2, 31, v1
	s_ashr_i32 s19, s13, 4
	v_lshrrev_b32_e32 v4, 28, v2
	s_add_i32 s19, s19, -1
	s_waitcnt lgkmcnt(0)
	s_mul_i32 s16, s2, s5
	s_mov_b32 s17, 0
	v_add_u32_e32 v2, v1, v4
	s_lshl_b64 s[16:17], s[16:17], 2
	v_ashrrev_i32_e32 v2, 4, v2
	v_mov_b32_e32 v5, s19
	v_cmp_gt_i32_e32 vcc, s33, v1
	s_add_u32 s6, s6, s16
	s_addc_u32 s7, s7, s17
	v_cndmask_b32_e32 v2, v5, v2, vcc
	v_ashrrev_i32_e32 v3, 31, v2
	v_lshl_add_u64 v[6:7], v[2:3], 2, s[6:7]
	v_or_b32_e32 v2, 16, v1
	v_add_u32_e32 v3, v2, v4
	v_ashrrev_i32_e32 v3, 4, v3
	v_cmp_gt_i32_e32 vcc, s33, v2
	s_load_dwordx2 s[16:17], s[0:1], 0x8
	s_nop 0
	v_cndmask_b32_e32 v2, v5, v3, vcc
	v_ashrrev_i32_e32 v3, 31, v2
	v_lshl_add_u64 v[8:9], v[2:3], 2, s[6:7]
	v_or_b32_e32 v2, 32, v1
	v_add_u32_e32 v3, v2, v4
	v_ashrrev_i32_e32 v3, 4, v3
	v_cmp_gt_i32_e32 vcc, s33, v2
	v_or_b32_e32 v1, 48, v1
	s_nop 0
	v_cndmask_b32_e32 v2, v5, v3, vcc
	v_ashrrev_i32_e32 v3, 31, v2
	v_lshl_add_u64 v[10:11], v[2:3], 2, s[6:7]
	v_add_u32_e32 v2, v1, v4
	v_ashrrev_i32_e32 v2, 4, v2
	v_cmp_gt_i32_e32 vcc, s33, v1
	s_nop 1
	v_cndmask_b32_e32 v2, v5, v2, vcc
	v_ashrrev_i32_e32 v3, 31, v2
	v_lshl_add_u64 v[12:13], v[2:3], 2, s[6:7]
	global_load_dword v4, v[6:7], off
	global_load_dword v3, v[8:9], off
	;; [unrolled: 1-line block ×4, first 2 shown]
	s_andn2_b64 vcc, exec, s[10:11]
	s_cbranch_vccnz .LBB1307_8
; %bb.6:
	s_add_u32 s8, s8, s14
	s_addc_u32 s9, s9, s15
	s_load_dword s5, s[8:9], 0x0
	s_branch .LBB1307_9
.LBB1307_7:
	s_mov_b64 s[14:15], 0
	s_branch .LBB1307_2
.LBB1307_8:
	s_mov_b32 s5, s2
.LBB1307_9:
	s_load_dwordx2 s[8:9], s[0:1], 0x10
	s_load_dwordx4 s[44:47], s[0:1], 0x48
	v_and_b32_e32 v60, 15, v0
	v_bfe_u32 v63, v0, 4, 2
	s_lshl_b32 s13, s4, 2
	v_lshlrev_b32_e32 v5, 3, v60
	v_lshrrev_b32_e32 v64, 6, v0
	v_or_b32_e32 v1, s13, v63
	v_cmp_gt_u32_e64 s[14:15], 64, v0
	v_lshlrev_b32_e32 v54, 1, v5
	v_lshlrev_b32_e32 v61, 5, v63
	;; [unrolled: 1-line block ×3, first 2 shown]
	s_and_saveexec_b64 s[10:11], s[14:15]
	s_cbranch_execz .LBB1307_11
; %bb.10:
	s_load_dwordx2 s[20:21], s[0:1], 0x0
	s_waitcnt lgkmcnt(0)
	s_ashr_i32 s22, s44, 31
	s_mul_hi_u32 s23, s5, s44
	s_mul_i32 s22, s5, s22
	s_add_i32 s23, s23, s22
	s_mul_i32 s22, s5, s44
	s_lshl_b64 s[22:23], s[22:23], 1
	s_add_u32 s20, s20, s22
	v_lshlrev_b32_e32 v6, 7, v1
	s_addc_u32 s21, s21, s23
	v_ashrrev_i32_e32 v7, 31, v6
	v_lshl_add_u64 v[6:7], v[6:7], 1, s[20:21]
	v_mov_b32_e32 v55, 0
	v_lshl_add_u64 v[6:7], v[6:7], 0, v[54:55]
	global_load_dwordx4 v[6:9], v[6:7], off
	v_lshlrev_b32_e32 v10, 8, v0
	v_lshlrev_b32_e32 v5, 8, v60
	v_and_b32_e32 v10, 0x600, v10
	s_movk_i32 s5, 0x800
	v_and_or_b32 v5, v5, s5, v10
	v_lshl_or_b32 v10, v64, 7, v61
	v_and_b32_e32 v11, 16, v62
	v_or3_b32 v5, v5, v10, v11
	s_waitcnt vmcnt(0)
	ds_write_b128 v5, v[6:9]
.LBB1307_11:
	s_or_b64 exec, exec, s[10:11]
	s_waitcnt lgkmcnt(0)
	s_mul_i32 s10, s4, s46
	s_add_u32 s4, s16, s10
	s_addc_u32 s5, s17, 0
	v_and_b32_e32 v56, 0xf0, v62
	v_mov_b32_e32 v57, 0
	v_and_b32_e32 v46, 48, v0
	v_lshl_add_u64 v[20:21], s[4:5], 0, v[56:57]
	v_lshlrev_b32_e32 v56, 4, v46
	s_waitcnt vmcnt(3)
	v_mad_i64_i32 v[4:5], s[4:5], v4, s45, v[20:21]
	v_lshl_add_u64 v[4:5], v[4:5], 0, v[56:57]
	s_barrier
	global_load_dwordx4 v[42:45], v[4:5], off
	global_load_dwordx4 v[14:17], v[4:5], off offset:1024
	s_waitcnt vmcnt(4)
	v_mad_i64_i32 v[4:5], s[4:5], v3, s45, v[20:21]
	s_waitcnt vmcnt(3)
	v_mad_i64_i32 v[2:3], s[4:5], v2, s45, v[20:21]
	;; [unrolled: 2-line block ×3, first 2 shown]
	v_lshl_add_u64 v[4:5], v[4:5], 0, v[56:57]
	v_lshl_add_u64 v[22:23], v[2:3], 0, v[56:57]
	;; [unrolled: 1-line block ×3, first 2 shown]
	global_load_dwordx4 v[10:13], v[4:5], off
	global_load_dwordx4 v[6:9], v[4:5], off offset:1024
	s_nop 0
	global_load_dwordx4 v[2:5], v[22:23], off
	global_load_dwordx4 v[50:53], v[22:23], off offset:1024
	global_load_dwordx4 v[34:37], v[18:19], off
	s_nop 0
	global_load_dwordx4 v[22:25], v[18:19], off offset:1024
	v_and_b32_e32 v18, 3, v0
	v_lshlrev_b32_e32 v18, 5, v18
	v_lshl_or_b32 v18, v63, 9, v18
	ds_read_b128 v[38:41], v18
	ds_read_b128 v[30:33], v18 offset:16
	ds_read_b128 v[26:29], v18 offset:2048
	;; [unrolled: 1-line block ×3, first 2 shown]
	v_and_b32_e32 v55, 63, v0
	v_cmp_gt_u32_e32 vcc, 4, v60
	v_mov_b32_e32 v65, 0
	s_and_saveexec_b64 s[4:5], vcc
	s_cbranch_execz .LBB1307_13
; %bb.12:
	s_load_dwordx2 s[16:17], s[0:1], 0x40
	v_or_b32_e32 v48, s13, v60
	v_ashrrev_i32_e32 v49, 31, v48
	s_waitcnt lgkmcnt(0)
	v_lshl_add_u64 v[48:49], v[48:49], 2, s[16:17]
	global_load_dword v65, v[48:49], off
.LBB1307_13:
	s_or_b64 exec, exec, s[4:5]
	s_waitcnt vmcnt(7)
	v_cvt_pk_f32_fp8_e32 v[58:59], v42
	v_cvt_pk_f32_fp8_sdwa v[68:69], v42 src0_sel:WORD_1
	s_mov_b32 s44, 0x7060302
	v_cvt_pk_f32_fp8_e32 v[70:71], v43
	v_perm_b32 v58, v59, v58, s44
	v_perm_b32 v59, v69, v68, s44
	v_cvt_pk_f32_fp8_sdwa v[42:43], v43 src0_sel:WORD_1
	v_perm_b32 v72, v71, v70, s44
	v_cvt_pk_f32_fp8_e32 v[74:75], v44
	v_cvt_pk_f32_fp8_sdwa v[76:77], v44 src0_sel:WORD_1
	v_perm_b32 v73, v43, v42, s44
	s_waitcnt lgkmcnt(3)
	v_mfma_f32_16x16x16_bf16 v[68:71], v[58:59], v[38:39], 0
	v_or_b32_e32 v56, s18, v46
	v_ashrrev_i32_e32 v46, 4, v56
	v_mov_b32_e32 v67, s19
	v_cmp_gt_i32_e32 vcc, s33, v56
	v_perm_b32 v58, v75, v74, s44
	v_perm_b32 v59, v77, v76, s44
	v_cvt_pk_f32_fp8_e32 v[74:75], v45
	v_cvt_pk_f32_fp8_sdwa v[76:77], v45 src0_sel:WORD_1
	v_cndmask_b32_e32 v46, v67, v46, vcc
	v_mfma_f32_16x16x16_bf16 v[42:45], v[72:73], v[40:41], v[68:71]
	v_ashrrev_i32_e32 v47, 31, v46
	v_lshl_add_u64 v[46:47], v[46:47], 2, s[6:7]
	global_load_dword v66, v[46:47], off
	v_or_b32_e32 v46, 64, v56
	v_perm_b32 v68, v75, v74, s44
	v_perm_b32 v69, v77, v76, s44
	v_ashrrev_i32_e32 v47, 4, v46
	v_cmp_gt_i32_e32 vcc, s33, v46
	s_waitcnt lgkmcnt(2)
	v_mfma_f32_16x16x16_bf16 v[42:45], v[58:59], v[30:31], v[42:45]
	s_waitcnt vmcnt(7)
	v_cvt_pk_f32_fp8_sdwa v[72:73], v14 src0_sel:WORD_1
	v_cndmask_b32_e32 v46, v67, v47, vcc
	v_ashrrev_i32_e32 v47, 31, v46
	v_lshl_add_u64 v[48:49], v[46:47], 2, s[6:7]
	v_or_b32_e32 v46, 0x80, v56
	v_mfma_f32_16x16x16_bf16 v[42:45], v[68:69], v[32:33], v[42:45]
	global_load_dword v68, v[48:49], off
	v_ashrrev_i32_e32 v47, 4, v46
	v_cmp_gt_i32_e32 vcc, s33, v46
	v_or_b32_e32 v56, 0xc0, v56
	v_ashrrev_i32_e32 v70, 4, v56
	v_cndmask_b32_e32 v46, v67, v47, vcc
	v_cmp_gt_i32_e32 vcc, s33, v56
	v_ashrrev_i32_e32 v47, 31, v46
	v_lshl_add_u64 v[46:47], v[46:47], 2, s[6:7]
	v_cndmask_b32_e32 v58, v67, v70, vcc
	v_cvt_pk_f32_fp8_e32 v[70:71], v14
	v_ashrrev_i32_e32 v59, 31, v58
	v_lshl_add_u64 v[58:59], v[58:59], 2, s[6:7]
	v_cvt_pk_f32_fp8_sdwa v[74:75], v16 src0_sel:WORD_1
	v_perm_b32 v70, v71, v70, s44
	v_perm_b32 v71, v73, v72, s44
	v_cvt_pk_f32_fp8_e32 v[72:73], v16
	v_cvt_pk_f32_fp8_sdwa v[76:77], v17 src0_sel:WORD_1
	s_waitcnt lgkmcnt(1)
	v_mfma_f32_16x16x16_bf16 v[42:45], v[70:71], v[26:27], v[42:45]
	global_load_dword v70, v[58:59], off
	global_load_dword v69, v[46:47], off
	v_cvt_pk_f32_fp8_e32 v[48:49], v15
	v_cvt_pk_f32_fp8_sdwa v[14:15], v15 src0_sel:WORD_1
	v_perm_b32 v72, v73, v72, s44
	v_perm_b32 v73, v75, v74, s44
	v_perm_b32 v48, v49, v48, s44
	v_perm_b32 v49, v15, v14, s44
	v_cvt_pk_f32_fp8_e32 v[74:75], v17
	s_waitcnt vmcnt(9)
	v_cvt_pk_f32_fp8_e32 v[46:47], v10
	v_mfma_f32_16x16x16_bf16 v[14:17], v[48:49], v[28:29], v[42:45]
	v_cvt_pk_f32_fp8_sdwa v[48:49], v10 src0_sel:WORD_1
	s_nop 1
	v_perm_b32 v42, v75, v74, s44
	v_perm_b32 v43, v77, v76, s44
	s_waitcnt lgkmcnt(0)
	v_mfma_f32_16x16x16_bf16 v[14:17], v[72:73], v[18:19], v[14:17]
	v_cvt_pk_f32_fp8_sdwa v[58:59], v12 src0_sel:WORD_1
	v_cvt_pk_f32_fp8_sdwa v[72:73], v13 src0_sel:WORD_1
	s_add_u32 s4, s8, s10
	v_mfma_f32_16x16x16_bf16 v[42:45], v[42:43], v[20:21], v[14:17]
	v_lshl_or_b32 v67, v64, 4, v60
	s_waitcnt vmcnt(7)
	v_cvt_pk_f32_fp8_e32 v[74:75], v5
	s_addc_u32 s5, s9, 0
	v_cvt_pk_f32_fp8_e32 v[14:15], v11
	v_perm_b32 v16, v47, v46, s44
	v_perm_b32 v17, v49, v48, s44
	v_cvt_pk_f32_fp8_sdwa v[10:11], v11 src0_sel:WORD_1
	v_perm_b32 v46, v15, v14, s44
	v_cvt_pk_f32_fp8_e32 v[48:49], v12
	v_mfma_f32_16x16x16_bf16 v[14:17], v[16:17], v[38:39], 0
	v_perm_b32 v47, v11, v10, s44
	v_perm_b32 v48, v49, v48, s44
	;; [unrolled: 1-line block ×3, first 2 shown]
	v_cvt_pk_f32_fp8_e32 v[58:59], v13
	v_mfma_f32_16x16x16_bf16 v[10:13], v[46:47], v[40:41], v[14:17]
	v_cvt_pk_f32_fp8_sdwa v[46:47], v6 src0_sel:WORD_1
	v_lshlrev_b32_e32 v56, 4, v67
	s_nop 0
	v_perm_b32 v14, v59, v58, s44
	v_perm_b32 v15, v73, v72, s44
	v_mfma_f32_16x16x16_bf16 v[10:13], v[48:49], v[30:31], v[10:13]
	v_cvt_pk_f32_fp8_e32 v[16:17], v6
	v_cvt_pk_f32_fp8_sdwa v[48:49], v8 src0_sel:WORD_1
	v_lshl_add_u64 v[58:59], s[4:5], 0, v[56:57]
	v_mfma_f32_16x16x16_bf16 v[10:13], v[14:15], v[32:33], v[10:13]
	v_cvt_pk_f32_fp8_e32 v[14:15], v7
	v_perm_b32 v16, v17, v16, s44
	v_perm_b32 v17, v47, v46, s44
	v_cvt_pk_f32_fp8_sdwa v[6:7], v7 src0_sel:WORD_1
	v_perm_b32 v14, v15, v14, s44
	v_cvt_pk_f32_fp8_e32 v[46:47], v8
	v_mfma_f32_16x16x16_bf16 v[10:13], v[16:17], v[26:27], v[10:13]
	v_perm_b32 v15, v7, v6, s44
	v_perm_b32 v16, v47, v46, s44
	;; [unrolled: 1-line block ×3, first 2 shown]
	v_cvt_pk_f32_fp8_e32 v[46:47], v9
	v_cvt_pk_f32_fp8_sdwa v[48:49], v9 src0_sel:WORD_1
	v_mfma_f32_16x16x16_bf16 v[6:9], v[14:15], v[28:29], v[10:13]
	v_cvt_pk_f32_fp8_sdwa v[14:15], v2 src0_sel:WORD_1
	s_waitcnt vmcnt(2)
	v_mad_i64_i32 v[72:73], s[6:7], v68, s45, v[58:59]
	v_perm_b32 v10, v47, v46, s44
	v_perm_b32 v11, v49, v48, s44
	v_mfma_f32_16x16x16_bf16 v[6:9], v[16:17], v[18:19], v[6:9]
	v_cvt_pk_f32_fp8_e32 v[12:13], v2
	v_cvt_pk_f32_fp8_sdwa v[80:81], v52 src0_sel:WORD_1
	v_or_b32_e32 v56, 0x400, v56
	v_mfma_f32_16x16x16_bf16 v[46:49], v[10:11], v[20:21], v[6:9]
	v_mad_i64_i32 v[10:11], s[6:7], v66, s45, v[58:59]
	s_mov_b32 s47, 0xff7fffff
	s_nop 0
	v_perm_b32 v6, v13, v12, s44
	v_perm_b32 v7, v15, v14, s44
	v_cvt_pk_f32_fp8_e32 v[8:9], v3
	v_cvt_pk_f32_fp8_sdwa v[2:3], v3 src0_sel:WORD_1
	v_cvt_pk_f32_fp8_sdwa v[14:15], v4 src0_sel:WORD_1
	v_perm_b32 v12, v9, v8, s44
	v_perm_b32 v13, v3, v2, s44
	v_cvt_pk_f32_fp8_e32 v[2:3], v4
	v_mfma_f32_16x16x16_bf16 v[6:9], v[6:7], v[38:39], 0
	v_cvt_pk_f32_fp8_sdwa v[4:5], v5 src0_sel:WORD_1
	s_waitcnt vmcnt(0)
	v_mad_i64_i32 v[76:77], s[6:7], v69, s45, v[58:59]
	v_perm_b32 v2, v3, v2, s44
	v_perm_b32 v3, v15, v14, s44
	v_mfma_f32_16x16x16_bf16 v[6:9], v[12:13], v[40:41], v[6:9]
	global_load_dwordx4 v[14:17], v[10:11], off
	s_nop 0
	global_load_dwordx4 v[10:13], v[72:73], off
	v_perm_b32 v72, v75, v74, s44
	v_perm_b32 v73, v5, v4, s44
	v_mfma_f32_16x16x16_bf16 v[2:5], v[2:3], v[30:31], v[6:9]
	v_mad_i64_i32 v[58:59], s[6:7], v70, s45, v[58:59]
	s_nop 1
	v_cvt_pk_f32_fp8_e32 v[6:7], v50
	v_cvt_pk_f32_fp8_sdwa v[8:9], v50 src0_sel:WORD_1
	v_mfma_f32_16x16x16_bf16 v[2:5], v[72:73], v[32:33], v[2:5]
	v_perm_b32 v6, v7, v6, s44
	v_perm_b32 v7, v9, v8, s44
	v_cvt_pk_f32_fp8_e32 v[8:9], v51
	v_cvt_pk_f32_fp8_sdwa v[50:51], v51 src0_sel:WORD_1
	v_mfma_f32_16x16x16_bf16 v[72:75], v[6:7], v[26:27], v[2:5]
	v_perm_b32 v78, v9, v8, s44
	v_perm_b32 v79, v51, v50, s44
	v_cvt_pk_f32_fp8_e32 v[50:51], v52
	global_load_dwordx4 v[6:9], v[76:77], off
	global_load_dwordx4 v[2:5], v[58:59], off
	v_perm_b32 v77, v81, v80, s44
	v_cvt_pk_f32_fp8_e32 v[58:59], v53
	v_perm_b32 v76, v51, v50, s44
	v_cvt_pk_f32_fp8_sdwa v[80:81], v53 src0_sel:WORD_1
	v_mfma_f32_16x16x16_bf16 v[50:53], v[78:79], v[28:29], v[72:75]
	v_perm_b32 v58, v59, v58, s44
	v_cvt_pk_f32_fp8_sdwa v[78:79], v36 src0_sel:WORD_1
	v_perm_b32 v59, v81, v80, s44
	v_mfma_f32_16x16x16_bf16 v[50:53], v[76:77], v[18:19], v[50:53]
	v_cvt_pk_f32_fp8_e32 v[72:73], v34
	v_cvt_pk_f32_fp8_sdwa v[74:75], v34 src0_sel:WORD_1
	v_cvt_pk_f32_fp8_e32 v[76:77], v36
	v_mfma_f32_16x16x16_bf16 v[50:53], v[58:59], v[20:21], v[50:53]
	v_cvt_pk_f32_fp8_e32 v[58:59], v35
	v_perm_b32 v72, v73, v72, s44
	v_perm_b32 v73, v75, v74, s44
	v_cvt_pk_f32_fp8_sdwa v[34:35], v35 src0_sel:WORD_1
	v_perm_b32 v58, v59, v58, s44
	v_mfma_f32_16x16x16_bf16 v[72:75], v[72:73], v[38:39], 0
	v_perm_b32 v59, v35, v34, s44
	v_perm_b32 v38, v77, v76, s44
	;; [unrolled: 1-line block ×3, first 2 shown]
	v_cvt_pk_f32_fp8_e32 v[76:77], v37
	v_cvt_pk_f32_fp8_sdwa v[78:79], v37 src0_sel:WORD_1
	v_mfma_f32_16x16x16_bf16 v[34:37], v[58:59], v[40:41], v[72:75]
	s_load_dword s6, s[0:1], 0x1c
	s_load_dwordx4 s[40:43], s[0:1], 0x80
	v_perm_b32 v58, v77, v76, s44
	v_perm_b32 v59, v79, v78, s44
	v_mfma_f32_16x16x16_bf16 v[34:37], v[38:39], v[30:31], v[34:37]
	s_load_dword s46, s[0:1], 0x98
	s_waitcnt lgkmcnt(0)
	s_load_dword s7, s[40:41], 0x0
	v_cvt_pk_f32_fp8_sdwa v[38:39], v22 src0_sel:WORD_1
	v_mfma_f32_16x16x16_bf16 v[32:35], v[58:59], v[32:33], v[34:37]
	v_mov_b32_e32 v40, s6
	s_waitcnt lgkmcnt(0)
	v_mul_f32_e32 v72, s7, v40
	v_cvt_pk_f32_fp8_e32 v[36:37], v22
	v_pk_mul_f32 v[30:31], v[72:73], v[42:43] op_sel_hi:[0,1]
	v_cvt_pk_f32_fp8_e32 v[42:43], v23
	v_cvt_pk_f32_fp8_sdwa v[22:23], v23 src0_sel:WORD_1
	v_perm_b32 v36, v37, v36, s44
	v_perm_b32 v37, v39, v38, s44
	v_pk_mul_f32 v[40:41], v[72:73], v[44:45] op_sel_hi:[0,1]
	v_perm_b32 v38, v43, v42, s44
	v_perm_b32 v39, v23, v22, s44
	v_cvt_pk_f32_fp8_e32 v[42:43], v24
	v_cvt_pk_f32_fp8_sdwa v[44:45], v24 src0_sel:WORD_1
	v_mfma_f32_16x16x16_bf16 v[32:35], v[36:37], v[26:27], v[32:35]
	v_lshl_add_u64 v[22:23], s[4:5], 0, v[56:57]
	v_perm_b32 v36, v43, v42, s44
	v_perm_b32 v37, v45, v44, s44
	v_cvt_pk_f32_fp8_e32 v[42:43], v25
	v_cvt_pk_f32_fp8_sdwa v[56:57], v25 src0_sel:WORD_1
	v_mfma_f32_16x16x16_bf16 v[24:27], v[38:39], v[28:29], v[32:35]
	v_pk_mul_f32 v[44:45], v[72:73], v[48:49] op_sel_hi:[0,1]
	v_perm_b32 v28, v43, v42, s44
	v_perm_b32 v29, v57, v56, s44
	v_mfma_f32_16x16x16_bf16 v[24:27], v[36:37], v[18:19], v[24:27]
	v_pk_mul_f32 v[42:43], v[72:73], v[50:51] op_sel_hi:[0,1]
	v_pk_mul_f32 v[46:47], v[72:73], v[46:47] op_sel_hi:[0,1]
	;; [unrolled: 1-line block ×3, first 2 shown]
	v_mfma_f32_16x16x16_bf16 v[18:21], v[28:29], v[20:21], v[24:27]
	s_nop 6
	v_pk_mul_f32 v[36:37], v[72:73], v[18:19] op_sel_hi:[0,1]
	v_and_b32_e32 v18, 0xc0, v0
	v_add_u32_e32 v18, s18, v18
	v_lshl_or_b32 v18, v63, 2, v18
	v_or_b32_e32 v19, 1, v18
	v_pk_mul_f32 v[34:35], v[72:73], v[20:21] op_sel_hi:[0,1]
	v_subrev_u32_e32 v20, s33, v19
	v_add_u32_e32 v24, 1, v20
	v_add_u32_e32 v25, 2, v20
	v_cvt_f32_i32_e32 v21, v20
	v_cvt_f32_i32_e32 v24, v24
	;; [unrolled: 1-line block ×3, first 2 shown]
	v_add_u32_e32 v26, 3, v20
	v_fma_f32 v50, v65, v21, v30
	v_fmac_f32_e32 v31, v65, v24
	v_fma_f32 v40, v65, v25, v40
	v_add_u32_e32 v21, 16, v20
	v_add_u32_e32 v24, 17, v20
	;; [unrolled: 1-line block ×3, first 2 shown]
	v_cvt_f32_i32_e32 v26, v26
	v_cvt_f32_i32_e32 v21, v21
	;; [unrolled: 1-line block ×4, first 2 shown]
	v_fmac_f32_e32 v41, v65, v26
	v_add_u32_e32 v26, 19, v20
	v_fma_f32 v52, v65, v21, v46
	v_fmac_f32_e32 v47, v65, v24
	v_fma_f32 v44, v65, v25, v44
	v_add_u32_e32 v21, 32, v20
	v_add_u32_e32 v24, 33, v20
	;; [unrolled: 1-line block ×3, first 2 shown]
	v_cvt_f32_i32_e32 v26, v26
	v_cvt_f32_i32_e32 v21, v21
	;; [unrolled: 1-line block ×4, first 2 shown]
	v_fmac_f32_e32 v45, v65, v26
	v_add_u32_e32 v26, 35, v20
	v_fma_f32 v42, v65, v21, v42
	v_fmac_f32_e32 v43, v65, v24
	v_fma_f32 v38, v65, v25, v38
	v_add_u32_e32 v21, 48, v20
	v_add_u32_e32 v24, 49, v20
	;; [unrolled: 1-line block ×4, first 2 shown]
	v_cvt_f32_i32_e32 v20, v20
	v_cvt_f32_i32_e32 v21, v21
	;; [unrolled: 1-line block ×3, first 2 shown]
	v_cmp_gt_i32_e64 s[4:5], s33, v18
	v_fmac_f32_e32 v35, v65, v20
	v_mov_b32_e32 v20, 0xff7fffff
	v_cmp_gt_i32_e64 s[16:17], s33, v19
	v_fma_f32 v36, v65, v21, v36
	v_cndmask_b32_e64 v21, v20, v50, s[4:5]
	v_cndmask_b32_e64 v19, v20, v31, s[16:17]
	v_fmac_f32_e32 v37, v65, v24
	v_max3_f32 v19, v21, s47, v19
	v_or_b32_e32 v21, 2, v18
	v_or_b32_e32 v24, 3, v18
	v_cmp_gt_i32_e64 s[18:19], s33, v21
	v_cmp_gt_i32_e64 s[20:21], s33, v24
	v_cvt_f32_i32_e32 v26, v26
	v_cndmask_b32_e64 v21, v20, v40, s[18:19]
	v_cndmask_b32_e64 v24, v20, v41, s[20:21]
	v_max3_f32 v19, v19, v21, v24
	v_or_b32_e32 v21, 16, v18
	v_or_b32_e32 v24, 17, v18
	v_cmp_gt_i32_e64 s[22:23], s33, v21
	v_cmp_gt_i32_e64 s[24:25], s33, v24
	v_fmac_f32_e32 v39, v65, v26
	v_cndmask_b32_e64 v21, v20, v52, s[22:23]
	v_cndmask_b32_e64 v24, v20, v47, s[24:25]
	v_max3_f32 v19, v19, v21, v24
	v_or_b32_e32 v21, 18, v18
	v_or_b32_e32 v24, 19, v18
	v_cmp_gt_i32_e64 s[26:27], s33, v21
	v_cmp_gt_i32_e64 s[28:29], s33, v24
	v_cvt_f32_i32_e32 v25, v25
	v_cndmask_b32_e64 v21, v20, v44, s[26:27]
	v_cndmask_b32_e64 v24, v20, v45, s[28:29]
	v_max3_f32 v19, v19, v21, v24
	v_or_b32_e32 v21, 32, v18
	v_or_b32_e32 v24, 33, v18
	v_cmp_gt_i32_e64 s[30:31], s33, v21
	v_cmp_gt_i32_e64 s[34:35], s33, v24
	v_fma_f32 v34, v65, v25, v34
	v_cndmask_b32_e64 v21, v20, v42, s[30:31]
	v_cndmask_b32_e64 v24, v20, v43, s[34:35]
	v_max3_f32 v19, v19, v21, v24
	v_or_b32_e32 v21, 34, v18
	v_or_b32_e32 v24, 35, v18
	v_cmp_gt_i32_e64 s[36:37], s33, v21
	v_cmp_gt_i32_e64 s[38:39], s33, v24
	s_nop 0
	v_cndmask_b32_e64 v21, v20, v38, s[36:37]
	v_cndmask_b32_e64 v24, v20, v39, s[38:39]
	v_max3_f32 v19, v19, v21, v24
	v_or_b32_e32 v21, 48, v18
	v_or_b32_e32 v24, 49, v18
	v_cmp_gt_i32_e64 s[8:9], s33, v21
	v_cmp_gt_i32_e64 s[10:11], s33, v24
	s_nop 0
	v_cndmask_b32_e64 v21, v20, v36, s[8:9]
	v_cndmask_b32_e64 v24, v20, v37, s[10:11]
	v_max3_f32 v19, v19, v21, v24
	v_or_b32_e32 v21, 50, v18
	v_or_b32_e32 v18, 51, v18
	v_cmp_gt_i32_e32 vcc, s33, v21
	v_cmp_gt_i32_e64 s[6:7], s33, v18
	s_nop 0
	v_cndmask_b32_e32 v21, v20, v34, vcc
	v_cndmask_b32_e64 v18, v20, v35, s[6:7]
	v_max3_f32 v24, v19, v21, v18
	v_mbcnt_lo_u32_b32 v18, -1, 0
	v_mbcnt_hi_u32_b32 v25, -1, v18
	v_and_b32_e32 v18, 64, v25
	v_add_u32_e32 v26, 64, v18
	v_xor_b32_e32 v18, 32, v25
	v_cmp_lt_i32_e64 s[40:41], v18, v26
	s_nop 1
	v_cndmask_b32_e64 v18, v25, v18, s[40:41]
	v_lshlrev_b32_e32 v53, 2, v18
	ds_bpermute_b32 v27, v53, v24
	v_mad_i64_i32 v[18:19], s[40:41], v66, s45, v[22:23]
	v_mad_i64_i32 v[20:21], s[40:41], v68, s45, v[22:23]
	s_waitcnt lgkmcnt(0)
	v_max_f32_e32 v27, v27, v27
	v_max_f32_e32 v27, v24, v27
	v_xor_b32_e32 v24, 16, v25
	v_cmp_lt_i32_e64 s[40:41], v24, v26
	s_nop 1
	v_cndmask_b32_e64 v24, v25, v24, s[40:41]
	v_lshlrev_b32_e32 v56, 2, v24
	ds_bpermute_b32 v26, v56, v27
	v_mad_i64_i32 v[24:25], s[40:41], v69, s45, v[22:23]
	v_mad_i64_i32 v[48:49], s[40:41], v70, s45, v[22:23]
	s_waitcnt lgkmcnt(0)
	v_max_f32_e32 v22, v26, v26
	v_max_f32_e32 v46, v27, v22
	v_sub_f32_e32 v22, v31, v46
	global_load_dwordx4 v[30:33], v[18:19], off
	global_load_dwordx4 v[26:29], v[20:21], off
	v_sub_f32_e32 v18, v50, v46
	v_mul_f32_e32 v18, 0x3fb8aa3b, v18
	v_exp_f32_e32 v50, v18
	v_mul_f32_e32 v18, 0x3fb8aa3b, v22
	v_exp_f32_e32 v51, v18
	v_sub_f32_e32 v18, v40, v46
	v_mul_f32_e32 v18, 0x3fb8aa3b, v18
	v_exp_f32_e32 v40, v18
	v_sub_f32_e32 v18, v41, v46
	v_mul_f32_e32 v18, 0x3fb8aa3b, v18
	v_exp_f32_e32 v41, v18
	global_load_dwordx4 v[22:25], v[24:25], off
	s_nop 0
	global_load_dwordx4 v[18:21], v[48:49], off
	v_sub_f32_e32 v42, v42, v46
	v_sub_f32_e32 v38, v38, v46
	v_mul_f32_e32 v42, 0x3fb8aa3b, v42
	v_mul_f32_e32 v38, 0x3fb8aa3b, v38
	v_cndmask_b32_e64 v49, 0, v51, s[16:17]
	v_cndmask_b32_e64 v51, 0, v41, s[20:21]
	v_sub_f32_e32 v41, v47, v46
	v_exp_f32_e32 v42, v42
	v_exp_f32_e32 v47, v38
	v_cndmask_b32_e64 v48, 0, v50, s[4:5]
	v_cndmask_b32_e64 v50, 0, v40, s[18:19]
	v_sub_f32_e32 v40, v52, v46
	v_mul_f32_e32 v40, 0x3fb8aa3b, v40
	v_sub_f32_e32 v38, v39, v46
	v_exp_f32_e32 v40, v40
	v_mul_f32_e32 v41, 0x3fb8aa3b, v41
	v_sub_f32_e32 v44, v44, v46
	v_mul_f32_e32 v38, 0x3fb8aa3b, v38
	v_exp_f32_e32 v41, v41
	v_mul_f32_e32 v44, 0x3fb8aa3b, v44
	v_sub_f32_e32 v45, v45, v46
	v_exp_f32_e32 v52, v38
	v_cndmask_b32_e64 v38, 0, v42, s[30:31]
	v_cndmask_b32_e64 v42, 0, v47, s[36:37]
	v_add_f32_e32 v47, 0, v48
	v_exp_f32_e32 v44, v44
	v_mul_f32_e32 v45, 0x3fb8aa3b, v45
	v_add_f32_e32 v47, v47, v49
	v_exp_f32_e32 v45, v45
	v_sub_f32_e32 v43, v43, v46
	v_add_f32_e32 v47, v47, v50
	v_cndmask_b32_e64 v40, 0, v40, s[22:23]
	v_mul_f32_e32 v43, 0x3fb8aa3b, v43
	v_add_f32_e32 v47, v47, v51
	v_cndmask_b32_e64 v41, 0, v41, s[24:25]
	v_exp_f32_e32 v43, v43
	v_add_f32_e32 v47, v47, v40
	v_cndmask_b32_e64 v44, 0, v44, s[26:27]
	v_add_f32_e32 v47, v47, v41
	v_sub_f32_e32 v36, v36, v46
	v_cndmask_b32_e64 v45, 0, v45, s[28:29]
	v_add_f32_e32 v47, v47, v44
	v_mul_f32_e32 v36, 0x3fb8aa3b, v36
	v_sub_f32_e32 v37, v37, v46
	v_add_f32_e32 v47, v47, v45
	v_exp_f32_e32 v36, v36
	v_mul_f32_e32 v37, 0x3fb8aa3b, v37
	v_sub_f32_e32 v34, v34, v46
	v_cndmask_b32_e64 v39, 0, v43, s[34:35]
	v_add_f32_e32 v47, v47, v38
	v_exp_f32_e32 v37, v37
	v_mul_f32_e32 v34, 0x3fb8aa3b, v34
	v_sub_f32_e32 v35, v35, v46
	v_add_f32_e32 v47, v47, v39
	v_exp_f32_e32 v34, v34
	v_mul_f32_e32 v35, 0x3fb8aa3b, v35
	v_cndmask_b32_e64 v43, 0, v52, s[38:39]
	v_add_f32_e32 v47, v47, v42
	v_exp_f32_e32 v35, v35
	v_add_f32_e32 v47, v47, v43
	v_cndmask_b32_e64 v36, 0, v36, s[8:9]
	v_add_f32_e32 v47, v47, v36
	v_cndmask_b32_e64 v37, 0, v37, s[10:11]
	v_add_f32_e32 v47, v47, v37
	v_cndmask_b32_e32 v34, 0, v34, vcc
	v_add_f32_e32 v47, v47, v34
	v_cndmask_b32_e64 v35, 0, v35, s[6:7]
	v_add_f32_e32 v47, v47, v35
	ds_bpermute_b32 v52, v53, v47
	v_cmp_gt_u32_e32 vcc, 16, v55
	s_waitcnt lgkmcnt(0)
	s_barrier
	v_add_f32_e32 v47, v47, v52
	ds_bpermute_b32 v52, v56, v47
	s_and_saveexec_b64 s[4:5], vcc
	s_cbranch_execz .LBB1307_15
; %bb.14:
	s_waitcnt lgkmcnt(0)
	v_add_f32_e32 v47, v47, v52
	v_lshlrev_b32_e32 v52, 2, v67
	ds_write2st64_b32 v52, v46, v47 offset1:1
.LBB1307_15:
	s_or_b64 exec, exec, s[4:5]
	v_lshlrev_b32_e32 v47, 2, v60
	s_load_dword s6, s[0:1], 0x94
	s_waitcnt lgkmcnt(0)
	s_barrier
	ds_read2_b32 v[52:53], v47 offset1:16
	ds_read2_b32 v[56:57], v47 offset0:32 offset1:48
	ds_read2_b32 v[58:59], v47 offset0:64 offset1:80
	s_movk_i32 s8, 0x7fff
	s_lshl_b32 s7, s46, 2
	s_waitcnt lgkmcnt(2)
	v_max3_f32 v46, v52, s47, v53
	s_waitcnt lgkmcnt(1)
	v_max3_f32 v46, v46, v56, v57
	v_sub_f32_e32 v52, v52, v46
	v_mul_f32_e32 v52, 0x3fb8aa3b, v52
	v_exp_f32_e32 v55, v52
	v_sub_f32_e32 v52, v53, v46
	v_mul_f32_e32 v52, 0x3fb8aa3b, v52
	v_exp_f32_e32 v65, v52
	;; [unrolled: 3-line block ×3, first 2 shown]
	ds_read2_b32 v[52:53], v47 offset0:96 offset1:112
	v_sub_f32_e32 v47, v57, v46
	v_mul_f32_e32 v47, 0x3fb8aa3b, v47
	v_exp_f32_e32 v57, v47
	s_waitcnt lgkmcnt(1)
	v_fma_f32 v47, v55, v58, 0
	v_fmac_f32_e32 v47, v65, v59
	s_waitcnt lgkmcnt(0)
	v_fmac_f32_e32 v47, v56, v52
	v_fmac_f32_e32 v47, v57, v53
	v_add_f32_e32 v52, 0x358637bd, v47
	v_div_scale_f32 v53, s[4:5], v52, v52, 1.0
	v_rcp_f32_e32 v58, v53
	s_barrier
	v_fma_f32 v59, -v53, v58, 1.0
	v_fmac_f32_e32 v58, v59, v58
	v_div_scale_f32 v59, vcc, 1.0, v52, 1.0
	v_mul_f32_e32 v66, v59, v58
	v_fma_f32 v67, -v53, v66, v59
	v_fmac_f32_e32 v66, v67, v58
	v_fma_f32 v53, -v53, v66, v59
	v_div_fmas_f32 v53, v53, v58, v66
	v_cmp_eq_u32_e32 vcc, 1, v64
	v_div_fixup_f32 v52, v53, v52, 1.0
	s_nop 0
	v_cndmask_b32_e32 v53, v55, v65, vcc
	v_cmp_eq_u32_e32 vcc, 2, v64
	s_nop 1
	v_cndmask_b32_e32 v53, v53, v56, vcc
	v_cmp_eq_u32_e32 vcc, 3, v64
	s_nop 1
	v_cndmask_b32_e32 v53, v53, v57, vcc
	v_mul_f32_e32 v52, v53, v52
	v_pk_mul_f32 v[48:49], v[52:53], v[48:49] op_sel_hi:[0,1]
	v_pk_mul_f32 v[50:51], v[52:53], v[50:51] op_sel_hi:[0,1]
	v_bfe_u32 v53, v49, 16, 1
	v_bfe_u32 v55, v48, 16, 1
	v_add3_u32 v48, v48, v55, s8
	v_add3_u32 v49, v49, v53, s8
	v_perm_b32 v56, v49, v48, s44
	v_bfe_u32 v48, v51, 16, 1
	v_bfe_u32 v49, v50, 16, 1
	v_add3_u32 v49, v50, v49, s8
	v_add3_u32 v48, v51, v48, s8
	v_perm_b32 v57, v48, v49, s44
	v_lshlrev_b32_e32 v49, 3, v63
	v_lshlrev_b32_e32 v48, 5, v60
	;; [unrolled: 1-line block ×3, first 2 shown]
	v_pk_mul_f32 v[40:41], v[52:53], v[40:41] op_sel_hi:[0,1]
	v_or3_b32 v55, v50, v48, v49
	v_bfe_u32 v49, v41, 16, 1
	v_bfe_u32 v50, v40, 16, 1
	v_pk_mul_f32 v[44:45], v[52:53], v[44:45] op_sel_hi:[0,1]
	v_add3_u32 v40, v40, v50, s8
	v_add3_u32 v41, v41, v49, s8
	v_perm_b32 v40, v41, v40, s44
	v_bfe_u32 v41, v45, 16, 1
	v_bfe_u32 v49, v44, 16, 1
	v_add3_u32 v44, v44, v49, s8
	v_add3_u32 v41, v45, v41, s8
	v_perm_b32 v41, v41, v44, s44
	v_pk_mul_f32 v[38:39], v[52:53], v[38:39] op_sel_hi:[0,1]
	ds_write2st64_b64 v55, v[56:57], v[40:41] offset1:1
	v_pk_mul_f32 v[40:41], v[52:53], v[42:43] op_sel_hi:[0,1]
	v_bfe_u32 v42, v39, 16, 1
	v_bfe_u32 v43, v38, 16, 1
	v_add3_u32 v38, v38, v43, s8
	v_add3_u32 v39, v39, v42, s8
	v_perm_b32 v38, v39, v38, s44
	v_bfe_u32 v39, v41, 16, 1
	v_bfe_u32 v42, v40, 16, 1
	v_add3_u32 v40, v40, v42, s8
	v_add3_u32 v39, v41, v39, s8
	v_pk_mul_f32 v[36:37], v[52:53], v[36:37] op_sel_hi:[0,1]
	v_perm_b32 v39, v39, v40, s44
	v_bfe_u32 v40, v37, 16, 1
	v_bfe_u32 v41, v36, 16, 1
	v_pk_mul_f32 v[34:35], v[52:53], v[34:35] op_sel_hi:[0,1]
	v_add3_u32 v36, v36, v41, s8
	v_add3_u32 v37, v37, v40, s8
	v_perm_b32 v36, v37, v36, s44
	v_bfe_u32 v37, v35, 16, 1
	v_bfe_u32 v40, v34, 16, 1
	v_add3_u32 v34, v34, v40, s8
	v_add3_u32 v35, v35, v37, s8
	v_perm_b32 v37, v35, v34, s44
	v_cmp_gt_u32_e32 vcc, 4, v0
	ds_write2st64_b64 v55, v[38:39], v[36:37] offset0:2 offset1:3
	s_and_saveexec_b64 s[4:5], vcc
	s_cbranch_execz .LBB1307_17
; %bb.16:
	v_or_b32_e32 v34, s13, v0
	v_mov_b32_e32 v35, 0
	v_mov_b32_e32 v36, s7
	v_mad_u64_u32 v[36:37], s[10:11], s2, v36, v[34:35]
	v_mov_b32_e32 v34, s12
	s_load_dwordx4 s[16:19], s[0:1], 0x58
	s_mul_i32 s3, s3, s7
	v_mad_u64_u32 v[34:35], s[10:11], v36, s6, v[34:35]
	v_add_u32_e32 v37, s3, v37
	v_mov_b32_e32 v36, v35
	v_mad_u64_u32 v[36:37], s[10:11], v37, s6, v[36:37]
	v_mov_b32_e32 v35, v36
	v_lshlrev_b64 v[34:35], 2, v[34:35]
	s_waitcnt lgkmcnt(0)
	v_lshl_add_u64 v[36:37], s[18:19], 0, v[34:35]
	v_lshl_add_u64 v[34:35], s[16:17], 0, v[34:35]
	global_store_dword v[36:37], v46, off
	global_store_dword v[34:35], v47, off
.LBB1307_17:
	s_or_b64 exec, exec, s[4:5]
	s_waitcnt vmcnt(7)
	v_cvt_pk_f32_fp8_e32 v[34:35], v14
	v_cvt_pk_f32_fp8_sdwa v[36:37], v14 src0_sel:WORD_1
	v_lshl_or_b32 v50, v63, 9, v48
	s_mov_b32 s5, 0x7060302
	s_waitcnt lgkmcnt(0)
	s_barrier
	v_cvt_pk_f32_fp8_e32 v[38:39], v15
	v_perm_b32 v14, v35, v34, s5
	v_cvt_pk_f32_fp8_sdwa v[40:41], v15 src0_sel:WORD_1
	v_perm_b32 v15, v37, v36, s5
	ds_read_b128 v[34:37], v50
	v_perm_b32 v46, v39, v38, s5
	v_perm_b32 v47, v41, v40, s5
	ds_read_b128 v[38:41], v50 offset:16
	v_cvt_pk_f32_fp8_e32 v[48:49], v16
	v_cvt_pk_f32_fp8_sdwa v[52:53], v16 src0_sel:WORD_1
	s_waitcnt lgkmcnt(1)
	v_mfma_f32_16x16x16_bf16 v[42:45], v[14:15], v[34:35], 0
	s_waitcnt vmcnt(6)
	v_cvt_pk_f32_fp8_e32 v[56:57], v12
	v_perm_b32 v14, v49, v48, s5
	v_perm_b32 v15, v53, v52, s5
	v_cvt_pk_f32_fp8_e32 v[48:49], v17
	v_mfma_f32_16x16x16_bf16 v[42:45], v[46:47], v[36:37], v[42:45]
	v_cvt_pk_f32_fp8_sdwa v[46:47], v17 src0_sel:WORD_1
	v_cvt_pk_f32_fp8_sdwa v[58:59], v12 src0_sel:WORD_1
	v_perm_b32 v48, v49, v48, s5
	s_waitcnt lgkmcnt(0)
	v_mfma_f32_16x16x16_bf16 v[14:17], v[14:15], v[38:39], v[42:45]
	v_perm_b32 v49, v47, v46, s5
	s_waitcnt vmcnt(5)
	v_cvt_pk_f32_fp8_e32 v[64:65], v8
	v_cvt_pk_f32_fp8_sdwa v[66:67], v8 src0_sel:WORD_1
	v_cvt_pk_f32_fp8_e32 v[42:43], v10
	v_mfma_f32_16x16x16_bf16 v[46:49], v[48:49], v[40:41], v[14:17]
	s_waitcnt vmcnt(4)
	v_cvt_pk_f32_fp8_sdwa v[68:69], v4 src0_sel:WORD_1
	s_load_dword s4, s[42:43], 0x0
	v_cvt_pk_f32_fp8_sdwa v[14:15], v10 src0_sel:WORD_1
	v_cvt_pk_f32_fp8_e32 v[16:17], v11
	v_perm_b32 v10, v43, v42, s5
	v_cvt_pk_f32_fp8_sdwa v[42:43], v11 src0_sel:WORD_1
	v_perm_b32 v11, v15, v14, s5
	v_perm_b32 v52, v17, v16, s5
	ds_read_b128 v[14:17], v50 offset:2048
	v_perm_b32 v53, v43, v42, s5
	ds_read_b128 v[42:45], v50 offset:2064
	s_waitcnt lgkmcnt(0)
	v_mfma_f32_16x16x16_bf16 v[46:49], v[10:11], v[14:15], v[46:49]
	v_perm_b32 v10, v57, v56, s5
	v_perm_b32 v11, v59, v58, s5
	v_cvt_pk_f32_fp8_e32 v[56:57], v13
	v_mfma_f32_16x16x16_bf16 v[46:49], v[52:53], v[16:17], v[46:49]
	v_cvt_pk_f32_fp8_sdwa v[52:53], v13 src0_sel:WORD_1
	s_waitcnt vmcnt(3)
	v_cvt_pk_f32_fp8_sdwa v[70:71], v32 src0_sel:WORD_1
	v_perm_b32 v56, v57, v56, s5
	v_mfma_f32_16x16x16_bf16 v[10:13], v[10:11], v[42:43], v[46:49]
	v_perm_b32 v57, v53, v52, s5
	s_mov_b32 s3, 0
	s_nop 0
	v_cvt_pk_f32_fp8_e32 v[46:47], v6
	v_mfma_f32_16x16x16_bf16 v[56:59], v[56:57], v[44:45], v[10:13]
	s_nop 2
	v_cvt_pk_f32_fp8_sdwa v[10:11], v6 src0_sel:WORD_1
	v_cvt_pk_f32_fp8_e32 v[12:13], v7
	v_perm_b32 v6, v47, v46, s5
	v_cvt_pk_f32_fp8_sdwa v[46:47], v7 src0_sel:WORD_1
	v_perm_b32 v7, v11, v10, s5
	v_perm_b32 v52, v13, v12, s5
	ds_read_b128 v[10:13], v50 offset:4096
	v_perm_b32 v53, v47, v46, s5
	ds_read_b128 v[46:49], v50 offset:4112
	s_waitcnt lgkmcnt(1)
	v_mfma_f32_16x16x16_bf16 v[56:59], v[6:7], v[10:11], v[56:59]
	v_perm_b32 v6, v65, v64, s5
	v_perm_b32 v7, v67, v66, s5
	v_cvt_pk_f32_fp8_e32 v[64:65], v9
	v_mfma_f32_16x16x16_bf16 v[56:59], v[52:53], v[12:13], v[56:59]
	v_cvt_pk_f32_fp8_sdwa v[52:53], v9 src0_sel:WORD_1
	v_cvt_pk_f32_fp8_e32 v[66:67], v4
	v_perm_b32 v64, v65, v64, s5
	s_waitcnt lgkmcnt(0)
	v_mfma_f32_16x16x16_bf16 v[6:9], v[6:7], v[46:47], v[56:59]
	v_perm_b32 v65, v53, v52, s5
	v_cvt_pk_f32_fp8_e32 v[52:53], v2
	s_nop 0
	v_mfma_f32_16x16x16_bf16 v[56:59], v[64:65], v[48:49], v[6:9]
	s_nop 2
	v_cvt_pk_f32_fp8_sdwa v[6:7], v2 src0_sel:WORD_1
	v_cvt_pk_f32_fp8_e32 v[8:9], v3
	v_perm_b32 v2, v53, v52, s5
	v_cvt_pk_f32_fp8_sdwa v[52:53], v3 src0_sel:WORD_1
	v_perm_b32 v3, v7, v6, s5
	v_perm_b32 v64, v9, v8, s5
	ds_read_b128 v[6:9], v50 offset:6144
	v_perm_b32 v65, v53, v52, s5
	s_waitcnt lgkmcnt(0)
	v_mfma_f32_16x16x16_bf16 v[56:59], v[2:3], v[6:7], v[56:59]
	ds_read_b128 v[50:53], v50 offset:6160
	v_perm_b32 v2, v67, v66, s5
	v_perm_b32 v3, v69, v68, s5
	v_cvt_pk_f32_fp8_e32 v[66:67], v5
	v_mfma_f32_16x16x16_bf16 v[56:59], v[64:65], v[8:9], v[56:59]
	v_cvt_pk_f32_fp8_sdwa v[64:65], v5 src0_sel:WORD_1
	v_cvt_pk_f32_fp8_e32 v[68:69], v32
	v_perm_b32 v66, v67, v66, s5
	s_waitcnt lgkmcnt(0)
	v_mfma_f32_16x16x16_bf16 v[2:5], v[2:3], v[50:51], v[56:59]
	v_perm_b32 v67, v65, v64, s5
	s_barrier
	s_nop 0
	v_mfma_f32_16x16x16_bf16 v[56:59], v[66:67], v[52:53], v[2:5]
	s_nop 2
	v_cvt_pk_f32_fp8_e32 v[4:5], v30
	v_perm_b32 v4, v5, v4, s5
	s_nop 1
	v_pk_mul_f32 v[2:3], v[58:59], s[4:5] op_sel_hi:[1,0]
	v_cvt_pk_f32_fp8_sdwa v[58:59], v30 src0_sel:WORD_1
	v_pk_mul_f32 v[64:65], v[56:57], s[4:5] op_sel_hi:[1,0]
	v_cvt_pk_f32_fp8_e32 v[56:57], v31
	v_cvt_pk_f32_fp8_sdwa v[30:31], v31 src0_sel:WORD_1
	v_perm_b32 v5, v59, v58, s5
	v_perm_b32 v66, v57, v56, s5
	;; [unrolled: 1-line block ×3, first 2 shown]
	v_mfma_f32_16x16x16_bf16 v[56:59], v[4:5], v[34:35], 0
	v_perm_b32 v4, v69, v68, s5
	v_perm_b32 v5, v71, v70, s5
	v_cvt_pk_f32_fp8_e32 v[34:35], v33
	v_cvt_pk_f32_fp8_sdwa v[68:69], v33 src0_sel:WORD_1
	v_mfma_f32_16x16x16_bf16 v[30:33], v[66:67], v[36:37], v[56:59]
	s_waitcnt vmcnt(2)
	v_cvt_pk_f32_fp8_sdwa v[36:37], v26 src0_sel:WORD_1
	v_perm_b32 v34, v35, v34, s5
	v_perm_b32 v35, v69, v68, s5
	v_mfma_f32_16x16x16_bf16 v[30:33], v[4:5], v[38:39], v[30:33]
	v_cvt_pk_f32_fp8_e32 v[4:5], v26
	v_cvt_pk_f32_fp8_sdwa v[38:39], v28 src0_sel:WORD_1
	v_bfe_u32 v56, v65, 16, 1
	v_mfma_f32_16x16x16_bf16 v[30:33], v[34:35], v[40:41], v[30:33]
	v_cvt_pk_f32_fp8_e32 v[34:35], v27
	v_perm_b32 v4, v5, v4, s5
	v_perm_b32 v5, v37, v36, s5
	v_cvt_pk_f32_fp8_sdwa v[26:27], v27 src0_sel:WORD_1
	v_perm_b32 v34, v35, v34, s5
	v_cvt_pk_f32_fp8_e32 v[36:37], v28
	v_mfma_f32_16x16x16_bf16 v[30:33], v[4:5], v[14:15], v[30:33]
	v_perm_b32 v35, v27, v26, s5
	v_perm_b32 v4, v37, v36, s5
	;; [unrolled: 1-line block ×3, first 2 shown]
	v_cvt_pk_f32_fp8_e32 v[26:27], v29
	v_cvt_pk_f32_fp8_sdwa v[28:29], v29 src0_sel:WORD_1
	v_mfma_f32_16x16x16_bf16 v[14:17], v[34:35], v[16:17], v[30:33]
	v_bfe_u32 v57, v64, 16, 1
	v_perm_b32 v26, v27, v26, s5
	v_perm_b32 v27, v29, v28, s5
	v_mfma_f32_16x16x16_bf16 v[14:17], v[4:5], v[42:43], v[14:17]
	s_waitcnt vmcnt(1)
	v_cvt_pk_f32_fp8_e32 v[4:5], v22
	v_cvt_pk_f32_fp8_sdwa v[28:29], v22 src0_sel:WORD_1
	v_cvt_pk_f32_fp8_sdwa v[30:31], v24 src0_sel:WORD_1
	v_mfma_f32_16x16x16_bf16 v[14:17], v[26:27], v[44:45], v[14:17]
	v_cvt_pk_f32_fp8_e32 v[26:27], v23
	v_perm_b32 v4, v5, v4, s5
	v_perm_b32 v5, v29, v28, s5
	v_cvt_pk_f32_fp8_sdwa v[22:23], v23 src0_sel:WORD_1
	v_perm_b32 v26, v27, v26, s5
	v_cvt_pk_f32_fp8_e32 v[28:29], v24
	v_mfma_f32_16x16x16_bf16 v[14:17], v[4:5], v[10:11], v[14:17]
	v_perm_b32 v27, v23, v22, s5
	v_perm_b32 v4, v29, v28, s5
	;; [unrolled: 1-line block ×3, first 2 shown]
	v_cvt_pk_f32_fp8_e32 v[22:23], v25
	v_cvt_pk_f32_fp8_sdwa v[24:25], v25 src0_sel:WORD_1
	v_mfma_f32_16x16x16_bf16 v[10:13], v[26:27], v[12:13], v[14:17]
	v_add3_u32 v32, v64, v57, s8
	v_add3_u32 v33, v65, v56, s8
	s_nop 0
	v_perm_b32 v16, v23, v22, s5
	v_perm_b32 v17, v25, v24, s5
	v_mfma_f32_16x16x16_bf16 v[10:13], v[4:5], v[46:47], v[10:13]
	s_waitcnt vmcnt(0)
	v_cvt_pk_f32_fp8_e32 v[4:5], v18
	v_cvt_pk_f32_fp8_sdwa v[22:23], v18 src0_sel:WORD_1
	v_cvt_pk_f32_fp8_sdwa v[24:25], v20 src0_sel:WORD_1
	v_mfma_f32_16x16x16_bf16 v[10:13], v[16:17], v[48:49], v[10:13]
	v_cvt_pk_f32_fp8_e32 v[16:17], v19
	v_perm_b32 v4, v5, v4, s5
	v_perm_b32 v5, v23, v22, s5
	v_cvt_pk_f32_fp8_sdwa v[18:19], v19 src0_sel:WORD_1
	v_perm_b32 v16, v17, v16, s5
	v_cvt_pk_f32_fp8_e32 v[22:23], v20
	v_mfma_f32_16x16x16_bf16 v[4:7], v[4:5], v[6:7], v[10:13]
	v_perm_b32 v17, v19, v18, s5
	v_cvt_pk_f32_fp8_sdwa v[18:19], v21 src0_sel:WORD_1
	s_nop 0
	v_perm_b32 v10, v23, v22, s5
	v_perm_b32 v11, v25, v24, s5
	v_cvt_pk_f32_fp8_e32 v[12:13], v21
	v_mfma_f32_16x16x16_bf16 v[4:7], v[16:17], v[8:9], v[4:7]
	v_perm_b32 v9, v19, v18, s5
	v_bfe_u32 v15, v3, 16, 1
	v_perm_b32 v8, v13, v12, s5
	v_mfma_f32_16x16x16_bf16 v[4:7], v[10:11], v[50:51], v[4:7]
	v_bfe_u32 v16, v2, 16, 1
	v_add3_u32 v2, v2, v16, s8
	v_add3_u32 v3, v3, v15, s8
	v_perm_b32 v15, v3, v2, s5
	v_mfma_f32_16x16x16_bf16 v[2:5], v[8:9], v[52:53], v[4:7]
	v_perm_b32 v14, v33, v32, s5
	s_nop 5
	v_pk_mul_f32 v[2:3], v[2:3], s[4:5] op_sel_hi:[1,0]
	v_pk_mul_f32 v[4:5], v[4:5], s[4:5] op_sel_hi:[1,0]
	v_bfe_u32 v6, v3, 16, 1
	v_bfe_u32 v7, v2, 16, 1
	v_add3_u32 v2, v2, v7, s8
	v_add3_u32 v3, v3, v6, s8
	v_perm_b32 v2, v3, v2, s5
	v_bfe_u32 v3, v5, 16, 1
	v_bfe_u32 v6, v4, 16, 1
	v_add3_u32 v4, v4, v6, s8
	v_add3_u32 v3, v5, v3, s8
	v_perm_b32 v3, v3, v4, s5
	ds_write2st64_b64 v55, v[14:15], v[2:3] offset1:1
	s_waitcnt lgkmcnt(0)
	s_barrier
	s_and_saveexec_b64 s[4:5], s[14:15]
	s_cbranch_execz .LBB1307_19
; %bb.18:
	s_load_dwordx2 s[0:1], s[0:1], 0x68
	s_lshl_b32 s6, s6, 7
	s_mul_i32 s2, s7, s2
	v_lshlrev_b32_e32 v3, 6, v60
	s_mul_hi_u32 s5, s2, s6
	s_mul_i32 s4, s2, s6
	v_lshl_or_b32 v0, v0, 10, v3
	s_lshl_b64 s[4:5], s[4:5], 1
	v_and_b32_e32 v2, 16, v62
	v_and_b32_e32 v0, 0x1a00, v0
	s_waitcnt lgkmcnt(0)
	s_add_u32 s4, s0, s4
	v_or3_b32 v0, v0, v61, v2
	s_addc_u32 s5, s1, s5
	s_lshl_b32 s2, s12, 7
	ds_read_b128 v[2:5], v0
	s_lshl_b64 s[0:1], s[2:3], 1
	s_add_u32 s0, s4, s0
	s_addc_u32 s1, s5, s1
	v_mad_u64_u32 v[0:1], s[2:3], s6, v1, 0
	v_lshl_add_u64 v[0:1], v[0:1], 1, s[0:1]
	v_mov_b32_e32 v55, 0
	v_lshl_add_u64 v[0:1], v[0:1], 0, v[54:55]
	s_waitcnt lgkmcnt(0)
	global_store_dwordx4 v[0:1], v[2:5], off
.LBB1307_19:
	s_endpgm
	.section	.rodata,"a",@progbits
	.p2align	6, 0x0
	.amdhsa_kernel _Z39paged_attention_ll4mi_QKV_mfma16_kernelI14__hip_bfloat16hLN4vllm18Fp8KVCacheDataTypeE1ES0_Li16ELi128ELi256ELb1ELi4EEvPKT_PKT0_S8_ifPKiSA_SA_iPKfiiiPfSD_PS3_PT2_iSC_SC_
		.amdhsa_group_segment_fixed_size 8192
		.amdhsa_private_segment_fixed_size 0
		.amdhsa_kernarg_size 400
		.amdhsa_user_sgpr_count 2
		.amdhsa_user_sgpr_dispatch_ptr 0
		.amdhsa_user_sgpr_queue_ptr 0
		.amdhsa_user_sgpr_kernarg_segment_ptr 1
		.amdhsa_user_sgpr_dispatch_id 0
		.amdhsa_user_sgpr_kernarg_preload_length 0
		.amdhsa_user_sgpr_kernarg_preload_offset 0
		.amdhsa_user_sgpr_private_segment_size 0
		.amdhsa_uses_dynamic_stack 0
		.amdhsa_enable_private_segment 0
		.amdhsa_system_sgpr_workgroup_id_x 1
		.amdhsa_system_sgpr_workgroup_id_y 1
		.amdhsa_system_sgpr_workgroup_id_z 1
		.amdhsa_system_sgpr_workgroup_info 0
		.amdhsa_system_vgpr_workitem_id 0
		.amdhsa_next_free_vgpr 82
		.amdhsa_next_free_sgpr 48
		.amdhsa_accum_offset 84
		.amdhsa_reserve_vcc 1
		.amdhsa_float_round_mode_32 0
		.amdhsa_float_round_mode_16_64 0
		.amdhsa_float_denorm_mode_32 3
		.amdhsa_float_denorm_mode_16_64 3
		.amdhsa_dx10_clamp 1
		.amdhsa_ieee_mode 1
		.amdhsa_fp16_overflow 0
		.amdhsa_tg_split 0
		.amdhsa_exception_fp_ieee_invalid_op 0
		.amdhsa_exception_fp_denorm_src 0
		.amdhsa_exception_fp_ieee_div_zero 0
		.amdhsa_exception_fp_ieee_overflow 0
		.amdhsa_exception_fp_ieee_underflow 0
		.amdhsa_exception_fp_ieee_inexact 0
		.amdhsa_exception_int_div_zero 0
	.end_amdhsa_kernel
	.section	.text._Z39paged_attention_ll4mi_QKV_mfma16_kernelI14__hip_bfloat16hLN4vllm18Fp8KVCacheDataTypeE1ES0_Li16ELi128ELi256ELb1ELi4EEvPKT_PKT0_S8_ifPKiSA_SA_iPKfiiiPfSD_PS3_PT2_iSC_SC_,"axG",@progbits,_Z39paged_attention_ll4mi_QKV_mfma16_kernelI14__hip_bfloat16hLN4vllm18Fp8KVCacheDataTypeE1ES0_Li16ELi128ELi256ELb1ELi4EEvPKT_PKT0_S8_ifPKiSA_SA_iPKfiiiPfSD_PS3_PT2_iSC_SC_,comdat
.Lfunc_end1307:
	.size	_Z39paged_attention_ll4mi_QKV_mfma16_kernelI14__hip_bfloat16hLN4vllm18Fp8KVCacheDataTypeE1ES0_Li16ELi128ELi256ELb1ELi4EEvPKT_PKT0_S8_ifPKiSA_SA_iPKfiiiPfSD_PS3_PT2_iSC_SC_, .Lfunc_end1307-_Z39paged_attention_ll4mi_QKV_mfma16_kernelI14__hip_bfloat16hLN4vllm18Fp8KVCacheDataTypeE1ES0_Li16ELi128ELi256ELb1ELi4EEvPKT_PKT0_S8_ifPKiSA_SA_iPKfiiiPfSD_PS3_PT2_iSC_SC_
                                        ; -- End function
	.section	.AMDGPU.csdata,"",@progbits
; Kernel info:
; codeLenInByte = 6500
; NumSgprs: 54
; NumVgprs: 82
; NumAgprs: 0
; TotalNumVgprs: 82
; ScratchSize: 0
; MemoryBound: 0
; FloatMode: 240
; IeeeMode: 1
; LDSByteSize: 8192 bytes/workgroup (compile time only)
; SGPRBlocks: 6
; VGPRBlocks: 10
; NumSGPRsForWavesPerEU: 54
; NumVGPRsForWavesPerEU: 82
; AccumOffset: 84
; Occupancy: 5
; WaveLimiterHint : 1
; COMPUTE_PGM_RSRC2:SCRATCH_EN: 0
; COMPUTE_PGM_RSRC2:USER_SGPR: 2
; COMPUTE_PGM_RSRC2:TRAP_HANDLER: 0
; COMPUTE_PGM_RSRC2:TGID_X_EN: 1
; COMPUTE_PGM_RSRC2:TGID_Y_EN: 1
; COMPUTE_PGM_RSRC2:TGID_Z_EN: 1
; COMPUTE_PGM_RSRC2:TIDIG_COMP_CNT: 0
; COMPUTE_PGM_RSRC3_GFX90A:ACCUM_OFFSET: 20
; COMPUTE_PGM_RSRC3_GFX90A:TG_SPLIT: 0
	.section	.text._Z38paged_attention_ll4mi_QKV_mfma4_kernelI14__hip_bfloat16hLN4vllm18Fp8KVCacheDataTypeE1ES0_Li16ELi128ELi256ELb0ELi1EEvPKT_PKT0_S8_ifPKiSA_SA_iPKfiiiPfSD_PS3_PT2_iSC_SC_,"axG",@progbits,_Z38paged_attention_ll4mi_QKV_mfma4_kernelI14__hip_bfloat16hLN4vllm18Fp8KVCacheDataTypeE1ES0_Li16ELi128ELi256ELb0ELi1EEvPKT_PKT0_S8_ifPKiSA_SA_iPKfiiiPfSD_PS3_PT2_iSC_SC_,comdat
	.protected	_Z38paged_attention_ll4mi_QKV_mfma4_kernelI14__hip_bfloat16hLN4vllm18Fp8KVCacheDataTypeE1ES0_Li16ELi128ELi256ELb0ELi1EEvPKT_PKT0_S8_ifPKiSA_SA_iPKfiiiPfSD_PS3_PT2_iSC_SC_ ; -- Begin function _Z38paged_attention_ll4mi_QKV_mfma4_kernelI14__hip_bfloat16hLN4vllm18Fp8KVCacheDataTypeE1ES0_Li16ELi128ELi256ELb0ELi1EEvPKT_PKT0_S8_ifPKiSA_SA_iPKfiiiPfSD_PS3_PT2_iSC_SC_
	.globl	_Z38paged_attention_ll4mi_QKV_mfma4_kernelI14__hip_bfloat16hLN4vllm18Fp8KVCacheDataTypeE1ES0_Li16ELi128ELi256ELb0ELi1EEvPKT_PKT0_S8_ifPKiSA_SA_iPKfiiiPfSD_PS3_PT2_iSC_SC_
	.p2align	8
	.type	_Z38paged_attention_ll4mi_QKV_mfma4_kernelI14__hip_bfloat16hLN4vllm18Fp8KVCacheDataTypeE1ES0_Li16ELi128ELi256ELb0ELi1EEvPKT_PKT0_S8_ifPKiSA_SA_iPKfiiiPfSD_PS3_PT2_iSC_SC_,@function
_Z38paged_attention_ll4mi_QKV_mfma4_kernelI14__hip_bfloat16hLN4vllm18Fp8KVCacheDataTypeE1ES0_Li16ELi128ELi256ELb0ELi1EEvPKT_PKT0_S8_ifPKiSA_SA_iPKfiiiPfSD_PS3_PT2_iSC_SC_: ; @_Z38paged_attention_ll4mi_QKV_mfma4_kernelI14__hip_bfloat16hLN4vllm18Fp8KVCacheDataTypeE1ES0_Li16ELi128ELi256ELb0ELi1EEvPKT_PKT0_S8_ifPKiSA_SA_iPKfiiiPfSD_PS3_PT2_iSC_SC_
; %bb.0:
	s_load_dwordx2 s[20:21], s[0:1], 0x30
	s_mov_b32 s24, s3
	s_mov_b64 s[6:7], 0
	s_waitcnt lgkmcnt(0)
	s_cmp_lg_u64 s[20:21], 0
	s_cselect_b64 s[22:23], -1, 0
	s_and_b64 vcc, exec, s[22:23]
	s_cbranch_vccz .LBB1308_10
; %bb.1:
	s_add_i32 s8, s2, 1
	s_mov_b32 s9, 0
	s_lshl_b64 s[10:11], s[8:9], 2
	s_add_u32 s10, s20, s10
	s_mov_b32 s3, s9
	s_addc_u32 s11, s21, s11
	s_lshl_b64 s[8:9], s[2:3], 2
	s_add_u32 s8, s20, s8
	s_addc_u32 s9, s21, s9
	s_load_dword s5, s[10:11], 0x0
	s_load_dword s12, s[8:9], 0x0
	s_waitcnt lgkmcnt(0)
	s_sub_i32 s5, s5, s12
	s_cmp_eq_u32 s5, 1
	s_cselect_b64 s[8:9], -1, 0
	s_andn2_b64 vcc, exec, s[6:7]
	s_cbranch_vccnz .LBB1308_3
.LBB1308_2:
	s_mov_b32 s3, 0
	s_mov_b64 s[8:9], -1
.LBB1308_3:
	s_andn2_b64 vcc, exec, s[8:9]
	s_cbranch_vccnz .LBB1308_25
; %bb.4:
	s_load_dword s5, s[0:1], 0x9c
	s_load_dwordx2 s[6:7], s[0:1], 0x28
	s_add_u32 s28, s0, 0x90
	s_addc_u32 s29, s1, 0
	s_lshl_b64 s[34:35], s[2:3], 2
	s_waitcnt lgkmcnt(0)
	s_and_b32 s5, s5, 0xffff
	s_add_u32 s6, s6, s34
	s_addc_u32 s7, s7, s35
	s_load_dword s3, s[6:7], 0x0
	s_mul_i32 s10, s24, s5
	s_waitcnt lgkmcnt(0)
	s_cmp_ge_i32 s10, s3
	s_cbranch_scc1 .LBB1308_25
; %bb.5:
	v_and_b32_e32 v1, 0xc0, v0
	v_add_u32_e32 v4, s10, v1
	v_lshrrev_b32_e32 v38, 6, v0
	v_cmp_le_i32_e64 s[6:7], s3, v4
                                        ; implicit-def: $sgpr25
                                        ; implicit-def: $sgpr11
	s_and_saveexec_b64 s[8:9], s[6:7]
	s_xor_b64 s[8:9], exec, s[8:9]
	s_cbranch_execz .LBB1308_7
; %bb.6:
	v_mul_u32_u24_e32 v1, 20, v38
	v_or_b32_e32 v1, 0x1400, v1
	v_mov_b32_e32 v2, 0x1450
	v_mov_b32_e32 v3, 0xff7fffff
	v_mad_u32_u24 v2, v38, 20, v2
	ds_write2_b32 v1, v3, v3 offset1:1
	v_mov_b32_e32 v1, 0
	ds_write2_b32 v2, v1, v1 offset1:1
	v_mov_b32_e32 v2, 0x1408
	v_mov_b32_e32 v4, 0x1458
	s_mov_b32 s11, 0xff7fffff
	s_mov_b32 s25, 0
	v_mad_u32_u24 v2, v38, 20, v2
	v_mad_u32_u24 v4, v38, 20, v4
	ds_write2_b32 v2, v3, v3 offset1:1
	ds_write2_b32 v4, v1, v1 offset1:1
                                        ; implicit-def: $vgpr4
.LBB1308_7:
	s_or_saveexec_b64 s[30:31], s[8:9]
	s_load_dwordx2 s[26:27], s[0:1], 0x68
	s_load_dwordx4 s[16:19], s[0:1], 0x58
	s_load_dword s5, s[28:29], 0x4
	s_load_dwordx4 s[12:15], s[0:1], 0x80
	v_and_b32_e32 v1, 63, v0
	v_and_b32_e32 v39, 3, v0
	v_mov_b32_e32 v37, s25
	v_mov_b32_e32 v41, s11
	;; [unrolled: 1-line block ×5, first 2 shown]
                                        ; implicit-def: $vgpr18_vgpr19
                                        ; implicit-def: $vgpr22_vgpr23
                                        ; implicit-def: $vgpr26_vgpr27
                                        ; implicit-def: $vgpr30_vgpr31
                                        ; implicit-def: $vgpr2_vgpr3
                                        ; implicit-def: $vgpr6_vgpr7
                                        ; implicit-def: $vgpr10_vgpr11
                                        ; implicit-def: $vgpr14_vgpr15
	s_xor_b64 exec, exec, s[30:31]
	s_cbranch_execz .LBB1308_17
; %bb.8:
	s_load_dwordx2 s[8:9], s[0:1], 0x20
	s_load_dword s11, s[0:1], 0x38
	s_add_i32 s25, s3, 15
	s_ashr_i32 s33, s25, 31
	s_lshr_b32 s33, s33, 28
	v_add_u32_e32 v36, s10, v0
	s_add_i32 s25, s25, s33
	v_ashrrev_i32_e32 v2, 31, v36
	s_ashr_i32 s25, s25, 4
	v_lshrrev_b32_e32 v2, 28, v2
	s_add_i32 s25, s25, -1
	s_waitcnt lgkmcnt(0)
	s_mul_i32 s36, s2, s11
	s_mov_b32 s37, 0
	v_add_u32_e32 v2, v36, v2
	s_lshl_b64 s[36:37], s[36:37], 2
	v_ashrrev_i32_e32 v2, 4, v2
	v_mov_b32_e32 v3, s25
	v_cmp_gt_i32_e32 vcc, s3, v36
	s_add_u32 s8, s8, s36
	s_addc_u32 s9, s9, s37
	v_cndmask_b32_e32 v2, v3, v2, vcc
	v_ashrrev_i32_e32 v3, 31, v2
	v_lshl_add_u64 v[10:11], v[2:3], 2, s[8:9]
	v_ashrrev_i32_e32 v2, 31, v4
	v_lshrrev_b32_e32 v2, 28, v2
	v_add_u32_e32 v2, v4, v2
	v_ashrrev_i32_e32 v6, 4, v2
	v_min_i32_e32 v2, s25, v6
	v_ashrrev_i32_e32 v3, 31, v2
	v_lshl_add_u64 v[4:5], v[2:3], 2, s[8:9]
	v_add_u32_e32 v2, 1, v6
	v_min_i32_e32 v2, s25, v2
	v_ashrrev_i32_e32 v3, 31, v2
	v_lshl_add_u64 v[12:13], v[2:3], 2, s[8:9]
	v_add_u32_e32 v2, 2, v6
	;; [unrolled: 4-line block ×3, first 2 shown]
	v_min_i32_e32 v2, s25, v2
	v_ashrrev_i32_e32 v3, 31, v2
	v_lshl_add_u64 v[16:17], v[2:3], 2, s[8:9]
	global_load_dword v2, v[10:11], off
	global_load_dword v6, v[4:5], off
	;; [unrolled: 1-line block ×5, first 2 shown]
	s_load_dwordx4 s[8:11], s[0:1], 0x8
	s_andn2_b64 vcc, exec, s[22:23]
	s_cbranch_vccnz .LBB1308_11
; %bb.9:
	s_add_u32 s20, s20, s34
	s_addc_u32 s21, s21, s35
	s_load_dword s25, s[20:21], 0x0
	s_branch .LBB1308_12
.LBB1308_10:
	s_mov_b64 s[8:9], 0
	s_branch .LBB1308_2
.LBB1308_11:
	s_mov_b32 s25, s2
.LBB1308_12:
	s_load_dwordx4 s[20:23], s[0:1], 0x48
	v_cmp_eq_u32_e32 vcc, 0, v39
	s_mov_b32 s37, 0
	v_mov_b32_e32 v37, 0
	v_mov_b32_e32 v3, 0
	v_mov_b32_e32 v14, 0
	v_mov_b32_e32 v15, 0
	v_mov_b32_e32 v16, 0
	v_mov_b32_e32 v17, 0
	s_and_saveexec_b64 s[34:35], vcc
	s_cbranch_execz .LBB1308_14
; %bb.13:
	s_load_dwordx2 s[38:39], s[0:1], 0x0
	s_waitcnt lgkmcnt(0)
	s_ashr_i32 s23, s20, 31
	s_mul_hi_u32 s33, s25, s20
	s_mul_i32 s23, s25, s23
	s_add_i32 s41, s33, s23
	s_mul_i32 s40, s25, s20
	s_lshl_b64 s[40:41], s[40:41], 1
	s_add_u32 s20, s38, s40
	s_addc_u32 s23, s39, s41
	s_lshl_b32 s36, s4, 7
	s_lshl_b64 s[36:37], s[36:37], 1
	s_add_u32 s36, s20, s36
	s_addc_u32 s37, s23, s37
	v_lshlrev_b32_e32 v4, 2, v1
	global_load_dwordx4 v[14:17], v4, s[36:37]
	v_mov_b32_e32 v37, 1.0
.LBB1308_14:
	s_or_b64 exec, exec, s[34:35]
	s_waitcnt lgkmcnt(0)
	s_mul_i32 s20, s4, s22
	s_add_u32 s8, s20, s8
	s_addc_u32 s9, 0, s9
	v_mov_b64_e32 v[4:5], s[8:9]
	s_waitcnt vmcnt(4)
	v_mad_i64_i32 v[4:5], s[8:9], v2, s21, v[4:5]
	v_lshlrev_b32_e32 v2, 4, v0
	v_and_b32_e32 v2, 0xf0, v2
	v_lshl_add_u64 v[4:5], v[4:5], 0, v[2:3]
	global_load_dwordx4 v[10:13], v[4:5], off
	global_load_dwordx4 v[18:21], v[4:5], off offset:256
	s_waitcnt vmcnt(5)
	v_mul_hi_i32 v2, v6, s21
	s_waitcnt vmcnt(4)
	v_mul_hi_i32 v22, v7, s21
	;; [unrolled: 2-line block ×4, first 2 shown]
	v_ashrrev_i32_e32 v2, 31, v2
	v_ashrrev_i32_e32 v22, 31, v22
	;; [unrolled: 1-line block ×4, first 2 shown]
	v_mov_b32_e32 v23, v3
	v_mov_b32_e32 v25, v3
	v_mov_b32_e32 v27, v3
	v_lshrrev_b32_e32 v22, 29, v22
	v_lshrrev_b32_e32 v24, 29, v24
	;; [unrolled: 1-line block ×4, first 2 shown]
	s_add_u32 s10, s10, s20
	v_mad_i64_i32 v[22:23], s[22:23], v7, s21, v[22:23]
	v_mad_i64_i32 v[24:25], s[22:23], v8, s21, v[24:25]
	;; [unrolled: 1-line block ×4, first 2 shown]
	s_addc_u32 s11, s11, 0
	v_and_b32_e32 v22, -8, v22
	v_and_b32_e32 v24, -8, v24
	;; [unrolled: 1-line block ×4, first 2 shown]
	v_lshl_add_u64 v[22:23], s[10:11], 0, v[22:23]
	v_lshl_add_u64 v[24:25], s[10:11], 0, v[24:25]
	;; [unrolled: 1-line block ×3, first 2 shown]
	v_lshlrev_b32_e32 v2, 4, v1
	v_lshl_add_u64 v[6:7], s[10:11], 0, v[6:7]
	v_lshl_add_u64 v[48:49], v[22:23], 0, v[2:3]
	;; [unrolled: 1-line block ×5, first 2 shown]
	s_mov_b32 s8, 0x7060302
	s_load_dword s0, s[0:1], 0x1c
	v_cmp_eq_u32_e32 vcc, 1, v39
	s_load_dword s1, s[12:13], 0x0
	s_waitcnt vmcnt(1)
	v_cvt_pk_f32_fp8_e32 v[6:7], v10
	v_cvt_pk_f32_fp8_sdwa v[8:9], v10 src0_sel:WORD_1
	v_cvt_pk_f32_fp8_e32 v[22:23], v11
	v_cvt_pk_f32_fp8_sdwa v[10:11], v11 src0_sel:WORD_1
	v_perm_b32 v54, v7, v6, s8
	v_perm_b32 v55, v9, v8, s8
	global_load_dwordx4 v[6:9], v[4:5], off offset:512
	v_cvt_pk_f32_fp8_e32 v[24:25], v12
	v_cvt_pk_f32_fp8_sdwa v[26:27], v12 src0_sel:WORD_1
	v_cvt_pk_f32_fp8_e32 v[28:29], v13
	v_cvt_pk_f32_fp8_sdwa v[30:31], v13 src0_sel:WORD_1
	v_perm_b32 v22, v23, v22, s8
	v_perm_b32 v23, v11, v10, s8
	global_load_dwordx4 v[10:13], v[4:5], off offset:768
	v_perm_b32 v24, v25, v24, s8
	v_perm_b32 v25, v27, v26, s8
	v_perm_b32 v56, v29, v28, s8
	global_load_dwordx4 v[26:29], v[4:5], off offset:1024
	s_waitcnt vmcnt(3)
	v_cvt_pk_f32_fp8_e32 v[32:33], v18
	v_perm_b32 v57, v31, v30, s8
	v_cvt_pk_f32_fp8_sdwa v[40:41], v18 src0_sel:WORD_1
	v_cvt_pk_f32_fp8_e32 v[42:43], v19
	v_perm_b32 v58, v33, v32, s8
	global_load_dwordx4 v[30:33], v[4:5], off offset:1280
	v_perm_b32 v59, v41, v40, s8
	v_perm_b32 v60, v43, v42, s8
	global_load_dwordx4 v[40:43], v[4:5], off offset:1536
	v_cvt_pk_f32_fp8_e32 v[44:45], v20
	v_cvt_pk_f32_fp8_sdwa v[46:47], v20 src0_sel:WORD_1
	v_mfma_f32_4x4x4_16b_bf16 a[0:3], v[14:15], v[54:55], 0 cbsz:4
	v_cvt_pk_f32_fp8_sdwa v[18:19], v19 src0_sel:WORD_1
	v_perm_b32 v62, v45, v44, s8
	v_perm_b32 v63, v47, v46, s8
	global_load_dwordx4 v[44:47], v[4:5], off offset:1792
	v_mfma_f32_4x4x4_16b_bf16 a[0:3], v[16:17], v[22:23], a[0:3] cbsz:4
	v_cvt_pk_f32_fp8_e32 v[52:53], v21
	v_cvt_pk_f32_fp8_sdwa v[20:21], v21 src0_sel:WORD_1
	v_mfma_f32_4x4x4_16b_bf16 a[0:3], v[14:15], v[24:25], a[0:3] cbsz:4 abid:1
	v_perm_b32 v61, v19, v18, s8
	v_perm_b32 v52, v53, v52, s8
	v_mfma_f32_4x4x4_16b_bf16 a[0:3], v[16:17], v[56:57], a[0:3] cbsz:4 abid:1
	v_perm_b32 v53, v21, v20, s8
	s_waitcnt vmcnt(5)
	v_cvt_pk_f32_fp8_e32 v[18:19], v6
	v_mfma_f32_4x4x4_16b_bf16 a[0:3], v[14:15], v[58:59], a[0:3] cbsz:4 abid:2
	v_cvt_pk_f32_fp8_sdwa v[20:21], v6 src0_sel:WORD_1
	v_cvt_pk_f32_fp8_e32 v[24:25], v7
	v_mfma_f32_4x4x4_16b_bf16 a[0:3], v[16:17], v[60:61], a[0:3] cbsz:4 abid:2
	v_cvt_pk_f32_fp8_sdwa v[6:7], v7 src0_sel:WORD_1
	v_perm_b32 v22, v19, v18, s8
	v_mfma_f32_4x4x4_16b_bf16 a[0:3], v[14:15], v[62:63], a[0:3] cbsz:4 abid:3
	v_perm_b32 v23, v21, v20, s8
	v_perm_b32 v24, v25, v24, s8
	v_mfma_f32_4x4x4_16b_bf16 a[0:3], v[16:17], v[52:53], a[0:3] cbsz:4 abid:3
	v_perm_b32 v25, v7, v6, s8
	v_cvt_pk_f32_fp8_sdwa v[6:7], v8 src0_sel:WORD_1
	v_mfma_f32_4x4x4_16b_bf16 a[0:3], v[14:15], v[22:23], a[0:3] cbsz:4 abid:4
	v_cvt_pk_f32_fp8_e32 v[22:23], v8
	s_waitcnt vmcnt(4)
	v_cvt_pk_f32_fp8_e32 v[52:53], v11
	v_mfma_f32_4x4x4_16b_bf16 a[0:3], v[16:17], v[24:25], a[0:3] cbsz:4 abid:4
	v_cvt_pk_f32_fp8_e32 v[24:25], v9
	v_cvt_pk_f32_fp8_sdwa v[8:9], v9 src0_sel:WORD_1
	v_perm_b32 v22, v23, v22, s8
	v_perm_b32 v23, v7, v6, s8
	;; [unrolled: 1-line block ×4, first 2 shown]
	v_mfma_f32_4x4x4_16b_bf16 a[0:3], v[14:15], v[22:23], a[0:3] cbsz:4 abid:5
	v_cvt_pk_f32_fp8_e32 v[8:9], v10
	v_cvt_pk_f32_fp8_e32 v[54:55], v13
	v_mfma_f32_4x4x4_16b_bf16 a[0:3], v[16:17], v[6:7], a[0:3] cbsz:4 abid:5
	v_cvt_pk_f32_fp8_sdwa v[6:7], v10 src0_sel:WORD_1
	v_cvt_pk_f32_fp8_sdwa v[10:11], v11 src0_sel:WORD_1
	v_perm_b32 v8, v9, v8, s8
	global_load_dwordx4 v[18:21], v[2:3], off
	v_perm_b32 v9, v7, v6, s8
	v_perm_b32 v6, v53, v52, s8
	;; [unrolled: 1-line block ×3, first 2 shown]
	v_cvt_pk_f32_fp8_e32 v[10:11], v12
	v_cvt_pk_f32_fp8_sdwa v[52:53], v12 src0_sel:WORD_1
	v_mfma_f32_4x4x4_16b_bf16 a[0:3], v[14:15], v[8:9], a[0:3] cbsz:4 abid:6
	v_cvt_pk_f32_fp8_sdwa v[12:13], v13 src0_sel:WORD_1
	v_perm_b32 v10, v11, v10, s8
	v_mfma_f32_4x4x4_16b_bf16 a[0:3], v[16:17], v[6:7], a[0:3] cbsz:4 abid:6
	v_perm_b32 v11, v53, v52, s8
	global_load_dwordx4 v[2:5], v[2:3], off offset:1024
	s_waitcnt vmcnt(5)
	v_cvt_pk_f32_fp8_sdwa v[52:53], v29 src0_sel:WORD_1
	global_load_dwordx4 v[22:25], v[48:49], off
	global_load_dwordx4 v[6:9], v[48:49], off offset:1024
	v_mfma_f32_4x4x4_16b_bf16 a[0:3], v[14:15], v[10:11], a[0:3] cbsz:4 abid:7
	v_perm_b32 v49, v13, v12, s8
	v_cvt_pk_f32_fp8_e32 v[10:11], v26
	v_cvt_pk_f32_fp8_sdwa v[12:13], v26 src0_sel:WORD_1
	v_perm_b32 v48, v55, v54, s8
	v_perm_b32 v10, v11, v10, s8
	s_nop 0
	v_mfma_f32_4x4x4_16b_bf16 a[0:3], v[16:17], v[48:49], a[0:3] cbsz:4 abid:7
	v_cvt_pk_f32_fp8_e32 v[48:49], v27
	v_cvt_pk_f32_fp8_sdwa v[26:27], v27 src0_sel:WORD_1
	v_perm_b32 v11, v13, v12, s8
	v_perm_b32 v12, v49, v48, s8
	s_nop 0
	v_mfma_f32_4x4x4_16b_bf16 a[0:3], v[14:15], v[10:11], a[0:3] cbsz:4 abid:8
	v_perm_b32 v13, v27, v26, s8
	v_cvt_pk_f32_fp8_e32 v[10:11], v28
	v_cvt_pk_f32_fp8_e32 v[48:49], v29
	v_mfma_f32_4x4x4_16b_bf16 a[0:3], v[16:17], v[12:13], a[0:3] cbsz:4 abid:8
	v_cvt_pk_f32_fp8_sdwa v[12:13], v28 src0_sel:WORD_1
	v_perm_b32 v10, v11, v10, s8
	global_load_dwordx4 v[26:29], v[50:51], off
	v_perm_b32 v11, v13, v12, s8
	v_perm_b32 v12, v49, v48, s8
	s_nop 0
	v_mfma_f32_4x4x4_16b_bf16 a[0:3], v[14:15], v[10:11], a[0:3] cbsz:4 abid:9
	v_perm_b32 v13, v53, v52, s8
	s_waitcnt vmcnt(7)
	v_cvt_pk_f32_fp8_e32 v[10:11], v30
	v_cvt_pk_f32_fp8_e32 v[48:49], v31
	v_mfma_f32_4x4x4_16b_bf16 a[0:3], v[16:17], v[12:13], a[0:3] cbsz:4 abid:9
	v_cvt_pk_f32_fp8_sdwa v[12:13], v30 src0_sel:WORD_1
	v_cvt_pk_f32_fp8_sdwa v[30:31], v31 src0_sel:WORD_1
	v_perm_b32 v52, v11, v10, s8
	v_perm_b32 v48, v49, v48, s8
	;; [unrolled: 1-line block ×3, first 2 shown]
	global_load_dwordx4 v[10:13], v[50:51], off offset:1024
	v_perm_b32 v49, v31, v30, s8
	v_mfma_f32_4x4x4_16b_bf16 a[0:3], v[14:15], v[52:53], a[0:3] cbsz:4 abid:10
	v_cvt_pk_f32_fp8_e32 v[30:31], v32
	v_cvt_pk_f32_fp8_e32 v[50:51], v33
	v_mfma_f32_4x4x4_16b_bf16 a[0:3], v[16:17], v[48:49], a[0:3] cbsz:4 abid:10
	v_cvt_pk_f32_fp8_sdwa v[48:49], v32 src0_sel:WORD_1
	v_cvt_pk_f32_fp8_sdwa v[32:33], v33 src0_sel:WORD_1
	v_perm_b32 v30, v31, v30, s8
	v_perm_b32 v31, v49, v48, s8
	v_perm_b32 v49, v33, v32, s8
	s_nop 0
	v_mfma_f32_4x4x4_16b_bf16 a[0:3], v[14:15], v[30:31], a[0:3] cbsz:4 abid:11
	s_waitcnt vmcnt(7)
	v_cvt_pk_f32_fp8_e32 v[30:31], v40
	v_cvt_pk_f32_fp8_sdwa v[32:33], v40 src0_sel:WORD_1
	v_perm_b32 v48, v51, v50, s8
	v_perm_b32 v30, v31, v30, s8
	s_nop 0
	v_mfma_f32_4x4x4_16b_bf16 a[0:3], v[16:17], v[48:49], a[0:3] cbsz:4 abid:11
	v_cvt_pk_f32_fp8_e32 v[48:49], v41
	v_cvt_pk_f32_fp8_sdwa v[40:41], v41 src0_sel:WORD_1
	v_perm_b32 v31, v33, v32, s8
	v_perm_b32 v32, v49, v48, s8
	s_nop 0
	v_mfma_f32_4x4x4_16b_bf16 a[0:3], v[14:15], v[30:31], a[0:3] cbsz:4 abid:12
	v_perm_b32 v33, v41, v40, s8
	v_cvt_pk_f32_fp8_e32 v[30:31], v42
	v_cvt_pk_f32_fp8_e32 v[40:41], v43
	v_mfma_f32_4x4x4_16b_bf16 a[0:3], v[16:17], v[32:33], a[0:3] cbsz:4 abid:12
	v_cvt_pk_f32_fp8_sdwa v[32:33], v42 src0_sel:WORD_1
	v_cvt_pk_f32_fp8_sdwa v[42:43], v43 src0_sel:WORD_1
	v_perm_b32 v30, v31, v30, s8
	v_perm_b32 v31, v33, v32, s8
	;; [unrolled: 1-line block ×3, first 2 shown]
	s_nop 0
	v_mfma_f32_4x4x4_16b_bf16 a[0:3], v[14:15], v[30:31], a[0:3] cbsz:4 abid:13
	v_perm_b32 v33, v43, v42, s8
	s_waitcnt vmcnt(6)
	v_cvt_pk_f32_fp8_e32 v[30:31], v44
	v_cvt_pk_f32_fp8_e32 v[40:41], v45
	v_mfma_f32_4x4x4_16b_bf16 a[0:3], v[16:17], v[32:33], a[0:3] cbsz:4 abid:13
	v_cvt_pk_f32_fp8_sdwa v[32:33], v44 src0_sel:WORD_1
	v_cvt_pk_f32_fp8_sdwa v[42:43], v45 src0_sel:WORD_1
	v_perm_b32 v30, v31, v30, s8
	v_perm_b32 v31, v33, v32, s8
	;; [unrolled: 1-line block ×3, first 2 shown]
	s_nop 0
	v_mfma_f32_4x4x4_16b_bf16 a[0:3], v[14:15], v[30:31], a[0:3] cbsz:4 abid:14
	v_cvt_pk_f32_fp8_e32 v[30:31], v46
	v_cvt_pk_f32_fp8_sdwa v[40:41], v46 src0_sel:WORD_1
	v_perm_b32 v33, v43, v42, s8
	v_perm_b32 v30, v31, v30, s8
	s_nop 0
	v_mfma_f32_4x4x4_16b_bf16 a[0:3], v[16:17], v[32:33], a[0:3] cbsz:4 abid:14
	v_cvt_pk_f32_fp8_e32 v[32:33], v47
	v_perm_b32 v31, v41, v40, s8
	v_cvt_pk_f32_fp8_sdwa v[40:41], v47 src0_sel:WORD_1
	v_perm_b32 v32, v33, v32, s8
	v_mfma_f32_4x4x4_16b_bf16 a[0:3], v[14:15], v[30:31], a[0:3] cbsz:4 abid:15
	v_perm_b32 v33, v41, v40, s8
	s_waitcnt lgkmcnt(0)
	v_mov_b32_e32 v14, s0
	v_mul_f32_e32 v40, s1, v14
	v_mfma_f32_4x4x4_16b_bf16 a[0:3], v[16:17], v[32:33], a[0:3] cbsz:4 abid:15
	s_nop 4
	v_accvgpr_read_b32 v15, a1
	v_accvgpr_read_b32 v14, a0
	v_pk_mul_f32 v[42:43], v[14:15], v[40:41] op_sel_hi:[1,0]
	global_load_dwordx4 v[30:33], v[34:35], off
	global_load_dwordx4 v[14:17], v[34:35], off offset:1024
	v_accvgpr_read_b32 v35, a3
	v_accvgpr_read_b32 v34, a2
	v_pk_mul_f32 v[34:35], v[34:35], v[40:41] op_sel_hi:[1,0]
	v_mfma_f32_4x4x1_16b_f32 a[0:3], v42, v37, 0
	v_cndmask_b32_e64 v37, 0, 1.0, vcc
	v_cmp_eq_u32_e32 vcc, 2, v39
	v_mov_b32_e32 v41, 0xff7fffff
	v_mfma_f32_4x4x1_16b_f32 a[0:3], v43, v37, a[0:3]
	v_cndmask_b32_e64 v37, 0, 1.0, vcc
	v_cmp_eq_u32_e32 vcc, 3, v39
	s_nop 0
	v_mfma_f32_4x4x1_16b_f32 a[0:3], v34, v37, a[0:3]
	v_cndmask_b32_e64 v34, 0, 1.0, vcc
	s_nop 1
	v_mfma_f32_4x4x1_16b_f32 a[0:3], v35, v34, a[0:3]
	v_and_b32_e32 v34, -4, v36
	v_cmp_gt_i32_e32 vcc, s3, v34
	v_or_b32_e32 v36, 3, v36
	v_cmp_gt_i32_e64 s[10:11], s3, v36
	v_accvgpr_read_b32 v37, a0
	v_max_f32_e32 v40, v37, v37
	v_max_f32_e32 v40, 0xff7fffff, v40
	v_accvgpr_read_b32 v42, a1
	v_cndmask_b32_e32 v40, v41, v40, vcc
	v_or_b32_e32 v41, 1, v34
	v_max_f32_e32 v43, v42, v42
	v_max_f32_e32 v43, v40, v43
	v_cmp_gt_i32_e64 s[0:1], s3, v41
	v_or_b32_e32 v34, 2, v34
	v_cmp_gt_i32_e64 s[8:9], s3, v34
	v_cndmask_b32_e64 v40, v40, v43, s[0:1]
	v_accvgpr_read_b32 v43, a2
	v_max_f32_e32 v41, v43, v43
	v_max_f32_e32 v41, v40, v41
	v_cndmask_b32_e64 v34, v40, v41, s[8:9]
	v_accvgpr_read_b32 v40, a3
	v_max_f32_e32 v41, v40, v40
	v_max_f32_e32 v41, v34, v41
	v_lshlrev_b32_e32 v35, 2, v0
	v_cndmask_b32_e64 v34, v34, v41, s[10:11]
	v_and_or_b32 v35, v35, 48, v39
	;;#ASMSTART
	v_nop
 v_nop
 v_max_f32_dpp v34, v34, v34 row_ror:4
	;;#ASMEND
	v_lshlrev_b32_e32 v44, 2, v35
	;;#ASMSTART
	v_nop
 v_nop
 v_max_f32_dpp v34, v34, v34 row_ror:8
	;;#ASMEND
	ds_bpermute_b32 v34, v44, v34
	s_waitcnt lgkmcnt(0)
	;;#ASMSTART
	v_nop
 v_nop
 v_max_f32_dpp v34, v34, v34 row_ror:4
	;;#ASMEND
	s_nop 0
	;;#ASMSTART
	v_nop
 v_nop
 v_max_f32_dpp v41, v34, v34 row_ror:8
	;;#ASMEND
	s_nop 0
	v_sub_f32_e32 v34, v37, v41
	v_mul_f32_e32 v34, 0x3fb8aa3b, v34
	v_sub_f32_e32 v35, v42, v41
	v_exp_f32_e32 v34, v34
	v_mul_f32_e32 v35, 0x3fb8aa3b, v35
	v_sub_f32_e32 v37, v43, v41
	v_exp_f32_e32 v35, v35
	;; [unrolled: 3-line block ×3, first 2 shown]
	v_mul_f32_e32 v40, 0x3fb8aa3b, v40
	v_exp_f32_e32 v40, v40
	v_cndmask_b32_e32 v34, 0, v34, vcc
	v_add_f32_e32 v36, 0, v34
	v_cndmask_b32_e64 v35, 0, v35, s[0:1]
	v_add_f32_e32 v42, v36, v35
	v_cndmask_b32_e64 v36, 0, v37, s[8:9]
	;; [unrolled: 2-line block ×3, first 2 shown]
	v_add_f32_e32 v40, v42, v37
	;;#ASMSTART
	v_nop
 v_nop
 v_add_f32_dpp v40, v40, v40 row_ror:4
	;;#ASMEND
	v_cmp_gt_u32_e32 vcc, 4, v1
	;;#ASMSTART
	v_nop
 v_nop
 v_add_f32_dpp v40, v40, v40 row_ror:8
	;;#ASMEND
	ds_bpermute_b32 v40, v44, v40
	s_waitcnt lgkmcnt(0)
	;;#ASMSTART
	v_nop
 v_nop
 v_add_f32_dpp v40, v40, v40 row_ror:4
	;;#ASMEND
	s_nop 0
	;;#ASMSTART
	v_nop
 v_nop
 v_add_f32_dpp v40, v40, v40 row_ror:8
	;;#ASMEND
	s_and_saveexec_b64 s[0:1], vcc
	s_cbranch_execz .LBB1308_16
; %bb.15:
	v_mul_u32_u24_e32 v42, 20, v38
	v_lshl_add_u32 v42, v39, 2, v42
	v_add_u32_e32 v42, 0x1400, v42
	ds_write2_b32 v42, v41, v40 offset1:20
.LBB1308_16:
	s_or_b64 exec, exec, s[0:1]
.LBB1308_17:
	s_or_b64 exec, exec, s[30:31]
	s_waitcnt lgkmcnt(0)
	s_barrier
	s_load_dword s0, s[28:29], 0x8
	v_lshlrev_b32_e32 v40, 2, v39
	v_add_u32_e32 v43, 0x1400, v40
	ds_read2_b32 v[44:45], v43 offset1:5
	ds_read2_b32 v[46:47], v43 offset0:10 offset1:15
	s_mul_i32 s1, s5, s2
	s_waitcnt lgkmcnt(0)
	s_mul_i32 s0, s1, s0
	s_mov_b32 s1, 0xff7fffff
	v_max3_f32 v40, v44, s1, v45
	v_max3_f32 v42, v40, v46, v47
	v_sub_f32_e32 v40, v44, v42
	v_sub_f32_e32 v44, v45, v42
	v_mul_f32_e32 v44, 0x3fb8aa3b, v44
	ds_read2_b32 v[48:49], v43 offset0:20 offset1:25
	v_mul_f32_e32 v40, 0x3fb8aa3b, v40
	v_exp_f32_e32 v51, v44
	ds_read2_b32 v[44:45], v43 offset0:30 offset1:35
	v_sub_f32_e32 v43, v46, v42
	v_exp_f32_e32 v50, v40
	v_mul_f32_e32 v43, 0x3fb8aa3b, v43
	v_exp_f32_e32 v46, v43
	v_sub_f32_e32 v43, v47, v42
	v_mul_f32_e32 v43, 0x3fb8aa3b, v43
	v_exp_f32_e32 v47, v43
	s_waitcnt lgkmcnt(1)
	v_fma_f32 v43, v50, v48, 0
	v_fmac_f32_e32 v43, v51, v49
	s_waitcnt lgkmcnt(0)
	v_fmac_f32_e32 v43, v46, v44
	v_mov_b32_e32 v40, 0
	v_fmac_f32_e32 v43, v47, v45
	s_mov_b32 s1, 0
	v_cmp_eq_u32_e32 vcc, 0, v39
	s_and_saveexec_b64 s[2:3], vcc
	s_cbranch_execz .LBB1308_19
; %bb.18:
	s_lshl_b64 s[8:9], s[0:1], 2
	s_add_u32 s12, s16, s8
	s_mov_b32 s25, s1
	s_addc_u32 s13, s17, s9
	s_lshl_b64 s[10:11], s[24:25], 2
	s_add_u32 s12, s12, s10
	s_addc_u32 s13, s13, s11
	s_add_u32 s8, s18, s8
	s_addc_u32 s9, s19, s9
	;; [unrolled: 2-line block ×3, first 2 shown]
	s_mul_i32 s8, s5, s4
	s_mov_b32 s9, s1
	s_lshl_b64 s[8:9], s[8:9], 2
	s_add_u32 s10, s12, s8
	s_addc_u32 s11, s13, s9
	s_add_u32 s8, s16, s8
	s_addc_u32 s9, s17, s9
	global_store_dword v40, v42, s[8:9]
	global_store_dword v40, v43, s[10:11]
.LBB1308_19:
	s_or_b64 exec, exec, s[2:3]
	v_lshlrev_b32_e32 v40, 3, v38
                                        ; implicit-def: $sgpr1
	s_and_saveexec_b64 s[2:3], s[6:7]
	s_xor_b64 s[2:3], exec, s[2:3]
	s_cbranch_execz .LBB1308_21
; %bb.20:
	s_waitcnt vmcnt(6)
	v_mov_b32_e32 v2, 0
	v_mad_u32_u24 v4, v1, 40, v40
	s_mov_b32 s1, 0
	v_mov_b32_e32 v3, v2
	ds_write_b64 v4, v[2:3]
                                        ; implicit-def: $vgpr37
                                        ; implicit-def: $vgpr35
                                        ; implicit-def: $vgpr41
                                        ; implicit-def: $vgpr18_vgpr19
                                        ; implicit-def: $vgpr22_vgpr23
                                        ; implicit-def: $vgpr26_vgpr27
                                        ; implicit-def: $vgpr30_vgpr31
                                        ; implicit-def: $vgpr2_vgpr3
                                        ; implicit-def: $vgpr6_vgpr7
                                        ; implicit-def: $vgpr10_vgpr11
                                        ; implicit-def: $vgpr14_vgpr15
                                        ; implicit-def: $vgpr42
                                        ; implicit-def: $vgpr43
.LBB1308_21:
	s_or_saveexec_b64 s[2:3], s[2:3]
	v_mov_b32_e32 v38, s1
	v_mov_b32_e32 v39, s1
	s_xor_b64 exec, exec, s[2:3]
	s_cbranch_execz .LBB1308_23
; %bb.22:
	v_add_f32_e32 v38, 0x358637bd, v43
	v_div_scale_f32 v39, s[6:7], v38, v38, 1.0
	v_rcp_f32_e32 v43, v39
	v_sub_f32_e32 v41, v41, v42
	v_mul_f32_e32 v41, 0x3fb8aa3b, v41
	v_exp_f32_e32 v41, v41
	v_fma_f32 v42, -v39, v43, 1.0
	v_fmac_f32_e32 v43, v42, v43
	v_div_scale_f32 v42, vcc, 1.0, v38, 1.0
	v_mul_f32_e32 v44, v42, v43
	v_fma_f32 v45, -v39, v44, v42
	v_fmac_f32_e32 v44, v45, v43
	v_fma_f32 v39, -v39, v44, v42
	v_div_fmas_f32 v39, v39, v43, v44
	v_div_fixup_f32 v38, v39, v38, 1.0
	v_mul_f32_e32 v38, v41, v38
	v_pk_mul_f32 v[34:35], v[34:35], v[38:39] op_sel_hi:[1,0]
	v_pk_mul_f32 v[36:37], v[36:37], v[38:39] op_sel_hi:[1,0]
	v_bfe_u32 v38, v35, 16, 1
	v_bfe_u32 v39, v34, 16, 1
	s_movk_i32 s1, 0x7fff
	v_add3_u32 v34, v34, v39, s1
	v_add3_u32 v35, v35, v38, s1
	s_mov_b32 s7, 0x7060302
	v_perm_b32 v34, v35, v34, s7
	v_bfe_u32 v35, v37, 16, 1
	v_bfe_u32 v38, v36, 16, 1
	v_add3_u32 v36, v36, v38, s1
	v_add3_u32 v35, v37, v35, s1
	v_perm_b32 v35, v35, v36, s7
	s_waitcnt vmcnt(7)
	v_cvt_pk_f32_fp8_e32 v[36:37], v18
	v_cvt_pk_f32_fp8_sdwa v[38:39], v18 src0_sel:WORD_1
	v_cvt_pk_f32_fp8_e32 v[42:43], v19
	v_cvt_pk_f32_fp8_sdwa v[18:19], v19 src0_sel:WORD_1
	v_perm_b32 v36, v37, v36, s7
	v_perm_b32 v37, v39, v38, s7
	;; [unrolled: 1-line block ×4, first 2 shown]
	v_mfma_f32_4x4x4_16b_bf16 a[0:3], v[34:35], v[36:37], 0 cbsz:4
	v_cvt_pk_f32_fp8_e32 v[18:19], v20
	v_cvt_pk_f32_fp8_sdwa v[36:37], v20 src0_sel:WORD_1
	v_mfma_f32_4x4x4_16b_bf16 a[0:3], v[34:35], v[38:39], a[0:3] cbsz:4 abid:1
	v_cvt_pk_f32_fp8_e32 v[38:39], v21
	v_cvt_pk_f32_fp8_sdwa v[20:21], v21 src0_sel:WORD_1
	v_perm_b32 v18, v19, v18, s7
	v_perm_b32 v19, v37, v36, s7
	;; [unrolled: 1-line block ×4, first 2 shown]
	v_mfma_f32_4x4x4_16b_bf16 a[0:3], v[34:35], v[18:19], a[0:3] cbsz:4 abid:2
	s_waitcnt vmcnt(5)
	v_cvt_pk_f32_fp8_e32 v[18:19], v22
	v_cvt_pk_f32_fp8_sdwa v[20:21], v22 src0_sel:WORD_1
	v_mfma_f32_4x4x4_16b_bf16 a[0:3], v[34:35], v[36:37], a[0:3] cbsz:4 abid:3
	v_cvt_pk_f32_fp8_e32 v[36:37], v23
	v_cvt_pk_f32_fp8_sdwa v[22:23], v23 src0_sel:WORD_1
	v_perm_b32 v18, v19, v18, s7
	v_perm_b32 v19, v21, v20, s7
	;; [unrolled: 1-line block ×4, first 2 shown]
	v_mfma_f32_4x4x4_16b_bf16 a[0:3], v[34:35], v[18:19], a[0:3] cbsz:4 abid:4
	v_cvt_pk_f32_fp8_e32 v[18:19], v24
	v_cvt_pk_f32_fp8_e32 v[22:23], v25
	v_mfma_f32_4x4x4_16b_bf16 a[0:3], v[34:35], v[20:21], a[0:3] cbsz:4 abid:5
	v_cvt_pk_f32_fp8_sdwa v[20:21], v24 src0_sel:WORD_1
	v_cvt_pk_f32_fp8_sdwa v[24:25], v25 src0_sel:WORD_1
	v_perm_b32 v18, v19, v18, s7
	s_load_dword s6, s[14:15], 0x0
	v_perm_b32 v19, v21, v20, s7
	v_perm_b32 v20, v23, v22, s7
	;; [unrolled: 1-line block ×3, first 2 shown]
	v_mfma_f32_4x4x4_16b_bf16 a[0:3], v[34:35], v[18:19], a[0:3] cbsz:4 abid:6
	s_waitcnt vmcnt(3)
	v_cvt_pk_f32_fp8_e32 v[18:19], v26
	v_cvt_pk_f32_fp8_e32 v[22:23], v27
	v_mfma_f32_4x4x4_16b_bf16 a[0:3], v[34:35], v[20:21], a[0:3] cbsz:4 abid:7
	v_cvt_pk_f32_fp8_sdwa v[20:21], v26 src0_sel:WORD_1
	v_cvt_pk_f32_fp8_sdwa v[24:25], v27 src0_sel:WORD_1
	v_perm_b32 v18, v19, v18, s7
	v_perm_b32 v19, v21, v20, s7
	;; [unrolled: 1-line block ×3, first 2 shown]
	s_nop 0
	v_mfma_f32_4x4x4_16b_bf16 a[0:3], v[34:35], v[18:19], a[0:3] cbsz:4 abid:8
	v_perm_b32 v21, v25, v24, s7
	v_cvt_pk_f32_fp8_e32 v[18:19], v28
	v_cvt_pk_f32_fp8_e32 v[22:23], v29
	v_mfma_f32_4x4x4_16b_bf16 a[0:3], v[34:35], v[20:21], a[0:3] cbsz:4 abid:9
	v_cvt_pk_f32_fp8_sdwa v[20:21], v28 src0_sel:WORD_1
	v_cvt_pk_f32_fp8_sdwa v[24:25], v29 src0_sel:WORD_1
	v_perm_b32 v18, v19, v18, s7
	v_perm_b32 v19, v21, v20, s7
	;; [unrolled: 1-line block ×3, first 2 shown]
	s_nop 0
	v_mfma_f32_4x4x4_16b_bf16 a[0:3], v[34:35], v[18:19], a[0:3] cbsz:4 abid:10
	v_perm_b32 v21, v25, v24, s7
	s_waitcnt vmcnt(1)
	v_cvt_pk_f32_fp8_e32 v[18:19], v30
	v_cvt_pk_f32_fp8_e32 v[22:23], v31
	v_mfma_f32_4x4x4_16b_bf16 a[0:3], v[34:35], v[20:21], a[0:3] cbsz:4 abid:11
	v_cvt_pk_f32_fp8_sdwa v[20:21], v30 src0_sel:WORD_1
	v_cvt_pk_f32_fp8_sdwa v[24:25], v31 src0_sel:WORD_1
	v_perm_b32 v18, v19, v18, s7
	v_perm_b32 v19, v21, v20, s7
	;; [unrolled: 1-line block ×3, first 2 shown]
	s_nop 0
	v_mfma_f32_4x4x4_16b_bf16 a[0:3], v[34:35], v[18:19], a[0:3] cbsz:4 abid:12
	v_perm_b32 v21, v25, v24, s7
	v_cvt_pk_f32_fp8_e32 v[18:19], v32
	v_cvt_pk_f32_fp8_e32 v[22:23], v33
	v_mfma_f32_4x4x4_16b_bf16 a[0:3], v[34:35], v[20:21], a[0:3] cbsz:4 abid:13
	v_cvt_pk_f32_fp8_sdwa v[20:21], v32 src0_sel:WORD_1
	v_cvt_pk_f32_fp8_sdwa v[24:25], v33 src0_sel:WORD_1
	v_perm_b32 v18, v19, v18, s7
	v_perm_b32 v19, v21, v20, s7
	;; [unrolled: 1-line block ×3, first 2 shown]
	s_nop 0
	v_mfma_f32_4x4x4_16b_bf16 a[0:3], v[34:35], v[18:19], a[0:3] cbsz:4 abid:14
	v_perm_b32 v21, v25, v24, s7
	s_nop 1
	v_mfma_f32_4x4x4_16b_bf16 a[0:3], v[34:35], v[20:21], a[0:3] cbsz:4 abid:15
	s_nop 4
	v_accvgpr_read_b32 v21, a1
	v_accvgpr_read_b32 v20, a0
	s_waitcnt lgkmcnt(0)
	v_pk_mul_f32 v[20:21], v[20:21], s[6:7] op_sel_hi:[1,0]
	v_accvgpr_read_b32 v19, a3
	v_accvgpr_read_b32 v18, a2
	v_bfe_u32 v22, v21, 16, 1
	v_bfe_u32 v23, v20, 16, 1
	v_pk_mul_f32 v[18:19], v[18:19], s[6:7] op_sel_hi:[1,0]
	v_add3_u32 v20, v20, v23, s1
	v_add3_u32 v21, v21, v22, s1
	v_perm_b32 v20, v21, v20, s7
	v_bfe_u32 v21, v19, 16, 1
	v_bfe_u32 v22, v18, 16, 1
	v_add3_u32 v18, v18, v22, s1
	v_add3_u32 v19, v19, v21, s1
	v_perm_b32 v21, v19, v18, s7
	v_mad_u32_u24 v18, v1, 40, v40
	ds_write_b64 v18, v[20:21]
	v_cvt_pk_f32_fp8_e32 v[18:19], v2
	v_cvt_pk_f32_fp8_sdwa v[20:21], v2 src0_sel:WORD_1
	v_cvt_pk_f32_fp8_e32 v[22:23], v3
	v_cvt_pk_f32_fp8_sdwa v[2:3], v3 src0_sel:WORD_1
	v_perm_b32 v18, v19, v18, s7
	v_perm_b32 v19, v21, v20, s7
	;; [unrolled: 1-line block ×4, first 2 shown]
	v_mfma_f32_4x4x4_16b_bf16 a[0:3], v[34:35], v[18:19], 0 cbsz:4
	v_cvt_pk_f32_fp8_e32 v[2:3], v4
	v_cvt_pk_f32_fp8_sdwa v[18:19], v4 src0_sel:WORD_1
	v_mfma_f32_4x4x4_16b_bf16 a[0:3], v[34:35], v[20:21], a[0:3] cbsz:4 abid:1
	v_cvt_pk_f32_fp8_e32 v[20:21], v5
	v_cvt_pk_f32_fp8_sdwa v[4:5], v5 src0_sel:WORD_1
	v_perm_b32 v2, v3, v2, s7
	v_perm_b32 v3, v19, v18, s7
	;; [unrolled: 1-line block ×4, first 2 shown]
	v_mfma_f32_4x4x4_16b_bf16 a[0:3], v[34:35], v[2:3], a[0:3] cbsz:4 abid:2
	v_cvt_pk_f32_fp8_e32 v[2:3], v6
	v_cvt_pk_f32_fp8_sdwa v[4:5], v6 src0_sel:WORD_1
	v_mfma_f32_4x4x4_16b_bf16 a[0:3], v[34:35], v[18:19], a[0:3] cbsz:4 abid:3
	v_cvt_pk_f32_fp8_e32 v[18:19], v7
	v_cvt_pk_f32_fp8_sdwa v[6:7], v7 src0_sel:WORD_1
	v_perm_b32 v2, v3, v2, s7
	v_perm_b32 v3, v5, v4, s7
	v_perm_b32 v4, v19, v18, s7
	v_perm_b32 v5, v7, v6, s7
	v_mfma_f32_4x4x4_16b_bf16 a[0:3], v[34:35], v[2:3], a[0:3] cbsz:4 abid:4
	v_cvt_pk_f32_fp8_e32 v[2:3], v8
	v_cvt_pk_f32_fp8_e32 v[6:7], v9
	v_mfma_f32_4x4x4_16b_bf16 a[0:3], v[34:35], v[4:5], a[0:3] cbsz:4 abid:5
	v_cvt_pk_f32_fp8_sdwa v[4:5], v8 src0_sel:WORD_1
	v_cvt_pk_f32_fp8_sdwa v[8:9], v9 src0_sel:WORD_1
	v_perm_b32 v2, v3, v2, s7
	v_perm_b32 v3, v5, v4, s7
	v_perm_b32 v4, v7, v6, s7
	s_nop 0
	v_mfma_f32_4x4x4_16b_bf16 a[0:3], v[34:35], v[2:3], a[0:3] cbsz:4 abid:6
	v_perm_b32 v5, v9, v8, s7
	v_cvt_pk_f32_fp8_e32 v[2:3], v10
	v_cvt_pk_f32_fp8_e32 v[6:7], v11
	v_mfma_f32_4x4x4_16b_bf16 a[0:3], v[34:35], v[4:5], a[0:3] cbsz:4 abid:7
	v_cvt_pk_f32_fp8_sdwa v[4:5], v10 src0_sel:WORD_1
	v_cvt_pk_f32_fp8_sdwa v[8:9], v11 src0_sel:WORD_1
	v_perm_b32 v2, v3, v2, s7
	v_perm_b32 v3, v5, v4, s7
	v_perm_b32 v4, v7, v6, s7
	s_nop 0
	v_mfma_f32_4x4x4_16b_bf16 a[0:3], v[34:35], v[2:3], a[0:3] cbsz:4 abid:8
	v_perm_b32 v5, v9, v8, s7
	;; [unrolled: 11-line block ×3, first 2 shown]
	s_waitcnt vmcnt(0)
	v_cvt_pk_f32_fp8_e32 v[2:3], v14
	v_cvt_pk_f32_fp8_e32 v[6:7], v15
	v_mfma_f32_4x4x4_16b_bf16 a[0:3], v[34:35], v[4:5], a[0:3] cbsz:4 abid:11
	v_cvt_pk_f32_fp8_sdwa v[4:5], v14 src0_sel:WORD_1
	v_cvt_pk_f32_fp8_sdwa v[8:9], v15 src0_sel:WORD_1
	v_perm_b32 v2, v3, v2, s7
	v_perm_b32 v3, v5, v4, s7
	;; [unrolled: 1-line block ×3, first 2 shown]
	s_nop 0
	v_mfma_f32_4x4x4_16b_bf16 a[0:3], v[34:35], v[2:3], a[0:3] cbsz:4 abid:12
	v_perm_b32 v5, v9, v8, s7
	v_cvt_pk_f32_fp8_e32 v[2:3], v16
	v_cvt_pk_f32_fp8_e32 v[6:7], v17
	v_mfma_f32_4x4x4_16b_bf16 a[0:3], v[34:35], v[4:5], a[0:3] cbsz:4 abid:13
	v_cvt_pk_f32_fp8_sdwa v[4:5], v16 src0_sel:WORD_1
	v_cvt_pk_f32_fp8_sdwa v[8:9], v17 src0_sel:WORD_1
	v_perm_b32 v2, v3, v2, s7
	v_perm_b32 v3, v5, v4, s7
	;; [unrolled: 1-line block ×3, first 2 shown]
	s_nop 0
	v_mfma_f32_4x4x4_16b_bf16 a[0:3], v[34:35], v[2:3], a[0:3] cbsz:4 abid:14
	v_perm_b32 v5, v9, v8, s7
	s_nop 1
	v_mfma_f32_4x4x4_16b_bf16 a[0:3], v[34:35], v[4:5], a[0:3] cbsz:4 abid:15
	s_nop 4
	v_accvgpr_read_b32 v5, a1
	v_accvgpr_read_b32 v4, a0
	;; [unrolled: 1-line block ×4, first 2 shown]
	v_pk_mul_f32 v[4:5], v[4:5], s[6:7] op_sel_hi:[1,0]
	v_pk_mul_f32 v[2:3], v[2:3], s[6:7] op_sel_hi:[1,0]
	v_bfe_u32 v6, v5, 16, 1
	v_bfe_u32 v7, v4, 16, 1
	v_add3_u32 v4, v4, v7, s1
	v_add3_u32 v5, v5, v6, s1
	v_bfe_u32 v6, v3, 16, 1
	v_bfe_u32 v7, v2, 16, 1
	v_add3_u32 v2, v2, v7, s1
	v_add3_u32 v3, v3, v6, s1
	v_perm_b32 v39, v3, v2, s7
	v_perm_b32 v38, v5, v4, s7
.LBB1308_23:
	s_or_b64 exec, exec, s[2:3]
	s_waitcnt vmcnt(6)
	v_mad_u32_u24 v2, v1, 40, v40
	v_cmp_gt_u32_e32 vcc, 64, v0
	ds_write_b64 v2, v[38:39] offset:2560
	s_waitcnt lgkmcnt(0)
	s_barrier
	s_and_saveexec_b64 s[2:3], vcc
	s_cbranch_execz .LBB1308_25
; %bb.24:
	v_mov_b32_e32 v2, 0xa00
	v_mad_u32_u24 v2, v1, 40, v2
	ds_read2_b64 v[2:5], v2 offset1:1
	s_waitcnt lgkmcnt(0)
	v_mov_b32_e32 v3, 0xa10
	s_waitcnt vmcnt(2)
	v_mul_u32_u24_e32 v10, 40, v1
	v_mad_u32_u24 v1, v1, 40, v3
	ds_read2_b64 v[6:9], v1 offset1:1
	v_lshlrev_b32_e32 v1, 16, v2
	v_add_f32_e32 v1, 0, v1
	v_and_b32_e32 v1, 0xffff0000, v1
	v_lshlrev_b32_e32 v2, 16, v4
	v_add_f32_e32 v1, v1, v2
	v_and_b32_e32 v1, 0xffff0000, v1
	s_waitcnt lgkmcnt(0)
	v_lshlrev_b32_e32 v2, 16, v6
	v_add_f32_e32 v1, v1, v2
	v_and_b32_e32 v1, 0xffff0000, v1
	v_lshlrev_b32_e32 v2, 16, v8
	v_add_f32_e32 v11, v1, v2
	ds_read2_b64 v[2:5], v10 offset1:1
	ds_read2_b64 v[6:9], v10 offset0:2 offset1:3
	s_mov_b32 s1, 0
	s_lshl_b32 s0, s0, 7
	s_lshl_b64 s[2:3], s[0:1], 1
	s_waitcnt lgkmcnt(1)
	v_lshlrev_b32_e32 v2, 16, v2
	v_add_f32_e32 v2, 0, v2
	s_add_u32 s2, s26, s2
	v_and_b32_e32 v2, 0xffff0000, v2
	v_lshlrev_b32_e32 v3, 16, v4
	s_addc_u32 s3, s27, s3
	s_lshl_b32 s0, s24, 7
	v_add_f32_e32 v2, v2, v3
	s_lshl_b64 s[0:1], s[0:1], 1
	v_and_b32_e32 v2, 0xffff0000, v2
	s_waitcnt lgkmcnt(0)
	v_lshlrev_b32_e32 v3, 16, v6
	s_add_u32 s0, s2, s0
	s_mul_i32 s4, s4, s5
	v_add_f32_e32 v2, v2, v3
	s_addc_u32 s1, s3, s1
	v_lshl_or_b32 v0, s4, 7, v0
	v_mov_b32_e32 v1, 0
	v_and_b32_e32 v2, 0xffff0000, v2
	v_lshlrev_b32_e32 v3, 16, v8
	v_lshl_add_u64 v[0:1], v[0:1], 1, s[0:1]
	v_add_f32_e32 v2, v2, v3
	global_store_short_d16_hi v[0:1], v2, off
	global_store_short_d16_hi v[0:1], v11, off offset:128
.LBB1308_25:
	s_endpgm
	.section	.rodata,"a",@progbits
	.p2align	6, 0x0
	.amdhsa_kernel _Z38paged_attention_ll4mi_QKV_mfma4_kernelI14__hip_bfloat16hLN4vllm18Fp8KVCacheDataTypeE1ES0_Li16ELi128ELi256ELb0ELi1EEvPKT_PKT0_S8_ifPKiSA_SA_iPKfiiiPfSD_PS3_PT2_iSC_SC_
		.amdhsa_group_segment_fixed_size 5280
		.amdhsa_private_segment_fixed_size 0
		.amdhsa_kernarg_size 400
		.amdhsa_user_sgpr_count 2
		.amdhsa_user_sgpr_dispatch_ptr 0
		.amdhsa_user_sgpr_queue_ptr 0
		.amdhsa_user_sgpr_kernarg_segment_ptr 1
		.amdhsa_user_sgpr_dispatch_id 0
		.amdhsa_user_sgpr_kernarg_preload_length 0
		.amdhsa_user_sgpr_kernarg_preload_offset 0
		.amdhsa_user_sgpr_private_segment_size 0
		.amdhsa_uses_dynamic_stack 0
		.amdhsa_enable_private_segment 0
		.amdhsa_system_sgpr_workgroup_id_x 1
		.amdhsa_system_sgpr_workgroup_id_y 1
		.amdhsa_system_sgpr_workgroup_id_z 1
		.amdhsa_system_sgpr_workgroup_info 0
		.amdhsa_system_vgpr_workitem_id 0
		.amdhsa_next_free_vgpr 68
		.amdhsa_next_free_sgpr 42
		.amdhsa_accum_offset 64
		.amdhsa_reserve_vcc 1
		.amdhsa_float_round_mode_32 0
		.amdhsa_float_round_mode_16_64 0
		.amdhsa_float_denorm_mode_32 3
		.amdhsa_float_denorm_mode_16_64 3
		.amdhsa_dx10_clamp 1
		.amdhsa_ieee_mode 1
		.amdhsa_fp16_overflow 0
		.amdhsa_tg_split 0
		.amdhsa_exception_fp_ieee_invalid_op 0
		.amdhsa_exception_fp_denorm_src 0
		.amdhsa_exception_fp_ieee_div_zero 0
		.amdhsa_exception_fp_ieee_overflow 0
		.amdhsa_exception_fp_ieee_underflow 0
		.amdhsa_exception_fp_ieee_inexact 0
		.amdhsa_exception_int_div_zero 0
	.end_amdhsa_kernel
	.section	.text._Z38paged_attention_ll4mi_QKV_mfma4_kernelI14__hip_bfloat16hLN4vllm18Fp8KVCacheDataTypeE1ES0_Li16ELi128ELi256ELb0ELi1EEvPKT_PKT0_S8_ifPKiSA_SA_iPKfiiiPfSD_PS3_PT2_iSC_SC_,"axG",@progbits,_Z38paged_attention_ll4mi_QKV_mfma4_kernelI14__hip_bfloat16hLN4vllm18Fp8KVCacheDataTypeE1ES0_Li16ELi128ELi256ELb0ELi1EEvPKT_PKT0_S8_ifPKiSA_SA_iPKfiiiPfSD_PS3_PT2_iSC_SC_,comdat
.Lfunc_end1308:
	.size	_Z38paged_attention_ll4mi_QKV_mfma4_kernelI14__hip_bfloat16hLN4vllm18Fp8KVCacheDataTypeE1ES0_Li16ELi128ELi256ELb0ELi1EEvPKT_PKT0_S8_ifPKiSA_SA_iPKfiiiPfSD_PS3_PT2_iSC_SC_, .Lfunc_end1308-_Z38paged_attention_ll4mi_QKV_mfma4_kernelI14__hip_bfloat16hLN4vllm18Fp8KVCacheDataTypeE1ES0_Li16ELi128ELi256ELb0ELi1EEvPKT_PKT0_S8_ifPKiSA_SA_iPKfiiiPfSD_PS3_PT2_iSC_SC_
                                        ; -- End function
	.section	.AMDGPU.csdata,"",@progbits
; Kernel info:
; codeLenInByte = 5580
; NumSgprs: 48
; NumVgprs: 64
; NumAgprs: 4
; TotalNumVgprs: 68
; ScratchSize: 0
; MemoryBound: 0
; FloatMode: 240
; IeeeMode: 1
; LDSByteSize: 5280 bytes/workgroup (compile time only)
; SGPRBlocks: 5
; VGPRBlocks: 8
; NumSGPRsForWavesPerEU: 48
; NumVGPRsForWavesPerEU: 68
; AccumOffset: 64
; Occupancy: 7
; WaveLimiterHint : 1
; COMPUTE_PGM_RSRC2:SCRATCH_EN: 0
; COMPUTE_PGM_RSRC2:USER_SGPR: 2
; COMPUTE_PGM_RSRC2:TRAP_HANDLER: 0
; COMPUTE_PGM_RSRC2:TGID_X_EN: 1
; COMPUTE_PGM_RSRC2:TGID_Y_EN: 1
; COMPUTE_PGM_RSRC2:TGID_Z_EN: 1
; COMPUTE_PGM_RSRC2:TIDIG_COMP_CNT: 0
; COMPUTE_PGM_RSRC3_GFX90A:ACCUM_OFFSET: 15
; COMPUTE_PGM_RSRC3_GFX90A:TG_SPLIT: 0
	.section	.text._Z38paged_attention_ll4mi_QKV_mfma4_kernelI14__hip_bfloat16hLN4vllm18Fp8KVCacheDataTypeE1ES0_Li16ELi128ELi256ELb0ELi2EEvPKT_PKT0_S8_ifPKiSA_SA_iPKfiiiPfSD_PS3_PT2_iSC_SC_,"axG",@progbits,_Z38paged_attention_ll4mi_QKV_mfma4_kernelI14__hip_bfloat16hLN4vllm18Fp8KVCacheDataTypeE1ES0_Li16ELi128ELi256ELb0ELi2EEvPKT_PKT0_S8_ifPKiSA_SA_iPKfiiiPfSD_PS3_PT2_iSC_SC_,comdat
	.protected	_Z38paged_attention_ll4mi_QKV_mfma4_kernelI14__hip_bfloat16hLN4vllm18Fp8KVCacheDataTypeE1ES0_Li16ELi128ELi256ELb0ELi2EEvPKT_PKT0_S8_ifPKiSA_SA_iPKfiiiPfSD_PS3_PT2_iSC_SC_ ; -- Begin function _Z38paged_attention_ll4mi_QKV_mfma4_kernelI14__hip_bfloat16hLN4vllm18Fp8KVCacheDataTypeE1ES0_Li16ELi128ELi256ELb0ELi2EEvPKT_PKT0_S8_ifPKiSA_SA_iPKfiiiPfSD_PS3_PT2_iSC_SC_
	.globl	_Z38paged_attention_ll4mi_QKV_mfma4_kernelI14__hip_bfloat16hLN4vllm18Fp8KVCacheDataTypeE1ES0_Li16ELi128ELi256ELb0ELi2EEvPKT_PKT0_S8_ifPKiSA_SA_iPKfiiiPfSD_PS3_PT2_iSC_SC_
	.p2align	8
	.type	_Z38paged_attention_ll4mi_QKV_mfma4_kernelI14__hip_bfloat16hLN4vllm18Fp8KVCacheDataTypeE1ES0_Li16ELi128ELi256ELb0ELi2EEvPKT_PKT0_S8_ifPKiSA_SA_iPKfiiiPfSD_PS3_PT2_iSC_SC_,@function
_Z38paged_attention_ll4mi_QKV_mfma4_kernelI14__hip_bfloat16hLN4vllm18Fp8KVCacheDataTypeE1ES0_Li16ELi128ELi256ELb0ELi2EEvPKT_PKT0_S8_ifPKiSA_SA_iPKfiiiPfSD_PS3_PT2_iSC_SC_: ; @_Z38paged_attention_ll4mi_QKV_mfma4_kernelI14__hip_bfloat16hLN4vllm18Fp8KVCacheDataTypeE1ES0_Li16ELi128ELi256ELb0ELi2EEvPKT_PKT0_S8_ifPKiSA_SA_iPKfiiiPfSD_PS3_PT2_iSC_SC_
; %bb.0:
	s_load_dwordx2 s[20:21], s[0:1], 0x30
	s_mov_b32 s24, s3
	s_mov_b64 s[6:7], 0
	s_waitcnt lgkmcnt(0)
	s_cmp_lg_u64 s[20:21], 0
	s_cselect_b64 s[22:23], -1, 0
	s_and_b64 vcc, exec, s[22:23]
	s_cbranch_vccz .LBB1309_10
; %bb.1:
	s_add_i32 s8, s2, 1
	s_mov_b32 s9, 0
	s_lshl_b64 s[10:11], s[8:9], 2
	s_add_u32 s10, s20, s10
	s_mov_b32 s3, s9
	s_addc_u32 s11, s21, s11
	s_lshl_b64 s[8:9], s[2:3], 2
	s_add_u32 s8, s20, s8
	s_addc_u32 s9, s21, s9
	s_load_dword s5, s[10:11], 0x0
	s_load_dword s12, s[8:9], 0x0
	s_waitcnt lgkmcnt(0)
	s_sub_i32 s5, s5, s12
	s_cmp_eq_u32 s5, 1
	s_cselect_b64 s[8:9], -1, 0
	s_andn2_b64 vcc, exec, s[6:7]
	s_cbranch_vccnz .LBB1309_3
.LBB1309_2:
	s_mov_b32 s3, 0
	s_mov_b64 s[8:9], -1
.LBB1309_3:
	s_andn2_b64 vcc, exec, s[8:9]
	s_cbranch_vccnz .LBB1309_25
; %bb.4:
	s_load_dword s5, s[0:1], 0x9c
	s_load_dwordx2 s[6:7], s[0:1], 0x28
	s_add_u32 s28, s0, 0x90
	s_addc_u32 s29, s1, 0
	s_lshl_b64 s[34:35], s[2:3], 2
	s_waitcnt lgkmcnt(0)
	s_and_b32 s5, s5, 0xffff
	s_add_u32 s6, s6, s34
	s_addc_u32 s7, s7, s35
	s_load_dword s3, s[6:7], 0x0
	s_mul_i32 s10, s24, s5
	s_waitcnt lgkmcnt(0)
	s_cmp_ge_i32 s10, s3
	s_cbranch_scc1 .LBB1309_25
; %bb.5:
	v_and_b32_e32 v1, 0xc0, v0
	v_add_u32_e32 v4, s10, v1
	v_lshrrev_b32_e32 v38, 6, v0
	v_cmp_le_i32_e64 s[6:7], s3, v4
                                        ; implicit-def: $sgpr25
                                        ; implicit-def: $sgpr11
	s_and_saveexec_b64 s[8:9], s[6:7]
	s_xor_b64 s[8:9], exec, s[8:9]
	s_cbranch_execz .LBB1309_7
; %bb.6:
	v_mul_u32_u24_e32 v1, 20, v38
	v_or_b32_e32 v1, 0x1400, v1
	v_mov_b32_e32 v2, 0x1450
	v_mov_b32_e32 v3, 0xff7fffff
	v_mad_u32_u24 v2, v38, 20, v2
	ds_write2_b32 v1, v3, v3 offset1:1
	v_mov_b32_e32 v1, 0
	ds_write2_b32 v2, v1, v1 offset1:1
	v_mov_b32_e32 v2, 0x1408
	v_mov_b32_e32 v4, 0x1458
	s_mov_b32 s11, 0xff7fffff
	s_mov_b32 s25, 0
	v_mad_u32_u24 v2, v38, 20, v2
	v_mad_u32_u24 v4, v38, 20, v4
	ds_write2_b32 v2, v3, v3 offset1:1
	ds_write2_b32 v4, v1, v1 offset1:1
                                        ; implicit-def: $vgpr4
.LBB1309_7:
	s_or_saveexec_b64 s[30:31], s[8:9]
	s_load_dwordx2 s[26:27], s[0:1], 0x68
	s_load_dwordx4 s[16:19], s[0:1], 0x58
	s_load_dword s5, s[28:29], 0x4
	s_load_dwordx4 s[12:15], s[0:1], 0x80
	v_and_b32_e32 v1, 63, v0
	v_and_b32_e32 v39, 3, v0
	v_mov_b32_e32 v37, s25
	v_mov_b32_e32 v41, s11
	;; [unrolled: 1-line block ×5, first 2 shown]
                                        ; implicit-def: $vgpr26_vgpr27
                                        ; implicit-def: $vgpr18_vgpr19
                                        ; implicit-def: $vgpr22_vgpr23
                                        ; implicit-def: $vgpr30_vgpr31
                                        ; implicit-def: $vgpr10_vgpr11
                                        ; implicit-def: $vgpr2_vgpr3
                                        ; implicit-def: $vgpr6_vgpr7
                                        ; implicit-def: $vgpr14_vgpr15
	s_xor_b64 exec, exec, s[30:31]
	s_cbranch_execz .LBB1309_17
; %bb.8:
	s_load_dwordx2 s[8:9], s[0:1], 0x20
	s_load_dword s11, s[0:1], 0x38
	s_add_i32 s25, s3, 15
	s_ashr_i32 s33, s25, 31
	s_lshr_b32 s33, s33, 28
	v_add_u32_e32 v40, s10, v0
	s_add_i32 s25, s25, s33
	v_ashrrev_i32_e32 v2, 31, v40
	s_ashr_i32 s25, s25, 4
	v_lshrrev_b32_e32 v2, 28, v2
	s_add_i32 s25, s25, -1
	s_waitcnt lgkmcnt(0)
	s_mul_i32 s36, s2, s11
	s_mov_b32 s37, 0
	v_add_u32_e32 v2, v40, v2
	s_lshl_b64 s[36:37], s[36:37], 2
	v_ashrrev_i32_e32 v2, 4, v2
	v_mov_b32_e32 v3, s25
	v_cmp_gt_i32_e32 vcc, s3, v40
	s_add_u32 s8, s8, s36
	s_addc_u32 s9, s9, s37
	v_cndmask_b32_e32 v2, v3, v2, vcc
	v_ashrrev_i32_e32 v3, 31, v2
	v_lshl_add_u64 v[10:11], v[2:3], 2, s[8:9]
	v_ashrrev_i32_e32 v2, 31, v4
	v_lshrrev_b32_e32 v2, 28, v2
	v_add_u32_e32 v2, v4, v2
	v_ashrrev_i32_e32 v6, 4, v2
	v_min_i32_e32 v2, s25, v6
	v_ashrrev_i32_e32 v3, 31, v2
	v_lshl_add_u64 v[4:5], v[2:3], 2, s[8:9]
	v_add_u32_e32 v2, 1, v6
	v_min_i32_e32 v2, s25, v2
	v_ashrrev_i32_e32 v3, 31, v2
	v_lshl_add_u64 v[12:13], v[2:3], 2, s[8:9]
	v_add_u32_e32 v2, 2, v6
	;; [unrolled: 4-line block ×3, first 2 shown]
	v_min_i32_e32 v2, s25, v2
	v_ashrrev_i32_e32 v3, 31, v2
	v_lshl_add_u64 v[16:17], v[2:3], 2, s[8:9]
	global_load_dword v2, v[10:11], off
	global_load_dword v6, v[4:5], off
	;; [unrolled: 1-line block ×5, first 2 shown]
	s_load_dwordx4 s[8:11], s[0:1], 0x8
	s_andn2_b64 vcc, exec, s[22:23]
	s_cbranch_vccnz .LBB1309_11
; %bb.9:
	s_add_u32 s20, s20, s34
	s_addc_u32 s21, s21, s35
	s_load_dword s25, s[20:21], 0x0
	s_branch .LBB1309_12
.LBB1309_10:
	s_mov_b64 s[8:9], 0
	s_branch .LBB1309_2
.LBB1309_11:
	s_mov_b32 s25, s2
.LBB1309_12:
	s_load_dwordx4 s[20:23], s[0:1], 0x48
	v_cmp_gt_u32_e32 vcc, 2, v39
	s_mov_b32 s37, 0
	v_mov_b32_e32 v5, 0
	v_mov_b32_e32 v34, 0
	;; [unrolled: 1-line block ×5, first 2 shown]
	s_and_saveexec_b64 s[34:35], vcc
	s_cbranch_execz .LBB1309_14
; %bb.13:
	s_load_dwordx2 s[38:39], s[0:1], 0x0
	s_waitcnt lgkmcnt(0)
	s_ashr_i32 s23, s20, 31
	s_mul_hi_u32 s33, s25, s20
	s_mul_i32 s23, s25, s23
	s_add_i32 s41, s33, s23
	s_mul_i32 s40, s25, s20
	s_lshl_b64 s[40:41], s[40:41], 1
	s_add_u32 s20, s38, s40
	s_addc_u32 s23, s39, s41
	s_lshl_b32 s36, s4, 8
	s_lshl_b64 s[36:37], s[36:37], 1
	v_lshlrev_b32_e32 v3, 2, v1
	s_add_u32 s36, s20, s36
	v_and_b32_e32 v3, 0xf0, v3
	s_addc_u32 s37, s23, s37
	v_lshl_or_b32 v3, v39, 8, v3
	global_load_dwordx4 v[34:37], v3, s[36:37]
.LBB1309_14:
	s_or_b64 exec, exec, s[34:35]
	s_waitcnt lgkmcnt(0)
	s_mul_i32 s20, s4, s22
	s_add_u32 s8, s20, s8
	s_addc_u32 s9, 0, s9
	v_mov_b64_e32 v[10:11], s[8:9]
	v_lshlrev_b32_e32 v4, 4, v0
	s_waitcnt vmcnt(4)
	v_mad_i64_i32 v[2:3], s[8:9], v2, s21, v[10:11]
	v_and_b32_e32 v4, 0xf0, v4
	v_lshl_add_u64 v[2:3], v[2:3], 0, v[4:5]
	global_load_dwordx4 v[10:13], v[2:3], off
	global_load_dwordx4 v[16:19], v[2:3], off offset:256
	s_waitcnt vmcnt(5)
	v_mul_hi_i32 v4, v6, s21
	s_waitcnt vmcnt(4)
	v_mul_hi_i32 v14, v7, s21
	;; [unrolled: 2-line block ×4, first 2 shown]
	v_ashrrev_i32_e32 v4, 31, v4
	v_ashrrev_i32_e32 v14, 31, v14
	;; [unrolled: 1-line block ×4, first 2 shown]
	v_mov_b32_e32 v15, v5
	v_mov_b32_e32 v21, v5
	;; [unrolled: 1-line block ×3, first 2 shown]
	v_lshrrev_b32_e32 v14, 29, v14
	v_lshrrev_b32_e32 v20, 29, v20
	;; [unrolled: 1-line block ×4, first 2 shown]
	s_add_u32 s10, s10, s20
	v_mad_i64_i32 v[14:15], s[22:23], v7, s21, v[14:15]
	v_mad_i64_i32 v[20:21], s[22:23], v8, s21, v[20:21]
	;; [unrolled: 1-line block ×4, first 2 shown]
	s_addc_u32 s11, s11, 0
	v_and_b32_e32 v14, -8, v14
	v_and_b32_e32 v20, -8, v20
	;; [unrolled: 1-line block ×4, first 2 shown]
	v_lshl_add_u64 v[14:15], s[10:11], 0, v[14:15]
	v_lshl_add_u64 v[20:21], s[10:11], 0, v[20:21]
	;; [unrolled: 1-line block ×3, first 2 shown]
	v_lshlrev_b32_e32 v4, 4, v1
	v_lshl_add_u64 v[6:7], s[10:11], 0, v[6:7]
	v_lshl_add_u64 v[26:27], v[14:15], 0, v[4:5]
	;; [unrolled: 1-line block ×5, first 2 shown]
	s_mov_b32 s8, 0x7060302
	s_load_dword s0, s[0:1], 0x1c
	v_cmp_eq_u32_e32 vcc, 0, v39
	s_load_dword s1, s[12:13], 0x0
	v_mov_b32_e32 v41, 0xff7fffff
	s_waitcnt vmcnt(1)
	v_cvt_pk_f32_fp8_e32 v[4:5], v10
	v_cvt_pk_f32_fp8_sdwa v[6:7], v10 src0_sel:WORD_1
	v_cvt_pk_f32_fp8_e32 v[8:9], v11
	v_cvt_pk_f32_fp8_sdwa v[10:11], v11 src0_sel:WORD_1
	v_perm_b32 v48, v5, v4, s8
	v_perm_b32 v49, v7, v6, s8
	global_load_dwordx4 v[4:7], v[2:3], off offset:512
	v_perm_b32 v54, v9, v8, s8
	v_perm_b32 v55, v11, v10, s8
	global_load_dwordx4 v[8:11], v[2:3], off offset:768
	v_cvt_pk_f32_fp8_e32 v[20:21], v12
	v_cvt_pk_f32_fp8_sdwa v[22:23], v12 src0_sel:WORD_1
	v_cvt_pk_f32_fp8_e32 v[24:25], v13
	v_cvt_pk_f32_fp8_sdwa v[12:13], v13 src0_sel:WORD_1
	v_perm_b32 v20, v21, v20, s8
	v_perm_b32 v21, v23, v22, s8
	;; [unrolled: 1-line block ×3, first 2 shown]
	global_load_dwordx4 v[22:25], v[2:3], off offset:1024
	s_waitcnt vmcnt(3)
	v_cvt_pk_f32_fp8_e32 v[28:29], v16
	v_cvt_pk_f32_fp8_sdwa v[30:31], v16 src0_sel:WORD_1
	v_cvt_pk_f32_fp8_e32 v[32:33], v17
	v_perm_b32 v57, v13, v12, s8
	v_perm_b32 v12, v29, v28, s8
	;; [unrolled: 1-line block ×4, first 2 shown]
	global_load_dwordx4 v[30:33], v[2:3], off offset:1280
	v_cvt_pk_f32_fp8_sdwa v[16:17], v17 src0_sel:WORD_1
	v_cvt_pk_f32_fp8_e32 v[42:43], v18
	v_cvt_pk_f32_fp8_sdwa v[44:45], v18 src0_sel:WORD_1
	v_mfma_f32_4x4x4_16b_bf16 a[0:3], v[34:35], v[48:49], 0 cbsz:4
	v_perm_b32 v29, v17, v16, s8
	v_perm_b32 v16, v43, v42, s8
	;; [unrolled: 1-line block ×3, first 2 shown]
	global_load_dwordx4 v[42:45], v[2:3], off offset:1536
	v_cvt_pk_f32_fp8_e32 v[46:47], v19
	v_mfma_f32_4x4x4_16b_bf16 a[0:3], v[36:37], v[54:55], a[0:3] cbsz:4
	v_cvt_pk_f32_fp8_sdwa v[18:19], v19 src0_sel:WORD_1
	v_perm_b32 v58, v47, v46, s8
	global_load_dwordx4 v[46:49], v[2:3], off offset:1792
	v_mfma_f32_4x4x4_16b_bf16 a[0:3], v[34:35], v[20:21], a[0:3] cbsz:4 abid:1
	v_perm_b32 v59, v19, v18, s8
	s_waitcnt vmcnt(5)
	v_cvt_pk_f32_fp8_e32 v[18:19], v4
	v_mfma_f32_4x4x4_16b_bf16 a[0:3], v[36:37], v[56:57], a[0:3] cbsz:4 abid:1
	v_cvt_pk_f32_fp8_sdwa v[20:21], v4 src0_sel:WORD_1
	v_perm_b32 v54, v19, v18, s8
	v_mfma_f32_4x4x4_16b_bf16 a[0:3], v[34:35], v[12:13], a[0:3] cbsz:4 abid:2
	v_cvt_pk_f32_fp8_e32 v[12:13], v5
	v_perm_b32 v55, v21, v20, s8
	v_mfma_f32_4x4x4_16b_bf16 a[0:3], v[36:37], v[28:29], a[0:3] cbsz:4 abid:2
	global_load_dwordx4 v[18:21], v[26:27], off
	v_perm_b32 v12, v13, v12, s8
	v_mfma_f32_4x4x4_16b_bf16 a[0:3], v[34:35], v[16:17], a[0:3] cbsz:4 abid:3
	v_cvt_pk_f32_fp8_sdwa v[16:17], v5 src0_sel:WORD_1
	global_load_dwordx4 v[2:5], v[26:27], off offset:1024
	v_mfma_f32_4x4x4_16b_bf16 a[0:3], v[36:37], v[58:59], a[0:3] cbsz:4 abid:3
	v_cvt_pk_f32_fp8_sdwa v[26:27], v6 src0_sel:WORD_1
	v_perm_b32 v13, v17, v16, s8
	v_mfma_f32_4x4x4_16b_bf16 a[0:3], v[34:35], v[54:55], a[0:3] cbsz:4 abid:4
	v_cvt_pk_f32_fp8_e32 v[16:17], v6
	s_waitcnt vmcnt(6)
	v_cvt_pk_f32_fp8_sdwa v[54:55], v11 src0_sel:WORD_1
	v_mfma_f32_4x4x4_16b_bf16 a[0:3], v[36:37], v[12:13], a[0:3] cbsz:4 abid:4
	v_cvt_pk_f32_fp8_e32 v[12:13], v7
	v_cvt_pk_f32_fp8_sdwa v[6:7], v7 src0_sel:WORD_1
	v_perm_b32 v16, v17, v16, s8
	v_perm_b32 v17, v27, v26, s8
	;; [unrolled: 1-line block ×3, first 2 shown]
	v_cvt_pk_f32_fp8_sdwa v[26:27], v8 src0_sel:WORD_1
	v_mfma_f32_4x4x4_16b_bf16 a[0:3], v[34:35], v[16:17], a[0:3] cbsz:4 abid:5
	v_cvt_pk_f32_fp8_e32 v[16:17], v8
	v_perm_b32 v13, v7, v6, s8
	v_perm_b32 v7, v27, v26, s8
	global_load_dwordx4 v[26:29], v[52:53], off
	v_mfma_f32_4x4x4_16b_bf16 a[0:3], v[36:37], v[12:13], a[0:3] cbsz:4 abid:5
	v_cvt_pk_f32_fp8_e32 v[12:13], v9
	v_cvt_pk_f32_fp8_sdwa v[8:9], v9 src0_sel:WORD_1
	v_perm_b32 v6, v17, v16, s8
	v_cvt_pk_f32_fp8_e32 v[16:17], v11
	v_perm_b32 v12, v13, v12, s8
	v_mfma_f32_4x4x4_16b_bf16 a[0:3], v[34:35], v[6:7], a[0:3] cbsz:4 abid:6
	v_perm_b32 v13, v9, v8, s8
	v_cvt_pk_f32_fp8_e32 v[6:7], v10
	v_cvt_pk_f32_fp8_sdwa v[8:9], v10 src0_sel:WORD_1
	v_mfma_f32_4x4x4_16b_bf16 a[0:3], v[36:37], v[12:13], a[0:3] cbsz:4 abid:6
	global_load_dwordx4 v[10:13], v[52:53], off offset:1024
	v_perm_b32 v6, v7, v6, s8
	v_perm_b32 v7, v9, v8, s8
	;; [unrolled: 1-line block ×4, first 2 shown]
	v_mfma_f32_4x4x4_16b_bf16 a[0:3], v[34:35], v[6:7], a[0:3] cbsz:4 abid:7
	s_waitcnt vmcnt(7)
	v_cvt_pk_f32_fp8_e32 v[6:7], v22
	v_cvt_pk_f32_fp8_e32 v[16:17], v23
	v_mfma_f32_4x4x4_16b_bf16 a[0:3], v[36:37], v[8:9], a[0:3] cbsz:4 abid:7
	v_cvt_pk_f32_fp8_sdwa v[8:9], v22 src0_sel:WORD_1
	v_cvt_pk_f32_fp8_sdwa v[22:23], v23 src0_sel:WORD_1
	v_perm_b32 v6, v7, v6, s8
	v_cvt_pk_f32_fp8_sdwa v[52:53], v25 src0_sel:WORD_1
	v_perm_b32 v7, v9, v8, s8
	v_perm_b32 v8, v17, v16, s8
	;; [unrolled: 1-line block ×3, first 2 shown]
	v_mfma_f32_4x4x4_16b_bf16 a[0:3], v[34:35], v[6:7], a[0:3] cbsz:4 abid:8
	v_cvt_pk_f32_fp8_e32 v[6:7], v24
	v_cvt_pk_f32_fp8_e32 v[16:17], v25
	v_mfma_f32_4x4x4_16b_bf16 a[0:3], v[36:37], v[8:9], a[0:3] cbsz:4 abid:8
	v_cvt_pk_f32_fp8_sdwa v[8:9], v24 src0_sel:WORD_1
	v_perm_b32 v6, v7, v6, s8
	global_load_dwordx4 v[22:25], v[50:51], off
	v_perm_b32 v7, v9, v8, s8
	v_perm_b32 v8, v17, v16, s8
	s_nop 0
	v_mfma_f32_4x4x4_16b_bf16 a[0:3], v[34:35], v[6:7], a[0:3] cbsz:4 abid:9
	v_perm_b32 v9, v53, v52, s8
	s_waitcnt vmcnt(7)
	v_cvt_pk_f32_fp8_e32 v[6:7], v30
	v_cvt_pk_f32_fp8_e32 v[16:17], v31
	v_mfma_f32_4x4x4_16b_bf16 a[0:3], v[36:37], v[8:9], a[0:3] cbsz:4 abid:9
	v_cvt_pk_f32_fp8_sdwa v[8:9], v30 src0_sel:WORD_1
	v_cvt_pk_f32_fp8_sdwa v[52:53], v31 src0_sel:WORD_1
	v_perm_b32 v30, v7, v6, s8
	v_perm_b32 v16, v17, v16, s8
	;; [unrolled: 1-line block ×3, first 2 shown]
	global_load_dwordx4 v[6:9], v[50:51], off offset:1024
	v_perm_b32 v17, v53, v52, s8
	v_mfma_f32_4x4x4_16b_bf16 a[0:3], v[34:35], v[30:31], a[0:3] cbsz:4 abid:10
	v_cvt_pk_f32_fp8_sdwa v[30:31], v32 src0_sel:WORD_1
	v_cvt_pk_f32_fp8_e32 v[50:51], v33
	v_mfma_f32_4x4x4_16b_bf16 a[0:3], v[36:37], v[16:17], a[0:3] cbsz:4 abid:10
	v_cvt_pk_f32_fp8_e32 v[16:17], v32
	v_cvt_pk_f32_fp8_sdwa v[32:33], v33 src0_sel:WORD_1
	s_waitcnt vmcnt(7)
	v_cvt_pk_f32_fp8_e32 v[52:53], v45
	v_perm_b32 v16, v17, v16, s8
	v_perm_b32 v17, v31, v30, s8
	;; [unrolled: 1-line block ×4, first 2 shown]
	v_mfma_f32_4x4x4_16b_bf16 a[0:3], v[34:35], v[16:17], a[0:3] cbsz:4 abid:11
	v_cvt_pk_f32_fp8_e32 v[16:17], v42
	v_cvt_pk_f32_fp8_e32 v[50:51], v43
	v_mfma_f32_4x4x4_16b_bf16 a[0:3], v[36:37], v[30:31], a[0:3] cbsz:4 abid:11
	v_cvt_pk_f32_fp8_sdwa v[30:31], v42 src0_sel:WORD_1
	v_perm_b32 v16, v17, v16, s8
	v_cvt_pk_f32_fp8_sdwa v[42:43], v43 src0_sel:WORD_1
	v_perm_b32 v50, v51, v50, s8
	v_perm_b32 v17, v31, v30, s8
	global_load_dwordx4 v[30:33], v[14:15], off
	v_perm_b32 v51, v43, v42, s8
	v_mfma_f32_4x4x4_16b_bf16 a[0:3], v[34:35], v[16:17], a[0:3] cbsz:4 abid:12
	global_load_dwordx4 v[14:17], v[14:15], off offset:1024
	v_cvt_pk_f32_fp8_e32 v[42:43], v44
	v_mfma_f32_4x4x4_16b_bf16 a[0:3], v[36:37], v[50:51], a[0:3] cbsz:4 abid:12
	v_cvt_pk_f32_fp8_sdwa v[50:51], v44 src0_sel:WORD_1
	v_cvt_pk_f32_fp8_sdwa v[44:45], v45 src0_sel:WORD_1
	v_perm_b32 v42, v43, v42, s8
	v_perm_b32 v43, v51, v50, s8
	;; [unrolled: 1-line block ×3, first 2 shown]
	s_nop 0
	v_mfma_f32_4x4x4_16b_bf16 a[0:3], v[34:35], v[42:43], a[0:3] cbsz:4 abid:13
	s_waitcnt vmcnt(8)
	v_cvt_pk_f32_fp8_e32 v[42:43], v46
	v_cvt_pk_f32_fp8_sdwa v[44:45], v46 src0_sel:WORD_1
	v_perm_b32 v50, v53, v52, s8
	v_perm_b32 v42, v43, v42, s8
	s_nop 0
	v_mfma_f32_4x4x4_16b_bf16 a[0:3], v[36:37], v[50:51], a[0:3] cbsz:4 abid:13
	v_cvt_pk_f32_fp8_e32 v[50:51], v47
	v_cvt_pk_f32_fp8_sdwa v[46:47], v47 src0_sel:WORD_1
	v_perm_b32 v43, v45, v44, s8
	v_perm_b32 v44, v51, v50, s8
	s_nop 0
	v_mfma_f32_4x4x4_16b_bf16 a[0:3], v[34:35], v[42:43], a[0:3] cbsz:4 abid:14
	v_perm_b32 v45, v47, v46, s8
	v_cvt_pk_f32_fp8_e32 v[42:43], v48
	v_cvt_pk_f32_fp8_e32 v[46:47], v49
	v_mfma_f32_4x4x4_16b_bf16 a[0:3], v[36:37], v[44:45], a[0:3] cbsz:4 abid:14
	v_cvt_pk_f32_fp8_sdwa v[44:45], v48 src0_sel:WORD_1
	v_cvt_pk_f32_fp8_sdwa v[48:49], v49 src0_sel:WORD_1
	v_perm_b32 v42, v43, v42, s8
	v_perm_b32 v43, v45, v44, s8
	;; [unrolled: 1-line block ×3, first 2 shown]
	s_nop 0
	v_mfma_f32_4x4x4_16b_bf16 a[0:3], v[34:35], v[42:43], a[0:3] cbsz:4 abid:15
	v_perm_b32 v45, v49, v48, s8
	s_waitcnt lgkmcnt(0)
	v_mov_b32_e32 v34, s0
	v_mfma_f32_4x4x4_16b_bf16 a[0:3], v[36:37], v[44:45], a[0:3] cbsz:4 abid:15
	v_mul_f32_e32 v36, s1, v34
	s_nop 3
	v_accvgpr_read_b32 v43, a1
	v_accvgpr_read_b32 v42, a0
	v_pk_mul_f32 v[42:43], v[42:43], v[36:37] op_sel_hi:[1,0]
	v_accvgpr_read_b32 v35, a3
	v_accvgpr_read_b32 v34, a2
	v_pk_mul_f32 v[34:35], v[34:35], v[36:37] op_sel_hi:[1,0]
	v_cndmask_b32_e64 v36, 0, 1.0, vcc
	v_cmp_eq_u32_e32 vcc, 1, v39
	s_nop 0
	v_mfma_f32_4x4x1_16b_f32 a[0:3], v42, v36, 0
	v_cndmask_b32_e64 v36, 0, 1.0, vcc
	v_cmp_eq_u32_e32 vcc, 2, v39
	s_nop 0
	v_mfma_f32_4x4x1_16b_f32 a[0:3], v43, v36, a[0:3]
	;; [unrolled: 4-line block ×3, first 2 shown]
	v_cndmask_b32_e64 v34, 0, 1.0, vcc
	s_nop 1
	v_mfma_f32_4x4x1_16b_f32 a[0:3], v35, v34, a[0:3]
	v_and_b32_e32 v34, -4, v40
	v_cmp_gt_i32_e32 vcc, s3, v34
	v_lshlrev_b32_e32 v35, 2, v0
	v_and_or_b32 v35, v35, 48, v39
	v_accvgpr_read_b32 v36, a0
	v_max_f32_e32 v37, v36, v36
	v_max_f32_e32 v37, 0xff7fffff, v37
	v_accvgpr_read_b32 v42, a1
	v_cndmask_b32_e32 v37, v41, v37, vcc
	v_or_b32_e32 v41, 1, v34
	v_max_f32_e32 v43, v42, v42
	v_max_f32_e32 v43, v37, v43
	v_cmp_gt_i32_e64 s[0:1], s3, v41
	v_or_b32_e32 v34, 2, v34
	v_cmp_gt_i32_e64 s[8:9], s3, v34
	v_cndmask_b32_e64 v37, v37, v43, s[0:1]
	v_accvgpr_read_b32 v43, a2
	v_max_f32_e32 v41, v43, v43
	v_max_f32_e32 v41, v37, v41
	v_cndmask_b32_e64 v34, v37, v41, s[8:9]
	v_or_b32_e32 v37, 3, v40
	v_accvgpr_read_b32 v40, a3
	v_max_f32_e32 v41, v40, v40
	v_max_f32_e32 v41, v34, v41
	v_cmp_gt_i32_e64 s[10:11], s3, v37
	v_lshlrev_b32_e32 v44, 2, v35
	s_nop 0
	v_cndmask_b32_e64 v34, v34, v41, s[10:11]
	;;#ASMSTART
	v_nop
 v_nop
 v_max_f32_dpp v34, v34, v34 row_ror:4
	;;#ASMEND
	s_nop 0
	;;#ASMSTART
	v_nop
 v_nop
 v_max_f32_dpp v34, v34, v34 row_ror:8
	;;#ASMEND
	ds_bpermute_b32 v34, v44, v34
	s_waitcnt lgkmcnt(0)
	;;#ASMSTART
	v_nop
 v_nop
 v_max_f32_dpp v34, v34, v34 row_ror:4
	;;#ASMEND
	s_nop 0
	;;#ASMSTART
	v_nop
 v_nop
 v_max_f32_dpp v41, v34, v34 row_ror:8
	;;#ASMEND
	s_nop 0
	v_sub_f32_e32 v34, v36, v41
	v_mul_f32_e32 v34, 0x3fb8aa3b, v34
	v_sub_f32_e32 v35, v42, v41
	v_exp_f32_e32 v34, v34
	v_mul_f32_e32 v35, 0x3fb8aa3b, v35
	v_sub_f32_e32 v37, v43, v41
	v_exp_f32_e32 v35, v35
	;; [unrolled: 3-line block ×3, first 2 shown]
	v_mul_f32_e32 v40, 0x3fb8aa3b, v40
	v_exp_f32_e32 v40, v40
	v_cndmask_b32_e32 v34, 0, v34, vcc
	v_add_f32_e32 v36, 0, v34
	v_cndmask_b32_e64 v35, 0, v35, s[0:1]
	v_add_f32_e32 v42, v36, v35
	v_cndmask_b32_e64 v36, 0, v37, s[8:9]
	;; [unrolled: 2-line block ×3, first 2 shown]
	v_add_f32_e32 v40, v42, v37
	;;#ASMSTART
	v_nop
 v_nop
 v_add_f32_dpp v40, v40, v40 row_ror:4
	;;#ASMEND
	v_cmp_gt_u32_e32 vcc, 4, v1
	;;#ASMSTART
	v_nop
 v_nop
 v_add_f32_dpp v40, v40, v40 row_ror:8
	;;#ASMEND
	ds_bpermute_b32 v40, v44, v40
	s_waitcnt lgkmcnt(0)
	;;#ASMSTART
	v_nop
 v_nop
 v_add_f32_dpp v40, v40, v40 row_ror:4
	;;#ASMEND
	s_nop 0
	;;#ASMSTART
	v_nop
 v_nop
 v_add_f32_dpp v40, v40, v40 row_ror:8
	;;#ASMEND
	s_and_saveexec_b64 s[0:1], vcc
	s_cbranch_execz .LBB1309_16
; %bb.15:
	v_mul_u32_u24_e32 v42, 20, v38
	v_lshl_add_u32 v42, v39, 2, v42
	v_add_u32_e32 v42, 0x1400, v42
	ds_write2_b32 v42, v41, v40 offset1:20
.LBB1309_16:
	s_or_b64 exec, exec, s[0:1]
.LBB1309_17:
	s_or_b64 exec, exec, s[30:31]
	s_waitcnt lgkmcnt(0)
	s_barrier
	s_load_dword s0, s[28:29], 0x8
	v_lshlrev_b32_e32 v40, 2, v39
	v_add_u32_e32 v40, 0x1400, v40
	ds_read2_b32 v[44:45], v40 offset1:5
	ds_read2_b32 v[46:47], v40 offset0:10 offset1:15
	s_mul_i32 s1, s2, s5
	s_waitcnt lgkmcnt(0)
	s_mul_i32 s1, s1, s0
	s_lshl_b32 s0, s1, 1
	s_mov_b32 s1, 0xff7fffff
	v_max3_f32 v42, v44, s1, v45
	v_max3_f32 v42, v42, v46, v47
	v_sub_f32_e32 v43, v44, v42
	v_sub_f32_e32 v44, v45, v42
	ds_read2_b32 v[48:49], v40 offset0:20 offset1:25
	v_mul_f32_e32 v43, 0x3fb8aa3b, v43
	v_mul_f32_e32 v44, 0x3fb8aa3b, v44
	v_exp_f32_e32 v43, v43
	v_exp_f32_e32 v50, v44
	ds_read2_b32 v[44:45], v40 offset0:30 offset1:35
	v_sub_f32_e32 v40, v46, v42
	v_mul_f32_e32 v40, 0x3fb8aa3b, v40
	v_sub_f32_e32 v46, v47, v42
	v_exp_f32_e32 v40, v40
	v_mul_f32_e32 v46, 0x3fb8aa3b, v46
	v_exp_f32_e32 v46, v46
	s_waitcnt lgkmcnt(1)
	v_fma_f32 v43, v43, v48, 0
	v_fmac_f32_e32 v43, v50, v49
	s_waitcnt lgkmcnt(0)
	v_fmac_f32_e32 v43, v40, v44
	s_lshl_b32 s8, s4, 1
	v_fmac_f32_e32 v43, v46, v45
	v_cmp_gt_u32_e32 vcc, 2, v39
	s_and_saveexec_b64 s[2:3], vcc
	s_cbranch_execz .LBB1309_19
; %bb.18:
	s_mov_b32 s1, 0
	s_lshl_b64 s[10:11], s[0:1], 2
	s_add_u32 s4, s16, s10
	s_mov_b32 s25, s1
	s_addc_u32 s9, s17, s11
	s_lshl_b64 s[12:13], s[24:25], 2
	s_add_u32 s16, s4, s12
	s_addc_u32 s17, s9, s13
	s_add_u32 s1, s18, s10
	s_addc_u32 s4, s19, s11
	v_or_b32_e32 v39, s8, v39
	s_add_u32 s10, s1, s12
	v_mul_lo_u32 v44, s5, v39
	v_mov_b32_e32 v45, 0
	s_addc_u32 s11, s4, s13
	v_lshlrev_b64 v[44:45], 2, v[44:45]
	v_lshl_add_u64 v[46:47], s[16:17], 0, v[44:45]
	v_lshl_add_u64 v[44:45], s[10:11], 0, v[44:45]
	global_store_dword v[44:45], v42, off
	global_store_dword v[46:47], v43, off
.LBB1309_19:
	s_or_b64 exec, exec, s[2:3]
	v_lshlrev_b32_e32 v40, 3, v38
                                        ; implicit-def: $sgpr1
	s_and_saveexec_b64 s[2:3], s[6:7]
	s_xor_b64 s[2:3], exec, s[2:3]
	s_cbranch_execz .LBB1309_21
; %bb.20:
	s_waitcnt vmcnt(6)
	v_mov_b32_e32 v2, 0
	v_mad_u32_u24 v4, v1, 40, v40
	s_mov_b32 s1, 0
	v_mov_b32_e32 v3, v2
	ds_write_b64 v4, v[2:3]
                                        ; implicit-def: $vgpr37
                                        ; implicit-def: $vgpr35
                                        ; implicit-def: $vgpr41
                                        ; implicit-def: $vgpr26_vgpr27
                                        ; implicit-def: $vgpr18_vgpr19
                                        ; implicit-def: $vgpr22_vgpr23
                                        ; implicit-def: $vgpr30_vgpr31
                                        ; implicit-def: $vgpr10_vgpr11
                                        ; implicit-def: $vgpr2_vgpr3
                                        ; implicit-def: $vgpr6_vgpr7
                                        ; implicit-def: $vgpr14_vgpr15
                                        ; implicit-def: $vgpr42
                                        ; implicit-def: $vgpr43
.LBB1309_21:
	s_or_saveexec_b64 s[2:3], s[2:3]
	v_mov_b32_e32 v38, s1
	v_mov_b32_e32 v39, s1
	s_xor_b64 exec, exec, s[2:3]
	s_cbranch_execz .LBB1309_23
; %bb.22:
	v_add_f32_e32 v38, 0x358637bd, v43
	v_div_scale_f32 v39, s[6:7], v38, v38, 1.0
	v_rcp_f32_e32 v43, v39
	v_sub_f32_e32 v41, v41, v42
	v_mul_f32_e32 v41, 0x3fb8aa3b, v41
	v_exp_f32_e32 v41, v41
	v_fma_f32 v42, -v39, v43, 1.0
	v_fmac_f32_e32 v43, v42, v43
	v_div_scale_f32 v42, vcc, 1.0, v38, 1.0
	v_mul_f32_e32 v44, v42, v43
	v_fma_f32 v45, -v39, v44, v42
	v_fmac_f32_e32 v44, v45, v43
	v_fma_f32 v39, -v39, v44, v42
	v_div_fmas_f32 v39, v39, v43, v44
	v_div_fixup_f32 v38, v39, v38, 1.0
	v_mul_f32_e32 v38, v41, v38
	v_pk_mul_f32 v[34:35], v[34:35], v[38:39] op_sel_hi:[1,0]
	v_pk_mul_f32 v[36:37], v[36:37], v[38:39] op_sel_hi:[1,0]
	v_bfe_u32 v38, v35, 16, 1
	v_bfe_u32 v39, v34, 16, 1
	s_movk_i32 s1, 0x7fff
	v_add3_u32 v34, v34, v39, s1
	v_add3_u32 v35, v35, v38, s1
	s_mov_b32 s6, 0x7060302
	v_perm_b32 v34, v35, v34, s6
	v_bfe_u32 v35, v37, 16, 1
	v_bfe_u32 v38, v36, 16, 1
	v_add3_u32 v36, v36, v38, s1
	v_add3_u32 v35, v37, v35, s1
	v_perm_b32 v35, v35, v36, s6
	s_waitcnt vmcnt(5)
	v_cvt_pk_f32_fp8_e32 v[36:37], v26
	v_cvt_pk_f32_fp8_sdwa v[38:39], v26 src0_sel:WORD_1
	v_cvt_pk_f32_fp8_e32 v[42:43], v27
	v_cvt_pk_f32_fp8_sdwa v[26:27], v27 src0_sel:WORD_1
	v_perm_b32 v36, v37, v36, s6
	v_perm_b32 v37, v39, v38, s6
	;; [unrolled: 1-line block ×4, first 2 shown]
	v_mfma_f32_4x4x4_16b_bf16 a[0:3], v[34:35], v[36:37], 0 cbsz:4
	v_cvt_pk_f32_fp8_e32 v[26:27], v28
	v_cvt_pk_f32_fp8_sdwa v[36:37], v28 src0_sel:WORD_1
	v_mfma_f32_4x4x4_16b_bf16 a[0:3], v[34:35], v[38:39], a[0:3] cbsz:4 abid:1
	v_cvt_pk_f32_fp8_e32 v[38:39], v29
	v_cvt_pk_f32_fp8_sdwa v[28:29], v29 src0_sel:WORD_1
	v_perm_b32 v26, v27, v26, s6
	v_perm_b32 v27, v37, v36, s6
	v_perm_b32 v36, v39, v38, s6
	v_perm_b32 v37, v29, v28, s6
	v_mfma_f32_4x4x4_16b_bf16 a[0:3], v[34:35], v[26:27], a[0:3] cbsz:4 abid:2
	v_cvt_pk_f32_fp8_e32 v[26:27], v18
	v_cvt_pk_f32_fp8_sdwa v[28:29], v18 src0_sel:WORD_1
	v_mfma_f32_4x4x4_16b_bf16 a[0:3], v[34:35], v[36:37], a[0:3] cbsz:4 abid:3
	v_cvt_pk_f32_fp8_e32 v[36:37], v19
	v_cvt_pk_f32_fp8_sdwa v[18:19], v19 src0_sel:WORD_1
	v_perm_b32 v26, v27, v26, s6
	v_perm_b32 v27, v29, v28, s6
	v_perm_b32 v28, v37, v36, s6
	v_perm_b32 v29, v19, v18, s6
	v_mfma_f32_4x4x4_16b_bf16 a[0:3], v[34:35], v[26:27], a[0:3] cbsz:4 abid:4
	v_cvt_pk_f32_fp8_e32 v[18:19], v20
	v_cvt_pk_f32_fp8_sdwa v[26:27], v20 src0_sel:WORD_1
	v_mfma_f32_4x4x4_16b_bf16 a[0:3], v[34:35], v[28:29], a[0:3] cbsz:4 abid:5
	v_cvt_pk_f32_fp8_e32 v[28:29], v21
	v_cvt_pk_f32_fp8_sdwa v[20:21], v21 src0_sel:WORD_1
	v_perm_b32 v18, v19, v18, s6
	v_perm_b32 v19, v27, v26, s6
	v_perm_b32 v26, v29, v28, s6
	v_perm_b32 v27, v21, v20, s6
	v_mfma_f32_4x4x4_16b_bf16 a[0:3], v[34:35], v[18:19], a[0:3] cbsz:4 abid:6
	s_waitcnt vmcnt(3)
	v_cvt_pk_f32_fp8_e32 v[18:19], v22
	v_cvt_pk_f32_fp8_sdwa v[20:21], v22 src0_sel:WORD_1
	v_mfma_f32_4x4x4_16b_bf16 a[0:3], v[34:35], v[26:27], a[0:3] cbsz:4 abid:7
	v_cvt_pk_f32_fp8_e32 v[26:27], v23
	v_cvt_pk_f32_fp8_sdwa v[22:23], v23 src0_sel:WORD_1
	v_perm_b32 v18, v19, v18, s6
	v_perm_b32 v19, v21, v20, s6
	;; [unrolled: 1-line block ×4, first 2 shown]
	v_mfma_f32_4x4x4_16b_bf16 a[0:3], v[34:35], v[18:19], a[0:3] cbsz:4 abid:8
	v_cvt_pk_f32_fp8_e32 v[18:19], v24
	v_cvt_pk_f32_fp8_e32 v[22:23], v25
	v_mfma_f32_4x4x4_16b_bf16 a[0:3], v[34:35], v[20:21], a[0:3] cbsz:4 abid:9
	v_cvt_pk_f32_fp8_sdwa v[20:21], v24 src0_sel:WORD_1
	v_cvt_pk_f32_fp8_sdwa v[24:25], v25 src0_sel:WORD_1
	v_perm_b32 v18, v19, v18, s6
	s_load_dword s4, s[14:15], 0x0
	v_perm_b32 v19, v21, v20, s6
	v_perm_b32 v20, v23, v22, s6
	;; [unrolled: 1-line block ×3, first 2 shown]
	v_mfma_f32_4x4x4_16b_bf16 a[0:3], v[34:35], v[18:19], a[0:3] cbsz:4 abid:10
	s_waitcnt vmcnt(1)
	v_cvt_pk_f32_fp8_e32 v[18:19], v30
	v_cvt_pk_f32_fp8_e32 v[22:23], v31
	v_mfma_f32_4x4x4_16b_bf16 a[0:3], v[34:35], v[20:21], a[0:3] cbsz:4 abid:11
	v_cvt_pk_f32_fp8_sdwa v[20:21], v30 src0_sel:WORD_1
	v_cvt_pk_f32_fp8_sdwa v[24:25], v31 src0_sel:WORD_1
	v_perm_b32 v18, v19, v18, s6
	v_perm_b32 v19, v21, v20, s6
	;; [unrolled: 1-line block ×3, first 2 shown]
	s_nop 0
	v_mfma_f32_4x4x4_16b_bf16 a[0:3], v[34:35], v[18:19], a[0:3] cbsz:4 abid:12
	v_perm_b32 v21, v25, v24, s6
	v_cvt_pk_f32_fp8_e32 v[18:19], v32
	v_cvt_pk_f32_fp8_e32 v[22:23], v33
	v_mfma_f32_4x4x4_16b_bf16 a[0:3], v[34:35], v[20:21], a[0:3] cbsz:4 abid:13
	v_cvt_pk_f32_fp8_sdwa v[20:21], v32 src0_sel:WORD_1
	v_cvt_pk_f32_fp8_sdwa v[24:25], v33 src0_sel:WORD_1
	v_perm_b32 v18, v19, v18, s6
	v_perm_b32 v19, v21, v20, s6
	;; [unrolled: 1-line block ×3, first 2 shown]
	s_nop 0
	v_mfma_f32_4x4x4_16b_bf16 a[0:3], v[34:35], v[18:19], a[0:3] cbsz:4 abid:14
	v_perm_b32 v21, v25, v24, s6
	s_nop 1
	v_mfma_f32_4x4x4_16b_bf16 a[0:3], v[34:35], v[20:21], a[0:3] cbsz:4 abid:15
	s_nop 4
	v_accvgpr_read_b32 v21, a1
	v_accvgpr_read_b32 v20, a0
	s_waitcnt lgkmcnt(0)
	v_pk_mul_f32 v[20:21], v[20:21], s[4:5] op_sel_hi:[1,0]
	v_accvgpr_read_b32 v19, a3
	v_accvgpr_read_b32 v18, a2
	v_bfe_u32 v22, v21, 16, 1
	v_bfe_u32 v23, v20, 16, 1
	v_pk_mul_f32 v[18:19], v[18:19], s[4:5] op_sel_hi:[1,0]
	v_add3_u32 v20, v20, v23, s1
	v_add3_u32 v21, v21, v22, s1
	v_perm_b32 v20, v21, v20, s6
	v_bfe_u32 v21, v19, 16, 1
	v_bfe_u32 v22, v18, 16, 1
	v_add3_u32 v18, v18, v22, s1
	v_add3_u32 v19, v19, v21, s1
	v_perm_b32 v21, v19, v18, s6
	v_mad_u32_u24 v18, v1, 40, v40
	ds_write_b64 v18, v[20:21]
	v_cvt_pk_f32_fp8_e32 v[18:19], v10
	v_cvt_pk_f32_fp8_sdwa v[20:21], v10 src0_sel:WORD_1
	v_cvt_pk_f32_fp8_e32 v[22:23], v11
	v_cvt_pk_f32_fp8_sdwa v[10:11], v11 src0_sel:WORD_1
	v_perm_b32 v18, v19, v18, s6
	v_perm_b32 v19, v21, v20, s6
	;; [unrolled: 1-line block ×4, first 2 shown]
	v_mfma_f32_4x4x4_16b_bf16 a[0:3], v[34:35], v[18:19], 0 cbsz:4
	v_cvt_pk_f32_fp8_e32 v[10:11], v12
	v_cvt_pk_f32_fp8_sdwa v[18:19], v12 src0_sel:WORD_1
	v_mfma_f32_4x4x4_16b_bf16 a[0:3], v[34:35], v[20:21], a[0:3] cbsz:4 abid:1
	v_cvt_pk_f32_fp8_e32 v[20:21], v13
	v_cvt_pk_f32_fp8_sdwa v[12:13], v13 src0_sel:WORD_1
	v_perm_b32 v10, v11, v10, s6
	v_perm_b32 v11, v19, v18, s6
	v_perm_b32 v18, v21, v20, s6
	v_perm_b32 v19, v13, v12, s6
	v_mfma_f32_4x4x4_16b_bf16 a[0:3], v[34:35], v[10:11], a[0:3] cbsz:4 abid:2
	v_cvt_pk_f32_fp8_e32 v[10:11], v2
	v_cvt_pk_f32_fp8_sdwa v[12:13], v2 src0_sel:WORD_1
	v_mfma_f32_4x4x4_16b_bf16 a[0:3], v[34:35], v[18:19], a[0:3] cbsz:4 abid:3
	v_cvt_pk_f32_fp8_e32 v[18:19], v3
	v_cvt_pk_f32_fp8_sdwa v[2:3], v3 src0_sel:WORD_1
	v_perm_b32 v10, v11, v10, s6
	v_perm_b32 v11, v13, v12, s6
	v_perm_b32 v12, v19, v18, s6
	v_perm_b32 v13, v3, v2, s6
	v_mfma_f32_4x4x4_16b_bf16 a[0:3], v[34:35], v[10:11], a[0:3] cbsz:4 abid:4
	;; [unrolled: 10-line block ×4, first 2 shown]
	v_cvt_pk_f32_fp8_e32 v[2:3], v8
	v_cvt_pk_f32_fp8_e32 v[6:7], v9
	v_mfma_f32_4x4x4_16b_bf16 a[0:3], v[34:35], v[4:5], a[0:3] cbsz:4 abid:9
	v_cvt_pk_f32_fp8_sdwa v[4:5], v8 src0_sel:WORD_1
	v_cvt_pk_f32_fp8_sdwa v[8:9], v9 src0_sel:WORD_1
	v_perm_b32 v2, v3, v2, s6
	v_perm_b32 v3, v5, v4, s6
	;; [unrolled: 1-line block ×3, first 2 shown]
	s_nop 0
	v_mfma_f32_4x4x4_16b_bf16 a[0:3], v[34:35], v[2:3], a[0:3] cbsz:4 abid:10
	v_perm_b32 v5, v9, v8, s6
	s_waitcnt vmcnt(0)
	v_cvt_pk_f32_fp8_e32 v[2:3], v14
	v_cvt_pk_f32_fp8_e32 v[6:7], v15
	v_mfma_f32_4x4x4_16b_bf16 a[0:3], v[34:35], v[4:5], a[0:3] cbsz:4 abid:11
	v_cvt_pk_f32_fp8_sdwa v[4:5], v14 src0_sel:WORD_1
	v_cvt_pk_f32_fp8_sdwa v[8:9], v15 src0_sel:WORD_1
	v_perm_b32 v2, v3, v2, s6
	v_perm_b32 v3, v5, v4, s6
	;; [unrolled: 1-line block ×3, first 2 shown]
	s_nop 0
	v_mfma_f32_4x4x4_16b_bf16 a[0:3], v[34:35], v[2:3], a[0:3] cbsz:4 abid:12
	v_perm_b32 v5, v9, v8, s6
	v_cvt_pk_f32_fp8_e32 v[2:3], v16
	v_cvt_pk_f32_fp8_e32 v[6:7], v17
	v_mfma_f32_4x4x4_16b_bf16 a[0:3], v[34:35], v[4:5], a[0:3] cbsz:4 abid:13
	v_cvt_pk_f32_fp8_sdwa v[4:5], v16 src0_sel:WORD_1
	v_cvt_pk_f32_fp8_sdwa v[8:9], v17 src0_sel:WORD_1
	v_perm_b32 v2, v3, v2, s6
	v_perm_b32 v3, v5, v4, s6
	;; [unrolled: 1-line block ×3, first 2 shown]
	s_nop 0
	v_mfma_f32_4x4x4_16b_bf16 a[0:3], v[34:35], v[2:3], a[0:3] cbsz:4 abid:14
	v_perm_b32 v5, v9, v8, s6
	s_nop 1
	v_mfma_f32_4x4x4_16b_bf16 a[0:3], v[34:35], v[4:5], a[0:3] cbsz:4 abid:15
	s_nop 4
	v_accvgpr_read_b32 v5, a1
	v_accvgpr_read_b32 v4, a0
	;; [unrolled: 1-line block ×4, first 2 shown]
	v_pk_mul_f32 v[4:5], v[4:5], s[4:5] op_sel_hi:[1,0]
	v_pk_mul_f32 v[2:3], v[2:3], s[4:5] op_sel_hi:[1,0]
	v_bfe_u32 v6, v5, 16, 1
	v_bfe_u32 v7, v4, 16, 1
	v_add3_u32 v4, v4, v7, s1
	v_add3_u32 v5, v5, v6, s1
	v_bfe_u32 v6, v3, 16, 1
	v_bfe_u32 v7, v2, 16, 1
	v_add3_u32 v2, v2, v7, s1
	v_add3_u32 v3, v3, v6, s1
	v_perm_b32 v39, v3, v2, s6
	v_perm_b32 v38, v5, v4, s6
.LBB1309_23:
	s_or_b64 exec, exec, s[2:3]
	s_waitcnt vmcnt(6)
	v_mad_u32_u24 v2, v1, 40, v40
	v_cmp_gt_u32_e32 vcc, 64, v0
	ds_write_b64 v2, v[38:39] offset:2560
	s_waitcnt lgkmcnt(0)
	s_barrier
	s_and_saveexec_b64 s[2:3], vcc
	s_cbranch_execz .LBB1309_25
; %bb.24:
	s_waitcnt vmcnt(2)
	v_mul_u32_u24_e32 v6, 40, v1
	ds_read2_b64 v[2:5], v6 offset1:1
	ds_read2_b64 v[6:9], v6 offset0:2 offset1:3
	s_mov_b32 s1, 0
	s_lshl_b32 s0, s0, 7
	s_lshl_b64 s[2:3], s[0:1], 1
	s_waitcnt lgkmcnt(1)
	v_and_b32_e32 v3, 0xffff0000, v2
	v_add_f32_e32 v3, 0, v3
	v_and_b32_e32 v5, 0xffff0000, v4
	v_and_b32_e32 v3, 0xffff0000, v3
	v_add_f32_e32 v3, v3, v5
	s_waitcnt lgkmcnt(0)
	v_and_b32_e32 v7, 0xffff0000, v6
	v_and_b32_e32 v3, 0xffff0000, v3
	v_add_f32_e32 v3, v3, v7
	v_mov_b32_e32 v7, 0xa00
	v_mad_u32_u24 v7, v1, 40, v7
	ds_read2_b64 v[10:13], v7 offset1:1
	v_and_b32_e32 v3, 0xffff0000, v3
	v_and_b32_e32 v5, 0xffff0000, v8
	v_add_f32_e32 v7, v3, v5
	v_mov_b32_e32 v3, 0xa10
	v_mad_u32_u24 v1, v1, 40, v3
	s_waitcnt vmcnt(0)
	ds_read2_b64 v[14:17], v1 offset1:1
	s_waitcnt lgkmcnt(1)
	v_lshlrev_b32_e32 v1, 16, v10
	v_add_f32_e32 v1, 0, v1
	v_and_b32_e32 v3, 0xffff0000, v10
	v_and_b32_e32 v1, 0xffff0000, v1
	v_add_f32_e32 v3, 0, v3
	v_lshlrev_b32_e32 v5, 16, v12
	v_and_b32_e32 v3, 0xffff0000, v3
	v_add_f32_e32 v1, v1, v5
	v_and_b32_e32 v5, 0xffff0000, v12
	v_and_b32_e32 v1, 0xffff0000, v1
	v_add_f32_e32 v3, v3, v5
	s_waitcnt lgkmcnt(0)
	v_lshlrev_b32_e32 v5, 16, v14
	v_and_b32_e32 v3, 0xffff0000, v3
	v_add_f32_e32 v1, v1, v5
	v_and_b32_e32 v5, 0xffff0000, v14
	v_and_b32_e32 v1, 0xffff0000, v1
	v_add_f32_e32 v3, v3, v5
	v_lshlrev_b32_e32 v5, 16, v16
	v_and_b32_e32 v3, 0xffff0000, v3
	v_add_f32_e32 v9, v1, v5
	v_and_b32_e32 v1, 0xffff0000, v16
	v_add_f32_e32 v10, v3, v1
	v_lshlrev_b32_e32 v1, 16, v2
	s_add_u32 s2, s26, s2
	v_add_f32_e32 v1, 0, v1
	s_addc_u32 s3, s27, s3
	s_lshl_b32 s0, s24, 7
	v_and_b32_e32 v1, 0xffff0000, v1
	v_lshlrev_b32_e32 v2, 16, v4
	s_lshl_b64 s[0:1], s[0:1], 1
	v_add_f32_e32 v1, v1, v2
	s_add_u32 s0, s2, s0
	v_and_b32_e32 v1, 0xffff0000, v1
	v_lshlrev_b32_e32 v2, 16, v6
	s_addc_u32 s1, s3, s1
	s_lshl_b32 s2, s5, 7
	v_add_f32_e32 v1, v1, v2
	v_and_b32_e32 v1, 0xffff0000, v1
	v_lshlrev_b32_e32 v2, 16, v8
	s_mul_i32 s3, s2, s8
	v_add_f32_e32 v1, v1, v2
	v_or_b32_e32 v2, s3, v0
	v_mov_b32_e32 v3, 0
	s_add_i32 s3, s3, s2
	v_lshl_add_u64 v[4:5], v[2:3], 1, s[0:1]
	v_or_b32_e32 v2, s3, v0
	global_store_short_d16_hi v[4:5], v1, off
	v_lshl_add_u64 v[0:1], v[2:3], 1, s[0:1]
	global_store_short_d16_hi v[0:1], v7, off
	global_store_short_d16_hi v[4:5], v9, off offset:128
	global_store_short_d16_hi v[0:1], v10, off offset:128
.LBB1309_25:
	s_endpgm
	.section	.rodata,"a",@progbits
	.p2align	6, 0x0
	.amdhsa_kernel _Z38paged_attention_ll4mi_QKV_mfma4_kernelI14__hip_bfloat16hLN4vllm18Fp8KVCacheDataTypeE1ES0_Li16ELi128ELi256ELb0ELi2EEvPKT_PKT0_S8_ifPKiSA_SA_iPKfiiiPfSD_PS3_PT2_iSC_SC_
		.amdhsa_group_segment_fixed_size 5280
		.amdhsa_private_segment_fixed_size 0
		.amdhsa_kernarg_size 400
		.amdhsa_user_sgpr_count 2
		.amdhsa_user_sgpr_dispatch_ptr 0
		.amdhsa_user_sgpr_queue_ptr 0
		.amdhsa_user_sgpr_kernarg_segment_ptr 1
		.amdhsa_user_sgpr_dispatch_id 0
		.amdhsa_user_sgpr_kernarg_preload_length 0
		.amdhsa_user_sgpr_kernarg_preload_offset 0
		.amdhsa_user_sgpr_private_segment_size 0
		.amdhsa_uses_dynamic_stack 0
		.amdhsa_enable_private_segment 0
		.amdhsa_system_sgpr_workgroup_id_x 1
		.amdhsa_system_sgpr_workgroup_id_y 1
		.amdhsa_system_sgpr_workgroup_id_z 1
		.amdhsa_system_sgpr_workgroup_info 0
		.amdhsa_system_vgpr_workitem_id 0
		.amdhsa_next_free_vgpr 64
		.amdhsa_next_free_sgpr 42
		.amdhsa_accum_offset 60
		.amdhsa_reserve_vcc 1
		.amdhsa_float_round_mode_32 0
		.amdhsa_float_round_mode_16_64 0
		.amdhsa_float_denorm_mode_32 3
		.amdhsa_float_denorm_mode_16_64 3
		.amdhsa_dx10_clamp 1
		.amdhsa_ieee_mode 1
		.amdhsa_fp16_overflow 0
		.amdhsa_tg_split 0
		.amdhsa_exception_fp_ieee_invalid_op 0
		.amdhsa_exception_fp_denorm_src 0
		.amdhsa_exception_fp_ieee_div_zero 0
		.amdhsa_exception_fp_ieee_overflow 0
		.amdhsa_exception_fp_ieee_underflow 0
		.amdhsa_exception_fp_ieee_inexact 0
		.amdhsa_exception_int_div_zero 0
	.end_amdhsa_kernel
	.section	.text._Z38paged_attention_ll4mi_QKV_mfma4_kernelI14__hip_bfloat16hLN4vllm18Fp8KVCacheDataTypeE1ES0_Li16ELi128ELi256ELb0ELi2EEvPKT_PKT0_S8_ifPKiSA_SA_iPKfiiiPfSD_PS3_PT2_iSC_SC_,"axG",@progbits,_Z38paged_attention_ll4mi_QKV_mfma4_kernelI14__hip_bfloat16hLN4vllm18Fp8KVCacheDataTypeE1ES0_Li16ELi128ELi256ELb0ELi2EEvPKT_PKT0_S8_ifPKiSA_SA_iPKfiiiPfSD_PS3_PT2_iSC_SC_,comdat
.Lfunc_end1309:
	.size	_Z38paged_attention_ll4mi_QKV_mfma4_kernelI14__hip_bfloat16hLN4vllm18Fp8KVCacheDataTypeE1ES0_Li16ELi128ELi256ELb0ELi2EEvPKT_PKT0_S8_ifPKiSA_SA_iPKfiiiPfSD_PS3_PT2_iSC_SC_, .Lfunc_end1309-_Z38paged_attention_ll4mi_QKV_mfma4_kernelI14__hip_bfloat16hLN4vllm18Fp8KVCacheDataTypeE1ES0_Li16ELi128ELi256ELb0ELi2EEvPKT_PKT0_S8_ifPKiSA_SA_iPKfiiiPfSD_PS3_PT2_iSC_SC_
                                        ; -- End function
	.section	.AMDGPU.csdata,"",@progbits
; Kernel info:
; codeLenInByte = 5776
; NumSgprs: 48
; NumVgprs: 60
; NumAgprs: 4
; TotalNumVgprs: 64
; ScratchSize: 0
; MemoryBound: 0
; FloatMode: 240
; IeeeMode: 1
; LDSByteSize: 5280 bytes/workgroup (compile time only)
; SGPRBlocks: 5
; VGPRBlocks: 7
; NumSGPRsForWavesPerEU: 48
; NumVGPRsForWavesPerEU: 64
; AccumOffset: 60
; Occupancy: 8
; WaveLimiterHint : 1
; COMPUTE_PGM_RSRC2:SCRATCH_EN: 0
; COMPUTE_PGM_RSRC2:USER_SGPR: 2
; COMPUTE_PGM_RSRC2:TRAP_HANDLER: 0
; COMPUTE_PGM_RSRC2:TGID_X_EN: 1
; COMPUTE_PGM_RSRC2:TGID_Y_EN: 1
; COMPUTE_PGM_RSRC2:TGID_Z_EN: 1
; COMPUTE_PGM_RSRC2:TIDIG_COMP_CNT: 0
; COMPUTE_PGM_RSRC3_GFX90A:ACCUM_OFFSET: 14
; COMPUTE_PGM_RSRC3_GFX90A:TG_SPLIT: 0
	.section	.text._Z38paged_attention_ll4mi_QKV_mfma4_kernelI14__hip_bfloat16hLN4vllm18Fp8KVCacheDataTypeE1ES0_Li16ELi128ELi256ELb0ELi3EEvPKT_PKT0_S8_ifPKiSA_SA_iPKfiiiPfSD_PS3_PT2_iSC_SC_,"axG",@progbits,_Z38paged_attention_ll4mi_QKV_mfma4_kernelI14__hip_bfloat16hLN4vllm18Fp8KVCacheDataTypeE1ES0_Li16ELi128ELi256ELb0ELi3EEvPKT_PKT0_S8_ifPKiSA_SA_iPKfiiiPfSD_PS3_PT2_iSC_SC_,comdat
	.protected	_Z38paged_attention_ll4mi_QKV_mfma4_kernelI14__hip_bfloat16hLN4vllm18Fp8KVCacheDataTypeE1ES0_Li16ELi128ELi256ELb0ELi3EEvPKT_PKT0_S8_ifPKiSA_SA_iPKfiiiPfSD_PS3_PT2_iSC_SC_ ; -- Begin function _Z38paged_attention_ll4mi_QKV_mfma4_kernelI14__hip_bfloat16hLN4vllm18Fp8KVCacheDataTypeE1ES0_Li16ELi128ELi256ELb0ELi3EEvPKT_PKT0_S8_ifPKiSA_SA_iPKfiiiPfSD_PS3_PT2_iSC_SC_
	.globl	_Z38paged_attention_ll4mi_QKV_mfma4_kernelI14__hip_bfloat16hLN4vllm18Fp8KVCacheDataTypeE1ES0_Li16ELi128ELi256ELb0ELi3EEvPKT_PKT0_S8_ifPKiSA_SA_iPKfiiiPfSD_PS3_PT2_iSC_SC_
	.p2align	8
	.type	_Z38paged_attention_ll4mi_QKV_mfma4_kernelI14__hip_bfloat16hLN4vllm18Fp8KVCacheDataTypeE1ES0_Li16ELi128ELi256ELb0ELi3EEvPKT_PKT0_S8_ifPKiSA_SA_iPKfiiiPfSD_PS3_PT2_iSC_SC_,@function
_Z38paged_attention_ll4mi_QKV_mfma4_kernelI14__hip_bfloat16hLN4vllm18Fp8KVCacheDataTypeE1ES0_Li16ELi128ELi256ELb0ELi3EEvPKT_PKT0_S8_ifPKiSA_SA_iPKfiiiPfSD_PS3_PT2_iSC_SC_: ; @_Z38paged_attention_ll4mi_QKV_mfma4_kernelI14__hip_bfloat16hLN4vllm18Fp8KVCacheDataTypeE1ES0_Li16ELi128ELi256ELb0ELi3EEvPKT_PKT0_S8_ifPKiSA_SA_iPKfiiiPfSD_PS3_PT2_iSC_SC_
; %bb.0:
	s_load_dwordx2 s[20:21], s[0:1], 0x30
	s_mov_b32 s24, s3
	s_mov_b64 s[6:7], 0
	s_waitcnt lgkmcnt(0)
	s_cmp_lg_u64 s[20:21], 0
	s_cselect_b64 s[22:23], -1, 0
	s_and_b64 vcc, exec, s[22:23]
	s_cbranch_vccz .LBB1310_10
; %bb.1:
	s_add_i32 s8, s2, 1
	s_mov_b32 s9, 0
	s_lshl_b64 s[10:11], s[8:9], 2
	s_add_u32 s10, s20, s10
	s_mov_b32 s3, s9
	s_addc_u32 s11, s21, s11
	s_lshl_b64 s[8:9], s[2:3], 2
	s_add_u32 s8, s20, s8
	s_addc_u32 s9, s21, s9
	s_load_dword s5, s[10:11], 0x0
	s_load_dword s12, s[8:9], 0x0
	s_waitcnt lgkmcnt(0)
	s_sub_i32 s5, s5, s12
	s_cmp_eq_u32 s5, 1
	s_cselect_b64 s[8:9], -1, 0
	s_andn2_b64 vcc, exec, s[6:7]
	s_cbranch_vccnz .LBB1310_3
.LBB1310_2:
	s_mov_b32 s3, 0
	s_mov_b64 s[8:9], -1
.LBB1310_3:
	s_andn2_b64 vcc, exec, s[8:9]
	s_cbranch_vccnz .LBB1310_25
; %bb.4:
	s_load_dword s5, s[0:1], 0x9c
	s_load_dwordx2 s[6:7], s[0:1], 0x28
	s_add_u32 s28, s0, 0x90
	s_addc_u32 s29, s1, 0
	s_lshl_b64 s[34:35], s[2:3], 2
	s_waitcnt lgkmcnt(0)
	s_and_b32 s5, s5, 0xffff
	s_add_u32 s6, s6, s34
	s_addc_u32 s7, s7, s35
	s_load_dword s3, s[6:7], 0x0
	s_mul_i32 s10, s24, s5
	s_waitcnt lgkmcnt(0)
	s_cmp_ge_i32 s10, s3
	s_cbranch_scc1 .LBB1310_25
; %bb.5:
	v_and_b32_e32 v1, 0xc0, v0
	v_add_u32_e32 v4, s10, v1
	v_lshrrev_b32_e32 v38, 6, v0
	v_cmp_le_i32_e64 s[6:7], s3, v4
                                        ; implicit-def: $sgpr25
                                        ; implicit-def: $sgpr11
	s_and_saveexec_b64 s[8:9], s[6:7]
	s_xor_b64 s[8:9], exec, s[8:9]
	s_cbranch_execz .LBB1310_7
; %bb.6:
	v_mul_u32_u24_e32 v1, 20, v38
	v_or_b32_e32 v1, 0x1400, v1
	v_mov_b32_e32 v2, 0x1450
	v_mov_b32_e32 v3, 0xff7fffff
	v_mad_u32_u24 v2, v38, 20, v2
	ds_write2_b32 v1, v3, v3 offset1:1
	v_mov_b32_e32 v1, 0
	ds_write2_b32 v2, v1, v1 offset1:1
	v_mov_b32_e32 v2, 0x1408
	v_mov_b32_e32 v4, 0x1458
	s_mov_b32 s11, 0xff7fffff
	s_mov_b32 s25, 0
	v_mad_u32_u24 v2, v38, 20, v2
	v_mad_u32_u24 v4, v38, 20, v4
	ds_write2_b32 v2, v3, v3 offset1:1
	ds_write2_b32 v4, v1, v1 offset1:1
                                        ; implicit-def: $vgpr4
.LBB1310_7:
	s_or_saveexec_b64 s[30:31], s[8:9]
	s_load_dwordx2 s[26:27], s[0:1], 0x68
	s_load_dwordx4 s[16:19], s[0:1], 0x58
	s_load_dword s5, s[28:29], 0x4
	s_load_dwordx4 s[12:15], s[0:1], 0x80
	v_and_b32_e32 v1, 63, v0
	v_and_b32_e32 v39, 3, v0
	v_mov_b32_e32 v37, s25
	v_mov_b32_e32 v41, s11
	;; [unrolled: 1-line block ×5, first 2 shown]
                                        ; implicit-def: $vgpr18_vgpr19
                                        ; implicit-def: $vgpr22_vgpr23
                                        ; implicit-def: $vgpr26_vgpr27
                                        ; implicit-def: $vgpr30_vgpr31
                                        ; implicit-def: $vgpr2_vgpr3
                                        ; implicit-def: $vgpr6_vgpr7
                                        ; implicit-def: $vgpr10_vgpr11
                                        ; implicit-def: $vgpr14_vgpr15
	s_xor_b64 exec, exec, s[30:31]
	s_cbranch_execz .LBB1310_17
; %bb.8:
	s_load_dwordx2 s[8:9], s[0:1], 0x20
	s_load_dword s11, s[0:1], 0x38
	s_add_i32 s25, s3, 15
	s_ashr_i32 s33, s25, 31
	s_lshr_b32 s33, s33, 28
	v_add_u32_e32 v36, s10, v0
	s_add_i32 s25, s25, s33
	v_ashrrev_i32_e32 v2, 31, v36
	s_ashr_i32 s25, s25, 4
	v_lshrrev_b32_e32 v2, 28, v2
	s_add_i32 s25, s25, -1
	s_waitcnt lgkmcnt(0)
	s_mul_i32 s36, s2, s11
	s_mov_b32 s37, 0
	v_add_u32_e32 v2, v36, v2
	s_lshl_b64 s[36:37], s[36:37], 2
	v_ashrrev_i32_e32 v2, 4, v2
	v_mov_b32_e32 v3, s25
	v_cmp_gt_i32_e32 vcc, s3, v36
	s_add_u32 s8, s8, s36
	s_addc_u32 s9, s9, s37
	v_cndmask_b32_e32 v2, v3, v2, vcc
	v_ashrrev_i32_e32 v3, 31, v2
	v_lshl_add_u64 v[10:11], v[2:3], 2, s[8:9]
	v_ashrrev_i32_e32 v2, 31, v4
	v_lshrrev_b32_e32 v2, 28, v2
	v_add_u32_e32 v2, v4, v2
	v_ashrrev_i32_e32 v6, 4, v2
	v_min_i32_e32 v2, s25, v6
	v_ashrrev_i32_e32 v3, 31, v2
	v_lshl_add_u64 v[4:5], v[2:3], 2, s[8:9]
	v_add_u32_e32 v2, 1, v6
	v_min_i32_e32 v2, s25, v2
	v_ashrrev_i32_e32 v3, 31, v2
	v_lshl_add_u64 v[12:13], v[2:3], 2, s[8:9]
	v_add_u32_e32 v2, 2, v6
	;; [unrolled: 4-line block ×3, first 2 shown]
	v_min_i32_e32 v2, s25, v2
	v_ashrrev_i32_e32 v3, 31, v2
	v_lshl_add_u64 v[16:17], v[2:3], 2, s[8:9]
	global_load_dword v2, v[10:11], off
	global_load_dword v6, v[4:5], off
	;; [unrolled: 1-line block ×5, first 2 shown]
	s_load_dwordx4 s[8:11], s[0:1], 0x8
	s_andn2_b64 vcc, exec, s[22:23]
	s_cbranch_vccnz .LBB1310_11
; %bb.9:
	s_add_u32 s20, s20, s34
	s_addc_u32 s21, s21, s35
	s_load_dword s25, s[20:21], 0x0
	s_branch .LBB1310_12
.LBB1310_10:
	s_mov_b64 s[8:9], 0
	s_branch .LBB1310_2
.LBB1310_11:
	s_mov_b32 s25, s2
.LBB1310_12:
	s_load_dwordx4 s[20:23], s[0:1], 0x48
	v_cmp_ne_u32_e32 vcc, 3, v39
	s_mov_b32 s37, 0
	v_mov_b32_e32 v37, 1.0
	v_mov_b32_e32 v3, 0
	v_mov_b32_e32 v14, 0
	;; [unrolled: 1-line block ×5, first 2 shown]
	s_and_saveexec_b64 s[34:35], vcc
	s_cbranch_execz .LBB1310_14
; %bb.13:
	s_load_dwordx2 s[38:39], s[0:1], 0x0
	s_waitcnt lgkmcnt(0)
	s_ashr_i32 s23, s20, 31
	s_mul_hi_u32 s33, s25, s20
	s_mul_i32 s23, s25, s23
	s_add_i32 s41, s33, s23
	s_mul_i32 s40, s25, s20
	s_lshl_b64 s[40:41], s[40:41], 1
	s_add_u32 s20, s38, s40
	s_mul_i32 s36, s4, 0x180
	s_addc_u32 s23, s39, s41
	s_lshl_b64 s[36:37], s[36:37], 1
	v_lshlrev_b32_e32 v4, 2, v1
	s_add_u32 s36, s20, s36
	v_and_b32_e32 v4, 0xf0, v4
	s_addc_u32 s37, s23, s37
	v_lshl_or_b32 v4, v39, 8, v4
	global_load_dwordx4 v[14:17], v4, s[36:37]
	v_mov_b32_e32 v37, 0
.LBB1310_14:
	s_or_b64 exec, exec, s[34:35]
	s_waitcnt lgkmcnt(0)
	s_mul_i32 s20, s4, s22
	s_add_u32 s8, s20, s8
	s_addc_u32 s9, 0, s9
	v_mov_b64_e32 v[4:5], s[8:9]
	s_waitcnt vmcnt(4)
	v_mad_i64_i32 v[4:5], s[8:9], v2, s21, v[4:5]
	v_lshlrev_b32_e32 v2, 4, v0
	v_and_b32_e32 v2, 0xf0, v2
	v_lshl_add_u64 v[4:5], v[4:5], 0, v[2:3]
	global_load_dwordx4 v[10:13], v[4:5], off
	global_load_dwordx4 v[18:21], v[4:5], off offset:256
	s_waitcnt vmcnt(5)
	v_mul_hi_i32 v2, v6, s21
	s_waitcnt vmcnt(4)
	v_mul_hi_i32 v22, v7, s21
	s_waitcnt vmcnt(3)
	v_mul_hi_i32 v24, v8, s21
	s_waitcnt vmcnt(2)
	v_mul_hi_i32 v26, v9, s21
	v_ashrrev_i32_e32 v2, 31, v2
	v_ashrrev_i32_e32 v22, 31, v22
	;; [unrolled: 1-line block ×4, first 2 shown]
	v_mov_b32_e32 v23, v3
	v_mov_b32_e32 v25, v3
	;; [unrolled: 1-line block ×3, first 2 shown]
	v_lshrrev_b32_e32 v22, 29, v22
	v_lshrrev_b32_e32 v24, 29, v24
	;; [unrolled: 1-line block ×4, first 2 shown]
	s_add_u32 s10, s10, s20
	v_mad_i64_i32 v[22:23], s[22:23], v7, s21, v[22:23]
	v_mad_i64_i32 v[24:25], s[22:23], v8, s21, v[24:25]
	;; [unrolled: 1-line block ×4, first 2 shown]
	s_addc_u32 s11, s11, 0
	v_and_b32_e32 v22, -8, v22
	v_and_b32_e32 v24, -8, v24
	v_and_b32_e32 v8, -8, v8
	v_and_b32_e32 v6, -8, v6
	v_lshl_add_u64 v[22:23], s[10:11], 0, v[22:23]
	v_lshl_add_u64 v[24:25], s[10:11], 0, v[24:25]
	;; [unrolled: 1-line block ×3, first 2 shown]
	v_lshlrev_b32_e32 v2, 4, v1
	v_lshl_add_u64 v[6:7], s[10:11], 0, v[6:7]
	v_lshl_add_u64 v[48:49], v[22:23], 0, v[2:3]
	;; [unrolled: 1-line block ×5, first 2 shown]
	s_mov_b32 s8, 0x7060302
	s_load_dword s0, s[0:1], 0x1c
	v_cmp_eq_u32_e32 vcc, 0, v39
	s_load_dword s1, s[12:13], 0x0
	s_waitcnt vmcnt(1)
	v_cvt_pk_f32_fp8_e32 v[6:7], v10
	v_cvt_pk_f32_fp8_sdwa v[8:9], v10 src0_sel:WORD_1
	v_cvt_pk_f32_fp8_e32 v[22:23], v11
	v_cvt_pk_f32_fp8_sdwa v[10:11], v11 src0_sel:WORD_1
	v_perm_b32 v54, v7, v6, s8
	v_perm_b32 v55, v9, v8, s8
	global_load_dwordx4 v[6:9], v[4:5], off offset:512
	v_cvt_pk_f32_fp8_e32 v[24:25], v12
	v_cvt_pk_f32_fp8_sdwa v[26:27], v12 src0_sel:WORD_1
	v_cvt_pk_f32_fp8_e32 v[28:29], v13
	v_cvt_pk_f32_fp8_sdwa v[30:31], v13 src0_sel:WORD_1
	v_perm_b32 v22, v23, v22, s8
	v_perm_b32 v23, v11, v10, s8
	global_load_dwordx4 v[10:13], v[4:5], off offset:768
	v_perm_b32 v24, v25, v24, s8
	v_perm_b32 v25, v27, v26, s8
	;; [unrolled: 1-line block ×3, first 2 shown]
	global_load_dwordx4 v[26:29], v[4:5], off offset:1024
	s_waitcnt vmcnt(3)
	v_cvt_pk_f32_fp8_e32 v[32:33], v18
	v_perm_b32 v57, v31, v30, s8
	v_cvt_pk_f32_fp8_sdwa v[40:41], v18 src0_sel:WORD_1
	v_cvt_pk_f32_fp8_e32 v[42:43], v19
	v_perm_b32 v58, v33, v32, s8
	global_load_dwordx4 v[30:33], v[4:5], off offset:1280
	v_perm_b32 v59, v41, v40, s8
	v_perm_b32 v60, v43, v42, s8
	global_load_dwordx4 v[40:43], v[4:5], off offset:1536
	v_cvt_pk_f32_fp8_e32 v[44:45], v20
	v_cvt_pk_f32_fp8_sdwa v[46:47], v20 src0_sel:WORD_1
	v_mfma_f32_4x4x4_16b_bf16 a[0:3], v[14:15], v[54:55], 0 cbsz:4
	v_cvt_pk_f32_fp8_sdwa v[18:19], v19 src0_sel:WORD_1
	v_perm_b32 v62, v45, v44, s8
	v_perm_b32 v63, v47, v46, s8
	global_load_dwordx4 v[44:47], v[4:5], off offset:1792
	v_mfma_f32_4x4x4_16b_bf16 a[0:3], v[16:17], v[22:23], a[0:3] cbsz:4
	v_cvt_pk_f32_fp8_e32 v[52:53], v21
	v_cvt_pk_f32_fp8_sdwa v[20:21], v21 src0_sel:WORD_1
	v_mfma_f32_4x4x4_16b_bf16 a[0:3], v[14:15], v[24:25], a[0:3] cbsz:4 abid:1
	v_perm_b32 v61, v19, v18, s8
	v_perm_b32 v52, v53, v52, s8
	v_mfma_f32_4x4x4_16b_bf16 a[0:3], v[16:17], v[56:57], a[0:3] cbsz:4 abid:1
	v_perm_b32 v53, v21, v20, s8
	s_waitcnt vmcnt(5)
	v_cvt_pk_f32_fp8_e32 v[18:19], v6
	v_mfma_f32_4x4x4_16b_bf16 a[0:3], v[14:15], v[58:59], a[0:3] cbsz:4 abid:2
	v_cvt_pk_f32_fp8_sdwa v[20:21], v6 src0_sel:WORD_1
	v_cvt_pk_f32_fp8_e32 v[24:25], v7
	v_mfma_f32_4x4x4_16b_bf16 a[0:3], v[16:17], v[60:61], a[0:3] cbsz:4 abid:2
	v_cvt_pk_f32_fp8_sdwa v[6:7], v7 src0_sel:WORD_1
	v_perm_b32 v22, v19, v18, s8
	v_mfma_f32_4x4x4_16b_bf16 a[0:3], v[14:15], v[62:63], a[0:3] cbsz:4 abid:3
	v_perm_b32 v23, v21, v20, s8
	v_perm_b32 v24, v25, v24, s8
	v_mfma_f32_4x4x4_16b_bf16 a[0:3], v[16:17], v[52:53], a[0:3] cbsz:4 abid:3
	v_perm_b32 v25, v7, v6, s8
	v_cvt_pk_f32_fp8_sdwa v[6:7], v8 src0_sel:WORD_1
	v_mfma_f32_4x4x4_16b_bf16 a[0:3], v[14:15], v[22:23], a[0:3] cbsz:4 abid:4
	v_cvt_pk_f32_fp8_e32 v[22:23], v8
	s_waitcnt vmcnt(4)
	v_cvt_pk_f32_fp8_e32 v[52:53], v11
	v_mfma_f32_4x4x4_16b_bf16 a[0:3], v[16:17], v[24:25], a[0:3] cbsz:4 abid:4
	v_cvt_pk_f32_fp8_e32 v[24:25], v9
	v_cvt_pk_f32_fp8_sdwa v[8:9], v9 src0_sel:WORD_1
	v_perm_b32 v22, v23, v22, s8
	v_perm_b32 v23, v7, v6, s8
	;; [unrolled: 1-line block ×4, first 2 shown]
	v_mfma_f32_4x4x4_16b_bf16 a[0:3], v[14:15], v[22:23], a[0:3] cbsz:4 abid:5
	v_cvt_pk_f32_fp8_e32 v[8:9], v10
	v_cvt_pk_f32_fp8_e32 v[54:55], v13
	v_mfma_f32_4x4x4_16b_bf16 a[0:3], v[16:17], v[6:7], a[0:3] cbsz:4 abid:5
	v_cvt_pk_f32_fp8_sdwa v[6:7], v10 src0_sel:WORD_1
	v_cvt_pk_f32_fp8_sdwa v[10:11], v11 src0_sel:WORD_1
	v_perm_b32 v8, v9, v8, s8
	global_load_dwordx4 v[18:21], v[2:3], off
	v_perm_b32 v9, v7, v6, s8
	v_perm_b32 v6, v53, v52, s8
	;; [unrolled: 1-line block ×3, first 2 shown]
	v_cvt_pk_f32_fp8_e32 v[10:11], v12
	v_cvt_pk_f32_fp8_sdwa v[52:53], v12 src0_sel:WORD_1
	v_mfma_f32_4x4x4_16b_bf16 a[0:3], v[14:15], v[8:9], a[0:3] cbsz:4 abid:6
	v_cvt_pk_f32_fp8_sdwa v[12:13], v13 src0_sel:WORD_1
	v_perm_b32 v10, v11, v10, s8
	v_mfma_f32_4x4x4_16b_bf16 a[0:3], v[16:17], v[6:7], a[0:3] cbsz:4 abid:6
	v_perm_b32 v11, v53, v52, s8
	global_load_dwordx4 v[2:5], v[2:3], off offset:1024
	s_waitcnt vmcnt(5)
	v_cvt_pk_f32_fp8_sdwa v[52:53], v29 src0_sel:WORD_1
	global_load_dwordx4 v[22:25], v[48:49], off
	global_load_dwordx4 v[6:9], v[48:49], off offset:1024
	v_perm_b32 v49, v13, v12, s8
	v_mfma_f32_4x4x4_16b_bf16 a[0:3], v[14:15], v[10:11], a[0:3] cbsz:4 abid:7
	v_cvt_pk_f32_fp8_e32 v[10:11], v26
	v_cvt_pk_f32_fp8_sdwa v[12:13], v26 src0_sel:WORD_1
	v_perm_b32 v48, v55, v54, s8
	v_perm_b32 v10, v11, v10, s8
	s_nop 0
	v_mfma_f32_4x4x4_16b_bf16 a[0:3], v[16:17], v[48:49], a[0:3] cbsz:4 abid:7
	v_cvt_pk_f32_fp8_e32 v[48:49], v27
	v_cvt_pk_f32_fp8_sdwa v[26:27], v27 src0_sel:WORD_1
	v_perm_b32 v11, v13, v12, s8
	v_perm_b32 v12, v49, v48, s8
	s_nop 0
	v_mfma_f32_4x4x4_16b_bf16 a[0:3], v[14:15], v[10:11], a[0:3] cbsz:4 abid:8
	v_perm_b32 v13, v27, v26, s8
	v_cvt_pk_f32_fp8_e32 v[10:11], v28
	v_cvt_pk_f32_fp8_e32 v[48:49], v29
	v_mfma_f32_4x4x4_16b_bf16 a[0:3], v[16:17], v[12:13], a[0:3] cbsz:4 abid:8
	v_cvt_pk_f32_fp8_sdwa v[12:13], v28 src0_sel:WORD_1
	v_perm_b32 v10, v11, v10, s8
	global_load_dwordx4 v[26:29], v[50:51], off
	v_perm_b32 v11, v13, v12, s8
	v_perm_b32 v12, v49, v48, s8
	s_nop 0
	v_mfma_f32_4x4x4_16b_bf16 a[0:3], v[14:15], v[10:11], a[0:3] cbsz:4 abid:9
	v_perm_b32 v13, v53, v52, s8
	s_waitcnt vmcnt(7)
	v_cvt_pk_f32_fp8_e32 v[10:11], v30
	v_cvt_pk_f32_fp8_e32 v[48:49], v31
	v_mfma_f32_4x4x4_16b_bf16 a[0:3], v[16:17], v[12:13], a[0:3] cbsz:4 abid:9
	v_cvt_pk_f32_fp8_sdwa v[12:13], v30 src0_sel:WORD_1
	v_cvt_pk_f32_fp8_sdwa v[52:53], v31 src0_sel:WORD_1
	v_perm_b32 v30, v11, v10, s8
	v_perm_b32 v48, v49, v48, s8
	;; [unrolled: 1-line block ×3, first 2 shown]
	global_load_dwordx4 v[10:13], v[50:51], off offset:1024
	v_perm_b32 v49, v53, v52, s8
	v_mfma_f32_4x4x4_16b_bf16 a[0:3], v[14:15], v[30:31], a[0:3] cbsz:4 abid:10
	v_cvt_pk_f32_fp8_e32 v[30:31], v32
	v_cvt_pk_f32_fp8_e32 v[50:51], v33
	v_mfma_f32_4x4x4_16b_bf16 a[0:3], v[16:17], v[48:49], a[0:3] cbsz:4 abid:10
	v_cvt_pk_f32_fp8_sdwa v[48:49], v32 src0_sel:WORD_1
	v_cvt_pk_f32_fp8_sdwa v[32:33], v33 src0_sel:WORD_1
	v_perm_b32 v30, v31, v30, s8
	v_perm_b32 v31, v49, v48, s8
	;; [unrolled: 1-line block ×3, first 2 shown]
	s_nop 0
	v_mfma_f32_4x4x4_16b_bf16 a[0:3], v[14:15], v[30:31], a[0:3] cbsz:4 abid:11
	s_waitcnt vmcnt(7)
	v_cvt_pk_f32_fp8_e32 v[30:31], v40
	v_cvt_pk_f32_fp8_sdwa v[32:33], v40 src0_sel:WORD_1
	v_perm_b32 v48, v51, v50, s8
	v_perm_b32 v30, v31, v30, s8
	s_nop 0
	v_mfma_f32_4x4x4_16b_bf16 a[0:3], v[16:17], v[48:49], a[0:3] cbsz:4 abid:11
	v_cvt_pk_f32_fp8_e32 v[48:49], v41
	v_cvt_pk_f32_fp8_sdwa v[40:41], v41 src0_sel:WORD_1
	v_perm_b32 v31, v33, v32, s8
	v_perm_b32 v32, v49, v48, s8
	s_nop 0
	v_mfma_f32_4x4x4_16b_bf16 a[0:3], v[14:15], v[30:31], a[0:3] cbsz:4 abid:12
	v_perm_b32 v33, v41, v40, s8
	v_cvt_pk_f32_fp8_e32 v[30:31], v42
	v_cvt_pk_f32_fp8_e32 v[40:41], v43
	v_mfma_f32_4x4x4_16b_bf16 a[0:3], v[16:17], v[32:33], a[0:3] cbsz:4 abid:12
	v_cvt_pk_f32_fp8_sdwa v[32:33], v42 src0_sel:WORD_1
	v_cvt_pk_f32_fp8_sdwa v[42:43], v43 src0_sel:WORD_1
	v_perm_b32 v30, v31, v30, s8
	v_perm_b32 v31, v33, v32, s8
	;; [unrolled: 1-line block ×3, first 2 shown]
	s_nop 0
	v_mfma_f32_4x4x4_16b_bf16 a[0:3], v[14:15], v[30:31], a[0:3] cbsz:4 abid:13
	v_perm_b32 v33, v43, v42, s8
	s_waitcnt vmcnt(6)
	v_cvt_pk_f32_fp8_e32 v[30:31], v44
	v_cvt_pk_f32_fp8_e32 v[40:41], v45
	v_mfma_f32_4x4x4_16b_bf16 a[0:3], v[16:17], v[32:33], a[0:3] cbsz:4 abid:13
	v_cvt_pk_f32_fp8_sdwa v[32:33], v44 src0_sel:WORD_1
	v_cvt_pk_f32_fp8_sdwa v[42:43], v45 src0_sel:WORD_1
	v_perm_b32 v30, v31, v30, s8
	v_perm_b32 v31, v33, v32, s8
	;; [unrolled: 1-line block ×3, first 2 shown]
	s_nop 0
	v_mfma_f32_4x4x4_16b_bf16 a[0:3], v[14:15], v[30:31], a[0:3] cbsz:4 abid:14
	v_perm_b32 v33, v43, v42, s8
	v_cvt_pk_f32_fp8_e32 v[30:31], v46
	v_cvt_pk_f32_fp8_e32 v[40:41], v47
	v_mfma_f32_4x4x4_16b_bf16 a[0:3], v[16:17], v[32:33], a[0:3] cbsz:4 abid:14
	v_cvt_pk_f32_fp8_sdwa v[32:33], v46 src0_sel:WORD_1
	v_cvt_pk_f32_fp8_sdwa v[42:43], v47 src0_sel:WORD_1
	v_perm_b32 v30, v31, v30, s8
	v_perm_b32 v31, v33, v32, s8
	;; [unrolled: 1-line block ×3, first 2 shown]
	s_nop 0
	v_mfma_f32_4x4x4_16b_bf16 a[0:3], v[14:15], v[30:31], a[0:3] cbsz:4 abid:15
	v_perm_b32 v33, v43, v42, s8
	s_waitcnt lgkmcnt(0)
	v_mov_b32_e32 v14, s0
	v_mfma_f32_4x4x4_16b_bf16 a[0:3], v[16:17], v[32:33], a[0:3] cbsz:4 abid:15
	v_mul_f32_e32 v16, s1, v14
	s_nop 3
	v_accvgpr_read_b32 v31, a1
	v_accvgpr_read_b32 v30, a0
	v_pk_mul_f32 v[30:31], v[30:31], v[16:17] op_sel_hi:[1,0]
	v_accvgpr_read_b32 v15, a3
	v_accvgpr_read_b32 v14, a2
	v_pk_mul_f32 v[40:41], v[14:15], v[16:17] op_sel_hi:[1,0]
	v_cndmask_b32_e64 v14, 0, 1.0, vcc
	v_cmp_eq_u32_e32 vcc, 1, v39
	s_nop 0
	v_mfma_f32_4x4x1_16b_f32 a[0:3], v30, v14, 0
	v_cndmask_b32_e64 v14, 0, 1.0, vcc
	v_cmp_eq_u32_e32 vcc, 2, v39
	s_nop 0
	v_mfma_f32_4x4x1_16b_f32 a[0:3], v31, v14, a[0:3]
	v_cndmask_b32_e64 v14, 0, 1.0, vcc
	s_nop 1
	v_mfma_f32_4x4x1_16b_f32 a[0:3], v40, v14, a[0:3]
	global_load_dwordx4 v[30:33], v[34:35], off
	global_load_dwordx4 v[14:17], v[34:35], off offset:1024
	v_mfma_f32_4x4x1_16b_f32 a[0:3], v41, v37, a[0:3]
	v_and_b32_e32 v34, -4, v36
	v_mov_b32_e32 v41, 0xff7fffff
	v_cmp_gt_i32_e32 vcc, s3, v34
	v_or_b32_e32 v36, 3, v36
	v_accvgpr_read_b32 v37, a0
	v_max_f32_e32 v40, v37, v37
	v_max_f32_e32 v40, 0xff7fffff, v40
	v_accvgpr_read_b32 v42, a1
	v_cndmask_b32_e32 v40, v41, v40, vcc
	v_or_b32_e32 v41, 1, v34
	v_max_f32_e32 v43, v42, v42
	v_max_f32_e32 v43, v40, v43
	v_cmp_gt_i32_e64 s[0:1], s3, v41
	v_or_b32_e32 v34, 2, v34
	v_cmp_gt_i32_e64 s[8:9], s3, v34
	v_cndmask_b32_e64 v40, v40, v43, s[0:1]
	v_accvgpr_read_b32 v43, a2
	v_max_f32_e32 v41, v43, v43
	v_max_f32_e32 v41, v40, v41
	v_cndmask_b32_e64 v34, v40, v41, s[8:9]
	v_accvgpr_read_b32 v40, a3
	v_max_f32_e32 v41, v40, v40
	v_max_f32_e32 v41, v34, v41
	v_cmp_gt_i32_e64 s[10:11], s3, v36
	v_lshlrev_b32_e32 v35, 2, v0
	v_and_or_b32 v35, v35, 48, v39
	v_cndmask_b32_e64 v34, v34, v41, s[10:11]
	;;#ASMSTART
	v_nop
 v_nop
 v_max_f32_dpp v34, v34, v34 row_ror:4
	;;#ASMEND
	v_lshlrev_b32_e32 v44, 2, v35
	;;#ASMSTART
	v_nop
 v_nop
 v_max_f32_dpp v34, v34, v34 row_ror:8
	;;#ASMEND
	ds_bpermute_b32 v34, v44, v34
	s_waitcnt lgkmcnt(0)
	;;#ASMSTART
	v_nop
 v_nop
 v_max_f32_dpp v34, v34, v34 row_ror:4
	;;#ASMEND
	s_nop 0
	;;#ASMSTART
	v_nop
 v_nop
 v_max_f32_dpp v41, v34, v34 row_ror:8
	;;#ASMEND
	s_nop 0
	v_sub_f32_e32 v34, v37, v41
	v_mul_f32_e32 v34, 0x3fb8aa3b, v34
	v_sub_f32_e32 v35, v42, v41
	v_exp_f32_e32 v34, v34
	v_mul_f32_e32 v35, 0x3fb8aa3b, v35
	v_sub_f32_e32 v37, v43, v41
	v_exp_f32_e32 v35, v35
	;; [unrolled: 3-line block ×3, first 2 shown]
	v_mul_f32_e32 v40, 0x3fb8aa3b, v40
	v_exp_f32_e32 v40, v40
	v_cndmask_b32_e32 v34, 0, v34, vcc
	v_add_f32_e32 v36, 0, v34
	v_cndmask_b32_e64 v35, 0, v35, s[0:1]
	v_add_f32_e32 v42, v36, v35
	v_cndmask_b32_e64 v36, 0, v37, s[8:9]
	;; [unrolled: 2-line block ×3, first 2 shown]
	v_add_f32_e32 v40, v42, v37
	;;#ASMSTART
	v_nop
 v_nop
 v_add_f32_dpp v40, v40, v40 row_ror:4
	;;#ASMEND
	v_cmp_gt_u32_e32 vcc, 4, v1
	;;#ASMSTART
	v_nop
 v_nop
 v_add_f32_dpp v40, v40, v40 row_ror:8
	;;#ASMEND
	ds_bpermute_b32 v40, v44, v40
	s_waitcnt lgkmcnt(0)
	;;#ASMSTART
	v_nop
 v_nop
 v_add_f32_dpp v40, v40, v40 row_ror:4
	;;#ASMEND
	s_nop 0
	;;#ASMSTART
	v_nop
 v_nop
 v_add_f32_dpp v40, v40, v40 row_ror:8
	;;#ASMEND
	s_and_saveexec_b64 s[0:1], vcc
	s_cbranch_execz .LBB1310_16
; %bb.15:
	v_mul_u32_u24_e32 v42, 20, v38
	v_lshl_add_u32 v42, v39, 2, v42
	v_add_u32_e32 v42, 0x1400, v42
	ds_write2_b32 v42, v41, v40 offset1:20
.LBB1310_16:
	s_or_b64 exec, exec, s[0:1]
.LBB1310_17:
	s_or_b64 exec, exec, s[30:31]
	s_waitcnt lgkmcnt(0)
	s_barrier
	s_load_dword s0, s[28:29], 0x8
	v_lshlrev_b32_e32 v40, 2, v39
	v_add_u32_e32 v40, 0x1400, v40
	ds_read2_b32 v[44:45], v40 offset1:5
	ds_read2_b32 v[46:47], v40 offset0:10 offset1:15
	s_mul_i32 s1, s2, s5
	s_waitcnt lgkmcnt(0)
	s_mul_i32 s0, s1, s0
	s_mov_b32 s1, 0xff7fffff
	v_max3_f32 v42, v44, s1, v45
	v_max3_f32 v42, v42, v46, v47
	v_sub_f32_e32 v43, v44, v42
	v_sub_f32_e32 v44, v45, v42
	ds_read2_b32 v[48:49], v40 offset0:20 offset1:25
	v_mul_f32_e32 v43, 0x3fb8aa3b, v43
	v_mul_f32_e32 v44, 0x3fb8aa3b, v44
	v_exp_f32_e32 v43, v43
	v_exp_f32_e32 v50, v44
	ds_read2_b32 v[44:45], v40 offset0:30 offset1:35
	v_sub_f32_e32 v40, v46, v42
	v_mul_f32_e32 v40, 0x3fb8aa3b, v40
	v_sub_f32_e32 v46, v47, v42
	v_exp_f32_e32 v40, v40
	v_mul_f32_e32 v46, 0x3fb8aa3b, v46
	v_exp_f32_e32 v46, v46
	s_waitcnt lgkmcnt(1)
	v_fma_f32 v43, v43, v48, 0
	v_fmac_f32_e32 v43, v50, v49
	s_waitcnt lgkmcnt(0)
	v_fmac_f32_e32 v43, v40, v44
	s_mul_i32 s8, s4, 3
	s_mul_i32 s0, s0, 3
	v_fmac_f32_e32 v43, v46, v45
	v_cmp_ne_u32_e32 vcc, 3, v39
	s_and_saveexec_b64 s[2:3], vcc
	s_cbranch_execz .LBB1310_19
; %bb.18:
	s_mov_b32 s1, 0
	s_lshl_b64 s[10:11], s[0:1], 2
	s_add_u32 s4, s16, s10
	s_mov_b32 s25, s1
	s_addc_u32 s9, s17, s11
	s_lshl_b64 s[12:13], s[24:25], 2
	s_add_u32 s16, s4, s12
	s_addc_u32 s17, s9, s13
	s_add_u32 s1, s18, s10
	s_addc_u32 s4, s19, s11
	v_add_u32_e32 v39, s8, v39
	s_add_u32 s10, s1, s12
	v_mul_lo_u32 v44, s5, v39
	v_mov_b32_e32 v45, 0
	s_addc_u32 s11, s4, s13
	v_lshlrev_b64 v[44:45], 2, v[44:45]
	v_lshl_add_u64 v[46:47], s[16:17], 0, v[44:45]
	v_lshl_add_u64 v[44:45], s[10:11], 0, v[44:45]
	global_store_dword v[44:45], v42, off
	global_store_dword v[46:47], v43, off
.LBB1310_19:
	s_or_b64 exec, exec, s[2:3]
	v_lshlrev_b32_e32 v40, 3, v38
                                        ; implicit-def: $sgpr1
	s_and_saveexec_b64 s[2:3], s[6:7]
	s_xor_b64 s[2:3], exec, s[2:3]
	s_cbranch_execz .LBB1310_21
; %bb.20:
	s_waitcnt vmcnt(6)
	v_mov_b32_e32 v2, 0
	v_mad_u32_u24 v4, v1, 40, v40
	s_mov_b32 s1, 0
	v_mov_b32_e32 v3, v2
	ds_write_b64 v4, v[2:3]
                                        ; implicit-def: $vgpr37
                                        ; implicit-def: $vgpr35
                                        ; implicit-def: $vgpr41
                                        ; implicit-def: $vgpr18_vgpr19
                                        ; implicit-def: $vgpr22_vgpr23
                                        ; implicit-def: $vgpr26_vgpr27
                                        ; implicit-def: $vgpr30_vgpr31
                                        ; implicit-def: $vgpr2_vgpr3
                                        ; implicit-def: $vgpr6_vgpr7
                                        ; implicit-def: $vgpr10_vgpr11
                                        ; implicit-def: $vgpr14_vgpr15
                                        ; implicit-def: $vgpr42
                                        ; implicit-def: $vgpr43
.LBB1310_21:
	s_or_saveexec_b64 s[2:3], s[2:3]
	v_mov_b32_e32 v38, s1
	v_mov_b32_e32 v39, s1
	s_xor_b64 exec, exec, s[2:3]
	s_cbranch_execz .LBB1310_23
; %bb.22:
	v_add_f32_e32 v38, 0x358637bd, v43
	v_div_scale_f32 v39, s[6:7], v38, v38, 1.0
	v_rcp_f32_e32 v43, v39
	v_sub_f32_e32 v41, v41, v42
	v_mul_f32_e32 v41, 0x3fb8aa3b, v41
	v_exp_f32_e32 v41, v41
	v_fma_f32 v42, -v39, v43, 1.0
	v_fmac_f32_e32 v43, v42, v43
	v_div_scale_f32 v42, vcc, 1.0, v38, 1.0
	v_mul_f32_e32 v44, v42, v43
	v_fma_f32 v45, -v39, v44, v42
	v_fmac_f32_e32 v44, v45, v43
	v_fma_f32 v39, -v39, v44, v42
	v_div_fmas_f32 v39, v39, v43, v44
	v_div_fixup_f32 v38, v39, v38, 1.0
	v_mul_f32_e32 v38, v41, v38
	v_pk_mul_f32 v[34:35], v[34:35], v[38:39] op_sel_hi:[1,0]
	v_pk_mul_f32 v[36:37], v[36:37], v[38:39] op_sel_hi:[1,0]
	v_bfe_u32 v38, v35, 16, 1
	v_bfe_u32 v39, v34, 16, 1
	s_movk_i32 s1, 0x7fff
	v_add3_u32 v34, v34, v39, s1
	v_add3_u32 v35, v35, v38, s1
	s_mov_b32 s6, 0x7060302
	v_perm_b32 v34, v35, v34, s6
	v_bfe_u32 v35, v37, 16, 1
	v_bfe_u32 v38, v36, 16, 1
	v_add3_u32 v36, v36, v38, s1
	v_add3_u32 v35, v37, v35, s1
	v_perm_b32 v35, v35, v36, s6
	s_waitcnt vmcnt(7)
	v_cvt_pk_f32_fp8_e32 v[36:37], v18
	v_cvt_pk_f32_fp8_sdwa v[38:39], v18 src0_sel:WORD_1
	v_cvt_pk_f32_fp8_e32 v[42:43], v19
	v_cvt_pk_f32_fp8_sdwa v[18:19], v19 src0_sel:WORD_1
	v_perm_b32 v36, v37, v36, s6
	v_perm_b32 v37, v39, v38, s6
	v_perm_b32 v38, v43, v42, s6
	v_perm_b32 v39, v19, v18, s6
	v_mfma_f32_4x4x4_16b_bf16 a[0:3], v[34:35], v[36:37], 0 cbsz:4
	v_cvt_pk_f32_fp8_e32 v[18:19], v20
	v_cvt_pk_f32_fp8_sdwa v[36:37], v20 src0_sel:WORD_1
	v_mfma_f32_4x4x4_16b_bf16 a[0:3], v[34:35], v[38:39], a[0:3] cbsz:4 abid:1
	v_cvt_pk_f32_fp8_e32 v[38:39], v21
	v_cvt_pk_f32_fp8_sdwa v[20:21], v21 src0_sel:WORD_1
	v_perm_b32 v18, v19, v18, s6
	v_perm_b32 v19, v37, v36, s6
	;; [unrolled: 1-line block ×4, first 2 shown]
	v_mfma_f32_4x4x4_16b_bf16 a[0:3], v[34:35], v[18:19], a[0:3] cbsz:4 abid:2
	s_waitcnt vmcnt(5)
	v_cvt_pk_f32_fp8_e32 v[18:19], v22
	v_cvt_pk_f32_fp8_sdwa v[20:21], v22 src0_sel:WORD_1
	v_mfma_f32_4x4x4_16b_bf16 a[0:3], v[34:35], v[36:37], a[0:3] cbsz:4 abid:3
	v_cvt_pk_f32_fp8_e32 v[36:37], v23
	v_cvt_pk_f32_fp8_sdwa v[22:23], v23 src0_sel:WORD_1
	v_perm_b32 v18, v19, v18, s6
	v_perm_b32 v19, v21, v20, s6
	;; [unrolled: 1-line block ×4, first 2 shown]
	v_mfma_f32_4x4x4_16b_bf16 a[0:3], v[34:35], v[18:19], a[0:3] cbsz:4 abid:4
	v_cvt_pk_f32_fp8_e32 v[18:19], v24
	v_cvt_pk_f32_fp8_e32 v[22:23], v25
	v_mfma_f32_4x4x4_16b_bf16 a[0:3], v[34:35], v[20:21], a[0:3] cbsz:4 abid:5
	v_cvt_pk_f32_fp8_sdwa v[20:21], v24 src0_sel:WORD_1
	v_cvt_pk_f32_fp8_sdwa v[24:25], v25 src0_sel:WORD_1
	v_perm_b32 v18, v19, v18, s6
	s_load_dword s4, s[14:15], 0x0
	v_perm_b32 v19, v21, v20, s6
	v_perm_b32 v20, v23, v22, s6
	;; [unrolled: 1-line block ×3, first 2 shown]
	v_mfma_f32_4x4x4_16b_bf16 a[0:3], v[34:35], v[18:19], a[0:3] cbsz:4 abid:6
	s_waitcnt vmcnt(3)
	v_cvt_pk_f32_fp8_e32 v[18:19], v26
	v_cvt_pk_f32_fp8_e32 v[22:23], v27
	v_mfma_f32_4x4x4_16b_bf16 a[0:3], v[34:35], v[20:21], a[0:3] cbsz:4 abid:7
	v_cvt_pk_f32_fp8_sdwa v[20:21], v26 src0_sel:WORD_1
	v_cvt_pk_f32_fp8_sdwa v[24:25], v27 src0_sel:WORD_1
	v_perm_b32 v18, v19, v18, s6
	v_perm_b32 v19, v21, v20, s6
	;; [unrolled: 1-line block ×3, first 2 shown]
	s_nop 0
	v_mfma_f32_4x4x4_16b_bf16 a[0:3], v[34:35], v[18:19], a[0:3] cbsz:4 abid:8
	v_perm_b32 v21, v25, v24, s6
	v_cvt_pk_f32_fp8_e32 v[18:19], v28
	v_cvt_pk_f32_fp8_e32 v[22:23], v29
	v_mfma_f32_4x4x4_16b_bf16 a[0:3], v[34:35], v[20:21], a[0:3] cbsz:4 abid:9
	v_cvt_pk_f32_fp8_sdwa v[20:21], v28 src0_sel:WORD_1
	v_cvt_pk_f32_fp8_sdwa v[24:25], v29 src0_sel:WORD_1
	v_perm_b32 v18, v19, v18, s6
	v_perm_b32 v19, v21, v20, s6
	;; [unrolled: 1-line block ×3, first 2 shown]
	s_nop 0
	v_mfma_f32_4x4x4_16b_bf16 a[0:3], v[34:35], v[18:19], a[0:3] cbsz:4 abid:10
	v_perm_b32 v21, v25, v24, s6
	s_waitcnt vmcnt(1)
	v_cvt_pk_f32_fp8_e32 v[18:19], v30
	v_cvt_pk_f32_fp8_e32 v[22:23], v31
	v_mfma_f32_4x4x4_16b_bf16 a[0:3], v[34:35], v[20:21], a[0:3] cbsz:4 abid:11
	v_cvt_pk_f32_fp8_sdwa v[20:21], v30 src0_sel:WORD_1
	v_cvt_pk_f32_fp8_sdwa v[24:25], v31 src0_sel:WORD_1
	v_perm_b32 v18, v19, v18, s6
	v_perm_b32 v19, v21, v20, s6
	;; [unrolled: 1-line block ×3, first 2 shown]
	s_nop 0
	v_mfma_f32_4x4x4_16b_bf16 a[0:3], v[34:35], v[18:19], a[0:3] cbsz:4 abid:12
	v_perm_b32 v21, v25, v24, s6
	v_cvt_pk_f32_fp8_e32 v[18:19], v32
	v_cvt_pk_f32_fp8_e32 v[22:23], v33
	v_mfma_f32_4x4x4_16b_bf16 a[0:3], v[34:35], v[20:21], a[0:3] cbsz:4 abid:13
	v_cvt_pk_f32_fp8_sdwa v[20:21], v32 src0_sel:WORD_1
	v_cvt_pk_f32_fp8_sdwa v[24:25], v33 src0_sel:WORD_1
	v_perm_b32 v18, v19, v18, s6
	v_perm_b32 v19, v21, v20, s6
	;; [unrolled: 1-line block ×3, first 2 shown]
	s_nop 0
	v_mfma_f32_4x4x4_16b_bf16 a[0:3], v[34:35], v[18:19], a[0:3] cbsz:4 abid:14
	v_perm_b32 v21, v25, v24, s6
	s_nop 1
	v_mfma_f32_4x4x4_16b_bf16 a[0:3], v[34:35], v[20:21], a[0:3] cbsz:4 abid:15
	s_nop 4
	v_accvgpr_read_b32 v21, a1
	v_accvgpr_read_b32 v20, a0
	s_waitcnt lgkmcnt(0)
	v_pk_mul_f32 v[20:21], v[20:21], s[4:5] op_sel_hi:[1,0]
	v_accvgpr_read_b32 v19, a3
	v_accvgpr_read_b32 v18, a2
	v_bfe_u32 v22, v21, 16, 1
	v_bfe_u32 v23, v20, 16, 1
	v_pk_mul_f32 v[18:19], v[18:19], s[4:5] op_sel_hi:[1,0]
	v_add3_u32 v20, v20, v23, s1
	v_add3_u32 v21, v21, v22, s1
	v_perm_b32 v20, v21, v20, s6
	v_bfe_u32 v21, v19, 16, 1
	v_bfe_u32 v22, v18, 16, 1
	v_add3_u32 v18, v18, v22, s1
	v_add3_u32 v19, v19, v21, s1
	v_perm_b32 v21, v19, v18, s6
	v_mad_u32_u24 v18, v1, 40, v40
	ds_write_b64 v18, v[20:21]
	v_cvt_pk_f32_fp8_e32 v[18:19], v2
	v_cvt_pk_f32_fp8_sdwa v[20:21], v2 src0_sel:WORD_1
	v_cvt_pk_f32_fp8_e32 v[22:23], v3
	v_cvt_pk_f32_fp8_sdwa v[2:3], v3 src0_sel:WORD_1
	v_perm_b32 v18, v19, v18, s6
	v_perm_b32 v19, v21, v20, s6
	;; [unrolled: 1-line block ×4, first 2 shown]
	v_mfma_f32_4x4x4_16b_bf16 a[0:3], v[34:35], v[18:19], 0 cbsz:4
	v_cvt_pk_f32_fp8_e32 v[2:3], v4
	v_cvt_pk_f32_fp8_sdwa v[18:19], v4 src0_sel:WORD_1
	v_mfma_f32_4x4x4_16b_bf16 a[0:3], v[34:35], v[20:21], a[0:3] cbsz:4 abid:1
	v_cvt_pk_f32_fp8_e32 v[20:21], v5
	v_cvt_pk_f32_fp8_sdwa v[4:5], v5 src0_sel:WORD_1
	v_perm_b32 v2, v3, v2, s6
	v_perm_b32 v3, v19, v18, s6
	;; [unrolled: 1-line block ×4, first 2 shown]
	v_mfma_f32_4x4x4_16b_bf16 a[0:3], v[34:35], v[2:3], a[0:3] cbsz:4 abid:2
	v_cvt_pk_f32_fp8_e32 v[2:3], v6
	v_cvt_pk_f32_fp8_sdwa v[4:5], v6 src0_sel:WORD_1
	v_mfma_f32_4x4x4_16b_bf16 a[0:3], v[34:35], v[18:19], a[0:3] cbsz:4 abid:3
	v_cvt_pk_f32_fp8_e32 v[18:19], v7
	v_cvt_pk_f32_fp8_sdwa v[6:7], v7 src0_sel:WORD_1
	v_perm_b32 v2, v3, v2, s6
	v_perm_b32 v3, v5, v4, s6
	;; [unrolled: 1-line block ×4, first 2 shown]
	v_mfma_f32_4x4x4_16b_bf16 a[0:3], v[34:35], v[2:3], a[0:3] cbsz:4 abid:4
	v_cvt_pk_f32_fp8_e32 v[2:3], v8
	v_cvt_pk_f32_fp8_e32 v[6:7], v9
	v_mfma_f32_4x4x4_16b_bf16 a[0:3], v[34:35], v[4:5], a[0:3] cbsz:4 abid:5
	v_cvt_pk_f32_fp8_sdwa v[4:5], v8 src0_sel:WORD_1
	v_cvt_pk_f32_fp8_sdwa v[8:9], v9 src0_sel:WORD_1
	v_perm_b32 v2, v3, v2, s6
	v_perm_b32 v3, v5, v4, s6
	v_perm_b32 v4, v7, v6, s6
	s_nop 0
	v_mfma_f32_4x4x4_16b_bf16 a[0:3], v[34:35], v[2:3], a[0:3] cbsz:4 abid:6
	v_perm_b32 v5, v9, v8, s6
	v_cvt_pk_f32_fp8_e32 v[2:3], v10
	v_cvt_pk_f32_fp8_e32 v[6:7], v11
	v_mfma_f32_4x4x4_16b_bf16 a[0:3], v[34:35], v[4:5], a[0:3] cbsz:4 abid:7
	v_cvt_pk_f32_fp8_sdwa v[4:5], v10 src0_sel:WORD_1
	v_cvt_pk_f32_fp8_sdwa v[8:9], v11 src0_sel:WORD_1
	v_perm_b32 v2, v3, v2, s6
	v_perm_b32 v3, v5, v4, s6
	v_perm_b32 v4, v7, v6, s6
	s_nop 0
	v_mfma_f32_4x4x4_16b_bf16 a[0:3], v[34:35], v[2:3], a[0:3] cbsz:4 abid:8
	v_perm_b32 v5, v9, v8, s6
	;; [unrolled: 11-line block ×3, first 2 shown]
	s_waitcnt vmcnt(0)
	v_cvt_pk_f32_fp8_e32 v[2:3], v14
	v_cvt_pk_f32_fp8_e32 v[6:7], v15
	v_mfma_f32_4x4x4_16b_bf16 a[0:3], v[34:35], v[4:5], a[0:3] cbsz:4 abid:11
	v_cvt_pk_f32_fp8_sdwa v[4:5], v14 src0_sel:WORD_1
	v_cvt_pk_f32_fp8_sdwa v[8:9], v15 src0_sel:WORD_1
	v_perm_b32 v2, v3, v2, s6
	v_perm_b32 v3, v5, v4, s6
	;; [unrolled: 1-line block ×3, first 2 shown]
	s_nop 0
	v_mfma_f32_4x4x4_16b_bf16 a[0:3], v[34:35], v[2:3], a[0:3] cbsz:4 abid:12
	v_perm_b32 v5, v9, v8, s6
	v_cvt_pk_f32_fp8_e32 v[2:3], v16
	v_cvt_pk_f32_fp8_e32 v[6:7], v17
	v_mfma_f32_4x4x4_16b_bf16 a[0:3], v[34:35], v[4:5], a[0:3] cbsz:4 abid:13
	v_cvt_pk_f32_fp8_sdwa v[4:5], v16 src0_sel:WORD_1
	v_cvt_pk_f32_fp8_sdwa v[8:9], v17 src0_sel:WORD_1
	v_perm_b32 v2, v3, v2, s6
	v_perm_b32 v3, v5, v4, s6
	;; [unrolled: 1-line block ×3, first 2 shown]
	s_nop 0
	v_mfma_f32_4x4x4_16b_bf16 a[0:3], v[34:35], v[2:3], a[0:3] cbsz:4 abid:14
	v_perm_b32 v5, v9, v8, s6
	s_nop 1
	v_mfma_f32_4x4x4_16b_bf16 a[0:3], v[34:35], v[4:5], a[0:3] cbsz:4 abid:15
	s_nop 4
	v_accvgpr_read_b32 v5, a1
	v_accvgpr_read_b32 v4, a0
	;; [unrolled: 1-line block ×4, first 2 shown]
	v_pk_mul_f32 v[4:5], v[4:5], s[4:5] op_sel_hi:[1,0]
	v_pk_mul_f32 v[2:3], v[2:3], s[4:5] op_sel_hi:[1,0]
	v_bfe_u32 v6, v5, 16, 1
	v_bfe_u32 v7, v4, 16, 1
	v_add3_u32 v4, v4, v7, s1
	v_add3_u32 v5, v5, v6, s1
	v_bfe_u32 v6, v3, 16, 1
	v_bfe_u32 v7, v2, 16, 1
	v_add3_u32 v2, v2, v7, s1
	v_add3_u32 v3, v3, v6, s1
	v_perm_b32 v39, v3, v2, s6
	v_perm_b32 v38, v5, v4, s6
.LBB1310_23:
	s_or_b64 exec, exec, s[2:3]
	s_waitcnt vmcnt(6)
	v_mad_u32_u24 v2, v1, 40, v40
	v_cmp_gt_u32_e32 vcc, 64, v0
	ds_write_b64 v2, v[38:39] offset:2560
	s_waitcnt lgkmcnt(0)
	s_barrier
	s_and_saveexec_b64 s[2:3], vcc
	s_cbranch_execz .LBB1310_25
; %bb.24:
	s_waitcnt vmcnt(4)
	v_mul_u32_u24_e32 v6, 40, v1
	ds_read2_b64 v[2:5], v6 offset1:1
	ds_read2_b64 v[6:9], v6 offset0:2 offset1:3
	s_mov_b32 s1, 0
	s_lshl_b32 s0, s0, 7
	s_lshl_b64 s[2:3], s[0:1], 1
	s_waitcnt vmcnt(2) lgkmcnt(1)
	v_and_b32_e32 v10, 0xffff0000, v2
	v_lshlrev_b32_e32 v3, 16, v3
	v_add_f32_e32 v10, 0, v10
	v_add_f32_e32 v3, 0, v3
	v_and_b32_e32 v10, 0xffff0000, v10
	v_and_b32_e32 v11, 0xffff0000, v4
	;; [unrolled: 1-line block ×3, first 2 shown]
	v_add_f32_e32 v10, v10, v11
	v_lshlrev_b32_e32 v5, 16, v5
	v_and_b32_e32 v10, 0xffff0000, v10
	v_add_f32_e32 v3, v3, v5
	s_waitcnt lgkmcnt(0)
	v_and_b32_e32 v5, 0xffff0000, v6
	v_and_b32_e32 v3, 0xffff0000, v3
	v_add_f32_e32 v5, v10, v5
	v_lshlrev_b32_e32 v7, 16, v7
	v_and_b32_e32 v5, 0xffff0000, v5
	v_add_f32_e32 v3, v3, v7
	v_and_b32_e32 v7, 0xffff0000, v8
	v_add_f32_e32 v18, v5, v7
	v_mov_b32_e32 v7, 0xa00
	v_mad_u32_u24 v7, v1, 40, v7
	ds_read2_b64 v[10:13], v7 offset1:1
	v_and_b32_e32 v3, 0xffff0000, v3
	v_lshlrev_b32_e32 v5, 16, v9
	v_add_f32_e32 v9, v3, v5
	v_mov_b32_e32 v3, 0xa10
	v_mad_u32_u24 v1, v1, 40, v3
	s_waitcnt vmcnt(0)
	ds_read2_b64 v[14:17], v1 offset1:1
	s_waitcnt lgkmcnt(1)
	v_lshlrev_b32_e32 v1, 16, v10
	v_add_f32_e32 v1, 0, v1
	v_and_b32_e32 v3, 0xffff0000, v10
	v_and_b32_e32 v1, 0xffff0000, v1
	v_add_f32_e32 v3, 0, v3
	v_lshlrev_b32_e32 v5, 16, v11
	v_lshlrev_b32_e32 v7, 16, v12
	v_and_b32_e32 v3, 0xffff0000, v3
	v_add_f32_e32 v5, 0, v5
	v_add_f32_e32 v1, v1, v7
	v_and_b32_e32 v7, 0xffff0000, v12
	v_and_b32_e32 v5, 0xffff0000, v5
	v_add_f32_e32 v3, v3, v7
	v_lshlrev_b32_e32 v7, 16, v13
	v_and_b32_e32 v1, 0xffff0000, v1
	v_add_f32_e32 v5, v5, v7
	s_waitcnt lgkmcnt(0)
	v_lshlrev_b32_e32 v7, 16, v14
	v_and_b32_e32 v3, 0xffff0000, v3
	v_add_f32_e32 v1, v1, v7
	v_and_b32_e32 v7, 0xffff0000, v14
	v_and_b32_e32 v5, 0xffff0000, v5
	v_add_f32_e32 v3, v3, v7
	v_lshlrev_b32_e32 v7, 16, v15
	v_and_b32_e32 v1, 0xffff0000, v1
	v_add_f32_e32 v5, v5, v7
	v_lshlrev_b32_e32 v7, 16, v16
	v_and_b32_e32 v3, 0xffff0000, v3
	v_add_f32_e32 v10, v1, v7
	v_and_b32_e32 v1, 0xffff0000, v16
	v_and_b32_e32 v5, 0xffff0000, v5
	v_add_f32_e32 v11, v3, v1
	v_lshlrev_b32_e32 v1, 16, v17
	v_add_f32_e32 v12, v5, v1
	v_lshlrev_b32_e32 v1, 16, v2
	s_add_u32 s2, s26, s2
	v_add_f32_e32 v1, 0, v1
	s_addc_u32 s3, s27, s3
	s_lshl_b32 s0, s24, 7
	v_and_b32_e32 v1, 0xffff0000, v1
	v_lshlrev_b32_e32 v2, 16, v4
	s_lshl_b64 s[0:1], s[0:1], 1
	v_add_f32_e32 v1, v1, v2
	s_add_u32 s0, s2, s0
	v_and_b32_e32 v1, 0xffff0000, v1
	v_lshlrev_b32_e32 v2, 16, v6
	s_addc_u32 s1, s3, s1
	s_lshl_b32 s2, s5, 7
	v_add_f32_e32 v1, v1, v2
	v_and_b32_e32 v1, 0xffff0000, v1
	v_lshlrev_b32_e32 v2, 16, v8
	s_mul_i32 s3, s2, s8
	v_add_f32_e32 v1, v1, v2
	v_or_b32_e32 v2, s3, v0
	v_mov_b32_e32 v3, 0
	s_add_i32 s3, s3, s2
	v_lshl_add_u64 v[4:5], v[2:3], 1, s[0:1]
	v_or_b32_e32 v2, s3, v0
	s_add_i32 s3, s3, s2
	v_lshl_add_u64 v[6:7], v[2:3], 1, s[0:1]
	v_or_b32_e32 v2, s3, v0
	global_store_short_d16_hi v[4:5], v1, off
	v_lshl_add_u64 v[0:1], v[2:3], 1, s[0:1]
	global_store_short_d16_hi v[6:7], v18, off
	global_store_short_d16_hi v[0:1], v9, off
	global_store_short_d16_hi v[4:5], v10, off offset:128
	global_store_short_d16_hi v[6:7], v11, off offset:128
	;; [unrolled: 1-line block ×3, first 2 shown]
.LBB1310_25:
	s_endpgm
	.section	.rodata,"a",@progbits
	.p2align	6, 0x0
	.amdhsa_kernel _Z38paged_attention_ll4mi_QKV_mfma4_kernelI14__hip_bfloat16hLN4vllm18Fp8KVCacheDataTypeE1ES0_Li16ELi128ELi256ELb0ELi3EEvPKT_PKT0_S8_ifPKiSA_SA_iPKfiiiPfSD_PS3_PT2_iSC_SC_
		.amdhsa_group_segment_fixed_size 5280
		.amdhsa_private_segment_fixed_size 0
		.amdhsa_kernarg_size 400
		.amdhsa_user_sgpr_count 2
		.amdhsa_user_sgpr_dispatch_ptr 0
		.amdhsa_user_sgpr_queue_ptr 0
		.amdhsa_user_sgpr_kernarg_segment_ptr 1
		.amdhsa_user_sgpr_dispatch_id 0
		.amdhsa_user_sgpr_kernarg_preload_length 0
		.amdhsa_user_sgpr_kernarg_preload_offset 0
		.amdhsa_user_sgpr_private_segment_size 0
		.amdhsa_uses_dynamic_stack 0
		.amdhsa_enable_private_segment 0
		.amdhsa_system_sgpr_workgroup_id_x 1
		.amdhsa_system_sgpr_workgroup_id_y 1
		.amdhsa_system_sgpr_workgroup_id_z 1
		.amdhsa_system_sgpr_workgroup_info 0
		.amdhsa_system_vgpr_workitem_id 0
		.amdhsa_next_free_vgpr 68
		.amdhsa_next_free_sgpr 42
		.amdhsa_accum_offset 64
		.amdhsa_reserve_vcc 1
		.amdhsa_float_round_mode_32 0
		.amdhsa_float_round_mode_16_64 0
		.amdhsa_float_denorm_mode_32 3
		.amdhsa_float_denorm_mode_16_64 3
		.amdhsa_dx10_clamp 1
		.amdhsa_ieee_mode 1
		.amdhsa_fp16_overflow 0
		.amdhsa_tg_split 0
		.amdhsa_exception_fp_ieee_invalid_op 0
		.amdhsa_exception_fp_denorm_src 0
		.amdhsa_exception_fp_ieee_div_zero 0
		.amdhsa_exception_fp_ieee_overflow 0
		.amdhsa_exception_fp_ieee_underflow 0
		.amdhsa_exception_fp_ieee_inexact 0
		.amdhsa_exception_int_div_zero 0
	.end_amdhsa_kernel
	.section	.text._Z38paged_attention_ll4mi_QKV_mfma4_kernelI14__hip_bfloat16hLN4vllm18Fp8KVCacheDataTypeE1ES0_Li16ELi128ELi256ELb0ELi3EEvPKT_PKT0_S8_ifPKiSA_SA_iPKfiiiPfSD_PS3_PT2_iSC_SC_,"axG",@progbits,_Z38paged_attention_ll4mi_QKV_mfma4_kernelI14__hip_bfloat16hLN4vllm18Fp8KVCacheDataTypeE1ES0_Li16ELi128ELi256ELb0ELi3EEvPKT_PKT0_S8_ifPKiSA_SA_iPKfiiiPfSD_PS3_PT2_iSC_SC_,comdat
.Lfunc_end1310:
	.size	_Z38paged_attention_ll4mi_QKV_mfma4_kernelI14__hip_bfloat16hLN4vllm18Fp8KVCacheDataTypeE1ES0_Li16ELi128ELi256ELb0ELi3EEvPKT_PKT0_S8_ifPKiSA_SA_iPKfiiiPfSD_PS3_PT2_iSC_SC_, .Lfunc_end1310-_Z38paged_attention_ll4mi_QKV_mfma4_kernelI14__hip_bfloat16hLN4vllm18Fp8KVCacheDataTypeE1ES0_Li16ELi128ELi256ELb0ELi3EEvPKT_PKT0_S8_ifPKiSA_SA_iPKfiiiPfSD_PS3_PT2_iSC_SC_
                                        ; -- End function
	.section	.AMDGPU.csdata,"",@progbits
; Kernel info:
; codeLenInByte = 5944
; NumSgprs: 48
; NumVgprs: 64
; NumAgprs: 4
; TotalNumVgprs: 68
; ScratchSize: 0
; MemoryBound: 0
; FloatMode: 240
; IeeeMode: 1
; LDSByteSize: 5280 bytes/workgroup (compile time only)
; SGPRBlocks: 5
; VGPRBlocks: 8
; NumSGPRsForWavesPerEU: 48
; NumVGPRsForWavesPerEU: 68
; AccumOffset: 64
; Occupancy: 7
; WaveLimiterHint : 1
; COMPUTE_PGM_RSRC2:SCRATCH_EN: 0
; COMPUTE_PGM_RSRC2:USER_SGPR: 2
; COMPUTE_PGM_RSRC2:TRAP_HANDLER: 0
; COMPUTE_PGM_RSRC2:TGID_X_EN: 1
; COMPUTE_PGM_RSRC2:TGID_Y_EN: 1
; COMPUTE_PGM_RSRC2:TGID_Z_EN: 1
; COMPUTE_PGM_RSRC2:TIDIG_COMP_CNT: 0
; COMPUTE_PGM_RSRC3_GFX90A:ACCUM_OFFSET: 15
; COMPUTE_PGM_RSRC3_GFX90A:TG_SPLIT: 0
	.section	.text._Z38paged_attention_ll4mi_QKV_mfma4_kernelI14__hip_bfloat16hLN4vllm18Fp8KVCacheDataTypeE1ES0_Li16ELi128ELi256ELb0ELi4EEvPKT_PKT0_S8_ifPKiSA_SA_iPKfiiiPfSD_PS3_PT2_iSC_SC_,"axG",@progbits,_Z38paged_attention_ll4mi_QKV_mfma4_kernelI14__hip_bfloat16hLN4vllm18Fp8KVCacheDataTypeE1ES0_Li16ELi128ELi256ELb0ELi4EEvPKT_PKT0_S8_ifPKiSA_SA_iPKfiiiPfSD_PS3_PT2_iSC_SC_,comdat
	.protected	_Z38paged_attention_ll4mi_QKV_mfma4_kernelI14__hip_bfloat16hLN4vllm18Fp8KVCacheDataTypeE1ES0_Li16ELi128ELi256ELb0ELi4EEvPKT_PKT0_S8_ifPKiSA_SA_iPKfiiiPfSD_PS3_PT2_iSC_SC_ ; -- Begin function _Z38paged_attention_ll4mi_QKV_mfma4_kernelI14__hip_bfloat16hLN4vllm18Fp8KVCacheDataTypeE1ES0_Li16ELi128ELi256ELb0ELi4EEvPKT_PKT0_S8_ifPKiSA_SA_iPKfiiiPfSD_PS3_PT2_iSC_SC_
	.globl	_Z38paged_attention_ll4mi_QKV_mfma4_kernelI14__hip_bfloat16hLN4vllm18Fp8KVCacheDataTypeE1ES0_Li16ELi128ELi256ELb0ELi4EEvPKT_PKT0_S8_ifPKiSA_SA_iPKfiiiPfSD_PS3_PT2_iSC_SC_
	.p2align	8
	.type	_Z38paged_attention_ll4mi_QKV_mfma4_kernelI14__hip_bfloat16hLN4vllm18Fp8KVCacheDataTypeE1ES0_Li16ELi128ELi256ELb0ELi4EEvPKT_PKT0_S8_ifPKiSA_SA_iPKfiiiPfSD_PS3_PT2_iSC_SC_,@function
_Z38paged_attention_ll4mi_QKV_mfma4_kernelI14__hip_bfloat16hLN4vllm18Fp8KVCacheDataTypeE1ES0_Li16ELi128ELi256ELb0ELi4EEvPKT_PKT0_S8_ifPKiSA_SA_iPKfiiiPfSD_PS3_PT2_iSC_SC_: ; @_Z38paged_attention_ll4mi_QKV_mfma4_kernelI14__hip_bfloat16hLN4vllm18Fp8KVCacheDataTypeE1ES0_Li16ELi128ELi256ELb0ELi4EEvPKT_PKT0_S8_ifPKiSA_SA_iPKfiiiPfSD_PS3_PT2_iSC_SC_
; %bb.0:
	s_load_dwordx2 s[8:9], s[0:1], 0x30
	s_mov_b32 s24, s3
	s_mov_b64 s[6:7], 0
	s_waitcnt lgkmcnt(0)
	s_cmp_lg_u64 s[8:9], 0
	s_cselect_b64 s[10:11], -1, 0
	s_and_b64 vcc, exec, s[10:11]
	s_cbranch_vccz .LBB1311_20
; %bb.1:
	s_add_i32 s12, s2, 1
	s_mov_b32 s13, 0
	s_lshl_b64 s[14:15], s[12:13], 2
	s_add_u32 s14, s8, s14
	s_mov_b32 s3, s13
	s_addc_u32 s15, s9, s15
	s_lshl_b64 s[12:13], s[2:3], 2
	s_add_u32 s12, s8, s12
	s_addc_u32 s13, s9, s13
	s_load_dword s5, s[14:15], 0x0
	s_load_dword s16, s[12:13], 0x0
	s_mov_b64 s[34:35], s[2:3]
	s_waitcnt lgkmcnt(0)
	s_sub_i32 s5, s5, s16
	s_cmp_eq_u32 s5, 1
	s_cselect_b64 s[12:13], -1, 0
	s_andn2_b64 vcc, exec, s[6:7]
	s_cbranch_vccnz .LBB1311_3
.LBB1311_2:
	s_mov_b32 s3, 0
	s_mov_b64 s[12:13], -1
	s_mov_b64 s[34:35], s[2:3]
.LBB1311_3:
	s_andn2_b64 vcc, exec, s[12:13]
	s_cbranch_vccnz .LBB1311_19
; %bb.4:
	s_load_dword s3, s[0:1], 0x9c
	s_load_dwordx2 s[6:7], s[0:1], 0x28
	s_add_u32 s28, s0, 0x90
	s_addc_u32 s29, s1, 0
	s_lshl_b64 s[38:39], s[34:35], 2
	s_waitcnt lgkmcnt(0)
	s_and_b32 s5, s3, 0xffff
	s_add_u32 s6, s6, s38
	s_addc_u32 s7, s7, s39
	s_load_dword s3, s[6:7], 0x0
	s_mul_i32 s20, s24, s5
	s_waitcnt lgkmcnt(0)
	s_cmp_ge_i32 s20, s3
	s_cbranch_scc1 .LBB1311_19
; %bb.5:
	v_and_b32_e32 v1, 0xc0, v0
	v_add_u32_e32 v4, s20, v1
	v_lshrrev_b32_e32 v46, 6, v0
	v_cmp_le_i32_e64 s[6:7], s3, v4
                                        ; implicit-def: $sgpr22
                                        ; implicit-def: $sgpr21
	s_and_saveexec_b64 s[12:13], s[6:7]
	s_xor_b64 s[12:13], exec, s[12:13]
	s_cbranch_execz .LBB1311_7
; %bb.6:
	v_mul_u32_u24_e32 v1, 20, v46
	v_or_b32_e32 v1, 0x1400, v1
	v_mov_b32_e32 v2, 0x1450
	v_mov_b32_e32 v3, 0xff7fffff
	v_mad_u32_u24 v2, v46, 20, v2
	ds_write2_b32 v1, v3, v3 offset1:1
	v_mov_b32_e32 v1, 0
	ds_write2_b32 v2, v1, v1 offset1:1
	v_mov_b32_e32 v2, 0x1408
	v_mov_b32_e32 v4, 0x1458
	s_mov_b32 s21, 0xff7fffff
	s_mov_b32 s22, 0
	v_mad_u32_u24 v2, v46, 20, v2
	v_mad_u32_u24 v4, v46, 20, v4
	ds_write2_b32 v2, v3, v3 offset1:1
	ds_write2_b32 v4, v1, v1 offset1:1
                                        ; implicit-def: $vgpr4
.LBB1311_7:
	s_or_saveexec_b64 s[30:31], s[12:13]
	s_load_dwordx2 s[26:27], s[0:1], 0x68
	s_load_dwordx4 s[16:19], s[0:1], 0x58
	s_load_dword s5, s[28:29], 0x4
	s_load_dwordx4 s[12:15], s[0:1], 0x80
	v_and_b32_e32 v1, 63, v0
	v_and_b32_e32 v47, 3, v0
	v_mov_b32_e32 v37, s22
	v_mov_b32_e32 v41, s21
	;; [unrolled: 1-line block ×5, first 2 shown]
                                        ; implicit-def: $vgpr26_vgpr27
                                        ; implicit-def: $vgpr18_vgpr19
                                        ; implicit-def: $vgpr22_vgpr23
                                        ; implicit-def: $vgpr30_vgpr31
                                        ; implicit-def: $vgpr10_vgpr11
                                        ; implicit-def: $vgpr2_vgpr3
                                        ; implicit-def: $vgpr6_vgpr7
                                        ; implicit-def: $vgpr14_vgpr15
	s_xor_b64 exec, exec, s[30:31]
	s_cbranch_execz .LBB1311_13
; %bb.8:
	s_load_dwordx2 s[22:23], s[0:1], 0x20
	s_load_dword s21, s[0:1], 0x38
	s_add_i32 s25, s3, 15
	s_ashr_i32 s33, s25, 31
	s_lshr_b32 s33, s33, 28
	v_add_u32_e32 v48, s20, v0
	s_add_i32 s25, s25, s33
	v_ashrrev_i32_e32 v2, 31, v48
	s_ashr_i32 s25, s25, 4
	v_lshrrev_b32_e32 v2, 28, v2
	s_add_i32 s25, s25, -1
	s_waitcnt lgkmcnt(0)
	s_mul_i32 s40, s2, s21
	s_mov_b32 s41, 0
	v_add_u32_e32 v2, v48, v2
	s_lshl_b64 s[36:37], s[40:41], 2
	v_ashrrev_i32_e32 v2, 4, v2
	v_mov_b32_e32 v3, s25
	v_cmp_gt_i32_e32 vcc, s3, v48
	s_add_u32 s22, s22, s36
	s_addc_u32 s23, s23, s37
	v_cndmask_b32_e32 v2, v3, v2, vcc
	v_ashrrev_i32_e32 v3, 31, v2
	v_lshl_add_u64 v[8:9], v[2:3], 2, s[22:23]
	v_ashrrev_i32_e32 v2, 31, v4
	v_lshrrev_b32_e32 v2, 28, v2
	v_add_u32_e32 v2, v4, v2
	v_ashrrev_i32_e32 v4, 4, v2
	v_min_i32_e32 v2, s25, v4
	v_ashrrev_i32_e32 v3, 31, v2
	v_lshl_add_u64 v[10:11], v[2:3], 2, s[22:23]
	v_add_u32_e32 v2, 1, v4
	v_min_i32_e32 v2, s25, v2
	v_ashrrev_i32_e32 v3, 31, v2
	v_lshl_add_u64 v[12:13], v[2:3], 2, s[22:23]
	v_add_u32_e32 v2, 2, v4
	v_min_i32_e32 v2, s25, v2
	v_ashrrev_i32_e32 v3, 31, v2
	v_lshl_add_u64 v[14:15], v[2:3], 2, s[22:23]
	v_add_u32_e32 v2, 3, v4
	v_min_i32_e32 v2, s25, v2
	v_ashrrev_i32_e32 v3, 31, v2
	v_lshl_add_u64 v[16:17], v[2:3], 2, s[22:23]
	global_load_dword v6, v[8:9], off
	global_load_dword v2, v[10:11], off
	;; [unrolled: 1-line block ×5, first 2 shown]
	s_load_dwordx4 s[20:23], s[0:1], 0x0
	s_load_dwordx2 s[36:37], s[0:1], 0x10
	s_andn2_b64 vcc, exec, s[10:11]
	s_cbranch_vccnz .LBB1311_10
; %bb.9:
	s_add_u32 s8, s8, s38
	s_addc_u32 s9, s9, s39
	s_load_dword s40, s[8:9], 0x0
	s_waitcnt lgkmcnt(0)
	s_mov_b64 s[34:35], s[40:41]
.LBB1311_10:
	s_load_dwordx4 s[8:11], s[0:1], 0x48
	s_waitcnt lgkmcnt(0)
	s_load_dword s11, s[0:1], 0x1c
                                        ; kill: killed $sgpr0 killed $sgpr1
	v_mov_b32_e32 v11, 0
	v_mov_b32_e32 v19, v11
	;; [unrolled: 1-line block ×3, first 2 shown]
	s_ashr_i32 s1, s8, 31
	s_mul_hi_u32 s25, s34, s8
	s_mul_i32 s1, s34, s1
	s_mul_i32 s33, s35, s8
	s_add_i32 s1, s25, s1
	s_mul_i32 s0, s34, s8
	s_add_i32 s1, s1, s33
	s_lshl_b64 s[0:1], s[0:1], 1
	s_add_u32 s8, s20, s0
	s_addc_u32 s20, s21, s1
	s_lshl_b32 s40, s4, 9
	s_lshl_b64 s[0:1], s[40:41], 1
	s_add_u32 s0, s8, s0
	s_addc_u32 s1, s20, s1
	s_mul_i32 s8, s4, s10
	s_add_u32 s20, s8, s22
	s_addc_u32 s21, 0, s23
	v_mov_b64_e32 v[8:9], s[20:21]
	s_waitcnt vmcnt(4)
	v_mad_i64_i32 v[6:7], s[20:21], v6, s9, v[8:9]
	v_lshlrev_b32_e32 v8, 4, v0
	v_and_b32_e32 v10, 0xf0, v8
	v_lshl_add_u64 v[12:13], v[6:7], 0, v[10:11]
	v_lshlrev_b32_e32 v10, 2, v1
	v_and_b32_e32 v10, 0xf0, v10
	v_lshl_or_b32 v10, v47, 8, v10
	global_load_dwordx4 v[14:17], v[12:13], off
	global_load_dwordx4 v[6:9], v[12:13], off offset:256
	global_load_dwordx4 v[50:53], v10, s[0:1]
	global_load_dwordx4 v[30:33], v[12:13], off offset:512
	global_load_dwordx4 v[54:57], v[12:13], off offset:768
	;; [unrolled: 1-line block ×6, first 2 shown]
	s_waitcnt vmcnt(11)
	v_mul_hi_i32 v18, v3, s9
	s_waitcnt vmcnt(10)
	v_mul_hi_i32 v20, v4, s9
	;; [unrolled: 2-line block ×3, first 2 shown]
	v_mul_hi_i32 v10, v2, s9
	v_ashrrev_i32_e32 v18, 31, v18
	v_ashrrev_i32_e32 v20, 31, v20
	;; [unrolled: 1-line block ×3, first 2 shown]
	v_mov_b32_e32 v23, v11
	v_ashrrev_i32_e32 v10, 31, v10
	v_lshrrev_b32_e32 v18, 29, v18
	v_lshrrev_b32_e32 v20, 29, v20
	;; [unrolled: 1-line block ×3, first 2 shown]
	v_mad_i64_i32 v[18:19], s[20:21], v3, s9, v[18:19]
	v_mad_i64_i32 v[20:21], s[20:21], v4, s9, v[20:21]
	;; [unrolled: 1-line block ×3, first 2 shown]
	v_lshrrev_b32_e32 v10, 29, v10
	s_add_u32 s20, s36, s8
	v_mad_i64_i32 v[2:3], s[8:9], v2, s9, v[10:11]
	v_and_b32_e32 v18, -8, v18
	s_addc_u32 s21, s37, 0
	v_and_b32_e32 v2, -8, v2
	v_and_b32_e32 v20, -8, v20
	;; [unrolled: 1-line block ×3, first 2 shown]
	v_lshl_add_u64 v[18:19], s[20:21], 0, v[18:19]
	v_lshlrev_b32_e32 v10, 4, v1
	v_lshl_add_u64 v[22:23], s[20:21], 0, v[2:3]
	v_lshl_add_u64 v[20:21], s[20:21], 0, v[20:21]
	;; [unrolled: 1-line block ×7, first 2 shown]
	global_load_dwordx4 v[18:21], v[12:13], off
	global_load_dwordx4 v[2:5], v[12:13], off offset:1024
	global_load_dwordx4 v[26:29], v[22:23], off
	s_nop 0
	global_load_dwordx4 v[10:13], v[22:23], off offset:1024
	s_mov_b32 s0, 0x7060302
	v_cmp_eq_u32_e32 vcc, 0, v47
	s_waitcnt vmcnt(12)
	v_cvt_pk_f32_fp8_e32 v[22:23], v14
	v_cvt_pk_f32_fp8_sdwa v[24:25], v14 src0_sel:WORD_1
	v_cvt_pk_f32_fp8_e32 v[66:67], v15
	v_cvt_pk_f32_fp8_sdwa v[14:15], v15 src0_sel:WORD_1
	;; [unrolled: 2-line block ×3, first 2 shown]
	v_perm_b32 v22, v23, v22, s0
	v_perm_b32 v23, v25, v24, s0
	v_cvt_pk_f32_fp8_e32 v[72:73], v17
	v_cvt_pk_f32_fp8_sdwa v[16:17], v17 src0_sel:WORD_1
	s_waitcnt vmcnt(10)
	v_mfma_f32_4x4x4_16b_bf16 a[0:3], v[50:51], v[22:23], 0 cbsz:4
	v_perm_b32 v66, v67, v66, s0
	v_perm_b32 v67, v15, v14, s0
	v_cvt_pk_f32_fp8_e32 v[74:75], v6
	v_cvt_pk_f32_fp8_sdwa v[76:77], v6 src0_sel:WORD_1
	v_mfma_f32_4x4x4_16b_bf16 a[0:3], v[52:53], v[66:67], a[0:3] cbsz:4
	v_perm_b32 v68, v69, v68, s0
	v_perm_b32 v69, v71, v70, s0
	v_cvt_pk_f32_fp8_e32 v[78:79], v7
	v_cvt_pk_f32_fp8_sdwa v[6:7], v7 src0_sel:WORD_1
	v_mfma_f32_4x4x4_16b_bf16 a[0:3], v[50:51], v[68:69], a[0:3] cbsz:4 abid:1
	v_perm_b32 v72, v73, v72, s0
	v_perm_b32 v73, v17, v16, s0
	v_cvt_pk_f32_fp8_e32 v[24:25], v8
	v_cvt_pk_f32_fp8_sdwa v[14:15], v8 src0_sel:WORD_1
	v_mfma_f32_4x4x4_16b_bf16 a[0:3], v[52:53], v[72:73], a[0:3] cbsz:4 abid:1
	v_perm_b32 v16, v75, v74, s0
	v_perm_b32 v17, v77, v76, s0
	v_cvt_pk_f32_fp8_e32 v[70:71], v9
	v_perm_b32 v22, v79, v78, s0
	v_mfma_f32_4x4x4_16b_bf16 a[0:3], v[50:51], v[16:17], a[0:3] cbsz:4 abid:2
	v_perm_b32 v23, v7, v6, s0
	v_cvt_pk_f32_fp8_sdwa v[8:9], v9 src0_sel:WORD_1
	s_waitcnt vmcnt(9)
	v_cvt_pk_f32_fp8_sdwa v[16:17], v30 src0_sel:WORD_1
	v_mfma_f32_4x4x4_16b_bf16 a[0:3], v[52:53], v[22:23], a[0:3] cbsz:4 abid:2
	v_perm_b32 v6, v25, v24, s0
	v_perm_b32 v7, v15, v14, s0
	;; [unrolled: 1-line block ×4, first 2 shown]
	v_mfma_f32_4x4x4_16b_bf16 a[0:3], v[50:51], v[6:7], a[0:3] cbsz:4 abid:3
	v_cvt_pk_f32_fp8_e32 v[6:7], v30
	s_waitcnt vmcnt(8)
	v_cvt_pk_f32_fp8_e32 v[66:67], v57
	v_mfma_f32_4x4x4_16b_bf16 a[0:3], v[52:53], v[14:15], a[0:3] cbsz:4 abid:3
	v_perm_b32 v15, v17, v16, s0
	v_cvt_pk_f32_fp8_e32 v[16:17], v31
	v_cvt_pk_f32_fp8_sdwa v[30:31], v31 src0_sel:WORD_1
	v_perm_b32 v14, v7, v6, s0
	global_load_dwordx4 v[22:25], v[62:63], off
	global_load_dwordx4 v[6:9], v[62:63], off offset:1024
	v_mfma_f32_4x4x4_16b_bf16 a[0:3], v[50:51], v[14:15], a[0:3] cbsz:4 abid:4
	v_perm_b32 v16, v17, v16, s0
	v_perm_b32 v17, v31, v30, s0
	v_cvt_pk_f32_fp8_e32 v[14:15], v32
	v_cvt_pk_f32_fp8_e32 v[30:31], v33
	v_mfma_f32_4x4x4_16b_bf16 a[0:3], v[52:53], v[16:17], a[0:3] cbsz:4 abid:4
	v_cvt_pk_f32_fp8_sdwa v[16:17], v32 src0_sel:WORD_1
	v_cvt_pk_f32_fp8_sdwa v[32:33], v33 src0_sel:WORD_1
	v_perm_b32 v14, v15, v14, s0
	v_cvt_pk_f32_fp8_sdwa v[62:63], v56 src0_sel:WORD_1
	v_perm_b32 v15, v17, v16, s0
	v_perm_b32 v16, v31, v30, s0
	;; [unrolled: 1-line block ×3, first 2 shown]
	v_mfma_f32_4x4x4_16b_bf16 a[0:3], v[50:51], v[14:15], a[0:3] cbsz:4 abid:5
	v_cvt_pk_f32_fp8_e32 v[14:15], v54
	v_cvt_pk_f32_fp8_e32 v[30:31], v55
	v_mfma_f32_4x4x4_16b_bf16 a[0:3], v[52:53], v[16:17], a[0:3] cbsz:4 abid:5
	v_cvt_pk_f32_fp8_sdwa v[16:17], v54 src0_sel:WORD_1
	v_cvt_pk_f32_fp8_sdwa v[32:33], v55 src0_sel:WORD_1
	v_perm_b32 v14, v15, v14, s0
	v_cvt_pk_f32_fp8_e32 v[54:55], v56
	v_perm_b32 v15, v17, v16, s0
	v_cvt_pk_f32_fp8_sdwa v[56:57], v57 src0_sel:WORD_1
	v_perm_b32 v16, v31, v30, s0
	v_mfma_f32_4x4x4_16b_bf16 a[0:3], v[50:51], v[14:15], a[0:3] cbsz:4 abid:6
	v_perm_b32 v17, v33, v32, s0
	v_perm_b32 v54, v55, v54, s0
	;; [unrolled: 1-line block ×3, first 2 shown]
	v_mfma_f32_4x4x4_16b_bf16 a[0:3], v[52:53], v[16:17], a[0:3] cbsz:4 abid:6
	v_perm_b32 v63, v57, v56, s0
	s_waitcnt vmcnt(9)
	v_cvt_pk_f32_fp8_sdwa v[56:57], v58 src0_sel:WORD_1
	v_mfma_f32_4x4x4_16b_bf16 a[0:3], v[50:51], v[54:55], a[0:3] cbsz:4 abid:7
	v_cvt_pk_f32_fp8_e32 v[54:55], v58
	v_perm_b32 v62, v67, v66, s0
	global_load_dwordx4 v[30:33], v[64:65], off
	global_load_dwordx4 v[14:17], v[64:65], off offset:1024
	v_mfma_f32_4x4x4_16b_bf16 a[0:3], v[52:53], v[62:63], a[0:3] cbsz:4 abid:7
	v_cvt_pk_f32_fp8_e32 v[62:63], v59
	v_cvt_pk_f32_fp8_sdwa v[58:59], v59 src0_sel:WORD_1
	v_perm_b32 v54, v55, v54, s0
	v_perm_b32 v55, v57, v56, s0
	;; [unrolled: 1-line block ×4, first 2 shown]
	v_mfma_f32_4x4x4_16b_bf16 a[0:3], v[50:51], v[54:55], a[0:3] cbsz:4 abid:8
	v_cvt_pk_f32_fp8_e32 v[54:55], v60
	v_cvt_pk_f32_fp8_e32 v[58:59], v61
	v_mfma_f32_4x4x4_16b_bf16 a[0:3], v[52:53], v[56:57], a[0:3] cbsz:4 abid:8
	v_cvt_pk_f32_fp8_sdwa v[56:57], v60 src0_sel:WORD_1
	v_cvt_pk_f32_fp8_sdwa v[60:61], v61 src0_sel:WORD_1
	v_perm_b32 v54, v55, v54, s0
	v_perm_b32 v55, v57, v56, s0
	;; [unrolled: 1-line block ×3, first 2 shown]
	s_nop 0
	v_mfma_f32_4x4x4_16b_bf16 a[0:3], v[50:51], v[54:55], a[0:3] cbsz:4 abid:9
	s_waitcnt vmcnt(10)
	v_cvt_pk_f32_fp8_e32 v[54:55], v42
	v_perm_b32 v57, v61, v60, s0
	v_cvt_pk_f32_fp8_e32 v[58:59], v43
	s_nop 0
	v_mfma_f32_4x4x4_16b_bf16 a[0:3], v[52:53], v[56:57], a[0:3] cbsz:4 abid:9
	v_cvt_pk_f32_fp8_sdwa v[56:57], v42 src0_sel:WORD_1
	v_perm_b32 v42, v55, v54, s0
	v_cvt_pk_f32_fp8_sdwa v[54:55], v43 src0_sel:WORD_1
	v_perm_b32 v43, v57, v56, s0
	v_perm_b32 v56, v59, v58, s0
	s_nop 0
	v_mfma_f32_4x4x4_16b_bf16 a[0:3], v[50:51], v[42:43], a[0:3] cbsz:4 abid:10
	v_perm_b32 v57, v55, v54, s0
	v_cvt_pk_f32_fp8_e32 v[42:43], v44
	v_cvt_pk_f32_fp8_sdwa v[54:55], v44 src0_sel:WORD_1
	v_mfma_f32_4x4x4_16b_bf16 a[0:3], v[52:53], v[56:57], a[0:3] cbsz:4 abid:10
	v_cvt_pk_f32_fp8_e32 v[56:57], v45
	v_cvt_pk_f32_fp8_sdwa v[44:45], v45 src0_sel:WORD_1
	v_perm_b32 v42, v43, v42, s0
	v_perm_b32 v43, v55, v54, s0
	;; [unrolled: 1-line block ×4, first 2 shown]
	v_mfma_f32_4x4x4_16b_bf16 a[0:3], v[50:51], v[42:43], a[0:3] cbsz:4 abid:11
	s_waitcnt vmcnt(9)
	v_cvt_pk_f32_fp8_e32 v[42:43], v38
	v_cvt_pk_f32_fp8_sdwa v[44:45], v38 src0_sel:WORD_1
	v_mfma_f32_4x4x4_16b_bf16 a[0:3], v[52:53], v[54:55], a[0:3] cbsz:4 abid:11
	v_cvt_pk_f32_fp8_e32 v[54:55], v39
	v_perm_b32 v38, v43, v42, s0
	v_cvt_pk_f32_fp8_sdwa v[42:43], v39 src0_sel:WORD_1
	v_perm_b32 v39, v45, v44, s0
	v_perm_b32 v44, v55, v54, s0
	;; [unrolled: 1-line block ×3, first 2 shown]
	v_mfma_f32_4x4x4_16b_bf16 a[0:3], v[50:51], v[38:39], a[0:3] cbsz:4 abid:12
	v_cvt_pk_f32_fp8_e32 v[38:39], v40
	v_cvt_pk_f32_fp8_sdwa v[42:43], v40 src0_sel:WORD_1
	v_mfma_f32_4x4x4_16b_bf16 a[0:3], v[52:53], v[44:45], a[0:3] cbsz:4 abid:12
	v_cvt_pk_f32_fp8_e32 v[44:45], v41
	v_cvt_pk_f32_fp8_sdwa v[40:41], v41 src0_sel:WORD_1
	v_perm_b32 v38, v39, v38, s0
	v_perm_b32 v39, v43, v42, s0
	;; [unrolled: 1-line block ×4, first 2 shown]
	v_mfma_f32_4x4x4_16b_bf16 a[0:3], v[50:51], v[38:39], a[0:3] cbsz:4 abid:13
	s_waitcnt vmcnt(8)
	v_cvt_pk_f32_fp8_e32 v[38:39], v34
	v_cvt_pk_f32_fp8_sdwa v[40:41], v34 src0_sel:WORD_1
	v_mfma_f32_4x4x4_16b_bf16 a[0:3], v[52:53], v[42:43], a[0:3] cbsz:4 abid:13
	v_cvt_pk_f32_fp8_e32 v[42:43], v35
	v_perm_b32 v34, v39, v38, s0
	v_cvt_pk_f32_fp8_sdwa v[38:39], v35 src0_sel:WORD_1
	v_perm_b32 v35, v41, v40, s0
	v_perm_b32 v40, v43, v42, s0
	;; [unrolled: 1-line block ×3, first 2 shown]
	v_mfma_f32_4x4x4_16b_bf16 a[0:3], v[50:51], v[34:35], a[0:3] cbsz:4 abid:14
	v_cvt_pk_f32_fp8_e32 v[34:35], v36
	v_cvt_pk_f32_fp8_sdwa v[38:39], v36 src0_sel:WORD_1
	v_mfma_f32_4x4x4_16b_bf16 a[0:3], v[52:53], v[40:41], a[0:3] cbsz:4 abid:14
	v_cvt_pk_f32_fp8_e32 v[40:41], v37
	v_cvt_pk_f32_fp8_sdwa v[36:37], v37 src0_sel:WORD_1
	v_perm_b32 v34, v35, v34, s0
	v_perm_b32 v35, v39, v38, s0
	;; [unrolled: 1-line block ×4, first 2 shown]
	v_mfma_f32_4x4x4_16b_bf16 a[0:3], v[50:51], v[34:35], a[0:3] cbsz:4 abid:15
	s_load_dword s0, s[12:13], 0x0
	s_waitcnt lgkmcnt(0)
	v_mov_b32_e32 v34, s11
	v_mfma_f32_4x4x4_16b_bf16 a[0:3], v[52:53], v[38:39], a[0:3] cbsz:4 abid:15
	v_mul_f32_e32 v36, s0, v34
	s_nop 3
	v_accvgpr_read_b32 v39, a1
	v_accvgpr_read_b32 v38, a0
	v_pk_mul_f32 v[38:39], v[38:39], v[36:37] op_sel_hi:[1,0]
	v_accvgpr_read_b32 v35, a3
	v_accvgpr_read_b32 v34, a2
	v_pk_mul_f32 v[34:35], v[34:35], v[36:37] op_sel_hi:[1,0]
	v_cndmask_b32_e64 v36, 0, 1.0, vcc
	v_cmp_eq_u32_e32 vcc, 1, v47
	s_nop 0
	v_mfma_f32_4x4x1_16b_f32 a[0:3], v38, v36, 0
	v_cndmask_b32_e64 v36, 0, 1.0, vcc
	v_cmp_eq_u32_e32 vcc, 2, v47
	v_mov_b32_e32 v38, 0xff7fffff
	v_mfma_f32_4x4x1_16b_f32 a[0:3], v39, v36, a[0:3]
	v_cndmask_b32_e64 v36, 0, 1.0, vcc
	v_cmp_eq_u32_e32 vcc, 3, v47
	s_nop 0
	v_mfma_f32_4x4x1_16b_f32 a[0:3], v34, v36, a[0:3]
	v_cndmask_b32_e64 v34, 0, 1.0, vcc
	s_nop 1
	v_mfma_f32_4x4x1_16b_f32 a[0:3], v35, v34, a[0:3]
	v_and_b32_e32 v34, -4, v48
	v_cmp_gt_i32_e32 vcc, s3, v34
	v_lshlrev_b32_e32 v35, 2, v0
	v_and_or_b32 v35, v35, 48, v47
	v_accvgpr_read_b32 v36, a0
	v_max_f32_e32 v37, v36, v36
	v_max_f32_e32 v37, 0xff7fffff, v37
	v_accvgpr_read_b32 v39, a1
	v_cndmask_b32_e32 v37, v38, v37, vcc
	v_or_b32_e32 v38, 1, v34
	v_max_f32_e32 v40, v39, v39
	v_max_f32_e32 v40, v37, v40
	v_cmp_gt_i32_e64 s[0:1], s3, v38
	v_accvgpr_read_b32 v38, a2
	v_or_b32_e32 v34, 2, v34
	v_cndmask_b32_e64 v37, v37, v40, s[0:1]
	v_max_f32_e32 v40, v38, v38
	v_max_f32_e32 v40, v37, v40
	v_cmp_gt_i32_e64 s[8:9], s3, v34
	v_lshlrev_b32_e32 v42, 2, v35
	s_nop 0
	v_cndmask_b32_e64 v34, v37, v40, s[8:9]
	v_accvgpr_read_b32 v40, a3
	v_or_b32_e32 v37, 3, v48
	v_max_f32_e32 v41, v40, v40
	v_max_f32_e32 v41, v34, v41
	v_cmp_gt_i32_e64 s[10:11], s3, v37
	s_nop 1
	v_cndmask_b32_e64 v34, v34, v41, s[10:11]
	;;#ASMSTART
	v_nop
 v_nop
 v_max_f32_dpp v34, v34, v34 row_ror:4
	;;#ASMEND
	s_nop 0
	;;#ASMSTART
	v_nop
 v_nop
 v_max_f32_dpp v34, v34, v34 row_ror:8
	;;#ASMEND
	ds_bpermute_b32 v34, v42, v34
	s_waitcnt lgkmcnt(0)
	;;#ASMSTART
	v_nop
 v_nop
 v_max_f32_dpp v34, v34, v34 row_ror:4
	;;#ASMEND
	s_nop 0
	;;#ASMSTART
	v_nop
 v_nop
 v_max_f32_dpp v41, v34, v34 row_ror:8
	;;#ASMEND
	s_nop 0
	v_sub_f32_e32 v34, v36, v41
	v_mul_f32_e32 v34, 0x3fb8aa3b, v34
	v_sub_f32_e32 v35, v39, v41
	v_exp_f32_e32 v34, v34
	v_mul_f32_e32 v35, 0x3fb8aa3b, v35
	v_sub_f32_e32 v37, v38, v41
	v_exp_f32_e32 v35, v35
	v_mul_f32_e32 v37, 0x3fb8aa3b, v37
	v_sub_f32_e32 v38, v40, v41
	v_exp_f32_e32 v37, v37
	v_mul_f32_e32 v38, 0x3fb8aa3b, v38
	v_exp_f32_e32 v38, v38
	v_cndmask_b32_e32 v34, 0, v34, vcc
	v_add_f32_e32 v36, 0, v34
	v_cndmask_b32_e64 v35, 0, v35, s[0:1]
	v_add_f32_e32 v39, v36, v35
	v_cndmask_b32_e64 v36, 0, v37, s[8:9]
	v_add_f32_e32 v39, v39, v36
	v_cndmask_b32_e64 v37, 0, v38, s[10:11]
	v_add_f32_e32 v38, v39, v37
	;;#ASMSTART
	v_nop
 v_nop
 v_add_f32_dpp v38, v38, v38 row_ror:4
	;;#ASMEND
	v_cmp_gt_u32_e32 vcc, 4, v1
	;;#ASMSTART
	v_nop
 v_nop
 v_add_f32_dpp v38, v38, v38 row_ror:8
	;;#ASMEND
	ds_bpermute_b32 v38, v42, v38
	s_waitcnt lgkmcnt(0)
	;;#ASMSTART
	v_nop
 v_nop
 v_add_f32_dpp v38, v38, v38 row_ror:4
	;;#ASMEND
	s_nop 0
	;;#ASMSTART
	v_nop
 v_nop
 v_add_f32_dpp v38, v38, v38 row_ror:8
	;;#ASMEND
	s_and_saveexec_b64 s[0:1], vcc
	s_cbranch_execz .LBB1311_12
; %bb.11:
	v_mul_u32_u24_e32 v39, 20, v46
	v_lshl_add_u32 v39, v47, 2, v39
	v_add_u32_e32 v39, 0x1400, v39
	ds_write2_b32 v39, v41, v38 offset1:20
.LBB1311_12:
	s_or_b64 exec, exec, s[0:1]
.LBB1311_13:
	s_or_b64 exec, exec, s[30:31]
	v_lshlrev_b32_e32 v38, 2, v47
	v_add_u32_e32 v40, 0x1400, v38
	s_waitcnt lgkmcnt(0)
	s_barrier
	s_load_dword s0, s[28:29], 0x8
	ds_read2_b32 v[38:39], v40 offset1:5
	ds_read2_b32 v[44:45], v40 offset0:10 offset1:15
	s_mov_b32 s10, 0xff7fffff
	s_mul_i32 s1, s2, s5
	ds_read2_b32 v[48:49], v40 offset0:20 offset1:25
	s_waitcnt lgkmcnt(0)
	v_max3_f32 v42, v38, s10, v39
	v_max3_f32 v42, v42, v44, v45
	v_sub_f32_e32 v38, v38, v42
	v_mul_f32_e32 v38, 0x3fb8aa3b, v38
	s_mul_i32 s1, s1, s0
	v_exp_f32_e32 v43, v38
	v_sub_f32_e32 v38, v39, v42
	s_lshl_b32 s0, s1, 2
	s_mov_b32 s1, 0
	v_mul_f32_e32 v38, 0x3fb8aa3b, v38
	s_lshl_b32 s8, s4, 2
	s_lshl_b64 s[2:3], s[0:1], 2
	v_exp_f32_e32 v50, v38
	ds_read2_b32 v[38:39], v40 offset0:30 offset1:35
	v_sub_f32_e32 v40, v44, v42
	s_add_u32 s4, s16, s2
	v_mul_f32_e32 v40, 0x3fb8aa3b, v40
	v_sub_f32_e32 v44, v45, v42
	s_addc_u32 s9, s17, s3
	v_exp_f32_e32 v40, v40
	v_mul_f32_e32 v44, 0x3fb8aa3b, v44
	s_mov_b32 s25, s1
	s_add_u32 s10, s18, s2
	v_exp_f32_e32 v44, v44
	s_addc_u32 s11, s19, s3
	s_lshl_b64 s[2:3], s[24:25], 2
	v_fma_f32 v43, v43, v48, 0
	s_add_u32 s10, s10, s2
	v_fmac_f32_e32 v43, v50, v49
	s_addc_u32 s11, s11, s3
	s_waitcnt lgkmcnt(0)
	v_fmac_f32_e32 v43, v40, v38
	v_or_b32_e32 v38, s8, v47
	v_fmac_f32_e32 v43, v44, v39
	s_add_u32 s2, s4, s2
	v_mul_lo_u32 v38, s5, v38
	v_mov_b32_e32 v39, 0
	s_addc_u32 s3, s9, s3
	v_lshlrev_b64 v[44:45], 2, v[38:39]
	v_lshl_add_u64 v[48:49], s[10:11], 0, v[44:45]
	v_lshl_add_u64 v[44:45], s[2:3], 0, v[44:45]
	v_lshlrev_b32_e32 v40, 3, v46
	global_store_dword v[48:49], v42, off
	global_store_dword v[44:45], v43, off
	s_and_saveexec_b64 s[2:3], s[6:7]
	s_xor_b64 s[2:3], exec, s[2:3]
	s_cbranch_execz .LBB1311_15
; %bb.14:
	s_waitcnt vmcnt(8)
	v_mad_u32_u24 v2, v1, 40, v40
	v_mov_b32_e32 v38, v39
	ds_write_b64 v2, v[38:39]
                                        ; implicit-def: $vgpr37
                                        ; implicit-def: $vgpr35
                                        ; implicit-def: $vgpr41
                                        ; implicit-def: $vgpr26_vgpr27
                                        ; implicit-def: $vgpr18_vgpr19
                                        ; implicit-def: $vgpr22_vgpr23
                                        ; implicit-def: $vgpr30_vgpr31
                                        ; implicit-def: $vgpr10_vgpr11
                                        ; implicit-def: $vgpr2_vgpr3
                                        ; implicit-def: $vgpr6_vgpr7
                                        ; implicit-def: $vgpr14_vgpr15
                                        ; implicit-def: $vgpr42
                                        ; implicit-def: $vgpr43
.LBB1311_15:
	s_or_saveexec_b64 s[2:3], s[2:3]
	v_mov_b32_e32 v38, s1
	v_mov_b32_e32 v39, s1
	s_xor_b64 exec, exec, s[2:3]
	s_cbranch_execz .LBB1311_17
; %bb.16:
	v_add_f32_e32 v38, 0x358637bd, v43
	v_div_scale_f32 v39, s[6:7], v38, v38, 1.0
	v_rcp_f32_e32 v43, v39
	v_sub_f32_e32 v41, v41, v42
	v_mul_f32_e32 v41, 0x3fb8aa3b, v41
	v_exp_f32_e32 v41, v41
	v_fma_f32 v42, -v39, v43, 1.0
	v_fmac_f32_e32 v43, v42, v43
	v_div_scale_f32 v42, vcc, 1.0, v38, 1.0
	v_mul_f32_e32 v44, v42, v43
	v_fma_f32 v45, -v39, v44, v42
	v_fmac_f32_e32 v44, v45, v43
	v_fma_f32 v39, -v39, v44, v42
	v_div_fmas_f32 v39, v39, v43, v44
	v_div_fixup_f32 v38, v39, v38, 1.0
	v_mul_f32_e32 v38, v41, v38
	v_pk_mul_f32 v[34:35], v[34:35], v[38:39] op_sel_hi:[1,0]
	v_pk_mul_f32 v[36:37], v[36:37], v[38:39] op_sel_hi:[1,0]
	v_bfe_u32 v38, v35, 16, 1
	v_bfe_u32 v39, v34, 16, 1
	s_movk_i32 s1, 0x7fff
	v_add3_u32 v34, v34, v39, s1
	v_add3_u32 v35, v35, v38, s1
	s_mov_b32 s6, 0x7060302
	v_perm_b32 v34, v35, v34, s6
	v_bfe_u32 v35, v37, 16, 1
	v_bfe_u32 v38, v36, 16, 1
	v_add3_u32 v36, v36, v38, s1
	v_add3_u32 v35, v37, v35, s1
	v_perm_b32 v35, v35, v36, s6
	s_waitcnt vmcnt(7)
	v_cvt_pk_f32_fp8_e32 v[36:37], v26
	v_cvt_pk_f32_fp8_sdwa v[38:39], v26 src0_sel:WORD_1
	v_cvt_pk_f32_fp8_e32 v[42:43], v27
	v_cvt_pk_f32_fp8_sdwa v[26:27], v27 src0_sel:WORD_1
	v_perm_b32 v36, v37, v36, s6
	v_perm_b32 v37, v39, v38, s6
	;; [unrolled: 1-line block ×4, first 2 shown]
	v_mfma_f32_4x4x4_16b_bf16 a[0:3], v[34:35], v[36:37], 0 cbsz:4
	v_cvt_pk_f32_fp8_e32 v[26:27], v28
	v_cvt_pk_f32_fp8_sdwa v[36:37], v28 src0_sel:WORD_1
	v_mfma_f32_4x4x4_16b_bf16 a[0:3], v[34:35], v[38:39], a[0:3] cbsz:4 abid:1
	v_cvt_pk_f32_fp8_e32 v[38:39], v29
	v_cvt_pk_f32_fp8_sdwa v[28:29], v29 src0_sel:WORD_1
	v_perm_b32 v26, v27, v26, s6
	v_perm_b32 v27, v37, v36, s6
	v_perm_b32 v36, v39, v38, s6
	v_perm_b32 v37, v29, v28, s6
	v_mfma_f32_4x4x4_16b_bf16 a[0:3], v[34:35], v[26:27], a[0:3] cbsz:4 abid:2
	v_cvt_pk_f32_fp8_e32 v[26:27], v18
	v_cvt_pk_f32_fp8_sdwa v[28:29], v18 src0_sel:WORD_1
	v_mfma_f32_4x4x4_16b_bf16 a[0:3], v[34:35], v[36:37], a[0:3] cbsz:4 abid:3
	v_cvt_pk_f32_fp8_e32 v[36:37], v19
	v_cvt_pk_f32_fp8_sdwa v[18:19], v19 src0_sel:WORD_1
	v_perm_b32 v26, v27, v26, s6
	v_perm_b32 v27, v29, v28, s6
	v_perm_b32 v28, v37, v36, s6
	v_perm_b32 v29, v19, v18, s6
	v_mfma_f32_4x4x4_16b_bf16 a[0:3], v[34:35], v[26:27], a[0:3] cbsz:4 abid:4
	;; [unrolled: 10-line block ×3, first 2 shown]
	s_waitcnt vmcnt(5)
	v_cvt_pk_f32_fp8_e32 v[18:19], v22
	v_cvt_pk_f32_fp8_sdwa v[20:21], v22 src0_sel:WORD_1
	v_mfma_f32_4x4x4_16b_bf16 a[0:3], v[34:35], v[26:27], a[0:3] cbsz:4 abid:7
	v_cvt_pk_f32_fp8_e32 v[26:27], v23
	v_cvt_pk_f32_fp8_sdwa v[22:23], v23 src0_sel:WORD_1
	v_perm_b32 v18, v19, v18, s6
	v_perm_b32 v19, v21, v20, s6
	;; [unrolled: 1-line block ×4, first 2 shown]
	v_mfma_f32_4x4x4_16b_bf16 a[0:3], v[34:35], v[18:19], a[0:3] cbsz:4 abid:8
	v_cvt_pk_f32_fp8_e32 v[18:19], v24
	v_cvt_pk_f32_fp8_e32 v[22:23], v25
	v_mfma_f32_4x4x4_16b_bf16 a[0:3], v[34:35], v[20:21], a[0:3] cbsz:4 abid:9
	v_cvt_pk_f32_fp8_sdwa v[20:21], v24 src0_sel:WORD_1
	v_cvt_pk_f32_fp8_sdwa v[24:25], v25 src0_sel:WORD_1
	v_perm_b32 v18, v19, v18, s6
	s_load_dword s4, s[14:15], 0x0
	v_perm_b32 v19, v21, v20, s6
	v_perm_b32 v20, v23, v22, s6
	v_perm_b32 v21, v25, v24, s6
	v_mfma_f32_4x4x4_16b_bf16 a[0:3], v[34:35], v[18:19], a[0:3] cbsz:4 abid:10
	s_waitcnt vmcnt(3)
	v_cvt_pk_f32_fp8_e32 v[18:19], v30
	v_cvt_pk_f32_fp8_e32 v[22:23], v31
	v_mfma_f32_4x4x4_16b_bf16 a[0:3], v[34:35], v[20:21], a[0:3] cbsz:4 abid:11
	v_cvt_pk_f32_fp8_sdwa v[20:21], v30 src0_sel:WORD_1
	v_cvt_pk_f32_fp8_sdwa v[24:25], v31 src0_sel:WORD_1
	v_perm_b32 v18, v19, v18, s6
	v_perm_b32 v19, v21, v20, s6
	;; [unrolled: 1-line block ×3, first 2 shown]
	s_nop 0
	v_mfma_f32_4x4x4_16b_bf16 a[0:3], v[34:35], v[18:19], a[0:3] cbsz:4 abid:12
	v_perm_b32 v21, v25, v24, s6
	v_cvt_pk_f32_fp8_e32 v[18:19], v32
	v_cvt_pk_f32_fp8_e32 v[22:23], v33
	v_mfma_f32_4x4x4_16b_bf16 a[0:3], v[34:35], v[20:21], a[0:3] cbsz:4 abid:13
	v_cvt_pk_f32_fp8_sdwa v[20:21], v32 src0_sel:WORD_1
	v_cvt_pk_f32_fp8_sdwa v[24:25], v33 src0_sel:WORD_1
	v_perm_b32 v18, v19, v18, s6
	v_perm_b32 v19, v21, v20, s6
	;; [unrolled: 1-line block ×3, first 2 shown]
	s_nop 0
	v_mfma_f32_4x4x4_16b_bf16 a[0:3], v[34:35], v[18:19], a[0:3] cbsz:4 abid:14
	v_perm_b32 v21, v25, v24, s6
	s_nop 1
	v_mfma_f32_4x4x4_16b_bf16 a[0:3], v[34:35], v[20:21], a[0:3] cbsz:4 abid:15
	s_nop 4
	v_accvgpr_read_b32 v21, a1
	v_accvgpr_read_b32 v20, a0
	s_waitcnt lgkmcnt(0)
	v_pk_mul_f32 v[20:21], v[20:21], s[4:5] op_sel_hi:[1,0]
	v_accvgpr_read_b32 v19, a3
	v_accvgpr_read_b32 v18, a2
	v_bfe_u32 v22, v21, 16, 1
	v_bfe_u32 v23, v20, 16, 1
	v_pk_mul_f32 v[18:19], v[18:19], s[4:5] op_sel_hi:[1,0]
	v_add3_u32 v20, v20, v23, s1
	v_add3_u32 v21, v21, v22, s1
	v_perm_b32 v20, v21, v20, s6
	v_bfe_u32 v21, v19, 16, 1
	v_bfe_u32 v22, v18, 16, 1
	v_add3_u32 v18, v18, v22, s1
	v_add3_u32 v19, v19, v21, s1
	v_perm_b32 v21, v19, v18, s6
	v_mad_u32_u24 v18, v1, 40, v40
	ds_write_b64 v18, v[20:21]
	v_cvt_pk_f32_fp8_e32 v[18:19], v10
	v_cvt_pk_f32_fp8_sdwa v[20:21], v10 src0_sel:WORD_1
	v_cvt_pk_f32_fp8_e32 v[22:23], v11
	v_cvt_pk_f32_fp8_sdwa v[10:11], v11 src0_sel:WORD_1
	v_perm_b32 v18, v19, v18, s6
	v_perm_b32 v19, v21, v20, s6
	;; [unrolled: 1-line block ×4, first 2 shown]
	v_mfma_f32_4x4x4_16b_bf16 a[0:3], v[34:35], v[18:19], 0 cbsz:4
	v_cvt_pk_f32_fp8_e32 v[10:11], v12
	v_cvt_pk_f32_fp8_sdwa v[18:19], v12 src0_sel:WORD_1
	v_mfma_f32_4x4x4_16b_bf16 a[0:3], v[34:35], v[20:21], a[0:3] cbsz:4 abid:1
	v_cvt_pk_f32_fp8_e32 v[20:21], v13
	v_cvt_pk_f32_fp8_sdwa v[12:13], v13 src0_sel:WORD_1
	v_perm_b32 v10, v11, v10, s6
	v_perm_b32 v11, v19, v18, s6
	v_perm_b32 v18, v21, v20, s6
	v_perm_b32 v19, v13, v12, s6
	v_mfma_f32_4x4x4_16b_bf16 a[0:3], v[34:35], v[10:11], a[0:3] cbsz:4 abid:2
	v_cvt_pk_f32_fp8_e32 v[10:11], v2
	v_cvt_pk_f32_fp8_sdwa v[12:13], v2 src0_sel:WORD_1
	v_mfma_f32_4x4x4_16b_bf16 a[0:3], v[34:35], v[18:19], a[0:3] cbsz:4 abid:3
	v_cvt_pk_f32_fp8_e32 v[18:19], v3
	v_cvt_pk_f32_fp8_sdwa v[2:3], v3 src0_sel:WORD_1
	v_perm_b32 v10, v11, v10, s6
	v_perm_b32 v11, v13, v12, s6
	v_perm_b32 v12, v19, v18, s6
	v_perm_b32 v13, v3, v2, s6
	v_mfma_f32_4x4x4_16b_bf16 a[0:3], v[34:35], v[10:11], a[0:3] cbsz:4 abid:4
	;; [unrolled: 10-line block ×4, first 2 shown]
	v_cvt_pk_f32_fp8_e32 v[2:3], v8
	v_cvt_pk_f32_fp8_e32 v[6:7], v9
	v_mfma_f32_4x4x4_16b_bf16 a[0:3], v[34:35], v[4:5], a[0:3] cbsz:4 abid:9
	v_cvt_pk_f32_fp8_sdwa v[4:5], v8 src0_sel:WORD_1
	v_cvt_pk_f32_fp8_sdwa v[8:9], v9 src0_sel:WORD_1
	v_perm_b32 v2, v3, v2, s6
	v_perm_b32 v3, v5, v4, s6
	;; [unrolled: 1-line block ×3, first 2 shown]
	s_nop 0
	v_mfma_f32_4x4x4_16b_bf16 a[0:3], v[34:35], v[2:3], a[0:3] cbsz:4 abid:10
	v_perm_b32 v5, v9, v8, s6
	s_waitcnt vmcnt(2)
	v_cvt_pk_f32_fp8_e32 v[2:3], v14
	v_cvt_pk_f32_fp8_e32 v[6:7], v15
	v_mfma_f32_4x4x4_16b_bf16 a[0:3], v[34:35], v[4:5], a[0:3] cbsz:4 abid:11
	v_cvt_pk_f32_fp8_sdwa v[4:5], v14 src0_sel:WORD_1
	v_cvt_pk_f32_fp8_sdwa v[8:9], v15 src0_sel:WORD_1
	v_perm_b32 v2, v3, v2, s6
	v_perm_b32 v3, v5, v4, s6
	;; [unrolled: 1-line block ×3, first 2 shown]
	s_nop 0
	v_mfma_f32_4x4x4_16b_bf16 a[0:3], v[34:35], v[2:3], a[0:3] cbsz:4 abid:12
	v_perm_b32 v5, v9, v8, s6
	v_cvt_pk_f32_fp8_e32 v[2:3], v16
	v_cvt_pk_f32_fp8_e32 v[6:7], v17
	v_mfma_f32_4x4x4_16b_bf16 a[0:3], v[34:35], v[4:5], a[0:3] cbsz:4 abid:13
	v_cvt_pk_f32_fp8_sdwa v[4:5], v16 src0_sel:WORD_1
	v_cvt_pk_f32_fp8_sdwa v[8:9], v17 src0_sel:WORD_1
	v_perm_b32 v2, v3, v2, s6
	v_perm_b32 v3, v5, v4, s6
	;; [unrolled: 1-line block ×3, first 2 shown]
	s_nop 0
	v_mfma_f32_4x4x4_16b_bf16 a[0:3], v[34:35], v[2:3], a[0:3] cbsz:4 abid:14
	v_perm_b32 v5, v9, v8, s6
	s_nop 1
	v_mfma_f32_4x4x4_16b_bf16 a[0:3], v[34:35], v[4:5], a[0:3] cbsz:4 abid:15
	s_nop 4
	v_accvgpr_read_b32 v5, a1
	v_accvgpr_read_b32 v4, a0
	;; [unrolled: 1-line block ×4, first 2 shown]
	v_pk_mul_f32 v[4:5], v[4:5], s[4:5] op_sel_hi:[1,0]
	v_pk_mul_f32 v[2:3], v[2:3], s[4:5] op_sel_hi:[1,0]
	v_bfe_u32 v6, v5, 16, 1
	v_bfe_u32 v7, v4, 16, 1
	v_add3_u32 v4, v4, v7, s1
	v_add3_u32 v5, v5, v6, s1
	v_bfe_u32 v6, v3, 16, 1
	v_bfe_u32 v7, v2, 16, 1
	v_add3_u32 v2, v2, v7, s1
	v_add3_u32 v3, v3, v6, s1
	v_perm_b32 v39, v3, v2, s6
	v_perm_b32 v38, v5, v4, s6
.LBB1311_17:
	s_or_b64 exec, exec, s[2:3]
	s_waitcnt vmcnt(8)
	v_mad_u32_u24 v2, v1, 40, v40
	v_cmp_gt_u32_e32 vcc, 64, v0
	ds_write_b64 v2, v[38:39] offset:2560
	s_waitcnt lgkmcnt(0)
	s_barrier
	s_and_saveexec_b64 s[2:3], vcc
	s_cbranch_execz .LBB1311_19
; %bb.18:
	s_waitcnt vmcnt(4)
	v_mul_u32_u24_e32 v6, 40, v1
	ds_read2_b64 v[2:5], v6 offset1:1
	ds_read2_b64 v[6:9], v6 offset0:2 offset1:3
	s_mov_b32 s1, 0
	s_lshl_b32 s0, s0, 7
	s_lshl_b64 s[2:3], s[0:1], 1
	s_waitcnt lgkmcnt(1)
	v_lshlrev_b32_e32 v10, 16, v2
	v_and_b32_e32 v2, 0xffff0000, v2
	v_add_f32_e32 v2, 0, v2
	v_lshlrev_b32_e32 v11, 16, v3
	v_and_b32_e32 v3, 0xffff0000, v3
	v_and_b32_e32 v2, 0xffff0000, v2
	v_add_f32_e32 v11, 0, v11
	v_add_f32_e32 v3, 0, v3
	v_lshlrev_b32_e32 v12, 16, v4
	v_and_b32_e32 v4, 0xffff0000, v4
	v_add_f32_e32 v10, 0, v10
	v_and_b32_e32 v11, 0xffff0000, v11
	v_and_b32_e32 v3, 0xffff0000, v3
	v_add_f32_e32 v2, v2, v4
	v_lshlrev_b32_e32 v4, 16, v5
	v_and_b32_e32 v5, 0xffff0000, v5
	v_and_b32_e32 v10, 0xffff0000, v10
	;; [unrolled: 1-line block ×3, first 2 shown]
	v_add_f32_e32 v4, v11, v4
	v_add_f32_e32 v3, v3, v5
	s_waitcnt lgkmcnt(0)
	v_lshlrev_b32_e32 v5, 16, v6
	v_and_b32_e32 v6, 0xffff0000, v6
	v_add_f32_e32 v10, v10, v12
	v_and_b32_e32 v4, 0xffff0000, v4
	v_add_f32_e32 v2, v2, v6
	v_lshlrev_b32_e32 v6, 16, v7
	v_and_b32_e32 v10, 0xffff0000, v10
	v_and_b32_e32 v3, 0xffff0000, v3
	v_add_f32_e32 v4, v4, v6
	v_and_b32_e32 v6, 0xffff0000, v7
	v_add_f32_e32 v5, v10, v5
	v_add_f32_e32 v3, v3, v6
	v_and_b32_e32 v5, 0xffff0000, v5
	v_and_b32_e32 v6, 0xffff0000, v3
	v_lshlrev_b32_e32 v3, 16, v8
	v_and_b32_e32 v2, 0xffff0000, v2
	v_add_f32_e32 v10, v5, v3
	v_and_b32_e32 v3, 0xffff0000, v8
	v_and_b32_e32 v4, 0xffff0000, v4
	v_add_f32_e32 v11, v2, v3
	v_lshlrev_b32_e32 v2, 16, v9
	v_add_f32_e32 v12, v4, v2
	v_mov_b32_e32 v2, 0xa00
	v_mad_u32_u24 v2, v1, 40, v2
	ds_read2_b64 v[2:5], v2 offset1:1
	v_and_b32_e32 v7, 0xffff0000, v9
	v_add_f32_e32 v13, v6, v7
	v_mov_b32_e32 v6, 0xa10
	v_mad_u32_u24 v1, v1, 40, v6
	ds_read2_b64 v[6:9], v1 offset1:1
	s_waitcnt lgkmcnt(1)
	v_lshlrev_b32_e32 v1, 16, v2
	v_and_b32_e32 v2, 0xffff0000, v2
	v_add_f32_e32 v1, 0, v1
	v_add_f32_e32 v2, 0, v2
	s_waitcnt vmcnt(2)
	v_lshlrev_b32_e32 v14, 16, v3
	v_and_b32_e32 v3, 0xffff0000, v3
	v_and_b32_e32 v1, 0xffff0000, v1
	;; [unrolled: 1-line block ×3, first 2 shown]
	v_add_f32_e32 v3, 0, v3
	v_lshlrev_b32_e32 v15, 16, v4
	v_and_b32_e32 v4, 0xffff0000, v4
	v_add_f32_e32 v14, 0, v14
	v_and_b32_e32 v3, 0xffff0000, v3
	v_add_f32_e32 v1, v1, v15
	v_add_f32_e32 v2, v2, v4
	v_lshlrev_b32_e32 v4, 16, v5
	v_and_b32_e32 v5, 0xffff0000, v5
	v_and_b32_e32 v14, 0xffff0000, v14
	;; [unrolled: 1-line block ×3, first 2 shown]
	v_add_f32_e32 v3, v3, v5
	s_waitcnt lgkmcnt(0)
	v_lshlrev_b32_e32 v5, 16, v6
	v_and_b32_e32 v2, 0xffff0000, v2
	v_add_f32_e32 v4, v14, v4
	v_add_f32_e32 v1, v1, v5
	v_and_b32_e32 v5, 0xffff0000, v6
	v_and_b32_e32 v4, 0xffff0000, v4
	v_add_f32_e32 v2, v2, v5
	v_lshlrev_b32_e32 v5, 16, v7
	s_add_u32 s2, s26, s2
	v_and_b32_e32 v3, 0xffff0000, v3
	v_add_f32_e32 v4, v4, v5
	v_and_b32_e32 v5, 0xffff0000, v7
	s_addc_u32 s3, s27, s3
	s_lshl_b32 s0, s24, 7
	v_and_b32_e32 v1, 0xffff0000, v1
	v_add_f32_e32 v3, v3, v5
	v_lshlrev_b32_e32 v5, 16, v8
	s_lshl_b64 s[0:1], s[0:1], 1
	v_and_b32_e32 v2, 0xffff0000, v2
	v_add_f32_e32 v14, v1, v5
	v_and_b32_e32 v1, 0xffff0000, v8
	s_add_u32 s0, s2, s0
	v_and_b32_e32 v4, 0xffff0000, v4
	v_add_f32_e32 v15, v2, v1
	v_lshlrev_b32_e32 v1, 16, v9
	s_addc_u32 s1, s3, s1
	s_lshl_b32 s2, s5, 7
	v_and_b32_e32 v3, 0xffff0000, v3
	v_add_f32_e32 v16, v4, v1
	v_and_b32_e32 v1, 0xffff0000, v9
	s_mul_i32 s3, s2, s8
	v_add_f32_e32 v17, v3, v1
	v_or_b32_e32 v2, s3, v0
	v_mov_b32_e32 v3, 0
	s_add_i32 s3, s3, s2
	v_lshl_add_u64 v[4:5], v[2:3], 1, s[0:1]
	v_or_b32_e32 v2, s3, v0
	s_add_i32 s3, s3, s2
	v_lshl_add_u64 v[6:7], v[2:3], 1, s[0:1]
	v_or_b32_e32 v2, s3, v0
	;; [unrolled: 3-line block ×3, first 2 shown]
	v_lshl_add_u64 v[0:1], v[2:3], 1, s[0:1]
	global_store_short_d16_hi v[4:5], v10, off
	global_store_short_d16_hi v[6:7], v11, off
	;; [unrolled: 1-line block ×4, first 2 shown]
	global_store_short_d16_hi v[4:5], v14, off offset:128
	global_store_short_d16_hi v[6:7], v15, off offset:128
	;; [unrolled: 1-line block ×4, first 2 shown]
.LBB1311_19:
	s_endpgm
.LBB1311_20:
	s_mov_b64 s[12:13], 0
                                        ; implicit-def: $sgpr34_sgpr35
	s_branch .LBB1311_2
	.section	.rodata,"a",@progbits
	.p2align	6, 0x0
	.amdhsa_kernel _Z38paged_attention_ll4mi_QKV_mfma4_kernelI14__hip_bfloat16hLN4vllm18Fp8KVCacheDataTypeE1ES0_Li16ELi128ELi256ELb0ELi4EEvPKT_PKT0_S8_ifPKiSA_SA_iPKfiiiPfSD_PS3_PT2_iSC_SC_
		.amdhsa_group_segment_fixed_size 5280
		.amdhsa_private_segment_fixed_size 0
		.amdhsa_kernarg_size 400
		.amdhsa_user_sgpr_count 2
		.amdhsa_user_sgpr_dispatch_ptr 0
		.amdhsa_user_sgpr_queue_ptr 0
		.amdhsa_user_sgpr_kernarg_segment_ptr 1
		.amdhsa_user_sgpr_dispatch_id 0
		.amdhsa_user_sgpr_kernarg_preload_length 0
		.amdhsa_user_sgpr_kernarg_preload_offset 0
		.amdhsa_user_sgpr_private_segment_size 0
		.amdhsa_uses_dynamic_stack 0
		.amdhsa_enable_private_segment 0
		.amdhsa_system_sgpr_workgroup_id_x 1
		.amdhsa_system_sgpr_workgroup_id_y 1
		.amdhsa_system_sgpr_workgroup_id_z 1
		.amdhsa_system_sgpr_workgroup_info 0
		.amdhsa_system_vgpr_workitem_id 0
		.amdhsa_next_free_vgpr 84
		.amdhsa_next_free_sgpr 42
		.amdhsa_accum_offset 80
		.amdhsa_reserve_vcc 1
		.amdhsa_float_round_mode_32 0
		.amdhsa_float_round_mode_16_64 0
		.amdhsa_float_denorm_mode_32 3
		.amdhsa_float_denorm_mode_16_64 3
		.amdhsa_dx10_clamp 1
		.amdhsa_ieee_mode 1
		.amdhsa_fp16_overflow 0
		.amdhsa_tg_split 0
		.amdhsa_exception_fp_ieee_invalid_op 0
		.amdhsa_exception_fp_denorm_src 0
		.amdhsa_exception_fp_ieee_div_zero 0
		.amdhsa_exception_fp_ieee_overflow 0
		.amdhsa_exception_fp_ieee_underflow 0
		.amdhsa_exception_fp_ieee_inexact 0
		.amdhsa_exception_int_div_zero 0
	.end_amdhsa_kernel
	.section	.text._Z38paged_attention_ll4mi_QKV_mfma4_kernelI14__hip_bfloat16hLN4vllm18Fp8KVCacheDataTypeE1ES0_Li16ELi128ELi256ELb0ELi4EEvPKT_PKT0_S8_ifPKiSA_SA_iPKfiiiPfSD_PS3_PT2_iSC_SC_,"axG",@progbits,_Z38paged_attention_ll4mi_QKV_mfma4_kernelI14__hip_bfloat16hLN4vllm18Fp8KVCacheDataTypeE1ES0_Li16ELi128ELi256ELb0ELi4EEvPKT_PKT0_S8_ifPKiSA_SA_iPKfiiiPfSD_PS3_PT2_iSC_SC_,comdat
.Lfunc_end1311:
	.size	_Z38paged_attention_ll4mi_QKV_mfma4_kernelI14__hip_bfloat16hLN4vllm18Fp8KVCacheDataTypeE1ES0_Li16ELi128ELi256ELb0ELi4EEvPKT_PKT0_S8_ifPKiSA_SA_iPKfiiiPfSD_PS3_PT2_iSC_SC_, .Lfunc_end1311-_Z38paged_attention_ll4mi_QKV_mfma4_kernelI14__hip_bfloat16hLN4vllm18Fp8KVCacheDataTypeE1ES0_Li16ELi128ELi256ELb0ELi4EEvPKT_PKT0_S8_ifPKiSA_SA_iPKfiiiPfSD_PS3_PT2_iSC_SC_
                                        ; -- End function
	.section	.AMDGPU.csdata,"",@progbits
; Kernel info:
; codeLenInByte = 6036
; NumSgprs: 48
; NumVgprs: 80
; NumAgprs: 4
; TotalNumVgprs: 84
; ScratchSize: 0
; MemoryBound: 0
; FloatMode: 240
; IeeeMode: 1
; LDSByteSize: 5280 bytes/workgroup (compile time only)
; SGPRBlocks: 5
; VGPRBlocks: 10
; NumSGPRsForWavesPerEU: 48
; NumVGPRsForWavesPerEU: 84
; AccumOffset: 80
; Occupancy: 5
; WaveLimiterHint : 1
; COMPUTE_PGM_RSRC2:SCRATCH_EN: 0
; COMPUTE_PGM_RSRC2:USER_SGPR: 2
; COMPUTE_PGM_RSRC2:TRAP_HANDLER: 0
; COMPUTE_PGM_RSRC2:TGID_X_EN: 1
; COMPUTE_PGM_RSRC2:TGID_Y_EN: 1
; COMPUTE_PGM_RSRC2:TGID_Z_EN: 1
; COMPUTE_PGM_RSRC2:TIDIG_COMP_CNT: 0
; COMPUTE_PGM_RSRC3_GFX90A:ACCUM_OFFSET: 19
; COMPUTE_PGM_RSRC3_GFX90A:TG_SPLIT: 0
	.section	.text._Z39paged_attention_ll4mi_QKV_mfma16_kernelI14__hip_bfloat16hLN4vllm18Fp8KVCacheDataTypeE1ES0_Li16ELi128ELi256ELb0ELi5EEvPKT_PKT0_S8_ifPKiSA_SA_iPKfiiiPfSD_PS3_PT2_iSC_SC_,"axG",@progbits,_Z39paged_attention_ll4mi_QKV_mfma16_kernelI14__hip_bfloat16hLN4vllm18Fp8KVCacheDataTypeE1ES0_Li16ELi128ELi256ELb0ELi5EEvPKT_PKT0_S8_ifPKiSA_SA_iPKfiiiPfSD_PS3_PT2_iSC_SC_,comdat
	.protected	_Z39paged_attention_ll4mi_QKV_mfma16_kernelI14__hip_bfloat16hLN4vllm18Fp8KVCacheDataTypeE1ES0_Li16ELi128ELi256ELb0ELi5EEvPKT_PKT0_S8_ifPKiSA_SA_iPKfiiiPfSD_PS3_PT2_iSC_SC_ ; -- Begin function _Z39paged_attention_ll4mi_QKV_mfma16_kernelI14__hip_bfloat16hLN4vllm18Fp8KVCacheDataTypeE1ES0_Li16ELi128ELi256ELb0ELi5EEvPKT_PKT0_S8_ifPKiSA_SA_iPKfiiiPfSD_PS3_PT2_iSC_SC_
	.globl	_Z39paged_attention_ll4mi_QKV_mfma16_kernelI14__hip_bfloat16hLN4vllm18Fp8KVCacheDataTypeE1ES0_Li16ELi128ELi256ELb0ELi5EEvPKT_PKT0_S8_ifPKiSA_SA_iPKfiiiPfSD_PS3_PT2_iSC_SC_
	.p2align	8
	.type	_Z39paged_attention_ll4mi_QKV_mfma16_kernelI14__hip_bfloat16hLN4vllm18Fp8KVCacheDataTypeE1ES0_Li16ELi128ELi256ELb0ELi5EEvPKT_PKT0_S8_ifPKiSA_SA_iPKfiiiPfSD_PS3_PT2_iSC_SC_,@function
_Z39paged_attention_ll4mi_QKV_mfma16_kernelI14__hip_bfloat16hLN4vllm18Fp8KVCacheDataTypeE1ES0_Li16ELi128ELi256ELb0ELi5EEvPKT_PKT0_S8_ifPKiSA_SA_iPKfiiiPfSD_PS3_PT2_iSC_SC_: ; @_Z39paged_attention_ll4mi_QKV_mfma16_kernelI14__hip_bfloat16hLN4vllm18Fp8KVCacheDataTypeE1ES0_Li16ELi128ELi256ELb0ELi5EEvPKT_PKT0_S8_ifPKiSA_SA_iPKfiiiPfSD_PS3_PT2_iSC_SC_
; %bb.0:
	s_load_dwordx2 s[12:13], s[0:1], 0x30
	s_mov_b32 s24, s3
	s_mov_b64 s[6:7], 0
	s_waitcnt lgkmcnt(0)
	s_cmp_lg_u64 s[12:13], 0
	s_cselect_b64 s[14:15], -1, 0
	s_and_b64 vcc, exec, s[14:15]
	s_cbranch_vccz .LBB1312_7
; %bb.1:
	s_add_i32 s8, s2, 1
	s_mov_b32 s9, 0
	s_lshl_b64 s[10:11], s[8:9], 2
	s_add_u32 s10, s12, s10
	s_mov_b32 s3, s9
	s_addc_u32 s11, s13, s11
	s_lshl_b64 s[8:9], s[2:3], 2
	s_add_u32 s8, s12, s8
	s_addc_u32 s9, s13, s9
	s_load_dword s5, s[10:11], 0x0
	s_load_dword s16, s[8:9], 0x0
	s_waitcnt lgkmcnt(0)
	s_sub_i32 s5, s5, s16
	s_cmp_eq_u32 s5, 1
	s_cselect_b64 s[8:9], -1, 0
	s_andn2_b64 vcc, exec, s[6:7]
	s_cbranch_vccnz .LBB1312_3
.LBB1312_2:
	s_mov_b32 s3, 0
	s_mov_b64 s[8:9], -1
.LBB1312_3:
	s_andn2_b64 vcc, exec, s[8:9]
	s_cbranch_vccnz .LBB1312_18
; %bb.4:
	s_load_dwordx2 s[6:7], s[0:1], 0x28
	s_lshl_b64 s[16:17], s[2:3], 2
	s_waitcnt lgkmcnt(0)
	s_add_u32 s6, s6, s16
	s_addc_u32 s7, s7, s17
	s_load_dword s33, s[6:7], 0x0
	s_lshl_b32 s18, s24, 8
	s_waitcnt lgkmcnt(0)
	s_cmp_ge_i32 s18, s33
	s_cbranch_scc1 .LBB1312_18
; %bb.5:
	s_load_dwordx2 s[6:7], s[0:1], 0x20
	s_load_dword s8, s[0:1], 0x38
	s_add_i32 s5, s33, 15
	s_ashr_i32 s9, s5, 31
	v_and_b32_e32 v1, 0xcf, v0
	s_lshr_b32 s9, s9, 28
	v_add_u32_e32 v1, s18, v1
	s_add_i32 s5, s5, s9
	v_ashrrev_i32_e32 v2, 31, v1
	s_ashr_i32 s5, s5, 4
	v_lshrrev_b32_e32 v10, 28, v2
	s_add_i32 s5, s5, -1
	s_waitcnt lgkmcnt(0)
	s_mul_i32 s8, s2, s8
	s_mov_b32 s9, 0
	v_add_u32_e32 v2, v1, v10
	s_lshl_b64 s[8:9], s[8:9], 2
	v_ashrrev_i32_e32 v2, 4, v2
	v_mov_b32_e32 v11, s5
	v_cmp_gt_i32_e32 vcc, s33, v1
	s_add_u32 s6, s6, s8
	s_addc_u32 s7, s7, s9
	v_cndmask_b32_e32 v2, v11, v2, vcc
	v_ashrrev_i32_e32 v3, 31, v2
	v_lshl_add_u64 v[4:5], v[2:3], 2, s[6:7]
	v_or_b32_e32 v2, 16, v1
	v_add_u32_e32 v3, v2, v10
	v_ashrrev_i32_e32 v3, 4, v3
	v_cmp_gt_i32_e32 vcc, s33, v2
	s_load_dwordx4 s[8:11], s[0:1], 0x8
	s_nop 0
	v_cndmask_b32_e32 v2, v11, v3, vcc
	v_ashrrev_i32_e32 v3, 31, v2
	v_lshl_add_u64 v[6:7], v[2:3], 2, s[6:7]
	v_or_b32_e32 v2, 32, v1
	v_add_u32_e32 v3, v2, v10
	v_ashrrev_i32_e32 v3, 4, v3
	v_cmp_gt_i32_e32 vcc, s33, v2
	v_or_b32_e32 v1, 48, v1
	s_nop 0
	v_cndmask_b32_e32 v2, v11, v3, vcc
	v_ashrrev_i32_e32 v3, 31, v2
	v_lshl_add_u64 v[8:9], v[2:3], 2, s[6:7]
	v_add_u32_e32 v2, v1, v10
	v_ashrrev_i32_e32 v2, 4, v2
	v_cmp_gt_i32_e32 vcc, s33, v1
	s_nop 1
	v_cndmask_b32_e32 v2, v11, v2, vcc
	v_ashrrev_i32_e32 v3, 31, v2
	v_lshl_add_u64 v[12:13], v[2:3], 2, s[6:7]
	global_load_dword v3, v[4:5], off
	global_load_dword v2, v[6:7], off
	;; [unrolled: 1-line block ×4, first 2 shown]
	s_andn2_b64 vcc, exec, s[14:15]
	s_cbranch_vccnz .LBB1312_8
; %bb.6:
	s_add_u32 s12, s12, s16
	s_addc_u32 s13, s13, s17
	s_load_dword s14, s[12:13], 0x0
	s_branch .LBB1312_9
.LBB1312_7:
	s_mov_b64 s[8:9], 0
	s_branch .LBB1312_2
.LBB1312_8:
	s_mov_b32 s14, s2
.LBB1312_9:
	s_load_dwordx4 s[44:47], s[0:1], 0x48
	v_lshrrev_b32_e32 v61, 6, v0
	v_bfe_u32 v64, v0, 4, 2
	v_and_b32_e32 v60, 15, v0
	v_lshl_or_b32 v4, v61, 2, v64
	v_lshlrev_b32_e32 v1, 3, v60
	v_and_b32_e32 v65, 63, v0
	s_mul_i32 s48, s4, 5
	v_cmp_gt_u32_e32 vcc, 5, v4
	v_lshlrev_b32_e32 v58, 1, v1
	v_lshlrev_b32_e32 v1, 4, v0
	s_and_saveexec_b64 s[12:13], vcc
	s_cbranch_execz .LBB1312_11
; %bb.10:
	s_load_dwordx2 s[16:17], s[0:1], 0x0
	s_waitcnt lgkmcnt(0)
	s_ashr_i32 s15, s44, 31
	s_mul_hi_u32 s19, s14, s44
	s_mul_i32 s15, s14, s15
	s_add_i32 s15, s19, s15
	s_mul_i32 s14, s14, s44
	s_lshl_b64 s[14:15], s[14:15], 1
	s_add_u32 s14, s16, s14
	v_add_lshl_u32 v6, v4, s48, 7
	s_addc_u32 s15, s17, s15
	v_ashrrev_i32_e32 v7, 31, v6
	v_lshl_add_u64 v[6:7], v[6:7], 1, s[14:15]
	v_mov_b32_e32 v59, 0
	v_lshl_add_u64 v[6:7], v[6:7], 0, v[58:59]
	global_load_dwordx4 v[6:9], v[6:7], off
	v_lshlrev_b32_e32 v12, 8, v0
	v_lshlrev_b32_e32 v5, 8, v60
	v_and_b32_e32 v12, 0x600, v12
	s_movk_i32 s14, 0x800
	v_and_or_b32 v5, v5, s14, v12
	v_lshlrev_b32_e32 v4, 5, v4
	v_and_b32_e32 v12, 16, v1
	v_or3_b32 v4, v5, v4, v12
	s_waitcnt vmcnt(0)
	ds_write_b128 v4, v[6:9]
.LBB1312_11:
	s_or_b64 exec, exec, s[12:13]
	s_waitcnt lgkmcnt(0)
	s_mul_i32 s4, s4, s46
	s_add_u32 s8, s8, s4
	s_addc_u32 s9, s9, 0
	v_and_b32_e32 v62, 0xf0, v1
	v_mov_b32_e32 v63, 0
	v_and_b32_e32 v12, 48, v0
	v_lshl_add_u64 v[6:7], s[8:9], 0, v[62:63]
	v_lshlrev_b32_e32 v62, 4, v12
	s_waitcnt vmcnt(3)
	v_mad_i64_i32 v[4:5], s[8:9], v3, s45, v[6:7]
	v_lshl_add_u64 v[4:5], v[4:5], 0, v[62:63]
	s_load_dword s25, s[0:1], 0x98
	s_load_dwordx4 s[40:43], s[0:1], 0x80
	s_waitcnt lgkmcnt(0)
	s_barrier
	global_load_dwordx4 v[22:25], v[4:5], off
	global_load_dwordx4 v[14:17], v[4:5], off offset:1024
	s_waitcnt vmcnt(4)
	v_mad_i64_i32 v[2:3], s[12:13], v2, s45, v[6:7]
	v_lshl_add_u64 v[8:9], v[2:3], 0, v[62:63]
	global_load_dwordx4 v[2:5], v[8:9], off
	v_mul_lo_u16_e32 v13, 52, v60
	v_mov_b32_e32 v18, 5
	v_or_b32_e32 v12, s18, v12
	v_mov_b32_e32 v19, s5
	v_mul_lo_u16_sdwa v13, v13, v18 dst_sel:DWORD dst_unused:UNUSED_PAD src0_sel:BYTE_1 src1_sel:DWORD
	v_ashrrev_i32_e32 v20, 4, v12
	v_or_b32_e32 v21, 64, v12
	v_cmp_gt_i32_e32 vcc, s33, v12
	v_sub_u16_e32 v13, v60, v13
	v_or_b32_e32 v26, 0x80, v12
	v_or_b32_e32 v27, 0xc0, v12
	v_cndmask_b32_e32 v38, v19, v20, vcc
	v_ashrrev_i32_e32 v12, 4, v21
	v_cmp_gt_i32_e32 vcc, s33, v21
	v_lshlrev_b32_sdwa v13, v18, v13 dst_sel:DWORD dst_unused:UNUSED_PAD src0_sel:DWORD src1_sel:BYTE_0
	v_ashrrev_i32_e32 v18, 4, v26
	v_cndmask_b32_e32 v42, v19, v12, vcc
	v_cmp_gt_i32_e32 vcc, s33, v26
	v_ashrrev_i32_e32 v20, 4, v27
	v_lshl_add_u32 v36, v64, 9, v13
	v_cndmask_b32_e32 v44, v19, v18, vcc
	v_cmp_gt_i32_e32 vcc, s33, v27
	s_waitcnt vmcnt(4)
	v_mad_i64_i32 v[34:35], s[12:13], v10, s45, v[6:7]
	v_cndmask_b32_e32 v46, v19, v20, vcc
	ds_read_b128 v[26:29], v36
	ds_read_b128 v[18:21], v36 offset:16
	global_load_dwordx4 v[30:33], v[8:9], off offset:1024
	s_waitcnt vmcnt(4)
	v_mad_i64_i32 v[40:41], s[12:13], v11, s45, v[6:7]
	v_ashrrev_i32_e32 v39, 31, v38
	ds_read_b128 v[10:13], v36 offset:2048
	ds_read_b128 v[6:9], v36 offset:2064
	v_lshl_add_u64 v[36:37], v[34:35], 0, v[62:63]
	v_lshl_add_u64 v[34:35], v[40:41], 0, v[62:63]
	v_ashrrev_i32_e32 v43, 31, v42
	v_ashrrev_i32_e32 v45, 31, v44
	;; [unrolled: 1-line block ×3, first 2 shown]
	v_lshl_add_u64 v[50:51], v[38:39], 2, s[6:7]
	v_lshl_add_u64 v[52:53], v[42:43], 2, s[6:7]
	;; [unrolled: 1-line block ×4, first 2 shown]
	global_load_dwordx4 v[46:49], v[36:37], off
	global_load_dwordx4 v[42:45], v[36:37], off offset:1024
	global_load_dwordx4 v[38:41], v[34:35], off
	s_nop 0
	global_load_dwordx4 v[34:37], v[34:35], off offset:1024
	s_nop 0
	global_load_dword v69, v[50:51], off
	global_load_dword v68, v[52:53], off
	;; [unrolled: 1-line block ×4, first 2 shown]
	s_mov_b32 s44, 0x7060302
	s_add_u32 s4, s10, s4
	v_lshl_or_b32 v59, v61, 4, v60
	s_addc_u32 s5, s11, 0
	v_lshlrev_b32_e32 v62, 4, v59
	s_load_dword s8, s[0:1], 0x1c
	s_waitcnt vmcnt(11)
	v_cvt_pk_f32_fp8_e32 v[50:51], v22
	v_cvt_pk_f32_fp8_sdwa v[52:53], v22 src0_sel:WORD_1
	v_cvt_pk_f32_fp8_e32 v[54:55], v23
	v_cvt_pk_f32_fp8_sdwa v[22:23], v23 src0_sel:WORD_1
	s_waitcnt vmcnt(10)
	v_cvt_pk_f32_fp8_e32 v[76:77], v14
	v_cvt_pk_f32_fp8_sdwa v[78:79], v14 src0_sel:WORD_1
	v_cvt_pk_f32_fp8_e32 v[80:81], v15
	v_cvt_pk_f32_fp8_sdwa v[82:83], v15 src0_sel:WORD_1
	v_perm_b32 v14, v51, v50, s44
	v_perm_b32 v15, v53, v52, s44
	v_cvt_pk_f32_fp8_e32 v[56:57], v24
	v_cvt_pk_f32_fp8_sdwa v[70:71], v24 src0_sel:WORD_1
	v_perm_b32 v54, v55, v54, s44
	v_perm_b32 v55, v23, v22, s44
	v_cvt_pk_f32_fp8_e32 v[72:73], v25
	v_cvt_pk_f32_fp8_sdwa v[74:75], v25 src0_sel:WORD_1
	s_waitcnt lgkmcnt(0)
	v_mfma_f32_16x16x16_bf16 v[22:25], v[14:15], v[26:27], 0
	v_perm_b32 v14, v57, v56, s44
	v_perm_b32 v15, v71, v70, s44
	;; [unrolled: 1-line block ×3, first 2 shown]
	v_mfma_f32_16x16x16_bf16 v[22:25], v[54:55], v[28:29], v[22:25]
	v_perm_b32 v57, v75, v74, s44
	v_cvt_pk_f32_fp8_e32 v[50:51], v16
	v_cvt_pk_f32_fp8_sdwa v[52:53], v16 src0_sel:WORD_1
	v_cvt_pk_f32_fp8_e32 v[84:85], v17
	v_cvt_pk_f32_fp8_sdwa v[54:55], v17 src0_sel:WORD_1
	v_mfma_f32_16x16x16_bf16 v[14:17], v[14:15], v[18:19], v[22:25]
	v_perm_b32 v70, v81, v80, s44
	v_perm_b32 v71, v83, v82, s44
	;; [unrolled: 1-line block ×5, first 2 shown]
	v_mfma_f32_16x16x16_bf16 v[14:17], v[56:57], v[20:21], v[14:17]
	s_waitcnt vmcnt(9)
	v_cvt_pk_f32_fp8_e32 v[22:23], v2
	v_cvt_pk_f32_fp8_sdwa v[56:57], v2 src0_sel:WORD_1
	v_perm_b32 v51, v53, v52, s44
	v_mfma_f32_16x16x16_bf16 v[14:17], v[24:25], v[10:11], v[14:17]
	v_cvt_pk_f32_fp8_e32 v[24:25], v3
	v_cvt_pk_f32_fp8_sdwa v[2:3], v3 src0_sel:WORD_1
	v_perm_b32 v52, v85, v84, s44
	v_mfma_f32_16x16x16_bf16 v[14:17], v[70:71], v[12:13], v[14:17]
	v_perm_b32 v53, v55, v54, s44
	v_perm_b32 v22, v23, v22, s44
	;; [unrolled: 1-line block ×3, first 2 shown]
	v_mfma_f32_16x16x16_bf16 v[14:17], v[50:51], v[6:7], v[14:17]
	v_cvt_pk_f32_fp8_e32 v[54:55], v4
	v_cvt_pk_f32_fp8_sdwa v[56:57], v4 src0_sel:WORD_1
	v_perm_b32 v24, v25, v24, s44
	v_perm_b32 v25, v3, v2, s44
	v_mfma_f32_16x16x16_bf16 v[50:53], v[52:53], v[8:9], v[14:17]
	s_waitcnt vmcnt(7)
	v_cvt_pk_f32_fp8_e32 v[72:73], v49
	v_lshl_add_u64 v[70:71], s[4:5], 0, v[62:63]
	s_waitcnt vmcnt(6)
	v_cvt_pk_f32_fp8_sdwa v[76:77], v44 src0_sel:WORD_1
	v_mfma_f32_16x16x16_bf16 v[14:17], v[22:23], v[26:27], 0
	v_perm_b32 v22, v55, v54, s44
	v_perm_b32 v23, v57, v56, s44
	v_cvt_pk_f32_fp8_e32 v[54:55], v5
	v_cvt_pk_f32_fp8_sdwa v[56:57], v5 src0_sel:WORD_1
	v_mfma_f32_16x16x16_bf16 v[2:5], v[24:25], v[28:29], v[14:17]
	v_cvt_pk_f32_fp8_e32 v[24:25], v32
	v_or_b32_e32 v62, 0x400, v62
	s_nop 0
	v_perm_b32 v14, v55, v54, s44
	v_perm_b32 v15, v57, v56, s44
	v_mfma_f32_16x16x16_bf16 v[2:5], v[22:23], v[18:19], v[2:5]
	v_cvt_pk_f32_fp8_e32 v[16:17], v30
	v_cvt_pk_f32_fp8_sdwa v[22:23], v30 src0_sel:WORD_1
	v_perm_b32 v16, v17, v16, s44
	v_mfma_f32_16x16x16_bf16 v[2:5], v[14:15], v[20:21], v[2:5]
	v_cvt_pk_f32_fp8_e32 v[14:15], v31
	v_perm_b32 v17, v23, v22, s44
	v_cvt_pk_f32_fp8_sdwa v[22:23], v31 src0_sel:WORD_1
	v_cvt_pk_f32_fp8_sdwa v[30:31], v32 src0_sel:WORD_1
	v_perm_b32 v14, v15, v14, s44
	v_mfma_f32_16x16x16_bf16 v[2:5], v[16:17], v[10:11], v[2:5]
	v_perm_b32 v15, v23, v22, s44
	v_perm_b32 v16, v25, v24, s44
	;; [unrolled: 1-line block ×3, first 2 shown]
	v_cvt_pk_f32_fp8_e32 v[22:23], v33
	v_cvt_pk_f32_fp8_sdwa v[24:25], v33 src0_sel:WORD_1
	v_mfma_f32_16x16x16_bf16 v[2:5], v[14:15], v[12:13], v[2:5]
	v_perm_b32 v14, v23, v22, s44
	v_perm_b32 v15, v25, v24, s44
	v_mfma_f32_16x16x16_bf16 v[2:5], v[16:17], v[6:7], v[2:5]
	v_cvt_pk_f32_fp8_e32 v[16:17], v46
	v_cvt_pk_f32_fp8_sdwa v[22:23], v46 src0_sel:WORD_1
	v_cvt_pk_f32_fp8_sdwa v[24:25], v48 src0_sel:WORD_1
	v_mfma_f32_16x16x16_bf16 v[54:57], v[14:15], v[8:9], v[2:5]
	v_cvt_pk_f32_fp8_sdwa v[14:15], v47 src0_sel:WORD_1
	s_nop 1
	v_perm_b32 v2, v17, v16, s44
	v_perm_b32 v3, v23, v22, s44
	v_cvt_pk_f32_fp8_e32 v[4:5], v47
	v_perm_b32 v23, v15, v14, s44
	v_cvt_pk_f32_fp8_e32 v[14:15], v48
	v_cvt_pk_f32_fp8_sdwa v[48:49], v49 src0_sel:WORD_1
	v_perm_b32 v22, v5, v4, s44
	v_mfma_f32_16x16x16_bf16 v[2:5], v[2:3], v[26:27], 0
	v_perm_b32 v14, v15, v14, s44
	v_perm_b32 v15, v25, v24, s44
	s_waitcnt vmcnt(3)
	v_mad_i64_i32 v[16:17], s[6:7], v69, s45, v[70:71]
	v_mfma_f32_16x16x16_bf16 v[2:5], v[22:23], v[28:29], v[2:5]
	s_waitcnt vmcnt(2)
	v_mad_i64_i32 v[46:47], s[6:7], v68, s45, v[70:71]
	global_load_dwordx4 v[30:33], v[16:17], off
	global_load_dwordx4 v[22:25], v[46:47], off
	v_perm_b32 v16, v73, v72, s44
	v_perm_b32 v17, v49, v48, s44
	v_mfma_f32_16x16x16_bf16 v[2:5], v[14:15], v[18:19], v[2:5]
	v_cvt_pk_f32_fp8_e32 v[14:15], v42
	v_cvt_pk_f32_fp8_sdwa v[46:47], v42 src0_sel:WORD_1
	s_waitcnt vmcnt(3)
	v_mad_i64_i32 v[72:73], s[6:7], v67, s45, v[70:71]
	v_mfma_f32_16x16x16_bf16 v[2:5], v[16:17], v[20:21], v[2:5]
	v_perm_b32 v14, v15, v14, s44
	v_perm_b32 v15, v47, v46, s44
	v_cvt_pk_f32_fp8_e32 v[16:17], v43
	v_cvt_pk_f32_fp8_sdwa v[42:43], v43 src0_sel:WORD_1
	v_mfma_f32_16x16x16_bf16 v[46:49], v[14:15], v[10:11], v[2:5]
	v_perm_b32 v74, v17, v16, s44
	v_perm_b32 v75, v43, v42, s44
	v_cvt_pk_f32_fp8_e32 v[42:43], v44
	s_waitcnt vmcnt(2)
	v_mad_i64_i32 v[70:71], s[6:7], v66, s45, v[70:71]
	global_load_dwordx4 v[14:17], v[72:73], off
	global_load_dwordx4 v[2:5], v[70:71], off
	v_perm_b32 v70, v43, v42, s44
	v_perm_b32 v71, v77, v76, s44
	v_cvt_pk_f32_fp8_e32 v[72:73], v45
	v_cvt_pk_f32_fp8_sdwa v[76:77], v45 src0_sel:WORD_1
	v_mfma_f32_16x16x16_bf16 v[44:47], v[74:75], v[12:13], v[46:49]
	v_lshl_add_u64 v[42:43], s[4:5], 0, v[62:63]
	v_cvt_pk_f32_fp8_e32 v[62:63], v38
	s_load_dword s4, s[40:41], 0x0
	v_perm_b32 v48, v73, v72, s44
	v_perm_b32 v49, v77, v76, s44
	v_mfma_f32_16x16x16_bf16 v[44:47], v[70:71], v[6:7], v[44:47]
	v_cvt_pk_f32_fp8_sdwa v[70:71], v38 src0_sel:WORD_1
	v_perm_b32 v62, v63, v62, s44
	v_cvt_pk_f32_fp8_e32 v[74:75], v40
	v_mfma_f32_16x16x16_bf16 v[46:49], v[48:49], v[8:9], v[44:47]
	v_perm_b32 v63, v71, v70, s44
	v_cvt_pk_f32_fp8_sdwa v[76:77], v40 src0_sel:WORD_1
	s_mov_b32 s40, 0xff7fffff
	v_cvt_pk_f32_fp8_e32 v[44:45], v39
	v_cvt_pk_f32_fp8_sdwa v[38:39], v39 src0_sel:WORD_1
	v_mfma_f32_16x16x16_bf16 v[70:73], v[62:63], v[26:27], 0
	v_cvt_pk_f32_fp8_e32 v[62:63], v41
	v_perm_b32 v44, v45, v44, s44
	v_perm_b32 v45, v39, v38, s44
	;; [unrolled: 1-line block ×4, first 2 shown]
	v_cvt_pk_f32_fp8_sdwa v[40:41], v41 src0_sel:WORD_1
	v_mov_b32_e32 v26, s8
	s_waitcnt lgkmcnt(0)
	v_mul_f32_e32 v74, s4, v26
	v_mfma_f32_16x16x16_bf16 v[26:29], v[44:45], v[28:29], v[70:73]
	v_pk_mul_f32 v[44:45], v[74:75], v[52:53] op_sel_hi:[0,1]
	v_perm_b32 v52, v63, v62, s44
	v_perm_b32 v53, v41, v40, s44
	v_mfma_f32_16x16x16_bf16 v[26:29], v[38:39], v[18:19], v[26:29]
	v_cvt_pk_f32_fp8_e32 v[18:19], v34
	v_cvt_pk_f32_fp8_sdwa v[38:39], v34 src0_sel:WORD_1
	v_pk_mul_f32 v[50:51], v[74:75], v[50:51] op_sel_hi:[0,1]
	v_mfma_f32_16x16x16_bf16 v[26:29], v[52:53], v[20:21], v[26:29]
	v_perm_b32 v20, v19, v18, s44
	v_perm_b32 v21, v39, v38, s44
	v_cvt_pk_f32_fp8_e32 v[38:39], v35
	v_cvt_pk_f32_fp8_sdwa v[34:35], v35 src0_sel:WORD_1
	v_mfma_f32_16x16x16_bf16 v[26:29], v[20:21], v[10:11], v[26:29]
	v_perm_b32 v38, v39, v38, s44
	v_perm_b32 v39, v35, v34, s44
	v_cvt_pk_f32_fp8_e32 v[10:11], v36
	v_cvt_pk_f32_fp8_sdwa v[20:21], v36 src0_sel:WORD_1
	v_pk_mul_f32 v[52:53], v[74:75], v[54:55] op_sel_hi:[0,1]
	v_pk_mul_f32 v[34:35], v[74:75], v[56:57] op_sel_hi:[0,1]
	v_perm_b32 v40, v11, v10, s44
	v_perm_b32 v41, v21, v20, s44
	v_cvt_pk_f32_fp8_e32 v[20:21], v37
	v_cvt_pk_f32_fp8_sdwa v[36:37], v37 src0_sel:WORD_1
	v_mfma_f32_16x16x16_bf16 v[10:13], v[38:39], v[12:13], v[26:29]
	v_pk_mul_f32 v[46:47], v[74:75], v[46:47] op_sel_hi:[0,1]
	v_perm_b32 v20, v21, v20, s44
	v_perm_b32 v21, v37, v36, s44
	v_mfma_f32_16x16x16_bf16 v[10:13], v[40:41], v[6:7], v[10:13]
	v_pk_mul_f32 v[40:41], v[74:75], v[48:49] op_sel_hi:[0,1]
	v_mad_i64_i32 v[18:19], s[4:5], v69, s45, v[42:43]
	v_mfma_f32_16x16x16_bf16 v[6:9], v[20:21], v[8:9], v[10:13]
	v_mad_i64_i32 v[62:63], s[4:5], v68, s45, v[42:43]
	global_load_dwordx4 v[26:29], v[18:19], off
	s_nop 0
	global_load_dwordx4 v[18:21], v[62:63], off
	s_nop 2
	v_pk_mul_f32 v[48:49], v[74:75], v[6:7] op_sel_hi:[0,1]
	v_and_b32_e32 v6, 0xc0, v0
	v_add_u32_e32 v6, s18, v6
	v_lshl_or_b32 v6, v64, 2, v6
	v_pk_mul_f32 v[38:39], v[74:75], v[8:9] op_sel_hi:[0,1]
	v_or_b32_e32 v9, 1, v6
	v_mov_b32_e32 v7, 0xff7fffff
	v_cmp_gt_i32_e64 s[26:27], s33, v6
	v_cmp_gt_i32_e64 s[28:29], s33, v9
	v_or_b32_e32 v10, 3, v6
	v_cndmask_b32_e64 v8, v7, v50, s[26:27]
	v_cndmask_b32_e64 v9, v7, v51, s[28:29]
	v_max3_f32 v8, v8, s40, v9
	v_or_b32_e32 v9, 2, v6
	v_cmp_gt_i32_e64 s[30:31], s33, v9
	v_cmp_gt_i32_e64 s[34:35], s33, v10
	s_nop 0
	v_cndmask_b32_e64 v9, v7, v44, s[30:31]
	v_cndmask_b32_e64 v10, v7, v45, s[34:35]
	v_max3_f32 v8, v8, v9, v10
	v_or_b32_e32 v9, 16, v6
	v_or_b32_e32 v10, 17, v6
	v_cmp_gt_i32_e64 s[18:19], s33, v9
	v_cmp_gt_i32_e64 s[20:21], s33, v10
	s_nop 0
	v_cndmask_b32_e64 v9, v7, v52, s[18:19]
	v_cndmask_b32_e64 v10, v7, v53, s[20:21]
	v_max3_f32 v8, v8, v9, v10
	v_or_b32_e32 v9, 18, v6
	;; [unrolled: 8-line block ×5, first 2 shown]
	v_or_b32_e32 v10, 49, v6
	v_cmp_gt_i32_e32 vcc, s33, v9
	v_cmp_gt_i32_e64 s[4:5], s33, v10
	s_nop 0
	v_cndmask_b32_e32 v9, v7, v48, vcc
	v_cndmask_b32_e64 v10, v7, v49, s[4:5]
	v_max3_f32 v8, v8, v9, v10
	v_or_b32_e32 v9, 50, v6
	v_or_b32_e32 v6, 51, v6
	v_cmp_gt_i32_e64 s[6:7], s33, v9
	v_cmp_gt_i32_e64 s[8:9], s33, v6
	s_nop 0
	v_cndmask_b32_e64 v9, v7, v38, s[6:7]
	v_cndmask_b32_e64 v6, v7, v39, s[8:9]
	v_max3_f32 v8, v8, v9, v6
	v_mbcnt_lo_u32_b32 v6, -1, 0
	v_mbcnt_hi_u32_b32 v9, -1, v6
	v_and_b32_e32 v6, 64, v9
	v_add_u32_e32 v10, 64, v6
	v_xor_b32_e32 v6, 32, v9
	v_cmp_lt_i32_e64 s[38:39], v6, v10
	s_nop 1
	v_cndmask_b32_e64 v6, v9, v6, s[38:39]
	v_lshlrev_b32_e32 v55, 2, v6
	ds_bpermute_b32 v11, v55, v8
	v_mad_i64_i32 v[6:7], s[38:39], v67, s45, v[42:43]
	s_waitcnt lgkmcnt(0)
	v_max_f32_e32 v11, v11, v11
	v_max_f32_e32 v36, v8, v11
	v_xor_b32_e32 v8, 16, v9
	v_cmp_lt_i32_e64 s[38:39], v8, v10
	s_nop 1
	v_cndmask_b32_e64 v8, v9, v8, s[38:39]
	v_lshlrev_b32_e32 v56, 2, v8
	v_mad_i64_i32 v[8:9], s[38:39], v66, s45, v[42:43]
	global_load_dwordx4 v[10:13], v[6:7], off
	s_nop 0
	global_load_dwordx4 v[6:9], v[8:9], off
	ds_bpermute_b32 v37, v56, v36
	s_waitcnt lgkmcnt(0)
	s_barrier
	v_max_f32_e32 v37, v37, v37
	v_max_f32_e32 v54, v36, v37
	v_sub_f32_e32 v42, v44, v54
	v_mul_f32_e32 v42, 0x3fb8aa3b, v42
	v_exp_f32_e32 v42, v42
	v_sub_f32_e32 v43, v45, v54
	v_mul_f32_e32 v43, 0x3fb8aa3b, v43
	v_exp_f32_e32 v43, v43
	v_cndmask_b32_e64 v44, 0, v42, s[30:31]
	v_sub_f32_e32 v42, v52, v54
	v_sub_f32_e32 v34, v34, v54
	v_mul_f32_e32 v42, 0x3fb8aa3b, v42
	v_mul_f32_e32 v34, 0x3fb8aa3b, v34
	v_sub_f32_e32 v36, v50, v54
	v_exp_f32_e32 v42, v42
	v_exp_f32_e32 v50, v34
	v_cndmask_b32_e64 v45, 0, v43, s[34:35]
	v_sub_f32_e32 v43, v53, v54
	v_sub_f32_e32 v34, v35, v54
	v_sub_f32_e32 v46, v46, v54
	v_sub_f32_e32 v40, v40, v54
	v_mul_f32_e32 v43, 0x3fb8aa3b, v43
	v_mul_f32_e32 v34, 0x3fb8aa3b, v34
	;; [unrolled: 1-line block ×4, first 2 shown]
	v_sub_f32_e32 v37, v51, v54
	v_exp_f32_e32 v43, v43
	v_exp_f32_e32 v51, v34
	v_cndmask_b32_e64 v34, 0, v42, s[18:19]
	v_cndmask_b32_e64 v42, 0, v50, s[22:23]
	v_exp_f32_e32 v46, v46
	v_exp_f32_e32 v50, v40
	v_mul_f32_e32 v36, 0x3fb8aa3b, v36
	v_sub_f32_e32 v47, v47, v54
	v_sub_f32_e32 v40, v41, v54
	;; [unrolled: 1-line block ×4, first 2 shown]
	v_exp_f32_e32 v36, v36
	v_mul_f32_e32 v37, 0x3fb8aa3b, v37
	v_mul_f32_e32 v47, 0x3fb8aa3b, v47
	;; [unrolled: 1-line block ×5, first 2 shown]
	v_exp_f32_e32 v37, v37
	v_cndmask_b32_e64 v35, 0, v43, s[20:21]
	v_cndmask_b32_e64 v43, 0, v51, s[36:37]
	v_exp_f32_e32 v47, v47
	v_exp_f32_e32 v51, v40
	v_cndmask_b32_e64 v40, 0, v46, s[10:11]
	v_cndmask_b32_e64 v46, 0, v50, s[14:15]
	v_exp_f32_e32 v48, v48
	v_exp_f32_e32 v50, v38
	v_sub_f32_e32 v38, v39, v54
	v_cndmask_b32_e64 v36, 0, v36, s[26:27]
	v_mul_f32_e32 v38, 0x3fb8aa3b, v38
	v_cndmask_b32_e64 v37, 0, v37, s[28:29]
	v_cndmask_b32_e64 v41, 0, v47, s[12:13]
	;; [unrolled: 1-line block ×3, first 2 shown]
	v_exp_f32_e32 v51, v38
	v_cndmask_b32_e32 v38, 0, v48, vcc
	v_cndmask_b32_e64 v48, 0, v50, s[6:7]
	v_add_f32_e32 v50, 0, v36
	v_add_f32_e32 v50, v50, v37
	;; [unrolled: 1-line block ×6, first 2 shown]
	v_sub_f32_e32 v49, v49, v54
	v_add_f32_e32 v50, v50, v42
	v_mul_f32_e32 v49, 0x3fb8aa3b, v49
	v_add_f32_e32 v50, v50, v43
	v_exp_f32_e32 v49, v49
	v_add_f32_e32 v50, v50, v40
	v_add_f32_e32 v50, v50, v41
	;; [unrolled: 1-line block ×4, first 2 shown]
	v_cndmask_b32_e64 v39, 0, v49, s[4:5]
	v_add_f32_e32 v50, v50, v38
	v_add_f32_e32 v50, v50, v39
	v_cndmask_b32_e64 v49, 0, v51, s[8:9]
	v_add_f32_e32 v50, v50, v48
	v_add_f32_e32 v50, v50, v49
	ds_bpermute_b32 v51, v55, v50
	v_cmp_gt_u32_e64 s[4:5], 16, v65
	s_waitcnt lgkmcnt(0)
	v_add_f32_e32 v50, v50, v51
	ds_bpermute_b32 v51, v56, v50
	s_and_saveexec_b64 s[6:7], s[4:5]
	s_cbranch_execz .LBB1312_13
; %bb.12:
	s_waitcnt lgkmcnt(0)
	v_add_f32_e32 v50, v50, v51
	v_lshlrev_b32_e32 v51, 2, v59
	ds_write2st64_b32 v51, v54, v50 offset1:1
.LBB1312_13:
	s_or_b64 exec, exec, s[6:7]
	s_waitcnt lgkmcnt(0)
	v_lshlrev_b32_e32 v51, 2, v60
	s_load_dword s8, s[0:1], 0x94
	s_waitcnt lgkmcnt(0)
	s_barrier
	ds_read2_b32 v[52:53], v51 offset1:16
	ds_read2_b32 v[54:55], v51 offset0:32 offset1:48
	ds_read2_b32 v[56:57], v51 offset0:64 offset1:80
	s_movk_i32 s10, 0x7fff
	s_mul_i32 s9, s25, 5
	s_waitcnt lgkmcnt(2)
	v_max3_f32 v50, v52, s40, v53
	s_waitcnt lgkmcnt(1)
	v_max3_f32 v50, v50, v54, v55
	v_sub_f32_e32 v52, v52, v50
	v_mul_f32_e32 v52, 0x3fb8aa3b, v52
	v_exp_f32_e32 v59, v52
	v_sub_f32_e32 v52, v53, v50
	v_mul_f32_e32 v52, 0x3fb8aa3b, v52
	v_exp_f32_e32 v62, v52
	;; [unrolled: 3-line block ×3, first 2 shown]
	ds_read2_b32 v[52:53], v51 offset0:96 offset1:112
	v_sub_f32_e32 v51, v55, v50
	v_mul_f32_e32 v51, 0x3fb8aa3b, v51
	v_exp_f32_e32 v55, v51
	s_waitcnt lgkmcnt(1)
	v_fma_f32 v51, v59, v56, 0
	v_fmac_f32_e32 v51, v62, v57
	s_waitcnt lgkmcnt(0)
	v_fmac_f32_e32 v51, v54, v52
	v_fmac_f32_e32 v51, v55, v53
	v_add_f32_e32 v52, 0x358637bd, v51
	v_div_scale_f32 v53, s[6:7], v52, v52, 1.0
	v_rcp_f32_e32 v56, v53
	s_barrier
	v_fma_f32 v57, -v53, v56, 1.0
	v_fmac_f32_e32 v56, v57, v56
	v_div_scale_f32 v57, vcc, 1.0, v52, 1.0
	v_mul_f32_e32 v63, v57, v56
	v_fma_f32 v65, -v53, v63, v57
	v_fmac_f32_e32 v63, v65, v56
	v_fma_f32 v53, -v53, v63, v57
	v_div_fmas_f32 v53, v53, v56, v63
	v_cmp_eq_u32_e32 vcc, 1, v61
	v_div_fixup_f32 v52, v53, v52, 1.0
	s_nop 0
	v_cndmask_b32_e32 v53, v59, v62, vcc
	v_cmp_eq_u32_e32 vcc, 2, v61
	s_nop 1
	v_cndmask_b32_e32 v53, v53, v54, vcc
	v_cmp_eq_u32_e32 vcc, 3, v61
	s_nop 1
	v_cndmask_b32_e32 v53, v53, v55, vcc
	v_mul_f32_e32 v52, v53, v52
	v_pk_mul_f32 v[36:37], v[52:53], v[36:37] op_sel_hi:[0,1]
	v_pk_mul_f32 v[44:45], v[52:53], v[44:45] op_sel_hi:[0,1]
	v_bfe_u32 v53, v37, 16, 1
	v_bfe_u32 v54, v36, 16, 1
	v_add3_u32 v36, v36, v54, s10
	v_add3_u32 v37, v37, v53, s10
	v_perm_b32 v56, v37, v36, s44
	v_bfe_u32 v36, v45, 16, 1
	v_bfe_u32 v37, v44, 16, 1
	v_add3_u32 v37, v44, v37, s10
	v_add3_u32 v36, v45, v36, s10
	v_perm_b32 v57, v36, v37, s44
	v_lshlrev_b32_e32 v37, 3, v64
	v_lshlrev_b32_e32 v36, 5, v60
	;; [unrolled: 1-line block ×3, first 2 shown]
	v_pk_mul_f32 v[34:35], v[52:53], v[34:35] op_sel_hi:[0,1]
	v_or3_b32 v54, v44, v36, v37
	v_bfe_u32 v37, v35, 16, 1
	v_bfe_u32 v44, v34, 16, 1
	v_pk_mul_f32 v[42:43], v[52:53], v[42:43] op_sel_hi:[0,1]
	v_add3_u32 v34, v34, v44, s10
	v_add3_u32 v35, v35, v37, s10
	v_perm_b32 v34, v35, v34, s44
	v_bfe_u32 v35, v43, 16, 1
	v_bfe_u32 v37, v42, 16, 1
	v_add3_u32 v37, v42, v37, s10
	v_add3_u32 v35, v43, v35, s10
	v_pk_mul_f32 v[40:41], v[52:53], v[40:41] op_sel_hi:[0,1]
	v_perm_b32 v35, v35, v37, s44
	v_bfe_u32 v37, v41, 16, 1
	v_bfe_u32 v42, v40, 16, 1
	ds_write2st64_b64 v54, v[56:57], v[34:35] offset1:1
	v_pk_mul_f32 v[34:35], v[52:53], v[46:47] op_sel_hi:[0,1]
	v_add3_u32 v40, v40, v42, s10
	v_add3_u32 v37, v41, v37, s10
	v_perm_b32 v40, v37, v40, s44
	v_bfe_u32 v37, v35, 16, 1
	v_bfe_u32 v41, v34, 16, 1
	v_pk_mul_f32 v[38:39], v[52:53], v[38:39] op_sel_hi:[0,1]
	v_add3_u32 v34, v34, v41, s10
	v_add3_u32 v35, v35, v37, s10
	v_bfe_u32 v37, v39, 16, 1
	v_bfe_u32 v42, v38, 16, 1
	v_perm_b32 v41, v35, v34, s44
	v_pk_mul_f32 v[34:35], v[52:53], v[48:49] op_sel_hi:[0,1]
	v_add3_u32 v38, v38, v42, s10
	v_add3_u32 v37, v39, v37, s10
	v_perm_b32 v38, v37, v38, s44
	v_bfe_u32 v37, v35, 16, 1
	v_bfe_u32 v39, v34, 16, 1
	v_add3_u32 v34, v34, v39, s10
	v_add3_u32 v35, v35, v37, s10
	v_perm_b32 v39, v35, v34, s44
	v_cmp_gt_u32_e32 vcc, 5, v0
	ds_write2st64_b64 v54, v[40:41], v[38:39] offset0:2 offset1:3
	s_and_saveexec_b64 s[6:7], vcc
	s_cbranch_execz .LBB1312_15
; %bb.14:
	s_mov_b32 s49, 0
	v_mov_b32_e32 v61, 0
	v_lshl_add_u64 v[34:35], s[48:49], 0, v[60:61]
	v_mov_b32_e32 v37, s9
	v_mad_u64_u32 v[34:35], s[16:17], s2, v37, v[34:35]
	s_mul_i32 s3, s3, s9
	v_mov_b32_e32 v38, s24
	v_mov_b32_e32 v39, v61
	s_load_dwordx4 s[12:15], s[0:1], 0x58
	v_add_u32_e32 v37, s3, v35
	v_mad_u64_u32 v[34:35], s[16:17], v34, s8, v[38:39]
	v_mov_b32_e32 v38, v35
	v_mad_u64_u32 v[38:39], s[16:17], v37, s8, v[38:39]
	v_mov_b32_e32 v35, v38
	v_lshlrev_b64 v[34:35], 2, v[34:35]
	s_waitcnt lgkmcnt(0)
	v_lshl_add_u64 v[38:39], s[14:15], 0, v[34:35]
	v_lshl_add_u64 v[34:35], s[12:13], 0, v[34:35]
	global_store_dword v[38:39], v50, off
	global_store_dword v[34:35], v51, off
.LBB1312_15:
	s_or_b64 exec, exec, s[6:7]
	v_lshl_or_b32 v50, v64, 9, v36
	s_waitcnt vmcnt(7)
	v_cvt_pk_f32_fp8_e32 v[34:35], v30
	v_cvt_pk_f32_fp8_sdwa v[36:37], v30 src0_sel:WORD_1
	s_mov_b32 s7, 0x7060302
	s_waitcnt lgkmcnt(0)
	s_barrier
	v_cvt_pk_f32_fp8_e32 v[38:39], v31
	v_perm_b32 v30, v35, v34, s7
	v_cvt_pk_f32_fp8_sdwa v[40:41], v31 src0_sel:WORD_1
	v_perm_b32 v31, v37, v36, s7
	ds_read_b128 v[34:37], v50
	v_perm_b32 v46, v39, v38, s7
	v_perm_b32 v47, v41, v40, s7
	ds_read_b128 v[38:41], v50 offset:16
	v_cvt_pk_f32_fp8_e32 v[48:49], v32
	v_cvt_pk_f32_fp8_sdwa v[52:53], v32 src0_sel:WORD_1
	s_waitcnt lgkmcnt(1)
	v_mfma_f32_16x16x16_bf16 v[42:45], v[30:31], v[34:35], 0
	s_waitcnt vmcnt(6)
	v_cvt_pk_f32_fp8_e32 v[56:57], v24
	v_perm_b32 v30, v49, v48, s7
	v_perm_b32 v31, v53, v52, s7
	v_cvt_pk_f32_fp8_e32 v[48:49], v33
	v_mfma_f32_16x16x16_bf16 v[42:45], v[46:47], v[36:37], v[42:45]
	v_cvt_pk_f32_fp8_sdwa v[46:47], v33 src0_sel:WORD_1
	v_cvt_pk_f32_fp8_sdwa v[62:63], v24 src0_sel:WORD_1
	v_perm_b32 v48, v49, v48, s7
	s_waitcnt lgkmcnt(0)
	v_mfma_f32_16x16x16_bf16 v[30:33], v[30:31], v[38:39], v[42:45]
	v_perm_b32 v49, v47, v46, s7
	s_waitcnt vmcnt(4)
	v_cvt_pk_f32_fp8_sdwa v[70:71], v4 src0_sel:WORD_1
	s_load_dword s6, s[42:43], 0x0
	v_cvt_pk_f32_fp8_e32 v[42:43], v22
	v_mfma_f32_16x16x16_bf16 v[46:49], v[48:49], v[40:41], v[30:33]
	s_waitcnt vmcnt(3)
	v_cvt_pk_f32_fp8_sdwa v[72:73], v28 src0_sel:WORD_1
	s_mov_b32 s3, 0
	v_cvt_pk_f32_fp8_sdwa v[30:31], v22 src0_sel:WORD_1
	v_cvt_pk_f32_fp8_e32 v[32:33], v23
	v_perm_b32 v22, v43, v42, s7
	v_cvt_pk_f32_fp8_sdwa v[42:43], v23 src0_sel:WORD_1
	v_perm_b32 v23, v31, v30, s7
	v_perm_b32 v52, v33, v32, s7
	ds_read_b128 v[30:33], v50 offset:2048
	v_perm_b32 v53, v43, v42, s7
	ds_read_b128 v[42:45], v50 offset:2064
	s_waitcnt lgkmcnt(0)
	v_mfma_f32_16x16x16_bf16 v[46:49], v[22:23], v[30:31], v[46:49]
	v_perm_b32 v22, v57, v56, s7
	v_perm_b32 v23, v63, v62, s7
	v_cvt_pk_f32_fp8_e32 v[56:57], v25
	v_mfma_f32_16x16x16_bf16 v[46:49], v[52:53], v[32:33], v[46:49]
	v_cvt_pk_f32_fp8_sdwa v[52:53], v25 src0_sel:WORD_1
	v_cvt_pk_f32_fp8_sdwa v[62:63], v16 src0_sel:WORD_1
	v_perm_b32 v56, v57, v56, s7
	v_mfma_f32_16x16x16_bf16 v[22:25], v[22:23], v[42:43], v[46:49]
	v_perm_b32 v57, v53, v52, s7
	v_cmp_gt_u32_e32 vcc, 64, v0
	s_nop 0
	v_cvt_pk_f32_fp8_e32 v[46:47], v14
	v_mfma_f32_16x16x16_bf16 v[66:69], v[56:57], v[44:45], v[22:25]
	v_cvt_pk_f32_fp8_e32 v[56:57], v16
	s_nop 1
	v_cvt_pk_f32_fp8_sdwa v[22:23], v14 src0_sel:WORD_1
	v_cvt_pk_f32_fp8_e32 v[24:25], v15
	v_perm_b32 v14, v47, v46, s7
	v_cvt_pk_f32_fp8_sdwa v[46:47], v15 src0_sel:WORD_1
	v_perm_b32 v15, v23, v22, s7
	v_perm_b32 v52, v25, v24, s7
	ds_read_b128 v[22:25], v50 offset:4096
	v_perm_b32 v53, v47, v46, s7
	ds_read_b128 v[46:49], v50 offset:4112
	s_waitcnt lgkmcnt(1)
	v_mfma_f32_16x16x16_bf16 v[66:69], v[14:15], v[22:23], v[66:69]
	v_perm_b32 v14, v57, v56, s7
	v_perm_b32 v15, v63, v62, s7
	v_cvt_pk_f32_fp8_e32 v[56:57], v17
	v_mfma_f32_16x16x16_bf16 v[66:69], v[52:53], v[24:25], v[66:69]
	v_cvt_pk_f32_fp8_sdwa v[52:53], v17 src0_sel:WORD_1
	v_cvt_pk_f32_fp8_e32 v[62:63], v4
	v_perm_b32 v56, v57, v56, s7
	s_waitcnt lgkmcnt(0)
	v_mfma_f32_16x16x16_bf16 v[14:17], v[14:15], v[46:47], v[66:69]
	v_perm_b32 v57, v53, v52, s7
	v_cvt_pk_f32_fp8_e32 v[52:53], v2
	s_nop 0
	v_mfma_f32_16x16x16_bf16 v[66:69], v[56:57], v[48:49], v[14:17]
	s_nop 2
	v_cvt_pk_f32_fp8_sdwa v[14:15], v2 src0_sel:WORD_1
	v_cvt_pk_f32_fp8_e32 v[16:17], v3
	v_perm_b32 v2, v53, v52, s7
	v_cvt_pk_f32_fp8_sdwa v[52:53], v3 src0_sel:WORD_1
	v_perm_b32 v3, v15, v14, s7
	v_perm_b32 v56, v17, v16, s7
	ds_read_b128 v[14:17], v50 offset:6144
	v_perm_b32 v57, v53, v52, s7
	s_waitcnt lgkmcnt(0)
	v_mfma_f32_16x16x16_bf16 v[66:69], v[2:3], v[14:15], v[66:69]
	ds_read_b128 v[50:53], v50 offset:6160
	v_perm_b32 v2, v63, v62, s7
	v_perm_b32 v3, v71, v70, s7
	v_cvt_pk_f32_fp8_e32 v[62:63], v5
	v_mfma_f32_16x16x16_bf16 v[66:69], v[56:57], v[16:17], v[66:69]
	v_cvt_pk_f32_fp8_sdwa v[56:57], v5 src0_sel:WORD_1
	v_cvt_pk_f32_fp8_e32 v[70:71], v28
	v_perm_b32 v62, v63, v62, s7
	s_waitcnt lgkmcnt(0)
	v_mfma_f32_16x16x16_bf16 v[2:5], v[2:3], v[50:51], v[66:69]
	v_perm_b32 v63, v57, v56, s7
	v_cvt_pk_f32_fp8_sdwa v[56:57], v26 src0_sel:WORD_1
	s_nop 0
	v_mfma_f32_16x16x16_bf16 v[66:69], v[62:63], v[52:53], v[2:5]
	s_barrier
	s_nop 1
	v_cvt_pk_f32_fp8_e32 v[4:5], v26
	s_nop 2
	v_pk_mul_f32 v[62:63], v[66:67], s[6:7] op_sel_hi:[1,0]
	v_cvt_pk_f32_fp8_e32 v[66:67], v27
	v_perm_b32 v4, v5, v4, s7
	v_perm_b32 v5, v57, v56, s7
	v_cvt_pk_f32_fp8_sdwa v[26:27], v27 src0_sel:WORD_1
	v_perm_b32 v56, v67, v66, s7
	v_pk_mul_f32 v[2:3], v[68:69], s[6:7] op_sel_hi:[1,0]
	v_mfma_f32_16x16x16_bf16 v[66:69], v[4:5], v[34:35], 0
	v_perm_b32 v57, v27, v26, s7
	v_perm_b32 v4, v71, v70, s7
	;; [unrolled: 1-line block ×3, first 2 shown]
	v_cvt_pk_f32_fp8_e32 v[34:35], v29
	v_cvt_pk_f32_fp8_sdwa v[70:71], v29 src0_sel:WORD_1
	v_mfma_f32_16x16x16_bf16 v[26:29], v[56:57], v[36:37], v[66:69]
	s_waitcnt vmcnt(2)
	v_cvt_pk_f32_fp8_sdwa v[36:37], v18 src0_sel:WORD_1
	v_perm_b32 v34, v35, v34, s7
	v_perm_b32 v35, v71, v70, s7
	v_mfma_f32_16x16x16_bf16 v[26:29], v[4:5], v[38:39], v[26:29]
	v_cvt_pk_f32_fp8_e32 v[4:5], v18
	v_cvt_pk_f32_fp8_sdwa v[38:39], v20 src0_sel:WORD_1
	v_bfe_u32 v55, v63, 16, 1
	v_mfma_f32_16x16x16_bf16 v[26:29], v[34:35], v[40:41], v[26:29]
	v_cvt_pk_f32_fp8_e32 v[34:35], v19
	v_perm_b32 v4, v5, v4, s7
	v_perm_b32 v5, v37, v36, s7
	v_cvt_pk_f32_fp8_sdwa v[18:19], v19 src0_sel:WORD_1
	v_perm_b32 v34, v35, v34, s7
	v_cvt_pk_f32_fp8_e32 v[36:37], v20
	v_mfma_f32_16x16x16_bf16 v[26:29], v[4:5], v[30:31], v[26:29]
	v_perm_b32 v35, v19, v18, s7
	v_perm_b32 v4, v37, v36, s7
	;; [unrolled: 1-line block ×3, first 2 shown]
	v_cvt_pk_f32_fp8_e32 v[30:31], v21
	v_cvt_pk_f32_fp8_sdwa v[36:37], v21 src0_sel:WORD_1
	v_mfma_f32_16x16x16_bf16 v[18:21], v[34:35], v[32:33], v[26:29]
	v_bfe_u32 v56, v62, 16, 1
	v_add3_u32 v32, v62, v56, s10
	v_add3_u32 v33, v63, v55, s10
	v_perm_b32 v26, v31, v30, s7
	v_perm_b32 v27, v37, v36, s7
	v_mfma_f32_16x16x16_bf16 v[18:21], v[4:5], v[42:43], v[18:21]
	s_waitcnt vmcnt(1)
	v_cvt_pk_f32_fp8_e32 v[4:5], v10
	v_cvt_pk_f32_fp8_sdwa v[28:29], v10 src0_sel:WORD_1
	v_cvt_pk_f32_fp8_sdwa v[30:31], v12 src0_sel:WORD_1
	v_mfma_f32_16x16x16_bf16 v[18:21], v[26:27], v[44:45], v[18:21]
	v_cvt_pk_f32_fp8_e32 v[26:27], v11
	v_perm_b32 v4, v5, v4, s7
	v_perm_b32 v5, v29, v28, s7
	v_cvt_pk_f32_fp8_sdwa v[10:11], v11 src0_sel:WORD_1
	v_perm_b32 v26, v27, v26, s7
	v_cvt_pk_f32_fp8_e32 v[28:29], v12
	v_mfma_f32_16x16x16_bf16 v[18:21], v[4:5], v[22:23], v[18:21]
	v_perm_b32 v27, v11, v10, s7
	v_perm_b32 v4, v29, v28, s7
	;; [unrolled: 1-line block ×3, first 2 shown]
	v_cvt_pk_f32_fp8_e32 v[22:23], v13
	v_cvt_pk_f32_fp8_sdwa v[28:29], v13 src0_sel:WORD_1
	v_mfma_f32_16x16x16_bf16 v[10:13], v[26:27], v[24:25], v[18:21]
	s_waitcnt vmcnt(0)
	v_cvt_pk_f32_fp8_sdwa v[24:25], v8 src0_sel:WORD_1
	s_nop 0
	v_perm_b32 v20, v23, v22, s7
	v_perm_b32 v21, v29, v28, s7
	v_mfma_f32_16x16x16_bf16 v[10:13], v[4:5], v[46:47], v[10:13]
	v_cvt_pk_f32_fp8_e32 v[4:5], v6
	v_cvt_pk_f32_fp8_sdwa v[22:23], v6 src0_sel:WORD_1
	v_bfe_u32 v19, v3, 16, 1
	v_mfma_f32_16x16x16_bf16 v[10:13], v[20:21], v[48:49], v[10:13]
	v_cvt_pk_f32_fp8_e32 v[20:21], v7
	v_perm_b32 v4, v5, v4, s7
	v_perm_b32 v5, v23, v22, s7
	v_cvt_pk_f32_fp8_sdwa v[6:7], v7 src0_sel:WORD_1
	v_perm_b32 v20, v21, v20, s7
	v_cvt_pk_f32_fp8_e32 v[22:23], v8
	v_add3_u32 v3, v3, v19, s10
	v_perm_b32 v21, v7, v6, s7
	v_mfma_f32_16x16x16_bf16 v[4:7], v[4:5], v[14:15], v[10:13]
	v_bfe_u32 v14, v2, 16, 1
	v_add3_u32 v2, v2, v14, s10
	v_perm_b32 v19, v3, v2, s7
	v_perm_b32 v10, v23, v22, s7
	;; [unrolled: 1-line block ×3, first 2 shown]
	v_cvt_pk_f32_fp8_e32 v[12:13], v9
	v_cvt_pk_f32_fp8_sdwa v[8:9], v9 src0_sel:WORD_1
	v_mfma_f32_16x16x16_bf16 v[4:7], v[20:21], v[16:17], v[4:7]
	v_perm_b32 v18, v33, v32, s7
	v_perm_b32 v12, v13, v12, s7
	;; [unrolled: 1-line block ×3, first 2 shown]
	v_mfma_f32_16x16x16_bf16 v[4:7], v[10:11], v[50:51], v[4:7]
	s_nop 0
	v_mfma_f32_16x16x16_bf16 v[2:5], v[12:13], v[52:53], v[4:7]
	s_nop 6
	v_pk_mul_f32 v[2:3], v[2:3], s[6:7] op_sel_hi:[1,0]
	v_pk_mul_f32 v[4:5], v[4:5], s[6:7] op_sel_hi:[1,0]
	v_bfe_u32 v6, v3, 16, 1
	v_bfe_u32 v7, v2, 16, 1
	v_add3_u32 v2, v2, v7, s10
	v_add3_u32 v3, v3, v6, s10
	v_perm_b32 v2, v3, v2, s7
	v_bfe_u32 v3, v5, 16, 1
	v_bfe_u32 v6, v4, 16, 1
	v_add3_u32 v4, v4, v6, s10
	v_add3_u32 v3, v5, v3, s10
	v_perm_b32 v3, v3, v4, s7
	ds_write2st64_b64 v54, v[18:19], v[2:3] offset1:1
	s_waitcnt lgkmcnt(0)
	s_barrier
	s_and_saveexec_b64 s[6:7], vcc
	s_cbranch_execz .LBB1312_18
; %bb.16:
	s_load_dwordx2 s[6:7], s[0:1], 0x68
	s_lshl_b32 s0, s8, 7
	s_mul_i32 s1, s9, s2
	v_lshlrev_b32_e32 v3, 6, v60
	s_mul_hi_u32 s9, s1, s0
	s_mul_i32 s8, s1, s0
	v_lshl_or_b32 v0, v0, 10, v3
	s_lshl_b64 s[8:9], s[8:9], 1
	v_lshlrev_b32_e32 v2, 5, v64
	v_and_b32_e32 v1, 16, v1
	v_and_b32_e32 v0, 0x1a00, v0
	s_waitcnt lgkmcnt(0)
	s_add_u32 s1, s6, s8
	v_or3_b32 v2, v0, v2, v1
	s_addc_u32 s6, s7, s9
	s_lshl_b32 s2, s24, 7
	s_lshl_b64 s[2:3], s[2:3], 1
	ds_read_b128 v[4:7], v2
	s_add_u32 s2, s1, s2
	s_addc_u32 s3, s6, s3
	v_mov_b32_e32 v59, 0
	v_add_u32_e32 v3, s48, v64
	v_lshl_add_u64 v[0:1], s[2:3], 0, v[58:59]
	v_mad_u64_u32 v[8:9], s[2:3], v3, s0, 0
	v_lshl_add_u64 v[8:9], v[8:9], 1, v[0:1]
	s_waitcnt lgkmcnt(0)
	global_store_dwordx4 v[8:9], v[4:7], off
	s_and_b64 exec, exec, s[4:5]
	s_cbranch_execz .LBB1312_18
; %bb.17:
	ds_read_b128 v[2:5], v2 offset:128
	v_add3_u32 v6, s48, v64, 4
	v_mad_u64_u32 v[6:7], s[0:1], v6, s0, 0
	v_lshl_add_u64 v[0:1], v[6:7], 1, v[0:1]
	s_waitcnt lgkmcnt(0)
	global_store_dwordx4 v[0:1], v[2:5], off
.LBB1312_18:
	s_endpgm
	.section	.rodata,"a",@progbits
	.p2align	6, 0x0
	.amdhsa_kernel _Z39paged_attention_ll4mi_QKV_mfma16_kernelI14__hip_bfloat16hLN4vllm18Fp8KVCacheDataTypeE1ES0_Li16ELi128ELi256ELb0ELi5EEvPKT_PKT0_S8_ifPKiSA_SA_iPKfiiiPfSD_PS3_PT2_iSC_SC_
		.amdhsa_group_segment_fixed_size 8192
		.amdhsa_private_segment_fixed_size 0
		.amdhsa_kernarg_size 400
		.amdhsa_user_sgpr_count 2
		.amdhsa_user_sgpr_dispatch_ptr 0
		.amdhsa_user_sgpr_queue_ptr 0
		.amdhsa_user_sgpr_kernarg_segment_ptr 1
		.amdhsa_user_sgpr_dispatch_id 0
		.amdhsa_user_sgpr_kernarg_preload_length 0
		.amdhsa_user_sgpr_kernarg_preload_offset 0
		.amdhsa_user_sgpr_private_segment_size 0
		.amdhsa_uses_dynamic_stack 0
		.amdhsa_enable_private_segment 0
		.amdhsa_system_sgpr_workgroup_id_x 1
		.amdhsa_system_sgpr_workgroup_id_y 1
		.amdhsa_system_sgpr_workgroup_id_z 1
		.amdhsa_system_sgpr_workgroup_info 0
		.amdhsa_system_vgpr_workitem_id 0
		.amdhsa_next_free_vgpr 86
		.amdhsa_next_free_sgpr 50
		.amdhsa_accum_offset 88
		.amdhsa_reserve_vcc 1
		.amdhsa_float_round_mode_32 0
		.amdhsa_float_round_mode_16_64 0
		.amdhsa_float_denorm_mode_32 3
		.amdhsa_float_denorm_mode_16_64 3
		.amdhsa_dx10_clamp 1
		.amdhsa_ieee_mode 1
		.amdhsa_fp16_overflow 0
		.amdhsa_tg_split 0
		.amdhsa_exception_fp_ieee_invalid_op 0
		.amdhsa_exception_fp_denorm_src 0
		.amdhsa_exception_fp_ieee_div_zero 0
		.amdhsa_exception_fp_ieee_overflow 0
		.amdhsa_exception_fp_ieee_underflow 0
		.amdhsa_exception_fp_ieee_inexact 0
		.amdhsa_exception_int_div_zero 0
	.end_amdhsa_kernel
	.section	.text._Z39paged_attention_ll4mi_QKV_mfma16_kernelI14__hip_bfloat16hLN4vllm18Fp8KVCacheDataTypeE1ES0_Li16ELi128ELi256ELb0ELi5EEvPKT_PKT0_S8_ifPKiSA_SA_iPKfiiiPfSD_PS3_PT2_iSC_SC_,"axG",@progbits,_Z39paged_attention_ll4mi_QKV_mfma16_kernelI14__hip_bfloat16hLN4vllm18Fp8KVCacheDataTypeE1ES0_Li16ELi128ELi256ELb0ELi5EEvPKT_PKT0_S8_ifPKiSA_SA_iPKfiiiPfSD_PS3_PT2_iSC_SC_,comdat
.Lfunc_end1312:
	.size	_Z39paged_attention_ll4mi_QKV_mfma16_kernelI14__hip_bfloat16hLN4vllm18Fp8KVCacheDataTypeE1ES0_Li16ELi128ELi256ELb0ELi5EEvPKT_PKT0_S8_ifPKiSA_SA_iPKfiiiPfSD_PS3_PT2_iSC_SC_, .Lfunc_end1312-_Z39paged_attention_ll4mi_QKV_mfma16_kernelI14__hip_bfloat16hLN4vllm18Fp8KVCacheDataTypeE1ES0_Li16ELi128ELi256ELb0ELi5EEvPKT_PKT0_S8_ifPKiSA_SA_iPKfiiiPfSD_PS3_PT2_iSC_SC_
                                        ; -- End function
	.section	.AMDGPU.csdata,"",@progbits
; Kernel info:
; codeLenInByte = 6316
; NumSgprs: 56
; NumVgprs: 86
; NumAgprs: 0
; TotalNumVgprs: 86
; ScratchSize: 0
; MemoryBound: 0
; FloatMode: 240
; IeeeMode: 1
; LDSByteSize: 8192 bytes/workgroup (compile time only)
; SGPRBlocks: 6
; VGPRBlocks: 10
; NumSGPRsForWavesPerEU: 56
; NumVGPRsForWavesPerEU: 86
; AccumOffset: 88
; Occupancy: 5
; WaveLimiterHint : 1
; COMPUTE_PGM_RSRC2:SCRATCH_EN: 0
; COMPUTE_PGM_RSRC2:USER_SGPR: 2
; COMPUTE_PGM_RSRC2:TRAP_HANDLER: 0
; COMPUTE_PGM_RSRC2:TGID_X_EN: 1
; COMPUTE_PGM_RSRC2:TGID_Y_EN: 1
; COMPUTE_PGM_RSRC2:TGID_Z_EN: 1
; COMPUTE_PGM_RSRC2:TIDIG_COMP_CNT: 0
; COMPUTE_PGM_RSRC3_GFX90A:ACCUM_OFFSET: 21
; COMPUTE_PGM_RSRC3_GFX90A:TG_SPLIT: 0
	.section	.text._Z39paged_attention_ll4mi_QKV_mfma16_kernelI14__hip_bfloat16hLN4vllm18Fp8KVCacheDataTypeE1ES0_Li16ELi128ELi256ELb0ELi6EEvPKT_PKT0_S8_ifPKiSA_SA_iPKfiiiPfSD_PS3_PT2_iSC_SC_,"axG",@progbits,_Z39paged_attention_ll4mi_QKV_mfma16_kernelI14__hip_bfloat16hLN4vllm18Fp8KVCacheDataTypeE1ES0_Li16ELi128ELi256ELb0ELi6EEvPKT_PKT0_S8_ifPKiSA_SA_iPKfiiiPfSD_PS3_PT2_iSC_SC_,comdat
	.protected	_Z39paged_attention_ll4mi_QKV_mfma16_kernelI14__hip_bfloat16hLN4vllm18Fp8KVCacheDataTypeE1ES0_Li16ELi128ELi256ELb0ELi6EEvPKT_PKT0_S8_ifPKiSA_SA_iPKfiiiPfSD_PS3_PT2_iSC_SC_ ; -- Begin function _Z39paged_attention_ll4mi_QKV_mfma16_kernelI14__hip_bfloat16hLN4vllm18Fp8KVCacheDataTypeE1ES0_Li16ELi128ELi256ELb0ELi6EEvPKT_PKT0_S8_ifPKiSA_SA_iPKfiiiPfSD_PS3_PT2_iSC_SC_
	.globl	_Z39paged_attention_ll4mi_QKV_mfma16_kernelI14__hip_bfloat16hLN4vllm18Fp8KVCacheDataTypeE1ES0_Li16ELi128ELi256ELb0ELi6EEvPKT_PKT0_S8_ifPKiSA_SA_iPKfiiiPfSD_PS3_PT2_iSC_SC_
	.p2align	8
	.type	_Z39paged_attention_ll4mi_QKV_mfma16_kernelI14__hip_bfloat16hLN4vllm18Fp8KVCacheDataTypeE1ES0_Li16ELi128ELi256ELb0ELi6EEvPKT_PKT0_S8_ifPKiSA_SA_iPKfiiiPfSD_PS3_PT2_iSC_SC_,@function
_Z39paged_attention_ll4mi_QKV_mfma16_kernelI14__hip_bfloat16hLN4vllm18Fp8KVCacheDataTypeE1ES0_Li16ELi128ELi256ELb0ELi6EEvPKT_PKT0_S8_ifPKiSA_SA_iPKfiiiPfSD_PS3_PT2_iSC_SC_: ; @_Z39paged_attention_ll4mi_QKV_mfma16_kernelI14__hip_bfloat16hLN4vllm18Fp8KVCacheDataTypeE1ES0_Li16ELi128ELi256ELb0ELi6EEvPKT_PKT0_S8_ifPKiSA_SA_iPKfiiiPfSD_PS3_PT2_iSC_SC_
; %bb.0:
	s_load_dwordx2 s[12:13], s[0:1], 0x30
	s_mov_b32 s24, s3
	s_mov_b64 s[6:7], 0
	s_waitcnt lgkmcnt(0)
	s_cmp_lg_u64 s[12:13], 0
	s_cselect_b64 s[14:15], -1, 0
	s_and_b64 vcc, exec, s[14:15]
	s_cbranch_vccz .LBB1313_7
; %bb.1:
	s_add_i32 s8, s2, 1
	s_mov_b32 s9, 0
	s_lshl_b64 s[10:11], s[8:9], 2
	s_add_u32 s10, s12, s10
	s_mov_b32 s3, s9
	s_addc_u32 s11, s13, s11
	s_lshl_b64 s[8:9], s[2:3], 2
	s_add_u32 s8, s12, s8
	s_addc_u32 s9, s13, s9
	s_load_dword s5, s[10:11], 0x0
	s_load_dword s16, s[8:9], 0x0
	s_waitcnt lgkmcnt(0)
	s_sub_i32 s5, s5, s16
	s_cmp_eq_u32 s5, 1
	s_cselect_b64 s[8:9], -1, 0
	s_andn2_b64 vcc, exec, s[6:7]
	s_cbranch_vccnz .LBB1313_3
.LBB1313_2:
	s_mov_b32 s3, 0
	s_mov_b64 s[8:9], -1
.LBB1313_3:
	s_andn2_b64 vcc, exec, s[8:9]
	s_cbranch_vccnz .LBB1313_18
; %bb.4:
	s_load_dwordx2 s[6:7], s[0:1], 0x28
	s_lshl_b64 s[16:17], s[2:3], 2
	s_waitcnt lgkmcnt(0)
	s_add_u32 s6, s6, s16
	s_addc_u32 s7, s7, s17
	s_load_dword s33, s[6:7], 0x0
	s_lshl_b32 s18, s24, 8
	s_waitcnt lgkmcnt(0)
	s_cmp_ge_i32 s18, s33
	s_cbranch_scc1 .LBB1313_18
; %bb.5:
	s_load_dwordx2 s[6:7], s[0:1], 0x20
	s_load_dword s8, s[0:1], 0x38
	s_add_i32 s5, s33, 15
	s_ashr_i32 s9, s5, 31
	v_and_b32_e32 v1, 0xcf, v0
	s_lshr_b32 s9, s9, 28
	v_add_u32_e32 v1, s18, v1
	s_add_i32 s5, s5, s9
	v_ashrrev_i32_e32 v2, 31, v1
	s_ashr_i32 s5, s5, 4
	v_lshrrev_b32_e32 v10, 28, v2
	s_add_i32 s5, s5, -1
	s_waitcnt lgkmcnt(0)
	s_mul_i32 s8, s2, s8
	s_mov_b32 s9, 0
	v_add_u32_e32 v2, v1, v10
	s_lshl_b64 s[8:9], s[8:9], 2
	v_ashrrev_i32_e32 v2, 4, v2
	v_mov_b32_e32 v11, s5
	v_cmp_gt_i32_e32 vcc, s33, v1
	s_add_u32 s6, s6, s8
	s_addc_u32 s7, s7, s9
	v_cndmask_b32_e32 v2, v11, v2, vcc
	v_ashrrev_i32_e32 v3, 31, v2
	v_lshl_add_u64 v[4:5], v[2:3], 2, s[6:7]
	v_or_b32_e32 v2, 16, v1
	v_add_u32_e32 v3, v2, v10
	v_ashrrev_i32_e32 v3, 4, v3
	v_cmp_gt_i32_e32 vcc, s33, v2
	s_load_dwordx4 s[8:11], s[0:1], 0x8
	s_nop 0
	v_cndmask_b32_e32 v2, v11, v3, vcc
	v_ashrrev_i32_e32 v3, 31, v2
	v_lshl_add_u64 v[6:7], v[2:3], 2, s[6:7]
	v_or_b32_e32 v2, 32, v1
	v_add_u32_e32 v3, v2, v10
	v_ashrrev_i32_e32 v3, 4, v3
	v_cmp_gt_i32_e32 vcc, s33, v2
	v_or_b32_e32 v1, 48, v1
	s_nop 0
	v_cndmask_b32_e32 v2, v11, v3, vcc
	v_ashrrev_i32_e32 v3, 31, v2
	v_lshl_add_u64 v[8:9], v[2:3], 2, s[6:7]
	v_add_u32_e32 v2, v1, v10
	v_ashrrev_i32_e32 v2, 4, v2
	v_cmp_gt_i32_e32 vcc, s33, v1
	s_nop 1
	v_cndmask_b32_e32 v2, v11, v2, vcc
	v_ashrrev_i32_e32 v3, 31, v2
	v_lshl_add_u64 v[12:13], v[2:3], 2, s[6:7]
	global_load_dword v3, v[4:5], off
	global_load_dword v2, v[6:7], off
	;; [unrolled: 1-line block ×4, first 2 shown]
	s_andn2_b64 vcc, exec, s[14:15]
	s_cbranch_vccnz .LBB1313_8
; %bb.6:
	s_add_u32 s12, s12, s16
	s_addc_u32 s13, s13, s17
	s_load_dword s14, s[12:13], 0x0
	s_branch .LBB1313_9
.LBB1313_7:
	s_mov_b64 s[8:9], 0
	s_branch .LBB1313_2
.LBB1313_8:
	s_mov_b32 s14, s2
.LBB1313_9:
	s_load_dwordx4 s[44:47], s[0:1], 0x48
	v_lshrrev_b32_e32 v61, 6, v0
	v_bfe_u32 v64, v0, 4, 2
	v_and_b32_e32 v60, 15, v0
	v_lshl_or_b32 v4, v61, 2, v64
	v_lshlrev_b32_e32 v1, 3, v60
	v_and_b32_e32 v65, 63, v0
	s_mul_i32 s48, s4, 6
	v_cmp_gt_u32_e32 vcc, 6, v4
	v_lshlrev_b32_e32 v58, 1, v1
	v_lshlrev_b32_e32 v1, 4, v0
	s_and_saveexec_b64 s[12:13], vcc
	s_cbranch_execz .LBB1313_11
; %bb.10:
	s_load_dwordx2 s[16:17], s[0:1], 0x0
	s_waitcnt lgkmcnt(0)
	s_ashr_i32 s15, s44, 31
	s_mul_hi_u32 s19, s14, s44
	s_mul_i32 s15, s14, s15
	s_add_i32 s15, s19, s15
	s_mul_i32 s14, s14, s44
	s_lshl_b64 s[14:15], s[14:15], 1
	s_add_u32 s14, s16, s14
	v_add_lshl_u32 v6, v4, s48, 7
	s_addc_u32 s15, s17, s15
	v_ashrrev_i32_e32 v7, 31, v6
	v_lshl_add_u64 v[6:7], v[6:7], 1, s[14:15]
	v_mov_b32_e32 v59, 0
	v_lshl_add_u64 v[6:7], v[6:7], 0, v[58:59]
	global_load_dwordx4 v[6:9], v[6:7], off
	v_lshlrev_b32_e32 v12, 8, v0
	v_lshlrev_b32_e32 v5, 8, v60
	v_and_b32_e32 v12, 0x600, v12
	s_movk_i32 s14, 0x800
	v_and_or_b32 v5, v5, s14, v12
	v_lshlrev_b32_e32 v4, 5, v4
	v_and_b32_e32 v12, 16, v1
	v_or3_b32 v4, v5, v4, v12
	s_waitcnt vmcnt(0)
	ds_write_b128 v4, v[6:9]
.LBB1313_11:
	s_or_b64 exec, exec, s[12:13]
	s_waitcnt lgkmcnt(0)
	s_mul_i32 s4, s4, s46
	s_add_u32 s8, s8, s4
	s_addc_u32 s9, s9, 0
	v_and_b32_e32 v62, 0xf0, v1
	v_mov_b32_e32 v63, 0
	v_and_b32_e32 v12, 48, v0
	v_lshl_add_u64 v[6:7], s[8:9], 0, v[62:63]
	v_lshlrev_b32_e32 v62, 4, v12
	s_waitcnt vmcnt(3)
	v_mad_i64_i32 v[4:5], s[8:9], v3, s45, v[6:7]
	v_lshl_add_u64 v[4:5], v[4:5], 0, v[62:63]
	s_load_dword s25, s[0:1], 0x98
	s_load_dwordx4 s[40:43], s[0:1], 0x80
	s_waitcnt lgkmcnt(0)
	s_barrier
	global_load_dwordx4 v[22:25], v[4:5], off
	global_load_dwordx4 v[14:17], v[4:5], off offset:1024
	s_waitcnt vmcnt(4)
	v_mad_i64_i32 v[2:3], s[12:13], v2, s45, v[6:7]
	v_lshl_add_u64 v[8:9], v[2:3], 0, v[62:63]
	global_load_dwordx4 v[2:5], v[8:9], off
	v_mul_lo_u16_e32 v13, 43, v60
	v_mov_b32_e32 v18, 6
	v_or_b32_e32 v12, s18, v12
	v_mov_b32_e32 v20, s5
	v_mul_lo_u16_sdwa v13, v13, v18 dst_sel:DWORD dst_unused:UNUSED_PAD src0_sel:BYTE_1 src1_sel:DWORD
	v_ashrrev_i32_e32 v18, 4, v12
	v_or_b32_e32 v21, 64, v12
	v_cmp_gt_i32_e32 vcc, s33, v12
	v_mov_b32_e32 v19, 5
	v_sub_u16_e32 v13, v60, v13
	v_or_b32_e32 v26, 0x80, v12
	v_or_b32_e32 v27, 0xc0, v12
	v_cndmask_b32_e32 v38, v20, v18, vcc
	v_ashrrev_i32_e32 v12, 4, v21
	v_cmp_gt_i32_e32 vcc, s33, v21
	v_lshlrev_b32_sdwa v13, v19, v13 dst_sel:DWORD dst_unused:UNUSED_PAD src0_sel:DWORD src1_sel:BYTE_0
	v_ashrrev_i32_e32 v18, 4, v26
	v_cndmask_b32_e32 v42, v20, v12, vcc
	v_cmp_gt_i32_e32 vcc, s33, v26
	v_ashrrev_i32_e32 v19, 4, v27
	v_lshl_add_u32 v36, v64, 9, v13
	v_cndmask_b32_e32 v44, v20, v18, vcc
	v_cmp_gt_i32_e32 vcc, s33, v27
	s_waitcnt vmcnt(4)
	v_mad_i64_i32 v[34:35], s[12:13], v10, s45, v[6:7]
	v_cndmask_b32_e32 v46, v20, v19, vcc
	ds_read_b128 v[26:29], v36
	ds_read_b128 v[18:21], v36 offset:16
	global_load_dwordx4 v[30:33], v[8:9], off offset:1024
	s_waitcnt vmcnt(4)
	v_mad_i64_i32 v[40:41], s[12:13], v11, s45, v[6:7]
	v_ashrrev_i32_e32 v39, 31, v38
	ds_read_b128 v[10:13], v36 offset:2048
	ds_read_b128 v[6:9], v36 offset:2064
	v_lshl_add_u64 v[36:37], v[34:35], 0, v[62:63]
	v_lshl_add_u64 v[34:35], v[40:41], 0, v[62:63]
	v_ashrrev_i32_e32 v43, 31, v42
	v_ashrrev_i32_e32 v45, 31, v44
	;; [unrolled: 1-line block ×3, first 2 shown]
	v_lshl_add_u64 v[50:51], v[38:39], 2, s[6:7]
	v_lshl_add_u64 v[52:53], v[42:43], 2, s[6:7]
	;; [unrolled: 1-line block ×4, first 2 shown]
	global_load_dwordx4 v[46:49], v[36:37], off
	global_load_dwordx4 v[42:45], v[36:37], off offset:1024
	global_load_dwordx4 v[38:41], v[34:35], off
	s_nop 0
	global_load_dwordx4 v[34:37], v[34:35], off offset:1024
	s_nop 0
	global_load_dword v69, v[50:51], off
	global_load_dword v68, v[52:53], off
	;; [unrolled: 1-line block ×4, first 2 shown]
	s_mov_b32 s44, 0x7060302
	s_add_u32 s4, s10, s4
	v_lshl_or_b32 v59, v61, 4, v60
	s_addc_u32 s5, s11, 0
	v_lshlrev_b32_e32 v62, 4, v59
	s_load_dword s8, s[0:1], 0x1c
	s_waitcnt vmcnt(11)
	v_cvt_pk_f32_fp8_e32 v[50:51], v22
	v_cvt_pk_f32_fp8_sdwa v[52:53], v22 src0_sel:WORD_1
	v_cvt_pk_f32_fp8_e32 v[54:55], v23
	v_cvt_pk_f32_fp8_sdwa v[22:23], v23 src0_sel:WORD_1
	s_waitcnt vmcnt(10)
	v_cvt_pk_f32_fp8_e32 v[76:77], v14
	v_cvt_pk_f32_fp8_sdwa v[78:79], v14 src0_sel:WORD_1
	v_cvt_pk_f32_fp8_e32 v[80:81], v15
	v_cvt_pk_f32_fp8_sdwa v[82:83], v15 src0_sel:WORD_1
	v_perm_b32 v14, v51, v50, s44
	v_perm_b32 v15, v53, v52, s44
	v_cvt_pk_f32_fp8_e32 v[56:57], v24
	v_cvt_pk_f32_fp8_sdwa v[70:71], v24 src0_sel:WORD_1
	v_perm_b32 v54, v55, v54, s44
	v_perm_b32 v55, v23, v22, s44
	v_cvt_pk_f32_fp8_e32 v[72:73], v25
	v_cvt_pk_f32_fp8_sdwa v[74:75], v25 src0_sel:WORD_1
	s_waitcnt lgkmcnt(0)
	v_mfma_f32_16x16x16_bf16 v[22:25], v[14:15], v[26:27], 0
	v_perm_b32 v14, v57, v56, s44
	v_perm_b32 v15, v71, v70, s44
	;; [unrolled: 1-line block ×3, first 2 shown]
	v_mfma_f32_16x16x16_bf16 v[22:25], v[54:55], v[28:29], v[22:25]
	v_perm_b32 v57, v75, v74, s44
	v_cvt_pk_f32_fp8_e32 v[50:51], v16
	v_cvt_pk_f32_fp8_sdwa v[52:53], v16 src0_sel:WORD_1
	v_cvt_pk_f32_fp8_e32 v[84:85], v17
	v_cvt_pk_f32_fp8_sdwa v[54:55], v17 src0_sel:WORD_1
	v_mfma_f32_16x16x16_bf16 v[14:17], v[14:15], v[18:19], v[22:25]
	v_perm_b32 v70, v81, v80, s44
	v_perm_b32 v71, v83, v82, s44
	;; [unrolled: 1-line block ×5, first 2 shown]
	v_mfma_f32_16x16x16_bf16 v[14:17], v[56:57], v[20:21], v[14:17]
	s_waitcnt vmcnt(9)
	v_cvt_pk_f32_fp8_e32 v[22:23], v2
	v_cvt_pk_f32_fp8_sdwa v[56:57], v2 src0_sel:WORD_1
	v_perm_b32 v51, v53, v52, s44
	v_mfma_f32_16x16x16_bf16 v[14:17], v[24:25], v[10:11], v[14:17]
	v_cvt_pk_f32_fp8_e32 v[24:25], v3
	v_cvt_pk_f32_fp8_sdwa v[2:3], v3 src0_sel:WORD_1
	v_perm_b32 v52, v85, v84, s44
	v_mfma_f32_16x16x16_bf16 v[14:17], v[70:71], v[12:13], v[14:17]
	v_perm_b32 v53, v55, v54, s44
	v_perm_b32 v22, v23, v22, s44
	;; [unrolled: 1-line block ×3, first 2 shown]
	v_mfma_f32_16x16x16_bf16 v[14:17], v[50:51], v[6:7], v[14:17]
	v_cvt_pk_f32_fp8_e32 v[54:55], v4
	v_perm_b32 v24, v25, v24, s44
	v_cvt_pk_f32_fp8_sdwa v[56:57], v4 src0_sel:WORD_1
	v_perm_b32 v25, v3, v2, s44
	v_mfma_f32_16x16x16_bf16 v[50:53], v[52:53], v[8:9], v[14:17]
	s_waitcnt vmcnt(7)
	v_cvt_pk_f32_fp8_e32 v[72:73], v49
	v_lshl_add_u64 v[70:71], s[4:5], 0, v[62:63]
	s_waitcnt vmcnt(6)
	v_cvt_pk_f32_fp8_sdwa v[76:77], v44 src0_sel:WORD_1
	v_mfma_f32_16x16x16_bf16 v[14:17], v[22:23], v[26:27], 0
	v_perm_b32 v22, v55, v54, s44
	v_perm_b32 v23, v57, v56, s44
	v_cvt_pk_f32_fp8_e32 v[54:55], v5
	v_cvt_pk_f32_fp8_sdwa v[56:57], v5 src0_sel:WORD_1
	v_mfma_f32_16x16x16_bf16 v[2:5], v[24:25], v[28:29], v[14:17]
	v_cvt_pk_f32_fp8_e32 v[24:25], v32
	v_or_b32_e32 v62, 0x400, v62
	s_nop 0
	v_perm_b32 v14, v55, v54, s44
	v_perm_b32 v15, v57, v56, s44
	v_mfma_f32_16x16x16_bf16 v[2:5], v[22:23], v[18:19], v[2:5]
	v_cvt_pk_f32_fp8_e32 v[16:17], v30
	v_cvt_pk_f32_fp8_sdwa v[22:23], v30 src0_sel:WORD_1
	v_perm_b32 v16, v17, v16, s44
	v_mfma_f32_16x16x16_bf16 v[2:5], v[14:15], v[20:21], v[2:5]
	v_cvt_pk_f32_fp8_e32 v[14:15], v31
	v_perm_b32 v17, v23, v22, s44
	v_cvt_pk_f32_fp8_sdwa v[22:23], v31 src0_sel:WORD_1
	v_cvt_pk_f32_fp8_sdwa v[30:31], v32 src0_sel:WORD_1
	v_perm_b32 v14, v15, v14, s44
	v_mfma_f32_16x16x16_bf16 v[2:5], v[16:17], v[10:11], v[2:5]
	v_perm_b32 v15, v23, v22, s44
	v_perm_b32 v16, v25, v24, s44
	;; [unrolled: 1-line block ×3, first 2 shown]
	v_cvt_pk_f32_fp8_e32 v[22:23], v33
	v_cvt_pk_f32_fp8_sdwa v[24:25], v33 src0_sel:WORD_1
	v_mfma_f32_16x16x16_bf16 v[2:5], v[14:15], v[12:13], v[2:5]
	v_perm_b32 v14, v23, v22, s44
	v_perm_b32 v15, v25, v24, s44
	v_mfma_f32_16x16x16_bf16 v[2:5], v[16:17], v[6:7], v[2:5]
	v_cvt_pk_f32_fp8_e32 v[16:17], v46
	v_cvt_pk_f32_fp8_sdwa v[22:23], v46 src0_sel:WORD_1
	v_cvt_pk_f32_fp8_sdwa v[24:25], v48 src0_sel:WORD_1
	v_mfma_f32_16x16x16_bf16 v[54:57], v[14:15], v[8:9], v[2:5]
	v_cvt_pk_f32_fp8_sdwa v[14:15], v47 src0_sel:WORD_1
	s_nop 1
	v_perm_b32 v2, v17, v16, s44
	v_perm_b32 v3, v23, v22, s44
	v_cvt_pk_f32_fp8_e32 v[4:5], v47
	v_perm_b32 v23, v15, v14, s44
	v_cvt_pk_f32_fp8_e32 v[14:15], v48
	v_cvt_pk_f32_fp8_sdwa v[48:49], v49 src0_sel:WORD_1
	v_perm_b32 v22, v5, v4, s44
	v_mfma_f32_16x16x16_bf16 v[2:5], v[2:3], v[26:27], 0
	v_perm_b32 v14, v15, v14, s44
	v_perm_b32 v15, v25, v24, s44
	s_waitcnt vmcnt(3)
	v_mad_i64_i32 v[16:17], s[6:7], v69, s45, v[70:71]
	v_mfma_f32_16x16x16_bf16 v[2:5], v[22:23], v[28:29], v[2:5]
	s_waitcnt vmcnt(2)
	v_mad_i64_i32 v[46:47], s[6:7], v68, s45, v[70:71]
	global_load_dwordx4 v[30:33], v[16:17], off
	global_load_dwordx4 v[22:25], v[46:47], off
	v_perm_b32 v16, v73, v72, s44
	v_perm_b32 v17, v49, v48, s44
	v_mfma_f32_16x16x16_bf16 v[2:5], v[14:15], v[18:19], v[2:5]
	v_cvt_pk_f32_fp8_e32 v[14:15], v42
	v_cvt_pk_f32_fp8_sdwa v[46:47], v42 src0_sel:WORD_1
	s_waitcnt vmcnt(3)
	v_mad_i64_i32 v[72:73], s[6:7], v67, s45, v[70:71]
	v_mfma_f32_16x16x16_bf16 v[2:5], v[16:17], v[20:21], v[2:5]
	v_perm_b32 v14, v15, v14, s44
	v_perm_b32 v15, v47, v46, s44
	v_cvt_pk_f32_fp8_e32 v[16:17], v43
	v_cvt_pk_f32_fp8_sdwa v[42:43], v43 src0_sel:WORD_1
	v_mfma_f32_16x16x16_bf16 v[46:49], v[14:15], v[10:11], v[2:5]
	v_perm_b32 v74, v17, v16, s44
	v_perm_b32 v75, v43, v42, s44
	v_cvt_pk_f32_fp8_e32 v[42:43], v44
	s_waitcnt vmcnt(2)
	v_mad_i64_i32 v[70:71], s[6:7], v66, s45, v[70:71]
	global_load_dwordx4 v[14:17], v[72:73], off
	global_load_dwordx4 v[2:5], v[70:71], off
	v_perm_b32 v70, v43, v42, s44
	v_perm_b32 v71, v77, v76, s44
	v_cvt_pk_f32_fp8_e32 v[72:73], v45
	v_cvt_pk_f32_fp8_sdwa v[76:77], v45 src0_sel:WORD_1
	v_mfma_f32_16x16x16_bf16 v[44:47], v[74:75], v[12:13], v[46:49]
	v_lshl_add_u64 v[42:43], s[4:5], 0, v[62:63]
	v_cvt_pk_f32_fp8_e32 v[62:63], v38
	s_load_dword s4, s[40:41], 0x0
	v_perm_b32 v48, v73, v72, s44
	v_perm_b32 v49, v77, v76, s44
	v_mfma_f32_16x16x16_bf16 v[44:47], v[70:71], v[6:7], v[44:47]
	v_cvt_pk_f32_fp8_sdwa v[70:71], v38 src0_sel:WORD_1
	v_perm_b32 v62, v63, v62, s44
	v_cvt_pk_f32_fp8_e32 v[74:75], v40
	v_mfma_f32_16x16x16_bf16 v[46:49], v[48:49], v[8:9], v[44:47]
	v_perm_b32 v63, v71, v70, s44
	v_cvt_pk_f32_fp8_sdwa v[76:77], v40 src0_sel:WORD_1
	s_mov_b32 s40, 0xff7fffff
	v_cvt_pk_f32_fp8_e32 v[44:45], v39
	v_cvt_pk_f32_fp8_sdwa v[38:39], v39 src0_sel:WORD_1
	v_mfma_f32_16x16x16_bf16 v[70:73], v[62:63], v[26:27], 0
	v_cvt_pk_f32_fp8_e32 v[62:63], v41
	v_perm_b32 v44, v45, v44, s44
	v_perm_b32 v45, v39, v38, s44
	;; [unrolled: 1-line block ×4, first 2 shown]
	v_cvt_pk_f32_fp8_sdwa v[40:41], v41 src0_sel:WORD_1
	v_mov_b32_e32 v26, s8
	s_waitcnt lgkmcnt(0)
	v_mul_f32_e32 v74, s4, v26
	v_mfma_f32_16x16x16_bf16 v[26:29], v[44:45], v[28:29], v[70:73]
	v_pk_mul_f32 v[44:45], v[74:75], v[52:53] op_sel_hi:[0,1]
	v_perm_b32 v52, v63, v62, s44
	v_perm_b32 v53, v41, v40, s44
	v_mfma_f32_16x16x16_bf16 v[26:29], v[38:39], v[18:19], v[26:29]
	v_cvt_pk_f32_fp8_e32 v[18:19], v34
	v_cvt_pk_f32_fp8_sdwa v[38:39], v34 src0_sel:WORD_1
	v_pk_mul_f32 v[50:51], v[74:75], v[50:51] op_sel_hi:[0,1]
	v_mfma_f32_16x16x16_bf16 v[26:29], v[52:53], v[20:21], v[26:29]
	v_perm_b32 v20, v19, v18, s44
	v_perm_b32 v21, v39, v38, s44
	v_cvt_pk_f32_fp8_e32 v[38:39], v35
	v_cvt_pk_f32_fp8_sdwa v[34:35], v35 src0_sel:WORD_1
	v_mfma_f32_16x16x16_bf16 v[26:29], v[20:21], v[10:11], v[26:29]
	v_perm_b32 v38, v39, v38, s44
	v_perm_b32 v39, v35, v34, s44
	v_cvt_pk_f32_fp8_e32 v[10:11], v36
	v_cvt_pk_f32_fp8_sdwa v[20:21], v36 src0_sel:WORD_1
	v_pk_mul_f32 v[52:53], v[74:75], v[54:55] op_sel_hi:[0,1]
	v_pk_mul_f32 v[34:35], v[74:75], v[56:57] op_sel_hi:[0,1]
	v_perm_b32 v40, v11, v10, s44
	v_perm_b32 v41, v21, v20, s44
	v_cvt_pk_f32_fp8_e32 v[20:21], v37
	v_cvt_pk_f32_fp8_sdwa v[36:37], v37 src0_sel:WORD_1
	v_mfma_f32_16x16x16_bf16 v[10:13], v[38:39], v[12:13], v[26:29]
	v_pk_mul_f32 v[46:47], v[74:75], v[46:47] op_sel_hi:[0,1]
	v_perm_b32 v20, v21, v20, s44
	v_perm_b32 v21, v37, v36, s44
	v_mfma_f32_16x16x16_bf16 v[10:13], v[40:41], v[6:7], v[10:13]
	v_pk_mul_f32 v[40:41], v[74:75], v[48:49] op_sel_hi:[0,1]
	v_mad_i64_i32 v[18:19], s[4:5], v69, s45, v[42:43]
	v_mfma_f32_16x16x16_bf16 v[6:9], v[20:21], v[8:9], v[10:13]
	v_mad_i64_i32 v[62:63], s[4:5], v68, s45, v[42:43]
	global_load_dwordx4 v[26:29], v[18:19], off
	s_nop 0
	global_load_dwordx4 v[18:21], v[62:63], off
	s_nop 2
	v_pk_mul_f32 v[48:49], v[74:75], v[6:7] op_sel_hi:[0,1]
	v_and_b32_e32 v6, 0xc0, v0
	v_add_u32_e32 v6, s18, v6
	v_lshl_or_b32 v6, v64, 2, v6
	v_pk_mul_f32 v[38:39], v[74:75], v[8:9] op_sel_hi:[0,1]
	v_or_b32_e32 v9, 1, v6
	v_mov_b32_e32 v7, 0xff7fffff
	v_cmp_gt_i32_e64 s[26:27], s33, v6
	v_cmp_gt_i32_e64 s[28:29], s33, v9
	v_or_b32_e32 v10, 3, v6
	v_cndmask_b32_e64 v8, v7, v50, s[26:27]
	v_cndmask_b32_e64 v9, v7, v51, s[28:29]
	v_max3_f32 v8, v8, s40, v9
	v_or_b32_e32 v9, 2, v6
	v_cmp_gt_i32_e64 s[30:31], s33, v9
	v_cmp_gt_i32_e64 s[34:35], s33, v10
	s_nop 0
	v_cndmask_b32_e64 v9, v7, v44, s[30:31]
	v_cndmask_b32_e64 v10, v7, v45, s[34:35]
	v_max3_f32 v8, v8, v9, v10
	v_or_b32_e32 v9, 16, v6
	v_or_b32_e32 v10, 17, v6
	v_cmp_gt_i32_e64 s[18:19], s33, v9
	v_cmp_gt_i32_e64 s[20:21], s33, v10
	s_nop 0
	v_cndmask_b32_e64 v9, v7, v52, s[18:19]
	v_cndmask_b32_e64 v10, v7, v53, s[20:21]
	v_max3_f32 v8, v8, v9, v10
	v_or_b32_e32 v9, 18, v6
	;; [unrolled: 8-line block ×5, first 2 shown]
	v_or_b32_e32 v10, 49, v6
	v_cmp_gt_i32_e32 vcc, s33, v9
	v_cmp_gt_i32_e64 s[4:5], s33, v10
	s_nop 0
	v_cndmask_b32_e32 v9, v7, v48, vcc
	v_cndmask_b32_e64 v10, v7, v49, s[4:5]
	v_max3_f32 v8, v8, v9, v10
	v_or_b32_e32 v9, 50, v6
	v_or_b32_e32 v6, 51, v6
	v_cmp_gt_i32_e64 s[6:7], s33, v9
	v_cmp_gt_i32_e64 s[8:9], s33, v6
	s_nop 0
	v_cndmask_b32_e64 v9, v7, v38, s[6:7]
	v_cndmask_b32_e64 v6, v7, v39, s[8:9]
	v_max3_f32 v8, v8, v9, v6
	v_mbcnt_lo_u32_b32 v6, -1, 0
	v_mbcnt_hi_u32_b32 v9, -1, v6
	v_and_b32_e32 v6, 64, v9
	v_add_u32_e32 v10, 64, v6
	v_xor_b32_e32 v6, 32, v9
	v_cmp_lt_i32_e64 s[38:39], v6, v10
	s_nop 1
	v_cndmask_b32_e64 v6, v9, v6, s[38:39]
	v_lshlrev_b32_e32 v55, 2, v6
	ds_bpermute_b32 v11, v55, v8
	v_mad_i64_i32 v[6:7], s[38:39], v67, s45, v[42:43]
	s_waitcnt lgkmcnt(0)
	v_max_f32_e32 v11, v11, v11
	v_max_f32_e32 v36, v8, v11
	v_xor_b32_e32 v8, 16, v9
	v_cmp_lt_i32_e64 s[38:39], v8, v10
	s_nop 1
	v_cndmask_b32_e64 v8, v9, v8, s[38:39]
	v_lshlrev_b32_e32 v56, 2, v8
	v_mad_i64_i32 v[8:9], s[38:39], v66, s45, v[42:43]
	global_load_dwordx4 v[10:13], v[6:7], off
	s_nop 0
	global_load_dwordx4 v[6:9], v[8:9], off
	ds_bpermute_b32 v37, v56, v36
	s_waitcnt lgkmcnt(0)
	s_barrier
	v_max_f32_e32 v37, v37, v37
	v_max_f32_e32 v54, v36, v37
	v_sub_f32_e32 v42, v44, v54
	v_mul_f32_e32 v42, 0x3fb8aa3b, v42
	v_exp_f32_e32 v42, v42
	v_sub_f32_e32 v43, v45, v54
	v_mul_f32_e32 v43, 0x3fb8aa3b, v43
	v_exp_f32_e32 v43, v43
	v_cndmask_b32_e64 v44, 0, v42, s[30:31]
	v_sub_f32_e32 v42, v52, v54
	v_sub_f32_e32 v34, v34, v54
	v_mul_f32_e32 v42, 0x3fb8aa3b, v42
	v_mul_f32_e32 v34, 0x3fb8aa3b, v34
	v_sub_f32_e32 v36, v50, v54
	v_exp_f32_e32 v42, v42
	v_exp_f32_e32 v50, v34
	v_cndmask_b32_e64 v45, 0, v43, s[34:35]
	v_sub_f32_e32 v43, v53, v54
	v_sub_f32_e32 v34, v35, v54
	;; [unrolled: 1-line block ×4, first 2 shown]
	v_mul_f32_e32 v43, 0x3fb8aa3b, v43
	v_mul_f32_e32 v34, 0x3fb8aa3b, v34
	;; [unrolled: 1-line block ×4, first 2 shown]
	v_sub_f32_e32 v37, v51, v54
	v_exp_f32_e32 v43, v43
	v_exp_f32_e32 v51, v34
	v_cndmask_b32_e64 v34, 0, v42, s[18:19]
	v_cndmask_b32_e64 v42, 0, v50, s[22:23]
	v_exp_f32_e32 v46, v46
	v_exp_f32_e32 v50, v40
	v_mul_f32_e32 v36, 0x3fb8aa3b, v36
	v_sub_f32_e32 v47, v47, v54
	v_sub_f32_e32 v40, v41, v54
	;; [unrolled: 1-line block ×4, first 2 shown]
	v_exp_f32_e32 v36, v36
	v_mul_f32_e32 v37, 0x3fb8aa3b, v37
	v_mul_f32_e32 v47, 0x3fb8aa3b, v47
	v_mul_f32_e32 v40, 0x3fb8aa3b, v40
	v_mul_f32_e32 v48, 0x3fb8aa3b, v48
	v_mul_f32_e32 v38, 0x3fb8aa3b, v38
	v_exp_f32_e32 v37, v37
	v_cndmask_b32_e64 v35, 0, v43, s[20:21]
	v_cndmask_b32_e64 v43, 0, v51, s[36:37]
	v_exp_f32_e32 v47, v47
	v_exp_f32_e32 v51, v40
	v_cndmask_b32_e64 v40, 0, v46, s[10:11]
	v_cndmask_b32_e64 v46, 0, v50, s[14:15]
	v_exp_f32_e32 v48, v48
	v_exp_f32_e32 v50, v38
	v_sub_f32_e32 v38, v39, v54
	v_cndmask_b32_e64 v36, 0, v36, s[26:27]
	v_mul_f32_e32 v38, 0x3fb8aa3b, v38
	v_cndmask_b32_e64 v37, 0, v37, s[28:29]
	v_cndmask_b32_e64 v41, 0, v47, s[12:13]
	;; [unrolled: 1-line block ×3, first 2 shown]
	v_exp_f32_e32 v51, v38
	v_cndmask_b32_e32 v38, 0, v48, vcc
	v_cndmask_b32_e64 v48, 0, v50, s[6:7]
	v_add_f32_e32 v50, 0, v36
	v_add_f32_e32 v50, v50, v37
	;; [unrolled: 1-line block ×6, first 2 shown]
	v_sub_f32_e32 v49, v49, v54
	v_add_f32_e32 v50, v50, v42
	v_mul_f32_e32 v49, 0x3fb8aa3b, v49
	v_add_f32_e32 v50, v50, v43
	v_exp_f32_e32 v49, v49
	v_add_f32_e32 v50, v50, v40
	v_add_f32_e32 v50, v50, v41
	;; [unrolled: 1-line block ×4, first 2 shown]
	v_cndmask_b32_e64 v39, 0, v49, s[4:5]
	v_add_f32_e32 v50, v50, v38
	v_add_f32_e32 v50, v50, v39
	v_cndmask_b32_e64 v49, 0, v51, s[8:9]
	v_add_f32_e32 v50, v50, v48
	v_add_f32_e32 v50, v50, v49
	ds_bpermute_b32 v51, v55, v50
	v_cmp_gt_u32_e32 vcc, 16, v65
	s_waitcnt lgkmcnt(0)
	v_add_f32_e32 v50, v50, v51
	ds_bpermute_b32 v51, v56, v50
	s_and_saveexec_b64 s[4:5], vcc
	s_cbranch_execz .LBB1313_13
; %bb.12:
	s_waitcnt lgkmcnt(0)
	v_add_f32_e32 v50, v50, v51
	v_lshlrev_b32_e32 v51, 2, v59
	ds_write2st64_b32 v51, v54, v50 offset1:1
.LBB1313_13:
	s_or_b64 exec, exec, s[4:5]
	s_waitcnt lgkmcnt(0)
	v_lshlrev_b32_e32 v51, 2, v60
	s_load_dword s6, s[0:1], 0x94
	s_waitcnt lgkmcnt(0)
	s_barrier
	ds_read2_b32 v[52:53], v51 offset1:16
	ds_read2_b32 v[54:55], v51 offset0:32 offset1:48
	ds_read2_b32 v[56:57], v51 offset0:64 offset1:80
	s_movk_i32 s8, 0x7fff
	s_mul_i32 s7, s25, 6
	s_waitcnt lgkmcnt(2)
	v_max3_f32 v50, v52, s40, v53
	s_waitcnt lgkmcnt(1)
	v_max3_f32 v50, v50, v54, v55
	v_sub_f32_e32 v52, v52, v50
	v_mul_f32_e32 v52, 0x3fb8aa3b, v52
	v_exp_f32_e32 v59, v52
	v_sub_f32_e32 v52, v53, v50
	v_mul_f32_e32 v52, 0x3fb8aa3b, v52
	v_exp_f32_e32 v62, v52
	;; [unrolled: 3-line block ×3, first 2 shown]
	ds_read2_b32 v[52:53], v51 offset0:96 offset1:112
	v_sub_f32_e32 v51, v55, v50
	v_mul_f32_e32 v51, 0x3fb8aa3b, v51
	v_exp_f32_e32 v55, v51
	s_waitcnt lgkmcnt(1)
	v_fma_f32 v51, v59, v56, 0
	v_fmac_f32_e32 v51, v62, v57
	s_waitcnt lgkmcnt(0)
	v_fmac_f32_e32 v51, v54, v52
	v_fmac_f32_e32 v51, v55, v53
	v_add_f32_e32 v52, 0x358637bd, v51
	v_div_scale_f32 v53, s[4:5], v52, v52, 1.0
	v_rcp_f32_e32 v56, v53
	s_barrier
	v_fma_f32 v57, -v53, v56, 1.0
	v_fmac_f32_e32 v56, v57, v56
	v_div_scale_f32 v57, vcc, 1.0, v52, 1.0
	v_mul_f32_e32 v63, v57, v56
	v_fma_f32 v65, -v53, v63, v57
	v_fmac_f32_e32 v63, v65, v56
	v_fma_f32 v53, -v53, v63, v57
	v_div_fmas_f32 v53, v53, v56, v63
	v_cmp_eq_u32_e32 vcc, 1, v61
	v_div_fixup_f32 v52, v53, v52, 1.0
	s_nop 0
	v_cndmask_b32_e32 v53, v59, v62, vcc
	v_cmp_eq_u32_e32 vcc, 2, v61
	s_nop 1
	v_cndmask_b32_e32 v53, v53, v54, vcc
	v_cmp_eq_u32_e32 vcc, 3, v61
	s_nop 1
	v_cndmask_b32_e32 v53, v53, v55, vcc
	v_mul_f32_e32 v52, v53, v52
	v_pk_mul_f32 v[36:37], v[52:53], v[36:37] op_sel_hi:[0,1]
	v_pk_mul_f32 v[44:45], v[52:53], v[44:45] op_sel_hi:[0,1]
	v_bfe_u32 v53, v37, 16, 1
	v_bfe_u32 v54, v36, 16, 1
	v_add3_u32 v36, v36, v54, s8
	v_add3_u32 v37, v37, v53, s8
	v_perm_b32 v56, v37, v36, s44
	v_bfe_u32 v36, v45, 16, 1
	v_bfe_u32 v37, v44, 16, 1
	v_add3_u32 v37, v44, v37, s8
	v_add3_u32 v36, v45, v36, s8
	v_perm_b32 v57, v36, v37, s44
	v_lshlrev_b32_e32 v37, 3, v64
	v_lshlrev_b32_e32 v36, 5, v60
	;; [unrolled: 1-line block ×3, first 2 shown]
	v_pk_mul_f32 v[34:35], v[52:53], v[34:35] op_sel_hi:[0,1]
	v_or3_b32 v54, v44, v36, v37
	v_bfe_u32 v37, v35, 16, 1
	v_bfe_u32 v44, v34, 16, 1
	v_pk_mul_f32 v[42:43], v[52:53], v[42:43] op_sel_hi:[0,1]
	v_add3_u32 v34, v34, v44, s8
	v_add3_u32 v35, v35, v37, s8
	v_perm_b32 v34, v35, v34, s44
	v_bfe_u32 v35, v43, 16, 1
	v_bfe_u32 v37, v42, 16, 1
	v_add3_u32 v37, v42, v37, s8
	v_add3_u32 v35, v43, v35, s8
	v_pk_mul_f32 v[40:41], v[52:53], v[40:41] op_sel_hi:[0,1]
	v_perm_b32 v35, v35, v37, s44
	v_bfe_u32 v37, v41, 16, 1
	v_bfe_u32 v42, v40, 16, 1
	ds_write2st64_b64 v54, v[56:57], v[34:35] offset1:1
	v_pk_mul_f32 v[34:35], v[52:53], v[46:47] op_sel_hi:[0,1]
	v_add3_u32 v40, v40, v42, s8
	v_add3_u32 v37, v41, v37, s8
	v_perm_b32 v40, v37, v40, s44
	v_bfe_u32 v37, v35, 16, 1
	v_bfe_u32 v41, v34, 16, 1
	v_pk_mul_f32 v[38:39], v[52:53], v[38:39] op_sel_hi:[0,1]
	v_add3_u32 v34, v34, v41, s8
	v_add3_u32 v35, v35, v37, s8
	v_bfe_u32 v37, v39, 16, 1
	v_bfe_u32 v42, v38, 16, 1
	v_perm_b32 v41, v35, v34, s44
	v_pk_mul_f32 v[34:35], v[52:53], v[48:49] op_sel_hi:[0,1]
	v_add3_u32 v38, v38, v42, s8
	v_add3_u32 v37, v39, v37, s8
	v_perm_b32 v38, v37, v38, s44
	v_bfe_u32 v37, v35, 16, 1
	v_bfe_u32 v39, v34, 16, 1
	v_add3_u32 v34, v34, v39, s8
	v_add3_u32 v35, v35, v37, s8
	v_perm_b32 v39, v35, v34, s44
	v_cmp_gt_u32_e32 vcc, 6, v0
	ds_write2st64_b64 v54, v[40:41], v[38:39] offset0:2 offset1:3
	s_and_saveexec_b64 s[4:5], vcc
	s_cbranch_execz .LBB1313_15
; %bb.14:
	s_mov_b32 s49, 0
	v_mov_b32_e32 v61, 0
	v_lshl_add_u64 v[34:35], s[48:49], 0, v[60:61]
	v_mov_b32_e32 v37, s7
	v_mad_u64_u32 v[34:35], s[10:11], s2, v37, v[34:35]
	s_mul_i32 s3, s3, s7
	v_mov_b32_e32 v38, s24
	v_mov_b32_e32 v39, v61
	s_load_dwordx4 s[12:15], s[0:1], 0x58
	v_add_u32_e32 v37, s3, v35
	v_mad_u64_u32 v[34:35], s[10:11], v34, s6, v[38:39]
	v_mov_b32_e32 v38, v35
	v_mad_u64_u32 v[38:39], s[10:11], v37, s6, v[38:39]
	v_mov_b32_e32 v35, v38
	v_lshlrev_b64 v[34:35], 2, v[34:35]
	s_waitcnt lgkmcnt(0)
	v_lshl_add_u64 v[38:39], s[14:15], 0, v[34:35]
	v_lshl_add_u64 v[34:35], s[12:13], 0, v[34:35]
	global_store_dword v[38:39], v50, off
	global_store_dword v[34:35], v51, off
.LBB1313_15:
	s_or_b64 exec, exec, s[4:5]
	v_lshl_or_b32 v50, v64, 9, v36
	s_waitcnt vmcnt(7)
	v_cvt_pk_f32_fp8_e32 v[34:35], v30
	v_cvt_pk_f32_fp8_sdwa v[36:37], v30 src0_sel:WORD_1
	s_mov_b32 s5, 0x7060302
	s_waitcnt lgkmcnt(0)
	s_barrier
	v_cvt_pk_f32_fp8_e32 v[38:39], v31
	v_perm_b32 v30, v35, v34, s5
	v_cvt_pk_f32_fp8_sdwa v[40:41], v31 src0_sel:WORD_1
	v_perm_b32 v31, v37, v36, s5
	ds_read_b128 v[34:37], v50
	v_perm_b32 v46, v39, v38, s5
	v_perm_b32 v47, v41, v40, s5
	ds_read_b128 v[38:41], v50 offset:16
	v_cvt_pk_f32_fp8_e32 v[48:49], v32
	v_cvt_pk_f32_fp8_sdwa v[52:53], v32 src0_sel:WORD_1
	s_waitcnt lgkmcnt(1)
	v_mfma_f32_16x16x16_bf16 v[42:45], v[30:31], v[34:35], 0
	s_waitcnt vmcnt(6)
	v_cvt_pk_f32_fp8_e32 v[56:57], v24
	v_perm_b32 v30, v49, v48, s5
	v_perm_b32 v31, v53, v52, s5
	v_cvt_pk_f32_fp8_e32 v[48:49], v33
	v_mfma_f32_16x16x16_bf16 v[42:45], v[46:47], v[36:37], v[42:45]
	v_cvt_pk_f32_fp8_sdwa v[46:47], v33 src0_sel:WORD_1
	v_cvt_pk_f32_fp8_sdwa v[62:63], v24 src0_sel:WORD_1
	v_perm_b32 v48, v49, v48, s5
	s_waitcnt lgkmcnt(0)
	v_mfma_f32_16x16x16_bf16 v[30:33], v[30:31], v[38:39], v[42:45]
	v_perm_b32 v49, v47, v46, s5
	s_waitcnt vmcnt(4)
	v_cvt_pk_f32_fp8_sdwa v[70:71], v4 src0_sel:WORD_1
	s_load_dword s4, s[42:43], 0x0
	v_cvt_pk_f32_fp8_e32 v[42:43], v22
	v_mfma_f32_16x16x16_bf16 v[46:49], v[48:49], v[40:41], v[30:33]
	s_waitcnt vmcnt(3)
	v_cvt_pk_f32_fp8_sdwa v[72:73], v28 src0_sel:WORD_1
	s_mov_b32 s3, 0
	v_cvt_pk_f32_fp8_sdwa v[30:31], v22 src0_sel:WORD_1
	v_cvt_pk_f32_fp8_e32 v[32:33], v23
	v_perm_b32 v22, v43, v42, s5
	v_cvt_pk_f32_fp8_sdwa v[42:43], v23 src0_sel:WORD_1
	v_perm_b32 v23, v31, v30, s5
	v_perm_b32 v52, v33, v32, s5
	ds_read_b128 v[30:33], v50 offset:2048
	v_perm_b32 v53, v43, v42, s5
	ds_read_b128 v[42:45], v50 offset:2064
	s_waitcnt lgkmcnt(0)
	v_mfma_f32_16x16x16_bf16 v[46:49], v[22:23], v[30:31], v[46:49]
	v_perm_b32 v22, v57, v56, s5
	v_perm_b32 v23, v63, v62, s5
	v_cvt_pk_f32_fp8_e32 v[56:57], v25
	v_mfma_f32_16x16x16_bf16 v[46:49], v[52:53], v[32:33], v[46:49]
	v_cvt_pk_f32_fp8_sdwa v[52:53], v25 src0_sel:WORD_1
	v_cvt_pk_f32_fp8_sdwa v[62:63], v16 src0_sel:WORD_1
	v_perm_b32 v56, v57, v56, s5
	v_mfma_f32_16x16x16_bf16 v[22:25], v[22:23], v[42:43], v[46:49]
	v_perm_b32 v57, v53, v52, s5
	v_cmp_gt_u32_e32 vcc, 64, v0
	s_nop 0
	v_cvt_pk_f32_fp8_e32 v[46:47], v14
	v_mfma_f32_16x16x16_bf16 v[66:69], v[56:57], v[44:45], v[22:25]
	v_cvt_pk_f32_fp8_e32 v[56:57], v16
	s_nop 1
	v_cvt_pk_f32_fp8_sdwa v[22:23], v14 src0_sel:WORD_1
	v_cvt_pk_f32_fp8_e32 v[24:25], v15
	v_perm_b32 v14, v47, v46, s5
	v_cvt_pk_f32_fp8_sdwa v[46:47], v15 src0_sel:WORD_1
	v_perm_b32 v15, v23, v22, s5
	v_perm_b32 v52, v25, v24, s5
	ds_read_b128 v[22:25], v50 offset:4096
	v_perm_b32 v53, v47, v46, s5
	ds_read_b128 v[46:49], v50 offset:4112
	s_waitcnt lgkmcnt(1)
	v_mfma_f32_16x16x16_bf16 v[66:69], v[14:15], v[22:23], v[66:69]
	v_perm_b32 v14, v57, v56, s5
	v_perm_b32 v15, v63, v62, s5
	v_cvt_pk_f32_fp8_e32 v[56:57], v17
	v_mfma_f32_16x16x16_bf16 v[66:69], v[52:53], v[24:25], v[66:69]
	v_cvt_pk_f32_fp8_sdwa v[52:53], v17 src0_sel:WORD_1
	v_cvt_pk_f32_fp8_e32 v[62:63], v4
	v_perm_b32 v56, v57, v56, s5
	s_waitcnt lgkmcnt(0)
	v_mfma_f32_16x16x16_bf16 v[14:17], v[14:15], v[46:47], v[66:69]
	v_perm_b32 v57, v53, v52, s5
	v_cvt_pk_f32_fp8_e32 v[52:53], v2
	s_nop 0
	v_mfma_f32_16x16x16_bf16 v[66:69], v[56:57], v[48:49], v[14:17]
	s_nop 2
	v_cvt_pk_f32_fp8_sdwa v[14:15], v2 src0_sel:WORD_1
	v_cvt_pk_f32_fp8_e32 v[16:17], v3
	v_perm_b32 v2, v53, v52, s5
	v_cvt_pk_f32_fp8_sdwa v[52:53], v3 src0_sel:WORD_1
	v_perm_b32 v3, v15, v14, s5
	v_perm_b32 v56, v17, v16, s5
	ds_read_b128 v[14:17], v50 offset:6144
	v_perm_b32 v57, v53, v52, s5
	s_waitcnt lgkmcnt(0)
	v_mfma_f32_16x16x16_bf16 v[66:69], v[2:3], v[14:15], v[66:69]
	ds_read_b128 v[50:53], v50 offset:6160
	v_perm_b32 v2, v63, v62, s5
	v_perm_b32 v3, v71, v70, s5
	v_cvt_pk_f32_fp8_e32 v[62:63], v5
	v_mfma_f32_16x16x16_bf16 v[66:69], v[56:57], v[16:17], v[66:69]
	v_cvt_pk_f32_fp8_sdwa v[56:57], v5 src0_sel:WORD_1
	v_cvt_pk_f32_fp8_e32 v[70:71], v28
	v_perm_b32 v62, v63, v62, s5
	s_waitcnt lgkmcnt(0)
	v_mfma_f32_16x16x16_bf16 v[2:5], v[2:3], v[50:51], v[66:69]
	v_perm_b32 v63, v57, v56, s5
	v_cvt_pk_f32_fp8_sdwa v[56:57], v26 src0_sel:WORD_1
	s_nop 0
	v_mfma_f32_16x16x16_bf16 v[66:69], v[62:63], v[52:53], v[2:5]
	s_barrier
	s_nop 1
	v_cvt_pk_f32_fp8_e32 v[4:5], v26
	s_nop 2
	v_pk_mul_f32 v[62:63], v[66:67], s[4:5] op_sel_hi:[1,0]
	v_cvt_pk_f32_fp8_e32 v[66:67], v27
	v_perm_b32 v4, v5, v4, s5
	v_perm_b32 v5, v57, v56, s5
	v_cvt_pk_f32_fp8_sdwa v[26:27], v27 src0_sel:WORD_1
	v_perm_b32 v56, v67, v66, s5
	v_pk_mul_f32 v[2:3], v[68:69], s[4:5] op_sel_hi:[1,0]
	v_mfma_f32_16x16x16_bf16 v[66:69], v[4:5], v[34:35], 0
	v_perm_b32 v57, v27, v26, s5
	v_perm_b32 v4, v71, v70, s5
	;; [unrolled: 1-line block ×3, first 2 shown]
	v_cvt_pk_f32_fp8_e32 v[34:35], v29
	v_cvt_pk_f32_fp8_sdwa v[70:71], v29 src0_sel:WORD_1
	v_mfma_f32_16x16x16_bf16 v[26:29], v[56:57], v[36:37], v[66:69]
	s_waitcnt vmcnt(2)
	v_cvt_pk_f32_fp8_sdwa v[36:37], v18 src0_sel:WORD_1
	v_perm_b32 v34, v35, v34, s5
	v_perm_b32 v35, v71, v70, s5
	v_mfma_f32_16x16x16_bf16 v[26:29], v[4:5], v[38:39], v[26:29]
	v_cvt_pk_f32_fp8_e32 v[4:5], v18
	v_cvt_pk_f32_fp8_sdwa v[38:39], v20 src0_sel:WORD_1
	v_bfe_u32 v55, v63, 16, 1
	v_mfma_f32_16x16x16_bf16 v[26:29], v[34:35], v[40:41], v[26:29]
	v_cvt_pk_f32_fp8_e32 v[34:35], v19
	v_perm_b32 v4, v5, v4, s5
	v_perm_b32 v5, v37, v36, s5
	v_cvt_pk_f32_fp8_sdwa v[18:19], v19 src0_sel:WORD_1
	v_perm_b32 v34, v35, v34, s5
	v_cvt_pk_f32_fp8_e32 v[36:37], v20
	v_mfma_f32_16x16x16_bf16 v[26:29], v[4:5], v[30:31], v[26:29]
	v_perm_b32 v35, v19, v18, s5
	v_perm_b32 v4, v37, v36, s5
	;; [unrolled: 1-line block ×3, first 2 shown]
	v_cvt_pk_f32_fp8_e32 v[30:31], v21
	v_cvt_pk_f32_fp8_sdwa v[36:37], v21 src0_sel:WORD_1
	v_mfma_f32_16x16x16_bf16 v[18:21], v[34:35], v[32:33], v[26:29]
	v_bfe_u32 v56, v62, 16, 1
	v_add3_u32 v32, v62, v56, s8
	v_add3_u32 v33, v63, v55, s8
	v_perm_b32 v26, v31, v30, s5
	v_perm_b32 v27, v37, v36, s5
	v_mfma_f32_16x16x16_bf16 v[18:21], v[4:5], v[42:43], v[18:21]
	s_waitcnt vmcnt(1)
	v_cvt_pk_f32_fp8_e32 v[4:5], v10
	v_cvt_pk_f32_fp8_sdwa v[28:29], v10 src0_sel:WORD_1
	v_cvt_pk_f32_fp8_sdwa v[30:31], v12 src0_sel:WORD_1
	v_mfma_f32_16x16x16_bf16 v[18:21], v[26:27], v[44:45], v[18:21]
	v_cvt_pk_f32_fp8_e32 v[26:27], v11
	v_perm_b32 v4, v5, v4, s5
	v_perm_b32 v5, v29, v28, s5
	v_cvt_pk_f32_fp8_sdwa v[10:11], v11 src0_sel:WORD_1
	v_perm_b32 v26, v27, v26, s5
	v_cvt_pk_f32_fp8_e32 v[28:29], v12
	v_mfma_f32_16x16x16_bf16 v[18:21], v[4:5], v[22:23], v[18:21]
	v_perm_b32 v27, v11, v10, s5
	v_perm_b32 v4, v29, v28, s5
	;; [unrolled: 1-line block ×3, first 2 shown]
	v_cvt_pk_f32_fp8_e32 v[22:23], v13
	v_cvt_pk_f32_fp8_sdwa v[28:29], v13 src0_sel:WORD_1
	v_mfma_f32_16x16x16_bf16 v[10:13], v[26:27], v[24:25], v[18:21]
	s_waitcnt vmcnt(0)
	v_cvt_pk_f32_fp8_sdwa v[24:25], v8 src0_sel:WORD_1
	s_nop 0
	v_perm_b32 v20, v23, v22, s5
	v_perm_b32 v21, v29, v28, s5
	v_mfma_f32_16x16x16_bf16 v[10:13], v[4:5], v[46:47], v[10:13]
	v_cvt_pk_f32_fp8_e32 v[4:5], v6
	v_cvt_pk_f32_fp8_sdwa v[22:23], v6 src0_sel:WORD_1
	v_bfe_u32 v19, v3, 16, 1
	v_mfma_f32_16x16x16_bf16 v[10:13], v[20:21], v[48:49], v[10:13]
	v_cvt_pk_f32_fp8_e32 v[20:21], v7
	v_perm_b32 v4, v5, v4, s5
	v_perm_b32 v5, v23, v22, s5
	v_cvt_pk_f32_fp8_sdwa v[6:7], v7 src0_sel:WORD_1
	v_perm_b32 v20, v21, v20, s5
	v_cvt_pk_f32_fp8_e32 v[22:23], v8
	v_add3_u32 v3, v3, v19, s8
	v_perm_b32 v21, v7, v6, s5
	v_mfma_f32_16x16x16_bf16 v[4:7], v[4:5], v[14:15], v[10:13]
	v_bfe_u32 v14, v2, 16, 1
	v_add3_u32 v2, v2, v14, s8
	v_perm_b32 v19, v3, v2, s5
	v_perm_b32 v10, v23, v22, s5
	v_perm_b32 v11, v25, v24, s5
	v_cvt_pk_f32_fp8_e32 v[12:13], v9
	v_cvt_pk_f32_fp8_sdwa v[8:9], v9 src0_sel:WORD_1
	v_mfma_f32_16x16x16_bf16 v[4:7], v[20:21], v[16:17], v[4:7]
	v_perm_b32 v18, v33, v32, s5
	v_perm_b32 v12, v13, v12, s5
	;; [unrolled: 1-line block ×3, first 2 shown]
	v_mfma_f32_16x16x16_bf16 v[4:7], v[10:11], v[50:51], v[4:7]
	s_nop 0
	v_mfma_f32_16x16x16_bf16 v[2:5], v[12:13], v[52:53], v[4:7]
	s_nop 6
	v_pk_mul_f32 v[2:3], v[2:3], s[4:5] op_sel_hi:[1,0]
	v_pk_mul_f32 v[4:5], v[4:5], s[4:5] op_sel_hi:[1,0]
	v_bfe_u32 v6, v3, 16, 1
	v_bfe_u32 v7, v2, 16, 1
	v_add3_u32 v2, v2, v7, s8
	v_add3_u32 v3, v3, v6, s8
	v_perm_b32 v2, v3, v2, s5
	v_bfe_u32 v3, v5, 16, 1
	v_bfe_u32 v6, v4, 16, 1
	v_add3_u32 v4, v4, v6, s8
	v_add3_u32 v3, v5, v3, s8
	v_perm_b32 v3, v3, v4, s5
	ds_write2st64_b64 v54, v[18:19], v[2:3] offset1:1
	s_waitcnt lgkmcnt(0)
	s_barrier
	s_and_saveexec_b64 s[4:5], vcc
	s_cbranch_execz .LBB1313_18
; %bb.16:
	s_load_dwordx2 s[4:5], s[0:1], 0x68
	s_lshl_b32 s0, s6, 7
	s_mul_i32 s1, s7, s2
	v_lshlrev_b32_e32 v4, 6, v60
	s_mul_hi_u32 s7, s1, s0
	s_mul_i32 s6, s1, s0
	v_lshl_or_b32 v0, v0, 10, v4
	s_lshl_b64 s[6:7], s[6:7], 1
	v_lshlrev_b32_e32 v3, 5, v64
	v_and_b32_e32 v1, 16, v1
	v_and_b32_e32 v0, 0x1a00, v0
	s_waitcnt lgkmcnt(0)
	s_add_u32 s1, s4, s6
	v_or3_b32 v3, v0, v3, v1
	s_addc_u32 s4, s5, s7
	s_lshl_b32 s2, s24, 7
	s_lshl_b64 s[2:3], s[2:3], 1
	ds_read_b128 v[4:7], v3
	s_add_u32 s2, s1, s2
	s_addc_u32 s3, s4, s3
	v_mov_b32_e32 v59, 0
	v_add_u32_e32 v8, s48, v64
	v_or_b32_e32 v2, 4, v64
	v_lshl_add_u64 v[0:1], s[2:3], 0, v[58:59]
	v_mad_u64_u32 v[8:9], s[2:3], v8, s0, 0
	v_lshl_add_u64 v[8:9], v[8:9], 1, v[0:1]
	v_cmp_gt_u32_e32 vcc, 6, v2
	s_waitcnt lgkmcnt(0)
	global_store_dwordx4 v[8:9], v[4:7], off
	s_and_b64 exec, exec, vcc
	s_cbranch_execz .LBB1313_18
; %bb.17:
	ds_read_b128 v[4:7], v3 offset:128
	v_add_u32_e32 v2, s48, v2
	v_mad_u64_u32 v[2:3], s[0:1], v2, s0, 0
	v_lshl_add_u64 v[0:1], v[2:3], 1, v[0:1]
	s_waitcnt lgkmcnt(0)
	global_store_dwordx4 v[0:1], v[4:7], off
.LBB1313_18:
	s_endpgm
	.section	.rodata,"a",@progbits
	.p2align	6, 0x0
	.amdhsa_kernel _Z39paged_attention_ll4mi_QKV_mfma16_kernelI14__hip_bfloat16hLN4vllm18Fp8KVCacheDataTypeE1ES0_Li16ELi128ELi256ELb0ELi6EEvPKT_PKT0_S8_ifPKiSA_SA_iPKfiiiPfSD_PS3_PT2_iSC_SC_
		.amdhsa_group_segment_fixed_size 8192
		.amdhsa_private_segment_fixed_size 0
		.amdhsa_kernarg_size 400
		.amdhsa_user_sgpr_count 2
		.amdhsa_user_sgpr_dispatch_ptr 0
		.amdhsa_user_sgpr_queue_ptr 0
		.amdhsa_user_sgpr_kernarg_segment_ptr 1
		.amdhsa_user_sgpr_dispatch_id 0
		.amdhsa_user_sgpr_kernarg_preload_length 0
		.amdhsa_user_sgpr_kernarg_preload_offset 0
		.amdhsa_user_sgpr_private_segment_size 0
		.amdhsa_uses_dynamic_stack 0
		.amdhsa_enable_private_segment 0
		.amdhsa_system_sgpr_workgroup_id_x 1
		.amdhsa_system_sgpr_workgroup_id_y 1
		.amdhsa_system_sgpr_workgroup_id_z 1
		.amdhsa_system_sgpr_workgroup_info 0
		.amdhsa_system_vgpr_workitem_id 0
		.amdhsa_next_free_vgpr 86
		.amdhsa_next_free_sgpr 50
		.amdhsa_accum_offset 88
		.amdhsa_reserve_vcc 1
		.amdhsa_float_round_mode_32 0
		.amdhsa_float_round_mode_16_64 0
		.amdhsa_float_denorm_mode_32 3
		.amdhsa_float_denorm_mode_16_64 3
		.amdhsa_dx10_clamp 1
		.amdhsa_ieee_mode 1
		.amdhsa_fp16_overflow 0
		.amdhsa_tg_split 0
		.amdhsa_exception_fp_ieee_invalid_op 0
		.amdhsa_exception_fp_denorm_src 0
		.amdhsa_exception_fp_ieee_div_zero 0
		.amdhsa_exception_fp_ieee_overflow 0
		.amdhsa_exception_fp_ieee_underflow 0
		.amdhsa_exception_fp_ieee_inexact 0
		.amdhsa_exception_int_div_zero 0
	.end_amdhsa_kernel
	.section	.text._Z39paged_attention_ll4mi_QKV_mfma16_kernelI14__hip_bfloat16hLN4vllm18Fp8KVCacheDataTypeE1ES0_Li16ELi128ELi256ELb0ELi6EEvPKT_PKT0_S8_ifPKiSA_SA_iPKfiiiPfSD_PS3_PT2_iSC_SC_,"axG",@progbits,_Z39paged_attention_ll4mi_QKV_mfma16_kernelI14__hip_bfloat16hLN4vllm18Fp8KVCacheDataTypeE1ES0_Li16ELi128ELi256ELb0ELi6EEvPKT_PKT0_S8_ifPKiSA_SA_iPKfiiiPfSD_PS3_PT2_iSC_SC_,comdat
.Lfunc_end1313:
	.size	_Z39paged_attention_ll4mi_QKV_mfma16_kernelI14__hip_bfloat16hLN4vllm18Fp8KVCacheDataTypeE1ES0_Li16ELi128ELi256ELb0ELi6EEvPKT_PKT0_S8_ifPKiSA_SA_iPKfiiiPfSD_PS3_PT2_iSC_SC_, .Lfunc_end1313-_Z39paged_attention_ll4mi_QKV_mfma16_kernelI14__hip_bfloat16hLN4vllm18Fp8KVCacheDataTypeE1ES0_Li16ELi128ELi256ELb0ELi6EEvPKT_PKT0_S8_ifPKiSA_SA_iPKfiiiPfSD_PS3_PT2_iSC_SC_
                                        ; -- End function
	.section	.AMDGPU.csdata,"",@progbits
; Kernel info:
; codeLenInByte = 6320
; NumSgprs: 56
; NumVgprs: 86
; NumAgprs: 0
; TotalNumVgprs: 86
; ScratchSize: 0
; MemoryBound: 0
; FloatMode: 240
; IeeeMode: 1
; LDSByteSize: 8192 bytes/workgroup (compile time only)
; SGPRBlocks: 6
; VGPRBlocks: 10
; NumSGPRsForWavesPerEU: 56
; NumVGPRsForWavesPerEU: 86
; AccumOffset: 88
; Occupancy: 5
; WaveLimiterHint : 1
; COMPUTE_PGM_RSRC2:SCRATCH_EN: 0
; COMPUTE_PGM_RSRC2:USER_SGPR: 2
; COMPUTE_PGM_RSRC2:TRAP_HANDLER: 0
; COMPUTE_PGM_RSRC2:TGID_X_EN: 1
; COMPUTE_PGM_RSRC2:TGID_Y_EN: 1
; COMPUTE_PGM_RSRC2:TGID_Z_EN: 1
; COMPUTE_PGM_RSRC2:TIDIG_COMP_CNT: 0
; COMPUTE_PGM_RSRC3_GFX90A:ACCUM_OFFSET: 21
; COMPUTE_PGM_RSRC3_GFX90A:TG_SPLIT: 0
	.section	.text._Z39paged_attention_ll4mi_QKV_mfma16_kernelI14__hip_bfloat16hLN4vllm18Fp8KVCacheDataTypeE1ES0_Li16ELi128ELi256ELb0ELi7EEvPKT_PKT0_S8_ifPKiSA_SA_iPKfiiiPfSD_PS3_PT2_iSC_SC_,"axG",@progbits,_Z39paged_attention_ll4mi_QKV_mfma16_kernelI14__hip_bfloat16hLN4vllm18Fp8KVCacheDataTypeE1ES0_Li16ELi128ELi256ELb0ELi7EEvPKT_PKT0_S8_ifPKiSA_SA_iPKfiiiPfSD_PS3_PT2_iSC_SC_,comdat
	.protected	_Z39paged_attention_ll4mi_QKV_mfma16_kernelI14__hip_bfloat16hLN4vllm18Fp8KVCacheDataTypeE1ES0_Li16ELi128ELi256ELb0ELi7EEvPKT_PKT0_S8_ifPKiSA_SA_iPKfiiiPfSD_PS3_PT2_iSC_SC_ ; -- Begin function _Z39paged_attention_ll4mi_QKV_mfma16_kernelI14__hip_bfloat16hLN4vllm18Fp8KVCacheDataTypeE1ES0_Li16ELi128ELi256ELb0ELi7EEvPKT_PKT0_S8_ifPKiSA_SA_iPKfiiiPfSD_PS3_PT2_iSC_SC_
	.globl	_Z39paged_attention_ll4mi_QKV_mfma16_kernelI14__hip_bfloat16hLN4vllm18Fp8KVCacheDataTypeE1ES0_Li16ELi128ELi256ELb0ELi7EEvPKT_PKT0_S8_ifPKiSA_SA_iPKfiiiPfSD_PS3_PT2_iSC_SC_
	.p2align	8
	.type	_Z39paged_attention_ll4mi_QKV_mfma16_kernelI14__hip_bfloat16hLN4vllm18Fp8KVCacheDataTypeE1ES0_Li16ELi128ELi256ELb0ELi7EEvPKT_PKT0_S8_ifPKiSA_SA_iPKfiiiPfSD_PS3_PT2_iSC_SC_,@function
_Z39paged_attention_ll4mi_QKV_mfma16_kernelI14__hip_bfloat16hLN4vllm18Fp8KVCacheDataTypeE1ES0_Li16ELi128ELi256ELb0ELi7EEvPKT_PKT0_S8_ifPKiSA_SA_iPKfiiiPfSD_PS3_PT2_iSC_SC_: ; @_Z39paged_attention_ll4mi_QKV_mfma16_kernelI14__hip_bfloat16hLN4vllm18Fp8KVCacheDataTypeE1ES0_Li16ELi128ELi256ELb0ELi7EEvPKT_PKT0_S8_ifPKiSA_SA_iPKfiiiPfSD_PS3_PT2_iSC_SC_
; %bb.0:
	s_load_dwordx2 s[12:13], s[0:1], 0x30
	s_mov_b32 s24, s3
	s_mov_b64 s[6:7], 0
	s_waitcnt lgkmcnt(0)
	s_cmp_lg_u64 s[12:13], 0
	s_cselect_b64 s[14:15], -1, 0
	s_and_b64 vcc, exec, s[14:15]
	s_cbranch_vccz .LBB1314_7
; %bb.1:
	s_add_i32 s8, s2, 1
	s_mov_b32 s9, 0
	s_lshl_b64 s[10:11], s[8:9], 2
	s_add_u32 s10, s12, s10
	s_mov_b32 s3, s9
	s_addc_u32 s11, s13, s11
	s_lshl_b64 s[8:9], s[2:3], 2
	s_add_u32 s8, s12, s8
	s_addc_u32 s9, s13, s9
	s_load_dword s5, s[10:11], 0x0
	s_load_dword s16, s[8:9], 0x0
	s_waitcnt lgkmcnt(0)
	s_sub_i32 s5, s5, s16
	s_cmp_eq_u32 s5, 1
	s_cselect_b64 s[8:9], -1, 0
	s_andn2_b64 vcc, exec, s[6:7]
	s_cbranch_vccnz .LBB1314_3
.LBB1314_2:
	s_mov_b32 s3, 0
	s_mov_b64 s[8:9], -1
.LBB1314_3:
	s_andn2_b64 vcc, exec, s[8:9]
	s_cbranch_vccnz .LBB1314_18
; %bb.4:
	s_load_dwordx2 s[6:7], s[0:1], 0x28
	s_lshl_b64 s[16:17], s[2:3], 2
	s_waitcnt lgkmcnt(0)
	s_add_u32 s6, s6, s16
	s_addc_u32 s7, s7, s17
	s_load_dword s33, s[6:7], 0x0
	s_lshl_b32 s18, s24, 8
	s_waitcnt lgkmcnt(0)
	s_cmp_ge_i32 s18, s33
	s_cbranch_scc1 .LBB1314_18
; %bb.5:
	s_load_dwordx2 s[6:7], s[0:1], 0x20
	s_load_dword s8, s[0:1], 0x38
	s_add_i32 s5, s33, 15
	s_ashr_i32 s9, s5, 31
	v_and_b32_e32 v1, 0xcf, v0
	s_lshr_b32 s9, s9, 28
	v_add_u32_e32 v1, s18, v1
	s_add_i32 s5, s5, s9
	v_ashrrev_i32_e32 v2, 31, v1
	s_ashr_i32 s5, s5, 4
	v_lshrrev_b32_e32 v10, 28, v2
	s_add_i32 s5, s5, -1
	s_waitcnt lgkmcnt(0)
	s_mul_i32 s8, s2, s8
	s_mov_b32 s9, 0
	v_add_u32_e32 v2, v1, v10
	s_lshl_b64 s[8:9], s[8:9], 2
	v_ashrrev_i32_e32 v2, 4, v2
	v_mov_b32_e32 v11, s5
	v_cmp_gt_i32_e32 vcc, s33, v1
	s_add_u32 s6, s6, s8
	s_addc_u32 s7, s7, s9
	v_cndmask_b32_e32 v2, v11, v2, vcc
	v_ashrrev_i32_e32 v3, 31, v2
	v_lshl_add_u64 v[4:5], v[2:3], 2, s[6:7]
	v_or_b32_e32 v2, 16, v1
	v_add_u32_e32 v3, v2, v10
	v_ashrrev_i32_e32 v3, 4, v3
	v_cmp_gt_i32_e32 vcc, s33, v2
	s_load_dwordx4 s[8:11], s[0:1], 0x8
	s_nop 0
	v_cndmask_b32_e32 v2, v11, v3, vcc
	v_ashrrev_i32_e32 v3, 31, v2
	v_lshl_add_u64 v[6:7], v[2:3], 2, s[6:7]
	v_or_b32_e32 v2, 32, v1
	v_add_u32_e32 v3, v2, v10
	v_ashrrev_i32_e32 v3, 4, v3
	v_cmp_gt_i32_e32 vcc, s33, v2
	v_or_b32_e32 v1, 48, v1
	s_nop 0
	v_cndmask_b32_e32 v2, v11, v3, vcc
	v_ashrrev_i32_e32 v3, 31, v2
	v_lshl_add_u64 v[8:9], v[2:3], 2, s[6:7]
	v_add_u32_e32 v2, v1, v10
	v_ashrrev_i32_e32 v2, 4, v2
	v_cmp_gt_i32_e32 vcc, s33, v1
	s_nop 1
	v_cndmask_b32_e32 v2, v11, v2, vcc
	v_ashrrev_i32_e32 v3, 31, v2
	v_lshl_add_u64 v[12:13], v[2:3], 2, s[6:7]
	global_load_dword v3, v[4:5], off
	global_load_dword v2, v[6:7], off
	;; [unrolled: 1-line block ×4, first 2 shown]
	s_andn2_b64 vcc, exec, s[14:15]
	s_cbranch_vccnz .LBB1314_8
; %bb.6:
	s_add_u32 s12, s12, s16
	s_addc_u32 s13, s13, s17
	s_load_dword s14, s[12:13], 0x0
	s_branch .LBB1314_9
.LBB1314_7:
	s_mov_b64 s[8:9], 0
	s_branch .LBB1314_2
.LBB1314_8:
	s_mov_b32 s14, s2
.LBB1314_9:
	s_load_dwordx4 s[44:47], s[0:1], 0x48
	v_lshrrev_b32_e32 v61, 6, v0
	v_bfe_u32 v64, v0, 4, 2
	v_and_b32_e32 v60, 15, v0
	v_lshl_or_b32 v4, v61, 2, v64
	v_lshlrev_b32_e32 v1, 3, v60
	v_and_b32_e32 v65, 63, v0
	s_mul_i32 s48, s4, 7
	v_cmp_gt_u32_e32 vcc, 7, v4
	v_lshlrev_b32_e32 v58, 1, v1
	v_lshlrev_b32_e32 v1, 4, v0
	s_and_saveexec_b64 s[12:13], vcc
	s_cbranch_execz .LBB1314_11
; %bb.10:
	s_load_dwordx2 s[16:17], s[0:1], 0x0
	s_waitcnt lgkmcnt(0)
	s_ashr_i32 s15, s44, 31
	s_mul_hi_u32 s19, s14, s44
	s_mul_i32 s15, s14, s15
	s_add_i32 s15, s19, s15
	s_mul_i32 s14, s14, s44
	s_lshl_b64 s[14:15], s[14:15], 1
	s_add_u32 s14, s16, s14
	v_add_lshl_u32 v6, v4, s48, 7
	s_addc_u32 s15, s17, s15
	v_ashrrev_i32_e32 v7, 31, v6
	v_lshl_add_u64 v[6:7], v[6:7], 1, s[14:15]
	v_mov_b32_e32 v59, 0
	v_lshl_add_u64 v[6:7], v[6:7], 0, v[58:59]
	global_load_dwordx4 v[6:9], v[6:7], off
	v_lshlrev_b32_e32 v12, 8, v0
	v_lshlrev_b32_e32 v5, 8, v60
	v_and_b32_e32 v12, 0x600, v12
	s_movk_i32 s14, 0x800
	v_and_or_b32 v5, v5, s14, v12
	v_lshlrev_b32_e32 v4, 5, v4
	v_and_b32_e32 v12, 16, v1
	v_or3_b32 v4, v5, v4, v12
	s_waitcnt vmcnt(0)
	ds_write_b128 v4, v[6:9]
.LBB1314_11:
	s_or_b64 exec, exec, s[12:13]
	s_waitcnt lgkmcnt(0)
	s_mul_i32 s4, s4, s46
	s_add_u32 s8, s8, s4
	s_addc_u32 s9, s9, 0
	v_and_b32_e32 v62, 0xf0, v1
	v_mov_b32_e32 v63, 0
	v_and_b32_e32 v12, 48, v0
	v_lshl_add_u64 v[6:7], s[8:9], 0, v[62:63]
	v_lshlrev_b32_e32 v62, 4, v12
	s_waitcnt vmcnt(3)
	v_mad_i64_i32 v[4:5], s[8:9], v3, s45, v[6:7]
	v_lshl_add_u64 v[4:5], v[4:5], 0, v[62:63]
	s_load_dword s25, s[0:1], 0x98
	s_load_dwordx4 s[40:43], s[0:1], 0x80
	s_waitcnt lgkmcnt(0)
	s_barrier
	global_load_dwordx4 v[22:25], v[4:5], off
	global_load_dwordx4 v[14:17], v[4:5], off offset:1024
	s_waitcnt vmcnt(4)
	v_mad_i64_i32 v[2:3], s[12:13], v2, s45, v[6:7]
	v_lshl_add_u64 v[8:9], v[2:3], 0, v[62:63]
	global_load_dwordx4 v[2:5], v[8:9], off
	v_mul_lo_u16_e32 v13, 37, v60
	v_mov_b32_e32 v18, 7
	v_or_b32_e32 v12, s18, v12
	v_mov_b32_e32 v20, s5
	v_mul_lo_u16_sdwa v13, v13, v18 dst_sel:DWORD dst_unused:UNUSED_PAD src0_sel:BYTE_1 src1_sel:DWORD
	v_ashrrev_i32_e32 v18, 4, v12
	v_or_b32_e32 v21, 64, v12
	v_cmp_gt_i32_e32 vcc, s33, v12
	v_mov_b32_e32 v19, 5
	v_sub_u16_e32 v13, v60, v13
	v_or_b32_e32 v26, 0x80, v12
	v_or_b32_e32 v27, 0xc0, v12
	v_cndmask_b32_e32 v38, v20, v18, vcc
	v_ashrrev_i32_e32 v12, 4, v21
	v_cmp_gt_i32_e32 vcc, s33, v21
	v_lshlrev_b32_sdwa v13, v19, v13 dst_sel:DWORD dst_unused:UNUSED_PAD src0_sel:DWORD src1_sel:BYTE_0
	v_ashrrev_i32_e32 v18, 4, v26
	v_cndmask_b32_e32 v42, v20, v12, vcc
	v_cmp_gt_i32_e32 vcc, s33, v26
	v_ashrrev_i32_e32 v19, 4, v27
	v_lshl_add_u32 v36, v64, 9, v13
	v_cndmask_b32_e32 v44, v20, v18, vcc
	v_cmp_gt_i32_e32 vcc, s33, v27
	s_waitcnt vmcnt(4)
	v_mad_i64_i32 v[34:35], s[12:13], v10, s45, v[6:7]
	v_cndmask_b32_e32 v46, v20, v19, vcc
	ds_read_b128 v[26:29], v36
	ds_read_b128 v[18:21], v36 offset:16
	global_load_dwordx4 v[30:33], v[8:9], off offset:1024
	s_waitcnt vmcnt(4)
	v_mad_i64_i32 v[40:41], s[12:13], v11, s45, v[6:7]
	v_ashrrev_i32_e32 v39, 31, v38
	ds_read_b128 v[10:13], v36 offset:2048
	ds_read_b128 v[6:9], v36 offset:2064
	v_lshl_add_u64 v[36:37], v[34:35], 0, v[62:63]
	v_lshl_add_u64 v[34:35], v[40:41], 0, v[62:63]
	v_ashrrev_i32_e32 v43, 31, v42
	v_ashrrev_i32_e32 v45, 31, v44
	;; [unrolled: 1-line block ×3, first 2 shown]
	v_lshl_add_u64 v[50:51], v[38:39], 2, s[6:7]
	v_lshl_add_u64 v[52:53], v[42:43], 2, s[6:7]
	;; [unrolled: 1-line block ×4, first 2 shown]
	global_load_dwordx4 v[46:49], v[36:37], off
	global_load_dwordx4 v[42:45], v[36:37], off offset:1024
	global_load_dwordx4 v[38:41], v[34:35], off
	s_nop 0
	global_load_dwordx4 v[34:37], v[34:35], off offset:1024
	s_nop 0
	global_load_dword v69, v[50:51], off
	global_load_dword v68, v[52:53], off
	;; [unrolled: 1-line block ×4, first 2 shown]
	s_mov_b32 s44, 0x7060302
	s_add_u32 s4, s10, s4
	v_lshl_or_b32 v59, v61, 4, v60
	s_addc_u32 s5, s11, 0
	v_lshlrev_b32_e32 v62, 4, v59
	s_load_dword s8, s[0:1], 0x1c
	s_waitcnt vmcnt(11)
	v_cvt_pk_f32_fp8_e32 v[50:51], v22
	v_cvt_pk_f32_fp8_sdwa v[52:53], v22 src0_sel:WORD_1
	v_cvt_pk_f32_fp8_e32 v[54:55], v23
	v_cvt_pk_f32_fp8_sdwa v[22:23], v23 src0_sel:WORD_1
	s_waitcnt vmcnt(10)
	v_cvt_pk_f32_fp8_e32 v[76:77], v14
	v_cvt_pk_f32_fp8_sdwa v[78:79], v14 src0_sel:WORD_1
	v_cvt_pk_f32_fp8_e32 v[80:81], v15
	v_cvt_pk_f32_fp8_sdwa v[82:83], v15 src0_sel:WORD_1
	v_perm_b32 v14, v51, v50, s44
	v_perm_b32 v15, v53, v52, s44
	v_cvt_pk_f32_fp8_e32 v[56:57], v24
	v_cvt_pk_f32_fp8_sdwa v[70:71], v24 src0_sel:WORD_1
	v_perm_b32 v54, v55, v54, s44
	v_perm_b32 v55, v23, v22, s44
	v_cvt_pk_f32_fp8_e32 v[72:73], v25
	v_cvt_pk_f32_fp8_sdwa v[74:75], v25 src0_sel:WORD_1
	s_waitcnt lgkmcnt(0)
	v_mfma_f32_16x16x16_bf16 v[22:25], v[14:15], v[26:27], 0
	v_perm_b32 v14, v57, v56, s44
	v_perm_b32 v15, v71, v70, s44
	;; [unrolled: 1-line block ×3, first 2 shown]
	v_mfma_f32_16x16x16_bf16 v[22:25], v[54:55], v[28:29], v[22:25]
	v_perm_b32 v57, v75, v74, s44
	v_cvt_pk_f32_fp8_e32 v[50:51], v16
	v_cvt_pk_f32_fp8_sdwa v[52:53], v16 src0_sel:WORD_1
	v_cvt_pk_f32_fp8_e32 v[84:85], v17
	v_cvt_pk_f32_fp8_sdwa v[54:55], v17 src0_sel:WORD_1
	v_mfma_f32_16x16x16_bf16 v[14:17], v[14:15], v[18:19], v[22:25]
	v_perm_b32 v70, v81, v80, s44
	v_perm_b32 v71, v83, v82, s44
	;; [unrolled: 1-line block ×5, first 2 shown]
	v_mfma_f32_16x16x16_bf16 v[14:17], v[56:57], v[20:21], v[14:17]
	s_waitcnt vmcnt(9)
	v_cvt_pk_f32_fp8_e32 v[22:23], v2
	v_cvt_pk_f32_fp8_sdwa v[56:57], v2 src0_sel:WORD_1
	v_perm_b32 v51, v53, v52, s44
	v_mfma_f32_16x16x16_bf16 v[14:17], v[24:25], v[10:11], v[14:17]
	v_cvt_pk_f32_fp8_e32 v[24:25], v3
	v_cvt_pk_f32_fp8_sdwa v[2:3], v3 src0_sel:WORD_1
	v_perm_b32 v52, v85, v84, s44
	v_mfma_f32_16x16x16_bf16 v[14:17], v[70:71], v[12:13], v[14:17]
	v_perm_b32 v53, v55, v54, s44
	v_perm_b32 v22, v23, v22, s44
	;; [unrolled: 1-line block ×3, first 2 shown]
	v_mfma_f32_16x16x16_bf16 v[14:17], v[50:51], v[6:7], v[14:17]
	v_cvt_pk_f32_fp8_e32 v[54:55], v4
	v_perm_b32 v24, v25, v24, s44
	v_cvt_pk_f32_fp8_sdwa v[56:57], v4 src0_sel:WORD_1
	v_perm_b32 v25, v3, v2, s44
	v_mfma_f32_16x16x16_bf16 v[50:53], v[52:53], v[8:9], v[14:17]
	s_waitcnt vmcnt(7)
	v_cvt_pk_f32_fp8_e32 v[72:73], v49
	v_lshl_add_u64 v[70:71], s[4:5], 0, v[62:63]
	s_waitcnt vmcnt(6)
	v_cvt_pk_f32_fp8_sdwa v[76:77], v44 src0_sel:WORD_1
	v_mfma_f32_16x16x16_bf16 v[14:17], v[22:23], v[26:27], 0
	v_perm_b32 v22, v55, v54, s44
	v_perm_b32 v23, v57, v56, s44
	v_cvt_pk_f32_fp8_e32 v[54:55], v5
	v_cvt_pk_f32_fp8_sdwa v[56:57], v5 src0_sel:WORD_1
	v_mfma_f32_16x16x16_bf16 v[2:5], v[24:25], v[28:29], v[14:17]
	v_cvt_pk_f32_fp8_e32 v[24:25], v32
	v_or_b32_e32 v62, 0x400, v62
	s_nop 0
	v_perm_b32 v14, v55, v54, s44
	v_perm_b32 v15, v57, v56, s44
	v_mfma_f32_16x16x16_bf16 v[2:5], v[22:23], v[18:19], v[2:5]
	v_cvt_pk_f32_fp8_e32 v[16:17], v30
	v_cvt_pk_f32_fp8_sdwa v[22:23], v30 src0_sel:WORD_1
	v_perm_b32 v16, v17, v16, s44
	v_mfma_f32_16x16x16_bf16 v[2:5], v[14:15], v[20:21], v[2:5]
	v_cvt_pk_f32_fp8_e32 v[14:15], v31
	v_perm_b32 v17, v23, v22, s44
	v_cvt_pk_f32_fp8_sdwa v[22:23], v31 src0_sel:WORD_1
	v_cvt_pk_f32_fp8_sdwa v[30:31], v32 src0_sel:WORD_1
	v_perm_b32 v14, v15, v14, s44
	v_mfma_f32_16x16x16_bf16 v[2:5], v[16:17], v[10:11], v[2:5]
	v_perm_b32 v15, v23, v22, s44
	v_perm_b32 v16, v25, v24, s44
	;; [unrolled: 1-line block ×3, first 2 shown]
	v_cvt_pk_f32_fp8_e32 v[22:23], v33
	v_cvt_pk_f32_fp8_sdwa v[24:25], v33 src0_sel:WORD_1
	v_mfma_f32_16x16x16_bf16 v[2:5], v[14:15], v[12:13], v[2:5]
	v_perm_b32 v14, v23, v22, s44
	v_perm_b32 v15, v25, v24, s44
	v_mfma_f32_16x16x16_bf16 v[2:5], v[16:17], v[6:7], v[2:5]
	v_cvt_pk_f32_fp8_e32 v[16:17], v46
	v_cvt_pk_f32_fp8_sdwa v[22:23], v46 src0_sel:WORD_1
	v_cvt_pk_f32_fp8_sdwa v[24:25], v48 src0_sel:WORD_1
	v_mfma_f32_16x16x16_bf16 v[54:57], v[14:15], v[8:9], v[2:5]
	v_cvt_pk_f32_fp8_sdwa v[14:15], v47 src0_sel:WORD_1
	s_nop 1
	v_perm_b32 v2, v17, v16, s44
	v_perm_b32 v3, v23, v22, s44
	v_cvt_pk_f32_fp8_e32 v[4:5], v47
	v_perm_b32 v23, v15, v14, s44
	v_cvt_pk_f32_fp8_e32 v[14:15], v48
	v_cvt_pk_f32_fp8_sdwa v[48:49], v49 src0_sel:WORD_1
	v_perm_b32 v22, v5, v4, s44
	v_mfma_f32_16x16x16_bf16 v[2:5], v[2:3], v[26:27], 0
	v_perm_b32 v14, v15, v14, s44
	v_perm_b32 v15, v25, v24, s44
	s_waitcnt vmcnt(3)
	v_mad_i64_i32 v[16:17], s[6:7], v69, s45, v[70:71]
	v_mfma_f32_16x16x16_bf16 v[2:5], v[22:23], v[28:29], v[2:5]
	s_waitcnt vmcnt(2)
	v_mad_i64_i32 v[46:47], s[6:7], v68, s45, v[70:71]
	global_load_dwordx4 v[30:33], v[16:17], off
	global_load_dwordx4 v[22:25], v[46:47], off
	v_perm_b32 v16, v73, v72, s44
	v_perm_b32 v17, v49, v48, s44
	v_mfma_f32_16x16x16_bf16 v[2:5], v[14:15], v[18:19], v[2:5]
	v_cvt_pk_f32_fp8_e32 v[14:15], v42
	v_cvt_pk_f32_fp8_sdwa v[46:47], v42 src0_sel:WORD_1
	s_waitcnt vmcnt(3)
	v_mad_i64_i32 v[72:73], s[6:7], v67, s45, v[70:71]
	v_mfma_f32_16x16x16_bf16 v[2:5], v[16:17], v[20:21], v[2:5]
	v_perm_b32 v14, v15, v14, s44
	v_perm_b32 v15, v47, v46, s44
	v_cvt_pk_f32_fp8_e32 v[16:17], v43
	v_cvt_pk_f32_fp8_sdwa v[42:43], v43 src0_sel:WORD_1
	v_mfma_f32_16x16x16_bf16 v[46:49], v[14:15], v[10:11], v[2:5]
	v_perm_b32 v74, v17, v16, s44
	v_perm_b32 v75, v43, v42, s44
	v_cvt_pk_f32_fp8_e32 v[42:43], v44
	s_waitcnt vmcnt(2)
	v_mad_i64_i32 v[70:71], s[6:7], v66, s45, v[70:71]
	global_load_dwordx4 v[14:17], v[72:73], off
	global_load_dwordx4 v[2:5], v[70:71], off
	v_perm_b32 v70, v43, v42, s44
	v_perm_b32 v71, v77, v76, s44
	v_cvt_pk_f32_fp8_e32 v[72:73], v45
	v_cvt_pk_f32_fp8_sdwa v[76:77], v45 src0_sel:WORD_1
	v_mfma_f32_16x16x16_bf16 v[44:47], v[74:75], v[12:13], v[46:49]
	v_lshl_add_u64 v[42:43], s[4:5], 0, v[62:63]
	v_cvt_pk_f32_fp8_e32 v[62:63], v38
	s_load_dword s4, s[40:41], 0x0
	v_perm_b32 v48, v73, v72, s44
	v_perm_b32 v49, v77, v76, s44
	v_mfma_f32_16x16x16_bf16 v[44:47], v[70:71], v[6:7], v[44:47]
	v_cvt_pk_f32_fp8_sdwa v[70:71], v38 src0_sel:WORD_1
	v_perm_b32 v62, v63, v62, s44
	v_cvt_pk_f32_fp8_e32 v[74:75], v40
	v_mfma_f32_16x16x16_bf16 v[46:49], v[48:49], v[8:9], v[44:47]
	v_perm_b32 v63, v71, v70, s44
	v_cvt_pk_f32_fp8_sdwa v[76:77], v40 src0_sel:WORD_1
	s_mov_b32 s40, 0xff7fffff
	v_cvt_pk_f32_fp8_e32 v[44:45], v39
	v_cvt_pk_f32_fp8_sdwa v[38:39], v39 src0_sel:WORD_1
	v_mfma_f32_16x16x16_bf16 v[70:73], v[62:63], v[26:27], 0
	v_cvt_pk_f32_fp8_e32 v[62:63], v41
	v_perm_b32 v44, v45, v44, s44
	v_perm_b32 v45, v39, v38, s44
	;; [unrolled: 1-line block ×4, first 2 shown]
	v_cvt_pk_f32_fp8_sdwa v[40:41], v41 src0_sel:WORD_1
	v_mov_b32_e32 v26, s8
	s_waitcnt lgkmcnt(0)
	v_mul_f32_e32 v74, s4, v26
	v_mfma_f32_16x16x16_bf16 v[26:29], v[44:45], v[28:29], v[70:73]
	v_pk_mul_f32 v[44:45], v[74:75], v[52:53] op_sel_hi:[0,1]
	v_perm_b32 v52, v63, v62, s44
	v_perm_b32 v53, v41, v40, s44
	v_mfma_f32_16x16x16_bf16 v[26:29], v[38:39], v[18:19], v[26:29]
	v_cvt_pk_f32_fp8_e32 v[18:19], v34
	v_cvt_pk_f32_fp8_sdwa v[38:39], v34 src0_sel:WORD_1
	v_pk_mul_f32 v[50:51], v[74:75], v[50:51] op_sel_hi:[0,1]
	v_mfma_f32_16x16x16_bf16 v[26:29], v[52:53], v[20:21], v[26:29]
	v_perm_b32 v20, v19, v18, s44
	v_perm_b32 v21, v39, v38, s44
	v_cvt_pk_f32_fp8_e32 v[38:39], v35
	v_cvt_pk_f32_fp8_sdwa v[34:35], v35 src0_sel:WORD_1
	v_mfma_f32_16x16x16_bf16 v[26:29], v[20:21], v[10:11], v[26:29]
	v_perm_b32 v38, v39, v38, s44
	v_perm_b32 v39, v35, v34, s44
	v_cvt_pk_f32_fp8_e32 v[10:11], v36
	v_cvt_pk_f32_fp8_sdwa v[20:21], v36 src0_sel:WORD_1
	v_pk_mul_f32 v[52:53], v[74:75], v[54:55] op_sel_hi:[0,1]
	v_pk_mul_f32 v[34:35], v[74:75], v[56:57] op_sel_hi:[0,1]
	v_perm_b32 v40, v11, v10, s44
	v_perm_b32 v41, v21, v20, s44
	v_cvt_pk_f32_fp8_e32 v[20:21], v37
	v_cvt_pk_f32_fp8_sdwa v[36:37], v37 src0_sel:WORD_1
	v_mfma_f32_16x16x16_bf16 v[10:13], v[38:39], v[12:13], v[26:29]
	v_pk_mul_f32 v[46:47], v[74:75], v[46:47] op_sel_hi:[0,1]
	v_perm_b32 v20, v21, v20, s44
	v_perm_b32 v21, v37, v36, s44
	v_mfma_f32_16x16x16_bf16 v[10:13], v[40:41], v[6:7], v[10:13]
	v_pk_mul_f32 v[40:41], v[74:75], v[48:49] op_sel_hi:[0,1]
	v_mad_i64_i32 v[18:19], s[4:5], v69, s45, v[42:43]
	v_mfma_f32_16x16x16_bf16 v[6:9], v[20:21], v[8:9], v[10:13]
	v_mad_i64_i32 v[62:63], s[4:5], v68, s45, v[42:43]
	global_load_dwordx4 v[26:29], v[18:19], off
	s_nop 0
	global_load_dwordx4 v[18:21], v[62:63], off
	s_nop 2
	v_pk_mul_f32 v[48:49], v[74:75], v[6:7] op_sel_hi:[0,1]
	v_and_b32_e32 v6, 0xc0, v0
	v_add_u32_e32 v6, s18, v6
	v_lshl_or_b32 v6, v64, 2, v6
	v_pk_mul_f32 v[38:39], v[74:75], v[8:9] op_sel_hi:[0,1]
	v_or_b32_e32 v9, 1, v6
	v_mov_b32_e32 v7, 0xff7fffff
	v_cmp_gt_i32_e64 s[26:27], s33, v6
	v_cmp_gt_i32_e64 s[28:29], s33, v9
	v_or_b32_e32 v10, 3, v6
	v_cndmask_b32_e64 v8, v7, v50, s[26:27]
	v_cndmask_b32_e64 v9, v7, v51, s[28:29]
	v_max3_f32 v8, v8, s40, v9
	v_or_b32_e32 v9, 2, v6
	v_cmp_gt_i32_e64 s[30:31], s33, v9
	v_cmp_gt_i32_e64 s[34:35], s33, v10
	s_nop 0
	v_cndmask_b32_e64 v9, v7, v44, s[30:31]
	v_cndmask_b32_e64 v10, v7, v45, s[34:35]
	v_max3_f32 v8, v8, v9, v10
	v_or_b32_e32 v9, 16, v6
	v_or_b32_e32 v10, 17, v6
	v_cmp_gt_i32_e64 s[18:19], s33, v9
	v_cmp_gt_i32_e64 s[20:21], s33, v10
	s_nop 0
	v_cndmask_b32_e64 v9, v7, v52, s[18:19]
	v_cndmask_b32_e64 v10, v7, v53, s[20:21]
	v_max3_f32 v8, v8, v9, v10
	v_or_b32_e32 v9, 18, v6
	;; [unrolled: 8-line block ×5, first 2 shown]
	v_or_b32_e32 v10, 49, v6
	v_cmp_gt_i32_e32 vcc, s33, v9
	v_cmp_gt_i32_e64 s[4:5], s33, v10
	s_nop 0
	v_cndmask_b32_e32 v9, v7, v48, vcc
	v_cndmask_b32_e64 v10, v7, v49, s[4:5]
	v_max3_f32 v8, v8, v9, v10
	v_or_b32_e32 v9, 50, v6
	v_or_b32_e32 v6, 51, v6
	v_cmp_gt_i32_e64 s[6:7], s33, v9
	v_cmp_gt_i32_e64 s[8:9], s33, v6
	s_nop 0
	v_cndmask_b32_e64 v9, v7, v38, s[6:7]
	v_cndmask_b32_e64 v6, v7, v39, s[8:9]
	v_max3_f32 v8, v8, v9, v6
	v_mbcnt_lo_u32_b32 v6, -1, 0
	v_mbcnt_hi_u32_b32 v9, -1, v6
	v_and_b32_e32 v6, 64, v9
	v_add_u32_e32 v10, 64, v6
	v_xor_b32_e32 v6, 32, v9
	v_cmp_lt_i32_e64 s[38:39], v6, v10
	s_nop 1
	v_cndmask_b32_e64 v6, v9, v6, s[38:39]
	v_lshlrev_b32_e32 v55, 2, v6
	ds_bpermute_b32 v11, v55, v8
	v_mad_i64_i32 v[6:7], s[38:39], v67, s45, v[42:43]
	s_waitcnt lgkmcnt(0)
	v_max_f32_e32 v11, v11, v11
	v_max_f32_e32 v36, v8, v11
	v_xor_b32_e32 v8, 16, v9
	v_cmp_lt_i32_e64 s[38:39], v8, v10
	s_nop 1
	v_cndmask_b32_e64 v8, v9, v8, s[38:39]
	v_lshlrev_b32_e32 v56, 2, v8
	v_mad_i64_i32 v[8:9], s[38:39], v66, s45, v[42:43]
	global_load_dwordx4 v[10:13], v[6:7], off
	s_nop 0
	global_load_dwordx4 v[6:9], v[8:9], off
	ds_bpermute_b32 v37, v56, v36
	s_waitcnt lgkmcnt(0)
	s_barrier
	v_max_f32_e32 v37, v37, v37
	v_max_f32_e32 v54, v36, v37
	v_sub_f32_e32 v42, v44, v54
	v_mul_f32_e32 v42, 0x3fb8aa3b, v42
	v_exp_f32_e32 v42, v42
	v_sub_f32_e32 v43, v45, v54
	v_mul_f32_e32 v43, 0x3fb8aa3b, v43
	v_exp_f32_e32 v43, v43
	v_cndmask_b32_e64 v44, 0, v42, s[30:31]
	v_sub_f32_e32 v42, v52, v54
	v_sub_f32_e32 v34, v34, v54
	v_mul_f32_e32 v42, 0x3fb8aa3b, v42
	v_mul_f32_e32 v34, 0x3fb8aa3b, v34
	v_sub_f32_e32 v36, v50, v54
	v_exp_f32_e32 v42, v42
	v_exp_f32_e32 v50, v34
	v_cndmask_b32_e64 v45, 0, v43, s[34:35]
	v_sub_f32_e32 v43, v53, v54
	v_sub_f32_e32 v34, v35, v54
	v_sub_f32_e32 v46, v46, v54
	v_sub_f32_e32 v40, v40, v54
	v_mul_f32_e32 v43, 0x3fb8aa3b, v43
	v_mul_f32_e32 v34, 0x3fb8aa3b, v34
	;; [unrolled: 1-line block ×4, first 2 shown]
	v_sub_f32_e32 v37, v51, v54
	v_exp_f32_e32 v43, v43
	v_exp_f32_e32 v51, v34
	v_cndmask_b32_e64 v34, 0, v42, s[18:19]
	v_cndmask_b32_e64 v42, 0, v50, s[22:23]
	v_exp_f32_e32 v46, v46
	v_exp_f32_e32 v50, v40
	v_mul_f32_e32 v36, 0x3fb8aa3b, v36
	v_sub_f32_e32 v47, v47, v54
	v_sub_f32_e32 v40, v41, v54
	;; [unrolled: 1-line block ×4, first 2 shown]
	v_exp_f32_e32 v36, v36
	v_mul_f32_e32 v37, 0x3fb8aa3b, v37
	v_mul_f32_e32 v47, 0x3fb8aa3b, v47
	;; [unrolled: 1-line block ×5, first 2 shown]
	v_exp_f32_e32 v37, v37
	v_cndmask_b32_e64 v35, 0, v43, s[20:21]
	v_cndmask_b32_e64 v43, 0, v51, s[36:37]
	v_exp_f32_e32 v47, v47
	v_exp_f32_e32 v51, v40
	v_cndmask_b32_e64 v40, 0, v46, s[10:11]
	v_cndmask_b32_e64 v46, 0, v50, s[14:15]
	v_exp_f32_e32 v48, v48
	v_exp_f32_e32 v50, v38
	v_sub_f32_e32 v38, v39, v54
	v_cndmask_b32_e64 v36, 0, v36, s[26:27]
	v_mul_f32_e32 v38, 0x3fb8aa3b, v38
	v_cndmask_b32_e64 v37, 0, v37, s[28:29]
	v_cndmask_b32_e64 v41, 0, v47, s[12:13]
	;; [unrolled: 1-line block ×3, first 2 shown]
	v_exp_f32_e32 v51, v38
	v_cndmask_b32_e32 v38, 0, v48, vcc
	v_cndmask_b32_e64 v48, 0, v50, s[6:7]
	v_add_f32_e32 v50, 0, v36
	v_add_f32_e32 v50, v50, v37
	;; [unrolled: 1-line block ×6, first 2 shown]
	v_sub_f32_e32 v49, v49, v54
	v_add_f32_e32 v50, v50, v42
	v_mul_f32_e32 v49, 0x3fb8aa3b, v49
	v_add_f32_e32 v50, v50, v43
	v_exp_f32_e32 v49, v49
	v_add_f32_e32 v50, v50, v40
	v_add_f32_e32 v50, v50, v41
	;; [unrolled: 1-line block ×4, first 2 shown]
	v_cndmask_b32_e64 v39, 0, v49, s[4:5]
	v_add_f32_e32 v50, v50, v38
	v_add_f32_e32 v50, v50, v39
	v_cndmask_b32_e64 v49, 0, v51, s[8:9]
	v_add_f32_e32 v50, v50, v48
	v_add_f32_e32 v50, v50, v49
	ds_bpermute_b32 v51, v55, v50
	v_cmp_gt_u32_e32 vcc, 16, v65
	s_waitcnt lgkmcnt(0)
	v_add_f32_e32 v50, v50, v51
	ds_bpermute_b32 v51, v56, v50
	s_and_saveexec_b64 s[4:5], vcc
	s_cbranch_execz .LBB1314_13
; %bb.12:
	s_waitcnt lgkmcnt(0)
	v_add_f32_e32 v50, v50, v51
	v_lshlrev_b32_e32 v51, 2, v59
	ds_write2st64_b32 v51, v54, v50 offset1:1
.LBB1314_13:
	s_or_b64 exec, exec, s[4:5]
	s_waitcnt lgkmcnt(0)
	v_lshlrev_b32_e32 v51, 2, v60
	s_load_dword s6, s[0:1], 0x94
	s_waitcnt lgkmcnt(0)
	s_barrier
	ds_read2_b32 v[52:53], v51 offset1:16
	ds_read2_b32 v[54:55], v51 offset0:32 offset1:48
	ds_read2_b32 v[56:57], v51 offset0:64 offset1:80
	s_movk_i32 s8, 0x7fff
	s_mul_i32 s7, s25, 7
	s_waitcnt lgkmcnt(2)
	v_max3_f32 v50, v52, s40, v53
	s_waitcnt lgkmcnt(1)
	v_max3_f32 v50, v50, v54, v55
	v_sub_f32_e32 v52, v52, v50
	v_mul_f32_e32 v52, 0x3fb8aa3b, v52
	v_exp_f32_e32 v59, v52
	v_sub_f32_e32 v52, v53, v50
	v_mul_f32_e32 v52, 0x3fb8aa3b, v52
	v_exp_f32_e32 v62, v52
	v_sub_f32_e32 v52, v54, v50
	v_mul_f32_e32 v52, 0x3fb8aa3b, v52
	v_exp_f32_e32 v54, v52
	ds_read2_b32 v[52:53], v51 offset0:96 offset1:112
	v_sub_f32_e32 v51, v55, v50
	v_mul_f32_e32 v51, 0x3fb8aa3b, v51
	v_exp_f32_e32 v55, v51
	s_waitcnt lgkmcnt(1)
	v_fma_f32 v51, v59, v56, 0
	v_fmac_f32_e32 v51, v62, v57
	s_waitcnt lgkmcnt(0)
	v_fmac_f32_e32 v51, v54, v52
	v_fmac_f32_e32 v51, v55, v53
	v_add_f32_e32 v52, 0x358637bd, v51
	v_div_scale_f32 v53, s[4:5], v52, v52, 1.0
	v_rcp_f32_e32 v56, v53
	s_barrier
	v_fma_f32 v57, -v53, v56, 1.0
	v_fmac_f32_e32 v56, v57, v56
	v_div_scale_f32 v57, vcc, 1.0, v52, 1.0
	v_mul_f32_e32 v63, v57, v56
	v_fma_f32 v65, -v53, v63, v57
	v_fmac_f32_e32 v63, v65, v56
	v_fma_f32 v53, -v53, v63, v57
	v_div_fmas_f32 v53, v53, v56, v63
	v_cmp_eq_u32_e32 vcc, 1, v61
	v_div_fixup_f32 v52, v53, v52, 1.0
	s_nop 0
	v_cndmask_b32_e32 v53, v59, v62, vcc
	v_cmp_eq_u32_e32 vcc, 2, v61
	s_nop 1
	v_cndmask_b32_e32 v53, v53, v54, vcc
	v_cmp_eq_u32_e32 vcc, 3, v61
	s_nop 1
	v_cndmask_b32_e32 v53, v53, v55, vcc
	v_mul_f32_e32 v52, v53, v52
	v_pk_mul_f32 v[36:37], v[52:53], v[36:37] op_sel_hi:[0,1]
	v_pk_mul_f32 v[44:45], v[52:53], v[44:45] op_sel_hi:[0,1]
	v_bfe_u32 v53, v37, 16, 1
	v_bfe_u32 v54, v36, 16, 1
	v_add3_u32 v36, v36, v54, s8
	v_add3_u32 v37, v37, v53, s8
	v_perm_b32 v56, v37, v36, s44
	v_bfe_u32 v36, v45, 16, 1
	v_bfe_u32 v37, v44, 16, 1
	v_add3_u32 v37, v44, v37, s8
	v_add3_u32 v36, v45, v36, s8
	v_perm_b32 v57, v36, v37, s44
	v_lshlrev_b32_e32 v37, 3, v64
	v_lshlrev_b32_e32 v36, 5, v60
	;; [unrolled: 1-line block ×3, first 2 shown]
	v_pk_mul_f32 v[34:35], v[52:53], v[34:35] op_sel_hi:[0,1]
	v_or3_b32 v54, v44, v36, v37
	v_bfe_u32 v37, v35, 16, 1
	v_bfe_u32 v44, v34, 16, 1
	v_pk_mul_f32 v[42:43], v[52:53], v[42:43] op_sel_hi:[0,1]
	v_add3_u32 v34, v34, v44, s8
	v_add3_u32 v35, v35, v37, s8
	v_perm_b32 v34, v35, v34, s44
	v_bfe_u32 v35, v43, 16, 1
	v_bfe_u32 v37, v42, 16, 1
	v_add3_u32 v37, v42, v37, s8
	v_add3_u32 v35, v43, v35, s8
	v_pk_mul_f32 v[40:41], v[52:53], v[40:41] op_sel_hi:[0,1]
	v_perm_b32 v35, v35, v37, s44
	v_bfe_u32 v37, v41, 16, 1
	v_bfe_u32 v42, v40, 16, 1
	ds_write2st64_b64 v54, v[56:57], v[34:35] offset1:1
	v_pk_mul_f32 v[34:35], v[52:53], v[46:47] op_sel_hi:[0,1]
	v_add3_u32 v40, v40, v42, s8
	v_add3_u32 v37, v41, v37, s8
	v_perm_b32 v40, v37, v40, s44
	v_bfe_u32 v37, v35, 16, 1
	v_bfe_u32 v41, v34, 16, 1
	v_pk_mul_f32 v[38:39], v[52:53], v[38:39] op_sel_hi:[0,1]
	v_add3_u32 v34, v34, v41, s8
	v_add3_u32 v35, v35, v37, s8
	v_bfe_u32 v37, v39, 16, 1
	v_bfe_u32 v42, v38, 16, 1
	v_perm_b32 v41, v35, v34, s44
	v_pk_mul_f32 v[34:35], v[52:53], v[48:49] op_sel_hi:[0,1]
	v_add3_u32 v38, v38, v42, s8
	v_add3_u32 v37, v39, v37, s8
	v_perm_b32 v38, v37, v38, s44
	v_bfe_u32 v37, v35, 16, 1
	v_bfe_u32 v39, v34, 16, 1
	v_add3_u32 v34, v34, v39, s8
	v_add3_u32 v35, v35, v37, s8
	v_perm_b32 v39, v35, v34, s44
	v_cmp_gt_u32_e32 vcc, 7, v0
	ds_write2st64_b64 v54, v[40:41], v[38:39] offset0:2 offset1:3
	s_and_saveexec_b64 s[4:5], vcc
	s_cbranch_execz .LBB1314_15
; %bb.14:
	s_mov_b32 s49, 0
	v_mov_b32_e32 v61, 0
	v_lshl_add_u64 v[34:35], s[48:49], 0, v[60:61]
	v_mov_b32_e32 v37, s7
	v_mad_u64_u32 v[34:35], s[10:11], s2, v37, v[34:35]
	s_mul_i32 s3, s3, s7
	v_mov_b32_e32 v38, s24
	v_mov_b32_e32 v39, v61
	s_load_dwordx4 s[12:15], s[0:1], 0x58
	v_add_u32_e32 v37, s3, v35
	v_mad_u64_u32 v[34:35], s[10:11], v34, s6, v[38:39]
	v_mov_b32_e32 v38, v35
	v_mad_u64_u32 v[38:39], s[10:11], v37, s6, v[38:39]
	v_mov_b32_e32 v35, v38
	v_lshlrev_b64 v[34:35], 2, v[34:35]
	s_waitcnt lgkmcnt(0)
	v_lshl_add_u64 v[38:39], s[14:15], 0, v[34:35]
	v_lshl_add_u64 v[34:35], s[12:13], 0, v[34:35]
	global_store_dword v[38:39], v50, off
	global_store_dword v[34:35], v51, off
.LBB1314_15:
	s_or_b64 exec, exec, s[4:5]
	v_lshl_or_b32 v50, v64, 9, v36
	s_waitcnt vmcnt(7)
	v_cvt_pk_f32_fp8_e32 v[34:35], v30
	v_cvt_pk_f32_fp8_sdwa v[36:37], v30 src0_sel:WORD_1
	s_mov_b32 s5, 0x7060302
	s_waitcnt lgkmcnt(0)
	s_barrier
	v_cvt_pk_f32_fp8_e32 v[38:39], v31
	v_perm_b32 v30, v35, v34, s5
	v_cvt_pk_f32_fp8_sdwa v[40:41], v31 src0_sel:WORD_1
	v_perm_b32 v31, v37, v36, s5
	ds_read_b128 v[34:37], v50
	v_perm_b32 v46, v39, v38, s5
	v_perm_b32 v47, v41, v40, s5
	ds_read_b128 v[38:41], v50 offset:16
	v_cvt_pk_f32_fp8_e32 v[48:49], v32
	v_cvt_pk_f32_fp8_sdwa v[52:53], v32 src0_sel:WORD_1
	s_waitcnt lgkmcnt(1)
	v_mfma_f32_16x16x16_bf16 v[42:45], v[30:31], v[34:35], 0
	s_waitcnt vmcnt(6)
	v_cvt_pk_f32_fp8_e32 v[56:57], v24
	v_perm_b32 v30, v49, v48, s5
	v_perm_b32 v31, v53, v52, s5
	v_cvt_pk_f32_fp8_e32 v[48:49], v33
	v_mfma_f32_16x16x16_bf16 v[42:45], v[46:47], v[36:37], v[42:45]
	v_cvt_pk_f32_fp8_sdwa v[46:47], v33 src0_sel:WORD_1
	v_cvt_pk_f32_fp8_sdwa v[62:63], v24 src0_sel:WORD_1
	v_perm_b32 v48, v49, v48, s5
	s_waitcnt lgkmcnt(0)
	v_mfma_f32_16x16x16_bf16 v[30:33], v[30:31], v[38:39], v[42:45]
	v_perm_b32 v49, v47, v46, s5
	s_waitcnt vmcnt(4)
	v_cvt_pk_f32_fp8_sdwa v[70:71], v4 src0_sel:WORD_1
	s_load_dword s4, s[42:43], 0x0
	v_cvt_pk_f32_fp8_e32 v[42:43], v22
	v_mfma_f32_16x16x16_bf16 v[46:49], v[48:49], v[40:41], v[30:33]
	s_waitcnt vmcnt(3)
	v_cvt_pk_f32_fp8_sdwa v[72:73], v28 src0_sel:WORD_1
	s_mov_b32 s3, 0
	v_cvt_pk_f32_fp8_sdwa v[30:31], v22 src0_sel:WORD_1
	v_cvt_pk_f32_fp8_e32 v[32:33], v23
	v_perm_b32 v22, v43, v42, s5
	v_cvt_pk_f32_fp8_sdwa v[42:43], v23 src0_sel:WORD_1
	v_perm_b32 v23, v31, v30, s5
	v_perm_b32 v52, v33, v32, s5
	ds_read_b128 v[30:33], v50 offset:2048
	v_perm_b32 v53, v43, v42, s5
	ds_read_b128 v[42:45], v50 offset:2064
	s_waitcnt lgkmcnt(0)
	v_mfma_f32_16x16x16_bf16 v[46:49], v[22:23], v[30:31], v[46:49]
	v_perm_b32 v22, v57, v56, s5
	v_perm_b32 v23, v63, v62, s5
	v_cvt_pk_f32_fp8_e32 v[56:57], v25
	v_mfma_f32_16x16x16_bf16 v[46:49], v[52:53], v[32:33], v[46:49]
	v_cvt_pk_f32_fp8_sdwa v[52:53], v25 src0_sel:WORD_1
	v_cvt_pk_f32_fp8_sdwa v[62:63], v16 src0_sel:WORD_1
	v_perm_b32 v56, v57, v56, s5
	v_mfma_f32_16x16x16_bf16 v[22:25], v[22:23], v[42:43], v[46:49]
	v_perm_b32 v57, v53, v52, s5
	v_cmp_gt_u32_e32 vcc, 64, v0
	s_nop 0
	v_cvt_pk_f32_fp8_e32 v[46:47], v14
	v_mfma_f32_16x16x16_bf16 v[66:69], v[56:57], v[44:45], v[22:25]
	v_cvt_pk_f32_fp8_e32 v[56:57], v16
	s_nop 1
	v_cvt_pk_f32_fp8_sdwa v[22:23], v14 src0_sel:WORD_1
	v_cvt_pk_f32_fp8_e32 v[24:25], v15
	v_perm_b32 v14, v47, v46, s5
	v_cvt_pk_f32_fp8_sdwa v[46:47], v15 src0_sel:WORD_1
	v_perm_b32 v15, v23, v22, s5
	v_perm_b32 v52, v25, v24, s5
	ds_read_b128 v[22:25], v50 offset:4096
	v_perm_b32 v53, v47, v46, s5
	ds_read_b128 v[46:49], v50 offset:4112
	s_waitcnt lgkmcnt(1)
	v_mfma_f32_16x16x16_bf16 v[66:69], v[14:15], v[22:23], v[66:69]
	v_perm_b32 v14, v57, v56, s5
	v_perm_b32 v15, v63, v62, s5
	v_cvt_pk_f32_fp8_e32 v[56:57], v17
	v_mfma_f32_16x16x16_bf16 v[66:69], v[52:53], v[24:25], v[66:69]
	v_cvt_pk_f32_fp8_sdwa v[52:53], v17 src0_sel:WORD_1
	v_cvt_pk_f32_fp8_e32 v[62:63], v4
	v_perm_b32 v56, v57, v56, s5
	s_waitcnt lgkmcnt(0)
	v_mfma_f32_16x16x16_bf16 v[14:17], v[14:15], v[46:47], v[66:69]
	v_perm_b32 v57, v53, v52, s5
	v_cvt_pk_f32_fp8_e32 v[52:53], v2
	s_nop 0
	v_mfma_f32_16x16x16_bf16 v[66:69], v[56:57], v[48:49], v[14:17]
	s_nop 2
	v_cvt_pk_f32_fp8_sdwa v[14:15], v2 src0_sel:WORD_1
	v_cvt_pk_f32_fp8_e32 v[16:17], v3
	v_perm_b32 v2, v53, v52, s5
	v_cvt_pk_f32_fp8_sdwa v[52:53], v3 src0_sel:WORD_1
	v_perm_b32 v3, v15, v14, s5
	v_perm_b32 v56, v17, v16, s5
	ds_read_b128 v[14:17], v50 offset:6144
	v_perm_b32 v57, v53, v52, s5
	s_waitcnt lgkmcnt(0)
	v_mfma_f32_16x16x16_bf16 v[66:69], v[2:3], v[14:15], v[66:69]
	ds_read_b128 v[50:53], v50 offset:6160
	v_perm_b32 v2, v63, v62, s5
	v_perm_b32 v3, v71, v70, s5
	v_cvt_pk_f32_fp8_e32 v[62:63], v5
	v_mfma_f32_16x16x16_bf16 v[66:69], v[56:57], v[16:17], v[66:69]
	v_cvt_pk_f32_fp8_sdwa v[56:57], v5 src0_sel:WORD_1
	v_cvt_pk_f32_fp8_e32 v[70:71], v28
	v_perm_b32 v62, v63, v62, s5
	s_waitcnt lgkmcnt(0)
	v_mfma_f32_16x16x16_bf16 v[2:5], v[2:3], v[50:51], v[66:69]
	v_perm_b32 v63, v57, v56, s5
	v_cvt_pk_f32_fp8_sdwa v[56:57], v26 src0_sel:WORD_1
	s_nop 0
	v_mfma_f32_16x16x16_bf16 v[66:69], v[62:63], v[52:53], v[2:5]
	s_barrier
	s_nop 1
	v_cvt_pk_f32_fp8_e32 v[4:5], v26
	s_nop 2
	v_pk_mul_f32 v[62:63], v[66:67], s[4:5] op_sel_hi:[1,0]
	v_cvt_pk_f32_fp8_e32 v[66:67], v27
	v_perm_b32 v4, v5, v4, s5
	v_perm_b32 v5, v57, v56, s5
	v_cvt_pk_f32_fp8_sdwa v[26:27], v27 src0_sel:WORD_1
	v_perm_b32 v56, v67, v66, s5
	v_pk_mul_f32 v[2:3], v[68:69], s[4:5] op_sel_hi:[1,0]
	v_mfma_f32_16x16x16_bf16 v[66:69], v[4:5], v[34:35], 0
	v_perm_b32 v57, v27, v26, s5
	v_perm_b32 v4, v71, v70, s5
	;; [unrolled: 1-line block ×3, first 2 shown]
	v_cvt_pk_f32_fp8_e32 v[34:35], v29
	v_cvt_pk_f32_fp8_sdwa v[70:71], v29 src0_sel:WORD_1
	v_mfma_f32_16x16x16_bf16 v[26:29], v[56:57], v[36:37], v[66:69]
	s_waitcnt vmcnt(2)
	v_cvt_pk_f32_fp8_sdwa v[36:37], v18 src0_sel:WORD_1
	v_perm_b32 v34, v35, v34, s5
	v_perm_b32 v35, v71, v70, s5
	v_mfma_f32_16x16x16_bf16 v[26:29], v[4:5], v[38:39], v[26:29]
	v_cvt_pk_f32_fp8_e32 v[4:5], v18
	v_cvt_pk_f32_fp8_sdwa v[38:39], v20 src0_sel:WORD_1
	v_bfe_u32 v55, v63, 16, 1
	v_mfma_f32_16x16x16_bf16 v[26:29], v[34:35], v[40:41], v[26:29]
	v_cvt_pk_f32_fp8_e32 v[34:35], v19
	v_perm_b32 v4, v5, v4, s5
	v_perm_b32 v5, v37, v36, s5
	v_cvt_pk_f32_fp8_sdwa v[18:19], v19 src0_sel:WORD_1
	v_perm_b32 v34, v35, v34, s5
	v_cvt_pk_f32_fp8_e32 v[36:37], v20
	v_mfma_f32_16x16x16_bf16 v[26:29], v[4:5], v[30:31], v[26:29]
	v_perm_b32 v35, v19, v18, s5
	v_perm_b32 v4, v37, v36, s5
	;; [unrolled: 1-line block ×3, first 2 shown]
	v_cvt_pk_f32_fp8_e32 v[30:31], v21
	v_cvt_pk_f32_fp8_sdwa v[36:37], v21 src0_sel:WORD_1
	v_mfma_f32_16x16x16_bf16 v[18:21], v[34:35], v[32:33], v[26:29]
	v_bfe_u32 v56, v62, 16, 1
	v_add3_u32 v32, v62, v56, s8
	v_add3_u32 v33, v63, v55, s8
	v_perm_b32 v26, v31, v30, s5
	v_perm_b32 v27, v37, v36, s5
	v_mfma_f32_16x16x16_bf16 v[18:21], v[4:5], v[42:43], v[18:21]
	s_waitcnt vmcnt(1)
	v_cvt_pk_f32_fp8_e32 v[4:5], v10
	v_cvt_pk_f32_fp8_sdwa v[28:29], v10 src0_sel:WORD_1
	v_cvt_pk_f32_fp8_sdwa v[30:31], v12 src0_sel:WORD_1
	v_mfma_f32_16x16x16_bf16 v[18:21], v[26:27], v[44:45], v[18:21]
	v_cvt_pk_f32_fp8_e32 v[26:27], v11
	v_perm_b32 v4, v5, v4, s5
	v_perm_b32 v5, v29, v28, s5
	v_cvt_pk_f32_fp8_sdwa v[10:11], v11 src0_sel:WORD_1
	v_perm_b32 v26, v27, v26, s5
	v_cvt_pk_f32_fp8_e32 v[28:29], v12
	v_mfma_f32_16x16x16_bf16 v[18:21], v[4:5], v[22:23], v[18:21]
	v_perm_b32 v27, v11, v10, s5
	v_perm_b32 v4, v29, v28, s5
	;; [unrolled: 1-line block ×3, first 2 shown]
	v_cvt_pk_f32_fp8_e32 v[22:23], v13
	v_cvt_pk_f32_fp8_sdwa v[28:29], v13 src0_sel:WORD_1
	v_mfma_f32_16x16x16_bf16 v[10:13], v[26:27], v[24:25], v[18:21]
	s_waitcnt vmcnt(0)
	v_cvt_pk_f32_fp8_sdwa v[24:25], v8 src0_sel:WORD_1
	s_nop 0
	v_perm_b32 v20, v23, v22, s5
	v_perm_b32 v21, v29, v28, s5
	v_mfma_f32_16x16x16_bf16 v[10:13], v[4:5], v[46:47], v[10:13]
	v_cvt_pk_f32_fp8_e32 v[4:5], v6
	v_cvt_pk_f32_fp8_sdwa v[22:23], v6 src0_sel:WORD_1
	v_bfe_u32 v19, v3, 16, 1
	v_mfma_f32_16x16x16_bf16 v[10:13], v[20:21], v[48:49], v[10:13]
	v_cvt_pk_f32_fp8_e32 v[20:21], v7
	v_perm_b32 v4, v5, v4, s5
	v_perm_b32 v5, v23, v22, s5
	v_cvt_pk_f32_fp8_sdwa v[6:7], v7 src0_sel:WORD_1
	v_perm_b32 v20, v21, v20, s5
	v_cvt_pk_f32_fp8_e32 v[22:23], v8
	v_add3_u32 v3, v3, v19, s8
	v_perm_b32 v21, v7, v6, s5
	v_mfma_f32_16x16x16_bf16 v[4:7], v[4:5], v[14:15], v[10:13]
	v_bfe_u32 v14, v2, 16, 1
	v_add3_u32 v2, v2, v14, s8
	v_perm_b32 v19, v3, v2, s5
	v_perm_b32 v10, v23, v22, s5
	;; [unrolled: 1-line block ×3, first 2 shown]
	v_cvt_pk_f32_fp8_e32 v[12:13], v9
	v_cvt_pk_f32_fp8_sdwa v[8:9], v9 src0_sel:WORD_1
	v_mfma_f32_16x16x16_bf16 v[4:7], v[20:21], v[16:17], v[4:7]
	v_perm_b32 v18, v33, v32, s5
	v_perm_b32 v12, v13, v12, s5
	;; [unrolled: 1-line block ×3, first 2 shown]
	v_mfma_f32_16x16x16_bf16 v[4:7], v[10:11], v[50:51], v[4:7]
	s_nop 0
	v_mfma_f32_16x16x16_bf16 v[2:5], v[12:13], v[52:53], v[4:7]
	s_nop 6
	v_pk_mul_f32 v[2:3], v[2:3], s[4:5] op_sel_hi:[1,0]
	v_pk_mul_f32 v[4:5], v[4:5], s[4:5] op_sel_hi:[1,0]
	v_bfe_u32 v6, v3, 16, 1
	v_bfe_u32 v7, v2, 16, 1
	v_add3_u32 v2, v2, v7, s8
	v_add3_u32 v3, v3, v6, s8
	v_perm_b32 v2, v3, v2, s5
	v_bfe_u32 v3, v5, 16, 1
	v_bfe_u32 v6, v4, 16, 1
	v_add3_u32 v4, v4, v6, s8
	v_add3_u32 v3, v5, v3, s8
	v_perm_b32 v3, v3, v4, s5
	ds_write2st64_b64 v54, v[18:19], v[2:3] offset1:1
	s_waitcnt lgkmcnt(0)
	s_barrier
	s_and_saveexec_b64 s[4:5], vcc
	s_cbranch_execz .LBB1314_18
; %bb.16:
	s_load_dwordx2 s[4:5], s[0:1], 0x68
	s_lshl_b32 s0, s6, 7
	s_mul_i32 s1, s7, s2
	v_lshlrev_b32_e32 v3, 6, v60
	s_mul_hi_u32 s7, s1, s0
	s_mul_i32 s6, s1, s0
	v_lshl_or_b32 v0, v0, 10, v3
	s_lshl_b64 s[6:7], s[6:7], 1
	v_lshlrev_b32_e32 v2, 5, v64
	v_and_b32_e32 v1, 16, v1
	v_and_b32_e32 v0, 0x1a00, v0
	s_waitcnt lgkmcnt(0)
	s_add_u32 s1, s4, s6
	v_or3_b32 v2, v0, v2, v1
	s_addc_u32 s4, s5, s7
	s_lshl_b32 s2, s24, 7
	s_lshl_b64 s[2:3], s[2:3], 1
	ds_read_b128 v[4:7], v2
	s_add_u32 s2, s1, s2
	s_addc_u32 s3, s4, s3
	v_mov_b32_e32 v59, 0
	v_add_u32_e32 v3, s48, v64
	v_lshl_add_u64 v[0:1], s[2:3], 0, v[58:59]
	v_mad_u64_u32 v[8:9], s[2:3], v3, s0, 0
	v_lshl_add_u64 v[8:9], v[8:9], 1, v[0:1]
	v_cmp_ne_u32_e32 vcc, 3, v64
	s_waitcnt lgkmcnt(0)
	global_store_dwordx4 v[8:9], v[4:7], off
	s_and_b64 exec, exec, vcc
	s_cbranch_execz .LBB1314_18
; %bb.17:
	ds_read_b128 v[2:5], v2 offset:128
	v_add3_u32 v6, s48, v64, 4
	v_mad_u64_u32 v[6:7], s[0:1], v6, s0, 0
	v_lshl_add_u64 v[0:1], v[6:7], 1, v[0:1]
	s_waitcnt lgkmcnt(0)
	global_store_dwordx4 v[0:1], v[2:5], off
.LBB1314_18:
	s_endpgm
	.section	.rodata,"a",@progbits
	.p2align	6, 0x0
	.amdhsa_kernel _Z39paged_attention_ll4mi_QKV_mfma16_kernelI14__hip_bfloat16hLN4vllm18Fp8KVCacheDataTypeE1ES0_Li16ELi128ELi256ELb0ELi7EEvPKT_PKT0_S8_ifPKiSA_SA_iPKfiiiPfSD_PS3_PT2_iSC_SC_
		.amdhsa_group_segment_fixed_size 8192
		.amdhsa_private_segment_fixed_size 0
		.amdhsa_kernarg_size 400
		.amdhsa_user_sgpr_count 2
		.amdhsa_user_sgpr_dispatch_ptr 0
		.amdhsa_user_sgpr_queue_ptr 0
		.amdhsa_user_sgpr_kernarg_segment_ptr 1
		.amdhsa_user_sgpr_dispatch_id 0
		.amdhsa_user_sgpr_kernarg_preload_length 0
		.amdhsa_user_sgpr_kernarg_preload_offset 0
		.amdhsa_user_sgpr_private_segment_size 0
		.amdhsa_uses_dynamic_stack 0
		.amdhsa_enable_private_segment 0
		.amdhsa_system_sgpr_workgroup_id_x 1
		.amdhsa_system_sgpr_workgroup_id_y 1
		.amdhsa_system_sgpr_workgroup_id_z 1
		.amdhsa_system_sgpr_workgroup_info 0
		.amdhsa_system_vgpr_workitem_id 0
		.amdhsa_next_free_vgpr 86
		.amdhsa_next_free_sgpr 50
		.amdhsa_accum_offset 88
		.amdhsa_reserve_vcc 1
		.amdhsa_float_round_mode_32 0
		.amdhsa_float_round_mode_16_64 0
		.amdhsa_float_denorm_mode_32 3
		.amdhsa_float_denorm_mode_16_64 3
		.amdhsa_dx10_clamp 1
		.amdhsa_ieee_mode 1
		.amdhsa_fp16_overflow 0
		.amdhsa_tg_split 0
		.amdhsa_exception_fp_ieee_invalid_op 0
		.amdhsa_exception_fp_denorm_src 0
		.amdhsa_exception_fp_ieee_div_zero 0
		.amdhsa_exception_fp_ieee_overflow 0
		.amdhsa_exception_fp_ieee_underflow 0
		.amdhsa_exception_fp_ieee_inexact 0
		.amdhsa_exception_int_div_zero 0
	.end_amdhsa_kernel
	.section	.text._Z39paged_attention_ll4mi_QKV_mfma16_kernelI14__hip_bfloat16hLN4vllm18Fp8KVCacheDataTypeE1ES0_Li16ELi128ELi256ELb0ELi7EEvPKT_PKT0_S8_ifPKiSA_SA_iPKfiiiPfSD_PS3_PT2_iSC_SC_,"axG",@progbits,_Z39paged_attention_ll4mi_QKV_mfma16_kernelI14__hip_bfloat16hLN4vllm18Fp8KVCacheDataTypeE1ES0_Li16ELi128ELi256ELb0ELi7EEvPKT_PKT0_S8_ifPKiSA_SA_iPKfiiiPfSD_PS3_PT2_iSC_SC_,comdat
.Lfunc_end1314:
	.size	_Z39paged_attention_ll4mi_QKV_mfma16_kernelI14__hip_bfloat16hLN4vllm18Fp8KVCacheDataTypeE1ES0_Li16ELi128ELi256ELb0ELi7EEvPKT_PKT0_S8_ifPKiSA_SA_iPKfiiiPfSD_PS3_PT2_iSC_SC_, .Lfunc_end1314-_Z39paged_attention_ll4mi_QKV_mfma16_kernelI14__hip_bfloat16hLN4vllm18Fp8KVCacheDataTypeE1ES0_Li16ELi128ELi256ELb0ELi7EEvPKT_PKT0_S8_ifPKiSA_SA_iPKfiiiPfSD_PS3_PT2_iSC_SC_
                                        ; -- End function
	.section	.AMDGPU.csdata,"",@progbits
; Kernel info:
; codeLenInByte = 6320
; NumSgprs: 56
; NumVgprs: 86
; NumAgprs: 0
; TotalNumVgprs: 86
; ScratchSize: 0
; MemoryBound: 0
; FloatMode: 240
; IeeeMode: 1
; LDSByteSize: 8192 bytes/workgroup (compile time only)
; SGPRBlocks: 6
; VGPRBlocks: 10
; NumSGPRsForWavesPerEU: 56
; NumVGPRsForWavesPerEU: 86
; AccumOffset: 88
; Occupancy: 5
; WaveLimiterHint : 1
; COMPUTE_PGM_RSRC2:SCRATCH_EN: 0
; COMPUTE_PGM_RSRC2:USER_SGPR: 2
; COMPUTE_PGM_RSRC2:TRAP_HANDLER: 0
; COMPUTE_PGM_RSRC2:TGID_X_EN: 1
; COMPUTE_PGM_RSRC2:TGID_Y_EN: 1
; COMPUTE_PGM_RSRC2:TGID_Z_EN: 1
; COMPUTE_PGM_RSRC2:TIDIG_COMP_CNT: 0
; COMPUTE_PGM_RSRC3_GFX90A:ACCUM_OFFSET: 21
; COMPUTE_PGM_RSRC3_GFX90A:TG_SPLIT: 0
	.section	.text._Z39paged_attention_ll4mi_QKV_mfma16_kernelI14__hip_bfloat16hLN4vllm18Fp8KVCacheDataTypeE1ES0_Li16ELi128ELi256ELb0ELi8EEvPKT_PKT0_S8_ifPKiSA_SA_iPKfiiiPfSD_PS3_PT2_iSC_SC_,"axG",@progbits,_Z39paged_attention_ll4mi_QKV_mfma16_kernelI14__hip_bfloat16hLN4vllm18Fp8KVCacheDataTypeE1ES0_Li16ELi128ELi256ELb0ELi8EEvPKT_PKT0_S8_ifPKiSA_SA_iPKfiiiPfSD_PS3_PT2_iSC_SC_,comdat
	.protected	_Z39paged_attention_ll4mi_QKV_mfma16_kernelI14__hip_bfloat16hLN4vllm18Fp8KVCacheDataTypeE1ES0_Li16ELi128ELi256ELb0ELi8EEvPKT_PKT0_S8_ifPKiSA_SA_iPKfiiiPfSD_PS3_PT2_iSC_SC_ ; -- Begin function _Z39paged_attention_ll4mi_QKV_mfma16_kernelI14__hip_bfloat16hLN4vllm18Fp8KVCacheDataTypeE1ES0_Li16ELi128ELi256ELb0ELi8EEvPKT_PKT0_S8_ifPKiSA_SA_iPKfiiiPfSD_PS3_PT2_iSC_SC_
	.globl	_Z39paged_attention_ll4mi_QKV_mfma16_kernelI14__hip_bfloat16hLN4vllm18Fp8KVCacheDataTypeE1ES0_Li16ELi128ELi256ELb0ELi8EEvPKT_PKT0_S8_ifPKiSA_SA_iPKfiiiPfSD_PS3_PT2_iSC_SC_
	.p2align	8
	.type	_Z39paged_attention_ll4mi_QKV_mfma16_kernelI14__hip_bfloat16hLN4vllm18Fp8KVCacheDataTypeE1ES0_Li16ELi128ELi256ELb0ELi8EEvPKT_PKT0_S8_ifPKiSA_SA_iPKfiiiPfSD_PS3_PT2_iSC_SC_,@function
_Z39paged_attention_ll4mi_QKV_mfma16_kernelI14__hip_bfloat16hLN4vllm18Fp8KVCacheDataTypeE1ES0_Li16ELi128ELi256ELb0ELi8EEvPKT_PKT0_S8_ifPKiSA_SA_iPKfiiiPfSD_PS3_PT2_iSC_SC_: ; @_Z39paged_attention_ll4mi_QKV_mfma16_kernelI14__hip_bfloat16hLN4vllm18Fp8KVCacheDataTypeE1ES0_Li16ELi128ELi256ELb0ELi8EEvPKT_PKT0_S8_ifPKiSA_SA_iPKfiiiPfSD_PS3_PT2_iSC_SC_
; %bb.0:
	s_load_dwordx2 s[12:13], s[0:1], 0x30
	s_mov_b32 s22, s3
	s_mov_b64 s[6:7], 0
	s_waitcnt lgkmcnt(0)
	s_cmp_lg_u64 s[12:13], 0
	s_cselect_b64 s[14:15], -1, 0
	s_and_b64 vcc, exec, s[14:15]
	s_cbranch_vccz .LBB1315_7
; %bb.1:
	s_add_i32 s8, s2, 1
	s_mov_b32 s9, 0
	s_lshl_b64 s[10:11], s[8:9], 2
	s_add_u32 s10, s12, s10
	s_mov_b32 s3, s9
	s_addc_u32 s11, s13, s11
	s_lshl_b64 s[8:9], s[2:3], 2
	s_add_u32 s8, s12, s8
	s_addc_u32 s9, s13, s9
	s_load_dword s5, s[10:11], 0x0
	s_load_dword s16, s[8:9], 0x0
	s_waitcnt lgkmcnt(0)
	s_sub_i32 s5, s5, s16
	s_cmp_eq_u32 s5, 1
	s_cselect_b64 s[8:9], -1, 0
	s_andn2_b64 vcc, exec, s[6:7]
	s_cbranch_vccnz .LBB1315_3
.LBB1315_2:
	s_mov_b32 s3, 0
	s_mov_b64 s[8:9], -1
.LBB1315_3:
	s_andn2_b64 vcc, exec, s[8:9]
	s_cbranch_vccnz .LBB1315_17
; %bb.4:
	s_load_dwordx2 s[6:7], s[0:1], 0x28
	s_lshl_b64 s[16:17], s[2:3], 2
	s_waitcnt lgkmcnt(0)
	s_add_u32 s6, s6, s16
	s_addc_u32 s7, s7, s17
	s_load_dword s38, s[6:7], 0x0
	s_lshl_b32 s18, s22, 8
	s_waitcnt lgkmcnt(0)
	s_cmp_ge_i32 s18, s38
	s_cbranch_scc1 .LBB1315_17
; %bb.5:
	s_load_dwordx2 s[6:7], s[0:1], 0x20
	s_load_dword s8, s[0:1], 0x38
	s_add_i32 s5, s38, 15
	s_ashr_i32 s9, s5, 31
	v_and_b32_e32 v1, 0xcf, v0
	s_lshr_b32 s9, s9, 28
	v_add_u32_e32 v1, s18, v1
	s_add_i32 s5, s5, s9
	v_ashrrev_i32_e32 v2, 31, v1
	s_ashr_i32 s5, s5, 4
	v_lshrrev_b32_e32 v10, 28, v2
	s_add_i32 s5, s5, -1
	s_waitcnt lgkmcnt(0)
	s_mul_i32 s8, s2, s8
	s_mov_b32 s9, 0
	v_add_u32_e32 v2, v1, v10
	s_lshl_b64 s[8:9], s[8:9], 2
	v_ashrrev_i32_e32 v2, 4, v2
	v_mov_b32_e32 v11, s5
	v_cmp_gt_i32_e32 vcc, s38, v1
	s_add_u32 s6, s6, s8
	s_addc_u32 s7, s7, s9
	v_cndmask_b32_e32 v2, v11, v2, vcc
	v_ashrrev_i32_e32 v3, 31, v2
	v_lshl_add_u64 v[4:5], v[2:3], 2, s[6:7]
	v_or_b32_e32 v2, 16, v1
	v_add_u32_e32 v3, v2, v10
	v_ashrrev_i32_e32 v3, 4, v3
	v_cmp_gt_i32_e32 vcc, s38, v2
	s_load_dwordx4 s[8:11], s[0:1], 0x8
	s_nop 0
	v_cndmask_b32_e32 v2, v11, v3, vcc
	v_ashrrev_i32_e32 v3, 31, v2
	v_lshl_add_u64 v[6:7], v[2:3], 2, s[6:7]
	v_or_b32_e32 v2, 32, v1
	v_add_u32_e32 v3, v2, v10
	v_ashrrev_i32_e32 v3, 4, v3
	v_cmp_gt_i32_e32 vcc, s38, v2
	v_or_b32_e32 v1, 48, v1
	s_nop 0
	v_cndmask_b32_e32 v2, v11, v3, vcc
	v_ashrrev_i32_e32 v3, 31, v2
	v_lshl_add_u64 v[8:9], v[2:3], 2, s[6:7]
	v_add_u32_e32 v2, v1, v10
	v_ashrrev_i32_e32 v2, 4, v2
	v_cmp_gt_i32_e32 vcc, s38, v1
	s_nop 1
	v_cndmask_b32_e32 v2, v11, v2, vcc
	v_ashrrev_i32_e32 v3, 31, v2
	v_lshl_add_u64 v[10:11], v[2:3], 2, s[6:7]
	global_load_dword v3, v[4:5], off
	global_load_dword v2, v[6:7], off
	;; [unrolled: 1-line block ×4, first 2 shown]
	s_andn2_b64 vcc, exec, s[14:15]
	s_cbranch_vccnz .LBB1315_8
; %bb.6:
	s_add_u32 s12, s12, s16
	s_addc_u32 s13, s13, s17
	s_load_dword s14, s[12:13], 0x0
	s_branch .LBB1315_9
.LBB1315_7:
	s_mov_b64 s[8:9], 0
	s_branch .LBB1315_2
.LBB1315_8:
	s_mov_b32 s14, s2
.LBB1315_9:
	s_load_dwordx4 s[44:47], s[0:1], 0x48
	v_and_b32_e32 v62, 15, v0
	v_lshlrev_b32_e32 v4, 3, v62
	s_movk_i32 s12, 0x80
	v_lshrrev_b32_e32 v64, 6, v0
	v_and_b32_e32 v65, 63, v0
	v_bfe_u32 v1, v0, 4, 2
	s_lshl_b32 s23, s4, 3
	v_cmp_gt_u32_e32 vcc, s12, v0
	v_lshlrev_b32_e32 v54, 1, v4
	v_lshlrev_b32_e32 v63, 4, v0
	s_and_saveexec_b64 s[12:13], vcc
	s_cbranch_execz .LBB1315_11
; %bb.10:
	s_load_dwordx2 s[16:17], s[0:1], 0x0
	s_waitcnt lgkmcnt(0)
	s_ashr_i32 s15, s44, 31
	s_mul_hi_u32 s19, s14, s44
	s_mul_i32 s15, s14, s15
	s_add_i32 s15, s19, s15
	s_mul_i32 s14, s14, s44
	v_lshl_or_b32 v8, v64, 2, v1
	s_lshl_b64 s[14:15], s[14:15], 1
	s_add_u32 s14, s16, s14
	v_add_lshl_u32 v4, v8, s23, 7
	s_addc_u32 s15, s17, s15
	v_ashrrev_i32_e32 v5, 31, v4
	v_lshl_add_u64 v[4:5], v[4:5], 1, s[14:15]
	v_mov_b32_e32 v55, 0
	v_lshl_add_u64 v[4:5], v[4:5], 0, v[54:55]
	global_load_dwordx4 v[4:7], v[4:5], off
	v_lshlrev_b32_e32 v10, 8, v0
	v_lshlrev_b32_e32 v9, 8, v62
	v_and_b32_e32 v10, 0x600, v10
	s_movk_i32 s14, 0x800
	v_and_or_b32 v9, v9, s14, v10
	v_lshlrev_b32_e32 v8, 5, v8
	v_and_b32_e32 v10, 16, v63
	v_or3_b32 v8, v9, v8, v10
	s_waitcnt vmcnt(0)
	ds_write_b128 v8, v[4:7]
.LBB1315_11:
	s_or_b64 exec, exec, s[12:13]
	s_waitcnt lgkmcnt(0)
	s_mul_i32 s4, s4, s46
	s_add_u32 s8, s8, s4
	s_addc_u32 s9, s9, 0
	v_and_b32_e32 v56, 0xf0, v63
	v_mov_b32_e32 v57, 0
	v_and_b32_e32 v6, 48, v0
	v_lshl_add_u64 v[30:31], s[8:9], 0, v[56:57]
	v_lshlrev_b32_e32 v56, 4, v6
	s_waitcnt vmcnt(3)
	v_mad_i64_i32 v[4:5], s[8:9], v3, s45, v[30:31]
	v_lshl_add_u64 v[4:5], v[4:5], 0, v[56:57]
	s_load_dword s33, s[0:1], 0x98
	s_load_dwordx4 s[40:43], s[0:1], 0x80
	s_waitcnt lgkmcnt(0)
	s_barrier
	global_load_dwordx4 v[22:25], v[4:5], off
	global_load_dwordx4 v[10:13], v[4:5], off offset:1024
	s_waitcnt vmcnt(4)
	v_mad_i64_i32 v[2:3], s[8:9], v2, s45, v[30:31]
	v_lshl_add_u64 v[32:33], v[2:3], 0, v[56:57]
	global_load_dwordx4 v[2:5], v[32:33], off
	v_or_b32_e32 v36, s18, v6
	v_and_b32_e32 v7, 7, v0
	v_mov_b32_e32 v41, s5
	v_ashrrev_i32_e32 v37, 4, v36
	v_or_b32_e32 v40, 64, v36
	v_cmp_gt_i32_e32 vcc, s38, v36
	v_lshlrev_b32_e32 v7, 5, v7
	v_or_b32_e32 v42, 0x80, v36
	v_or_b32_e32 v47, 0xc0, v36
	v_cndmask_b32_e32 v36, v41, v37, vcc
	v_ashrrev_i32_e32 v43, 4, v40
	v_cmp_gt_i32_e32 vcc, s38, v40
	v_lshl_or_b32 v6, v1, 9, v7
	v_ashrrev_i32_e32 v44, 4, v42
	v_cndmask_b32_e32 v40, v41, v43, vcc
	v_cmp_gt_i32_e32 vcc, s38, v42
	ds_read_b128 v[26:29], v6
	ds_read_b128 v[18:21], v6 offset:16
	ds_read_b128 v[14:17], v6 offset:2048
	;; [unrolled: 1-line block ×3, first 2 shown]
	v_cndmask_b32_e32 v46, v41, v44, vcc
	global_load_dwordx4 v[42:45], v[32:33], off offset:1024
	v_ashrrev_i32_e32 v48, 4, v47
	v_cmp_gt_i32_e32 vcc, s38, v47
	s_waitcnt vmcnt(5)
	v_mad_i64_i32 v[38:39], s[12:13], v34, s45, v[30:31]
	s_waitcnt vmcnt(4)
	v_mad_i64_i32 v[30:31], s[12:13], v35, s45, v[30:31]
	v_cndmask_b32_e32 v32, v41, v48, vcc
	v_ashrrev_i32_e32 v47, 31, v46
	v_ashrrev_i32_e32 v37, 31, v36
	v_lshl_add_u64 v[38:39], v[38:39], 0, v[56:57]
	v_lshl_add_u64 v[34:35], v[30:31], 0, v[56:57]
	v_ashrrev_i32_e32 v41, 31, v40
	v_ashrrev_i32_e32 v33, 31, v32
	v_lshl_add_u64 v[58:59], v[46:47], 2, s[6:7]
	v_lshl_add_u64 v[50:51], v[36:37], 2, s[6:7]
	;; [unrolled: 1-line block ×4, first 2 shown]
	global_load_dwordx4 v[30:33], v[38:39], off
	global_load_dwordx4 v[46:49], v[38:39], off offset:1024
	s_nop 0
	global_load_dwordx4 v[38:41], v[34:35], off
	s_nop 0
	global_load_dwordx4 v[34:37], v[34:35], off offset:1024
	s_nop 0
	global_load_dword v67, v[50:51], off
	global_load_dword v66, v[52:53], off
	s_nop 0
	global_load_dword v58, v[58:59], off
	s_nop 0
	global_load_dword v59, v[60:61], off
	s_mov_b32 s44, 0x7060302
	s_add_u32 s4, s10, s4
	v_lshl_or_b32 v55, v64, 4, v62
	s_addc_u32 s5, s11, 0
	v_lshlrev_b32_e32 v56, 4, v55
	s_load_dword s8, s[0:1], 0x1c
	s_waitcnt vmcnt(11)
	v_cvt_pk_f32_fp8_e32 v[50:51], v22
	v_cvt_pk_f32_fp8_sdwa v[52:53], v22 src0_sel:WORD_1
	v_cvt_pk_f32_fp8_e32 v[60:61], v23
	v_cvt_pk_f32_fp8_sdwa v[68:69], v23 src0_sel:WORD_1
	;; [unrolled: 2-line block ×4, first 2 shown]
	s_waitcnt vmcnt(9)
	v_cvt_pk_f32_fp8_e32 v[22:23], v2
	v_cvt_pk_f32_fp8_sdwa v[24:25], v2 src0_sel:WORD_1
	v_perm_b32 v50, v51, v50, s44
	v_perm_b32 v51, v53, v52, s44
	v_cvt_pk_f32_fp8_e32 v[80:81], v10
	v_cvt_pk_f32_fp8_sdwa v[82:83], v10 src0_sel:WORD_1
	v_cvt_pk_f32_fp8_e32 v[84:85], v11
	v_cvt_pk_f32_fp8_sdwa v[52:53], v11 src0_sel:WORD_1
	v_perm_b32 v10, v23, v22, s44
	v_perm_b32 v11, v25, v24, s44
	;; [unrolled: 1-line block ×4, first 2 shown]
	s_waitcnt lgkmcnt(0)
	v_mfma_f32_16x16x16_bf16 v[22:25], v[50:51], v[26:27], 0
	v_cvt_pk_f32_fp8_e32 v[86:87], v12
	v_cvt_pk_f32_fp8_sdwa v[50:51], v12 src0_sel:WORD_1
	v_cvt_pk_f32_fp8_e32 v[88:89], v13
	v_mfma_f32_16x16x16_bf16 v[68:71], v[10:11], v[26:27], 0
	v_perm_b32 v10, v73, v72, s44
	v_perm_b32 v11, v75, v74, s44
	v_perm_b32 v72, v77, v76, s44
	v_mfma_f32_16x16x16_bf16 v[22:25], v[60:61], v[28:29], v[22:25]
	v_perm_b32 v73, v79, v78, s44
	v_cvt_pk_f32_fp8_sdwa v[60:61], v13 src0_sel:WORD_1
	s_waitcnt vmcnt(6)
	v_cvt_pk_f32_fp8_sdwa v[76:77], v48 src0_sel:WORD_1
	v_mfma_f32_16x16x16_bf16 v[10:13], v[10:11], v[18:19], v[22:25]
	s_nop 2
	v_perm_b32 v24, v81, v80, s44
	v_perm_b32 v25, v83, v82, s44
	v_mfma_f32_16x16x16_bf16 v[10:13], v[72:73], v[20:21], v[10:13]
	v_perm_b32 v72, v85, v84, s44
	v_perm_b32 v73, v53, v52, s44
	;; [unrolled: 1-line block ×3, first 2 shown]
	v_mfma_f32_16x16x16_bf16 v[10:13], v[24:25], v[14:15], v[10:13]
	v_perm_b32 v53, v51, v50, s44
	v_cvt_pk_f32_fp8_e32 v[22:23], v3
	v_cvt_pk_f32_fp8_sdwa v[2:3], v3 src0_sel:WORD_1
	v_mfma_f32_16x16x16_bf16 v[10:13], v[72:73], v[16:17], v[10:13]
	v_perm_b32 v50, v89, v88, s44
	v_perm_b32 v51, v61, v60, s44
	v_cvt_pk_f32_fp8_e32 v[24:25], v4
	v_cvt_pk_f32_fp8_sdwa v[72:73], v4 src0_sel:WORD_1
	v_mfma_f32_16x16x16_bf16 v[10:13], v[52:53], v[6:7], v[10:13]
	v_perm_b32 v22, v23, v22, s44
	v_perm_b32 v23, v3, v2, s44
	;; [unrolled: 1-line block ×3, first 2 shown]
	v_mfma_f32_16x16x16_bf16 v[50:53], v[50:51], v[8:9], v[10:13]
	v_perm_b32 v25, v73, v72, s44
	v_cvt_pk_f32_fp8_sdwa v[72:73], v33 src0_sel:WORD_1
	v_lshl_add_u64 v[60:61], s[4:5], 0, v[56:57]
	v_cvt_pk_f32_fp8_e32 v[10:11], v5
	v_cvt_pk_f32_fp8_sdwa v[12:13], v5 src0_sel:WORD_1
	v_mfma_f32_16x16x16_bf16 v[2:5], v[22:23], v[28:29], v[68:71]
	v_cvt_pk_f32_fp8_sdwa v[22:23], v42 src0_sel:WORD_1
	v_perm_b32 v10, v11, v10, s44
	v_perm_b32 v11, v13, v12, s44
	v_mfma_f32_16x16x16_bf16 v[2:5], v[24:25], v[18:19], v[2:5]
	v_cvt_pk_f32_fp8_e32 v[12:13], v42
	v_cvt_pk_f32_fp8_e32 v[24:25], v44
	;; [unrolled: 1-line block ×3, first 2 shown]
	v_mfma_f32_16x16x16_bf16 v[2:5], v[10:11], v[20:21], v[2:5]
	v_cvt_pk_f32_fp8_e32 v[10:11], v43
	v_perm_b32 v12, v13, v12, s44
	v_perm_b32 v13, v23, v22, s44
	v_cvt_pk_f32_fp8_sdwa v[22:23], v43 src0_sel:WORD_1
	v_perm_b32 v10, v11, v10, s44
	v_cvt_pk_f32_fp8_sdwa v[42:43], v44 src0_sel:WORD_1
	v_mfma_f32_16x16x16_bf16 v[2:5], v[12:13], v[14:15], v[2:5]
	v_perm_b32 v11, v23, v22, s44
	v_perm_b32 v12, v25, v24, s44
	v_perm_b32 v13, v43, v42, s44
	v_cvt_pk_f32_fp8_e32 v[22:23], v45
	v_cvt_pk_f32_fp8_sdwa v[24:25], v45 src0_sel:WORD_1
	v_mfma_f32_16x16x16_bf16 v[2:5], v[10:11], v[16:17], v[2:5]
	s_waitcnt vmcnt(2)
	v_mad_i64_i32 v[68:69], s[6:7], v66, s45, v[60:61]
	v_perm_b32 v10, v23, v22, s44
	v_perm_b32 v11, v25, v24, s44
	v_mfma_f32_16x16x16_bf16 v[2:5], v[12:13], v[6:7], v[2:5]
	v_cvt_pk_f32_fp8_e32 v[12:13], v30
	v_cvt_pk_f32_fp8_sdwa v[22:23], v30 src0_sel:WORD_1
	v_cvt_pk_f32_fp8_sdwa v[24:25], v32 src0_sel:WORD_1
	v_mfma_f32_16x16x16_bf16 v[42:45], v[10:11], v[8:9], v[2:5]
	v_cvt_pk_f32_fp8_sdwa v[10:11], v31 src0_sel:WORD_1
	v_or_b32_e32 v56, 0x400, v56
	s_nop 0
	v_perm_b32 v2, v13, v12, s44
	v_perm_b32 v3, v23, v22, s44
	v_cvt_pk_f32_fp8_e32 v[4:5], v31
	v_perm_b32 v23, v11, v10, s44
	v_cvt_pk_f32_fp8_e32 v[10:11], v32
	v_mad_i64_i32 v[12:13], s[6:7], v67, s45, v[60:61]
	v_perm_b32 v22, v5, v4, s44
	v_mfma_f32_16x16x16_bf16 v[2:5], v[2:3], v[26:27], 0
	v_perm_b32 v10, v11, v10, s44
	v_perm_b32 v11, v25, v24, s44
	v_mfma_f32_16x16x16_bf16 v[2:5], v[22:23], v[28:29], v[2:5]
	global_load_dwordx4 v[30:33], v[12:13], off
	global_load_dwordx4 v[22:25], v[68:69], off
	v_perm_b32 v12, v71, v70, s44
	v_perm_b32 v13, v73, v72, s44
	v_mfma_f32_16x16x16_bf16 v[2:5], v[10:11], v[18:19], v[2:5]
	v_cvt_pk_f32_fp8_e32 v[10:11], v46
	v_cvt_pk_f32_fp8_sdwa v[68:69], v46 src0_sel:WORD_1
	s_waitcnt vmcnt(3)
	v_mad_i64_i32 v[72:73], s[6:7], v58, s45, v[60:61]
	v_mfma_f32_16x16x16_bf16 v[2:5], v[12:13], v[20:21], v[2:5]
	v_perm_b32 v10, v11, v10, s44
	v_perm_b32 v11, v69, v68, s44
	v_cvt_pk_f32_fp8_e32 v[12:13], v47
	v_cvt_pk_f32_fp8_sdwa v[46:47], v47 src0_sel:WORD_1
	v_mfma_f32_16x16x16_bf16 v[68:71], v[10:11], v[14:15], v[2:5]
	v_perm_b32 v74, v13, v12, s44
	v_perm_b32 v75, v47, v46, s44
	v_cvt_pk_f32_fp8_e32 v[46:47], v48
	s_waitcnt vmcnt(2)
	v_mad_i64_i32 v[60:61], s[6:7], v59, s45, v[60:61]
	global_load_dwordx4 v[10:13], v[72:73], off
	global_load_dwordx4 v[2:5], v[60:61], off
	v_perm_b32 v60, v47, v46, s44
	v_perm_b32 v61, v77, v76, s44
	v_cvt_pk_f32_fp8_e32 v[72:73], v49
	v_cvt_pk_f32_fp8_sdwa v[48:49], v49 src0_sel:WORD_1
	v_mfma_f32_16x16x16_bf16 v[68:71], v[74:75], v[16:17], v[68:71]
	v_lshl_add_u64 v[46:47], s[4:5], 0, v[56:57]
	v_perm_b32 v56, v73, v72, s44
	v_perm_b32 v57, v49, v48, s44
	v_mfma_f32_16x16x16_bf16 v[68:71], v[60:61], v[6:7], v[68:71]
	v_cvt_pk_f32_fp8_e32 v[48:49], v38
	v_cvt_pk_f32_fp8_sdwa v[60:61], v38 src0_sel:WORD_1
	v_cvt_pk_f32_fp8_sdwa v[76:77], v40 src0_sel:WORD_1
	v_mfma_f32_16x16x16_bf16 v[68:71], v[56:57], v[8:9], v[68:71]
	v_cvt_pk_f32_fp8_e32 v[56:57], v39
	v_perm_b32 v48, v49, v48, s44
	v_perm_b32 v49, v61, v60, s44
	v_cvt_pk_f32_fp8_sdwa v[38:39], v39 src0_sel:WORD_1
	v_perm_b32 v56, v57, v56, s44
	v_cvt_pk_f32_fp8_e32 v[60:61], v40
	v_mfma_f32_16x16x16_bf16 v[72:75], v[48:49], v[26:27], 0
	v_perm_b32 v57, v39, v38, s44
	v_perm_b32 v38, v61, v60, s44
	;; [unrolled: 1-line block ×3, first 2 shown]
	v_cvt_pk_f32_fp8_e32 v[48:49], v41
	v_cvt_pk_f32_fp8_sdwa v[40:41], v41 src0_sel:WORD_1
	v_mfma_f32_16x16x16_bf16 v[26:29], v[56:57], v[28:29], v[72:75]
	s_load_dword s4, s[40:41], 0x0
	v_perm_b32 v48, v49, v48, s44
	v_perm_b32 v49, v41, v40, s44
	v_mfma_f32_16x16x16_bf16 v[26:29], v[38:39], v[18:19], v[26:29]
	v_cvt_pk_f32_fp8_e32 v[40:41], v35
	v_mov_b32_e32 v56, s8
	s_waitcnt lgkmcnt(0)
	v_mul_f32_e32 v56, s4, v56
	v_mfma_f32_16x16x16_bf16 v[18:21], v[48:49], v[20:21], v[26:29]
	v_pk_mul_f32 v[38:39], v[56:57], v[52:53] op_sel_hi:[0,1]
	v_pk_mul_f32 v[52:53], v[56:57], v[42:43] op_sel_hi:[0,1]
	;; [unrolled: 1-line block ×3, first 2 shown]
	v_cvt_pk_f32_fp8_e32 v[26:27], v34
	v_cvt_pk_f32_fp8_sdwa v[28:29], v34 src0_sel:WORD_1
	v_cvt_pk_f32_fp8_sdwa v[34:35], v35 src0_sel:WORD_1
	s_mov_b32 s40, 0xff7fffff
	v_perm_b32 v26, v27, v26, s44
	v_perm_b32 v27, v29, v28, s44
	v_perm_b32 v28, v41, v40, s44
	v_perm_b32 v29, v35, v34, s44
	v_cvt_pk_f32_fp8_e32 v[34:35], v36
	v_cvt_pk_f32_fp8_sdwa v[40:41], v36 src0_sel:WORD_1
	v_mfma_f32_16x16x16_bf16 v[18:21], v[26:27], v[14:15], v[18:21]
	v_pk_mul_f32 v[48:49], v[56:57], v[44:45] op_sel_hi:[0,1]
	v_perm_b32 v26, v35, v34, s44
	v_perm_b32 v27, v41, v40, s44
	v_cvt_pk_f32_fp8_e32 v[34:35], v37
	v_cvt_pk_f32_fp8_sdwa v[36:37], v37 src0_sel:WORD_1
	v_mfma_f32_16x16x16_bf16 v[14:17], v[28:29], v[16:17], v[18:21]
	v_pk_mul_f32 v[40:41], v[56:57], v[68:69] op_sel_hi:[0,1]
	v_pk_mul_f32 v[44:45], v[56:57], v[70:71] op_sel_hi:[0,1]
	v_mad_i64_i32 v[60:61], s[4:5], v67, s45, v[46:47]
	v_perm_b32 v18, v35, v34, s44
	v_perm_b32 v19, v37, v36, s44
	v_mfma_f32_16x16x16_bf16 v[14:17], v[26:27], v[6:7], v[14:17]
	s_nop 0
	v_mfma_f32_16x16x16_bf16 v[6:9], v[18:19], v[8:9], v[14:17]
	s_nop 6
	v_pk_mul_f32 v[42:43], v[56:57], v[6:7] op_sel_hi:[0,1]
	v_and_b32_e32 v6, 0xc0, v0
	v_add_u32_e32 v6, s18, v6
	v_lshl_or_b32 v6, v1, 2, v6
	v_pk_mul_f32 v[34:35], v[56:57], v[8:9] op_sel_hi:[0,1]
	v_or_b32_e32 v9, 1, v6
	v_mov_b32_e32 v7, 0xff7fffff
	v_cmp_gt_i32_e64 s[24:25], s38, v6
	v_cmp_gt_i32_e64 s[26:27], s38, v9
	v_or_b32_e32 v14, 3, v6
	v_cndmask_b32_e64 v8, v7, v50, s[24:25]
	v_cndmask_b32_e64 v9, v7, v51, s[26:27]
	v_max3_f32 v8, v8, s40, v9
	v_or_b32_e32 v9, 2, v6
	v_cmp_gt_i32_e64 s[28:29], s38, v9
	v_cmp_gt_i32_e64 s[30:31], s38, v14
	s_nop 0
	v_cndmask_b32_e64 v9, v7, v38, s[28:29]
	v_cndmask_b32_e64 v14, v7, v39, s[30:31]
	v_max3_f32 v8, v8, v9, v14
	v_or_b32_e32 v9, 16, v6
	v_or_b32_e32 v14, 17, v6
	v_cmp_gt_i32_e64 s[34:35], s38, v9
	v_cmp_gt_i32_e64 s[36:37], s38, v14
	s_nop 0
	v_cndmask_b32_e64 v9, v7, v52, s[34:35]
	v_cndmask_b32_e64 v14, v7, v53, s[36:37]
	v_max3_f32 v8, v8, v9, v14
	v_or_b32_e32 v9, 18, v6
	;; [unrolled: 8-line block ×6, first 2 shown]
	v_or_b32_e32 v6, 51, v6
	v_cmp_gt_i32_e32 vcc, s38, v9
	v_cmp_gt_i32_e64 s[4:5], s38, v6
	s_nop 0
	v_cndmask_b32_e32 v9, v7, v34, vcc
	v_cndmask_b32_e64 v6, v7, v35, s[4:5]
	v_max3_f32 v8, v8, v9, v6
	v_mbcnt_lo_u32_b32 v6, -1, 0
	v_mbcnt_hi_u32_b32 v9, -1, v6
	v_and_b32_e32 v6, 64, v9
	v_add_u32_e32 v14, 64, v6
	v_xor_b32_e32 v6, 32, v9
	v_cmp_lt_i32_e64 s[38:39], v6, v14
	s_nop 1
	v_cndmask_b32_e64 v6, v9, v6, s[38:39]
	v_lshlrev_b32_e32 v57, 2, v6
	ds_bpermute_b32 v15, v57, v8
	v_mad_i64_i32 v[6:7], s[38:39], v66, s45, v[46:47]
	global_load_dwordx4 v[26:29], v[60:61], off
	global_load_dwordx4 v[18:21], v[6:7], off
	s_waitcnt lgkmcnt(0)
	v_max_f32_e32 v6, v15, v15
	v_max_f32_e32 v15, v8, v6
	v_xor_b32_e32 v6, 16, v9
	v_cmp_lt_i32_e64 s[38:39], v6, v14
	s_nop 1
	v_cndmask_b32_e64 v6, v9, v6, s[38:39]
	v_lshlrev_b32_e32 v60, 2, v6
	ds_bpermute_b32 v14, v60, v15
	v_mad_i64_i32 v[6:7], s[38:39], v58, s45, v[46:47]
	v_mad_i64_i32 v[8:9], s[38:39], v59, s45, v[46:47]
	s_waitcnt lgkmcnt(0)
	v_max_f32_e32 v14, v14, v14
	v_max_f32_e32 v56, v15, v14
	v_sub_f32_e32 v14, v50, v56
	v_mul_f32_e32 v14, 0x3fb8aa3b, v14
	v_exp_f32_e32 v36, v14
	v_sub_f32_e32 v14, v51, v56
	v_mul_f32_e32 v14, 0x3fb8aa3b, v14
	v_exp_f32_e32 v37, v14
	global_load_dwordx4 v[14:17], v[6:7], off
	s_nop 0
	global_load_dwordx4 v[6:9], v[8:9], off
	v_sub_f32_e32 v38, v38, v56
	v_mul_f32_e32 v38, 0x3fb8aa3b, v38
	v_sub_f32_e32 v39, v39, v56
	v_exp_f32_e32 v38, v38
	v_mul_f32_e32 v39, 0x3fb8aa3b, v39
	v_exp_f32_e32 v39, v39
	v_cndmask_b32_e64 v36, 0, v36, s[24:25]
	v_add_f32_e32 v46, 0, v36
	v_cndmask_b32_e64 v37, 0, v37, s[26:27]
	v_add_f32_e32 v47, v46, v37
	;; [unrolled: 2-line block ×3, first 2 shown]
	v_cndmask_b32_e64 v47, 0, v39, s[30:31]
	v_sub_f32_e32 v39, v52, v56
	v_mul_f32_e32 v39, 0x3fb8aa3b, v39
	v_sub_f32_e32 v50, v53, v56
	v_exp_f32_e32 v39, v39
	v_mul_f32_e32 v50, 0x3fb8aa3b, v50
	v_sub_f32_e32 v48, v48, v56
	v_exp_f32_e32 v50, v50
	;; [unrolled: 3-line block ×4, first 2 shown]
	v_mul_f32_e32 v40, 0x3fb8aa3b, v40
	v_sub_f32_e32 v41, v41, v56
	v_add_f32_e32 v51, v38, v47
	v_cndmask_b32_e64 v38, 0, v39, s[34:35]
	v_exp_f32_e32 v40, v40
	v_mul_f32_e32 v41, 0x3fb8aa3b, v41
	v_sub_f32_e32 v44, v44, v56
	v_add_f32_e32 v51, v51, v38
	v_cndmask_b32_e64 v39, 0, v50, s[36:37]
	v_exp_f32_e32 v41, v41
	;; [unrolled: 5-line block ×7, first 2 shown]
	v_mul_f32_e32 v35, 0x3fb8aa3b, v35
	v_add_f32_e32 v50, v50, v44
	v_cndmask_b32_e64 v45, 0, v45, s[12:13]
	v_exp_f32_e32 v35, v35
	v_add_f32_e32 v50, v50, v45
	v_cndmask_b32_e64 v42, 0, v42, s[6:7]
	v_add_f32_e32 v50, v50, v42
	v_cndmask_b32_e64 v43, 0, v43, s[8:9]
	v_add_f32_e32 v50, v50, v43
	v_cndmask_b32_e32 v34, 0, v34, vcc
	v_add_f32_e32 v50, v50, v34
	v_cndmask_b32_e64 v35, 0, v35, s[4:5]
	v_add_f32_e32 v50, v50, v35
	ds_bpermute_b32 v51, v57, v50
	v_cmp_gt_u32_e32 vcc, 16, v65
	s_waitcnt lgkmcnt(0)
	s_barrier
	v_add_f32_e32 v50, v50, v51
	ds_bpermute_b32 v51, v60, v50
	s_and_saveexec_b64 s[4:5], vcc
	s_cbranch_execz .LBB1315_13
; %bb.12:
	s_waitcnt lgkmcnt(0)
	v_add_f32_e32 v50, v50, v51
	v_lshlrev_b32_e32 v51, 2, v55
	ds_write2st64_b32 v51, v56, v50 offset1:1
.LBB1315_13:
	s_or_b64 exec, exec, s[4:5]
	s_waitcnt lgkmcnt(0)
	v_lshlrev_b32_e32 v51, 2, v62
	s_load_dword s6, s[0:1], 0x94
	s_waitcnt lgkmcnt(0)
	s_barrier
	ds_read2_b32 v[52:53], v51 offset1:16
	ds_read2_b32 v[56:57], v51 offset0:32 offset1:48
	ds_read2_b32 v[58:59], v51 offset0:64 offset1:80
	s_movk_i32 s8, 0x7fff
	s_lshl_b32 s7, s33, 3
	s_waitcnt lgkmcnt(2)
	v_max3_f32 v50, v52, s40, v53
	s_waitcnt lgkmcnt(1)
	v_max3_f32 v50, v50, v56, v57
	v_sub_f32_e32 v52, v52, v50
	v_mul_f32_e32 v52, 0x3fb8aa3b, v52
	v_exp_f32_e32 v55, v52
	v_sub_f32_e32 v52, v53, v50
	v_mul_f32_e32 v52, 0x3fb8aa3b, v52
	v_exp_f32_e32 v60, v52
	;; [unrolled: 3-line block ×3, first 2 shown]
	ds_read2_b32 v[52:53], v51 offset0:96 offset1:112
	v_sub_f32_e32 v51, v57, v50
	v_mul_f32_e32 v51, 0x3fb8aa3b, v51
	v_exp_f32_e32 v57, v51
	s_waitcnt lgkmcnt(1)
	v_fma_f32 v51, v55, v58, 0
	v_fmac_f32_e32 v51, v60, v59
	s_waitcnt lgkmcnt(0)
	v_fmac_f32_e32 v51, v56, v52
	v_fmac_f32_e32 v51, v57, v53
	v_add_f32_e32 v52, 0x358637bd, v51
	v_div_scale_f32 v53, s[4:5], v52, v52, 1.0
	v_rcp_f32_e32 v58, v53
	s_barrier
	v_fma_f32 v59, -v53, v58, 1.0
	v_fmac_f32_e32 v58, v59, v58
	v_div_scale_f32 v59, vcc, 1.0, v52, 1.0
	v_mul_f32_e32 v61, v59, v58
	v_fma_f32 v65, -v53, v61, v59
	v_fmac_f32_e32 v61, v65, v58
	v_fma_f32 v53, -v53, v61, v59
	v_div_fmas_f32 v53, v53, v58, v61
	v_cmp_eq_u32_e32 vcc, 1, v64
	v_div_fixup_f32 v52, v53, v52, 1.0
	s_nop 0
	v_cndmask_b32_e32 v53, v55, v60, vcc
	v_cmp_eq_u32_e32 vcc, 2, v64
	s_nop 1
	v_cndmask_b32_e32 v53, v53, v56, vcc
	v_cmp_eq_u32_e32 vcc, 3, v64
	s_nop 1
	v_cndmask_b32_e32 v53, v53, v57, vcc
	v_mul_f32_e32 v52, v53, v52
	v_pk_mul_f32 v[36:37], v[52:53], v[36:37] op_sel_hi:[0,1]
	v_pk_mul_f32 v[46:47], v[52:53], v[46:47] op_sel_hi:[0,1]
	v_bfe_u32 v53, v37, 16, 1
	v_bfe_u32 v55, v36, 16, 1
	v_add3_u32 v36, v36, v55, s8
	v_add3_u32 v37, v37, v53, s8
	v_perm_b32 v56, v37, v36, s44
	v_bfe_u32 v36, v47, 16, 1
	v_bfe_u32 v37, v46, 16, 1
	v_add3_u32 v37, v46, v37, s8
	v_add3_u32 v36, v47, v36, s8
	v_perm_b32 v57, v36, v37, s44
	v_lshlrev_b32_e32 v37, 3, v1
	v_lshlrev_b32_e32 v36, 5, v62
	;; [unrolled: 1-line block ×3, first 2 shown]
	v_pk_mul_f32 v[38:39], v[52:53], v[38:39] op_sel_hi:[0,1]
	v_or3_b32 v55, v46, v36, v37
	v_pk_mul_f32 v[46:47], v[52:53], v[48:49] op_sel_hi:[0,1]
	v_bfe_u32 v37, v39, 16, 1
	v_bfe_u32 v48, v38, 16, 1
	v_add3_u32 v38, v38, v48, s8
	v_add3_u32 v37, v39, v37, s8
	v_perm_b32 v38, v37, v38, s44
	v_bfe_u32 v37, v47, 16, 1
	v_bfe_u32 v39, v46, 16, 1
	v_add3_u32 v39, v46, v39, s8
	v_add3_u32 v37, v47, v37, s8
	v_perm_b32 v39, v37, v39, s44
	v_pk_mul_f32 v[40:41], v[52:53], v[40:41] op_sel_hi:[0,1]
	ds_write2st64_b64 v55, v[56:57], v[38:39] offset1:1
	v_pk_mul_f32 v[38:39], v[52:53], v[44:45] op_sel_hi:[0,1]
	v_bfe_u32 v37, v41, 16, 1
	v_bfe_u32 v44, v40, 16, 1
	v_add3_u32 v40, v40, v44, s8
	v_add3_u32 v37, v41, v37, s8
	v_perm_b32 v40, v37, v40, s44
	v_bfe_u32 v37, v39, 16, 1
	v_bfe_u32 v41, v38, 16, 1
	v_add3_u32 v38, v38, v41, s8
	v_add3_u32 v37, v39, v37, s8
	v_perm_b32 v41, v37, v38, s44
	v_pk_mul_f32 v[38:39], v[52:53], v[42:43] op_sel_hi:[0,1]
	v_bfe_u32 v37, v39, 16, 1
	v_bfe_u32 v42, v38, 16, 1
	v_pk_mul_f32 v[34:35], v[52:53], v[34:35] op_sel_hi:[0,1]
	v_add3_u32 v38, v38, v42, s8
	v_add3_u32 v37, v39, v37, s8
	v_perm_b32 v38, v37, v38, s44
	v_bfe_u32 v37, v35, 16, 1
	v_bfe_u32 v39, v34, 16, 1
	v_add3_u32 v34, v34, v39, s8
	v_add3_u32 v35, v35, v37, s8
	v_perm_b32 v39, v35, v34, s44
	v_cmp_gt_u32_e32 vcc, 8, v0
	ds_write2st64_b64 v55, v[40:41], v[38:39] offset0:2 offset1:3
	s_and_saveexec_b64 s[4:5], vcc
	s_cbranch_execz .LBB1315_15
; %bb.14:
	v_or_b32_e32 v34, s23, v0
	v_mov_b32_e32 v35, 0
	v_mov_b32_e32 v37, s7
	v_mad_u64_u32 v[38:39], s[10:11], s2, v37, v[34:35]
	v_mov_b32_e32 v34, s22
	s_load_dwordx4 s[12:15], s[0:1], 0x58
	s_mul_i32 s3, s3, s7
	v_mad_u64_u32 v[34:35], s[10:11], v38, s6, v[34:35]
	v_add_u32_e32 v37, s3, v39
	v_mov_b32_e32 v38, v35
	v_mad_u64_u32 v[38:39], s[10:11], v37, s6, v[38:39]
	v_mov_b32_e32 v35, v38
	v_lshlrev_b64 v[34:35], 2, v[34:35]
	s_waitcnt lgkmcnt(0)
	v_lshl_add_u64 v[38:39], s[14:15], 0, v[34:35]
	v_lshl_add_u64 v[34:35], s[12:13], 0, v[34:35]
	global_store_dword v[38:39], v50, off
	global_store_dword v[34:35], v51, off
.LBB1315_15:
	s_or_b64 exec, exec, s[4:5]
	v_lshl_or_b32 v50, v1, 9, v36
	s_waitcnt vmcnt(7)
	v_cvt_pk_f32_fp8_e32 v[34:35], v30
	v_cvt_pk_f32_fp8_sdwa v[36:37], v30 src0_sel:WORD_1
	s_mov_b32 s5, 0x7060302
	s_waitcnt lgkmcnt(0)
	s_barrier
	v_cvt_pk_f32_fp8_e32 v[38:39], v31
	v_perm_b32 v30, v35, v34, s5
	v_cvt_pk_f32_fp8_sdwa v[40:41], v31 src0_sel:WORD_1
	v_perm_b32 v31, v37, v36, s5
	ds_read_b128 v[34:37], v50
	v_perm_b32 v46, v39, v38, s5
	v_perm_b32 v47, v41, v40, s5
	ds_read_b128 v[38:41], v50 offset:16
	v_cvt_pk_f32_fp8_e32 v[48:49], v32
	v_cvt_pk_f32_fp8_sdwa v[52:53], v32 src0_sel:WORD_1
	s_waitcnt lgkmcnt(1)
	v_mfma_f32_16x16x16_bf16 v[42:45], v[30:31], v[34:35], 0
	s_waitcnt vmcnt(6)
	v_cvt_pk_f32_fp8_e32 v[56:57], v24
	v_perm_b32 v30, v49, v48, s5
	v_perm_b32 v31, v53, v52, s5
	v_cvt_pk_f32_fp8_e32 v[48:49], v33
	v_mfma_f32_16x16x16_bf16 v[42:45], v[46:47], v[36:37], v[42:45]
	v_cvt_pk_f32_fp8_sdwa v[46:47], v33 src0_sel:WORD_1
	v_cvt_pk_f32_fp8_sdwa v[58:59], v24 src0_sel:WORD_1
	v_perm_b32 v48, v49, v48, s5
	s_waitcnt lgkmcnt(0)
	v_mfma_f32_16x16x16_bf16 v[30:33], v[30:31], v[38:39], v[42:45]
	v_perm_b32 v49, v47, v46, s5
	s_waitcnt vmcnt(5)
	v_cvt_pk_f32_fp8_e32 v[60:61], v12
	v_cvt_pk_f32_fp8_sdwa v[64:65], v12 src0_sel:WORD_1
	v_cvt_pk_f32_fp8_e32 v[42:43], v22
	v_mfma_f32_16x16x16_bf16 v[46:49], v[48:49], v[40:41], v[30:33]
	s_waitcnt vmcnt(4)
	v_cvt_pk_f32_fp8_sdwa v[66:67], v4 src0_sel:WORD_1
	s_load_dword s4, s[42:43], 0x0
	v_cvt_pk_f32_fp8_sdwa v[30:31], v22 src0_sel:WORD_1
	v_cvt_pk_f32_fp8_e32 v[32:33], v23
	v_perm_b32 v22, v43, v42, s5
	v_cvt_pk_f32_fp8_sdwa v[42:43], v23 src0_sel:WORD_1
	v_perm_b32 v23, v31, v30, s5
	v_perm_b32 v52, v33, v32, s5
	ds_read_b128 v[30:33], v50 offset:2048
	v_perm_b32 v53, v43, v42, s5
	ds_read_b128 v[42:45], v50 offset:2064
	s_waitcnt lgkmcnt(0)
	v_mfma_f32_16x16x16_bf16 v[46:49], v[22:23], v[30:31], v[46:49]
	v_perm_b32 v22, v57, v56, s5
	v_perm_b32 v23, v59, v58, s5
	v_cvt_pk_f32_fp8_e32 v[56:57], v25
	v_mfma_f32_16x16x16_bf16 v[46:49], v[52:53], v[32:33], v[46:49]
	v_cvt_pk_f32_fp8_sdwa v[52:53], v25 src0_sel:WORD_1
	s_waitcnt vmcnt(3)
	v_cvt_pk_f32_fp8_sdwa v[68:69], v28 src0_sel:WORD_1
	v_perm_b32 v56, v57, v56, s5
	v_mfma_f32_16x16x16_bf16 v[22:25], v[22:23], v[42:43], v[46:49]
	v_perm_b32 v57, v53, v52, s5
	s_mov_b32 s3, 0
	v_cmp_gt_u32_e32 vcc, 64, v0
	v_cvt_pk_f32_fp8_e32 v[46:47], v10
	v_mfma_f32_16x16x16_bf16 v[56:59], v[56:57], v[44:45], v[22:25]
	s_nop 2
	v_cvt_pk_f32_fp8_sdwa v[22:23], v10 src0_sel:WORD_1
	v_cvt_pk_f32_fp8_e32 v[24:25], v11
	v_perm_b32 v10, v47, v46, s5
	v_cvt_pk_f32_fp8_sdwa v[46:47], v11 src0_sel:WORD_1
	v_perm_b32 v11, v23, v22, s5
	v_perm_b32 v52, v25, v24, s5
	ds_read_b128 v[22:25], v50 offset:4096
	v_perm_b32 v53, v47, v46, s5
	ds_read_b128 v[46:49], v50 offset:4112
	s_waitcnt lgkmcnt(1)
	v_mfma_f32_16x16x16_bf16 v[56:59], v[10:11], v[22:23], v[56:59]
	v_perm_b32 v10, v61, v60, s5
	v_perm_b32 v11, v65, v64, s5
	v_cvt_pk_f32_fp8_e32 v[60:61], v13
	v_mfma_f32_16x16x16_bf16 v[56:59], v[52:53], v[24:25], v[56:59]
	v_cvt_pk_f32_fp8_sdwa v[52:53], v13 src0_sel:WORD_1
	v_cvt_pk_f32_fp8_e32 v[64:65], v4
	v_perm_b32 v60, v61, v60, s5
	s_waitcnt lgkmcnt(0)
	v_mfma_f32_16x16x16_bf16 v[10:13], v[10:11], v[46:47], v[56:59]
	v_perm_b32 v61, v53, v52, s5
	v_cvt_pk_f32_fp8_e32 v[52:53], v2
	s_nop 0
	v_mfma_f32_16x16x16_bf16 v[56:59], v[60:61], v[48:49], v[10:13]
	s_nop 2
	v_cvt_pk_f32_fp8_sdwa v[10:11], v2 src0_sel:WORD_1
	v_cvt_pk_f32_fp8_e32 v[12:13], v3
	v_perm_b32 v2, v53, v52, s5
	v_cvt_pk_f32_fp8_sdwa v[52:53], v3 src0_sel:WORD_1
	v_perm_b32 v3, v11, v10, s5
	v_perm_b32 v60, v13, v12, s5
	ds_read_b128 v[10:13], v50 offset:6144
	v_perm_b32 v61, v53, v52, s5
	s_waitcnt lgkmcnt(0)
	v_mfma_f32_16x16x16_bf16 v[56:59], v[2:3], v[10:11], v[56:59]
	ds_read_b128 v[50:53], v50 offset:6160
	v_perm_b32 v2, v65, v64, s5
	v_perm_b32 v3, v67, v66, s5
	v_cvt_pk_f32_fp8_e32 v[64:65], v5
	v_mfma_f32_16x16x16_bf16 v[56:59], v[60:61], v[12:13], v[56:59]
	v_cvt_pk_f32_fp8_sdwa v[60:61], v5 src0_sel:WORD_1
	v_cvt_pk_f32_fp8_e32 v[66:67], v28
	v_perm_b32 v64, v65, v64, s5
	s_waitcnt lgkmcnt(0)
	v_mfma_f32_16x16x16_bf16 v[2:5], v[2:3], v[50:51], v[56:59]
	v_perm_b32 v65, v61, v60, s5
	s_barrier
	s_nop 0
	v_mfma_f32_16x16x16_bf16 v[56:59], v[64:65], v[52:53], v[2:5]
	s_nop 2
	v_cvt_pk_f32_fp8_e32 v[4:5], v26
	v_perm_b32 v4, v5, v4, s5
	s_nop 1
	v_pk_mul_f32 v[2:3], v[58:59], s[4:5] op_sel_hi:[1,0]
	v_cvt_pk_f32_fp8_sdwa v[58:59], v26 src0_sel:WORD_1
	v_pk_mul_f32 v[60:61], v[56:57], s[4:5] op_sel_hi:[1,0]
	v_cvt_pk_f32_fp8_e32 v[56:57], v27
	v_cvt_pk_f32_fp8_sdwa v[26:27], v27 src0_sel:WORD_1
	v_perm_b32 v5, v59, v58, s5
	v_perm_b32 v64, v57, v56, s5
	;; [unrolled: 1-line block ×3, first 2 shown]
	v_mfma_f32_16x16x16_bf16 v[56:59], v[4:5], v[34:35], 0
	v_perm_b32 v4, v67, v66, s5
	v_perm_b32 v5, v69, v68, s5
	v_cvt_pk_f32_fp8_e32 v[34:35], v29
	v_cvt_pk_f32_fp8_sdwa v[66:67], v29 src0_sel:WORD_1
	v_mfma_f32_16x16x16_bf16 v[26:29], v[64:65], v[36:37], v[56:59]
	s_waitcnt vmcnt(2)
	v_cvt_pk_f32_fp8_sdwa v[36:37], v18 src0_sel:WORD_1
	v_perm_b32 v34, v35, v34, s5
	v_perm_b32 v35, v67, v66, s5
	v_mfma_f32_16x16x16_bf16 v[26:29], v[4:5], v[38:39], v[26:29]
	v_cvt_pk_f32_fp8_e32 v[4:5], v18
	v_cvt_pk_f32_fp8_sdwa v[38:39], v20 src0_sel:WORD_1
	v_bfe_u32 v56, v61, 16, 1
	v_mfma_f32_16x16x16_bf16 v[26:29], v[34:35], v[40:41], v[26:29]
	v_cvt_pk_f32_fp8_e32 v[34:35], v19
	v_perm_b32 v4, v5, v4, s5
	v_perm_b32 v5, v37, v36, s5
	v_cvt_pk_f32_fp8_sdwa v[18:19], v19 src0_sel:WORD_1
	v_perm_b32 v34, v35, v34, s5
	v_cvt_pk_f32_fp8_e32 v[36:37], v20
	v_mfma_f32_16x16x16_bf16 v[26:29], v[4:5], v[30:31], v[26:29]
	v_perm_b32 v35, v19, v18, s5
	v_perm_b32 v4, v37, v36, s5
	;; [unrolled: 1-line block ×3, first 2 shown]
	v_cvt_pk_f32_fp8_e32 v[30:31], v21
	v_cvt_pk_f32_fp8_sdwa v[36:37], v21 src0_sel:WORD_1
	v_mfma_f32_16x16x16_bf16 v[18:21], v[34:35], v[32:33], v[26:29]
	v_bfe_u32 v57, v60, 16, 1
	v_add3_u32 v32, v60, v57, s8
	v_add3_u32 v33, v61, v56, s8
	v_perm_b32 v26, v31, v30, s5
	v_perm_b32 v27, v37, v36, s5
	v_mfma_f32_16x16x16_bf16 v[18:21], v[4:5], v[42:43], v[18:21]
	s_waitcnt vmcnt(1)
	v_cvt_pk_f32_fp8_e32 v[4:5], v14
	v_cvt_pk_f32_fp8_sdwa v[28:29], v14 src0_sel:WORD_1
	v_cvt_pk_f32_fp8_sdwa v[30:31], v16 src0_sel:WORD_1
	v_mfma_f32_16x16x16_bf16 v[18:21], v[26:27], v[44:45], v[18:21]
	v_cvt_pk_f32_fp8_e32 v[26:27], v15
	v_perm_b32 v4, v5, v4, s5
	v_perm_b32 v5, v29, v28, s5
	v_cvt_pk_f32_fp8_sdwa v[14:15], v15 src0_sel:WORD_1
	v_perm_b32 v26, v27, v26, s5
	v_cvt_pk_f32_fp8_e32 v[28:29], v16
	v_mfma_f32_16x16x16_bf16 v[18:21], v[4:5], v[22:23], v[18:21]
	v_perm_b32 v27, v15, v14, s5
	v_perm_b32 v4, v29, v28, s5
	;; [unrolled: 1-line block ×3, first 2 shown]
	v_cvt_pk_f32_fp8_e32 v[22:23], v17
	v_cvt_pk_f32_fp8_sdwa v[28:29], v17 src0_sel:WORD_1
	v_mfma_f32_16x16x16_bf16 v[14:17], v[26:27], v[24:25], v[18:21]
	s_waitcnt vmcnt(0)
	v_cvt_pk_f32_fp8_sdwa v[24:25], v8 src0_sel:WORD_1
	s_nop 0
	v_perm_b32 v20, v23, v22, s5
	v_perm_b32 v21, v29, v28, s5
	v_mfma_f32_16x16x16_bf16 v[14:17], v[4:5], v[46:47], v[14:17]
	v_cvt_pk_f32_fp8_e32 v[4:5], v6
	v_cvt_pk_f32_fp8_sdwa v[22:23], v6 src0_sel:WORD_1
	v_bfe_u32 v19, v3, 16, 1
	v_mfma_f32_16x16x16_bf16 v[14:17], v[20:21], v[48:49], v[14:17]
	v_cvt_pk_f32_fp8_e32 v[20:21], v7
	v_perm_b32 v4, v5, v4, s5
	v_perm_b32 v5, v23, v22, s5
	v_cvt_pk_f32_fp8_sdwa v[6:7], v7 src0_sel:WORD_1
	v_perm_b32 v20, v21, v20, s5
	v_cvt_pk_f32_fp8_e32 v[22:23], v8
	v_add3_u32 v3, v3, v19, s8
	v_perm_b32 v21, v7, v6, s5
	v_mfma_f32_16x16x16_bf16 v[4:7], v[4:5], v[10:11], v[14:17]
	v_perm_b32 v10, v23, v22, s5
	v_perm_b32 v11, v25, v24, s5
	v_perm_b32 v18, v33, v32, s5
	v_cvt_pk_f32_fp8_e32 v[14:15], v9
	v_cvt_pk_f32_fp8_sdwa v[8:9], v9 src0_sel:WORD_1
	v_mfma_f32_16x16x16_bf16 v[4:7], v[20:21], v[12:13], v[4:7]
	v_bfe_u32 v16, v2, 16, 1
	v_perm_b32 v12, v15, v14, s5
	v_perm_b32 v13, v9, v8, s5
	v_mfma_f32_16x16x16_bf16 v[4:7], v[10:11], v[50:51], v[4:7]
	v_add3_u32 v2, v2, v16, s8
	v_perm_b32 v19, v3, v2, s5
	v_mfma_f32_16x16x16_bf16 v[2:5], v[12:13], v[52:53], v[4:7]
	s_nop 6
	v_pk_mul_f32 v[2:3], v[2:3], s[4:5] op_sel_hi:[1,0]
	v_pk_mul_f32 v[4:5], v[4:5], s[4:5] op_sel_hi:[1,0]
	v_bfe_u32 v6, v3, 16, 1
	v_bfe_u32 v7, v2, 16, 1
	v_add3_u32 v2, v2, v7, s8
	v_add3_u32 v3, v3, v6, s8
	v_perm_b32 v2, v3, v2, s5
	v_bfe_u32 v3, v5, 16, 1
	v_bfe_u32 v6, v4, 16, 1
	v_add3_u32 v4, v4, v6, s8
	v_add3_u32 v3, v5, v3, s8
	v_perm_b32 v3, v3, v4, s5
	ds_write2st64_b64 v55, v[18:19], v[2:3] offset1:1
	s_waitcnt lgkmcnt(0)
	s_barrier
	s_and_saveexec_b64 s[4:5], vcc
	s_cbranch_execz .LBB1315_17
; %bb.16:
	s_load_dwordx2 s[0:1], s[0:1], 0x68
	s_lshl_b32 s6, s6, 7
	s_mul_i32 s2, s7, s2
	s_mul_hi_u32 s5, s2, s6
	s_mul_i32 s4, s2, s6
	v_lshlrev_b32_e32 v4, 6, v62
	s_lshl_b64 s[4:5], s[4:5], 1
	v_lshl_or_b32 v0, v0, 10, v4
	s_waitcnt lgkmcnt(0)
	s_add_u32 s4, s0, s4
	v_lshlrev_b32_e32 v2, 5, v1
	v_and_b32_e32 v3, 16, v63
	v_and_b32_e32 v0, 0x1a00, v0
	s_addc_u32 s5, s1, s5
	s_lshl_b32 s2, s22, 7
	v_or3_b32 v0, v0, v2, v3
	s_lshl_b64 s[0:1], s[2:3], 1
	ds_read_b128 v[2:5], v0
	ds_read_b128 v[6:9], v0 offset:128
	s_add_u32 s0, s4, s0
	s_addc_u32 s1, s5, s1
	v_mov_b32_e32 v55, 0
	v_or_b32_e32 v12, s23, v1
	v_lshl_add_u64 v[10:11], s[0:1], 0, v[54:55]
	v_mad_u64_u32 v[0:1], s[0:1], v12, s6, 0
	v_lshl_add_u64 v[0:1], v[0:1], 1, v[10:11]
	s_waitcnt lgkmcnt(1)
	global_store_dwordx4 v[0:1], v[2:5], off
	v_or_b32_e32 v0, 4, v12
	v_mad_u64_u32 v[0:1], s[0:1], v0, s6, 0
	v_lshl_add_u64 v[0:1], v[0:1], 1, v[10:11]
	s_waitcnt lgkmcnt(0)
	global_store_dwordx4 v[0:1], v[6:9], off
.LBB1315_17:
	s_endpgm
	.section	.rodata,"a",@progbits
	.p2align	6, 0x0
	.amdhsa_kernel _Z39paged_attention_ll4mi_QKV_mfma16_kernelI14__hip_bfloat16hLN4vllm18Fp8KVCacheDataTypeE1ES0_Li16ELi128ELi256ELb0ELi8EEvPKT_PKT0_S8_ifPKiSA_SA_iPKfiiiPfSD_PS3_PT2_iSC_SC_
		.amdhsa_group_segment_fixed_size 8192
		.amdhsa_private_segment_fixed_size 0
		.amdhsa_kernarg_size 400
		.amdhsa_user_sgpr_count 2
		.amdhsa_user_sgpr_dispatch_ptr 0
		.amdhsa_user_sgpr_queue_ptr 0
		.amdhsa_user_sgpr_kernarg_segment_ptr 1
		.amdhsa_user_sgpr_dispatch_id 0
		.amdhsa_user_sgpr_kernarg_preload_length 0
		.amdhsa_user_sgpr_kernarg_preload_offset 0
		.amdhsa_user_sgpr_private_segment_size 0
		.amdhsa_uses_dynamic_stack 0
		.amdhsa_enable_private_segment 0
		.amdhsa_system_sgpr_workgroup_id_x 1
		.amdhsa_system_sgpr_workgroup_id_y 1
		.amdhsa_system_sgpr_workgroup_id_z 1
		.amdhsa_system_sgpr_workgroup_info 0
		.amdhsa_system_vgpr_workitem_id 0
		.amdhsa_next_free_vgpr 90
		.amdhsa_next_free_sgpr 48
		.amdhsa_accum_offset 92
		.amdhsa_reserve_vcc 1
		.amdhsa_float_round_mode_32 0
		.amdhsa_float_round_mode_16_64 0
		.amdhsa_float_denorm_mode_32 3
		.amdhsa_float_denorm_mode_16_64 3
		.amdhsa_dx10_clamp 1
		.amdhsa_ieee_mode 1
		.amdhsa_fp16_overflow 0
		.amdhsa_tg_split 0
		.amdhsa_exception_fp_ieee_invalid_op 0
		.amdhsa_exception_fp_denorm_src 0
		.amdhsa_exception_fp_ieee_div_zero 0
		.amdhsa_exception_fp_ieee_overflow 0
		.amdhsa_exception_fp_ieee_underflow 0
		.amdhsa_exception_fp_ieee_inexact 0
		.amdhsa_exception_int_div_zero 0
	.end_amdhsa_kernel
	.section	.text._Z39paged_attention_ll4mi_QKV_mfma16_kernelI14__hip_bfloat16hLN4vllm18Fp8KVCacheDataTypeE1ES0_Li16ELi128ELi256ELb0ELi8EEvPKT_PKT0_S8_ifPKiSA_SA_iPKfiiiPfSD_PS3_PT2_iSC_SC_,"axG",@progbits,_Z39paged_attention_ll4mi_QKV_mfma16_kernelI14__hip_bfloat16hLN4vllm18Fp8KVCacheDataTypeE1ES0_Li16ELi128ELi256ELb0ELi8EEvPKT_PKT0_S8_ifPKiSA_SA_iPKfiiiPfSD_PS3_PT2_iSC_SC_,comdat
.Lfunc_end1315:
	.size	_Z39paged_attention_ll4mi_QKV_mfma16_kernelI14__hip_bfloat16hLN4vllm18Fp8KVCacheDataTypeE1ES0_Li16ELi128ELi256ELb0ELi8EEvPKT_PKT0_S8_ifPKiSA_SA_iPKfiiiPfSD_PS3_PT2_iSC_SC_, .Lfunc_end1315-_Z39paged_attention_ll4mi_QKV_mfma16_kernelI14__hip_bfloat16hLN4vllm18Fp8KVCacheDataTypeE1ES0_Li16ELi128ELi256ELb0ELi8EEvPKT_PKT0_S8_ifPKiSA_SA_iPKfiiiPfSD_PS3_PT2_iSC_SC_
                                        ; -- End function
	.section	.AMDGPU.csdata,"",@progbits
; Kernel info:
; codeLenInByte = 6268
; NumSgprs: 54
; NumVgprs: 90
; NumAgprs: 0
; TotalNumVgprs: 90
; ScratchSize: 0
; MemoryBound: 0
; FloatMode: 240
; IeeeMode: 1
; LDSByteSize: 8192 bytes/workgroup (compile time only)
; SGPRBlocks: 6
; VGPRBlocks: 11
; NumSGPRsForWavesPerEU: 54
; NumVGPRsForWavesPerEU: 90
; AccumOffset: 92
; Occupancy: 5
; WaveLimiterHint : 1
; COMPUTE_PGM_RSRC2:SCRATCH_EN: 0
; COMPUTE_PGM_RSRC2:USER_SGPR: 2
; COMPUTE_PGM_RSRC2:TRAP_HANDLER: 0
; COMPUTE_PGM_RSRC2:TGID_X_EN: 1
; COMPUTE_PGM_RSRC2:TGID_Y_EN: 1
; COMPUTE_PGM_RSRC2:TGID_Z_EN: 1
; COMPUTE_PGM_RSRC2:TIDIG_COMP_CNT: 0
; COMPUTE_PGM_RSRC3_GFX90A:ACCUM_OFFSET: 22
; COMPUTE_PGM_RSRC3_GFX90A:TG_SPLIT: 0
	.section	.text._Z39paged_attention_ll4mi_QKV_mfma16_kernelI14__hip_bfloat16hLN4vllm18Fp8KVCacheDataTypeE1ES0_Li16ELi128ELi256ELb0ELi9EEvPKT_PKT0_S8_ifPKiSA_SA_iPKfiiiPfSD_PS3_PT2_iSC_SC_,"axG",@progbits,_Z39paged_attention_ll4mi_QKV_mfma16_kernelI14__hip_bfloat16hLN4vllm18Fp8KVCacheDataTypeE1ES0_Li16ELi128ELi256ELb0ELi9EEvPKT_PKT0_S8_ifPKiSA_SA_iPKfiiiPfSD_PS3_PT2_iSC_SC_,comdat
	.protected	_Z39paged_attention_ll4mi_QKV_mfma16_kernelI14__hip_bfloat16hLN4vllm18Fp8KVCacheDataTypeE1ES0_Li16ELi128ELi256ELb0ELi9EEvPKT_PKT0_S8_ifPKiSA_SA_iPKfiiiPfSD_PS3_PT2_iSC_SC_ ; -- Begin function _Z39paged_attention_ll4mi_QKV_mfma16_kernelI14__hip_bfloat16hLN4vllm18Fp8KVCacheDataTypeE1ES0_Li16ELi128ELi256ELb0ELi9EEvPKT_PKT0_S8_ifPKiSA_SA_iPKfiiiPfSD_PS3_PT2_iSC_SC_
	.globl	_Z39paged_attention_ll4mi_QKV_mfma16_kernelI14__hip_bfloat16hLN4vllm18Fp8KVCacheDataTypeE1ES0_Li16ELi128ELi256ELb0ELi9EEvPKT_PKT0_S8_ifPKiSA_SA_iPKfiiiPfSD_PS3_PT2_iSC_SC_
	.p2align	8
	.type	_Z39paged_attention_ll4mi_QKV_mfma16_kernelI14__hip_bfloat16hLN4vllm18Fp8KVCacheDataTypeE1ES0_Li16ELi128ELi256ELb0ELi9EEvPKT_PKT0_S8_ifPKiSA_SA_iPKfiiiPfSD_PS3_PT2_iSC_SC_,@function
_Z39paged_attention_ll4mi_QKV_mfma16_kernelI14__hip_bfloat16hLN4vllm18Fp8KVCacheDataTypeE1ES0_Li16ELi128ELi256ELb0ELi9EEvPKT_PKT0_S8_ifPKiSA_SA_iPKfiiiPfSD_PS3_PT2_iSC_SC_: ; @_Z39paged_attention_ll4mi_QKV_mfma16_kernelI14__hip_bfloat16hLN4vllm18Fp8KVCacheDataTypeE1ES0_Li16ELi128ELi256ELb0ELi9EEvPKT_PKT0_S8_ifPKiSA_SA_iPKfiiiPfSD_PS3_PT2_iSC_SC_
; %bb.0:
	s_load_dwordx2 s[12:13], s[0:1], 0x30
	s_mov_b32 s24, s3
	s_mov_b64 s[6:7], 0
	s_waitcnt lgkmcnt(0)
	s_cmp_lg_u64 s[12:13], 0
	s_cselect_b64 s[14:15], -1, 0
	s_and_b64 vcc, exec, s[14:15]
	s_cbranch_vccz .LBB1316_7
; %bb.1:
	s_add_i32 s8, s2, 1
	s_mov_b32 s9, 0
	s_lshl_b64 s[10:11], s[8:9], 2
	s_add_u32 s10, s12, s10
	s_mov_b32 s3, s9
	s_addc_u32 s11, s13, s11
	s_lshl_b64 s[8:9], s[2:3], 2
	s_add_u32 s8, s12, s8
	s_addc_u32 s9, s13, s9
	s_load_dword s5, s[10:11], 0x0
	s_load_dword s16, s[8:9], 0x0
	s_waitcnt lgkmcnt(0)
	s_sub_i32 s5, s5, s16
	s_cmp_eq_u32 s5, 1
	s_cselect_b64 s[8:9], -1, 0
	s_andn2_b64 vcc, exec, s[6:7]
	s_cbranch_vccnz .LBB1316_3
.LBB1316_2:
	s_mov_b32 s3, 0
	s_mov_b64 s[8:9], -1
.LBB1316_3:
	s_andn2_b64 vcc, exec, s[8:9]
	s_cbranch_vccnz .LBB1316_18
; %bb.4:
	s_load_dwordx2 s[6:7], s[0:1], 0x28
	s_lshl_b64 s[16:17], s[2:3], 2
	s_waitcnt lgkmcnt(0)
	s_add_u32 s6, s6, s16
	s_addc_u32 s7, s7, s17
	s_load_dword s33, s[6:7], 0x0
	s_lshl_b32 s18, s24, 8
	s_waitcnt lgkmcnt(0)
	s_cmp_ge_i32 s18, s33
	s_cbranch_scc1 .LBB1316_18
; %bb.5:
	s_load_dwordx2 s[6:7], s[0:1], 0x20
	s_load_dword s8, s[0:1], 0x38
	s_add_i32 s5, s33, 15
	s_ashr_i32 s9, s5, 31
	v_and_b32_e32 v1, 0xcf, v0
	s_lshr_b32 s9, s9, 28
	v_add_u32_e32 v1, s18, v1
	s_add_i32 s5, s5, s9
	v_ashrrev_i32_e32 v2, 31, v1
	s_ashr_i32 s5, s5, 4
	v_lshrrev_b32_e32 v10, 28, v2
	s_add_i32 s5, s5, -1
	s_waitcnt lgkmcnt(0)
	s_mul_i32 s8, s2, s8
	s_mov_b32 s9, 0
	v_add_u32_e32 v2, v1, v10
	s_lshl_b64 s[8:9], s[8:9], 2
	v_ashrrev_i32_e32 v2, 4, v2
	v_mov_b32_e32 v11, s5
	v_cmp_gt_i32_e32 vcc, s33, v1
	s_add_u32 s6, s6, s8
	s_addc_u32 s7, s7, s9
	v_cndmask_b32_e32 v2, v11, v2, vcc
	v_ashrrev_i32_e32 v3, 31, v2
	v_lshl_add_u64 v[4:5], v[2:3], 2, s[6:7]
	v_or_b32_e32 v2, 16, v1
	v_add_u32_e32 v3, v2, v10
	v_ashrrev_i32_e32 v3, 4, v3
	v_cmp_gt_i32_e32 vcc, s33, v2
	s_load_dwordx4 s[8:11], s[0:1], 0x8
	s_nop 0
	v_cndmask_b32_e32 v2, v11, v3, vcc
	v_ashrrev_i32_e32 v3, 31, v2
	v_lshl_add_u64 v[6:7], v[2:3], 2, s[6:7]
	v_or_b32_e32 v2, 32, v1
	v_add_u32_e32 v3, v2, v10
	v_ashrrev_i32_e32 v3, 4, v3
	v_cmp_gt_i32_e32 vcc, s33, v2
	v_or_b32_e32 v1, 48, v1
	s_nop 0
	v_cndmask_b32_e32 v2, v11, v3, vcc
	v_ashrrev_i32_e32 v3, 31, v2
	v_lshl_add_u64 v[8:9], v[2:3], 2, s[6:7]
	v_add_u32_e32 v2, v1, v10
	v_ashrrev_i32_e32 v2, 4, v2
	v_cmp_gt_i32_e32 vcc, s33, v1
	s_nop 1
	v_cndmask_b32_e32 v2, v11, v2, vcc
	v_ashrrev_i32_e32 v3, 31, v2
	v_lshl_add_u64 v[10:11], v[2:3], 2, s[6:7]
	global_load_dword v3, v[4:5], off
	global_load_dword v2, v[6:7], off
	;; [unrolled: 1-line block ×4, first 2 shown]
	s_andn2_b64 vcc, exec, s[14:15]
	s_cbranch_vccnz .LBB1316_8
; %bb.6:
	s_add_u32 s12, s12, s16
	s_addc_u32 s13, s13, s17
	s_load_dword s14, s[12:13], 0x0
	s_branch .LBB1316_9
.LBB1316_7:
	s_mov_b64 s[8:9], 0
	s_branch .LBB1316_2
.LBB1316_8:
	s_mov_b32 s14, s2
.LBB1316_9:
	s_load_dwordx4 s[44:47], s[0:1], 0x48
	v_lshrrev_b32_e32 v61, 6, v0
	v_bfe_u32 v64, v0, 4, 2
	v_and_b32_e32 v60, 15, v0
	v_lshl_or_b32 v4, v61, 2, v64
	v_lshlrev_b32_e32 v1, 3, v60
	v_and_b32_e32 v65, 63, v0
	s_mul_i32 s48, s4, 9
	v_cmp_gt_u32_e32 vcc, 9, v4
	v_lshlrev_b32_e32 v58, 1, v1
	v_lshlrev_b32_e32 v1, 4, v0
	s_and_saveexec_b64 s[12:13], vcc
	s_cbranch_execz .LBB1316_11
; %bb.10:
	s_load_dwordx2 s[16:17], s[0:1], 0x0
	s_waitcnt lgkmcnt(0)
	s_ashr_i32 s15, s44, 31
	s_mul_hi_u32 s19, s14, s44
	s_mul_i32 s15, s14, s15
	s_add_i32 s15, s19, s15
	s_mul_i32 s14, s14, s44
	s_lshl_b64 s[14:15], s[14:15], 1
	s_add_u32 s14, s16, s14
	v_add_lshl_u32 v6, v4, s48, 7
	s_addc_u32 s15, s17, s15
	v_ashrrev_i32_e32 v7, 31, v6
	v_lshl_add_u64 v[6:7], v[6:7], 1, s[14:15]
	v_mov_b32_e32 v59, 0
	v_lshl_add_u64 v[6:7], v[6:7], 0, v[58:59]
	global_load_dwordx4 v[6:9], v[6:7], off
	v_lshlrev_b32_e32 v10, 8, v0
	v_lshlrev_b32_e32 v5, 8, v60
	v_and_b32_e32 v10, 0x600, v10
	s_movk_i32 s14, 0x800
	v_and_or_b32 v5, v5, s14, v10
	v_lshlrev_b32_e32 v4, 5, v4
	v_and_b32_e32 v10, 16, v1
	v_or3_b32 v4, v5, v4, v10
	s_waitcnt vmcnt(0)
	ds_write_b128 v4, v[6:9]
.LBB1316_11:
	s_or_b64 exec, exec, s[12:13]
	s_waitcnt lgkmcnt(0)
	s_mul_i32 s4, s4, s46
	s_add_u32 s8, s8, s4
	s_addc_u32 s9, s9, 0
	v_and_b32_e32 v62, 0xf0, v1
	v_mov_b32_e32 v63, 0
	v_and_b32_e32 v6, 48, v0
	v_lshl_add_u64 v[30:31], s[8:9], 0, v[62:63]
	v_lshlrev_b32_e32 v62, 4, v6
	s_waitcnt vmcnt(3)
	v_mad_i64_i32 v[4:5], s[8:9], v3, s45, v[30:31]
	v_lshl_add_u64 v[4:5], v[4:5], 0, v[62:63]
	s_load_dword s25, s[0:1], 0x98
	s_load_dwordx4 s[40:43], s[0:1], 0x80
	s_waitcnt lgkmcnt(0)
	s_barrier
	global_load_dwordx4 v[22:25], v[4:5], off
	global_load_dwordx4 v[14:17], v[4:5], off offset:1024
	s_waitcnt vmcnt(4)
	v_mad_i64_i32 v[2:3], s[8:9], v2, s45, v[30:31]
	v_lshl_add_u64 v[32:33], v[2:3], 0, v[62:63]
	global_load_dwordx4 v[2:5], v[32:33], off
	v_add_u32_e32 v7, -9, v60
	v_cmp_gt_u32_e32 vcc, 9, v60
	v_or_b32_e32 v6, s18, v6
	v_mov_b32_e32 v41, s5
	v_cndmask_b32_e32 v7, v7, v60, vcc
	v_lshlrev_b32_e32 v7, 5, v7
	v_ashrrev_i32_e32 v8, 4, v6
	v_lshl_add_u32 v7, v64, 9, v7
	v_cmp_gt_i32_e32 vcc, s33, v6
	v_or_b32_e32 v40, 64, v6
	v_or_b32_e32 v42, 0x80, v6
	;; [unrolled: 1-line block ×3, first 2 shown]
	v_cndmask_b32_e32 v38, v41, v8, vcc
	ds_read_b128 v[26:29], v7
	ds_read_b128 v[18:21], v7 offset:16
	ds_read_b128 v[10:13], v7 offset:2048
	;; [unrolled: 1-line block ×3, first 2 shown]
	s_waitcnt vmcnt(4)
	v_mad_i64_i32 v[36:37], s[12:13], v34, s45, v[30:31]
	s_waitcnt vmcnt(3)
	v_mad_i64_i32 v[34:35], s[12:13], v35, s45, v[30:31]
	global_load_dwordx4 v[30:33], v[32:33], off offset:1024
	v_ashrrev_i32_e32 v44, 4, v40
	v_cmp_gt_i32_e32 vcc, s33, v40
	v_ashrrev_i32_e32 v45, 4, v42
	v_ashrrev_i32_e32 v46, 4, v43
	v_cndmask_b32_e32 v40, v41, v44, vcc
	v_cmp_gt_i32_e32 vcc, s33, v42
	v_ashrrev_i32_e32 v39, 31, v38
	v_lshl_add_u64 v[36:37], v[36:37], 0, v[62:63]
	v_cndmask_b32_e32 v42, v41, v45, vcc
	v_cmp_gt_i32_e32 vcc, s33, v43
	v_lshl_add_u64 v[34:35], v[34:35], 0, v[62:63]
	v_ashrrev_i32_e32 v43, 31, v42
	v_cndmask_b32_e32 v44, v41, v46, vcc
	v_ashrrev_i32_e32 v41, 31, v40
	v_ashrrev_i32_e32 v45, 31, v44
	v_lshl_add_u64 v[50:51], v[38:39], 2, s[6:7]
	v_lshl_add_u64 v[52:53], v[40:41], 2, s[6:7]
	;; [unrolled: 1-line block ×4, first 2 shown]
	global_load_dwordx4 v[46:49], v[36:37], off
	global_load_dwordx4 v[42:45], v[36:37], off offset:1024
	global_load_dwordx4 v[38:41], v[34:35], off
	s_nop 0
	global_load_dwordx4 v[34:37], v[34:35], off offset:1024
	s_nop 0
	global_load_dword v69, v[50:51], off
	global_load_dword v68, v[52:53], off
	;; [unrolled: 1-line block ×4, first 2 shown]
	s_mov_b32 s44, 0x7060302
	s_add_u32 s4, s10, s4
	v_lshl_or_b32 v59, v61, 4, v60
	s_addc_u32 s5, s11, 0
	v_lshlrev_b32_e32 v62, 4, v59
	s_load_dword s8, s[0:1], 0x1c
	s_waitcnt vmcnt(11)
	v_cvt_pk_f32_fp8_e32 v[50:51], v22
	v_cvt_pk_f32_fp8_sdwa v[52:53], v22 src0_sel:WORD_1
	v_cvt_pk_f32_fp8_e32 v[54:55], v23
	v_cvt_pk_f32_fp8_sdwa v[22:23], v23 src0_sel:WORD_1
	s_waitcnt vmcnt(10)
	v_cvt_pk_f32_fp8_e32 v[76:77], v14
	v_cvt_pk_f32_fp8_sdwa v[78:79], v14 src0_sel:WORD_1
	v_cvt_pk_f32_fp8_e32 v[80:81], v15
	v_cvt_pk_f32_fp8_sdwa v[82:83], v15 src0_sel:WORD_1
	v_perm_b32 v14, v51, v50, s44
	v_perm_b32 v15, v53, v52, s44
	v_cvt_pk_f32_fp8_e32 v[56:57], v24
	v_cvt_pk_f32_fp8_sdwa v[70:71], v24 src0_sel:WORD_1
	v_perm_b32 v54, v55, v54, s44
	v_perm_b32 v55, v23, v22, s44
	v_cvt_pk_f32_fp8_e32 v[72:73], v25
	v_cvt_pk_f32_fp8_sdwa v[74:75], v25 src0_sel:WORD_1
	s_waitcnt lgkmcnt(0)
	v_mfma_f32_16x16x16_bf16 v[22:25], v[14:15], v[26:27], 0
	v_perm_b32 v14, v57, v56, s44
	v_perm_b32 v15, v71, v70, s44
	;; [unrolled: 1-line block ×3, first 2 shown]
	v_mfma_f32_16x16x16_bf16 v[22:25], v[54:55], v[28:29], v[22:25]
	v_perm_b32 v57, v75, v74, s44
	v_cvt_pk_f32_fp8_e32 v[50:51], v16
	v_cvt_pk_f32_fp8_sdwa v[52:53], v16 src0_sel:WORD_1
	v_cvt_pk_f32_fp8_e32 v[84:85], v17
	v_cvt_pk_f32_fp8_sdwa v[54:55], v17 src0_sel:WORD_1
	v_mfma_f32_16x16x16_bf16 v[14:17], v[14:15], v[18:19], v[22:25]
	v_perm_b32 v70, v81, v80, s44
	v_perm_b32 v71, v83, v82, s44
	;; [unrolled: 1-line block ×5, first 2 shown]
	v_mfma_f32_16x16x16_bf16 v[14:17], v[56:57], v[20:21], v[14:17]
	s_waitcnt vmcnt(9)
	v_cvt_pk_f32_fp8_e32 v[22:23], v2
	v_cvt_pk_f32_fp8_sdwa v[56:57], v2 src0_sel:WORD_1
	v_perm_b32 v51, v53, v52, s44
	v_mfma_f32_16x16x16_bf16 v[14:17], v[24:25], v[10:11], v[14:17]
	v_cvt_pk_f32_fp8_e32 v[24:25], v3
	v_cvt_pk_f32_fp8_sdwa v[2:3], v3 src0_sel:WORD_1
	v_perm_b32 v52, v85, v84, s44
	v_mfma_f32_16x16x16_bf16 v[14:17], v[70:71], v[12:13], v[14:17]
	v_perm_b32 v53, v55, v54, s44
	v_perm_b32 v22, v23, v22, s44
	;; [unrolled: 1-line block ×3, first 2 shown]
	v_mfma_f32_16x16x16_bf16 v[14:17], v[50:51], v[6:7], v[14:17]
	v_cvt_pk_f32_fp8_e32 v[54:55], v4
	v_cvt_pk_f32_fp8_sdwa v[56:57], v4 src0_sel:WORD_1
	v_perm_b32 v24, v25, v24, s44
	v_perm_b32 v25, v3, v2, s44
	v_mfma_f32_16x16x16_bf16 v[50:53], v[52:53], v[8:9], v[14:17]
	s_waitcnt vmcnt(7)
	v_cvt_pk_f32_fp8_e32 v[72:73], v49
	v_lshl_add_u64 v[70:71], s[4:5], 0, v[62:63]
	s_waitcnt vmcnt(6)
	v_cvt_pk_f32_fp8_sdwa v[76:77], v44 src0_sel:WORD_1
	v_mfma_f32_16x16x16_bf16 v[14:17], v[22:23], v[26:27], 0
	v_perm_b32 v22, v55, v54, s44
	v_perm_b32 v23, v57, v56, s44
	v_cvt_pk_f32_fp8_e32 v[54:55], v5
	v_cvt_pk_f32_fp8_sdwa v[56:57], v5 src0_sel:WORD_1
	v_mfma_f32_16x16x16_bf16 v[2:5], v[24:25], v[28:29], v[14:17]
	v_cvt_pk_f32_fp8_e32 v[24:25], v32
	v_or_b32_e32 v62, 0x400, v62
	s_nop 0
	v_perm_b32 v14, v55, v54, s44
	v_perm_b32 v15, v57, v56, s44
	v_mfma_f32_16x16x16_bf16 v[2:5], v[22:23], v[18:19], v[2:5]
	v_cvt_pk_f32_fp8_e32 v[16:17], v30
	v_cvt_pk_f32_fp8_sdwa v[22:23], v30 src0_sel:WORD_1
	v_perm_b32 v16, v17, v16, s44
	v_mfma_f32_16x16x16_bf16 v[2:5], v[14:15], v[20:21], v[2:5]
	v_cvt_pk_f32_fp8_e32 v[14:15], v31
	v_perm_b32 v17, v23, v22, s44
	v_cvt_pk_f32_fp8_sdwa v[22:23], v31 src0_sel:WORD_1
	v_cvt_pk_f32_fp8_sdwa v[30:31], v32 src0_sel:WORD_1
	v_perm_b32 v14, v15, v14, s44
	v_mfma_f32_16x16x16_bf16 v[2:5], v[16:17], v[10:11], v[2:5]
	v_perm_b32 v15, v23, v22, s44
	v_perm_b32 v16, v25, v24, s44
	;; [unrolled: 1-line block ×3, first 2 shown]
	v_cvt_pk_f32_fp8_e32 v[22:23], v33
	v_cvt_pk_f32_fp8_sdwa v[24:25], v33 src0_sel:WORD_1
	v_mfma_f32_16x16x16_bf16 v[2:5], v[14:15], v[12:13], v[2:5]
	v_perm_b32 v14, v23, v22, s44
	v_perm_b32 v15, v25, v24, s44
	v_mfma_f32_16x16x16_bf16 v[2:5], v[16:17], v[6:7], v[2:5]
	v_cvt_pk_f32_fp8_e32 v[16:17], v46
	v_cvt_pk_f32_fp8_sdwa v[22:23], v46 src0_sel:WORD_1
	v_cvt_pk_f32_fp8_sdwa v[24:25], v48 src0_sel:WORD_1
	v_mfma_f32_16x16x16_bf16 v[54:57], v[14:15], v[8:9], v[2:5]
	v_cvt_pk_f32_fp8_sdwa v[14:15], v47 src0_sel:WORD_1
	s_nop 1
	v_perm_b32 v2, v17, v16, s44
	v_perm_b32 v3, v23, v22, s44
	v_cvt_pk_f32_fp8_e32 v[4:5], v47
	v_perm_b32 v23, v15, v14, s44
	v_cvt_pk_f32_fp8_e32 v[14:15], v48
	v_cvt_pk_f32_fp8_sdwa v[48:49], v49 src0_sel:WORD_1
	v_perm_b32 v22, v5, v4, s44
	v_mfma_f32_16x16x16_bf16 v[2:5], v[2:3], v[26:27], 0
	v_perm_b32 v14, v15, v14, s44
	v_perm_b32 v15, v25, v24, s44
	s_waitcnt vmcnt(3)
	v_mad_i64_i32 v[16:17], s[6:7], v69, s45, v[70:71]
	v_mfma_f32_16x16x16_bf16 v[2:5], v[22:23], v[28:29], v[2:5]
	s_waitcnt vmcnt(2)
	v_mad_i64_i32 v[46:47], s[6:7], v68, s45, v[70:71]
	global_load_dwordx4 v[30:33], v[16:17], off
	global_load_dwordx4 v[22:25], v[46:47], off
	v_perm_b32 v16, v73, v72, s44
	v_perm_b32 v17, v49, v48, s44
	v_mfma_f32_16x16x16_bf16 v[2:5], v[14:15], v[18:19], v[2:5]
	v_cvt_pk_f32_fp8_e32 v[14:15], v42
	v_cvt_pk_f32_fp8_sdwa v[46:47], v42 src0_sel:WORD_1
	s_waitcnt vmcnt(3)
	v_mad_i64_i32 v[72:73], s[6:7], v67, s45, v[70:71]
	v_mfma_f32_16x16x16_bf16 v[2:5], v[16:17], v[20:21], v[2:5]
	v_perm_b32 v14, v15, v14, s44
	v_perm_b32 v15, v47, v46, s44
	v_cvt_pk_f32_fp8_e32 v[16:17], v43
	v_cvt_pk_f32_fp8_sdwa v[42:43], v43 src0_sel:WORD_1
	v_mfma_f32_16x16x16_bf16 v[46:49], v[14:15], v[10:11], v[2:5]
	v_perm_b32 v74, v17, v16, s44
	v_perm_b32 v75, v43, v42, s44
	v_cvt_pk_f32_fp8_e32 v[42:43], v44
	s_waitcnt vmcnt(2)
	v_mad_i64_i32 v[70:71], s[6:7], v66, s45, v[70:71]
	global_load_dwordx4 v[14:17], v[72:73], off
	global_load_dwordx4 v[2:5], v[70:71], off
	v_perm_b32 v70, v43, v42, s44
	v_perm_b32 v71, v77, v76, s44
	v_cvt_pk_f32_fp8_e32 v[72:73], v45
	v_cvt_pk_f32_fp8_sdwa v[76:77], v45 src0_sel:WORD_1
	v_mfma_f32_16x16x16_bf16 v[44:47], v[74:75], v[12:13], v[46:49]
	v_lshl_add_u64 v[42:43], s[4:5], 0, v[62:63]
	v_cvt_pk_f32_fp8_e32 v[62:63], v38
	s_load_dword s4, s[40:41], 0x0
	v_perm_b32 v48, v73, v72, s44
	v_perm_b32 v49, v77, v76, s44
	v_mfma_f32_16x16x16_bf16 v[44:47], v[70:71], v[6:7], v[44:47]
	v_cvt_pk_f32_fp8_sdwa v[70:71], v38 src0_sel:WORD_1
	v_perm_b32 v62, v63, v62, s44
	v_cvt_pk_f32_fp8_e32 v[74:75], v40
	v_mfma_f32_16x16x16_bf16 v[46:49], v[48:49], v[8:9], v[44:47]
	v_perm_b32 v63, v71, v70, s44
	v_cvt_pk_f32_fp8_sdwa v[76:77], v40 src0_sel:WORD_1
	s_mov_b32 s40, 0xff7fffff
	v_cvt_pk_f32_fp8_e32 v[44:45], v39
	v_cvt_pk_f32_fp8_sdwa v[38:39], v39 src0_sel:WORD_1
	v_mfma_f32_16x16x16_bf16 v[70:73], v[62:63], v[26:27], 0
	v_cvt_pk_f32_fp8_e32 v[62:63], v41
	v_perm_b32 v44, v45, v44, s44
	v_perm_b32 v45, v39, v38, s44
	;; [unrolled: 1-line block ×4, first 2 shown]
	v_cvt_pk_f32_fp8_sdwa v[40:41], v41 src0_sel:WORD_1
	v_mov_b32_e32 v26, s8
	s_waitcnt lgkmcnt(0)
	v_mul_f32_e32 v74, s4, v26
	v_mfma_f32_16x16x16_bf16 v[26:29], v[44:45], v[28:29], v[70:73]
	v_pk_mul_f32 v[44:45], v[74:75], v[52:53] op_sel_hi:[0,1]
	v_perm_b32 v52, v63, v62, s44
	v_perm_b32 v53, v41, v40, s44
	v_mfma_f32_16x16x16_bf16 v[26:29], v[38:39], v[18:19], v[26:29]
	v_cvt_pk_f32_fp8_e32 v[18:19], v34
	v_cvt_pk_f32_fp8_sdwa v[38:39], v34 src0_sel:WORD_1
	v_pk_mul_f32 v[50:51], v[74:75], v[50:51] op_sel_hi:[0,1]
	v_mfma_f32_16x16x16_bf16 v[26:29], v[52:53], v[20:21], v[26:29]
	v_perm_b32 v20, v19, v18, s44
	v_perm_b32 v21, v39, v38, s44
	v_cvt_pk_f32_fp8_e32 v[38:39], v35
	v_cvt_pk_f32_fp8_sdwa v[34:35], v35 src0_sel:WORD_1
	v_mfma_f32_16x16x16_bf16 v[26:29], v[20:21], v[10:11], v[26:29]
	v_perm_b32 v38, v39, v38, s44
	v_perm_b32 v39, v35, v34, s44
	v_cvt_pk_f32_fp8_e32 v[10:11], v36
	v_cvt_pk_f32_fp8_sdwa v[20:21], v36 src0_sel:WORD_1
	v_pk_mul_f32 v[52:53], v[74:75], v[54:55] op_sel_hi:[0,1]
	v_pk_mul_f32 v[34:35], v[74:75], v[56:57] op_sel_hi:[0,1]
	v_perm_b32 v40, v11, v10, s44
	v_perm_b32 v41, v21, v20, s44
	v_cvt_pk_f32_fp8_e32 v[20:21], v37
	v_cvt_pk_f32_fp8_sdwa v[36:37], v37 src0_sel:WORD_1
	v_mfma_f32_16x16x16_bf16 v[10:13], v[38:39], v[12:13], v[26:29]
	v_pk_mul_f32 v[46:47], v[74:75], v[46:47] op_sel_hi:[0,1]
	v_perm_b32 v20, v21, v20, s44
	v_perm_b32 v21, v37, v36, s44
	v_mfma_f32_16x16x16_bf16 v[10:13], v[40:41], v[6:7], v[10:13]
	v_pk_mul_f32 v[40:41], v[74:75], v[48:49] op_sel_hi:[0,1]
	v_mad_i64_i32 v[18:19], s[4:5], v69, s45, v[42:43]
	v_mfma_f32_16x16x16_bf16 v[6:9], v[20:21], v[8:9], v[10:13]
	v_mad_i64_i32 v[62:63], s[4:5], v68, s45, v[42:43]
	global_load_dwordx4 v[26:29], v[18:19], off
	s_nop 0
	global_load_dwordx4 v[18:21], v[62:63], off
	s_nop 2
	v_pk_mul_f32 v[48:49], v[74:75], v[6:7] op_sel_hi:[0,1]
	v_and_b32_e32 v6, 0xc0, v0
	v_add_u32_e32 v6, s18, v6
	v_lshl_or_b32 v6, v64, 2, v6
	v_pk_mul_f32 v[38:39], v[74:75], v[8:9] op_sel_hi:[0,1]
	v_or_b32_e32 v9, 1, v6
	v_mov_b32_e32 v7, 0xff7fffff
	v_cmp_gt_i32_e64 s[26:27], s33, v6
	v_cmp_gt_i32_e64 s[28:29], s33, v9
	v_or_b32_e32 v10, 3, v6
	v_cndmask_b32_e64 v8, v7, v50, s[26:27]
	v_cndmask_b32_e64 v9, v7, v51, s[28:29]
	v_max3_f32 v8, v8, s40, v9
	v_or_b32_e32 v9, 2, v6
	v_cmp_gt_i32_e64 s[30:31], s33, v9
	v_cmp_gt_i32_e64 s[34:35], s33, v10
	s_nop 0
	v_cndmask_b32_e64 v9, v7, v44, s[30:31]
	v_cndmask_b32_e64 v10, v7, v45, s[34:35]
	v_max3_f32 v8, v8, v9, v10
	v_or_b32_e32 v9, 16, v6
	v_or_b32_e32 v10, 17, v6
	v_cmp_gt_i32_e64 s[18:19], s33, v9
	v_cmp_gt_i32_e64 s[20:21], s33, v10
	s_nop 0
	v_cndmask_b32_e64 v9, v7, v52, s[18:19]
	v_cndmask_b32_e64 v10, v7, v53, s[20:21]
	v_max3_f32 v8, v8, v9, v10
	v_or_b32_e32 v9, 18, v6
	;; [unrolled: 8-line block ×5, first 2 shown]
	v_or_b32_e32 v10, 49, v6
	v_cmp_gt_i32_e32 vcc, s33, v9
	v_cmp_gt_i32_e64 s[4:5], s33, v10
	s_nop 0
	v_cndmask_b32_e32 v9, v7, v48, vcc
	v_cndmask_b32_e64 v10, v7, v49, s[4:5]
	v_max3_f32 v8, v8, v9, v10
	v_or_b32_e32 v9, 50, v6
	v_or_b32_e32 v6, 51, v6
	v_cmp_gt_i32_e64 s[6:7], s33, v9
	v_cmp_gt_i32_e64 s[8:9], s33, v6
	s_nop 0
	v_cndmask_b32_e64 v9, v7, v38, s[6:7]
	v_cndmask_b32_e64 v6, v7, v39, s[8:9]
	v_max3_f32 v8, v8, v9, v6
	v_mbcnt_lo_u32_b32 v6, -1, 0
	v_mbcnt_hi_u32_b32 v9, -1, v6
	v_and_b32_e32 v6, 64, v9
	v_add_u32_e32 v10, 64, v6
	v_xor_b32_e32 v6, 32, v9
	v_cmp_lt_i32_e64 s[38:39], v6, v10
	s_nop 1
	v_cndmask_b32_e64 v6, v9, v6, s[38:39]
	v_lshlrev_b32_e32 v55, 2, v6
	ds_bpermute_b32 v11, v55, v8
	v_mad_i64_i32 v[6:7], s[38:39], v67, s45, v[42:43]
	s_waitcnt lgkmcnt(0)
	v_max_f32_e32 v11, v11, v11
	v_max_f32_e32 v36, v8, v11
	v_xor_b32_e32 v8, 16, v9
	v_cmp_lt_i32_e64 s[38:39], v8, v10
	s_nop 1
	v_cndmask_b32_e64 v8, v9, v8, s[38:39]
	v_lshlrev_b32_e32 v56, 2, v8
	v_mad_i64_i32 v[8:9], s[38:39], v66, s45, v[42:43]
	global_load_dwordx4 v[10:13], v[6:7], off
	s_nop 0
	global_load_dwordx4 v[6:9], v[8:9], off
	ds_bpermute_b32 v37, v56, v36
	s_waitcnt lgkmcnt(0)
	s_barrier
	v_max_f32_e32 v37, v37, v37
	v_max_f32_e32 v54, v36, v37
	v_sub_f32_e32 v42, v44, v54
	v_mul_f32_e32 v42, 0x3fb8aa3b, v42
	v_exp_f32_e32 v42, v42
	v_sub_f32_e32 v43, v45, v54
	v_mul_f32_e32 v43, 0x3fb8aa3b, v43
	v_exp_f32_e32 v43, v43
	v_cndmask_b32_e64 v44, 0, v42, s[30:31]
	v_sub_f32_e32 v42, v52, v54
	v_sub_f32_e32 v34, v34, v54
	v_mul_f32_e32 v42, 0x3fb8aa3b, v42
	v_mul_f32_e32 v34, 0x3fb8aa3b, v34
	v_sub_f32_e32 v36, v50, v54
	v_exp_f32_e32 v42, v42
	v_exp_f32_e32 v50, v34
	v_cndmask_b32_e64 v45, 0, v43, s[34:35]
	v_sub_f32_e32 v43, v53, v54
	v_sub_f32_e32 v34, v35, v54
	;; [unrolled: 1-line block ×4, first 2 shown]
	v_mul_f32_e32 v43, 0x3fb8aa3b, v43
	v_mul_f32_e32 v34, 0x3fb8aa3b, v34
	;; [unrolled: 1-line block ×4, first 2 shown]
	v_sub_f32_e32 v37, v51, v54
	v_exp_f32_e32 v43, v43
	v_exp_f32_e32 v51, v34
	v_cndmask_b32_e64 v34, 0, v42, s[18:19]
	v_cndmask_b32_e64 v42, 0, v50, s[22:23]
	v_exp_f32_e32 v46, v46
	v_exp_f32_e32 v50, v40
	v_mul_f32_e32 v36, 0x3fb8aa3b, v36
	v_sub_f32_e32 v47, v47, v54
	v_sub_f32_e32 v40, v41, v54
	;; [unrolled: 1-line block ×4, first 2 shown]
	v_exp_f32_e32 v36, v36
	v_mul_f32_e32 v37, 0x3fb8aa3b, v37
	v_mul_f32_e32 v47, 0x3fb8aa3b, v47
	;; [unrolled: 1-line block ×5, first 2 shown]
	v_exp_f32_e32 v37, v37
	v_cndmask_b32_e64 v35, 0, v43, s[20:21]
	v_cndmask_b32_e64 v43, 0, v51, s[36:37]
	v_exp_f32_e32 v47, v47
	v_exp_f32_e32 v51, v40
	v_cndmask_b32_e64 v40, 0, v46, s[10:11]
	v_cndmask_b32_e64 v46, 0, v50, s[14:15]
	v_exp_f32_e32 v48, v48
	v_exp_f32_e32 v50, v38
	v_sub_f32_e32 v38, v39, v54
	v_cndmask_b32_e64 v36, 0, v36, s[26:27]
	v_mul_f32_e32 v38, 0x3fb8aa3b, v38
	v_cndmask_b32_e64 v37, 0, v37, s[28:29]
	v_cndmask_b32_e64 v41, 0, v47, s[12:13]
	;; [unrolled: 1-line block ×3, first 2 shown]
	v_exp_f32_e32 v51, v38
	v_cndmask_b32_e32 v38, 0, v48, vcc
	v_cndmask_b32_e64 v48, 0, v50, s[6:7]
	v_add_f32_e32 v50, 0, v36
	v_add_f32_e32 v50, v50, v37
	;; [unrolled: 1-line block ×6, first 2 shown]
	v_sub_f32_e32 v49, v49, v54
	v_add_f32_e32 v50, v50, v42
	v_mul_f32_e32 v49, 0x3fb8aa3b, v49
	v_add_f32_e32 v50, v50, v43
	v_exp_f32_e32 v49, v49
	v_add_f32_e32 v50, v50, v40
	v_add_f32_e32 v50, v50, v41
	;; [unrolled: 1-line block ×4, first 2 shown]
	v_cndmask_b32_e64 v39, 0, v49, s[4:5]
	v_add_f32_e32 v50, v50, v38
	v_add_f32_e32 v50, v50, v39
	v_cndmask_b32_e64 v49, 0, v51, s[8:9]
	v_add_f32_e32 v50, v50, v48
	v_add_f32_e32 v50, v50, v49
	ds_bpermute_b32 v51, v55, v50
	v_cmp_gt_u32_e64 s[4:5], 16, v65
	s_waitcnt lgkmcnt(0)
	v_add_f32_e32 v50, v50, v51
	ds_bpermute_b32 v51, v56, v50
	s_and_saveexec_b64 s[6:7], s[4:5]
	s_cbranch_execz .LBB1316_13
; %bb.12:
	s_waitcnt lgkmcnt(0)
	v_add_f32_e32 v50, v50, v51
	v_lshlrev_b32_e32 v51, 2, v59
	ds_write2st64_b32 v51, v54, v50 offset1:1
.LBB1316_13:
	s_or_b64 exec, exec, s[6:7]
	s_waitcnt lgkmcnt(0)
	v_lshlrev_b32_e32 v51, 2, v60
	s_load_dword s8, s[0:1], 0x94
	s_waitcnt lgkmcnt(0)
	s_barrier
	ds_read2_b32 v[52:53], v51 offset1:16
	ds_read2_b32 v[54:55], v51 offset0:32 offset1:48
	ds_read2_b32 v[56:57], v51 offset0:64 offset1:80
	s_movk_i32 s10, 0x7fff
	s_mul_i32 s9, s25, 9
	s_waitcnt lgkmcnt(2)
	v_max3_f32 v50, v52, s40, v53
	s_waitcnt lgkmcnt(1)
	v_max3_f32 v50, v50, v54, v55
	v_sub_f32_e32 v52, v52, v50
	v_mul_f32_e32 v52, 0x3fb8aa3b, v52
	v_exp_f32_e32 v59, v52
	v_sub_f32_e32 v52, v53, v50
	v_mul_f32_e32 v52, 0x3fb8aa3b, v52
	v_exp_f32_e32 v62, v52
	;; [unrolled: 3-line block ×3, first 2 shown]
	ds_read2_b32 v[52:53], v51 offset0:96 offset1:112
	v_sub_f32_e32 v51, v55, v50
	v_mul_f32_e32 v51, 0x3fb8aa3b, v51
	v_exp_f32_e32 v55, v51
	s_waitcnt lgkmcnt(1)
	v_fma_f32 v51, v59, v56, 0
	v_fmac_f32_e32 v51, v62, v57
	s_waitcnt lgkmcnt(0)
	v_fmac_f32_e32 v51, v54, v52
	v_fmac_f32_e32 v51, v55, v53
	v_add_f32_e32 v52, 0x358637bd, v51
	v_div_scale_f32 v53, s[6:7], v52, v52, 1.0
	v_rcp_f32_e32 v56, v53
	s_barrier
	v_fma_f32 v57, -v53, v56, 1.0
	v_fmac_f32_e32 v56, v57, v56
	v_div_scale_f32 v57, vcc, 1.0, v52, 1.0
	v_mul_f32_e32 v63, v57, v56
	v_fma_f32 v65, -v53, v63, v57
	v_fmac_f32_e32 v63, v65, v56
	v_fma_f32 v53, -v53, v63, v57
	v_div_fmas_f32 v53, v53, v56, v63
	v_cmp_eq_u32_e32 vcc, 1, v61
	v_div_fixup_f32 v52, v53, v52, 1.0
	s_nop 0
	v_cndmask_b32_e32 v53, v59, v62, vcc
	v_cmp_eq_u32_e32 vcc, 2, v61
	s_nop 1
	v_cndmask_b32_e32 v53, v53, v54, vcc
	v_cmp_eq_u32_e32 vcc, 3, v61
	s_nop 1
	v_cndmask_b32_e32 v53, v53, v55, vcc
	v_mul_f32_e32 v52, v53, v52
	v_pk_mul_f32 v[36:37], v[52:53], v[36:37] op_sel_hi:[0,1]
	v_pk_mul_f32 v[44:45], v[52:53], v[44:45] op_sel_hi:[0,1]
	v_bfe_u32 v53, v37, 16, 1
	v_bfe_u32 v54, v36, 16, 1
	v_add3_u32 v36, v36, v54, s10
	v_add3_u32 v37, v37, v53, s10
	v_perm_b32 v56, v37, v36, s44
	v_bfe_u32 v36, v45, 16, 1
	v_bfe_u32 v37, v44, 16, 1
	v_add3_u32 v37, v44, v37, s10
	v_add3_u32 v36, v45, v36, s10
	v_perm_b32 v57, v36, v37, s44
	v_lshlrev_b32_e32 v37, 3, v64
	v_lshlrev_b32_e32 v36, 5, v60
	;; [unrolled: 1-line block ×3, first 2 shown]
	v_pk_mul_f32 v[34:35], v[52:53], v[34:35] op_sel_hi:[0,1]
	v_or3_b32 v54, v44, v36, v37
	v_bfe_u32 v37, v35, 16, 1
	v_bfe_u32 v44, v34, 16, 1
	v_pk_mul_f32 v[42:43], v[52:53], v[42:43] op_sel_hi:[0,1]
	v_add3_u32 v34, v34, v44, s10
	v_add3_u32 v35, v35, v37, s10
	v_perm_b32 v34, v35, v34, s44
	v_bfe_u32 v35, v43, 16, 1
	v_bfe_u32 v37, v42, 16, 1
	v_add3_u32 v37, v42, v37, s10
	v_add3_u32 v35, v43, v35, s10
	v_pk_mul_f32 v[40:41], v[52:53], v[40:41] op_sel_hi:[0,1]
	v_perm_b32 v35, v35, v37, s44
	v_bfe_u32 v37, v41, 16, 1
	v_bfe_u32 v42, v40, 16, 1
	ds_write2st64_b64 v54, v[56:57], v[34:35] offset1:1
	v_pk_mul_f32 v[34:35], v[52:53], v[46:47] op_sel_hi:[0,1]
	v_add3_u32 v40, v40, v42, s10
	v_add3_u32 v37, v41, v37, s10
	v_perm_b32 v40, v37, v40, s44
	v_bfe_u32 v37, v35, 16, 1
	v_bfe_u32 v41, v34, 16, 1
	v_pk_mul_f32 v[38:39], v[52:53], v[38:39] op_sel_hi:[0,1]
	v_add3_u32 v34, v34, v41, s10
	v_add3_u32 v35, v35, v37, s10
	v_bfe_u32 v37, v39, 16, 1
	v_bfe_u32 v42, v38, 16, 1
	v_perm_b32 v41, v35, v34, s44
	v_pk_mul_f32 v[34:35], v[52:53], v[48:49] op_sel_hi:[0,1]
	v_add3_u32 v38, v38, v42, s10
	v_add3_u32 v37, v39, v37, s10
	v_perm_b32 v38, v37, v38, s44
	v_bfe_u32 v37, v35, 16, 1
	v_bfe_u32 v39, v34, 16, 1
	v_add3_u32 v34, v34, v39, s10
	v_add3_u32 v35, v35, v37, s10
	v_perm_b32 v39, v35, v34, s44
	v_cmp_gt_u32_e32 vcc, 9, v0
	ds_write2st64_b64 v54, v[40:41], v[38:39] offset0:2 offset1:3
	s_and_saveexec_b64 s[6:7], vcc
	s_cbranch_execz .LBB1316_15
; %bb.14:
	s_mov_b32 s49, 0
	v_mov_b32_e32 v61, 0
	v_lshl_add_u64 v[34:35], s[48:49], 0, v[60:61]
	v_mov_b32_e32 v37, s9
	v_mad_u64_u32 v[34:35], s[16:17], s2, v37, v[34:35]
	s_mul_i32 s3, s3, s9
	v_mov_b32_e32 v38, s24
	v_mov_b32_e32 v39, v61
	s_load_dwordx4 s[12:15], s[0:1], 0x58
	v_add_u32_e32 v37, s3, v35
	v_mad_u64_u32 v[34:35], s[16:17], v34, s8, v[38:39]
	v_mov_b32_e32 v38, v35
	v_mad_u64_u32 v[38:39], s[16:17], v37, s8, v[38:39]
	v_mov_b32_e32 v35, v38
	v_lshlrev_b64 v[34:35], 2, v[34:35]
	s_waitcnt lgkmcnt(0)
	v_lshl_add_u64 v[38:39], s[14:15], 0, v[34:35]
	v_lshl_add_u64 v[34:35], s[12:13], 0, v[34:35]
	global_store_dword v[38:39], v50, off
	global_store_dword v[34:35], v51, off
.LBB1316_15:
	s_or_b64 exec, exec, s[6:7]
	v_lshl_or_b32 v50, v64, 9, v36
	s_waitcnt vmcnt(7)
	v_cvt_pk_f32_fp8_e32 v[34:35], v30
	v_cvt_pk_f32_fp8_sdwa v[36:37], v30 src0_sel:WORD_1
	s_mov_b32 s7, 0x7060302
	s_waitcnt lgkmcnt(0)
	s_barrier
	v_cvt_pk_f32_fp8_e32 v[38:39], v31
	v_perm_b32 v30, v35, v34, s7
	v_cvt_pk_f32_fp8_sdwa v[40:41], v31 src0_sel:WORD_1
	v_perm_b32 v31, v37, v36, s7
	ds_read_b128 v[34:37], v50
	v_perm_b32 v46, v39, v38, s7
	v_perm_b32 v47, v41, v40, s7
	ds_read_b128 v[38:41], v50 offset:16
	v_cvt_pk_f32_fp8_e32 v[48:49], v32
	v_cvt_pk_f32_fp8_sdwa v[52:53], v32 src0_sel:WORD_1
	s_waitcnt lgkmcnt(1)
	v_mfma_f32_16x16x16_bf16 v[42:45], v[30:31], v[34:35], 0
	s_waitcnt vmcnt(6)
	v_cvt_pk_f32_fp8_e32 v[56:57], v24
	v_perm_b32 v30, v49, v48, s7
	v_perm_b32 v31, v53, v52, s7
	v_cvt_pk_f32_fp8_e32 v[48:49], v33
	v_mfma_f32_16x16x16_bf16 v[42:45], v[46:47], v[36:37], v[42:45]
	v_cvt_pk_f32_fp8_sdwa v[46:47], v33 src0_sel:WORD_1
	v_cvt_pk_f32_fp8_sdwa v[62:63], v24 src0_sel:WORD_1
	v_perm_b32 v48, v49, v48, s7
	s_waitcnt lgkmcnt(0)
	v_mfma_f32_16x16x16_bf16 v[30:33], v[30:31], v[38:39], v[42:45]
	v_perm_b32 v49, v47, v46, s7
	s_waitcnt vmcnt(4)
	v_cvt_pk_f32_fp8_sdwa v[70:71], v4 src0_sel:WORD_1
	s_load_dword s6, s[42:43], 0x0
	v_cvt_pk_f32_fp8_e32 v[42:43], v22
	v_mfma_f32_16x16x16_bf16 v[46:49], v[48:49], v[40:41], v[30:33]
	s_waitcnt vmcnt(3)
	v_cvt_pk_f32_fp8_sdwa v[72:73], v28 src0_sel:WORD_1
	s_mov_b32 s3, 0
	v_cvt_pk_f32_fp8_sdwa v[30:31], v22 src0_sel:WORD_1
	v_cvt_pk_f32_fp8_e32 v[32:33], v23
	v_perm_b32 v22, v43, v42, s7
	v_cvt_pk_f32_fp8_sdwa v[42:43], v23 src0_sel:WORD_1
	v_perm_b32 v23, v31, v30, s7
	v_perm_b32 v52, v33, v32, s7
	ds_read_b128 v[30:33], v50 offset:2048
	v_perm_b32 v53, v43, v42, s7
	ds_read_b128 v[42:45], v50 offset:2064
	s_waitcnt lgkmcnt(0)
	v_mfma_f32_16x16x16_bf16 v[46:49], v[22:23], v[30:31], v[46:49]
	v_perm_b32 v22, v57, v56, s7
	v_perm_b32 v23, v63, v62, s7
	v_cvt_pk_f32_fp8_e32 v[56:57], v25
	v_mfma_f32_16x16x16_bf16 v[46:49], v[52:53], v[32:33], v[46:49]
	v_cvt_pk_f32_fp8_sdwa v[52:53], v25 src0_sel:WORD_1
	v_cvt_pk_f32_fp8_sdwa v[62:63], v16 src0_sel:WORD_1
	v_perm_b32 v56, v57, v56, s7
	v_mfma_f32_16x16x16_bf16 v[22:25], v[22:23], v[42:43], v[46:49]
	v_perm_b32 v57, v53, v52, s7
	v_cmp_gt_u32_e32 vcc, 64, v0
	s_nop 0
	v_cvt_pk_f32_fp8_e32 v[46:47], v14
	v_mfma_f32_16x16x16_bf16 v[66:69], v[56:57], v[44:45], v[22:25]
	v_cvt_pk_f32_fp8_e32 v[56:57], v16
	s_nop 1
	v_cvt_pk_f32_fp8_sdwa v[22:23], v14 src0_sel:WORD_1
	v_cvt_pk_f32_fp8_e32 v[24:25], v15
	v_perm_b32 v14, v47, v46, s7
	v_cvt_pk_f32_fp8_sdwa v[46:47], v15 src0_sel:WORD_1
	v_perm_b32 v15, v23, v22, s7
	v_perm_b32 v52, v25, v24, s7
	ds_read_b128 v[22:25], v50 offset:4096
	v_perm_b32 v53, v47, v46, s7
	ds_read_b128 v[46:49], v50 offset:4112
	s_waitcnt lgkmcnt(1)
	v_mfma_f32_16x16x16_bf16 v[66:69], v[14:15], v[22:23], v[66:69]
	v_perm_b32 v14, v57, v56, s7
	v_perm_b32 v15, v63, v62, s7
	v_cvt_pk_f32_fp8_e32 v[56:57], v17
	v_mfma_f32_16x16x16_bf16 v[66:69], v[52:53], v[24:25], v[66:69]
	v_cvt_pk_f32_fp8_sdwa v[52:53], v17 src0_sel:WORD_1
	v_cvt_pk_f32_fp8_e32 v[62:63], v4
	v_perm_b32 v56, v57, v56, s7
	s_waitcnt lgkmcnt(0)
	v_mfma_f32_16x16x16_bf16 v[14:17], v[14:15], v[46:47], v[66:69]
	v_perm_b32 v57, v53, v52, s7
	v_cvt_pk_f32_fp8_e32 v[52:53], v2
	s_nop 0
	v_mfma_f32_16x16x16_bf16 v[66:69], v[56:57], v[48:49], v[14:17]
	s_nop 2
	v_cvt_pk_f32_fp8_sdwa v[14:15], v2 src0_sel:WORD_1
	v_cvt_pk_f32_fp8_e32 v[16:17], v3
	v_perm_b32 v2, v53, v52, s7
	v_cvt_pk_f32_fp8_sdwa v[52:53], v3 src0_sel:WORD_1
	v_perm_b32 v3, v15, v14, s7
	v_perm_b32 v56, v17, v16, s7
	ds_read_b128 v[14:17], v50 offset:6144
	v_perm_b32 v57, v53, v52, s7
	s_waitcnt lgkmcnt(0)
	v_mfma_f32_16x16x16_bf16 v[66:69], v[2:3], v[14:15], v[66:69]
	ds_read_b128 v[50:53], v50 offset:6160
	v_perm_b32 v2, v63, v62, s7
	v_perm_b32 v3, v71, v70, s7
	v_cvt_pk_f32_fp8_e32 v[62:63], v5
	v_mfma_f32_16x16x16_bf16 v[66:69], v[56:57], v[16:17], v[66:69]
	v_cvt_pk_f32_fp8_sdwa v[56:57], v5 src0_sel:WORD_1
	v_cvt_pk_f32_fp8_e32 v[70:71], v28
	v_perm_b32 v62, v63, v62, s7
	s_waitcnt lgkmcnt(0)
	v_mfma_f32_16x16x16_bf16 v[2:5], v[2:3], v[50:51], v[66:69]
	v_perm_b32 v63, v57, v56, s7
	v_cvt_pk_f32_fp8_sdwa v[56:57], v26 src0_sel:WORD_1
	s_nop 0
	v_mfma_f32_16x16x16_bf16 v[66:69], v[62:63], v[52:53], v[2:5]
	s_barrier
	s_nop 1
	v_cvt_pk_f32_fp8_e32 v[4:5], v26
	s_nop 2
	v_pk_mul_f32 v[62:63], v[66:67], s[6:7] op_sel_hi:[1,0]
	v_cvt_pk_f32_fp8_e32 v[66:67], v27
	v_perm_b32 v4, v5, v4, s7
	v_perm_b32 v5, v57, v56, s7
	v_cvt_pk_f32_fp8_sdwa v[26:27], v27 src0_sel:WORD_1
	v_perm_b32 v56, v67, v66, s7
	v_pk_mul_f32 v[2:3], v[68:69], s[6:7] op_sel_hi:[1,0]
	v_mfma_f32_16x16x16_bf16 v[66:69], v[4:5], v[34:35], 0
	v_perm_b32 v57, v27, v26, s7
	v_perm_b32 v4, v71, v70, s7
	;; [unrolled: 1-line block ×3, first 2 shown]
	v_cvt_pk_f32_fp8_e32 v[34:35], v29
	v_cvt_pk_f32_fp8_sdwa v[70:71], v29 src0_sel:WORD_1
	v_mfma_f32_16x16x16_bf16 v[26:29], v[56:57], v[36:37], v[66:69]
	s_waitcnt vmcnt(2)
	v_cvt_pk_f32_fp8_sdwa v[36:37], v18 src0_sel:WORD_1
	v_perm_b32 v34, v35, v34, s7
	v_perm_b32 v35, v71, v70, s7
	v_mfma_f32_16x16x16_bf16 v[26:29], v[4:5], v[38:39], v[26:29]
	v_cvt_pk_f32_fp8_e32 v[4:5], v18
	v_cvt_pk_f32_fp8_sdwa v[38:39], v20 src0_sel:WORD_1
	v_bfe_u32 v55, v63, 16, 1
	v_mfma_f32_16x16x16_bf16 v[26:29], v[34:35], v[40:41], v[26:29]
	v_cvt_pk_f32_fp8_e32 v[34:35], v19
	v_perm_b32 v4, v5, v4, s7
	v_perm_b32 v5, v37, v36, s7
	v_cvt_pk_f32_fp8_sdwa v[18:19], v19 src0_sel:WORD_1
	v_perm_b32 v34, v35, v34, s7
	v_cvt_pk_f32_fp8_e32 v[36:37], v20
	v_mfma_f32_16x16x16_bf16 v[26:29], v[4:5], v[30:31], v[26:29]
	v_perm_b32 v35, v19, v18, s7
	v_perm_b32 v4, v37, v36, s7
	;; [unrolled: 1-line block ×3, first 2 shown]
	v_cvt_pk_f32_fp8_e32 v[30:31], v21
	v_cvt_pk_f32_fp8_sdwa v[36:37], v21 src0_sel:WORD_1
	v_mfma_f32_16x16x16_bf16 v[18:21], v[34:35], v[32:33], v[26:29]
	v_bfe_u32 v56, v62, 16, 1
	v_add3_u32 v32, v62, v56, s10
	v_add3_u32 v33, v63, v55, s10
	v_perm_b32 v26, v31, v30, s7
	v_perm_b32 v27, v37, v36, s7
	v_mfma_f32_16x16x16_bf16 v[18:21], v[4:5], v[42:43], v[18:21]
	s_waitcnt vmcnt(1)
	v_cvt_pk_f32_fp8_e32 v[4:5], v10
	v_cvt_pk_f32_fp8_sdwa v[28:29], v10 src0_sel:WORD_1
	v_cvt_pk_f32_fp8_sdwa v[30:31], v12 src0_sel:WORD_1
	v_mfma_f32_16x16x16_bf16 v[18:21], v[26:27], v[44:45], v[18:21]
	v_cvt_pk_f32_fp8_e32 v[26:27], v11
	v_perm_b32 v4, v5, v4, s7
	v_perm_b32 v5, v29, v28, s7
	v_cvt_pk_f32_fp8_sdwa v[10:11], v11 src0_sel:WORD_1
	v_perm_b32 v26, v27, v26, s7
	v_cvt_pk_f32_fp8_e32 v[28:29], v12
	v_mfma_f32_16x16x16_bf16 v[18:21], v[4:5], v[22:23], v[18:21]
	v_perm_b32 v27, v11, v10, s7
	v_perm_b32 v4, v29, v28, s7
	v_perm_b32 v5, v31, v30, s7
	v_cvt_pk_f32_fp8_e32 v[22:23], v13
	v_cvt_pk_f32_fp8_sdwa v[28:29], v13 src0_sel:WORD_1
	v_mfma_f32_16x16x16_bf16 v[10:13], v[26:27], v[24:25], v[18:21]
	s_waitcnt vmcnt(0)
	v_cvt_pk_f32_fp8_sdwa v[24:25], v8 src0_sel:WORD_1
	s_nop 0
	v_perm_b32 v20, v23, v22, s7
	v_perm_b32 v21, v29, v28, s7
	v_mfma_f32_16x16x16_bf16 v[10:13], v[4:5], v[46:47], v[10:13]
	v_cvt_pk_f32_fp8_e32 v[4:5], v6
	v_cvt_pk_f32_fp8_sdwa v[22:23], v6 src0_sel:WORD_1
	v_bfe_u32 v19, v3, 16, 1
	v_mfma_f32_16x16x16_bf16 v[10:13], v[20:21], v[48:49], v[10:13]
	v_cvt_pk_f32_fp8_e32 v[20:21], v7
	v_perm_b32 v4, v5, v4, s7
	v_perm_b32 v5, v23, v22, s7
	v_cvt_pk_f32_fp8_sdwa v[6:7], v7 src0_sel:WORD_1
	v_perm_b32 v20, v21, v20, s7
	v_cvt_pk_f32_fp8_e32 v[22:23], v8
	v_add3_u32 v3, v3, v19, s10
	v_perm_b32 v21, v7, v6, s7
	v_mfma_f32_16x16x16_bf16 v[4:7], v[4:5], v[14:15], v[10:13]
	v_bfe_u32 v14, v2, 16, 1
	v_add3_u32 v2, v2, v14, s10
	v_perm_b32 v19, v3, v2, s7
	v_perm_b32 v10, v23, v22, s7
	;; [unrolled: 1-line block ×3, first 2 shown]
	v_cvt_pk_f32_fp8_e32 v[12:13], v9
	v_cvt_pk_f32_fp8_sdwa v[8:9], v9 src0_sel:WORD_1
	v_mfma_f32_16x16x16_bf16 v[4:7], v[20:21], v[16:17], v[4:7]
	v_perm_b32 v18, v33, v32, s7
	v_perm_b32 v12, v13, v12, s7
	;; [unrolled: 1-line block ×3, first 2 shown]
	v_mfma_f32_16x16x16_bf16 v[4:7], v[10:11], v[50:51], v[4:7]
	s_nop 0
	v_mfma_f32_16x16x16_bf16 v[2:5], v[12:13], v[52:53], v[4:7]
	s_nop 6
	v_pk_mul_f32 v[2:3], v[2:3], s[6:7] op_sel_hi:[1,0]
	v_pk_mul_f32 v[4:5], v[4:5], s[6:7] op_sel_hi:[1,0]
	v_bfe_u32 v6, v3, 16, 1
	v_bfe_u32 v7, v2, 16, 1
	v_add3_u32 v2, v2, v7, s10
	v_add3_u32 v3, v3, v6, s10
	v_perm_b32 v2, v3, v2, s7
	v_bfe_u32 v3, v5, 16, 1
	v_bfe_u32 v6, v4, 16, 1
	v_add3_u32 v4, v4, v6, s10
	v_add3_u32 v3, v5, v3, s10
	v_perm_b32 v3, v3, v4, s7
	ds_write2st64_b64 v54, v[18:19], v[2:3] offset1:1
	s_waitcnt lgkmcnt(0)
	s_barrier
	s_and_saveexec_b64 s[6:7], vcc
	s_cbranch_execz .LBB1316_18
; %bb.16:
	s_load_dwordx2 s[6:7], s[0:1], 0x68
	s_lshl_b32 s0, s8, 7
	s_mul_i32 s1, s9, s2
	v_lshlrev_b32_e32 v3, 6, v60
	s_mul_hi_u32 s9, s1, s0
	s_mul_i32 s8, s1, s0
	v_lshl_or_b32 v0, v0, 10, v3
	s_lshl_b64 s[8:9], s[8:9], 1
	v_lshlrev_b32_e32 v2, 5, v64
	v_and_b32_e32 v1, 16, v1
	v_and_b32_e32 v0, 0x1a00, v0
	s_waitcnt lgkmcnt(0)
	s_add_u32 s1, s6, s8
	v_or3_b32 v2, v0, v2, v1
	s_addc_u32 s6, s7, s9
	s_lshl_b32 s2, s24, 7
	s_lshl_b64 s[2:3], s[2:3], 1
	ds_read_b128 v[4:7], v2 offset:128
	ds_read_b128 v[8:11], v2
	s_add_u32 s2, s1, s2
	s_addc_u32 s3, s6, s3
	v_mov_b32_e32 v59, 0
	v_add_u32_e32 v3, s48, v64
	v_lshl_add_u64 v[0:1], s[2:3], 0, v[58:59]
	v_mad_u64_u32 v[12:13], s[2:3], v3, s0, 0
	v_lshl_add_u64 v[12:13], v[12:13], 1, v[0:1]
	v_add_u32_e32 v3, 4, v3
	s_waitcnt lgkmcnt(0)
	global_store_dwordx4 v[12:13], v[8:11], off
	s_nop 1
	v_mad_u64_u32 v[8:9], s[2:3], v3, s0, 0
	v_lshl_add_u64 v[8:9], v[8:9], 1, v[0:1]
	global_store_dwordx4 v[8:9], v[4:7], off
	s_and_b64 exec, exec, s[4:5]
	s_cbranch_execz .LBB1316_18
; %bb.17:
	ds_read_b128 v[2:5], v2 offset:256
	v_add3_u32 v6, s48, v64, 8
	v_mad_u64_u32 v[6:7], s[0:1], v6, s0, 0
	v_lshl_add_u64 v[0:1], v[6:7], 1, v[0:1]
	s_waitcnt lgkmcnt(0)
	global_store_dwordx4 v[0:1], v[2:5], off
.LBB1316_18:
	s_endpgm
	.section	.rodata,"a",@progbits
	.p2align	6, 0x0
	.amdhsa_kernel _Z39paged_attention_ll4mi_QKV_mfma16_kernelI14__hip_bfloat16hLN4vllm18Fp8KVCacheDataTypeE1ES0_Li16ELi128ELi256ELb0ELi9EEvPKT_PKT0_S8_ifPKiSA_SA_iPKfiiiPfSD_PS3_PT2_iSC_SC_
		.amdhsa_group_segment_fixed_size 8192
		.amdhsa_private_segment_fixed_size 0
		.amdhsa_kernarg_size 400
		.amdhsa_user_sgpr_count 2
		.amdhsa_user_sgpr_dispatch_ptr 0
		.amdhsa_user_sgpr_queue_ptr 0
		.amdhsa_user_sgpr_kernarg_segment_ptr 1
		.amdhsa_user_sgpr_dispatch_id 0
		.amdhsa_user_sgpr_kernarg_preload_length 0
		.amdhsa_user_sgpr_kernarg_preload_offset 0
		.amdhsa_user_sgpr_private_segment_size 0
		.amdhsa_uses_dynamic_stack 0
		.amdhsa_enable_private_segment 0
		.amdhsa_system_sgpr_workgroup_id_x 1
		.amdhsa_system_sgpr_workgroup_id_y 1
		.amdhsa_system_sgpr_workgroup_id_z 1
		.amdhsa_system_sgpr_workgroup_info 0
		.amdhsa_system_vgpr_workitem_id 0
		.amdhsa_next_free_vgpr 86
		.amdhsa_next_free_sgpr 50
		.amdhsa_accum_offset 88
		.amdhsa_reserve_vcc 1
		.amdhsa_float_round_mode_32 0
		.amdhsa_float_round_mode_16_64 0
		.amdhsa_float_denorm_mode_32 3
		.amdhsa_float_denorm_mode_16_64 3
		.amdhsa_dx10_clamp 1
		.amdhsa_ieee_mode 1
		.amdhsa_fp16_overflow 0
		.amdhsa_tg_split 0
		.amdhsa_exception_fp_ieee_invalid_op 0
		.amdhsa_exception_fp_denorm_src 0
		.amdhsa_exception_fp_ieee_div_zero 0
		.amdhsa_exception_fp_ieee_overflow 0
		.amdhsa_exception_fp_ieee_underflow 0
		.amdhsa_exception_fp_ieee_inexact 0
		.amdhsa_exception_int_div_zero 0
	.end_amdhsa_kernel
	.section	.text._Z39paged_attention_ll4mi_QKV_mfma16_kernelI14__hip_bfloat16hLN4vllm18Fp8KVCacheDataTypeE1ES0_Li16ELi128ELi256ELb0ELi9EEvPKT_PKT0_S8_ifPKiSA_SA_iPKfiiiPfSD_PS3_PT2_iSC_SC_,"axG",@progbits,_Z39paged_attention_ll4mi_QKV_mfma16_kernelI14__hip_bfloat16hLN4vllm18Fp8KVCacheDataTypeE1ES0_Li16ELi128ELi256ELb0ELi9EEvPKT_PKT0_S8_ifPKiSA_SA_iPKfiiiPfSD_PS3_PT2_iSC_SC_,comdat
.Lfunc_end1316:
	.size	_Z39paged_attention_ll4mi_QKV_mfma16_kernelI14__hip_bfloat16hLN4vllm18Fp8KVCacheDataTypeE1ES0_Li16ELi128ELi256ELb0ELi9EEvPKT_PKT0_S8_ifPKiSA_SA_iPKfiiiPfSD_PS3_PT2_iSC_SC_, .Lfunc_end1316-_Z39paged_attention_ll4mi_QKV_mfma16_kernelI14__hip_bfloat16hLN4vllm18Fp8KVCacheDataTypeE1ES0_Li16ELi128ELi256ELb0ELi9EEvPKT_PKT0_S8_ifPKiSA_SA_iPKfiiiPfSD_PS3_PT2_iSC_SC_
                                        ; -- End function
	.section	.AMDGPU.csdata,"",@progbits
; Kernel info:
; codeLenInByte = 6344
; NumSgprs: 56
; NumVgprs: 86
; NumAgprs: 0
; TotalNumVgprs: 86
; ScratchSize: 0
; MemoryBound: 0
; FloatMode: 240
; IeeeMode: 1
; LDSByteSize: 8192 bytes/workgroup (compile time only)
; SGPRBlocks: 6
; VGPRBlocks: 10
; NumSGPRsForWavesPerEU: 56
; NumVGPRsForWavesPerEU: 86
; AccumOffset: 88
; Occupancy: 5
; WaveLimiterHint : 1
; COMPUTE_PGM_RSRC2:SCRATCH_EN: 0
; COMPUTE_PGM_RSRC2:USER_SGPR: 2
; COMPUTE_PGM_RSRC2:TRAP_HANDLER: 0
; COMPUTE_PGM_RSRC2:TGID_X_EN: 1
; COMPUTE_PGM_RSRC2:TGID_Y_EN: 1
; COMPUTE_PGM_RSRC2:TGID_Z_EN: 1
; COMPUTE_PGM_RSRC2:TIDIG_COMP_CNT: 0
; COMPUTE_PGM_RSRC3_GFX90A:ACCUM_OFFSET: 21
; COMPUTE_PGM_RSRC3_GFX90A:TG_SPLIT: 0
	.section	.text._Z39paged_attention_ll4mi_QKV_mfma16_kernelI14__hip_bfloat16hLN4vllm18Fp8KVCacheDataTypeE1ES0_Li16ELi128ELi256ELb0ELi10EEvPKT_PKT0_S8_ifPKiSA_SA_iPKfiiiPfSD_PS3_PT2_iSC_SC_,"axG",@progbits,_Z39paged_attention_ll4mi_QKV_mfma16_kernelI14__hip_bfloat16hLN4vllm18Fp8KVCacheDataTypeE1ES0_Li16ELi128ELi256ELb0ELi10EEvPKT_PKT0_S8_ifPKiSA_SA_iPKfiiiPfSD_PS3_PT2_iSC_SC_,comdat
	.protected	_Z39paged_attention_ll4mi_QKV_mfma16_kernelI14__hip_bfloat16hLN4vllm18Fp8KVCacheDataTypeE1ES0_Li16ELi128ELi256ELb0ELi10EEvPKT_PKT0_S8_ifPKiSA_SA_iPKfiiiPfSD_PS3_PT2_iSC_SC_ ; -- Begin function _Z39paged_attention_ll4mi_QKV_mfma16_kernelI14__hip_bfloat16hLN4vllm18Fp8KVCacheDataTypeE1ES0_Li16ELi128ELi256ELb0ELi10EEvPKT_PKT0_S8_ifPKiSA_SA_iPKfiiiPfSD_PS3_PT2_iSC_SC_
	.globl	_Z39paged_attention_ll4mi_QKV_mfma16_kernelI14__hip_bfloat16hLN4vllm18Fp8KVCacheDataTypeE1ES0_Li16ELi128ELi256ELb0ELi10EEvPKT_PKT0_S8_ifPKiSA_SA_iPKfiiiPfSD_PS3_PT2_iSC_SC_
	.p2align	8
	.type	_Z39paged_attention_ll4mi_QKV_mfma16_kernelI14__hip_bfloat16hLN4vllm18Fp8KVCacheDataTypeE1ES0_Li16ELi128ELi256ELb0ELi10EEvPKT_PKT0_S8_ifPKiSA_SA_iPKfiiiPfSD_PS3_PT2_iSC_SC_,@function
_Z39paged_attention_ll4mi_QKV_mfma16_kernelI14__hip_bfloat16hLN4vllm18Fp8KVCacheDataTypeE1ES0_Li16ELi128ELi256ELb0ELi10EEvPKT_PKT0_S8_ifPKiSA_SA_iPKfiiiPfSD_PS3_PT2_iSC_SC_: ; @_Z39paged_attention_ll4mi_QKV_mfma16_kernelI14__hip_bfloat16hLN4vllm18Fp8KVCacheDataTypeE1ES0_Li16ELi128ELi256ELb0ELi10EEvPKT_PKT0_S8_ifPKiSA_SA_iPKfiiiPfSD_PS3_PT2_iSC_SC_
; %bb.0:
	s_load_dwordx2 s[12:13], s[0:1], 0x30
	s_mov_b32 s24, s3
	s_mov_b64 s[6:7], 0
	s_waitcnt lgkmcnt(0)
	s_cmp_lg_u64 s[12:13], 0
	s_cselect_b64 s[14:15], -1, 0
	s_and_b64 vcc, exec, s[14:15]
	s_cbranch_vccz .LBB1317_7
; %bb.1:
	s_add_i32 s8, s2, 1
	s_mov_b32 s9, 0
	s_lshl_b64 s[10:11], s[8:9], 2
	s_add_u32 s10, s12, s10
	s_mov_b32 s3, s9
	s_addc_u32 s11, s13, s11
	s_lshl_b64 s[8:9], s[2:3], 2
	s_add_u32 s8, s12, s8
	s_addc_u32 s9, s13, s9
	s_load_dword s5, s[10:11], 0x0
	s_load_dword s16, s[8:9], 0x0
	s_waitcnt lgkmcnt(0)
	s_sub_i32 s5, s5, s16
	s_cmp_eq_u32 s5, 1
	s_cselect_b64 s[8:9], -1, 0
	s_andn2_b64 vcc, exec, s[6:7]
	s_cbranch_vccnz .LBB1317_3
.LBB1317_2:
	s_mov_b32 s3, 0
	s_mov_b64 s[8:9], -1
.LBB1317_3:
	s_andn2_b64 vcc, exec, s[8:9]
	s_cbranch_vccnz .LBB1317_18
; %bb.4:
	s_load_dwordx2 s[6:7], s[0:1], 0x28
	s_lshl_b64 s[16:17], s[2:3], 2
	s_waitcnt lgkmcnt(0)
	s_add_u32 s6, s6, s16
	s_addc_u32 s7, s7, s17
	s_load_dword s33, s[6:7], 0x0
	s_lshl_b32 s18, s24, 8
	s_waitcnt lgkmcnt(0)
	s_cmp_ge_i32 s18, s33
	s_cbranch_scc1 .LBB1317_18
; %bb.5:
	s_load_dwordx2 s[6:7], s[0:1], 0x20
	s_load_dword s8, s[0:1], 0x38
	s_add_i32 s5, s33, 15
	s_ashr_i32 s9, s5, 31
	v_and_b32_e32 v1, 0xcf, v0
	s_lshr_b32 s9, s9, 28
	v_add_u32_e32 v1, s18, v1
	s_add_i32 s5, s5, s9
	v_ashrrev_i32_e32 v2, 31, v1
	s_ashr_i32 s5, s5, 4
	v_lshrrev_b32_e32 v10, 28, v2
	s_add_i32 s5, s5, -1
	s_waitcnt lgkmcnt(0)
	s_mul_i32 s8, s2, s8
	s_mov_b32 s9, 0
	v_add_u32_e32 v2, v1, v10
	s_lshl_b64 s[8:9], s[8:9], 2
	v_ashrrev_i32_e32 v2, 4, v2
	v_mov_b32_e32 v11, s5
	v_cmp_gt_i32_e32 vcc, s33, v1
	s_add_u32 s6, s6, s8
	s_addc_u32 s7, s7, s9
	v_cndmask_b32_e32 v2, v11, v2, vcc
	v_ashrrev_i32_e32 v3, 31, v2
	v_lshl_add_u64 v[4:5], v[2:3], 2, s[6:7]
	v_or_b32_e32 v2, 16, v1
	v_add_u32_e32 v3, v2, v10
	v_ashrrev_i32_e32 v3, 4, v3
	v_cmp_gt_i32_e32 vcc, s33, v2
	s_load_dwordx4 s[8:11], s[0:1], 0x8
	s_nop 0
	v_cndmask_b32_e32 v2, v11, v3, vcc
	v_ashrrev_i32_e32 v3, 31, v2
	v_lshl_add_u64 v[6:7], v[2:3], 2, s[6:7]
	v_or_b32_e32 v2, 32, v1
	v_add_u32_e32 v3, v2, v10
	v_ashrrev_i32_e32 v3, 4, v3
	v_cmp_gt_i32_e32 vcc, s33, v2
	v_or_b32_e32 v1, 48, v1
	s_nop 0
	v_cndmask_b32_e32 v2, v11, v3, vcc
	v_ashrrev_i32_e32 v3, 31, v2
	v_lshl_add_u64 v[8:9], v[2:3], 2, s[6:7]
	v_add_u32_e32 v2, v1, v10
	v_ashrrev_i32_e32 v2, 4, v2
	v_cmp_gt_i32_e32 vcc, s33, v1
	s_nop 1
	v_cndmask_b32_e32 v2, v11, v2, vcc
	v_ashrrev_i32_e32 v3, 31, v2
	v_lshl_add_u64 v[10:11], v[2:3], 2, s[6:7]
	global_load_dword v3, v[4:5], off
	global_load_dword v2, v[6:7], off
	;; [unrolled: 1-line block ×4, first 2 shown]
	s_andn2_b64 vcc, exec, s[14:15]
	s_cbranch_vccnz .LBB1317_8
; %bb.6:
	s_add_u32 s12, s12, s16
	s_addc_u32 s13, s13, s17
	s_load_dword s14, s[12:13], 0x0
	s_branch .LBB1317_9
.LBB1317_7:
	s_mov_b64 s[8:9], 0
	s_branch .LBB1317_2
.LBB1317_8:
	s_mov_b32 s14, s2
.LBB1317_9:
	s_load_dwordx4 s[44:47], s[0:1], 0x48
	v_lshrrev_b32_e32 v61, 6, v0
	v_bfe_u32 v64, v0, 4, 2
	v_and_b32_e32 v60, 15, v0
	v_lshl_or_b32 v4, v61, 2, v64
	v_lshlrev_b32_e32 v1, 3, v60
	v_and_b32_e32 v65, 63, v0
	s_mul_i32 s48, s4, 10
	v_cmp_gt_u32_e32 vcc, 10, v4
	v_lshlrev_b32_e32 v58, 1, v1
	v_lshlrev_b32_e32 v1, 4, v0
	s_and_saveexec_b64 s[12:13], vcc
	s_cbranch_execz .LBB1317_11
; %bb.10:
	s_load_dwordx2 s[16:17], s[0:1], 0x0
	s_waitcnt lgkmcnt(0)
	s_ashr_i32 s15, s44, 31
	s_mul_hi_u32 s19, s14, s44
	s_mul_i32 s15, s14, s15
	s_add_i32 s15, s19, s15
	s_mul_i32 s14, s14, s44
	s_lshl_b64 s[14:15], s[14:15], 1
	s_add_u32 s14, s16, s14
	v_add_lshl_u32 v6, v4, s48, 7
	s_addc_u32 s15, s17, s15
	v_ashrrev_i32_e32 v7, 31, v6
	v_lshl_add_u64 v[6:7], v[6:7], 1, s[14:15]
	v_mov_b32_e32 v59, 0
	v_lshl_add_u64 v[6:7], v[6:7], 0, v[58:59]
	global_load_dwordx4 v[6:9], v[6:7], off
	v_lshlrev_b32_e32 v10, 8, v0
	v_lshlrev_b32_e32 v5, 8, v60
	v_and_b32_e32 v10, 0x600, v10
	s_movk_i32 s14, 0x800
	v_and_or_b32 v5, v5, s14, v10
	v_lshlrev_b32_e32 v4, 5, v4
	v_and_b32_e32 v10, 16, v1
	v_or3_b32 v4, v5, v4, v10
	s_waitcnt vmcnt(0)
	ds_write_b128 v4, v[6:9]
.LBB1317_11:
	s_or_b64 exec, exec, s[12:13]
	s_waitcnt lgkmcnt(0)
	s_mul_i32 s4, s4, s46
	s_add_u32 s8, s8, s4
	s_addc_u32 s9, s9, 0
	v_and_b32_e32 v62, 0xf0, v1
	v_mov_b32_e32 v63, 0
	v_and_b32_e32 v6, 48, v0
	v_lshl_add_u64 v[30:31], s[8:9], 0, v[62:63]
	v_lshlrev_b32_e32 v62, 4, v6
	s_waitcnt vmcnt(3)
	v_mad_i64_i32 v[4:5], s[8:9], v3, s45, v[30:31]
	v_lshl_add_u64 v[4:5], v[4:5], 0, v[62:63]
	s_load_dword s25, s[0:1], 0x98
	s_load_dwordx4 s[40:43], s[0:1], 0x80
	s_waitcnt lgkmcnt(0)
	s_barrier
	global_load_dwordx4 v[22:25], v[4:5], off
	global_load_dwordx4 v[14:17], v[4:5], off offset:1024
	s_waitcnt vmcnt(4)
	v_mad_i64_i32 v[2:3], s[8:9], v2, s45, v[30:31]
	v_lshl_add_u64 v[32:33], v[2:3], 0, v[62:63]
	global_load_dwordx4 v[2:5], v[32:33], off
	v_add_u32_e32 v7, -10, v60
	v_cmp_gt_u32_e32 vcc, 10, v60
	v_or_b32_e32 v6, s18, v6
	v_mov_b32_e32 v41, s5
	v_cndmask_b32_e32 v7, v7, v60, vcc
	v_lshlrev_b32_e32 v7, 5, v7
	v_ashrrev_i32_e32 v8, 4, v6
	v_lshl_add_u32 v7, v64, 9, v7
	v_cmp_gt_i32_e32 vcc, s33, v6
	v_or_b32_e32 v40, 64, v6
	v_or_b32_e32 v42, 0x80, v6
	;; [unrolled: 1-line block ×3, first 2 shown]
	v_cndmask_b32_e32 v38, v41, v8, vcc
	ds_read_b128 v[26:29], v7
	ds_read_b128 v[18:21], v7 offset:16
	ds_read_b128 v[10:13], v7 offset:2048
	;; [unrolled: 1-line block ×3, first 2 shown]
	s_waitcnt vmcnt(4)
	v_mad_i64_i32 v[36:37], s[12:13], v34, s45, v[30:31]
	s_waitcnt vmcnt(3)
	v_mad_i64_i32 v[34:35], s[12:13], v35, s45, v[30:31]
	global_load_dwordx4 v[30:33], v[32:33], off offset:1024
	v_ashrrev_i32_e32 v44, 4, v40
	v_cmp_gt_i32_e32 vcc, s33, v40
	v_ashrrev_i32_e32 v45, 4, v42
	v_ashrrev_i32_e32 v46, 4, v43
	v_cndmask_b32_e32 v40, v41, v44, vcc
	v_cmp_gt_i32_e32 vcc, s33, v42
	v_ashrrev_i32_e32 v39, 31, v38
	v_lshl_add_u64 v[36:37], v[36:37], 0, v[62:63]
	v_cndmask_b32_e32 v42, v41, v45, vcc
	v_cmp_gt_i32_e32 vcc, s33, v43
	v_lshl_add_u64 v[34:35], v[34:35], 0, v[62:63]
	v_ashrrev_i32_e32 v43, 31, v42
	v_cndmask_b32_e32 v44, v41, v46, vcc
	v_ashrrev_i32_e32 v41, 31, v40
	v_ashrrev_i32_e32 v45, 31, v44
	v_lshl_add_u64 v[50:51], v[38:39], 2, s[6:7]
	v_lshl_add_u64 v[52:53], v[40:41], 2, s[6:7]
	;; [unrolled: 1-line block ×4, first 2 shown]
	global_load_dwordx4 v[46:49], v[36:37], off
	global_load_dwordx4 v[42:45], v[36:37], off offset:1024
	global_load_dwordx4 v[38:41], v[34:35], off
	s_nop 0
	global_load_dwordx4 v[34:37], v[34:35], off offset:1024
	s_nop 0
	global_load_dword v69, v[50:51], off
	global_load_dword v68, v[52:53], off
	;; [unrolled: 1-line block ×4, first 2 shown]
	s_mov_b32 s44, 0x7060302
	s_add_u32 s4, s10, s4
	v_lshl_or_b32 v59, v61, 4, v60
	s_addc_u32 s5, s11, 0
	v_lshlrev_b32_e32 v62, 4, v59
	s_load_dword s8, s[0:1], 0x1c
	s_waitcnt vmcnt(11)
	v_cvt_pk_f32_fp8_e32 v[50:51], v22
	v_cvt_pk_f32_fp8_sdwa v[52:53], v22 src0_sel:WORD_1
	v_cvt_pk_f32_fp8_e32 v[54:55], v23
	v_cvt_pk_f32_fp8_sdwa v[22:23], v23 src0_sel:WORD_1
	s_waitcnt vmcnt(10)
	v_cvt_pk_f32_fp8_e32 v[76:77], v14
	v_cvt_pk_f32_fp8_sdwa v[78:79], v14 src0_sel:WORD_1
	v_cvt_pk_f32_fp8_e32 v[80:81], v15
	v_cvt_pk_f32_fp8_sdwa v[82:83], v15 src0_sel:WORD_1
	v_perm_b32 v14, v51, v50, s44
	v_perm_b32 v15, v53, v52, s44
	v_cvt_pk_f32_fp8_e32 v[56:57], v24
	v_cvt_pk_f32_fp8_sdwa v[70:71], v24 src0_sel:WORD_1
	v_perm_b32 v54, v55, v54, s44
	v_perm_b32 v55, v23, v22, s44
	v_cvt_pk_f32_fp8_e32 v[72:73], v25
	v_cvt_pk_f32_fp8_sdwa v[74:75], v25 src0_sel:WORD_1
	s_waitcnt lgkmcnt(0)
	v_mfma_f32_16x16x16_bf16 v[22:25], v[14:15], v[26:27], 0
	v_perm_b32 v14, v57, v56, s44
	v_perm_b32 v15, v71, v70, s44
	;; [unrolled: 1-line block ×3, first 2 shown]
	v_mfma_f32_16x16x16_bf16 v[22:25], v[54:55], v[28:29], v[22:25]
	v_perm_b32 v57, v75, v74, s44
	v_cvt_pk_f32_fp8_e32 v[50:51], v16
	v_cvt_pk_f32_fp8_sdwa v[52:53], v16 src0_sel:WORD_1
	v_cvt_pk_f32_fp8_e32 v[84:85], v17
	v_cvt_pk_f32_fp8_sdwa v[54:55], v17 src0_sel:WORD_1
	v_mfma_f32_16x16x16_bf16 v[14:17], v[14:15], v[18:19], v[22:25]
	v_perm_b32 v70, v81, v80, s44
	v_perm_b32 v71, v83, v82, s44
	;; [unrolled: 1-line block ×5, first 2 shown]
	v_mfma_f32_16x16x16_bf16 v[14:17], v[56:57], v[20:21], v[14:17]
	s_waitcnt vmcnt(9)
	v_cvt_pk_f32_fp8_e32 v[22:23], v2
	v_cvt_pk_f32_fp8_sdwa v[56:57], v2 src0_sel:WORD_1
	v_perm_b32 v51, v53, v52, s44
	v_mfma_f32_16x16x16_bf16 v[14:17], v[24:25], v[10:11], v[14:17]
	v_cvt_pk_f32_fp8_e32 v[24:25], v3
	v_cvt_pk_f32_fp8_sdwa v[2:3], v3 src0_sel:WORD_1
	v_perm_b32 v52, v85, v84, s44
	v_mfma_f32_16x16x16_bf16 v[14:17], v[70:71], v[12:13], v[14:17]
	v_perm_b32 v53, v55, v54, s44
	v_perm_b32 v22, v23, v22, s44
	v_perm_b32 v23, v57, v56, s44
	v_mfma_f32_16x16x16_bf16 v[14:17], v[50:51], v[6:7], v[14:17]
	v_cvt_pk_f32_fp8_e32 v[54:55], v4
	v_cvt_pk_f32_fp8_sdwa v[56:57], v4 src0_sel:WORD_1
	v_perm_b32 v24, v25, v24, s44
	v_perm_b32 v25, v3, v2, s44
	v_mfma_f32_16x16x16_bf16 v[50:53], v[52:53], v[8:9], v[14:17]
	s_waitcnt vmcnt(7)
	v_cvt_pk_f32_fp8_e32 v[72:73], v49
	v_lshl_add_u64 v[70:71], s[4:5], 0, v[62:63]
	s_waitcnt vmcnt(6)
	v_cvt_pk_f32_fp8_sdwa v[76:77], v44 src0_sel:WORD_1
	v_mfma_f32_16x16x16_bf16 v[14:17], v[22:23], v[26:27], 0
	v_perm_b32 v22, v55, v54, s44
	v_perm_b32 v23, v57, v56, s44
	v_cvt_pk_f32_fp8_e32 v[54:55], v5
	v_cvt_pk_f32_fp8_sdwa v[56:57], v5 src0_sel:WORD_1
	v_mfma_f32_16x16x16_bf16 v[2:5], v[24:25], v[28:29], v[14:17]
	v_cvt_pk_f32_fp8_e32 v[24:25], v32
	v_or_b32_e32 v62, 0x400, v62
	s_nop 0
	v_perm_b32 v14, v55, v54, s44
	v_perm_b32 v15, v57, v56, s44
	v_mfma_f32_16x16x16_bf16 v[2:5], v[22:23], v[18:19], v[2:5]
	v_cvt_pk_f32_fp8_e32 v[16:17], v30
	v_cvt_pk_f32_fp8_sdwa v[22:23], v30 src0_sel:WORD_1
	v_perm_b32 v16, v17, v16, s44
	v_mfma_f32_16x16x16_bf16 v[2:5], v[14:15], v[20:21], v[2:5]
	v_cvt_pk_f32_fp8_e32 v[14:15], v31
	v_perm_b32 v17, v23, v22, s44
	v_cvt_pk_f32_fp8_sdwa v[22:23], v31 src0_sel:WORD_1
	v_cvt_pk_f32_fp8_sdwa v[30:31], v32 src0_sel:WORD_1
	v_perm_b32 v14, v15, v14, s44
	v_mfma_f32_16x16x16_bf16 v[2:5], v[16:17], v[10:11], v[2:5]
	v_perm_b32 v15, v23, v22, s44
	v_perm_b32 v16, v25, v24, s44
	;; [unrolled: 1-line block ×3, first 2 shown]
	v_cvt_pk_f32_fp8_e32 v[22:23], v33
	v_cvt_pk_f32_fp8_sdwa v[24:25], v33 src0_sel:WORD_1
	v_mfma_f32_16x16x16_bf16 v[2:5], v[14:15], v[12:13], v[2:5]
	v_perm_b32 v14, v23, v22, s44
	v_perm_b32 v15, v25, v24, s44
	v_mfma_f32_16x16x16_bf16 v[2:5], v[16:17], v[6:7], v[2:5]
	v_cvt_pk_f32_fp8_e32 v[16:17], v46
	v_cvt_pk_f32_fp8_sdwa v[22:23], v46 src0_sel:WORD_1
	v_cvt_pk_f32_fp8_sdwa v[24:25], v48 src0_sel:WORD_1
	v_mfma_f32_16x16x16_bf16 v[54:57], v[14:15], v[8:9], v[2:5]
	v_cvt_pk_f32_fp8_sdwa v[14:15], v47 src0_sel:WORD_1
	s_nop 1
	v_perm_b32 v2, v17, v16, s44
	v_perm_b32 v3, v23, v22, s44
	v_cvt_pk_f32_fp8_e32 v[4:5], v47
	v_perm_b32 v23, v15, v14, s44
	v_cvt_pk_f32_fp8_e32 v[14:15], v48
	v_cvt_pk_f32_fp8_sdwa v[48:49], v49 src0_sel:WORD_1
	v_perm_b32 v22, v5, v4, s44
	v_mfma_f32_16x16x16_bf16 v[2:5], v[2:3], v[26:27], 0
	v_perm_b32 v14, v15, v14, s44
	v_perm_b32 v15, v25, v24, s44
	s_waitcnt vmcnt(3)
	v_mad_i64_i32 v[16:17], s[6:7], v69, s45, v[70:71]
	v_mfma_f32_16x16x16_bf16 v[2:5], v[22:23], v[28:29], v[2:5]
	s_waitcnt vmcnt(2)
	v_mad_i64_i32 v[46:47], s[6:7], v68, s45, v[70:71]
	global_load_dwordx4 v[30:33], v[16:17], off
	global_load_dwordx4 v[22:25], v[46:47], off
	v_perm_b32 v16, v73, v72, s44
	v_perm_b32 v17, v49, v48, s44
	v_mfma_f32_16x16x16_bf16 v[2:5], v[14:15], v[18:19], v[2:5]
	v_cvt_pk_f32_fp8_e32 v[14:15], v42
	v_cvt_pk_f32_fp8_sdwa v[46:47], v42 src0_sel:WORD_1
	s_waitcnt vmcnt(3)
	v_mad_i64_i32 v[72:73], s[6:7], v67, s45, v[70:71]
	v_mfma_f32_16x16x16_bf16 v[2:5], v[16:17], v[20:21], v[2:5]
	v_perm_b32 v14, v15, v14, s44
	v_perm_b32 v15, v47, v46, s44
	v_cvt_pk_f32_fp8_e32 v[16:17], v43
	v_cvt_pk_f32_fp8_sdwa v[42:43], v43 src0_sel:WORD_1
	v_mfma_f32_16x16x16_bf16 v[46:49], v[14:15], v[10:11], v[2:5]
	v_perm_b32 v74, v17, v16, s44
	v_perm_b32 v75, v43, v42, s44
	v_cvt_pk_f32_fp8_e32 v[42:43], v44
	s_waitcnt vmcnt(2)
	v_mad_i64_i32 v[70:71], s[6:7], v66, s45, v[70:71]
	global_load_dwordx4 v[14:17], v[72:73], off
	global_load_dwordx4 v[2:5], v[70:71], off
	v_perm_b32 v70, v43, v42, s44
	v_perm_b32 v71, v77, v76, s44
	v_cvt_pk_f32_fp8_e32 v[72:73], v45
	v_cvt_pk_f32_fp8_sdwa v[76:77], v45 src0_sel:WORD_1
	v_mfma_f32_16x16x16_bf16 v[44:47], v[74:75], v[12:13], v[46:49]
	v_lshl_add_u64 v[42:43], s[4:5], 0, v[62:63]
	v_cvt_pk_f32_fp8_e32 v[62:63], v38
	s_load_dword s4, s[40:41], 0x0
	v_perm_b32 v48, v73, v72, s44
	v_perm_b32 v49, v77, v76, s44
	v_mfma_f32_16x16x16_bf16 v[44:47], v[70:71], v[6:7], v[44:47]
	v_cvt_pk_f32_fp8_sdwa v[70:71], v38 src0_sel:WORD_1
	v_perm_b32 v62, v63, v62, s44
	v_cvt_pk_f32_fp8_e32 v[74:75], v40
	v_mfma_f32_16x16x16_bf16 v[46:49], v[48:49], v[8:9], v[44:47]
	v_perm_b32 v63, v71, v70, s44
	v_cvt_pk_f32_fp8_sdwa v[76:77], v40 src0_sel:WORD_1
	s_mov_b32 s40, 0xff7fffff
	v_cvt_pk_f32_fp8_e32 v[44:45], v39
	v_cvt_pk_f32_fp8_sdwa v[38:39], v39 src0_sel:WORD_1
	v_mfma_f32_16x16x16_bf16 v[70:73], v[62:63], v[26:27], 0
	v_cvt_pk_f32_fp8_e32 v[62:63], v41
	v_perm_b32 v44, v45, v44, s44
	v_perm_b32 v45, v39, v38, s44
	v_perm_b32 v38, v75, v74, s44
	v_perm_b32 v39, v77, v76, s44
	v_cvt_pk_f32_fp8_sdwa v[40:41], v41 src0_sel:WORD_1
	v_mov_b32_e32 v26, s8
	s_waitcnt lgkmcnt(0)
	v_mul_f32_e32 v74, s4, v26
	v_mfma_f32_16x16x16_bf16 v[26:29], v[44:45], v[28:29], v[70:73]
	v_pk_mul_f32 v[44:45], v[74:75], v[52:53] op_sel_hi:[0,1]
	v_perm_b32 v52, v63, v62, s44
	v_perm_b32 v53, v41, v40, s44
	v_mfma_f32_16x16x16_bf16 v[26:29], v[38:39], v[18:19], v[26:29]
	v_cvt_pk_f32_fp8_e32 v[18:19], v34
	v_cvt_pk_f32_fp8_sdwa v[38:39], v34 src0_sel:WORD_1
	v_pk_mul_f32 v[50:51], v[74:75], v[50:51] op_sel_hi:[0,1]
	v_mfma_f32_16x16x16_bf16 v[26:29], v[52:53], v[20:21], v[26:29]
	v_perm_b32 v20, v19, v18, s44
	v_perm_b32 v21, v39, v38, s44
	v_cvt_pk_f32_fp8_e32 v[38:39], v35
	v_cvt_pk_f32_fp8_sdwa v[34:35], v35 src0_sel:WORD_1
	v_mfma_f32_16x16x16_bf16 v[26:29], v[20:21], v[10:11], v[26:29]
	v_perm_b32 v38, v39, v38, s44
	v_perm_b32 v39, v35, v34, s44
	v_cvt_pk_f32_fp8_e32 v[10:11], v36
	v_cvt_pk_f32_fp8_sdwa v[20:21], v36 src0_sel:WORD_1
	v_pk_mul_f32 v[52:53], v[74:75], v[54:55] op_sel_hi:[0,1]
	v_pk_mul_f32 v[34:35], v[74:75], v[56:57] op_sel_hi:[0,1]
	v_perm_b32 v40, v11, v10, s44
	v_perm_b32 v41, v21, v20, s44
	v_cvt_pk_f32_fp8_e32 v[20:21], v37
	v_cvt_pk_f32_fp8_sdwa v[36:37], v37 src0_sel:WORD_1
	v_mfma_f32_16x16x16_bf16 v[10:13], v[38:39], v[12:13], v[26:29]
	v_pk_mul_f32 v[46:47], v[74:75], v[46:47] op_sel_hi:[0,1]
	v_perm_b32 v20, v21, v20, s44
	v_perm_b32 v21, v37, v36, s44
	v_mfma_f32_16x16x16_bf16 v[10:13], v[40:41], v[6:7], v[10:13]
	v_pk_mul_f32 v[40:41], v[74:75], v[48:49] op_sel_hi:[0,1]
	v_mad_i64_i32 v[18:19], s[4:5], v69, s45, v[42:43]
	v_mfma_f32_16x16x16_bf16 v[6:9], v[20:21], v[8:9], v[10:13]
	v_mad_i64_i32 v[62:63], s[4:5], v68, s45, v[42:43]
	global_load_dwordx4 v[26:29], v[18:19], off
	s_nop 0
	global_load_dwordx4 v[18:21], v[62:63], off
	s_nop 2
	v_pk_mul_f32 v[48:49], v[74:75], v[6:7] op_sel_hi:[0,1]
	v_and_b32_e32 v6, 0xc0, v0
	v_add_u32_e32 v6, s18, v6
	v_lshl_or_b32 v6, v64, 2, v6
	v_pk_mul_f32 v[38:39], v[74:75], v[8:9] op_sel_hi:[0,1]
	v_or_b32_e32 v9, 1, v6
	v_mov_b32_e32 v7, 0xff7fffff
	v_cmp_gt_i32_e64 s[26:27], s33, v6
	v_cmp_gt_i32_e64 s[28:29], s33, v9
	v_or_b32_e32 v10, 3, v6
	v_cndmask_b32_e64 v8, v7, v50, s[26:27]
	v_cndmask_b32_e64 v9, v7, v51, s[28:29]
	v_max3_f32 v8, v8, s40, v9
	v_or_b32_e32 v9, 2, v6
	v_cmp_gt_i32_e64 s[30:31], s33, v9
	v_cmp_gt_i32_e64 s[34:35], s33, v10
	s_nop 0
	v_cndmask_b32_e64 v9, v7, v44, s[30:31]
	v_cndmask_b32_e64 v10, v7, v45, s[34:35]
	v_max3_f32 v8, v8, v9, v10
	v_or_b32_e32 v9, 16, v6
	v_or_b32_e32 v10, 17, v6
	v_cmp_gt_i32_e64 s[18:19], s33, v9
	v_cmp_gt_i32_e64 s[20:21], s33, v10
	s_nop 0
	v_cndmask_b32_e64 v9, v7, v52, s[18:19]
	v_cndmask_b32_e64 v10, v7, v53, s[20:21]
	v_max3_f32 v8, v8, v9, v10
	v_or_b32_e32 v9, 18, v6
	v_or_b32_e32 v10, 19, v6
	v_cmp_gt_i32_e64 s[22:23], s33, v9
	v_cmp_gt_i32_e64 s[36:37], s33, v10
	s_nop 0
	v_cndmask_b32_e64 v9, v7, v34, s[22:23]
	v_cndmask_b32_e64 v10, v7, v35, s[36:37]
	v_max3_f32 v8, v8, v9, v10
	v_or_b32_e32 v9, 32, v6
	v_or_b32_e32 v10, 33, v6
	v_cmp_gt_i32_e64 s[10:11], s33, v9
	v_cmp_gt_i32_e64 s[12:13], s33, v10
	s_nop 0
	v_cndmask_b32_e64 v9, v7, v46, s[10:11]
	v_cndmask_b32_e64 v10, v7, v47, s[12:13]
	v_max3_f32 v8, v8, v9, v10
	v_or_b32_e32 v9, 34, v6
	v_or_b32_e32 v10, 35, v6
	v_cmp_gt_i32_e64 s[14:15], s33, v9
	v_cmp_gt_i32_e64 s[16:17], s33, v10
	s_nop 0
	v_cndmask_b32_e64 v9, v7, v40, s[14:15]
	v_cndmask_b32_e64 v10, v7, v41, s[16:17]
	v_max3_f32 v8, v8, v9, v10
	v_or_b32_e32 v9, 48, v6
	v_or_b32_e32 v10, 49, v6
	v_cmp_gt_i32_e32 vcc, s33, v9
	v_cmp_gt_i32_e64 s[4:5], s33, v10
	s_nop 0
	v_cndmask_b32_e32 v9, v7, v48, vcc
	v_cndmask_b32_e64 v10, v7, v49, s[4:5]
	v_max3_f32 v8, v8, v9, v10
	v_or_b32_e32 v9, 50, v6
	v_or_b32_e32 v6, 51, v6
	v_cmp_gt_i32_e64 s[6:7], s33, v9
	v_cmp_gt_i32_e64 s[8:9], s33, v6
	s_nop 0
	v_cndmask_b32_e64 v9, v7, v38, s[6:7]
	v_cndmask_b32_e64 v6, v7, v39, s[8:9]
	v_max3_f32 v8, v8, v9, v6
	v_mbcnt_lo_u32_b32 v6, -1, 0
	v_mbcnt_hi_u32_b32 v9, -1, v6
	v_and_b32_e32 v6, 64, v9
	v_add_u32_e32 v10, 64, v6
	v_xor_b32_e32 v6, 32, v9
	v_cmp_lt_i32_e64 s[38:39], v6, v10
	s_nop 1
	v_cndmask_b32_e64 v6, v9, v6, s[38:39]
	v_lshlrev_b32_e32 v55, 2, v6
	ds_bpermute_b32 v11, v55, v8
	v_mad_i64_i32 v[6:7], s[38:39], v67, s45, v[42:43]
	s_waitcnt lgkmcnt(0)
	v_max_f32_e32 v11, v11, v11
	v_max_f32_e32 v36, v8, v11
	v_xor_b32_e32 v8, 16, v9
	v_cmp_lt_i32_e64 s[38:39], v8, v10
	s_nop 1
	v_cndmask_b32_e64 v8, v9, v8, s[38:39]
	v_lshlrev_b32_e32 v56, 2, v8
	v_mad_i64_i32 v[8:9], s[38:39], v66, s45, v[42:43]
	global_load_dwordx4 v[10:13], v[6:7], off
	s_nop 0
	global_load_dwordx4 v[6:9], v[8:9], off
	ds_bpermute_b32 v37, v56, v36
	s_waitcnt lgkmcnt(0)
	s_barrier
	v_max_f32_e32 v37, v37, v37
	v_max_f32_e32 v54, v36, v37
	v_sub_f32_e32 v42, v44, v54
	v_mul_f32_e32 v42, 0x3fb8aa3b, v42
	v_exp_f32_e32 v42, v42
	v_sub_f32_e32 v43, v45, v54
	v_mul_f32_e32 v43, 0x3fb8aa3b, v43
	v_exp_f32_e32 v43, v43
	v_cndmask_b32_e64 v44, 0, v42, s[30:31]
	v_sub_f32_e32 v42, v52, v54
	v_sub_f32_e32 v34, v34, v54
	v_mul_f32_e32 v42, 0x3fb8aa3b, v42
	v_mul_f32_e32 v34, 0x3fb8aa3b, v34
	v_sub_f32_e32 v36, v50, v54
	v_exp_f32_e32 v42, v42
	v_exp_f32_e32 v50, v34
	v_cndmask_b32_e64 v45, 0, v43, s[34:35]
	v_sub_f32_e32 v43, v53, v54
	v_sub_f32_e32 v34, v35, v54
	;; [unrolled: 1-line block ×4, first 2 shown]
	v_mul_f32_e32 v43, 0x3fb8aa3b, v43
	v_mul_f32_e32 v34, 0x3fb8aa3b, v34
	;; [unrolled: 1-line block ×4, first 2 shown]
	v_sub_f32_e32 v37, v51, v54
	v_exp_f32_e32 v43, v43
	v_exp_f32_e32 v51, v34
	v_cndmask_b32_e64 v34, 0, v42, s[18:19]
	v_cndmask_b32_e64 v42, 0, v50, s[22:23]
	v_exp_f32_e32 v46, v46
	v_exp_f32_e32 v50, v40
	v_mul_f32_e32 v36, 0x3fb8aa3b, v36
	v_sub_f32_e32 v47, v47, v54
	v_sub_f32_e32 v40, v41, v54
	v_sub_f32_e32 v48, v48, v54
	v_sub_f32_e32 v38, v38, v54
	v_exp_f32_e32 v36, v36
	v_mul_f32_e32 v37, 0x3fb8aa3b, v37
	v_mul_f32_e32 v47, 0x3fb8aa3b, v47
	;; [unrolled: 1-line block ×5, first 2 shown]
	v_exp_f32_e32 v37, v37
	v_cndmask_b32_e64 v35, 0, v43, s[20:21]
	v_cndmask_b32_e64 v43, 0, v51, s[36:37]
	v_exp_f32_e32 v47, v47
	v_exp_f32_e32 v51, v40
	v_cndmask_b32_e64 v40, 0, v46, s[10:11]
	v_cndmask_b32_e64 v46, 0, v50, s[14:15]
	v_exp_f32_e32 v48, v48
	v_exp_f32_e32 v50, v38
	v_sub_f32_e32 v38, v39, v54
	v_cndmask_b32_e64 v36, 0, v36, s[26:27]
	v_mul_f32_e32 v38, 0x3fb8aa3b, v38
	v_cndmask_b32_e64 v37, 0, v37, s[28:29]
	v_cndmask_b32_e64 v41, 0, v47, s[12:13]
	;; [unrolled: 1-line block ×3, first 2 shown]
	v_exp_f32_e32 v51, v38
	v_cndmask_b32_e32 v38, 0, v48, vcc
	v_cndmask_b32_e64 v48, 0, v50, s[6:7]
	v_add_f32_e32 v50, 0, v36
	v_add_f32_e32 v50, v50, v37
	;; [unrolled: 1-line block ×6, first 2 shown]
	v_sub_f32_e32 v49, v49, v54
	v_add_f32_e32 v50, v50, v42
	v_mul_f32_e32 v49, 0x3fb8aa3b, v49
	v_add_f32_e32 v50, v50, v43
	v_exp_f32_e32 v49, v49
	v_add_f32_e32 v50, v50, v40
	v_add_f32_e32 v50, v50, v41
	;; [unrolled: 1-line block ×4, first 2 shown]
	v_cndmask_b32_e64 v39, 0, v49, s[4:5]
	v_add_f32_e32 v50, v50, v38
	v_add_f32_e32 v50, v50, v39
	v_cndmask_b32_e64 v49, 0, v51, s[8:9]
	v_add_f32_e32 v50, v50, v48
	v_add_f32_e32 v50, v50, v49
	ds_bpermute_b32 v51, v55, v50
	v_cmp_gt_u32_e32 vcc, 16, v65
	s_waitcnt lgkmcnt(0)
	v_add_f32_e32 v50, v50, v51
	ds_bpermute_b32 v51, v56, v50
	s_and_saveexec_b64 s[4:5], vcc
	s_cbranch_execz .LBB1317_13
; %bb.12:
	s_waitcnt lgkmcnt(0)
	v_add_f32_e32 v50, v50, v51
	v_lshlrev_b32_e32 v51, 2, v59
	ds_write2st64_b32 v51, v54, v50 offset1:1
.LBB1317_13:
	s_or_b64 exec, exec, s[4:5]
	s_waitcnt lgkmcnt(0)
	v_lshlrev_b32_e32 v51, 2, v60
	s_load_dword s6, s[0:1], 0x94
	s_waitcnt lgkmcnt(0)
	s_barrier
	ds_read2_b32 v[52:53], v51 offset1:16
	ds_read2_b32 v[54:55], v51 offset0:32 offset1:48
	ds_read2_b32 v[56:57], v51 offset0:64 offset1:80
	s_movk_i32 s8, 0x7fff
	s_mul_i32 s7, s25, 10
	s_waitcnt lgkmcnt(2)
	v_max3_f32 v50, v52, s40, v53
	s_waitcnt lgkmcnt(1)
	v_max3_f32 v50, v50, v54, v55
	v_sub_f32_e32 v52, v52, v50
	v_mul_f32_e32 v52, 0x3fb8aa3b, v52
	v_exp_f32_e32 v59, v52
	v_sub_f32_e32 v52, v53, v50
	v_mul_f32_e32 v52, 0x3fb8aa3b, v52
	v_exp_f32_e32 v62, v52
	;; [unrolled: 3-line block ×3, first 2 shown]
	ds_read2_b32 v[52:53], v51 offset0:96 offset1:112
	v_sub_f32_e32 v51, v55, v50
	v_mul_f32_e32 v51, 0x3fb8aa3b, v51
	v_exp_f32_e32 v55, v51
	s_waitcnt lgkmcnt(1)
	v_fma_f32 v51, v59, v56, 0
	v_fmac_f32_e32 v51, v62, v57
	s_waitcnt lgkmcnt(0)
	v_fmac_f32_e32 v51, v54, v52
	v_fmac_f32_e32 v51, v55, v53
	v_add_f32_e32 v52, 0x358637bd, v51
	v_div_scale_f32 v53, s[4:5], v52, v52, 1.0
	v_rcp_f32_e32 v56, v53
	s_barrier
	v_fma_f32 v57, -v53, v56, 1.0
	v_fmac_f32_e32 v56, v57, v56
	v_div_scale_f32 v57, vcc, 1.0, v52, 1.0
	v_mul_f32_e32 v63, v57, v56
	v_fma_f32 v65, -v53, v63, v57
	v_fmac_f32_e32 v63, v65, v56
	v_fma_f32 v53, -v53, v63, v57
	v_div_fmas_f32 v53, v53, v56, v63
	v_cmp_eq_u32_e32 vcc, 1, v61
	v_div_fixup_f32 v52, v53, v52, 1.0
	s_nop 0
	v_cndmask_b32_e32 v53, v59, v62, vcc
	v_cmp_eq_u32_e32 vcc, 2, v61
	s_nop 1
	v_cndmask_b32_e32 v53, v53, v54, vcc
	v_cmp_eq_u32_e32 vcc, 3, v61
	s_nop 1
	v_cndmask_b32_e32 v53, v53, v55, vcc
	v_mul_f32_e32 v52, v53, v52
	v_pk_mul_f32 v[36:37], v[52:53], v[36:37] op_sel_hi:[0,1]
	v_pk_mul_f32 v[44:45], v[52:53], v[44:45] op_sel_hi:[0,1]
	v_bfe_u32 v53, v37, 16, 1
	v_bfe_u32 v54, v36, 16, 1
	v_add3_u32 v36, v36, v54, s8
	v_add3_u32 v37, v37, v53, s8
	v_perm_b32 v56, v37, v36, s44
	v_bfe_u32 v36, v45, 16, 1
	v_bfe_u32 v37, v44, 16, 1
	v_add3_u32 v37, v44, v37, s8
	v_add3_u32 v36, v45, v36, s8
	v_perm_b32 v57, v36, v37, s44
	v_lshlrev_b32_e32 v37, 3, v64
	v_lshlrev_b32_e32 v36, 5, v60
	;; [unrolled: 1-line block ×3, first 2 shown]
	v_pk_mul_f32 v[34:35], v[52:53], v[34:35] op_sel_hi:[0,1]
	v_or3_b32 v54, v44, v36, v37
	v_bfe_u32 v37, v35, 16, 1
	v_bfe_u32 v44, v34, 16, 1
	v_pk_mul_f32 v[42:43], v[52:53], v[42:43] op_sel_hi:[0,1]
	v_add3_u32 v34, v34, v44, s8
	v_add3_u32 v35, v35, v37, s8
	v_perm_b32 v34, v35, v34, s44
	v_bfe_u32 v35, v43, 16, 1
	v_bfe_u32 v37, v42, 16, 1
	v_add3_u32 v37, v42, v37, s8
	v_add3_u32 v35, v43, v35, s8
	v_pk_mul_f32 v[40:41], v[52:53], v[40:41] op_sel_hi:[0,1]
	v_perm_b32 v35, v35, v37, s44
	v_bfe_u32 v37, v41, 16, 1
	v_bfe_u32 v42, v40, 16, 1
	ds_write2st64_b64 v54, v[56:57], v[34:35] offset1:1
	v_pk_mul_f32 v[34:35], v[52:53], v[46:47] op_sel_hi:[0,1]
	v_add3_u32 v40, v40, v42, s8
	v_add3_u32 v37, v41, v37, s8
	v_perm_b32 v40, v37, v40, s44
	v_bfe_u32 v37, v35, 16, 1
	v_bfe_u32 v41, v34, 16, 1
	v_pk_mul_f32 v[38:39], v[52:53], v[38:39] op_sel_hi:[0,1]
	v_add3_u32 v34, v34, v41, s8
	v_add3_u32 v35, v35, v37, s8
	v_bfe_u32 v37, v39, 16, 1
	v_bfe_u32 v42, v38, 16, 1
	v_perm_b32 v41, v35, v34, s44
	v_pk_mul_f32 v[34:35], v[52:53], v[48:49] op_sel_hi:[0,1]
	v_add3_u32 v38, v38, v42, s8
	v_add3_u32 v37, v39, v37, s8
	v_perm_b32 v38, v37, v38, s44
	v_bfe_u32 v37, v35, 16, 1
	v_bfe_u32 v39, v34, 16, 1
	v_add3_u32 v34, v34, v39, s8
	v_add3_u32 v35, v35, v37, s8
	v_perm_b32 v39, v35, v34, s44
	v_cmp_gt_u32_e32 vcc, 10, v0
	ds_write2st64_b64 v54, v[40:41], v[38:39] offset0:2 offset1:3
	s_and_saveexec_b64 s[4:5], vcc
	s_cbranch_execz .LBB1317_15
; %bb.14:
	s_mov_b32 s49, 0
	v_mov_b32_e32 v61, 0
	v_lshl_add_u64 v[34:35], s[48:49], 0, v[60:61]
	v_mov_b32_e32 v37, s7
	v_mad_u64_u32 v[34:35], s[10:11], s2, v37, v[34:35]
	s_mul_i32 s3, s3, s7
	v_mov_b32_e32 v38, s24
	v_mov_b32_e32 v39, v61
	s_load_dwordx4 s[12:15], s[0:1], 0x58
	v_add_u32_e32 v37, s3, v35
	v_mad_u64_u32 v[34:35], s[10:11], v34, s6, v[38:39]
	v_mov_b32_e32 v38, v35
	v_mad_u64_u32 v[38:39], s[10:11], v37, s6, v[38:39]
	v_mov_b32_e32 v35, v38
	v_lshlrev_b64 v[34:35], 2, v[34:35]
	s_waitcnt lgkmcnt(0)
	v_lshl_add_u64 v[38:39], s[14:15], 0, v[34:35]
	v_lshl_add_u64 v[34:35], s[12:13], 0, v[34:35]
	global_store_dword v[38:39], v50, off
	global_store_dword v[34:35], v51, off
.LBB1317_15:
	s_or_b64 exec, exec, s[4:5]
	v_lshl_or_b32 v50, v64, 9, v36
	s_waitcnt vmcnt(7)
	v_cvt_pk_f32_fp8_e32 v[34:35], v30
	v_cvt_pk_f32_fp8_sdwa v[36:37], v30 src0_sel:WORD_1
	s_mov_b32 s5, 0x7060302
	s_waitcnt lgkmcnt(0)
	s_barrier
	v_cvt_pk_f32_fp8_e32 v[38:39], v31
	v_perm_b32 v30, v35, v34, s5
	v_cvt_pk_f32_fp8_sdwa v[40:41], v31 src0_sel:WORD_1
	v_perm_b32 v31, v37, v36, s5
	ds_read_b128 v[34:37], v50
	v_perm_b32 v46, v39, v38, s5
	v_perm_b32 v47, v41, v40, s5
	ds_read_b128 v[38:41], v50 offset:16
	v_cvt_pk_f32_fp8_e32 v[48:49], v32
	v_cvt_pk_f32_fp8_sdwa v[52:53], v32 src0_sel:WORD_1
	s_waitcnt lgkmcnt(1)
	v_mfma_f32_16x16x16_bf16 v[42:45], v[30:31], v[34:35], 0
	s_waitcnt vmcnt(6)
	v_cvt_pk_f32_fp8_e32 v[56:57], v24
	v_perm_b32 v30, v49, v48, s5
	v_perm_b32 v31, v53, v52, s5
	v_cvt_pk_f32_fp8_e32 v[48:49], v33
	v_mfma_f32_16x16x16_bf16 v[42:45], v[46:47], v[36:37], v[42:45]
	v_cvt_pk_f32_fp8_sdwa v[46:47], v33 src0_sel:WORD_1
	v_cvt_pk_f32_fp8_sdwa v[62:63], v24 src0_sel:WORD_1
	v_perm_b32 v48, v49, v48, s5
	s_waitcnt lgkmcnt(0)
	v_mfma_f32_16x16x16_bf16 v[30:33], v[30:31], v[38:39], v[42:45]
	v_perm_b32 v49, v47, v46, s5
	s_waitcnt vmcnt(4)
	v_cvt_pk_f32_fp8_sdwa v[70:71], v4 src0_sel:WORD_1
	s_load_dword s4, s[42:43], 0x0
	v_cvt_pk_f32_fp8_e32 v[42:43], v22
	v_mfma_f32_16x16x16_bf16 v[46:49], v[48:49], v[40:41], v[30:33]
	s_waitcnt vmcnt(3)
	v_cvt_pk_f32_fp8_sdwa v[72:73], v28 src0_sel:WORD_1
	s_mov_b32 s3, 0
	v_cvt_pk_f32_fp8_sdwa v[30:31], v22 src0_sel:WORD_1
	v_cvt_pk_f32_fp8_e32 v[32:33], v23
	v_perm_b32 v22, v43, v42, s5
	v_cvt_pk_f32_fp8_sdwa v[42:43], v23 src0_sel:WORD_1
	v_perm_b32 v23, v31, v30, s5
	v_perm_b32 v52, v33, v32, s5
	ds_read_b128 v[30:33], v50 offset:2048
	v_perm_b32 v53, v43, v42, s5
	ds_read_b128 v[42:45], v50 offset:2064
	s_waitcnt lgkmcnt(0)
	v_mfma_f32_16x16x16_bf16 v[46:49], v[22:23], v[30:31], v[46:49]
	v_perm_b32 v22, v57, v56, s5
	v_perm_b32 v23, v63, v62, s5
	v_cvt_pk_f32_fp8_e32 v[56:57], v25
	v_mfma_f32_16x16x16_bf16 v[46:49], v[52:53], v[32:33], v[46:49]
	v_cvt_pk_f32_fp8_sdwa v[52:53], v25 src0_sel:WORD_1
	v_cvt_pk_f32_fp8_sdwa v[62:63], v16 src0_sel:WORD_1
	v_perm_b32 v56, v57, v56, s5
	v_mfma_f32_16x16x16_bf16 v[22:25], v[22:23], v[42:43], v[46:49]
	v_perm_b32 v57, v53, v52, s5
	v_cmp_gt_u32_e32 vcc, 64, v0
	s_nop 0
	v_cvt_pk_f32_fp8_e32 v[46:47], v14
	v_mfma_f32_16x16x16_bf16 v[66:69], v[56:57], v[44:45], v[22:25]
	v_cvt_pk_f32_fp8_e32 v[56:57], v16
	s_nop 1
	v_cvt_pk_f32_fp8_sdwa v[22:23], v14 src0_sel:WORD_1
	v_cvt_pk_f32_fp8_e32 v[24:25], v15
	v_perm_b32 v14, v47, v46, s5
	v_cvt_pk_f32_fp8_sdwa v[46:47], v15 src0_sel:WORD_1
	v_perm_b32 v15, v23, v22, s5
	v_perm_b32 v52, v25, v24, s5
	ds_read_b128 v[22:25], v50 offset:4096
	v_perm_b32 v53, v47, v46, s5
	ds_read_b128 v[46:49], v50 offset:4112
	s_waitcnt lgkmcnt(1)
	v_mfma_f32_16x16x16_bf16 v[66:69], v[14:15], v[22:23], v[66:69]
	v_perm_b32 v14, v57, v56, s5
	v_perm_b32 v15, v63, v62, s5
	v_cvt_pk_f32_fp8_e32 v[56:57], v17
	v_mfma_f32_16x16x16_bf16 v[66:69], v[52:53], v[24:25], v[66:69]
	v_cvt_pk_f32_fp8_sdwa v[52:53], v17 src0_sel:WORD_1
	v_cvt_pk_f32_fp8_e32 v[62:63], v4
	v_perm_b32 v56, v57, v56, s5
	s_waitcnt lgkmcnt(0)
	v_mfma_f32_16x16x16_bf16 v[14:17], v[14:15], v[46:47], v[66:69]
	v_perm_b32 v57, v53, v52, s5
	v_cvt_pk_f32_fp8_e32 v[52:53], v2
	s_nop 0
	v_mfma_f32_16x16x16_bf16 v[66:69], v[56:57], v[48:49], v[14:17]
	s_nop 2
	v_cvt_pk_f32_fp8_sdwa v[14:15], v2 src0_sel:WORD_1
	v_cvt_pk_f32_fp8_e32 v[16:17], v3
	v_perm_b32 v2, v53, v52, s5
	v_cvt_pk_f32_fp8_sdwa v[52:53], v3 src0_sel:WORD_1
	v_perm_b32 v3, v15, v14, s5
	v_perm_b32 v56, v17, v16, s5
	ds_read_b128 v[14:17], v50 offset:6144
	v_perm_b32 v57, v53, v52, s5
	s_waitcnt lgkmcnt(0)
	v_mfma_f32_16x16x16_bf16 v[66:69], v[2:3], v[14:15], v[66:69]
	ds_read_b128 v[50:53], v50 offset:6160
	v_perm_b32 v2, v63, v62, s5
	v_perm_b32 v3, v71, v70, s5
	v_cvt_pk_f32_fp8_e32 v[62:63], v5
	v_mfma_f32_16x16x16_bf16 v[66:69], v[56:57], v[16:17], v[66:69]
	v_cvt_pk_f32_fp8_sdwa v[56:57], v5 src0_sel:WORD_1
	v_cvt_pk_f32_fp8_e32 v[70:71], v28
	v_perm_b32 v62, v63, v62, s5
	s_waitcnt lgkmcnt(0)
	v_mfma_f32_16x16x16_bf16 v[2:5], v[2:3], v[50:51], v[66:69]
	v_perm_b32 v63, v57, v56, s5
	v_cvt_pk_f32_fp8_sdwa v[56:57], v26 src0_sel:WORD_1
	s_nop 0
	v_mfma_f32_16x16x16_bf16 v[66:69], v[62:63], v[52:53], v[2:5]
	s_barrier
	s_nop 1
	v_cvt_pk_f32_fp8_e32 v[4:5], v26
	s_nop 2
	v_pk_mul_f32 v[62:63], v[66:67], s[4:5] op_sel_hi:[1,0]
	v_cvt_pk_f32_fp8_e32 v[66:67], v27
	v_perm_b32 v4, v5, v4, s5
	v_perm_b32 v5, v57, v56, s5
	v_cvt_pk_f32_fp8_sdwa v[26:27], v27 src0_sel:WORD_1
	v_perm_b32 v56, v67, v66, s5
	v_pk_mul_f32 v[2:3], v[68:69], s[4:5] op_sel_hi:[1,0]
	v_mfma_f32_16x16x16_bf16 v[66:69], v[4:5], v[34:35], 0
	v_perm_b32 v57, v27, v26, s5
	v_perm_b32 v4, v71, v70, s5
	;; [unrolled: 1-line block ×3, first 2 shown]
	v_cvt_pk_f32_fp8_e32 v[34:35], v29
	v_cvt_pk_f32_fp8_sdwa v[70:71], v29 src0_sel:WORD_1
	v_mfma_f32_16x16x16_bf16 v[26:29], v[56:57], v[36:37], v[66:69]
	s_waitcnt vmcnt(2)
	v_cvt_pk_f32_fp8_sdwa v[36:37], v18 src0_sel:WORD_1
	v_perm_b32 v34, v35, v34, s5
	v_perm_b32 v35, v71, v70, s5
	v_mfma_f32_16x16x16_bf16 v[26:29], v[4:5], v[38:39], v[26:29]
	v_cvt_pk_f32_fp8_e32 v[4:5], v18
	v_cvt_pk_f32_fp8_sdwa v[38:39], v20 src0_sel:WORD_1
	v_bfe_u32 v55, v63, 16, 1
	v_mfma_f32_16x16x16_bf16 v[26:29], v[34:35], v[40:41], v[26:29]
	v_cvt_pk_f32_fp8_e32 v[34:35], v19
	v_perm_b32 v4, v5, v4, s5
	v_perm_b32 v5, v37, v36, s5
	v_cvt_pk_f32_fp8_sdwa v[18:19], v19 src0_sel:WORD_1
	v_perm_b32 v34, v35, v34, s5
	v_cvt_pk_f32_fp8_e32 v[36:37], v20
	v_mfma_f32_16x16x16_bf16 v[26:29], v[4:5], v[30:31], v[26:29]
	v_perm_b32 v35, v19, v18, s5
	v_perm_b32 v4, v37, v36, s5
	;; [unrolled: 1-line block ×3, first 2 shown]
	v_cvt_pk_f32_fp8_e32 v[30:31], v21
	v_cvt_pk_f32_fp8_sdwa v[36:37], v21 src0_sel:WORD_1
	v_mfma_f32_16x16x16_bf16 v[18:21], v[34:35], v[32:33], v[26:29]
	v_bfe_u32 v56, v62, 16, 1
	v_add3_u32 v32, v62, v56, s8
	v_add3_u32 v33, v63, v55, s8
	v_perm_b32 v26, v31, v30, s5
	v_perm_b32 v27, v37, v36, s5
	v_mfma_f32_16x16x16_bf16 v[18:21], v[4:5], v[42:43], v[18:21]
	s_waitcnt vmcnt(1)
	v_cvt_pk_f32_fp8_e32 v[4:5], v10
	v_cvt_pk_f32_fp8_sdwa v[28:29], v10 src0_sel:WORD_1
	v_cvt_pk_f32_fp8_sdwa v[30:31], v12 src0_sel:WORD_1
	v_mfma_f32_16x16x16_bf16 v[18:21], v[26:27], v[44:45], v[18:21]
	v_cvt_pk_f32_fp8_e32 v[26:27], v11
	v_perm_b32 v4, v5, v4, s5
	v_perm_b32 v5, v29, v28, s5
	v_cvt_pk_f32_fp8_sdwa v[10:11], v11 src0_sel:WORD_1
	v_perm_b32 v26, v27, v26, s5
	v_cvt_pk_f32_fp8_e32 v[28:29], v12
	v_mfma_f32_16x16x16_bf16 v[18:21], v[4:5], v[22:23], v[18:21]
	v_perm_b32 v27, v11, v10, s5
	v_perm_b32 v4, v29, v28, s5
	;; [unrolled: 1-line block ×3, first 2 shown]
	v_cvt_pk_f32_fp8_e32 v[22:23], v13
	v_cvt_pk_f32_fp8_sdwa v[28:29], v13 src0_sel:WORD_1
	v_mfma_f32_16x16x16_bf16 v[10:13], v[26:27], v[24:25], v[18:21]
	s_waitcnt vmcnt(0)
	v_cvt_pk_f32_fp8_sdwa v[24:25], v8 src0_sel:WORD_1
	s_nop 0
	v_perm_b32 v20, v23, v22, s5
	v_perm_b32 v21, v29, v28, s5
	v_mfma_f32_16x16x16_bf16 v[10:13], v[4:5], v[46:47], v[10:13]
	v_cvt_pk_f32_fp8_e32 v[4:5], v6
	v_cvt_pk_f32_fp8_sdwa v[22:23], v6 src0_sel:WORD_1
	v_bfe_u32 v19, v3, 16, 1
	v_mfma_f32_16x16x16_bf16 v[10:13], v[20:21], v[48:49], v[10:13]
	v_cvt_pk_f32_fp8_e32 v[20:21], v7
	v_perm_b32 v4, v5, v4, s5
	v_perm_b32 v5, v23, v22, s5
	v_cvt_pk_f32_fp8_sdwa v[6:7], v7 src0_sel:WORD_1
	v_perm_b32 v20, v21, v20, s5
	v_cvt_pk_f32_fp8_e32 v[22:23], v8
	v_add3_u32 v3, v3, v19, s8
	v_perm_b32 v21, v7, v6, s5
	v_mfma_f32_16x16x16_bf16 v[4:7], v[4:5], v[14:15], v[10:13]
	v_bfe_u32 v14, v2, 16, 1
	v_add3_u32 v2, v2, v14, s8
	v_perm_b32 v19, v3, v2, s5
	v_perm_b32 v10, v23, v22, s5
	;; [unrolled: 1-line block ×3, first 2 shown]
	v_cvt_pk_f32_fp8_e32 v[12:13], v9
	v_cvt_pk_f32_fp8_sdwa v[8:9], v9 src0_sel:WORD_1
	v_mfma_f32_16x16x16_bf16 v[4:7], v[20:21], v[16:17], v[4:7]
	v_perm_b32 v18, v33, v32, s5
	v_perm_b32 v12, v13, v12, s5
	;; [unrolled: 1-line block ×3, first 2 shown]
	v_mfma_f32_16x16x16_bf16 v[4:7], v[10:11], v[50:51], v[4:7]
	s_nop 0
	v_mfma_f32_16x16x16_bf16 v[2:5], v[12:13], v[52:53], v[4:7]
	s_nop 6
	v_pk_mul_f32 v[2:3], v[2:3], s[4:5] op_sel_hi:[1,0]
	v_pk_mul_f32 v[4:5], v[4:5], s[4:5] op_sel_hi:[1,0]
	v_bfe_u32 v6, v3, 16, 1
	v_bfe_u32 v7, v2, 16, 1
	v_add3_u32 v2, v2, v7, s8
	v_add3_u32 v3, v3, v6, s8
	v_perm_b32 v2, v3, v2, s5
	v_bfe_u32 v3, v5, 16, 1
	v_bfe_u32 v6, v4, 16, 1
	v_add3_u32 v4, v4, v6, s8
	v_add3_u32 v3, v5, v3, s8
	v_perm_b32 v3, v3, v4, s5
	ds_write2st64_b64 v54, v[18:19], v[2:3] offset1:1
	s_waitcnt lgkmcnt(0)
	s_barrier
	s_and_saveexec_b64 s[4:5], vcc
	s_cbranch_execz .LBB1317_18
; %bb.16:
	s_load_dwordx2 s[4:5], s[0:1], 0x68
	s_lshl_b32 s0, s6, 7
	s_mul_i32 s1, s7, s2
	v_lshlrev_b32_e32 v3, 6, v60
	s_mul_hi_u32 s7, s1, s0
	s_mul_i32 s6, s1, s0
	v_lshl_or_b32 v0, v0, 10, v3
	s_lshl_b64 s[6:7], s[6:7], 1
	v_lshlrev_b32_e32 v2, 5, v64
	v_and_b32_e32 v1, 16, v1
	v_and_b32_e32 v0, 0x1a00, v0
	s_waitcnt lgkmcnt(0)
	s_add_u32 s1, s4, s6
	v_or3_b32 v2, v0, v2, v1
	s_addc_u32 s4, s5, s7
	s_lshl_b32 s2, s24, 7
	s_lshl_b64 s[2:3], s[2:3], 1
	ds_read_b128 v[4:7], v2 offset:128
	ds_read_b128 v[8:11], v2
	s_add_u32 s2, s1, s2
	s_addc_u32 s3, s4, s3
	v_mov_b32_e32 v59, 0
	v_add_u32_e32 v14, s48, v64
	v_lshl_add_u64 v[0:1], s[2:3], 0, v[58:59]
	v_mad_u64_u32 v[12:13], s[2:3], v14, s0, 0
	v_lshl_add_u64 v[12:13], v[12:13], 1, v[0:1]
	s_waitcnt lgkmcnt(0)
	global_store_dwordx4 v[12:13], v[8:11], off
	v_or_b32_e32 v3, 8, v64
	v_cmp_gt_u32_e32 vcc, 10, v3
	v_add_u32_e32 v8, 4, v14
	v_mad_u64_u32 v[8:9], s[2:3], v8, s0, 0
	v_lshl_add_u64 v[8:9], v[8:9], 1, v[0:1]
	global_store_dwordx4 v[8:9], v[4:7], off
	s_and_b64 exec, exec, vcc
	s_cbranch_execz .LBB1317_18
; %bb.17:
	ds_read_b128 v[4:7], v2 offset:256
	v_add_u32_e32 v2, s48, v3
	v_mad_u64_u32 v[2:3], s[0:1], v2, s0, 0
	v_lshl_add_u64 v[0:1], v[2:3], 1, v[0:1]
	s_waitcnt lgkmcnt(0)
	global_store_dwordx4 v[0:1], v[4:7], off
.LBB1317_18:
	s_endpgm
	.section	.rodata,"a",@progbits
	.p2align	6, 0x0
	.amdhsa_kernel _Z39paged_attention_ll4mi_QKV_mfma16_kernelI14__hip_bfloat16hLN4vllm18Fp8KVCacheDataTypeE1ES0_Li16ELi128ELi256ELb0ELi10EEvPKT_PKT0_S8_ifPKiSA_SA_iPKfiiiPfSD_PS3_PT2_iSC_SC_
		.amdhsa_group_segment_fixed_size 8192
		.amdhsa_private_segment_fixed_size 0
		.amdhsa_kernarg_size 400
		.amdhsa_user_sgpr_count 2
		.amdhsa_user_sgpr_dispatch_ptr 0
		.amdhsa_user_sgpr_queue_ptr 0
		.amdhsa_user_sgpr_kernarg_segment_ptr 1
		.amdhsa_user_sgpr_dispatch_id 0
		.amdhsa_user_sgpr_kernarg_preload_length 0
		.amdhsa_user_sgpr_kernarg_preload_offset 0
		.amdhsa_user_sgpr_private_segment_size 0
		.amdhsa_uses_dynamic_stack 0
		.amdhsa_enable_private_segment 0
		.amdhsa_system_sgpr_workgroup_id_x 1
		.amdhsa_system_sgpr_workgroup_id_y 1
		.amdhsa_system_sgpr_workgroup_id_z 1
		.amdhsa_system_sgpr_workgroup_info 0
		.amdhsa_system_vgpr_workitem_id 0
		.amdhsa_next_free_vgpr 86
		.amdhsa_next_free_sgpr 50
		.amdhsa_accum_offset 88
		.amdhsa_reserve_vcc 1
		.amdhsa_float_round_mode_32 0
		.amdhsa_float_round_mode_16_64 0
		.amdhsa_float_denorm_mode_32 3
		.amdhsa_float_denorm_mode_16_64 3
		.amdhsa_dx10_clamp 1
		.amdhsa_ieee_mode 1
		.amdhsa_fp16_overflow 0
		.amdhsa_tg_split 0
		.amdhsa_exception_fp_ieee_invalid_op 0
		.amdhsa_exception_fp_denorm_src 0
		.amdhsa_exception_fp_ieee_div_zero 0
		.amdhsa_exception_fp_ieee_overflow 0
		.amdhsa_exception_fp_ieee_underflow 0
		.amdhsa_exception_fp_ieee_inexact 0
		.amdhsa_exception_int_div_zero 0
	.end_amdhsa_kernel
	.section	.text._Z39paged_attention_ll4mi_QKV_mfma16_kernelI14__hip_bfloat16hLN4vllm18Fp8KVCacheDataTypeE1ES0_Li16ELi128ELi256ELb0ELi10EEvPKT_PKT0_S8_ifPKiSA_SA_iPKfiiiPfSD_PS3_PT2_iSC_SC_,"axG",@progbits,_Z39paged_attention_ll4mi_QKV_mfma16_kernelI14__hip_bfloat16hLN4vllm18Fp8KVCacheDataTypeE1ES0_Li16ELi128ELi256ELb0ELi10EEvPKT_PKT0_S8_ifPKiSA_SA_iPKfiiiPfSD_PS3_PT2_iSC_SC_,comdat
.Lfunc_end1317:
	.size	_Z39paged_attention_ll4mi_QKV_mfma16_kernelI14__hip_bfloat16hLN4vllm18Fp8KVCacheDataTypeE1ES0_Li16ELi128ELi256ELb0ELi10EEvPKT_PKT0_S8_ifPKiSA_SA_iPKfiiiPfSD_PS3_PT2_iSC_SC_, .Lfunc_end1317-_Z39paged_attention_ll4mi_QKV_mfma16_kernelI14__hip_bfloat16hLN4vllm18Fp8KVCacheDataTypeE1ES0_Li16ELi128ELi256ELb0ELi10EEvPKT_PKT0_S8_ifPKiSA_SA_iPKfiiiPfSD_PS3_PT2_iSC_SC_
                                        ; -- End function
	.section	.AMDGPU.csdata,"",@progbits
; Kernel info:
; codeLenInByte = 6340
; NumSgprs: 56
; NumVgprs: 86
; NumAgprs: 0
; TotalNumVgprs: 86
; ScratchSize: 0
; MemoryBound: 0
; FloatMode: 240
; IeeeMode: 1
; LDSByteSize: 8192 bytes/workgroup (compile time only)
; SGPRBlocks: 6
; VGPRBlocks: 10
; NumSGPRsForWavesPerEU: 56
; NumVGPRsForWavesPerEU: 86
; AccumOffset: 88
; Occupancy: 5
; WaveLimiterHint : 1
; COMPUTE_PGM_RSRC2:SCRATCH_EN: 0
; COMPUTE_PGM_RSRC2:USER_SGPR: 2
; COMPUTE_PGM_RSRC2:TRAP_HANDLER: 0
; COMPUTE_PGM_RSRC2:TGID_X_EN: 1
; COMPUTE_PGM_RSRC2:TGID_Y_EN: 1
; COMPUTE_PGM_RSRC2:TGID_Z_EN: 1
; COMPUTE_PGM_RSRC2:TIDIG_COMP_CNT: 0
; COMPUTE_PGM_RSRC3_GFX90A:ACCUM_OFFSET: 21
; COMPUTE_PGM_RSRC3_GFX90A:TG_SPLIT: 0
	.section	.text._Z39paged_attention_ll4mi_QKV_mfma16_kernelI14__hip_bfloat16hLN4vllm18Fp8KVCacheDataTypeE1ES0_Li16ELi128ELi256ELb0ELi11EEvPKT_PKT0_S8_ifPKiSA_SA_iPKfiiiPfSD_PS3_PT2_iSC_SC_,"axG",@progbits,_Z39paged_attention_ll4mi_QKV_mfma16_kernelI14__hip_bfloat16hLN4vllm18Fp8KVCacheDataTypeE1ES0_Li16ELi128ELi256ELb0ELi11EEvPKT_PKT0_S8_ifPKiSA_SA_iPKfiiiPfSD_PS3_PT2_iSC_SC_,comdat
	.protected	_Z39paged_attention_ll4mi_QKV_mfma16_kernelI14__hip_bfloat16hLN4vllm18Fp8KVCacheDataTypeE1ES0_Li16ELi128ELi256ELb0ELi11EEvPKT_PKT0_S8_ifPKiSA_SA_iPKfiiiPfSD_PS3_PT2_iSC_SC_ ; -- Begin function _Z39paged_attention_ll4mi_QKV_mfma16_kernelI14__hip_bfloat16hLN4vllm18Fp8KVCacheDataTypeE1ES0_Li16ELi128ELi256ELb0ELi11EEvPKT_PKT0_S8_ifPKiSA_SA_iPKfiiiPfSD_PS3_PT2_iSC_SC_
	.globl	_Z39paged_attention_ll4mi_QKV_mfma16_kernelI14__hip_bfloat16hLN4vllm18Fp8KVCacheDataTypeE1ES0_Li16ELi128ELi256ELb0ELi11EEvPKT_PKT0_S8_ifPKiSA_SA_iPKfiiiPfSD_PS3_PT2_iSC_SC_
	.p2align	8
	.type	_Z39paged_attention_ll4mi_QKV_mfma16_kernelI14__hip_bfloat16hLN4vllm18Fp8KVCacheDataTypeE1ES0_Li16ELi128ELi256ELb0ELi11EEvPKT_PKT0_S8_ifPKiSA_SA_iPKfiiiPfSD_PS3_PT2_iSC_SC_,@function
_Z39paged_attention_ll4mi_QKV_mfma16_kernelI14__hip_bfloat16hLN4vllm18Fp8KVCacheDataTypeE1ES0_Li16ELi128ELi256ELb0ELi11EEvPKT_PKT0_S8_ifPKiSA_SA_iPKfiiiPfSD_PS3_PT2_iSC_SC_: ; @_Z39paged_attention_ll4mi_QKV_mfma16_kernelI14__hip_bfloat16hLN4vllm18Fp8KVCacheDataTypeE1ES0_Li16ELi128ELi256ELb0ELi11EEvPKT_PKT0_S8_ifPKiSA_SA_iPKfiiiPfSD_PS3_PT2_iSC_SC_
; %bb.0:
	s_load_dwordx2 s[12:13], s[0:1], 0x30
	s_mov_b32 s24, s3
	s_mov_b64 s[6:7], 0
	s_waitcnt lgkmcnt(0)
	s_cmp_lg_u64 s[12:13], 0
	s_cselect_b64 s[14:15], -1, 0
	s_and_b64 vcc, exec, s[14:15]
	s_cbranch_vccz .LBB1318_7
; %bb.1:
	s_add_i32 s8, s2, 1
	s_mov_b32 s9, 0
	s_lshl_b64 s[10:11], s[8:9], 2
	s_add_u32 s10, s12, s10
	s_mov_b32 s3, s9
	s_addc_u32 s11, s13, s11
	s_lshl_b64 s[8:9], s[2:3], 2
	s_add_u32 s8, s12, s8
	s_addc_u32 s9, s13, s9
	s_load_dword s5, s[10:11], 0x0
	s_load_dword s16, s[8:9], 0x0
	s_waitcnt lgkmcnt(0)
	s_sub_i32 s5, s5, s16
	s_cmp_eq_u32 s5, 1
	s_cselect_b64 s[8:9], -1, 0
	s_andn2_b64 vcc, exec, s[6:7]
	s_cbranch_vccnz .LBB1318_3
.LBB1318_2:
	s_mov_b32 s3, 0
	s_mov_b64 s[8:9], -1
.LBB1318_3:
	s_andn2_b64 vcc, exec, s[8:9]
	s_cbranch_vccnz .LBB1318_18
; %bb.4:
	s_load_dwordx2 s[6:7], s[0:1], 0x28
	s_lshl_b64 s[16:17], s[2:3], 2
	s_waitcnt lgkmcnt(0)
	s_add_u32 s6, s6, s16
	s_addc_u32 s7, s7, s17
	s_load_dword s33, s[6:7], 0x0
	s_lshl_b32 s18, s24, 8
	s_waitcnt lgkmcnt(0)
	s_cmp_ge_i32 s18, s33
	s_cbranch_scc1 .LBB1318_18
; %bb.5:
	s_load_dwordx2 s[6:7], s[0:1], 0x20
	s_load_dword s8, s[0:1], 0x38
	s_add_i32 s5, s33, 15
	s_ashr_i32 s9, s5, 31
	v_and_b32_e32 v1, 0xcf, v0
	s_lshr_b32 s9, s9, 28
	v_add_u32_e32 v1, s18, v1
	s_add_i32 s5, s5, s9
	v_ashrrev_i32_e32 v2, 31, v1
	s_ashr_i32 s5, s5, 4
	v_lshrrev_b32_e32 v10, 28, v2
	s_add_i32 s5, s5, -1
	s_waitcnt lgkmcnt(0)
	s_mul_i32 s8, s2, s8
	s_mov_b32 s9, 0
	v_add_u32_e32 v2, v1, v10
	s_lshl_b64 s[8:9], s[8:9], 2
	v_ashrrev_i32_e32 v2, 4, v2
	v_mov_b32_e32 v11, s5
	v_cmp_gt_i32_e32 vcc, s33, v1
	s_add_u32 s6, s6, s8
	s_addc_u32 s7, s7, s9
	v_cndmask_b32_e32 v2, v11, v2, vcc
	v_ashrrev_i32_e32 v3, 31, v2
	v_lshl_add_u64 v[4:5], v[2:3], 2, s[6:7]
	v_or_b32_e32 v2, 16, v1
	v_add_u32_e32 v3, v2, v10
	v_ashrrev_i32_e32 v3, 4, v3
	v_cmp_gt_i32_e32 vcc, s33, v2
	s_load_dwordx4 s[8:11], s[0:1], 0x8
	s_nop 0
	v_cndmask_b32_e32 v2, v11, v3, vcc
	v_ashrrev_i32_e32 v3, 31, v2
	v_lshl_add_u64 v[6:7], v[2:3], 2, s[6:7]
	v_or_b32_e32 v2, 32, v1
	v_add_u32_e32 v3, v2, v10
	v_ashrrev_i32_e32 v3, 4, v3
	v_cmp_gt_i32_e32 vcc, s33, v2
	v_or_b32_e32 v1, 48, v1
	s_nop 0
	v_cndmask_b32_e32 v2, v11, v3, vcc
	v_ashrrev_i32_e32 v3, 31, v2
	v_lshl_add_u64 v[8:9], v[2:3], 2, s[6:7]
	v_add_u32_e32 v2, v1, v10
	v_ashrrev_i32_e32 v2, 4, v2
	v_cmp_gt_i32_e32 vcc, s33, v1
	s_nop 1
	v_cndmask_b32_e32 v2, v11, v2, vcc
	v_ashrrev_i32_e32 v3, 31, v2
	v_lshl_add_u64 v[10:11], v[2:3], 2, s[6:7]
	global_load_dword v3, v[4:5], off
	global_load_dword v2, v[6:7], off
	;; [unrolled: 1-line block ×4, first 2 shown]
	s_andn2_b64 vcc, exec, s[14:15]
	s_cbranch_vccnz .LBB1318_8
; %bb.6:
	s_add_u32 s12, s12, s16
	s_addc_u32 s13, s13, s17
	s_load_dword s14, s[12:13], 0x0
	s_branch .LBB1318_9
.LBB1318_7:
	s_mov_b64 s[8:9], 0
	s_branch .LBB1318_2
.LBB1318_8:
	s_mov_b32 s14, s2
.LBB1318_9:
	s_load_dwordx4 s[44:47], s[0:1], 0x48
	v_lshrrev_b32_e32 v61, 6, v0
	v_bfe_u32 v64, v0, 4, 2
	v_and_b32_e32 v60, 15, v0
	v_lshl_or_b32 v4, v61, 2, v64
	v_lshlrev_b32_e32 v1, 3, v60
	v_and_b32_e32 v65, 63, v0
	s_mul_i32 s48, s4, 11
	v_cmp_gt_u32_e32 vcc, 11, v4
	v_lshlrev_b32_e32 v58, 1, v1
	v_lshlrev_b32_e32 v1, 4, v0
	s_and_saveexec_b64 s[12:13], vcc
	s_cbranch_execz .LBB1318_11
; %bb.10:
	s_load_dwordx2 s[16:17], s[0:1], 0x0
	s_waitcnt lgkmcnt(0)
	s_ashr_i32 s15, s44, 31
	s_mul_hi_u32 s19, s14, s44
	s_mul_i32 s15, s14, s15
	s_add_i32 s15, s19, s15
	s_mul_i32 s14, s14, s44
	s_lshl_b64 s[14:15], s[14:15], 1
	s_add_u32 s14, s16, s14
	v_add_lshl_u32 v6, v4, s48, 7
	s_addc_u32 s15, s17, s15
	v_ashrrev_i32_e32 v7, 31, v6
	v_lshl_add_u64 v[6:7], v[6:7], 1, s[14:15]
	v_mov_b32_e32 v59, 0
	v_lshl_add_u64 v[6:7], v[6:7], 0, v[58:59]
	global_load_dwordx4 v[6:9], v[6:7], off
	v_lshlrev_b32_e32 v10, 8, v0
	v_lshlrev_b32_e32 v5, 8, v60
	v_and_b32_e32 v10, 0x600, v10
	s_movk_i32 s14, 0x800
	v_and_or_b32 v5, v5, s14, v10
	v_lshlrev_b32_e32 v4, 5, v4
	v_and_b32_e32 v10, 16, v1
	v_or3_b32 v4, v5, v4, v10
	s_waitcnt vmcnt(0)
	ds_write_b128 v4, v[6:9]
.LBB1318_11:
	s_or_b64 exec, exec, s[12:13]
	s_waitcnt lgkmcnt(0)
	s_mul_i32 s4, s4, s46
	s_add_u32 s8, s8, s4
	s_addc_u32 s9, s9, 0
	v_and_b32_e32 v62, 0xf0, v1
	v_mov_b32_e32 v63, 0
	v_and_b32_e32 v6, 48, v0
	v_lshl_add_u64 v[30:31], s[8:9], 0, v[62:63]
	v_lshlrev_b32_e32 v62, 4, v6
	s_waitcnt vmcnt(3)
	v_mad_i64_i32 v[4:5], s[8:9], v3, s45, v[30:31]
	v_lshl_add_u64 v[4:5], v[4:5], 0, v[62:63]
	s_load_dword s25, s[0:1], 0x98
	s_load_dwordx4 s[40:43], s[0:1], 0x80
	s_waitcnt lgkmcnt(0)
	s_barrier
	global_load_dwordx4 v[22:25], v[4:5], off
	global_load_dwordx4 v[14:17], v[4:5], off offset:1024
	s_waitcnt vmcnt(4)
	v_mad_i64_i32 v[2:3], s[8:9], v2, s45, v[30:31]
	v_lshl_add_u64 v[32:33], v[2:3], 0, v[62:63]
	global_load_dwordx4 v[2:5], v[32:33], off
	v_add_u32_e32 v7, -11, v60
	v_cmp_gt_u32_e32 vcc, 11, v60
	v_or_b32_e32 v6, s18, v6
	v_mov_b32_e32 v41, s5
	v_cndmask_b32_e32 v7, v7, v60, vcc
	v_lshlrev_b32_e32 v7, 5, v7
	v_ashrrev_i32_e32 v8, 4, v6
	v_lshl_add_u32 v7, v64, 9, v7
	v_cmp_gt_i32_e32 vcc, s33, v6
	v_or_b32_e32 v40, 64, v6
	v_or_b32_e32 v42, 0x80, v6
	;; [unrolled: 1-line block ×3, first 2 shown]
	v_cndmask_b32_e32 v38, v41, v8, vcc
	ds_read_b128 v[26:29], v7
	ds_read_b128 v[18:21], v7 offset:16
	ds_read_b128 v[10:13], v7 offset:2048
	;; [unrolled: 1-line block ×3, first 2 shown]
	s_waitcnt vmcnt(4)
	v_mad_i64_i32 v[36:37], s[12:13], v34, s45, v[30:31]
	s_waitcnt vmcnt(3)
	v_mad_i64_i32 v[34:35], s[12:13], v35, s45, v[30:31]
	global_load_dwordx4 v[30:33], v[32:33], off offset:1024
	v_ashrrev_i32_e32 v44, 4, v40
	v_cmp_gt_i32_e32 vcc, s33, v40
	v_ashrrev_i32_e32 v45, 4, v42
	v_ashrrev_i32_e32 v46, 4, v43
	v_cndmask_b32_e32 v40, v41, v44, vcc
	v_cmp_gt_i32_e32 vcc, s33, v42
	v_ashrrev_i32_e32 v39, 31, v38
	v_lshl_add_u64 v[36:37], v[36:37], 0, v[62:63]
	v_cndmask_b32_e32 v42, v41, v45, vcc
	v_cmp_gt_i32_e32 vcc, s33, v43
	v_lshl_add_u64 v[34:35], v[34:35], 0, v[62:63]
	v_ashrrev_i32_e32 v43, 31, v42
	v_cndmask_b32_e32 v44, v41, v46, vcc
	v_ashrrev_i32_e32 v41, 31, v40
	v_ashrrev_i32_e32 v45, 31, v44
	v_lshl_add_u64 v[50:51], v[38:39], 2, s[6:7]
	v_lshl_add_u64 v[52:53], v[40:41], 2, s[6:7]
	;; [unrolled: 1-line block ×4, first 2 shown]
	global_load_dwordx4 v[46:49], v[36:37], off
	global_load_dwordx4 v[42:45], v[36:37], off offset:1024
	global_load_dwordx4 v[38:41], v[34:35], off
	s_nop 0
	global_load_dwordx4 v[34:37], v[34:35], off offset:1024
	s_nop 0
	global_load_dword v69, v[50:51], off
	global_load_dword v68, v[52:53], off
	;; [unrolled: 1-line block ×4, first 2 shown]
	s_mov_b32 s44, 0x7060302
	s_add_u32 s4, s10, s4
	v_lshl_or_b32 v59, v61, 4, v60
	s_addc_u32 s5, s11, 0
	v_lshlrev_b32_e32 v62, 4, v59
	s_load_dword s8, s[0:1], 0x1c
	s_waitcnt vmcnt(11)
	v_cvt_pk_f32_fp8_e32 v[50:51], v22
	v_cvt_pk_f32_fp8_sdwa v[52:53], v22 src0_sel:WORD_1
	v_cvt_pk_f32_fp8_e32 v[54:55], v23
	v_cvt_pk_f32_fp8_sdwa v[22:23], v23 src0_sel:WORD_1
	s_waitcnt vmcnt(10)
	v_cvt_pk_f32_fp8_e32 v[76:77], v14
	v_cvt_pk_f32_fp8_sdwa v[78:79], v14 src0_sel:WORD_1
	v_cvt_pk_f32_fp8_e32 v[80:81], v15
	v_cvt_pk_f32_fp8_sdwa v[82:83], v15 src0_sel:WORD_1
	v_perm_b32 v14, v51, v50, s44
	v_perm_b32 v15, v53, v52, s44
	v_cvt_pk_f32_fp8_e32 v[56:57], v24
	v_cvt_pk_f32_fp8_sdwa v[70:71], v24 src0_sel:WORD_1
	v_perm_b32 v54, v55, v54, s44
	v_perm_b32 v55, v23, v22, s44
	v_cvt_pk_f32_fp8_e32 v[72:73], v25
	v_cvt_pk_f32_fp8_sdwa v[74:75], v25 src0_sel:WORD_1
	s_waitcnt lgkmcnt(0)
	v_mfma_f32_16x16x16_bf16 v[22:25], v[14:15], v[26:27], 0
	v_perm_b32 v14, v57, v56, s44
	v_perm_b32 v15, v71, v70, s44
	;; [unrolled: 1-line block ×3, first 2 shown]
	v_mfma_f32_16x16x16_bf16 v[22:25], v[54:55], v[28:29], v[22:25]
	v_perm_b32 v57, v75, v74, s44
	v_cvt_pk_f32_fp8_e32 v[50:51], v16
	v_cvt_pk_f32_fp8_sdwa v[52:53], v16 src0_sel:WORD_1
	v_cvt_pk_f32_fp8_e32 v[84:85], v17
	v_cvt_pk_f32_fp8_sdwa v[54:55], v17 src0_sel:WORD_1
	v_mfma_f32_16x16x16_bf16 v[14:17], v[14:15], v[18:19], v[22:25]
	v_perm_b32 v70, v81, v80, s44
	v_perm_b32 v71, v83, v82, s44
	;; [unrolled: 1-line block ×5, first 2 shown]
	v_mfma_f32_16x16x16_bf16 v[14:17], v[56:57], v[20:21], v[14:17]
	s_waitcnt vmcnt(9)
	v_cvt_pk_f32_fp8_e32 v[22:23], v2
	v_cvt_pk_f32_fp8_sdwa v[56:57], v2 src0_sel:WORD_1
	v_perm_b32 v51, v53, v52, s44
	v_mfma_f32_16x16x16_bf16 v[14:17], v[24:25], v[10:11], v[14:17]
	v_cvt_pk_f32_fp8_e32 v[24:25], v3
	v_cvt_pk_f32_fp8_sdwa v[2:3], v3 src0_sel:WORD_1
	v_perm_b32 v52, v85, v84, s44
	v_mfma_f32_16x16x16_bf16 v[14:17], v[70:71], v[12:13], v[14:17]
	v_perm_b32 v53, v55, v54, s44
	v_perm_b32 v22, v23, v22, s44
	v_perm_b32 v23, v57, v56, s44
	v_mfma_f32_16x16x16_bf16 v[14:17], v[50:51], v[6:7], v[14:17]
	v_cvt_pk_f32_fp8_e32 v[54:55], v4
	v_cvt_pk_f32_fp8_sdwa v[56:57], v4 src0_sel:WORD_1
	v_perm_b32 v24, v25, v24, s44
	v_perm_b32 v25, v3, v2, s44
	v_mfma_f32_16x16x16_bf16 v[50:53], v[52:53], v[8:9], v[14:17]
	s_waitcnt vmcnt(7)
	v_cvt_pk_f32_fp8_e32 v[72:73], v49
	v_lshl_add_u64 v[70:71], s[4:5], 0, v[62:63]
	s_waitcnt vmcnt(6)
	v_cvt_pk_f32_fp8_sdwa v[76:77], v44 src0_sel:WORD_1
	v_mfma_f32_16x16x16_bf16 v[14:17], v[22:23], v[26:27], 0
	v_perm_b32 v22, v55, v54, s44
	v_perm_b32 v23, v57, v56, s44
	v_cvt_pk_f32_fp8_e32 v[54:55], v5
	v_cvt_pk_f32_fp8_sdwa v[56:57], v5 src0_sel:WORD_1
	v_mfma_f32_16x16x16_bf16 v[2:5], v[24:25], v[28:29], v[14:17]
	v_cvt_pk_f32_fp8_e32 v[24:25], v32
	v_or_b32_e32 v62, 0x400, v62
	s_nop 0
	v_perm_b32 v14, v55, v54, s44
	v_perm_b32 v15, v57, v56, s44
	v_mfma_f32_16x16x16_bf16 v[2:5], v[22:23], v[18:19], v[2:5]
	v_cvt_pk_f32_fp8_e32 v[16:17], v30
	v_cvt_pk_f32_fp8_sdwa v[22:23], v30 src0_sel:WORD_1
	v_perm_b32 v16, v17, v16, s44
	v_mfma_f32_16x16x16_bf16 v[2:5], v[14:15], v[20:21], v[2:5]
	v_cvt_pk_f32_fp8_e32 v[14:15], v31
	v_perm_b32 v17, v23, v22, s44
	v_cvt_pk_f32_fp8_sdwa v[22:23], v31 src0_sel:WORD_1
	v_cvt_pk_f32_fp8_sdwa v[30:31], v32 src0_sel:WORD_1
	v_perm_b32 v14, v15, v14, s44
	v_mfma_f32_16x16x16_bf16 v[2:5], v[16:17], v[10:11], v[2:5]
	v_perm_b32 v15, v23, v22, s44
	v_perm_b32 v16, v25, v24, s44
	;; [unrolled: 1-line block ×3, first 2 shown]
	v_cvt_pk_f32_fp8_e32 v[22:23], v33
	v_cvt_pk_f32_fp8_sdwa v[24:25], v33 src0_sel:WORD_1
	v_mfma_f32_16x16x16_bf16 v[2:5], v[14:15], v[12:13], v[2:5]
	v_perm_b32 v14, v23, v22, s44
	v_perm_b32 v15, v25, v24, s44
	v_mfma_f32_16x16x16_bf16 v[2:5], v[16:17], v[6:7], v[2:5]
	v_cvt_pk_f32_fp8_e32 v[16:17], v46
	v_cvt_pk_f32_fp8_sdwa v[22:23], v46 src0_sel:WORD_1
	v_cvt_pk_f32_fp8_sdwa v[24:25], v48 src0_sel:WORD_1
	v_mfma_f32_16x16x16_bf16 v[54:57], v[14:15], v[8:9], v[2:5]
	v_cvt_pk_f32_fp8_sdwa v[14:15], v47 src0_sel:WORD_1
	s_nop 1
	v_perm_b32 v2, v17, v16, s44
	v_perm_b32 v3, v23, v22, s44
	v_cvt_pk_f32_fp8_e32 v[4:5], v47
	v_perm_b32 v23, v15, v14, s44
	v_cvt_pk_f32_fp8_e32 v[14:15], v48
	v_cvt_pk_f32_fp8_sdwa v[48:49], v49 src0_sel:WORD_1
	v_perm_b32 v22, v5, v4, s44
	v_mfma_f32_16x16x16_bf16 v[2:5], v[2:3], v[26:27], 0
	v_perm_b32 v14, v15, v14, s44
	v_perm_b32 v15, v25, v24, s44
	s_waitcnt vmcnt(3)
	v_mad_i64_i32 v[16:17], s[6:7], v69, s45, v[70:71]
	v_mfma_f32_16x16x16_bf16 v[2:5], v[22:23], v[28:29], v[2:5]
	s_waitcnt vmcnt(2)
	v_mad_i64_i32 v[46:47], s[6:7], v68, s45, v[70:71]
	global_load_dwordx4 v[30:33], v[16:17], off
	global_load_dwordx4 v[22:25], v[46:47], off
	v_perm_b32 v16, v73, v72, s44
	v_perm_b32 v17, v49, v48, s44
	v_mfma_f32_16x16x16_bf16 v[2:5], v[14:15], v[18:19], v[2:5]
	v_cvt_pk_f32_fp8_e32 v[14:15], v42
	v_cvt_pk_f32_fp8_sdwa v[46:47], v42 src0_sel:WORD_1
	s_waitcnt vmcnt(3)
	v_mad_i64_i32 v[72:73], s[6:7], v67, s45, v[70:71]
	v_mfma_f32_16x16x16_bf16 v[2:5], v[16:17], v[20:21], v[2:5]
	v_perm_b32 v14, v15, v14, s44
	v_perm_b32 v15, v47, v46, s44
	v_cvt_pk_f32_fp8_e32 v[16:17], v43
	v_cvt_pk_f32_fp8_sdwa v[42:43], v43 src0_sel:WORD_1
	v_mfma_f32_16x16x16_bf16 v[46:49], v[14:15], v[10:11], v[2:5]
	v_perm_b32 v74, v17, v16, s44
	v_perm_b32 v75, v43, v42, s44
	v_cvt_pk_f32_fp8_e32 v[42:43], v44
	s_waitcnt vmcnt(2)
	v_mad_i64_i32 v[70:71], s[6:7], v66, s45, v[70:71]
	global_load_dwordx4 v[14:17], v[72:73], off
	global_load_dwordx4 v[2:5], v[70:71], off
	v_perm_b32 v70, v43, v42, s44
	v_perm_b32 v71, v77, v76, s44
	v_cvt_pk_f32_fp8_e32 v[72:73], v45
	v_cvt_pk_f32_fp8_sdwa v[76:77], v45 src0_sel:WORD_1
	v_mfma_f32_16x16x16_bf16 v[44:47], v[74:75], v[12:13], v[46:49]
	v_lshl_add_u64 v[42:43], s[4:5], 0, v[62:63]
	v_cvt_pk_f32_fp8_e32 v[62:63], v38
	s_load_dword s4, s[40:41], 0x0
	v_perm_b32 v48, v73, v72, s44
	v_perm_b32 v49, v77, v76, s44
	v_mfma_f32_16x16x16_bf16 v[44:47], v[70:71], v[6:7], v[44:47]
	v_cvt_pk_f32_fp8_sdwa v[70:71], v38 src0_sel:WORD_1
	v_perm_b32 v62, v63, v62, s44
	v_cvt_pk_f32_fp8_e32 v[74:75], v40
	v_mfma_f32_16x16x16_bf16 v[46:49], v[48:49], v[8:9], v[44:47]
	v_perm_b32 v63, v71, v70, s44
	v_cvt_pk_f32_fp8_sdwa v[76:77], v40 src0_sel:WORD_1
	s_mov_b32 s40, 0xff7fffff
	v_cvt_pk_f32_fp8_e32 v[44:45], v39
	v_cvt_pk_f32_fp8_sdwa v[38:39], v39 src0_sel:WORD_1
	v_mfma_f32_16x16x16_bf16 v[70:73], v[62:63], v[26:27], 0
	v_cvt_pk_f32_fp8_e32 v[62:63], v41
	v_perm_b32 v44, v45, v44, s44
	v_perm_b32 v45, v39, v38, s44
	;; [unrolled: 1-line block ×4, first 2 shown]
	v_cvt_pk_f32_fp8_sdwa v[40:41], v41 src0_sel:WORD_1
	v_mov_b32_e32 v26, s8
	s_waitcnt lgkmcnt(0)
	v_mul_f32_e32 v74, s4, v26
	v_mfma_f32_16x16x16_bf16 v[26:29], v[44:45], v[28:29], v[70:73]
	v_pk_mul_f32 v[44:45], v[74:75], v[52:53] op_sel_hi:[0,1]
	v_perm_b32 v52, v63, v62, s44
	v_perm_b32 v53, v41, v40, s44
	v_mfma_f32_16x16x16_bf16 v[26:29], v[38:39], v[18:19], v[26:29]
	v_cvt_pk_f32_fp8_e32 v[18:19], v34
	v_cvt_pk_f32_fp8_sdwa v[38:39], v34 src0_sel:WORD_1
	v_pk_mul_f32 v[50:51], v[74:75], v[50:51] op_sel_hi:[0,1]
	v_mfma_f32_16x16x16_bf16 v[26:29], v[52:53], v[20:21], v[26:29]
	v_perm_b32 v20, v19, v18, s44
	v_perm_b32 v21, v39, v38, s44
	v_cvt_pk_f32_fp8_e32 v[38:39], v35
	v_cvt_pk_f32_fp8_sdwa v[34:35], v35 src0_sel:WORD_1
	v_mfma_f32_16x16x16_bf16 v[26:29], v[20:21], v[10:11], v[26:29]
	v_perm_b32 v38, v39, v38, s44
	v_perm_b32 v39, v35, v34, s44
	v_cvt_pk_f32_fp8_e32 v[10:11], v36
	v_cvt_pk_f32_fp8_sdwa v[20:21], v36 src0_sel:WORD_1
	v_pk_mul_f32 v[52:53], v[74:75], v[54:55] op_sel_hi:[0,1]
	v_pk_mul_f32 v[34:35], v[74:75], v[56:57] op_sel_hi:[0,1]
	v_perm_b32 v40, v11, v10, s44
	v_perm_b32 v41, v21, v20, s44
	v_cvt_pk_f32_fp8_e32 v[20:21], v37
	v_cvt_pk_f32_fp8_sdwa v[36:37], v37 src0_sel:WORD_1
	v_mfma_f32_16x16x16_bf16 v[10:13], v[38:39], v[12:13], v[26:29]
	v_pk_mul_f32 v[46:47], v[74:75], v[46:47] op_sel_hi:[0,1]
	v_perm_b32 v20, v21, v20, s44
	v_perm_b32 v21, v37, v36, s44
	v_mfma_f32_16x16x16_bf16 v[10:13], v[40:41], v[6:7], v[10:13]
	v_pk_mul_f32 v[40:41], v[74:75], v[48:49] op_sel_hi:[0,1]
	v_mad_i64_i32 v[18:19], s[4:5], v69, s45, v[42:43]
	v_mfma_f32_16x16x16_bf16 v[6:9], v[20:21], v[8:9], v[10:13]
	v_mad_i64_i32 v[62:63], s[4:5], v68, s45, v[42:43]
	global_load_dwordx4 v[26:29], v[18:19], off
	s_nop 0
	global_load_dwordx4 v[18:21], v[62:63], off
	s_nop 2
	v_pk_mul_f32 v[48:49], v[74:75], v[6:7] op_sel_hi:[0,1]
	v_and_b32_e32 v6, 0xc0, v0
	v_add_u32_e32 v6, s18, v6
	v_lshl_or_b32 v6, v64, 2, v6
	v_pk_mul_f32 v[38:39], v[74:75], v[8:9] op_sel_hi:[0,1]
	v_or_b32_e32 v9, 1, v6
	v_mov_b32_e32 v7, 0xff7fffff
	v_cmp_gt_i32_e64 s[26:27], s33, v6
	v_cmp_gt_i32_e64 s[28:29], s33, v9
	v_or_b32_e32 v10, 3, v6
	v_cndmask_b32_e64 v8, v7, v50, s[26:27]
	v_cndmask_b32_e64 v9, v7, v51, s[28:29]
	v_max3_f32 v8, v8, s40, v9
	v_or_b32_e32 v9, 2, v6
	v_cmp_gt_i32_e64 s[30:31], s33, v9
	v_cmp_gt_i32_e64 s[34:35], s33, v10
	s_nop 0
	v_cndmask_b32_e64 v9, v7, v44, s[30:31]
	v_cndmask_b32_e64 v10, v7, v45, s[34:35]
	v_max3_f32 v8, v8, v9, v10
	v_or_b32_e32 v9, 16, v6
	v_or_b32_e32 v10, 17, v6
	v_cmp_gt_i32_e64 s[18:19], s33, v9
	v_cmp_gt_i32_e64 s[20:21], s33, v10
	s_nop 0
	v_cndmask_b32_e64 v9, v7, v52, s[18:19]
	v_cndmask_b32_e64 v10, v7, v53, s[20:21]
	v_max3_f32 v8, v8, v9, v10
	v_or_b32_e32 v9, 18, v6
	;; [unrolled: 8-line block ×5, first 2 shown]
	v_or_b32_e32 v10, 49, v6
	v_cmp_gt_i32_e32 vcc, s33, v9
	v_cmp_gt_i32_e64 s[4:5], s33, v10
	s_nop 0
	v_cndmask_b32_e32 v9, v7, v48, vcc
	v_cndmask_b32_e64 v10, v7, v49, s[4:5]
	v_max3_f32 v8, v8, v9, v10
	v_or_b32_e32 v9, 50, v6
	v_or_b32_e32 v6, 51, v6
	v_cmp_gt_i32_e64 s[6:7], s33, v9
	v_cmp_gt_i32_e64 s[8:9], s33, v6
	s_nop 0
	v_cndmask_b32_e64 v9, v7, v38, s[6:7]
	v_cndmask_b32_e64 v6, v7, v39, s[8:9]
	v_max3_f32 v8, v8, v9, v6
	v_mbcnt_lo_u32_b32 v6, -1, 0
	v_mbcnt_hi_u32_b32 v9, -1, v6
	v_and_b32_e32 v6, 64, v9
	v_add_u32_e32 v10, 64, v6
	v_xor_b32_e32 v6, 32, v9
	v_cmp_lt_i32_e64 s[38:39], v6, v10
	s_nop 1
	v_cndmask_b32_e64 v6, v9, v6, s[38:39]
	v_lshlrev_b32_e32 v55, 2, v6
	ds_bpermute_b32 v11, v55, v8
	v_mad_i64_i32 v[6:7], s[38:39], v67, s45, v[42:43]
	s_waitcnt lgkmcnt(0)
	v_max_f32_e32 v11, v11, v11
	v_max_f32_e32 v36, v8, v11
	v_xor_b32_e32 v8, 16, v9
	v_cmp_lt_i32_e64 s[38:39], v8, v10
	s_nop 1
	v_cndmask_b32_e64 v8, v9, v8, s[38:39]
	v_lshlrev_b32_e32 v56, 2, v8
	v_mad_i64_i32 v[8:9], s[38:39], v66, s45, v[42:43]
	global_load_dwordx4 v[10:13], v[6:7], off
	s_nop 0
	global_load_dwordx4 v[6:9], v[8:9], off
	ds_bpermute_b32 v37, v56, v36
	s_waitcnt lgkmcnt(0)
	s_barrier
	v_max_f32_e32 v37, v37, v37
	v_max_f32_e32 v54, v36, v37
	v_sub_f32_e32 v42, v44, v54
	v_mul_f32_e32 v42, 0x3fb8aa3b, v42
	v_exp_f32_e32 v42, v42
	v_sub_f32_e32 v43, v45, v54
	v_mul_f32_e32 v43, 0x3fb8aa3b, v43
	v_exp_f32_e32 v43, v43
	v_cndmask_b32_e64 v44, 0, v42, s[30:31]
	v_sub_f32_e32 v42, v52, v54
	v_sub_f32_e32 v34, v34, v54
	v_mul_f32_e32 v42, 0x3fb8aa3b, v42
	v_mul_f32_e32 v34, 0x3fb8aa3b, v34
	v_sub_f32_e32 v36, v50, v54
	v_exp_f32_e32 v42, v42
	v_exp_f32_e32 v50, v34
	v_cndmask_b32_e64 v45, 0, v43, s[34:35]
	v_sub_f32_e32 v43, v53, v54
	v_sub_f32_e32 v34, v35, v54
	;; [unrolled: 1-line block ×4, first 2 shown]
	v_mul_f32_e32 v43, 0x3fb8aa3b, v43
	v_mul_f32_e32 v34, 0x3fb8aa3b, v34
	;; [unrolled: 1-line block ×4, first 2 shown]
	v_sub_f32_e32 v37, v51, v54
	v_exp_f32_e32 v43, v43
	v_exp_f32_e32 v51, v34
	v_cndmask_b32_e64 v34, 0, v42, s[18:19]
	v_cndmask_b32_e64 v42, 0, v50, s[22:23]
	v_exp_f32_e32 v46, v46
	v_exp_f32_e32 v50, v40
	v_mul_f32_e32 v36, 0x3fb8aa3b, v36
	v_sub_f32_e32 v47, v47, v54
	v_sub_f32_e32 v40, v41, v54
	;; [unrolled: 1-line block ×4, first 2 shown]
	v_exp_f32_e32 v36, v36
	v_mul_f32_e32 v37, 0x3fb8aa3b, v37
	v_mul_f32_e32 v47, 0x3fb8aa3b, v47
	;; [unrolled: 1-line block ×5, first 2 shown]
	v_exp_f32_e32 v37, v37
	v_cndmask_b32_e64 v35, 0, v43, s[20:21]
	v_cndmask_b32_e64 v43, 0, v51, s[36:37]
	v_exp_f32_e32 v47, v47
	v_exp_f32_e32 v51, v40
	v_cndmask_b32_e64 v40, 0, v46, s[10:11]
	v_cndmask_b32_e64 v46, 0, v50, s[14:15]
	v_exp_f32_e32 v48, v48
	v_exp_f32_e32 v50, v38
	v_sub_f32_e32 v38, v39, v54
	v_cndmask_b32_e64 v36, 0, v36, s[26:27]
	v_mul_f32_e32 v38, 0x3fb8aa3b, v38
	v_cndmask_b32_e64 v37, 0, v37, s[28:29]
	v_cndmask_b32_e64 v41, 0, v47, s[12:13]
	;; [unrolled: 1-line block ×3, first 2 shown]
	v_exp_f32_e32 v51, v38
	v_cndmask_b32_e32 v38, 0, v48, vcc
	v_cndmask_b32_e64 v48, 0, v50, s[6:7]
	v_add_f32_e32 v50, 0, v36
	v_add_f32_e32 v50, v50, v37
	;; [unrolled: 1-line block ×6, first 2 shown]
	v_sub_f32_e32 v49, v49, v54
	v_add_f32_e32 v50, v50, v42
	v_mul_f32_e32 v49, 0x3fb8aa3b, v49
	v_add_f32_e32 v50, v50, v43
	v_exp_f32_e32 v49, v49
	v_add_f32_e32 v50, v50, v40
	v_add_f32_e32 v50, v50, v41
	;; [unrolled: 1-line block ×4, first 2 shown]
	v_cndmask_b32_e64 v39, 0, v49, s[4:5]
	v_add_f32_e32 v50, v50, v38
	v_add_f32_e32 v50, v50, v39
	v_cndmask_b32_e64 v49, 0, v51, s[8:9]
	v_add_f32_e32 v50, v50, v48
	v_add_f32_e32 v50, v50, v49
	ds_bpermute_b32 v51, v55, v50
	v_cmp_gt_u32_e32 vcc, 16, v65
	s_waitcnt lgkmcnt(0)
	v_add_f32_e32 v50, v50, v51
	ds_bpermute_b32 v51, v56, v50
	s_and_saveexec_b64 s[4:5], vcc
	s_cbranch_execz .LBB1318_13
; %bb.12:
	s_waitcnt lgkmcnt(0)
	v_add_f32_e32 v50, v50, v51
	v_lshlrev_b32_e32 v51, 2, v59
	ds_write2st64_b32 v51, v54, v50 offset1:1
.LBB1318_13:
	s_or_b64 exec, exec, s[4:5]
	s_waitcnt lgkmcnt(0)
	v_lshlrev_b32_e32 v51, 2, v60
	s_load_dword s6, s[0:1], 0x94
	s_waitcnt lgkmcnt(0)
	s_barrier
	ds_read2_b32 v[52:53], v51 offset1:16
	ds_read2_b32 v[54:55], v51 offset0:32 offset1:48
	ds_read2_b32 v[56:57], v51 offset0:64 offset1:80
	s_movk_i32 s8, 0x7fff
	s_mul_i32 s7, s25, 11
	s_waitcnt lgkmcnt(2)
	v_max3_f32 v50, v52, s40, v53
	s_waitcnt lgkmcnt(1)
	v_max3_f32 v50, v50, v54, v55
	v_sub_f32_e32 v52, v52, v50
	v_mul_f32_e32 v52, 0x3fb8aa3b, v52
	v_exp_f32_e32 v59, v52
	v_sub_f32_e32 v52, v53, v50
	v_mul_f32_e32 v52, 0x3fb8aa3b, v52
	v_exp_f32_e32 v62, v52
	;; [unrolled: 3-line block ×3, first 2 shown]
	ds_read2_b32 v[52:53], v51 offset0:96 offset1:112
	v_sub_f32_e32 v51, v55, v50
	v_mul_f32_e32 v51, 0x3fb8aa3b, v51
	v_exp_f32_e32 v55, v51
	s_waitcnt lgkmcnt(1)
	v_fma_f32 v51, v59, v56, 0
	v_fmac_f32_e32 v51, v62, v57
	s_waitcnt lgkmcnt(0)
	v_fmac_f32_e32 v51, v54, v52
	v_fmac_f32_e32 v51, v55, v53
	v_add_f32_e32 v52, 0x358637bd, v51
	v_div_scale_f32 v53, s[4:5], v52, v52, 1.0
	v_rcp_f32_e32 v56, v53
	s_barrier
	v_fma_f32 v57, -v53, v56, 1.0
	v_fmac_f32_e32 v56, v57, v56
	v_div_scale_f32 v57, vcc, 1.0, v52, 1.0
	v_mul_f32_e32 v63, v57, v56
	v_fma_f32 v65, -v53, v63, v57
	v_fmac_f32_e32 v63, v65, v56
	v_fma_f32 v53, -v53, v63, v57
	v_div_fmas_f32 v53, v53, v56, v63
	v_cmp_eq_u32_e32 vcc, 1, v61
	v_div_fixup_f32 v52, v53, v52, 1.0
	s_nop 0
	v_cndmask_b32_e32 v53, v59, v62, vcc
	v_cmp_eq_u32_e32 vcc, 2, v61
	s_nop 1
	v_cndmask_b32_e32 v53, v53, v54, vcc
	v_cmp_eq_u32_e32 vcc, 3, v61
	s_nop 1
	v_cndmask_b32_e32 v53, v53, v55, vcc
	v_mul_f32_e32 v52, v53, v52
	v_pk_mul_f32 v[36:37], v[52:53], v[36:37] op_sel_hi:[0,1]
	v_pk_mul_f32 v[44:45], v[52:53], v[44:45] op_sel_hi:[0,1]
	v_bfe_u32 v53, v37, 16, 1
	v_bfe_u32 v54, v36, 16, 1
	v_add3_u32 v36, v36, v54, s8
	v_add3_u32 v37, v37, v53, s8
	v_perm_b32 v56, v37, v36, s44
	v_bfe_u32 v36, v45, 16, 1
	v_bfe_u32 v37, v44, 16, 1
	v_add3_u32 v37, v44, v37, s8
	v_add3_u32 v36, v45, v36, s8
	v_perm_b32 v57, v36, v37, s44
	v_lshlrev_b32_e32 v37, 3, v64
	v_lshlrev_b32_e32 v36, 5, v60
	;; [unrolled: 1-line block ×3, first 2 shown]
	v_pk_mul_f32 v[34:35], v[52:53], v[34:35] op_sel_hi:[0,1]
	v_or3_b32 v54, v44, v36, v37
	v_bfe_u32 v37, v35, 16, 1
	v_bfe_u32 v44, v34, 16, 1
	v_pk_mul_f32 v[42:43], v[52:53], v[42:43] op_sel_hi:[0,1]
	v_add3_u32 v34, v34, v44, s8
	v_add3_u32 v35, v35, v37, s8
	v_perm_b32 v34, v35, v34, s44
	v_bfe_u32 v35, v43, 16, 1
	v_bfe_u32 v37, v42, 16, 1
	v_add3_u32 v37, v42, v37, s8
	v_add3_u32 v35, v43, v35, s8
	v_pk_mul_f32 v[40:41], v[52:53], v[40:41] op_sel_hi:[0,1]
	v_perm_b32 v35, v35, v37, s44
	v_bfe_u32 v37, v41, 16, 1
	v_bfe_u32 v42, v40, 16, 1
	ds_write2st64_b64 v54, v[56:57], v[34:35] offset1:1
	v_pk_mul_f32 v[34:35], v[52:53], v[46:47] op_sel_hi:[0,1]
	v_add3_u32 v40, v40, v42, s8
	v_add3_u32 v37, v41, v37, s8
	v_perm_b32 v40, v37, v40, s44
	v_bfe_u32 v37, v35, 16, 1
	v_bfe_u32 v41, v34, 16, 1
	v_pk_mul_f32 v[38:39], v[52:53], v[38:39] op_sel_hi:[0,1]
	v_add3_u32 v34, v34, v41, s8
	v_add3_u32 v35, v35, v37, s8
	v_bfe_u32 v37, v39, 16, 1
	v_bfe_u32 v42, v38, 16, 1
	v_perm_b32 v41, v35, v34, s44
	v_pk_mul_f32 v[34:35], v[52:53], v[48:49] op_sel_hi:[0,1]
	v_add3_u32 v38, v38, v42, s8
	v_add3_u32 v37, v39, v37, s8
	v_perm_b32 v38, v37, v38, s44
	v_bfe_u32 v37, v35, 16, 1
	v_bfe_u32 v39, v34, 16, 1
	v_add3_u32 v34, v34, v39, s8
	v_add3_u32 v35, v35, v37, s8
	v_perm_b32 v39, v35, v34, s44
	v_cmp_gt_u32_e32 vcc, 11, v0
	ds_write2st64_b64 v54, v[40:41], v[38:39] offset0:2 offset1:3
	s_and_saveexec_b64 s[4:5], vcc
	s_cbranch_execz .LBB1318_15
; %bb.14:
	s_mov_b32 s49, 0
	v_mov_b32_e32 v61, 0
	v_lshl_add_u64 v[34:35], s[48:49], 0, v[60:61]
	v_mov_b32_e32 v37, s7
	v_mad_u64_u32 v[34:35], s[10:11], s2, v37, v[34:35]
	s_mul_i32 s3, s3, s7
	v_mov_b32_e32 v38, s24
	v_mov_b32_e32 v39, v61
	s_load_dwordx4 s[12:15], s[0:1], 0x58
	v_add_u32_e32 v37, s3, v35
	v_mad_u64_u32 v[34:35], s[10:11], v34, s6, v[38:39]
	v_mov_b32_e32 v38, v35
	v_mad_u64_u32 v[38:39], s[10:11], v37, s6, v[38:39]
	v_mov_b32_e32 v35, v38
	v_lshlrev_b64 v[34:35], 2, v[34:35]
	s_waitcnt lgkmcnt(0)
	v_lshl_add_u64 v[38:39], s[14:15], 0, v[34:35]
	v_lshl_add_u64 v[34:35], s[12:13], 0, v[34:35]
	global_store_dword v[38:39], v50, off
	global_store_dword v[34:35], v51, off
.LBB1318_15:
	s_or_b64 exec, exec, s[4:5]
	v_lshl_or_b32 v50, v64, 9, v36
	s_waitcnt vmcnt(7)
	v_cvt_pk_f32_fp8_e32 v[34:35], v30
	v_cvt_pk_f32_fp8_sdwa v[36:37], v30 src0_sel:WORD_1
	s_mov_b32 s5, 0x7060302
	s_waitcnt lgkmcnt(0)
	s_barrier
	v_cvt_pk_f32_fp8_e32 v[38:39], v31
	v_perm_b32 v30, v35, v34, s5
	v_cvt_pk_f32_fp8_sdwa v[40:41], v31 src0_sel:WORD_1
	v_perm_b32 v31, v37, v36, s5
	ds_read_b128 v[34:37], v50
	v_perm_b32 v46, v39, v38, s5
	v_perm_b32 v47, v41, v40, s5
	ds_read_b128 v[38:41], v50 offset:16
	v_cvt_pk_f32_fp8_e32 v[48:49], v32
	v_cvt_pk_f32_fp8_sdwa v[52:53], v32 src0_sel:WORD_1
	s_waitcnt lgkmcnt(1)
	v_mfma_f32_16x16x16_bf16 v[42:45], v[30:31], v[34:35], 0
	s_waitcnt vmcnt(6)
	v_cvt_pk_f32_fp8_e32 v[56:57], v24
	v_perm_b32 v30, v49, v48, s5
	v_perm_b32 v31, v53, v52, s5
	v_cvt_pk_f32_fp8_e32 v[48:49], v33
	v_mfma_f32_16x16x16_bf16 v[42:45], v[46:47], v[36:37], v[42:45]
	v_cvt_pk_f32_fp8_sdwa v[46:47], v33 src0_sel:WORD_1
	v_cvt_pk_f32_fp8_sdwa v[62:63], v24 src0_sel:WORD_1
	v_perm_b32 v48, v49, v48, s5
	s_waitcnt lgkmcnt(0)
	v_mfma_f32_16x16x16_bf16 v[30:33], v[30:31], v[38:39], v[42:45]
	v_perm_b32 v49, v47, v46, s5
	s_waitcnt vmcnt(4)
	v_cvt_pk_f32_fp8_sdwa v[70:71], v4 src0_sel:WORD_1
	s_load_dword s4, s[42:43], 0x0
	v_cvt_pk_f32_fp8_e32 v[42:43], v22
	v_mfma_f32_16x16x16_bf16 v[46:49], v[48:49], v[40:41], v[30:33]
	s_waitcnt vmcnt(3)
	v_cvt_pk_f32_fp8_sdwa v[72:73], v28 src0_sel:WORD_1
	s_mov_b32 s3, 0
	v_cvt_pk_f32_fp8_sdwa v[30:31], v22 src0_sel:WORD_1
	v_cvt_pk_f32_fp8_e32 v[32:33], v23
	v_perm_b32 v22, v43, v42, s5
	v_cvt_pk_f32_fp8_sdwa v[42:43], v23 src0_sel:WORD_1
	v_perm_b32 v23, v31, v30, s5
	v_perm_b32 v52, v33, v32, s5
	ds_read_b128 v[30:33], v50 offset:2048
	v_perm_b32 v53, v43, v42, s5
	ds_read_b128 v[42:45], v50 offset:2064
	s_waitcnt lgkmcnt(0)
	v_mfma_f32_16x16x16_bf16 v[46:49], v[22:23], v[30:31], v[46:49]
	v_perm_b32 v22, v57, v56, s5
	v_perm_b32 v23, v63, v62, s5
	v_cvt_pk_f32_fp8_e32 v[56:57], v25
	v_mfma_f32_16x16x16_bf16 v[46:49], v[52:53], v[32:33], v[46:49]
	v_cvt_pk_f32_fp8_sdwa v[52:53], v25 src0_sel:WORD_1
	v_cvt_pk_f32_fp8_sdwa v[62:63], v16 src0_sel:WORD_1
	v_perm_b32 v56, v57, v56, s5
	v_mfma_f32_16x16x16_bf16 v[22:25], v[22:23], v[42:43], v[46:49]
	v_perm_b32 v57, v53, v52, s5
	v_cmp_gt_u32_e32 vcc, 64, v0
	s_nop 0
	v_cvt_pk_f32_fp8_e32 v[46:47], v14
	v_mfma_f32_16x16x16_bf16 v[66:69], v[56:57], v[44:45], v[22:25]
	v_cvt_pk_f32_fp8_e32 v[56:57], v16
	s_nop 1
	v_cvt_pk_f32_fp8_sdwa v[22:23], v14 src0_sel:WORD_1
	v_cvt_pk_f32_fp8_e32 v[24:25], v15
	v_perm_b32 v14, v47, v46, s5
	v_cvt_pk_f32_fp8_sdwa v[46:47], v15 src0_sel:WORD_1
	v_perm_b32 v15, v23, v22, s5
	v_perm_b32 v52, v25, v24, s5
	ds_read_b128 v[22:25], v50 offset:4096
	v_perm_b32 v53, v47, v46, s5
	ds_read_b128 v[46:49], v50 offset:4112
	s_waitcnt lgkmcnt(1)
	v_mfma_f32_16x16x16_bf16 v[66:69], v[14:15], v[22:23], v[66:69]
	v_perm_b32 v14, v57, v56, s5
	v_perm_b32 v15, v63, v62, s5
	v_cvt_pk_f32_fp8_e32 v[56:57], v17
	v_mfma_f32_16x16x16_bf16 v[66:69], v[52:53], v[24:25], v[66:69]
	v_cvt_pk_f32_fp8_sdwa v[52:53], v17 src0_sel:WORD_1
	v_cvt_pk_f32_fp8_e32 v[62:63], v4
	v_perm_b32 v56, v57, v56, s5
	s_waitcnt lgkmcnt(0)
	v_mfma_f32_16x16x16_bf16 v[14:17], v[14:15], v[46:47], v[66:69]
	v_perm_b32 v57, v53, v52, s5
	v_cvt_pk_f32_fp8_e32 v[52:53], v2
	s_nop 0
	v_mfma_f32_16x16x16_bf16 v[66:69], v[56:57], v[48:49], v[14:17]
	s_nop 2
	v_cvt_pk_f32_fp8_sdwa v[14:15], v2 src0_sel:WORD_1
	v_cvt_pk_f32_fp8_e32 v[16:17], v3
	v_perm_b32 v2, v53, v52, s5
	v_cvt_pk_f32_fp8_sdwa v[52:53], v3 src0_sel:WORD_1
	v_perm_b32 v3, v15, v14, s5
	v_perm_b32 v56, v17, v16, s5
	ds_read_b128 v[14:17], v50 offset:6144
	v_perm_b32 v57, v53, v52, s5
	s_waitcnt lgkmcnt(0)
	v_mfma_f32_16x16x16_bf16 v[66:69], v[2:3], v[14:15], v[66:69]
	ds_read_b128 v[50:53], v50 offset:6160
	v_perm_b32 v2, v63, v62, s5
	v_perm_b32 v3, v71, v70, s5
	v_cvt_pk_f32_fp8_e32 v[62:63], v5
	v_mfma_f32_16x16x16_bf16 v[66:69], v[56:57], v[16:17], v[66:69]
	v_cvt_pk_f32_fp8_sdwa v[56:57], v5 src0_sel:WORD_1
	v_cvt_pk_f32_fp8_e32 v[70:71], v28
	v_perm_b32 v62, v63, v62, s5
	s_waitcnt lgkmcnt(0)
	v_mfma_f32_16x16x16_bf16 v[2:5], v[2:3], v[50:51], v[66:69]
	v_perm_b32 v63, v57, v56, s5
	v_cvt_pk_f32_fp8_sdwa v[56:57], v26 src0_sel:WORD_1
	s_nop 0
	v_mfma_f32_16x16x16_bf16 v[66:69], v[62:63], v[52:53], v[2:5]
	s_barrier
	s_nop 1
	v_cvt_pk_f32_fp8_e32 v[4:5], v26
	s_nop 2
	v_pk_mul_f32 v[62:63], v[66:67], s[4:5] op_sel_hi:[1,0]
	v_cvt_pk_f32_fp8_e32 v[66:67], v27
	v_perm_b32 v4, v5, v4, s5
	v_perm_b32 v5, v57, v56, s5
	v_cvt_pk_f32_fp8_sdwa v[26:27], v27 src0_sel:WORD_1
	v_perm_b32 v56, v67, v66, s5
	v_pk_mul_f32 v[2:3], v[68:69], s[4:5] op_sel_hi:[1,0]
	v_mfma_f32_16x16x16_bf16 v[66:69], v[4:5], v[34:35], 0
	v_perm_b32 v57, v27, v26, s5
	v_perm_b32 v4, v71, v70, s5
	;; [unrolled: 1-line block ×3, first 2 shown]
	v_cvt_pk_f32_fp8_e32 v[34:35], v29
	v_cvt_pk_f32_fp8_sdwa v[70:71], v29 src0_sel:WORD_1
	v_mfma_f32_16x16x16_bf16 v[26:29], v[56:57], v[36:37], v[66:69]
	s_waitcnt vmcnt(2)
	v_cvt_pk_f32_fp8_sdwa v[36:37], v18 src0_sel:WORD_1
	v_perm_b32 v34, v35, v34, s5
	v_perm_b32 v35, v71, v70, s5
	v_mfma_f32_16x16x16_bf16 v[26:29], v[4:5], v[38:39], v[26:29]
	v_cvt_pk_f32_fp8_e32 v[4:5], v18
	v_cvt_pk_f32_fp8_sdwa v[38:39], v20 src0_sel:WORD_1
	v_bfe_u32 v55, v63, 16, 1
	v_mfma_f32_16x16x16_bf16 v[26:29], v[34:35], v[40:41], v[26:29]
	v_cvt_pk_f32_fp8_e32 v[34:35], v19
	v_perm_b32 v4, v5, v4, s5
	v_perm_b32 v5, v37, v36, s5
	v_cvt_pk_f32_fp8_sdwa v[18:19], v19 src0_sel:WORD_1
	v_perm_b32 v34, v35, v34, s5
	v_cvt_pk_f32_fp8_e32 v[36:37], v20
	v_mfma_f32_16x16x16_bf16 v[26:29], v[4:5], v[30:31], v[26:29]
	v_perm_b32 v35, v19, v18, s5
	v_perm_b32 v4, v37, v36, s5
	;; [unrolled: 1-line block ×3, first 2 shown]
	v_cvt_pk_f32_fp8_e32 v[30:31], v21
	v_cvt_pk_f32_fp8_sdwa v[36:37], v21 src0_sel:WORD_1
	v_mfma_f32_16x16x16_bf16 v[18:21], v[34:35], v[32:33], v[26:29]
	v_bfe_u32 v56, v62, 16, 1
	v_add3_u32 v32, v62, v56, s8
	v_add3_u32 v33, v63, v55, s8
	v_perm_b32 v26, v31, v30, s5
	v_perm_b32 v27, v37, v36, s5
	v_mfma_f32_16x16x16_bf16 v[18:21], v[4:5], v[42:43], v[18:21]
	s_waitcnt vmcnt(1)
	v_cvt_pk_f32_fp8_e32 v[4:5], v10
	v_cvt_pk_f32_fp8_sdwa v[28:29], v10 src0_sel:WORD_1
	v_cvt_pk_f32_fp8_sdwa v[30:31], v12 src0_sel:WORD_1
	v_mfma_f32_16x16x16_bf16 v[18:21], v[26:27], v[44:45], v[18:21]
	v_cvt_pk_f32_fp8_e32 v[26:27], v11
	v_perm_b32 v4, v5, v4, s5
	v_perm_b32 v5, v29, v28, s5
	v_cvt_pk_f32_fp8_sdwa v[10:11], v11 src0_sel:WORD_1
	v_perm_b32 v26, v27, v26, s5
	v_cvt_pk_f32_fp8_e32 v[28:29], v12
	v_mfma_f32_16x16x16_bf16 v[18:21], v[4:5], v[22:23], v[18:21]
	v_perm_b32 v27, v11, v10, s5
	v_perm_b32 v4, v29, v28, s5
	;; [unrolled: 1-line block ×3, first 2 shown]
	v_cvt_pk_f32_fp8_e32 v[22:23], v13
	v_cvt_pk_f32_fp8_sdwa v[28:29], v13 src0_sel:WORD_1
	v_mfma_f32_16x16x16_bf16 v[10:13], v[26:27], v[24:25], v[18:21]
	s_waitcnt vmcnt(0)
	v_cvt_pk_f32_fp8_sdwa v[24:25], v8 src0_sel:WORD_1
	s_nop 0
	v_perm_b32 v20, v23, v22, s5
	v_perm_b32 v21, v29, v28, s5
	v_mfma_f32_16x16x16_bf16 v[10:13], v[4:5], v[46:47], v[10:13]
	v_cvt_pk_f32_fp8_e32 v[4:5], v6
	v_cvt_pk_f32_fp8_sdwa v[22:23], v6 src0_sel:WORD_1
	v_bfe_u32 v19, v3, 16, 1
	v_mfma_f32_16x16x16_bf16 v[10:13], v[20:21], v[48:49], v[10:13]
	v_cvt_pk_f32_fp8_e32 v[20:21], v7
	v_perm_b32 v4, v5, v4, s5
	v_perm_b32 v5, v23, v22, s5
	v_cvt_pk_f32_fp8_sdwa v[6:7], v7 src0_sel:WORD_1
	v_perm_b32 v20, v21, v20, s5
	v_cvt_pk_f32_fp8_e32 v[22:23], v8
	v_add3_u32 v3, v3, v19, s8
	v_perm_b32 v21, v7, v6, s5
	v_mfma_f32_16x16x16_bf16 v[4:7], v[4:5], v[14:15], v[10:13]
	v_bfe_u32 v14, v2, 16, 1
	v_add3_u32 v2, v2, v14, s8
	v_perm_b32 v19, v3, v2, s5
	v_perm_b32 v10, v23, v22, s5
	;; [unrolled: 1-line block ×3, first 2 shown]
	v_cvt_pk_f32_fp8_e32 v[12:13], v9
	v_cvt_pk_f32_fp8_sdwa v[8:9], v9 src0_sel:WORD_1
	v_mfma_f32_16x16x16_bf16 v[4:7], v[20:21], v[16:17], v[4:7]
	v_perm_b32 v18, v33, v32, s5
	v_perm_b32 v12, v13, v12, s5
	;; [unrolled: 1-line block ×3, first 2 shown]
	v_mfma_f32_16x16x16_bf16 v[4:7], v[10:11], v[50:51], v[4:7]
	s_nop 0
	v_mfma_f32_16x16x16_bf16 v[2:5], v[12:13], v[52:53], v[4:7]
	s_nop 6
	v_pk_mul_f32 v[2:3], v[2:3], s[4:5] op_sel_hi:[1,0]
	v_pk_mul_f32 v[4:5], v[4:5], s[4:5] op_sel_hi:[1,0]
	v_bfe_u32 v6, v3, 16, 1
	v_bfe_u32 v7, v2, 16, 1
	v_add3_u32 v2, v2, v7, s8
	v_add3_u32 v3, v3, v6, s8
	v_perm_b32 v2, v3, v2, s5
	v_bfe_u32 v3, v5, 16, 1
	v_bfe_u32 v6, v4, 16, 1
	v_add3_u32 v4, v4, v6, s8
	v_add3_u32 v3, v5, v3, s8
	v_perm_b32 v3, v3, v4, s5
	ds_write2st64_b64 v54, v[18:19], v[2:3] offset1:1
	s_waitcnt lgkmcnt(0)
	s_barrier
	s_and_saveexec_b64 s[4:5], vcc
	s_cbranch_execz .LBB1318_18
; %bb.16:
	s_load_dwordx2 s[4:5], s[0:1], 0x68
	s_lshl_b32 s0, s6, 7
	s_mul_i32 s1, s7, s2
	v_lshlrev_b32_e32 v3, 6, v60
	s_mul_hi_u32 s7, s1, s0
	s_mul_i32 s6, s1, s0
	v_lshl_or_b32 v0, v0, 10, v3
	s_lshl_b64 s[6:7], s[6:7], 1
	v_lshlrev_b32_e32 v2, 5, v64
	v_and_b32_e32 v1, 16, v1
	v_and_b32_e32 v0, 0x1a00, v0
	s_waitcnt lgkmcnt(0)
	s_add_u32 s1, s4, s6
	v_or3_b32 v2, v0, v2, v1
	s_addc_u32 s4, s5, s7
	s_lshl_b32 s2, s24, 7
	s_lshl_b64 s[2:3], s[2:3], 1
	ds_read_b128 v[4:7], v2 offset:128
	ds_read_b128 v[8:11], v2
	s_add_u32 s2, s1, s2
	s_addc_u32 s3, s4, s3
	v_mov_b32_e32 v59, 0
	v_add_u32_e32 v3, s48, v64
	v_lshl_add_u64 v[0:1], s[2:3], 0, v[58:59]
	v_mad_u64_u32 v[12:13], s[2:3], v3, s0, 0
	v_lshl_add_u64 v[12:13], v[12:13], 1, v[0:1]
	v_add_u32_e32 v3, 4, v3
	s_waitcnt lgkmcnt(0)
	global_store_dwordx4 v[12:13], v[8:11], off
	v_cmp_ne_u32_e32 vcc, 3, v64
	s_nop 0
	v_mad_u64_u32 v[8:9], s[2:3], v3, s0, 0
	v_lshl_add_u64 v[8:9], v[8:9], 1, v[0:1]
	global_store_dwordx4 v[8:9], v[4:7], off
	s_and_b64 exec, exec, vcc
	s_cbranch_execz .LBB1318_18
; %bb.17:
	ds_read_b128 v[2:5], v2 offset:256
	v_add3_u32 v6, s48, v64, 8
	v_mad_u64_u32 v[6:7], s[0:1], v6, s0, 0
	v_lshl_add_u64 v[0:1], v[6:7], 1, v[0:1]
	s_waitcnt lgkmcnt(0)
	global_store_dwordx4 v[0:1], v[2:5], off
.LBB1318_18:
	s_endpgm
	.section	.rodata,"a",@progbits
	.p2align	6, 0x0
	.amdhsa_kernel _Z39paged_attention_ll4mi_QKV_mfma16_kernelI14__hip_bfloat16hLN4vllm18Fp8KVCacheDataTypeE1ES0_Li16ELi128ELi256ELb0ELi11EEvPKT_PKT0_S8_ifPKiSA_SA_iPKfiiiPfSD_PS3_PT2_iSC_SC_
		.amdhsa_group_segment_fixed_size 8192
		.amdhsa_private_segment_fixed_size 0
		.amdhsa_kernarg_size 400
		.amdhsa_user_sgpr_count 2
		.amdhsa_user_sgpr_dispatch_ptr 0
		.amdhsa_user_sgpr_queue_ptr 0
		.amdhsa_user_sgpr_kernarg_segment_ptr 1
		.amdhsa_user_sgpr_dispatch_id 0
		.amdhsa_user_sgpr_kernarg_preload_length 0
		.amdhsa_user_sgpr_kernarg_preload_offset 0
		.amdhsa_user_sgpr_private_segment_size 0
		.amdhsa_uses_dynamic_stack 0
		.amdhsa_enable_private_segment 0
		.amdhsa_system_sgpr_workgroup_id_x 1
		.amdhsa_system_sgpr_workgroup_id_y 1
		.amdhsa_system_sgpr_workgroup_id_z 1
		.amdhsa_system_sgpr_workgroup_info 0
		.amdhsa_system_vgpr_workitem_id 0
		.amdhsa_next_free_vgpr 86
		.amdhsa_next_free_sgpr 50
		.amdhsa_accum_offset 88
		.amdhsa_reserve_vcc 1
		.amdhsa_float_round_mode_32 0
		.amdhsa_float_round_mode_16_64 0
		.amdhsa_float_denorm_mode_32 3
		.amdhsa_float_denorm_mode_16_64 3
		.amdhsa_dx10_clamp 1
		.amdhsa_ieee_mode 1
		.amdhsa_fp16_overflow 0
		.amdhsa_tg_split 0
		.amdhsa_exception_fp_ieee_invalid_op 0
		.amdhsa_exception_fp_denorm_src 0
		.amdhsa_exception_fp_ieee_div_zero 0
		.amdhsa_exception_fp_ieee_overflow 0
		.amdhsa_exception_fp_ieee_underflow 0
		.amdhsa_exception_fp_ieee_inexact 0
		.amdhsa_exception_int_div_zero 0
	.end_amdhsa_kernel
	.section	.text._Z39paged_attention_ll4mi_QKV_mfma16_kernelI14__hip_bfloat16hLN4vllm18Fp8KVCacheDataTypeE1ES0_Li16ELi128ELi256ELb0ELi11EEvPKT_PKT0_S8_ifPKiSA_SA_iPKfiiiPfSD_PS3_PT2_iSC_SC_,"axG",@progbits,_Z39paged_attention_ll4mi_QKV_mfma16_kernelI14__hip_bfloat16hLN4vllm18Fp8KVCacheDataTypeE1ES0_Li16ELi128ELi256ELb0ELi11EEvPKT_PKT0_S8_ifPKiSA_SA_iPKfiiiPfSD_PS3_PT2_iSC_SC_,comdat
.Lfunc_end1318:
	.size	_Z39paged_attention_ll4mi_QKV_mfma16_kernelI14__hip_bfloat16hLN4vllm18Fp8KVCacheDataTypeE1ES0_Li16ELi128ELi256ELb0ELi11EEvPKT_PKT0_S8_ifPKiSA_SA_iPKfiiiPfSD_PS3_PT2_iSC_SC_, .Lfunc_end1318-_Z39paged_attention_ll4mi_QKV_mfma16_kernelI14__hip_bfloat16hLN4vllm18Fp8KVCacheDataTypeE1ES0_Li16ELi128ELi256ELb0ELi11EEvPKT_PKT0_S8_ifPKiSA_SA_iPKfiiiPfSD_PS3_PT2_iSC_SC_
                                        ; -- End function
	.section	.AMDGPU.csdata,"",@progbits
; Kernel info:
; codeLenInByte = 6344
; NumSgprs: 56
; NumVgprs: 86
; NumAgprs: 0
; TotalNumVgprs: 86
; ScratchSize: 0
; MemoryBound: 0
; FloatMode: 240
; IeeeMode: 1
; LDSByteSize: 8192 bytes/workgroup (compile time only)
; SGPRBlocks: 6
; VGPRBlocks: 10
; NumSGPRsForWavesPerEU: 56
; NumVGPRsForWavesPerEU: 86
; AccumOffset: 88
; Occupancy: 5
; WaveLimiterHint : 1
; COMPUTE_PGM_RSRC2:SCRATCH_EN: 0
; COMPUTE_PGM_RSRC2:USER_SGPR: 2
; COMPUTE_PGM_RSRC2:TRAP_HANDLER: 0
; COMPUTE_PGM_RSRC2:TGID_X_EN: 1
; COMPUTE_PGM_RSRC2:TGID_Y_EN: 1
; COMPUTE_PGM_RSRC2:TGID_Z_EN: 1
; COMPUTE_PGM_RSRC2:TIDIG_COMP_CNT: 0
; COMPUTE_PGM_RSRC3_GFX90A:ACCUM_OFFSET: 21
; COMPUTE_PGM_RSRC3_GFX90A:TG_SPLIT: 0
	.section	.text._Z39paged_attention_ll4mi_QKV_mfma16_kernelI14__hip_bfloat16hLN4vllm18Fp8KVCacheDataTypeE1ES0_Li16ELi128ELi256ELb0ELi12EEvPKT_PKT0_S8_ifPKiSA_SA_iPKfiiiPfSD_PS3_PT2_iSC_SC_,"axG",@progbits,_Z39paged_attention_ll4mi_QKV_mfma16_kernelI14__hip_bfloat16hLN4vllm18Fp8KVCacheDataTypeE1ES0_Li16ELi128ELi256ELb0ELi12EEvPKT_PKT0_S8_ifPKiSA_SA_iPKfiiiPfSD_PS3_PT2_iSC_SC_,comdat
	.protected	_Z39paged_attention_ll4mi_QKV_mfma16_kernelI14__hip_bfloat16hLN4vllm18Fp8KVCacheDataTypeE1ES0_Li16ELi128ELi256ELb0ELi12EEvPKT_PKT0_S8_ifPKiSA_SA_iPKfiiiPfSD_PS3_PT2_iSC_SC_ ; -- Begin function _Z39paged_attention_ll4mi_QKV_mfma16_kernelI14__hip_bfloat16hLN4vllm18Fp8KVCacheDataTypeE1ES0_Li16ELi128ELi256ELb0ELi12EEvPKT_PKT0_S8_ifPKiSA_SA_iPKfiiiPfSD_PS3_PT2_iSC_SC_
	.globl	_Z39paged_attention_ll4mi_QKV_mfma16_kernelI14__hip_bfloat16hLN4vllm18Fp8KVCacheDataTypeE1ES0_Li16ELi128ELi256ELb0ELi12EEvPKT_PKT0_S8_ifPKiSA_SA_iPKfiiiPfSD_PS3_PT2_iSC_SC_
	.p2align	8
	.type	_Z39paged_attention_ll4mi_QKV_mfma16_kernelI14__hip_bfloat16hLN4vllm18Fp8KVCacheDataTypeE1ES0_Li16ELi128ELi256ELb0ELi12EEvPKT_PKT0_S8_ifPKiSA_SA_iPKfiiiPfSD_PS3_PT2_iSC_SC_,@function
_Z39paged_attention_ll4mi_QKV_mfma16_kernelI14__hip_bfloat16hLN4vllm18Fp8KVCacheDataTypeE1ES0_Li16ELi128ELi256ELb0ELi12EEvPKT_PKT0_S8_ifPKiSA_SA_iPKfiiiPfSD_PS3_PT2_iSC_SC_: ; @_Z39paged_attention_ll4mi_QKV_mfma16_kernelI14__hip_bfloat16hLN4vllm18Fp8KVCacheDataTypeE1ES0_Li16ELi128ELi256ELb0ELi12EEvPKT_PKT0_S8_ifPKiSA_SA_iPKfiiiPfSD_PS3_PT2_iSC_SC_
; %bb.0:
	s_load_dwordx2 s[12:13], s[0:1], 0x30
	s_mov_b32 s24, s3
	s_mov_b64 s[6:7], 0
	s_waitcnt lgkmcnt(0)
	s_cmp_lg_u64 s[12:13], 0
	s_cselect_b64 s[14:15], -1, 0
	s_and_b64 vcc, exec, s[14:15]
	s_cbranch_vccz .LBB1319_7
; %bb.1:
	s_add_i32 s8, s2, 1
	s_mov_b32 s9, 0
	s_lshl_b64 s[10:11], s[8:9], 2
	s_add_u32 s10, s12, s10
	s_mov_b32 s3, s9
	s_addc_u32 s11, s13, s11
	s_lshl_b64 s[8:9], s[2:3], 2
	s_add_u32 s8, s12, s8
	s_addc_u32 s9, s13, s9
	s_load_dword s5, s[10:11], 0x0
	s_load_dword s16, s[8:9], 0x0
	s_waitcnt lgkmcnt(0)
	s_sub_i32 s5, s5, s16
	s_cmp_eq_u32 s5, 1
	s_cselect_b64 s[8:9], -1, 0
	s_andn2_b64 vcc, exec, s[6:7]
	s_cbranch_vccnz .LBB1319_3
.LBB1319_2:
	s_mov_b32 s3, 0
	s_mov_b64 s[8:9], -1
.LBB1319_3:
	s_andn2_b64 vcc, exec, s[8:9]
	s_cbranch_vccnz .LBB1319_17
; %bb.4:
	s_load_dwordx2 s[6:7], s[0:1], 0x28
	s_lshl_b64 s[16:17], s[2:3], 2
	s_waitcnt lgkmcnt(0)
	s_add_u32 s6, s6, s16
	s_addc_u32 s7, s7, s17
	s_load_dword s33, s[6:7], 0x0
	s_lshl_b32 s18, s24, 8
	s_waitcnt lgkmcnt(0)
	s_cmp_ge_i32 s18, s33
	s_cbranch_scc1 .LBB1319_17
; %bb.5:
	s_load_dwordx2 s[6:7], s[0:1], 0x20
	s_load_dword s8, s[0:1], 0x38
	s_add_i32 s5, s33, 15
	s_ashr_i32 s9, s5, 31
	v_and_b32_e32 v1, 0xcf, v0
	s_lshr_b32 s9, s9, 28
	v_add_u32_e32 v1, s18, v1
	s_add_i32 s5, s5, s9
	v_ashrrev_i32_e32 v2, 31, v1
	s_ashr_i32 s5, s5, 4
	v_lshrrev_b32_e32 v10, 28, v2
	s_add_i32 s5, s5, -1
	s_waitcnt lgkmcnt(0)
	s_mul_i32 s8, s2, s8
	s_mov_b32 s9, 0
	v_add_u32_e32 v2, v1, v10
	s_lshl_b64 s[8:9], s[8:9], 2
	v_ashrrev_i32_e32 v2, 4, v2
	v_mov_b32_e32 v11, s5
	v_cmp_gt_i32_e32 vcc, s33, v1
	s_add_u32 s6, s6, s8
	s_addc_u32 s7, s7, s9
	v_cndmask_b32_e32 v2, v11, v2, vcc
	v_ashrrev_i32_e32 v3, 31, v2
	v_lshl_add_u64 v[4:5], v[2:3], 2, s[6:7]
	v_or_b32_e32 v2, 16, v1
	v_add_u32_e32 v3, v2, v10
	v_ashrrev_i32_e32 v3, 4, v3
	v_cmp_gt_i32_e32 vcc, s33, v2
	s_load_dwordx4 s[8:11], s[0:1], 0x8
	s_nop 0
	v_cndmask_b32_e32 v2, v11, v3, vcc
	v_ashrrev_i32_e32 v3, 31, v2
	v_lshl_add_u64 v[6:7], v[2:3], 2, s[6:7]
	v_or_b32_e32 v2, 32, v1
	v_add_u32_e32 v3, v2, v10
	v_ashrrev_i32_e32 v3, 4, v3
	v_cmp_gt_i32_e32 vcc, s33, v2
	v_or_b32_e32 v1, 48, v1
	s_nop 0
	v_cndmask_b32_e32 v2, v11, v3, vcc
	v_ashrrev_i32_e32 v3, 31, v2
	v_lshl_add_u64 v[8:9], v[2:3], 2, s[6:7]
	v_add_u32_e32 v2, v1, v10
	v_ashrrev_i32_e32 v2, 4, v2
	v_cmp_gt_i32_e32 vcc, s33, v1
	s_nop 1
	v_cndmask_b32_e32 v2, v11, v2, vcc
	v_ashrrev_i32_e32 v3, 31, v2
	v_lshl_add_u64 v[10:11], v[2:3], 2, s[6:7]
	global_load_dword v3, v[4:5], off
	global_load_dword v2, v[6:7], off
	;; [unrolled: 1-line block ×4, first 2 shown]
	s_andn2_b64 vcc, exec, s[14:15]
	s_cbranch_vccnz .LBB1319_8
; %bb.6:
	s_add_u32 s12, s12, s16
	s_addc_u32 s13, s13, s17
	s_load_dword s14, s[12:13], 0x0
	s_branch .LBB1319_9
.LBB1319_7:
	s_mov_b64 s[8:9], 0
	s_branch .LBB1319_2
.LBB1319_8:
	s_mov_b32 s14, s2
.LBB1319_9:
	s_load_dwordx4 s[44:47], s[0:1], 0x48
	v_and_b32_e32 v60, 15, v0
	v_lshlrev_b32_e32 v4, 3, v60
	s_movk_i32 s12, 0xc0
	v_lshrrev_b32_e32 v61, 6, v0
	v_and_b32_e32 v65, 63, v0
	v_bfe_u32 v1, v0, 4, 2
	s_mul_i32 s48, s4, 12
	v_cmp_gt_u32_e32 vcc, s12, v0
	v_lshlrev_b32_e32 v58, 1, v4
	v_lshlrev_b32_e32 v64, 4, v0
	s_and_saveexec_b64 s[12:13], vcc
	s_cbranch_execz .LBB1319_11
; %bb.10:
	s_load_dwordx2 s[16:17], s[0:1], 0x0
	s_waitcnt lgkmcnt(0)
	s_ashr_i32 s15, s44, 31
	s_mul_hi_u32 s19, s14, s44
	s_mul_i32 s15, s14, s15
	s_add_i32 s15, s19, s15
	s_mul_i32 s14, s14, s44
	v_lshl_or_b32 v8, v61, 2, v1
	s_lshl_b64 s[14:15], s[14:15], 1
	s_add_u32 s14, s16, s14
	v_add_lshl_u32 v4, v8, s48, 7
	s_addc_u32 s15, s17, s15
	v_ashrrev_i32_e32 v5, 31, v4
	v_lshl_add_u64 v[4:5], v[4:5], 1, s[14:15]
	v_mov_b32_e32 v59, 0
	v_lshl_add_u64 v[4:5], v[4:5], 0, v[58:59]
	global_load_dwordx4 v[4:7], v[4:5], off
	v_lshlrev_b32_e32 v10, 8, v0
	v_lshlrev_b32_e32 v9, 8, v60
	v_and_b32_e32 v10, 0x600, v10
	s_movk_i32 s14, 0x800
	v_and_or_b32 v9, v9, s14, v10
	v_lshlrev_b32_e32 v8, 5, v8
	v_and_b32_e32 v10, 16, v64
	v_or3_b32 v8, v9, v8, v10
	s_waitcnt vmcnt(0)
	ds_write_b128 v8, v[4:7]
.LBB1319_11:
	s_or_b64 exec, exec, s[12:13]
	s_waitcnt lgkmcnt(0)
	s_mul_i32 s4, s4, s46
	s_add_u32 s8, s8, s4
	s_addc_u32 s9, s9, 0
	v_and_b32_e32 v62, 0xf0, v64
	v_mov_b32_e32 v63, 0
	v_and_b32_e32 v6, 48, v0
	v_lshl_add_u64 v[30:31], s[8:9], 0, v[62:63]
	v_lshlrev_b32_e32 v62, 4, v6
	s_waitcnt vmcnt(3)
	v_mad_i64_i32 v[4:5], s[8:9], v3, s45, v[30:31]
	v_lshl_add_u64 v[4:5], v[4:5], 0, v[62:63]
	s_load_dword s25, s[0:1], 0x98
	s_load_dwordx4 s[40:43], s[0:1], 0x80
	s_waitcnt lgkmcnt(0)
	s_barrier
	global_load_dwordx4 v[22:25], v[4:5], off
	global_load_dwordx4 v[14:17], v[4:5], off offset:1024
	s_waitcnt vmcnt(4)
	v_mad_i64_i32 v[2:3], s[8:9], v2, s45, v[30:31]
	v_lshl_add_u64 v[32:33], v[2:3], 0, v[62:63]
	global_load_dwordx4 v[2:5], v[32:33], off
	v_add_u32_e32 v7, -12, v60
	v_cmp_gt_u32_e32 vcc, 12, v60
	v_or_b32_e32 v6, s18, v6
	v_mov_b32_e32 v41, s5
	v_cndmask_b32_e32 v7, v7, v60, vcc
	v_lshlrev_b32_e32 v7, 5, v7
	v_ashrrev_i32_e32 v8, 4, v6
	v_lshl_add_u32 v7, v1, 9, v7
	v_cmp_gt_i32_e32 vcc, s33, v6
	v_or_b32_e32 v40, 64, v6
	v_or_b32_e32 v42, 0x80, v6
	;; [unrolled: 1-line block ×3, first 2 shown]
	v_cndmask_b32_e32 v38, v41, v8, vcc
	ds_read_b128 v[26:29], v7
	ds_read_b128 v[18:21], v7 offset:16
	ds_read_b128 v[10:13], v7 offset:2048
	ds_read_b128 v[6:9], v7 offset:2064
	s_waitcnt vmcnt(4)
	v_mad_i64_i32 v[36:37], s[12:13], v34, s45, v[30:31]
	s_waitcnt vmcnt(3)
	v_mad_i64_i32 v[34:35], s[12:13], v35, s45, v[30:31]
	global_load_dwordx4 v[30:33], v[32:33], off offset:1024
	v_ashrrev_i32_e32 v44, 4, v40
	v_cmp_gt_i32_e32 vcc, s33, v40
	v_ashrrev_i32_e32 v45, 4, v42
	v_ashrrev_i32_e32 v46, 4, v43
	v_cndmask_b32_e32 v40, v41, v44, vcc
	v_cmp_gt_i32_e32 vcc, s33, v42
	v_ashrrev_i32_e32 v39, 31, v38
	v_lshl_add_u64 v[36:37], v[36:37], 0, v[62:63]
	v_cndmask_b32_e32 v42, v41, v45, vcc
	v_cmp_gt_i32_e32 vcc, s33, v43
	v_lshl_add_u64 v[34:35], v[34:35], 0, v[62:63]
	v_ashrrev_i32_e32 v43, 31, v42
	v_cndmask_b32_e32 v44, v41, v46, vcc
	v_ashrrev_i32_e32 v41, 31, v40
	v_ashrrev_i32_e32 v45, 31, v44
	v_lshl_add_u64 v[50:51], v[38:39], 2, s[6:7]
	v_lshl_add_u64 v[52:53], v[40:41], 2, s[6:7]
	;; [unrolled: 1-line block ×4, first 2 shown]
	global_load_dwordx4 v[46:49], v[36:37], off
	global_load_dwordx4 v[42:45], v[36:37], off offset:1024
	global_load_dwordx4 v[38:41], v[34:35], off
	s_nop 0
	global_load_dwordx4 v[34:37], v[34:35], off offset:1024
	s_nop 0
	global_load_dword v69, v[50:51], off
	global_load_dword v68, v[52:53], off
	;; [unrolled: 1-line block ×4, first 2 shown]
	s_mov_b32 s44, 0x7060302
	s_add_u32 s4, s10, s4
	v_lshl_or_b32 v59, v61, 4, v60
	s_addc_u32 s5, s11, 0
	v_lshlrev_b32_e32 v62, 4, v59
	s_load_dword s8, s[0:1], 0x1c
	s_waitcnt vmcnt(11)
	v_cvt_pk_f32_fp8_e32 v[50:51], v22
	v_cvt_pk_f32_fp8_sdwa v[52:53], v22 src0_sel:WORD_1
	v_cvt_pk_f32_fp8_e32 v[54:55], v23
	v_cvt_pk_f32_fp8_sdwa v[22:23], v23 src0_sel:WORD_1
	s_waitcnt vmcnt(10)
	v_cvt_pk_f32_fp8_e32 v[76:77], v14
	v_cvt_pk_f32_fp8_sdwa v[78:79], v14 src0_sel:WORD_1
	v_cvt_pk_f32_fp8_e32 v[80:81], v15
	v_cvt_pk_f32_fp8_sdwa v[82:83], v15 src0_sel:WORD_1
	v_perm_b32 v14, v51, v50, s44
	v_perm_b32 v15, v53, v52, s44
	v_cvt_pk_f32_fp8_e32 v[56:57], v24
	v_cvt_pk_f32_fp8_sdwa v[70:71], v24 src0_sel:WORD_1
	v_perm_b32 v54, v55, v54, s44
	v_perm_b32 v55, v23, v22, s44
	v_cvt_pk_f32_fp8_e32 v[72:73], v25
	v_cvt_pk_f32_fp8_sdwa v[74:75], v25 src0_sel:WORD_1
	s_waitcnt lgkmcnt(0)
	v_mfma_f32_16x16x16_bf16 v[22:25], v[14:15], v[26:27], 0
	v_perm_b32 v14, v57, v56, s44
	v_perm_b32 v15, v71, v70, s44
	;; [unrolled: 1-line block ×3, first 2 shown]
	v_mfma_f32_16x16x16_bf16 v[22:25], v[54:55], v[28:29], v[22:25]
	v_perm_b32 v57, v75, v74, s44
	v_cvt_pk_f32_fp8_e32 v[50:51], v16
	v_cvt_pk_f32_fp8_sdwa v[52:53], v16 src0_sel:WORD_1
	v_cvt_pk_f32_fp8_e32 v[84:85], v17
	v_cvt_pk_f32_fp8_sdwa v[54:55], v17 src0_sel:WORD_1
	v_mfma_f32_16x16x16_bf16 v[14:17], v[14:15], v[18:19], v[22:25]
	v_perm_b32 v70, v81, v80, s44
	v_perm_b32 v71, v83, v82, s44
	v_perm_b32 v50, v51, v50, s44
	v_perm_b32 v24, v77, v76, s44
	v_perm_b32 v25, v79, v78, s44
	v_mfma_f32_16x16x16_bf16 v[14:17], v[56:57], v[20:21], v[14:17]
	s_waitcnt vmcnt(9)
	v_cvt_pk_f32_fp8_e32 v[22:23], v2
	v_cvt_pk_f32_fp8_sdwa v[56:57], v2 src0_sel:WORD_1
	v_perm_b32 v51, v53, v52, s44
	v_mfma_f32_16x16x16_bf16 v[14:17], v[24:25], v[10:11], v[14:17]
	v_cvt_pk_f32_fp8_e32 v[24:25], v3
	v_cvt_pk_f32_fp8_sdwa v[2:3], v3 src0_sel:WORD_1
	v_perm_b32 v52, v85, v84, s44
	v_mfma_f32_16x16x16_bf16 v[14:17], v[70:71], v[12:13], v[14:17]
	v_perm_b32 v53, v55, v54, s44
	v_perm_b32 v22, v23, v22, s44
	;; [unrolled: 1-line block ×3, first 2 shown]
	v_mfma_f32_16x16x16_bf16 v[14:17], v[50:51], v[6:7], v[14:17]
	v_cvt_pk_f32_fp8_e32 v[54:55], v4
	v_cvt_pk_f32_fp8_sdwa v[56:57], v4 src0_sel:WORD_1
	v_perm_b32 v24, v25, v24, s44
	v_perm_b32 v25, v3, v2, s44
	v_mfma_f32_16x16x16_bf16 v[50:53], v[52:53], v[8:9], v[14:17]
	s_waitcnt vmcnt(7)
	v_cvt_pk_f32_fp8_e32 v[72:73], v49
	v_lshl_add_u64 v[70:71], s[4:5], 0, v[62:63]
	s_waitcnt vmcnt(6)
	v_cvt_pk_f32_fp8_sdwa v[76:77], v44 src0_sel:WORD_1
	v_mfma_f32_16x16x16_bf16 v[14:17], v[22:23], v[26:27], 0
	v_perm_b32 v22, v55, v54, s44
	v_perm_b32 v23, v57, v56, s44
	v_cvt_pk_f32_fp8_e32 v[54:55], v5
	v_cvt_pk_f32_fp8_sdwa v[56:57], v5 src0_sel:WORD_1
	v_mfma_f32_16x16x16_bf16 v[2:5], v[24:25], v[28:29], v[14:17]
	v_cvt_pk_f32_fp8_e32 v[24:25], v32
	v_or_b32_e32 v62, 0x400, v62
	s_nop 0
	v_perm_b32 v14, v55, v54, s44
	v_perm_b32 v15, v57, v56, s44
	v_mfma_f32_16x16x16_bf16 v[2:5], v[22:23], v[18:19], v[2:5]
	v_cvt_pk_f32_fp8_e32 v[16:17], v30
	v_cvt_pk_f32_fp8_sdwa v[22:23], v30 src0_sel:WORD_1
	v_perm_b32 v16, v17, v16, s44
	v_mfma_f32_16x16x16_bf16 v[2:5], v[14:15], v[20:21], v[2:5]
	v_cvt_pk_f32_fp8_e32 v[14:15], v31
	v_perm_b32 v17, v23, v22, s44
	v_cvt_pk_f32_fp8_sdwa v[22:23], v31 src0_sel:WORD_1
	v_cvt_pk_f32_fp8_sdwa v[30:31], v32 src0_sel:WORD_1
	v_perm_b32 v14, v15, v14, s44
	v_mfma_f32_16x16x16_bf16 v[2:5], v[16:17], v[10:11], v[2:5]
	v_perm_b32 v15, v23, v22, s44
	v_perm_b32 v16, v25, v24, s44
	;; [unrolled: 1-line block ×3, first 2 shown]
	v_cvt_pk_f32_fp8_e32 v[22:23], v33
	v_cvt_pk_f32_fp8_sdwa v[24:25], v33 src0_sel:WORD_1
	v_mfma_f32_16x16x16_bf16 v[2:5], v[14:15], v[12:13], v[2:5]
	v_perm_b32 v14, v23, v22, s44
	v_perm_b32 v15, v25, v24, s44
	v_mfma_f32_16x16x16_bf16 v[2:5], v[16:17], v[6:7], v[2:5]
	v_cvt_pk_f32_fp8_e32 v[16:17], v46
	v_cvt_pk_f32_fp8_sdwa v[22:23], v46 src0_sel:WORD_1
	v_cvt_pk_f32_fp8_sdwa v[24:25], v48 src0_sel:WORD_1
	v_mfma_f32_16x16x16_bf16 v[54:57], v[14:15], v[8:9], v[2:5]
	v_cvt_pk_f32_fp8_sdwa v[14:15], v47 src0_sel:WORD_1
	s_nop 1
	v_perm_b32 v2, v17, v16, s44
	v_perm_b32 v3, v23, v22, s44
	v_cvt_pk_f32_fp8_e32 v[4:5], v47
	v_perm_b32 v23, v15, v14, s44
	v_cvt_pk_f32_fp8_e32 v[14:15], v48
	v_cvt_pk_f32_fp8_sdwa v[48:49], v49 src0_sel:WORD_1
	v_perm_b32 v22, v5, v4, s44
	v_mfma_f32_16x16x16_bf16 v[2:5], v[2:3], v[26:27], 0
	v_perm_b32 v14, v15, v14, s44
	v_perm_b32 v15, v25, v24, s44
	s_waitcnt vmcnt(3)
	v_mad_i64_i32 v[16:17], s[6:7], v69, s45, v[70:71]
	v_mfma_f32_16x16x16_bf16 v[2:5], v[22:23], v[28:29], v[2:5]
	s_waitcnt vmcnt(2)
	v_mad_i64_i32 v[46:47], s[6:7], v68, s45, v[70:71]
	global_load_dwordx4 v[30:33], v[16:17], off
	global_load_dwordx4 v[22:25], v[46:47], off
	v_perm_b32 v16, v73, v72, s44
	v_perm_b32 v17, v49, v48, s44
	v_mfma_f32_16x16x16_bf16 v[2:5], v[14:15], v[18:19], v[2:5]
	v_cvt_pk_f32_fp8_e32 v[14:15], v42
	v_cvt_pk_f32_fp8_sdwa v[46:47], v42 src0_sel:WORD_1
	s_waitcnt vmcnt(3)
	v_mad_i64_i32 v[72:73], s[6:7], v67, s45, v[70:71]
	v_mfma_f32_16x16x16_bf16 v[2:5], v[16:17], v[20:21], v[2:5]
	v_perm_b32 v14, v15, v14, s44
	v_perm_b32 v15, v47, v46, s44
	v_cvt_pk_f32_fp8_e32 v[16:17], v43
	v_cvt_pk_f32_fp8_sdwa v[42:43], v43 src0_sel:WORD_1
	v_mfma_f32_16x16x16_bf16 v[46:49], v[14:15], v[10:11], v[2:5]
	v_perm_b32 v74, v17, v16, s44
	v_perm_b32 v75, v43, v42, s44
	v_cvt_pk_f32_fp8_e32 v[42:43], v44
	s_waitcnt vmcnt(2)
	v_mad_i64_i32 v[70:71], s[6:7], v66, s45, v[70:71]
	global_load_dwordx4 v[14:17], v[72:73], off
	global_load_dwordx4 v[2:5], v[70:71], off
	v_perm_b32 v70, v43, v42, s44
	v_perm_b32 v71, v77, v76, s44
	v_cvt_pk_f32_fp8_e32 v[72:73], v45
	v_cvt_pk_f32_fp8_sdwa v[76:77], v45 src0_sel:WORD_1
	v_mfma_f32_16x16x16_bf16 v[44:47], v[74:75], v[12:13], v[46:49]
	v_lshl_add_u64 v[42:43], s[4:5], 0, v[62:63]
	v_cvt_pk_f32_fp8_e32 v[62:63], v38
	s_load_dword s4, s[40:41], 0x0
	v_perm_b32 v48, v73, v72, s44
	v_perm_b32 v49, v77, v76, s44
	v_mfma_f32_16x16x16_bf16 v[44:47], v[70:71], v[6:7], v[44:47]
	v_cvt_pk_f32_fp8_sdwa v[70:71], v38 src0_sel:WORD_1
	v_perm_b32 v62, v63, v62, s44
	v_cvt_pk_f32_fp8_e32 v[74:75], v40
	v_mfma_f32_16x16x16_bf16 v[46:49], v[48:49], v[8:9], v[44:47]
	v_perm_b32 v63, v71, v70, s44
	v_cvt_pk_f32_fp8_sdwa v[76:77], v40 src0_sel:WORD_1
	s_mov_b32 s40, 0xff7fffff
	v_cvt_pk_f32_fp8_e32 v[44:45], v39
	v_cvt_pk_f32_fp8_sdwa v[38:39], v39 src0_sel:WORD_1
	v_mfma_f32_16x16x16_bf16 v[70:73], v[62:63], v[26:27], 0
	v_cvt_pk_f32_fp8_e32 v[62:63], v41
	v_perm_b32 v44, v45, v44, s44
	v_perm_b32 v45, v39, v38, s44
	;; [unrolled: 1-line block ×4, first 2 shown]
	v_cvt_pk_f32_fp8_sdwa v[40:41], v41 src0_sel:WORD_1
	v_mov_b32_e32 v26, s8
	s_waitcnt lgkmcnt(0)
	v_mul_f32_e32 v74, s4, v26
	v_mfma_f32_16x16x16_bf16 v[26:29], v[44:45], v[28:29], v[70:73]
	v_pk_mul_f32 v[44:45], v[74:75], v[52:53] op_sel_hi:[0,1]
	v_perm_b32 v52, v63, v62, s44
	v_perm_b32 v53, v41, v40, s44
	v_mfma_f32_16x16x16_bf16 v[26:29], v[38:39], v[18:19], v[26:29]
	v_cvt_pk_f32_fp8_e32 v[18:19], v34
	v_cvt_pk_f32_fp8_sdwa v[38:39], v34 src0_sel:WORD_1
	v_pk_mul_f32 v[50:51], v[74:75], v[50:51] op_sel_hi:[0,1]
	v_mfma_f32_16x16x16_bf16 v[26:29], v[52:53], v[20:21], v[26:29]
	v_perm_b32 v20, v19, v18, s44
	v_perm_b32 v21, v39, v38, s44
	v_cvt_pk_f32_fp8_e32 v[38:39], v35
	v_cvt_pk_f32_fp8_sdwa v[34:35], v35 src0_sel:WORD_1
	v_mfma_f32_16x16x16_bf16 v[26:29], v[20:21], v[10:11], v[26:29]
	v_perm_b32 v38, v39, v38, s44
	v_perm_b32 v39, v35, v34, s44
	v_cvt_pk_f32_fp8_e32 v[10:11], v36
	v_cvt_pk_f32_fp8_sdwa v[20:21], v36 src0_sel:WORD_1
	v_pk_mul_f32 v[52:53], v[74:75], v[54:55] op_sel_hi:[0,1]
	v_pk_mul_f32 v[34:35], v[74:75], v[56:57] op_sel_hi:[0,1]
	v_perm_b32 v40, v11, v10, s44
	v_perm_b32 v41, v21, v20, s44
	v_cvt_pk_f32_fp8_e32 v[20:21], v37
	v_cvt_pk_f32_fp8_sdwa v[36:37], v37 src0_sel:WORD_1
	v_mfma_f32_16x16x16_bf16 v[10:13], v[38:39], v[12:13], v[26:29]
	v_pk_mul_f32 v[46:47], v[74:75], v[46:47] op_sel_hi:[0,1]
	v_perm_b32 v20, v21, v20, s44
	v_perm_b32 v21, v37, v36, s44
	v_mfma_f32_16x16x16_bf16 v[10:13], v[40:41], v[6:7], v[10:13]
	v_pk_mul_f32 v[40:41], v[74:75], v[48:49] op_sel_hi:[0,1]
	v_mad_i64_i32 v[18:19], s[4:5], v69, s45, v[42:43]
	v_mfma_f32_16x16x16_bf16 v[6:9], v[20:21], v[8:9], v[10:13]
	v_mad_i64_i32 v[62:63], s[4:5], v68, s45, v[42:43]
	global_load_dwordx4 v[26:29], v[18:19], off
	s_nop 0
	global_load_dwordx4 v[18:21], v[62:63], off
	s_nop 2
	v_pk_mul_f32 v[48:49], v[74:75], v[6:7] op_sel_hi:[0,1]
	v_and_b32_e32 v6, 0xc0, v0
	v_add_u32_e32 v6, s18, v6
	v_lshl_or_b32 v6, v1, 2, v6
	v_pk_mul_f32 v[38:39], v[74:75], v[8:9] op_sel_hi:[0,1]
	v_or_b32_e32 v9, 1, v6
	v_mov_b32_e32 v7, 0xff7fffff
	v_cmp_gt_i32_e64 s[26:27], s33, v6
	v_cmp_gt_i32_e64 s[28:29], s33, v9
	v_or_b32_e32 v10, 3, v6
	v_cndmask_b32_e64 v8, v7, v50, s[26:27]
	v_cndmask_b32_e64 v9, v7, v51, s[28:29]
	v_max3_f32 v8, v8, s40, v9
	v_or_b32_e32 v9, 2, v6
	v_cmp_gt_i32_e64 s[30:31], s33, v9
	v_cmp_gt_i32_e64 s[34:35], s33, v10
	s_nop 0
	v_cndmask_b32_e64 v9, v7, v44, s[30:31]
	v_cndmask_b32_e64 v10, v7, v45, s[34:35]
	v_max3_f32 v8, v8, v9, v10
	v_or_b32_e32 v9, 16, v6
	v_or_b32_e32 v10, 17, v6
	v_cmp_gt_i32_e64 s[18:19], s33, v9
	v_cmp_gt_i32_e64 s[20:21], s33, v10
	s_nop 0
	v_cndmask_b32_e64 v9, v7, v52, s[18:19]
	v_cndmask_b32_e64 v10, v7, v53, s[20:21]
	v_max3_f32 v8, v8, v9, v10
	v_or_b32_e32 v9, 18, v6
	;; [unrolled: 8-line block ×5, first 2 shown]
	v_or_b32_e32 v10, 49, v6
	v_cmp_gt_i32_e32 vcc, s33, v9
	v_cmp_gt_i32_e64 s[4:5], s33, v10
	s_nop 0
	v_cndmask_b32_e32 v9, v7, v48, vcc
	v_cndmask_b32_e64 v10, v7, v49, s[4:5]
	v_max3_f32 v8, v8, v9, v10
	v_or_b32_e32 v9, 50, v6
	v_or_b32_e32 v6, 51, v6
	v_cmp_gt_i32_e64 s[6:7], s33, v9
	v_cmp_gt_i32_e64 s[8:9], s33, v6
	s_nop 0
	v_cndmask_b32_e64 v9, v7, v38, s[6:7]
	v_cndmask_b32_e64 v6, v7, v39, s[8:9]
	v_max3_f32 v8, v8, v9, v6
	v_mbcnt_lo_u32_b32 v6, -1, 0
	v_mbcnt_hi_u32_b32 v9, -1, v6
	v_and_b32_e32 v6, 64, v9
	v_add_u32_e32 v10, 64, v6
	v_xor_b32_e32 v6, 32, v9
	v_cmp_lt_i32_e64 s[38:39], v6, v10
	s_nop 1
	v_cndmask_b32_e64 v6, v9, v6, s[38:39]
	v_lshlrev_b32_e32 v55, 2, v6
	ds_bpermute_b32 v11, v55, v8
	v_mad_i64_i32 v[6:7], s[38:39], v67, s45, v[42:43]
	s_waitcnt lgkmcnt(0)
	v_max_f32_e32 v11, v11, v11
	v_max_f32_e32 v36, v8, v11
	v_xor_b32_e32 v8, 16, v9
	v_cmp_lt_i32_e64 s[38:39], v8, v10
	s_nop 1
	v_cndmask_b32_e64 v8, v9, v8, s[38:39]
	v_lshlrev_b32_e32 v56, 2, v8
	v_mad_i64_i32 v[8:9], s[38:39], v66, s45, v[42:43]
	global_load_dwordx4 v[10:13], v[6:7], off
	s_nop 0
	global_load_dwordx4 v[6:9], v[8:9], off
	ds_bpermute_b32 v37, v56, v36
	s_waitcnt lgkmcnt(0)
	s_barrier
	v_max_f32_e32 v37, v37, v37
	v_max_f32_e32 v54, v36, v37
	v_sub_f32_e32 v42, v44, v54
	v_mul_f32_e32 v42, 0x3fb8aa3b, v42
	v_exp_f32_e32 v42, v42
	v_sub_f32_e32 v43, v45, v54
	v_mul_f32_e32 v43, 0x3fb8aa3b, v43
	v_exp_f32_e32 v43, v43
	v_cndmask_b32_e64 v44, 0, v42, s[30:31]
	v_sub_f32_e32 v42, v52, v54
	v_sub_f32_e32 v34, v34, v54
	v_mul_f32_e32 v42, 0x3fb8aa3b, v42
	v_mul_f32_e32 v34, 0x3fb8aa3b, v34
	v_sub_f32_e32 v36, v50, v54
	v_exp_f32_e32 v42, v42
	v_exp_f32_e32 v50, v34
	v_cndmask_b32_e64 v45, 0, v43, s[34:35]
	v_sub_f32_e32 v43, v53, v54
	v_sub_f32_e32 v34, v35, v54
	;; [unrolled: 1-line block ×4, first 2 shown]
	v_mul_f32_e32 v43, 0x3fb8aa3b, v43
	v_mul_f32_e32 v34, 0x3fb8aa3b, v34
	;; [unrolled: 1-line block ×4, first 2 shown]
	v_sub_f32_e32 v37, v51, v54
	v_exp_f32_e32 v43, v43
	v_exp_f32_e32 v51, v34
	v_cndmask_b32_e64 v34, 0, v42, s[18:19]
	v_cndmask_b32_e64 v42, 0, v50, s[22:23]
	v_exp_f32_e32 v46, v46
	v_exp_f32_e32 v50, v40
	v_mul_f32_e32 v36, 0x3fb8aa3b, v36
	v_sub_f32_e32 v47, v47, v54
	v_sub_f32_e32 v40, v41, v54
	;; [unrolled: 1-line block ×4, first 2 shown]
	v_exp_f32_e32 v36, v36
	v_mul_f32_e32 v37, 0x3fb8aa3b, v37
	v_mul_f32_e32 v47, 0x3fb8aa3b, v47
	;; [unrolled: 1-line block ×5, first 2 shown]
	v_exp_f32_e32 v37, v37
	v_cndmask_b32_e64 v35, 0, v43, s[20:21]
	v_cndmask_b32_e64 v43, 0, v51, s[36:37]
	v_exp_f32_e32 v47, v47
	v_exp_f32_e32 v51, v40
	v_cndmask_b32_e64 v40, 0, v46, s[10:11]
	v_cndmask_b32_e64 v46, 0, v50, s[14:15]
	v_exp_f32_e32 v48, v48
	v_exp_f32_e32 v50, v38
	v_sub_f32_e32 v38, v39, v54
	v_cndmask_b32_e64 v36, 0, v36, s[26:27]
	v_mul_f32_e32 v38, 0x3fb8aa3b, v38
	v_cndmask_b32_e64 v37, 0, v37, s[28:29]
	v_cndmask_b32_e64 v41, 0, v47, s[12:13]
	v_cndmask_b32_e64 v47, 0, v51, s[16:17]
	v_exp_f32_e32 v51, v38
	v_cndmask_b32_e32 v38, 0, v48, vcc
	v_cndmask_b32_e64 v48, 0, v50, s[6:7]
	v_add_f32_e32 v50, 0, v36
	v_add_f32_e32 v50, v50, v37
	;; [unrolled: 1-line block ×6, first 2 shown]
	v_sub_f32_e32 v49, v49, v54
	v_add_f32_e32 v50, v50, v42
	v_mul_f32_e32 v49, 0x3fb8aa3b, v49
	v_add_f32_e32 v50, v50, v43
	v_exp_f32_e32 v49, v49
	v_add_f32_e32 v50, v50, v40
	v_add_f32_e32 v50, v50, v41
	;; [unrolled: 1-line block ×4, first 2 shown]
	v_cndmask_b32_e64 v39, 0, v49, s[4:5]
	v_add_f32_e32 v50, v50, v38
	v_add_f32_e32 v50, v50, v39
	v_cndmask_b32_e64 v49, 0, v51, s[8:9]
	v_add_f32_e32 v50, v50, v48
	v_add_f32_e32 v50, v50, v49
	ds_bpermute_b32 v51, v55, v50
	v_cmp_gt_u32_e32 vcc, 16, v65
	s_waitcnt lgkmcnt(0)
	v_add_f32_e32 v50, v50, v51
	ds_bpermute_b32 v51, v56, v50
	s_and_saveexec_b64 s[4:5], vcc
	s_cbranch_execz .LBB1319_13
; %bb.12:
	s_waitcnt lgkmcnt(0)
	v_add_f32_e32 v50, v50, v51
	v_lshlrev_b32_e32 v51, 2, v59
	ds_write2st64_b32 v51, v54, v50 offset1:1
.LBB1319_13:
	s_or_b64 exec, exec, s[4:5]
	s_waitcnt lgkmcnt(0)
	v_lshlrev_b32_e32 v51, 2, v60
	s_load_dword s6, s[0:1], 0x94
	s_waitcnt lgkmcnt(0)
	s_barrier
	ds_read2_b32 v[52:53], v51 offset1:16
	ds_read2_b32 v[54:55], v51 offset0:32 offset1:48
	ds_read2_b32 v[56:57], v51 offset0:64 offset1:80
	s_movk_i32 s8, 0x7fff
	s_mul_i32 s7, s25, 12
	s_waitcnt lgkmcnt(2)
	v_max3_f32 v50, v52, s40, v53
	s_waitcnt lgkmcnt(1)
	v_max3_f32 v50, v50, v54, v55
	v_sub_f32_e32 v52, v52, v50
	v_mul_f32_e32 v52, 0x3fb8aa3b, v52
	v_exp_f32_e32 v59, v52
	v_sub_f32_e32 v52, v53, v50
	v_mul_f32_e32 v52, 0x3fb8aa3b, v52
	v_exp_f32_e32 v62, v52
	;; [unrolled: 3-line block ×3, first 2 shown]
	ds_read2_b32 v[52:53], v51 offset0:96 offset1:112
	v_sub_f32_e32 v51, v55, v50
	v_mul_f32_e32 v51, 0x3fb8aa3b, v51
	v_exp_f32_e32 v55, v51
	s_waitcnt lgkmcnt(1)
	v_fma_f32 v51, v59, v56, 0
	v_fmac_f32_e32 v51, v62, v57
	s_waitcnt lgkmcnt(0)
	v_fmac_f32_e32 v51, v54, v52
	v_fmac_f32_e32 v51, v55, v53
	v_add_f32_e32 v52, 0x358637bd, v51
	v_div_scale_f32 v53, s[4:5], v52, v52, 1.0
	v_rcp_f32_e32 v56, v53
	s_barrier
	v_fma_f32 v57, -v53, v56, 1.0
	v_fmac_f32_e32 v56, v57, v56
	v_div_scale_f32 v57, vcc, 1.0, v52, 1.0
	v_mul_f32_e32 v63, v57, v56
	v_fma_f32 v65, -v53, v63, v57
	v_fmac_f32_e32 v63, v65, v56
	v_fma_f32 v53, -v53, v63, v57
	v_div_fmas_f32 v53, v53, v56, v63
	v_cmp_eq_u32_e32 vcc, 1, v61
	v_div_fixup_f32 v52, v53, v52, 1.0
	s_nop 0
	v_cndmask_b32_e32 v53, v59, v62, vcc
	v_cmp_eq_u32_e32 vcc, 2, v61
	s_nop 1
	v_cndmask_b32_e32 v53, v53, v54, vcc
	v_cmp_eq_u32_e32 vcc, 3, v61
	s_nop 1
	v_cndmask_b32_e32 v53, v53, v55, vcc
	v_mul_f32_e32 v52, v53, v52
	v_pk_mul_f32 v[36:37], v[52:53], v[36:37] op_sel_hi:[0,1]
	v_pk_mul_f32 v[44:45], v[52:53], v[44:45] op_sel_hi:[0,1]
	v_bfe_u32 v53, v37, 16, 1
	v_bfe_u32 v54, v36, 16, 1
	v_add3_u32 v36, v36, v54, s8
	v_add3_u32 v37, v37, v53, s8
	v_perm_b32 v56, v37, v36, s44
	v_bfe_u32 v36, v45, 16, 1
	v_bfe_u32 v37, v44, 16, 1
	v_add3_u32 v37, v44, v37, s8
	v_add3_u32 v36, v45, v36, s8
	v_perm_b32 v57, v36, v37, s44
	v_lshlrev_b32_e32 v37, 3, v1
	v_lshlrev_b32_e32 v36, 5, v60
	v_lshlrev_b32_e32 v44, 11, v61
	v_pk_mul_f32 v[34:35], v[52:53], v[34:35] op_sel_hi:[0,1]
	v_or3_b32 v54, v44, v36, v37
	v_bfe_u32 v37, v35, 16, 1
	v_bfe_u32 v44, v34, 16, 1
	v_pk_mul_f32 v[42:43], v[52:53], v[42:43] op_sel_hi:[0,1]
	v_add3_u32 v34, v34, v44, s8
	v_add3_u32 v35, v35, v37, s8
	v_perm_b32 v34, v35, v34, s44
	v_bfe_u32 v35, v43, 16, 1
	v_bfe_u32 v37, v42, 16, 1
	v_add3_u32 v37, v42, v37, s8
	v_add3_u32 v35, v43, v35, s8
	v_pk_mul_f32 v[40:41], v[52:53], v[40:41] op_sel_hi:[0,1]
	v_perm_b32 v35, v35, v37, s44
	v_bfe_u32 v37, v41, 16, 1
	v_bfe_u32 v42, v40, 16, 1
	ds_write2st64_b64 v54, v[56:57], v[34:35] offset1:1
	v_pk_mul_f32 v[34:35], v[52:53], v[46:47] op_sel_hi:[0,1]
	v_add3_u32 v40, v40, v42, s8
	v_add3_u32 v37, v41, v37, s8
	v_perm_b32 v40, v37, v40, s44
	v_bfe_u32 v37, v35, 16, 1
	v_bfe_u32 v41, v34, 16, 1
	v_pk_mul_f32 v[38:39], v[52:53], v[38:39] op_sel_hi:[0,1]
	v_add3_u32 v34, v34, v41, s8
	v_add3_u32 v35, v35, v37, s8
	v_bfe_u32 v37, v39, 16, 1
	v_bfe_u32 v42, v38, 16, 1
	v_perm_b32 v41, v35, v34, s44
	v_pk_mul_f32 v[34:35], v[52:53], v[48:49] op_sel_hi:[0,1]
	v_add3_u32 v38, v38, v42, s8
	v_add3_u32 v37, v39, v37, s8
	v_perm_b32 v38, v37, v38, s44
	v_bfe_u32 v37, v35, 16, 1
	v_bfe_u32 v39, v34, 16, 1
	v_add3_u32 v34, v34, v39, s8
	v_add3_u32 v35, v35, v37, s8
	v_perm_b32 v39, v35, v34, s44
	v_cmp_gt_u32_e32 vcc, 12, v0
	ds_write2st64_b64 v54, v[40:41], v[38:39] offset0:2 offset1:3
	s_and_saveexec_b64 s[4:5], vcc
	s_cbranch_execz .LBB1319_15
; %bb.14:
	s_mov_b32 s49, 0
	v_mov_b32_e32 v61, 0
	v_lshl_add_u64 v[34:35], s[48:49], 0, v[60:61]
	v_mov_b32_e32 v37, s7
	v_mad_u64_u32 v[34:35], s[10:11], s2, v37, v[34:35]
	s_mul_i32 s3, s3, s7
	v_mov_b32_e32 v38, s24
	v_mov_b32_e32 v39, v61
	s_load_dwordx4 s[12:15], s[0:1], 0x58
	v_add_u32_e32 v37, s3, v35
	v_mad_u64_u32 v[34:35], s[10:11], v34, s6, v[38:39]
	v_mov_b32_e32 v38, v35
	v_mad_u64_u32 v[38:39], s[10:11], v37, s6, v[38:39]
	v_mov_b32_e32 v35, v38
	v_lshlrev_b64 v[34:35], 2, v[34:35]
	s_waitcnt lgkmcnt(0)
	v_lshl_add_u64 v[38:39], s[14:15], 0, v[34:35]
	v_lshl_add_u64 v[34:35], s[12:13], 0, v[34:35]
	global_store_dword v[38:39], v50, off
	global_store_dword v[34:35], v51, off
.LBB1319_15:
	s_or_b64 exec, exec, s[4:5]
	v_lshl_or_b32 v50, v1, 9, v36
	s_waitcnt vmcnt(7)
	v_cvt_pk_f32_fp8_e32 v[34:35], v30
	v_cvt_pk_f32_fp8_sdwa v[36:37], v30 src0_sel:WORD_1
	s_mov_b32 s5, 0x7060302
	s_waitcnt lgkmcnt(0)
	s_barrier
	v_cvt_pk_f32_fp8_e32 v[38:39], v31
	v_perm_b32 v30, v35, v34, s5
	v_cvt_pk_f32_fp8_sdwa v[40:41], v31 src0_sel:WORD_1
	v_perm_b32 v31, v37, v36, s5
	ds_read_b128 v[34:37], v50
	v_perm_b32 v46, v39, v38, s5
	v_perm_b32 v47, v41, v40, s5
	ds_read_b128 v[38:41], v50 offset:16
	v_cvt_pk_f32_fp8_e32 v[48:49], v32
	v_cvt_pk_f32_fp8_sdwa v[52:53], v32 src0_sel:WORD_1
	s_waitcnt lgkmcnt(1)
	v_mfma_f32_16x16x16_bf16 v[42:45], v[30:31], v[34:35], 0
	s_waitcnt vmcnt(6)
	v_cvt_pk_f32_fp8_e32 v[56:57], v24
	v_perm_b32 v30, v49, v48, s5
	v_perm_b32 v31, v53, v52, s5
	v_cvt_pk_f32_fp8_e32 v[48:49], v33
	v_mfma_f32_16x16x16_bf16 v[42:45], v[46:47], v[36:37], v[42:45]
	v_cvt_pk_f32_fp8_sdwa v[46:47], v33 src0_sel:WORD_1
	v_cvt_pk_f32_fp8_sdwa v[62:63], v24 src0_sel:WORD_1
	v_perm_b32 v48, v49, v48, s5
	s_waitcnt lgkmcnt(0)
	v_mfma_f32_16x16x16_bf16 v[30:33], v[30:31], v[38:39], v[42:45]
	v_perm_b32 v49, v47, v46, s5
	s_waitcnt vmcnt(4)
	v_cvt_pk_f32_fp8_sdwa v[70:71], v4 src0_sel:WORD_1
	s_load_dword s4, s[42:43], 0x0
	v_cvt_pk_f32_fp8_e32 v[42:43], v22
	v_mfma_f32_16x16x16_bf16 v[46:49], v[48:49], v[40:41], v[30:33]
	s_waitcnt vmcnt(3)
	v_cvt_pk_f32_fp8_sdwa v[72:73], v28 src0_sel:WORD_1
	s_mov_b32 s3, 0
	v_cvt_pk_f32_fp8_sdwa v[30:31], v22 src0_sel:WORD_1
	v_cvt_pk_f32_fp8_e32 v[32:33], v23
	v_perm_b32 v22, v43, v42, s5
	v_cvt_pk_f32_fp8_sdwa v[42:43], v23 src0_sel:WORD_1
	v_perm_b32 v23, v31, v30, s5
	v_perm_b32 v52, v33, v32, s5
	ds_read_b128 v[30:33], v50 offset:2048
	v_perm_b32 v53, v43, v42, s5
	ds_read_b128 v[42:45], v50 offset:2064
	s_waitcnt lgkmcnt(0)
	v_mfma_f32_16x16x16_bf16 v[46:49], v[22:23], v[30:31], v[46:49]
	v_perm_b32 v22, v57, v56, s5
	v_perm_b32 v23, v63, v62, s5
	v_cvt_pk_f32_fp8_e32 v[56:57], v25
	v_mfma_f32_16x16x16_bf16 v[46:49], v[52:53], v[32:33], v[46:49]
	v_cvt_pk_f32_fp8_sdwa v[52:53], v25 src0_sel:WORD_1
	v_cvt_pk_f32_fp8_sdwa v[62:63], v16 src0_sel:WORD_1
	v_perm_b32 v56, v57, v56, s5
	v_mfma_f32_16x16x16_bf16 v[22:25], v[22:23], v[42:43], v[46:49]
	v_perm_b32 v57, v53, v52, s5
	v_cmp_gt_u32_e32 vcc, 64, v0
	s_nop 0
	v_cvt_pk_f32_fp8_e32 v[46:47], v14
	v_mfma_f32_16x16x16_bf16 v[66:69], v[56:57], v[44:45], v[22:25]
	v_cvt_pk_f32_fp8_e32 v[56:57], v16
	s_nop 1
	v_cvt_pk_f32_fp8_sdwa v[22:23], v14 src0_sel:WORD_1
	v_cvt_pk_f32_fp8_e32 v[24:25], v15
	v_perm_b32 v14, v47, v46, s5
	v_cvt_pk_f32_fp8_sdwa v[46:47], v15 src0_sel:WORD_1
	v_perm_b32 v15, v23, v22, s5
	v_perm_b32 v52, v25, v24, s5
	ds_read_b128 v[22:25], v50 offset:4096
	v_perm_b32 v53, v47, v46, s5
	ds_read_b128 v[46:49], v50 offset:4112
	s_waitcnt lgkmcnt(1)
	v_mfma_f32_16x16x16_bf16 v[66:69], v[14:15], v[22:23], v[66:69]
	v_perm_b32 v14, v57, v56, s5
	v_perm_b32 v15, v63, v62, s5
	v_cvt_pk_f32_fp8_e32 v[56:57], v17
	v_mfma_f32_16x16x16_bf16 v[66:69], v[52:53], v[24:25], v[66:69]
	v_cvt_pk_f32_fp8_sdwa v[52:53], v17 src0_sel:WORD_1
	v_cvt_pk_f32_fp8_e32 v[62:63], v4
	v_perm_b32 v56, v57, v56, s5
	s_waitcnt lgkmcnt(0)
	v_mfma_f32_16x16x16_bf16 v[14:17], v[14:15], v[46:47], v[66:69]
	v_perm_b32 v57, v53, v52, s5
	v_cvt_pk_f32_fp8_e32 v[52:53], v2
	s_nop 0
	v_mfma_f32_16x16x16_bf16 v[66:69], v[56:57], v[48:49], v[14:17]
	s_nop 2
	v_cvt_pk_f32_fp8_sdwa v[14:15], v2 src0_sel:WORD_1
	v_cvt_pk_f32_fp8_e32 v[16:17], v3
	v_perm_b32 v2, v53, v52, s5
	v_cvt_pk_f32_fp8_sdwa v[52:53], v3 src0_sel:WORD_1
	v_perm_b32 v3, v15, v14, s5
	v_perm_b32 v56, v17, v16, s5
	ds_read_b128 v[14:17], v50 offset:6144
	v_perm_b32 v57, v53, v52, s5
	s_waitcnt lgkmcnt(0)
	v_mfma_f32_16x16x16_bf16 v[66:69], v[2:3], v[14:15], v[66:69]
	ds_read_b128 v[50:53], v50 offset:6160
	v_perm_b32 v2, v63, v62, s5
	v_perm_b32 v3, v71, v70, s5
	v_cvt_pk_f32_fp8_e32 v[62:63], v5
	v_mfma_f32_16x16x16_bf16 v[66:69], v[56:57], v[16:17], v[66:69]
	v_cvt_pk_f32_fp8_sdwa v[56:57], v5 src0_sel:WORD_1
	v_cvt_pk_f32_fp8_e32 v[70:71], v28
	v_perm_b32 v62, v63, v62, s5
	s_waitcnt lgkmcnt(0)
	v_mfma_f32_16x16x16_bf16 v[2:5], v[2:3], v[50:51], v[66:69]
	v_perm_b32 v63, v57, v56, s5
	v_cvt_pk_f32_fp8_sdwa v[56:57], v26 src0_sel:WORD_1
	s_nop 0
	v_mfma_f32_16x16x16_bf16 v[66:69], v[62:63], v[52:53], v[2:5]
	s_barrier
	s_nop 1
	v_cvt_pk_f32_fp8_e32 v[4:5], v26
	s_nop 2
	v_pk_mul_f32 v[62:63], v[66:67], s[4:5] op_sel_hi:[1,0]
	v_cvt_pk_f32_fp8_e32 v[66:67], v27
	v_perm_b32 v4, v5, v4, s5
	v_perm_b32 v5, v57, v56, s5
	v_cvt_pk_f32_fp8_sdwa v[26:27], v27 src0_sel:WORD_1
	v_perm_b32 v56, v67, v66, s5
	v_pk_mul_f32 v[2:3], v[68:69], s[4:5] op_sel_hi:[1,0]
	v_mfma_f32_16x16x16_bf16 v[66:69], v[4:5], v[34:35], 0
	v_perm_b32 v57, v27, v26, s5
	v_perm_b32 v4, v71, v70, s5
	;; [unrolled: 1-line block ×3, first 2 shown]
	v_cvt_pk_f32_fp8_e32 v[34:35], v29
	v_cvt_pk_f32_fp8_sdwa v[70:71], v29 src0_sel:WORD_1
	v_mfma_f32_16x16x16_bf16 v[26:29], v[56:57], v[36:37], v[66:69]
	s_waitcnt vmcnt(2)
	v_cvt_pk_f32_fp8_sdwa v[36:37], v18 src0_sel:WORD_1
	v_perm_b32 v34, v35, v34, s5
	v_perm_b32 v35, v71, v70, s5
	v_mfma_f32_16x16x16_bf16 v[26:29], v[4:5], v[38:39], v[26:29]
	v_cvt_pk_f32_fp8_e32 v[4:5], v18
	v_cvt_pk_f32_fp8_sdwa v[38:39], v20 src0_sel:WORD_1
	v_bfe_u32 v55, v63, 16, 1
	v_mfma_f32_16x16x16_bf16 v[26:29], v[34:35], v[40:41], v[26:29]
	v_cvt_pk_f32_fp8_e32 v[34:35], v19
	v_perm_b32 v4, v5, v4, s5
	v_perm_b32 v5, v37, v36, s5
	v_cvt_pk_f32_fp8_sdwa v[18:19], v19 src0_sel:WORD_1
	v_perm_b32 v34, v35, v34, s5
	v_cvt_pk_f32_fp8_e32 v[36:37], v20
	v_mfma_f32_16x16x16_bf16 v[26:29], v[4:5], v[30:31], v[26:29]
	v_perm_b32 v35, v19, v18, s5
	v_perm_b32 v4, v37, v36, s5
	;; [unrolled: 1-line block ×3, first 2 shown]
	v_cvt_pk_f32_fp8_e32 v[30:31], v21
	v_cvt_pk_f32_fp8_sdwa v[36:37], v21 src0_sel:WORD_1
	v_mfma_f32_16x16x16_bf16 v[18:21], v[34:35], v[32:33], v[26:29]
	v_bfe_u32 v56, v62, 16, 1
	v_add3_u32 v32, v62, v56, s8
	v_add3_u32 v33, v63, v55, s8
	v_perm_b32 v26, v31, v30, s5
	v_perm_b32 v27, v37, v36, s5
	v_mfma_f32_16x16x16_bf16 v[18:21], v[4:5], v[42:43], v[18:21]
	s_waitcnt vmcnt(1)
	v_cvt_pk_f32_fp8_e32 v[4:5], v10
	v_cvt_pk_f32_fp8_sdwa v[28:29], v10 src0_sel:WORD_1
	v_cvt_pk_f32_fp8_sdwa v[30:31], v12 src0_sel:WORD_1
	v_mfma_f32_16x16x16_bf16 v[18:21], v[26:27], v[44:45], v[18:21]
	v_cvt_pk_f32_fp8_e32 v[26:27], v11
	v_perm_b32 v4, v5, v4, s5
	v_perm_b32 v5, v29, v28, s5
	v_cvt_pk_f32_fp8_sdwa v[10:11], v11 src0_sel:WORD_1
	v_perm_b32 v26, v27, v26, s5
	v_cvt_pk_f32_fp8_e32 v[28:29], v12
	v_mfma_f32_16x16x16_bf16 v[18:21], v[4:5], v[22:23], v[18:21]
	v_perm_b32 v27, v11, v10, s5
	v_perm_b32 v4, v29, v28, s5
	;; [unrolled: 1-line block ×3, first 2 shown]
	v_cvt_pk_f32_fp8_e32 v[22:23], v13
	v_cvt_pk_f32_fp8_sdwa v[28:29], v13 src0_sel:WORD_1
	v_mfma_f32_16x16x16_bf16 v[10:13], v[26:27], v[24:25], v[18:21]
	s_waitcnt vmcnt(0)
	v_cvt_pk_f32_fp8_sdwa v[24:25], v8 src0_sel:WORD_1
	s_nop 0
	v_perm_b32 v20, v23, v22, s5
	v_perm_b32 v21, v29, v28, s5
	v_mfma_f32_16x16x16_bf16 v[10:13], v[4:5], v[46:47], v[10:13]
	v_cvt_pk_f32_fp8_e32 v[4:5], v6
	v_cvt_pk_f32_fp8_sdwa v[22:23], v6 src0_sel:WORD_1
	v_bfe_u32 v19, v3, 16, 1
	v_mfma_f32_16x16x16_bf16 v[10:13], v[20:21], v[48:49], v[10:13]
	v_cvt_pk_f32_fp8_e32 v[20:21], v7
	v_perm_b32 v4, v5, v4, s5
	v_perm_b32 v5, v23, v22, s5
	v_cvt_pk_f32_fp8_sdwa v[6:7], v7 src0_sel:WORD_1
	v_perm_b32 v20, v21, v20, s5
	v_cvt_pk_f32_fp8_e32 v[22:23], v8
	v_add3_u32 v3, v3, v19, s8
	v_perm_b32 v21, v7, v6, s5
	v_mfma_f32_16x16x16_bf16 v[4:7], v[4:5], v[14:15], v[10:13]
	v_bfe_u32 v14, v2, 16, 1
	v_add3_u32 v2, v2, v14, s8
	v_perm_b32 v19, v3, v2, s5
	v_perm_b32 v10, v23, v22, s5
	;; [unrolled: 1-line block ×3, first 2 shown]
	v_cvt_pk_f32_fp8_e32 v[12:13], v9
	v_cvt_pk_f32_fp8_sdwa v[8:9], v9 src0_sel:WORD_1
	v_mfma_f32_16x16x16_bf16 v[4:7], v[20:21], v[16:17], v[4:7]
	v_perm_b32 v18, v33, v32, s5
	v_perm_b32 v12, v13, v12, s5
	;; [unrolled: 1-line block ×3, first 2 shown]
	v_mfma_f32_16x16x16_bf16 v[4:7], v[10:11], v[50:51], v[4:7]
	s_nop 0
	v_mfma_f32_16x16x16_bf16 v[2:5], v[12:13], v[52:53], v[4:7]
	s_nop 6
	v_pk_mul_f32 v[2:3], v[2:3], s[4:5] op_sel_hi:[1,0]
	v_pk_mul_f32 v[4:5], v[4:5], s[4:5] op_sel_hi:[1,0]
	v_bfe_u32 v6, v3, 16, 1
	v_bfe_u32 v7, v2, 16, 1
	v_add3_u32 v2, v2, v7, s8
	v_add3_u32 v3, v3, v6, s8
	v_perm_b32 v2, v3, v2, s5
	v_bfe_u32 v3, v5, 16, 1
	v_bfe_u32 v6, v4, 16, 1
	v_add3_u32 v4, v4, v6, s8
	v_add3_u32 v3, v5, v3, s8
	v_perm_b32 v3, v3, v4, s5
	ds_write2st64_b64 v54, v[18:19], v[2:3] offset1:1
	s_waitcnt lgkmcnt(0)
	s_barrier
	s_and_saveexec_b64 s[4:5], vcc
	s_cbranch_execz .LBB1319_17
; %bb.16:
	s_load_dwordx2 s[0:1], s[0:1], 0x68
	s_lshl_b32 s6, s6, 7
	s_mul_i32 s2, s7, s2
	s_mul_hi_u32 s5, s2, s6
	s_mul_i32 s4, s2, s6
	s_lshl_b64 s[4:5], s[4:5], 1
	v_lshlrev_b32_e32 v4, 6, v60
	s_waitcnt lgkmcnt(0)
	s_add_u32 s4, s0, s4
	v_lshl_or_b32 v0, v0, 10, v4
	s_addc_u32 s5, s1, s5
	s_lshl_b32 s2, s24, 7
	v_lshlrev_b32_e32 v2, 5, v1
	v_and_b32_e32 v3, 16, v64
	v_and_b32_e32 v0, 0x1a00, v0
	s_lshl_b64 s[0:1], s[2:3], 1
	v_or3_b32 v0, v0, v2, v3
	s_add_u32 s0, s4, s0
	ds_read_b128 v[2:5], v0
	ds_read_b128 v[6:9], v0 offset:128
	ds_read_b128 v[10:13], v0 offset:256
	s_addc_u32 s1, s5, s1
	v_or_b32_e32 v16, s48, v1
	v_mov_b32_e32 v59, 0
	v_lshl_add_u64 v[0:1], s[0:1], 0, v[58:59]
	v_mad_u64_u32 v[14:15], s[0:1], v16, s6, 0
	v_lshl_add_u64 v[14:15], v[14:15], 1, v[0:1]
	s_waitcnt lgkmcnt(2)
	global_store_dwordx4 v[14:15], v[2:5], off
	s_nop 1
	v_add_u32_e32 v2, 4, v16
	v_mad_u64_u32 v[2:3], s[0:1], v2, s6, 0
	v_lshl_add_u64 v[2:3], v[2:3], 1, v[0:1]
	s_waitcnt lgkmcnt(1)
	global_store_dwordx4 v[2:3], v[6:9], off
	v_add_u32_e32 v2, 8, v16
	v_mad_u64_u32 v[2:3], s[0:1], v2, s6, 0
	v_lshl_add_u64 v[0:1], v[2:3], 1, v[0:1]
	s_waitcnt lgkmcnt(0)
	global_store_dwordx4 v[0:1], v[10:13], off
.LBB1319_17:
	s_endpgm
	.section	.rodata,"a",@progbits
	.p2align	6, 0x0
	.amdhsa_kernel _Z39paged_attention_ll4mi_QKV_mfma16_kernelI14__hip_bfloat16hLN4vllm18Fp8KVCacheDataTypeE1ES0_Li16ELi128ELi256ELb0ELi12EEvPKT_PKT0_S8_ifPKiSA_SA_iPKfiiiPfSD_PS3_PT2_iSC_SC_
		.amdhsa_group_segment_fixed_size 8192
		.amdhsa_private_segment_fixed_size 0
		.amdhsa_kernarg_size 400
		.amdhsa_user_sgpr_count 2
		.amdhsa_user_sgpr_dispatch_ptr 0
		.amdhsa_user_sgpr_queue_ptr 0
		.amdhsa_user_sgpr_kernarg_segment_ptr 1
		.amdhsa_user_sgpr_dispatch_id 0
		.amdhsa_user_sgpr_kernarg_preload_length 0
		.amdhsa_user_sgpr_kernarg_preload_offset 0
		.amdhsa_user_sgpr_private_segment_size 0
		.amdhsa_uses_dynamic_stack 0
		.amdhsa_enable_private_segment 0
		.amdhsa_system_sgpr_workgroup_id_x 1
		.amdhsa_system_sgpr_workgroup_id_y 1
		.amdhsa_system_sgpr_workgroup_id_z 1
		.amdhsa_system_sgpr_workgroup_info 0
		.amdhsa_system_vgpr_workitem_id 0
		.amdhsa_next_free_vgpr 86
		.amdhsa_next_free_sgpr 50
		.amdhsa_accum_offset 88
		.amdhsa_reserve_vcc 1
		.amdhsa_float_round_mode_32 0
		.amdhsa_float_round_mode_16_64 0
		.amdhsa_float_denorm_mode_32 3
		.amdhsa_float_denorm_mode_16_64 3
		.amdhsa_dx10_clamp 1
		.amdhsa_ieee_mode 1
		.amdhsa_fp16_overflow 0
		.amdhsa_tg_split 0
		.amdhsa_exception_fp_ieee_invalid_op 0
		.amdhsa_exception_fp_denorm_src 0
		.amdhsa_exception_fp_ieee_div_zero 0
		.amdhsa_exception_fp_ieee_overflow 0
		.amdhsa_exception_fp_ieee_underflow 0
		.amdhsa_exception_fp_ieee_inexact 0
		.amdhsa_exception_int_div_zero 0
	.end_amdhsa_kernel
	.section	.text._Z39paged_attention_ll4mi_QKV_mfma16_kernelI14__hip_bfloat16hLN4vllm18Fp8KVCacheDataTypeE1ES0_Li16ELi128ELi256ELb0ELi12EEvPKT_PKT0_S8_ifPKiSA_SA_iPKfiiiPfSD_PS3_PT2_iSC_SC_,"axG",@progbits,_Z39paged_attention_ll4mi_QKV_mfma16_kernelI14__hip_bfloat16hLN4vllm18Fp8KVCacheDataTypeE1ES0_Li16ELi128ELi256ELb0ELi12EEvPKT_PKT0_S8_ifPKiSA_SA_iPKfiiiPfSD_PS3_PT2_iSC_SC_,comdat
.Lfunc_end1319:
	.size	_Z39paged_attention_ll4mi_QKV_mfma16_kernelI14__hip_bfloat16hLN4vllm18Fp8KVCacheDataTypeE1ES0_Li16ELi128ELi256ELb0ELi12EEvPKT_PKT0_S8_ifPKiSA_SA_iPKfiiiPfSD_PS3_PT2_iSC_SC_, .Lfunc_end1319-_Z39paged_attention_ll4mi_QKV_mfma16_kernelI14__hip_bfloat16hLN4vllm18Fp8KVCacheDataTypeE1ES0_Li16ELi128ELi256ELb0ELi12EEvPKT_PKT0_S8_ifPKiSA_SA_iPKfiiiPfSD_PS3_PT2_iSC_SC_
                                        ; -- End function
	.section	.AMDGPU.csdata,"",@progbits
; Kernel info:
; codeLenInByte = 6336
; NumSgprs: 56
; NumVgprs: 86
; NumAgprs: 0
; TotalNumVgprs: 86
; ScratchSize: 0
; MemoryBound: 0
; FloatMode: 240
; IeeeMode: 1
; LDSByteSize: 8192 bytes/workgroup (compile time only)
; SGPRBlocks: 6
; VGPRBlocks: 10
; NumSGPRsForWavesPerEU: 56
; NumVGPRsForWavesPerEU: 86
; AccumOffset: 88
; Occupancy: 5
; WaveLimiterHint : 1
; COMPUTE_PGM_RSRC2:SCRATCH_EN: 0
; COMPUTE_PGM_RSRC2:USER_SGPR: 2
; COMPUTE_PGM_RSRC2:TRAP_HANDLER: 0
; COMPUTE_PGM_RSRC2:TGID_X_EN: 1
; COMPUTE_PGM_RSRC2:TGID_Y_EN: 1
; COMPUTE_PGM_RSRC2:TGID_Z_EN: 1
; COMPUTE_PGM_RSRC2:TIDIG_COMP_CNT: 0
; COMPUTE_PGM_RSRC3_GFX90A:ACCUM_OFFSET: 21
; COMPUTE_PGM_RSRC3_GFX90A:TG_SPLIT: 0
	.section	.text._Z39paged_attention_ll4mi_QKV_mfma16_kernelI14__hip_bfloat16hLN4vllm18Fp8KVCacheDataTypeE1ES0_Li16ELi128ELi256ELb0ELi13EEvPKT_PKT0_S8_ifPKiSA_SA_iPKfiiiPfSD_PS3_PT2_iSC_SC_,"axG",@progbits,_Z39paged_attention_ll4mi_QKV_mfma16_kernelI14__hip_bfloat16hLN4vllm18Fp8KVCacheDataTypeE1ES0_Li16ELi128ELi256ELb0ELi13EEvPKT_PKT0_S8_ifPKiSA_SA_iPKfiiiPfSD_PS3_PT2_iSC_SC_,comdat
	.protected	_Z39paged_attention_ll4mi_QKV_mfma16_kernelI14__hip_bfloat16hLN4vllm18Fp8KVCacheDataTypeE1ES0_Li16ELi128ELi256ELb0ELi13EEvPKT_PKT0_S8_ifPKiSA_SA_iPKfiiiPfSD_PS3_PT2_iSC_SC_ ; -- Begin function _Z39paged_attention_ll4mi_QKV_mfma16_kernelI14__hip_bfloat16hLN4vllm18Fp8KVCacheDataTypeE1ES0_Li16ELi128ELi256ELb0ELi13EEvPKT_PKT0_S8_ifPKiSA_SA_iPKfiiiPfSD_PS3_PT2_iSC_SC_
	.globl	_Z39paged_attention_ll4mi_QKV_mfma16_kernelI14__hip_bfloat16hLN4vllm18Fp8KVCacheDataTypeE1ES0_Li16ELi128ELi256ELb0ELi13EEvPKT_PKT0_S8_ifPKiSA_SA_iPKfiiiPfSD_PS3_PT2_iSC_SC_
	.p2align	8
	.type	_Z39paged_attention_ll4mi_QKV_mfma16_kernelI14__hip_bfloat16hLN4vllm18Fp8KVCacheDataTypeE1ES0_Li16ELi128ELi256ELb0ELi13EEvPKT_PKT0_S8_ifPKiSA_SA_iPKfiiiPfSD_PS3_PT2_iSC_SC_,@function
_Z39paged_attention_ll4mi_QKV_mfma16_kernelI14__hip_bfloat16hLN4vllm18Fp8KVCacheDataTypeE1ES0_Li16ELi128ELi256ELb0ELi13EEvPKT_PKT0_S8_ifPKiSA_SA_iPKfiiiPfSD_PS3_PT2_iSC_SC_: ; @_Z39paged_attention_ll4mi_QKV_mfma16_kernelI14__hip_bfloat16hLN4vllm18Fp8KVCacheDataTypeE1ES0_Li16ELi128ELi256ELb0ELi13EEvPKT_PKT0_S8_ifPKiSA_SA_iPKfiiiPfSD_PS3_PT2_iSC_SC_
; %bb.0:
	s_load_dwordx2 s[12:13], s[0:1], 0x30
	s_mov_b32 s24, s3
	s_mov_b64 s[6:7], 0
	s_waitcnt lgkmcnt(0)
	s_cmp_lg_u64 s[12:13], 0
	s_cselect_b64 s[14:15], -1, 0
	s_and_b64 vcc, exec, s[14:15]
	s_cbranch_vccz .LBB1320_7
; %bb.1:
	s_add_i32 s8, s2, 1
	s_mov_b32 s9, 0
	s_lshl_b64 s[10:11], s[8:9], 2
	s_add_u32 s10, s12, s10
	s_mov_b32 s3, s9
	s_addc_u32 s11, s13, s11
	s_lshl_b64 s[8:9], s[2:3], 2
	s_add_u32 s8, s12, s8
	s_addc_u32 s9, s13, s9
	s_load_dword s5, s[10:11], 0x0
	s_load_dword s16, s[8:9], 0x0
	s_waitcnt lgkmcnt(0)
	s_sub_i32 s5, s5, s16
	s_cmp_eq_u32 s5, 1
	s_cselect_b64 s[8:9], -1, 0
	s_andn2_b64 vcc, exec, s[6:7]
	s_cbranch_vccnz .LBB1320_3
.LBB1320_2:
	s_mov_b32 s3, 0
	s_mov_b64 s[8:9], -1
.LBB1320_3:
	s_andn2_b64 vcc, exec, s[8:9]
	s_cbranch_vccnz .LBB1320_18
; %bb.4:
	s_load_dwordx2 s[6:7], s[0:1], 0x28
	s_lshl_b64 s[16:17], s[2:3], 2
	s_waitcnt lgkmcnt(0)
	s_add_u32 s6, s6, s16
	s_addc_u32 s7, s7, s17
	s_load_dword s33, s[6:7], 0x0
	s_lshl_b32 s18, s24, 8
	s_waitcnt lgkmcnt(0)
	s_cmp_ge_i32 s18, s33
	s_cbranch_scc1 .LBB1320_18
; %bb.5:
	s_load_dwordx2 s[6:7], s[0:1], 0x20
	s_load_dword s8, s[0:1], 0x38
	s_add_i32 s5, s33, 15
	s_ashr_i32 s9, s5, 31
	v_and_b32_e32 v1, 0xcf, v0
	s_lshr_b32 s9, s9, 28
	v_add_u32_e32 v1, s18, v1
	s_add_i32 s5, s5, s9
	v_ashrrev_i32_e32 v2, 31, v1
	s_ashr_i32 s5, s5, 4
	v_lshrrev_b32_e32 v10, 28, v2
	s_add_i32 s5, s5, -1
	s_waitcnt lgkmcnt(0)
	s_mul_i32 s8, s2, s8
	s_mov_b32 s9, 0
	v_add_u32_e32 v2, v1, v10
	s_lshl_b64 s[8:9], s[8:9], 2
	v_ashrrev_i32_e32 v2, 4, v2
	v_mov_b32_e32 v11, s5
	v_cmp_gt_i32_e32 vcc, s33, v1
	s_add_u32 s6, s6, s8
	s_addc_u32 s7, s7, s9
	v_cndmask_b32_e32 v2, v11, v2, vcc
	v_ashrrev_i32_e32 v3, 31, v2
	v_lshl_add_u64 v[4:5], v[2:3], 2, s[6:7]
	v_or_b32_e32 v2, 16, v1
	v_add_u32_e32 v3, v2, v10
	v_ashrrev_i32_e32 v3, 4, v3
	v_cmp_gt_i32_e32 vcc, s33, v2
	s_load_dwordx4 s[8:11], s[0:1], 0x8
	s_nop 0
	v_cndmask_b32_e32 v2, v11, v3, vcc
	v_ashrrev_i32_e32 v3, 31, v2
	v_lshl_add_u64 v[6:7], v[2:3], 2, s[6:7]
	v_or_b32_e32 v2, 32, v1
	v_add_u32_e32 v3, v2, v10
	v_ashrrev_i32_e32 v3, 4, v3
	v_cmp_gt_i32_e32 vcc, s33, v2
	v_or_b32_e32 v1, 48, v1
	s_nop 0
	v_cndmask_b32_e32 v2, v11, v3, vcc
	v_ashrrev_i32_e32 v3, 31, v2
	v_lshl_add_u64 v[8:9], v[2:3], 2, s[6:7]
	v_add_u32_e32 v2, v1, v10
	v_ashrrev_i32_e32 v2, 4, v2
	v_cmp_gt_i32_e32 vcc, s33, v1
	s_nop 1
	v_cndmask_b32_e32 v2, v11, v2, vcc
	v_ashrrev_i32_e32 v3, 31, v2
	v_lshl_add_u64 v[10:11], v[2:3], 2, s[6:7]
	global_load_dword v3, v[4:5], off
	global_load_dword v2, v[6:7], off
	;; [unrolled: 1-line block ×4, first 2 shown]
	s_andn2_b64 vcc, exec, s[14:15]
	s_cbranch_vccnz .LBB1320_8
; %bb.6:
	s_add_u32 s12, s12, s16
	s_addc_u32 s13, s13, s17
	s_load_dword s14, s[12:13], 0x0
	s_branch .LBB1320_9
.LBB1320_7:
	s_mov_b64 s[8:9], 0
	s_branch .LBB1320_2
.LBB1320_8:
	s_mov_b32 s14, s2
.LBB1320_9:
	s_load_dwordx4 s[44:47], s[0:1], 0x48
	v_lshrrev_b32_e32 v61, 6, v0
	v_bfe_u32 v64, v0, 4, 2
	v_and_b32_e32 v60, 15, v0
	v_lshl_or_b32 v4, v61, 2, v64
	v_lshlrev_b32_e32 v1, 3, v60
	v_and_b32_e32 v65, 63, v0
	s_mul_i32 s48, s4, 13
	v_cmp_gt_u32_e32 vcc, 13, v4
	v_lshlrev_b32_e32 v58, 1, v1
	v_lshlrev_b32_e32 v1, 4, v0
	s_and_saveexec_b64 s[12:13], vcc
	s_cbranch_execz .LBB1320_11
; %bb.10:
	s_load_dwordx2 s[16:17], s[0:1], 0x0
	s_waitcnt lgkmcnt(0)
	s_ashr_i32 s15, s44, 31
	s_mul_hi_u32 s19, s14, s44
	s_mul_i32 s15, s14, s15
	s_add_i32 s15, s19, s15
	s_mul_i32 s14, s14, s44
	s_lshl_b64 s[14:15], s[14:15], 1
	s_add_u32 s14, s16, s14
	v_add_lshl_u32 v6, v4, s48, 7
	s_addc_u32 s15, s17, s15
	v_ashrrev_i32_e32 v7, 31, v6
	v_lshl_add_u64 v[6:7], v[6:7], 1, s[14:15]
	v_mov_b32_e32 v59, 0
	v_lshl_add_u64 v[6:7], v[6:7], 0, v[58:59]
	global_load_dwordx4 v[6:9], v[6:7], off
	v_lshlrev_b32_e32 v10, 8, v0
	v_lshlrev_b32_e32 v5, 8, v60
	v_and_b32_e32 v10, 0x600, v10
	s_movk_i32 s14, 0x800
	v_and_or_b32 v5, v5, s14, v10
	v_lshlrev_b32_e32 v4, 5, v4
	v_and_b32_e32 v10, 16, v1
	v_or3_b32 v4, v5, v4, v10
	s_waitcnt vmcnt(0)
	ds_write_b128 v4, v[6:9]
.LBB1320_11:
	s_or_b64 exec, exec, s[12:13]
	s_waitcnt lgkmcnt(0)
	s_mul_i32 s4, s4, s46
	s_add_u32 s8, s8, s4
	s_addc_u32 s9, s9, 0
	v_and_b32_e32 v62, 0xf0, v1
	v_mov_b32_e32 v63, 0
	v_and_b32_e32 v6, 48, v0
	v_lshl_add_u64 v[30:31], s[8:9], 0, v[62:63]
	v_lshlrev_b32_e32 v62, 4, v6
	s_waitcnt vmcnt(3)
	v_mad_i64_i32 v[4:5], s[8:9], v3, s45, v[30:31]
	v_lshl_add_u64 v[4:5], v[4:5], 0, v[62:63]
	s_load_dword s25, s[0:1], 0x98
	s_load_dwordx4 s[40:43], s[0:1], 0x80
	s_waitcnt lgkmcnt(0)
	s_barrier
	global_load_dwordx4 v[22:25], v[4:5], off
	global_load_dwordx4 v[14:17], v[4:5], off offset:1024
	s_waitcnt vmcnt(4)
	v_mad_i64_i32 v[2:3], s[8:9], v2, s45, v[30:31]
	v_lshl_add_u64 v[32:33], v[2:3], 0, v[62:63]
	global_load_dwordx4 v[2:5], v[32:33], off
	v_add_u32_e32 v7, -13, v60
	v_cmp_gt_u32_e32 vcc, 13, v60
	v_or_b32_e32 v6, s18, v6
	v_mov_b32_e32 v41, s5
	v_cndmask_b32_e32 v7, v7, v60, vcc
	v_lshlrev_b32_e32 v7, 5, v7
	v_ashrrev_i32_e32 v8, 4, v6
	v_lshl_add_u32 v7, v64, 9, v7
	v_cmp_gt_i32_e32 vcc, s33, v6
	v_or_b32_e32 v40, 64, v6
	v_or_b32_e32 v42, 0x80, v6
	;; [unrolled: 1-line block ×3, first 2 shown]
	v_cndmask_b32_e32 v38, v41, v8, vcc
	ds_read_b128 v[26:29], v7
	ds_read_b128 v[18:21], v7 offset:16
	ds_read_b128 v[10:13], v7 offset:2048
	;; [unrolled: 1-line block ×3, first 2 shown]
	s_waitcnt vmcnt(4)
	v_mad_i64_i32 v[36:37], s[12:13], v34, s45, v[30:31]
	s_waitcnt vmcnt(3)
	v_mad_i64_i32 v[34:35], s[12:13], v35, s45, v[30:31]
	global_load_dwordx4 v[30:33], v[32:33], off offset:1024
	v_ashrrev_i32_e32 v44, 4, v40
	v_cmp_gt_i32_e32 vcc, s33, v40
	v_ashrrev_i32_e32 v45, 4, v42
	v_ashrrev_i32_e32 v46, 4, v43
	v_cndmask_b32_e32 v40, v41, v44, vcc
	v_cmp_gt_i32_e32 vcc, s33, v42
	v_ashrrev_i32_e32 v39, 31, v38
	v_lshl_add_u64 v[36:37], v[36:37], 0, v[62:63]
	v_cndmask_b32_e32 v42, v41, v45, vcc
	v_cmp_gt_i32_e32 vcc, s33, v43
	v_lshl_add_u64 v[34:35], v[34:35], 0, v[62:63]
	v_ashrrev_i32_e32 v43, 31, v42
	v_cndmask_b32_e32 v44, v41, v46, vcc
	v_ashrrev_i32_e32 v41, 31, v40
	v_ashrrev_i32_e32 v45, 31, v44
	v_lshl_add_u64 v[50:51], v[38:39], 2, s[6:7]
	v_lshl_add_u64 v[52:53], v[40:41], 2, s[6:7]
	;; [unrolled: 1-line block ×4, first 2 shown]
	global_load_dwordx4 v[46:49], v[36:37], off
	global_load_dwordx4 v[42:45], v[36:37], off offset:1024
	global_load_dwordx4 v[38:41], v[34:35], off
	s_nop 0
	global_load_dwordx4 v[34:37], v[34:35], off offset:1024
	s_nop 0
	global_load_dword v69, v[50:51], off
	global_load_dword v68, v[52:53], off
	;; [unrolled: 1-line block ×4, first 2 shown]
	s_mov_b32 s44, 0x7060302
	s_add_u32 s4, s10, s4
	v_lshl_or_b32 v59, v61, 4, v60
	s_addc_u32 s5, s11, 0
	v_lshlrev_b32_e32 v62, 4, v59
	s_load_dword s8, s[0:1], 0x1c
	s_waitcnt vmcnt(11)
	v_cvt_pk_f32_fp8_e32 v[50:51], v22
	v_cvt_pk_f32_fp8_sdwa v[52:53], v22 src0_sel:WORD_1
	v_cvt_pk_f32_fp8_e32 v[54:55], v23
	v_cvt_pk_f32_fp8_sdwa v[22:23], v23 src0_sel:WORD_1
	s_waitcnt vmcnt(10)
	v_cvt_pk_f32_fp8_e32 v[76:77], v14
	v_cvt_pk_f32_fp8_sdwa v[78:79], v14 src0_sel:WORD_1
	v_cvt_pk_f32_fp8_e32 v[80:81], v15
	v_cvt_pk_f32_fp8_sdwa v[82:83], v15 src0_sel:WORD_1
	v_perm_b32 v14, v51, v50, s44
	v_perm_b32 v15, v53, v52, s44
	v_cvt_pk_f32_fp8_e32 v[56:57], v24
	v_cvt_pk_f32_fp8_sdwa v[70:71], v24 src0_sel:WORD_1
	v_perm_b32 v54, v55, v54, s44
	v_perm_b32 v55, v23, v22, s44
	v_cvt_pk_f32_fp8_e32 v[72:73], v25
	v_cvt_pk_f32_fp8_sdwa v[74:75], v25 src0_sel:WORD_1
	s_waitcnt lgkmcnt(0)
	v_mfma_f32_16x16x16_bf16 v[22:25], v[14:15], v[26:27], 0
	v_perm_b32 v14, v57, v56, s44
	v_perm_b32 v15, v71, v70, s44
	;; [unrolled: 1-line block ×3, first 2 shown]
	v_mfma_f32_16x16x16_bf16 v[22:25], v[54:55], v[28:29], v[22:25]
	v_perm_b32 v57, v75, v74, s44
	v_cvt_pk_f32_fp8_e32 v[50:51], v16
	v_cvt_pk_f32_fp8_sdwa v[52:53], v16 src0_sel:WORD_1
	v_cvt_pk_f32_fp8_e32 v[84:85], v17
	v_cvt_pk_f32_fp8_sdwa v[54:55], v17 src0_sel:WORD_1
	v_mfma_f32_16x16x16_bf16 v[14:17], v[14:15], v[18:19], v[22:25]
	v_perm_b32 v70, v81, v80, s44
	v_perm_b32 v71, v83, v82, s44
	;; [unrolled: 1-line block ×5, first 2 shown]
	v_mfma_f32_16x16x16_bf16 v[14:17], v[56:57], v[20:21], v[14:17]
	s_waitcnt vmcnt(9)
	v_cvt_pk_f32_fp8_e32 v[22:23], v2
	v_cvt_pk_f32_fp8_sdwa v[56:57], v2 src0_sel:WORD_1
	v_perm_b32 v51, v53, v52, s44
	v_mfma_f32_16x16x16_bf16 v[14:17], v[24:25], v[10:11], v[14:17]
	v_cvt_pk_f32_fp8_e32 v[24:25], v3
	v_cvt_pk_f32_fp8_sdwa v[2:3], v3 src0_sel:WORD_1
	v_perm_b32 v52, v85, v84, s44
	v_mfma_f32_16x16x16_bf16 v[14:17], v[70:71], v[12:13], v[14:17]
	v_perm_b32 v53, v55, v54, s44
	v_perm_b32 v22, v23, v22, s44
	;; [unrolled: 1-line block ×3, first 2 shown]
	v_mfma_f32_16x16x16_bf16 v[14:17], v[50:51], v[6:7], v[14:17]
	v_cvt_pk_f32_fp8_e32 v[54:55], v4
	v_cvt_pk_f32_fp8_sdwa v[56:57], v4 src0_sel:WORD_1
	v_perm_b32 v24, v25, v24, s44
	v_perm_b32 v25, v3, v2, s44
	v_mfma_f32_16x16x16_bf16 v[50:53], v[52:53], v[8:9], v[14:17]
	s_waitcnt vmcnt(7)
	v_cvt_pk_f32_fp8_e32 v[72:73], v49
	v_lshl_add_u64 v[70:71], s[4:5], 0, v[62:63]
	s_waitcnt vmcnt(6)
	v_cvt_pk_f32_fp8_sdwa v[76:77], v44 src0_sel:WORD_1
	v_mfma_f32_16x16x16_bf16 v[14:17], v[22:23], v[26:27], 0
	v_perm_b32 v22, v55, v54, s44
	v_perm_b32 v23, v57, v56, s44
	v_cvt_pk_f32_fp8_e32 v[54:55], v5
	v_cvt_pk_f32_fp8_sdwa v[56:57], v5 src0_sel:WORD_1
	v_mfma_f32_16x16x16_bf16 v[2:5], v[24:25], v[28:29], v[14:17]
	v_cvt_pk_f32_fp8_e32 v[24:25], v32
	v_or_b32_e32 v62, 0x400, v62
	s_nop 0
	v_perm_b32 v14, v55, v54, s44
	v_perm_b32 v15, v57, v56, s44
	v_mfma_f32_16x16x16_bf16 v[2:5], v[22:23], v[18:19], v[2:5]
	v_cvt_pk_f32_fp8_e32 v[16:17], v30
	v_cvt_pk_f32_fp8_sdwa v[22:23], v30 src0_sel:WORD_1
	v_perm_b32 v16, v17, v16, s44
	v_mfma_f32_16x16x16_bf16 v[2:5], v[14:15], v[20:21], v[2:5]
	v_cvt_pk_f32_fp8_e32 v[14:15], v31
	v_perm_b32 v17, v23, v22, s44
	v_cvt_pk_f32_fp8_sdwa v[22:23], v31 src0_sel:WORD_1
	v_cvt_pk_f32_fp8_sdwa v[30:31], v32 src0_sel:WORD_1
	v_perm_b32 v14, v15, v14, s44
	v_mfma_f32_16x16x16_bf16 v[2:5], v[16:17], v[10:11], v[2:5]
	v_perm_b32 v15, v23, v22, s44
	v_perm_b32 v16, v25, v24, s44
	;; [unrolled: 1-line block ×3, first 2 shown]
	v_cvt_pk_f32_fp8_e32 v[22:23], v33
	v_cvt_pk_f32_fp8_sdwa v[24:25], v33 src0_sel:WORD_1
	v_mfma_f32_16x16x16_bf16 v[2:5], v[14:15], v[12:13], v[2:5]
	v_perm_b32 v14, v23, v22, s44
	v_perm_b32 v15, v25, v24, s44
	v_mfma_f32_16x16x16_bf16 v[2:5], v[16:17], v[6:7], v[2:5]
	v_cvt_pk_f32_fp8_e32 v[16:17], v46
	v_cvt_pk_f32_fp8_sdwa v[22:23], v46 src0_sel:WORD_1
	v_cvt_pk_f32_fp8_sdwa v[24:25], v48 src0_sel:WORD_1
	v_mfma_f32_16x16x16_bf16 v[54:57], v[14:15], v[8:9], v[2:5]
	v_cvt_pk_f32_fp8_sdwa v[14:15], v47 src0_sel:WORD_1
	s_nop 1
	v_perm_b32 v2, v17, v16, s44
	v_perm_b32 v3, v23, v22, s44
	v_cvt_pk_f32_fp8_e32 v[4:5], v47
	v_perm_b32 v23, v15, v14, s44
	v_cvt_pk_f32_fp8_e32 v[14:15], v48
	v_cvt_pk_f32_fp8_sdwa v[48:49], v49 src0_sel:WORD_1
	v_perm_b32 v22, v5, v4, s44
	v_mfma_f32_16x16x16_bf16 v[2:5], v[2:3], v[26:27], 0
	v_perm_b32 v14, v15, v14, s44
	v_perm_b32 v15, v25, v24, s44
	s_waitcnt vmcnt(3)
	v_mad_i64_i32 v[16:17], s[6:7], v69, s45, v[70:71]
	v_mfma_f32_16x16x16_bf16 v[2:5], v[22:23], v[28:29], v[2:5]
	s_waitcnt vmcnt(2)
	v_mad_i64_i32 v[46:47], s[6:7], v68, s45, v[70:71]
	global_load_dwordx4 v[30:33], v[16:17], off
	global_load_dwordx4 v[22:25], v[46:47], off
	v_perm_b32 v16, v73, v72, s44
	v_perm_b32 v17, v49, v48, s44
	v_mfma_f32_16x16x16_bf16 v[2:5], v[14:15], v[18:19], v[2:5]
	v_cvt_pk_f32_fp8_e32 v[14:15], v42
	v_cvt_pk_f32_fp8_sdwa v[46:47], v42 src0_sel:WORD_1
	s_waitcnt vmcnt(3)
	v_mad_i64_i32 v[72:73], s[6:7], v67, s45, v[70:71]
	v_mfma_f32_16x16x16_bf16 v[2:5], v[16:17], v[20:21], v[2:5]
	v_perm_b32 v14, v15, v14, s44
	v_perm_b32 v15, v47, v46, s44
	v_cvt_pk_f32_fp8_e32 v[16:17], v43
	v_cvt_pk_f32_fp8_sdwa v[42:43], v43 src0_sel:WORD_1
	v_mfma_f32_16x16x16_bf16 v[46:49], v[14:15], v[10:11], v[2:5]
	v_perm_b32 v74, v17, v16, s44
	v_perm_b32 v75, v43, v42, s44
	v_cvt_pk_f32_fp8_e32 v[42:43], v44
	s_waitcnt vmcnt(2)
	v_mad_i64_i32 v[70:71], s[6:7], v66, s45, v[70:71]
	global_load_dwordx4 v[14:17], v[72:73], off
	global_load_dwordx4 v[2:5], v[70:71], off
	v_perm_b32 v70, v43, v42, s44
	v_perm_b32 v71, v77, v76, s44
	v_cvt_pk_f32_fp8_e32 v[72:73], v45
	v_cvt_pk_f32_fp8_sdwa v[76:77], v45 src0_sel:WORD_1
	v_mfma_f32_16x16x16_bf16 v[44:47], v[74:75], v[12:13], v[46:49]
	v_lshl_add_u64 v[42:43], s[4:5], 0, v[62:63]
	v_cvt_pk_f32_fp8_e32 v[62:63], v38
	s_load_dword s4, s[40:41], 0x0
	v_perm_b32 v48, v73, v72, s44
	v_perm_b32 v49, v77, v76, s44
	v_mfma_f32_16x16x16_bf16 v[44:47], v[70:71], v[6:7], v[44:47]
	v_cvt_pk_f32_fp8_sdwa v[70:71], v38 src0_sel:WORD_1
	v_perm_b32 v62, v63, v62, s44
	v_cvt_pk_f32_fp8_e32 v[74:75], v40
	v_mfma_f32_16x16x16_bf16 v[46:49], v[48:49], v[8:9], v[44:47]
	v_perm_b32 v63, v71, v70, s44
	v_cvt_pk_f32_fp8_sdwa v[76:77], v40 src0_sel:WORD_1
	s_mov_b32 s40, 0xff7fffff
	v_cvt_pk_f32_fp8_e32 v[44:45], v39
	v_cvt_pk_f32_fp8_sdwa v[38:39], v39 src0_sel:WORD_1
	v_mfma_f32_16x16x16_bf16 v[70:73], v[62:63], v[26:27], 0
	v_cvt_pk_f32_fp8_e32 v[62:63], v41
	v_perm_b32 v44, v45, v44, s44
	v_perm_b32 v45, v39, v38, s44
	;; [unrolled: 1-line block ×4, first 2 shown]
	v_cvt_pk_f32_fp8_sdwa v[40:41], v41 src0_sel:WORD_1
	v_mov_b32_e32 v26, s8
	s_waitcnt lgkmcnt(0)
	v_mul_f32_e32 v74, s4, v26
	v_mfma_f32_16x16x16_bf16 v[26:29], v[44:45], v[28:29], v[70:73]
	v_pk_mul_f32 v[44:45], v[74:75], v[52:53] op_sel_hi:[0,1]
	v_perm_b32 v52, v63, v62, s44
	v_perm_b32 v53, v41, v40, s44
	v_mfma_f32_16x16x16_bf16 v[26:29], v[38:39], v[18:19], v[26:29]
	v_cvt_pk_f32_fp8_e32 v[18:19], v34
	v_cvt_pk_f32_fp8_sdwa v[38:39], v34 src0_sel:WORD_1
	v_pk_mul_f32 v[50:51], v[74:75], v[50:51] op_sel_hi:[0,1]
	v_mfma_f32_16x16x16_bf16 v[26:29], v[52:53], v[20:21], v[26:29]
	v_perm_b32 v20, v19, v18, s44
	v_perm_b32 v21, v39, v38, s44
	v_cvt_pk_f32_fp8_e32 v[38:39], v35
	v_cvt_pk_f32_fp8_sdwa v[34:35], v35 src0_sel:WORD_1
	v_mfma_f32_16x16x16_bf16 v[26:29], v[20:21], v[10:11], v[26:29]
	v_perm_b32 v38, v39, v38, s44
	v_perm_b32 v39, v35, v34, s44
	v_cvt_pk_f32_fp8_e32 v[10:11], v36
	v_cvt_pk_f32_fp8_sdwa v[20:21], v36 src0_sel:WORD_1
	v_pk_mul_f32 v[52:53], v[74:75], v[54:55] op_sel_hi:[0,1]
	v_pk_mul_f32 v[34:35], v[74:75], v[56:57] op_sel_hi:[0,1]
	v_perm_b32 v40, v11, v10, s44
	v_perm_b32 v41, v21, v20, s44
	v_cvt_pk_f32_fp8_e32 v[20:21], v37
	v_cvt_pk_f32_fp8_sdwa v[36:37], v37 src0_sel:WORD_1
	v_mfma_f32_16x16x16_bf16 v[10:13], v[38:39], v[12:13], v[26:29]
	v_pk_mul_f32 v[46:47], v[74:75], v[46:47] op_sel_hi:[0,1]
	v_perm_b32 v20, v21, v20, s44
	v_perm_b32 v21, v37, v36, s44
	v_mfma_f32_16x16x16_bf16 v[10:13], v[40:41], v[6:7], v[10:13]
	v_pk_mul_f32 v[40:41], v[74:75], v[48:49] op_sel_hi:[0,1]
	v_mad_i64_i32 v[18:19], s[4:5], v69, s45, v[42:43]
	v_mfma_f32_16x16x16_bf16 v[6:9], v[20:21], v[8:9], v[10:13]
	v_mad_i64_i32 v[62:63], s[4:5], v68, s45, v[42:43]
	global_load_dwordx4 v[26:29], v[18:19], off
	s_nop 0
	global_load_dwordx4 v[18:21], v[62:63], off
	s_nop 2
	v_pk_mul_f32 v[48:49], v[74:75], v[6:7] op_sel_hi:[0,1]
	v_and_b32_e32 v6, 0xc0, v0
	v_add_u32_e32 v6, s18, v6
	v_lshl_or_b32 v6, v64, 2, v6
	v_pk_mul_f32 v[38:39], v[74:75], v[8:9] op_sel_hi:[0,1]
	v_or_b32_e32 v9, 1, v6
	v_mov_b32_e32 v7, 0xff7fffff
	v_cmp_gt_i32_e64 s[26:27], s33, v6
	v_cmp_gt_i32_e64 s[28:29], s33, v9
	v_or_b32_e32 v10, 3, v6
	v_cndmask_b32_e64 v8, v7, v50, s[26:27]
	v_cndmask_b32_e64 v9, v7, v51, s[28:29]
	v_max3_f32 v8, v8, s40, v9
	v_or_b32_e32 v9, 2, v6
	v_cmp_gt_i32_e64 s[30:31], s33, v9
	v_cmp_gt_i32_e64 s[34:35], s33, v10
	s_nop 0
	v_cndmask_b32_e64 v9, v7, v44, s[30:31]
	v_cndmask_b32_e64 v10, v7, v45, s[34:35]
	v_max3_f32 v8, v8, v9, v10
	v_or_b32_e32 v9, 16, v6
	v_or_b32_e32 v10, 17, v6
	v_cmp_gt_i32_e64 s[18:19], s33, v9
	v_cmp_gt_i32_e64 s[20:21], s33, v10
	s_nop 0
	v_cndmask_b32_e64 v9, v7, v52, s[18:19]
	v_cndmask_b32_e64 v10, v7, v53, s[20:21]
	v_max3_f32 v8, v8, v9, v10
	v_or_b32_e32 v9, 18, v6
	;; [unrolled: 8-line block ×5, first 2 shown]
	v_or_b32_e32 v10, 49, v6
	v_cmp_gt_i32_e32 vcc, s33, v9
	v_cmp_gt_i32_e64 s[4:5], s33, v10
	s_nop 0
	v_cndmask_b32_e32 v9, v7, v48, vcc
	v_cndmask_b32_e64 v10, v7, v49, s[4:5]
	v_max3_f32 v8, v8, v9, v10
	v_or_b32_e32 v9, 50, v6
	v_or_b32_e32 v6, 51, v6
	v_cmp_gt_i32_e64 s[6:7], s33, v9
	v_cmp_gt_i32_e64 s[8:9], s33, v6
	s_nop 0
	v_cndmask_b32_e64 v9, v7, v38, s[6:7]
	v_cndmask_b32_e64 v6, v7, v39, s[8:9]
	v_max3_f32 v8, v8, v9, v6
	v_mbcnt_lo_u32_b32 v6, -1, 0
	v_mbcnt_hi_u32_b32 v9, -1, v6
	v_and_b32_e32 v6, 64, v9
	v_add_u32_e32 v10, 64, v6
	v_xor_b32_e32 v6, 32, v9
	v_cmp_lt_i32_e64 s[38:39], v6, v10
	s_nop 1
	v_cndmask_b32_e64 v6, v9, v6, s[38:39]
	v_lshlrev_b32_e32 v55, 2, v6
	ds_bpermute_b32 v11, v55, v8
	v_mad_i64_i32 v[6:7], s[38:39], v67, s45, v[42:43]
	s_waitcnt lgkmcnt(0)
	v_max_f32_e32 v11, v11, v11
	v_max_f32_e32 v36, v8, v11
	v_xor_b32_e32 v8, 16, v9
	v_cmp_lt_i32_e64 s[38:39], v8, v10
	s_nop 1
	v_cndmask_b32_e64 v8, v9, v8, s[38:39]
	v_lshlrev_b32_e32 v56, 2, v8
	v_mad_i64_i32 v[8:9], s[38:39], v66, s45, v[42:43]
	global_load_dwordx4 v[10:13], v[6:7], off
	s_nop 0
	global_load_dwordx4 v[6:9], v[8:9], off
	ds_bpermute_b32 v37, v56, v36
	s_waitcnt lgkmcnt(0)
	s_barrier
	v_max_f32_e32 v37, v37, v37
	v_max_f32_e32 v54, v36, v37
	v_sub_f32_e32 v42, v44, v54
	v_mul_f32_e32 v42, 0x3fb8aa3b, v42
	v_exp_f32_e32 v42, v42
	v_sub_f32_e32 v43, v45, v54
	v_mul_f32_e32 v43, 0x3fb8aa3b, v43
	v_exp_f32_e32 v43, v43
	v_cndmask_b32_e64 v44, 0, v42, s[30:31]
	v_sub_f32_e32 v42, v52, v54
	v_sub_f32_e32 v34, v34, v54
	v_mul_f32_e32 v42, 0x3fb8aa3b, v42
	v_mul_f32_e32 v34, 0x3fb8aa3b, v34
	v_sub_f32_e32 v36, v50, v54
	v_exp_f32_e32 v42, v42
	v_exp_f32_e32 v50, v34
	v_cndmask_b32_e64 v45, 0, v43, s[34:35]
	v_sub_f32_e32 v43, v53, v54
	v_sub_f32_e32 v34, v35, v54
	;; [unrolled: 1-line block ×4, first 2 shown]
	v_mul_f32_e32 v43, 0x3fb8aa3b, v43
	v_mul_f32_e32 v34, 0x3fb8aa3b, v34
	;; [unrolled: 1-line block ×4, first 2 shown]
	v_sub_f32_e32 v37, v51, v54
	v_exp_f32_e32 v43, v43
	v_exp_f32_e32 v51, v34
	v_cndmask_b32_e64 v34, 0, v42, s[18:19]
	v_cndmask_b32_e64 v42, 0, v50, s[22:23]
	v_exp_f32_e32 v46, v46
	v_exp_f32_e32 v50, v40
	v_mul_f32_e32 v36, 0x3fb8aa3b, v36
	v_sub_f32_e32 v47, v47, v54
	v_sub_f32_e32 v40, v41, v54
	;; [unrolled: 1-line block ×4, first 2 shown]
	v_exp_f32_e32 v36, v36
	v_mul_f32_e32 v37, 0x3fb8aa3b, v37
	v_mul_f32_e32 v47, 0x3fb8aa3b, v47
	;; [unrolled: 1-line block ×5, first 2 shown]
	v_exp_f32_e32 v37, v37
	v_cndmask_b32_e64 v35, 0, v43, s[20:21]
	v_cndmask_b32_e64 v43, 0, v51, s[36:37]
	v_exp_f32_e32 v47, v47
	v_exp_f32_e32 v51, v40
	v_cndmask_b32_e64 v40, 0, v46, s[10:11]
	v_cndmask_b32_e64 v46, 0, v50, s[14:15]
	v_exp_f32_e32 v48, v48
	v_exp_f32_e32 v50, v38
	v_sub_f32_e32 v38, v39, v54
	v_cndmask_b32_e64 v36, 0, v36, s[26:27]
	v_mul_f32_e32 v38, 0x3fb8aa3b, v38
	v_cndmask_b32_e64 v37, 0, v37, s[28:29]
	v_cndmask_b32_e64 v41, 0, v47, s[12:13]
	;; [unrolled: 1-line block ×3, first 2 shown]
	v_exp_f32_e32 v51, v38
	v_cndmask_b32_e32 v38, 0, v48, vcc
	v_cndmask_b32_e64 v48, 0, v50, s[6:7]
	v_add_f32_e32 v50, 0, v36
	v_add_f32_e32 v50, v50, v37
	;; [unrolled: 1-line block ×6, first 2 shown]
	v_sub_f32_e32 v49, v49, v54
	v_add_f32_e32 v50, v50, v42
	v_mul_f32_e32 v49, 0x3fb8aa3b, v49
	v_add_f32_e32 v50, v50, v43
	v_exp_f32_e32 v49, v49
	v_add_f32_e32 v50, v50, v40
	v_add_f32_e32 v50, v50, v41
	v_add_f32_e32 v50, v50, v46
	v_add_f32_e32 v50, v50, v47
	v_cndmask_b32_e64 v39, 0, v49, s[4:5]
	v_add_f32_e32 v50, v50, v38
	v_add_f32_e32 v50, v50, v39
	v_cndmask_b32_e64 v49, 0, v51, s[8:9]
	v_add_f32_e32 v50, v50, v48
	v_add_f32_e32 v50, v50, v49
	ds_bpermute_b32 v51, v55, v50
	v_cmp_gt_u32_e64 s[4:5], 16, v65
	s_waitcnt lgkmcnt(0)
	v_add_f32_e32 v50, v50, v51
	ds_bpermute_b32 v51, v56, v50
	s_and_saveexec_b64 s[6:7], s[4:5]
	s_cbranch_execz .LBB1320_13
; %bb.12:
	s_waitcnt lgkmcnt(0)
	v_add_f32_e32 v50, v50, v51
	v_lshlrev_b32_e32 v51, 2, v59
	ds_write2st64_b32 v51, v54, v50 offset1:1
.LBB1320_13:
	s_or_b64 exec, exec, s[6:7]
	s_waitcnt lgkmcnt(0)
	v_lshlrev_b32_e32 v51, 2, v60
	s_load_dword s8, s[0:1], 0x94
	s_waitcnt lgkmcnt(0)
	s_barrier
	ds_read2_b32 v[52:53], v51 offset1:16
	ds_read2_b32 v[54:55], v51 offset0:32 offset1:48
	ds_read2_b32 v[56:57], v51 offset0:64 offset1:80
	s_movk_i32 s10, 0x7fff
	s_mul_i32 s9, s25, 13
	s_waitcnt lgkmcnt(2)
	v_max3_f32 v50, v52, s40, v53
	s_waitcnt lgkmcnt(1)
	v_max3_f32 v50, v50, v54, v55
	v_sub_f32_e32 v52, v52, v50
	v_mul_f32_e32 v52, 0x3fb8aa3b, v52
	v_exp_f32_e32 v59, v52
	v_sub_f32_e32 v52, v53, v50
	v_mul_f32_e32 v52, 0x3fb8aa3b, v52
	v_exp_f32_e32 v62, v52
	;; [unrolled: 3-line block ×3, first 2 shown]
	ds_read2_b32 v[52:53], v51 offset0:96 offset1:112
	v_sub_f32_e32 v51, v55, v50
	v_mul_f32_e32 v51, 0x3fb8aa3b, v51
	v_exp_f32_e32 v55, v51
	s_waitcnt lgkmcnt(1)
	v_fma_f32 v51, v59, v56, 0
	v_fmac_f32_e32 v51, v62, v57
	s_waitcnt lgkmcnt(0)
	v_fmac_f32_e32 v51, v54, v52
	v_fmac_f32_e32 v51, v55, v53
	v_add_f32_e32 v52, 0x358637bd, v51
	v_div_scale_f32 v53, s[6:7], v52, v52, 1.0
	v_rcp_f32_e32 v56, v53
	s_barrier
	v_fma_f32 v57, -v53, v56, 1.0
	v_fmac_f32_e32 v56, v57, v56
	v_div_scale_f32 v57, vcc, 1.0, v52, 1.0
	v_mul_f32_e32 v63, v57, v56
	v_fma_f32 v65, -v53, v63, v57
	v_fmac_f32_e32 v63, v65, v56
	v_fma_f32 v53, -v53, v63, v57
	v_div_fmas_f32 v53, v53, v56, v63
	v_cmp_eq_u32_e32 vcc, 1, v61
	v_div_fixup_f32 v52, v53, v52, 1.0
	s_nop 0
	v_cndmask_b32_e32 v53, v59, v62, vcc
	v_cmp_eq_u32_e32 vcc, 2, v61
	s_nop 1
	v_cndmask_b32_e32 v53, v53, v54, vcc
	v_cmp_eq_u32_e32 vcc, 3, v61
	s_nop 1
	v_cndmask_b32_e32 v53, v53, v55, vcc
	v_mul_f32_e32 v52, v53, v52
	v_pk_mul_f32 v[36:37], v[52:53], v[36:37] op_sel_hi:[0,1]
	v_pk_mul_f32 v[44:45], v[52:53], v[44:45] op_sel_hi:[0,1]
	v_bfe_u32 v53, v37, 16, 1
	v_bfe_u32 v54, v36, 16, 1
	v_add3_u32 v36, v36, v54, s10
	v_add3_u32 v37, v37, v53, s10
	v_perm_b32 v56, v37, v36, s44
	v_bfe_u32 v36, v45, 16, 1
	v_bfe_u32 v37, v44, 16, 1
	v_add3_u32 v37, v44, v37, s10
	v_add3_u32 v36, v45, v36, s10
	v_perm_b32 v57, v36, v37, s44
	v_lshlrev_b32_e32 v37, 3, v64
	v_lshlrev_b32_e32 v36, 5, v60
	;; [unrolled: 1-line block ×3, first 2 shown]
	v_pk_mul_f32 v[34:35], v[52:53], v[34:35] op_sel_hi:[0,1]
	v_or3_b32 v54, v44, v36, v37
	v_bfe_u32 v37, v35, 16, 1
	v_bfe_u32 v44, v34, 16, 1
	v_pk_mul_f32 v[42:43], v[52:53], v[42:43] op_sel_hi:[0,1]
	v_add3_u32 v34, v34, v44, s10
	v_add3_u32 v35, v35, v37, s10
	v_perm_b32 v34, v35, v34, s44
	v_bfe_u32 v35, v43, 16, 1
	v_bfe_u32 v37, v42, 16, 1
	v_add3_u32 v37, v42, v37, s10
	v_add3_u32 v35, v43, v35, s10
	v_pk_mul_f32 v[40:41], v[52:53], v[40:41] op_sel_hi:[0,1]
	v_perm_b32 v35, v35, v37, s44
	v_bfe_u32 v37, v41, 16, 1
	v_bfe_u32 v42, v40, 16, 1
	ds_write2st64_b64 v54, v[56:57], v[34:35] offset1:1
	v_pk_mul_f32 v[34:35], v[52:53], v[46:47] op_sel_hi:[0,1]
	v_add3_u32 v40, v40, v42, s10
	v_add3_u32 v37, v41, v37, s10
	v_perm_b32 v40, v37, v40, s44
	v_bfe_u32 v37, v35, 16, 1
	v_bfe_u32 v41, v34, 16, 1
	v_pk_mul_f32 v[38:39], v[52:53], v[38:39] op_sel_hi:[0,1]
	v_add3_u32 v34, v34, v41, s10
	v_add3_u32 v35, v35, v37, s10
	v_bfe_u32 v37, v39, 16, 1
	v_bfe_u32 v42, v38, 16, 1
	v_perm_b32 v41, v35, v34, s44
	v_pk_mul_f32 v[34:35], v[52:53], v[48:49] op_sel_hi:[0,1]
	v_add3_u32 v38, v38, v42, s10
	v_add3_u32 v37, v39, v37, s10
	v_perm_b32 v38, v37, v38, s44
	v_bfe_u32 v37, v35, 16, 1
	v_bfe_u32 v39, v34, 16, 1
	v_add3_u32 v34, v34, v39, s10
	v_add3_u32 v35, v35, v37, s10
	v_perm_b32 v39, v35, v34, s44
	v_cmp_gt_u32_e32 vcc, 13, v0
	ds_write2st64_b64 v54, v[40:41], v[38:39] offset0:2 offset1:3
	s_and_saveexec_b64 s[6:7], vcc
	s_cbranch_execz .LBB1320_15
; %bb.14:
	s_mov_b32 s49, 0
	v_mov_b32_e32 v61, 0
	v_lshl_add_u64 v[34:35], s[48:49], 0, v[60:61]
	v_mov_b32_e32 v37, s9
	v_mad_u64_u32 v[34:35], s[16:17], s2, v37, v[34:35]
	s_mul_i32 s3, s3, s9
	v_mov_b32_e32 v38, s24
	v_mov_b32_e32 v39, v61
	s_load_dwordx4 s[12:15], s[0:1], 0x58
	v_add_u32_e32 v37, s3, v35
	v_mad_u64_u32 v[34:35], s[16:17], v34, s8, v[38:39]
	v_mov_b32_e32 v38, v35
	v_mad_u64_u32 v[38:39], s[16:17], v37, s8, v[38:39]
	v_mov_b32_e32 v35, v38
	v_lshlrev_b64 v[34:35], 2, v[34:35]
	s_waitcnt lgkmcnt(0)
	v_lshl_add_u64 v[38:39], s[14:15], 0, v[34:35]
	v_lshl_add_u64 v[34:35], s[12:13], 0, v[34:35]
	global_store_dword v[38:39], v50, off
	global_store_dword v[34:35], v51, off
.LBB1320_15:
	s_or_b64 exec, exec, s[6:7]
	v_lshl_or_b32 v50, v64, 9, v36
	s_waitcnt vmcnt(7)
	v_cvt_pk_f32_fp8_e32 v[34:35], v30
	v_cvt_pk_f32_fp8_sdwa v[36:37], v30 src0_sel:WORD_1
	s_mov_b32 s7, 0x7060302
	s_waitcnt lgkmcnt(0)
	s_barrier
	v_cvt_pk_f32_fp8_e32 v[38:39], v31
	v_perm_b32 v30, v35, v34, s7
	v_cvt_pk_f32_fp8_sdwa v[40:41], v31 src0_sel:WORD_1
	v_perm_b32 v31, v37, v36, s7
	ds_read_b128 v[34:37], v50
	v_perm_b32 v46, v39, v38, s7
	v_perm_b32 v47, v41, v40, s7
	ds_read_b128 v[38:41], v50 offset:16
	v_cvt_pk_f32_fp8_e32 v[48:49], v32
	v_cvt_pk_f32_fp8_sdwa v[52:53], v32 src0_sel:WORD_1
	s_waitcnt lgkmcnt(1)
	v_mfma_f32_16x16x16_bf16 v[42:45], v[30:31], v[34:35], 0
	s_waitcnt vmcnt(6)
	v_cvt_pk_f32_fp8_e32 v[56:57], v24
	v_perm_b32 v30, v49, v48, s7
	v_perm_b32 v31, v53, v52, s7
	v_cvt_pk_f32_fp8_e32 v[48:49], v33
	v_mfma_f32_16x16x16_bf16 v[42:45], v[46:47], v[36:37], v[42:45]
	v_cvt_pk_f32_fp8_sdwa v[46:47], v33 src0_sel:WORD_1
	v_cvt_pk_f32_fp8_sdwa v[62:63], v24 src0_sel:WORD_1
	v_perm_b32 v48, v49, v48, s7
	s_waitcnt lgkmcnt(0)
	v_mfma_f32_16x16x16_bf16 v[30:33], v[30:31], v[38:39], v[42:45]
	v_perm_b32 v49, v47, v46, s7
	s_waitcnt vmcnt(4)
	v_cvt_pk_f32_fp8_sdwa v[70:71], v4 src0_sel:WORD_1
	s_load_dword s6, s[42:43], 0x0
	v_cvt_pk_f32_fp8_e32 v[42:43], v22
	v_mfma_f32_16x16x16_bf16 v[46:49], v[48:49], v[40:41], v[30:33]
	s_waitcnt vmcnt(3)
	v_cvt_pk_f32_fp8_sdwa v[72:73], v28 src0_sel:WORD_1
	s_mov_b32 s3, 0
	v_cvt_pk_f32_fp8_sdwa v[30:31], v22 src0_sel:WORD_1
	v_cvt_pk_f32_fp8_e32 v[32:33], v23
	v_perm_b32 v22, v43, v42, s7
	v_cvt_pk_f32_fp8_sdwa v[42:43], v23 src0_sel:WORD_1
	v_perm_b32 v23, v31, v30, s7
	v_perm_b32 v52, v33, v32, s7
	ds_read_b128 v[30:33], v50 offset:2048
	v_perm_b32 v53, v43, v42, s7
	ds_read_b128 v[42:45], v50 offset:2064
	s_waitcnt lgkmcnt(0)
	v_mfma_f32_16x16x16_bf16 v[46:49], v[22:23], v[30:31], v[46:49]
	v_perm_b32 v22, v57, v56, s7
	v_perm_b32 v23, v63, v62, s7
	v_cvt_pk_f32_fp8_e32 v[56:57], v25
	v_mfma_f32_16x16x16_bf16 v[46:49], v[52:53], v[32:33], v[46:49]
	v_cvt_pk_f32_fp8_sdwa v[52:53], v25 src0_sel:WORD_1
	v_cvt_pk_f32_fp8_sdwa v[62:63], v16 src0_sel:WORD_1
	v_perm_b32 v56, v57, v56, s7
	v_mfma_f32_16x16x16_bf16 v[22:25], v[22:23], v[42:43], v[46:49]
	v_perm_b32 v57, v53, v52, s7
	v_cmp_gt_u32_e32 vcc, 64, v0
	s_nop 0
	v_cvt_pk_f32_fp8_e32 v[46:47], v14
	v_mfma_f32_16x16x16_bf16 v[66:69], v[56:57], v[44:45], v[22:25]
	v_cvt_pk_f32_fp8_e32 v[56:57], v16
	s_nop 1
	v_cvt_pk_f32_fp8_sdwa v[22:23], v14 src0_sel:WORD_1
	v_cvt_pk_f32_fp8_e32 v[24:25], v15
	v_perm_b32 v14, v47, v46, s7
	v_cvt_pk_f32_fp8_sdwa v[46:47], v15 src0_sel:WORD_1
	v_perm_b32 v15, v23, v22, s7
	v_perm_b32 v52, v25, v24, s7
	ds_read_b128 v[22:25], v50 offset:4096
	v_perm_b32 v53, v47, v46, s7
	ds_read_b128 v[46:49], v50 offset:4112
	s_waitcnt lgkmcnt(1)
	v_mfma_f32_16x16x16_bf16 v[66:69], v[14:15], v[22:23], v[66:69]
	v_perm_b32 v14, v57, v56, s7
	v_perm_b32 v15, v63, v62, s7
	v_cvt_pk_f32_fp8_e32 v[56:57], v17
	v_mfma_f32_16x16x16_bf16 v[66:69], v[52:53], v[24:25], v[66:69]
	v_cvt_pk_f32_fp8_sdwa v[52:53], v17 src0_sel:WORD_1
	v_cvt_pk_f32_fp8_e32 v[62:63], v4
	v_perm_b32 v56, v57, v56, s7
	s_waitcnt lgkmcnt(0)
	v_mfma_f32_16x16x16_bf16 v[14:17], v[14:15], v[46:47], v[66:69]
	v_perm_b32 v57, v53, v52, s7
	v_cvt_pk_f32_fp8_e32 v[52:53], v2
	s_nop 0
	v_mfma_f32_16x16x16_bf16 v[66:69], v[56:57], v[48:49], v[14:17]
	s_nop 2
	v_cvt_pk_f32_fp8_sdwa v[14:15], v2 src0_sel:WORD_1
	v_cvt_pk_f32_fp8_e32 v[16:17], v3
	v_perm_b32 v2, v53, v52, s7
	v_cvt_pk_f32_fp8_sdwa v[52:53], v3 src0_sel:WORD_1
	v_perm_b32 v3, v15, v14, s7
	v_perm_b32 v56, v17, v16, s7
	ds_read_b128 v[14:17], v50 offset:6144
	v_perm_b32 v57, v53, v52, s7
	s_waitcnt lgkmcnt(0)
	v_mfma_f32_16x16x16_bf16 v[66:69], v[2:3], v[14:15], v[66:69]
	ds_read_b128 v[50:53], v50 offset:6160
	v_perm_b32 v2, v63, v62, s7
	v_perm_b32 v3, v71, v70, s7
	v_cvt_pk_f32_fp8_e32 v[62:63], v5
	v_mfma_f32_16x16x16_bf16 v[66:69], v[56:57], v[16:17], v[66:69]
	v_cvt_pk_f32_fp8_sdwa v[56:57], v5 src0_sel:WORD_1
	v_cvt_pk_f32_fp8_e32 v[70:71], v28
	v_perm_b32 v62, v63, v62, s7
	s_waitcnt lgkmcnt(0)
	v_mfma_f32_16x16x16_bf16 v[2:5], v[2:3], v[50:51], v[66:69]
	v_perm_b32 v63, v57, v56, s7
	v_cvt_pk_f32_fp8_sdwa v[56:57], v26 src0_sel:WORD_1
	s_nop 0
	v_mfma_f32_16x16x16_bf16 v[66:69], v[62:63], v[52:53], v[2:5]
	s_barrier
	s_nop 1
	v_cvt_pk_f32_fp8_e32 v[4:5], v26
	s_nop 2
	v_pk_mul_f32 v[62:63], v[66:67], s[6:7] op_sel_hi:[1,0]
	v_cvt_pk_f32_fp8_e32 v[66:67], v27
	v_perm_b32 v4, v5, v4, s7
	v_perm_b32 v5, v57, v56, s7
	v_cvt_pk_f32_fp8_sdwa v[26:27], v27 src0_sel:WORD_1
	v_perm_b32 v56, v67, v66, s7
	v_pk_mul_f32 v[2:3], v[68:69], s[6:7] op_sel_hi:[1,0]
	v_mfma_f32_16x16x16_bf16 v[66:69], v[4:5], v[34:35], 0
	v_perm_b32 v57, v27, v26, s7
	v_perm_b32 v4, v71, v70, s7
	;; [unrolled: 1-line block ×3, first 2 shown]
	v_cvt_pk_f32_fp8_e32 v[34:35], v29
	v_cvt_pk_f32_fp8_sdwa v[70:71], v29 src0_sel:WORD_1
	v_mfma_f32_16x16x16_bf16 v[26:29], v[56:57], v[36:37], v[66:69]
	s_waitcnt vmcnt(2)
	v_cvt_pk_f32_fp8_sdwa v[36:37], v18 src0_sel:WORD_1
	v_perm_b32 v34, v35, v34, s7
	v_perm_b32 v35, v71, v70, s7
	v_mfma_f32_16x16x16_bf16 v[26:29], v[4:5], v[38:39], v[26:29]
	v_cvt_pk_f32_fp8_e32 v[4:5], v18
	v_cvt_pk_f32_fp8_sdwa v[38:39], v20 src0_sel:WORD_1
	v_bfe_u32 v55, v63, 16, 1
	v_mfma_f32_16x16x16_bf16 v[26:29], v[34:35], v[40:41], v[26:29]
	v_cvt_pk_f32_fp8_e32 v[34:35], v19
	v_perm_b32 v4, v5, v4, s7
	v_perm_b32 v5, v37, v36, s7
	v_cvt_pk_f32_fp8_sdwa v[18:19], v19 src0_sel:WORD_1
	v_perm_b32 v34, v35, v34, s7
	v_cvt_pk_f32_fp8_e32 v[36:37], v20
	v_mfma_f32_16x16x16_bf16 v[26:29], v[4:5], v[30:31], v[26:29]
	v_perm_b32 v35, v19, v18, s7
	v_perm_b32 v4, v37, v36, s7
	v_perm_b32 v5, v39, v38, s7
	v_cvt_pk_f32_fp8_e32 v[30:31], v21
	v_cvt_pk_f32_fp8_sdwa v[36:37], v21 src0_sel:WORD_1
	v_mfma_f32_16x16x16_bf16 v[18:21], v[34:35], v[32:33], v[26:29]
	v_bfe_u32 v56, v62, 16, 1
	v_add3_u32 v32, v62, v56, s10
	v_add3_u32 v33, v63, v55, s10
	v_perm_b32 v26, v31, v30, s7
	v_perm_b32 v27, v37, v36, s7
	v_mfma_f32_16x16x16_bf16 v[18:21], v[4:5], v[42:43], v[18:21]
	s_waitcnt vmcnt(1)
	v_cvt_pk_f32_fp8_e32 v[4:5], v10
	v_cvt_pk_f32_fp8_sdwa v[28:29], v10 src0_sel:WORD_1
	v_cvt_pk_f32_fp8_sdwa v[30:31], v12 src0_sel:WORD_1
	v_mfma_f32_16x16x16_bf16 v[18:21], v[26:27], v[44:45], v[18:21]
	v_cvt_pk_f32_fp8_e32 v[26:27], v11
	v_perm_b32 v4, v5, v4, s7
	v_perm_b32 v5, v29, v28, s7
	v_cvt_pk_f32_fp8_sdwa v[10:11], v11 src0_sel:WORD_1
	v_perm_b32 v26, v27, v26, s7
	v_cvt_pk_f32_fp8_e32 v[28:29], v12
	v_mfma_f32_16x16x16_bf16 v[18:21], v[4:5], v[22:23], v[18:21]
	v_perm_b32 v27, v11, v10, s7
	v_perm_b32 v4, v29, v28, s7
	;; [unrolled: 1-line block ×3, first 2 shown]
	v_cvt_pk_f32_fp8_e32 v[22:23], v13
	v_cvt_pk_f32_fp8_sdwa v[28:29], v13 src0_sel:WORD_1
	v_mfma_f32_16x16x16_bf16 v[10:13], v[26:27], v[24:25], v[18:21]
	s_waitcnt vmcnt(0)
	v_cvt_pk_f32_fp8_sdwa v[24:25], v8 src0_sel:WORD_1
	s_nop 0
	v_perm_b32 v20, v23, v22, s7
	v_perm_b32 v21, v29, v28, s7
	v_mfma_f32_16x16x16_bf16 v[10:13], v[4:5], v[46:47], v[10:13]
	v_cvt_pk_f32_fp8_e32 v[4:5], v6
	v_cvt_pk_f32_fp8_sdwa v[22:23], v6 src0_sel:WORD_1
	v_bfe_u32 v19, v3, 16, 1
	v_mfma_f32_16x16x16_bf16 v[10:13], v[20:21], v[48:49], v[10:13]
	v_cvt_pk_f32_fp8_e32 v[20:21], v7
	v_perm_b32 v4, v5, v4, s7
	v_perm_b32 v5, v23, v22, s7
	v_cvt_pk_f32_fp8_sdwa v[6:7], v7 src0_sel:WORD_1
	v_perm_b32 v20, v21, v20, s7
	v_cvt_pk_f32_fp8_e32 v[22:23], v8
	v_add3_u32 v3, v3, v19, s10
	v_perm_b32 v21, v7, v6, s7
	v_mfma_f32_16x16x16_bf16 v[4:7], v[4:5], v[14:15], v[10:13]
	v_bfe_u32 v14, v2, 16, 1
	v_add3_u32 v2, v2, v14, s10
	v_perm_b32 v19, v3, v2, s7
	v_perm_b32 v10, v23, v22, s7
	;; [unrolled: 1-line block ×3, first 2 shown]
	v_cvt_pk_f32_fp8_e32 v[12:13], v9
	v_cvt_pk_f32_fp8_sdwa v[8:9], v9 src0_sel:WORD_1
	v_mfma_f32_16x16x16_bf16 v[4:7], v[20:21], v[16:17], v[4:7]
	v_perm_b32 v18, v33, v32, s7
	v_perm_b32 v12, v13, v12, s7
	;; [unrolled: 1-line block ×3, first 2 shown]
	v_mfma_f32_16x16x16_bf16 v[4:7], v[10:11], v[50:51], v[4:7]
	s_nop 0
	v_mfma_f32_16x16x16_bf16 v[2:5], v[12:13], v[52:53], v[4:7]
	s_nop 6
	v_pk_mul_f32 v[2:3], v[2:3], s[6:7] op_sel_hi:[1,0]
	v_pk_mul_f32 v[4:5], v[4:5], s[6:7] op_sel_hi:[1,0]
	v_bfe_u32 v6, v3, 16, 1
	v_bfe_u32 v7, v2, 16, 1
	v_add3_u32 v2, v2, v7, s10
	v_add3_u32 v3, v3, v6, s10
	v_perm_b32 v2, v3, v2, s7
	v_bfe_u32 v3, v5, 16, 1
	v_bfe_u32 v6, v4, 16, 1
	v_add3_u32 v4, v4, v6, s10
	v_add3_u32 v3, v5, v3, s10
	v_perm_b32 v3, v3, v4, s7
	ds_write2st64_b64 v54, v[18:19], v[2:3] offset1:1
	s_waitcnt lgkmcnt(0)
	s_barrier
	s_and_saveexec_b64 s[6:7], vcc
	s_cbranch_execz .LBB1320_18
; %bb.16:
	s_load_dwordx2 s[6:7], s[0:1], 0x68
	s_lshl_b32 s0, s8, 7
	s_mul_i32 s1, s9, s2
	v_lshlrev_b32_e32 v3, 6, v60
	s_mul_hi_u32 s9, s1, s0
	s_mul_i32 s8, s1, s0
	v_lshl_or_b32 v0, v0, 10, v3
	s_lshl_b64 s[8:9], s[8:9], 1
	v_lshlrev_b32_e32 v2, 5, v64
	v_and_b32_e32 v1, 16, v1
	v_and_b32_e32 v0, 0x1a00, v0
	s_waitcnt lgkmcnt(0)
	s_add_u32 s1, s6, s8
	v_or3_b32 v2, v0, v2, v1
	s_addc_u32 s6, s7, s9
	s_lshl_b32 s2, s24, 7
	ds_read_b128 v[4:7], v2 offset:256
	s_lshl_b64 s[2:3], s[2:3], 1
	ds_read_b128 v[8:11], v2 offset:128
	ds_read_b128 v[12:15], v2
	s_add_u32 s2, s1, s2
	s_addc_u32 s3, s6, s3
	v_mov_b32_e32 v59, 0
	v_add_u32_e32 v3, s48, v64
	v_lshl_add_u64 v[0:1], s[2:3], 0, v[58:59]
	v_mad_u64_u32 v[16:17], s[2:3], v3, s0, 0
	v_lshl_add_u64 v[16:17], v[16:17], 1, v[0:1]
	s_waitcnt lgkmcnt(0)
	global_store_dwordx4 v[16:17], v[12:15], off
	s_nop 1
	v_add_u32_e32 v12, 4, v3
	v_mad_u64_u32 v[12:13], s[2:3], v12, s0, 0
	v_lshl_add_u64 v[12:13], v[12:13], 1, v[0:1]
	v_add_u32_e32 v3, 8, v3
	global_store_dwordx4 v[12:13], v[8:11], off
	s_nop 1
	v_mad_u64_u32 v[8:9], s[2:3], v3, s0, 0
	v_lshl_add_u64 v[8:9], v[8:9], 1, v[0:1]
	global_store_dwordx4 v[8:9], v[4:7], off
	s_and_b64 exec, exec, s[4:5]
	s_cbranch_execz .LBB1320_18
; %bb.17:
	ds_read_b128 v[2:5], v2 offset:384
	v_add3_u32 v6, s48, v64, 12
	v_mad_u64_u32 v[6:7], s[0:1], v6, s0, 0
	v_lshl_add_u64 v[0:1], v[6:7], 1, v[0:1]
	s_waitcnt lgkmcnt(0)
	global_store_dwordx4 v[0:1], v[2:5], off
.LBB1320_18:
	s_endpgm
	.section	.rodata,"a",@progbits
	.p2align	6, 0x0
	.amdhsa_kernel _Z39paged_attention_ll4mi_QKV_mfma16_kernelI14__hip_bfloat16hLN4vllm18Fp8KVCacheDataTypeE1ES0_Li16ELi128ELi256ELb0ELi13EEvPKT_PKT0_S8_ifPKiSA_SA_iPKfiiiPfSD_PS3_PT2_iSC_SC_
		.amdhsa_group_segment_fixed_size 8192
		.amdhsa_private_segment_fixed_size 0
		.amdhsa_kernarg_size 400
		.amdhsa_user_sgpr_count 2
		.amdhsa_user_sgpr_dispatch_ptr 0
		.amdhsa_user_sgpr_queue_ptr 0
		.amdhsa_user_sgpr_kernarg_segment_ptr 1
		.amdhsa_user_sgpr_dispatch_id 0
		.amdhsa_user_sgpr_kernarg_preload_length 0
		.amdhsa_user_sgpr_kernarg_preload_offset 0
		.amdhsa_user_sgpr_private_segment_size 0
		.amdhsa_uses_dynamic_stack 0
		.amdhsa_enable_private_segment 0
		.amdhsa_system_sgpr_workgroup_id_x 1
		.amdhsa_system_sgpr_workgroup_id_y 1
		.amdhsa_system_sgpr_workgroup_id_z 1
		.amdhsa_system_sgpr_workgroup_info 0
		.amdhsa_system_vgpr_workitem_id 0
		.amdhsa_next_free_vgpr 86
		.amdhsa_next_free_sgpr 50
		.amdhsa_accum_offset 88
		.amdhsa_reserve_vcc 1
		.amdhsa_float_round_mode_32 0
		.amdhsa_float_round_mode_16_64 0
		.amdhsa_float_denorm_mode_32 3
		.amdhsa_float_denorm_mode_16_64 3
		.amdhsa_dx10_clamp 1
		.amdhsa_ieee_mode 1
		.amdhsa_fp16_overflow 0
		.amdhsa_tg_split 0
		.amdhsa_exception_fp_ieee_invalid_op 0
		.amdhsa_exception_fp_denorm_src 0
		.amdhsa_exception_fp_ieee_div_zero 0
		.amdhsa_exception_fp_ieee_overflow 0
		.amdhsa_exception_fp_ieee_underflow 0
		.amdhsa_exception_fp_ieee_inexact 0
		.amdhsa_exception_int_div_zero 0
	.end_amdhsa_kernel
	.section	.text._Z39paged_attention_ll4mi_QKV_mfma16_kernelI14__hip_bfloat16hLN4vllm18Fp8KVCacheDataTypeE1ES0_Li16ELi128ELi256ELb0ELi13EEvPKT_PKT0_S8_ifPKiSA_SA_iPKfiiiPfSD_PS3_PT2_iSC_SC_,"axG",@progbits,_Z39paged_attention_ll4mi_QKV_mfma16_kernelI14__hip_bfloat16hLN4vllm18Fp8KVCacheDataTypeE1ES0_Li16ELi128ELi256ELb0ELi13EEvPKT_PKT0_S8_ifPKiSA_SA_iPKfiiiPfSD_PS3_PT2_iSC_SC_,comdat
.Lfunc_end1320:
	.size	_Z39paged_attention_ll4mi_QKV_mfma16_kernelI14__hip_bfloat16hLN4vllm18Fp8KVCacheDataTypeE1ES0_Li16ELi128ELi256ELb0ELi13EEvPKT_PKT0_S8_ifPKiSA_SA_iPKfiiiPfSD_PS3_PT2_iSC_SC_, .Lfunc_end1320-_Z39paged_attention_ll4mi_QKV_mfma16_kernelI14__hip_bfloat16hLN4vllm18Fp8KVCacheDataTypeE1ES0_Li16ELi128ELi256ELb0ELi13EEvPKT_PKT0_S8_ifPKiSA_SA_iPKfiiiPfSD_PS3_PT2_iSC_SC_
                                        ; -- End function
	.section	.AMDGPU.csdata,"",@progbits
; Kernel info:
; codeLenInByte = 6384
; NumSgprs: 56
; NumVgprs: 86
; NumAgprs: 0
; TotalNumVgprs: 86
; ScratchSize: 0
; MemoryBound: 0
; FloatMode: 240
; IeeeMode: 1
; LDSByteSize: 8192 bytes/workgroup (compile time only)
; SGPRBlocks: 6
; VGPRBlocks: 10
; NumSGPRsForWavesPerEU: 56
; NumVGPRsForWavesPerEU: 86
; AccumOffset: 88
; Occupancy: 5
; WaveLimiterHint : 1
; COMPUTE_PGM_RSRC2:SCRATCH_EN: 0
; COMPUTE_PGM_RSRC2:USER_SGPR: 2
; COMPUTE_PGM_RSRC2:TRAP_HANDLER: 0
; COMPUTE_PGM_RSRC2:TGID_X_EN: 1
; COMPUTE_PGM_RSRC2:TGID_Y_EN: 1
; COMPUTE_PGM_RSRC2:TGID_Z_EN: 1
; COMPUTE_PGM_RSRC2:TIDIG_COMP_CNT: 0
; COMPUTE_PGM_RSRC3_GFX90A:ACCUM_OFFSET: 21
; COMPUTE_PGM_RSRC3_GFX90A:TG_SPLIT: 0
	.section	.text._Z39paged_attention_ll4mi_QKV_mfma16_kernelI14__hip_bfloat16hLN4vllm18Fp8KVCacheDataTypeE1ES0_Li16ELi128ELi256ELb0ELi14EEvPKT_PKT0_S8_ifPKiSA_SA_iPKfiiiPfSD_PS3_PT2_iSC_SC_,"axG",@progbits,_Z39paged_attention_ll4mi_QKV_mfma16_kernelI14__hip_bfloat16hLN4vllm18Fp8KVCacheDataTypeE1ES0_Li16ELi128ELi256ELb0ELi14EEvPKT_PKT0_S8_ifPKiSA_SA_iPKfiiiPfSD_PS3_PT2_iSC_SC_,comdat
	.protected	_Z39paged_attention_ll4mi_QKV_mfma16_kernelI14__hip_bfloat16hLN4vllm18Fp8KVCacheDataTypeE1ES0_Li16ELi128ELi256ELb0ELi14EEvPKT_PKT0_S8_ifPKiSA_SA_iPKfiiiPfSD_PS3_PT2_iSC_SC_ ; -- Begin function _Z39paged_attention_ll4mi_QKV_mfma16_kernelI14__hip_bfloat16hLN4vllm18Fp8KVCacheDataTypeE1ES0_Li16ELi128ELi256ELb0ELi14EEvPKT_PKT0_S8_ifPKiSA_SA_iPKfiiiPfSD_PS3_PT2_iSC_SC_
	.globl	_Z39paged_attention_ll4mi_QKV_mfma16_kernelI14__hip_bfloat16hLN4vllm18Fp8KVCacheDataTypeE1ES0_Li16ELi128ELi256ELb0ELi14EEvPKT_PKT0_S8_ifPKiSA_SA_iPKfiiiPfSD_PS3_PT2_iSC_SC_
	.p2align	8
	.type	_Z39paged_attention_ll4mi_QKV_mfma16_kernelI14__hip_bfloat16hLN4vllm18Fp8KVCacheDataTypeE1ES0_Li16ELi128ELi256ELb0ELi14EEvPKT_PKT0_S8_ifPKiSA_SA_iPKfiiiPfSD_PS3_PT2_iSC_SC_,@function
_Z39paged_attention_ll4mi_QKV_mfma16_kernelI14__hip_bfloat16hLN4vllm18Fp8KVCacheDataTypeE1ES0_Li16ELi128ELi256ELb0ELi14EEvPKT_PKT0_S8_ifPKiSA_SA_iPKfiiiPfSD_PS3_PT2_iSC_SC_: ; @_Z39paged_attention_ll4mi_QKV_mfma16_kernelI14__hip_bfloat16hLN4vllm18Fp8KVCacheDataTypeE1ES0_Li16ELi128ELi256ELb0ELi14EEvPKT_PKT0_S8_ifPKiSA_SA_iPKfiiiPfSD_PS3_PT2_iSC_SC_
; %bb.0:
	s_load_dwordx2 s[12:13], s[0:1], 0x30
	s_mov_b32 s24, s3
	s_mov_b64 s[6:7], 0
	s_waitcnt lgkmcnt(0)
	s_cmp_lg_u64 s[12:13], 0
	s_cselect_b64 s[14:15], -1, 0
	s_and_b64 vcc, exec, s[14:15]
	s_cbranch_vccz .LBB1321_7
; %bb.1:
	s_add_i32 s8, s2, 1
	s_mov_b32 s9, 0
	s_lshl_b64 s[10:11], s[8:9], 2
	s_add_u32 s10, s12, s10
	s_mov_b32 s3, s9
	s_addc_u32 s11, s13, s11
	s_lshl_b64 s[8:9], s[2:3], 2
	s_add_u32 s8, s12, s8
	s_addc_u32 s9, s13, s9
	s_load_dword s5, s[10:11], 0x0
	s_load_dword s16, s[8:9], 0x0
	s_waitcnt lgkmcnt(0)
	s_sub_i32 s5, s5, s16
	s_cmp_eq_u32 s5, 1
	s_cselect_b64 s[8:9], -1, 0
	s_andn2_b64 vcc, exec, s[6:7]
	s_cbranch_vccnz .LBB1321_3
.LBB1321_2:
	s_mov_b32 s3, 0
	s_mov_b64 s[8:9], -1
.LBB1321_3:
	s_andn2_b64 vcc, exec, s[8:9]
	s_cbranch_vccnz .LBB1321_18
; %bb.4:
	s_load_dwordx2 s[6:7], s[0:1], 0x28
	s_lshl_b64 s[16:17], s[2:3], 2
	s_waitcnt lgkmcnt(0)
	s_add_u32 s6, s6, s16
	s_addc_u32 s7, s7, s17
	s_load_dword s33, s[6:7], 0x0
	s_lshl_b32 s18, s24, 8
	s_waitcnt lgkmcnt(0)
	s_cmp_ge_i32 s18, s33
	s_cbranch_scc1 .LBB1321_18
; %bb.5:
	s_load_dwordx2 s[6:7], s[0:1], 0x20
	s_load_dword s8, s[0:1], 0x38
	s_add_i32 s5, s33, 15
	s_ashr_i32 s9, s5, 31
	v_and_b32_e32 v1, 0xcf, v0
	s_lshr_b32 s9, s9, 28
	v_add_u32_e32 v1, s18, v1
	s_add_i32 s5, s5, s9
	v_ashrrev_i32_e32 v2, 31, v1
	s_ashr_i32 s5, s5, 4
	v_lshrrev_b32_e32 v10, 28, v2
	s_add_i32 s5, s5, -1
	s_waitcnt lgkmcnt(0)
	s_mul_i32 s8, s2, s8
	s_mov_b32 s9, 0
	v_add_u32_e32 v2, v1, v10
	s_lshl_b64 s[8:9], s[8:9], 2
	v_ashrrev_i32_e32 v2, 4, v2
	v_mov_b32_e32 v11, s5
	v_cmp_gt_i32_e32 vcc, s33, v1
	s_add_u32 s6, s6, s8
	s_addc_u32 s7, s7, s9
	v_cndmask_b32_e32 v2, v11, v2, vcc
	v_ashrrev_i32_e32 v3, 31, v2
	v_lshl_add_u64 v[4:5], v[2:3], 2, s[6:7]
	v_or_b32_e32 v2, 16, v1
	v_add_u32_e32 v3, v2, v10
	v_ashrrev_i32_e32 v3, 4, v3
	v_cmp_gt_i32_e32 vcc, s33, v2
	s_load_dwordx4 s[8:11], s[0:1], 0x8
	s_nop 0
	v_cndmask_b32_e32 v2, v11, v3, vcc
	v_ashrrev_i32_e32 v3, 31, v2
	v_lshl_add_u64 v[6:7], v[2:3], 2, s[6:7]
	v_or_b32_e32 v2, 32, v1
	v_add_u32_e32 v3, v2, v10
	v_ashrrev_i32_e32 v3, 4, v3
	v_cmp_gt_i32_e32 vcc, s33, v2
	v_or_b32_e32 v1, 48, v1
	s_nop 0
	v_cndmask_b32_e32 v2, v11, v3, vcc
	v_ashrrev_i32_e32 v3, 31, v2
	v_lshl_add_u64 v[8:9], v[2:3], 2, s[6:7]
	v_add_u32_e32 v2, v1, v10
	v_ashrrev_i32_e32 v2, 4, v2
	v_cmp_gt_i32_e32 vcc, s33, v1
	s_nop 1
	v_cndmask_b32_e32 v2, v11, v2, vcc
	v_ashrrev_i32_e32 v3, 31, v2
	v_lshl_add_u64 v[10:11], v[2:3], 2, s[6:7]
	global_load_dword v3, v[4:5], off
	global_load_dword v2, v[6:7], off
	;; [unrolled: 1-line block ×4, first 2 shown]
	s_andn2_b64 vcc, exec, s[14:15]
	s_cbranch_vccnz .LBB1321_8
; %bb.6:
	s_add_u32 s12, s12, s16
	s_addc_u32 s13, s13, s17
	s_load_dword s14, s[12:13], 0x0
	s_branch .LBB1321_9
.LBB1321_7:
	s_mov_b64 s[8:9], 0
	s_branch .LBB1321_2
.LBB1321_8:
	s_mov_b32 s14, s2
.LBB1321_9:
	s_load_dwordx4 s[44:47], s[0:1], 0x48
	v_lshrrev_b32_e32 v61, 6, v0
	v_bfe_u32 v64, v0, 4, 2
	v_and_b32_e32 v60, 15, v0
	v_lshl_or_b32 v4, v61, 2, v64
	v_lshlrev_b32_e32 v1, 3, v60
	v_and_b32_e32 v65, 63, v0
	s_mul_i32 s48, s4, 14
	v_cmp_gt_u32_e32 vcc, 14, v4
	v_lshlrev_b32_e32 v58, 1, v1
	v_lshlrev_b32_e32 v1, 4, v0
	s_and_saveexec_b64 s[12:13], vcc
	s_cbranch_execz .LBB1321_11
; %bb.10:
	s_load_dwordx2 s[16:17], s[0:1], 0x0
	s_waitcnt lgkmcnt(0)
	s_ashr_i32 s15, s44, 31
	s_mul_hi_u32 s19, s14, s44
	s_mul_i32 s15, s14, s15
	s_add_i32 s15, s19, s15
	s_mul_i32 s14, s14, s44
	s_lshl_b64 s[14:15], s[14:15], 1
	s_add_u32 s14, s16, s14
	v_add_lshl_u32 v6, v4, s48, 7
	s_addc_u32 s15, s17, s15
	v_ashrrev_i32_e32 v7, 31, v6
	v_lshl_add_u64 v[6:7], v[6:7], 1, s[14:15]
	v_mov_b32_e32 v59, 0
	v_lshl_add_u64 v[6:7], v[6:7], 0, v[58:59]
	global_load_dwordx4 v[6:9], v[6:7], off
	v_lshlrev_b32_e32 v10, 8, v0
	v_lshlrev_b32_e32 v5, 8, v60
	v_and_b32_e32 v10, 0x600, v10
	s_movk_i32 s14, 0x800
	v_and_or_b32 v5, v5, s14, v10
	v_lshlrev_b32_e32 v4, 5, v4
	v_and_b32_e32 v10, 16, v1
	v_or3_b32 v4, v5, v4, v10
	s_waitcnt vmcnt(0)
	ds_write_b128 v4, v[6:9]
.LBB1321_11:
	s_or_b64 exec, exec, s[12:13]
	s_waitcnt lgkmcnt(0)
	s_mul_i32 s4, s4, s46
	s_add_u32 s8, s8, s4
	s_addc_u32 s9, s9, 0
	v_and_b32_e32 v62, 0xf0, v1
	v_mov_b32_e32 v63, 0
	v_and_b32_e32 v6, 48, v0
	v_lshl_add_u64 v[30:31], s[8:9], 0, v[62:63]
	v_lshlrev_b32_e32 v62, 4, v6
	s_waitcnt vmcnt(3)
	v_mad_i64_i32 v[4:5], s[8:9], v3, s45, v[30:31]
	v_lshl_add_u64 v[4:5], v[4:5], 0, v[62:63]
	s_load_dword s25, s[0:1], 0x98
	s_load_dwordx4 s[40:43], s[0:1], 0x80
	s_waitcnt lgkmcnt(0)
	s_barrier
	global_load_dwordx4 v[22:25], v[4:5], off
	global_load_dwordx4 v[14:17], v[4:5], off offset:1024
	s_waitcnt vmcnt(4)
	v_mad_i64_i32 v[2:3], s[8:9], v2, s45, v[30:31]
	v_lshl_add_u64 v[32:33], v[2:3], 0, v[62:63]
	global_load_dwordx4 v[2:5], v[32:33], off
	v_add_u32_e32 v7, -14, v60
	v_cmp_gt_u32_e32 vcc, 14, v60
	v_or_b32_e32 v6, s18, v6
	v_mov_b32_e32 v41, s5
	v_cndmask_b32_e32 v7, v7, v60, vcc
	v_lshlrev_b32_e32 v7, 5, v7
	v_ashrrev_i32_e32 v8, 4, v6
	v_lshl_add_u32 v7, v64, 9, v7
	v_cmp_gt_i32_e32 vcc, s33, v6
	v_or_b32_e32 v40, 64, v6
	v_or_b32_e32 v42, 0x80, v6
	;; [unrolled: 1-line block ×3, first 2 shown]
	v_cndmask_b32_e32 v38, v41, v8, vcc
	ds_read_b128 v[26:29], v7
	ds_read_b128 v[18:21], v7 offset:16
	ds_read_b128 v[10:13], v7 offset:2048
	;; [unrolled: 1-line block ×3, first 2 shown]
	s_waitcnt vmcnt(4)
	v_mad_i64_i32 v[36:37], s[12:13], v34, s45, v[30:31]
	s_waitcnt vmcnt(3)
	v_mad_i64_i32 v[34:35], s[12:13], v35, s45, v[30:31]
	global_load_dwordx4 v[30:33], v[32:33], off offset:1024
	v_ashrrev_i32_e32 v44, 4, v40
	v_cmp_gt_i32_e32 vcc, s33, v40
	v_ashrrev_i32_e32 v45, 4, v42
	v_ashrrev_i32_e32 v46, 4, v43
	v_cndmask_b32_e32 v40, v41, v44, vcc
	v_cmp_gt_i32_e32 vcc, s33, v42
	v_ashrrev_i32_e32 v39, 31, v38
	v_lshl_add_u64 v[36:37], v[36:37], 0, v[62:63]
	v_cndmask_b32_e32 v42, v41, v45, vcc
	v_cmp_gt_i32_e32 vcc, s33, v43
	v_lshl_add_u64 v[34:35], v[34:35], 0, v[62:63]
	v_ashrrev_i32_e32 v43, 31, v42
	v_cndmask_b32_e32 v44, v41, v46, vcc
	v_ashrrev_i32_e32 v41, 31, v40
	v_ashrrev_i32_e32 v45, 31, v44
	v_lshl_add_u64 v[50:51], v[38:39], 2, s[6:7]
	v_lshl_add_u64 v[52:53], v[40:41], 2, s[6:7]
	v_lshl_add_u64 v[54:55], v[42:43], 2, s[6:7]
	v_lshl_add_u64 v[56:57], v[44:45], 2, s[6:7]
	global_load_dwordx4 v[46:49], v[36:37], off
	global_load_dwordx4 v[42:45], v[36:37], off offset:1024
	global_load_dwordx4 v[38:41], v[34:35], off
	s_nop 0
	global_load_dwordx4 v[34:37], v[34:35], off offset:1024
	s_nop 0
	global_load_dword v69, v[50:51], off
	global_load_dword v68, v[52:53], off
	;; [unrolled: 1-line block ×4, first 2 shown]
	s_mov_b32 s44, 0x7060302
	s_add_u32 s4, s10, s4
	v_lshl_or_b32 v59, v61, 4, v60
	s_addc_u32 s5, s11, 0
	v_lshlrev_b32_e32 v62, 4, v59
	s_load_dword s8, s[0:1], 0x1c
	s_waitcnt vmcnt(11)
	v_cvt_pk_f32_fp8_e32 v[50:51], v22
	v_cvt_pk_f32_fp8_sdwa v[52:53], v22 src0_sel:WORD_1
	v_cvt_pk_f32_fp8_e32 v[54:55], v23
	v_cvt_pk_f32_fp8_sdwa v[22:23], v23 src0_sel:WORD_1
	s_waitcnt vmcnt(10)
	v_cvt_pk_f32_fp8_e32 v[76:77], v14
	v_cvt_pk_f32_fp8_sdwa v[78:79], v14 src0_sel:WORD_1
	v_cvt_pk_f32_fp8_e32 v[80:81], v15
	v_cvt_pk_f32_fp8_sdwa v[82:83], v15 src0_sel:WORD_1
	v_perm_b32 v14, v51, v50, s44
	v_perm_b32 v15, v53, v52, s44
	v_cvt_pk_f32_fp8_e32 v[56:57], v24
	v_cvt_pk_f32_fp8_sdwa v[70:71], v24 src0_sel:WORD_1
	v_perm_b32 v54, v55, v54, s44
	v_perm_b32 v55, v23, v22, s44
	v_cvt_pk_f32_fp8_e32 v[72:73], v25
	v_cvt_pk_f32_fp8_sdwa v[74:75], v25 src0_sel:WORD_1
	s_waitcnt lgkmcnt(0)
	v_mfma_f32_16x16x16_bf16 v[22:25], v[14:15], v[26:27], 0
	v_perm_b32 v14, v57, v56, s44
	v_perm_b32 v15, v71, v70, s44
	;; [unrolled: 1-line block ×3, first 2 shown]
	v_mfma_f32_16x16x16_bf16 v[22:25], v[54:55], v[28:29], v[22:25]
	v_perm_b32 v57, v75, v74, s44
	v_cvt_pk_f32_fp8_e32 v[50:51], v16
	v_cvt_pk_f32_fp8_sdwa v[52:53], v16 src0_sel:WORD_1
	v_cvt_pk_f32_fp8_e32 v[84:85], v17
	v_cvt_pk_f32_fp8_sdwa v[54:55], v17 src0_sel:WORD_1
	v_mfma_f32_16x16x16_bf16 v[14:17], v[14:15], v[18:19], v[22:25]
	v_perm_b32 v70, v81, v80, s44
	v_perm_b32 v71, v83, v82, s44
	;; [unrolled: 1-line block ×5, first 2 shown]
	v_mfma_f32_16x16x16_bf16 v[14:17], v[56:57], v[20:21], v[14:17]
	s_waitcnt vmcnt(9)
	v_cvt_pk_f32_fp8_e32 v[22:23], v2
	v_cvt_pk_f32_fp8_sdwa v[56:57], v2 src0_sel:WORD_1
	v_perm_b32 v51, v53, v52, s44
	v_mfma_f32_16x16x16_bf16 v[14:17], v[24:25], v[10:11], v[14:17]
	v_cvt_pk_f32_fp8_e32 v[24:25], v3
	v_cvt_pk_f32_fp8_sdwa v[2:3], v3 src0_sel:WORD_1
	v_perm_b32 v52, v85, v84, s44
	v_mfma_f32_16x16x16_bf16 v[14:17], v[70:71], v[12:13], v[14:17]
	v_perm_b32 v53, v55, v54, s44
	v_perm_b32 v22, v23, v22, s44
	v_perm_b32 v23, v57, v56, s44
	v_mfma_f32_16x16x16_bf16 v[14:17], v[50:51], v[6:7], v[14:17]
	v_cvt_pk_f32_fp8_e32 v[54:55], v4
	v_cvt_pk_f32_fp8_sdwa v[56:57], v4 src0_sel:WORD_1
	v_perm_b32 v24, v25, v24, s44
	v_perm_b32 v25, v3, v2, s44
	v_mfma_f32_16x16x16_bf16 v[50:53], v[52:53], v[8:9], v[14:17]
	s_waitcnt vmcnt(7)
	v_cvt_pk_f32_fp8_e32 v[72:73], v49
	v_lshl_add_u64 v[70:71], s[4:5], 0, v[62:63]
	s_waitcnt vmcnt(6)
	v_cvt_pk_f32_fp8_sdwa v[76:77], v44 src0_sel:WORD_1
	v_mfma_f32_16x16x16_bf16 v[14:17], v[22:23], v[26:27], 0
	v_perm_b32 v22, v55, v54, s44
	v_perm_b32 v23, v57, v56, s44
	v_cvt_pk_f32_fp8_e32 v[54:55], v5
	v_cvt_pk_f32_fp8_sdwa v[56:57], v5 src0_sel:WORD_1
	v_mfma_f32_16x16x16_bf16 v[2:5], v[24:25], v[28:29], v[14:17]
	v_cvt_pk_f32_fp8_e32 v[24:25], v32
	v_or_b32_e32 v62, 0x400, v62
	s_nop 0
	v_perm_b32 v14, v55, v54, s44
	v_perm_b32 v15, v57, v56, s44
	v_mfma_f32_16x16x16_bf16 v[2:5], v[22:23], v[18:19], v[2:5]
	v_cvt_pk_f32_fp8_e32 v[16:17], v30
	v_cvt_pk_f32_fp8_sdwa v[22:23], v30 src0_sel:WORD_1
	v_perm_b32 v16, v17, v16, s44
	v_mfma_f32_16x16x16_bf16 v[2:5], v[14:15], v[20:21], v[2:5]
	v_cvt_pk_f32_fp8_e32 v[14:15], v31
	v_perm_b32 v17, v23, v22, s44
	v_cvt_pk_f32_fp8_sdwa v[22:23], v31 src0_sel:WORD_1
	v_cvt_pk_f32_fp8_sdwa v[30:31], v32 src0_sel:WORD_1
	v_perm_b32 v14, v15, v14, s44
	v_mfma_f32_16x16x16_bf16 v[2:5], v[16:17], v[10:11], v[2:5]
	v_perm_b32 v15, v23, v22, s44
	v_perm_b32 v16, v25, v24, s44
	;; [unrolled: 1-line block ×3, first 2 shown]
	v_cvt_pk_f32_fp8_e32 v[22:23], v33
	v_cvt_pk_f32_fp8_sdwa v[24:25], v33 src0_sel:WORD_1
	v_mfma_f32_16x16x16_bf16 v[2:5], v[14:15], v[12:13], v[2:5]
	v_perm_b32 v14, v23, v22, s44
	v_perm_b32 v15, v25, v24, s44
	v_mfma_f32_16x16x16_bf16 v[2:5], v[16:17], v[6:7], v[2:5]
	v_cvt_pk_f32_fp8_e32 v[16:17], v46
	v_cvt_pk_f32_fp8_sdwa v[22:23], v46 src0_sel:WORD_1
	v_cvt_pk_f32_fp8_sdwa v[24:25], v48 src0_sel:WORD_1
	v_mfma_f32_16x16x16_bf16 v[54:57], v[14:15], v[8:9], v[2:5]
	v_cvt_pk_f32_fp8_sdwa v[14:15], v47 src0_sel:WORD_1
	s_nop 1
	v_perm_b32 v2, v17, v16, s44
	v_perm_b32 v3, v23, v22, s44
	v_cvt_pk_f32_fp8_e32 v[4:5], v47
	v_perm_b32 v23, v15, v14, s44
	v_cvt_pk_f32_fp8_e32 v[14:15], v48
	v_cvt_pk_f32_fp8_sdwa v[48:49], v49 src0_sel:WORD_1
	v_perm_b32 v22, v5, v4, s44
	v_mfma_f32_16x16x16_bf16 v[2:5], v[2:3], v[26:27], 0
	v_perm_b32 v14, v15, v14, s44
	v_perm_b32 v15, v25, v24, s44
	s_waitcnt vmcnt(3)
	v_mad_i64_i32 v[16:17], s[6:7], v69, s45, v[70:71]
	v_mfma_f32_16x16x16_bf16 v[2:5], v[22:23], v[28:29], v[2:5]
	s_waitcnt vmcnt(2)
	v_mad_i64_i32 v[46:47], s[6:7], v68, s45, v[70:71]
	global_load_dwordx4 v[30:33], v[16:17], off
	global_load_dwordx4 v[22:25], v[46:47], off
	v_perm_b32 v16, v73, v72, s44
	v_perm_b32 v17, v49, v48, s44
	v_mfma_f32_16x16x16_bf16 v[2:5], v[14:15], v[18:19], v[2:5]
	v_cvt_pk_f32_fp8_e32 v[14:15], v42
	v_cvt_pk_f32_fp8_sdwa v[46:47], v42 src0_sel:WORD_1
	s_waitcnt vmcnt(3)
	v_mad_i64_i32 v[72:73], s[6:7], v67, s45, v[70:71]
	v_mfma_f32_16x16x16_bf16 v[2:5], v[16:17], v[20:21], v[2:5]
	v_perm_b32 v14, v15, v14, s44
	v_perm_b32 v15, v47, v46, s44
	v_cvt_pk_f32_fp8_e32 v[16:17], v43
	v_cvt_pk_f32_fp8_sdwa v[42:43], v43 src0_sel:WORD_1
	v_mfma_f32_16x16x16_bf16 v[46:49], v[14:15], v[10:11], v[2:5]
	v_perm_b32 v74, v17, v16, s44
	v_perm_b32 v75, v43, v42, s44
	v_cvt_pk_f32_fp8_e32 v[42:43], v44
	s_waitcnt vmcnt(2)
	v_mad_i64_i32 v[70:71], s[6:7], v66, s45, v[70:71]
	global_load_dwordx4 v[14:17], v[72:73], off
	global_load_dwordx4 v[2:5], v[70:71], off
	v_perm_b32 v70, v43, v42, s44
	v_perm_b32 v71, v77, v76, s44
	v_cvt_pk_f32_fp8_e32 v[72:73], v45
	v_cvt_pk_f32_fp8_sdwa v[76:77], v45 src0_sel:WORD_1
	v_mfma_f32_16x16x16_bf16 v[44:47], v[74:75], v[12:13], v[46:49]
	v_lshl_add_u64 v[42:43], s[4:5], 0, v[62:63]
	v_cvt_pk_f32_fp8_e32 v[62:63], v38
	s_load_dword s4, s[40:41], 0x0
	v_perm_b32 v48, v73, v72, s44
	v_perm_b32 v49, v77, v76, s44
	v_mfma_f32_16x16x16_bf16 v[44:47], v[70:71], v[6:7], v[44:47]
	v_cvt_pk_f32_fp8_sdwa v[70:71], v38 src0_sel:WORD_1
	v_perm_b32 v62, v63, v62, s44
	v_cvt_pk_f32_fp8_e32 v[74:75], v40
	v_mfma_f32_16x16x16_bf16 v[46:49], v[48:49], v[8:9], v[44:47]
	v_perm_b32 v63, v71, v70, s44
	v_cvt_pk_f32_fp8_sdwa v[76:77], v40 src0_sel:WORD_1
	s_mov_b32 s40, 0xff7fffff
	v_cvt_pk_f32_fp8_e32 v[44:45], v39
	v_cvt_pk_f32_fp8_sdwa v[38:39], v39 src0_sel:WORD_1
	v_mfma_f32_16x16x16_bf16 v[70:73], v[62:63], v[26:27], 0
	v_cvt_pk_f32_fp8_e32 v[62:63], v41
	v_perm_b32 v44, v45, v44, s44
	v_perm_b32 v45, v39, v38, s44
	;; [unrolled: 1-line block ×4, first 2 shown]
	v_cvt_pk_f32_fp8_sdwa v[40:41], v41 src0_sel:WORD_1
	v_mov_b32_e32 v26, s8
	s_waitcnt lgkmcnt(0)
	v_mul_f32_e32 v74, s4, v26
	v_mfma_f32_16x16x16_bf16 v[26:29], v[44:45], v[28:29], v[70:73]
	v_pk_mul_f32 v[44:45], v[74:75], v[52:53] op_sel_hi:[0,1]
	v_perm_b32 v52, v63, v62, s44
	v_perm_b32 v53, v41, v40, s44
	v_mfma_f32_16x16x16_bf16 v[26:29], v[38:39], v[18:19], v[26:29]
	v_cvt_pk_f32_fp8_e32 v[18:19], v34
	v_cvt_pk_f32_fp8_sdwa v[38:39], v34 src0_sel:WORD_1
	v_pk_mul_f32 v[50:51], v[74:75], v[50:51] op_sel_hi:[0,1]
	v_mfma_f32_16x16x16_bf16 v[26:29], v[52:53], v[20:21], v[26:29]
	v_perm_b32 v20, v19, v18, s44
	v_perm_b32 v21, v39, v38, s44
	v_cvt_pk_f32_fp8_e32 v[38:39], v35
	v_cvt_pk_f32_fp8_sdwa v[34:35], v35 src0_sel:WORD_1
	v_mfma_f32_16x16x16_bf16 v[26:29], v[20:21], v[10:11], v[26:29]
	v_perm_b32 v38, v39, v38, s44
	v_perm_b32 v39, v35, v34, s44
	v_cvt_pk_f32_fp8_e32 v[10:11], v36
	v_cvt_pk_f32_fp8_sdwa v[20:21], v36 src0_sel:WORD_1
	v_pk_mul_f32 v[52:53], v[74:75], v[54:55] op_sel_hi:[0,1]
	v_pk_mul_f32 v[34:35], v[74:75], v[56:57] op_sel_hi:[0,1]
	v_perm_b32 v40, v11, v10, s44
	v_perm_b32 v41, v21, v20, s44
	v_cvt_pk_f32_fp8_e32 v[20:21], v37
	v_cvt_pk_f32_fp8_sdwa v[36:37], v37 src0_sel:WORD_1
	v_mfma_f32_16x16x16_bf16 v[10:13], v[38:39], v[12:13], v[26:29]
	v_pk_mul_f32 v[46:47], v[74:75], v[46:47] op_sel_hi:[0,1]
	v_perm_b32 v20, v21, v20, s44
	v_perm_b32 v21, v37, v36, s44
	v_mfma_f32_16x16x16_bf16 v[10:13], v[40:41], v[6:7], v[10:13]
	v_pk_mul_f32 v[40:41], v[74:75], v[48:49] op_sel_hi:[0,1]
	v_mad_i64_i32 v[18:19], s[4:5], v69, s45, v[42:43]
	v_mfma_f32_16x16x16_bf16 v[6:9], v[20:21], v[8:9], v[10:13]
	v_mad_i64_i32 v[62:63], s[4:5], v68, s45, v[42:43]
	global_load_dwordx4 v[26:29], v[18:19], off
	s_nop 0
	global_load_dwordx4 v[18:21], v[62:63], off
	s_nop 2
	v_pk_mul_f32 v[48:49], v[74:75], v[6:7] op_sel_hi:[0,1]
	v_and_b32_e32 v6, 0xc0, v0
	v_add_u32_e32 v6, s18, v6
	v_lshl_or_b32 v6, v64, 2, v6
	v_pk_mul_f32 v[38:39], v[74:75], v[8:9] op_sel_hi:[0,1]
	v_or_b32_e32 v9, 1, v6
	v_mov_b32_e32 v7, 0xff7fffff
	v_cmp_gt_i32_e64 s[26:27], s33, v6
	v_cmp_gt_i32_e64 s[28:29], s33, v9
	v_or_b32_e32 v10, 3, v6
	v_cndmask_b32_e64 v8, v7, v50, s[26:27]
	v_cndmask_b32_e64 v9, v7, v51, s[28:29]
	v_max3_f32 v8, v8, s40, v9
	v_or_b32_e32 v9, 2, v6
	v_cmp_gt_i32_e64 s[30:31], s33, v9
	v_cmp_gt_i32_e64 s[34:35], s33, v10
	s_nop 0
	v_cndmask_b32_e64 v9, v7, v44, s[30:31]
	v_cndmask_b32_e64 v10, v7, v45, s[34:35]
	v_max3_f32 v8, v8, v9, v10
	v_or_b32_e32 v9, 16, v6
	v_or_b32_e32 v10, 17, v6
	v_cmp_gt_i32_e64 s[18:19], s33, v9
	v_cmp_gt_i32_e64 s[20:21], s33, v10
	s_nop 0
	v_cndmask_b32_e64 v9, v7, v52, s[18:19]
	v_cndmask_b32_e64 v10, v7, v53, s[20:21]
	v_max3_f32 v8, v8, v9, v10
	v_or_b32_e32 v9, 18, v6
	;; [unrolled: 8-line block ×5, first 2 shown]
	v_or_b32_e32 v10, 49, v6
	v_cmp_gt_i32_e32 vcc, s33, v9
	v_cmp_gt_i32_e64 s[4:5], s33, v10
	s_nop 0
	v_cndmask_b32_e32 v9, v7, v48, vcc
	v_cndmask_b32_e64 v10, v7, v49, s[4:5]
	v_max3_f32 v8, v8, v9, v10
	v_or_b32_e32 v9, 50, v6
	v_or_b32_e32 v6, 51, v6
	v_cmp_gt_i32_e64 s[6:7], s33, v9
	v_cmp_gt_i32_e64 s[8:9], s33, v6
	s_nop 0
	v_cndmask_b32_e64 v9, v7, v38, s[6:7]
	v_cndmask_b32_e64 v6, v7, v39, s[8:9]
	v_max3_f32 v8, v8, v9, v6
	v_mbcnt_lo_u32_b32 v6, -1, 0
	v_mbcnt_hi_u32_b32 v9, -1, v6
	v_and_b32_e32 v6, 64, v9
	v_add_u32_e32 v10, 64, v6
	v_xor_b32_e32 v6, 32, v9
	v_cmp_lt_i32_e64 s[38:39], v6, v10
	s_nop 1
	v_cndmask_b32_e64 v6, v9, v6, s[38:39]
	v_lshlrev_b32_e32 v55, 2, v6
	ds_bpermute_b32 v11, v55, v8
	v_mad_i64_i32 v[6:7], s[38:39], v67, s45, v[42:43]
	s_waitcnt lgkmcnt(0)
	v_max_f32_e32 v11, v11, v11
	v_max_f32_e32 v36, v8, v11
	v_xor_b32_e32 v8, 16, v9
	v_cmp_lt_i32_e64 s[38:39], v8, v10
	s_nop 1
	v_cndmask_b32_e64 v8, v9, v8, s[38:39]
	v_lshlrev_b32_e32 v56, 2, v8
	v_mad_i64_i32 v[8:9], s[38:39], v66, s45, v[42:43]
	global_load_dwordx4 v[10:13], v[6:7], off
	s_nop 0
	global_load_dwordx4 v[6:9], v[8:9], off
	ds_bpermute_b32 v37, v56, v36
	s_waitcnt lgkmcnt(0)
	s_barrier
	v_max_f32_e32 v37, v37, v37
	v_max_f32_e32 v54, v36, v37
	v_sub_f32_e32 v42, v44, v54
	v_mul_f32_e32 v42, 0x3fb8aa3b, v42
	v_exp_f32_e32 v42, v42
	v_sub_f32_e32 v43, v45, v54
	v_mul_f32_e32 v43, 0x3fb8aa3b, v43
	v_exp_f32_e32 v43, v43
	v_cndmask_b32_e64 v44, 0, v42, s[30:31]
	v_sub_f32_e32 v42, v52, v54
	v_sub_f32_e32 v34, v34, v54
	v_mul_f32_e32 v42, 0x3fb8aa3b, v42
	v_mul_f32_e32 v34, 0x3fb8aa3b, v34
	v_sub_f32_e32 v36, v50, v54
	v_exp_f32_e32 v42, v42
	v_exp_f32_e32 v50, v34
	v_cndmask_b32_e64 v45, 0, v43, s[34:35]
	v_sub_f32_e32 v43, v53, v54
	v_sub_f32_e32 v34, v35, v54
	;; [unrolled: 1-line block ×4, first 2 shown]
	v_mul_f32_e32 v43, 0x3fb8aa3b, v43
	v_mul_f32_e32 v34, 0x3fb8aa3b, v34
	;; [unrolled: 1-line block ×4, first 2 shown]
	v_sub_f32_e32 v37, v51, v54
	v_exp_f32_e32 v43, v43
	v_exp_f32_e32 v51, v34
	v_cndmask_b32_e64 v34, 0, v42, s[18:19]
	v_cndmask_b32_e64 v42, 0, v50, s[22:23]
	v_exp_f32_e32 v46, v46
	v_exp_f32_e32 v50, v40
	v_mul_f32_e32 v36, 0x3fb8aa3b, v36
	v_sub_f32_e32 v47, v47, v54
	v_sub_f32_e32 v40, v41, v54
	;; [unrolled: 1-line block ×4, first 2 shown]
	v_exp_f32_e32 v36, v36
	v_mul_f32_e32 v37, 0x3fb8aa3b, v37
	v_mul_f32_e32 v47, 0x3fb8aa3b, v47
	;; [unrolled: 1-line block ×5, first 2 shown]
	v_exp_f32_e32 v37, v37
	v_cndmask_b32_e64 v35, 0, v43, s[20:21]
	v_cndmask_b32_e64 v43, 0, v51, s[36:37]
	v_exp_f32_e32 v47, v47
	v_exp_f32_e32 v51, v40
	v_cndmask_b32_e64 v40, 0, v46, s[10:11]
	v_cndmask_b32_e64 v46, 0, v50, s[14:15]
	v_exp_f32_e32 v48, v48
	v_exp_f32_e32 v50, v38
	v_sub_f32_e32 v38, v39, v54
	v_cndmask_b32_e64 v36, 0, v36, s[26:27]
	v_mul_f32_e32 v38, 0x3fb8aa3b, v38
	v_cndmask_b32_e64 v37, 0, v37, s[28:29]
	v_cndmask_b32_e64 v41, 0, v47, s[12:13]
	;; [unrolled: 1-line block ×3, first 2 shown]
	v_exp_f32_e32 v51, v38
	v_cndmask_b32_e32 v38, 0, v48, vcc
	v_cndmask_b32_e64 v48, 0, v50, s[6:7]
	v_add_f32_e32 v50, 0, v36
	v_add_f32_e32 v50, v50, v37
	;; [unrolled: 1-line block ×6, first 2 shown]
	v_sub_f32_e32 v49, v49, v54
	v_add_f32_e32 v50, v50, v42
	v_mul_f32_e32 v49, 0x3fb8aa3b, v49
	v_add_f32_e32 v50, v50, v43
	v_exp_f32_e32 v49, v49
	v_add_f32_e32 v50, v50, v40
	v_add_f32_e32 v50, v50, v41
	;; [unrolled: 1-line block ×4, first 2 shown]
	v_cndmask_b32_e64 v39, 0, v49, s[4:5]
	v_add_f32_e32 v50, v50, v38
	v_add_f32_e32 v50, v50, v39
	v_cndmask_b32_e64 v49, 0, v51, s[8:9]
	v_add_f32_e32 v50, v50, v48
	v_add_f32_e32 v50, v50, v49
	ds_bpermute_b32 v51, v55, v50
	v_cmp_gt_u32_e32 vcc, 16, v65
	s_waitcnt lgkmcnt(0)
	v_add_f32_e32 v50, v50, v51
	ds_bpermute_b32 v51, v56, v50
	s_and_saveexec_b64 s[4:5], vcc
	s_cbranch_execz .LBB1321_13
; %bb.12:
	s_waitcnt lgkmcnt(0)
	v_add_f32_e32 v50, v50, v51
	v_lshlrev_b32_e32 v51, 2, v59
	ds_write2st64_b32 v51, v54, v50 offset1:1
.LBB1321_13:
	s_or_b64 exec, exec, s[4:5]
	s_waitcnt lgkmcnt(0)
	v_lshlrev_b32_e32 v51, 2, v60
	s_load_dword s6, s[0:1], 0x94
	s_waitcnt lgkmcnt(0)
	s_barrier
	ds_read2_b32 v[52:53], v51 offset1:16
	ds_read2_b32 v[54:55], v51 offset0:32 offset1:48
	ds_read2_b32 v[56:57], v51 offset0:64 offset1:80
	s_movk_i32 s8, 0x7fff
	s_mul_i32 s7, s25, 14
	s_waitcnt lgkmcnt(2)
	v_max3_f32 v50, v52, s40, v53
	s_waitcnt lgkmcnt(1)
	v_max3_f32 v50, v50, v54, v55
	v_sub_f32_e32 v52, v52, v50
	v_mul_f32_e32 v52, 0x3fb8aa3b, v52
	v_exp_f32_e32 v59, v52
	v_sub_f32_e32 v52, v53, v50
	v_mul_f32_e32 v52, 0x3fb8aa3b, v52
	v_exp_f32_e32 v62, v52
	;; [unrolled: 3-line block ×3, first 2 shown]
	ds_read2_b32 v[52:53], v51 offset0:96 offset1:112
	v_sub_f32_e32 v51, v55, v50
	v_mul_f32_e32 v51, 0x3fb8aa3b, v51
	v_exp_f32_e32 v55, v51
	s_waitcnt lgkmcnt(1)
	v_fma_f32 v51, v59, v56, 0
	v_fmac_f32_e32 v51, v62, v57
	s_waitcnt lgkmcnt(0)
	v_fmac_f32_e32 v51, v54, v52
	v_fmac_f32_e32 v51, v55, v53
	v_add_f32_e32 v52, 0x358637bd, v51
	v_div_scale_f32 v53, s[4:5], v52, v52, 1.0
	v_rcp_f32_e32 v56, v53
	s_barrier
	v_fma_f32 v57, -v53, v56, 1.0
	v_fmac_f32_e32 v56, v57, v56
	v_div_scale_f32 v57, vcc, 1.0, v52, 1.0
	v_mul_f32_e32 v63, v57, v56
	v_fma_f32 v65, -v53, v63, v57
	v_fmac_f32_e32 v63, v65, v56
	v_fma_f32 v53, -v53, v63, v57
	v_div_fmas_f32 v53, v53, v56, v63
	v_cmp_eq_u32_e32 vcc, 1, v61
	v_div_fixup_f32 v52, v53, v52, 1.0
	s_nop 0
	v_cndmask_b32_e32 v53, v59, v62, vcc
	v_cmp_eq_u32_e32 vcc, 2, v61
	s_nop 1
	v_cndmask_b32_e32 v53, v53, v54, vcc
	v_cmp_eq_u32_e32 vcc, 3, v61
	s_nop 1
	v_cndmask_b32_e32 v53, v53, v55, vcc
	v_mul_f32_e32 v52, v53, v52
	v_pk_mul_f32 v[36:37], v[52:53], v[36:37] op_sel_hi:[0,1]
	v_pk_mul_f32 v[44:45], v[52:53], v[44:45] op_sel_hi:[0,1]
	v_bfe_u32 v53, v37, 16, 1
	v_bfe_u32 v54, v36, 16, 1
	v_add3_u32 v36, v36, v54, s8
	v_add3_u32 v37, v37, v53, s8
	v_perm_b32 v56, v37, v36, s44
	v_bfe_u32 v36, v45, 16, 1
	v_bfe_u32 v37, v44, 16, 1
	v_add3_u32 v37, v44, v37, s8
	v_add3_u32 v36, v45, v36, s8
	v_perm_b32 v57, v36, v37, s44
	v_lshlrev_b32_e32 v37, 3, v64
	v_lshlrev_b32_e32 v36, 5, v60
	;; [unrolled: 1-line block ×3, first 2 shown]
	v_pk_mul_f32 v[34:35], v[52:53], v[34:35] op_sel_hi:[0,1]
	v_or3_b32 v54, v44, v36, v37
	v_bfe_u32 v37, v35, 16, 1
	v_bfe_u32 v44, v34, 16, 1
	v_pk_mul_f32 v[42:43], v[52:53], v[42:43] op_sel_hi:[0,1]
	v_add3_u32 v34, v34, v44, s8
	v_add3_u32 v35, v35, v37, s8
	v_perm_b32 v34, v35, v34, s44
	v_bfe_u32 v35, v43, 16, 1
	v_bfe_u32 v37, v42, 16, 1
	v_add3_u32 v37, v42, v37, s8
	v_add3_u32 v35, v43, v35, s8
	v_pk_mul_f32 v[40:41], v[52:53], v[40:41] op_sel_hi:[0,1]
	v_perm_b32 v35, v35, v37, s44
	v_bfe_u32 v37, v41, 16, 1
	v_bfe_u32 v42, v40, 16, 1
	ds_write2st64_b64 v54, v[56:57], v[34:35] offset1:1
	v_pk_mul_f32 v[34:35], v[52:53], v[46:47] op_sel_hi:[0,1]
	v_add3_u32 v40, v40, v42, s8
	v_add3_u32 v37, v41, v37, s8
	v_perm_b32 v40, v37, v40, s44
	v_bfe_u32 v37, v35, 16, 1
	v_bfe_u32 v41, v34, 16, 1
	v_pk_mul_f32 v[38:39], v[52:53], v[38:39] op_sel_hi:[0,1]
	v_add3_u32 v34, v34, v41, s8
	v_add3_u32 v35, v35, v37, s8
	v_bfe_u32 v37, v39, 16, 1
	v_bfe_u32 v42, v38, 16, 1
	v_perm_b32 v41, v35, v34, s44
	v_pk_mul_f32 v[34:35], v[52:53], v[48:49] op_sel_hi:[0,1]
	v_add3_u32 v38, v38, v42, s8
	v_add3_u32 v37, v39, v37, s8
	v_perm_b32 v38, v37, v38, s44
	v_bfe_u32 v37, v35, 16, 1
	v_bfe_u32 v39, v34, 16, 1
	v_add3_u32 v34, v34, v39, s8
	v_add3_u32 v35, v35, v37, s8
	v_perm_b32 v39, v35, v34, s44
	v_cmp_gt_u32_e32 vcc, 14, v0
	ds_write2st64_b64 v54, v[40:41], v[38:39] offset0:2 offset1:3
	s_and_saveexec_b64 s[4:5], vcc
	s_cbranch_execz .LBB1321_15
; %bb.14:
	s_mov_b32 s49, 0
	v_mov_b32_e32 v61, 0
	v_lshl_add_u64 v[34:35], s[48:49], 0, v[60:61]
	v_mov_b32_e32 v37, s7
	v_mad_u64_u32 v[34:35], s[10:11], s2, v37, v[34:35]
	s_mul_i32 s3, s3, s7
	v_mov_b32_e32 v38, s24
	v_mov_b32_e32 v39, v61
	s_load_dwordx4 s[12:15], s[0:1], 0x58
	v_add_u32_e32 v37, s3, v35
	v_mad_u64_u32 v[34:35], s[10:11], v34, s6, v[38:39]
	v_mov_b32_e32 v38, v35
	v_mad_u64_u32 v[38:39], s[10:11], v37, s6, v[38:39]
	v_mov_b32_e32 v35, v38
	v_lshlrev_b64 v[34:35], 2, v[34:35]
	s_waitcnt lgkmcnt(0)
	v_lshl_add_u64 v[38:39], s[14:15], 0, v[34:35]
	v_lshl_add_u64 v[34:35], s[12:13], 0, v[34:35]
	global_store_dword v[38:39], v50, off
	global_store_dword v[34:35], v51, off
.LBB1321_15:
	s_or_b64 exec, exec, s[4:5]
	v_lshl_or_b32 v50, v64, 9, v36
	s_waitcnt vmcnt(7)
	v_cvt_pk_f32_fp8_e32 v[34:35], v30
	v_cvt_pk_f32_fp8_sdwa v[36:37], v30 src0_sel:WORD_1
	s_mov_b32 s5, 0x7060302
	s_waitcnt lgkmcnt(0)
	s_barrier
	v_cvt_pk_f32_fp8_e32 v[38:39], v31
	v_perm_b32 v30, v35, v34, s5
	v_cvt_pk_f32_fp8_sdwa v[40:41], v31 src0_sel:WORD_1
	v_perm_b32 v31, v37, v36, s5
	ds_read_b128 v[34:37], v50
	v_perm_b32 v46, v39, v38, s5
	v_perm_b32 v47, v41, v40, s5
	ds_read_b128 v[38:41], v50 offset:16
	v_cvt_pk_f32_fp8_e32 v[48:49], v32
	v_cvt_pk_f32_fp8_sdwa v[52:53], v32 src0_sel:WORD_1
	s_waitcnt lgkmcnt(1)
	v_mfma_f32_16x16x16_bf16 v[42:45], v[30:31], v[34:35], 0
	s_waitcnt vmcnt(6)
	v_cvt_pk_f32_fp8_e32 v[56:57], v24
	v_perm_b32 v30, v49, v48, s5
	v_perm_b32 v31, v53, v52, s5
	v_cvt_pk_f32_fp8_e32 v[48:49], v33
	v_mfma_f32_16x16x16_bf16 v[42:45], v[46:47], v[36:37], v[42:45]
	v_cvt_pk_f32_fp8_sdwa v[46:47], v33 src0_sel:WORD_1
	v_cvt_pk_f32_fp8_sdwa v[62:63], v24 src0_sel:WORD_1
	v_perm_b32 v48, v49, v48, s5
	s_waitcnt lgkmcnt(0)
	v_mfma_f32_16x16x16_bf16 v[30:33], v[30:31], v[38:39], v[42:45]
	v_perm_b32 v49, v47, v46, s5
	s_waitcnt vmcnt(4)
	v_cvt_pk_f32_fp8_sdwa v[70:71], v4 src0_sel:WORD_1
	s_load_dword s4, s[42:43], 0x0
	v_cvt_pk_f32_fp8_e32 v[42:43], v22
	v_mfma_f32_16x16x16_bf16 v[46:49], v[48:49], v[40:41], v[30:33]
	s_waitcnt vmcnt(3)
	v_cvt_pk_f32_fp8_sdwa v[72:73], v28 src0_sel:WORD_1
	s_mov_b32 s3, 0
	v_cvt_pk_f32_fp8_sdwa v[30:31], v22 src0_sel:WORD_1
	v_cvt_pk_f32_fp8_e32 v[32:33], v23
	v_perm_b32 v22, v43, v42, s5
	v_cvt_pk_f32_fp8_sdwa v[42:43], v23 src0_sel:WORD_1
	v_perm_b32 v23, v31, v30, s5
	v_perm_b32 v52, v33, v32, s5
	ds_read_b128 v[30:33], v50 offset:2048
	v_perm_b32 v53, v43, v42, s5
	ds_read_b128 v[42:45], v50 offset:2064
	s_waitcnt lgkmcnt(0)
	v_mfma_f32_16x16x16_bf16 v[46:49], v[22:23], v[30:31], v[46:49]
	v_perm_b32 v22, v57, v56, s5
	v_perm_b32 v23, v63, v62, s5
	v_cvt_pk_f32_fp8_e32 v[56:57], v25
	v_mfma_f32_16x16x16_bf16 v[46:49], v[52:53], v[32:33], v[46:49]
	v_cvt_pk_f32_fp8_sdwa v[52:53], v25 src0_sel:WORD_1
	v_cvt_pk_f32_fp8_sdwa v[62:63], v16 src0_sel:WORD_1
	v_perm_b32 v56, v57, v56, s5
	v_mfma_f32_16x16x16_bf16 v[22:25], v[22:23], v[42:43], v[46:49]
	v_perm_b32 v57, v53, v52, s5
	v_cmp_gt_u32_e32 vcc, 64, v0
	s_nop 0
	v_cvt_pk_f32_fp8_e32 v[46:47], v14
	v_mfma_f32_16x16x16_bf16 v[66:69], v[56:57], v[44:45], v[22:25]
	v_cvt_pk_f32_fp8_e32 v[56:57], v16
	s_nop 1
	v_cvt_pk_f32_fp8_sdwa v[22:23], v14 src0_sel:WORD_1
	v_cvt_pk_f32_fp8_e32 v[24:25], v15
	v_perm_b32 v14, v47, v46, s5
	v_cvt_pk_f32_fp8_sdwa v[46:47], v15 src0_sel:WORD_1
	v_perm_b32 v15, v23, v22, s5
	v_perm_b32 v52, v25, v24, s5
	ds_read_b128 v[22:25], v50 offset:4096
	v_perm_b32 v53, v47, v46, s5
	ds_read_b128 v[46:49], v50 offset:4112
	s_waitcnt lgkmcnt(1)
	v_mfma_f32_16x16x16_bf16 v[66:69], v[14:15], v[22:23], v[66:69]
	v_perm_b32 v14, v57, v56, s5
	v_perm_b32 v15, v63, v62, s5
	v_cvt_pk_f32_fp8_e32 v[56:57], v17
	v_mfma_f32_16x16x16_bf16 v[66:69], v[52:53], v[24:25], v[66:69]
	v_cvt_pk_f32_fp8_sdwa v[52:53], v17 src0_sel:WORD_1
	v_cvt_pk_f32_fp8_e32 v[62:63], v4
	v_perm_b32 v56, v57, v56, s5
	s_waitcnt lgkmcnt(0)
	v_mfma_f32_16x16x16_bf16 v[14:17], v[14:15], v[46:47], v[66:69]
	v_perm_b32 v57, v53, v52, s5
	v_cvt_pk_f32_fp8_e32 v[52:53], v2
	s_nop 0
	v_mfma_f32_16x16x16_bf16 v[66:69], v[56:57], v[48:49], v[14:17]
	s_nop 2
	v_cvt_pk_f32_fp8_sdwa v[14:15], v2 src0_sel:WORD_1
	v_cvt_pk_f32_fp8_e32 v[16:17], v3
	v_perm_b32 v2, v53, v52, s5
	v_cvt_pk_f32_fp8_sdwa v[52:53], v3 src0_sel:WORD_1
	v_perm_b32 v3, v15, v14, s5
	v_perm_b32 v56, v17, v16, s5
	ds_read_b128 v[14:17], v50 offset:6144
	v_perm_b32 v57, v53, v52, s5
	s_waitcnt lgkmcnt(0)
	v_mfma_f32_16x16x16_bf16 v[66:69], v[2:3], v[14:15], v[66:69]
	ds_read_b128 v[50:53], v50 offset:6160
	v_perm_b32 v2, v63, v62, s5
	v_perm_b32 v3, v71, v70, s5
	v_cvt_pk_f32_fp8_e32 v[62:63], v5
	v_mfma_f32_16x16x16_bf16 v[66:69], v[56:57], v[16:17], v[66:69]
	v_cvt_pk_f32_fp8_sdwa v[56:57], v5 src0_sel:WORD_1
	v_cvt_pk_f32_fp8_e32 v[70:71], v28
	v_perm_b32 v62, v63, v62, s5
	s_waitcnt lgkmcnt(0)
	v_mfma_f32_16x16x16_bf16 v[2:5], v[2:3], v[50:51], v[66:69]
	v_perm_b32 v63, v57, v56, s5
	v_cvt_pk_f32_fp8_sdwa v[56:57], v26 src0_sel:WORD_1
	s_nop 0
	v_mfma_f32_16x16x16_bf16 v[66:69], v[62:63], v[52:53], v[2:5]
	s_barrier
	s_nop 1
	v_cvt_pk_f32_fp8_e32 v[4:5], v26
	s_nop 2
	v_pk_mul_f32 v[62:63], v[66:67], s[4:5] op_sel_hi:[1,0]
	v_cvt_pk_f32_fp8_e32 v[66:67], v27
	v_perm_b32 v4, v5, v4, s5
	v_perm_b32 v5, v57, v56, s5
	v_cvt_pk_f32_fp8_sdwa v[26:27], v27 src0_sel:WORD_1
	v_perm_b32 v56, v67, v66, s5
	v_pk_mul_f32 v[2:3], v[68:69], s[4:5] op_sel_hi:[1,0]
	v_mfma_f32_16x16x16_bf16 v[66:69], v[4:5], v[34:35], 0
	v_perm_b32 v57, v27, v26, s5
	v_perm_b32 v4, v71, v70, s5
	;; [unrolled: 1-line block ×3, first 2 shown]
	v_cvt_pk_f32_fp8_e32 v[34:35], v29
	v_cvt_pk_f32_fp8_sdwa v[70:71], v29 src0_sel:WORD_1
	v_mfma_f32_16x16x16_bf16 v[26:29], v[56:57], v[36:37], v[66:69]
	s_waitcnt vmcnt(2)
	v_cvt_pk_f32_fp8_sdwa v[36:37], v18 src0_sel:WORD_1
	v_perm_b32 v34, v35, v34, s5
	v_perm_b32 v35, v71, v70, s5
	v_mfma_f32_16x16x16_bf16 v[26:29], v[4:5], v[38:39], v[26:29]
	v_cvt_pk_f32_fp8_e32 v[4:5], v18
	v_cvt_pk_f32_fp8_sdwa v[38:39], v20 src0_sel:WORD_1
	v_bfe_u32 v55, v63, 16, 1
	v_mfma_f32_16x16x16_bf16 v[26:29], v[34:35], v[40:41], v[26:29]
	v_cvt_pk_f32_fp8_e32 v[34:35], v19
	v_perm_b32 v4, v5, v4, s5
	v_perm_b32 v5, v37, v36, s5
	v_cvt_pk_f32_fp8_sdwa v[18:19], v19 src0_sel:WORD_1
	v_perm_b32 v34, v35, v34, s5
	v_cvt_pk_f32_fp8_e32 v[36:37], v20
	v_mfma_f32_16x16x16_bf16 v[26:29], v[4:5], v[30:31], v[26:29]
	v_perm_b32 v35, v19, v18, s5
	v_perm_b32 v4, v37, v36, s5
	;; [unrolled: 1-line block ×3, first 2 shown]
	v_cvt_pk_f32_fp8_e32 v[30:31], v21
	v_cvt_pk_f32_fp8_sdwa v[36:37], v21 src0_sel:WORD_1
	v_mfma_f32_16x16x16_bf16 v[18:21], v[34:35], v[32:33], v[26:29]
	v_bfe_u32 v56, v62, 16, 1
	v_add3_u32 v32, v62, v56, s8
	v_add3_u32 v33, v63, v55, s8
	v_perm_b32 v26, v31, v30, s5
	v_perm_b32 v27, v37, v36, s5
	v_mfma_f32_16x16x16_bf16 v[18:21], v[4:5], v[42:43], v[18:21]
	s_waitcnt vmcnt(1)
	v_cvt_pk_f32_fp8_e32 v[4:5], v10
	v_cvt_pk_f32_fp8_sdwa v[28:29], v10 src0_sel:WORD_1
	v_cvt_pk_f32_fp8_sdwa v[30:31], v12 src0_sel:WORD_1
	v_mfma_f32_16x16x16_bf16 v[18:21], v[26:27], v[44:45], v[18:21]
	v_cvt_pk_f32_fp8_e32 v[26:27], v11
	v_perm_b32 v4, v5, v4, s5
	v_perm_b32 v5, v29, v28, s5
	v_cvt_pk_f32_fp8_sdwa v[10:11], v11 src0_sel:WORD_1
	v_perm_b32 v26, v27, v26, s5
	v_cvt_pk_f32_fp8_e32 v[28:29], v12
	v_mfma_f32_16x16x16_bf16 v[18:21], v[4:5], v[22:23], v[18:21]
	v_perm_b32 v27, v11, v10, s5
	v_perm_b32 v4, v29, v28, s5
	;; [unrolled: 1-line block ×3, first 2 shown]
	v_cvt_pk_f32_fp8_e32 v[22:23], v13
	v_cvt_pk_f32_fp8_sdwa v[28:29], v13 src0_sel:WORD_1
	v_mfma_f32_16x16x16_bf16 v[10:13], v[26:27], v[24:25], v[18:21]
	s_waitcnt vmcnt(0)
	v_cvt_pk_f32_fp8_sdwa v[24:25], v8 src0_sel:WORD_1
	s_nop 0
	v_perm_b32 v20, v23, v22, s5
	v_perm_b32 v21, v29, v28, s5
	v_mfma_f32_16x16x16_bf16 v[10:13], v[4:5], v[46:47], v[10:13]
	v_cvt_pk_f32_fp8_e32 v[4:5], v6
	v_cvt_pk_f32_fp8_sdwa v[22:23], v6 src0_sel:WORD_1
	v_bfe_u32 v19, v3, 16, 1
	v_mfma_f32_16x16x16_bf16 v[10:13], v[20:21], v[48:49], v[10:13]
	v_cvt_pk_f32_fp8_e32 v[20:21], v7
	v_perm_b32 v4, v5, v4, s5
	v_perm_b32 v5, v23, v22, s5
	v_cvt_pk_f32_fp8_sdwa v[6:7], v7 src0_sel:WORD_1
	v_perm_b32 v20, v21, v20, s5
	v_cvt_pk_f32_fp8_e32 v[22:23], v8
	v_add3_u32 v3, v3, v19, s8
	v_perm_b32 v21, v7, v6, s5
	v_mfma_f32_16x16x16_bf16 v[4:7], v[4:5], v[14:15], v[10:13]
	v_bfe_u32 v14, v2, 16, 1
	v_add3_u32 v2, v2, v14, s8
	v_perm_b32 v19, v3, v2, s5
	v_perm_b32 v10, v23, v22, s5
	;; [unrolled: 1-line block ×3, first 2 shown]
	v_cvt_pk_f32_fp8_e32 v[12:13], v9
	v_cvt_pk_f32_fp8_sdwa v[8:9], v9 src0_sel:WORD_1
	v_mfma_f32_16x16x16_bf16 v[4:7], v[20:21], v[16:17], v[4:7]
	v_perm_b32 v18, v33, v32, s5
	v_perm_b32 v12, v13, v12, s5
	;; [unrolled: 1-line block ×3, first 2 shown]
	v_mfma_f32_16x16x16_bf16 v[4:7], v[10:11], v[50:51], v[4:7]
	s_nop 0
	v_mfma_f32_16x16x16_bf16 v[2:5], v[12:13], v[52:53], v[4:7]
	s_nop 6
	v_pk_mul_f32 v[2:3], v[2:3], s[4:5] op_sel_hi:[1,0]
	v_pk_mul_f32 v[4:5], v[4:5], s[4:5] op_sel_hi:[1,0]
	v_bfe_u32 v6, v3, 16, 1
	v_bfe_u32 v7, v2, 16, 1
	v_add3_u32 v2, v2, v7, s8
	v_add3_u32 v3, v3, v6, s8
	v_perm_b32 v2, v3, v2, s5
	v_bfe_u32 v3, v5, 16, 1
	v_bfe_u32 v6, v4, 16, 1
	v_add3_u32 v4, v4, v6, s8
	v_add3_u32 v3, v5, v3, s8
	v_perm_b32 v3, v3, v4, s5
	ds_write2st64_b64 v54, v[18:19], v[2:3] offset1:1
	s_waitcnt lgkmcnt(0)
	s_barrier
	s_and_saveexec_b64 s[4:5], vcc
	s_cbranch_execz .LBB1321_18
; %bb.16:
	s_load_dwordx2 s[4:5], s[0:1], 0x68
	s_lshl_b32 s0, s6, 7
	s_mul_i32 s1, s7, s2
	v_lshlrev_b32_e32 v3, 6, v60
	s_mul_hi_u32 s7, s1, s0
	s_mul_i32 s6, s1, s0
	v_lshl_or_b32 v0, v0, 10, v3
	s_lshl_b64 s[6:7], s[6:7], 1
	v_lshlrev_b32_e32 v2, 5, v64
	v_and_b32_e32 v1, 16, v1
	v_and_b32_e32 v0, 0x1a00, v0
	s_waitcnt lgkmcnt(0)
	s_add_u32 s1, s4, s6
	v_or3_b32 v2, v0, v2, v1
	s_addc_u32 s4, s5, s7
	s_lshl_b32 s2, s24, 7
	ds_read_b128 v[4:7], v2 offset:256
	s_lshl_b64 s[2:3], s[2:3], 1
	ds_read_b128 v[8:11], v2 offset:128
	ds_read_b128 v[12:15], v2
	s_add_u32 s2, s1, s2
	s_addc_u32 s3, s4, s3
	v_mov_b32_e32 v59, 0
	v_add_u32_e32 v18, s48, v64
	v_lshl_add_u64 v[0:1], s[2:3], 0, v[58:59]
	v_mad_u64_u32 v[16:17], s[2:3], v18, s0, 0
	v_lshl_add_u64 v[16:17], v[16:17], 1, v[0:1]
	s_waitcnt lgkmcnt(0)
	global_store_dwordx4 v[16:17], v[12:15], off
	v_or_b32_e32 v3, 12, v64
	v_cmp_gt_u32_e32 vcc, 14, v3
	v_add_u32_e32 v12, 4, v18
	v_mad_u64_u32 v[12:13], s[2:3], v12, s0, 0
	v_lshl_add_u64 v[12:13], v[12:13], 1, v[0:1]
	global_store_dwordx4 v[12:13], v[8:11], off
	s_nop 1
	v_add_u32_e32 v8, 8, v18
	v_mad_u64_u32 v[8:9], s[2:3], v8, s0, 0
	v_lshl_add_u64 v[8:9], v[8:9], 1, v[0:1]
	global_store_dwordx4 v[8:9], v[4:7], off
	s_and_b64 exec, exec, vcc
	s_cbranch_execz .LBB1321_18
; %bb.17:
	ds_read_b128 v[4:7], v2 offset:384
	v_add_u32_e32 v2, s48, v3
	v_mad_u64_u32 v[2:3], s[0:1], v2, s0, 0
	v_lshl_add_u64 v[0:1], v[2:3], 1, v[0:1]
	s_waitcnt lgkmcnt(0)
	global_store_dwordx4 v[0:1], v[4:7], off
.LBB1321_18:
	s_endpgm
	.section	.rodata,"a",@progbits
	.p2align	6, 0x0
	.amdhsa_kernel _Z39paged_attention_ll4mi_QKV_mfma16_kernelI14__hip_bfloat16hLN4vllm18Fp8KVCacheDataTypeE1ES0_Li16ELi128ELi256ELb0ELi14EEvPKT_PKT0_S8_ifPKiSA_SA_iPKfiiiPfSD_PS3_PT2_iSC_SC_
		.amdhsa_group_segment_fixed_size 8192
		.amdhsa_private_segment_fixed_size 0
		.amdhsa_kernarg_size 400
		.amdhsa_user_sgpr_count 2
		.amdhsa_user_sgpr_dispatch_ptr 0
		.amdhsa_user_sgpr_queue_ptr 0
		.amdhsa_user_sgpr_kernarg_segment_ptr 1
		.amdhsa_user_sgpr_dispatch_id 0
		.amdhsa_user_sgpr_kernarg_preload_length 0
		.amdhsa_user_sgpr_kernarg_preload_offset 0
		.amdhsa_user_sgpr_private_segment_size 0
		.amdhsa_uses_dynamic_stack 0
		.amdhsa_enable_private_segment 0
		.amdhsa_system_sgpr_workgroup_id_x 1
		.amdhsa_system_sgpr_workgroup_id_y 1
		.amdhsa_system_sgpr_workgroup_id_z 1
		.amdhsa_system_sgpr_workgroup_info 0
		.amdhsa_system_vgpr_workitem_id 0
		.amdhsa_next_free_vgpr 86
		.amdhsa_next_free_sgpr 50
		.amdhsa_accum_offset 88
		.amdhsa_reserve_vcc 1
		.amdhsa_float_round_mode_32 0
		.amdhsa_float_round_mode_16_64 0
		.amdhsa_float_denorm_mode_32 3
		.amdhsa_float_denorm_mode_16_64 3
		.amdhsa_dx10_clamp 1
		.amdhsa_ieee_mode 1
		.amdhsa_fp16_overflow 0
		.amdhsa_tg_split 0
		.amdhsa_exception_fp_ieee_invalid_op 0
		.amdhsa_exception_fp_denorm_src 0
		.amdhsa_exception_fp_ieee_div_zero 0
		.amdhsa_exception_fp_ieee_overflow 0
		.amdhsa_exception_fp_ieee_underflow 0
		.amdhsa_exception_fp_ieee_inexact 0
		.amdhsa_exception_int_div_zero 0
	.end_amdhsa_kernel
	.section	.text._Z39paged_attention_ll4mi_QKV_mfma16_kernelI14__hip_bfloat16hLN4vllm18Fp8KVCacheDataTypeE1ES0_Li16ELi128ELi256ELb0ELi14EEvPKT_PKT0_S8_ifPKiSA_SA_iPKfiiiPfSD_PS3_PT2_iSC_SC_,"axG",@progbits,_Z39paged_attention_ll4mi_QKV_mfma16_kernelI14__hip_bfloat16hLN4vllm18Fp8KVCacheDataTypeE1ES0_Li16ELi128ELi256ELb0ELi14EEvPKT_PKT0_S8_ifPKiSA_SA_iPKfiiiPfSD_PS3_PT2_iSC_SC_,comdat
.Lfunc_end1321:
	.size	_Z39paged_attention_ll4mi_QKV_mfma16_kernelI14__hip_bfloat16hLN4vllm18Fp8KVCacheDataTypeE1ES0_Li16ELi128ELi256ELb0ELi14EEvPKT_PKT0_S8_ifPKiSA_SA_iPKfiiiPfSD_PS3_PT2_iSC_SC_, .Lfunc_end1321-_Z39paged_attention_ll4mi_QKV_mfma16_kernelI14__hip_bfloat16hLN4vllm18Fp8KVCacheDataTypeE1ES0_Li16ELi128ELi256ELb0ELi14EEvPKT_PKT0_S8_ifPKiSA_SA_iPKfiiiPfSD_PS3_PT2_iSC_SC_
                                        ; -- End function
	.section	.AMDGPU.csdata,"",@progbits
; Kernel info:
; codeLenInByte = 6380
; NumSgprs: 56
; NumVgprs: 86
; NumAgprs: 0
; TotalNumVgprs: 86
; ScratchSize: 0
; MemoryBound: 0
; FloatMode: 240
; IeeeMode: 1
; LDSByteSize: 8192 bytes/workgroup (compile time only)
; SGPRBlocks: 6
; VGPRBlocks: 10
; NumSGPRsForWavesPerEU: 56
; NumVGPRsForWavesPerEU: 86
; AccumOffset: 88
; Occupancy: 5
; WaveLimiterHint : 1
; COMPUTE_PGM_RSRC2:SCRATCH_EN: 0
; COMPUTE_PGM_RSRC2:USER_SGPR: 2
; COMPUTE_PGM_RSRC2:TRAP_HANDLER: 0
; COMPUTE_PGM_RSRC2:TGID_X_EN: 1
; COMPUTE_PGM_RSRC2:TGID_Y_EN: 1
; COMPUTE_PGM_RSRC2:TGID_Z_EN: 1
; COMPUTE_PGM_RSRC2:TIDIG_COMP_CNT: 0
; COMPUTE_PGM_RSRC3_GFX90A:ACCUM_OFFSET: 21
; COMPUTE_PGM_RSRC3_GFX90A:TG_SPLIT: 0
	.section	.text._Z39paged_attention_ll4mi_QKV_mfma16_kernelI14__hip_bfloat16hLN4vllm18Fp8KVCacheDataTypeE1ES0_Li16ELi128ELi256ELb0ELi15EEvPKT_PKT0_S8_ifPKiSA_SA_iPKfiiiPfSD_PS3_PT2_iSC_SC_,"axG",@progbits,_Z39paged_attention_ll4mi_QKV_mfma16_kernelI14__hip_bfloat16hLN4vllm18Fp8KVCacheDataTypeE1ES0_Li16ELi128ELi256ELb0ELi15EEvPKT_PKT0_S8_ifPKiSA_SA_iPKfiiiPfSD_PS3_PT2_iSC_SC_,comdat
	.protected	_Z39paged_attention_ll4mi_QKV_mfma16_kernelI14__hip_bfloat16hLN4vllm18Fp8KVCacheDataTypeE1ES0_Li16ELi128ELi256ELb0ELi15EEvPKT_PKT0_S8_ifPKiSA_SA_iPKfiiiPfSD_PS3_PT2_iSC_SC_ ; -- Begin function _Z39paged_attention_ll4mi_QKV_mfma16_kernelI14__hip_bfloat16hLN4vllm18Fp8KVCacheDataTypeE1ES0_Li16ELi128ELi256ELb0ELi15EEvPKT_PKT0_S8_ifPKiSA_SA_iPKfiiiPfSD_PS3_PT2_iSC_SC_
	.globl	_Z39paged_attention_ll4mi_QKV_mfma16_kernelI14__hip_bfloat16hLN4vllm18Fp8KVCacheDataTypeE1ES0_Li16ELi128ELi256ELb0ELi15EEvPKT_PKT0_S8_ifPKiSA_SA_iPKfiiiPfSD_PS3_PT2_iSC_SC_
	.p2align	8
	.type	_Z39paged_attention_ll4mi_QKV_mfma16_kernelI14__hip_bfloat16hLN4vllm18Fp8KVCacheDataTypeE1ES0_Li16ELi128ELi256ELb0ELi15EEvPKT_PKT0_S8_ifPKiSA_SA_iPKfiiiPfSD_PS3_PT2_iSC_SC_,@function
_Z39paged_attention_ll4mi_QKV_mfma16_kernelI14__hip_bfloat16hLN4vllm18Fp8KVCacheDataTypeE1ES0_Li16ELi128ELi256ELb0ELi15EEvPKT_PKT0_S8_ifPKiSA_SA_iPKfiiiPfSD_PS3_PT2_iSC_SC_: ; @_Z39paged_attention_ll4mi_QKV_mfma16_kernelI14__hip_bfloat16hLN4vllm18Fp8KVCacheDataTypeE1ES0_Li16ELi128ELi256ELb0ELi15EEvPKT_PKT0_S8_ifPKiSA_SA_iPKfiiiPfSD_PS3_PT2_iSC_SC_
; %bb.0:
	s_load_dwordx2 s[12:13], s[0:1], 0x30
	s_mov_b32 s24, s3
	s_mov_b64 s[6:7], 0
	s_waitcnt lgkmcnt(0)
	s_cmp_lg_u64 s[12:13], 0
	s_cselect_b64 s[14:15], -1, 0
	s_and_b64 vcc, exec, s[14:15]
	s_cbranch_vccz .LBB1322_7
; %bb.1:
	s_add_i32 s8, s2, 1
	s_mov_b32 s9, 0
	s_lshl_b64 s[10:11], s[8:9], 2
	s_add_u32 s10, s12, s10
	s_mov_b32 s3, s9
	s_addc_u32 s11, s13, s11
	s_lshl_b64 s[8:9], s[2:3], 2
	s_add_u32 s8, s12, s8
	s_addc_u32 s9, s13, s9
	s_load_dword s5, s[10:11], 0x0
	s_load_dword s16, s[8:9], 0x0
	s_waitcnt lgkmcnt(0)
	s_sub_i32 s5, s5, s16
	s_cmp_eq_u32 s5, 1
	s_cselect_b64 s[8:9], -1, 0
	s_andn2_b64 vcc, exec, s[6:7]
	s_cbranch_vccnz .LBB1322_3
.LBB1322_2:
	s_mov_b32 s3, 0
	s_mov_b64 s[8:9], -1
.LBB1322_3:
	s_andn2_b64 vcc, exec, s[8:9]
	s_cbranch_vccnz .LBB1322_18
; %bb.4:
	s_load_dwordx2 s[6:7], s[0:1], 0x28
	s_lshl_b64 s[16:17], s[2:3], 2
	s_waitcnt lgkmcnt(0)
	s_add_u32 s6, s6, s16
	s_addc_u32 s7, s7, s17
	s_load_dword s33, s[6:7], 0x0
	s_lshl_b32 s18, s24, 8
	s_waitcnt lgkmcnt(0)
	s_cmp_ge_i32 s18, s33
	s_cbranch_scc1 .LBB1322_18
; %bb.5:
	s_load_dwordx2 s[6:7], s[0:1], 0x20
	s_load_dword s8, s[0:1], 0x38
	s_add_i32 s5, s33, 15
	s_ashr_i32 s9, s5, 31
	v_and_b32_e32 v1, 0xcf, v0
	s_lshr_b32 s9, s9, 28
	v_add_u32_e32 v1, s18, v1
	s_add_i32 s5, s5, s9
	v_ashrrev_i32_e32 v2, 31, v1
	s_ashr_i32 s5, s5, 4
	v_lshrrev_b32_e32 v10, 28, v2
	s_add_i32 s5, s5, -1
	s_waitcnt lgkmcnt(0)
	s_mul_i32 s8, s2, s8
	s_mov_b32 s9, 0
	v_add_u32_e32 v2, v1, v10
	s_lshl_b64 s[8:9], s[8:9], 2
	v_ashrrev_i32_e32 v2, 4, v2
	v_mov_b32_e32 v11, s5
	v_cmp_gt_i32_e32 vcc, s33, v1
	s_add_u32 s6, s6, s8
	s_addc_u32 s7, s7, s9
	v_cndmask_b32_e32 v2, v11, v2, vcc
	v_ashrrev_i32_e32 v3, 31, v2
	v_lshl_add_u64 v[4:5], v[2:3], 2, s[6:7]
	v_or_b32_e32 v2, 16, v1
	v_add_u32_e32 v3, v2, v10
	v_ashrrev_i32_e32 v3, 4, v3
	v_cmp_gt_i32_e32 vcc, s33, v2
	s_load_dwordx4 s[8:11], s[0:1], 0x8
	s_nop 0
	v_cndmask_b32_e32 v2, v11, v3, vcc
	v_ashrrev_i32_e32 v3, 31, v2
	v_lshl_add_u64 v[6:7], v[2:3], 2, s[6:7]
	v_or_b32_e32 v2, 32, v1
	v_add_u32_e32 v3, v2, v10
	v_ashrrev_i32_e32 v3, 4, v3
	v_cmp_gt_i32_e32 vcc, s33, v2
	v_or_b32_e32 v1, 48, v1
	s_nop 0
	v_cndmask_b32_e32 v2, v11, v3, vcc
	v_ashrrev_i32_e32 v3, 31, v2
	v_lshl_add_u64 v[8:9], v[2:3], 2, s[6:7]
	v_add_u32_e32 v2, v1, v10
	v_ashrrev_i32_e32 v2, 4, v2
	v_cmp_gt_i32_e32 vcc, s33, v1
	s_nop 1
	v_cndmask_b32_e32 v2, v11, v2, vcc
	v_ashrrev_i32_e32 v3, 31, v2
	v_lshl_add_u64 v[10:11], v[2:3], 2, s[6:7]
	global_load_dword v3, v[4:5], off
	global_load_dword v2, v[6:7], off
	;; [unrolled: 1-line block ×4, first 2 shown]
	s_andn2_b64 vcc, exec, s[14:15]
	s_cbranch_vccnz .LBB1322_8
; %bb.6:
	s_add_u32 s12, s12, s16
	s_addc_u32 s13, s13, s17
	s_load_dword s14, s[12:13], 0x0
	s_branch .LBB1322_9
.LBB1322_7:
	s_mov_b64 s[8:9], 0
	s_branch .LBB1322_2
.LBB1322_8:
	s_mov_b32 s14, s2
.LBB1322_9:
	s_load_dwordx4 s[44:47], s[0:1], 0x48
	v_lshrrev_b32_e32 v61, 6, v0
	v_bfe_u32 v64, v0, 4, 2
	v_and_b32_e32 v60, 15, v0
	v_lshl_or_b32 v4, v61, 2, v64
	v_lshlrev_b32_e32 v1, 3, v60
	v_and_b32_e32 v65, 63, v0
	s_mul_i32 s48, s4, 15
	v_cmp_gt_u32_e32 vcc, 15, v4
	v_lshlrev_b32_e32 v58, 1, v1
	v_lshlrev_b32_e32 v1, 4, v0
	s_and_saveexec_b64 s[12:13], vcc
	s_cbranch_execz .LBB1322_11
; %bb.10:
	s_load_dwordx2 s[16:17], s[0:1], 0x0
	s_waitcnt lgkmcnt(0)
	s_ashr_i32 s15, s44, 31
	s_mul_hi_u32 s19, s14, s44
	s_mul_i32 s15, s14, s15
	s_add_i32 s15, s19, s15
	s_mul_i32 s14, s14, s44
	s_lshl_b64 s[14:15], s[14:15], 1
	s_add_u32 s14, s16, s14
	v_add_lshl_u32 v6, v4, s48, 7
	s_addc_u32 s15, s17, s15
	v_ashrrev_i32_e32 v7, 31, v6
	v_lshl_add_u64 v[6:7], v[6:7], 1, s[14:15]
	v_mov_b32_e32 v59, 0
	v_lshl_add_u64 v[6:7], v[6:7], 0, v[58:59]
	global_load_dwordx4 v[6:9], v[6:7], off
	v_lshlrev_b32_e32 v10, 8, v0
	v_lshlrev_b32_e32 v5, 8, v60
	v_and_b32_e32 v10, 0x600, v10
	s_movk_i32 s14, 0x800
	v_and_or_b32 v5, v5, s14, v10
	v_lshlrev_b32_e32 v4, 5, v4
	v_and_b32_e32 v10, 16, v1
	v_or3_b32 v4, v5, v4, v10
	s_waitcnt vmcnt(0)
	ds_write_b128 v4, v[6:9]
.LBB1322_11:
	s_or_b64 exec, exec, s[12:13]
	s_waitcnt lgkmcnt(0)
	s_mul_i32 s4, s4, s46
	s_add_u32 s8, s8, s4
	v_mov_b32_e32 v63, 0
	s_addc_u32 s9, s9, 0
	v_and_b32_e32 v62, 0xf0, v1
	v_and_b32_e32 v6, 48, v0
	v_lshl_add_u64 v[30:31], s[8:9], 0, v[62:63]
	v_lshlrev_b32_e32 v62, 4, v6
	s_waitcnt vmcnt(3)
	v_mad_i64_i32 v[4:5], s[8:9], v3, s45, v[30:31]
	v_lshl_add_u64 v[4:5], v[4:5], 0, v[62:63]
	s_load_dword s25, s[0:1], 0x98
	s_load_dwordx4 s[40:43], s[0:1], 0x80
	s_waitcnt lgkmcnt(0)
	s_barrier
	global_load_dwordx4 v[22:25], v[4:5], off
	global_load_dwordx4 v[14:17], v[4:5], off offset:1024
	s_waitcnt vmcnt(4)
	v_mad_i64_i32 v[2:3], s[8:9], v2, s45, v[30:31]
	v_lshl_add_u64 v[32:33], v[2:3], 0, v[62:63]
	global_load_dwordx4 v[2:5], v[32:33], off
	v_cmp_ne_u32_e32 vcc, 15, v60
	v_or_b32_e32 v6, s18, v6
	v_mov_b32_e32 v38, s5
	v_cndmask_b32_e32 v7, 0, v60, vcc
	v_lshlrev_b32_e32 v7, 5, v7
	v_ashrrev_i32_e32 v8, 4, v6
	v_lshl_or_b32 v7, v64, 9, v7
	v_cmp_gt_i32_e32 vcc, s33, v6
	v_or_b32_e32 v39, 64, v6
	v_or_b32_e32 v43, 0x80, v6
	;; [unrolled: 1-line block ×3, first 2 shown]
	v_cndmask_b32_e32 v40, v38, v8, vcc
	ds_read_b128 v[26:29], v7
	ds_read_b128 v[18:21], v7 offset:16
	ds_read_b128 v[10:13], v7 offset:2048
	ds_read_b128 v[6:9], v7 offset:2064
	s_waitcnt vmcnt(4)
	v_mad_i64_i32 v[36:37], s[12:13], v34, s45, v[30:31]
	s_waitcnt vmcnt(3)
	v_mad_i64_i32 v[34:35], s[12:13], v35, s45, v[30:31]
	global_load_dwordx4 v[30:33], v[32:33], off offset:1024
	v_ashrrev_i32_e32 v42, 4, v39
	v_cmp_gt_i32_e32 vcc, s33, v39
	v_ashrrev_i32_e32 v44, 4, v43
	v_ashrrev_i32_e32 v46, 4, v45
	v_cndmask_b32_e32 v42, v38, v42, vcc
	v_cmp_gt_i32_e32 vcc, s33, v43
	v_ashrrev_i32_e32 v41, 31, v40
	v_lshl_add_u64 v[36:37], v[36:37], 0, v[62:63]
	v_cndmask_b32_e32 v44, v38, v44, vcc
	v_cmp_gt_i32_e32 vcc, s33, v45
	v_lshl_add_u64 v[34:35], v[34:35], 0, v[62:63]
	v_ashrrev_i32_e32 v43, 31, v42
	v_cndmask_b32_e32 v38, v38, v46, vcc
	v_ashrrev_i32_e32 v45, 31, v44
	v_ashrrev_i32_e32 v39, 31, v38
	v_lshl_add_u64 v[50:51], v[40:41], 2, s[6:7]
	v_lshl_add_u64 v[52:53], v[42:43], 2, s[6:7]
	;; [unrolled: 1-line block ×4, first 2 shown]
	global_load_dwordx4 v[46:49], v[36:37], off
	global_load_dwordx4 v[42:45], v[36:37], off offset:1024
	global_load_dwordx4 v[38:41], v[34:35], off
	s_nop 0
	global_load_dwordx4 v[34:37], v[34:35], off offset:1024
	s_nop 0
	global_load_dword v69, v[50:51], off
	global_load_dword v68, v[52:53], off
	;; [unrolled: 1-line block ×4, first 2 shown]
	s_mov_b32 s44, 0x7060302
	s_add_u32 s4, s10, s4
	v_lshl_or_b32 v59, v61, 4, v60
	s_addc_u32 s5, s11, 0
	v_lshlrev_b32_e32 v62, 4, v59
	s_load_dword s8, s[0:1], 0x1c
	s_waitcnt vmcnt(11)
	v_cvt_pk_f32_fp8_e32 v[50:51], v22
	v_cvt_pk_f32_fp8_sdwa v[52:53], v22 src0_sel:WORD_1
	v_cvt_pk_f32_fp8_e32 v[54:55], v23
	v_cvt_pk_f32_fp8_sdwa v[56:57], v23 src0_sel:WORD_1
	v_cvt_pk_f32_fp8_e32 v[70:71], v24
	v_cvt_pk_f32_fp8_sdwa v[72:73], v24 src0_sel:WORD_1
	v_cvt_pk_f32_fp8_e32 v[74:75], v25
	v_cvt_pk_f32_fp8_sdwa v[76:77], v25 src0_sel:WORD_1
	s_waitcnt vmcnt(9)
	v_cvt_pk_f32_fp8_e32 v[22:23], v2
	v_cvt_pk_f32_fp8_sdwa v[24:25], v2 src0_sel:WORD_1
	v_perm_b32 v50, v51, v50, s44
	v_perm_b32 v51, v53, v52, s44
	v_cvt_pk_f32_fp8_e32 v[78:79], v14
	v_cvt_pk_f32_fp8_sdwa v[80:81], v14 src0_sel:WORD_1
	v_cvt_pk_f32_fp8_e32 v[52:53], v15
	v_cvt_pk_f32_fp8_sdwa v[82:83], v15 src0_sel:WORD_1
	v_perm_b32 v14, v23, v22, s44
	v_perm_b32 v15, v25, v24, s44
	;; [unrolled: 1-line block ×4, first 2 shown]
	s_waitcnt lgkmcnt(0)
	v_mfma_f32_16x16x16_bf16 v[22:25], v[50:51], v[26:27], 0
	v_cvt_pk_f32_fp8_e32 v[50:51], v16
	v_cvt_pk_f32_fp8_sdwa v[86:87], v16 src0_sel:WORD_1
	v_perm_b32 v50, v51, v50, s44
	v_mfma_f32_16x16x16_bf16 v[54:57], v[14:15], v[26:27], 0
	v_perm_b32 v14, v71, v70, s44
	v_perm_b32 v15, v73, v72, s44
	v_perm_b32 v72, v75, v74, s44
	v_mfma_f32_16x16x16_bf16 v[22:25], v[84:85], v[28:29], v[22:25]
	v_perm_b32 v73, v77, v76, s44
	v_perm_b32 v76, v79, v78, s44
	;; [unrolled: 1-line block ×3, first 2 shown]
	v_mfma_f32_16x16x16_bf16 v[22:25], v[14:15], v[18:19], v[22:25]
	v_cvt_pk_f32_fp8_e32 v[70:71], v17
	v_cvt_pk_f32_fp8_sdwa v[74:75], v17 src0_sel:WORD_1
	v_perm_b32 v51, v87, v86, s44
	v_mfma_f32_16x16x16_bf16 v[14:17], v[72:73], v[20:21], v[22:25]
	s_waitcnt vmcnt(7)
	v_cvt_pk_f32_fp8_e32 v[72:73], v49
	s_nop 0
	v_perm_b32 v24, v53, v52, s44
	v_perm_b32 v25, v83, v82, s44
	v_mfma_f32_16x16x16_bf16 v[14:17], v[76:77], v[10:11], v[14:17]
	v_cvt_pk_f32_fp8_e32 v[22:23], v3
	v_cvt_pk_f32_fp8_sdwa v[2:3], v3 src0_sel:WORD_1
	v_perm_b32 v52, v71, v70, s44
	v_mfma_f32_16x16x16_bf16 v[14:17], v[24:25], v[12:13], v[14:17]
	v_perm_b32 v53, v75, v74, s44
	v_cvt_pk_f32_fp8_e32 v[24:25], v4
	v_cvt_pk_f32_fp8_sdwa v[70:71], v4 src0_sel:WORD_1
	v_mfma_f32_16x16x16_bf16 v[14:17], v[50:51], v[6:7], v[14:17]
	v_perm_b32 v22, v23, v22, s44
	v_perm_b32 v23, v3, v2, s44
	s_waitcnt vmcnt(6)
	v_cvt_pk_f32_fp8_sdwa v[76:77], v44 src0_sel:WORD_1
	v_mfma_f32_16x16x16_bf16 v[50:53], v[52:53], v[8:9], v[14:17]
	s_nop 2
	v_perm_b32 v14, v25, v24, s44
	v_perm_b32 v15, v71, v70, s44
	v_cvt_pk_f32_fp8_e32 v[16:17], v5
	v_cvt_pk_f32_fp8_sdwa v[24:25], v5 src0_sel:WORD_1
	v_mfma_f32_16x16x16_bf16 v[2:5], v[22:23], v[28:29], v[54:57]
	v_cvt_pk_f32_fp8_sdwa v[22:23], v30 src0_sel:WORD_1
	v_perm_b32 v16, v17, v16, s44
	v_perm_b32 v17, v25, v24, s44
	v_mfma_f32_16x16x16_bf16 v[2:5], v[14:15], v[18:19], v[2:5]
	v_cvt_pk_f32_fp8_e32 v[14:15], v30
	v_cvt_pk_f32_fp8_e32 v[24:25], v32
	v_lshl_add_u64 v[70:71], s[4:5], 0, v[62:63]
	v_mfma_f32_16x16x16_bf16 v[2:5], v[16:17], v[20:21], v[2:5]
	v_cvt_pk_f32_fp8_e32 v[16:17], v31
	v_perm_b32 v14, v15, v14, s44
	v_perm_b32 v15, v23, v22, s44
	v_cvt_pk_f32_fp8_sdwa v[22:23], v31 src0_sel:WORD_1
	v_perm_b32 v16, v17, v16, s44
	v_cvt_pk_f32_fp8_sdwa v[30:31], v32 src0_sel:WORD_1
	v_mfma_f32_16x16x16_bf16 v[2:5], v[14:15], v[10:11], v[2:5]
	v_perm_b32 v17, v23, v22, s44
	v_perm_b32 v14, v25, v24, s44
	;; [unrolled: 1-line block ×3, first 2 shown]
	v_cvt_pk_f32_fp8_e32 v[22:23], v33
	v_cvt_pk_f32_fp8_sdwa v[24:25], v33 src0_sel:WORD_1
	v_mfma_f32_16x16x16_bf16 v[2:5], v[16:17], v[12:13], v[2:5]
	v_or_b32_e32 v62, 0x400, v62
	v_perm_b32 v16, v23, v22, s44
	v_perm_b32 v17, v25, v24, s44
	v_mfma_f32_16x16x16_bf16 v[2:5], v[14:15], v[6:7], v[2:5]
	v_cvt_pk_f32_fp8_e32 v[14:15], v46
	v_cvt_pk_f32_fp8_sdwa v[22:23], v46 src0_sel:WORD_1
	v_cvt_pk_f32_fp8_sdwa v[24:25], v48 src0_sel:WORD_1
	v_mfma_f32_16x16x16_bf16 v[54:57], v[16:17], v[8:9], v[2:5]
	s_waitcnt vmcnt(3)
	v_mad_i64_i32 v[16:17], s[6:7], v69, s45, v[70:71]
	s_nop 0
	v_perm_b32 v2, v15, v14, s44
	v_perm_b32 v3, v23, v22, s44
	v_cvt_pk_f32_fp8_e32 v[4:5], v47
	v_cvt_pk_f32_fp8_sdwa v[14:15], v47 src0_sel:WORD_1
	s_waitcnt vmcnt(2)
	v_mad_i64_i32 v[46:47], s[6:7], v68, s45, v[70:71]
	v_perm_b32 v22, v5, v4, s44
	v_perm_b32 v23, v15, v14, s44
	v_cvt_pk_f32_fp8_e32 v[14:15], v48
	v_mfma_f32_16x16x16_bf16 v[2:5], v[2:3], v[26:27], 0
	v_cvt_pk_f32_fp8_sdwa v[48:49], v49 src0_sel:WORD_1
	v_perm_b32 v14, v15, v14, s44
	v_perm_b32 v15, v25, v24, s44
	v_mfma_f32_16x16x16_bf16 v[2:5], v[22:23], v[28:29], v[2:5]
	global_load_dwordx4 v[30:33], v[16:17], off
	global_load_dwordx4 v[22:25], v[46:47], off
	v_perm_b32 v16, v73, v72, s44
	v_perm_b32 v17, v49, v48, s44
	v_mfma_f32_16x16x16_bf16 v[2:5], v[14:15], v[18:19], v[2:5]
	v_cvt_pk_f32_fp8_e32 v[14:15], v42
	v_cvt_pk_f32_fp8_sdwa v[46:47], v42 src0_sel:WORD_1
	s_waitcnt vmcnt(3)
	v_mad_i64_i32 v[72:73], s[6:7], v67, s45, v[70:71]
	v_mfma_f32_16x16x16_bf16 v[2:5], v[16:17], v[20:21], v[2:5]
	v_perm_b32 v14, v15, v14, s44
	v_perm_b32 v15, v47, v46, s44
	v_cvt_pk_f32_fp8_e32 v[16:17], v43
	v_cvt_pk_f32_fp8_sdwa v[42:43], v43 src0_sel:WORD_1
	v_mfma_f32_16x16x16_bf16 v[46:49], v[14:15], v[10:11], v[2:5]
	v_perm_b32 v74, v17, v16, s44
	v_perm_b32 v75, v43, v42, s44
	v_cvt_pk_f32_fp8_e32 v[42:43], v44
	s_waitcnt vmcnt(2)
	v_mad_i64_i32 v[70:71], s[6:7], v66, s45, v[70:71]
	global_load_dwordx4 v[14:17], v[72:73], off
	global_load_dwordx4 v[2:5], v[70:71], off
	v_perm_b32 v70, v43, v42, s44
	v_perm_b32 v71, v77, v76, s44
	v_cvt_pk_f32_fp8_e32 v[72:73], v45
	v_cvt_pk_f32_fp8_sdwa v[76:77], v45 src0_sel:WORD_1
	v_mfma_f32_16x16x16_bf16 v[44:47], v[74:75], v[12:13], v[46:49]
	v_lshl_add_u64 v[42:43], s[4:5], 0, v[62:63]
	v_cvt_pk_f32_fp8_e32 v[62:63], v38
	s_load_dword s4, s[40:41], 0x0
	v_perm_b32 v48, v73, v72, s44
	v_perm_b32 v49, v77, v76, s44
	v_mfma_f32_16x16x16_bf16 v[44:47], v[70:71], v[6:7], v[44:47]
	v_cvt_pk_f32_fp8_sdwa v[70:71], v38 src0_sel:WORD_1
	v_perm_b32 v62, v63, v62, s44
	v_cvt_pk_f32_fp8_e32 v[74:75], v40
	v_mfma_f32_16x16x16_bf16 v[46:49], v[48:49], v[8:9], v[44:47]
	v_perm_b32 v63, v71, v70, s44
	v_cvt_pk_f32_fp8_sdwa v[76:77], v40 src0_sel:WORD_1
	s_mov_b32 s40, 0xff7fffff
	v_cvt_pk_f32_fp8_e32 v[44:45], v39
	v_cvt_pk_f32_fp8_sdwa v[38:39], v39 src0_sel:WORD_1
	v_mfma_f32_16x16x16_bf16 v[70:73], v[62:63], v[26:27], 0
	v_cvt_pk_f32_fp8_e32 v[62:63], v41
	v_perm_b32 v44, v45, v44, s44
	v_perm_b32 v45, v39, v38, s44
	;; [unrolled: 1-line block ×4, first 2 shown]
	v_cvt_pk_f32_fp8_sdwa v[40:41], v41 src0_sel:WORD_1
	v_mov_b32_e32 v26, s8
	s_waitcnt lgkmcnt(0)
	v_mul_f32_e32 v74, s4, v26
	v_mfma_f32_16x16x16_bf16 v[26:29], v[44:45], v[28:29], v[70:73]
	v_pk_mul_f32 v[44:45], v[74:75], v[52:53] op_sel_hi:[0,1]
	v_perm_b32 v52, v63, v62, s44
	v_perm_b32 v53, v41, v40, s44
	v_mfma_f32_16x16x16_bf16 v[26:29], v[38:39], v[18:19], v[26:29]
	v_cvt_pk_f32_fp8_e32 v[18:19], v34
	v_cvt_pk_f32_fp8_sdwa v[38:39], v34 src0_sel:WORD_1
	v_pk_mul_f32 v[50:51], v[74:75], v[50:51] op_sel_hi:[0,1]
	v_mfma_f32_16x16x16_bf16 v[26:29], v[52:53], v[20:21], v[26:29]
	v_perm_b32 v20, v19, v18, s44
	v_perm_b32 v21, v39, v38, s44
	v_cvt_pk_f32_fp8_e32 v[38:39], v35
	v_cvt_pk_f32_fp8_sdwa v[34:35], v35 src0_sel:WORD_1
	v_mfma_f32_16x16x16_bf16 v[26:29], v[20:21], v[10:11], v[26:29]
	v_perm_b32 v38, v39, v38, s44
	v_perm_b32 v39, v35, v34, s44
	v_cvt_pk_f32_fp8_e32 v[10:11], v36
	v_cvt_pk_f32_fp8_sdwa v[20:21], v36 src0_sel:WORD_1
	v_pk_mul_f32 v[52:53], v[74:75], v[54:55] op_sel_hi:[0,1]
	v_pk_mul_f32 v[34:35], v[74:75], v[56:57] op_sel_hi:[0,1]
	v_perm_b32 v40, v11, v10, s44
	v_perm_b32 v41, v21, v20, s44
	v_cvt_pk_f32_fp8_e32 v[20:21], v37
	v_cvt_pk_f32_fp8_sdwa v[36:37], v37 src0_sel:WORD_1
	v_mfma_f32_16x16x16_bf16 v[10:13], v[38:39], v[12:13], v[26:29]
	v_pk_mul_f32 v[46:47], v[74:75], v[46:47] op_sel_hi:[0,1]
	v_perm_b32 v20, v21, v20, s44
	v_perm_b32 v21, v37, v36, s44
	v_mfma_f32_16x16x16_bf16 v[10:13], v[40:41], v[6:7], v[10:13]
	v_pk_mul_f32 v[40:41], v[74:75], v[48:49] op_sel_hi:[0,1]
	v_mad_i64_i32 v[18:19], s[4:5], v69, s45, v[42:43]
	v_mfma_f32_16x16x16_bf16 v[6:9], v[20:21], v[8:9], v[10:13]
	v_mad_i64_i32 v[62:63], s[4:5], v68, s45, v[42:43]
	global_load_dwordx4 v[26:29], v[18:19], off
	s_nop 0
	global_load_dwordx4 v[18:21], v[62:63], off
	s_nop 2
	v_pk_mul_f32 v[48:49], v[74:75], v[6:7] op_sel_hi:[0,1]
	v_and_b32_e32 v6, 0xc0, v0
	v_add_u32_e32 v6, s18, v6
	v_lshl_or_b32 v6, v64, 2, v6
	v_pk_mul_f32 v[38:39], v[74:75], v[8:9] op_sel_hi:[0,1]
	v_or_b32_e32 v9, 1, v6
	v_mov_b32_e32 v7, 0xff7fffff
	v_cmp_gt_i32_e64 s[26:27], s33, v6
	v_cmp_gt_i32_e64 s[28:29], s33, v9
	v_or_b32_e32 v10, 3, v6
	v_cndmask_b32_e64 v8, v7, v50, s[26:27]
	v_cndmask_b32_e64 v9, v7, v51, s[28:29]
	v_max3_f32 v8, v8, s40, v9
	v_or_b32_e32 v9, 2, v6
	v_cmp_gt_i32_e64 s[30:31], s33, v9
	v_cmp_gt_i32_e64 s[34:35], s33, v10
	s_nop 0
	v_cndmask_b32_e64 v9, v7, v44, s[30:31]
	v_cndmask_b32_e64 v10, v7, v45, s[34:35]
	v_max3_f32 v8, v8, v9, v10
	v_or_b32_e32 v9, 16, v6
	v_or_b32_e32 v10, 17, v6
	v_cmp_gt_i32_e64 s[18:19], s33, v9
	v_cmp_gt_i32_e64 s[20:21], s33, v10
	s_nop 0
	v_cndmask_b32_e64 v9, v7, v52, s[18:19]
	v_cndmask_b32_e64 v10, v7, v53, s[20:21]
	v_max3_f32 v8, v8, v9, v10
	v_or_b32_e32 v9, 18, v6
	;; [unrolled: 8-line block ×5, first 2 shown]
	v_or_b32_e32 v10, 49, v6
	v_cmp_gt_i32_e32 vcc, s33, v9
	v_cmp_gt_i32_e64 s[4:5], s33, v10
	s_nop 0
	v_cndmask_b32_e32 v9, v7, v48, vcc
	v_cndmask_b32_e64 v10, v7, v49, s[4:5]
	v_max3_f32 v8, v8, v9, v10
	v_or_b32_e32 v9, 50, v6
	v_or_b32_e32 v6, 51, v6
	v_cmp_gt_i32_e64 s[6:7], s33, v9
	v_cmp_gt_i32_e64 s[8:9], s33, v6
	s_nop 0
	v_cndmask_b32_e64 v9, v7, v38, s[6:7]
	v_cndmask_b32_e64 v6, v7, v39, s[8:9]
	v_max3_f32 v8, v8, v9, v6
	v_mbcnt_lo_u32_b32 v6, -1, 0
	v_mbcnt_hi_u32_b32 v9, -1, v6
	v_and_b32_e32 v6, 64, v9
	v_add_u32_e32 v10, 64, v6
	v_xor_b32_e32 v6, 32, v9
	v_cmp_lt_i32_e64 s[38:39], v6, v10
	s_nop 1
	v_cndmask_b32_e64 v6, v9, v6, s[38:39]
	v_lshlrev_b32_e32 v55, 2, v6
	ds_bpermute_b32 v11, v55, v8
	v_mad_i64_i32 v[6:7], s[38:39], v67, s45, v[42:43]
	s_waitcnt lgkmcnt(0)
	v_max_f32_e32 v11, v11, v11
	v_max_f32_e32 v36, v8, v11
	v_xor_b32_e32 v8, 16, v9
	v_cmp_lt_i32_e64 s[38:39], v8, v10
	s_nop 1
	v_cndmask_b32_e64 v8, v9, v8, s[38:39]
	v_lshlrev_b32_e32 v56, 2, v8
	v_mad_i64_i32 v[8:9], s[38:39], v66, s45, v[42:43]
	global_load_dwordx4 v[10:13], v[6:7], off
	s_nop 0
	global_load_dwordx4 v[6:9], v[8:9], off
	ds_bpermute_b32 v37, v56, v36
	s_waitcnt lgkmcnt(0)
	s_barrier
	v_max_f32_e32 v37, v37, v37
	v_max_f32_e32 v54, v36, v37
	v_sub_f32_e32 v42, v44, v54
	v_mul_f32_e32 v42, 0x3fb8aa3b, v42
	v_exp_f32_e32 v42, v42
	v_sub_f32_e32 v43, v45, v54
	v_mul_f32_e32 v43, 0x3fb8aa3b, v43
	v_exp_f32_e32 v43, v43
	v_cndmask_b32_e64 v44, 0, v42, s[30:31]
	v_sub_f32_e32 v42, v52, v54
	v_sub_f32_e32 v34, v34, v54
	v_mul_f32_e32 v42, 0x3fb8aa3b, v42
	v_mul_f32_e32 v34, 0x3fb8aa3b, v34
	v_sub_f32_e32 v36, v50, v54
	v_exp_f32_e32 v42, v42
	v_exp_f32_e32 v50, v34
	v_cndmask_b32_e64 v45, 0, v43, s[34:35]
	v_sub_f32_e32 v43, v53, v54
	v_sub_f32_e32 v34, v35, v54
	;; [unrolled: 1-line block ×4, first 2 shown]
	v_mul_f32_e32 v43, 0x3fb8aa3b, v43
	v_mul_f32_e32 v34, 0x3fb8aa3b, v34
	;; [unrolled: 1-line block ×4, first 2 shown]
	v_sub_f32_e32 v37, v51, v54
	v_exp_f32_e32 v43, v43
	v_exp_f32_e32 v51, v34
	v_cndmask_b32_e64 v34, 0, v42, s[18:19]
	v_cndmask_b32_e64 v42, 0, v50, s[22:23]
	v_exp_f32_e32 v46, v46
	v_exp_f32_e32 v50, v40
	v_mul_f32_e32 v36, 0x3fb8aa3b, v36
	v_sub_f32_e32 v47, v47, v54
	v_sub_f32_e32 v40, v41, v54
	;; [unrolled: 1-line block ×4, first 2 shown]
	v_exp_f32_e32 v36, v36
	v_mul_f32_e32 v37, 0x3fb8aa3b, v37
	v_mul_f32_e32 v47, 0x3fb8aa3b, v47
	;; [unrolled: 1-line block ×5, first 2 shown]
	v_exp_f32_e32 v37, v37
	v_cndmask_b32_e64 v35, 0, v43, s[20:21]
	v_cndmask_b32_e64 v43, 0, v51, s[36:37]
	v_exp_f32_e32 v47, v47
	v_exp_f32_e32 v51, v40
	v_cndmask_b32_e64 v40, 0, v46, s[10:11]
	v_cndmask_b32_e64 v46, 0, v50, s[14:15]
	v_exp_f32_e32 v48, v48
	v_exp_f32_e32 v50, v38
	v_sub_f32_e32 v38, v39, v54
	v_cndmask_b32_e64 v36, 0, v36, s[26:27]
	v_mul_f32_e32 v38, 0x3fb8aa3b, v38
	v_cndmask_b32_e64 v37, 0, v37, s[28:29]
	v_cndmask_b32_e64 v41, 0, v47, s[12:13]
	;; [unrolled: 1-line block ×3, first 2 shown]
	v_exp_f32_e32 v51, v38
	v_cndmask_b32_e32 v38, 0, v48, vcc
	v_cndmask_b32_e64 v48, 0, v50, s[6:7]
	v_add_f32_e32 v50, 0, v36
	v_add_f32_e32 v50, v50, v37
	;; [unrolled: 1-line block ×6, first 2 shown]
	v_sub_f32_e32 v49, v49, v54
	v_add_f32_e32 v50, v50, v42
	v_mul_f32_e32 v49, 0x3fb8aa3b, v49
	v_add_f32_e32 v50, v50, v43
	v_exp_f32_e32 v49, v49
	v_add_f32_e32 v50, v50, v40
	v_add_f32_e32 v50, v50, v41
	;; [unrolled: 1-line block ×4, first 2 shown]
	v_cndmask_b32_e64 v39, 0, v49, s[4:5]
	v_add_f32_e32 v50, v50, v38
	v_add_f32_e32 v50, v50, v39
	v_cndmask_b32_e64 v49, 0, v51, s[8:9]
	v_add_f32_e32 v50, v50, v48
	v_add_f32_e32 v50, v50, v49
	ds_bpermute_b32 v51, v55, v50
	v_cmp_gt_u32_e32 vcc, 16, v65
	s_waitcnt lgkmcnt(0)
	v_add_f32_e32 v50, v50, v51
	ds_bpermute_b32 v51, v56, v50
	s_and_saveexec_b64 s[4:5], vcc
	s_cbranch_execz .LBB1322_13
; %bb.12:
	s_waitcnt lgkmcnt(0)
	v_add_f32_e32 v50, v50, v51
	v_lshlrev_b32_e32 v51, 2, v59
	ds_write2st64_b32 v51, v54, v50 offset1:1
.LBB1322_13:
	s_or_b64 exec, exec, s[4:5]
	s_waitcnt lgkmcnt(0)
	v_lshlrev_b32_e32 v51, 2, v60
	s_load_dword s6, s[0:1], 0x94
	s_waitcnt lgkmcnt(0)
	s_barrier
	ds_read2_b32 v[52:53], v51 offset1:16
	ds_read2_b32 v[54:55], v51 offset0:32 offset1:48
	ds_read2_b32 v[56:57], v51 offset0:64 offset1:80
	s_movk_i32 s8, 0x7fff
	s_mul_i32 s7, s25, 15
	s_waitcnt lgkmcnt(2)
	v_max3_f32 v50, v52, s40, v53
	s_waitcnt lgkmcnt(1)
	v_max3_f32 v50, v50, v54, v55
	v_sub_f32_e32 v52, v52, v50
	v_mul_f32_e32 v52, 0x3fb8aa3b, v52
	v_exp_f32_e32 v59, v52
	v_sub_f32_e32 v52, v53, v50
	v_mul_f32_e32 v52, 0x3fb8aa3b, v52
	v_exp_f32_e32 v62, v52
	;; [unrolled: 3-line block ×3, first 2 shown]
	ds_read2_b32 v[52:53], v51 offset0:96 offset1:112
	v_sub_f32_e32 v51, v55, v50
	v_mul_f32_e32 v51, 0x3fb8aa3b, v51
	v_exp_f32_e32 v55, v51
	s_waitcnt lgkmcnt(1)
	v_fma_f32 v51, v59, v56, 0
	v_fmac_f32_e32 v51, v62, v57
	s_waitcnt lgkmcnt(0)
	v_fmac_f32_e32 v51, v54, v52
	v_fmac_f32_e32 v51, v55, v53
	v_add_f32_e32 v52, 0x358637bd, v51
	v_div_scale_f32 v53, s[4:5], v52, v52, 1.0
	v_rcp_f32_e32 v56, v53
	s_barrier
	v_fma_f32 v57, -v53, v56, 1.0
	v_fmac_f32_e32 v56, v57, v56
	v_div_scale_f32 v57, vcc, 1.0, v52, 1.0
	v_mul_f32_e32 v63, v57, v56
	v_fma_f32 v65, -v53, v63, v57
	v_fmac_f32_e32 v63, v65, v56
	v_fma_f32 v53, -v53, v63, v57
	v_div_fmas_f32 v53, v53, v56, v63
	v_cmp_eq_u32_e32 vcc, 1, v61
	v_div_fixup_f32 v52, v53, v52, 1.0
	s_nop 0
	v_cndmask_b32_e32 v53, v59, v62, vcc
	v_cmp_eq_u32_e32 vcc, 2, v61
	s_nop 1
	v_cndmask_b32_e32 v53, v53, v54, vcc
	v_cmp_eq_u32_e32 vcc, 3, v61
	s_nop 1
	v_cndmask_b32_e32 v53, v53, v55, vcc
	v_mul_f32_e32 v52, v53, v52
	v_pk_mul_f32 v[36:37], v[52:53], v[36:37] op_sel_hi:[0,1]
	v_pk_mul_f32 v[44:45], v[52:53], v[44:45] op_sel_hi:[0,1]
	v_bfe_u32 v53, v37, 16, 1
	v_bfe_u32 v54, v36, 16, 1
	v_add3_u32 v36, v36, v54, s8
	v_add3_u32 v37, v37, v53, s8
	v_perm_b32 v56, v37, v36, s44
	v_bfe_u32 v36, v45, 16, 1
	v_bfe_u32 v37, v44, 16, 1
	v_add3_u32 v37, v44, v37, s8
	v_add3_u32 v36, v45, v36, s8
	v_perm_b32 v57, v36, v37, s44
	v_lshlrev_b32_e32 v37, 3, v64
	v_lshlrev_b32_e32 v36, 5, v60
	;; [unrolled: 1-line block ×3, first 2 shown]
	v_pk_mul_f32 v[34:35], v[52:53], v[34:35] op_sel_hi:[0,1]
	v_or3_b32 v54, v44, v36, v37
	v_bfe_u32 v37, v35, 16, 1
	v_bfe_u32 v44, v34, 16, 1
	v_pk_mul_f32 v[42:43], v[52:53], v[42:43] op_sel_hi:[0,1]
	v_add3_u32 v34, v34, v44, s8
	v_add3_u32 v35, v35, v37, s8
	v_perm_b32 v34, v35, v34, s44
	v_bfe_u32 v35, v43, 16, 1
	v_bfe_u32 v37, v42, 16, 1
	v_add3_u32 v37, v42, v37, s8
	v_add3_u32 v35, v43, v35, s8
	v_pk_mul_f32 v[40:41], v[52:53], v[40:41] op_sel_hi:[0,1]
	v_perm_b32 v35, v35, v37, s44
	v_bfe_u32 v37, v41, 16, 1
	v_bfe_u32 v42, v40, 16, 1
	ds_write2st64_b64 v54, v[56:57], v[34:35] offset1:1
	v_pk_mul_f32 v[34:35], v[52:53], v[46:47] op_sel_hi:[0,1]
	v_add3_u32 v40, v40, v42, s8
	v_add3_u32 v37, v41, v37, s8
	v_perm_b32 v40, v37, v40, s44
	v_bfe_u32 v37, v35, 16, 1
	v_bfe_u32 v41, v34, 16, 1
	v_pk_mul_f32 v[38:39], v[52:53], v[38:39] op_sel_hi:[0,1]
	v_add3_u32 v34, v34, v41, s8
	v_add3_u32 v35, v35, v37, s8
	v_bfe_u32 v37, v39, 16, 1
	v_bfe_u32 v42, v38, 16, 1
	v_perm_b32 v41, v35, v34, s44
	v_pk_mul_f32 v[34:35], v[52:53], v[48:49] op_sel_hi:[0,1]
	v_add3_u32 v38, v38, v42, s8
	v_add3_u32 v37, v39, v37, s8
	v_perm_b32 v38, v37, v38, s44
	v_bfe_u32 v37, v35, 16, 1
	v_bfe_u32 v39, v34, 16, 1
	v_add3_u32 v34, v34, v39, s8
	v_add3_u32 v35, v35, v37, s8
	v_perm_b32 v39, v35, v34, s44
	v_cmp_gt_u32_e32 vcc, 15, v0
	ds_write2st64_b64 v54, v[40:41], v[38:39] offset0:2 offset1:3
	s_and_saveexec_b64 s[4:5], vcc
	s_cbranch_execz .LBB1322_15
; %bb.14:
	s_mov_b32 s49, 0
	v_mov_b32_e32 v61, 0
	v_lshl_add_u64 v[34:35], s[48:49], 0, v[60:61]
	v_mov_b32_e32 v37, s7
	v_mad_u64_u32 v[34:35], s[10:11], s2, v37, v[34:35]
	s_mul_i32 s3, s3, s7
	v_mov_b32_e32 v38, s24
	v_mov_b32_e32 v39, v61
	s_load_dwordx4 s[12:15], s[0:1], 0x58
	v_add_u32_e32 v37, s3, v35
	v_mad_u64_u32 v[34:35], s[10:11], v34, s6, v[38:39]
	v_mov_b32_e32 v38, v35
	v_mad_u64_u32 v[38:39], s[10:11], v37, s6, v[38:39]
	v_mov_b32_e32 v35, v38
	v_lshlrev_b64 v[34:35], 2, v[34:35]
	s_waitcnt lgkmcnt(0)
	v_lshl_add_u64 v[38:39], s[14:15], 0, v[34:35]
	v_lshl_add_u64 v[34:35], s[12:13], 0, v[34:35]
	global_store_dword v[38:39], v50, off
	global_store_dword v[34:35], v51, off
.LBB1322_15:
	s_or_b64 exec, exec, s[4:5]
	v_lshl_or_b32 v50, v64, 9, v36
	s_waitcnt vmcnt(7)
	v_cvt_pk_f32_fp8_e32 v[34:35], v30
	v_cvt_pk_f32_fp8_sdwa v[36:37], v30 src0_sel:WORD_1
	s_mov_b32 s5, 0x7060302
	s_waitcnt lgkmcnt(0)
	s_barrier
	v_cvt_pk_f32_fp8_e32 v[38:39], v31
	v_perm_b32 v30, v35, v34, s5
	v_cvt_pk_f32_fp8_sdwa v[40:41], v31 src0_sel:WORD_1
	v_perm_b32 v31, v37, v36, s5
	ds_read_b128 v[34:37], v50
	v_perm_b32 v46, v39, v38, s5
	v_perm_b32 v47, v41, v40, s5
	ds_read_b128 v[38:41], v50 offset:16
	v_cvt_pk_f32_fp8_e32 v[48:49], v32
	v_cvt_pk_f32_fp8_sdwa v[52:53], v32 src0_sel:WORD_1
	s_waitcnt lgkmcnt(1)
	v_mfma_f32_16x16x16_bf16 v[42:45], v[30:31], v[34:35], 0
	s_waitcnt vmcnt(6)
	v_cvt_pk_f32_fp8_e32 v[56:57], v24
	v_perm_b32 v30, v49, v48, s5
	v_perm_b32 v31, v53, v52, s5
	v_cvt_pk_f32_fp8_e32 v[48:49], v33
	v_mfma_f32_16x16x16_bf16 v[42:45], v[46:47], v[36:37], v[42:45]
	v_cvt_pk_f32_fp8_sdwa v[46:47], v33 src0_sel:WORD_1
	v_cvt_pk_f32_fp8_sdwa v[62:63], v24 src0_sel:WORD_1
	v_perm_b32 v48, v49, v48, s5
	s_waitcnt lgkmcnt(0)
	v_mfma_f32_16x16x16_bf16 v[30:33], v[30:31], v[38:39], v[42:45]
	v_perm_b32 v49, v47, v46, s5
	s_waitcnt vmcnt(4)
	v_cvt_pk_f32_fp8_sdwa v[70:71], v4 src0_sel:WORD_1
	s_load_dword s4, s[42:43], 0x0
	v_cvt_pk_f32_fp8_e32 v[42:43], v22
	v_mfma_f32_16x16x16_bf16 v[46:49], v[48:49], v[40:41], v[30:33]
	s_waitcnt vmcnt(3)
	v_cvt_pk_f32_fp8_sdwa v[72:73], v28 src0_sel:WORD_1
	s_mov_b32 s3, 0
	v_cvt_pk_f32_fp8_sdwa v[30:31], v22 src0_sel:WORD_1
	v_cvt_pk_f32_fp8_e32 v[32:33], v23
	v_perm_b32 v22, v43, v42, s5
	v_cvt_pk_f32_fp8_sdwa v[42:43], v23 src0_sel:WORD_1
	v_perm_b32 v23, v31, v30, s5
	v_perm_b32 v52, v33, v32, s5
	ds_read_b128 v[30:33], v50 offset:2048
	v_perm_b32 v53, v43, v42, s5
	ds_read_b128 v[42:45], v50 offset:2064
	s_waitcnt lgkmcnt(0)
	v_mfma_f32_16x16x16_bf16 v[46:49], v[22:23], v[30:31], v[46:49]
	v_perm_b32 v22, v57, v56, s5
	v_perm_b32 v23, v63, v62, s5
	v_cvt_pk_f32_fp8_e32 v[56:57], v25
	v_mfma_f32_16x16x16_bf16 v[46:49], v[52:53], v[32:33], v[46:49]
	v_cvt_pk_f32_fp8_sdwa v[52:53], v25 src0_sel:WORD_1
	v_cvt_pk_f32_fp8_sdwa v[62:63], v16 src0_sel:WORD_1
	v_perm_b32 v56, v57, v56, s5
	v_mfma_f32_16x16x16_bf16 v[22:25], v[22:23], v[42:43], v[46:49]
	v_perm_b32 v57, v53, v52, s5
	v_cmp_gt_u32_e32 vcc, 64, v0
	s_nop 0
	v_cvt_pk_f32_fp8_e32 v[46:47], v14
	v_mfma_f32_16x16x16_bf16 v[66:69], v[56:57], v[44:45], v[22:25]
	v_cvt_pk_f32_fp8_e32 v[56:57], v16
	s_nop 1
	v_cvt_pk_f32_fp8_sdwa v[22:23], v14 src0_sel:WORD_1
	v_cvt_pk_f32_fp8_e32 v[24:25], v15
	v_perm_b32 v14, v47, v46, s5
	v_cvt_pk_f32_fp8_sdwa v[46:47], v15 src0_sel:WORD_1
	v_perm_b32 v15, v23, v22, s5
	v_perm_b32 v52, v25, v24, s5
	ds_read_b128 v[22:25], v50 offset:4096
	v_perm_b32 v53, v47, v46, s5
	ds_read_b128 v[46:49], v50 offset:4112
	s_waitcnt lgkmcnt(1)
	v_mfma_f32_16x16x16_bf16 v[66:69], v[14:15], v[22:23], v[66:69]
	v_perm_b32 v14, v57, v56, s5
	v_perm_b32 v15, v63, v62, s5
	v_cvt_pk_f32_fp8_e32 v[56:57], v17
	v_mfma_f32_16x16x16_bf16 v[66:69], v[52:53], v[24:25], v[66:69]
	v_cvt_pk_f32_fp8_sdwa v[52:53], v17 src0_sel:WORD_1
	v_cvt_pk_f32_fp8_e32 v[62:63], v4
	v_perm_b32 v56, v57, v56, s5
	s_waitcnt lgkmcnt(0)
	v_mfma_f32_16x16x16_bf16 v[14:17], v[14:15], v[46:47], v[66:69]
	v_perm_b32 v57, v53, v52, s5
	v_cvt_pk_f32_fp8_e32 v[52:53], v2
	s_nop 0
	v_mfma_f32_16x16x16_bf16 v[66:69], v[56:57], v[48:49], v[14:17]
	s_nop 2
	v_cvt_pk_f32_fp8_sdwa v[14:15], v2 src0_sel:WORD_1
	v_cvt_pk_f32_fp8_e32 v[16:17], v3
	v_perm_b32 v2, v53, v52, s5
	v_cvt_pk_f32_fp8_sdwa v[52:53], v3 src0_sel:WORD_1
	v_perm_b32 v3, v15, v14, s5
	v_perm_b32 v56, v17, v16, s5
	ds_read_b128 v[14:17], v50 offset:6144
	v_perm_b32 v57, v53, v52, s5
	s_waitcnt lgkmcnt(0)
	v_mfma_f32_16x16x16_bf16 v[66:69], v[2:3], v[14:15], v[66:69]
	ds_read_b128 v[50:53], v50 offset:6160
	v_perm_b32 v2, v63, v62, s5
	v_perm_b32 v3, v71, v70, s5
	v_cvt_pk_f32_fp8_e32 v[62:63], v5
	v_mfma_f32_16x16x16_bf16 v[66:69], v[56:57], v[16:17], v[66:69]
	v_cvt_pk_f32_fp8_sdwa v[56:57], v5 src0_sel:WORD_1
	v_cvt_pk_f32_fp8_e32 v[70:71], v28
	v_perm_b32 v62, v63, v62, s5
	s_waitcnt lgkmcnt(0)
	v_mfma_f32_16x16x16_bf16 v[2:5], v[2:3], v[50:51], v[66:69]
	v_perm_b32 v63, v57, v56, s5
	v_cvt_pk_f32_fp8_sdwa v[56:57], v26 src0_sel:WORD_1
	s_nop 0
	v_mfma_f32_16x16x16_bf16 v[66:69], v[62:63], v[52:53], v[2:5]
	s_barrier
	s_nop 1
	v_cvt_pk_f32_fp8_e32 v[4:5], v26
	s_nop 2
	v_pk_mul_f32 v[62:63], v[66:67], s[4:5] op_sel_hi:[1,0]
	v_cvt_pk_f32_fp8_e32 v[66:67], v27
	v_perm_b32 v4, v5, v4, s5
	v_perm_b32 v5, v57, v56, s5
	v_cvt_pk_f32_fp8_sdwa v[26:27], v27 src0_sel:WORD_1
	v_perm_b32 v56, v67, v66, s5
	v_pk_mul_f32 v[2:3], v[68:69], s[4:5] op_sel_hi:[1,0]
	v_mfma_f32_16x16x16_bf16 v[66:69], v[4:5], v[34:35], 0
	v_perm_b32 v57, v27, v26, s5
	v_perm_b32 v4, v71, v70, s5
	;; [unrolled: 1-line block ×3, first 2 shown]
	v_cvt_pk_f32_fp8_e32 v[34:35], v29
	v_cvt_pk_f32_fp8_sdwa v[70:71], v29 src0_sel:WORD_1
	v_mfma_f32_16x16x16_bf16 v[26:29], v[56:57], v[36:37], v[66:69]
	s_waitcnt vmcnt(2)
	v_cvt_pk_f32_fp8_sdwa v[36:37], v18 src0_sel:WORD_1
	v_perm_b32 v34, v35, v34, s5
	v_perm_b32 v35, v71, v70, s5
	v_mfma_f32_16x16x16_bf16 v[26:29], v[4:5], v[38:39], v[26:29]
	v_cvt_pk_f32_fp8_e32 v[4:5], v18
	v_cvt_pk_f32_fp8_sdwa v[38:39], v20 src0_sel:WORD_1
	v_bfe_u32 v55, v63, 16, 1
	v_mfma_f32_16x16x16_bf16 v[26:29], v[34:35], v[40:41], v[26:29]
	v_cvt_pk_f32_fp8_e32 v[34:35], v19
	v_perm_b32 v4, v5, v4, s5
	v_perm_b32 v5, v37, v36, s5
	v_cvt_pk_f32_fp8_sdwa v[18:19], v19 src0_sel:WORD_1
	v_perm_b32 v34, v35, v34, s5
	v_cvt_pk_f32_fp8_e32 v[36:37], v20
	v_mfma_f32_16x16x16_bf16 v[26:29], v[4:5], v[30:31], v[26:29]
	v_perm_b32 v35, v19, v18, s5
	v_perm_b32 v4, v37, v36, s5
	;; [unrolled: 1-line block ×3, first 2 shown]
	v_cvt_pk_f32_fp8_e32 v[30:31], v21
	v_cvt_pk_f32_fp8_sdwa v[36:37], v21 src0_sel:WORD_1
	v_mfma_f32_16x16x16_bf16 v[18:21], v[34:35], v[32:33], v[26:29]
	v_bfe_u32 v56, v62, 16, 1
	v_add3_u32 v32, v62, v56, s8
	v_add3_u32 v33, v63, v55, s8
	v_perm_b32 v26, v31, v30, s5
	v_perm_b32 v27, v37, v36, s5
	v_mfma_f32_16x16x16_bf16 v[18:21], v[4:5], v[42:43], v[18:21]
	s_waitcnt vmcnt(1)
	v_cvt_pk_f32_fp8_e32 v[4:5], v10
	v_cvt_pk_f32_fp8_sdwa v[28:29], v10 src0_sel:WORD_1
	v_cvt_pk_f32_fp8_sdwa v[30:31], v12 src0_sel:WORD_1
	v_mfma_f32_16x16x16_bf16 v[18:21], v[26:27], v[44:45], v[18:21]
	v_cvt_pk_f32_fp8_e32 v[26:27], v11
	v_perm_b32 v4, v5, v4, s5
	v_perm_b32 v5, v29, v28, s5
	v_cvt_pk_f32_fp8_sdwa v[10:11], v11 src0_sel:WORD_1
	v_perm_b32 v26, v27, v26, s5
	v_cvt_pk_f32_fp8_e32 v[28:29], v12
	v_mfma_f32_16x16x16_bf16 v[18:21], v[4:5], v[22:23], v[18:21]
	v_perm_b32 v27, v11, v10, s5
	v_perm_b32 v4, v29, v28, s5
	;; [unrolled: 1-line block ×3, first 2 shown]
	v_cvt_pk_f32_fp8_e32 v[22:23], v13
	v_cvt_pk_f32_fp8_sdwa v[28:29], v13 src0_sel:WORD_1
	v_mfma_f32_16x16x16_bf16 v[10:13], v[26:27], v[24:25], v[18:21]
	s_waitcnt vmcnt(0)
	v_cvt_pk_f32_fp8_sdwa v[24:25], v8 src0_sel:WORD_1
	s_nop 0
	v_perm_b32 v20, v23, v22, s5
	v_perm_b32 v21, v29, v28, s5
	v_mfma_f32_16x16x16_bf16 v[10:13], v[4:5], v[46:47], v[10:13]
	v_cvt_pk_f32_fp8_e32 v[4:5], v6
	v_cvt_pk_f32_fp8_sdwa v[22:23], v6 src0_sel:WORD_1
	v_bfe_u32 v19, v3, 16, 1
	v_mfma_f32_16x16x16_bf16 v[10:13], v[20:21], v[48:49], v[10:13]
	v_cvt_pk_f32_fp8_e32 v[20:21], v7
	v_perm_b32 v4, v5, v4, s5
	v_perm_b32 v5, v23, v22, s5
	v_cvt_pk_f32_fp8_sdwa v[6:7], v7 src0_sel:WORD_1
	v_perm_b32 v20, v21, v20, s5
	v_cvt_pk_f32_fp8_e32 v[22:23], v8
	v_add3_u32 v3, v3, v19, s8
	v_perm_b32 v21, v7, v6, s5
	v_mfma_f32_16x16x16_bf16 v[4:7], v[4:5], v[14:15], v[10:13]
	v_bfe_u32 v14, v2, 16, 1
	v_add3_u32 v2, v2, v14, s8
	v_perm_b32 v19, v3, v2, s5
	v_perm_b32 v10, v23, v22, s5
	;; [unrolled: 1-line block ×3, first 2 shown]
	v_cvt_pk_f32_fp8_e32 v[12:13], v9
	v_cvt_pk_f32_fp8_sdwa v[8:9], v9 src0_sel:WORD_1
	v_mfma_f32_16x16x16_bf16 v[4:7], v[20:21], v[16:17], v[4:7]
	v_perm_b32 v18, v33, v32, s5
	v_perm_b32 v12, v13, v12, s5
	;; [unrolled: 1-line block ×3, first 2 shown]
	v_mfma_f32_16x16x16_bf16 v[4:7], v[10:11], v[50:51], v[4:7]
	s_nop 0
	v_mfma_f32_16x16x16_bf16 v[2:5], v[12:13], v[52:53], v[4:7]
	s_nop 6
	v_pk_mul_f32 v[2:3], v[2:3], s[4:5] op_sel_hi:[1,0]
	v_pk_mul_f32 v[4:5], v[4:5], s[4:5] op_sel_hi:[1,0]
	v_bfe_u32 v6, v3, 16, 1
	v_bfe_u32 v7, v2, 16, 1
	v_add3_u32 v2, v2, v7, s8
	v_add3_u32 v3, v3, v6, s8
	v_perm_b32 v2, v3, v2, s5
	v_bfe_u32 v3, v5, 16, 1
	v_bfe_u32 v6, v4, 16, 1
	v_add3_u32 v4, v4, v6, s8
	v_add3_u32 v3, v5, v3, s8
	v_perm_b32 v3, v3, v4, s5
	ds_write2st64_b64 v54, v[18:19], v[2:3] offset1:1
	s_waitcnt lgkmcnt(0)
	s_barrier
	s_and_saveexec_b64 s[4:5], vcc
	s_cbranch_execz .LBB1322_18
; %bb.16:
	s_load_dwordx2 s[4:5], s[0:1], 0x68
	s_lshl_b32 s0, s6, 7
	s_mul_i32 s1, s7, s2
	v_lshlrev_b32_e32 v3, 6, v60
	s_mul_hi_u32 s7, s1, s0
	s_mul_i32 s6, s1, s0
	v_lshl_or_b32 v0, v0, 10, v3
	s_lshl_b64 s[6:7], s[6:7], 1
	v_lshlrev_b32_e32 v2, 5, v64
	v_and_b32_e32 v1, 16, v1
	v_and_b32_e32 v0, 0x1a00, v0
	s_waitcnt lgkmcnt(0)
	s_add_u32 s1, s4, s6
	v_or3_b32 v2, v0, v2, v1
	s_addc_u32 s4, s5, s7
	s_lshl_b32 s2, s24, 7
	ds_read_b128 v[4:7], v2 offset:256
	s_lshl_b64 s[2:3], s[2:3], 1
	ds_read_b128 v[8:11], v2 offset:128
	ds_read_b128 v[12:15], v2
	s_add_u32 s2, s1, s2
	s_addc_u32 s3, s4, s3
	v_mov_b32_e32 v59, 0
	v_add_u32_e32 v3, s48, v64
	v_lshl_add_u64 v[0:1], s[2:3], 0, v[58:59]
	v_mad_u64_u32 v[16:17], s[2:3], v3, s0, 0
	v_lshl_add_u64 v[16:17], v[16:17], 1, v[0:1]
	s_waitcnt lgkmcnt(0)
	global_store_dwordx4 v[16:17], v[12:15], off
	v_cmp_ne_u32_e32 vcc, 3, v64
	s_nop 0
	v_add_u32_e32 v12, 4, v3
	v_mad_u64_u32 v[12:13], s[2:3], v12, s0, 0
	v_lshl_add_u64 v[12:13], v[12:13], 1, v[0:1]
	v_add_u32_e32 v3, 8, v3
	global_store_dwordx4 v[12:13], v[8:11], off
	s_nop 1
	v_mad_u64_u32 v[8:9], s[2:3], v3, s0, 0
	v_lshl_add_u64 v[8:9], v[8:9], 1, v[0:1]
	global_store_dwordx4 v[8:9], v[4:7], off
	s_and_b64 exec, exec, vcc
	s_cbranch_execz .LBB1322_18
; %bb.17:
	ds_read_b128 v[2:5], v2 offset:384
	v_add3_u32 v6, s48, v64, 12
	v_mad_u64_u32 v[6:7], s[0:1], v6, s0, 0
	v_lshl_add_u64 v[0:1], v[6:7], 1, v[0:1]
	s_waitcnt lgkmcnt(0)
	global_store_dwordx4 v[0:1], v[2:5], off
.LBB1322_18:
	s_endpgm
	.section	.rodata,"a",@progbits
	.p2align	6, 0x0
	.amdhsa_kernel _Z39paged_attention_ll4mi_QKV_mfma16_kernelI14__hip_bfloat16hLN4vllm18Fp8KVCacheDataTypeE1ES0_Li16ELi128ELi256ELb0ELi15EEvPKT_PKT0_S8_ifPKiSA_SA_iPKfiiiPfSD_PS3_PT2_iSC_SC_
		.amdhsa_group_segment_fixed_size 8192
		.amdhsa_private_segment_fixed_size 0
		.amdhsa_kernarg_size 400
		.amdhsa_user_sgpr_count 2
		.amdhsa_user_sgpr_dispatch_ptr 0
		.amdhsa_user_sgpr_queue_ptr 0
		.amdhsa_user_sgpr_kernarg_segment_ptr 1
		.amdhsa_user_sgpr_dispatch_id 0
		.amdhsa_user_sgpr_kernarg_preload_length 0
		.amdhsa_user_sgpr_kernarg_preload_offset 0
		.amdhsa_user_sgpr_private_segment_size 0
		.amdhsa_uses_dynamic_stack 0
		.amdhsa_enable_private_segment 0
		.amdhsa_system_sgpr_workgroup_id_x 1
		.amdhsa_system_sgpr_workgroup_id_y 1
		.amdhsa_system_sgpr_workgroup_id_z 1
		.amdhsa_system_sgpr_workgroup_info 0
		.amdhsa_system_vgpr_workitem_id 0
		.amdhsa_next_free_vgpr 88
		.amdhsa_next_free_sgpr 50
		.amdhsa_accum_offset 88
		.amdhsa_reserve_vcc 1
		.amdhsa_float_round_mode_32 0
		.amdhsa_float_round_mode_16_64 0
		.amdhsa_float_denorm_mode_32 3
		.amdhsa_float_denorm_mode_16_64 3
		.amdhsa_dx10_clamp 1
		.amdhsa_ieee_mode 1
		.amdhsa_fp16_overflow 0
		.amdhsa_tg_split 0
		.amdhsa_exception_fp_ieee_invalid_op 0
		.amdhsa_exception_fp_denorm_src 0
		.amdhsa_exception_fp_ieee_div_zero 0
		.amdhsa_exception_fp_ieee_overflow 0
		.amdhsa_exception_fp_ieee_underflow 0
		.amdhsa_exception_fp_ieee_inexact 0
		.amdhsa_exception_int_div_zero 0
	.end_amdhsa_kernel
	.section	.text._Z39paged_attention_ll4mi_QKV_mfma16_kernelI14__hip_bfloat16hLN4vllm18Fp8KVCacheDataTypeE1ES0_Li16ELi128ELi256ELb0ELi15EEvPKT_PKT0_S8_ifPKiSA_SA_iPKfiiiPfSD_PS3_PT2_iSC_SC_,"axG",@progbits,_Z39paged_attention_ll4mi_QKV_mfma16_kernelI14__hip_bfloat16hLN4vllm18Fp8KVCacheDataTypeE1ES0_Li16ELi128ELi256ELb0ELi15EEvPKT_PKT0_S8_ifPKiSA_SA_iPKfiiiPfSD_PS3_PT2_iSC_SC_,comdat
.Lfunc_end1322:
	.size	_Z39paged_attention_ll4mi_QKV_mfma16_kernelI14__hip_bfloat16hLN4vllm18Fp8KVCacheDataTypeE1ES0_Li16ELi128ELi256ELb0ELi15EEvPKT_PKT0_S8_ifPKiSA_SA_iPKfiiiPfSD_PS3_PT2_iSC_SC_, .Lfunc_end1322-_Z39paged_attention_ll4mi_QKV_mfma16_kernelI14__hip_bfloat16hLN4vllm18Fp8KVCacheDataTypeE1ES0_Li16ELi128ELi256ELb0ELi15EEvPKT_PKT0_S8_ifPKiSA_SA_iPKfiiiPfSD_PS3_PT2_iSC_SC_
                                        ; -- End function
	.section	.AMDGPU.csdata,"",@progbits
; Kernel info:
; codeLenInByte = 6380
; NumSgprs: 56
; NumVgprs: 88
; NumAgprs: 0
; TotalNumVgprs: 88
; ScratchSize: 0
; MemoryBound: 0
; FloatMode: 240
; IeeeMode: 1
; LDSByteSize: 8192 bytes/workgroup (compile time only)
; SGPRBlocks: 6
; VGPRBlocks: 10
; NumSGPRsForWavesPerEU: 56
; NumVGPRsForWavesPerEU: 88
; AccumOffset: 88
; Occupancy: 5
; WaveLimiterHint : 1
; COMPUTE_PGM_RSRC2:SCRATCH_EN: 0
; COMPUTE_PGM_RSRC2:USER_SGPR: 2
; COMPUTE_PGM_RSRC2:TRAP_HANDLER: 0
; COMPUTE_PGM_RSRC2:TGID_X_EN: 1
; COMPUTE_PGM_RSRC2:TGID_Y_EN: 1
; COMPUTE_PGM_RSRC2:TGID_Z_EN: 1
; COMPUTE_PGM_RSRC2:TIDIG_COMP_CNT: 0
; COMPUTE_PGM_RSRC3_GFX90A:ACCUM_OFFSET: 21
; COMPUTE_PGM_RSRC3_GFX90A:TG_SPLIT: 0
	.section	.text._Z39paged_attention_ll4mi_QKV_mfma16_kernelI14__hip_bfloat16hLN4vllm18Fp8KVCacheDataTypeE1ES0_Li16ELi128ELi256ELb0ELi16EEvPKT_PKT0_S8_ifPKiSA_SA_iPKfiiiPfSD_PS3_PT2_iSC_SC_,"axG",@progbits,_Z39paged_attention_ll4mi_QKV_mfma16_kernelI14__hip_bfloat16hLN4vllm18Fp8KVCacheDataTypeE1ES0_Li16ELi128ELi256ELb0ELi16EEvPKT_PKT0_S8_ifPKiSA_SA_iPKfiiiPfSD_PS3_PT2_iSC_SC_,comdat
	.protected	_Z39paged_attention_ll4mi_QKV_mfma16_kernelI14__hip_bfloat16hLN4vllm18Fp8KVCacheDataTypeE1ES0_Li16ELi128ELi256ELb0ELi16EEvPKT_PKT0_S8_ifPKiSA_SA_iPKfiiiPfSD_PS3_PT2_iSC_SC_ ; -- Begin function _Z39paged_attention_ll4mi_QKV_mfma16_kernelI14__hip_bfloat16hLN4vllm18Fp8KVCacheDataTypeE1ES0_Li16ELi128ELi256ELb0ELi16EEvPKT_PKT0_S8_ifPKiSA_SA_iPKfiiiPfSD_PS3_PT2_iSC_SC_
	.globl	_Z39paged_attention_ll4mi_QKV_mfma16_kernelI14__hip_bfloat16hLN4vllm18Fp8KVCacheDataTypeE1ES0_Li16ELi128ELi256ELb0ELi16EEvPKT_PKT0_S8_ifPKiSA_SA_iPKfiiiPfSD_PS3_PT2_iSC_SC_
	.p2align	8
	.type	_Z39paged_attention_ll4mi_QKV_mfma16_kernelI14__hip_bfloat16hLN4vllm18Fp8KVCacheDataTypeE1ES0_Li16ELi128ELi256ELb0ELi16EEvPKT_PKT0_S8_ifPKiSA_SA_iPKfiiiPfSD_PS3_PT2_iSC_SC_,@function
_Z39paged_attention_ll4mi_QKV_mfma16_kernelI14__hip_bfloat16hLN4vllm18Fp8KVCacheDataTypeE1ES0_Li16ELi128ELi256ELb0ELi16EEvPKT_PKT0_S8_ifPKiSA_SA_iPKfiiiPfSD_PS3_PT2_iSC_SC_: ; @_Z39paged_attention_ll4mi_QKV_mfma16_kernelI14__hip_bfloat16hLN4vllm18Fp8KVCacheDataTypeE1ES0_Li16ELi128ELi256ELb0ELi16EEvPKT_PKT0_S8_ifPKiSA_SA_iPKfiiiPfSD_PS3_PT2_iSC_SC_
; %bb.0:
	s_load_dwordx2 s[12:13], s[0:1], 0x30
	s_mov_b32 s33, s3
	s_mov_b64 s[6:7], 0
	s_waitcnt lgkmcnt(0)
	s_cmp_lg_u64 s[12:13], 0
	s_cselect_b64 s[14:15], -1, 0
	s_and_b64 vcc, exec, s[14:15]
	s_cbranch_vccz .LBB1323_7
; %bb.1:
	s_add_i32 s8, s2, 1
	s_mov_b32 s9, 0
	s_lshl_b64 s[10:11], s[8:9], 2
	s_add_u32 s10, s12, s10
	s_mov_b32 s3, s9
	s_addc_u32 s11, s13, s11
	s_lshl_b64 s[8:9], s[2:3], 2
	s_add_u32 s8, s12, s8
	s_addc_u32 s9, s13, s9
	s_load_dword s5, s[10:11], 0x0
	s_load_dword s16, s[8:9], 0x0
	s_waitcnt lgkmcnt(0)
	s_sub_i32 s5, s5, s16
	s_cmp_eq_u32 s5, 1
	s_cselect_b64 s[8:9], -1, 0
	s_andn2_b64 vcc, exec, s[6:7]
	s_cbranch_vccnz .LBB1323_3
.LBB1323_2:
	s_mov_b32 s3, 0
	s_mov_b64 s[8:9], -1
.LBB1323_3:
	s_andn2_b64 vcc, exec, s[8:9]
	s_cbranch_vccnz .LBB1323_17
; %bb.4:
	s_load_dwordx2 s[6:7], s[0:1], 0x28
	s_lshl_b64 s[16:17], s[2:3], 2
	s_waitcnt lgkmcnt(0)
	s_add_u32 s6, s6, s16
	s_addc_u32 s7, s7, s17
	s_load_dword s20, s[6:7], 0x0
	s_lshl_b32 s5, s33, 8
	s_waitcnt lgkmcnt(0)
	s_cmp_ge_i32 s5, s20
	s_cbranch_scc1 .LBB1323_17
; %bb.5:
	s_load_dwordx2 s[6:7], s[0:1], 0x20
	s_load_dword s8, s[0:1], 0x38
	s_add_i32 s9, s20, 15
	s_ashr_i32 s10, s9, 31
	v_and_b32_e32 v1, 0xcf, v0
	s_lshr_b32 s10, s10, 28
	v_add_u32_e32 v1, s5, v1
	s_add_i32 s9, s9, s10
	v_ashrrev_i32_e32 v2, 31, v1
	s_ashr_i32 s18, s9, 4
	v_lshrrev_b32_e32 v10, 28, v2
	s_add_i32 s18, s18, -1
	s_waitcnt lgkmcnt(0)
	s_mul_i32 s8, s2, s8
	s_mov_b32 s9, 0
	v_add_u32_e32 v2, v1, v10
	s_lshl_b64 s[8:9], s[8:9], 2
	v_ashrrev_i32_e32 v2, 4, v2
	v_mov_b32_e32 v11, s18
	v_cmp_gt_i32_e32 vcc, s20, v1
	s_add_u32 s6, s6, s8
	s_addc_u32 s7, s7, s9
	v_cndmask_b32_e32 v2, v11, v2, vcc
	v_ashrrev_i32_e32 v3, 31, v2
	v_lshl_add_u64 v[4:5], v[2:3], 2, s[6:7]
	v_or_b32_e32 v2, 16, v1
	v_add_u32_e32 v3, v2, v10
	v_ashrrev_i32_e32 v3, 4, v3
	v_cmp_gt_i32_e32 vcc, s20, v2
	s_load_dwordx4 s[8:11], s[0:1], 0x8
	s_nop 0
	v_cndmask_b32_e32 v2, v11, v3, vcc
	v_ashrrev_i32_e32 v3, 31, v2
	v_lshl_add_u64 v[6:7], v[2:3], 2, s[6:7]
	v_or_b32_e32 v2, 32, v1
	v_add_u32_e32 v3, v2, v10
	v_ashrrev_i32_e32 v3, 4, v3
	v_cmp_gt_i32_e32 vcc, s20, v2
	v_or_b32_e32 v1, 48, v1
	s_nop 0
	v_cndmask_b32_e32 v2, v11, v3, vcc
	v_ashrrev_i32_e32 v3, 31, v2
	v_lshl_add_u64 v[8:9], v[2:3], 2, s[6:7]
	v_add_u32_e32 v2, v1, v10
	v_ashrrev_i32_e32 v2, 4, v2
	v_cmp_gt_i32_e32 vcc, s20, v1
	s_nop 1
	v_cndmask_b32_e32 v2, v11, v2, vcc
	v_ashrrev_i32_e32 v3, 31, v2
	v_lshl_add_u64 v[10:11], v[2:3], 2, s[6:7]
	global_load_dword v3, v[4:5], off
	global_load_dword v2, v[6:7], off
	;; [unrolled: 1-line block ×4, first 2 shown]
	s_andn2_b64 vcc, exec, s[14:15]
	s_cbranch_vccnz .LBB1323_8
; %bb.6:
	s_add_u32 s12, s12, s16
	s_addc_u32 s13, s13, s17
	s_load_dword s14, s[12:13], 0x0
	s_branch .LBB1323_9
.LBB1323_7:
	s_mov_b64 s[8:9], 0
	s_branch .LBB1323_2
.LBB1323_8:
	s_mov_b32 s14, s2
.LBB1323_9:
	s_load_dwordx4 s[40:43], s[0:1], 0x48
	v_and_b32_e32 v60, 15, v0
	v_lshlrev_b32_e32 v4, 3, v60
	s_movk_i32 s12, 0x100
	v_lshrrev_b32_e32 v62, 6, v0
	v_and_b32_e32 v63, 63, v0
	v_bfe_u32 v1, v0, 4, 2
	s_lshl_b32 s44, s4, 4
	v_cmp_gt_u32_e32 vcc, s12, v0
	v_lshlrev_b32_e32 v54, 1, v4
	v_lshlrev_b32_e32 v61, 4, v0
	s_and_saveexec_b64 s[12:13], vcc
	s_cbranch_execz .LBB1323_11
; %bb.10:
	s_load_dwordx2 s[16:17], s[0:1], 0x0
	s_waitcnt lgkmcnt(0)
	s_ashr_i32 s15, s40, 31
	s_mul_hi_u32 s19, s14, s40
	s_mul_i32 s15, s14, s15
	s_add_i32 s15, s19, s15
	s_mul_i32 s14, s14, s40
	v_lshl_or_b32 v8, v62, 2, v1
	s_lshl_b64 s[14:15], s[14:15], 1
	s_add_u32 s14, s16, s14
	v_add_lshl_u32 v4, v8, s44, 7
	s_addc_u32 s15, s17, s15
	v_ashrrev_i32_e32 v5, 31, v4
	v_lshl_add_u64 v[4:5], v[4:5], 1, s[14:15]
	v_mov_b32_e32 v55, 0
	v_lshl_add_u64 v[4:5], v[4:5], 0, v[54:55]
	global_load_dwordx4 v[4:7], v[4:5], off
	v_lshlrev_b32_e32 v10, 8, v0
	v_lshlrev_b32_e32 v9, 8, v60
	v_and_b32_e32 v10, 0x600, v10
	s_movk_i32 s14, 0x800
	v_and_or_b32 v9, v9, s14, v10
	v_lshlrev_b32_e32 v8, 5, v8
	v_and_b32_e32 v10, 16, v61
	v_or3_b32 v8, v9, v8, v10
	s_waitcnt vmcnt(0)
	ds_write_b128 v8, v[4:7]
.LBB1323_11:
	s_or_b64 exec, exec, s[12:13]
	s_waitcnt lgkmcnt(0)
	s_mul_i32 s12, s4, s42
	s_add_u32 s8, s8, s12
	s_addc_u32 s9, s9, 0
	v_and_b32_e32 v50, 0xf0, v61
	v_mov_b32_e32 v51, 0
	v_and_b32_e32 v10, 48, v0
	v_lshl_add_u64 v[30:31], s[8:9], 0, v[50:51]
	v_lshlrev_b32_e32 v50, 4, v10
	s_waitcnt vmcnt(3)
	v_mad_i64_i32 v[4:5], s[8:9], v3, s41, v[30:31]
	v_lshl_add_u64 v[4:5], v[4:5], 0, v[50:51]
	s_load_dword s40, s[0:1], 0x98
	s_load_dwordx4 s[36:39], s[0:1], 0x80
	s_waitcnt lgkmcnt(0)
	s_barrier
	global_load_dwordx4 v[18:21], v[4:5], off
	global_load_dwordx4 v[6:9], v[4:5], off offset:1024
	s_waitcnt vmcnt(4)
	v_mad_i64_i32 v[2:3], s[8:9], v2, s41, v[30:31]
	v_lshl_add_u64 v[32:33], v[2:3], 0, v[50:51]
	global_load_dwordx4 v[2:5], v[32:33], off
	v_lshlrev_b32_e32 v64, 5, v60
	v_lshl_or_b32 v55, v1, 9, v64
	v_or_b32_e32 v37, s5, v10
	ds_read_b128 v[26:29], v55
	ds_read_b128 v[22:25], v55 offset:16
	ds_read_b128 v[14:17], v55 offset:2048
	ds_read_b128 v[10:13], v55 offset:2064
	global_load_dwordx4 v[46:49], v[32:33], off offset:1024
	v_mov_b32_e32 v36, s18
	v_ashrrev_i32_e32 v38, 4, v37
	v_or_b32_e32 v42, 64, v37
	v_cmp_gt_i32_e32 vcc, s20, v37
	v_or_b32_e32 v43, 0x80, v37
	v_or_b32_e32 v44, 0xc0, v37
	v_cndmask_b32_e32 v38, v36, v38, vcc
	v_ashrrev_i32_e32 v37, 4, v42
	v_cmp_gt_i32_e32 vcc, s20, v42
	v_ashrrev_i32_e32 v45, 4, v43
	s_waitcnt vmcnt(5)
	v_mad_i64_i32 v[40:41], s[8:9], v34, s41, v[30:31]
	v_cndmask_b32_e32 v34, v36, v37, vcc
	v_cmp_gt_i32_e32 vcc, s20, v43
	v_ashrrev_i32_e32 v52, 4, v44
	s_waitcnt vmcnt(4)
	v_mad_i64_i32 v[30:31], s[8:9], v35, s41, v[30:31]
	v_cndmask_b32_e32 v42, v36, v45, vcc
	v_cmp_gt_i32_e32 vcc, s20, v44
	v_ashrrev_i32_e32 v39, 31, v38
	v_ashrrev_i32_e32 v35, 31, v34
	v_cndmask_b32_e32 v32, v36, v52, vcc
	v_lshl_add_u64 v[36:37], v[40:41], 0, v[50:51]
	v_ashrrev_i32_e32 v43, 31, v42
	v_ashrrev_i32_e32 v33, 31, v32
	v_lshl_add_u64 v[30:31], v[30:31], 0, v[50:51]
	v_lshl_add_u64 v[52:53], v[38:39], 2, s[6:7]
	;; [unrolled: 1-line block ×5, first 2 shown]
	global_load_dwordx4 v[42:45], v[36:37], off
	global_load_dwordx4 v[38:41], v[36:37], off offset:1024
	s_nop 0
	global_load_dwordx4 v[34:37], v[30:31], off
	s_nop 0
	global_load_dwordx4 v[30:33], v[30:31], off offset:1024
	s_nop 0
	global_load_dword v68, v[52:53], off
	global_load_dword v69, v[56:57], off
	;; [unrolled: 1-line block ×4, first 2 shown]
	s_mov_b32 s45, 0x7060302
	s_add_u32 s42, s10, s12
	v_lshl_or_b32 v65, v62, 4, v60
	s_addc_u32 s43, s11, 0
	v_lshlrev_b32_e32 v50, 4, v65
	s_load_dword s4, s[0:1], 0x1c
	s_mov_b32 s46, 0xff7fffff
	s_waitcnt vmcnt(11)
	v_cvt_pk_f32_fp8_e32 v[52:53], v18
	v_cvt_pk_f32_fp8_sdwa v[56:57], v18 src0_sel:WORD_1
	v_cvt_pk_f32_fp8_e32 v[58:59], v19
	v_cvt_pk_f32_fp8_sdwa v[70:71], v19 src0_sel:WORD_1
	;; [unrolled: 2-line block ×4, first 2 shown]
	s_waitcnt vmcnt(9)
	v_cvt_pk_f32_fp8_e32 v[18:19], v2
	v_cvt_pk_f32_fp8_sdwa v[20:21], v2 src0_sel:WORD_1
	v_perm_b32 v52, v53, v52, s45
	v_perm_b32 v53, v57, v56, s45
	v_cvt_pk_f32_fp8_e32 v[80:81], v6
	v_cvt_pk_f32_fp8_sdwa v[82:83], v6 src0_sel:WORD_1
	v_cvt_pk_f32_fp8_e32 v[84:85], v7
	v_cvt_pk_f32_fp8_sdwa v[86:87], v7 src0_sel:WORD_1
	v_perm_b32 v6, v19, v18, s45
	v_perm_b32 v7, v21, v20, s45
	v_perm_b32 v90, v59, v58, s45
	v_perm_b32 v91, v71, v70, s45
	s_waitcnt lgkmcnt(0)
	v_mfma_f32_16x16x16_bf16 v[18:21], v[52:53], v[26:27], 0
	v_cvt_pk_f32_fp8_e32 v[88:89], v8
	v_cvt_pk_f32_fp8_sdwa v[52:53], v8 src0_sel:WORD_1
	v_cvt_pk_f32_fp8_e32 v[70:71], v9
	v_mfma_f32_16x16x16_bf16 v[56:59], v[6:7], v[26:27], 0
	v_perm_b32 v6, v73, v72, s45
	v_perm_b32 v7, v75, v74, s45
	;; [unrolled: 1-line block ×3, first 2 shown]
	v_mfma_f32_16x16x16_bf16 v[18:21], v[90:91], v[28:29], v[18:21]
	v_perm_b32 v75, v79, v78, s45
	v_cvt_pk_f32_fp8_sdwa v[72:73], v9 src0_sel:WORD_1
	v_perm_b32 v76, v89, v88, s45
	v_mfma_f32_16x16x16_bf16 v[6:9], v[6:7], v[22:23], v[18:21]
	v_perm_b32 v77, v53, v52, s45
	v_perm_b32 v70, v71, v70, s45
	;; [unrolled: 1-line block ×5, first 2 shown]
	v_mfma_f32_16x16x16_bf16 v[6:9], v[74:75], v[24:25], v[6:9]
	v_perm_b32 v74, v85, v84, s45
	v_perm_b32 v75, v87, v86, s45
	v_cvt_pk_f32_fp8_e32 v[18:19], v3
	v_mfma_f32_16x16x16_bf16 v[6:9], v[20:21], v[14:15], v[6:9]
	v_cvt_pk_f32_fp8_sdwa v[2:3], v3 src0_sel:WORD_1
	v_cvt_pk_f32_fp8_e32 v[20:21], v4
	v_cvt_pk_f32_fp8_sdwa v[52:53], v4 src0_sel:WORD_1
	v_mfma_f32_16x16x16_bf16 v[6:9], v[74:75], v[16:17], v[6:9]
	v_perm_b32 v18, v19, v18, s45
	v_perm_b32 v19, v3, v2, s45
	;; [unrolled: 1-line block ×3, first 2 shown]
	v_mfma_f32_16x16x16_bf16 v[6:9], v[76:77], v[10:11], v[6:9]
	v_perm_b32 v21, v53, v52, s45
	v_cvt_pk_f32_fp8_e32 v[52:53], v5
	s_waitcnt vmcnt(6)
	v_cvt_pk_f32_fp8_sdwa v[74:75], v41 src0_sel:WORD_1
	v_mfma_f32_16x16x16_bf16 v[6:9], v[70:71], v[12:13], v[6:9]
	v_cvt_pk_f32_fp8_sdwa v[70:71], v5 src0_sel:WORD_1
	v_mfma_f32_16x16x16_bf16 v[2:5], v[18:19], v[28:29], v[56:59]
	v_perm_b32 v18, v53, v52, s45
	v_perm_b32 v19, v71, v70, s45
	v_cvt_pk_f32_fp8_sdwa v[52:53], v46 src0_sel:WORD_1
	v_mfma_f32_16x16x16_bf16 v[2:5], v[20:21], v[22:23], v[2:5]
	v_cvt_pk_f32_fp8_e32 v[20:21], v46
	v_cvt_pk_f32_fp8_sdwa v[56:57], v48 src0_sel:WORD_1
	v_lshl_add_u64 v[70:71], s[42:43], 0, v[50:51]
	v_mfma_f32_16x16x16_bf16 v[2:5], v[18:19], v[24:25], v[2:5]
	v_cvt_pk_f32_fp8_e32 v[18:19], v47
	v_perm_b32 v20, v21, v20, s45
	v_perm_b32 v21, v53, v52, s45
	v_cvt_pk_f32_fp8_sdwa v[46:47], v47 src0_sel:WORD_1
	v_perm_b32 v18, v19, v18, s45
	v_cvt_pk_f32_fp8_e32 v[52:53], v48
	v_mfma_f32_16x16x16_bf16 v[2:5], v[20:21], v[14:15], v[2:5]
	v_perm_b32 v19, v47, v46, s45
	v_perm_b32 v20, v53, v52, s45
	v_perm_b32 v21, v57, v56, s45
	v_cvt_pk_f32_fp8_e32 v[46:47], v49
	v_cvt_pk_f32_fp8_sdwa v[48:49], v49 src0_sel:WORD_1
	v_mfma_f32_16x16x16_bf16 v[2:5], v[18:19], v[16:17], v[2:5]
	v_cvt_pk_f32_fp8_sdwa v[52:53], v42 src0_sel:WORD_1
	v_perm_b32 v18, v47, v46, s45
	v_perm_b32 v19, v49, v48, s45
	v_mfma_f32_16x16x16_bf16 v[2:5], v[20:21], v[10:11], v[2:5]
	v_cvt_pk_f32_fp8_e32 v[20:21], v42
	s_waitcnt vmcnt(2)
	v_mad_i64_i32 v[72:73], s[6:7], v69, s41, v[70:71]
	v_mfma_f32_16x16x16_bf16 v[46:49], v[18:19], v[12:13], v[2:5]
	v_cvt_pk_f32_fp8_sdwa v[18:19], v43 src0_sel:WORD_1
	v_or_b32_e32 v50, 0x400, v50
	s_nop 0
	v_perm_b32 v2, v21, v20, s45
	v_perm_b32 v3, v53, v52, s45
	v_cvt_pk_f32_fp8_e32 v[4:5], v43
	v_perm_b32 v43, v19, v18, s45
	v_cvt_pk_f32_fp8_e32 v[18:19], v44
	v_cvt_pk_f32_fp8_sdwa v[52:53], v44 src0_sel:WORD_1
	v_perm_b32 v42, v5, v4, s45
	v_mfma_f32_16x16x16_bf16 v[2:5], v[2:3], v[26:27], 0
	v_mad_i64_i32 v[20:21], s[6:7], v68, s41, v[70:71]
	v_mfma_f32_16x16x16_bf16 v[56:59], v[42:43], v[28:29], v[2:5]
	v_perm_b32 v42, v19, v18, s45
	v_perm_b32 v43, v53, v52, s45
	v_cvt_pk_f32_fp8_e32 v[52:53], v45
	v_cvt_pk_f32_fp8_sdwa v[44:45], v45 src0_sel:WORD_1
	global_load_dwordx4 v[18:21], v[20:21], off
	s_nop 0
	global_load_dwordx4 v[2:5], v[72:73], off
	v_perm_b32 v72, v53, v52, s45
	v_perm_b32 v73, v45, v44, s45
	v_mfma_f32_16x16x16_bf16 v[42:45], v[42:43], v[22:23], v[56:59]
	s_waitcnt vmcnt(3)
	v_mad_i64_i32 v[52:53], s[6:7], v66, s41, v[70:71]
	s_waitcnt vmcnt(2)
	v_mad_i64_i32 v[56:57], s[6:7], v67, s41, v[70:71]
	v_cvt_pk_f32_fp8_e32 v[58:59], v38
	v_cvt_pk_f32_fp8_sdwa v[70:71], v38 src0_sel:WORD_1
	v_mfma_f32_16x16x16_bf16 v[42:45], v[72:73], v[24:25], v[42:45]
	v_cvt_pk_f32_fp8_e32 v[72:73], v39
	v_cvt_pk_f32_fp8_sdwa v[38:39], v39 src0_sel:WORD_1
	v_perm_b32 v58, v59, v58, s45
	v_perm_b32 v59, v71, v70, s45
	;; [unrolled: 1-line block ×4, first 2 shown]
	v_cvt_pk_f32_fp8_e32 v[38:39], v40
	v_cvt_pk_f32_fp8_sdwa v[72:73], v40 src0_sel:WORD_1
	v_mfma_f32_16x16x16_bf16 v[42:45], v[58:59], v[14:15], v[42:45]
	s_load_dword s6, s[36:37], 0x0
	v_perm_b32 v58, v39, v38, s45
	v_perm_b32 v59, v73, v72, s45
	v_cvt_pk_f32_fp8_e32 v[72:73], v41
	v_mfma_f32_16x16x16_bf16 v[38:41], v[70:71], v[16:17], v[42:45]
	s_nop 2
	v_mov_b32_e32 v44, s4
	v_perm_b32 v42, v73, v72, s45
	v_perm_b32 v43, v75, v74, s45
	v_mfma_f32_16x16x16_bf16 v[38:41], v[58:59], v[10:11], v[38:41]
	s_waitcnt lgkmcnt(0)
	v_mul_f32_e32 v74, s6, v44
	v_cvt_pk_f32_fp8_e32 v[44:45], v34
	v_cvt_pk_f32_fp8_sdwa v[58:59], v34 src0_sel:WORD_1
	v_mfma_f32_16x16x16_bf16 v[70:73], v[42:43], v[12:13], v[38:41]
	v_pk_mul_f32 v[6:7], v[74:75], v[6:7] op_sel_hi:[0,1]
	s_nop 1
	v_cvt_pk_f32_fp8_e32 v[38:39], v35
	v_perm_b32 v40, v45, v44, s45
	v_perm_b32 v41, v59, v58, s45
	v_cvt_pk_f32_fp8_sdwa v[34:35], v35 src0_sel:WORD_1
	v_perm_b32 v42, v39, v38, s45
	v_cvt_pk_f32_fp8_e32 v[44:45], v36
	v_cvt_pk_f32_fp8_sdwa v[58:59], v36 src0_sel:WORD_1
	v_perm_b32 v43, v35, v34, s45
	v_mfma_f32_16x16x16_bf16 v[38:41], v[40:41], v[26:27], 0
	v_perm_b32 v34, v45, v44, s45
	v_perm_b32 v35, v59, v58, s45
	v_cvt_pk_f32_fp8_e32 v[44:45], v37
	v_cvt_pk_f32_fp8_sdwa v[36:37], v37 src0_sel:WORD_1
	v_mfma_f32_16x16x16_bf16 v[26:29], v[42:43], v[28:29], v[38:41]
	v_pk_mul_f32 v[58:59], v[74:75], v[8:9] op_sel_hi:[0,1]
	v_perm_b32 v8, v45, v44, s45
	v_perm_b32 v9, v37, v36, s45
	v_mfma_f32_16x16x16_bf16 v[26:29], v[34:35], v[22:23], v[26:29]
	v_cvt_pk_f32_fp8_e32 v[34:35], v30
	v_cvt_pk_f32_fp8_sdwa v[36:37], v30 src0_sel:WORD_1
	v_pk_mul_f32 v[44:45], v[74:75], v[46:47] op_sel_hi:[0,1]
	v_mfma_f32_16x16x16_bf16 v[22:25], v[8:9], v[24:25], v[26:29]
	v_cvt_pk_f32_fp8_e32 v[8:9], v31
	v_pk_mul_f32 v[42:43], v[74:75], v[48:49] op_sel_hi:[0,1]
	v_pk_mul_f32 v[40:41], v[74:75], v[70:71] op_sel_hi:[0,1]
	v_perm_b32 v26, v35, v34, s45
	v_perm_b32 v27, v37, v36, s45
	v_cvt_pk_f32_fp8_sdwa v[28:29], v31 src0_sel:WORD_1
	v_perm_b32 v8, v9, v8, s45
	v_cvt_pk_f32_fp8_e32 v[30:31], v32
	v_cvt_pk_f32_fp8_sdwa v[34:35], v32 src0_sel:WORD_1
	v_perm_b32 v9, v29, v28, s45
	v_mfma_f32_16x16x16_bf16 v[22:25], v[26:27], v[14:15], v[22:25]
	v_perm_b32 v26, v31, v30, s45
	v_perm_b32 v27, v35, v34, s45
	v_cvt_pk_f32_fp8_e32 v[28:29], v33
	v_cvt_pk_f32_fp8_sdwa v[30:31], v33 src0_sel:WORD_1
	v_mfma_f32_16x16x16_bf16 v[14:17], v[8:9], v[16:17], v[22:25]
	v_pk_mul_f32 v[38:39], v[74:75], v[72:73] op_sel_hi:[0,1]
	s_nop 1
	v_perm_b32 v22, v29, v28, s45
	v_perm_b32 v23, v31, v30, s45
	v_mfma_f32_16x16x16_bf16 v[8:11], v[26:27], v[10:11], v[14:17]
	global_load_dwordx4 v[30:33], v[52:53], off
	global_load_dwordx4 v[26:29], v[56:57], off
	v_mfma_f32_16x16x16_bf16 v[8:11], v[22:23], v[12:13], v[8:11]
	s_nop 6
	v_pk_mul_f32 v[36:37], v[74:75], v[8:9] op_sel_hi:[0,1]
	v_and_b32_e32 v8, 0xc0, v0
	v_add_u32_e32 v8, s5, v8
	v_lshl_or_b32 v8, v1, 2, v8
	v_pk_mul_f32 v[34:35], v[74:75], v[10:11] op_sel_hi:[0,1]
	v_or_b32_e32 v11, 1, v8
	v_mov_b32_e32 v9, 0xff7fffff
	v_cmp_gt_i32_e64 s[14:15], s20, v8
	v_cmp_gt_i32_e64 s[22:23], s20, v11
	v_or_b32_e32 v12, 3, v8
	v_cndmask_b32_e64 v10, v9, v6, s[14:15]
	v_cndmask_b32_e64 v11, v9, v7, s[22:23]
	v_max3_f32 v10, v10, s46, v11
	v_or_b32_e32 v11, 2, v8
	v_cmp_gt_i32_e64 s[28:29], s20, v11
	v_cmp_gt_i32_e64 s[34:35], s20, v12
	s_nop 0
	v_cndmask_b32_e64 v11, v9, v58, s[28:29]
	v_cndmask_b32_e64 v12, v9, v59, s[34:35]
	v_max3_f32 v10, v10, v11, v12
	v_or_b32_e32 v11, 16, v8
	v_or_b32_e32 v12, 17, v8
	v_cmp_gt_i32_e64 s[8:9], s20, v11
	v_cmp_gt_i32_e64 s[16:17], s20, v12
	s_nop 0
	v_cndmask_b32_e64 v11, v9, v44, s[8:9]
	v_cndmask_b32_e64 v12, v9, v45, s[16:17]
	v_max3_f32 v10, v10, v11, v12
	v_or_b32_e32 v11, 18, v8
	;; [unrolled: 8-line block ×5, first 2 shown]
	v_or_b32_e32 v12, 49, v8
	v_cmp_gt_i32_e32 vcc, s20, v11
	v_cmp_gt_i32_e64 s[6:7], s20, v12
	s_nop 0
	v_cndmask_b32_e32 v11, v9, v36, vcc
	v_cndmask_b32_e64 v12, v9, v37, s[6:7]
	v_max3_f32 v10, v10, v11, v12
	v_or_b32_e32 v11, 50, v8
	v_or_b32_e32 v8, 51, v8
	v_cmp_gt_i32_e64 s[12:13], s20, v11
	v_cmp_gt_i32_e64 s[20:21], s20, v8
	s_nop 0
	v_cndmask_b32_e64 v11, v9, v34, s[12:13]
	v_cndmask_b32_e64 v8, v9, v35, s[20:21]
	v_mbcnt_lo_u32_b32 v9, -1, 0
	v_mbcnt_hi_u32_b32 v9, -1, v9
	v_max3_f32 v8, v10, v11, v8
	v_and_b32_e32 v10, 64, v9
	v_add_u32_e32 v12, 64, v10
	v_xor_b32_e32 v10, 32, v9
	v_cmp_lt_i32_e64 s[36:37], v10, v12
	s_nop 1
	v_cndmask_b32_e64 v10, v9, v10, s[36:37]
	v_lshlrev_b32_e32 v70, 2, v10
	ds_bpermute_b32 v13, v70, v8
	v_lshl_add_u64 v[10:11], s[42:43], 0, v[50:51]
	s_waitcnt lgkmcnt(0)
	v_max_f32_e32 v13, v13, v13
	v_max_f32_e32 v14, v8, v13
	v_xor_b32_e32 v8, 16, v9
	v_cmp_lt_i32_e64 s[36:37], v8, v12
	s_nop 1
	v_cndmask_b32_e64 v8, v9, v8, s[36:37]
	v_lshlrev_b32_e32 v52, 2, v8
	ds_bpermute_b32 v15, v52, v14
	v_mad_i64_i32 v[8:9], s[36:37], v68, s41, v[10:11]
	v_mad_i64_i32 v[12:13], s[36:37], v69, s41, v[10:11]
	s_waitcnt lgkmcnt(0)
	v_max_f32_e32 v15, v15, v15
	v_max_f32_e32 v50, v14, v15
	v_sub_f32_e32 v6, v6, v50
	v_mul_f32_e32 v6, 0x3fb8aa3b, v6
	v_exp_f32_e32 v46, v6
	v_sub_f32_e32 v6, v7, v50
	v_mul_f32_e32 v6, 0x3fb8aa3b, v6
	v_exp_f32_e32 v47, v6
	global_load_dwordx4 v[14:17], v[8:9], off
	s_nop 0
	global_load_dwordx4 v[6:9], v[12:13], off
	v_sub_f32_e32 v12, v58, v50
	v_mul_f32_e32 v12, 0x3fb8aa3b, v12
	v_exp_f32_e32 v48, v12
	v_sub_f32_e32 v12, v59, v50
	v_mul_f32_e32 v12, 0x3fb8aa3b, v12
	v_exp_f32_e32 v49, v12
	v_mad_i64_i32 v[12:13], s[36:37], v66, s41, v[10:11]
	v_mad_i64_i32 v[10:11], s[36:37], v67, s41, v[10:11]
	global_load_dwordx4 v[22:25], v[12:13], off
	s_nop 0
	global_load_dwordx4 v[10:13], v[10:11], off
	v_sub_f32_e32 v44, v44, v50
	v_sub_f32_e32 v42, v42, v50
	v_mul_f32_e32 v44, 0x3fb8aa3b, v44
	v_mul_f32_e32 v42, 0x3fb8aa3b, v42
	v_exp_f32_e32 v44, v44
	v_exp_f32_e32 v51, v42
	v_sub_f32_e32 v45, v45, v50
	v_sub_f32_e32 v42, v43, v50
	v_sub_f32_e32 v40, v40, v50
	v_sub_f32_e32 v38, v38, v50
	v_mul_f32_e32 v45, 0x3fb8aa3b, v45
	v_mul_f32_e32 v42, 0x3fb8aa3b, v42
	;; [unrolled: 1-line block ×4, first 2 shown]
	v_exp_f32_e32 v45, v45
	v_exp_f32_e32 v53, v42
	v_cndmask_b32_e64 v42, 0, v44, s[8:9]
	v_cndmask_b32_e64 v44, 0, v51, s[24:25]
	v_exp_f32_e32 v40, v40
	v_exp_f32_e32 v51, v38
	v_sub_f32_e32 v41, v41, v50
	v_sub_f32_e32 v38, v39, v50
	;; [unrolled: 1-line block ×4, first 2 shown]
	v_mul_f32_e32 v41, 0x3fb8aa3b, v41
	v_mul_f32_e32 v38, 0x3fb8aa3b, v38
	v_mul_f32_e32 v36, 0x3fb8aa3b, v36
	v_mul_f32_e32 v34, 0x3fb8aa3b, v34
	v_cndmask_b32_e64 v43, 0, v45, s[16:17]
	v_cndmask_b32_e64 v45, 0, v53, s[30:31]
	v_exp_f32_e32 v41, v41
	v_exp_f32_e32 v53, v38
	v_cndmask_b32_e64 v38, 0, v40, s[4:5]
	v_cndmask_b32_e64 v40, 0, v51, s[18:19]
	v_exp_f32_e32 v36, v36
	v_exp_f32_e32 v51, v34
	v_sub_f32_e32 v34, v35, v50
	v_cndmask_b32_e64 v46, 0, v46, s[14:15]
	v_mul_f32_e32 v34, 0x3fb8aa3b, v34
	v_cndmask_b32_e64 v47, 0, v47, s[22:23]
	v_cndmask_b32_e64 v39, 0, v41, s[10:11]
	;; [unrolled: 1-line block ×3, first 2 shown]
	v_exp_f32_e32 v53, v34
	v_cndmask_b32_e32 v34, 0, v36, vcc
	v_cndmask_b32_e64 v36, 0, v51, s[12:13]
	v_add_f32_e32 v51, 0, v46
	v_cndmask_b32_e64 v48, 0, v48, s[28:29]
	v_add_f32_e32 v51, v51, v47
	;; [unrolled: 2-line block ×3, first 2 shown]
	v_add_f32_e32 v51, v51, v49
	v_add_f32_e32 v51, v51, v42
	;; [unrolled: 1-line block ×3, first 2 shown]
	v_sub_f32_e32 v37, v37, v50
	v_add_f32_e32 v51, v51, v44
	v_mul_f32_e32 v37, 0x3fb8aa3b, v37
	v_add_f32_e32 v51, v51, v45
	v_exp_f32_e32 v37, v37
	v_add_f32_e32 v51, v51, v38
	v_add_f32_e32 v51, v51, v39
	;; [unrolled: 1-line block ×4, first 2 shown]
	v_cndmask_b32_e64 v35, 0, v37, s[6:7]
	v_add_f32_e32 v51, v51, v34
	v_add_f32_e32 v51, v51, v35
	v_cndmask_b32_e64 v37, 0, v53, s[20:21]
	v_add_f32_e32 v51, v51, v36
	v_add_f32_e32 v51, v51, v37
	ds_bpermute_b32 v53, v70, v51
	v_cmp_gt_u32_e32 vcc, 16, v63
	s_waitcnt lgkmcnt(0)
	s_barrier
	v_add_f32_e32 v51, v51, v53
	ds_bpermute_b32 v52, v52, v51
	s_and_saveexec_b64 s[4:5], vcc
	s_cbranch_execz .LBB1323_13
; %bb.12:
	s_waitcnt lgkmcnt(0)
	v_add_f32_e32 v51, v51, v52
	v_lshlrev_b32_e32 v52, 2, v65
	ds_write2st64_b32 v52, v50, v51 offset1:1
.LBB1323_13:
	s_or_b64 exec, exec, s[4:5]
	v_lshlrev_b32_e32 v51, 2, v60
	s_load_dword s6, s[0:1], 0x94
	s_waitcnt lgkmcnt(0)
	s_barrier
	ds_read2_b32 v[52:53], v51 offset1:16
	ds_read2_b32 v[56:57], v51 offset0:32 offset1:48
	ds_read2_b32 v[58:59], v51 offset0:64 offset1:80
	s_movk_i32 s8, 0x7fff
	s_lshl_b32 s7, s40, 4
	s_waitcnt lgkmcnt(2)
	v_max3_f32 v50, v52, s46, v53
	s_waitcnt lgkmcnt(1)
	v_max3_f32 v50, v50, v56, v57
	v_sub_f32_e32 v52, v52, v50
	v_mul_f32_e32 v52, 0x3fb8aa3b, v52
	v_exp_f32_e32 v63, v52
	v_sub_f32_e32 v52, v53, v50
	v_mul_f32_e32 v52, 0x3fb8aa3b, v52
	v_exp_f32_e32 v65, v52
	;; [unrolled: 3-line block ×3, first 2 shown]
	ds_read2_b32 v[52:53], v51 offset0:96 offset1:112
	v_sub_f32_e32 v51, v57, v50
	v_mul_f32_e32 v51, 0x3fb8aa3b, v51
	v_exp_f32_e32 v57, v51
	s_waitcnt lgkmcnt(1)
	v_fma_f32 v51, v63, v58, 0
	v_fmac_f32_e32 v51, v65, v59
	s_waitcnt lgkmcnt(0)
	v_fmac_f32_e32 v51, v56, v52
	v_fmac_f32_e32 v51, v57, v53
	v_add_f32_e32 v52, 0x358637bd, v51
	v_div_scale_f32 v53, s[4:5], v52, v52, 1.0
	v_rcp_f32_e32 v58, v53
	s_barrier
	v_fma_f32 v59, -v53, v58, 1.0
	v_fmac_f32_e32 v58, v59, v58
	v_div_scale_f32 v59, vcc, 1.0, v52, 1.0
	v_mul_f32_e32 v66, v59, v58
	v_fma_f32 v67, -v53, v66, v59
	v_fmac_f32_e32 v66, v67, v58
	v_fma_f32 v53, -v53, v66, v59
	v_div_fmas_f32 v53, v53, v58, v66
	v_cmp_eq_u32_e32 vcc, 1, v62
	v_div_fixup_f32 v52, v53, v52, 1.0
	s_nop 0
	v_cndmask_b32_e32 v53, v63, v65, vcc
	v_cmp_eq_u32_e32 vcc, 2, v62
	s_nop 1
	v_cndmask_b32_e32 v53, v53, v56, vcc
	v_cmp_eq_u32_e32 vcc, 3, v62
	s_nop 1
	v_cndmask_b32_e32 v53, v53, v57, vcc
	v_mul_f32_e32 v52, v53, v52
	v_pk_mul_f32 v[46:47], v[52:53], v[46:47] op_sel_hi:[0,1]
	v_pk_mul_f32 v[48:49], v[52:53], v[48:49] op_sel_hi:[0,1]
	v_bfe_u32 v53, v47, 16, 1
	v_bfe_u32 v56, v46, 16, 1
	v_add3_u32 v46, v46, v56, s8
	v_add3_u32 v47, v47, v53, s8
	v_perm_b32 v46, v47, v46, s45
	v_bfe_u32 v47, v49, 16, 1
	v_bfe_u32 v53, v48, 16, 1
	v_add3_u32 v48, v48, v53, s8
	v_add3_u32 v47, v49, v47, s8
	v_perm_b32 v47, v47, v48, s45
	v_lshlrev_b32_e32 v48, 3, v1
	v_lshlrev_b32_e32 v49, 11, v62
	v_pk_mul_f32 v[42:43], v[52:53], v[42:43] op_sel_hi:[0,1]
	v_or3_b32 v56, v49, v64, v48
	v_bfe_u32 v48, v43, 16, 1
	v_bfe_u32 v49, v42, 16, 1
	v_pk_mul_f32 v[44:45], v[52:53], v[44:45] op_sel_hi:[0,1]
	v_add3_u32 v42, v42, v49, s8
	v_add3_u32 v43, v43, v48, s8
	v_perm_b32 v42, v43, v42, s45
	v_bfe_u32 v43, v45, 16, 1
	v_bfe_u32 v48, v44, 16, 1
	v_add3_u32 v44, v44, v48, s8
	v_add3_u32 v43, v45, v43, s8
	v_perm_b32 v43, v43, v44, s45
	v_pk_mul_f32 v[38:39], v[52:53], v[38:39] op_sel_hi:[0,1]
	ds_write2st64_b64 v56, v[46:47], v[42:43] offset1:1
	v_bfe_u32 v42, v39, 16, 1
	v_bfe_u32 v43, v38, 16, 1
	v_pk_mul_f32 v[40:41], v[52:53], v[40:41] op_sel_hi:[0,1]
	v_add3_u32 v38, v38, v43, s8
	v_add3_u32 v39, v39, v42, s8
	v_perm_b32 v38, v39, v38, s45
	v_bfe_u32 v39, v41, 16, 1
	v_bfe_u32 v42, v40, 16, 1
	v_add3_u32 v40, v40, v42, s8
	v_add3_u32 v39, v41, v39, s8
	v_pk_mul_f32 v[34:35], v[52:53], v[34:35] op_sel_hi:[0,1]
	v_perm_b32 v39, v39, v40, s45
	v_bfe_u32 v40, v35, 16, 1
	v_bfe_u32 v41, v34, 16, 1
	v_pk_mul_f32 v[36:37], v[52:53], v[36:37] op_sel_hi:[0,1]
	v_add3_u32 v34, v34, v41, s8
	v_add3_u32 v35, v35, v40, s8
	v_perm_b32 v34, v35, v34, s45
	v_bfe_u32 v35, v37, 16, 1
	v_bfe_u32 v40, v36, 16, 1
	v_add3_u32 v36, v36, v40, s8
	v_add3_u32 v35, v37, v35, s8
	v_perm_b32 v35, v35, v36, s45
	v_cmp_gt_u32_e32 vcc, 16, v0
	ds_write2st64_b64 v56, v[38:39], v[34:35] offset0:2 offset1:3
	s_and_saveexec_b64 s[4:5], vcc
	s_cbranch_execz .LBB1323_15
; %bb.14:
	v_or_b32_e32 v34, s44, v0
	v_mov_b32_e32 v35, 0
	v_mov_b32_e32 v36, s7
	v_mad_u64_u32 v[36:37], s[10:11], s2, v36, v[34:35]
	v_mov_b32_e32 v34, s33
	s_load_dwordx4 s[12:15], s[0:1], 0x58
	s_mul_i32 s3, s3, s7
	v_mad_u64_u32 v[34:35], s[10:11], v36, s6, v[34:35]
	v_add_u32_e32 v37, s3, v37
	v_mov_b32_e32 v36, v35
	v_mad_u64_u32 v[36:37], s[10:11], v37, s6, v[36:37]
	v_mov_b32_e32 v35, v36
	v_lshlrev_b64 v[34:35], 2, v[34:35]
	s_waitcnt lgkmcnt(0)
	v_lshl_add_u64 v[36:37], s[14:15], 0, v[34:35]
	v_lshl_add_u64 v[34:35], s[12:13], 0, v[34:35]
	global_store_dword v[36:37], v50, off
	global_store_dword v[34:35], v51, off
.LBB1323_15:
	s_or_b64 exec, exec, s[4:5]
	s_waitcnt vmcnt(7)
	v_cvt_pk_f32_fp8_e32 v[34:35], v18
	v_cvt_pk_f32_fp8_sdwa v[36:37], v18 src0_sel:WORD_1
	s_mov_b32 s5, 0x7060302
	s_waitcnt lgkmcnt(0)
	s_barrier
	v_cvt_pk_f32_fp8_e32 v[38:39], v19
	v_perm_b32 v18, v35, v34, s5
	v_cvt_pk_f32_fp8_sdwa v[40:41], v19 src0_sel:WORD_1
	v_perm_b32 v19, v37, v36, s5
	ds_read_b128 v[34:37], v55
	v_perm_b32 v46, v39, v38, s5
	v_perm_b32 v47, v41, v40, s5
	ds_read_b128 v[38:41], v55 offset:16
	v_cvt_pk_f32_fp8_e32 v[48:49], v20
	v_cvt_pk_f32_fp8_sdwa v[50:51], v20 src0_sel:WORD_1
	s_waitcnt lgkmcnt(1)
	v_mfma_f32_16x16x16_bf16 v[42:45], v[18:19], v[34:35], 0
	s_waitcnt vmcnt(6)
	v_cvt_pk_f32_fp8_e32 v[52:53], v4
	v_perm_b32 v18, v49, v48, s5
	v_perm_b32 v19, v51, v50, s5
	v_cvt_pk_f32_fp8_e32 v[48:49], v21
	v_mfma_f32_16x16x16_bf16 v[42:45], v[46:47], v[36:37], v[42:45]
	v_cvt_pk_f32_fp8_sdwa v[46:47], v21 src0_sel:WORD_1
	v_cvt_pk_f32_fp8_sdwa v[58:59], v4 src0_sel:WORD_1
	v_perm_b32 v48, v49, v48, s5
	s_waitcnt lgkmcnt(0)
	v_mfma_f32_16x16x16_bf16 v[18:21], v[18:19], v[38:39], v[42:45]
	v_perm_b32 v49, v47, v46, s5
	s_waitcnt vmcnt(5)
	v_cvt_pk_f32_fp8_e32 v[62:63], v32
	v_cvt_pk_f32_fp8_sdwa v[64:65], v32 src0_sel:WORD_1
	v_cvt_pk_f32_fp8_e32 v[42:43], v2
	v_mfma_f32_16x16x16_bf16 v[46:49], v[48:49], v[40:41], v[18:21]
	s_waitcnt vmcnt(4)
	v_cvt_pk_f32_fp8_e32 v[66:67], v28
	v_cvt_pk_f32_fp8_sdwa v[68:69], v28 src0_sel:WORD_1
	v_cvt_pk_f32_fp8_sdwa v[18:19], v2 src0_sel:WORD_1
	v_cvt_pk_f32_fp8_e32 v[20:21], v3
	v_perm_b32 v2, v43, v42, s5
	v_cvt_pk_f32_fp8_sdwa v[42:43], v3 src0_sel:WORD_1
	v_perm_b32 v3, v19, v18, s5
	v_perm_b32 v50, v21, v20, s5
	ds_read_b128 v[18:21], v55 offset:2048
	v_perm_b32 v51, v43, v42, s5
	ds_read_b128 v[42:45], v55 offset:2064
	s_waitcnt lgkmcnt(1)
	v_mfma_f32_16x16x16_bf16 v[46:49], v[2:3], v[18:19], v[46:49]
	v_perm_b32 v2, v53, v52, s5
	v_perm_b32 v3, v59, v58, s5
	v_cvt_pk_f32_fp8_e32 v[52:53], v5
	v_mfma_f32_16x16x16_bf16 v[46:49], v[50:51], v[20:21], v[46:49]
	v_cvt_pk_f32_fp8_sdwa v[50:51], v5 src0_sel:WORD_1
	s_load_dword s4, s[38:39], 0x0
	v_perm_b32 v52, v53, v52, s5
	s_waitcnt lgkmcnt(0)
	v_mfma_f32_16x16x16_bf16 v[2:5], v[2:3], v[42:43], v[46:49]
	v_perm_b32 v53, v51, v50, s5
	s_waitcnt vmcnt(3)
	v_cvt_pk_f32_fp8_sdwa v[70:71], v16 src0_sel:WORD_1
	s_mov_b32 s3, 0
	v_cvt_pk_f32_fp8_e32 v[46:47], v30
	v_mfma_f32_16x16x16_bf16 v[50:53], v[52:53], v[44:45], v[2:5]
	v_cmp_gt_u32_e32 vcc, 64, v0
	s_nop 1
	v_cvt_pk_f32_fp8_sdwa v[2:3], v30 src0_sel:WORD_1
	v_cvt_pk_f32_fp8_e32 v[4:5], v31
	v_perm_b32 v30, v47, v46, s5
	v_cvt_pk_f32_fp8_sdwa v[46:47], v31 src0_sel:WORD_1
	v_perm_b32 v31, v3, v2, s5
	v_perm_b32 v58, v5, v4, s5
	ds_read_b128 v[2:5], v55 offset:4096
	v_perm_b32 v59, v47, v46, s5
	ds_read_b128 v[46:49], v55 offset:4112
	s_waitcnt lgkmcnt(1)
	v_mfma_f32_16x16x16_bf16 v[50:53], v[30:31], v[2:3], v[50:53]
	v_perm_b32 v30, v63, v62, s5
	v_perm_b32 v31, v65, v64, s5
	v_cvt_pk_f32_fp8_e32 v[62:63], v33
	v_mfma_f32_16x16x16_bf16 v[50:53], v[58:59], v[4:5], v[50:53]
	v_cvt_pk_f32_fp8_sdwa v[58:59], v33 src0_sel:WORD_1
	v_perm_b32 v62, v63, v62, s5
	s_waitcnt lgkmcnt(0)
	v_mfma_f32_16x16x16_bf16 v[30:33], v[30:31], v[46:47], v[50:53]
	v_perm_b32 v63, v59, v58, s5
	s_nop 1
	v_cvt_pk_f32_fp8_e32 v[50:51], v26
	v_mfma_f32_16x16x16_bf16 v[62:65], v[62:63], v[48:49], v[30:33]
	s_nop 2
	v_cvt_pk_f32_fp8_sdwa v[30:31], v26 src0_sel:WORD_1
	v_cvt_pk_f32_fp8_e32 v[32:33], v27
	v_perm_b32 v26, v51, v50, s5
	v_cvt_pk_f32_fp8_sdwa v[50:51], v27 src0_sel:WORD_1
	v_perm_b32 v27, v31, v30, s5
	v_perm_b32 v58, v33, v32, s5
	ds_read_b128 v[30:33], v55 offset:6144
	v_perm_b32 v59, v51, v50, s5
	ds_read_b128 v[50:53], v55 offset:6160
	s_waitcnt lgkmcnt(1)
	v_mfma_f32_16x16x16_bf16 v[62:65], v[26:27], v[30:31], v[62:65]
	v_perm_b32 v26, v67, v66, s5
	v_perm_b32 v27, v69, v68, s5
	v_cvt_pk_f32_fp8_e32 v[66:67], v29
	v_mfma_f32_16x16x16_bf16 v[62:65], v[58:59], v[32:33], v[62:65]
	v_cvt_pk_f32_fp8_sdwa v[58:59], v29 src0_sel:WORD_1
	v_cvt_pk_f32_fp8_e32 v[68:69], v16
	v_perm_b32 v66, v67, v66, s5
	s_waitcnt lgkmcnt(0)
	v_mfma_f32_16x16x16_bf16 v[26:29], v[26:27], v[50:51], v[62:65]
	v_perm_b32 v67, v59, v58, s5
	v_cvt_pk_f32_fp8_sdwa v[58:59], v14 src0_sel:WORD_1
	s_nop 0
	v_mfma_f32_16x16x16_bf16 v[62:65], v[66:67], v[52:53], v[26:29]
	s_barrier
	s_nop 1
	v_cvt_pk_f32_fp8_e32 v[28:29], v14
	s_nop 2
	v_pk_mul_f32 v[66:67], v[62:63], s[4:5] op_sel_hi:[1,0]
	v_cvt_pk_f32_fp8_e32 v[62:63], v15
	v_perm_b32 v28, v29, v28, s5
	v_perm_b32 v29, v59, v58, s5
	v_cvt_pk_f32_fp8_sdwa v[14:15], v15 src0_sel:WORD_1
	v_perm_b32 v58, v63, v62, s5
	v_pk_mul_f32 v[26:27], v[64:65], s[4:5] op_sel_hi:[1,0]
	v_mfma_f32_16x16x16_bf16 v[62:65], v[28:29], v[34:35], 0
	v_perm_b32 v59, v15, v14, s5
	v_perm_b32 v28, v69, v68, s5
	;; [unrolled: 1-line block ×3, first 2 shown]
	v_cvt_pk_f32_fp8_e32 v[34:35], v17
	v_cvt_pk_f32_fp8_sdwa v[68:69], v17 src0_sel:WORD_1
	v_mfma_f32_16x16x16_bf16 v[14:17], v[58:59], v[36:37], v[62:65]
	s_waitcnt vmcnt(2)
	v_cvt_pk_f32_fp8_sdwa v[36:37], v6 src0_sel:WORD_1
	v_perm_b32 v34, v35, v34, s5
	v_perm_b32 v35, v69, v68, s5
	v_mfma_f32_16x16x16_bf16 v[14:17], v[28:29], v[38:39], v[14:17]
	v_cvt_pk_f32_fp8_e32 v[28:29], v6
	v_cvt_pk_f32_fp8_sdwa v[38:39], v8 src0_sel:WORD_1
	v_bfe_u32 v55, v67, 16, 1
	v_mfma_f32_16x16x16_bf16 v[14:17], v[34:35], v[40:41], v[14:17]
	v_cvt_pk_f32_fp8_e32 v[34:35], v7
	v_perm_b32 v28, v29, v28, s5
	v_perm_b32 v29, v37, v36, s5
	v_cvt_pk_f32_fp8_sdwa v[6:7], v7 src0_sel:WORD_1
	v_perm_b32 v34, v35, v34, s5
	v_cvt_pk_f32_fp8_e32 v[36:37], v8
	v_mfma_f32_16x16x16_bf16 v[14:17], v[28:29], v[18:19], v[14:17]
	v_perm_b32 v35, v7, v6, s5
	v_perm_b32 v18, v37, v36, s5
	;; [unrolled: 1-line block ×3, first 2 shown]
	v_cvt_pk_f32_fp8_e32 v[28:29], v9
	v_cvt_pk_f32_fp8_sdwa v[36:37], v9 src0_sel:WORD_1
	v_mfma_f32_16x16x16_bf16 v[6:9], v[34:35], v[20:21], v[14:17]
	s_waitcnt vmcnt(1)
	v_cvt_pk_f32_fp8_e32 v[20:21], v24
	v_bfe_u32 v57, v66, 16, 1
	v_add3_u32 v34, v66, v57, s8
	v_perm_b32 v14, v29, v28, s5
	v_perm_b32 v15, v37, v36, s5
	v_mfma_f32_16x16x16_bf16 v[6:9], v[18:19], v[42:43], v[6:9]
	v_cvt_pk_f32_fp8_e32 v[16:17], v22
	v_cvt_pk_f32_fp8_sdwa v[18:19], v22 src0_sel:WORD_1
	v_add3_u32 v28, v67, v55, s8
	v_mfma_f32_16x16x16_bf16 v[6:9], v[14:15], v[44:45], v[6:9]
	v_cvt_pk_f32_fp8_e32 v[14:15], v23
	v_perm_b32 v16, v17, v16, s5
	v_perm_b32 v17, v19, v18, s5
	v_cvt_pk_f32_fp8_sdwa v[18:19], v23 src0_sel:WORD_1
	v_perm_b32 v14, v15, v14, s5
	v_cvt_pk_f32_fp8_sdwa v[22:23], v24 src0_sel:WORD_1
	v_mfma_f32_16x16x16_bf16 v[6:9], v[16:17], v[2:3], v[6:9]
	v_perm_b32 v15, v19, v18, s5
	v_perm_b32 v16, v21, v20, s5
	;; [unrolled: 1-line block ×3, first 2 shown]
	v_cvt_pk_f32_fp8_e32 v[18:19], v25
	v_cvt_pk_f32_fp8_sdwa v[20:21], v25 src0_sel:WORD_1
	v_mfma_f32_16x16x16_bf16 v[2:5], v[14:15], v[4:5], v[6:9]
	s_waitcnt vmcnt(0)
	v_cvt_pk_f32_fp8_e32 v[14:15], v10
	v_perm_b32 v14, v15, v14, s5
	v_perm_b32 v8, v19, v18, s5
	v_perm_b32 v9, v21, v20, s5
	v_mfma_f32_16x16x16_bf16 v[2:5], v[16:17], v[46:47], v[2:5]
	v_cvt_pk_f32_fp8_sdwa v[16:17], v10 src0_sel:WORD_1
	v_cvt_pk_f32_fp8_sdwa v[18:19], v12 src0_sel:WORD_1
	v_bfe_u32 v7, v27, 16, 1
	v_mfma_f32_16x16x16_bf16 v[2:5], v[8:9], v[48:49], v[2:5]
	v_cvt_pk_f32_fp8_e32 v[8:9], v11
	v_perm_b32 v15, v17, v16, s5
	v_cvt_pk_f32_fp8_sdwa v[10:11], v11 src0_sel:WORD_1
	v_cvt_pk_f32_fp8_e32 v[16:17], v12
	v_perm_b32 v8, v9, v8, s5
	v_mfma_f32_16x16x16_bf16 v[2:5], v[14:15], v[30:31], v[2:5]
	v_perm_b32 v9, v11, v10, s5
	v_perm_b32 v10, v17, v16, s5
	v_perm_b32 v11, v19, v18, s5
	v_cvt_pk_f32_fp8_e32 v[14:15], v13
	v_cvt_pk_f32_fp8_sdwa v[12:13], v13 src0_sel:WORD_1
	v_mfma_f32_16x16x16_bf16 v[2:5], v[8:9], v[32:33], v[2:5]
	v_bfe_u32 v16, v26, 16, 1
	v_perm_b32 v8, v15, v14, s5
	v_perm_b32 v9, v13, v12, s5
	v_mfma_f32_16x16x16_bf16 v[2:5], v[10:11], v[50:51], v[2:5]
	v_add3_u32 v10, v26, v16, s8
	v_add3_u32 v7, v27, v7, s8
	v_perm_b32 v6, v28, v34, s5
	v_mfma_f32_16x16x16_bf16 v[2:5], v[8:9], v[52:53], v[2:5]
	v_perm_b32 v7, v7, v10, s5
	s_nop 5
	v_pk_mul_f32 v[2:3], v[2:3], s[4:5] op_sel_hi:[1,0]
	v_pk_mul_f32 v[4:5], v[4:5], s[4:5] op_sel_hi:[1,0]
	v_bfe_u32 v8, v3, 16, 1
	v_bfe_u32 v9, v2, 16, 1
	v_add3_u32 v2, v2, v9, s8
	v_add3_u32 v3, v3, v8, s8
	v_perm_b32 v2, v3, v2, s5
	v_bfe_u32 v3, v5, 16, 1
	v_bfe_u32 v8, v4, 16, 1
	v_add3_u32 v4, v4, v8, s8
	v_add3_u32 v3, v5, v3, s8
	v_perm_b32 v3, v3, v4, s5
	ds_write2st64_b64 v56, v[6:7], v[2:3] offset1:1
	s_waitcnt lgkmcnt(0)
	s_barrier
	s_and_saveexec_b64 s[4:5], vcc
	s_cbranch_execz .LBB1323_17
; %bb.16:
	s_load_dwordx2 s[0:1], s[0:1], 0x68
	s_lshl_b32 s6, s6, 7
	s_mul_i32 s2, s7, s2
	s_mul_hi_u32 s5, s2, s6
	s_mul_i32 s4, s2, s6
	s_lshl_b64 s[4:5], s[4:5], 1
	s_waitcnt lgkmcnt(0)
	s_add_u32 s4, s0, s4
	v_lshlrev_b32_e32 v4, 6, v60
	s_addc_u32 s5, s1, s5
	s_lshl_b32 s2, s33, 7
	v_lshl_or_b32 v0, v0, 10, v4
	s_lshl_b64 s[0:1], s[2:3], 1
	v_lshlrev_b32_e32 v2, 5, v1
	v_and_b32_e32 v3, 16, v61
	v_and_b32_e32 v0, 0x1a00, v0
	s_add_u32 s0, s4, s0
	v_or3_b32 v0, v0, v2, v3
	s_addc_u32 s1, s5, s1
	v_mov_b32_e32 v55, 0
	v_or_b32_e32 v20, s44, v1
	ds_read_b128 v[2:5], v0
	ds_read_b128 v[6:9], v0 offset:128
	ds_read_b128 v[10:13], v0 offset:256
	;; [unrolled: 1-line block ×3, first 2 shown]
	v_lshl_add_u64 v[18:19], s[0:1], 0, v[54:55]
	v_mad_u64_u32 v[0:1], s[0:1], v20, s6, 0
	v_lshl_add_u64 v[0:1], v[0:1], 1, v[18:19]
	s_waitcnt lgkmcnt(3)
	global_store_dwordx4 v[0:1], v[2:5], off
	v_or_b32_e32 v0, 4, v20
	v_mad_u64_u32 v[0:1], s[0:1], v0, s6, 0
	v_lshl_add_u64 v[0:1], v[0:1], 1, v[18:19]
	s_waitcnt lgkmcnt(2)
	global_store_dwordx4 v[0:1], v[6:9], off
	v_or_b32_e32 v0, 8, v20
	;; [unrolled: 5-line block ×3, first 2 shown]
	v_mad_u64_u32 v[0:1], s[0:1], v0, s6, 0
	v_lshl_add_u64 v[0:1], v[0:1], 1, v[18:19]
	s_waitcnt lgkmcnt(0)
	global_store_dwordx4 v[0:1], v[14:17], off
.LBB1323_17:
	s_endpgm
	.section	.rodata,"a",@progbits
	.p2align	6, 0x0
	.amdhsa_kernel _Z39paged_attention_ll4mi_QKV_mfma16_kernelI14__hip_bfloat16hLN4vllm18Fp8KVCacheDataTypeE1ES0_Li16ELi128ELi256ELb0ELi16EEvPKT_PKT0_S8_ifPKiSA_SA_iPKfiiiPfSD_PS3_PT2_iSC_SC_
		.amdhsa_group_segment_fixed_size 8192
		.amdhsa_private_segment_fixed_size 0
		.amdhsa_kernarg_size 400
		.amdhsa_user_sgpr_count 2
		.amdhsa_user_sgpr_dispatch_ptr 0
		.amdhsa_user_sgpr_queue_ptr 0
		.amdhsa_user_sgpr_kernarg_segment_ptr 1
		.amdhsa_user_sgpr_dispatch_id 0
		.amdhsa_user_sgpr_kernarg_preload_length 0
		.amdhsa_user_sgpr_kernarg_preload_offset 0
		.amdhsa_user_sgpr_private_segment_size 0
		.amdhsa_uses_dynamic_stack 0
		.amdhsa_enable_private_segment 0
		.amdhsa_system_sgpr_workgroup_id_x 1
		.amdhsa_system_sgpr_workgroup_id_y 1
		.amdhsa_system_sgpr_workgroup_id_z 1
		.amdhsa_system_sgpr_workgroup_info 0
		.amdhsa_system_vgpr_workitem_id 0
		.amdhsa_next_free_vgpr 92
		.amdhsa_next_free_sgpr 47
		.amdhsa_accum_offset 92
		.amdhsa_reserve_vcc 1
		.amdhsa_float_round_mode_32 0
		.amdhsa_float_round_mode_16_64 0
		.amdhsa_float_denorm_mode_32 3
		.amdhsa_float_denorm_mode_16_64 3
		.amdhsa_dx10_clamp 1
		.amdhsa_ieee_mode 1
		.amdhsa_fp16_overflow 0
		.amdhsa_tg_split 0
		.amdhsa_exception_fp_ieee_invalid_op 0
		.amdhsa_exception_fp_denorm_src 0
		.amdhsa_exception_fp_ieee_div_zero 0
		.amdhsa_exception_fp_ieee_overflow 0
		.amdhsa_exception_fp_ieee_underflow 0
		.amdhsa_exception_fp_ieee_inexact 0
		.amdhsa_exception_int_div_zero 0
	.end_amdhsa_kernel
	.section	.text._Z39paged_attention_ll4mi_QKV_mfma16_kernelI14__hip_bfloat16hLN4vllm18Fp8KVCacheDataTypeE1ES0_Li16ELi128ELi256ELb0ELi16EEvPKT_PKT0_S8_ifPKiSA_SA_iPKfiiiPfSD_PS3_PT2_iSC_SC_,"axG",@progbits,_Z39paged_attention_ll4mi_QKV_mfma16_kernelI14__hip_bfloat16hLN4vllm18Fp8KVCacheDataTypeE1ES0_Li16ELi128ELi256ELb0ELi16EEvPKT_PKT0_S8_ifPKiSA_SA_iPKfiiiPfSD_PS3_PT2_iSC_SC_,comdat
.Lfunc_end1323:
	.size	_Z39paged_attention_ll4mi_QKV_mfma16_kernelI14__hip_bfloat16hLN4vllm18Fp8KVCacheDataTypeE1ES0_Li16ELi128ELi256ELb0ELi16EEvPKT_PKT0_S8_ifPKiSA_SA_iPKfiiiPfSD_PS3_PT2_iSC_SC_, .Lfunc_end1323-_Z39paged_attention_ll4mi_QKV_mfma16_kernelI14__hip_bfloat16hLN4vllm18Fp8KVCacheDataTypeE1ES0_Li16ELi128ELi256ELb0ELi16EEvPKT_PKT0_S8_ifPKiSA_SA_iPKfiiiPfSD_PS3_PT2_iSC_SC_
                                        ; -- End function
	.section	.AMDGPU.csdata,"",@progbits
; Kernel info:
; codeLenInByte = 6332
; NumSgprs: 53
; NumVgprs: 92
; NumAgprs: 0
; TotalNumVgprs: 92
; ScratchSize: 0
; MemoryBound: 0
; FloatMode: 240
; IeeeMode: 1
; LDSByteSize: 8192 bytes/workgroup (compile time only)
; SGPRBlocks: 6
; VGPRBlocks: 11
; NumSGPRsForWavesPerEU: 53
; NumVGPRsForWavesPerEU: 92
; AccumOffset: 92
; Occupancy: 5
; WaveLimiterHint : 1
; COMPUTE_PGM_RSRC2:SCRATCH_EN: 0
; COMPUTE_PGM_RSRC2:USER_SGPR: 2
; COMPUTE_PGM_RSRC2:TRAP_HANDLER: 0
; COMPUTE_PGM_RSRC2:TGID_X_EN: 1
; COMPUTE_PGM_RSRC2:TGID_Y_EN: 1
; COMPUTE_PGM_RSRC2:TGID_Z_EN: 1
; COMPUTE_PGM_RSRC2:TIDIG_COMP_CNT: 0
; COMPUTE_PGM_RSRC3_GFX90A:ACCUM_OFFSET: 22
; COMPUTE_PGM_RSRC3_GFX90A:TG_SPLIT: 0
	.section	.text._Z39paged_attention_ll4mi_QKV_mfma16_kernelI14__hip_bfloat16hLN4vllm18Fp8KVCacheDataTypeE1ES0_Li16ELi128ELi256ELb0ELi1EEvPKT_PKT0_S8_ifPKiSA_SA_iPKfiiiPfSD_PS3_PT2_iSC_SC_,"axG",@progbits,_Z39paged_attention_ll4mi_QKV_mfma16_kernelI14__hip_bfloat16hLN4vllm18Fp8KVCacheDataTypeE1ES0_Li16ELi128ELi256ELb0ELi1EEvPKT_PKT0_S8_ifPKiSA_SA_iPKfiiiPfSD_PS3_PT2_iSC_SC_,comdat
	.protected	_Z39paged_attention_ll4mi_QKV_mfma16_kernelI14__hip_bfloat16hLN4vllm18Fp8KVCacheDataTypeE1ES0_Li16ELi128ELi256ELb0ELi1EEvPKT_PKT0_S8_ifPKiSA_SA_iPKfiiiPfSD_PS3_PT2_iSC_SC_ ; -- Begin function _Z39paged_attention_ll4mi_QKV_mfma16_kernelI14__hip_bfloat16hLN4vllm18Fp8KVCacheDataTypeE1ES0_Li16ELi128ELi256ELb0ELi1EEvPKT_PKT0_S8_ifPKiSA_SA_iPKfiiiPfSD_PS3_PT2_iSC_SC_
	.globl	_Z39paged_attention_ll4mi_QKV_mfma16_kernelI14__hip_bfloat16hLN4vllm18Fp8KVCacheDataTypeE1ES0_Li16ELi128ELi256ELb0ELi1EEvPKT_PKT0_S8_ifPKiSA_SA_iPKfiiiPfSD_PS3_PT2_iSC_SC_
	.p2align	8
	.type	_Z39paged_attention_ll4mi_QKV_mfma16_kernelI14__hip_bfloat16hLN4vllm18Fp8KVCacheDataTypeE1ES0_Li16ELi128ELi256ELb0ELi1EEvPKT_PKT0_S8_ifPKiSA_SA_iPKfiiiPfSD_PS3_PT2_iSC_SC_,@function
_Z39paged_attention_ll4mi_QKV_mfma16_kernelI14__hip_bfloat16hLN4vllm18Fp8KVCacheDataTypeE1ES0_Li16ELi128ELi256ELb0ELi1EEvPKT_PKT0_S8_ifPKiSA_SA_iPKfiiiPfSD_PS3_PT2_iSC_SC_: ; @_Z39paged_attention_ll4mi_QKV_mfma16_kernelI14__hip_bfloat16hLN4vllm18Fp8KVCacheDataTypeE1ES0_Li16ELi128ELi256ELb0ELi1EEvPKT_PKT0_S8_ifPKiSA_SA_iPKfiiiPfSD_PS3_PT2_iSC_SC_
; %bb.0:
	s_load_dwordx2 s[12:13], s[0:1], 0x30
	s_mov_b32 s5, s3
	s_mov_b64 s[6:7], 0
	s_waitcnt lgkmcnt(0)
	s_cmp_lg_u64 s[12:13], 0
	s_cselect_b64 s[14:15], -1, 0
	s_and_b64 vcc, exec, s[14:15]
	s_cbranch_vccz .LBB1324_7
; %bb.1:
	s_add_i32 s8, s2, 1
	s_mov_b32 s9, 0
	s_lshl_b64 s[10:11], s[8:9], 2
	s_add_u32 s10, s12, s10
	s_mov_b32 s3, s9
	s_addc_u32 s11, s13, s11
	s_lshl_b64 s[8:9], s[2:3], 2
	s_add_u32 s8, s12, s8
	s_addc_u32 s9, s13, s9
	s_load_dword s16, s[10:11], 0x0
	s_load_dword s17, s[8:9], 0x0
	s_waitcnt lgkmcnt(0)
	s_sub_i32 s8, s16, s17
	s_cmp_eq_u32 s8, 1
	s_cselect_b64 s[8:9], -1, 0
	s_andn2_b64 vcc, exec, s[6:7]
	s_cbranch_vccnz .LBB1324_3
.LBB1324_2:
	s_mov_b32 s3, 0
	s_mov_b64 s[8:9], -1
.LBB1324_3:
	s_andn2_b64 vcc, exec, s[8:9]
	s_cbranch_vccnz .LBB1324_17
; %bb.4:
	s_load_dwordx2 s[6:7], s[0:1], 0x28
	s_lshl_b64 s[16:17], s[2:3], 2
	s_waitcnt lgkmcnt(0)
	s_add_u32 s6, s6, s16
	s_addc_u32 s7, s7, s17
	s_load_dword s18, s[6:7], 0x0
	s_lshl_b32 s19, s5, 8
	s_waitcnt lgkmcnt(0)
	s_cmp_ge_i32 s19, s18
	s_cbranch_scc1 .LBB1324_17
; %bb.5:
	s_load_dwordx2 s[6:7], s[0:1], 0x20
	s_load_dword s8, s[0:1], 0x38
	s_add_i32 s9, s18, 15
	s_ashr_i32 s10, s9, 31
	v_and_b32_e32 v1, 0xcf, v0
	s_lshr_b32 s10, s10, 28
	v_add_u32_e32 v1, s19, v1
	s_add_i32 s9, s9, s10
	v_ashrrev_i32_e32 v2, 31, v1
	s_ashr_i32 s20, s9, 4
	v_lshrrev_b32_e32 v10, 28, v2
	s_add_i32 s20, s20, -1
	s_waitcnt lgkmcnt(0)
	s_mul_i32 s8, s2, s8
	s_mov_b32 s9, 0
	v_add_u32_e32 v2, v1, v10
	s_lshl_b64 s[8:9], s[8:9], 2
	v_ashrrev_i32_e32 v2, 4, v2
	v_mov_b32_e32 v11, s20
	v_cmp_gt_i32_e32 vcc, s18, v1
	s_add_u32 s6, s6, s8
	s_addc_u32 s7, s7, s9
	v_cndmask_b32_e32 v2, v11, v2, vcc
	v_ashrrev_i32_e32 v3, 31, v2
	v_lshl_add_u64 v[4:5], v[2:3], 2, s[6:7]
	v_or_b32_e32 v2, 16, v1
	v_add_u32_e32 v3, v2, v10
	v_ashrrev_i32_e32 v3, 4, v3
	v_cmp_gt_i32_e32 vcc, s18, v2
	s_load_dwordx4 s[8:11], s[0:1], 0x8
	s_nop 0
	v_cndmask_b32_e32 v2, v11, v3, vcc
	v_ashrrev_i32_e32 v3, 31, v2
	v_lshl_add_u64 v[6:7], v[2:3], 2, s[6:7]
	v_or_b32_e32 v2, 32, v1
	v_add_u32_e32 v3, v2, v10
	v_ashrrev_i32_e32 v3, 4, v3
	v_cmp_gt_i32_e32 vcc, s18, v2
	v_or_b32_e32 v1, 48, v1
	s_nop 0
	v_cndmask_b32_e32 v2, v11, v3, vcc
	v_ashrrev_i32_e32 v3, 31, v2
	v_lshl_add_u64 v[8:9], v[2:3], 2, s[6:7]
	v_add_u32_e32 v2, v1, v10
	v_ashrrev_i32_e32 v2, 4, v2
	v_cmp_gt_i32_e32 vcc, s18, v1
	s_nop 1
	v_cndmask_b32_e32 v2, v11, v2, vcc
	v_ashrrev_i32_e32 v3, 31, v2
	v_lshl_add_u64 v[10:11], v[2:3], 2, s[6:7]
	global_load_dword v3, v[4:5], off
	global_load_dword v2, v[6:7], off
	;; [unrolled: 1-line block ×4, first 2 shown]
	s_andn2_b64 vcc, exec, s[14:15]
	s_cbranch_vccnz .LBB1324_8
; %bb.6:
	s_add_u32 s12, s12, s16
	s_addc_u32 s13, s13, s17
	s_load_dword s14, s[12:13], 0x0
	s_branch .LBB1324_9
.LBB1324_7:
	s_mov_b64 s[8:9], 0
	s_branch .LBB1324_2
.LBB1324_8:
	s_mov_b32 s14, s2
.LBB1324_9:
	s_load_dwordx4 s[44:47], s[0:1], 0x48
	v_lshrrev_b32_e32 v57, 6, v0
	v_bfe_u32 v54, v0, 4, 2
	v_and_b32_e32 v55, 15, v0
	v_lshl_or_b32 v1, v57, 2, v54
	v_lshlrev_b32_e32 v4, 3, v55
	v_and_b32_e32 v58, 63, v0
	v_cmp_eq_u32_e32 vcc, 0, v1
	v_lshlrev_b32_e32 v1, 1, v4
	v_lshlrev_b32_e32 v56, 4, v0
	s_and_saveexec_b64 s[12:13], vcc
	s_cbranch_execz .LBB1324_11
; %bb.10:
	s_load_dwordx2 s[16:17], s[0:1], 0x0
	s_waitcnt lgkmcnt(0)
	s_ashr_i32 s15, s44, 31
	s_mul_hi_u32 s21, s14, s44
	s_mul_i32 s15, s14, s15
	s_add_i32 s15, s21, s15
	s_mul_i32 s14, s14, s44
	s_lshl_b64 s[14:15], s[14:15], 1
	s_add_u32 s16, s16, s14
	s_addc_u32 s17, s17, s15
	s_lshl_b32 s14, s4, 7
	s_ashr_i32 s15, s14, 31
	s_lshl_b64 s[14:15], s[14:15], 1
	s_add_u32 s14, s16, s14
	s_addc_u32 s15, s17, s15
	global_load_dwordx4 v[4:7], v1, s[14:15]
	v_lshlrev_b32_e32 v8, 8, v0
	v_lshlrev_b32_e32 v9, 8, v55
	v_and_b32_e32 v8, 0x600, v8
	v_and_b32_e32 v9, 0x800, v9
	v_and_b32_e32 v10, 16, v56
	v_or3_b32 v8, v9, v8, v10
	s_waitcnt vmcnt(0)
	ds_write_b128 v8, v[4:7]
.LBB1324_11:
	s_or_b64 exec, exec, s[12:13]
	s_waitcnt lgkmcnt(0)
	s_mul_i32 s12, s4, s46
	s_add_u32 s8, s8, s12
	s_addc_u32 s9, s9, 0
	v_and_b32_e32 v50, 0xf0, v56
	v_mov_b32_e32 v51, 0
	v_and_b32_e32 v36, 48, v0
	v_lshl_add_u64 v[26:27], s[8:9], 0, v[50:51]
	v_lshlrev_b32_e32 v50, 4, v36
	s_waitcnt vmcnt(3)
	v_mad_i64_i32 v[4:5], s[8:9], v3, s45, v[26:27]
	v_lshl_add_u64 v[4:5], v[4:5], 0, v[50:51]
	s_barrier
	global_load_dwordx4 v[30:33], v[4:5], off
	global_load_dwordx4 v[14:17], v[4:5], off offset:1024
	s_waitcnt vmcnt(4)
	v_mad_i64_i32 v[2:3], s[8:9], v2, s45, v[26:27]
	v_lshl_add_u64 v[28:29], v[2:3], 0, v[50:51]
	global_load_dwordx4 v[2:5], v[28:29], off
	v_or_b32_e32 v36, s19, v36
	v_mov_b32_e32 v45, s20
	v_ashrrev_i32_e32 v37, 4, v36
	v_or_b32_e32 v38, 64, v36
	v_cmp_gt_i32_e32 vcc, s18, v36
	v_lshlrev_b32_e32 v6, 9, v54
	v_or_b32_e32 v46, 0x80, v36
	v_or_b32_e32 v47, 0xc0, v36
	v_cndmask_b32_e32 v36, v45, v37, vcc
	v_ashrrev_i32_e32 v39, 4, v38
	v_cmp_gt_i32_e32 vcc, s18, v38
	s_load_dword s8, s[0:1], 0x1c
	s_load_dwordx4 s[40:43], s[0:1], 0x80
	ds_read_b128 v[22:25], v6
	ds_read_b128 v[18:21], v6 offset:16
	ds_read_b128 v[10:13], v6 offset:2048
	ds_read_b128 v[6:9], v6 offset:2064
	v_cndmask_b32_e32 v44, v45, v39, vcc
	global_load_dwordx4 v[38:41], v[28:29], off offset:1024
	s_add_u32 s46, s10, s12
	s_waitcnt vmcnt(5)
	v_mad_i64_i32 v[42:43], s[12:13], v34, s45, v[26:27]
	v_ashrrev_i32_e32 v48, 4, v46
	s_waitcnt vmcnt(4)
	v_mad_i64_i32 v[26:27], s[12:13], v35, s45, v[26:27]
	v_ashrrev_i32_e32 v37, 31, v36
	v_cmp_gt_i32_e32 vcc, s18, v46
	v_lshl_add_u64 v[28:29], v[42:43], 0, v[50:51]
	v_ashrrev_i32_e32 v49, 4, v47
	v_cndmask_b32_e32 v48, v45, v48, vcc
	v_cmp_gt_i32_e32 vcc, s18, v47
	v_lshl_add_u64 v[46:47], v[26:27], 0, v[50:51]
	v_lshl_add_u64 v[60:61], v[36:37], 2, s[6:7]
	global_load_dwordx4 v[34:37], v[28:29], off
	s_nop 0
	global_load_dwordx4 v[26:29], v[28:29], off offset:1024
	v_cndmask_b32_e32 v52, v45, v49, vcc
	v_ashrrev_i32_e32 v45, 31, v44
	v_ashrrev_i32_e32 v49, 31, v48
	;; [unrolled: 1-line block ×3, first 2 shown]
	v_lshl_add_u64 v[42:43], v[44:45], 2, s[6:7]
	v_lshl_add_u64 v[44:45], v[48:49], 2, s[6:7]
	;; [unrolled: 1-line block ×3, first 2 shown]
	global_load_dword v60, v[60:61], off
	s_nop 0
	global_load_dword v63, v[42:43], off
	global_load_dword v61, v[44:45], off
	;; [unrolled: 1-line block ×3, first 2 shown]
	s_mov_b32 s33, 0x7060302
	v_lshl_or_b32 v59, v57, 4, v55
	s_addc_u32 s47, s11, 0
	v_lshlrev_b32_e32 v50, 4, v59
	s_waitcnt vmcnt(9)
	v_cvt_pk_f32_fp8_e32 v[42:43], v30
	v_cvt_pk_f32_fp8_sdwa v[44:45], v30 src0_sel:WORD_1
	v_cvt_pk_f32_fp8_e32 v[48:49], v31
	v_cvt_pk_f32_fp8_sdwa v[52:53], v31 src0_sel:WORD_1
	;; [unrolled: 2-line block ×4, first 2 shown]
	s_waitcnt vmcnt(7)
	v_cvt_pk_f32_fp8_e32 v[30:31], v2
	v_cvt_pk_f32_fp8_sdwa v[32:33], v2 src0_sel:WORD_1
	v_perm_b32 v42, v43, v42, s33
	v_perm_b32 v43, v45, v44, s33
	v_cvt_pk_f32_fp8_e32 v[74:75], v3
	v_cvt_pk_f32_fp8_sdwa v[2:3], v3 src0_sel:WORD_1
	v_perm_b32 v44, v31, v30, s33
	v_perm_b32 v45, v33, v32, s33
	v_perm_b32 v48, v49, v48, s33
	v_perm_b32 v49, v53, v52, s33
	s_waitcnt lgkmcnt(0)
	v_mfma_f32_16x16x16_bf16 v[30:33], v[42:43], v[22:23], 0
	v_perm_b32 v74, v75, v74, s33
	v_perm_b32 v75, v3, v2, s33
	v_cvt_pk_f32_fp8_e32 v[72:73], v14
	v_cvt_pk_f32_fp8_sdwa v[76:77], v14 src0_sel:WORD_1
	v_mfma_f32_16x16x16_bf16 v[42:45], v[44:45], v[22:23], 0
	v_cvt_pk_f32_fp8_e32 v[52:53], v15
	v_cvt_pk_f32_fp8_sdwa v[2:3], v15 src0_sel:WORD_1
	v_perm_b32 v14, v65, v64, s33
	v_perm_b32 v15, v67, v66, s33
	v_mfma_f32_16x16x16_bf16 v[30:33], v[48:49], v[24:25], v[30:33]
	v_perm_b32 v48, v73, v72, s33
	v_perm_b32 v49, v77, v76, s33
	s_waitcnt vmcnt(5)
	v_cvt_pk_f32_fp8_sdwa v[72:73], v36 src0_sel:WORD_1
	v_mfma_f32_16x16x16_bf16 v[64:67], v[74:75], v[24:25], v[42:45]
	s_nop 2
	v_perm_b32 v44, v69, v68, s33
	v_perm_b32 v45, v71, v70, s33
	v_mfma_f32_16x16x16_bf16 v[30:33], v[14:15], v[18:19], v[30:33]
	v_cvt_pk_f32_fp8_e32 v[42:43], v16
	v_cvt_pk_f32_fp8_sdwa v[14:15], v16 src0_sel:WORD_1
	v_cvt_pk_f32_fp8_e32 v[68:69], v17
	v_mfma_f32_16x16x16_bf16 v[30:33], v[44:45], v[20:21], v[30:33]
	v_perm_b32 v44, v53, v52, s33
	v_perm_b32 v45, v3, v2, s33
	v_cvt_pk_f32_fp8_sdwa v[2:3], v17 src0_sel:WORD_1
	v_mfma_f32_16x16x16_bf16 v[30:33], v[48:49], v[10:11], v[30:33]
	v_perm_b32 v48, v43, v42, s33
	v_perm_b32 v49, v15, v14, s33
	v_cvt_pk_f32_fp8_sdwa v[52:53], v4 src0_sel:WORD_1
	v_mfma_f32_16x16x16_bf16 v[14:17], v[44:45], v[12:13], v[30:33]
	global_load_dwordx4 v[42:45], v[46:47], off
	s_nop 1
	global_load_dwordx4 v[30:33], v[46:47], off offset:1024
	v_perm_b32 v47, v3, v2, s33
	v_cvt_pk_f32_fp8_e32 v[2:3], v4
	v_perm_b32 v46, v69, v68, s33
	v_mfma_f32_16x16x16_bf16 v[14:17], v[48:49], v[6:7], v[14:17]
	v_cvt_pk_f32_fp8_e32 v[68:69], v5
	v_perm_b32 v2, v3, v2, s33
	v_perm_b32 v3, v53, v52, s33
	v_cvt_pk_f32_fp8_sdwa v[4:5], v5 src0_sel:WORD_1
	v_mfma_f32_16x16x16_bf16 v[46:49], v[46:47], v[8:9], v[14:17]
	v_cvt_pk_f32_fp8_sdwa v[52:53], v38 src0_sel:WORD_1
	s_waitcnt vmcnt(1)
	v_cvt_pk_f32_fp8_sdwa v[74:75], v44 src0_sel:WORD_1
	v_perm_b32 v14, v69, v68, s33
	v_cvt_pk_f32_fp8_e32 v[16:17], v38
	v_perm_b32 v15, v5, v4, s33
	v_mfma_f32_16x16x16_bf16 v[2:5], v[2:3], v[18:19], v[64:67]
	v_perm_b32 v16, v17, v16, s33
	v_perm_b32 v17, v53, v52, s33
	v_cvt_pk_f32_fp8_e32 v[52:53], v39
	v_cvt_pk_f32_fp8_sdwa v[38:39], v39 src0_sel:WORD_1
	v_mfma_f32_16x16x16_bf16 v[2:5], v[14:15], v[20:21], v[2:5]
	v_cvt_pk_f32_fp8_sdwa v[66:67], v34 src0_sel:WORD_1
	v_perm_b32 v14, v53, v52, s33
	v_perm_b32 v15, v39, v38, s33
	v_mfma_f32_16x16x16_bf16 v[2:5], v[16:17], v[10:11], v[2:5]
	v_cvt_pk_f32_fp8_e32 v[16:17], v40
	v_cvt_pk_f32_fp8_sdwa v[38:39], v40 src0_sel:WORD_1
	v_perm_b32 v71, v67, v66, s33
	v_mfma_f32_16x16x16_bf16 v[2:5], v[14:15], v[12:13], v[2:5]
	v_perm_b32 v14, v17, v16, s33
	v_perm_b32 v15, v39, v38, s33
	v_cvt_pk_f32_fp8_e32 v[16:17], v41
	v_cvt_pk_f32_fp8_sdwa v[38:39], v41 src0_sel:WORD_1
	v_mfma_f32_16x16x16_bf16 v[2:5], v[14:15], v[6:7], v[2:5]
	v_cvt_pk_f32_fp8_e32 v[14:15], v34
	v_perm_b32 v16, v17, v16, s33
	v_perm_b32 v17, v39, v38, s33
	v_cvt_pk_f32_fp8_e32 v[66:67], v35
	v_perm_b32 v70, v15, v14, s33
	v_cvt_pk_f32_fp8_sdwa v[34:35], v35 src0_sel:WORD_1
	v_lshl_add_u64 v[52:53], s[46:47], 0, v[50:51]
	v_mad_i64_i32 v[64:65], s[6:7], v60, s45, v[52:53]
	v_mad_i64_i32 v[68:69], s[6:7], v63, s45, v[52:53]
	v_mfma_f32_16x16x16_bf16 v[38:41], v[16:17], v[8:9], v[2:5]
	global_load_dwordx4 v[14:17], v[64:65], off
	s_nop 1
	global_load_dwordx4 v[2:5], v[68:69], off
	v_perm_b32 v68, v67, v66, s33
	v_perm_b32 v69, v35, v34, s33
	v_mfma_f32_16x16x16_bf16 v[64:67], v[70:71], v[22:23], 0
	v_cvt_pk_f32_fp8_e32 v[70:71], v36
	v_mad_i64_i32 v[34:35], s[6:7], v61, s45, v[52:53]
	v_mfma_f32_16x16x16_bf16 v[64:67], v[68:69], v[24:25], v[64:67]
	v_perm_b32 v68, v71, v70, s33
	v_perm_b32 v69, v73, v72, s33
	v_cvt_pk_f32_fp8_e32 v[70:71], v37
	v_cvt_pk_f32_fp8_sdwa v[36:37], v37 src0_sel:WORD_1
	v_mfma_f32_16x16x16_bf16 v[64:67], v[68:69], v[18:19], v[64:67]
	v_perm_b32 v70, v71, v70, s33
	v_perm_b32 v71, v37, v36, s33
	v_cvt_pk_f32_fp8_e32 v[36:37], v26
	v_cvt_pk_f32_fp8_sdwa v[68:69], v26 src0_sel:WORD_1
	v_mfma_f32_16x16x16_bf16 v[64:67], v[70:71], v[20:21], v[64:67]
	v_cvt_pk_f32_fp8_e32 v[70:71], v27
	v_perm_b32 v36, v37, v36, s33
	v_perm_b32 v37, v69, v68, s33
	v_cvt_pk_f32_fp8_sdwa v[26:27], v27 src0_sel:WORD_1
	v_perm_b32 v68, v71, v70, s33
	v_cvt_pk_f32_fp8_e32 v[70:71], v28
	v_cvt_pk_f32_fp8_sdwa v[72:73], v28 src0_sel:WORD_1
	v_perm_b32 v69, v27, v26, s33
	v_mfma_f32_16x16x16_bf16 v[64:67], v[36:37], v[10:11], v[64:67]
	v_mad_i64_i32 v[52:53], s[6:7], v62, s45, v[52:53]
	s_load_dword s6, s[40:41], 0x0
	v_perm_b32 v36, v71, v70, s33
	v_perm_b32 v37, v73, v72, s33
	v_cvt_pk_f32_fp8_e32 v[70:71], v29
	v_cvt_pk_f32_fp8_sdwa v[72:73], v29 src0_sel:WORD_1
	v_mfma_f32_16x16x16_bf16 v[26:29], v[68:69], v[12:13], v[64:67]
	s_mov_b32 s40, 0xff7fffff
	v_or_b32_e32 v50, 0x400, v50
	s_nop 0
	v_mov_b32_e32 v66, s8
	v_perm_b32 v64, v71, v70, s33
	v_perm_b32 v65, v73, v72, s33
	v_mfma_f32_16x16x16_bf16 v[26:29], v[36:37], v[6:7], v[26:29]
	s_waitcnt lgkmcnt(0)
	v_mul_f32_e32 v68, s6, v66
	v_cvt_pk_f32_fp8_e32 v[36:37], v42
	v_cvt_pk_f32_fp8_sdwa v[66:67], v42 src0_sel:WORD_1
	v_mfma_f32_16x16x16_bf16 v[26:29], v[64:65], v[8:9], v[26:29]
	v_cvt_pk_f32_fp8_e32 v[64:65], v43
	v_perm_b32 v36, v37, v36, s33
	v_perm_b32 v37, v67, v66, s33
	v_cvt_pk_f32_fp8_sdwa v[42:43], v43 src0_sel:WORD_1
	v_perm_b32 v70, v65, v64, s33
	v_cvt_pk_f32_fp8_e32 v[72:73], v44
	v_mfma_f32_16x16x16_bf16 v[64:67], v[36:37], v[22:23], 0
	v_perm_b32 v71, v43, v42, s33
	v_perm_b32 v36, v73, v72, s33
	;; [unrolled: 1-line block ×3, first 2 shown]
	v_cvt_pk_f32_fp8_e32 v[72:73], v45
	v_cvt_pk_f32_fp8_sdwa v[74:75], v45 src0_sel:WORD_1
	v_mfma_f32_16x16x16_bf16 v[42:45], v[70:71], v[24:25], v[64:67]
	v_pk_mul_f32 v[22:23], v[68:69], v[48:49] op_sel_hi:[0,1]
	v_perm_b32 v24, v73, v72, s33
	v_perm_b32 v25, v75, v74, s33
	v_mfma_f32_16x16x16_bf16 v[42:45], v[36:37], v[18:19], v[42:45]
	v_pk_mul_f32 v[18:19], v[68:69], v[46:47] op_sel_hi:[0,1]
	s_waitcnt vmcnt(2)
	v_cvt_pk_f32_fp8_e32 v[36:37], v30
	v_cvt_pk_f32_fp8_sdwa v[46:47], v30 src0_sel:WORD_1
	v_mfma_f32_16x16x16_bf16 v[42:45], v[24:25], v[20:21], v[42:45]
	v_cvt_pk_f32_fp8_e32 v[20:21], v31
	v_perm_b32 v24, v37, v36, s33
	v_perm_b32 v25, v47, v46, s33
	v_cvt_pk_f32_fp8_sdwa v[30:31], v31 src0_sel:WORD_1
	v_perm_b32 v20, v21, v20, s33
	v_cvt_pk_f32_fp8_e32 v[36:37], v32
	v_cvt_pk_f32_fp8_sdwa v[46:47], v32 src0_sel:WORD_1
	v_perm_b32 v21, v31, v30, s33
	v_mfma_f32_16x16x16_bf16 v[42:45], v[24:25], v[10:11], v[42:45]
	v_perm_b32 v24, v37, v36, s33
	v_perm_b32 v25, v47, v46, s33
	v_cvt_pk_f32_fp8_e32 v[30:31], v33
	v_cvt_pk_f32_fp8_sdwa v[32:33], v33 src0_sel:WORD_1
	v_mfma_f32_16x16x16_bf16 v[10:13], v[20:21], v[12:13], v[42:45]
	v_pk_mul_f32 v[46:47], v[68:69], v[38:39] op_sel_hi:[0,1]
	v_perm_b32 v20, v31, v30, s33
	v_perm_b32 v21, v33, v32, s33
	v_mfma_f32_16x16x16_bf16 v[10:13], v[24:25], v[6:7], v[10:13]
	v_pk_mul_f32 v[44:45], v[68:69], v[40:41] op_sel_hi:[0,1]
	v_pk_mul_f32 v[42:43], v[68:69], v[26:27] op_sel_hi:[0,1]
	;; [unrolled: 1-line block ×3, first 2 shown]
	v_mfma_f32_16x16x16_bf16 v[6:9], v[20:21], v[8:9], v[10:13]
	global_load_dwordx4 v[30:33], v[34:35], off
	global_load_dwordx4 v[26:29], v[52:53], off
	s_nop 4
	v_pk_mul_f32 v[38:39], v[68:69], v[6:7] op_sel_hi:[0,1]
	v_and_b32_e32 v6, 0xc0, v0
	v_add_u32_e32 v6, s19, v6
	v_lshl_or_b32 v6, v54, 2, v6
	v_pk_mul_f32 v[36:37], v[68:69], v[8:9] op_sel_hi:[0,1]
	v_or_b32_e32 v9, 1, v6
	v_mov_b32_e32 v7, 0xff7fffff
	v_cmp_gt_i32_e64 s[36:37], s18, v6
	v_cmp_gt_i32_e64 s[20:21], s18, v9
	v_or_b32_e32 v10, 3, v6
	v_cndmask_b32_e64 v8, v7, v18, s[36:37]
	v_cndmask_b32_e64 v9, v7, v19, s[20:21]
	v_max3_f32 v8, v8, s40, v9
	v_or_b32_e32 v9, 2, v6
	v_cmp_gt_i32_e64 s[26:27], s18, v9
	v_cmp_gt_i32_e64 s[30:31], s18, v10
	s_nop 0
	v_cndmask_b32_e64 v9, v7, v22, s[26:27]
	v_cndmask_b32_e64 v10, v7, v23, s[30:31]
	v_max3_f32 v8, v8, v9, v10
	v_or_b32_e32 v9, 16, v6
	v_or_b32_e32 v10, 17, v6
	v_cmp_gt_i32_e64 s[8:9], s18, v9
	v_cmp_gt_i32_e64 s[14:15], s18, v10
	s_nop 0
	v_cndmask_b32_e64 v9, v7, v46, s[8:9]
	v_cndmask_b32_e64 v10, v7, v47, s[14:15]
	v_max3_f32 v8, v8, v9, v10
	v_or_b32_e32 v9, 18, v6
	;; [unrolled: 8-line block ×5, first 2 shown]
	v_or_b32_e32 v10, 49, v6
	v_cmp_gt_i32_e32 vcc, s18, v9
	v_cmp_gt_i32_e64 s[6:7], s18, v10
	s_nop 0
	v_cndmask_b32_e32 v9, v7, v38, vcc
	v_cndmask_b32_e64 v10, v7, v39, s[6:7]
	v_max3_f32 v8, v8, v9, v10
	v_or_b32_e32 v9, 50, v6
	v_or_b32_e32 v6, 51, v6
	v_cmp_gt_i32_e64 s[12:13], s18, v9
	v_cmp_gt_i32_e64 s[18:19], s18, v6
	v_lshl_add_u64 v[10:11], s[46:47], 0, v[50:51]
	v_cndmask_b32_e64 v9, v7, v36, s[12:13]
	v_cndmask_b32_e64 v6, v7, v37, s[18:19]
	v_mbcnt_lo_u32_b32 v7, -1, 0
	v_mbcnt_hi_u32_b32 v7, -1, v7
	v_max3_f32 v6, v8, v9, v6
	v_and_b32_e32 v8, 64, v7
	v_add_u32_e32 v8, 64, v8
	v_xor_b32_e32 v9, 32, v7
	v_cmp_lt_i32_e64 s[38:39], v9, v8
	s_nop 1
	v_cndmask_b32_e64 v9, v7, v9, s[38:39]
	v_lshlrev_b32_e32 v64, 2, v9
	ds_bpermute_b32 v9, v64, v6
	s_waitcnt lgkmcnt(0)
	v_max_f32_e32 v9, v9, v9
	v_max_f32_e32 v12, v6, v9
	v_xor_b32_e32 v6, 16, v7
	v_cmp_lt_i32_e64 s[38:39], v6, v8
	s_nop 1
	v_cndmask_b32_e64 v6, v7, v6, s[38:39]
	v_lshlrev_b32_e32 v53, 2, v6
	ds_bpermute_b32 v13, v53, v12
	v_mad_i64_i32 v[6:7], s[38:39], v60, s45, v[10:11]
	v_mad_i64_i32 v[8:9], s[38:39], v63, s45, v[10:11]
	s_waitcnt lgkmcnt(0)
	v_max_f32_e32 v13, v13, v13
	v_max_f32_e32 v50, v12, v13
	v_sub_f32_e32 v12, v18, v50
	v_mul_f32_e32 v12, 0x3fb8aa3b, v12
	v_exp_f32_e32 v12, v12
	v_sub_f32_e32 v13, v19, v50
	v_mul_f32_e32 v13, 0x3fb8aa3b, v13
	v_exp_f32_e32 v35, v13
	v_cndmask_b32_e64 v34, 0, v12, s[36:37]
	v_sub_f32_e32 v12, v22, v50
	v_mul_f32_e32 v12, 0x3fb8aa3b, v12
	v_exp_f32_e32 v48, v12
	v_sub_f32_e32 v12, v23, v50
	v_mul_f32_e32 v12, 0x3fb8aa3b, v12
	v_exp_f32_e32 v49, v12
	v_mad_i64_i32 v[12:13], s[36:37], v61, s45, v[10:11]
	v_mad_i64_i32 v[10:11], s[36:37], v62, s45, v[10:11]
	global_load_dwordx4 v[18:21], v[6:7], off
	s_nop 0
	global_load_dwordx4 v[6:9], v[8:9], off
	s_nop 0
	global_load_dwordx4 v[22:25], v[12:13], off
	s_nop 0
	global_load_dwordx4 v[10:13], v[10:11], off
	v_sub_f32_e32 v46, v46, v50
	v_sub_f32_e32 v44, v44, v50
	v_mul_f32_e32 v46, 0x3fb8aa3b, v46
	v_mul_f32_e32 v44, 0x3fb8aa3b, v44
	v_exp_f32_e32 v46, v46
	v_exp_f32_e32 v52, v44
	v_sub_f32_e32 v47, v47, v50
	v_sub_f32_e32 v44, v45, v50
	v_sub_f32_e32 v42, v42, v50
	v_sub_f32_e32 v40, v40, v50
	v_mul_f32_e32 v47, 0x3fb8aa3b, v47
	v_mul_f32_e32 v44, 0x3fb8aa3b, v44
	;; [unrolled: 1-line block ×4, first 2 shown]
	v_exp_f32_e32 v47, v47
	v_exp_f32_e32 v60, v44
	v_cndmask_b32_e64 v44, 0, v46, s[8:9]
	v_cndmask_b32_e64 v46, 0, v52, s[22:23]
	v_exp_f32_e32 v42, v42
	v_exp_f32_e32 v52, v40
	v_sub_f32_e32 v43, v43, v50
	v_sub_f32_e32 v40, v41, v50
	;; [unrolled: 1-line block ×4, first 2 shown]
	v_mul_f32_e32 v43, 0x3fb8aa3b, v43
	v_mul_f32_e32 v40, 0x3fb8aa3b, v40
	;; [unrolled: 1-line block ×4, first 2 shown]
	v_cndmask_b32_e64 v45, 0, v47, s[14:15]
	v_cndmask_b32_e64 v47, 0, v60, s[28:29]
	v_exp_f32_e32 v43, v43
	v_exp_f32_e32 v60, v40
	v_cndmask_b32_e64 v40, 0, v42, s[34:35]
	v_cndmask_b32_e64 v42, 0, v52, s[16:17]
	v_exp_f32_e32 v38, v38
	v_exp_f32_e32 v52, v36
	v_sub_f32_e32 v36, v37, v50
	v_mul_f32_e32 v36, 0x3fb8aa3b, v36
	v_cndmask_b32_e64 v35, 0, v35, s[20:21]
	v_cndmask_b32_e64 v41, 0, v43, s[10:11]
	;; [unrolled: 1-line block ×3, first 2 shown]
	v_exp_f32_e32 v60, v36
	v_cndmask_b32_e32 v36, 0, v38, vcc
	v_cndmask_b32_e64 v38, 0, v52, s[12:13]
	v_add_f32_e32 v52, 0, v34
	v_cndmask_b32_e64 v48, 0, v48, s[26:27]
	v_add_f32_e32 v52, v52, v35
	;; [unrolled: 2-line block ×3, first 2 shown]
	v_add_f32_e32 v52, v52, v49
	v_add_f32_e32 v52, v52, v44
	;; [unrolled: 1-line block ×3, first 2 shown]
	v_sub_f32_e32 v39, v39, v50
	v_add_f32_e32 v52, v52, v46
	v_mul_f32_e32 v39, 0x3fb8aa3b, v39
	v_add_f32_e32 v52, v52, v47
	v_exp_f32_e32 v39, v39
	v_add_f32_e32 v52, v52, v40
	v_add_f32_e32 v52, v52, v41
	;; [unrolled: 1-line block ×4, first 2 shown]
	v_cndmask_b32_e64 v37, 0, v39, s[6:7]
	v_add_f32_e32 v52, v52, v36
	v_add_f32_e32 v52, v52, v37
	v_cndmask_b32_e64 v39, 0, v60, s[18:19]
	v_add_f32_e32 v52, v52, v38
	v_add_f32_e32 v52, v52, v39
	ds_bpermute_b32 v60, v64, v52
	v_cmp_lt_u32_e64 s[6:7], 15, v58
	v_cmp_gt_u32_e32 vcc, 16, v58
	s_waitcnt lgkmcnt(0)
	s_barrier
	v_add_f32_e32 v52, v52, v60
	ds_bpermute_b32 v53, v53, v52
	s_waitcnt lgkmcnt(0)
	s_and_saveexec_b64 s[8:9], vcc
	s_cbranch_execz .LBB1324_13
; %bb.12:
	v_add_f32_e32 v52, v52, v53
	v_lshlrev_b32_e32 v53, 2, v59
	ds_write2st64_b32 v53, v50, v52 offset1:1
.LBB1324_13:
	s_or_b64 exec, exec, s[8:9]
	v_lshlrev_b32_e32 v62, 2, v55
	s_load_dwordx2 s[8:9], s[0:1], 0x94
	s_waitcnt lgkmcnt(0)
	s_barrier
	ds_read2_b32 v[52:53], v62 offset1:16
	ds_read2_b32 v[58:59], v62 offset0:32 offset1:48
	ds_read2_b32 v[60:61], v62 offset0:64 offset1:80
	;; [unrolled: 1-line block ×3, first 2 shown]
	s_movk_i32 s12, 0x7fff
	s_waitcnt lgkmcnt(3)
	v_max3_f32 v50, v52, s40, v53
	s_waitcnt lgkmcnt(2)
	v_max3_f32 v50, v50, v58, v59
	v_sub_f32_e32 v52, v52, v50
	v_mul_f32_e32 v52, 0x3fb8aa3b, v52
	v_exp_f32_e32 v64, v52
	v_sub_f32_e32 v52, v53, v50
	v_mul_f32_e32 v52, 0x3fb8aa3b, v52
	v_exp_f32_e32 v53, v52
	;; [unrolled: 3-line block ×4, first 2 shown]
	s_waitcnt lgkmcnt(1)
	v_fma_f32 v52, v64, v60, 0
	v_fmac_f32_e32 v52, v53, v61
	s_waitcnt lgkmcnt(0)
	v_fmac_f32_e32 v52, v58, v62
	v_fmac_f32_e32 v52, v59, v63
	v_add_f32_e32 v60, 0x358637bd, v52
	v_div_scale_f32 v61, s[10:11], v60, v60, 1.0
	v_rcp_f32_e32 v62, v61
	s_barrier
	v_fma_f32 v63, -v61, v62, 1.0
	v_fmac_f32_e32 v62, v63, v62
	v_div_scale_f32 v63, vcc, 1.0, v60, 1.0
	v_mul_f32_e32 v65, v63, v62
	v_fma_f32 v66, -v61, v65, v63
	v_fmac_f32_e32 v65, v66, v62
	v_fma_f32 v61, -v61, v65, v63
	v_div_fmas_f32 v61, v61, v62, v65
	v_cmp_eq_u32_e32 vcc, 1, v57
	v_div_fixup_f32 v60, v61, v60, 1.0
	s_nop 0
	v_cndmask_b32_e32 v53, v64, v53, vcc
	v_cmp_eq_u32_e32 vcc, 2, v57
	s_nop 1
	v_cndmask_b32_e32 v53, v53, v58, vcc
	v_cmp_eq_u32_e32 vcc, 3, v57
	s_nop 1
	v_cndmask_b32_e32 v53, v53, v59, vcc
	v_mul_f32_e32 v58, v53, v60
	v_pk_mul_f32 v[34:35], v[58:59], v[34:35] op_sel_hi:[0,1]
	v_pk_mul_f32 v[48:49], v[58:59], v[48:49] op_sel_hi:[0,1]
	v_bfe_u32 v53, v35, 16, 1
	v_bfe_u32 v59, v34, 16, 1
	v_add3_u32 v34, v34, v59, s12
	v_add3_u32 v35, v35, v53, s12
	v_perm_b32 v60, v35, v34, s33
	v_bfe_u32 v34, v49, 16, 1
	v_bfe_u32 v35, v48, 16, 1
	v_add3_u32 v35, v48, v35, s12
	v_add3_u32 v34, v49, v34, s12
	v_perm_b32 v61, v34, v35, s33
	v_lshlrev_b32_e32 v35, 3, v54
	v_lshlrev_b32_e32 v34, 5, v55
	;; [unrolled: 1-line block ×3, first 2 shown]
	v_pk_mul_f32 v[44:45], v[58:59], v[44:45] op_sel_hi:[0,1]
	v_or3_b32 v57, v48, v34, v35
	v_bfe_u32 v35, v45, 16, 1
	v_bfe_u32 v48, v44, 16, 1
	v_pk_mul_f32 v[46:47], v[58:59], v[46:47] op_sel_hi:[0,1]
	v_add3_u32 v44, v44, v48, s12
	v_add3_u32 v35, v45, v35, s12
	v_perm_b32 v44, v35, v44, s33
	v_bfe_u32 v35, v47, 16, 1
	v_bfe_u32 v45, v46, 16, 1
	v_add3_u32 v45, v46, v45, s12
	v_add3_u32 v35, v47, v35, s12
	v_perm_b32 v45, v35, v45, s33
	v_pk_mul_f32 v[40:41], v[58:59], v[40:41] op_sel_hi:[0,1]
	ds_write2st64_b64 v57, v[60:61], v[44:45] offset1:1
	v_bfe_u32 v35, v41, 16, 1
	v_bfe_u32 v44, v40, 16, 1
	v_pk_mul_f32 v[42:43], v[58:59], v[42:43] op_sel_hi:[0,1]
	v_add3_u32 v40, v40, v44, s12
	v_add3_u32 v35, v41, v35, s12
	v_perm_b32 v40, v35, v40, s33
	v_bfe_u32 v35, v43, 16, 1
	v_bfe_u32 v41, v42, 16, 1
	v_add3_u32 v41, v42, v41, s12
	v_add3_u32 v35, v43, v35, s12
	v_pk_mul_f32 v[36:37], v[58:59], v[36:37] op_sel_hi:[0,1]
	v_perm_b32 v41, v35, v41, s33
	v_bfe_u32 v35, v37, 16, 1
	v_bfe_u32 v42, v36, 16, 1
	v_pk_mul_f32 v[38:39], v[58:59], v[38:39] op_sel_hi:[0,1]
	v_add3_u32 v36, v36, v42, s12
	v_add3_u32 v35, v37, v35, s12
	v_perm_b32 v36, v35, v36, s33
	v_bfe_u32 v35, v39, 16, 1
	v_bfe_u32 v37, v38, 16, 1
	v_add3_u32 v37, v38, v37, s12
	v_add3_u32 v35, v39, v35, s12
	v_perm_b32 v37, v35, v37, s33
	v_cmp_eq_u32_e32 vcc, 0, v0
	ds_write2st64_b64 v57, v[40:41], v[36:37] offset0:2 offset1:3
	s_and_saveexec_b64 s[10:11], vcc
	s_cbranch_execz .LBB1324_15
; %bb.14:
	s_mul_i32 s3, s3, s9
	s_mul_hi_u32 s13, s2, s9
	s_add_i32 s13, s13, s3
	s_mul_i32 s3, s2, s9
	s_add_u32 s3, s3, s4
	s_addc_u32 s13, s13, 0
	s_load_dwordx4 s[16:19], s[0:1], 0x58
	s_mul_i32 s13, s13, s8
	s_mul_hi_u32 s14, s3, s8
	s_add_i32 s13, s14, s13
	s_mul_i32 s3, s3, s8
	s_add_u32 s14, s3, s5
	s_addc_u32 s15, s13, 0
	s_lshl_b64 s[14:15], s[14:15], 2
	s_waitcnt lgkmcnt(0)
	s_add_u32 s18, s18, s14
	s_addc_u32 s19, s19, s15
	s_add_u32 s14, s16, s14
	s_addc_u32 s15, s17, s15
	global_store_dword v51, v50, s[18:19]
	global_store_dword v51, v52, s[14:15]
.LBB1324_15:
	s_or_b64 exec, exec, s[10:11]
	v_lshl_or_b32 v50, v54, 9, v34
	s_waitcnt vmcnt(7)
	v_cvt_pk_f32_fp8_e32 v[34:35], v14
	v_cvt_pk_f32_fp8_sdwa v[36:37], v14 src0_sel:WORD_1
	s_mov_b32 s11, 0x7060302
	s_waitcnt lgkmcnt(0)
	s_barrier
	v_cvt_pk_f32_fp8_e32 v[38:39], v15
	v_perm_b32 v14, v35, v34, s11
	v_cvt_pk_f32_fp8_sdwa v[40:41], v15 src0_sel:WORD_1
	v_perm_b32 v15, v37, v36, s11
	ds_read_b128 v[34:37], v50
	v_perm_b32 v46, v39, v38, s11
	v_perm_b32 v47, v41, v40, s11
	ds_read_b128 v[38:41], v50 offset:16
	v_cvt_pk_f32_fp8_e32 v[48:49], v16
	v_cvt_pk_f32_fp8_sdwa v[52:53], v16 src0_sel:WORD_1
	s_waitcnt lgkmcnt(1)
	v_mfma_f32_16x16x16_bf16 v[42:45], v[14:15], v[34:35], 0
	s_waitcnt vmcnt(6)
	v_cvt_pk_f32_fp8_e32 v[58:59], v4
	v_perm_b32 v14, v49, v48, s11
	v_perm_b32 v15, v53, v52, s11
	v_cvt_pk_f32_fp8_e32 v[48:49], v17
	v_mfma_f32_16x16x16_bf16 v[42:45], v[46:47], v[36:37], v[42:45]
	v_cvt_pk_f32_fp8_sdwa v[46:47], v17 src0_sel:WORD_1
	v_cvt_pk_f32_fp8_sdwa v[60:61], v4 src0_sel:WORD_1
	v_perm_b32 v48, v49, v48, s11
	s_waitcnt lgkmcnt(0)
	v_mfma_f32_16x16x16_bf16 v[14:17], v[14:15], v[38:39], v[42:45]
	v_perm_b32 v49, v47, v46, s11
	s_waitcnt vmcnt(5)
	v_cvt_pk_f32_fp8_e32 v[62:63], v32
	v_cvt_pk_f32_fp8_sdwa v[64:65], v32 src0_sel:WORD_1
	v_cvt_pk_f32_fp8_e32 v[42:43], v2
	v_mfma_f32_16x16x16_bf16 v[46:49], v[48:49], v[40:41], v[14:17]
	s_waitcnt vmcnt(4)
	v_cvt_pk_f32_fp8_sdwa v[66:67], v28 src0_sel:WORD_1
	s_load_dword s10, s[42:43], 0x0
	v_cvt_pk_f32_fp8_sdwa v[14:15], v2 src0_sel:WORD_1
	v_cvt_pk_f32_fp8_e32 v[16:17], v3
	v_perm_b32 v2, v43, v42, s11
	v_cvt_pk_f32_fp8_sdwa v[42:43], v3 src0_sel:WORD_1
	v_perm_b32 v3, v15, v14, s11
	v_perm_b32 v52, v17, v16, s11
	ds_read_b128 v[14:17], v50 offset:2048
	v_perm_b32 v53, v43, v42, s11
	ds_read_b128 v[42:45], v50 offset:2064
	s_waitcnt lgkmcnt(0)
	v_mfma_f32_16x16x16_bf16 v[46:49], v[2:3], v[14:15], v[46:49]
	v_perm_b32 v2, v59, v58, s11
	v_perm_b32 v3, v61, v60, s11
	v_cvt_pk_f32_fp8_e32 v[58:59], v5
	v_mfma_f32_16x16x16_bf16 v[46:49], v[52:53], v[16:17], v[46:49]
	v_cvt_pk_f32_fp8_sdwa v[52:53], v5 src0_sel:WORD_1
	s_waitcnt vmcnt(3)
	v_cvt_pk_f32_fp8_sdwa v[68:69], v20 src0_sel:WORD_1
	v_perm_b32 v58, v59, v58, s11
	v_mfma_f32_16x16x16_bf16 v[2:5], v[2:3], v[42:43], v[46:49]
	v_perm_b32 v59, v53, v52, s11
	v_cmp_gt_u32_e32 vcc, 64, v0
	s_xor_b64 s[6:7], s[6:7], -1
	v_cvt_pk_f32_fp8_e32 v[46:47], v30
	v_mfma_f32_16x16x16_bf16 v[58:61], v[58:59], v[44:45], v[2:5]
	s_mov_b32 s3, 0
	s_and_b64 s[6:7], vcc, s[6:7]
	s_nop 0
	v_cvt_pk_f32_fp8_sdwa v[2:3], v30 src0_sel:WORD_1
	v_cvt_pk_f32_fp8_e32 v[4:5], v31
	v_perm_b32 v30, v47, v46, s11
	v_cvt_pk_f32_fp8_sdwa v[46:47], v31 src0_sel:WORD_1
	v_perm_b32 v31, v3, v2, s11
	v_perm_b32 v52, v5, v4, s11
	ds_read_b128 v[2:5], v50 offset:4096
	v_perm_b32 v53, v47, v46, s11
	ds_read_b128 v[46:49], v50 offset:4112
	s_waitcnt lgkmcnt(1)
	v_mfma_f32_16x16x16_bf16 v[58:61], v[30:31], v[2:3], v[58:61]
	v_perm_b32 v30, v63, v62, s11
	v_perm_b32 v31, v65, v64, s11
	v_cvt_pk_f32_fp8_e32 v[62:63], v33
	v_mfma_f32_16x16x16_bf16 v[58:61], v[52:53], v[4:5], v[58:61]
	v_cvt_pk_f32_fp8_sdwa v[52:53], v33 src0_sel:WORD_1
	v_cvt_pk_f32_fp8_e32 v[64:65], v28
	v_perm_b32 v62, v63, v62, s11
	s_waitcnt lgkmcnt(0)
	v_mfma_f32_16x16x16_bf16 v[30:33], v[30:31], v[46:47], v[58:61]
	v_perm_b32 v63, v53, v52, s11
	v_cvt_pk_f32_fp8_e32 v[52:53], v26
	s_nop 0
	v_mfma_f32_16x16x16_bf16 v[58:61], v[62:63], v[48:49], v[30:33]
	s_nop 2
	v_cvt_pk_f32_fp8_sdwa v[30:31], v26 src0_sel:WORD_1
	v_cvt_pk_f32_fp8_e32 v[32:33], v27
	v_perm_b32 v26, v53, v52, s11
	v_cvt_pk_f32_fp8_sdwa v[52:53], v27 src0_sel:WORD_1
	v_perm_b32 v27, v31, v30, s11
	v_perm_b32 v62, v33, v32, s11
	ds_read_b128 v[30:33], v50 offset:6144
	v_perm_b32 v63, v53, v52, s11
	s_waitcnt lgkmcnt(0)
	v_mfma_f32_16x16x16_bf16 v[58:61], v[26:27], v[30:31], v[58:61]
	ds_read_b128 v[50:53], v50 offset:6160
	v_perm_b32 v26, v65, v64, s11
	v_perm_b32 v27, v67, v66, s11
	v_cvt_pk_f32_fp8_e32 v[64:65], v29
	v_mfma_f32_16x16x16_bf16 v[58:61], v[62:63], v[32:33], v[58:61]
	v_cvt_pk_f32_fp8_sdwa v[62:63], v29 src0_sel:WORD_1
	v_cvt_pk_f32_fp8_e32 v[66:67], v20
	v_perm_b32 v64, v65, v64, s11
	s_waitcnt lgkmcnt(0)
	v_mfma_f32_16x16x16_bf16 v[26:29], v[26:27], v[50:51], v[58:61]
	v_perm_b32 v65, v63, v62, s11
	s_barrier
	s_nop 0
	v_mfma_f32_16x16x16_bf16 v[58:61], v[64:65], v[52:53], v[26:29]
	s_nop 2
	v_cvt_pk_f32_fp8_e32 v[28:29], v18
	v_perm_b32 v28, v29, v28, s11
	s_nop 1
	v_pk_mul_f32 v[26:27], v[60:61], s[10:11] op_sel_hi:[1,0]
	v_cvt_pk_f32_fp8_sdwa v[60:61], v18 src0_sel:WORD_1
	v_pk_mul_f32 v[62:63], v[58:59], s[10:11] op_sel_hi:[1,0]
	v_cvt_pk_f32_fp8_e32 v[58:59], v19
	v_cvt_pk_f32_fp8_sdwa v[18:19], v19 src0_sel:WORD_1
	v_perm_b32 v29, v61, v60, s11
	v_perm_b32 v64, v59, v58, s11
	;; [unrolled: 1-line block ×3, first 2 shown]
	v_mfma_f32_16x16x16_bf16 v[58:61], v[28:29], v[34:35], 0
	v_perm_b32 v28, v67, v66, s11
	v_perm_b32 v29, v69, v68, s11
	v_cvt_pk_f32_fp8_e32 v[34:35], v21
	v_cvt_pk_f32_fp8_sdwa v[66:67], v21 src0_sel:WORD_1
	v_mfma_f32_16x16x16_bf16 v[18:21], v[64:65], v[36:37], v[58:61]
	s_waitcnt vmcnt(2)
	v_cvt_pk_f32_fp8_sdwa v[36:37], v6 src0_sel:WORD_1
	v_perm_b32 v34, v35, v34, s11
	v_perm_b32 v35, v67, v66, s11
	v_mfma_f32_16x16x16_bf16 v[18:21], v[28:29], v[38:39], v[18:21]
	v_cvt_pk_f32_fp8_e32 v[28:29], v6
	v_cvt_pk_f32_fp8_sdwa v[38:39], v8 src0_sel:WORD_1
	v_bfe_u32 v58, v63, 16, 1
	v_mfma_f32_16x16x16_bf16 v[18:21], v[34:35], v[40:41], v[18:21]
	v_cvt_pk_f32_fp8_e32 v[34:35], v7
	v_perm_b32 v28, v29, v28, s11
	v_perm_b32 v29, v37, v36, s11
	v_cvt_pk_f32_fp8_sdwa v[6:7], v7 src0_sel:WORD_1
	v_perm_b32 v34, v35, v34, s11
	v_cvt_pk_f32_fp8_e32 v[36:37], v8
	v_mfma_f32_16x16x16_bf16 v[18:21], v[28:29], v[14:15], v[18:21]
	v_perm_b32 v35, v7, v6, s11
	v_perm_b32 v14, v37, v36, s11
	v_perm_b32 v15, v39, v38, s11
	v_cvt_pk_f32_fp8_e32 v[28:29], v9
	v_cvt_pk_f32_fp8_sdwa v[36:37], v9 src0_sel:WORD_1
	v_mfma_f32_16x16x16_bf16 v[6:9], v[34:35], v[16:17], v[18:21]
	v_bfe_u32 v59, v62, 16, 1
	v_perm_b32 v16, v29, v28, s11
	v_perm_b32 v17, v37, v36, s11
	v_mfma_f32_16x16x16_bf16 v[6:9], v[14:15], v[42:43], v[6:9]
	s_waitcnt vmcnt(1)
	v_cvt_pk_f32_fp8_e32 v[14:15], v22
	v_cvt_pk_f32_fp8_sdwa v[18:19], v22 src0_sel:WORD_1
	v_cvt_pk_f32_fp8_e32 v[20:21], v24
	v_mfma_f32_16x16x16_bf16 v[6:9], v[16:17], v[44:45], v[6:9]
	v_cvt_pk_f32_fp8_e32 v[16:17], v23
	v_perm_b32 v14, v15, v14, s11
	v_perm_b32 v15, v19, v18, s11
	v_cvt_pk_f32_fp8_sdwa v[18:19], v23 src0_sel:WORD_1
	v_perm_b32 v16, v17, v16, s11
	v_cvt_pk_f32_fp8_sdwa v[22:23], v24 src0_sel:WORD_1
	v_mfma_f32_16x16x16_bf16 v[6:9], v[14:15], v[2:3], v[6:9]
	v_perm_b32 v17, v19, v18, s11
	v_perm_b32 v14, v21, v20, s11
	;; [unrolled: 1-line block ×3, first 2 shown]
	v_cvt_pk_f32_fp8_e32 v[18:19], v25
	v_cvt_pk_f32_fp8_sdwa v[20:21], v25 src0_sel:WORD_1
	v_mfma_f32_16x16x16_bf16 v[2:5], v[16:17], v[4:5], v[6:9]
	s_waitcnt vmcnt(0)
	v_cvt_pk_f32_fp8_sdwa v[16:17], v10 src0_sel:WORD_1
	v_add3_u32 v34, v62, v59, s12
	v_add3_u32 v28, v63, v58, s12
	v_perm_b32 v8, v19, v18, s11
	v_perm_b32 v9, v21, v20, s11
	v_mfma_f32_16x16x16_bf16 v[2:5], v[14:15], v[46:47], v[2:5]
	v_cvt_pk_f32_fp8_e32 v[14:15], v10
	v_cvt_pk_f32_fp8_sdwa v[18:19], v12 src0_sel:WORD_1
	v_bfe_u32 v7, v27, 16, 1
	v_mfma_f32_16x16x16_bf16 v[2:5], v[8:9], v[48:49], v[2:5]
	v_cvt_pk_f32_fp8_e32 v[8:9], v11
	v_perm_b32 v14, v15, v14, s11
	v_perm_b32 v15, v17, v16, s11
	v_cvt_pk_f32_fp8_sdwa v[10:11], v11 src0_sel:WORD_1
	v_perm_b32 v8, v9, v8, s11
	v_cvt_pk_f32_fp8_e32 v[16:17], v12
	v_mfma_f32_16x16x16_bf16 v[2:5], v[14:15], v[30:31], v[2:5]
	v_perm_b32 v9, v11, v10, s11
	v_perm_b32 v10, v17, v16, s11
	;; [unrolled: 1-line block ×3, first 2 shown]
	v_cvt_pk_f32_fp8_e32 v[14:15], v13
	v_cvt_pk_f32_fp8_sdwa v[12:13], v13 src0_sel:WORD_1
	v_mfma_f32_16x16x16_bf16 v[2:5], v[8:9], v[32:33], v[2:5]
	v_bfe_u32 v16, v26, 16, 1
	v_perm_b32 v8, v15, v14, s11
	v_perm_b32 v9, v13, v12, s11
	v_mfma_f32_16x16x16_bf16 v[2:5], v[10:11], v[50:51], v[2:5]
	v_add3_u32 v10, v26, v16, s12
	v_add3_u32 v7, v27, v7, s12
	v_perm_b32 v6, v28, v34, s11
	v_mfma_f32_16x16x16_bf16 v[2:5], v[8:9], v[52:53], v[2:5]
	v_perm_b32 v7, v7, v10, s11
	s_nop 5
	v_pk_mul_f32 v[2:3], v[2:3], s[10:11] op_sel_hi:[1,0]
	v_pk_mul_f32 v[4:5], v[4:5], s[10:11] op_sel_hi:[1,0]
	v_bfe_u32 v8, v3, 16, 1
	v_bfe_u32 v9, v2, 16, 1
	v_add3_u32 v2, v2, v9, s12
	v_add3_u32 v3, v3, v8, s12
	v_perm_b32 v2, v3, v2, s11
	v_bfe_u32 v3, v5, 16, 1
	v_bfe_u32 v8, v4, 16, 1
	v_add3_u32 v4, v4, v8, s12
	v_add3_u32 v3, v5, v3, s12
	v_perm_b32 v3, v3, v4, s11
	ds_write2st64_b64 v57, v[6:7], v[2:3] offset1:1
	s_waitcnt lgkmcnt(0)
	s_barrier
	s_and_saveexec_b64 s[10:11], s[6:7]
	s_cbranch_execz .LBB1324_17
; %bb.16:
	s_load_dwordx2 s[0:1], s[0:1], 0x68
	s_mul_i32 s2, s9, s2
	s_lshl_b32 s8, s8, 7
	s_mul_hi_u32 s7, s2, s8
	s_mul_i32 s6, s2, s8
	v_lshlrev_b32_e32 v4, 6, v55
	s_lshl_b64 s[6:7], s[6:7], 1
	v_lshl_or_b32 v0, v0, 10, v4
	s_waitcnt lgkmcnt(0)
	s_add_u32 s6, s0, s6
	v_lshlrev_b32_e32 v2, 5, v54
	v_and_b32_e32 v3, 16, v56
	v_and_b32_e32 v0, 0x1a00, v0
	s_addc_u32 s7, s1, s7
	s_lshl_b32 s2, s5, 7
	v_or3_b32 v0, v0, v2, v3
	s_lshl_b64 s[0:1], s[2:3], 1
	ds_read_b128 v[2:5], v0
	s_add_u32 s2, s6, s0
	s_addc_u32 s3, s7, s1
	s_mul_hi_u32 s1, s8, s4
	s_mul_i32 s0, s8, s4
	s_lshl_b64 s[0:1], s[0:1], 1
	s_add_u32 s0, s2, s0
	s_addc_u32 s1, s3, s1
	s_waitcnt lgkmcnt(0)
	global_store_dwordx4 v1, v[2:5], s[0:1]
.LBB1324_17:
	s_endpgm
	.section	.rodata,"a",@progbits
	.p2align	6, 0x0
	.amdhsa_kernel _Z39paged_attention_ll4mi_QKV_mfma16_kernelI14__hip_bfloat16hLN4vllm18Fp8KVCacheDataTypeE1ES0_Li16ELi128ELi256ELb0ELi1EEvPKT_PKT0_S8_ifPKiSA_SA_iPKfiiiPfSD_PS3_PT2_iSC_SC_
		.amdhsa_group_segment_fixed_size 8192
		.amdhsa_private_segment_fixed_size 0
		.amdhsa_kernarg_size 400
		.amdhsa_user_sgpr_count 2
		.amdhsa_user_sgpr_dispatch_ptr 0
		.amdhsa_user_sgpr_queue_ptr 0
		.amdhsa_user_sgpr_kernarg_segment_ptr 1
		.amdhsa_user_sgpr_dispatch_id 0
		.amdhsa_user_sgpr_kernarg_preload_length 0
		.amdhsa_user_sgpr_kernarg_preload_offset 0
		.amdhsa_user_sgpr_private_segment_size 0
		.amdhsa_uses_dynamic_stack 0
		.amdhsa_enable_private_segment 0
		.amdhsa_system_sgpr_workgroup_id_x 1
		.amdhsa_system_sgpr_workgroup_id_y 1
		.amdhsa_system_sgpr_workgroup_id_z 1
		.amdhsa_system_sgpr_workgroup_info 0
		.amdhsa_system_vgpr_workitem_id 0
		.amdhsa_next_free_vgpr 78
		.amdhsa_next_free_sgpr 48
		.amdhsa_accum_offset 80
		.amdhsa_reserve_vcc 1
		.amdhsa_float_round_mode_32 0
		.amdhsa_float_round_mode_16_64 0
		.amdhsa_float_denorm_mode_32 3
		.amdhsa_float_denorm_mode_16_64 3
		.amdhsa_dx10_clamp 1
		.amdhsa_ieee_mode 1
		.amdhsa_fp16_overflow 0
		.amdhsa_tg_split 0
		.amdhsa_exception_fp_ieee_invalid_op 0
		.amdhsa_exception_fp_denorm_src 0
		.amdhsa_exception_fp_ieee_div_zero 0
		.amdhsa_exception_fp_ieee_overflow 0
		.amdhsa_exception_fp_ieee_underflow 0
		.amdhsa_exception_fp_ieee_inexact 0
		.amdhsa_exception_int_div_zero 0
	.end_amdhsa_kernel
	.section	.text._Z39paged_attention_ll4mi_QKV_mfma16_kernelI14__hip_bfloat16hLN4vllm18Fp8KVCacheDataTypeE1ES0_Li16ELi128ELi256ELb0ELi1EEvPKT_PKT0_S8_ifPKiSA_SA_iPKfiiiPfSD_PS3_PT2_iSC_SC_,"axG",@progbits,_Z39paged_attention_ll4mi_QKV_mfma16_kernelI14__hip_bfloat16hLN4vllm18Fp8KVCacheDataTypeE1ES0_Li16ELi128ELi256ELb0ELi1EEvPKT_PKT0_S8_ifPKiSA_SA_iPKfiiiPfSD_PS3_PT2_iSC_SC_,comdat
.Lfunc_end1324:
	.size	_Z39paged_attention_ll4mi_QKV_mfma16_kernelI14__hip_bfloat16hLN4vllm18Fp8KVCacheDataTypeE1ES0_Li16ELi128ELi256ELb0ELi1EEvPKT_PKT0_S8_ifPKiSA_SA_iPKfiiiPfSD_PS3_PT2_iSC_SC_, .Lfunc_end1324-_Z39paged_attention_ll4mi_QKV_mfma16_kernelI14__hip_bfloat16hLN4vllm18Fp8KVCacheDataTypeE1ES0_Li16ELi128ELi256ELb0ELi1EEvPKT_PKT0_S8_ifPKiSA_SA_iPKfiiiPfSD_PS3_PT2_iSC_SC_
                                        ; -- End function
	.section	.AMDGPU.csdata,"",@progbits
; Kernel info:
; codeLenInByte = 6148
; NumSgprs: 54
; NumVgprs: 78
; NumAgprs: 0
; TotalNumVgprs: 78
; ScratchSize: 0
; MemoryBound: 0
; FloatMode: 240
; IeeeMode: 1
; LDSByteSize: 8192 bytes/workgroup (compile time only)
; SGPRBlocks: 6
; VGPRBlocks: 9
; NumSGPRsForWavesPerEU: 54
; NumVGPRsForWavesPerEU: 78
; AccumOffset: 80
; Occupancy: 6
; WaveLimiterHint : 1
; COMPUTE_PGM_RSRC2:SCRATCH_EN: 0
; COMPUTE_PGM_RSRC2:USER_SGPR: 2
; COMPUTE_PGM_RSRC2:TRAP_HANDLER: 0
; COMPUTE_PGM_RSRC2:TGID_X_EN: 1
; COMPUTE_PGM_RSRC2:TGID_Y_EN: 1
; COMPUTE_PGM_RSRC2:TGID_Z_EN: 1
; COMPUTE_PGM_RSRC2:TIDIG_COMP_CNT: 0
; COMPUTE_PGM_RSRC3_GFX90A:ACCUM_OFFSET: 19
; COMPUTE_PGM_RSRC3_GFX90A:TG_SPLIT: 0
	.section	.text._Z39paged_attention_ll4mi_QKV_mfma16_kernelI14__hip_bfloat16hLN4vllm18Fp8KVCacheDataTypeE1ES0_Li16ELi128ELi256ELb0ELi2EEvPKT_PKT0_S8_ifPKiSA_SA_iPKfiiiPfSD_PS3_PT2_iSC_SC_,"axG",@progbits,_Z39paged_attention_ll4mi_QKV_mfma16_kernelI14__hip_bfloat16hLN4vllm18Fp8KVCacheDataTypeE1ES0_Li16ELi128ELi256ELb0ELi2EEvPKT_PKT0_S8_ifPKiSA_SA_iPKfiiiPfSD_PS3_PT2_iSC_SC_,comdat
	.protected	_Z39paged_attention_ll4mi_QKV_mfma16_kernelI14__hip_bfloat16hLN4vllm18Fp8KVCacheDataTypeE1ES0_Li16ELi128ELi256ELb0ELi2EEvPKT_PKT0_S8_ifPKiSA_SA_iPKfiiiPfSD_PS3_PT2_iSC_SC_ ; -- Begin function _Z39paged_attention_ll4mi_QKV_mfma16_kernelI14__hip_bfloat16hLN4vllm18Fp8KVCacheDataTypeE1ES0_Li16ELi128ELi256ELb0ELi2EEvPKT_PKT0_S8_ifPKiSA_SA_iPKfiiiPfSD_PS3_PT2_iSC_SC_
	.globl	_Z39paged_attention_ll4mi_QKV_mfma16_kernelI14__hip_bfloat16hLN4vllm18Fp8KVCacheDataTypeE1ES0_Li16ELi128ELi256ELb0ELi2EEvPKT_PKT0_S8_ifPKiSA_SA_iPKfiiiPfSD_PS3_PT2_iSC_SC_
	.p2align	8
	.type	_Z39paged_attention_ll4mi_QKV_mfma16_kernelI14__hip_bfloat16hLN4vllm18Fp8KVCacheDataTypeE1ES0_Li16ELi128ELi256ELb0ELi2EEvPKT_PKT0_S8_ifPKiSA_SA_iPKfiiiPfSD_PS3_PT2_iSC_SC_,@function
_Z39paged_attention_ll4mi_QKV_mfma16_kernelI14__hip_bfloat16hLN4vllm18Fp8KVCacheDataTypeE1ES0_Li16ELi128ELi256ELb0ELi2EEvPKT_PKT0_S8_ifPKiSA_SA_iPKfiiiPfSD_PS3_PT2_iSC_SC_: ; @_Z39paged_attention_ll4mi_QKV_mfma16_kernelI14__hip_bfloat16hLN4vllm18Fp8KVCacheDataTypeE1ES0_Li16ELi128ELi256ELb0ELi2EEvPKT_PKT0_S8_ifPKiSA_SA_iPKfiiiPfSD_PS3_PT2_iSC_SC_
; %bb.0:
	s_load_dwordx2 s[12:13], s[0:1], 0x30
	s_mov_b32 s22, s3
	s_mov_b64 s[6:7], 0
	s_waitcnt lgkmcnt(0)
	s_cmp_lg_u64 s[12:13], 0
	s_cselect_b64 s[14:15], -1, 0
	s_and_b64 vcc, exec, s[14:15]
	s_cbranch_vccz .LBB1325_7
; %bb.1:
	s_add_i32 s8, s2, 1
	s_mov_b32 s9, 0
	s_lshl_b64 s[10:11], s[8:9], 2
	s_add_u32 s10, s12, s10
	s_mov_b32 s3, s9
	s_addc_u32 s11, s13, s11
	s_lshl_b64 s[8:9], s[2:3], 2
	s_add_u32 s8, s12, s8
	s_addc_u32 s9, s13, s9
	s_load_dword s5, s[10:11], 0x0
	s_load_dword s16, s[8:9], 0x0
	s_waitcnt lgkmcnt(0)
	s_sub_i32 s5, s5, s16
	s_cmp_eq_u32 s5, 1
	s_cselect_b64 s[8:9], -1, 0
	s_andn2_b64 vcc, exec, s[6:7]
	s_cbranch_vccnz .LBB1325_3
.LBB1325_2:
	s_mov_b32 s3, 0
	s_mov_b64 s[8:9], -1
.LBB1325_3:
	s_andn2_b64 vcc, exec, s[8:9]
	s_cbranch_vccnz .LBB1325_17
; %bb.4:
	s_load_dwordx2 s[6:7], s[0:1], 0x28
	s_lshl_b64 s[16:17], s[2:3], 2
	s_waitcnt lgkmcnt(0)
	s_add_u32 s6, s6, s16
	s_addc_u32 s7, s7, s17
	s_load_dword s38, s[6:7], 0x0
	s_lshl_b32 s18, s22, 8
	s_waitcnt lgkmcnt(0)
	s_cmp_ge_i32 s18, s38
	s_cbranch_scc1 .LBB1325_17
; %bb.5:
	s_load_dwordx2 s[6:7], s[0:1], 0x20
	s_load_dword s8, s[0:1], 0x38
	s_add_i32 s5, s38, 15
	s_ashr_i32 s9, s5, 31
	v_and_b32_e32 v1, 0xcf, v0
	s_lshr_b32 s9, s9, 28
	v_add_u32_e32 v1, s18, v1
	s_add_i32 s5, s5, s9
	v_ashrrev_i32_e32 v2, 31, v1
	s_ashr_i32 s5, s5, 4
	v_lshrrev_b32_e32 v10, 28, v2
	s_add_i32 s5, s5, -1
	s_waitcnt lgkmcnt(0)
	s_mul_i32 s8, s2, s8
	s_mov_b32 s9, 0
	v_add_u32_e32 v2, v1, v10
	s_lshl_b64 s[8:9], s[8:9], 2
	v_ashrrev_i32_e32 v2, 4, v2
	v_mov_b32_e32 v11, s5
	v_cmp_gt_i32_e32 vcc, s38, v1
	s_add_u32 s6, s6, s8
	s_addc_u32 s7, s7, s9
	v_cndmask_b32_e32 v2, v11, v2, vcc
	v_ashrrev_i32_e32 v3, 31, v2
	v_lshl_add_u64 v[4:5], v[2:3], 2, s[6:7]
	v_or_b32_e32 v2, 16, v1
	v_add_u32_e32 v3, v2, v10
	v_ashrrev_i32_e32 v3, 4, v3
	v_cmp_gt_i32_e32 vcc, s38, v2
	s_load_dwordx4 s[8:11], s[0:1], 0x8
	s_nop 0
	v_cndmask_b32_e32 v2, v11, v3, vcc
	v_ashrrev_i32_e32 v3, 31, v2
	v_lshl_add_u64 v[6:7], v[2:3], 2, s[6:7]
	v_or_b32_e32 v2, 32, v1
	v_add_u32_e32 v3, v2, v10
	v_ashrrev_i32_e32 v3, 4, v3
	v_cmp_gt_i32_e32 vcc, s38, v2
	v_or_b32_e32 v1, 48, v1
	s_nop 0
	v_cndmask_b32_e32 v2, v11, v3, vcc
	v_ashrrev_i32_e32 v3, 31, v2
	v_lshl_add_u64 v[8:9], v[2:3], 2, s[6:7]
	v_add_u32_e32 v2, v1, v10
	v_ashrrev_i32_e32 v2, 4, v2
	v_cmp_gt_i32_e32 vcc, s38, v1
	s_nop 1
	v_cndmask_b32_e32 v2, v11, v2, vcc
	v_ashrrev_i32_e32 v3, 31, v2
	v_lshl_add_u64 v[10:11], v[2:3], 2, s[6:7]
	global_load_dword v3, v[4:5], off
	global_load_dword v2, v[6:7], off
	global_load_dword v34, v[8:9], off
	global_load_dword v35, v[10:11], off
	s_andn2_b64 vcc, exec, s[14:15]
	s_cbranch_vccnz .LBB1325_8
; %bb.6:
	s_add_u32 s12, s12, s16
	s_addc_u32 s13, s13, s17
	s_load_dword s14, s[12:13], 0x0
	s_branch .LBB1325_9
.LBB1325_7:
	s_mov_b64 s[8:9], 0
	s_branch .LBB1325_2
.LBB1325_8:
	s_mov_b32 s14, s2
.LBB1325_9:
	s_load_dwordx4 s[44:47], s[0:1], 0x48
	v_lshrrev_b32_e32 v65, 6, v0
	v_bfe_u32 v1, v0, 4, 2
	v_and_b32_e32 v62, 15, v0
	v_lshl_or_b32 v4, v65, 2, v1
	v_lshlrev_b32_e32 v5, 3, v62
	v_and_b32_e32 v64, 63, v0
	s_lshl_b32 s23, s4, 1
	v_cmp_gt_u32_e32 vcc, 2, v4
	v_lshlrev_b32_e32 v54, 1, v5
	v_lshlrev_b32_e32 v63, 4, v0
	s_and_saveexec_b64 s[12:13], vcc
	s_cbranch_execz .LBB1325_11
; %bb.10:
	s_load_dwordx2 s[16:17], s[0:1], 0x0
	s_waitcnt lgkmcnt(0)
	s_ashr_i32 s15, s44, 31
	s_mul_hi_u32 s19, s14, s44
	s_mul_i32 s15, s14, s15
	s_add_i32 s15, s19, s15
	s_mul_i32 s14, s14, s44
	s_lshl_b64 s[14:15], s[14:15], 1
	s_add_u32 s14, s16, s14
	v_add_lshl_u32 v6, v1, s23, 7
	s_addc_u32 s15, s17, s15
	v_ashrrev_i32_e32 v7, 31, v6
	v_lshl_add_u64 v[6:7], v[6:7], 1, s[14:15]
	v_mov_b32_e32 v55, 0
	v_lshl_add_u64 v[6:7], v[6:7], 0, v[54:55]
	global_load_dwordx4 v[6:9], v[6:7], off
	v_lshlrev_b32_e32 v10, 8, v0
	v_lshlrev_b32_e32 v5, 8, v62
	v_and_b32_e32 v10, 0x600, v10
	s_movk_i32 s14, 0x800
	v_and_or_b32 v5, v5, s14, v10
	v_lshlrev_b32_e32 v4, 5, v4
	v_and_b32_e32 v10, 16, v63
	v_or3_b32 v4, v5, v4, v10
	s_waitcnt vmcnt(0)
	ds_write_b128 v4, v[6:9]
.LBB1325_11:
	s_or_b64 exec, exec, s[12:13]
	s_waitcnt lgkmcnt(0)
	s_mul_i32 s4, s4, s46
	s_add_u32 s8, s8, s4
	s_addc_u32 s9, s9, 0
	v_and_b32_e32 v56, 0xf0, v63
	v_mov_b32_e32 v57, 0
	v_and_b32_e32 v6, 48, v0
	v_lshl_add_u64 v[30:31], s[8:9], 0, v[56:57]
	v_lshlrev_b32_e32 v56, 4, v6
	s_waitcnt vmcnt(3)
	v_mad_i64_i32 v[4:5], s[8:9], v3, s45, v[30:31]
	v_lshl_add_u64 v[4:5], v[4:5], 0, v[56:57]
	s_load_dword s33, s[0:1], 0x98
	s_load_dwordx4 s[40:43], s[0:1], 0x80
	s_waitcnt lgkmcnt(0)
	s_barrier
	global_load_dwordx4 v[22:25], v[4:5], off
	global_load_dwordx4 v[10:13], v[4:5], off offset:1024
	s_waitcnt vmcnt(4)
	v_mad_i64_i32 v[2:3], s[8:9], v2, s45, v[30:31]
	v_lshl_add_u64 v[32:33], v[2:3], 0, v[56:57]
	global_load_dwordx4 v[2:5], v[32:33], off
	v_or_b32_e32 v36, s18, v6
	v_and_b32_e32 v7, 1, v0
	v_mov_b32_e32 v41, s5
	v_ashrrev_i32_e32 v37, 4, v36
	v_or_b32_e32 v40, 64, v36
	v_cmp_gt_i32_e32 vcc, s38, v36
	v_lshlrev_b32_e32 v7, 5, v7
	v_or_b32_e32 v42, 0x80, v36
	v_or_b32_e32 v47, 0xc0, v36
	v_cndmask_b32_e32 v36, v41, v37, vcc
	v_ashrrev_i32_e32 v43, 4, v40
	v_cmp_gt_i32_e32 vcc, s38, v40
	v_lshl_or_b32 v6, v1, 9, v7
	v_ashrrev_i32_e32 v44, 4, v42
	v_cndmask_b32_e32 v40, v41, v43, vcc
	v_cmp_gt_i32_e32 vcc, s38, v42
	ds_read_b128 v[26:29], v6
	ds_read_b128 v[18:21], v6 offset:16
	ds_read_b128 v[14:17], v6 offset:2048
	;; [unrolled: 1-line block ×3, first 2 shown]
	v_cndmask_b32_e32 v46, v41, v44, vcc
	global_load_dwordx4 v[42:45], v[32:33], off offset:1024
	v_ashrrev_i32_e32 v48, 4, v47
	v_cmp_gt_i32_e32 vcc, s38, v47
	s_waitcnt vmcnt(5)
	v_mad_i64_i32 v[38:39], s[12:13], v34, s45, v[30:31]
	s_waitcnt vmcnt(4)
	v_mad_i64_i32 v[30:31], s[12:13], v35, s45, v[30:31]
	v_cndmask_b32_e32 v32, v41, v48, vcc
	v_ashrrev_i32_e32 v47, 31, v46
	v_ashrrev_i32_e32 v37, 31, v36
	v_lshl_add_u64 v[38:39], v[38:39], 0, v[56:57]
	v_lshl_add_u64 v[34:35], v[30:31], 0, v[56:57]
	v_ashrrev_i32_e32 v41, 31, v40
	v_ashrrev_i32_e32 v33, 31, v32
	v_lshl_add_u64 v[58:59], v[46:47], 2, s[6:7]
	v_lshl_add_u64 v[50:51], v[36:37], 2, s[6:7]
	;; [unrolled: 1-line block ×4, first 2 shown]
	global_load_dwordx4 v[30:33], v[38:39], off
	global_load_dwordx4 v[46:49], v[38:39], off offset:1024
	s_nop 0
	global_load_dwordx4 v[38:41], v[34:35], off
	s_nop 0
	global_load_dwordx4 v[34:37], v[34:35], off offset:1024
	s_nop 0
	global_load_dword v67, v[50:51], off
	global_load_dword v66, v[52:53], off
	s_nop 0
	global_load_dword v58, v[58:59], off
	s_nop 0
	global_load_dword v59, v[60:61], off
	s_mov_b32 s44, 0x7060302
	s_add_u32 s4, s10, s4
	v_lshl_or_b32 v55, v65, 4, v62
	s_addc_u32 s5, s11, 0
	v_lshlrev_b32_e32 v56, 4, v55
	s_load_dword s8, s[0:1], 0x1c
	s_waitcnt vmcnt(11)
	v_cvt_pk_f32_fp8_e32 v[50:51], v22
	v_cvt_pk_f32_fp8_sdwa v[52:53], v22 src0_sel:WORD_1
	v_cvt_pk_f32_fp8_e32 v[60:61], v23
	v_cvt_pk_f32_fp8_sdwa v[68:69], v23 src0_sel:WORD_1
	;; [unrolled: 2-line block ×4, first 2 shown]
	s_waitcnt vmcnt(9)
	v_cvt_pk_f32_fp8_e32 v[22:23], v2
	v_cvt_pk_f32_fp8_sdwa v[24:25], v2 src0_sel:WORD_1
	v_perm_b32 v50, v51, v50, s44
	v_perm_b32 v51, v53, v52, s44
	v_cvt_pk_f32_fp8_e32 v[80:81], v10
	v_cvt_pk_f32_fp8_sdwa v[82:83], v10 src0_sel:WORD_1
	v_cvt_pk_f32_fp8_e32 v[84:85], v11
	v_cvt_pk_f32_fp8_sdwa v[52:53], v11 src0_sel:WORD_1
	v_perm_b32 v10, v23, v22, s44
	v_perm_b32 v11, v25, v24, s44
	;; [unrolled: 1-line block ×4, first 2 shown]
	s_waitcnt lgkmcnt(0)
	v_mfma_f32_16x16x16_bf16 v[22:25], v[50:51], v[26:27], 0
	v_cvt_pk_f32_fp8_e32 v[86:87], v12
	v_cvt_pk_f32_fp8_sdwa v[50:51], v12 src0_sel:WORD_1
	v_cvt_pk_f32_fp8_e32 v[88:89], v13
	v_mfma_f32_16x16x16_bf16 v[68:71], v[10:11], v[26:27], 0
	v_perm_b32 v10, v73, v72, s44
	v_perm_b32 v11, v75, v74, s44
	;; [unrolled: 1-line block ×3, first 2 shown]
	v_mfma_f32_16x16x16_bf16 v[22:25], v[60:61], v[28:29], v[22:25]
	v_perm_b32 v73, v79, v78, s44
	v_cvt_pk_f32_fp8_sdwa v[60:61], v13 src0_sel:WORD_1
	s_waitcnt vmcnt(6)
	v_cvt_pk_f32_fp8_sdwa v[76:77], v48 src0_sel:WORD_1
	v_mfma_f32_16x16x16_bf16 v[10:13], v[10:11], v[18:19], v[22:25]
	s_nop 2
	v_perm_b32 v24, v81, v80, s44
	v_perm_b32 v25, v83, v82, s44
	v_mfma_f32_16x16x16_bf16 v[10:13], v[72:73], v[20:21], v[10:13]
	v_perm_b32 v72, v85, v84, s44
	v_perm_b32 v73, v53, v52, s44
	;; [unrolled: 1-line block ×3, first 2 shown]
	v_mfma_f32_16x16x16_bf16 v[10:13], v[24:25], v[14:15], v[10:13]
	v_perm_b32 v53, v51, v50, s44
	v_cvt_pk_f32_fp8_e32 v[22:23], v3
	v_cvt_pk_f32_fp8_sdwa v[2:3], v3 src0_sel:WORD_1
	v_mfma_f32_16x16x16_bf16 v[10:13], v[72:73], v[16:17], v[10:13]
	v_perm_b32 v50, v89, v88, s44
	v_perm_b32 v51, v61, v60, s44
	v_cvt_pk_f32_fp8_e32 v[24:25], v4
	v_cvt_pk_f32_fp8_sdwa v[72:73], v4 src0_sel:WORD_1
	v_mfma_f32_16x16x16_bf16 v[10:13], v[52:53], v[6:7], v[10:13]
	v_perm_b32 v22, v23, v22, s44
	v_perm_b32 v23, v3, v2, s44
	;; [unrolled: 1-line block ×3, first 2 shown]
	v_mfma_f32_16x16x16_bf16 v[50:53], v[50:51], v[8:9], v[10:13]
	v_perm_b32 v25, v73, v72, s44
	v_cvt_pk_f32_fp8_sdwa v[72:73], v33 src0_sel:WORD_1
	v_lshl_add_u64 v[60:61], s[4:5], 0, v[56:57]
	v_cvt_pk_f32_fp8_e32 v[10:11], v5
	v_cvt_pk_f32_fp8_sdwa v[12:13], v5 src0_sel:WORD_1
	v_mfma_f32_16x16x16_bf16 v[2:5], v[22:23], v[28:29], v[68:71]
	v_cvt_pk_f32_fp8_sdwa v[22:23], v42 src0_sel:WORD_1
	v_perm_b32 v10, v11, v10, s44
	v_perm_b32 v11, v13, v12, s44
	v_mfma_f32_16x16x16_bf16 v[2:5], v[24:25], v[18:19], v[2:5]
	v_cvt_pk_f32_fp8_e32 v[12:13], v42
	v_cvt_pk_f32_fp8_e32 v[24:25], v44
	;; [unrolled: 1-line block ×3, first 2 shown]
	v_mfma_f32_16x16x16_bf16 v[2:5], v[10:11], v[20:21], v[2:5]
	v_cvt_pk_f32_fp8_e32 v[10:11], v43
	v_perm_b32 v12, v13, v12, s44
	v_perm_b32 v13, v23, v22, s44
	v_cvt_pk_f32_fp8_sdwa v[22:23], v43 src0_sel:WORD_1
	v_perm_b32 v10, v11, v10, s44
	v_cvt_pk_f32_fp8_sdwa v[42:43], v44 src0_sel:WORD_1
	v_mfma_f32_16x16x16_bf16 v[2:5], v[12:13], v[14:15], v[2:5]
	v_perm_b32 v11, v23, v22, s44
	v_perm_b32 v12, v25, v24, s44
	;; [unrolled: 1-line block ×3, first 2 shown]
	v_cvt_pk_f32_fp8_e32 v[22:23], v45
	v_cvt_pk_f32_fp8_sdwa v[24:25], v45 src0_sel:WORD_1
	v_mfma_f32_16x16x16_bf16 v[2:5], v[10:11], v[16:17], v[2:5]
	s_waitcnt vmcnt(2)
	v_mad_i64_i32 v[68:69], s[6:7], v66, s45, v[60:61]
	v_perm_b32 v10, v23, v22, s44
	v_perm_b32 v11, v25, v24, s44
	v_mfma_f32_16x16x16_bf16 v[2:5], v[12:13], v[6:7], v[2:5]
	v_cvt_pk_f32_fp8_e32 v[12:13], v30
	v_cvt_pk_f32_fp8_sdwa v[22:23], v30 src0_sel:WORD_1
	v_cvt_pk_f32_fp8_sdwa v[24:25], v32 src0_sel:WORD_1
	v_mfma_f32_16x16x16_bf16 v[42:45], v[10:11], v[8:9], v[2:5]
	v_cvt_pk_f32_fp8_sdwa v[10:11], v31 src0_sel:WORD_1
	v_or_b32_e32 v56, 0x400, v56
	s_nop 0
	v_perm_b32 v2, v13, v12, s44
	v_perm_b32 v3, v23, v22, s44
	v_cvt_pk_f32_fp8_e32 v[4:5], v31
	v_perm_b32 v23, v11, v10, s44
	v_cvt_pk_f32_fp8_e32 v[10:11], v32
	v_mad_i64_i32 v[12:13], s[6:7], v67, s45, v[60:61]
	v_perm_b32 v22, v5, v4, s44
	v_mfma_f32_16x16x16_bf16 v[2:5], v[2:3], v[26:27], 0
	v_perm_b32 v10, v11, v10, s44
	v_perm_b32 v11, v25, v24, s44
	v_mfma_f32_16x16x16_bf16 v[2:5], v[22:23], v[28:29], v[2:5]
	global_load_dwordx4 v[30:33], v[12:13], off
	global_load_dwordx4 v[22:25], v[68:69], off
	v_perm_b32 v12, v71, v70, s44
	v_perm_b32 v13, v73, v72, s44
	v_mfma_f32_16x16x16_bf16 v[2:5], v[10:11], v[18:19], v[2:5]
	v_cvt_pk_f32_fp8_e32 v[10:11], v46
	v_cvt_pk_f32_fp8_sdwa v[68:69], v46 src0_sel:WORD_1
	s_waitcnt vmcnt(3)
	v_mad_i64_i32 v[72:73], s[6:7], v58, s45, v[60:61]
	v_mfma_f32_16x16x16_bf16 v[2:5], v[12:13], v[20:21], v[2:5]
	v_perm_b32 v10, v11, v10, s44
	v_perm_b32 v11, v69, v68, s44
	v_cvt_pk_f32_fp8_e32 v[12:13], v47
	v_cvt_pk_f32_fp8_sdwa v[46:47], v47 src0_sel:WORD_1
	v_mfma_f32_16x16x16_bf16 v[68:71], v[10:11], v[14:15], v[2:5]
	v_perm_b32 v74, v13, v12, s44
	v_perm_b32 v75, v47, v46, s44
	v_cvt_pk_f32_fp8_e32 v[46:47], v48
	s_waitcnt vmcnt(2)
	v_mad_i64_i32 v[60:61], s[6:7], v59, s45, v[60:61]
	global_load_dwordx4 v[10:13], v[72:73], off
	global_load_dwordx4 v[2:5], v[60:61], off
	v_perm_b32 v60, v47, v46, s44
	v_perm_b32 v61, v77, v76, s44
	v_cvt_pk_f32_fp8_e32 v[72:73], v49
	v_cvt_pk_f32_fp8_sdwa v[48:49], v49 src0_sel:WORD_1
	v_mfma_f32_16x16x16_bf16 v[68:71], v[74:75], v[16:17], v[68:71]
	v_lshl_add_u64 v[46:47], s[4:5], 0, v[56:57]
	v_perm_b32 v56, v73, v72, s44
	v_perm_b32 v57, v49, v48, s44
	v_mfma_f32_16x16x16_bf16 v[68:71], v[60:61], v[6:7], v[68:71]
	v_cvt_pk_f32_fp8_e32 v[48:49], v38
	v_cvt_pk_f32_fp8_sdwa v[60:61], v38 src0_sel:WORD_1
	v_cvt_pk_f32_fp8_sdwa v[76:77], v40 src0_sel:WORD_1
	v_mfma_f32_16x16x16_bf16 v[68:71], v[56:57], v[8:9], v[68:71]
	v_cvt_pk_f32_fp8_e32 v[56:57], v39
	v_perm_b32 v48, v49, v48, s44
	v_perm_b32 v49, v61, v60, s44
	v_cvt_pk_f32_fp8_sdwa v[38:39], v39 src0_sel:WORD_1
	v_perm_b32 v56, v57, v56, s44
	v_cvt_pk_f32_fp8_e32 v[60:61], v40
	v_mfma_f32_16x16x16_bf16 v[72:75], v[48:49], v[26:27], 0
	v_perm_b32 v57, v39, v38, s44
	v_perm_b32 v38, v61, v60, s44
	;; [unrolled: 1-line block ×3, first 2 shown]
	v_cvt_pk_f32_fp8_e32 v[48:49], v41
	v_cvt_pk_f32_fp8_sdwa v[40:41], v41 src0_sel:WORD_1
	v_mfma_f32_16x16x16_bf16 v[26:29], v[56:57], v[28:29], v[72:75]
	s_load_dword s4, s[40:41], 0x0
	v_perm_b32 v48, v49, v48, s44
	v_perm_b32 v49, v41, v40, s44
	v_mfma_f32_16x16x16_bf16 v[26:29], v[38:39], v[18:19], v[26:29]
	v_cvt_pk_f32_fp8_e32 v[40:41], v35
	v_mov_b32_e32 v56, s8
	s_waitcnt lgkmcnt(0)
	v_mul_f32_e32 v56, s4, v56
	v_mfma_f32_16x16x16_bf16 v[18:21], v[48:49], v[20:21], v[26:29]
	v_pk_mul_f32 v[38:39], v[56:57], v[52:53] op_sel_hi:[0,1]
	v_pk_mul_f32 v[52:53], v[56:57], v[42:43] op_sel_hi:[0,1]
	;; [unrolled: 1-line block ×3, first 2 shown]
	v_cvt_pk_f32_fp8_e32 v[26:27], v34
	v_cvt_pk_f32_fp8_sdwa v[28:29], v34 src0_sel:WORD_1
	v_cvt_pk_f32_fp8_sdwa v[34:35], v35 src0_sel:WORD_1
	s_mov_b32 s40, 0xff7fffff
	v_perm_b32 v26, v27, v26, s44
	v_perm_b32 v27, v29, v28, s44
	;; [unrolled: 1-line block ×4, first 2 shown]
	v_cvt_pk_f32_fp8_e32 v[34:35], v36
	v_cvt_pk_f32_fp8_sdwa v[40:41], v36 src0_sel:WORD_1
	v_mfma_f32_16x16x16_bf16 v[18:21], v[26:27], v[14:15], v[18:21]
	v_pk_mul_f32 v[48:49], v[56:57], v[44:45] op_sel_hi:[0,1]
	v_perm_b32 v26, v35, v34, s44
	v_perm_b32 v27, v41, v40, s44
	v_cvt_pk_f32_fp8_e32 v[34:35], v37
	v_cvt_pk_f32_fp8_sdwa v[36:37], v37 src0_sel:WORD_1
	v_mfma_f32_16x16x16_bf16 v[14:17], v[28:29], v[16:17], v[18:21]
	v_pk_mul_f32 v[40:41], v[56:57], v[68:69] op_sel_hi:[0,1]
	v_pk_mul_f32 v[44:45], v[56:57], v[70:71] op_sel_hi:[0,1]
	v_mad_i64_i32 v[60:61], s[4:5], v67, s45, v[46:47]
	v_perm_b32 v18, v35, v34, s44
	v_perm_b32 v19, v37, v36, s44
	v_mfma_f32_16x16x16_bf16 v[14:17], v[26:27], v[6:7], v[14:17]
	s_nop 0
	v_mfma_f32_16x16x16_bf16 v[6:9], v[18:19], v[8:9], v[14:17]
	s_nop 6
	v_pk_mul_f32 v[42:43], v[56:57], v[6:7] op_sel_hi:[0,1]
	v_and_b32_e32 v6, 0xc0, v0
	v_add_u32_e32 v6, s18, v6
	v_lshl_or_b32 v6, v1, 2, v6
	v_pk_mul_f32 v[34:35], v[56:57], v[8:9] op_sel_hi:[0,1]
	v_or_b32_e32 v9, 1, v6
	v_mov_b32_e32 v7, 0xff7fffff
	v_cmp_gt_i32_e64 s[24:25], s38, v6
	v_cmp_gt_i32_e64 s[26:27], s38, v9
	v_or_b32_e32 v14, 3, v6
	v_cndmask_b32_e64 v8, v7, v50, s[24:25]
	v_cndmask_b32_e64 v9, v7, v51, s[26:27]
	v_max3_f32 v8, v8, s40, v9
	v_or_b32_e32 v9, 2, v6
	v_cmp_gt_i32_e64 s[28:29], s38, v9
	v_cmp_gt_i32_e64 s[30:31], s38, v14
	s_nop 0
	v_cndmask_b32_e64 v9, v7, v38, s[28:29]
	v_cndmask_b32_e64 v14, v7, v39, s[30:31]
	v_max3_f32 v8, v8, v9, v14
	v_or_b32_e32 v9, 16, v6
	v_or_b32_e32 v14, 17, v6
	v_cmp_gt_i32_e64 s[34:35], s38, v9
	v_cmp_gt_i32_e64 s[36:37], s38, v14
	s_nop 0
	v_cndmask_b32_e64 v9, v7, v52, s[34:35]
	v_cndmask_b32_e64 v14, v7, v53, s[36:37]
	v_max3_f32 v8, v8, v9, v14
	v_or_b32_e32 v9, 18, v6
	;; [unrolled: 8-line block ×6, first 2 shown]
	v_or_b32_e32 v6, 51, v6
	v_cmp_gt_i32_e32 vcc, s38, v9
	v_cmp_gt_i32_e64 s[4:5], s38, v6
	s_nop 0
	v_cndmask_b32_e32 v9, v7, v34, vcc
	v_cndmask_b32_e64 v6, v7, v35, s[4:5]
	v_max3_f32 v8, v8, v9, v6
	v_mbcnt_lo_u32_b32 v6, -1, 0
	v_mbcnt_hi_u32_b32 v9, -1, v6
	v_and_b32_e32 v6, 64, v9
	v_add_u32_e32 v14, 64, v6
	v_xor_b32_e32 v6, 32, v9
	v_cmp_lt_i32_e64 s[38:39], v6, v14
	s_nop 1
	v_cndmask_b32_e64 v6, v9, v6, s[38:39]
	v_lshlrev_b32_e32 v57, 2, v6
	ds_bpermute_b32 v15, v57, v8
	v_mad_i64_i32 v[6:7], s[38:39], v66, s45, v[46:47]
	global_load_dwordx4 v[26:29], v[60:61], off
	global_load_dwordx4 v[18:21], v[6:7], off
	s_waitcnt lgkmcnt(0)
	v_max_f32_e32 v6, v15, v15
	v_max_f32_e32 v15, v8, v6
	v_xor_b32_e32 v6, 16, v9
	v_cmp_lt_i32_e64 s[38:39], v6, v14
	s_nop 1
	v_cndmask_b32_e64 v6, v9, v6, s[38:39]
	v_lshlrev_b32_e32 v60, 2, v6
	ds_bpermute_b32 v14, v60, v15
	v_mad_i64_i32 v[6:7], s[38:39], v58, s45, v[46:47]
	v_mad_i64_i32 v[8:9], s[38:39], v59, s45, v[46:47]
	s_waitcnt lgkmcnt(0)
	v_max_f32_e32 v14, v14, v14
	v_max_f32_e32 v56, v15, v14
	v_sub_f32_e32 v14, v50, v56
	v_mul_f32_e32 v14, 0x3fb8aa3b, v14
	v_exp_f32_e32 v36, v14
	v_sub_f32_e32 v14, v51, v56
	v_mul_f32_e32 v14, 0x3fb8aa3b, v14
	v_exp_f32_e32 v37, v14
	global_load_dwordx4 v[14:17], v[6:7], off
	s_nop 0
	global_load_dwordx4 v[6:9], v[8:9], off
	v_sub_f32_e32 v38, v38, v56
	v_mul_f32_e32 v38, 0x3fb8aa3b, v38
	v_sub_f32_e32 v39, v39, v56
	v_exp_f32_e32 v38, v38
	v_mul_f32_e32 v39, 0x3fb8aa3b, v39
	v_exp_f32_e32 v39, v39
	v_cndmask_b32_e64 v36, 0, v36, s[24:25]
	v_add_f32_e32 v46, 0, v36
	v_cndmask_b32_e64 v37, 0, v37, s[26:27]
	v_add_f32_e32 v47, v46, v37
	;; [unrolled: 2-line block ×3, first 2 shown]
	v_cndmask_b32_e64 v47, 0, v39, s[30:31]
	v_sub_f32_e32 v39, v52, v56
	v_mul_f32_e32 v39, 0x3fb8aa3b, v39
	v_sub_f32_e32 v50, v53, v56
	v_exp_f32_e32 v39, v39
	v_mul_f32_e32 v50, 0x3fb8aa3b, v50
	v_sub_f32_e32 v48, v48, v56
	v_exp_f32_e32 v50, v50
	;; [unrolled: 3-line block ×4, first 2 shown]
	v_mul_f32_e32 v40, 0x3fb8aa3b, v40
	v_sub_f32_e32 v41, v41, v56
	v_add_f32_e32 v51, v38, v47
	v_cndmask_b32_e64 v38, 0, v39, s[34:35]
	v_exp_f32_e32 v40, v40
	v_mul_f32_e32 v41, 0x3fb8aa3b, v41
	v_sub_f32_e32 v44, v44, v56
	v_add_f32_e32 v51, v51, v38
	v_cndmask_b32_e64 v39, 0, v50, s[36:37]
	v_exp_f32_e32 v41, v41
	;; [unrolled: 5-line block ×7, first 2 shown]
	v_mul_f32_e32 v35, 0x3fb8aa3b, v35
	v_add_f32_e32 v50, v50, v44
	v_cndmask_b32_e64 v45, 0, v45, s[12:13]
	v_exp_f32_e32 v35, v35
	v_add_f32_e32 v50, v50, v45
	v_cndmask_b32_e64 v42, 0, v42, s[6:7]
	v_add_f32_e32 v50, v50, v42
	v_cndmask_b32_e64 v43, 0, v43, s[8:9]
	v_add_f32_e32 v50, v50, v43
	v_cndmask_b32_e32 v34, 0, v34, vcc
	v_add_f32_e32 v50, v50, v34
	v_cndmask_b32_e64 v35, 0, v35, s[4:5]
	v_add_f32_e32 v50, v50, v35
	ds_bpermute_b32 v51, v57, v50
	v_cmp_gt_u32_e32 vcc, 16, v64
	s_waitcnt lgkmcnt(0)
	s_barrier
	v_add_f32_e32 v50, v50, v51
	ds_bpermute_b32 v51, v60, v50
	s_and_saveexec_b64 s[4:5], vcc
	s_cbranch_execz .LBB1325_13
; %bb.12:
	s_waitcnt lgkmcnt(0)
	v_add_f32_e32 v50, v50, v51
	v_lshlrev_b32_e32 v51, 2, v55
	ds_write2st64_b32 v51, v56, v50 offset1:1
.LBB1325_13:
	s_or_b64 exec, exec, s[4:5]
	s_waitcnt lgkmcnt(0)
	v_lshlrev_b32_e32 v51, 2, v62
	s_load_dword s6, s[0:1], 0x94
	s_waitcnt lgkmcnt(0)
	s_barrier
	ds_read2_b32 v[52:53], v51 offset1:16
	ds_read2_b32 v[56:57], v51 offset0:32 offset1:48
	ds_read2_b32 v[58:59], v51 offset0:64 offset1:80
	s_movk_i32 s8, 0x7fff
	s_lshl_b32 s7, s33, 1
	s_waitcnt lgkmcnt(2)
	v_max3_f32 v50, v52, s40, v53
	s_waitcnt lgkmcnt(1)
	v_max3_f32 v50, v50, v56, v57
	v_sub_f32_e32 v52, v52, v50
	v_mul_f32_e32 v52, 0x3fb8aa3b, v52
	v_exp_f32_e32 v55, v52
	v_sub_f32_e32 v52, v53, v50
	v_mul_f32_e32 v52, 0x3fb8aa3b, v52
	v_exp_f32_e32 v60, v52
	;; [unrolled: 3-line block ×3, first 2 shown]
	ds_read2_b32 v[52:53], v51 offset0:96 offset1:112
	v_sub_f32_e32 v51, v57, v50
	v_mul_f32_e32 v51, 0x3fb8aa3b, v51
	v_exp_f32_e32 v57, v51
	s_waitcnt lgkmcnt(1)
	v_fma_f32 v51, v55, v58, 0
	v_fmac_f32_e32 v51, v60, v59
	s_waitcnt lgkmcnt(0)
	v_fmac_f32_e32 v51, v56, v52
	v_fmac_f32_e32 v51, v57, v53
	v_add_f32_e32 v52, 0x358637bd, v51
	v_div_scale_f32 v53, s[4:5], v52, v52, 1.0
	v_rcp_f32_e32 v58, v53
	s_barrier
	v_fma_f32 v59, -v53, v58, 1.0
	v_fmac_f32_e32 v58, v59, v58
	v_div_scale_f32 v59, vcc, 1.0, v52, 1.0
	v_mul_f32_e32 v61, v59, v58
	v_fma_f32 v66, -v53, v61, v59
	v_fmac_f32_e32 v61, v66, v58
	v_fma_f32 v53, -v53, v61, v59
	v_div_fmas_f32 v53, v53, v58, v61
	v_cmp_eq_u32_e32 vcc, 1, v65
	v_div_fixup_f32 v52, v53, v52, 1.0
	s_nop 0
	v_cndmask_b32_e32 v53, v55, v60, vcc
	v_cmp_eq_u32_e32 vcc, 2, v65
	s_nop 1
	v_cndmask_b32_e32 v53, v53, v56, vcc
	v_cmp_eq_u32_e32 vcc, 3, v65
	s_nop 1
	v_cndmask_b32_e32 v53, v53, v57, vcc
	v_mul_f32_e32 v52, v53, v52
	v_pk_mul_f32 v[36:37], v[52:53], v[36:37] op_sel_hi:[0,1]
	v_pk_mul_f32 v[46:47], v[52:53], v[46:47] op_sel_hi:[0,1]
	v_bfe_u32 v53, v37, 16, 1
	v_bfe_u32 v55, v36, 16, 1
	v_add3_u32 v36, v36, v55, s8
	v_add3_u32 v37, v37, v53, s8
	v_perm_b32 v56, v37, v36, s44
	v_bfe_u32 v36, v47, 16, 1
	v_bfe_u32 v37, v46, 16, 1
	v_add3_u32 v37, v46, v37, s8
	v_add3_u32 v36, v47, v36, s8
	v_perm_b32 v57, v36, v37, s44
	v_lshlrev_b32_e32 v37, 3, v1
	v_lshlrev_b32_e32 v36, 5, v62
	;; [unrolled: 1-line block ×3, first 2 shown]
	v_pk_mul_f32 v[38:39], v[52:53], v[38:39] op_sel_hi:[0,1]
	v_or3_b32 v55, v46, v36, v37
	v_pk_mul_f32 v[46:47], v[52:53], v[48:49] op_sel_hi:[0,1]
	v_bfe_u32 v37, v39, 16, 1
	v_bfe_u32 v48, v38, 16, 1
	v_add3_u32 v38, v38, v48, s8
	v_add3_u32 v37, v39, v37, s8
	v_perm_b32 v38, v37, v38, s44
	v_bfe_u32 v37, v47, 16, 1
	v_bfe_u32 v39, v46, 16, 1
	v_add3_u32 v39, v46, v39, s8
	v_add3_u32 v37, v47, v37, s8
	v_perm_b32 v39, v37, v39, s44
	v_pk_mul_f32 v[40:41], v[52:53], v[40:41] op_sel_hi:[0,1]
	ds_write2st64_b64 v55, v[56:57], v[38:39] offset1:1
	v_pk_mul_f32 v[38:39], v[52:53], v[44:45] op_sel_hi:[0,1]
	v_bfe_u32 v37, v41, 16, 1
	v_bfe_u32 v44, v40, 16, 1
	v_add3_u32 v40, v40, v44, s8
	v_add3_u32 v37, v41, v37, s8
	v_perm_b32 v40, v37, v40, s44
	v_bfe_u32 v37, v39, 16, 1
	v_bfe_u32 v41, v38, 16, 1
	v_add3_u32 v38, v38, v41, s8
	v_add3_u32 v37, v39, v37, s8
	v_perm_b32 v41, v37, v38, s44
	v_pk_mul_f32 v[38:39], v[52:53], v[42:43] op_sel_hi:[0,1]
	v_bfe_u32 v37, v39, 16, 1
	v_bfe_u32 v42, v38, 16, 1
	v_pk_mul_f32 v[34:35], v[52:53], v[34:35] op_sel_hi:[0,1]
	v_add3_u32 v38, v38, v42, s8
	v_add3_u32 v37, v39, v37, s8
	v_perm_b32 v38, v37, v38, s44
	v_bfe_u32 v37, v35, 16, 1
	v_bfe_u32 v39, v34, 16, 1
	v_add3_u32 v34, v34, v39, s8
	v_add3_u32 v35, v35, v37, s8
	v_perm_b32 v39, v35, v34, s44
	v_cmp_gt_u32_e32 vcc, 2, v0
	ds_write2st64_b64 v55, v[40:41], v[38:39] offset0:2 offset1:3
	s_and_saveexec_b64 s[4:5], vcc
	s_cbranch_execz .LBB1325_15
; %bb.14:
	v_or_b32_e32 v34, s23, v0
	v_mov_b32_e32 v35, 0
	v_mov_b32_e32 v37, s7
	v_mad_u64_u32 v[38:39], s[10:11], s2, v37, v[34:35]
	v_mov_b32_e32 v34, s22
	s_load_dwordx4 s[12:15], s[0:1], 0x58
	s_mul_i32 s3, s3, s7
	v_mad_u64_u32 v[34:35], s[10:11], v38, s6, v[34:35]
	v_add_u32_e32 v37, s3, v39
	v_mov_b32_e32 v38, v35
	v_mad_u64_u32 v[38:39], s[10:11], v37, s6, v[38:39]
	v_mov_b32_e32 v35, v38
	v_lshlrev_b64 v[34:35], 2, v[34:35]
	s_waitcnt lgkmcnt(0)
	v_lshl_add_u64 v[38:39], s[14:15], 0, v[34:35]
	v_lshl_add_u64 v[34:35], s[12:13], 0, v[34:35]
	global_store_dword v[38:39], v50, off
	global_store_dword v[34:35], v51, off
.LBB1325_15:
	s_or_b64 exec, exec, s[4:5]
	v_lshl_or_b32 v50, v1, 9, v36
	s_waitcnt vmcnt(7)
	v_cvt_pk_f32_fp8_e32 v[34:35], v30
	v_cvt_pk_f32_fp8_sdwa v[36:37], v30 src0_sel:WORD_1
	s_mov_b32 s5, 0x7060302
	s_waitcnt lgkmcnt(0)
	s_barrier
	v_cvt_pk_f32_fp8_e32 v[38:39], v31
	v_perm_b32 v30, v35, v34, s5
	v_cvt_pk_f32_fp8_sdwa v[40:41], v31 src0_sel:WORD_1
	v_perm_b32 v31, v37, v36, s5
	ds_read_b128 v[34:37], v50
	v_perm_b32 v46, v39, v38, s5
	v_perm_b32 v47, v41, v40, s5
	ds_read_b128 v[38:41], v50 offset:16
	v_cvt_pk_f32_fp8_e32 v[48:49], v32
	v_cvt_pk_f32_fp8_sdwa v[52:53], v32 src0_sel:WORD_1
	s_waitcnt lgkmcnt(1)
	v_mfma_f32_16x16x16_bf16 v[42:45], v[30:31], v[34:35], 0
	s_waitcnt vmcnt(6)
	v_cvt_pk_f32_fp8_e32 v[56:57], v24
	v_perm_b32 v30, v49, v48, s5
	v_perm_b32 v31, v53, v52, s5
	v_cvt_pk_f32_fp8_e32 v[48:49], v33
	v_mfma_f32_16x16x16_bf16 v[42:45], v[46:47], v[36:37], v[42:45]
	v_cvt_pk_f32_fp8_sdwa v[46:47], v33 src0_sel:WORD_1
	v_cvt_pk_f32_fp8_sdwa v[58:59], v24 src0_sel:WORD_1
	v_perm_b32 v48, v49, v48, s5
	s_waitcnt lgkmcnt(0)
	v_mfma_f32_16x16x16_bf16 v[30:33], v[30:31], v[38:39], v[42:45]
	v_perm_b32 v49, v47, v46, s5
	s_waitcnt vmcnt(5)
	v_cvt_pk_f32_fp8_e32 v[60:61], v12
	v_cvt_pk_f32_fp8_sdwa v[66:67], v12 src0_sel:WORD_1
	v_cvt_pk_f32_fp8_e32 v[42:43], v22
	v_mfma_f32_16x16x16_bf16 v[46:49], v[48:49], v[40:41], v[30:33]
	s_waitcnt vmcnt(4)
	v_cvt_pk_f32_fp8_sdwa v[68:69], v4 src0_sel:WORD_1
	s_load_dword s4, s[42:43], 0x0
	v_cvt_pk_f32_fp8_sdwa v[30:31], v22 src0_sel:WORD_1
	v_cvt_pk_f32_fp8_e32 v[32:33], v23
	v_perm_b32 v22, v43, v42, s5
	v_cvt_pk_f32_fp8_sdwa v[42:43], v23 src0_sel:WORD_1
	v_perm_b32 v23, v31, v30, s5
	v_perm_b32 v52, v33, v32, s5
	ds_read_b128 v[30:33], v50 offset:2048
	v_perm_b32 v53, v43, v42, s5
	ds_read_b128 v[42:45], v50 offset:2064
	s_waitcnt lgkmcnt(0)
	v_mfma_f32_16x16x16_bf16 v[46:49], v[22:23], v[30:31], v[46:49]
	v_perm_b32 v22, v57, v56, s5
	v_perm_b32 v23, v59, v58, s5
	v_cvt_pk_f32_fp8_e32 v[56:57], v25
	v_mfma_f32_16x16x16_bf16 v[46:49], v[52:53], v[32:33], v[46:49]
	v_cvt_pk_f32_fp8_sdwa v[52:53], v25 src0_sel:WORD_1
	s_waitcnt vmcnt(3)
	v_cvt_pk_f32_fp8_sdwa v[70:71], v28 src0_sel:WORD_1
	v_perm_b32 v56, v57, v56, s5
	v_mfma_f32_16x16x16_bf16 v[22:25], v[22:23], v[42:43], v[46:49]
	v_perm_b32 v57, v53, v52, s5
	v_cmp_gt_u32_e32 vcc, 64, v0
	s_mov_b32 s3, 0
	v_cvt_pk_f32_fp8_e32 v[46:47], v10
	v_mfma_f32_16x16x16_bf16 v[56:59], v[56:57], v[44:45], v[22:25]
	s_nop 2
	v_cvt_pk_f32_fp8_sdwa v[22:23], v10 src0_sel:WORD_1
	v_cvt_pk_f32_fp8_e32 v[24:25], v11
	v_perm_b32 v10, v47, v46, s5
	v_cvt_pk_f32_fp8_sdwa v[46:47], v11 src0_sel:WORD_1
	v_perm_b32 v11, v23, v22, s5
	v_perm_b32 v52, v25, v24, s5
	ds_read_b128 v[22:25], v50 offset:4096
	v_perm_b32 v53, v47, v46, s5
	ds_read_b128 v[46:49], v50 offset:4112
	s_waitcnt lgkmcnt(1)
	v_mfma_f32_16x16x16_bf16 v[56:59], v[10:11], v[22:23], v[56:59]
	v_perm_b32 v10, v61, v60, s5
	v_perm_b32 v11, v67, v66, s5
	v_cvt_pk_f32_fp8_e32 v[60:61], v13
	v_mfma_f32_16x16x16_bf16 v[56:59], v[52:53], v[24:25], v[56:59]
	v_cvt_pk_f32_fp8_sdwa v[52:53], v13 src0_sel:WORD_1
	v_cvt_pk_f32_fp8_e32 v[66:67], v4
	v_perm_b32 v60, v61, v60, s5
	s_waitcnt lgkmcnt(0)
	v_mfma_f32_16x16x16_bf16 v[10:13], v[10:11], v[46:47], v[56:59]
	v_perm_b32 v61, v53, v52, s5
	v_cvt_pk_f32_fp8_e32 v[52:53], v2
	s_nop 0
	v_mfma_f32_16x16x16_bf16 v[56:59], v[60:61], v[48:49], v[10:13]
	s_nop 2
	v_cvt_pk_f32_fp8_sdwa v[10:11], v2 src0_sel:WORD_1
	v_cvt_pk_f32_fp8_e32 v[12:13], v3
	v_perm_b32 v2, v53, v52, s5
	v_cvt_pk_f32_fp8_sdwa v[52:53], v3 src0_sel:WORD_1
	v_perm_b32 v3, v11, v10, s5
	v_perm_b32 v60, v13, v12, s5
	ds_read_b128 v[10:13], v50 offset:6144
	v_perm_b32 v61, v53, v52, s5
	s_waitcnt lgkmcnt(0)
	v_mfma_f32_16x16x16_bf16 v[56:59], v[2:3], v[10:11], v[56:59]
	ds_read_b128 v[50:53], v50 offset:6160
	v_perm_b32 v2, v67, v66, s5
	v_perm_b32 v3, v69, v68, s5
	v_cvt_pk_f32_fp8_e32 v[66:67], v5
	v_mfma_f32_16x16x16_bf16 v[56:59], v[60:61], v[12:13], v[56:59]
	v_cvt_pk_f32_fp8_sdwa v[60:61], v5 src0_sel:WORD_1
	v_cvt_pk_f32_fp8_e32 v[68:69], v28
	v_perm_b32 v66, v67, v66, s5
	s_waitcnt lgkmcnt(0)
	v_mfma_f32_16x16x16_bf16 v[2:5], v[2:3], v[50:51], v[56:59]
	v_perm_b32 v67, v61, v60, s5
	s_barrier
	s_nop 0
	v_mfma_f32_16x16x16_bf16 v[56:59], v[66:67], v[52:53], v[2:5]
	s_nop 2
	v_cvt_pk_f32_fp8_e32 v[4:5], v26
	v_perm_b32 v4, v5, v4, s5
	s_nop 1
	v_pk_mul_f32 v[2:3], v[58:59], s[4:5] op_sel_hi:[1,0]
	v_cvt_pk_f32_fp8_sdwa v[58:59], v26 src0_sel:WORD_1
	v_pk_mul_f32 v[60:61], v[56:57], s[4:5] op_sel_hi:[1,0]
	v_cvt_pk_f32_fp8_e32 v[56:57], v27
	v_cvt_pk_f32_fp8_sdwa v[26:27], v27 src0_sel:WORD_1
	v_perm_b32 v5, v59, v58, s5
	v_perm_b32 v66, v57, v56, s5
	;; [unrolled: 1-line block ×3, first 2 shown]
	v_mfma_f32_16x16x16_bf16 v[56:59], v[4:5], v[34:35], 0
	v_perm_b32 v4, v69, v68, s5
	v_perm_b32 v5, v71, v70, s5
	v_cvt_pk_f32_fp8_e32 v[34:35], v29
	v_cvt_pk_f32_fp8_sdwa v[68:69], v29 src0_sel:WORD_1
	v_mfma_f32_16x16x16_bf16 v[26:29], v[66:67], v[36:37], v[56:59]
	s_waitcnt vmcnt(2)
	v_cvt_pk_f32_fp8_sdwa v[36:37], v18 src0_sel:WORD_1
	v_perm_b32 v34, v35, v34, s5
	v_perm_b32 v35, v69, v68, s5
	v_mfma_f32_16x16x16_bf16 v[26:29], v[4:5], v[38:39], v[26:29]
	v_cvt_pk_f32_fp8_e32 v[4:5], v18
	v_cvt_pk_f32_fp8_sdwa v[38:39], v20 src0_sel:WORD_1
	v_bfe_u32 v56, v61, 16, 1
	v_mfma_f32_16x16x16_bf16 v[26:29], v[34:35], v[40:41], v[26:29]
	v_cvt_pk_f32_fp8_e32 v[34:35], v19
	v_perm_b32 v4, v5, v4, s5
	v_perm_b32 v5, v37, v36, s5
	v_cvt_pk_f32_fp8_sdwa v[18:19], v19 src0_sel:WORD_1
	v_perm_b32 v34, v35, v34, s5
	v_cvt_pk_f32_fp8_e32 v[36:37], v20
	v_mfma_f32_16x16x16_bf16 v[26:29], v[4:5], v[30:31], v[26:29]
	v_perm_b32 v35, v19, v18, s5
	v_perm_b32 v4, v37, v36, s5
	;; [unrolled: 1-line block ×3, first 2 shown]
	v_cvt_pk_f32_fp8_e32 v[30:31], v21
	v_cvt_pk_f32_fp8_sdwa v[36:37], v21 src0_sel:WORD_1
	v_mfma_f32_16x16x16_bf16 v[18:21], v[34:35], v[32:33], v[26:29]
	v_bfe_u32 v57, v60, 16, 1
	v_add3_u32 v32, v60, v57, s8
	v_add3_u32 v33, v61, v56, s8
	v_perm_b32 v26, v31, v30, s5
	v_perm_b32 v27, v37, v36, s5
	v_mfma_f32_16x16x16_bf16 v[18:21], v[4:5], v[42:43], v[18:21]
	s_waitcnt vmcnt(1)
	v_cvt_pk_f32_fp8_e32 v[4:5], v14
	v_cvt_pk_f32_fp8_sdwa v[28:29], v14 src0_sel:WORD_1
	v_cvt_pk_f32_fp8_sdwa v[30:31], v16 src0_sel:WORD_1
	v_mfma_f32_16x16x16_bf16 v[18:21], v[26:27], v[44:45], v[18:21]
	v_cvt_pk_f32_fp8_e32 v[26:27], v15
	v_perm_b32 v4, v5, v4, s5
	v_perm_b32 v5, v29, v28, s5
	v_cvt_pk_f32_fp8_sdwa v[14:15], v15 src0_sel:WORD_1
	v_perm_b32 v26, v27, v26, s5
	v_cvt_pk_f32_fp8_e32 v[28:29], v16
	v_mfma_f32_16x16x16_bf16 v[18:21], v[4:5], v[22:23], v[18:21]
	v_perm_b32 v27, v15, v14, s5
	v_perm_b32 v4, v29, v28, s5
	;; [unrolled: 1-line block ×3, first 2 shown]
	v_cvt_pk_f32_fp8_e32 v[22:23], v17
	v_cvt_pk_f32_fp8_sdwa v[28:29], v17 src0_sel:WORD_1
	v_mfma_f32_16x16x16_bf16 v[14:17], v[26:27], v[24:25], v[18:21]
	s_waitcnt vmcnt(0)
	v_cvt_pk_f32_fp8_sdwa v[24:25], v8 src0_sel:WORD_1
	s_nop 0
	v_perm_b32 v20, v23, v22, s5
	v_perm_b32 v21, v29, v28, s5
	v_mfma_f32_16x16x16_bf16 v[14:17], v[4:5], v[46:47], v[14:17]
	v_cvt_pk_f32_fp8_e32 v[4:5], v6
	v_cvt_pk_f32_fp8_sdwa v[22:23], v6 src0_sel:WORD_1
	v_bfe_u32 v19, v3, 16, 1
	v_mfma_f32_16x16x16_bf16 v[14:17], v[20:21], v[48:49], v[14:17]
	v_cvt_pk_f32_fp8_e32 v[20:21], v7
	v_perm_b32 v4, v5, v4, s5
	v_perm_b32 v5, v23, v22, s5
	v_cvt_pk_f32_fp8_sdwa v[6:7], v7 src0_sel:WORD_1
	v_perm_b32 v20, v21, v20, s5
	v_cvt_pk_f32_fp8_e32 v[22:23], v8
	v_add3_u32 v3, v3, v19, s8
	v_perm_b32 v21, v7, v6, s5
	v_mfma_f32_16x16x16_bf16 v[4:7], v[4:5], v[10:11], v[14:17]
	v_perm_b32 v10, v23, v22, s5
	v_perm_b32 v11, v25, v24, s5
	;; [unrolled: 1-line block ×3, first 2 shown]
	v_cvt_pk_f32_fp8_e32 v[14:15], v9
	v_cvt_pk_f32_fp8_sdwa v[8:9], v9 src0_sel:WORD_1
	v_mfma_f32_16x16x16_bf16 v[4:7], v[20:21], v[12:13], v[4:7]
	v_bfe_u32 v16, v2, 16, 1
	v_perm_b32 v12, v15, v14, s5
	v_perm_b32 v13, v9, v8, s5
	v_mfma_f32_16x16x16_bf16 v[4:7], v[10:11], v[50:51], v[4:7]
	v_add3_u32 v2, v2, v16, s8
	v_perm_b32 v19, v3, v2, s5
	v_mfma_f32_16x16x16_bf16 v[2:5], v[12:13], v[52:53], v[4:7]
	s_nop 6
	v_pk_mul_f32 v[2:3], v[2:3], s[4:5] op_sel_hi:[1,0]
	v_pk_mul_f32 v[4:5], v[4:5], s[4:5] op_sel_hi:[1,0]
	v_bfe_u32 v6, v3, 16, 1
	v_bfe_u32 v7, v2, 16, 1
	v_add3_u32 v2, v2, v7, s8
	v_add3_u32 v3, v3, v6, s8
	v_perm_b32 v2, v3, v2, s5
	v_bfe_u32 v3, v5, 16, 1
	v_bfe_u32 v6, v4, 16, 1
	v_add3_u32 v4, v4, v6, s8
	v_add3_u32 v3, v5, v3, s8
	v_perm_b32 v3, v3, v4, s5
	v_cmp_gt_u32_e64 s[4:5], 32, v64
	s_and_b64 s[4:5], vcc, s[4:5]
	ds_write2st64_b64 v55, v[18:19], v[2:3] offset1:1
	s_waitcnt lgkmcnt(0)
	s_barrier
	s_and_saveexec_b64 s[8:9], s[4:5]
	s_cbranch_execz .LBB1325_17
; %bb.16:
	s_load_dwordx2 s[0:1], s[0:1], 0x68
	s_mul_i32 s2, s7, s2
	s_lshl_b32 s6, s6, 7
	v_lshlrev_b32_e32 v4, 6, v62
	s_mul_hi_u32 s5, s2, s6
	s_mul_i32 s4, s2, s6
	v_lshl_or_b32 v0, v0, 10, v4
	s_lshl_b64 s[4:5], s[4:5], 1
	v_lshlrev_b32_e32 v2, 5, v1
	v_and_b32_e32 v3, 16, v63
	v_and_b32_e32 v0, 0x1a00, v0
	s_waitcnt lgkmcnt(0)
	s_add_u32 s4, s0, s4
	v_or3_b32 v0, v0, v2, v3
	s_addc_u32 s5, s1, s5
	s_lshl_b32 s2, s22, 7
	ds_read_b128 v[2:5], v0
	s_lshl_b64 s[0:1], s[2:3], 1
	s_add_u32 s0, s4, s0
	v_or_b32_e32 v0, s23, v1
	s_addc_u32 s1, s5, s1
	v_mad_u64_u32 v[0:1], s[2:3], s6, v0, 0
	v_lshl_add_u64 v[0:1], v[0:1], 1, s[0:1]
	v_mov_b32_e32 v55, 0
	v_lshl_add_u64 v[0:1], v[0:1], 0, v[54:55]
	s_waitcnt lgkmcnt(0)
	global_store_dwordx4 v[0:1], v[2:5], off
.LBB1325_17:
	s_endpgm
	.section	.rodata,"a",@progbits
	.p2align	6, 0x0
	.amdhsa_kernel _Z39paged_attention_ll4mi_QKV_mfma16_kernelI14__hip_bfloat16hLN4vllm18Fp8KVCacheDataTypeE1ES0_Li16ELi128ELi256ELb0ELi2EEvPKT_PKT0_S8_ifPKiSA_SA_iPKfiiiPfSD_PS3_PT2_iSC_SC_
		.amdhsa_group_segment_fixed_size 8192
		.amdhsa_private_segment_fixed_size 0
		.amdhsa_kernarg_size 400
		.amdhsa_user_sgpr_count 2
		.amdhsa_user_sgpr_dispatch_ptr 0
		.amdhsa_user_sgpr_queue_ptr 0
		.amdhsa_user_sgpr_kernarg_segment_ptr 1
		.amdhsa_user_sgpr_dispatch_id 0
		.amdhsa_user_sgpr_kernarg_preload_length 0
		.amdhsa_user_sgpr_kernarg_preload_offset 0
		.amdhsa_user_sgpr_private_segment_size 0
		.amdhsa_uses_dynamic_stack 0
		.amdhsa_enable_private_segment 0
		.amdhsa_system_sgpr_workgroup_id_x 1
		.amdhsa_system_sgpr_workgroup_id_y 1
		.amdhsa_system_sgpr_workgroup_id_z 1
		.amdhsa_system_sgpr_workgroup_info 0
		.amdhsa_system_vgpr_workitem_id 0
		.amdhsa_next_free_vgpr 90
		.amdhsa_next_free_sgpr 48
		.amdhsa_accum_offset 92
		.amdhsa_reserve_vcc 1
		.amdhsa_float_round_mode_32 0
		.amdhsa_float_round_mode_16_64 0
		.amdhsa_float_denorm_mode_32 3
		.amdhsa_float_denorm_mode_16_64 3
		.amdhsa_dx10_clamp 1
		.amdhsa_ieee_mode 1
		.amdhsa_fp16_overflow 0
		.amdhsa_tg_split 0
		.amdhsa_exception_fp_ieee_invalid_op 0
		.amdhsa_exception_fp_denorm_src 0
		.amdhsa_exception_fp_ieee_div_zero 0
		.amdhsa_exception_fp_ieee_overflow 0
		.amdhsa_exception_fp_ieee_underflow 0
		.amdhsa_exception_fp_ieee_inexact 0
		.amdhsa_exception_int_div_zero 0
	.end_amdhsa_kernel
	.section	.text._Z39paged_attention_ll4mi_QKV_mfma16_kernelI14__hip_bfloat16hLN4vllm18Fp8KVCacheDataTypeE1ES0_Li16ELi128ELi256ELb0ELi2EEvPKT_PKT0_S8_ifPKiSA_SA_iPKfiiiPfSD_PS3_PT2_iSC_SC_,"axG",@progbits,_Z39paged_attention_ll4mi_QKV_mfma16_kernelI14__hip_bfloat16hLN4vllm18Fp8KVCacheDataTypeE1ES0_Li16ELi128ELi256ELb0ELi2EEvPKT_PKT0_S8_ifPKiSA_SA_iPKfiiiPfSD_PS3_PT2_iSC_SC_,comdat
.Lfunc_end1325:
	.size	_Z39paged_attention_ll4mi_QKV_mfma16_kernelI14__hip_bfloat16hLN4vllm18Fp8KVCacheDataTypeE1ES0_Li16ELi128ELi256ELb0ELi2EEvPKT_PKT0_S8_ifPKiSA_SA_iPKfiiiPfSD_PS3_PT2_iSC_SC_, .Lfunc_end1325-_Z39paged_attention_ll4mi_QKV_mfma16_kernelI14__hip_bfloat16hLN4vllm18Fp8KVCacheDataTypeE1ES0_Li16ELi128ELi256ELb0ELi2EEvPKT_PKT0_S8_ifPKiSA_SA_iPKfiiiPfSD_PS3_PT2_iSC_SC_
                                        ; -- End function
	.section	.AMDGPU.csdata,"",@progbits
; Kernel info:
; codeLenInByte = 6236
; NumSgprs: 54
; NumVgprs: 90
; NumAgprs: 0
; TotalNumVgprs: 90
; ScratchSize: 0
; MemoryBound: 0
; FloatMode: 240
; IeeeMode: 1
; LDSByteSize: 8192 bytes/workgroup (compile time only)
; SGPRBlocks: 6
; VGPRBlocks: 11
; NumSGPRsForWavesPerEU: 54
; NumVGPRsForWavesPerEU: 90
; AccumOffset: 92
; Occupancy: 5
; WaveLimiterHint : 1
; COMPUTE_PGM_RSRC2:SCRATCH_EN: 0
; COMPUTE_PGM_RSRC2:USER_SGPR: 2
; COMPUTE_PGM_RSRC2:TRAP_HANDLER: 0
; COMPUTE_PGM_RSRC2:TGID_X_EN: 1
; COMPUTE_PGM_RSRC2:TGID_Y_EN: 1
; COMPUTE_PGM_RSRC2:TGID_Z_EN: 1
; COMPUTE_PGM_RSRC2:TIDIG_COMP_CNT: 0
; COMPUTE_PGM_RSRC3_GFX90A:ACCUM_OFFSET: 22
; COMPUTE_PGM_RSRC3_GFX90A:TG_SPLIT: 0
	.section	.text._Z39paged_attention_ll4mi_QKV_mfma16_kernelI14__hip_bfloat16hLN4vllm18Fp8KVCacheDataTypeE1ES0_Li16ELi128ELi256ELb0ELi3EEvPKT_PKT0_S8_ifPKiSA_SA_iPKfiiiPfSD_PS3_PT2_iSC_SC_,"axG",@progbits,_Z39paged_attention_ll4mi_QKV_mfma16_kernelI14__hip_bfloat16hLN4vllm18Fp8KVCacheDataTypeE1ES0_Li16ELi128ELi256ELb0ELi3EEvPKT_PKT0_S8_ifPKiSA_SA_iPKfiiiPfSD_PS3_PT2_iSC_SC_,comdat
	.protected	_Z39paged_attention_ll4mi_QKV_mfma16_kernelI14__hip_bfloat16hLN4vllm18Fp8KVCacheDataTypeE1ES0_Li16ELi128ELi256ELb0ELi3EEvPKT_PKT0_S8_ifPKiSA_SA_iPKfiiiPfSD_PS3_PT2_iSC_SC_ ; -- Begin function _Z39paged_attention_ll4mi_QKV_mfma16_kernelI14__hip_bfloat16hLN4vllm18Fp8KVCacheDataTypeE1ES0_Li16ELi128ELi256ELb0ELi3EEvPKT_PKT0_S8_ifPKiSA_SA_iPKfiiiPfSD_PS3_PT2_iSC_SC_
	.globl	_Z39paged_attention_ll4mi_QKV_mfma16_kernelI14__hip_bfloat16hLN4vllm18Fp8KVCacheDataTypeE1ES0_Li16ELi128ELi256ELb0ELi3EEvPKT_PKT0_S8_ifPKiSA_SA_iPKfiiiPfSD_PS3_PT2_iSC_SC_
	.p2align	8
	.type	_Z39paged_attention_ll4mi_QKV_mfma16_kernelI14__hip_bfloat16hLN4vllm18Fp8KVCacheDataTypeE1ES0_Li16ELi128ELi256ELb0ELi3EEvPKT_PKT0_S8_ifPKiSA_SA_iPKfiiiPfSD_PS3_PT2_iSC_SC_,@function
_Z39paged_attention_ll4mi_QKV_mfma16_kernelI14__hip_bfloat16hLN4vllm18Fp8KVCacheDataTypeE1ES0_Li16ELi128ELi256ELb0ELi3EEvPKT_PKT0_S8_ifPKiSA_SA_iPKfiiiPfSD_PS3_PT2_iSC_SC_: ; @_Z39paged_attention_ll4mi_QKV_mfma16_kernelI14__hip_bfloat16hLN4vllm18Fp8KVCacheDataTypeE1ES0_Li16ELi128ELi256ELb0ELi3EEvPKT_PKT0_S8_ifPKiSA_SA_iPKfiiiPfSD_PS3_PT2_iSC_SC_
; %bb.0:
	s_load_dwordx2 s[12:13], s[0:1], 0x30
	s_mov_b32 s24, s3
	s_mov_b64 s[6:7], 0
	s_waitcnt lgkmcnt(0)
	s_cmp_lg_u64 s[12:13], 0
	s_cselect_b64 s[14:15], -1, 0
	s_and_b64 vcc, exec, s[14:15]
	s_cbranch_vccz .LBB1326_7
; %bb.1:
	s_add_i32 s8, s2, 1
	s_mov_b32 s9, 0
	s_lshl_b64 s[10:11], s[8:9], 2
	s_add_u32 s10, s12, s10
	s_mov_b32 s3, s9
	s_addc_u32 s11, s13, s11
	s_lshl_b64 s[8:9], s[2:3], 2
	s_add_u32 s8, s12, s8
	s_addc_u32 s9, s13, s9
	s_load_dword s5, s[10:11], 0x0
	s_load_dword s16, s[8:9], 0x0
	s_waitcnt lgkmcnt(0)
	s_sub_i32 s5, s5, s16
	s_cmp_eq_u32 s5, 1
	s_cselect_b64 s[8:9], -1, 0
	s_andn2_b64 vcc, exec, s[6:7]
	s_cbranch_vccnz .LBB1326_3
.LBB1326_2:
	s_mov_b32 s3, 0
	s_mov_b64 s[8:9], -1
.LBB1326_3:
	s_andn2_b64 vcc, exec, s[8:9]
	s_cbranch_vccnz .LBB1326_17
; %bb.4:
	s_load_dwordx2 s[6:7], s[0:1], 0x28
	s_lshl_b64 s[16:17], s[2:3], 2
	s_waitcnt lgkmcnt(0)
	s_add_u32 s6, s6, s16
	s_addc_u32 s7, s7, s17
	s_load_dword s33, s[6:7], 0x0
	s_lshl_b32 s18, s24, 8
	s_waitcnt lgkmcnt(0)
	s_cmp_ge_i32 s18, s33
	s_cbranch_scc1 .LBB1326_17
; %bb.5:
	s_load_dwordx2 s[6:7], s[0:1], 0x20
	s_load_dword s8, s[0:1], 0x38
	s_add_i32 s5, s33, 15
	s_ashr_i32 s9, s5, 31
	v_and_b32_e32 v1, 0xcf, v0
	s_lshr_b32 s9, s9, 28
	v_add_u32_e32 v1, s18, v1
	s_add_i32 s5, s5, s9
	v_ashrrev_i32_e32 v2, 31, v1
	s_ashr_i32 s5, s5, 4
	v_lshrrev_b32_e32 v10, 28, v2
	s_add_i32 s5, s5, -1
	s_waitcnt lgkmcnt(0)
	s_mul_i32 s8, s2, s8
	s_mov_b32 s9, 0
	v_add_u32_e32 v2, v1, v10
	s_lshl_b64 s[8:9], s[8:9], 2
	v_ashrrev_i32_e32 v2, 4, v2
	v_mov_b32_e32 v11, s5
	v_cmp_gt_i32_e32 vcc, s33, v1
	s_add_u32 s6, s6, s8
	s_addc_u32 s7, s7, s9
	v_cndmask_b32_e32 v2, v11, v2, vcc
	v_ashrrev_i32_e32 v3, 31, v2
	v_lshl_add_u64 v[4:5], v[2:3], 2, s[6:7]
	v_or_b32_e32 v2, 16, v1
	v_add_u32_e32 v3, v2, v10
	v_ashrrev_i32_e32 v3, 4, v3
	v_cmp_gt_i32_e32 vcc, s33, v2
	s_load_dwordx4 s[8:11], s[0:1], 0x8
	s_nop 0
	v_cndmask_b32_e32 v2, v11, v3, vcc
	v_ashrrev_i32_e32 v3, 31, v2
	v_lshl_add_u64 v[6:7], v[2:3], 2, s[6:7]
	v_or_b32_e32 v2, 32, v1
	v_add_u32_e32 v3, v2, v10
	v_ashrrev_i32_e32 v3, 4, v3
	v_cmp_gt_i32_e32 vcc, s33, v2
	v_or_b32_e32 v1, 48, v1
	s_nop 0
	v_cndmask_b32_e32 v2, v11, v3, vcc
	v_ashrrev_i32_e32 v3, 31, v2
	v_lshl_add_u64 v[8:9], v[2:3], 2, s[6:7]
	v_add_u32_e32 v2, v1, v10
	v_ashrrev_i32_e32 v2, 4, v2
	v_cmp_gt_i32_e32 vcc, s33, v1
	s_nop 1
	v_cndmask_b32_e32 v2, v11, v2, vcc
	v_ashrrev_i32_e32 v3, 31, v2
	v_lshl_add_u64 v[12:13], v[2:3], 2, s[6:7]
	global_load_dword v3, v[4:5], off
	global_load_dword v2, v[6:7], off
	;; [unrolled: 1-line block ×4, first 2 shown]
	s_andn2_b64 vcc, exec, s[14:15]
	s_cbranch_vccnz .LBB1326_8
; %bb.6:
	s_add_u32 s12, s12, s16
	s_addc_u32 s13, s13, s17
	s_load_dword s14, s[12:13], 0x0
	s_branch .LBB1326_9
.LBB1326_7:
	s_mov_b64 s[8:9], 0
	s_branch .LBB1326_2
.LBB1326_8:
	s_mov_b32 s14, s2
.LBB1326_9:
	s_load_dwordx4 s[44:47], s[0:1], 0x48
	v_lshrrev_b32_e32 v61, 6, v0
	v_bfe_u32 v64, v0, 4, 2
	v_and_b32_e32 v60, 15, v0
	s_mul_i32 s48, s4, 3
	v_lshl_or_b32 v4, v61, 2, v64
	v_lshlrev_b32_e32 v5, 3, v60
	v_and_b32_e32 v66, 63, v0
	v_add_u32_e32 v1, s48, v64
	v_cmp_gt_u32_e32 vcc, 3, v4
	v_lshlrev_b32_e32 v58, 1, v5
	v_lshlrev_b32_e32 v65, 4, v0
	s_and_saveexec_b64 s[12:13], vcc
	s_cbranch_execz .LBB1326_11
; %bb.10:
	s_load_dwordx2 s[16:17], s[0:1], 0x0
	s_waitcnt lgkmcnt(0)
	s_ashr_i32 s15, s44, 31
	s_mul_hi_u32 s19, s14, s44
	s_mul_i32 s15, s14, s15
	s_add_i32 s15, s19, s15
	s_mul_i32 s14, s14, s44
	s_lshl_b64 s[14:15], s[14:15], 1
	s_add_u32 s14, s16, s14
	v_lshlrev_b32_e32 v6, 7, v1
	s_addc_u32 s15, s17, s15
	v_ashrrev_i32_e32 v7, 31, v6
	v_lshl_add_u64 v[6:7], v[6:7], 1, s[14:15]
	v_mov_b32_e32 v59, 0
	v_lshl_add_u64 v[6:7], v[6:7], 0, v[58:59]
	global_load_dwordx4 v[6:9], v[6:7], off
	v_lshlrev_b32_e32 v12, 8, v0
	v_lshlrev_b32_e32 v5, 8, v60
	v_and_b32_e32 v12, 0x600, v12
	s_movk_i32 s14, 0x800
	v_and_or_b32 v5, v5, s14, v12
	v_lshlrev_b32_e32 v4, 5, v4
	v_and_b32_e32 v12, 16, v65
	v_or3_b32 v4, v5, v4, v12
	s_waitcnt vmcnt(0)
	ds_write_b128 v4, v[6:9]
.LBB1326_11:
	s_or_b64 exec, exec, s[12:13]
	s_waitcnt lgkmcnt(0)
	s_mul_i32 s4, s4, s46
	s_add_u32 s8, s8, s4
	s_addc_u32 s9, s9, 0
	v_and_b32_e32 v62, 0xf0, v65
	v_mov_b32_e32 v63, 0
	v_and_b32_e32 v12, 48, v0
	v_lshl_add_u64 v[6:7], s[8:9], 0, v[62:63]
	v_lshlrev_b32_e32 v62, 4, v12
	s_waitcnt vmcnt(3)
	v_mad_i64_i32 v[4:5], s[8:9], v3, s45, v[6:7]
	v_lshl_add_u64 v[4:5], v[4:5], 0, v[62:63]
	s_load_dword s25, s[0:1], 0x98
	s_load_dwordx4 s[40:43], s[0:1], 0x80
	s_waitcnt lgkmcnt(0)
	s_barrier
	global_load_dwordx4 v[22:25], v[4:5], off
	global_load_dwordx4 v[14:17], v[4:5], off offset:1024
	s_waitcnt vmcnt(4)
	v_mad_i64_i32 v[2:3], s[12:13], v2, s45, v[6:7]
	v_lshl_add_u64 v[8:9], v[2:3], 0, v[62:63]
	global_load_dwordx4 v[2:5], v[8:9], off
	v_mul_lo_u16_e32 v13, 0x56, v60
	v_mov_b32_e32 v18, 3
	v_or_b32_e32 v12, s18, v12
	v_mov_b32_e32 v20, s5
	v_mul_lo_u16_sdwa v13, v13, v18 dst_sel:DWORD dst_unused:UNUSED_PAD src0_sel:BYTE_1 src1_sel:DWORD
	v_ashrrev_i32_e32 v18, 4, v12
	v_or_b32_e32 v21, 64, v12
	v_cmp_gt_i32_e32 vcc, s33, v12
	v_mov_b32_e32 v19, 5
	v_sub_u16_e32 v13, v60, v13
	v_or_b32_e32 v26, 0x80, v12
	v_or_b32_e32 v27, 0xc0, v12
	v_cndmask_b32_e32 v38, v20, v18, vcc
	v_ashrrev_i32_e32 v12, 4, v21
	v_cmp_gt_i32_e32 vcc, s33, v21
	v_lshlrev_b32_sdwa v13, v19, v13 dst_sel:DWORD dst_unused:UNUSED_PAD src0_sel:DWORD src1_sel:BYTE_0
	v_ashrrev_i32_e32 v18, 4, v26
	v_cndmask_b32_e32 v42, v20, v12, vcc
	v_cmp_gt_i32_e32 vcc, s33, v26
	v_ashrrev_i32_e32 v19, 4, v27
	v_lshl_add_u32 v36, v64, 9, v13
	v_cndmask_b32_e32 v44, v20, v18, vcc
	v_cmp_gt_i32_e32 vcc, s33, v27
	s_waitcnt vmcnt(4)
	v_mad_i64_i32 v[34:35], s[12:13], v10, s45, v[6:7]
	v_cndmask_b32_e32 v46, v20, v19, vcc
	ds_read_b128 v[26:29], v36
	ds_read_b128 v[18:21], v36 offset:16
	global_load_dwordx4 v[30:33], v[8:9], off offset:1024
	s_waitcnt vmcnt(4)
	v_mad_i64_i32 v[40:41], s[12:13], v11, s45, v[6:7]
	v_ashrrev_i32_e32 v39, 31, v38
	ds_read_b128 v[10:13], v36 offset:2048
	ds_read_b128 v[6:9], v36 offset:2064
	v_lshl_add_u64 v[36:37], v[34:35], 0, v[62:63]
	v_lshl_add_u64 v[34:35], v[40:41], 0, v[62:63]
	v_ashrrev_i32_e32 v43, 31, v42
	v_ashrrev_i32_e32 v45, 31, v44
	;; [unrolled: 1-line block ×3, first 2 shown]
	v_lshl_add_u64 v[50:51], v[38:39], 2, s[6:7]
	v_lshl_add_u64 v[52:53], v[42:43], 2, s[6:7]
	;; [unrolled: 1-line block ×4, first 2 shown]
	global_load_dwordx4 v[46:49], v[36:37], off
	global_load_dwordx4 v[42:45], v[36:37], off offset:1024
	global_load_dwordx4 v[38:41], v[34:35], off
	s_nop 0
	global_load_dwordx4 v[34:37], v[34:35], off offset:1024
	s_nop 0
	global_load_dword v70, v[50:51], off
	global_load_dword v69, v[52:53], off
	;; [unrolled: 1-line block ×4, first 2 shown]
	s_mov_b32 s44, 0x7060302
	s_add_u32 s4, s10, s4
	v_lshl_or_b32 v59, v61, 4, v60
	s_addc_u32 s5, s11, 0
	v_lshlrev_b32_e32 v62, 4, v59
	s_load_dword s8, s[0:1], 0x1c
	s_waitcnt vmcnt(11)
	v_cvt_pk_f32_fp8_e32 v[50:51], v22
	v_cvt_pk_f32_fp8_sdwa v[52:53], v22 src0_sel:WORD_1
	v_cvt_pk_f32_fp8_e32 v[54:55], v23
	v_cvt_pk_f32_fp8_sdwa v[22:23], v23 src0_sel:WORD_1
	s_waitcnt vmcnt(10)
	v_cvt_pk_f32_fp8_e32 v[78:79], v14
	v_cvt_pk_f32_fp8_sdwa v[80:81], v14 src0_sel:WORD_1
	v_cvt_pk_f32_fp8_e32 v[82:83], v15
	v_cvt_pk_f32_fp8_sdwa v[84:85], v15 src0_sel:WORD_1
	v_perm_b32 v14, v51, v50, s44
	v_perm_b32 v15, v53, v52, s44
	v_cvt_pk_f32_fp8_e32 v[56:57], v24
	v_cvt_pk_f32_fp8_sdwa v[72:73], v24 src0_sel:WORD_1
	v_perm_b32 v54, v55, v54, s44
	v_perm_b32 v55, v23, v22, s44
	v_cvt_pk_f32_fp8_e32 v[74:75], v25
	v_cvt_pk_f32_fp8_sdwa v[76:77], v25 src0_sel:WORD_1
	s_waitcnt lgkmcnt(0)
	v_mfma_f32_16x16x16_bf16 v[22:25], v[14:15], v[26:27], 0
	v_perm_b32 v14, v57, v56, s44
	v_perm_b32 v15, v73, v72, s44
	;; [unrolled: 1-line block ×3, first 2 shown]
	v_mfma_f32_16x16x16_bf16 v[22:25], v[54:55], v[28:29], v[22:25]
	v_perm_b32 v57, v77, v76, s44
	v_cvt_pk_f32_fp8_e32 v[50:51], v16
	v_cvt_pk_f32_fp8_sdwa v[52:53], v16 src0_sel:WORD_1
	v_cvt_pk_f32_fp8_e32 v[86:87], v17
	v_cvt_pk_f32_fp8_sdwa v[54:55], v17 src0_sel:WORD_1
	v_mfma_f32_16x16x16_bf16 v[14:17], v[14:15], v[18:19], v[22:25]
	v_perm_b32 v72, v83, v82, s44
	v_perm_b32 v73, v85, v84, s44
	;; [unrolled: 1-line block ×5, first 2 shown]
	v_mfma_f32_16x16x16_bf16 v[14:17], v[56:57], v[20:21], v[14:17]
	s_waitcnt vmcnt(9)
	v_cvt_pk_f32_fp8_e32 v[22:23], v2
	v_cvt_pk_f32_fp8_sdwa v[56:57], v2 src0_sel:WORD_1
	v_perm_b32 v51, v53, v52, s44
	v_mfma_f32_16x16x16_bf16 v[14:17], v[24:25], v[10:11], v[14:17]
	v_cvt_pk_f32_fp8_e32 v[24:25], v3
	v_cvt_pk_f32_fp8_sdwa v[2:3], v3 src0_sel:WORD_1
	v_perm_b32 v52, v87, v86, s44
	v_mfma_f32_16x16x16_bf16 v[14:17], v[72:73], v[12:13], v[14:17]
	v_perm_b32 v53, v55, v54, s44
	v_perm_b32 v22, v23, v22, s44
	;; [unrolled: 1-line block ×3, first 2 shown]
	v_mfma_f32_16x16x16_bf16 v[14:17], v[50:51], v[6:7], v[14:17]
	v_cvt_pk_f32_fp8_e32 v[54:55], v4
	v_perm_b32 v24, v25, v24, s44
	v_cvt_pk_f32_fp8_sdwa v[56:57], v4 src0_sel:WORD_1
	v_perm_b32 v25, v3, v2, s44
	v_mfma_f32_16x16x16_bf16 v[50:53], v[52:53], v[8:9], v[14:17]
	s_waitcnt vmcnt(7)
	v_cvt_pk_f32_fp8_e32 v[74:75], v49
	v_lshl_add_u64 v[72:73], s[4:5], 0, v[62:63]
	s_waitcnt vmcnt(6)
	v_cvt_pk_f32_fp8_sdwa v[78:79], v44 src0_sel:WORD_1
	v_mfma_f32_16x16x16_bf16 v[14:17], v[22:23], v[26:27], 0
	v_perm_b32 v22, v55, v54, s44
	v_perm_b32 v23, v57, v56, s44
	v_cvt_pk_f32_fp8_e32 v[54:55], v5
	v_cvt_pk_f32_fp8_sdwa v[56:57], v5 src0_sel:WORD_1
	v_mfma_f32_16x16x16_bf16 v[2:5], v[24:25], v[28:29], v[14:17]
	v_cvt_pk_f32_fp8_e32 v[24:25], v32
	v_or_b32_e32 v62, 0x400, v62
	s_nop 0
	v_perm_b32 v14, v55, v54, s44
	v_perm_b32 v15, v57, v56, s44
	v_mfma_f32_16x16x16_bf16 v[2:5], v[22:23], v[18:19], v[2:5]
	v_cvt_pk_f32_fp8_e32 v[16:17], v30
	v_cvt_pk_f32_fp8_sdwa v[22:23], v30 src0_sel:WORD_1
	v_perm_b32 v16, v17, v16, s44
	v_mfma_f32_16x16x16_bf16 v[2:5], v[14:15], v[20:21], v[2:5]
	v_cvt_pk_f32_fp8_e32 v[14:15], v31
	v_perm_b32 v17, v23, v22, s44
	v_cvt_pk_f32_fp8_sdwa v[22:23], v31 src0_sel:WORD_1
	v_cvt_pk_f32_fp8_sdwa v[30:31], v32 src0_sel:WORD_1
	v_perm_b32 v14, v15, v14, s44
	v_mfma_f32_16x16x16_bf16 v[2:5], v[16:17], v[10:11], v[2:5]
	v_perm_b32 v15, v23, v22, s44
	v_perm_b32 v16, v25, v24, s44
	;; [unrolled: 1-line block ×3, first 2 shown]
	v_cvt_pk_f32_fp8_e32 v[22:23], v33
	v_cvt_pk_f32_fp8_sdwa v[24:25], v33 src0_sel:WORD_1
	v_mfma_f32_16x16x16_bf16 v[2:5], v[14:15], v[12:13], v[2:5]
	v_perm_b32 v14, v23, v22, s44
	v_perm_b32 v15, v25, v24, s44
	v_mfma_f32_16x16x16_bf16 v[2:5], v[16:17], v[6:7], v[2:5]
	v_cvt_pk_f32_fp8_e32 v[16:17], v46
	v_cvt_pk_f32_fp8_sdwa v[22:23], v46 src0_sel:WORD_1
	v_cvt_pk_f32_fp8_sdwa v[24:25], v48 src0_sel:WORD_1
	v_mfma_f32_16x16x16_bf16 v[54:57], v[14:15], v[8:9], v[2:5]
	v_cvt_pk_f32_fp8_sdwa v[14:15], v47 src0_sel:WORD_1
	s_nop 1
	v_perm_b32 v2, v17, v16, s44
	v_perm_b32 v3, v23, v22, s44
	v_cvt_pk_f32_fp8_e32 v[4:5], v47
	v_perm_b32 v23, v15, v14, s44
	v_cvt_pk_f32_fp8_e32 v[14:15], v48
	v_cvt_pk_f32_fp8_sdwa v[48:49], v49 src0_sel:WORD_1
	v_perm_b32 v22, v5, v4, s44
	v_mfma_f32_16x16x16_bf16 v[2:5], v[2:3], v[26:27], 0
	v_perm_b32 v14, v15, v14, s44
	v_perm_b32 v15, v25, v24, s44
	s_waitcnt vmcnt(3)
	v_mad_i64_i32 v[16:17], s[6:7], v70, s45, v[72:73]
	v_mfma_f32_16x16x16_bf16 v[2:5], v[22:23], v[28:29], v[2:5]
	s_waitcnt vmcnt(2)
	v_mad_i64_i32 v[46:47], s[6:7], v69, s45, v[72:73]
	global_load_dwordx4 v[30:33], v[16:17], off
	global_load_dwordx4 v[22:25], v[46:47], off
	v_perm_b32 v16, v75, v74, s44
	v_perm_b32 v17, v49, v48, s44
	v_mfma_f32_16x16x16_bf16 v[2:5], v[14:15], v[18:19], v[2:5]
	v_cvt_pk_f32_fp8_e32 v[14:15], v42
	v_cvt_pk_f32_fp8_sdwa v[46:47], v42 src0_sel:WORD_1
	s_waitcnt vmcnt(3)
	v_mad_i64_i32 v[74:75], s[6:7], v68, s45, v[72:73]
	v_mfma_f32_16x16x16_bf16 v[2:5], v[16:17], v[20:21], v[2:5]
	v_perm_b32 v14, v15, v14, s44
	v_perm_b32 v15, v47, v46, s44
	v_cvt_pk_f32_fp8_e32 v[16:17], v43
	v_cvt_pk_f32_fp8_sdwa v[42:43], v43 src0_sel:WORD_1
	v_mfma_f32_16x16x16_bf16 v[46:49], v[14:15], v[10:11], v[2:5]
	v_perm_b32 v76, v17, v16, s44
	v_perm_b32 v77, v43, v42, s44
	v_cvt_pk_f32_fp8_e32 v[42:43], v44
	s_waitcnt vmcnt(2)
	v_mad_i64_i32 v[72:73], s[6:7], v67, s45, v[72:73]
	global_load_dwordx4 v[14:17], v[74:75], off
	global_load_dwordx4 v[2:5], v[72:73], off
	v_perm_b32 v72, v43, v42, s44
	v_perm_b32 v73, v79, v78, s44
	v_cvt_pk_f32_fp8_e32 v[74:75], v45
	v_cvt_pk_f32_fp8_sdwa v[78:79], v45 src0_sel:WORD_1
	v_mfma_f32_16x16x16_bf16 v[44:47], v[76:77], v[12:13], v[46:49]
	v_lshl_add_u64 v[42:43], s[4:5], 0, v[62:63]
	v_cvt_pk_f32_fp8_e32 v[62:63], v38
	s_load_dword s4, s[40:41], 0x0
	v_perm_b32 v48, v75, v74, s44
	v_perm_b32 v49, v79, v78, s44
	v_mfma_f32_16x16x16_bf16 v[44:47], v[72:73], v[6:7], v[44:47]
	v_cvt_pk_f32_fp8_sdwa v[72:73], v38 src0_sel:WORD_1
	v_perm_b32 v62, v63, v62, s44
	v_cvt_pk_f32_fp8_e32 v[76:77], v40
	v_mfma_f32_16x16x16_bf16 v[46:49], v[48:49], v[8:9], v[44:47]
	v_perm_b32 v63, v73, v72, s44
	v_cvt_pk_f32_fp8_sdwa v[78:79], v40 src0_sel:WORD_1
	s_mov_b32 s40, 0xff7fffff
	v_cvt_pk_f32_fp8_e32 v[44:45], v39
	v_cvt_pk_f32_fp8_sdwa v[38:39], v39 src0_sel:WORD_1
	v_mfma_f32_16x16x16_bf16 v[72:75], v[62:63], v[26:27], 0
	v_cvt_pk_f32_fp8_e32 v[62:63], v41
	v_perm_b32 v44, v45, v44, s44
	v_perm_b32 v45, v39, v38, s44
	;; [unrolled: 1-line block ×4, first 2 shown]
	v_cvt_pk_f32_fp8_sdwa v[40:41], v41 src0_sel:WORD_1
	v_mov_b32_e32 v26, s8
	s_waitcnt lgkmcnt(0)
	v_mul_f32_e32 v76, s4, v26
	v_mfma_f32_16x16x16_bf16 v[26:29], v[44:45], v[28:29], v[72:75]
	v_pk_mul_f32 v[44:45], v[76:77], v[52:53] op_sel_hi:[0,1]
	v_perm_b32 v52, v63, v62, s44
	v_perm_b32 v53, v41, v40, s44
	v_mfma_f32_16x16x16_bf16 v[26:29], v[38:39], v[18:19], v[26:29]
	v_cvt_pk_f32_fp8_e32 v[18:19], v34
	v_cvt_pk_f32_fp8_sdwa v[38:39], v34 src0_sel:WORD_1
	v_pk_mul_f32 v[50:51], v[76:77], v[50:51] op_sel_hi:[0,1]
	v_mfma_f32_16x16x16_bf16 v[26:29], v[52:53], v[20:21], v[26:29]
	v_perm_b32 v20, v19, v18, s44
	v_perm_b32 v21, v39, v38, s44
	v_cvt_pk_f32_fp8_e32 v[38:39], v35
	v_cvt_pk_f32_fp8_sdwa v[34:35], v35 src0_sel:WORD_1
	v_mfma_f32_16x16x16_bf16 v[26:29], v[20:21], v[10:11], v[26:29]
	v_perm_b32 v38, v39, v38, s44
	v_perm_b32 v39, v35, v34, s44
	v_cvt_pk_f32_fp8_e32 v[10:11], v36
	v_cvt_pk_f32_fp8_sdwa v[20:21], v36 src0_sel:WORD_1
	v_pk_mul_f32 v[52:53], v[76:77], v[54:55] op_sel_hi:[0,1]
	v_pk_mul_f32 v[34:35], v[76:77], v[56:57] op_sel_hi:[0,1]
	v_perm_b32 v40, v11, v10, s44
	v_perm_b32 v41, v21, v20, s44
	v_cvt_pk_f32_fp8_e32 v[20:21], v37
	v_cvt_pk_f32_fp8_sdwa v[36:37], v37 src0_sel:WORD_1
	v_mfma_f32_16x16x16_bf16 v[10:13], v[38:39], v[12:13], v[26:29]
	v_pk_mul_f32 v[46:47], v[76:77], v[46:47] op_sel_hi:[0,1]
	v_perm_b32 v20, v21, v20, s44
	v_perm_b32 v21, v37, v36, s44
	v_mfma_f32_16x16x16_bf16 v[10:13], v[40:41], v[6:7], v[10:13]
	v_pk_mul_f32 v[40:41], v[76:77], v[48:49] op_sel_hi:[0,1]
	v_mad_i64_i32 v[18:19], s[4:5], v70, s45, v[42:43]
	v_mfma_f32_16x16x16_bf16 v[6:9], v[20:21], v[8:9], v[10:13]
	v_mad_i64_i32 v[62:63], s[4:5], v69, s45, v[42:43]
	global_load_dwordx4 v[26:29], v[18:19], off
	s_nop 0
	global_load_dwordx4 v[18:21], v[62:63], off
	s_nop 2
	v_pk_mul_f32 v[48:49], v[76:77], v[6:7] op_sel_hi:[0,1]
	v_and_b32_e32 v6, 0xc0, v0
	v_add_u32_e32 v6, s18, v6
	v_lshl_or_b32 v6, v64, 2, v6
	v_pk_mul_f32 v[38:39], v[76:77], v[8:9] op_sel_hi:[0,1]
	v_or_b32_e32 v9, 1, v6
	v_mov_b32_e32 v7, 0xff7fffff
	v_cmp_gt_i32_e64 s[26:27], s33, v6
	v_cmp_gt_i32_e64 s[28:29], s33, v9
	v_or_b32_e32 v10, 3, v6
	v_cndmask_b32_e64 v8, v7, v50, s[26:27]
	v_cndmask_b32_e64 v9, v7, v51, s[28:29]
	v_max3_f32 v8, v8, s40, v9
	v_or_b32_e32 v9, 2, v6
	v_cmp_gt_i32_e64 s[30:31], s33, v9
	v_cmp_gt_i32_e64 s[34:35], s33, v10
	s_nop 0
	v_cndmask_b32_e64 v9, v7, v44, s[30:31]
	v_cndmask_b32_e64 v10, v7, v45, s[34:35]
	v_max3_f32 v8, v8, v9, v10
	v_or_b32_e32 v9, 16, v6
	v_or_b32_e32 v10, 17, v6
	v_cmp_gt_i32_e64 s[18:19], s33, v9
	v_cmp_gt_i32_e64 s[20:21], s33, v10
	s_nop 0
	v_cndmask_b32_e64 v9, v7, v52, s[18:19]
	v_cndmask_b32_e64 v10, v7, v53, s[20:21]
	v_max3_f32 v8, v8, v9, v10
	v_or_b32_e32 v9, 18, v6
	;; [unrolled: 8-line block ×5, first 2 shown]
	v_or_b32_e32 v10, 49, v6
	v_cmp_gt_i32_e32 vcc, s33, v9
	v_cmp_gt_i32_e64 s[4:5], s33, v10
	s_nop 0
	v_cndmask_b32_e32 v9, v7, v48, vcc
	v_cndmask_b32_e64 v10, v7, v49, s[4:5]
	v_max3_f32 v8, v8, v9, v10
	v_or_b32_e32 v9, 50, v6
	v_or_b32_e32 v6, 51, v6
	v_cmp_gt_i32_e64 s[6:7], s33, v9
	v_cmp_gt_i32_e64 s[8:9], s33, v6
	s_nop 0
	v_cndmask_b32_e64 v9, v7, v38, s[6:7]
	v_cndmask_b32_e64 v6, v7, v39, s[8:9]
	v_max3_f32 v8, v8, v9, v6
	v_mbcnt_lo_u32_b32 v6, -1, 0
	v_mbcnt_hi_u32_b32 v9, -1, v6
	v_and_b32_e32 v6, 64, v9
	v_add_u32_e32 v10, 64, v6
	v_xor_b32_e32 v6, 32, v9
	v_cmp_lt_i32_e64 s[38:39], v6, v10
	s_nop 1
	v_cndmask_b32_e64 v6, v9, v6, s[38:39]
	v_lshlrev_b32_e32 v55, 2, v6
	ds_bpermute_b32 v11, v55, v8
	v_mad_i64_i32 v[6:7], s[38:39], v68, s45, v[42:43]
	s_waitcnt lgkmcnt(0)
	v_max_f32_e32 v11, v11, v11
	v_max_f32_e32 v36, v8, v11
	v_xor_b32_e32 v8, 16, v9
	v_cmp_lt_i32_e64 s[38:39], v8, v10
	s_nop 1
	v_cndmask_b32_e64 v8, v9, v8, s[38:39]
	v_lshlrev_b32_e32 v56, 2, v8
	v_mad_i64_i32 v[8:9], s[38:39], v67, s45, v[42:43]
	global_load_dwordx4 v[10:13], v[6:7], off
	s_nop 0
	global_load_dwordx4 v[6:9], v[8:9], off
	ds_bpermute_b32 v37, v56, v36
	s_waitcnt lgkmcnt(0)
	s_barrier
	v_max_f32_e32 v37, v37, v37
	v_max_f32_e32 v54, v36, v37
	v_sub_f32_e32 v42, v44, v54
	v_mul_f32_e32 v42, 0x3fb8aa3b, v42
	v_exp_f32_e32 v42, v42
	v_sub_f32_e32 v43, v45, v54
	v_mul_f32_e32 v43, 0x3fb8aa3b, v43
	v_exp_f32_e32 v43, v43
	v_cndmask_b32_e64 v44, 0, v42, s[30:31]
	v_sub_f32_e32 v42, v52, v54
	v_sub_f32_e32 v34, v34, v54
	v_mul_f32_e32 v42, 0x3fb8aa3b, v42
	v_mul_f32_e32 v34, 0x3fb8aa3b, v34
	v_sub_f32_e32 v36, v50, v54
	v_exp_f32_e32 v42, v42
	v_exp_f32_e32 v50, v34
	v_cndmask_b32_e64 v45, 0, v43, s[34:35]
	v_sub_f32_e32 v43, v53, v54
	v_sub_f32_e32 v34, v35, v54
	;; [unrolled: 1-line block ×4, first 2 shown]
	v_mul_f32_e32 v43, 0x3fb8aa3b, v43
	v_mul_f32_e32 v34, 0x3fb8aa3b, v34
	v_mul_f32_e32 v46, 0x3fb8aa3b, v46
	v_mul_f32_e32 v40, 0x3fb8aa3b, v40
	v_sub_f32_e32 v37, v51, v54
	v_exp_f32_e32 v43, v43
	v_exp_f32_e32 v51, v34
	v_cndmask_b32_e64 v34, 0, v42, s[18:19]
	v_cndmask_b32_e64 v42, 0, v50, s[22:23]
	v_exp_f32_e32 v46, v46
	v_exp_f32_e32 v50, v40
	v_mul_f32_e32 v36, 0x3fb8aa3b, v36
	v_sub_f32_e32 v47, v47, v54
	v_sub_f32_e32 v40, v41, v54
	;; [unrolled: 1-line block ×4, first 2 shown]
	v_exp_f32_e32 v36, v36
	v_mul_f32_e32 v37, 0x3fb8aa3b, v37
	v_mul_f32_e32 v47, 0x3fb8aa3b, v47
	;; [unrolled: 1-line block ×5, first 2 shown]
	v_exp_f32_e32 v37, v37
	v_cndmask_b32_e64 v35, 0, v43, s[20:21]
	v_cndmask_b32_e64 v43, 0, v51, s[36:37]
	v_exp_f32_e32 v47, v47
	v_exp_f32_e32 v51, v40
	v_cndmask_b32_e64 v40, 0, v46, s[10:11]
	v_cndmask_b32_e64 v46, 0, v50, s[14:15]
	v_exp_f32_e32 v48, v48
	v_exp_f32_e32 v50, v38
	v_sub_f32_e32 v38, v39, v54
	v_cndmask_b32_e64 v36, 0, v36, s[26:27]
	v_mul_f32_e32 v38, 0x3fb8aa3b, v38
	v_cndmask_b32_e64 v37, 0, v37, s[28:29]
	v_cndmask_b32_e64 v41, 0, v47, s[12:13]
	;; [unrolled: 1-line block ×3, first 2 shown]
	v_exp_f32_e32 v51, v38
	v_cndmask_b32_e32 v38, 0, v48, vcc
	v_cndmask_b32_e64 v48, 0, v50, s[6:7]
	v_add_f32_e32 v50, 0, v36
	v_add_f32_e32 v50, v50, v37
	;; [unrolled: 1-line block ×6, first 2 shown]
	v_sub_f32_e32 v49, v49, v54
	v_add_f32_e32 v50, v50, v42
	v_mul_f32_e32 v49, 0x3fb8aa3b, v49
	v_add_f32_e32 v50, v50, v43
	v_exp_f32_e32 v49, v49
	v_add_f32_e32 v50, v50, v40
	v_add_f32_e32 v50, v50, v41
	;; [unrolled: 1-line block ×4, first 2 shown]
	v_cndmask_b32_e64 v39, 0, v49, s[4:5]
	v_add_f32_e32 v50, v50, v38
	v_add_f32_e32 v50, v50, v39
	v_cndmask_b32_e64 v49, 0, v51, s[8:9]
	v_add_f32_e32 v50, v50, v48
	v_add_f32_e32 v50, v50, v49
	ds_bpermute_b32 v51, v55, v50
	v_cmp_gt_u32_e32 vcc, 16, v66
	s_waitcnt lgkmcnt(0)
	v_add_f32_e32 v50, v50, v51
	ds_bpermute_b32 v51, v56, v50
	s_and_saveexec_b64 s[4:5], vcc
	s_cbranch_execz .LBB1326_13
; %bb.12:
	s_waitcnt lgkmcnt(0)
	v_add_f32_e32 v50, v50, v51
	v_lshlrev_b32_e32 v51, 2, v59
	ds_write2st64_b32 v51, v54, v50 offset1:1
.LBB1326_13:
	s_or_b64 exec, exec, s[4:5]
	s_waitcnt lgkmcnt(0)
	v_lshlrev_b32_e32 v51, 2, v60
	s_load_dword s6, s[0:1], 0x94
	s_waitcnt lgkmcnt(0)
	s_barrier
	ds_read2_b32 v[52:53], v51 offset1:16
	ds_read2_b32 v[54:55], v51 offset0:32 offset1:48
	ds_read2_b32 v[56:57], v51 offset0:64 offset1:80
	s_movk_i32 s8, 0x7fff
	s_mul_i32 s7, s25, 3
	s_waitcnt lgkmcnt(2)
	v_max3_f32 v50, v52, s40, v53
	s_waitcnt lgkmcnt(1)
	v_max3_f32 v50, v50, v54, v55
	v_sub_f32_e32 v52, v52, v50
	v_mul_f32_e32 v52, 0x3fb8aa3b, v52
	v_exp_f32_e32 v59, v52
	v_sub_f32_e32 v52, v53, v50
	v_mul_f32_e32 v52, 0x3fb8aa3b, v52
	v_exp_f32_e32 v62, v52
	v_sub_f32_e32 v52, v54, v50
	v_mul_f32_e32 v52, 0x3fb8aa3b, v52
	v_exp_f32_e32 v54, v52
	ds_read2_b32 v[52:53], v51 offset0:96 offset1:112
	v_sub_f32_e32 v51, v55, v50
	v_mul_f32_e32 v51, 0x3fb8aa3b, v51
	v_exp_f32_e32 v55, v51
	s_waitcnt lgkmcnt(1)
	v_fma_f32 v51, v59, v56, 0
	v_fmac_f32_e32 v51, v62, v57
	s_waitcnt lgkmcnt(0)
	v_fmac_f32_e32 v51, v54, v52
	v_fmac_f32_e32 v51, v55, v53
	v_add_f32_e32 v52, 0x358637bd, v51
	v_div_scale_f32 v53, s[4:5], v52, v52, 1.0
	v_rcp_f32_e32 v56, v53
	s_barrier
	v_fma_f32 v57, -v53, v56, 1.0
	v_fmac_f32_e32 v56, v57, v56
	v_div_scale_f32 v57, vcc, 1.0, v52, 1.0
	v_mul_f32_e32 v63, v57, v56
	v_fma_f32 v66, -v53, v63, v57
	v_fmac_f32_e32 v63, v66, v56
	v_fma_f32 v53, -v53, v63, v57
	v_div_fmas_f32 v53, v53, v56, v63
	v_cmp_eq_u32_e32 vcc, 1, v61
	v_div_fixup_f32 v52, v53, v52, 1.0
	s_nop 0
	v_cndmask_b32_e32 v53, v59, v62, vcc
	v_cmp_eq_u32_e32 vcc, 2, v61
	s_nop 1
	v_cndmask_b32_e32 v53, v53, v54, vcc
	v_cmp_eq_u32_e32 vcc, 3, v61
	s_nop 1
	v_cndmask_b32_e32 v53, v53, v55, vcc
	v_mul_f32_e32 v52, v53, v52
	v_pk_mul_f32 v[36:37], v[52:53], v[36:37] op_sel_hi:[0,1]
	v_pk_mul_f32 v[44:45], v[52:53], v[44:45] op_sel_hi:[0,1]
	v_bfe_u32 v53, v37, 16, 1
	v_bfe_u32 v54, v36, 16, 1
	v_add3_u32 v36, v36, v54, s8
	v_add3_u32 v37, v37, v53, s8
	v_perm_b32 v56, v37, v36, s44
	v_bfe_u32 v36, v45, 16, 1
	v_bfe_u32 v37, v44, 16, 1
	v_add3_u32 v37, v44, v37, s8
	v_add3_u32 v36, v45, v36, s8
	v_perm_b32 v57, v36, v37, s44
	v_lshlrev_b32_e32 v37, 3, v64
	v_lshlrev_b32_e32 v36, 5, v60
	v_lshlrev_b32_e32 v44, 11, v61
	v_pk_mul_f32 v[34:35], v[52:53], v[34:35] op_sel_hi:[0,1]
	v_or3_b32 v54, v44, v36, v37
	v_bfe_u32 v37, v35, 16, 1
	v_bfe_u32 v44, v34, 16, 1
	v_pk_mul_f32 v[42:43], v[52:53], v[42:43] op_sel_hi:[0,1]
	v_add3_u32 v34, v34, v44, s8
	v_add3_u32 v35, v35, v37, s8
	v_perm_b32 v34, v35, v34, s44
	v_bfe_u32 v35, v43, 16, 1
	v_bfe_u32 v37, v42, 16, 1
	v_add3_u32 v37, v42, v37, s8
	v_add3_u32 v35, v43, v35, s8
	v_pk_mul_f32 v[40:41], v[52:53], v[40:41] op_sel_hi:[0,1]
	v_perm_b32 v35, v35, v37, s44
	v_bfe_u32 v37, v41, 16, 1
	v_bfe_u32 v42, v40, 16, 1
	ds_write2st64_b64 v54, v[56:57], v[34:35] offset1:1
	v_pk_mul_f32 v[34:35], v[52:53], v[46:47] op_sel_hi:[0,1]
	v_add3_u32 v40, v40, v42, s8
	v_add3_u32 v37, v41, v37, s8
	v_perm_b32 v40, v37, v40, s44
	v_bfe_u32 v37, v35, 16, 1
	v_bfe_u32 v41, v34, 16, 1
	v_pk_mul_f32 v[38:39], v[52:53], v[38:39] op_sel_hi:[0,1]
	v_add3_u32 v34, v34, v41, s8
	v_add3_u32 v35, v35, v37, s8
	v_bfe_u32 v37, v39, 16, 1
	v_bfe_u32 v42, v38, 16, 1
	v_perm_b32 v41, v35, v34, s44
	v_pk_mul_f32 v[34:35], v[52:53], v[48:49] op_sel_hi:[0,1]
	v_add3_u32 v38, v38, v42, s8
	v_add3_u32 v37, v39, v37, s8
	v_perm_b32 v38, v37, v38, s44
	v_bfe_u32 v37, v35, 16, 1
	v_bfe_u32 v39, v34, 16, 1
	v_add3_u32 v34, v34, v39, s8
	v_add3_u32 v35, v35, v37, s8
	v_perm_b32 v39, v35, v34, s44
	v_cmp_gt_u32_e32 vcc, 3, v0
	ds_write2st64_b64 v54, v[40:41], v[38:39] offset0:2 offset1:3
	s_and_saveexec_b64 s[4:5], vcc
	s_cbranch_execz .LBB1326_15
; %bb.14:
	s_mov_b32 s49, 0
	v_mov_b32_e32 v61, 0
	v_lshl_add_u64 v[34:35], s[48:49], 0, v[60:61]
	v_mov_b32_e32 v37, s7
	v_mad_u64_u32 v[34:35], s[10:11], s2, v37, v[34:35]
	s_mul_i32 s3, s3, s7
	v_mov_b32_e32 v38, s24
	v_mov_b32_e32 v39, v61
	s_load_dwordx4 s[12:15], s[0:1], 0x58
	v_add_u32_e32 v37, s3, v35
	v_mad_u64_u32 v[34:35], s[10:11], v34, s6, v[38:39]
	v_mov_b32_e32 v38, v35
	v_mad_u64_u32 v[38:39], s[10:11], v37, s6, v[38:39]
	v_mov_b32_e32 v35, v38
	v_lshlrev_b64 v[34:35], 2, v[34:35]
	s_waitcnt lgkmcnt(0)
	v_lshl_add_u64 v[38:39], s[14:15], 0, v[34:35]
	v_lshl_add_u64 v[34:35], s[12:13], 0, v[34:35]
	global_store_dword v[38:39], v50, off
	global_store_dword v[34:35], v51, off
.LBB1326_15:
	s_or_b64 exec, exec, s[4:5]
	v_lshl_or_b32 v50, v64, 9, v36
	s_waitcnt vmcnt(7)
	v_cvt_pk_f32_fp8_e32 v[34:35], v30
	v_cvt_pk_f32_fp8_sdwa v[36:37], v30 src0_sel:WORD_1
	s_mov_b32 s5, 0x7060302
	s_waitcnt lgkmcnt(0)
	s_barrier
	v_cvt_pk_f32_fp8_e32 v[38:39], v31
	v_perm_b32 v30, v35, v34, s5
	v_cvt_pk_f32_fp8_sdwa v[40:41], v31 src0_sel:WORD_1
	v_perm_b32 v31, v37, v36, s5
	ds_read_b128 v[34:37], v50
	v_perm_b32 v46, v39, v38, s5
	v_perm_b32 v47, v41, v40, s5
	ds_read_b128 v[38:41], v50 offset:16
	v_cvt_pk_f32_fp8_e32 v[48:49], v32
	v_cvt_pk_f32_fp8_sdwa v[52:53], v32 src0_sel:WORD_1
	s_waitcnt lgkmcnt(1)
	v_mfma_f32_16x16x16_bf16 v[42:45], v[30:31], v[34:35], 0
	s_waitcnt vmcnt(6)
	v_cvt_pk_f32_fp8_e32 v[56:57], v24
	v_perm_b32 v30, v49, v48, s5
	v_perm_b32 v31, v53, v52, s5
	v_cvt_pk_f32_fp8_e32 v[48:49], v33
	v_mfma_f32_16x16x16_bf16 v[42:45], v[46:47], v[36:37], v[42:45]
	v_cvt_pk_f32_fp8_sdwa v[46:47], v33 src0_sel:WORD_1
	v_cvt_pk_f32_fp8_sdwa v[62:63], v24 src0_sel:WORD_1
	v_perm_b32 v48, v49, v48, s5
	s_waitcnt lgkmcnt(0)
	v_mfma_f32_16x16x16_bf16 v[30:33], v[30:31], v[38:39], v[42:45]
	v_perm_b32 v49, v47, v46, s5
	s_waitcnt vmcnt(4)
	v_cvt_pk_f32_fp8_sdwa v[70:71], v4 src0_sel:WORD_1
	s_load_dword s4, s[42:43], 0x0
	v_cvt_pk_f32_fp8_e32 v[42:43], v22
	v_mfma_f32_16x16x16_bf16 v[46:49], v[48:49], v[40:41], v[30:33]
	s_waitcnt vmcnt(3)
	v_cvt_pk_f32_fp8_sdwa v[72:73], v28 src0_sel:WORD_1
	v_cmp_gt_u32_e32 vcc, 64, v0
	v_cvt_pk_f32_fp8_sdwa v[30:31], v22 src0_sel:WORD_1
	v_cvt_pk_f32_fp8_e32 v[32:33], v23
	v_perm_b32 v22, v43, v42, s5
	v_cvt_pk_f32_fp8_sdwa v[42:43], v23 src0_sel:WORD_1
	v_perm_b32 v23, v31, v30, s5
	v_perm_b32 v52, v33, v32, s5
	ds_read_b128 v[30:33], v50 offset:2048
	v_perm_b32 v53, v43, v42, s5
	ds_read_b128 v[42:45], v50 offset:2064
	s_waitcnt lgkmcnt(0)
	v_mfma_f32_16x16x16_bf16 v[46:49], v[22:23], v[30:31], v[46:49]
	v_perm_b32 v22, v57, v56, s5
	v_perm_b32 v23, v63, v62, s5
	v_cvt_pk_f32_fp8_e32 v[56:57], v25
	v_mfma_f32_16x16x16_bf16 v[46:49], v[52:53], v[32:33], v[46:49]
	v_cvt_pk_f32_fp8_sdwa v[52:53], v25 src0_sel:WORD_1
	v_cvt_pk_f32_fp8_sdwa v[62:63], v16 src0_sel:WORD_1
	v_perm_b32 v56, v57, v56, s5
	v_mfma_f32_16x16x16_bf16 v[22:25], v[22:23], v[42:43], v[46:49]
	v_perm_b32 v57, v53, v52, s5
	s_mov_b32 s3, 0
	s_nop 0
	v_cvt_pk_f32_fp8_e32 v[46:47], v14
	v_mfma_f32_16x16x16_bf16 v[66:69], v[56:57], v[44:45], v[22:25]
	v_cvt_pk_f32_fp8_e32 v[56:57], v16
	s_nop 1
	v_cvt_pk_f32_fp8_sdwa v[22:23], v14 src0_sel:WORD_1
	v_cvt_pk_f32_fp8_e32 v[24:25], v15
	v_perm_b32 v14, v47, v46, s5
	v_cvt_pk_f32_fp8_sdwa v[46:47], v15 src0_sel:WORD_1
	v_perm_b32 v15, v23, v22, s5
	v_perm_b32 v52, v25, v24, s5
	ds_read_b128 v[22:25], v50 offset:4096
	v_perm_b32 v53, v47, v46, s5
	ds_read_b128 v[46:49], v50 offset:4112
	s_waitcnt lgkmcnt(1)
	v_mfma_f32_16x16x16_bf16 v[66:69], v[14:15], v[22:23], v[66:69]
	v_perm_b32 v14, v57, v56, s5
	v_perm_b32 v15, v63, v62, s5
	v_cvt_pk_f32_fp8_e32 v[56:57], v17
	v_mfma_f32_16x16x16_bf16 v[66:69], v[52:53], v[24:25], v[66:69]
	v_cvt_pk_f32_fp8_sdwa v[52:53], v17 src0_sel:WORD_1
	v_cvt_pk_f32_fp8_e32 v[62:63], v4
	v_perm_b32 v56, v57, v56, s5
	s_waitcnt lgkmcnt(0)
	v_mfma_f32_16x16x16_bf16 v[14:17], v[14:15], v[46:47], v[66:69]
	v_perm_b32 v57, v53, v52, s5
	v_cvt_pk_f32_fp8_e32 v[52:53], v2
	s_nop 0
	v_mfma_f32_16x16x16_bf16 v[66:69], v[56:57], v[48:49], v[14:17]
	s_nop 2
	v_cvt_pk_f32_fp8_sdwa v[14:15], v2 src0_sel:WORD_1
	v_cvt_pk_f32_fp8_e32 v[16:17], v3
	v_perm_b32 v2, v53, v52, s5
	v_cvt_pk_f32_fp8_sdwa v[52:53], v3 src0_sel:WORD_1
	v_perm_b32 v3, v15, v14, s5
	v_perm_b32 v56, v17, v16, s5
	ds_read_b128 v[14:17], v50 offset:6144
	v_perm_b32 v57, v53, v52, s5
	s_waitcnt lgkmcnt(0)
	v_mfma_f32_16x16x16_bf16 v[66:69], v[2:3], v[14:15], v[66:69]
	ds_read_b128 v[50:53], v50 offset:6160
	v_perm_b32 v2, v63, v62, s5
	v_perm_b32 v3, v71, v70, s5
	v_cvt_pk_f32_fp8_e32 v[62:63], v5
	v_mfma_f32_16x16x16_bf16 v[66:69], v[56:57], v[16:17], v[66:69]
	v_cvt_pk_f32_fp8_sdwa v[56:57], v5 src0_sel:WORD_1
	v_cvt_pk_f32_fp8_e32 v[70:71], v28
	v_perm_b32 v62, v63, v62, s5
	s_waitcnt lgkmcnt(0)
	v_mfma_f32_16x16x16_bf16 v[2:5], v[2:3], v[50:51], v[66:69]
	v_perm_b32 v63, v57, v56, s5
	v_cvt_pk_f32_fp8_sdwa v[56:57], v26 src0_sel:WORD_1
	s_nop 0
	v_mfma_f32_16x16x16_bf16 v[66:69], v[62:63], v[52:53], v[2:5]
	s_barrier
	s_nop 1
	v_cvt_pk_f32_fp8_e32 v[4:5], v26
	s_nop 2
	v_pk_mul_f32 v[62:63], v[66:67], s[4:5] op_sel_hi:[1,0]
	v_cvt_pk_f32_fp8_e32 v[66:67], v27
	v_perm_b32 v4, v5, v4, s5
	v_perm_b32 v5, v57, v56, s5
	v_cvt_pk_f32_fp8_sdwa v[26:27], v27 src0_sel:WORD_1
	v_perm_b32 v56, v67, v66, s5
	v_pk_mul_f32 v[2:3], v[68:69], s[4:5] op_sel_hi:[1,0]
	v_mfma_f32_16x16x16_bf16 v[66:69], v[4:5], v[34:35], 0
	v_perm_b32 v57, v27, v26, s5
	v_perm_b32 v4, v71, v70, s5
	;; [unrolled: 1-line block ×3, first 2 shown]
	v_cvt_pk_f32_fp8_e32 v[34:35], v29
	v_cvt_pk_f32_fp8_sdwa v[70:71], v29 src0_sel:WORD_1
	v_mfma_f32_16x16x16_bf16 v[26:29], v[56:57], v[36:37], v[66:69]
	s_waitcnt vmcnt(2)
	v_cvt_pk_f32_fp8_sdwa v[36:37], v18 src0_sel:WORD_1
	v_perm_b32 v34, v35, v34, s5
	v_perm_b32 v35, v71, v70, s5
	v_mfma_f32_16x16x16_bf16 v[26:29], v[4:5], v[38:39], v[26:29]
	v_cvt_pk_f32_fp8_e32 v[4:5], v18
	v_cvt_pk_f32_fp8_sdwa v[38:39], v20 src0_sel:WORD_1
	v_bfe_u32 v55, v63, 16, 1
	v_mfma_f32_16x16x16_bf16 v[26:29], v[34:35], v[40:41], v[26:29]
	v_cvt_pk_f32_fp8_e32 v[34:35], v19
	v_perm_b32 v4, v5, v4, s5
	v_perm_b32 v5, v37, v36, s5
	v_cvt_pk_f32_fp8_sdwa v[18:19], v19 src0_sel:WORD_1
	v_perm_b32 v34, v35, v34, s5
	v_cvt_pk_f32_fp8_e32 v[36:37], v20
	v_mfma_f32_16x16x16_bf16 v[26:29], v[4:5], v[30:31], v[26:29]
	v_perm_b32 v35, v19, v18, s5
	v_perm_b32 v4, v37, v36, s5
	;; [unrolled: 1-line block ×3, first 2 shown]
	v_cvt_pk_f32_fp8_e32 v[30:31], v21
	v_cvt_pk_f32_fp8_sdwa v[36:37], v21 src0_sel:WORD_1
	v_mfma_f32_16x16x16_bf16 v[18:21], v[34:35], v[32:33], v[26:29]
	v_bfe_u32 v56, v62, 16, 1
	v_add3_u32 v32, v62, v56, s8
	v_add3_u32 v33, v63, v55, s8
	v_perm_b32 v26, v31, v30, s5
	v_perm_b32 v27, v37, v36, s5
	v_mfma_f32_16x16x16_bf16 v[18:21], v[4:5], v[42:43], v[18:21]
	s_waitcnt vmcnt(1)
	v_cvt_pk_f32_fp8_e32 v[4:5], v10
	v_cvt_pk_f32_fp8_sdwa v[28:29], v10 src0_sel:WORD_1
	v_cvt_pk_f32_fp8_sdwa v[30:31], v12 src0_sel:WORD_1
	v_mfma_f32_16x16x16_bf16 v[18:21], v[26:27], v[44:45], v[18:21]
	v_cvt_pk_f32_fp8_e32 v[26:27], v11
	v_perm_b32 v4, v5, v4, s5
	v_perm_b32 v5, v29, v28, s5
	v_cvt_pk_f32_fp8_sdwa v[10:11], v11 src0_sel:WORD_1
	v_perm_b32 v26, v27, v26, s5
	v_cvt_pk_f32_fp8_e32 v[28:29], v12
	v_mfma_f32_16x16x16_bf16 v[18:21], v[4:5], v[22:23], v[18:21]
	v_perm_b32 v27, v11, v10, s5
	v_perm_b32 v4, v29, v28, s5
	;; [unrolled: 1-line block ×3, first 2 shown]
	v_cvt_pk_f32_fp8_e32 v[22:23], v13
	v_cvt_pk_f32_fp8_sdwa v[28:29], v13 src0_sel:WORD_1
	v_mfma_f32_16x16x16_bf16 v[10:13], v[26:27], v[24:25], v[18:21]
	s_waitcnt vmcnt(0)
	v_cvt_pk_f32_fp8_sdwa v[24:25], v8 src0_sel:WORD_1
	s_nop 0
	v_perm_b32 v20, v23, v22, s5
	v_perm_b32 v21, v29, v28, s5
	v_mfma_f32_16x16x16_bf16 v[10:13], v[4:5], v[46:47], v[10:13]
	v_cvt_pk_f32_fp8_e32 v[4:5], v6
	v_cvt_pk_f32_fp8_sdwa v[22:23], v6 src0_sel:WORD_1
	v_bfe_u32 v19, v3, 16, 1
	v_mfma_f32_16x16x16_bf16 v[10:13], v[20:21], v[48:49], v[10:13]
	v_cvt_pk_f32_fp8_e32 v[20:21], v7
	v_perm_b32 v4, v5, v4, s5
	v_perm_b32 v5, v23, v22, s5
	v_cvt_pk_f32_fp8_sdwa v[6:7], v7 src0_sel:WORD_1
	v_perm_b32 v20, v21, v20, s5
	v_cvt_pk_f32_fp8_e32 v[22:23], v8
	v_add3_u32 v3, v3, v19, s8
	v_perm_b32 v21, v7, v6, s5
	v_mfma_f32_16x16x16_bf16 v[4:7], v[4:5], v[14:15], v[10:13]
	v_bfe_u32 v14, v2, 16, 1
	v_add3_u32 v2, v2, v14, s8
	v_perm_b32 v19, v3, v2, s5
	v_perm_b32 v10, v23, v22, s5
	;; [unrolled: 1-line block ×3, first 2 shown]
	v_cvt_pk_f32_fp8_e32 v[12:13], v9
	v_cvt_pk_f32_fp8_sdwa v[8:9], v9 src0_sel:WORD_1
	v_mfma_f32_16x16x16_bf16 v[4:7], v[20:21], v[16:17], v[4:7]
	v_perm_b32 v18, v33, v32, s5
	v_perm_b32 v12, v13, v12, s5
	;; [unrolled: 1-line block ×3, first 2 shown]
	v_mfma_f32_16x16x16_bf16 v[4:7], v[10:11], v[50:51], v[4:7]
	s_nop 0
	v_mfma_f32_16x16x16_bf16 v[2:5], v[12:13], v[52:53], v[4:7]
	s_nop 6
	v_pk_mul_f32 v[2:3], v[2:3], s[4:5] op_sel_hi:[1,0]
	v_pk_mul_f32 v[4:5], v[4:5], s[4:5] op_sel_hi:[1,0]
	v_bfe_u32 v6, v3, 16, 1
	v_bfe_u32 v7, v2, 16, 1
	v_add3_u32 v2, v2, v7, s8
	v_add3_u32 v3, v3, v6, s8
	v_perm_b32 v2, v3, v2, s5
	v_bfe_u32 v3, v5, 16, 1
	v_bfe_u32 v6, v4, 16, 1
	v_add3_u32 v4, v4, v6, s8
	v_add3_u32 v3, v5, v3, s8
	v_perm_b32 v3, v3, v4, s5
	v_cmp_ne_u32_e64 s[4:5], 3, v64
	s_and_b64 s[4:5], vcc, s[4:5]
	ds_write2st64_b64 v54, v[18:19], v[2:3] offset1:1
	s_waitcnt lgkmcnt(0)
	s_barrier
	s_and_saveexec_b64 s[8:9], s[4:5]
	s_cbranch_execz .LBB1326_17
; %bb.16:
	s_load_dwordx2 s[0:1], s[0:1], 0x68
	s_mul_i32 s2, s7, s2
	s_lshl_b32 s6, s6, 7
	v_lshlrev_b32_e32 v4, 6, v60
	s_mul_hi_u32 s5, s2, s6
	s_mul_i32 s4, s2, s6
	v_lshl_or_b32 v0, v0, 10, v4
	s_lshl_b64 s[4:5], s[4:5], 1
	v_lshlrev_b32_e32 v2, 5, v64
	v_and_b32_e32 v3, 16, v65
	v_and_b32_e32 v0, 0x1a00, v0
	s_waitcnt lgkmcnt(0)
	s_add_u32 s4, s0, s4
	v_or3_b32 v0, v0, v2, v3
	s_addc_u32 s5, s1, s5
	s_lshl_b32 s2, s24, 7
	ds_read_b128 v[2:5], v0
	s_lshl_b64 s[0:1], s[2:3], 1
	s_add_u32 s0, s4, s0
	s_addc_u32 s1, s5, s1
	v_mad_u64_u32 v[0:1], s[2:3], s6, v1, 0
	v_lshl_add_u64 v[0:1], v[0:1], 1, s[0:1]
	v_mov_b32_e32 v59, 0
	v_lshl_add_u64 v[0:1], v[0:1], 0, v[58:59]
	s_waitcnt lgkmcnt(0)
	global_store_dwordx4 v[0:1], v[2:5], off
.LBB1326_17:
	s_endpgm
	.section	.rodata,"a",@progbits
	.p2align	6, 0x0
	.amdhsa_kernel _Z39paged_attention_ll4mi_QKV_mfma16_kernelI14__hip_bfloat16hLN4vllm18Fp8KVCacheDataTypeE1ES0_Li16ELi128ELi256ELb0ELi3EEvPKT_PKT0_S8_ifPKiSA_SA_iPKfiiiPfSD_PS3_PT2_iSC_SC_
		.amdhsa_group_segment_fixed_size 8192
		.amdhsa_private_segment_fixed_size 0
		.amdhsa_kernarg_size 400
		.amdhsa_user_sgpr_count 2
		.amdhsa_user_sgpr_dispatch_ptr 0
		.amdhsa_user_sgpr_queue_ptr 0
		.amdhsa_user_sgpr_kernarg_segment_ptr 1
		.amdhsa_user_sgpr_dispatch_id 0
		.amdhsa_user_sgpr_kernarg_preload_length 0
		.amdhsa_user_sgpr_kernarg_preload_offset 0
		.amdhsa_user_sgpr_private_segment_size 0
		.amdhsa_uses_dynamic_stack 0
		.amdhsa_enable_private_segment 0
		.amdhsa_system_sgpr_workgroup_id_x 1
		.amdhsa_system_sgpr_workgroup_id_y 1
		.amdhsa_system_sgpr_workgroup_id_z 1
		.amdhsa_system_sgpr_workgroup_info 0
		.amdhsa_system_vgpr_workitem_id 0
		.amdhsa_next_free_vgpr 88
		.amdhsa_next_free_sgpr 50
		.amdhsa_accum_offset 88
		.amdhsa_reserve_vcc 1
		.amdhsa_float_round_mode_32 0
		.amdhsa_float_round_mode_16_64 0
		.amdhsa_float_denorm_mode_32 3
		.amdhsa_float_denorm_mode_16_64 3
		.amdhsa_dx10_clamp 1
		.amdhsa_ieee_mode 1
		.amdhsa_fp16_overflow 0
		.amdhsa_tg_split 0
		.amdhsa_exception_fp_ieee_invalid_op 0
		.amdhsa_exception_fp_denorm_src 0
		.amdhsa_exception_fp_ieee_div_zero 0
		.amdhsa_exception_fp_ieee_overflow 0
		.amdhsa_exception_fp_ieee_underflow 0
		.amdhsa_exception_fp_ieee_inexact 0
		.amdhsa_exception_int_div_zero 0
	.end_amdhsa_kernel
	.section	.text._Z39paged_attention_ll4mi_QKV_mfma16_kernelI14__hip_bfloat16hLN4vllm18Fp8KVCacheDataTypeE1ES0_Li16ELi128ELi256ELb0ELi3EEvPKT_PKT0_S8_ifPKiSA_SA_iPKfiiiPfSD_PS3_PT2_iSC_SC_,"axG",@progbits,_Z39paged_attention_ll4mi_QKV_mfma16_kernelI14__hip_bfloat16hLN4vllm18Fp8KVCacheDataTypeE1ES0_Li16ELi128ELi256ELb0ELi3EEvPKT_PKT0_S8_ifPKiSA_SA_iPKfiiiPfSD_PS3_PT2_iSC_SC_,comdat
.Lfunc_end1326:
	.size	_Z39paged_attention_ll4mi_QKV_mfma16_kernelI14__hip_bfloat16hLN4vllm18Fp8KVCacheDataTypeE1ES0_Li16ELi128ELi256ELb0ELi3EEvPKT_PKT0_S8_ifPKiSA_SA_iPKfiiiPfSD_PS3_PT2_iSC_SC_, .Lfunc_end1326-_Z39paged_attention_ll4mi_QKV_mfma16_kernelI14__hip_bfloat16hLN4vllm18Fp8KVCacheDataTypeE1ES0_Li16ELi128ELi256ELb0ELi3EEvPKT_PKT0_S8_ifPKiSA_SA_iPKfiiiPfSD_PS3_PT2_iSC_SC_
                                        ; -- End function
	.section	.AMDGPU.csdata,"",@progbits
; Kernel info:
; codeLenInByte = 6276
; NumSgprs: 56
; NumVgprs: 88
; NumAgprs: 0
; TotalNumVgprs: 88
; ScratchSize: 0
; MemoryBound: 0
; FloatMode: 240
; IeeeMode: 1
; LDSByteSize: 8192 bytes/workgroup (compile time only)
; SGPRBlocks: 6
; VGPRBlocks: 10
; NumSGPRsForWavesPerEU: 56
; NumVGPRsForWavesPerEU: 88
; AccumOffset: 88
; Occupancy: 5
; WaveLimiterHint : 1
; COMPUTE_PGM_RSRC2:SCRATCH_EN: 0
; COMPUTE_PGM_RSRC2:USER_SGPR: 2
; COMPUTE_PGM_RSRC2:TRAP_HANDLER: 0
; COMPUTE_PGM_RSRC2:TGID_X_EN: 1
; COMPUTE_PGM_RSRC2:TGID_Y_EN: 1
; COMPUTE_PGM_RSRC2:TGID_Z_EN: 1
; COMPUTE_PGM_RSRC2:TIDIG_COMP_CNT: 0
; COMPUTE_PGM_RSRC3_GFX90A:ACCUM_OFFSET: 21
; COMPUTE_PGM_RSRC3_GFX90A:TG_SPLIT: 0
	.section	.text._Z39paged_attention_ll4mi_QKV_mfma16_kernelI14__hip_bfloat16hLN4vllm18Fp8KVCacheDataTypeE1ES0_Li16ELi128ELi256ELb0ELi4EEvPKT_PKT0_S8_ifPKiSA_SA_iPKfiiiPfSD_PS3_PT2_iSC_SC_,"axG",@progbits,_Z39paged_attention_ll4mi_QKV_mfma16_kernelI14__hip_bfloat16hLN4vllm18Fp8KVCacheDataTypeE1ES0_Li16ELi128ELi256ELb0ELi4EEvPKT_PKT0_S8_ifPKiSA_SA_iPKfiiiPfSD_PS3_PT2_iSC_SC_,comdat
	.protected	_Z39paged_attention_ll4mi_QKV_mfma16_kernelI14__hip_bfloat16hLN4vllm18Fp8KVCacheDataTypeE1ES0_Li16ELi128ELi256ELb0ELi4EEvPKT_PKT0_S8_ifPKiSA_SA_iPKfiiiPfSD_PS3_PT2_iSC_SC_ ; -- Begin function _Z39paged_attention_ll4mi_QKV_mfma16_kernelI14__hip_bfloat16hLN4vllm18Fp8KVCacheDataTypeE1ES0_Li16ELi128ELi256ELb0ELi4EEvPKT_PKT0_S8_ifPKiSA_SA_iPKfiiiPfSD_PS3_PT2_iSC_SC_
	.globl	_Z39paged_attention_ll4mi_QKV_mfma16_kernelI14__hip_bfloat16hLN4vllm18Fp8KVCacheDataTypeE1ES0_Li16ELi128ELi256ELb0ELi4EEvPKT_PKT0_S8_ifPKiSA_SA_iPKfiiiPfSD_PS3_PT2_iSC_SC_
	.p2align	8
	.type	_Z39paged_attention_ll4mi_QKV_mfma16_kernelI14__hip_bfloat16hLN4vllm18Fp8KVCacheDataTypeE1ES0_Li16ELi128ELi256ELb0ELi4EEvPKT_PKT0_S8_ifPKiSA_SA_iPKfiiiPfSD_PS3_PT2_iSC_SC_,@function
_Z39paged_attention_ll4mi_QKV_mfma16_kernelI14__hip_bfloat16hLN4vllm18Fp8KVCacheDataTypeE1ES0_Li16ELi128ELi256ELb0ELi4EEvPKT_PKT0_S8_ifPKiSA_SA_iPKfiiiPfSD_PS3_PT2_iSC_SC_: ; @_Z39paged_attention_ll4mi_QKV_mfma16_kernelI14__hip_bfloat16hLN4vllm18Fp8KVCacheDataTypeE1ES0_Li16ELi128ELi256ELb0ELi4EEvPKT_PKT0_S8_ifPKiSA_SA_iPKfiiiPfSD_PS3_PT2_iSC_SC_
; %bb.0:
	s_load_dwordx2 s[12:13], s[0:1], 0x30
	s_mov_b32 s24, s3
	s_mov_b64 s[6:7], 0
	s_waitcnt lgkmcnt(0)
	s_cmp_lg_u64 s[12:13], 0
	s_cselect_b64 s[14:15], -1, 0
	s_and_b64 vcc, exec, s[14:15]
	s_cbranch_vccz .LBB1327_7
; %bb.1:
	s_add_i32 s8, s2, 1
	s_mov_b32 s9, 0
	s_lshl_b64 s[10:11], s[8:9], 2
	s_add_u32 s10, s12, s10
	s_mov_b32 s3, s9
	s_addc_u32 s11, s13, s11
	s_lshl_b64 s[8:9], s[2:3], 2
	s_add_u32 s8, s12, s8
	s_addc_u32 s9, s13, s9
	s_load_dword s5, s[10:11], 0x0
	s_load_dword s16, s[8:9], 0x0
	s_waitcnt lgkmcnt(0)
	s_sub_i32 s5, s5, s16
	s_cmp_eq_u32 s5, 1
	s_cselect_b64 s[8:9], -1, 0
	s_andn2_b64 vcc, exec, s[6:7]
	s_cbranch_vccnz .LBB1327_3
.LBB1327_2:
	s_mov_b32 s3, 0
	s_mov_b64 s[8:9], -1
.LBB1327_3:
	s_andn2_b64 vcc, exec, s[8:9]
	s_cbranch_vccnz .LBB1327_17
; %bb.4:
	s_load_dwordx2 s[6:7], s[0:1], 0x28
	s_lshl_b64 s[16:17], s[2:3], 2
	s_waitcnt lgkmcnt(0)
	s_add_u32 s6, s6, s16
	s_addc_u32 s7, s7, s17
	s_load_dword s48, s[6:7], 0x0
	s_lshl_b32 s18, s24, 8
	s_waitcnt lgkmcnt(0)
	s_cmp_ge_i32 s18, s48
	s_cbranch_scc1 .LBB1327_17
; %bb.5:
	s_load_dwordx2 s[6:7], s[0:1], 0x20
	s_load_dword s8, s[0:1], 0x38
	s_add_i32 s5, s48, 15
	s_ashr_i32 s9, s5, 31
	v_and_b32_e32 v1, 0xcf, v0
	s_lshr_b32 s9, s9, 28
	v_add_u32_e32 v1, s18, v1
	s_add_i32 s5, s5, s9
	v_ashrrev_i32_e32 v2, 31, v1
	s_ashr_i32 s5, s5, 4
	v_lshrrev_b32_e32 v10, 28, v2
	s_add_i32 s5, s5, -1
	s_waitcnt lgkmcnt(0)
	s_mul_i32 s8, s2, s8
	s_mov_b32 s9, 0
	v_add_u32_e32 v2, v1, v10
	s_lshl_b64 s[8:9], s[8:9], 2
	v_ashrrev_i32_e32 v2, 4, v2
	v_mov_b32_e32 v11, s5
	v_cmp_gt_i32_e32 vcc, s48, v1
	s_add_u32 s6, s6, s8
	s_addc_u32 s7, s7, s9
	v_cndmask_b32_e32 v2, v11, v2, vcc
	v_ashrrev_i32_e32 v3, 31, v2
	v_lshl_add_u64 v[4:5], v[2:3], 2, s[6:7]
	v_or_b32_e32 v2, 16, v1
	v_add_u32_e32 v3, v2, v10
	v_ashrrev_i32_e32 v3, 4, v3
	v_cmp_gt_i32_e32 vcc, s48, v2
	s_load_dwordx4 s[8:11], s[0:1], 0x8
	s_nop 0
	v_cndmask_b32_e32 v2, v11, v3, vcc
	v_ashrrev_i32_e32 v3, 31, v2
	v_lshl_add_u64 v[6:7], v[2:3], 2, s[6:7]
	v_or_b32_e32 v2, 32, v1
	v_add_u32_e32 v3, v2, v10
	v_ashrrev_i32_e32 v3, 4, v3
	v_cmp_gt_i32_e32 vcc, s48, v2
	v_or_b32_e32 v1, 48, v1
	s_nop 0
	v_cndmask_b32_e32 v2, v11, v3, vcc
	v_ashrrev_i32_e32 v3, 31, v2
	v_lshl_add_u64 v[8:9], v[2:3], 2, s[6:7]
	v_add_u32_e32 v2, v1, v10
	v_ashrrev_i32_e32 v2, 4, v2
	v_cmp_gt_i32_e32 vcc, s48, v1
	s_nop 1
	v_cndmask_b32_e32 v2, v11, v2, vcc
	v_ashrrev_i32_e32 v3, 31, v2
	v_lshl_add_u64 v[10:11], v[2:3], 2, s[6:7]
	global_load_dword v3, v[4:5], off
	global_load_dword v2, v[6:7], off
	;; [unrolled: 1-line block ×4, first 2 shown]
	s_andn2_b64 vcc, exec, s[14:15]
	s_cbranch_vccnz .LBB1327_8
; %bb.6:
	s_add_u32 s12, s12, s16
	s_addc_u32 s13, s13, s17
	s_load_dword s14, s[12:13], 0x0
	s_branch .LBB1327_9
.LBB1327_7:
	s_mov_b64 s[8:9], 0
	s_branch .LBB1327_2
.LBB1327_8:
	s_mov_b32 s14, s2
.LBB1327_9:
	s_load_dwordx4 s[44:47], s[0:1], 0x48
	v_and_b32_e32 v58, 15, v0
	v_bfe_u32 v61, v0, 4, 2
	s_lshl_b32 s25, s4, 2
	v_lshlrev_b32_e32 v4, 3, v58
	v_lshrrev_b32_e32 v62, 6, v0
	v_and_b32_e32 v63, 63, v0
	v_or_b32_e32 v1, s25, v61
	v_cmp_gt_u32_e64 s[26:27], 64, v0
	v_lshlrev_b32_e32 v54, 1, v4
	v_lshlrev_b32_e32 v59, 5, v61
	;; [unrolled: 1-line block ×3, first 2 shown]
	s_and_saveexec_b64 s[12:13], s[26:27]
	s_cbranch_execz .LBB1327_11
; %bb.10:
	s_load_dwordx2 s[16:17], s[0:1], 0x0
	s_waitcnt lgkmcnt(0)
	s_ashr_i32 s15, s44, 31
	s_mul_hi_u32 s19, s14, s44
	s_mul_i32 s15, s14, s15
	s_add_i32 s15, s19, s15
	s_mul_i32 s14, s14, s44
	s_lshl_b64 s[14:15], s[14:15], 1
	s_add_u32 s14, s16, s14
	v_lshlrev_b32_e32 v4, 7, v1
	s_addc_u32 s15, s17, s15
	v_ashrrev_i32_e32 v5, 31, v4
	v_lshl_add_u64 v[4:5], v[4:5], 1, s[14:15]
	v_mov_b32_e32 v55, 0
	v_lshl_add_u64 v[4:5], v[4:5], 0, v[54:55]
	global_load_dwordx4 v[4:7], v[4:5], off
	v_lshlrev_b32_e32 v9, 8, v0
	v_lshlrev_b32_e32 v8, 8, v58
	v_and_b32_e32 v9, 0x600, v9
	s_movk_i32 s14, 0x800
	v_and_or_b32 v8, v8, s14, v9
	v_lshl_or_b32 v9, v62, 7, v59
	v_and_b32_e32 v10, 16, v60
	v_or3_b32 v8, v8, v9, v10
	s_waitcnt vmcnt(0)
	ds_write_b128 v8, v[4:7]
.LBB1327_11:
	s_or_b64 exec, exec, s[12:13]
	s_waitcnt lgkmcnt(0)
	s_mul_i32 s4, s4, s46
	s_add_u32 s8, s8, s4
	s_addc_u32 s9, s9, 0
	v_and_b32_e32 v56, 0xf0, v60
	v_mov_b32_e32 v57, 0
	v_and_b32_e32 v6, 48, v0
	v_lshl_add_u64 v[30:31], s[8:9], 0, v[56:57]
	v_lshlrev_b32_e32 v56, 4, v6
	s_waitcnt vmcnt(3)
	v_mad_i64_i32 v[4:5], s[8:9], v3, s45, v[30:31]
	v_lshl_add_u64 v[4:5], v[4:5], 0, v[56:57]
	s_load_dword s33, s[0:1], 0x98
	s_load_dwordx4 s[40:43], s[0:1], 0x80
	s_waitcnt lgkmcnt(0)
	s_barrier
	global_load_dwordx4 v[22:25], v[4:5], off
	global_load_dwordx4 v[10:13], v[4:5], off offset:1024
	s_waitcnt vmcnt(4)
	v_mad_i64_i32 v[2:3], s[8:9], v2, s45, v[30:31]
	v_lshl_add_u64 v[32:33], v[2:3], 0, v[56:57]
	global_load_dwordx4 v[2:5], v[32:33], off
	v_and_b32_e32 v7, 3, v0
	v_lshlrev_b32_e32 v7, 5, v7
	v_or_b32_e32 v36, s18, v6
	v_lshl_or_b32 v6, v61, 9, v7
	ds_read_b128 v[26:29], v6
	ds_read_b128 v[18:21], v6 offset:16
	ds_read_b128 v[14:17], v6 offset:2048
	;; [unrolled: 1-line block ×3, first 2 shown]
	global_load_dwordx4 v[46:49], v[32:33], off offset:1024
	v_mov_b32_e32 v41, s5
	v_ashrrev_i32_e32 v37, 4, v36
	v_or_b32_e32 v40, 64, v36
	v_cmp_gt_i32_e32 vcc, s48, v36
	v_or_b32_e32 v42, 0x80, v36
	v_or_b32_e32 v43, 0xc0, v36
	v_cndmask_b32_e32 v36, v41, v37, vcc
	v_ashrrev_i32_e32 v44, 4, v40
	v_cmp_gt_i32_e32 vcc, s48, v40
	v_ashrrev_i32_e32 v45, 4, v42
	s_waitcnt vmcnt(5)
	v_mad_i64_i32 v[38:39], s[12:13], v34, s45, v[30:31]
	v_cndmask_b32_e32 v34, v41, v44, vcc
	v_cmp_gt_i32_e32 vcc, s48, v42
	v_ashrrev_i32_e32 v50, 4, v43
	s_waitcnt vmcnt(4)
	v_mad_i64_i32 v[30:31], s[12:13], v35, s45, v[30:31]
	v_cndmask_b32_e32 v40, v41, v45, vcc
	v_cmp_gt_i32_e32 vcc, s48, v43
	v_ashrrev_i32_e32 v35, 31, v34
	v_ashrrev_i32_e32 v37, 31, v36
	v_cndmask_b32_e32 v32, v41, v50, vcc
	v_lshl_add_u64 v[38:39], v[38:39], 0, v[56:57]
	v_ashrrev_i32_e32 v41, 31, v40
	v_ashrrev_i32_e32 v33, 31, v32
	v_lshl_add_u64 v[64:65], v[34:35], 2, s[6:7]
	v_lshl_add_u64 v[50:51], v[30:31], 0, v[56:57]
	;; [unrolled: 1-line block ×5, first 2 shown]
	global_load_dwordx4 v[30:33], v[38:39], off
	global_load_dwordx4 v[42:45], v[38:39], off offset:1024
	s_nop 0
	global_load_dwordx4 v[38:41], v[50:51], off
	global_load_dwordx4 v[34:37], v[50:51], off offset:1024
	global_load_dword v67, v[52:53], off
	global_load_dword v66, v[64:65], off
	s_nop 0
	global_load_dword v64, v[68:69], off
	global_load_dword v65, v[70:71], off
	s_mov_b32 s44, 0x7060302
	s_add_u32 s4, s10, s4
	v_lshl_or_b32 v55, v62, 4, v58
	s_addc_u32 s5, s11, 0
	v_lshlrev_b32_e32 v56, 4, v55
	s_load_dword s8, s[0:1], 0x1c
	s_mov_b32 s46, 0xff7fffff
	s_waitcnt vmcnt(11)
	v_cvt_pk_f32_fp8_e32 v[50:51], v22
	v_cvt_pk_f32_fp8_sdwa v[52:53], v22 src0_sel:WORD_1
	v_cvt_pk_f32_fp8_e32 v[68:69], v23
	v_cvt_pk_f32_fp8_sdwa v[70:71], v23 src0_sel:WORD_1
	;; [unrolled: 2-line block ×4, first 2 shown]
	s_waitcnt vmcnt(9)
	v_cvt_pk_f32_fp8_e32 v[22:23], v2
	v_cvt_pk_f32_fp8_sdwa v[24:25], v2 src0_sel:WORD_1
	v_perm_b32 v50, v51, v50, s44
	v_perm_b32 v51, v53, v52, s44
	v_cvt_pk_f32_fp8_e32 v[80:81], v10
	v_cvt_pk_f32_fp8_sdwa v[82:83], v10 src0_sel:WORD_1
	v_cvt_pk_f32_fp8_e32 v[84:85], v11
	v_cvt_pk_f32_fp8_sdwa v[52:53], v11 src0_sel:WORD_1
	v_perm_b32 v10, v23, v22, s44
	v_perm_b32 v11, v25, v24, s44
	;; [unrolled: 1-line block ×4, first 2 shown]
	s_waitcnt lgkmcnt(0)
	v_mfma_f32_16x16x16_bf16 v[22:25], v[50:51], v[26:27], 0
	v_cvt_pk_f32_fp8_e32 v[86:87], v12
	v_cvt_pk_f32_fp8_sdwa v[50:51], v12 src0_sel:WORD_1
	v_cvt_pk_f32_fp8_e32 v[90:91], v13
	v_mfma_f32_16x16x16_bf16 v[68:71], v[10:11], v[26:27], 0
	v_perm_b32 v10, v73, v72, s44
	v_perm_b32 v11, v75, v74, s44
	;; [unrolled: 1-line block ×3, first 2 shown]
	v_mfma_f32_16x16x16_bf16 v[22:25], v[88:89], v[28:29], v[22:25]
	v_perm_b32 v75, v79, v78, s44
	v_cvt_pk_f32_fp8_sdwa v[72:73], v13 src0_sel:WORD_1
	s_waitcnt vmcnt(6)
	v_cvt_pk_f32_fp8_sdwa v[78:79], v44 src0_sel:WORD_1
	v_mfma_f32_16x16x16_bf16 v[10:13], v[10:11], v[18:19], v[22:25]
	s_nop 2
	v_perm_b32 v24, v81, v80, s44
	v_perm_b32 v25, v83, v82, s44
	v_mfma_f32_16x16x16_bf16 v[10:13], v[74:75], v[20:21], v[10:13]
	v_perm_b32 v74, v85, v84, s44
	v_perm_b32 v75, v53, v52, s44
	;; [unrolled: 1-line block ×3, first 2 shown]
	v_mfma_f32_16x16x16_bf16 v[10:13], v[24:25], v[14:15], v[10:13]
	v_perm_b32 v53, v51, v50, s44
	v_cvt_pk_f32_fp8_e32 v[22:23], v3
	v_cvt_pk_f32_fp8_sdwa v[2:3], v3 src0_sel:WORD_1
	v_mfma_f32_16x16x16_bf16 v[10:13], v[74:75], v[16:17], v[10:13]
	v_perm_b32 v50, v91, v90, s44
	v_perm_b32 v51, v73, v72, s44
	v_cvt_pk_f32_fp8_e32 v[24:25], v4
	v_cvt_pk_f32_fp8_sdwa v[74:75], v4 src0_sel:WORD_1
	v_mfma_f32_16x16x16_bf16 v[10:13], v[52:53], v[6:7], v[10:13]
	v_perm_b32 v22, v23, v22, s44
	v_perm_b32 v23, v3, v2, s44
	v_perm_b32 v24, v25, v24, s44
	v_mfma_f32_16x16x16_bf16 v[50:53], v[50:51], v[8:9], v[10:13]
	v_perm_b32 v25, v75, v74, s44
	v_cvt_pk_f32_fp8_e32 v[72:73], v33
	v_cvt_pk_f32_fp8_sdwa v[74:75], v33 src0_sel:WORD_1
	v_cvt_pk_f32_fp8_e32 v[10:11], v5
	v_cvt_pk_f32_fp8_sdwa v[12:13], v5 src0_sel:WORD_1
	v_mfma_f32_16x16x16_bf16 v[2:5], v[22:23], v[28:29], v[68:71]
	v_cvt_pk_f32_fp8_sdwa v[22:23], v46 src0_sel:WORD_1
	v_perm_b32 v10, v11, v10, s44
	v_perm_b32 v11, v13, v12, s44
	v_mfma_f32_16x16x16_bf16 v[2:5], v[24:25], v[18:19], v[2:5]
	v_cvt_pk_f32_fp8_e32 v[12:13], v46
	v_cvt_pk_f32_fp8_e32 v[24:25], v48
	v_lshl_add_u64 v[68:69], s[4:5], 0, v[56:57]
	v_mfma_f32_16x16x16_bf16 v[2:5], v[10:11], v[20:21], v[2:5]
	v_cvt_pk_f32_fp8_e32 v[10:11], v47
	v_perm_b32 v12, v13, v12, s44
	v_perm_b32 v13, v23, v22, s44
	v_cvt_pk_f32_fp8_sdwa v[22:23], v47 src0_sel:WORD_1
	v_perm_b32 v10, v11, v10, s44
	v_cvt_pk_f32_fp8_sdwa v[46:47], v48 src0_sel:WORD_1
	v_mfma_f32_16x16x16_bf16 v[2:5], v[12:13], v[14:15], v[2:5]
	v_perm_b32 v11, v23, v22, s44
	v_perm_b32 v12, v25, v24, s44
	;; [unrolled: 1-line block ×3, first 2 shown]
	v_cvt_pk_f32_fp8_e32 v[22:23], v49
	v_cvt_pk_f32_fp8_sdwa v[24:25], v49 src0_sel:WORD_1
	v_mfma_f32_16x16x16_bf16 v[2:5], v[10:11], v[16:17], v[2:5]
	s_waitcnt vmcnt(2)
	v_mad_i64_i32 v[70:71], s[6:7], v66, s45, v[68:69]
	v_perm_b32 v10, v23, v22, s44
	v_perm_b32 v11, v25, v24, s44
	v_mfma_f32_16x16x16_bf16 v[2:5], v[12:13], v[6:7], v[2:5]
	v_cvt_pk_f32_fp8_e32 v[12:13], v30
	v_cvt_pk_f32_fp8_sdwa v[22:23], v30 src0_sel:WORD_1
	v_cvt_pk_f32_fp8_sdwa v[24:25], v32 src0_sel:WORD_1
	v_mfma_f32_16x16x16_bf16 v[46:49], v[10:11], v[8:9], v[2:5]
	v_cvt_pk_f32_fp8_sdwa v[10:11], v31 src0_sel:WORD_1
	v_or_b32_e32 v56, 0x400, v56
	s_nop 0
	v_perm_b32 v2, v13, v12, s44
	v_perm_b32 v3, v23, v22, s44
	v_cvt_pk_f32_fp8_e32 v[4:5], v31
	v_perm_b32 v23, v11, v10, s44
	v_cvt_pk_f32_fp8_e32 v[10:11], v32
	v_mad_i64_i32 v[12:13], s[6:7], v67, s45, v[68:69]
	v_perm_b32 v22, v5, v4, s44
	v_mfma_f32_16x16x16_bf16 v[2:5], v[2:3], v[26:27], 0
	v_perm_b32 v10, v11, v10, s44
	v_perm_b32 v11, v25, v24, s44
	v_mfma_f32_16x16x16_bf16 v[2:5], v[22:23], v[28:29], v[2:5]
	global_load_dwordx4 v[30:33], v[12:13], off
	global_load_dwordx4 v[22:25], v[70:71], off
	v_perm_b32 v12, v73, v72, s44
	v_perm_b32 v13, v75, v74, s44
	v_mfma_f32_16x16x16_bf16 v[2:5], v[10:11], v[18:19], v[2:5]
	v_cvt_pk_f32_fp8_e32 v[10:11], v42
	v_cvt_pk_f32_fp8_sdwa v[70:71], v42 src0_sel:WORD_1
	s_waitcnt vmcnt(3)
	v_mad_i64_i32 v[72:73], s[6:7], v64, s45, v[68:69]
	v_mfma_f32_16x16x16_bf16 v[2:5], v[12:13], v[20:21], v[2:5]
	v_perm_b32 v10, v11, v10, s44
	v_perm_b32 v11, v71, v70, s44
	v_cvt_pk_f32_fp8_e32 v[12:13], v43
	v_cvt_pk_f32_fp8_sdwa v[42:43], v43 src0_sel:WORD_1
	s_waitcnt vmcnt(2)
	v_mad_i64_i32 v[74:75], s[6:7], v65, s45, v[68:69]
	v_perm_b32 v76, v13, v12, s44
	v_perm_b32 v77, v43, v42, s44
	v_cvt_pk_f32_fp8_e32 v[42:43], v44
	v_mfma_f32_16x16x16_bf16 v[68:71], v[10:11], v[14:15], v[2:5]
	global_load_dwordx4 v[10:13], v[72:73], off
	s_nop 1
	global_load_dwordx4 v[2:5], v[74:75], off
	v_perm_b32 v73, v79, v78, s44
	v_perm_b32 v72, v43, v42, s44
	v_cvt_pk_f32_fp8_e32 v[74:75], v45
	v_cvt_pk_f32_fp8_sdwa v[44:45], v45 src0_sel:WORD_1
	v_mfma_f32_16x16x16_bf16 v[68:71], v[76:77], v[16:17], v[68:71]
	v_lshl_add_u64 v[42:43], s[4:5], 0, v[56:57]
	v_perm_b32 v56, v75, v74, s44
	v_perm_b32 v57, v45, v44, s44
	v_mfma_f32_16x16x16_bf16 v[68:71], v[72:73], v[6:7], v[68:71]
	v_cvt_pk_f32_fp8_e32 v[44:45], v38
	v_cvt_pk_f32_fp8_sdwa v[72:73], v38 src0_sel:WORD_1
	v_cvt_pk_f32_fp8_e32 v[76:77], v40
	v_mfma_f32_16x16x16_bf16 v[68:71], v[56:57], v[8:9], v[68:71]
	v_cvt_pk_f32_fp8_e32 v[56:57], v39
	v_perm_b32 v44, v45, v44, s44
	v_perm_b32 v45, v73, v72, s44
	v_cvt_pk_f32_fp8_sdwa v[38:39], v39 src0_sel:WORD_1
	v_perm_b32 v56, v57, v56, s44
	v_cvt_pk_f32_fp8_sdwa v[78:79], v40 src0_sel:WORD_1
	v_mfma_f32_16x16x16_bf16 v[72:75], v[44:45], v[26:27], 0
	v_perm_b32 v57, v39, v38, s44
	v_perm_b32 v38, v77, v76, s44
	;; [unrolled: 1-line block ×3, first 2 shown]
	v_cvt_pk_f32_fp8_e32 v[44:45], v41
	v_cvt_pk_f32_fp8_sdwa v[40:41], v41 src0_sel:WORD_1
	v_mfma_f32_16x16x16_bf16 v[26:29], v[56:57], v[28:29], v[72:75]
	s_load_dword s4, s[40:41], 0x0
	v_perm_b32 v44, v45, v44, s44
	v_perm_b32 v45, v41, v40, s44
	v_mfma_f32_16x16x16_bf16 v[26:29], v[38:39], v[18:19], v[26:29]
	v_cvt_pk_f32_fp8_e32 v[40:41], v35
	v_mov_b32_e32 v56, s8
	s_waitcnt lgkmcnt(0)
	v_mul_f32_e32 v56, s4, v56
	v_mfma_f32_16x16x16_bf16 v[18:21], v[44:45], v[20:21], v[26:29]
	v_mad_i64_i32 v[72:73], s[4:5], v67, s45, v[42:43]
	v_pk_mul_f32 v[50:51], v[56:57], v[50:51] op_sel_hi:[0,1]
	s_nop 0
	v_cvt_pk_f32_fp8_e32 v[26:27], v34
	v_cvt_pk_f32_fp8_sdwa v[28:29], v34 src0_sel:WORD_1
	v_cvt_pk_f32_fp8_sdwa v[34:35], v35 src0_sel:WORD_1
	v_pk_mul_f32 v[38:39], v[56:57], v[52:53] op_sel_hi:[0,1]
	v_perm_b32 v26, v27, v26, s44
	v_perm_b32 v27, v29, v28, s44
	;; [unrolled: 1-line block ×4, first 2 shown]
	v_cvt_pk_f32_fp8_e32 v[34:35], v36
	v_cvt_pk_f32_fp8_sdwa v[40:41], v36 src0_sel:WORD_1
	v_mfma_f32_16x16x16_bf16 v[18:21], v[26:27], v[14:15], v[18:21]
	v_pk_mul_f32 v[52:53], v[56:57], v[46:47] op_sel_hi:[0,1]
	v_perm_b32 v26, v35, v34, s44
	v_perm_b32 v27, v41, v40, s44
	v_cvt_pk_f32_fp8_e32 v[34:35], v37
	v_cvt_pk_f32_fp8_sdwa v[36:37], v37 src0_sel:WORD_1
	v_mfma_f32_16x16x16_bf16 v[14:17], v[28:29], v[16:17], v[18:21]
	v_pk_mul_f32 v[48:49], v[56:57], v[48:49] op_sel_hi:[0,1]
	v_pk_mul_f32 v[40:41], v[56:57], v[68:69] op_sel_hi:[0,1]
	;; [unrolled: 1-line block ×3, first 2 shown]
	v_perm_b32 v18, v35, v34, s44
	v_perm_b32 v19, v37, v36, s44
	v_mfma_f32_16x16x16_bf16 v[14:17], v[26:27], v[6:7], v[14:17]
	s_nop 0
	v_mfma_f32_16x16x16_bf16 v[6:9], v[18:19], v[8:9], v[14:17]
	s_nop 6
	v_pk_mul_f32 v[44:45], v[56:57], v[6:7] op_sel_hi:[0,1]
	v_and_b32_e32 v6, 0xc0, v0
	v_add_u32_e32 v6, s18, v6
	v_lshl_or_b32 v6, v61, 2, v6
	v_pk_mul_f32 v[34:35], v[56:57], v[8:9] op_sel_hi:[0,1]
	v_or_b32_e32 v9, 1, v6
	v_mov_b32_e32 v7, 0xff7fffff
	v_cmp_gt_i32_e64 s[4:5], s48, v6
	v_cmp_gt_i32_e64 s[28:29], s48, v9
	v_or_b32_e32 v14, 3, v6
	v_cndmask_b32_e64 v8, v7, v50, s[4:5]
	v_cndmask_b32_e64 v9, v7, v51, s[28:29]
	v_max3_f32 v8, v8, s46, v9
	v_or_b32_e32 v9, 2, v6
	v_cmp_gt_i32_e64 s[30:31], s48, v9
	v_cmp_gt_i32_e64 s[34:35], s48, v14
	s_nop 0
	v_cndmask_b32_e64 v9, v7, v38, s[30:31]
	v_cndmask_b32_e64 v14, v7, v39, s[34:35]
	v_max3_f32 v8, v8, v9, v14
	v_or_b32_e32 v9, 16, v6
	v_or_b32_e32 v14, 17, v6
	v_cmp_gt_i32_e64 s[36:37], s48, v9
	v_cmp_gt_i32_e64 s[38:39], s48, v14
	s_nop 0
	v_cndmask_b32_e64 v9, v7, v52, s[36:37]
	v_cndmask_b32_e64 v14, v7, v53, s[38:39]
	v_max3_f32 v8, v8, v9, v14
	v_or_b32_e32 v9, 18, v6
	v_or_b32_e32 v14, 19, v6
	v_cmp_gt_i32_e64 s[20:21], s48, v9
	v_cmp_gt_i32_e64 s[22:23], s48, v14
	s_nop 0
	v_cndmask_b32_e64 v9, v7, v48, s[20:21]
	v_cndmask_b32_e64 v14, v7, v49, s[22:23]
	v_max3_f32 v8, v8, v9, v14
	v_or_b32_e32 v9, 32, v6
	v_or_b32_e32 v14, 33, v6
	v_cmp_gt_i32_e64 s[16:17], s48, v9
	v_cmp_gt_i32_e64 s[18:19], s48, v14
	s_nop 0
	v_cndmask_b32_e64 v9, v7, v40, s[16:17]
	v_cndmask_b32_e64 v14, v7, v41, s[18:19]
	v_max3_f32 v8, v8, v9, v14
	v_or_b32_e32 v9, 34, v6
	v_or_b32_e32 v14, 35, v6
	v_cmp_gt_i32_e64 s[12:13], s48, v9
	v_cmp_gt_i32_e64 s[14:15], s48, v14
	s_nop 0
	v_cndmask_b32_e64 v9, v7, v46, s[12:13]
	v_cndmask_b32_e64 v14, v7, v47, s[14:15]
	v_max3_f32 v8, v8, v9, v14
	v_or_b32_e32 v9, 48, v6
	v_or_b32_e32 v14, 49, v6
	v_cmp_gt_i32_e64 s[8:9], s48, v9
	v_cmp_gt_i32_e64 s[10:11], s48, v14
	s_nop 0
	v_cndmask_b32_e64 v9, v7, v44, s[8:9]
	v_cndmask_b32_e64 v14, v7, v45, s[10:11]
	v_max3_f32 v8, v8, v9, v14
	v_or_b32_e32 v9, 50, v6
	v_or_b32_e32 v6, 51, v6
	v_cmp_gt_i32_e32 vcc, s48, v9
	v_cmp_gt_i32_e64 s[6:7], s48, v6
	s_nop 0
	v_cndmask_b32_e32 v9, v7, v34, vcc
	v_cndmask_b32_e64 v6, v7, v35, s[6:7]
	v_max3_f32 v8, v8, v9, v6
	v_mbcnt_lo_u32_b32 v6, -1, 0
	v_mbcnt_hi_u32_b32 v9, -1, v6
	v_and_b32_e32 v6, 64, v9
	v_add_u32_e32 v14, 64, v6
	v_xor_b32_e32 v6, 32, v9
	v_cmp_lt_i32_e64 s[40:41], v6, v14
	s_nop 1
	v_cndmask_b32_e64 v6, v9, v6, s[40:41]
	v_lshlrev_b32_e32 v57, 2, v6
	ds_bpermute_b32 v15, v57, v8
	v_mad_i64_i32 v[6:7], s[40:41], v66, s45, v[42:43]
	global_load_dwordx4 v[26:29], v[72:73], off
	global_load_dwordx4 v[18:21], v[6:7], off
	s_waitcnt lgkmcnt(0)
	v_max_f32_e32 v6, v15, v15
	v_max_f32_e32 v15, v8, v6
	v_xor_b32_e32 v6, 16, v9
	v_cmp_lt_i32_e64 s[40:41], v6, v14
	s_nop 1
	v_cndmask_b32_e64 v6, v9, v6, s[40:41]
	v_lshlrev_b32_e32 v66, 2, v6
	ds_bpermute_b32 v14, v66, v15
	v_mad_i64_i32 v[6:7], s[40:41], v64, s45, v[42:43]
	v_mad_i64_i32 v[8:9], s[40:41], v65, s45, v[42:43]
	s_waitcnt lgkmcnt(0)
	v_max_f32_e32 v14, v14, v14
	v_max_f32_e32 v56, v15, v14
	v_sub_f32_e32 v14, v50, v56
	v_mul_f32_e32 v14, 0x3fb8aa3b, v14
	v_exp_f32_e32 v36, v14
	v_sub_f32_e32 v14, v51, v56
	v_mul_f32_e32 v14, 0x3fb8aa3b, v14
	v_exp_f32_e32 v37, v14
	global_load_dwordx4 v[14:17], v[6:7], off
	s_nop 0
	global_load_dwordx4 v[6:9], v[8:9], off
	v_sub_f32_e32 v38, v38, v56
	v_mul_f32_e32 v38, 0x3fb8aa3b, v38
	v_sub_f32_e32 v39, v39, v56
	v_exp_f32_e32 v38, v38
	v_mul_f32_e32 v39, 0x3fb8aa3b, v39
	v_exp_f32_e32 v39, v39
	v_cndmask_b32_e64 v36, 0, v36, s[4:5]
	v_add_f32_e32 v42, 0, v36
	v_cndmask_b32_e64 v37, 0, v37, s[28:29]
	v_add_f32_e32 v43, v42, v37
	;; [unrolled: 2-line block ×3, first 2 shown]
	v_cndmask_b32_e64 v43, 0, v39, s[34:35]
	v_sub_f32_e32 v39, v52, v56
	v_mul_f32_e32 v39, 0x3fb8aa3b, v39
	v_sub_f32_e32 v50, v53, v56
	v_exp_f32_e32 v39, v39
	v_mul_f32_e32 v50, 0x3fb8aa3b, v50
	v_sub_f32_e32 v48, v48, v56
	v_exp_f32_e32 v50, v50
	;; [unrolled: 3-line block ×4, first 2 shown]
	v_mul_f32_e32 v40, 0x3fb8aa3b, v40
	v_sub_f32_e32 v41, v41, v56
	v_add_f32_e32 v51, v38, v43
	v_cndmask_b32_e64 v38, 0, v39, s[36:37]
	v_exp_f32_e32 v40, v40
	v_mul_f32_e32 v41, 0x3fb8aa3b, v41
	v_sub_f32_e32 v46, v46, v56
	v_add_f32_e32 v51, v51, v38
	v_cndmask_b32_e64 v39, 0, v50, s[38:39]
	v_exp_f32_e32 v41, v41
	;; [unrolled: 5-line block ×7, first 2 shown]
	v_mul_f32_e32 v35, 0x3fb8aa3b, v35
	v_add_f32_e32 v50, v50, v46
	v_cndmask_b32_e64 v47, 0, v47, s[14:15]
	v_exp_f32_e32 v35, v35
	v_add_f32_e32 v50, v50, v47
	v_cndmask_b32_e64 v44, 0, v44, s[8:9]
	v_add_f32_e32 v50, v50, v44
	v_cndmask_b32_e64 v45, 0, v45, s[10:11]
	v_add_f32_e32 v50, v50, v45
	v_cndmask_b32_e32 v34, 0, v34, vcc
	v_add_f32_e32 v50, v50, v34
	v_cndmask_b32_e64 v35, 0, v35, s[6:7]
	v_add_f32_e32 v50, v50, v35
	ds_bpermute_b32 v51, v57, v50
	v_cmp_gt_u32_e32 vcc, 16, v63
	s_waitcnt lgkmcnt(0)
	s_barrier
	v_add_f32_e32 v50, v50, v51
	ds_bpermute_b32 v51, v66, v50
	s_and_saveexec_b64 s[4:5], vcc
	s_cbranch_execz .LBB1327_13
; %bb.12:
	s_waitcnt lgkmcnt(0)
	v_add_f32_e32 v50, v50, v51
	v_lshlrev_b32_e32 v51, 2, v55
	ds_write2st64_b32 v51, v56, v50 offset1:1
.LBB1327_13:
	s_or_b64 exec, exec, s[4:5]
	s_waitcnt lgkmcnt(0)
	v_lshlrev_b32_e32 v51, 2, v58
	s_load_dword s6, s[0:1], 0x94
	s_waitcnt lgkmcnt(0)
	s_barrier
	ds_read2_b32 v[52:53], v51 offset1:16
	ds_read2_b32 v[56:57], v51 offset0:32 offset1:48
	ds_read2_b32 v[64:65], v51 offset0:64 offset1:80
	s_movk_i32 s8, 0x7fff
	s_lshl_b32 s7, s33, 2
	s_waitcnt lgkmcnt(2)
	v_max3_f32 v50, v52, s46, v53
	s_waitcnt lgkmcnt(1)
	v_max3_f32 v50, v50, v56, v57
	v_sub_f32_e32 v52, v52, v50
	v_mul_f32_e32 v52, 0x3fb8aa3b, v52
	v_exp_f32_e32 v55, v52
	v_sub_f32_e32 v52, v53, v50
	v_mul_f32_e32 v52, 0x3fb8aa3b, v52
	v_exp_f32_e32 v63, v52
	;; [unrolled: 3-line block ×3, first 2 shown]
	ds_read2_b32 v[52:53], v51 offset0:96 offset1:112
	v_sub_f32_e32 v51, v57, v50
	v_mul_f32_e32 v51, 0x3fb8aa3b, v51
	v_exp_f32_e32 v57, v51
	s_waitcnt lgkmcnt(1)
	v_fma_f32 v51, v55, v64, 0
	v_fmac_f32_e32 v51, v63, v65
	s_waitcnt lgkmcnt(0)
	v_fmac_f32_e32 v51, v56, v52
	v_fmac_f32_e32 v51, v57, v53
	v_add_f32_e32 v52, 0x358637bd, v51
	v_div_scale_f32 v53, s[4:5], v52, v52, 1.0
	v_rcp_f32_e32 v64, v53
	s_barrier
	v_fma_f32 v65, -v53, v64, 1.0
	v_fmac_f32_e32 v64, v65, v64
	v_div_scale_f32 v65, vcc, 1.0, v52, 1.0
	v_mul_f32_e32 v66, v65, v64
	v_fma_f32 v67, -v53, v66, v65
	v_fmac_f32_e32 v66, v67, v64
	v_fma_f32 v53, -v53, v66, v65
	v_div_fmas_f32 v53, v53, v64, v66
	v_cmp_eq_u32_e32 vcc, 1, v62
	v_div_fixup_f32 v52, v53, v52, 1.0
	s_nop 0
	v_cndmask_b32_e32 v53, v55, v63, vcc
	v_cmp_eq_u32_e32 vcc, 2, v62
	s_nop 1
	v_cndmask_b32_e32 v53, v53, v56, vcc
	v_cmp_eq_u32_e32 vcc, 3, v62
	s_nop 1
	v_cndmask_b32_e32 v53, v53, v57, vcc
	v_mul_f32_e32 v52, v53, v52
	v_pk_mul_f32 v[36:37], v[52:53], v[36:37] op_sel_hi:[0,1]
	v_pk_mul_f32 v[42:43], v[52:53], v[42:43] op_sel_hi:[0,1]
	v_bfe_u32 v53, v37, 16, 1
	v_bfe_u32 v55, v36, 16, 1
	v_add3_u32 v36, v36, v55, s8
	v_add3_u32 v37, v37, v53, s8
	v_perm_b32 v56, v37, v36, s44
	v_bfe_u32 v36, v43, 16, 1
	v_bfe_u32 v37, v42, 16, 1
	v_add3_u32 v37, v42, v37, s8
	v_add3_u32 v36, v43, v36, s8
	v_perm_b32 v57, v36, v37, s44
	v_lshlrev_b32_e32 v37, 3, v61
	v_lshlrev_b32_e32 v36, 5, v58
	;; [unrolled: 1-line block ×3, first 2 shown]
	v_pk_mul_f32 v[38:39], v[52:53], v[38:39] op_sel_hi:[0,1]
	v_or3_b32 v55, v42, v36, v37
	v_pk_mul_f32 v[42:43], v[52:53], v[48:49] op_sel_hi:[0,1]
	v_bfe_u32 v37, v39, 16, 1
	v_bfe_u32 v48, v38, 16, 1
	v_add3_u32 v38, v38, v48, s8
	v_add3_u32 v37, v39, v37, s8
	v_perm_b32 v38, v37, v38, s44
	v_bfe_u32 v37, v43, 16, 1
	v_bfe_u32 v39, v42, 16, 1
	v_add3_u32 v39, v42, v39, s8
	v_add3_u32 v37, v43, v37, s8
	v_pk_mul_f32 v[40:41], v[52:53], v[40:41] op_sel_hi:[0,1]
	v_perm_b32 v39, v37, v39, s44
	v_bfe_u32 v37, v41, 16, 1
	v_bfe_u32 v42, v40, 16, 1
	ds_write2st64_b64 v55, v[56:57], v[38:39] offset1:1
	v_pk_mul_f32 v[38:39], v[52:53], v[46:47] op_sel_hi:[0,1]
	v_add3_u32 v40, v40, v42, s8
	v_add3_u32 v37, v41, v37, s8
	v_perm_b32 v40, v37, v40, s44
	v_bfe_u32 v37, v39, 16, 1
	v_bfe_u32 v41, v38, 16, 1
	v_add3_u32 v38, v38, v41, s8
	v_add3_u32 v37, v39, v37, s8
	v_perm_b32 v41, v37, v38, s44
	v_pk_mul_f32 v[38:39], v[52:53], v[44:45] op_sel_hi:[0,1]
	v_bfe_u32 v37, v39, 16, 1
	v_bfe_u32 v42, v38, 16, 1
	v_pk_mul_f32 v[34:35], v[52:53], v[34:35] op_sel_hi:[0,1]
	v_add3_u32 v38, v38, v42, s8
	v_add3_u32 v37, v39, v37, s8
	v_perm_b32 v38, v37, v38, s44
	v_bfe_u32 v37, v35, 16, 1
	v_bfe_u32 v39, v34, 16, 1
	v_add3_u32 v34, v34, v39, s8
	v_add3_u32 v35, v35, v37, s8
	v_perm_b32 v39, v35, v34, s44
	v_cmp_gt_u32_e32 vcc, 4, v0
	ds_write2st64_b64 v55, v[40:41], v[38:39] offset0:2 offset1:3
	s_and_saveexec_b64 s[4:5], vcc
	s_cbranch_execz .LBB1327_15
; %bb.14:
	v_or_b32_e32 v34, s25, v0
	v_mov_b32_e32 v35, 0
	v_mov_b32_e32 v37, s7
	v_mad_u64_u32 v[38:39], s[10:11], s2, v37, v[34:35]
	v_mov_b32_e32 v34, s24
	s_load_dwordx4 s[12:15], s[0:1], 0x58
	s_mul_i32 s3, s3, s7
	v_mad_u64_u32 v[34:35], s[10:11], v38, s6, v[34:35]
	v_add_u32_e32 v37, s3, v39
	v_mov_b32_e32 v38, v35
	v_mad_u64_u32 v[38:39], s[10:11], v37, s6, v[38:39]
	v_mov_b32_e32 v35, v38
	v_lshlrev_b64 v[34:35], 2, v[34:35]
	s_waitcnt lgkmcnt(0)
	v_lshl_add_u64 v[38:39], s[14:15], 0, v[34:35]
	v_lshl_add_u64 v[34:35], s[12:13], 0, v[34:35]
	global_store_dword v[38:39], v50, off
	global_store_dword v[34:35], v51, off
.LBB1327_15:
	s_or_b64 exec, exec, s[4:5]
	v_lshl_or_b32 v50, v61, 9, v36
	s_waitcnt vmcnt(7)
	v_cvt_pk_f32_fp8_e32 v[34:35], v30
	v_cvt_pk_f32_fp8_sdwa v[36:37], v30 src0_sel:WORD_1
	s_mov_b32 s5, 0x7060302
	s_waitcnt lgkmcnt(0)
	s_barrier
	v_cvt_pk_f32_fp8_e32 v[38:39], v31
	v_perm_b32 v30, v35, v34, s5
	v_cvt_pk_f32_fp8_sdwa v[40:41], v31 src0_sel:WORD_1
	v_perm_b32 v31, v37, v36, s5
	ds_read_b128 v[34:37], v50
	v_perm_b32 v46, v39, v38, s5
	v_perm_b32 v47, v41, v40, s5
	ds_read_b128 v[38:41], v50 offset:16
	v_cvt_pk_f32_fp8_e32 v[48:49], v32
	v_cvt_pk_f32_fp8_sdwa v[52:53], v32 src0_sel:WORD_1
	s_waitcnt lgkmcnt(1)
	v_mfma_f32_16x16x16_bf16 v[42:45], v[30:31], v[34:35], 0
	s_waitcnt vmcnt(6)
	v_cvt_pk_f32_fp8_e32 v[56:57], v24
	v_perm_b32 v30, v49, v48, s5
	v_perm_b32 v31, v53, v52, s5
	v_cvt_pk_f32_fp8_e32 v[48:49], v33
	v_mfma_f32_16x16x16_bf16 v[42:45], v[46:47], v[36:37], v[42:45]
	v_cvt_pk_f32_fp8_sdwa v[46:47], v33 src0_sel:WORD_1
	v_cvt_pk_f32_fp8_sdwa v[62:63], v24 src0_sel:WORD_1
	v_perm_b32 v48, v49, v48, s5
	s_waitcnt lgkmcnt(0)
	v_mfma_f32_16x16x16_bf16 v[30:33], v[30:31], v[38:39], v[42:45]
	v_perm_b32 v49, v47, v46, s5
	s_waitcnt vmcnt(5)
	v_cvt_pk_f32_fp8_sdwa v[66:67], v12 src0_sel:WORD_1
	s_waitcnt vmcnt(4)
	v_cvt_pk_f32_fp8_sdwa v[68:69], v4 src0_sel:WORD_1
	v_cvt_pk_f32_fp8_e32 v[42:43], v22
	v_mfma_f32_16x16x16_bf16 v[46:49], v[48:49], v[40:41], v[30:33]
	s_load_dword s4, s[42:43], 0x0
	s_waitcnt vmcnt(3)
	v_cvt_pk_f32_fp8_sdwa v[70:71], v28 src0_sel:WORD_1
	v_cvt_pk_f32_fp8_sdwa v[30:31], v22 src0_sel:WORD_1
	v_cvt_pk_f32_fp8_e32 v[32:33], v23
	v_perm_b32 v22, v43, v42, s5
	v_cvt_pk_f32_fp8_sdwa v[42:43], v23 src0_sel:WORD_1
	v_perm_b32 v23, v31, v30, s5
	v_perm_b32 v52, v33, v32, s5
	ds_read_b128 v[30:33], v50 offset:2048
	v_perm_b32 v53, v43, v42, s5
	ds_read_b128 v[42:45], v50 offset:2064
	s_waitcnt lgkmcnt(0)
	v_mfma_f32_16x16x16_bf16 v[46:49], v[22:23], v[30:31], v[46:49]
	v_perm_b32 v22, v57, v56, s5
	v_perm_b32 v23, v63, v62, s5
	v_cvt_pk_f32_fp8_e32 v[56:57], v25
	v_mfma_f32_16x16x16_bf16 v[46:49], v[52:53], v[32:33], v[46:49]
	v_cvt_pk_f32_fp8_sdwa v[52:53], v25 src0_sel:WORD_1
	s_mov_b32 s3, 0
	v_perm_b32 v56, v57, v56, s5
	v_mfma_f32_16x16x16_bf16 v[22:25], v[22:23], v[42:43], v[46:49]
	v_perm_b32 v57, v53, v52, s5
	s_nop 1
	v_cvt_pk_f32_fp8_e32 v[46:47], v10
	v_mfma_f32_16x16x16_bf16 v[62:65], v[56:57], v[44:45], v[22:25]
	v_cvt_pk_f32_fp8_e32 v[56:57], v12
	s_nop 1
	v_cvt_pk_f32_fp8_sdwa v[22:23], v10 src0_sel:WORD_1
	v_cvt_pk_f32_fp8_e32 v[24:25], v11
	v_perm_b32 v10, v47, v46, s5
	v_cvt_pk_f32_fp8_sdwa v[46:47], v11 src0_sel:WORD_1
	v_perm_b32 v11, v23, v22, s5
	v_perm_b32 v52, v25, v24, s5
	ds_read_b128 v[22:25], v50 offset:4096
	v_perm_b32 v53, v47, v46, s5
	ds_read_b128 v[46:49], v50 offset:4112
	s_waitcnt lgkmcnt(1)
	v_mfma_f32_16x16x16_bf16 v[62:65], v[10:11], v[22:23], v[62:65]
	v_perm_b32 v10, v57, v56, s5
	v_perm_b32 v11, v67, v66, s5
	v_cvt_pk_f32_fp8_e32 v[56:57], v13
	v_mfma_f32_16x16x16_bf16 v[62:65], v[52:53], v[24:25], v[62:65]
	v_cvt_pk_f32_fp8_sdwa v[52:53], v13 src0_sel:WORD_1
	v_cvt_pk_f32_fp8_e32 v[66:67], v4
	v_perm_b32 v56, v57, v56, s5
	s_waitcnt lgkmcnt(0)
	v_mfma_f32_16x16x16_bf16 v[10:13], v[10:11], v[46:47], v[62:65]
	v_perm_b32 v57, v53, v52, s5
	v_cvt_pk_f32_fp8_e32 v[52:53], v2
	s_nop 0
	v_mfma_f32_16x16x16_bf16 v[62:65], v[56:57], v[48:49], v[10:13]
	s_nop 2
	v_cvt_pk_f32_fp8_sdwa v[10:11], v2 src0_sel:WORD_1
	v_cvt_pk_f32_fp8_e32 v[12:13], v3
	v_perm_b32 v2, v53, v52, s5
	v_cvt_pk_f32_fp8_sdwa v[52:53], v3 src0_sel:WORD_1
	v_perm_b32 v3, v11, v10, s5
	v_perm_b32 v56, v13, v12, s5
	ds_read_b128 v[10:13], v50 offset:6144
	v_perm_b32 v57, v53, v52, s5
	s_waitcnt lgkmcnt(0)
	v_mfma_f32_16x16x16_bf16 v[62:65], v[2:3], v[10:11], v[62:65]
	ds_read_b128 v[50:53], v50 offset:6160
	v_perm_b32 v2, v67, v66, s5
	v_perm_b32 v3, v69, v68, s5
	v_cvt_pk_f32_fp8_e32 v[66:67], v5
	v_mfma_f32_16x16x16_bf16 v[62:65], v[56:57], v[12:13], v[62:65]
	v_cvt_pk_f32_fp8_sdwa v[56:57], v5 src0_sel:WORD_1
	v_cvt_pk_f32_fp8_e32 v[68:69], v28
	v_perm_b32 v66, v67, v66, s5
	s_waitcnt lgkmcnt(0)
	v_mfma_f32_16x16x16_bf16 v[2:5], v[2:3], v[50:51], v[62:65]
	v_perm_b32 v67, v57, v56, s5
	v_cvt_pk_f32_fp8_sdwa v[56:57], v26 src0_sel:WORD_1
	s_nop 0
	v_mfma_f32_16x16x16_bf16 v[62:65], v[66:67], v[52:53], v[2:5]
	s_barrier
	s_nop 1
	v_cvt_pk_f32_fp8_e32 v[4:5], v26
	s_nop 2
	v_pk_mul_f32 v[66:67], v[62:63], s[4:5] op_sel_hi:[1,0]
	v_cvt_pk_f32_fp8_e32 v[62:63], v27
	v_perm_b32 v4, v5, v4, s5
	v_perm_b32 v5, v57, v56, s5
	v_cvt_pk_f32_fp8_sdwa v[26:27], v27 src0_sel:WORD_1
	v_perm_b32 v56, v63, v62, s5
	v_pk_mul_f32 v[2:3], v[64:65], s[4:5] op_sel_hi:[1,0]
	v_mfma_f32_16x16x16_bf16 v[62:65], v[4:5], v[34:35], 0
	v_perm_b32 v57, v27, v26, s5
	v_perm_b32 v4, v69, v68, s5
	;; [unrolled: 1-line block ×3, first 2 shown]
	v_cvt_pk_f32_fp8_e32 v[34:35], v29
	v_cvt_pk_f32_fp8_sdwa v[68:69], v29 src0_sel:WORD_1
	v_mfma_f32_16x16x16_bf16 v[26:29], v[56:57], v[36:37], v[62:65]
	s_waitcnt vmcnt(2)
	v_cvt_pk_f32_fp8_sdwa v[36:37], v18 src0_sel:WORD_1
	v_perm_b32 v34, v35, v34, s5
	v_perm_b32 v35, v69, v68, s5
	v_mfma_f32_16x16x16_bf16 v[26:29], v[4:5], v[38:39], v[26:29]
	v_cvt_pk_f32_fp8_e32 v[4:5], v18
	v_cvt_pk_f32_fp8_sdwa v[38:39], v20 src0_sel:WORD_1
	v_bfe_u32 v56, v67, 16, 1
	v_mfma_f32_16x16x16_bf16 v[26:29], v[34:35], v[40:41], v[26:29]
	v_cvt_pk_f32_fp8_e32 v[34:35], v19
	v_perm_b32 v4, v5, v4, s5
	v_perm_b32 v5, v37, v36, s5
	v_cvt_pk_f32_fp8_sdwa v[18:19], v19 src0_sel:WORD_1
	v_perm_b32 v34, v35, v34, s5
	v_cvt_pk_f32_fp8_e32 v[36:37], v20
	v_mfma_f32_16x16x16_bf16 v[26:29], v[4:5], v[30:31], v[26:29]
	v_perm_b32 v35, v19, v18, s5
	v_perm_b32 v4, v37, v36, s5
	;; [unrolled: 1-line block ×3, first 2 shown]
	v_cvt_pk_f32_fp8_e32 v[30:31], v21
	v_cvt_pk_f32_fp8_sdwa v[36:37], v21 src0_sel:WORD_1
	v_mfma_f32_16x16x16_bf16 v[18:21], v[34:35], v[32:33], v[26:29]
	v_bfe_u32 v57, v66, 16, 1
	v_add3_u32 v32, v66, v57, s8
	v_add3_u32 v33, v67, v56, s8
	v_perm_b32 v26, v31, v30, s5
	v_perm_b32 v27, v37, v36, s5
	v_mfma_f32_16x16x16_bf16 v[18:21], v[4:5], v[42:43], v[18:21]
	s_waitcnt vmcnt(1)
	v_cvt_pk_f32_fp8_e32 v[4:5], v14
	v_cvt_pk_f32_fp8_sdwa v[28:29], v14 src0_sel:WORD_1
	v_cvt_pk_f32_fp8_sdwa v[30:31], v16 src0_sel:WORD_1
	v_mfma_f32_16x16x16_bf16 v[18:21], v[26:27], v[44:45], v[18:21]
	v_cvt_pk_f32_fp8_e32 v[26:27], v15
	v_perm_b32 v4, v5, v4, s5
	v_perm_b32 v5, v29, v28, s5
	v_cvt_pk_f32_fp8_sdwa v[14:15], v15 src0_sel:WORD_1
	v_perm_b32 v26, v27, v26, s5
	v_cvt_pk_f32_fp8_e32 v[28:29], v16
	v_mfma_f32_16x16x16_bf16 v[18:21], v[4:5], v[22:23], v[18:21]
	v_perm_b32 v27, v15, v14, s5
	v_perm_b32 v4, v29, v28, s5
	;; [unrolled: 1-line block ×3, first 2 shown]
	v_cvt_pk_f32_fp8_e32 v[22:23], v17
	v_cvt_pk_f32_fp8_sdwa v[28:29], v17 src0_sel:WORD_1
	v_mfma_f32_16x16x16_bf16 v[14:17], v[26:27], v[24:25], v[18:21]
	s_waitcnt vmcnt(0)
	v_cvt_pk_f32_fp8_sdwa v[24:25], v8 src0_sel:WORD_1
	s_nop 0
	v_perm_b32 v20, v23, v22, s5
	v_perm_b32 v21, v29, v28, s5
	v_mfma_f32_16x16x16_bf16 v[14:17], v[4:5], v[46:47], v[14:17]
	v_cvt_pk_f32_fp8_e32 v[4:5], v6
	v_cvt_pk_f32_fp8_sdwa v[22:23], v6 src0_sel:WORD_1
	v_bfe_u32 v19, v3, 16, 1
	v_mfma_f32_16x16x16_bf16 v[14:17], v[20:21], v[48:49], v[14:17]
	v_cvt_pk_f32_fp8_e32 v[20:21], v7
	v_perm_b32 v4, v5, v4, s5
	v_perm_b32 v5, v23, v22, s5
	v_cvt_pk_f32_fp8_sdwa v[6:7], v7 src0_sel:WORD_1
	v_perm_b32 v20, v21, v20, s5
	v_cvt_pk_f32_fp8_e32 v[22:23], v8
	v_add3_u32 v3, v3, v19, s8
	v_perm_b32 v21, v7, v6, s5
	v_mfma_f32_16x16x16_bf16 v[4:7], v[4:5], v[10:11], v[14:17]
	v_perm_b32 v10, v23, v22, s5
	v_perm_b32 v11, v25, v24, s5
	;; [unrolled: 1-line block ×3, first 2 shown]
	v_cvt_pk_f32_fp8_e32 v[14:15], v9
	v_cvt_pk_f32_fp8_sdwa v[8:9], v9 src0_sel:WORD_1
	v_mfma_f32_16x16x16_bf16 v[4:7], v[20:21], v[12:13], v[4:7]
	v_bfe_u32 v16, v2, 16, 1
	v_perm_b32 v12, v15, v14, s5
	v_perm_b32 v13, v9, v8, s5
	v_mfma_f32_16x16x16_bf16 v[4:7], v[10:11], v[50:51], v[4:7]
	v_add3_u32 v2, v2, v16, s8
	v_perm_b32 v19, v3, v2, s5
	v_mfma_f32_16x16x16_bf16 v[2:5], v[12:13], v[52:53], v[4:7]
	s_nop 6
	v_pk_mul_f32 v[2:3], v[2:3], s[4:5] op_sel_hi:[1,0]
	v_pk_mul_f32 v[4:5], v[4:5], s[4:5] op_sel_hi:[1,0]
	v_bfe_u32 v6, v3, 16, 1
	v_bfe_u32 v7, v2, 16, 1
	v_add3_u32 v2, v2, v7, s8
	v_add3_u32 v3, v3, v6, s8
	v_perm_b32 v2, v3, v2, s5
	v_bfe_u32 v3, v5, 16, 1
	v_bfe_u32 v6, v4, 16, 1
	v_add3_u32 v4, v4, v6, s8
	v_add3_u32 v3, v5, v3, s8
	v_perm_b32 v3, v3, v4, s5
	ds_write2st64_b64 v55, v[18:19], v[2:3] offset1:1
	s_waitcnt lgkmcnt(0)
	s_barrier
	s_and_saveexec_b64 s[4:5], s[26:27]
	s_cbranch_execz .LBB1327_17
; %bb.16:
	s_load_dwordx2 s[0:1], s[0:1], 0x68
	s_lshl_b32 s6, s6, 7
	s_mul_i32 s2, s7, s2
	v_lshlrev_b32_e32 v3, 6, v58
	s_mul_hi_u32 s5, s2, s6
	s_mul_i32 s4, s2, s6
	v_lshl_or_b32 v0, v0, 10, v3
	s_lshl_b64 s[4:5], s[4:5], 1
	v_and_b32_e32 v2, 16, v60
	v_and_b32_e32 v0, 0x1a00, v0
	s_waitcnt lgkmcnt(0)
	s_add_u32 s4, s0, s4
	v_or3_b32 v0, v0, v59, v2
	s_addc_u32 s5, s1, s5
	s_lshl_b32 s2, s24, 7
	ds_read_b128 v[2:5], v0
	s_lshl_b64 s[0:1], s[2:3], 1
	s_add_u32 s0, s4, s0
	s_addc_u32 s1, s5, s1
	v_mad_u64_u32 v[0:1], s[2:3], s6, v1, 0
	v_lshl_add_u64 v[0:1], v[0:1], 1, s[0:1]
	v_mov_b32_e32 v55, 0
	v_lshl_add_u64 v[0:1], v[0:1], 0, v[54:55]
	s_waitcnt lgkmcnt(0)
	global_store_dwordx4 v[0:1], v[2:5], off
.LBB1327_17:
	s_endpgm
	.section	.rodata,"a",@progbits
	.p2align	6, 0x0
	.amdhsa_kernel _Z39paged_attention_ll4mi_QKV_mfma16_kernelI14__hip_bfloat16hLN4vllm18Fp8KVCacheDataTypeE1ES0_Li16ELi128ELi256ELb0ELi4EEvPKT_PKT0_S8_ifPKiSA_SA_iPKfiiiPfSD_PS3_PT2_iSC_SC_
		.amdhsa_group_segment_fixed_size 8192
		.amdhsa_private_segment_fixed_size 0
		.amdhsa_kernarg_size 400
		.amdhsa_user_sgpr_count 2
		.amdhsa_user_sgpr_dispatch_ptr 0
		.amdhsa_user_sgpr_queue_ptr 0
		.amdhsa_user_sgpr_kernarg_segment_ptr 1
		.amdhsa_user_sgpr_dispatch_id 0
		.amdhsa_user_sgpr_kernarg_preload_length 0
		.amdhsa_user_sgpr_kernarg_preload_offset 0
		.amdhsa_user_sgpr_private_segment_size 0
		.amdhsa_uses_dynamic_stack 0
		.amdhsa_enable_private_segment 0
		.amdhsa_system_sgpr_workgroup_id_x 1
		.amdhsa_system_sgpr_workgroup_id_y 1
		.amdhsa_system_sgpr_workgroup_id_z 1
		.amdhsa_system_sgpr_workgroup_info 0
		.amdhsa_system_vgpr_workitem_id 0
		.amdhsa_next_free_vgpr 92
		.amdhsa_next_free_sgpr 49
		.amdhsa_accum_offset 92
		.amdhsa_reserve_vcc 1
		.amdhsa_float_round_mode_32 0
		.amdhsa_float_round_mode_16_64 0
		.amdhsa_float_denorm_mode_32 3
		.amdhsa_float_denorm_mode_16_64 3
		.amdhsa_dx10_clamp 1
		.amdhsa_ieee_mode 1
		.amdhsa_fp16_overflow 0
		.amdhsa_tg_split 0
		.amdhsa_exception_fp_ieee_invalid_op 0
		.amdhsa_exception_fp_denorm_src 0
		.amdhsa_exception_fp_ieee_div_zero 0
		.amdhsa_exception_fp_ieee_overflow 0
		.amdhsa_exception_fp_ieee_underflow 0
		.amdhsa_exception_fp_ieee_inexact 0
		.amdhsa_exception_int_div_zero 0
	.end_amdhsa_kernel
	.section	.text._Z39paged_attention_ll4mi_QKV_mfma16_kernelI14__hip_bfloat16hLN4vllm18Fp8KVCacheDataTypeE1ES0_Li16ELi128ELi256ELb0ELi4EEvPKT_PKT0_S8_ifPKiSA_SA_iPKfiiiPfSD_PS3_PT2_iSC_SC_,"axG",@progbits,_Z39paged_attention_ll4mi_QKV_mfma16_kernelI14__hip_bfloat16hLN4vllm18Fp8KVCacheDataTypeE1ES0_Li16ELi128ELi256ELb0ELi4EEvPKT_PKT0_S8_ifPKiSA_SA_iPKfiiiPfSD_PS3_PT2_iSC_SC_,comdat
.Lfunc_end1327:
	.size	_Z39paged_attention_ll4mi_QKV_mfma16_kernelI14__hip_bfloat16hLN4vllm18Fp8KVCacheDataTypeE1ES0_Li16ELi128ELi256ELb0ELi4EEvPKT_PKT0_S8_ifPKiSA_SA_iPKfiiiPfSD_PS3_PT2_iSC_SC_, .Lfunc_end1327-_Z39paged_attention_ll4mi_QKV_mfma16_kernelI14__hip_bfloat16hLN4vllm18Fp8KVCacheDataTypeE1ES0_Li16ELi128ELi256ELb0ELi4EEvPKT_PKT0_S8_ifPKiSA_SA_iPKfiiiPfSD_PS3_PT2_iSC_SC_
                                        ; -- End function
	.section	.AMDGPU.csdata,"",@progbits
; Kernel info:
; codeLenInByte = 6216
; NumSgprs: 55
; NumVgprs: 92
; NumAgprs: 0
; TotalNumVgprs: 92
; ScratchSize: 0
; MemoryBound: 0
; FloatMode: 240
; IeeeMode: 1
; LDSByteSize: 8192 bytes/workgroup (compile time only)
; SGPRBlocks: 6
; VGPRBlocks: 11
; NumSGPRsForWavesPerEU: 55
; NumVGPRsForWavesPerEU: 92
; AccumOffset: 92
; Occupancy: 5
; WaveLimiterHint : 1
; COMPUTE_PGM_RSRC2:SCRATCH_EN: 0
; COMPUTE_PGM_RSRC2:USER_SGPR: 2
; COMPUTE_PGM_RSRC2:TRAP_HANDLER: 0
; COMPUTE_PGM_RSRC2:TGID_X_EN: 1
; COMPUTE_PGM_RSRC2:TGID_Y_EN: 1
; COMPUTE_PGM_RSRC2:TGID_Z_EN: 1
; COMPUTE_PGM_RSRC2:TIDIG_COMP_CNT: 0
; COMPUTE_PGM_RSRC3_GFX90A:ACCUM_OFFSET: 22
; COMPUTE_PGM_RSRC3_GFX90A:TG_SPLIT: 0
	.section	.text._Z38paged_attention_ll4mi_QKV_mfma4_kernelI14__hip_bfloat16hLN4vllm18Fp8KVCacheDataTypeE1EhLi32ELi128ELi256ELb1ELi1EEvPKT_PKT0_S8_ifPKiSA_SA_iPKfiiiPfSD_PS3_PT2_iSC_SC_,"axG",@progbits,_Z38paged_attention_ll4mi_QKV_mfma4_kernelI14__hip_bfloat16hLN4vllm18Fp8KVCacheDataTypeE1EhLi32ELi128ELi256ELb1ELi1EEvPKT_PKT0_S8_ifPKiSA_SA_iPKfiiiPfSD_PS3_PT2_iSC_SC_,comdat
	.protected	_Z38paged_attention_ll4mi_QKV_mfma4_kernelI14__hip_bfloat16hLN4vllm18Fp8KVCacheDataTypeE1EhLi32ELi128ELi256ELb1ELi1EEvPKT_PKT0_S8_ifPKiSA_SA_iPKfiiiPfSD_PS3_PT2_iSC_SC_ ; -- Begin function _Z38paged_attention_ll4mi_QKV_mfma4_kernelI14__hip_bfloat16hLN4vllm18Fp8KVCacheDataTypeE1EhLi32ELi128ELi256ELb1ELi1EEvPKT_PKT0_S8_ifPKiSA_SA_iPKfiiiPfSD_PS3_PT2_iSC_SC_
	.globl	_Z38paged_attention_ll4mi_QKV_mfma4_kernelI14__hip_bfloat16hLN4vllm18Fp8KVCacheDataTypeE1EhLi32ELi128ELi256ELb1ELi1EEvPKT_PKT0_S8_ifPKiSA_SA_iPKfiiiPfSD_PS3_PT2_iSC_SC_
	.p2align	8
	.type	_Z38paged_attention_ll4mi_QKV_mfma4_kernelI14__hip_bfloat16hLN4vllm18Fp8KVCacheDataTypeE1EhLi32ELi128ELi256ELb1ELi1EEvPKT_PKT0_S8_ifPKiSA_SA_iPKfiiiPfSD_PS3_PT2_iSC_SC_,@function
_Z38paged_attention_ll4mi_QKV_mfma4_kernelI14__hip_bfloat16hLN4vllm18Fp8KVCacheDataTypeE1EhLi32ELi128ELi256ELb1ELi1EEvPKT_PKT0_S8_ifPKiSA_SA_iPKfiiiPfSD_PS3_PT2_iSC_SC_: ; @_Z38paged_attention_ll4mi_QKV_mfma4_kernelI14__hip_bfloat16hLN4vllm18Fp8KVCacheDataTypeE1EhLi32ELi128ELi256ELb1ELi1EEvPKT_PKT0_S8_ifPKiSA_SA_iPKfiiiPfSD_PS3_PT2_iSC_SC_
; %bb.0:
	s_load_dwordx2 s[8:9], s[0:1], 0x30
	s_mov_b32 s20, s3
	s_mov_b64 s[6:7], 0
	s_waitcnt lgkmcnt(0)
	s_cmp_lg_u64 s[8:9], 0
	s_cselect_b64 s[10:11], -1, 0
	s_and_b64 vcc, exec, s[10:11]
	s_cbranch_vccz .LBB1328_10
; %bb.1:
	s_add_i32 s12, s2, 1
	s_mov_b32 s13, 0
	s_lshl_b64 s[14:15], s[12:13], 2
	s_add_u32 s14, s8, s14
	s_mov_b32 s3, s13
	s_addc_u32 s15, s9, s15
	s_lshl_b64 s[12:13], s[2:3], 2
	s_add_u32 s12, s8, s12
	s_addc_u32 s13, s9, s13
	s_load_dword s5, s[14:15], 0x0
	s_load_dword s16, s[12:13], 0x0
	s_waitcnt lgkmcnt(0)
	s_sub_i32 s5, s5, s16
	s_cmp_eq_u32 s5, 1
	s_cselect_b64 s[12:13], -1, 0
	s_andn2_b64 vcc, exec, s[6:7]
	s_cbranch_vccnz .LBB1328_3
.LBB1328_2:
	s_mov_b32 s3, 0
	s_mov_b64 s[12:13], -1
.LBB1328_3:
	s_andn2_b64 vcc, exec, s[12:13]
	s_cbranch_vccnz .LBB1328_27
; %bb.4:
	s_load_dword s5, s[0:1], 0x9c
	s_load_dwordx2 s[6:7], s[0:1], 0x28
	s_add_u32 s24, s0, 0x90
	s_addc_u32 s25, s1, 0
	s_lshl_b64 s[28:29], s[2:3], 2
	s_waitcnt lgkmcnt(0)
	s_and_b32 s5, s5, 0xffff
	s_add_u32 s6, s6, s28
	s_addc_u32 s7, s7, s29
	s_load_dword s3, s[6:7], 0x0
	s_mul_i32 s5, s20, s5
	s_waitcnt lgkmcnt(0)
	s_cmp_ge_i32 s5, s3
	s_cbranch_scc1 .LBB1328_27
; %bb.5:
	v_and_b32_e32 v1, 0xc0, v0
	v_add_u32_e32 v4, s5, v1
	v_lshrrev_b32_e32 v46, 6, v0
	v_cmp_le_i32_e64 s[6:7], s3, v4
                                        ; implicit-def: $sgpr30
                                        ; implicit-def: $sgpr21
	s_and_saveexec_b64 s[12:13], s[6:7]
	s_xor_b64 s[12:13], exec, s[12:13]
	s_cbranch_execz .LBB1328_7
; %bb.6:
	v_mul_u32_u24_e32 v1, 20, v46
	v_or_b32_e32 v1, 0x1400, v1
	v_mov_b32_e32 v2, 0x1450
	v_mov_b32_e32 v3, 0xff7fffff
	v_mad_u32_u24 v2, v46, 20, v2
	ds_write2_b32 v1, v3, v3 offset1:1
	v_mov_b32_e32 v1, 0
	ds_write2_b32 v2, v1, v1 offset1:1
	v_mov_b32_e32 v2, 0x1408
	v_mov_b32_e32 v4, 0x1458
	s_mov_b32 s21, 0xff7fffff
	s_mov_b32 s30, 0
	v_mad_u32_u24 v2, v46, 20, v2
	v_mad_u32_u24 v4, v46, 20, v4
	ds_write2_b32 v2, v3, v3 offset1:1
	ds_write2_b32 v4, v1, v1 offset1:1
                                        ; implicit-def: $vgpr4
.LBB1328_7:
	s_or_saveexec_b64 s[26:27], s[12:13]
	s_load_dwordx2 s[22:23], s[0:1], 0x68
	s_load_dwordx4 s[16:19], s[0:1], 0x58
	s_load_dword s33, s[24:25], 0x4
	s_load_dwordx4 s[12:15], s[0:1], 0x80
	v_and_b32_e32 v1, 63, v0
	v_and_b32_e32 v47, 3, v0
	v_mov_b32_e32 v37, s30
	v_mov_b32_e32 v41, s21
	;; [unrolled: 1-line block ×5, first 2 shown]
                                        ; implicit-def: $vgpr26_vgpr27
                                        ; implicit-def: $vgpr10_vgpr11
                                        ; implicit-def: $vgpr30_vgpr31
                                        ; implicit-def: $vgpr18_vgpr19
                                        ; implicit-def: $vgpr6_vgpr7
                                        ; implicit-def: $vgpr2_vgpr3
                                        ; implicit-def: $vgpr22_vgpr23
                                        ; implicit-def: $vgpr14_vgpr15
	s_xor_b64 exec, exec, s[26:27]
	s_cbranch_execz .LBB1328_19
; %bb.8:
	s_load_dwordx2 s[30:31], s[0:1], 0x20
	s_load_dword s21, s[0:1], 0x38
	s_add_i32 s34, s3, 31
	s_ashr_i32 s35, s34, 31
	s_lshr_b32 s35, s35, 27
	v_add_u32_e32 v48, s5, v0
	s_add_i32 s34, s34, s35
	v_ashrrev_i32_e32 v2, 31, v48
	s_ashr_i32 s34, s34, 5
	v_lshrrev_b32_e32 v2, 27, v2
	s_add_i32 s36, s34, -1
	s_waitcnt lgkmcnt(0)
	s_mul_i32 s34, s2, s21
	s_mov_b32 s35, 0
	v_add_u32_e32 v2, v48, v2
	s_lshl_b64 s[34:35], s[34:35], 2
	v_ashrrev_i32_e32 v2, 5, v2
	v_mov_b32_e32 v3, s36
	v_cmp_gt_i32_e32 vcc, s3, v48
	s_add_u32 s30, s30, s34
	s_addc_u32 s31, s31, s35
	v_cndmask_b32_e32 v2, v3, v2, vcc
	v_ashrrev_i32_e32 v3, 31, v2
	v_lshl_add_u64 v[6:7], v[2:3], 2, s[30:31]
	v_ashrrev_i32_e32 v2, 31, v4
	v_lshrrev_b32_e32 v2, 27, v2
	v_add_u32_e32 v2, v4, v2
	v_ashrrev_i32_e32 v8, 5, v2
	v_min_i32_e32 v2, s36, v8
	v_ashrrev_i32_e32 v3, 31, v2
	v_lshl_add_u64 v[4:5], v[2:3], 2, s[30:31]
	v_add_u32_e32 v2, 1, v8
	v_min_i32_e32 v2, s36, v2
	v_ashrrev_i32_e32 v3, 31, v2
	v_lshl_add_u64 v[8:9], v[2:3], 2, s[30:31]
	global_load_dword v2, v[6:7], off
	global_load_dword v27, v[4:5], off
	;; [unrolled: 1-line block ×3, first 2 shown]
	s_load_dwordx2 s[34:35], s[0:1], 0x8
	s_andn2_b64 vcc, exec, s[10:11]
	s_cbranch_vccnz .LBB1328_11
; %bb.9:
	s_add_u32 s8, s8, s28
	s_addc_u32 s9, s9, s29
	s_load_dword s5, s[8:9], 0x0
	s_branch .LBB1328_12
.LBB1328_10:
	s_mov_b64 s[12:13], 0
	s_branch .LBB1328_2
.LBB1328_11:
	s_mov_b32 s5, s2
.LBB1328_12:
	s_load_dwordx2 s[28:29], s[0:1], 0x10
	s_load_dwordx4 s[8:11], s[0:1], 0x48
	v_cmp_eq_u32_e32 vcc, 0, v47
	s_mov_b32 s31, 0
	v_mov_b32_e32 v43, 0
	v_mov_b32_e32 v14, 0
	;; [unrolled: 1-line block ×5, first 2 shown]
	s_and_saveexec_b64 s[36:37], vcc
	s_cbranch_execz .LBB1328_14
; %bb.13:
	s_load_dwordx2 s[38:39], s[0:1], 0x0
	s_waitcnt lgkmcnt(0)
	s_ashr_i32 s11, s8, 31
	s_mul_hi_u32 s21, s5, s8
	s_mul_i32 s11, s5, s11
	s_add_i32 s41, s21, s11
	s_mul_i32 s40, s5, s8
	s_lshl_b64 s[40:41], s[40:41], 1
	s_add_u32 s5, s38, s40
	s_addc_u32 s8, s39, s41
	s_lshl_b32 s30, s4, 7
	s_lshl_b64 s[38:39], s[30:31], 1
	s_add_u32 s38, s5, s38
	s_addc_u32 s39, s8, s39
	v_lshlrev_b32_e32 v3, 2, v1
	global_load_dwordx4 v[14:17], v3, s[38:39]
.LBB1328_14:
	s_or_b64 exec, exec, s[36:37]
	s_waitcnt lgkmcnt(0)
	s_mul_i32 s8, s4, s10
	s_add_u32 s10, s8, s34
	s_addc_u32 s11, 0, s35
	v_mov_b64_e32 v[4:5], s[10:11]
	s_waitcnt vmcnt(2)
	v_mad_i64_i32 v[2:3], s[10:11], v2, s9, v[4:5]
	v_lshlrev_b32_e32 v4, 4, v0
	v_and_b32_e32 v42, 0x1f0, v4
	v_lshl_add_u64 v[28:29], v[2:3], 0, v[42:43]
	global_load_dwordx4 v[10:13], v[28:29], off
	global_load_dwordx4 v[6:9], v[28:29], off offset:512
	global_load_dwordx4 v[2:5], v[28:29], off offset:1024
	;; [unrolled: 1-line block ×7, first 2 shown]
	v_mov_b32_e32 v42, 0
	s_and_saveexec_b64 s[10:11], vcc
	s_cbranch_execz .LBB1328_16
; %bb.15:
	s_load_dwordx2 s[34:35], s[0:1], 0x40
	s_mov_b32 s5, s31
	s_lshl_b64 s[30:31], s[4:5], 2
	v_mov_b32_e32 v43, 1.0
	s_waitcnt lgkmcnt(0)
	s_add_u32 s30, s34, s30
	s_addc_u32 s31, s35, s31
	s_load_dword s5, s[30:31], 0x0
	s_waitcnt lgkmcnt(0)
	v_mov_b32_e32 v42, s5
.LBB1328_16:
	s_or_b64 exec, exec, s[10:11]
	s_waitcnt vmcnt(9)
	v_mul_hi_i32 v28, v27, s9
	v_ashrrev_i32_e32 v28, 31, v28
	s_add_u32 s10, s28, s8
	v_lshrrev_b32_e32 v28, 29, v28
	v_mov_b32_e32 v29, 0
	s_addc_u32 s11, s29, 0
	v_mad_i64_i32 v[44:45], s[28:29], v27, s9, v[28:29]
	v_and_b32_e32 v44, -8, v44
	s_waitcnt vmcnt(8)
	v_mul_hi_i32 v27, v26, s9
	v_lshl_add_u64 v[44:45], s[10:11], 0, v[44:45]
	v_lshlrev_b32_e32 v28, 5, v1
	v_ashrrev_i32_e32 v27, 31, v27
	v_lshl_add_u64 v[50:51], v[44:45], 0, v[28:29]
	v_lshrrev_b32_e32 v44, 29, v27
	v_mov_b32_e32 v45, v29
	v_mad_i64_i32 v[26:27], s[8:9], v26, s9, v[44:45]
	v_and_b32_e32 v26, -8, v26
	v_lshl_add_u64 v[26:27], s[10:11], 0, v[26:27]
	v_lshl_add_u64 v[44:45], v[26:27], 0, v[28:29]
	s_waitcnt vmcnt(7)
	v_cvt_pk_f32_fp8_e32 v[26:27], v10
	v_cvt_pk_f32_fp8_sdwa v[28:29], v10 src0_sel:WORD_1
	v_cvt_pk_f32_fp8_e32 v[52:53], v11
	v_cvt_pk_f32_fp8_sdwa v[10:11], v11 src0_sel:WORD_1
	s_mov_b32 s5, 0x7060302
	v_perm_b32 v26, v27, v26, s5
	v_perm_b32 v27, v29, v28, s5
	;; [unrolled: 1-line block ×3, first 2 shown]
	v_cvt_pk_f32_fp8_e32 v[10:11], v12
	v_mfma_f32_4x4x4_16b_bf16 a[0:3], v[14:15], v[26:27], 0 cbsz:4
	v_cvt_pk_f32_fp8_sdwa v[26:27], v12 src0_sel:WORD_1
	v_perm_b32 v28, v53, v52, s5
	v_perm_b32 v10, v11, v10, s5
	s_waitcnt vmcnt(4)
	v_cvt_pk_f32_fp8_e32 v[52:53], v41
	v_mfma_f32_4x4x4_16b_bf16 a[0:3], v[16:17], v[28:29], a[0:3] cbsz:4
	v_cvt_pk_f32_fp8_e32 v[28:29], v13
	v_cvt_pk_f32_fp8_sdwa v[12:13], v13 src0_sel:WORD_1
	v_perm_b32 v11, v27, v26, s5
	s_load_dword s0, s[0:1], 0x1c
	v_perm_b32 v26, v29, v28, s5
	v_mfma_f32_4x4x4_16b_bf16 a[0:3], v[14:15], v[10:11], a[0:3] cbsz:4 abid:1
	v_perm_b32 v27, v13, v12, s5
	v_cvt_pk_f32_fp8_e32 v[10:11], v6
	v_cvt_pk_f32_fp8_sdwa v[12:13], v6 src0_sel:WORD_1
	v_mfma_f32_4x4x4_16b_bf16 a[0:3], v[16:17], v[26:27], a[0:3] cbsz:4 abid:1
	v_cvt_pk_f32_fp8_e32 v[26:27], v7
	v_cvt_pk_f32_fp8_sdwa v[6:7], v7 src0_sel:WORD_1
	v_perm_b32 v28, v11, v10, s5
	v_perm_b32 v29, v13, v12, s5
	;; [unrolled: 1-line block ×4, first 2 shown]
	v_mfma_f32_4x4x4_16b_bf16 a[0:3], v[14:15], v[28:29], a[0:3] cbsz:4 abid:2
	v_cvt_pk_f32_fp8_e32 v[6:7], v8
	v_cvt_pk_f32_fp8_sdwa v[28:29], v8 src0_sel:WORD_1
	v_mfma_f32_4x4x4_16b_bf16 a[0:3], v[16:17], v[26:27], a[0:3] cbsz:4 abid:2
	v_cvt_pk_f32_fp8_e32 v[26:27], v9
	v_perm_b32 v6, v7, v6, s5
	v_perm_b32 v7, v29, v28, s5
	v_cvt_pk_f32_fp8_sdwa v[8:9], v9 src0_sel:WORD_1
	v_cvt_pk_f32_fp8_sdwa v[28:29], v2 src0_sel:WORD_1
	v_mfma_f32_4x4x4_16b_bf16 a[0:3], v[14:15], v[6:7], a[0:3] cbsz:4 abid:3
	v_cvt_pk_f32_fp8_e32 v[6:7], v2
	v_perm_b32 v26, v27, v26, s5
	v_perm_b32 v27, v9, v8, s5
	v_cvt_pk_f32_fp8_sdwa v[8:9], v3 src0_sel:WORD_1
	v_perm_b32 v2, v7, v6, s5
	v_cvt_pk_f32_fp8_e32 v[6:7], v3
	v_mfma_f32_4x4x4_16b_bf16 a[0:3], v[16:17], v[26:27], a[0:3] cbsz:4 abid:3
	v_perm_b32 v3, v29, v28, s5
	global_load_dwordx4 v[10:13], v[50:51], off offset:16
	global_load_dwordx4 v[26:29], v[50:51], off
	v_mfma_f32_4x4x4_16b_bf16 a[0:3], v[14:15], v[2:3], a[0:3] cbsz:4 abid:4
	v_perm_b32 v6, v7, v6, s5
	v_perm_b32 v7, v9, v8, s5
	v_cvt_pk_f32_fp8_e32 v[2:3], v4
	v_cvt_pk_f32_fp8_e32 v[8:9], v5
	v_mfma_f32_4x4x4_16b_bf16 a[0:3], v[16:17], v[6:7], a[0:3] cbsz:4 abid:4
	v_cvt_pk_f32_fp8_sdwa v[6:7], v4 src0_sel:WORD_1
	v_cvt_pk_f32_fp8_sdwa v[4:5], v5 src0_sel:WORD_1
	v_perm_b32 v2, v3, v2, s5
	s_load_dword s1, s[12:13], 0x0
	v_perm_b32 v3, v7, v6, s5
	v_perm_b32 v7, v5, v4, s5
	v_cvt_pk_f32_fp8_sdwa v[4:5], v38 src0_sel:WORD_1
	v_mfma_f32_4x4x4_16b_bf16 a[0:3], v[14:15], v[2:3], a[0:3] cbsz:4 abid:5
	v_cvt_pk_f32_fp8_e32 v[2:3], v38
	v_perm_b32 v6, v9, v8, s5
	v_cvt_pk_f32_fp8_sdwa v[8:9], v39 src0_sel:WORD_1
	v_cmp_eq_u32_e32 vcc, 1, v47
	v_mfma_f32_4x4x4_16b_bf16 a[0:3], v[16:17], v[6:7], a[0:3] cbsz:4 abid:5
	v_cvt_pk_f32_fp8_e32 v[6:7], v39
	v_perm_b32 v38, v3, v2, s5
	v_perm_b32 v39, v5, v4, s5
	global_load_dwordx4 v[2:5], v[50:51], off offset:2064
	v_perm_b32 v6, v7, v6, s5
	v_mfma_f32_4x4x4_16b_bf16 a[0:3], v[14:15], v[38:39], a[0:3] cbsz:4 abid:6
	v_cvt_pk_f32_fp8_sdwa v[38:39], v40 src0_sel:WORD_1
	v_perm_b32 v7, v9, v8, s5
	v_cvt_pk_f32_fp8_e32 v[8:9], v40
	v_perm_b32 v40, v53, v52, s5
	v_perm_b32 v55, v39, v38, s5
	v_cvt_pk_f32_fp8_sdwa v[38:39], v41 src0_sel:WORD_1
	v_mfma_f32_4x4x4_16b_bf16 a[0:3], v[16:17], v[6:7], a[0:3] cbsz:4 abid:6
	v_perm_b32 v54, v9, v8, s5
	global_load_dwordx4 v[6:9], v[50:51], off offset:2048
	s_waitcnt vmcnt(7)
	v_cvt_pk_f32_fp8_e32 v[50:51], v18
	v_cvt_pk_f32_fp8_sdwa v[52:53], v18 src0_sel:WORD_1
	v_mfma_f32_4x4x4_16b_bf16 a[0:3], v[14:15], v[54:55], a[0:3] cbsz:4 abid:7
	v_perm_b32 v41, v39, v38, s5
	v_cvt_pk_f32_fp8_e32 v[38:39], v19
	v_cvt_pk_f32_fp8_sdwa v[18:19], v19 src0_sel:WORD_1
	v_mfma_f32_4x4x4_16b_bf16 a[0:3], v[16:17], v[40:41], a[0:3] cbsz:4 abid:7
	v_perm_b32 v40, v51, v50, s5
	v_perm_b32 v41, v53, v52, s5
	;; [unrolled: 1-line block ×4, first 2 shown]
	v_mfma_f32_4x4x4_16b_bf16 a[0:3], v[14:15], v[40:41], a[0:3] cbsz:4 abid:8
	v_cvt_pk_f32_fp8_e32 v[40:41], v20
	v_cvt_pk_f32_fp8_e32 v[50:51], v21
	v_mfma_f32_4x4x4_16b_bf16 a[0:3], v[16:17], v[38:39], a[0:3] cbsz:4 abid:8
	v_cvt_pk_f32_fp8_sdwa v[38:39], v20 src0_sel:WORD_1
	v_cvt_pk_f32_fp8_sdwa v[52:53], v21 src0_sel:WORD_1
	v_perm_b32 v40, v41, v40, s5
	global_load_dwordx4 v[18:21], v[44:45], off offset:16
	v_perm_b32 v41, v39, v38, s5
	v_perm_b32 v38, v51, v50, s5
	;; [unrolled: 1-line block ×3, first 2 shown]
	v_mfma_f32_4x4x4_16b_bf16 a[0:3], v[14:15], v[40:41], a[0:3] cbsz:4 abid:9
	s_waitcnt vmcnt(7)
	v_cvt_pk_f32_fp8_sdwa v[40:41], v30 src0_sel:WORD_1
	v_cvt_pk_f32_fp8_e32 v[50:51], v31
	v_mfma_f32_4x4x4_16b_bf16 a[0:3], v[16:17], v[38:39], a[0:3] cbsz:4 abid:9
	v_cvt_pk_f32_fp8_e32 v[38:39], v30
	v_cvt_pk_f32_fp8_sdwa v[30:31], v31 src0_sel:WORD_1
	v_cvt_pk_f32_fp8_sdwa v[52:53], v33 src0_sel:WORD_1
	v_perm_b32 v38, v39, v38, s5
	v_perm_b32 v39, v41, v40, s5
	;; [unrolled: 1-line block ×4, first 2 shown]
	v_mfma_f32_4x4x4_16b_bf16 a[0:3], v[14:15], v[38:39], a[0:3] cbsz:4 abid:10
	v_cvt_pk_f32_fp8_e32 v[38:39], v32
	v_cvt_pk_f32_fp8_e32 v[50:51], v33
	v_mfma_f32_4x4x4_16b_bf16 a[0:3], v[16:17], v[40:41], a[0:3] cbsz:4 abid:10
	v_cvt_pk_f32_fp8_sdwa v[40:41], v32 src0_sel:WORD_1
	global_load_dwordx4 v[30:33], v[44:45], off
	v_perm_b32 v38, v39, v38, s5
	v_perm_b32 v39, v41, v40, s5
	;; [unrolled: 1-line block ×3, first 2 shown]
	s_nop 0
	v_mfma_f32_4x4x4_16b_bf16 a[0:3], v[14:15], v[38:39], a[0:3] cbsz:4 abid:11
	v_perm_b32 v41, v53, v52, s5
	s_waitcnt vmcnt(7)
	v_cvt_pk_f32_fp8_e32 v[38:39], v34
	v_cvt_pk_f32_fp8_e32 v[50:51], v35
	v_mfma_f32_4x4x4_16b_bf16 a[0:3], v[16:17], v[40:41], a[0:3] cbsz:4 abid:11
	v_cvt_pk_f32_fp8_sdwa v[40:41], v34 src0_sel:WORD_1
	v_cvt_pk_f32_fp8_sdwa v[34:35], v35 src0_sel:WORD_1
	v_perm_b32 v38, v39, v38, s5
	v_perm_b32 v39, v41, v40, s5
	;; [unrolled: 1-line block ×3, first 2 shown]
	s_nop 0
	v_mfma_f32_4x4x4_16b_bf16 a[0:3], v[14:15], v[38:39], a[0:3] cbsz:4 abid:12
	v_cvt_pk_f32_fp8_e32 v[34:35], v36
	v_cvt_pk_f32_fp8_sdwa v[38:39], v36 src0_sel:WORD_1
	v_perm_b32 v40, v51, v50, s5
	v_perm_b32 v34, v35, v34, s5
	s_nop 0
	v_mfma_f32_4x4x4_16b_bf16 a[0:3], v[16:17], v[40:41], a[0:3] cbsz:4 abid:12
	v_cvt_pk_f32_fp8_e32 v[40:41], v37
	v_cvt_pk_f32_fp8_sdwa v[36:37], v37 src0_sel:WORD_1
	v_perm_b32 v35, v39, v38, s5
	v_perm_b32 v38, v41, v40, s5
	s_nop 0
	v_mfma_f32_4x4x4_16b_bf16 a[0:3], v[14:15], v[34:35], a[0:3] cbsz:4 abid:13
	v_perm_b32 v39, v37, v36, s5
	s_waitcnt vmcnt(6)
	v_cvt_pk_f32_fp8_e32 v[34:35], v22
	v_cvt_pk_f32_fp8_sdwa v[36:37], v22 src0_sel:WORD_1
	v_mfma_f32_4x4x4_16b_bf16 a[0:3], v[16:17], v[38:39], a[0:3] cbsz:4 abid:13
	v_cvt_pk_f32_fp8_e32 v[38:39], v23
	v_cvt_pk_f32_fp8_sdwa v[22:23], v23 src0_sel:WORD_1
	v_perm_b32 v34, v35, v34, s5
	v_perm_b32 v35, v37, v36, s5
	;; [unrolled: 1-line block ×4, first 2 shown]
	v_mfma_f32_4x4x4_16b_bf16 a[0:3], v[14:15], v[34:35], a[0:3] cbsz:4 abid:14
	v_cvt_pk_f32_fp8_e32 v[22:23], v24
	v_cvt_pk_f32_fp8_sdwa v[34:35], v24 src0_sel:WORD_1
	v_mfma_f32_4x4x4_16b_bf16 a[0:3], v[16:17], v[36:37], a[0:3] cbsz:4 abid:14
	v_cvt_pk_f32_fp8_e32 v[36:37], v25
	v_cvt_pk_f32_fp8_sdwa v[24:25], v25 src0_sel:WORD_1
	v_perm_b32 v22, v23, v22, s5
	v_perm_b32 v23, v35, v34, s5
	;; [unrolled: 1-line block ×4, first 2 shown]
	v_mfma_f32_4x4x4_16b_bf16 a[0:3], v[14:15], v[22:23], a[0:3] cbsz:4 abid:15
	s_waitcnt lgkmcnt(0)
	v_mov_b32_e32 v14, s0
	v_mov_b32_e32 v41, 0xff7fffff
	v_mfma_f32_4x4x4_16b_bf16 a[0:3], v[16:17], v[34:35], a[0:3] cbsz:4 abid:15
	v_mul_f32_e32 v34, s1, v14
	s_nop 3
	v_accvgpr_read_b32 v15, a1
	v_accvgpr_read_b32 v14, a0
	v_pk_mul_f32 v[36:37], v[14:15], v[34:35] op_sel_hi:[1,0]
	global_load_dwordx4 v[14:17], v[44:45], off offset:2064
	global_load_dwordx4 v[22:25], v[44:45], off offset:2048
	v_accvgpr_read_b32 v39, a3
	v_accvgpr_read_b32 v38, a2
	v_pk_mul_f32 v[34:35], v[38:39], v[34:35] op_sel_hi:[1,0]
	v_mfma_f32_4x4x1_16b_f32 a[0:3], v36, v43, 0
	v_cndmask_b32_e64 v36, 0, 1.0, vcc
	v_cmp_eq_u32_e32 vcc, 2, v47
	s_nop 0
	v_mfma_f32_4x4x1_16b_f32 a[0:3], v37, v36, a[0:3]
	v_cndmask_b32_e64 v36, 0, 1.0, vcc
	v_cmp_eq_u32_e32 vcc, 3, v47
	s_nop 0
	v_mfma_f32_4x4x1_16b_f32 a[0:3], v34, v36, a[0:3]
	v_cndmask_b32_e64 v34, 0, 1.0, vcc
	s_nop 1
	v_mfma_f32_4x4x1_16b_f32 a[0:3], v35, v34, a[0:3]
	v_and_b32_e32 v34, -4, v48
	v_subrev_u32_e32 v35, s3, v34
	v_add_u32_e32 v36, 1, v35
	v_cvt_f32_i32_e32 v36, v36
	v_add_u32_e32 v37, 2, v35
	v_cvt_f32_i32_e32 v37, v37
	v_accvgpr_read_b32 v38, a0
	v_fma_f32 v36, v42, v36, v38
	v_accvgpr_read_b32 v38, a1
	v_fma_f32 v37, v42, v37, v38
	v_add_u32_e32 v38, 3, v35
	v_cvt_f32_i32_e32 v38, v38
	v_add_u32_e32 v35, 4, v35
	v_cvt_f32_i32_e32 v35, v35
	v_accvgpr_read_b32 v39, a2
	v_max_f32_e32 v40, 0xff7fffff, v36
	v_cmp_gt_i32_e32 vcc, s3, v34
	v_fma_f32 v38, v42, v38, v39
	v_accvgpr_read_b32 v39, a3
	v_cndmask_b32_e32 v40, v41, v40, vcc
	v_or_b32_e32 v41, 1, v34
	v_fmac_f32_e32 v39, v42, v35
	v_max_f32_e32 v42, v40, v37
	v_cmp_gt_i32_e64 s[0:1], s3, v41
	v_or_b32_e32 v34, 2, v34
	v_cmp_gt_i32_e64 s[8:9], s3, v34
	v_cndmask_b32_e64 v40, v40, v42, s[0:1]
	v_max_f32_e32 v41, v40, v38
	v_cndmask_b32_e64 v34, v40, v41, s[8:9]
	v_or_b32_e32 v40, 3, v48
	v_max_f32_e32 v41, v34, v39
	v_cmp_gt_i32_e64 s[10:11], s3, v40
	v_lshlrev_b32_e32 v35, 2, v0
	v_and_or_b32 v35, v35, 48, v47
	v_cndmask_b32_e64 v34, v34, v41, s[10:11]
	;;#ASMSTART
	v_nop
 v_nop
 v_max_f32_dpp v34, v34, v34 row_ror:4
	;;#ASMEND
	v_lshlrev_b32_e32 v40, 2, v35
	;;#ASMSTART
	v_nop
 v_nop
 v_max_f32_dpp v34, v34, v34 row_ror:8
	;;#ASMEND
	ds_bpermute_b32 v34, v40, v34
	s_waitcnt lgkmcnt(0)
	;;#ASMSTART
	v_nop
 v_nop
 v_max_f32_dpp v34, v34, v34 row_ror:4
	;;#ASMEND
	s_nop 0
	;;#ASMSTART
	v_nop
 v_nop
 v_max_f32_dpp v41, v34, v34 row_ror:8
	;;#ASMEND
	s_nop 0
	v_sub_f32_e32 v34, v36, v41
	v_mul_f32_e32 v34, 0x3fb8aa3b, v34
	v_sub_f32_e32 v35, v37, v41
	v_exp_f32_e32 v34, v34
	v_mul_f32_e32 v35, 0x3fb8aa3b, v35
	v_sub_f32_e32 v37, v38, v41
	v_exp_f32_e32 v35, v35
	;; [unrolled: 3-line block ×3, first 2 shown]
	v_mul_f32_e32 v38, 0x3fb8aa3b, v38
	v_exp_f32_e32 v38, v38
	v_cndmask_b32_e32 v34, 0, v34, vcc
	v_add_f32_e32 v36, 0, v34
	v_cndmask_b32_e64 v35, 0, v35, s[0:1]
	v_add_f32_e32 v39, v36, v35
	v_cndmask_b32_e64 v36, 0, v37, s[8:9]
	;; [unrolled: 2-line block ×3, first 2 shown]
	v_add_f32_e32 v38, v39, v37
	;;#ASMSTART
	v_nop
 v_nop
 v_add_f32_dpp v38, v38, v38 row_ror:4
	;;#ASMEND
	v_cmp_gt_u32_e32 vcc, 4, v1
	;;#ASMSTART
	v_nop
 v_nop
 v_add_f32_dpp v38, v38, v38 row_ror:8
	;;#ASMEND
	ds_bpermute_b32 v38, v40, v38
	s_waitcnt lgkmcnt(0)
	;;#ASMSTART
	v_nop
 v_nop
 v_add_f32_dpp v38, v38, v38 row_ror:4
	;;#ASMEND
	s_nop 0
	;;#ASMSTART
	v_nop
 v_nop
 v_add_f32_dpp v38, v38, v38 row_ror:8
	;;#ASMEND
	s_and_saveexec_b64 s[0:1], vcc
	s_cbranch_execz .LBB1328_18
; %bb.17:
	v_mul_u32_u24_e32 v39, 20, v46
	v_lshl_add_u32 v39, v47, 2, v39
	v_add_u32_e32 v39, 0x1400, v39
	ds_write2_b32 v39, v41, v38 offset1:20
.LBB1328_18:
	s_or_b64 exec, exec, s[0:1]
.LBB1328_19:
	s_or_b64 exec, exec, s[26:27]
	s_waitcnt lgkmcnt(0)
	s_barrier
	s_load_dword s0, s[24:25], 0x8
	v_lshlrev_b32_e32 v38, 2, v47
	v_add_u32_e32 v40, 0x1400, v38
	ds_read2_b32 v[38:39], v40 offset1:5
	ds_read2_b32 v[44:45], v40 offset0:10 offset1:15
	s_mul_i32 s1, s33, s2
	s_waitcnt lgkmcnt(0)
	s_mul_i32 s0, s1, s0
	s_mov_b32 s1, 0xff7fffff
	v_max3_f32 v42, v38, s1, v39
	v_max3_f32 v42, v42, v44, v45
	v_sub_f32_e32 v38, v38, v42
	ds_read2_b32 v[48:49], v40 offset0:20 offset1:25
	v_mul_f32_e32 v38, 0x3fb8aa3b, v38
	v_sub_f32_e32 v39, v39, v42
	v_exp_f32_e32 v43, v38
	v_mul_f32_e32 v39, 0x3fb8aa3b, v39
	ds_read2_b32 v[50:51], v40 offset0:30 offset1:35
	v_sub_f32_e32 v40, v44, v42
	v_exp_f32_e32 v39, v39
	v_mul_f32_e32 v40, 0x3fb8aa3b, v40
	v_sub_f32_e32 v44, v45, v42
	v_exp_f32_e32 v40, v40
	v_mul_f32_e32 v44, 0x3fb8aa3b, v44
	v_exp_f32_e32 v44, v44
	s_waitcnt lgkmcnt(1)
	v_fma_f32 v43, v43, v48, 0
	v_fmac_f32_e32 v43, v39, v49
	s_waitcnt lgkmcnt(0)
	v_fmac_f32_e32 v43, v40, v50
	v_mov_b32_e32 v38, 0
	v_fmac_f32_e32 v43, v44, v51
	s_mov_b32 s1, 0
	v_cmp_eq_u32_e32 vcc, 0, v47
	s_and_saveexec_b64 s[2:3], vcc
	s_cbranch_execz .LBB1328_21
; %bb.20:
	s_lshl_b64 s[8:9], s[0:1], 2
	s_add_u32 s5, s16, s8
	s_mov_b32 s21, s1
	s_addc_u32 s12, s17, s9
	s_lshl_b64 s[10:11], s[20:21], 2
	s_add_u32 s5, s5, s10
	s_addc_u32 s12, s12, s11
	s_add_u32 s8, s18, s8
	s_addc_u32 s9, s19, s9
	s_add_u32 s13, s8, s10
	s_addc_u32 s16, s9, s11
	s_mul_i32 s8, s33, s4
	s_mov_b32 s9, s1
	s_lshl_b64 s[8:9], s[8:9], 2
	s_add_u32 s10, s5, s8
	s_addc_u32 s11, s12, s9
	s_add_u32 s8, s13, s8
	s_addc_u32 s9, s16, s9
	global_store_dword v38, v42, s[8:9]
	global_store_dword v38, v43, s[10:11]
.LBB1328_21:
	s_or_b64 exec, exec, s[2:3]
	v_lshlrev_b32_e32 v40, 3, v46
                                        ; implicit-def: $sgpr1
	s_and_saveexec_b64 s[2:3], s[6:7]
	s_xor_b64 s[2:3], exec, s[2:3]
	s_cbranch_execz .LBB1328_23
; %bb.22:
	s_waitcnt vmcnt(5)
	v_mov_b32_e32 v2, 0
	v_mad_u32_u24 v4, v1, 40, v40
	s_mov_b32 s1, 0
	v_mov_b32_e32 v3, v2
	ds_write_b64 v4, v[2:3]
                                        ; implicit-def: $vgpr37
                                        ; implicit-def: $vgpr35
                                        ; implicit-def: $vgpr41
                                        ; implicit-def: $vgpr26_vgpr27
                                        ; implicit-def: $vgpr10_vgpr11
                                        ; implicit-def: $vgpr30_vgpr31
                                        ; implicit-def: $vgpr18_vgpr19
                                        ; implicit-def: $vgpr6_vgpr7
                                        ; implicit-def: $vgpr2_vgpr3
                                        ; implicit-def: $vgpr22_vgpr23
                                        ; implicit-def: $vgpr14_vgpr15
                                        ; implicit-def: $vgpr42
                                        ; implicit-def: $vgpr43
.LBB1328_23:
	s_or_saveexec_b64 s[2:3], s[2:3]
	v_mov_b32_e32 v38, s1
	v_mov_b32_e32 v39, s1
	s_xor_b64 exec, exec, s[2:3]
	s_cbranch_execz .LBB1328_25
; %bb.24:
	v_add_f32_e32 v38, 0x358637bd, v43
	v_div_scale_f32 v39, s[6:7], v38, v38, 1.0
	v_rcp_f32_e32 v43, v39
	v_sub_f32_e32 v41, v41, v42
	v_mul_f32_e32 v41, 0x3fb8aa3b, v41
	v_exp_f32_e32 v41, v41
	v_fma_f32 v42, -v39, v43, 1.0
	v_fmac_f32_e32 v43, v42, v43
	v_div_scale_f32 v42, vcc, 1.0, v38, 1.0
	v_mul_f32_e32 v44, v42, v43
	v_fma_f32 v45, -v39, v44, v42
	v_fmac_f32_e32 v44, v45, v43
	v_fma_f32 v39, -v39, v44, v42
	v_div_fmas_f32 v39, v39, v43, v44
	v_div_fixup_f32 v38, v39, v38, 1.0
	v_mul_f32_e32 v38, v41, v38
	v_pk_mul_f32 v[34:35], v[34:35], v[38:39] op_sel_hi:[1,0]
	v_pk_mul_f32 v[36:37], v[36:37], v[38:39] op_sel_hi:[1,0]
	v_bfe_u32 v38, v35, 16, 1
	v_bfe_u32 v39, v34, 16, 1
	s_movk_i32 s1, 0x7fff
	v_add3_u32 v34, v34, v39, s1
	v_add3_u32 v35, v35, v38, s1
	s_mov_b32 s5, 0x7060302
	v_perm_b32 v34, v35, v34, s5
	v_bfe_u32 v35, v37, 16, 1
	v_bfe_u32 v38, v36, 16, 1
	v_add3_u32 v36, v36, v38, s1
	v_add3_u32 v35, v37, v35, s1
	v_perm_b32 v35, v35, v36, s5
	s_waitcnt vmcnt(6)
	v_cvt_pk_f32_fp8_e32 v[36:37], v26
	v_cvt_pk_f32_fp8_sdwa v[38:39], v26 src0_sel:WORD_1
	v_cvt_pk_f32_fp8_e32 v[42:43], v27
	v_cvt_pk_f32_fp8_sdwa v[26:27], v27 src0_sel:WORD_1
	v_perm_b32 v36, v37, v36, s5
	v_perm_b32 v37, v39, v38, s5
	;; [unrolled: 1-line block ×4, first 2 shown]
	v_mfma_f32_4x4x4_16b_bf16 a[0:3], v[34:35], v[36:37], 0 cbsz:4
	v_cvt_pk_f32_fp8_e32 v[26:27], v28
	v_cvt_pk_f32_fp8_sdwa v[36:37], v28 src0_sel:WORD_1
	v_mfma_f32_4x4x4_16b_bf16 a[0:3], v[34:35], v[38:39], a[0:3] cbsz:4 abid:1
	v_cvt_pk_f32_fp8_e32 v[38:39], v29
	v_cvt_pk_f32_fp8_sdwa v[28:29], v29 src0_sel:WORD_1
	v_perm_b32 v26, v27, v26, s5
	v_perm_b32 v27, v37, v36, s5
	v_perm_b32 v36, v39, v38, s5
	v_perm_b32 v37, v29, v28, s5
	v_mfma_f32_4x4x4_16b_bf16 a[0:3], v[34:35], v[26:27], a[0:3] cbsz:4 abid:2
	v_cvt_pk_f32_fp8_e32 v[26:27], v10
	v_cvt_pk_f32_fp8_sdwa v[28:29], v10 src0_sel:WORD_1
	v_mfma_f32_4x4x4_16b_bf16 a[0:3], v[34:35], v[36:37], a[0:3] cbsz:4 abid:3
	v_cvt_pk_f32_fp8_e32 v[36:37], v11
	v_cvt_pk_f32_fp8_sdwa v[10:11], v11 src0_sel:WORD_1
	v_perm_b32 v26, v27, v26, s5
	v_perm_b32 v27, v29, v28, s5
	v_perm_b32 v28, v37, v36, s5
	v_perm_b32 v29, v11, v10, s5
	v_mfma_f32_4x4x4_16b_bf16 a[0:3], v[34:35], v[26:27], a[0:3] cbsz:4 abid:4
	;; [unrolled: 10-line block ×3, first 2 shown]
	s_waitcnt vmcnt(2)
	v_cvt_pk_f32_fp8_e32 v[10:11], v30
	v_cvt_pk_f32_fp8_sdwa v[12:13], v30 src0_sel:WORD_1
	v_mfma_f32_4x4x4_16b_bf16 a[0:3], v[34:35], v[26:27], a[0:3] cbsz:4 abid:7
	v_cvt_pk_f32_fp8_e32 v[26:27], v31
	v_cvt_pk_f32_fp8_sdwa v[28:29], v31 src0_sel:WORD_1
	v_perm_b32 v10, v11, v10, s5
	v_perm_b32 v11, v13, v12, s5
	;; [unrolled: 1-line block ×4, first 2 shown]
	v_mfma_f32_4x4x4_16b_bf16 a[0:3], v[34:35], v[10:11], a[0:3] cbsz:4 abid:8
	v_cvt_pk_f32_fp8_e32 v[10:11], v32
	v_cvt_pk_f32_fp8_e32 v[26:27], v33
	v_mfma_f32_4x4x4_16b_bf16 a[0:3], v[34:35], v[12:13], a[0:3] cbsz:4 abid:9
	v_cvt_pk_f32_fp8_sdwa v[12:13], v32 src0_sel:WORD_1
	v_cvt_pk_f32_fp8_sdwa v[28:29], v33 src0_sel:WORD_1
	v_perm_b32 v10, v11, v10, s5
	s_load_dword s6, s[14:15], 0x0
	v_perm_b32 v11, v13, v12, s5
	v_perm_b32 v12, v27, v26, s5
	;; [unrolled: 1-line block ×3, first 2 shown]
	v_mfma_f32_4x4x4_16b_bf16 a[0:3], v[34:35], v[10:11], a[0:3] cbsz:4 abid:10
	v_cvt_pk_f32_fp8_e32 v[10:11], v18
	v_cvt_pk_f32_fp8_e32 v[26:27], v19
	v_mfma_f32_4x4x4_16b_bf16 a[0:3], v[34:35], v[12:13], a[0:3] cbsz:4 abid:11
	v_cvt_pk_f32_fp8_sdwa v[12:13], v18 src0_sel:WORD_1
	v_cvt_pk_f32_fp8_sdwa v[18:19], v19 src0_sel:WORD_1
	v_perm_b32 v10, v11, v10, s5
	v_perm_b32 v11, v13, v12, s5
	;; [unrolled: 1-line block ×3, first 2 shown]
	s_nop 0
	v_mfma_f32_4x4x4_16b_bf16 a[0:3], v[34:35], v[10:11], a[0:3] cbsz:4 abid:12
	v_perm_b32 v13, v19, v18, s5
	v_cvt_pk_f32_fp8_e32 v[10:11], v20
	v_cvt_pk_f32_fp8_e32 v[18:19], v21
	v_mfma_f32_4x4x4_16b_bf16 a[0:3], v[34:35], v[12:13], a[0:3] cbsz:4 abid:13
	v_cvt_pk_f32_fp8_sdwa v[12:13], v20 src0_sel:WORD_1
	v_cvt_pk_f32_fp8_sdwa v[20:21], v21 src0_sel:WORD_1
	v_perm_b32 v10, v11, v10, s5
	v_perm_b32 v11, v13, v12, s5
	;; [unrolled: 1-line block ×3, first 2 shown]
	s_nop 0
	v_mfma_f32_4x4x4_16b_bf16 a[0:3], v[34:35], v[10:11], a[0:3] cbsz:4 abid:14
	v_perm_b32 v13, v21, v20, s5
	s_nop 1
	v_mfma_f32_4x4x4_16b_bf16 a[0:3], v[34:35], v[12:13], a[0:3] cbsz:4 abid:15
	s_nop 4
	v_accvgpr_read_b32 v13, a1
	v_accvgpr_read_b32 v12, a0
	s_waitcnt lgkmcnt(0)
	v_pk_mul_f32 v[12:13], v[12:13], s[6:7] op_sel_hi:[1,0]
	v_accvgpr_read_b32 v11, a3
	v_accvgpr_read_b32 v10, a2
	v_bfe_u32 v18, v13, 16, 1
	v_bfe_u32 v19, v12, 16, 1
	v_pk_mul_f32 v[10:11], v[10:11], s[6:7] op_sel_hi:[1,0]
	v_add3_u32 v12, v12, v19, s1
	v_add3_u32 v13, v13, v18, s1
	v_perm_b32 v12, v13, v12, s5
	v_bfe_u32 v13, v11, 16, 1
	v_bfe_u32 v18, v10, 16, 1
	v_add3_u32 v10, v10, v18, s1
	v_add3_u32 v11, v11, v13, s1
	v_perm_b32 v13, v11, v10, s5
	v_mad_u32_u24 v10, v1, 40, v40
	ds_write_b64 v10, v[12:13]
	v_cvt_pk_f32_fp8_e32 v[10:11], v6
	v_cvt_pk_f32_fp8_sdwa v[12:13], v6 src0_sel:WORD_1
	v_cvt_pk_f32_fp8_e32 v[18:19], v7
	v_cvt_pk_f32_fp8_sdwa v[6:7], v7 src0_sel:WORD_1
	v_perm_b32 v10, v11, v10, s5
	v_perm_b32 v11, v13, v12, s5
	;; [unrolled: 1-line block ×4, first 2 shown]
	v_mfma_f32_4x4x4_16b_bf16 a[0:3], v[34:35], v[10:11], 0 cbsz:4
	v_cvt_pk_f32_fp8_e32 v[6:7], v8
	v_cvt_pk_f32_fp8_sdwa v[10:11], v8 src0_sel:WORD_1
	v_mfma_f32_4x4x4_16b_bf16 a[0:3], v[34:35], v[12:13], a[0:3] cbsz:4 abid:1
	v_cvt_pk_f32_fp8_e32 v[12:13], v9
	v_cvt_pk_f32_fp8_sdwa v[8:9], v9 src0_sel:WORD_1
	v_perm_b32 v6, v7, v6, s5
	v_perm_b32 v7, v11, v10, s5
	v_perm_b32 v10, v13, v12, s5
	v_perm_b32 v11, v9, v8, s5
	v_mfma_f32_4x4x4_16b_bf16 a[0:3], v[34:35], v[6:7], a[0:3] cbsz:4 abid:2
	v_cvt_pk_f32_fp8_e32 v[6:7], v2
	v_cvt_pk_f32_fp8_sdwa v[8:9], v2 src0_sel:WORD_1
	v_mfma_f32_4x4x4_16b_bf16 a[0:3], v[34:35], v[10:11], a[0:3] cbsz:4 abid:3
	v_cvt_pk_f32_fp8_e32 v[10:11], v3
	v_cvt_pk_f32_fp8_sdwa v[2:3], v3 src0_sel:WORD_1
	v_perm_b32 v6, v7, v6, s5
	v_perm_b32 v7, v9, v8, s5
	v_perm_b32 v8, v11, v10, s5
	v_perm_b32 v9, v3, v2, s5
	v_mfma_f32_4x4x4_16b_bf16 a[0:3], v[34:35], v[6:7], a[0:3] cbsz:4 abid:4
	;; [unrolled: 10-line block ×3, first 2 shown]
	s_waitcnt vmcnt(0)
	v_cvt_pk_f32_fp8_e32 v[2:3], v22
	v_cvt_pk_f32_fp8_sdwa v[4:5], v22 src0_sel:WORD_1
	v_mfma_f32_4x4x4_16b_bf16 a[0:3], v[34:35], v[6:7], a[0:3] cbsz:4 abid:7
	v_cvt_pk_f32_fp8_e32 v[6:7], v23
	v_cvt_pk_f32_fp8_sdwa v[8:9], v23 src0_sel:WORD_1
	v_perm_b32 v2, v3, v2, s5
	v_perm_b32 v3, v5, v4, s5
	;; [unrolled: 1-line block ×4, first 2 shown]
	v_mfma_f32_4x4x4_16b_bf16 a[0:3], v[34:35], v[2:3], a[0:3] cbsz:4 abid:8
	v_cvt_pk_f32_fp8_e32 v[2:3], v24
	v_cvt_pk_f32_fp8_e32 v[6:7], v25
	v_mfma_f32_4x4x4_16b_bf16 a[0:3], v[34:35], v[4:5], a[0:3] cbsz:4 abid:9
	v_cvt_pk_f32_fp8_sdwa v[4:5], v24 src0_sel:WORD_1
	v_cvt_pk_f32_fp8_sdwa v[8:9], v25 src0_sel:WORD_1
	v_perm_b32 v2, v3, v2, s5
	v_perm_b32 v3, v5, v4, s5
	v_perm_b32 v4, v7, v6, s5
	s_nop 0
	v_mfma_f32_4x4x4_16b_bf16 a[0:3], v[34:35], v[2:3], a[0:3] cbsz:4 abid:10
	v_perm_b32 v5, v9, v8, s5
	v_cvt_pk_f32_fp8_e32 v[2:3], v14
	v_cvt_pk_f32_fp8_e32 v[6:7], v15
	v_mfma_f32_4x4x4_16b_bf16 a[0:3], v[34:35], v[4:5], a[0:3] cbsz:4 abid:11
	v_cvt_pk_f32_fp8_sdwa v[4:5], v14 src0_sel:WORD_1
	v_cvt_pk_f32_fp8_sdwa v[8:9], v15 src0_sel:WORD_1
	v_perm_b32 v2, v3, v2, s5
	v_perm_b32 v3, v5, v4, s5
	v_perm_b32 v4, v7, v6, s5
	s_nop 0
	v_mfma_f32_4x4x4_16b_bf16 a[0:3], v[34:35], v[2:3], a[0:3] cbsz:4 abid:12
	v_perm_b32 v5, v9, v8, s5
	v_cvt_pk_f32_fp8_e32 v[2:3], v16
	v_cvt_pk_f32_fp8_e32 v[6:7], v17
	v_mfma_f32_4x4x4_16b_bf16 a[0:3], v[34:35], v[4:5], a[0:3] cbsz:4 abid:13
	v_cvt_pk_f32_fp8_sdwa v[4:5], v16 src0_sel:WORD_1
	v_cvt_pk_f32_fp8_sdwa v[8:9], v17 src0_sel:WORD_1
	v_perm_b32 v2, v3, v2, s5
	v_perm_b32 v3, v5, v4, s5
	v_perm_b32 v4, v7, v6, s5
	s_nop 0
	v_mfma_f32_4x4x4_16b_bf16 a[0:3], v[34:35], v[2:3], a[0:3] cbsz:4 abid:14
	v_perm_b32 v5, v9, v8, s5
	s_nop 1
	v_mfma_f32_4x4x4_16b_bf16 a[0:3], v[34:35], v[4:5], a[0:3] cbsz:4 abid:15
	s_nop 4
	v_accvgpr_read_b32 v5, a1
	v_accvgpr_read_b32 v4, a0
	;; [unrolled: 1-line block ×4, first 2 shown]
	v_pk_mul_f32 v[4:5], v[4:5], s[6:7] op_sel_hi:[1,0]
	v_pk_mul_f32 v[2:3], v[2:3], s[6:7] op_sel_hi:[1,0]
	v_bfe_u32 v6, v5, 16, 1
	v_bfe_u32 v7, v4, 16, 1
	v_add3_u32 v4, v4, v7, s1
	v_add3_u32 v5, v5, v6, s1
	v_bfe_u32 v6, v3, 16, 1
	v_bfe_u32 v7, v2, 16, 1
	v_add3_u32 v2, v2, v7, s1
	v_add3_u32 v3, v3, v6, s1
	v_perm_b32 v39, v3, v2, s5
	v_perm_b32 v38, v5, v4, s5
.LBB1328_25:
	s_or_b64 exec, exec, s[2:3]
	s_waitcnt vmcnt(5)
	v_mad_u32_u24 v2, v1, 40, v40
	v_cmp_gt_u32_e32 vcc, 64, v0
	ds_write_b64 v2, v[38:39] offset:2560
	s_waitcnt lgkmcnt(0)
	s_barrier
	s_and_saveexec_b64 s[2:3], vcc
	s_cbranch_execz .LBB1328_27
; %bb.26:
	v_mov_b32_e32 v2, 0xa00
	v_mad_u32_u24 v2, v1, 40, v2
	ds_read2_b64 v[2:5], v2 offset1:1
	s_waitcnt lgkmcnt(0)
	v_mov_b32_e32 v3, 0xa10
	v_mul_u32_u24_e32 v10, 40, v1
	v_mad_u32_u24 v1, v1, 40, v3
	s_waitcnt vmcnt(4)
	ds_read2_b64 v[6:9], v1 offset1:1
	v_lshlrev_b32_e32 v1, 16, v2
	v_add_f32_e32 v1, 0, v1
	v_and_b32_e32 v1, 0xffff0000, v1
	v_lshlrev_b32_e32 v2, 16, v4
	v_add_f32_e32 v1, v1, v2
	v_and_b32_e32 v1, 0xffff0000, v1
	s_waitcnt lgkmcnt(0)
	v_lshlrev_b32_e32 v2, 16, v6
	v_add_f32_e32 v1, v1, v2
	v_and_b32_e32 v1, 0xffff0000, v1
	v_lshlrev_b32_e32 v2, 16, v8
	v_add_f32_e32 v11, v1, v2
	ds_read2_b64 v[2:5], v10 offset1:1
	ds_read2_b64 v[6:9], v10 offset0:2 offset1:3
	s_mov_b32 s1, 0
	s_lshl_b32 s0, s0, 7
	s_lshl_b64 s[2:3], s[0:1], 1
	s_waitcnt lgkmcnt(1)
	v_lshlrev_b32_e32 v2, 16, v2
	v_add_f32_e32 v2, 0, v2
	s_add_u32 s2, s22, s2
	v_and_b32_e32 v2, 0xffff0000, v2
	v_lshlrev_b32_e32 v3, 16, v4
	s_addc_u32 s3, s23, s3
	s_lshl_b32 s0, s20, 7
	v_add_f32_e32 v2, v2, v3
	s_lshl_b64 s[0:1], s[0:1], 1
	v_and_b32_e32 v2, 0xffff0000, v2
	s_waitcnt lgkmcnt(0)
	v_lshlrev_b32_e32 v3, 16, v6
	s_add_u32 s0, s2, s0
	s_mul_i32 s2, s4, s33
	v_add_f32_e32 v2, v2, v3
	s_addc_u32 s1, s3, s1
	v_lshl_or_b32 v0, s2, 7, v0
	v_mov_b32_e32 v1, 0
	v_and_b32_e32 v2, 0xffff0000, v2
	v_lshlrev_b32_e32 v3, 16, v8
	v_lshl_add_u64 v[0:1], v[0:1], 1, s[0:1]
	v_add_f32_e32 v2, v2, v3
	global_store_short_d16_hi v[0:1], v2, off
	global_store_short_d16_hi v[0:1], v11, off offset:128
.LBB1328_27:
	s_endpgm
	.section	.rodata,"a",@progbits
	.p2align	6, 0x0
	.amdhsa_kernel _Z38paged_attention_ll4mi_QKV_mfma4_kernelI14__hip_bfloat16hLN4vllm18Fp8KVCacheDataTypeE1EhLi32ELi128ELi256ELb1ELi1EEvPKT_PKT0_S8_ifPKiSA_SA_iPKfiiiPfSD_PS3_PT2_iSC_SC_
		.amdhsa_group_segment_fixed_size 5280
		.amdhsa_private_segment_fixed_size 0
		.amdhsa_kernarg_size 400
		.amdhsa_user_sgpr_count 2
		.amdhsa_user_sgpr_dispatch_ptr 0
		.amdhsa_user_sgpr_queue_ptr 0
		.amdhsa_user_sgpr_kernarg_segment_ptr 1
		.amdhsa_user_sgpr_dispatch_id 0
		.amdhsa_user_sgpr_kernarg_preload_length 0
		.amdhsa_user_sgpr_kernarg_preload_offset 0
		.amdhsa_user_sgpr_private_segment_size 0
		.amdhsa_uses_dynamic_stack 0
		.amdhsa_enable_private_segment 0
		.amdhsa_system_sgpr_workgroup_id_x 1
		.amdhsa_system_sgpr_workgroup_id_y 1
		.amdhsa_system_sgpr_workgroup_id_z 1
		.amdhsa_system_sgpr_workgroup_info 0
		.amdhsa_system_vgpr_workitem_id 0
		.amdhsa_next_free_vgpr 60
		.amdhsa_next_free_sgpr 42
		.amdhsa_accum_offset 56
		.amdhsa_reserve_vcc 1
		.amdhsa_float_round_mode_32 0
		.amdhsa_float_round_mode_16_64 0
		.amdhsa_float_denorm_mode_32 3
		.amdhsa_float_denorm_mode_16_64 3
		.amdhsa_dx10_clamp 1
		.amdhsa_ieee_mode 1
		.amdhsa_fp16_overflow 0
		.amdhsa_tg_split 0
		.amdhsa_exception_fp_ieee_invalid_op 0
		.amdhsa_exception_fp_denorm_src 0
		.amdhsa_exception_fp_ieee_div_zero 0
		.amdhsa_exception_fp_ieee_overflow 0
		.amdhsa_exception_fp_ieee_underflow 0
		.amdhsa_exception_fp_ieee_inexact 0
		.amdhsa_exception_int_div_zero 0
	.end_amdhsa_kernel
	.section	.text._Z38paged_attention_ll4mi_QKV_mfma4_kernelI14__hip_bfloat16hLN4vllm18Fp8KVCacheDataTypeE1EhLi32ELi128ELi256ELb1ELi1EEvPKT_PKT0_S8_ifPKiSA_SA_iPKfiiiPfSD_PS3_PT2_iSC_SC_,"axG",@progbits,_Z38paged_attention_ll4mi_QKV_mfma4_kernelI14__hip_bfloat16hLN4vllm18Fp8KVCacheDataTypeE1EhLi32ELi128ELi256ELb1ELi1EEvPKT_PKT0_S8_ifPKiSA_SA_iPKfiiiPfSD_PS3_PT2_iSC_SC_,comdat
.Lfunc_end1328:
	.size	_Z38paged_attention_ll4mi_QKV_mfma4_kernelI14__hip_bfloat16hLN4vllm18Fp8KVCacheDataTypeE1EhLi32ELi128ELi256ELb1ELi1EEvPKT_PKT0_S8_ifPKiSA_SA_iPKfiiiPfSD_PS3_PT2_iSC_SC_, .Lfunc_end1328-_Z38paged_attention_ll4mi_QKV_mfma4_kernelI14__hip_bfloat16hLN4vllm18Fp8KVCacheDataTypeE1EhLi32ELi128ELi256ELb1ELi1EEvPKT_PKT0_S8_ifPKiSA_SA_iPKfiiiPfSD_PS3_PT2_iSC_SC_
                                        ; -- End function
	.section	.AMDGPU.csdata,"",@progbits
; Kernel info:
; codeLenInByte = 5488
; NumSgprs: 48
; NumVgprs: 56
; NumAgprs: 4
; TotalNumVgprs: 60
; ScratchSize: 0
; MemoryBound: 0
; FloatMode: 240
; IeeeMode: 1
; LDSByteSize: 5280 bytes/workgroup (compile time only)
; SGPRBlocks: 5
; VGPRBlocks: 7
; NumSGPRsForWavesPerEU: 48
; NumVGPRsForWavesPerEU: 60
; AccumOffset: 56
; Occupancy: 8
; WaveLimiterHint : 1
; COMPUTE_PGM_RSRC2:SCRATCH_EN: 0
; COMPUTE_PGM_RSRC2:USER_SGPR: 2
; COMPUTE_PGM_RSRC2:TRAP_HANDLER: 0
; COMPUTE_PGM_RSRC2:TGID_X_EN: 1
; COMPUTE_PGM_RSRC2:TGID_Y_EN: 1
; COMPUTE_PGM_RSRC2:TGID_Z_EN: 1
; COMPUTE_PGM_RSRC2:TIDIG_COMP_CNT: 0
; COMPUTE_PGM_RSRC3_GFX90A:ACCUM_OFFSET: 13
; COMPUTE_PGM_RSRC3_GFX90A:TG_SPLIT: 0
	.section	.text._Z38paged_attention_ll4mi_QKV_mfma4_kernelI14__hip_bfloat16hLN4vllm18Fp8KVCacheDataTypeE1EhLi32ELi128ELi256ELb1ELi2EEvPKT_PKT0_S8_ifPKiSA_SA_iPKfiiiPfSD_PS3_PT2_iSC_SC_,"axG",@progbits,_Z38paged_attention_ll4mi_QKV_mfma4_kernelI14__hip_bfloat16hLN4vllm18Fp8KVCacheDataTypeE1EhLi32ELi128ELi256ELb1ELi2EEvPKT_PKT0_S8_ifPKiSA_SA_iPKfiiiPfSD_PS3_PT2_iSC_SC_,comdat
	.protected	_Z38paged_attention_ll4mi_QKV_mfma4_kernelI14__hip_bfloat16hLN4vllm18Fp8KVCacheDataTypeE1EhLi32ELi128ELi256ELb1ELi2EEvPKT_PKT0_S8_ifPKiSA_SA_iPKfiiiPfSD_PS3_PT2_iSC_SC_ ; -- Begin function _Z38paged_attention_ll4mi_QKV_mfma4_kernelI14__hip_bfloat16hLN4vllm18Fp8KVCacheDataTypeE1EhLi32ELi128ELi256ELb1ELi2EEvPKT_PKT0_S8_ifPKiSA_SA_iPKfiiiPfSD_PS3_PT2_iSC_SC_
	.globl	_Z38paged_attention_ll4mi_QKV_mfma4_kernelI14__hip_bfloat16hLN4vllm18Fp8KVCacheDataTypeE1EhLi32ELi128ELi256ELb1ELi2EEvPKT_PKT0_S8_ifPKiSA_SA_iPKfiiiPfSD_PS3_PT2_iSC_SC_
	.p2align	8
	.type	_Z38paged_attention_ll4mi_QKV_mfma4_kernelI14__hip_bfloat16hLN4vllm18Fp8KVCacheDataTypeE1EhLi32ELi128ELi256ELb1ELi2EEvPKT_PKT0_S8_ifPKiSA_SA_iPKfiiiPfSD_PS3_PT2_iSC_SC_,@function
_Z38paged_attention_ll4mi_QKV_mfma4_kernelI14__hip_bfloat16hLN4vllm18Fp8KVCacheDataTypeE1EhLi32ELi128ELi256ELb1ELi2EEvPKT_PKT0_S8_ifPKiSA_SA_iPKfiiiPfSD_PS3_PT2_iSC_SC_: ; @_Z38paged_attention_ll4mi_QKV_mfma4_kernelI14__hip_bfloat16hLN4vllm18Fp8KVCacheDataTypeE1EhLi32ELi128ELi256ELb1ELi2EEvPKT_PKT0_S8_ifPKiSA_SA_iPKfiiiPfSD_PS3_PT2_iSC_SC_
; %bb.0:
	s_load_dwordx2 s[16:17], s[0:1], 0x30
	s_mov_b32 s20, s3
	s_mov_b64 s[6:7], 0
	s_waitcnt lgkmcnt(0)
	s_cmp_lg_u64 s[16:17], 0
	s_cselect_b64 s[18:19], -1, 0
	s_and_b64 vcc, exec, s[18:19]
	s_cbranch_vccz .LBB1329_10
; %bb.1:
	s_add_i32 s8, s2, 1
	s_mov_b32 s9, 0
	s_lshl_b64 s[10:11], s[8:9], 2
	s_add_u32 s10, s16, s10
	s_mov_b32 s3, s9
	s_addc_u32 s11, s17, s11
	s_lshl_b64 s[8:9], s[2:3], 2
	s_add_u32 s8, s16, s8
	s_addc_u32 s9, s17, s9
	s_load_dword s5, s[10:11], 0x0
	s_load_dword s12, s[8:9], 0x0
	s_waitcnt lgkmcnt(0)
	s_sub_i32 s5, s5, s12
	s_cmp_eq_u32 s5, 1
	s_cselect_b64 s[8:9], -1, 0
	s_andn2_b64 vcc, exec, s[6:7]
	s_cbranch_vccnz .LBB1329_3
.LBB1329_2:
	s_mov_b32 s3, 0
	s_mov_b64 s[8:9], -1
.LBB1329_3:
	s_andn2_b64 vcc, exec, s[8:9]
	s_cbranch_vccnz .LBB1329_27
; %bb.4:
	s_load_dword s5, s[0:1], 0x9c
	s_load_dwordx2 s[6:7], s[0:1], 0x28
	s_add_u32 s24, s0, 0x90
	s_addc_u32 s25, s1, 0
	s_lshl_b64 s[28:29], s[2:3], 2
	s_waitcnt lgkmcnt(0)
	s_and_b32 s5, s5, 0xffff
	s_add_u32 s6, s6, s28
	s_addc_u32 s7, s7, s29
	s_load_dword s3, s[6:7], 0x0
	s_mul_i32 s5, s20, s5
	s_waitcnt lgkmcnt(0)
	s_cmp_ge_i32 s5, s3
	s_cbranch_scc1 .LBB1329_27
; %bb.5:
	v_and_b32_e32 v1, 0xc0, v0
	v_add_u32_e32 v4, s5, v1
	v_lshrrev_b32_e32 v42, 6, v0
	v_cmp_le_i32_e64 s[6:7], s3, v4
                                        ; implicit-def: $sgpr30
                                        ; implicit-def: $sgpr21
	s_and_saveexec_b64 s[8:9], s[6:7]
	s_xor_b64 s[8:9], exec, s[8:9]
	s_cbranch_execz .LBB1329_7
; %bb.6:
	v_mul_u32_u24_e32 v1, 20, v42
	v_or_b32_e32 v1, 0x1400, v1
	v_mov_b32_e32 v2, 0x1450
	v_mov_b32_e32 v3, 0xff7fffff
	v_mad_u32_u24 v2, v42, 20, v2
	ds_write2_b32 v1, v3, v3 offset1:1
	v_mov_b32_e32 v1, 0
	ds_write2_b32 v2, v1, v1 offset1:1
	v_mov_b32_e32 v2, 0x1408
	v_mov_b32_e32 v4, 0x1458
	s_mov_b32 s21, 0xff7fffff
	s_mov_b32 s30, 0
	v_mad_u32_u24 v2, v42, 20, v2
	v_mad_u32_u24 v4, v42, 20, v4
	ds_write2_b32 v2, v3, v3 offset1:1
	ds_write2_b32 v4, v1, v1 offset1:1
                                        ; implicit-def: $vgpr4
.LBB1329_7:
	s_or_saveexec_b64 s[26:27], s[8:9]
	s_load_dwordx2 s[22:23], s[0:1], 0x68
	s_load_dwordx4 s[12:15], s[0:1], 0x58
	s_load_dword s38, s[24:25], 0x4
	s_load_dwordx4 s[8:11], s[0:1], 0x80
	v_and_b32_e32 v1, 63, v0
	v_and_b32_e32 v43, 3, v0
	s_lshl_b32 s33, s4, 1
	v_mov_b32_e32 v37, s30
	v_mov_b32_e32 v41, s21
	;; [unrolled: 1-line block ×5, first 2 shown]
                                        ; implicit-def: $vgpr26_vgpr27
                                        ; implicit-def: $vgpr14_vgpr15
                                        ; implicit-def: $vgpr30_vgpr31
                                        ; implicit-def: $vgpr22_vgpr23
                                        ; implicit-def: $vgpr6_vgpr7
                                        ; implicit-def: $vgpr2_vgpr3
                                        ; implicit-def: $vgpr18_vgpr19
                                        ; implicit-def: $vgpr10_vgpr11
	s_xor_b64 exec, exec, s[26:27]
	s_cbranch_execz .LBB1329_19
; %bb.8:
	s_load_dwordx2 s[30:31], s[0:1], 0x20
	s_load_dword s21, s[0:1], 0x38
	s_add_i32 s34, s3, 31
	s_ashr_i32 s35, s34, 31
	s_lshr_b32 s35, s35, 27
	v_add_u32_e32 v44, s5, v0
	s_add_i32 s34, s34, s35
	v_ashrrev_i32_e32 v2, 31, v44
	s_ashr_i32 s34, s34, 5
	v_lshrrev_b32_e32 v2, 27, v2
	s_add_i32 s36, s34, -1
	s_waitcnt lgkmcnt(0)
	s_mul_i32 s34, s2, s21
	s_mov_b32 s35, 0
	v_add_u32_e32 v2, v44, v2
	s_lshl_b64 s[34:35], s[34:35], 2
	v_ashrrev_i32_e32 v2, 5, v2
	v_mov_b32_e32 v3, s36
	v_cmp_gt_i32_e32 vcc, s3, v44
	s_add_u32 s30, s30, s34
	s_addc_u32 s31, s31, s35
	v_cndmask_b32_e32 v2, v3, v2, vcc
	v_ashrrev_i32_e32 v3, 31, v2
	v_lshl_add_u64 v[6:7], v[2:3], 2, s[30:31]
	v_ashrrev_i32_e32 v2, 31, v4
	v_lshrrev_b32_e32 v2, 27, v2
	v_add_u32_e32 v2, v4, v2
	v_ashrrev_i32_e32 v8, 5, v2
	v_min_i32_e32 v2, s36, v8
	v_ashrrev_i32_e32 v3, 31, v2
	v_lshl_add_u64 v[4:5], v[2:3], 2, s[30:31]
	v_add_u32_e32 v2, 1, v8
	v_min_i32_e32 v2, s36, v2
	v_ashrrev_i32_e32 v3, 31, v2
	v_lshl_add_u64 v[8:9], v[2:3], 2, s[30:31]
	global_load_dword v2, v[6:7], off
	global_load_dword v29, v[4:5], off
	;; [unrolled: 1-line block ×3, first 2 shown]
	s_load_dwordx2 s[30:31], s[0:1], 0x8
	s_andn2_b64 vcc, exec, s[18:19]
	s_cbranch_vccnz .LBB1329_11
; %bb.9:
	s_add_u32 s16, s16, s28
	s_addc_u32 s17, s17, s29
	s_load_dword s5, s[16:17], 0x0
	s_branch .LBB1329_12
.LBB1329_10:
	s_mov_b64 s[8:9], 0
	s_branch .LBB1329_2
.LBB1329_11:
	s_mov_b32 s5, s2
.LBB1329_12:
	s_load_dwordx2 s[28:29], s[0:1], 0x10
	s_load_dwordx4 s[16:19], s[0:1], 0x48
	v_cmp_gt_u32_e32 vcc, 2, v43
	s_mov_b32 s37, 0
	v_mov_b32_e32 v27, 0
	v_mov_b32_e32 v34, 0
	;; [unrolled: 1-line block ×5, first 2 shown]
	s_and_saveexec_b64 s[34:35], vcc
	s_cbranch_execz .LBB1329_14
; %bb.13:
	s_load_dwordx2 s[40:41], s[0:1], 0x0
	s_waitcnt lgkmcnt(0)
	s_ashr_i32 s19, s16, 31
	s_mul_hi_u32 s21, s5, s16
	s_mul_i32 s19, s5, s19
	s_add_i32 s43, s21, s19
	s_mul_i32 s42, s5, s16
	s_lshl_b64 s[42:43], s[42:43], 1
	s_add_u32 s5, s40, s42
	s_addc_u32 s16, s41, s43
	s_lshl_b32 s36, s4, 8
	s_lshl_b64 s[36:37], s[36:37], 1
	v_lshlrev_b32_e32 v3, 2, v1
	s_add_u32 s36, s5, s36
	v_and_b32_e32 v3, 0xf0, v3
	s_addc_u32 s37, s16, s37
	v_lshl_or_b32 v3, v43, 8, v3
	global_load_dwordx4 v[34:37], v3, s[36:37]
.LBB1329_14:
	s_or_b64 exec, exec, s[34:35]
	s_waitcnt lgkmcnt(0)
	s_mul_i32 s16, s4, s18
	s_add_u32 s4, s16, s30
	s_addc_u32 s5, 0, s31
	v_mov_b64_e32 v[4:5], s[4:5]
	s_waitcnt vmcnt(2)
	v_mad_i64_i32 v[2:3], s[4:5], v2, s17, v[4:5]
	v_lshlrev_b32_e32 v4, 4, v0
	v_and_b32_e32 v26, 0x1f0, v4
	v_lshl_add_u64 v[46:47], v[2:3], 0, v[26:27]
	global_load_dwordx4 v[14:17], v[46:47], off
	global_load_dwordx4 v[6:9], v[46:47], off offset:512
	global_load_dwordx4 v[2:5], v[46:47], off offset:1024
	;; [unrolled: 1-line block ×7, first 2 shown]
	v_mov_b32_e32 v45, 0
	s_and_saveexec_b64 s[4:5], vcc
	s_cbranch_execz .LBB1329_16
; %bb.15:
	s_load_dwordx2 s[18:19], s[0:1], 0x40
	v_or_b32_e32 v46, s33, v43
	v_mov_b32_e32 v47, 0
	s_waitcnt lgkmcnt(0)
	v_lshl_add_u64 v[46:47], v[46:47], 2, s[18:19]
	global_load_dword v45, v[46:47], off
.LBB1329_16:
	s_or_b64 exec, exec, s[4:5]
	s_waitcnt vmcnt(9)
	v_mul_hi_i32 v26, v29, s17
	v_ashrrev_i32_e32 v26, 31, v26
	v_lshrrev_b32_e32 v46, 29, v26
	v_mov_b32_e32 v47, 0
	v_mad_i64_i32 v[48:49], s[18:19], v29, s17, v[46:47]
	s_waitcnt vmcnt(8)
	v_mul_hi_i32 v29, v28, s17
	v_ashrrev_i32_e32 v29, 31, v29
	v_lshrrev_b32_e32 v46, 29, v29
	s_add_u32 s4, s28, s16
	v_mad_i64_i32 v[28:29], s[16:17], v28, s17, v[46:47]
	s_addc_u32 s5, s29, 0
	v_and_b32_e32 v48, -8, v48
	v_and_b32_e32 v28, -8, v28
	s_waitcnt vmcnt(7)
	v_cvt_pk_f32_fp8_e32 v[46:47], v14
	v_cvt_pk_f32_fp8_sdwa v[50:51], v14 src0_sel:WORD_1
	v_lshl_add_u64 v[48:49], s[4:5], 0, v[48:49]
	v_lshlrev_b32_e32 v26, 5, v1
	v_lshl_add_u64 v[28:29], s[4:5], 0, v[28:29]
	v_lshl_add_u64 v[48:49], v[48:49], 0, v[26:27]
	v_lshl_add_u64 v[52:53], v[28:29], 0, v[26:27]
	v_cvt_pk_f32_fp8_e32 v[26:27], v15
	v_cvt_pk_f32_fp8_sdwa v[28:29], v15 src0_sel:WORD_1
	s_load_dword s0, s[0:1], 0x1c
	s_mov_b32 s1, 0x7060302
	v_perm_b32 v14, v47, v46, s1
	v_perm_b32 v15, v51, v50, s1
	;; [unrolled: 1-line block ×4, first 2 shown]
	v_mfma_f32_4x4x4_16b_bf16 a[0:3], v[34:35], v[14:15], 0 cbsz:4
	v_cvt_pk_f32_fp8_sdwa v[28:29], v16 src0_sel:WORD_1
	v_cvt_pk_f32_fp8_e32 v[46:47], v17
	v_mfma_f32_4x4x4_16b_bf16 a[0:3], v[36:37], v[26:27], a[0:3] cbsz:4
	v_cvt_pk_f32_fp8_e32 v[26:27], v16
	v_cvt_pk_f32_fp8_sdwa v[50:51], v17 src0_sel:WORD_1
	global_load_dwordx4 v[14:17], v[48:49], off offset:16
	s_waitcnt vmcnt(2)
	v_cvt_pk_f32_fp8_sdwa v[54:55], v21 src0_sel:WORD_1
	v_perm_b32 v26, v27, v26, s1
	v_perm_b32 v27, v29, v28, s1
	;; [unrolled: 1-line block ×4, first 2 shown]
	v_mfma_f32_4x4x4_16b_bf16 a[0:3], v[34:35], v[26:27], a[0:3] cbsz:4 abid:1
	v_cvt_pk_f32_fp8_e32 v[26:27], v6
	v_cvt_pk_f32_fp8_e32 v[46:47], v7
	v_mfma_f32_4x4x4_16b_bf16 a[0:3], v[36:37], v[28:29], a[0:3] cbsz:4 abid:1
	v_cvt_pk_f32_fp8_sdwa v[28:29], v6 src0_sel:WORD_1
	v_perm_b32 v6, v27, v26, s1
	v_cvt_pk_f32_fp8_sdwa v[26:27], v7 src0_sel:WORD_1
	v_cvt_pk_f32_fp8_e32 v[50:51], v9
	v_perm_b32 v7, v29, v28, s1
	v_perm_b32 v28, v47, v46, s1
	v_cvt_pk_f32_fp8_sdwa v[46:47], v8 src0_sel:WORD_1
	v_mfma_f32_4x4x4_16b_bf16 a[0:3], v[34:35], v[6:7], a[0:3] cbsz:4 abid:2
	v_cvt_pk_f32_fp8_e32 v[6:7], v8
	v_perm_b32 v29, v27, v26, s1
	v_cvt_pk_f32_fp8_sdwa v[8:9], v9 src0_sel:WORD_1
	v_cmp_eq_u32_e32 vcc, 0, v43
	v_mfma_f32_4x4x4_16b_bf16 a[0:3], v[36:37], v[28:29], a[0:3] cbsz:4 abid:2
	global_load_dwordx4 v[26:29], v[48:49], off
	v_perm_b32 v6, v7, v6, s1
	v_perm_b32 v7, v47, v46, s1
	;; [unrolled: 1-line block ×3, first 2 shown]
	v_cvt_pk_f32_fp8_sdwa v[8:9], v2 src0_sel:WORD_1
	v_mfma_f32_4x4x4_16b_bf16 a[0:3], v[34:35], v[6:7], a[0:3] cbsz:4 abid:3
	v_cvt_pk_f32_fp8_e32 v[6:7], v2
	v_perm_b32 v46, v51, v50, s1
	v_cvt_pk_f32_fp8_sdwa v[50:51], v5 src0_sel:WORD_1
	v_perm_b32 v2, v7, v6, s1
	v_mfma_f32_4x4x4_16b_bf16 a[0:3], v[36:37], v[46:47], a[0:3] cbsz:4 abid:3
	v_cvt_pk_f32_fp8_e32 v[46:47], v3
	v_cvt_pk_f32_fp8_sdwa v[6:7], v3 src0_sel:WORD_1
	v_perm_b32 v3, v9, v8, s1
	v_perm_b32 v8, v47, v46, s1
	s_nop 0
	v_mfma_f32_4x4x4_16b_bf16 a[0:3], v[34:35], v[2:3], a[0:3] cbsz:4 abid:4
	v_perm_b32 v9, v7, v6, s1
	v_cvt_pk_f32_fp8_e32 v[6:7], v4
	v_cvt_pk_f32_fp8_e32 v[46:47], v5
	v_mfma_f32_4x4x4_16b_bf16 a[0:3], v[36:37], v[8:9], a[0:3] cbsz:4 abid:4
	v_cvt_pk_f32_fp8_sdwa v[8:9], v4 src0_sel:WORD_1
	v_perm_b32 v6, v7, v6, s1
	global_load_dwordx4 v[2:5], v[48:49], off offset:2064
	v_perm_b32 v7, v9, v8, s1
	v_perm_b32 v8, v47, v46, s1
	s_nop 0
	v_mfma_f32_4x4x4_16b_bf16 a[0:3], v[34:35], v[6:7], a[0:3] cbsz:4 abid:5
	v_perm_b32 v9, v51, v50, s1
	v_cvt_pk_f32_fp8_e32 v[6:7], v22
	v_cvt_pk_f32_fp8_e32 v[46:47], v23
	v_mfma_f32_4x4x4_16b_bf16 a[0:3], v[36:37], v[8:9], a[0:3] cbsz:4 abid:5
	v_cvt_pk_f32_fp8_sdwa v[8:9], v22 src0_sel:WORD_1
	v_cvt_pk_f32_fp8_sdwa v[50:51], v23 src0_sel:WORD_1
	v_perm_b32 v22, v7, v6, s1
	v_perm_b32 v46, v47, v46, s1
	;; [unrolled: 1-line block ×3, first 2 shown]
	global_load_dwordx4 v[6:9], v[48:49], off offset:2048
	v_perm_b32 v47, v51, v50, s1
	v_mfma_f32_4x4x4_16b_bf16 a[0:3], v[34:35], v[22:23], a[0:3] cbsz:4 abid:6
	v_cvt_pk_f32_fp8_e32 v[22:23], v24
	v_cvt_pk_f32_fp8_e32 v[48:49], v25
	v_mfma_f32_4x4x4_16b_bf16 a[0:3], v[36:37], v[46:47], a[0:3] cbsz:4 abid:6
	v_cvt_pk_f32_fp8_sdwa v[46:47], v24 src0_sel:WORD_1
	v_cvt_pk_f32_fp8_sdwa v[24:25], v25 src0_sel:WORD_1
	v_perm_b32 v22, v23, v22, s1
	v_cvt_pk_f32_fp8_e32 v[50:51], v11
	v_perm_b32 v23, v47, v46, s1
	v_perm_b32 v46, v49, v48, s1
	v_perm_b32 v47, v25, v24, s1
	v_mfma_f32_4x4x4_16b_bf16 a[0:3], v[34:35], v[22:23], a[0:3] cbsz:4 abid:7
	v_cvt_pk_f32_fp8_e32 v[22:23], v30
	v_cvt_pk_f32_fp8_sdwa v[24:25], v30 src0_sel:WORD_1
	v_mfma_f32_4x4x4_16b_bf16 a[0:3], v[36:37], v[46:47], a[0:3] cbsz:4 abid:7
	v_cvt_pk_f32_fp8_e32 v[46:47], v31
	v_cvt_pk_f32_fp8_sdwa v[30:31], v31 src0_sel:WORD_1
	v_perm_b32 v48, v23, v22, s1
	v_perm_b32 v49, v25, v24, s1
	;; [unrolled: 1-line block ×4, first 2 shown]
	v_mfma_f32_4x4x4_16b_bf16 a[0:3], v[34:35], v[48:49], a[0:3] cbsz:4 abid:8
	v_cvt_pk_f32_fp8_e32 v[30:31], v32
	v_cvt_pk_f32_fp8_sdwa v[48:49], v32 src0_sel:WORD_1
	v_mfma_f32_4x4x4_16b_bf16 a[0:3], v[36:37], v[46:47], a[0:3] cbsz:4 abid:8
	v_cvt_pk_f32_fp8_e32 v[46:47], v33
	v_cvt_pk_f32_fp8_sdwa v[32:33], v33 src0_sel:WORD_1
	v_perm_b32 v30, v31, v30, s1
	v_perm_b32 v31, v49, v48, s1
	v_cvt_pk_f32_fp8_sdwa v[48:49], v10 src0_sel:WORD_1
	v_perm_b32 v46, v47, v46, s1
	v_mfma_f32_4x4x4_16b_bf16 a[0:3], v[34:35], v[30:31], a[0:3] cbsz:4 abid:9
	v_cvt_pk_f32_fp8_e32 v[30:31], v10
	v_perm_b32 v47, v33, v32, s1
	v_cvt_pk_f32_fp8_sdwa v[10:11], v11 src0_sel:WORD_1
	global_load_dwordx4 v[22:25], v[52:53], off offset:16
	v_mfma_f32_4x4x4_16b_bf16 a[0:3], v[36:37], v[46:47], a[0:3] cbsz:4 abid:9
	v_perm_b32 v46, v31, v30, s1
	global_load_dwordx4 v[30:33], v[52:53], off
	v_perm_b32 v47, v49, v48, s1
	v_perm_b32 v48, v51, v50, s1
	;; [unrolled: 1-line block ×3, first 2 shown]
	v_mfma_f32_4x4x4_16b_bf16 a[0:3], v[34:35], v[46:47], a[0:3] cbsz:4 abid:10
	v_cvt_pk_f32_fp8_e32 v[10:11], v12
	v_cvt_pk_f32_fp8_sdwa v[46:47], v12 src0_sel:WORD_1
	v_mfma_f32_4x4x4_16b_bf16 a[0:3], v[36:37], v[48:49], a[0:3] cbsz:4 abid:10
	v_cvt_pk_f32_fp8_e32 v[48:49], v13
	v_cvt_pk_f32_fp8_sdwa v[12:13], v13 src0_sel:WORD_1
	v_perm_b32 v10, v11, v10, s1
	v_perm_b32 v11, v47, v46, s1
	;; [unrolled: 1-line block ×4, first 2 shown]
	v_mfma_f32_4x4x4_16b_bf16 a[0:3], v[34:35], v[10:11], a[0:3] cbsz:4 abid:11
	v_cvt_pk_f32_fp8_e32 v[10:11], v18
	v_cvt_pk_f32_fp8_sdwa v[12:13], v18 src0_sel:WORD_1
	v_mfma_f32_4x4x4_16b_bf16 a[0:3], v[36:37], v[46:47], a[0:3] cbsz:4 abid:11
	v_cvt_pk_f32_fp8_e32 v[46:47], v19
	v_cvt_pk_f32_fp8_sdwa v[48:49], v19 src0_sel:WORD_1
	v_perm_b32 v18, v11, v10, s1
	v_perm_b32 v19, v13, v12, s1
	;; [unrolled: 1-line block ×4, first 2 shown]
	v_mfma_f32_4x4x4_16b_bf16 a[0:3], v[34:35], v[18:19], a[0:3] cbsz:4 abid:12
	global_load_dwordx4 v[10:13], v[52:53], off offset:2064
	v_cvt_pk_f32_fp8_sdwa v[48:49], v20 src0_sel:WORD_1
	v_mfma_f32_4x4x4_16b_bf16 a[0:3], v[36:37], v[46:47], a[0:3] cbsz:4 abid:12
	v_cvt_pk_f32_fp8_e32 v[46:47], v20
	v_cvt_pk_f32_fp8_e32 v[50:51], v21
	global_load_dwordx4 v[18:21], v[52:53], off offset:2048
	v_perm_b32 v46, v47, v46, s1
	v_perm_b32 v47, v49, v48, s1
	v_perm_b32 v48, v51, v50, s1
	v_perm_b32 v49, v55, v54, s1
	v_mfma_f32_4x4x4_16b_bf16 a[0:3], v[34:35], v[46:47], a[0:3] cbsz:4 abid:13
	s_waitcnt vmcnt(8)
	v_cvt_pk_f32_fp8_e32 v[46:47], v38
	v_cvt_pk_f32_fp8_e32 v[50:51], v39
	v_mfma_f32_4x4x4_16b_bf16 a[0:3], v[36:37], v[48:49], a[0:3] cbsz:4 abid:13
	v_cvt_pk_f32_fp8_sdwa v[48:49], v38 src0_sel:WORD_1
	v_perm_b32 v38, v47, v46, s1
	v_cvt_pk_f32_fp8_sdwa v[46:47], v39 src0_sel:WORD_1
	v_perm_b32 v39, v49, v48, s1
	v_perm_b32 v48, v51, v50, s1
	s_nop 0
	v_mfma_f32_4x4x4_16b_bf16 a[0:3], v[34:35], v[38:39], a[0:3] cbsz:4 abid:14
	v_perm_b32 v49, v47, v46, s1
	v_cvt_pk_f32_fp8_e32 v[38:39], v40
	v_cvt_pk_f32_fp8_sdwa v[46:47], v40 src0_sel:WORD_1
	v_mfma_f32_4x4x4_16b_bf16 a[0:3], v[36:37], v[48:49], a[0:3] cbsz:4 abid:14
	v_cvt_pk_f32_fp8_e32 v[48:49], v41
	v_cvt_pk_f32_fp8_sdwa v[40:41], v41 src0_sel:WORD_1
	v_perm_b32 v38, v39, v38, s1
	v_perm_b32 v39, v47, v46, s1
	;; [unrolled: 1-line block ×4, first 2 shown]
	v_mfma_f32_4x4x4_16b_bf16 a[0:3], v[34:35], v[38:39], a[0:3] cbsz:4 abid:15
	s_load_dword s1, s[8:9], 0x0
	s_waitcnt lgkmcnt(0)
	v_mov_b32_e32 v34, s0
	v_mfma_f32_4x4x4_16b_bf16 a[0:3], v[36:37], v[46:47], a[0:3] cbsz:4 abid:15
	v_mov_b32_e32 v41, 0xff7fffff
	v_mul_f32_e32 v36, s1, v34
	s_nop 2
	v_accvgpr_read_b32 v39, a1
	v_accvgpr_read_b32 v38, a0
	v_pk_mul_f32 v[38:39], v[38:39], v[36:37] op_sel_hi:[1,0]
	v_accvgpr_read_b32 v35, a3
	v_accvgpr_read_b32 v34, a2
	v_pk_mul_f32 v[34:35], v[34:35], v[36:37] op_sel_hi:[1,0]
	v_cndmask_b32_e64 v36, 0, 1.0, vcc
	v_cmp_eq_u32_e32 vcc, 1, v43
	s_nop 0
	v_mfma_f32_4x4x1_16b_f32 a[0:3], v38, v36, 0
	v_cndmask_b32_e64 v36, 0, 1.0, vcc
	v_cmp_eq_u32_e32 vcc, 2, v43
	s_nop 0
	v_mfma_f32_4x4x1_16b_f32 a[0:3], v39, v36, a[0:3]
	;; [unrolled: 4-line block ×3, first 2 shown]
	v_cndmask_b32_e64 v34, 0, 1.0, vcc
	s_nop 1
	v_mfma_f32_4x4x1_16b_f32 a[0:3], v35, v34, a[0:3]
	v_and_b32_e32 v34, -4, v44
	v_subrev_u32_e32 v35, s3, v34
	v_add_u32_e32 v36, 1, v35
	v_cvt_f32_i32_e32 v36, v36
	v_add_u32_e32 v37, 2, v35
	v_cvt_f32_i32_e32 v37, v37
	v_accvgpr_read_b32 v38, a0
	v_fma_f32 v36, v45, v36, v38
	v_accvgpr_read_b32 v38, a1
	v_fma_f32 v37, v45, v37, v38
	v_add_u32_e32 v38, 3, v35
	v_cvt_f32_i32_e32 v38, v38
	v_add_u32_e32 v35, 4, v35
	v_cvt_f32_i32_e32 v35, v35
	v_accvgpr_read_b32 v39, a2
	v_max_f32_e32 v40, 0xff7fffff, v36
	v_cmp_gt_i32_e32 vcc, s3, v34
	v_fma_f32 v38, v45, v38, v39
	v_accvgpr_read_b32 v39, a3
	v_cndmask_b32_e32 v40, v41, v40, vcc
	v_or_b32_e32 v41, 1, v34
	v_fmac_f32_e32 v39, v45, v35
	v_max_f32_e32 v45, v40, v37
	v_cmp_gt_i32_e64 s[0:1], s3, v41
	v_or_b32_e32 v34, 2, v34
	v_cmp_gt_i32_e64 s[4:5], s3, v34
	v_cndmask_b32_e64 v40, v40, v45, s[0:1]
	v_max_f32_e32 v41, v40, v38
	v_cndmask_b32_e64 v34, v40, v41, s[4:5]
	v_or_b32_e32 v40, 3, v44
	v_max_f32_e32 v41, v34, v39
	v_cmp_gt_i32_e64 s[8:9], s3, v40
	v_lshlrev_b32_e32 v35, 2, v0
	v_and_or_b32 v35, v35, 48, v43
	v_cndmask_b32_e64 v34, v34, v41, s[8:9]
	;;#ASMSTART
	v_nop
 v_nop
 v_max_f32_dpp v34, v34, v34 row_ror:4
	;;#ASMEND
	v_lshlrev_b32_e32 v40, 2, v35
	;;#ASMSTART
	v_nop
 v_nop
 v_max_f32_dpp v34, v34, v34 row_ror:8
	;;#ASMEND
	ds_bpermute_b32 v34, v40, v34
	s_waitcnt lgkmcnt(0)
	;;#ASMSTART
	v_nop
 v_nop
 v_max_f32_dpp v34, v34, v34 row_ror:4
	;;#ASMEND
	s_nop 0
	;;#ASMSTART
	v_nop
 v_nop
 v_max_f32_dpp v41, v34, v34 row_ror:8
	;;#ASMEND
	s_nop 0
	v_sub_f32_e32 v34, v36, v41
	v_mul_f32_e32 v34, 0x3fb8aa3b, v34
	v_sub_f32_e32 v35, v37, v41
	v_exp_f32_e32 v34, v34
	v_mul_f32_e32 v35, 0x3fb8aa3b, v35
	v_sub_f32_e32 v37, v38, v41
	v_exp_f32_e32 v35, v35
	;; [unrolled: 3-line block ×3, first 2 shown]
	v_mul_f32_e32 v38, 0x3fb8aa3b, v38
	v_exp_f32_e32 v38, v38
	v_cndmask_b32_e32 v34, 0, v34, vcc
	v_add_f32_e32 v36, 0, v34
	v_cndmask_b32_e64 v35, 0, v35, s[0:1]
	v_add_f32_e32 v39, v36, v35
	v_cndmask_b32_e64 v36, 0, v37, s[4:5]
	;; [unrolled: 2-line block ×3, first 2 shown]
	v_add_f32_e32 v38, v39, v37
	;;#ASMSTART
	v_nop
 v_nop
 v_add_f32_dpp v38, v38, v38 row_ror:4
	;;#ASMEND
	v_cmp_gt_u32_e32 vcc, 4, v1
	;;#ASMSTART
	v_nop
 v_nop
 v_add_f32_dpp v38, v38, v38 row_ror:8
	;;#ASMEND
	ds_bpermute_b32 v38, v40, v38
	s_waitcnt lgkmcnt(0)
	;;#ASMSTART
	v_nop
 v_nop
 v_add_f32_dpp v38, v38, v38 row_ror:4
	;;#ASMEND
	s_nop 0
	;;#ASMSTART
	v_nop
 v_nop
 v_add_f32_dpp v38, v38, v38 row_ror:8
	;;#ASMEND
	s_and_saveexec_b64 s[0:1], vcc
	s_cbranch_execz .LBB1329_18
; %bb.17:
	v_mul_u32_u24_e32 v39, 20, v42
	v_lshl_add_u32 v39, v43, 2, v39
	v_add_u32_e32 v39, 0x1400, v39
	ds_write2_b32 v39, v41, v38 offset1:20
.LBB1329_18:
	s_or_b64 exec, exec, s[0:1]
.LBB1329_19:
	s_or_b64 exec, exec, s[26:27]
	s_waitcnt lgkmcnt(0)
	s_barrier
	s_load_dword s0, s[24:25], 0x8
	v_lshlrev_b32_e32 v38, 2, v43
	v_add_u32_e32 v40, 0x1400, v38
	ds_read2_b32 v[38:39], v40 offset1:5
	ds_read2_b32 v[46:47], v40 offset0:10 offset1:15
	s_mul_i32 s1, s2, s38
	s_waitcnt lgkmcnt(0)
	s_mul_i32 s1, s1, s0
	s_lshl_b32 s0, s1, 1
	s_mov_b32 s1, 0xff7fffff
	v_max3_f32 v44, v38, s1, v39
	v_max3_f32 v44, v44, v46, v47
	v_sub_f32_e32 v38, v38, v44
	v_mul_f32_e32 v38, 0x3fb8aa3b, v38
	v_exp_f32_e32 v45, v38
	v_sub_f32_e32 v38, v39, v44
	ds_read2_b32 v[48:49], v40 offset0:20 offset1:25
	v_mul_f32_e32 v38, 0x3fb8aa3b, v38
	v_exp_f32_e32 v50, v38
	ds_read2_b32 v[38:39], v40 offset0:30 offset1:35
	v_sub_f32_e32 v40, v46, v44
	v_mul_f32_e32 v40, 0x3fb8aa3b, v40
	v_sub_f32_e32 v46, v47, v44
	v_exp_f32_e32 v40, v40
	v_mul_f32_e32 v46, 0x3fb8aa3b, v46
	v_exp_f32_e32 v46, v46
	s_waitcnt lgkmcnt(1)
	v_fma_f32 v45, v45, v48, 0
	v_fmac_f32_e32 v45, v50, v49
	s_waitcnt lgkmcnt(0)
	v_fmac_f32_e32 v45, v40, v38
	v_fmac_f32_e32 v45, v46, v39
	v_cmp_gt_u32_e32 vcc, 2, v43
	s_and_saveexec_b64 s[2:3], vcc
	s_cbranch_execz .LBB1329_21
; %bb.20:
	s_mov_b32 s1, 0
	s_lshl_b64 s[4:5], s[0:1], 2
	s_add_u32 s12, s12, s4
	s_mov_b32 s21, s1
	s_addc_u32 s13, s13, s5
	s_lshl_b64 s[8:9], s[20:21], 2
	s_add_u32 s12, s12, s8
	s_addc_u32 s13, s13, s9
	s_add_u32 s1, s14, s4
	s_addc_u32 s5, s15, s5
	v_or_b32_e32 v38, s33, v43
	s_add_u32 s4, s1, s8
	v_mul_lo_u32 v38, s38, v38
	v_mov_b32_e32 v39, 0
	s_addc_u32 s5, s5, s9
	v_lshlrev_b64 v[38:39], 2, v[38:39]
	v_lshl_add_u64 v[46:47], s[12:13], 0, v[38:39]
	v_lshl_add_u64 v[38:39], s[4:5], 0, v[38:39]
	global_store_dword v[38:39], v44, off
	global_store_dword v[46:47], v45, off
.LBB1329_21:
	s_or_b64 exec, exec, s[2:3]
	v_lshlrev_b32_e32 v40, 3, v42
                                        ; implicit-def: $sgpr1
	s_and_saveexec_b64 s[2:3], s[6:7]
	s_xor_b64 s[2:3], exec, s[2:3]
	s_cbranch_execz .LBB1329_23
; %bb.22:
	s_waitcnt vmcnt(5)
	v_mov_b32_e32 v2, 0
	v_mad_u32_u24 v4, v1, 40, v40
	s_mov_b32 s1, 0
	v_mov_b32_e32 v3, v2
	ds_write_b64 v4, v[2:3]
                                        ; implicit-def: $vgpr37
                                        ; implicit-def: $vgpr35
                                        ; implicit-def: $vgpr41
                                        ; implicit-def: $vgpr26_vgpr27
                                        ; implicit-def: $vgpr14_vgpr15
                                        ; implicit-def: $vgpr30_vgpr31
                                        ; implicit-def: $vgpr22_vgpr23
                                        ; implicit-def: $vgpr6_vgpr7
                                        ; implicit-def: $vgpr2_vgpr3
                                        ; implicit-def: $vgpr18_vgpr19
                                        ; implicit-def: $vgpr10_vgpr11
                                        ; implicit-def: $vgpr44
                                        ; implicit-def: $vgpr45
.LBB1329_23:
	s_or_saveexec_b64 s[2:3], s[2:3]
	v_mov_b32_e32 v38, s1
	v_mov_b32_e32 v39, s1
	s_xor_b64 exec, exec, s[2:3]
	s_cbranch_execz .LBB1329_25
; %bb.24:
	v_add_f32_e32 v38, 0x358637bd, v45
	v_div_scale_f32 v39, s[4:5], v38, v38, 1.0
	v_rcp_f32_e32 v42, v39
	v_sub_f32_e32 v41, v41, v44
	v_mul_f32_e32 v41, 0x3fb8aa3b, v41
	v_exp_f32_e32 v41, v41
	v_fma_f32 v43, -v39, v42, 1.0
	v_fmac_f32_e32 v42, v43, v42
	v_div_scale_f32 v43, vcc, 1.0, v38, 1.0
	v_mul_f32_e32 v44, v43, v42
	v_fma_f32 v45, -v39, v44, v43
	v_fmac_f32_e32 v44, v45, v42
	v_fma_f32 v39, -v39, v44, v43
	v_div_fmas_f32 v39, v39, v42, v44
	v_div_fixup_f32 v38, v39, v38, 1.0
	v_mul_f32_e32 v38, v41, v38
	v_pk_mul_f32 v[34:35], v[34:35], v[38:39] op_sel_hi:[1,0]
	v_pk_mul_f32 v[36:37], v[36:37], v[38:39] op_sel_hi:[1,0]
	v_bfe_u32 v38, v35, 16, 1
	v_bfe_u32 v39, v34, 16, 1
	s_movk_i32 s1, 0x7fff
	v_add3_u32 v34, v34, v39, s1
	v_add3_u32 v35, v35, v38, s1
	s_mov_b32 s5, 0x7060302
	v_perm_b32 v34, v35, v34, s5
	v_bfe_u32 v35, v37, 16, 1
	v_bfe_u32 v38, v36, 16, 1
	v_add3_u32 v36, v36, v38, s1
	v_add3_u32 v35, v37, v35, s1
	v_perm_b32 v35, v35, v36, s5
	s_waitcnt vmcnt(6)
	v_cvt_pk_f32_fp8_e32 v[36:37], v26
	v_cvt_pk_f32_fp8_sdwa v[38:39], v26 src0_sel:WORD_1
	v_cvt_pk_f32_fp8_e32 v[42:43], v27
	v_cvt_pk_f32_fp8_sdwa v[26:27], v27 src0_sel:WORD_1
	v_perm_b32 v36, v37, v36, s5
	v_perm_b32 v37, v39, v38, s5
	;; [unrolled: 1-line block ×4, first 2 shown]
	v_mfma_f32_4x4x4_16b_bf16 a[0:3], v[34:35], v[36:37], 0 cbsz:4
	v_cvt_pk_f32_fp8_e32 v[26:27], v28
	v_cvt_pk_f32_fp8_sdwa v[36:37], v28 src0_sel:WORD_1
	v_mfma_f32_4x4x4_16b_bf16 a[0:3], v[34:35], v[38:39], a[0:3] cbsz:4 abid:1
	v_cvt_pk_f32_fp8_e32 v[38:39], v29
	v_cvt_pk_f32_fp8_sdwa v[28:29], v29 src0_sel:WORD_1
	v_perm_b32 v26, v27, v26, s5
	v_perm_b32 v27, v37, v36, s5
	v_perm_b32 v36, v39, v38, s5
	v_perm_b32 v37, v29, v28, s5
	v_mfma_f32_4x4x4_16b_bf16 a[0:3], v[34:35], v[26:27], a[0:3] cbsz:4 abid:2
	v_cvt_pk_f32_fp8_e32 v[26:27], v14
	v_cvt_pk_f32_fp8_sdwa v[28:29], v14 src0_sel:WORD_1
	v_mfma_f32_4x4x4_16b_bf16 a[0:3], v[34:35], v[36:37], a[0:3] cbsz:4 abid:3
	v_cvt_pk_f32_fp8_e32 v[36:37], v15
	v_cvt_pk_f32_fp8_sdwa v[14:15], v15 src0_sel:WORD_1
	v_perm_b32 v26, v27, v26, s5
	v_perm_b32 v27, v29, v28, s5
	v_perm_b32 v28, v37, v36, s5
	v_perm_b32 v29, v15, v14, s5
	v_mfma_f32_4x4x4_16b_bf16 a[0:3], v[34:35], v[26:27], a[0:3] cbsz:4 abid:4
	;; [unrolled: 10-line block ×3, first 2 shown]
	s_waitcnt vmcnt(2)
	v_cvt_pk_f32_fp8_e32 v[14:15], v30
	v_cvt_pk_f32_fp8_sdwa v[16:17], v30 src0_sel:WORD_1
	v_mfma_f32_4x4x4_16b_bf16 a[0:3], v[34:35], v[26:27], a[0:3] cbsz:4 abid:7
	v_cvt_pk_f32_fp8_e32 v[26:27], v31
	v_cvt_pk_f32_fp8_sdwa v[28:29], v31 src0_sel:WORD_1
	v_perm_b32 v14, v15, v14, s5
	v_perm_b32 v15, v17, v16, s5
	v_perm_b32 v16, v27, v26, s5
	v_perm_b32 v17, v29, v28, s5
	v_mfma_f32_4x4x4_16b_bf16 a[0:3], v[34:35], v[14:15], a[0:3] cbsz:4 abid:8
	v_cvt_pk_f32_fp8_e32 v[14:15], v32
	v_cvt_pk_f32_fp8_e32 v[26:27], v33
	v_mfma_f32_4x4x4_16b_bf16 a[0:3], v[34:35], v[16:17], a[0:3] cbsz:4 abid:9
	v_cvt_pk_f32_fp8_sdwa v[16:17], v32 src0_sel:WORD_1
	v_cvt_pk_f32_fp8_sdwa v[28:29], v33 src0_sel:WORD_1
	v_perm_b32 v14, v15, v14, s5
	s_load_dword s4, s[10:11], 0x0
	v_perm_b32 v15, v17, v16, s5
	v_perm_b32 v16, v27, v26, s5
	v_perm_b32 v17, v29, v28, s5
	v_mfma_f32_4x4x4_16b_bf16 a[0:3], v[34:35], v[14:15], a[0:3] cbsz:4 abid:10
	v_cvt_pk_f32_fp8_e32 v[14:15], v22
	v_cvt_pk_f32_fp8_e32 v[26:27], v23
	v_mfma_f32_4x4x4_16b_bf16 a[0:3], v[34:35], v[16:17], a[0:3] cbsz:4 abid:11
	v_cvt_pk_f32_fp8_sdwa v[16:17], v22 src0_sel:WORD_1
	v_cvt_pk_f32_fp8_sdwa v[22:23], v23 src0_sel:WORD_1
	v_perm_b32 v14, v15, v14, s5
	v_perm_b32 v15, v17, v16, s5
	;; [unrolled: 1-line block ×3, first 2 shown]
	s_nop 0
	v_mfma_f32_4x4x4_16b_bf16 a[0:3], v[34:35], v[14:15], a[0:3] cbsz:4 abid:12
	v_perm_b32 v17, v23, v22, s5
	v_cvt_pk_f32_fp8_e32 v[14:15], v24
	v_cvt_pk_f32_fp8_e32 v[22:23], v25
	v_mfma_f32_4x4x4_16b_bf16 a[0:3], v[34:35], v[16:17], a[0:3] cbsz:4 abid:13
	v_cvt_pk_f32_fp8_sdwa v[16:17], v24 src0_sel:WORD_1
	v_cvt_pk_f32_fp8_sdwa v[24:25], v25 src0_sel:WORD_1
	v_perm_b32 v14, v15, v14, s5
	v_perm_b32 v15, v17, v16, s5
	;; [unrolled: 1-line block ×3, first 2 shown]
	s_nop 0
	v_mfma_f32_4x4x4_16b_bf16 a[0:3], v[34:35], v[14:15], a[0:3] cbsz:4 abid:14
	v_perm_b32 v17, v25, v24, s5
	s_nop 1
	v_mfma_f32_4x4x4_16b_bf16 a[0:3], v[34:35], v[16:17], a[0:3] cbsz:4 abid:15
	s_nop 4
	v_accvgpr_read_b32 v17, a1
	v_accvgpr_read_b32 v16, a0
	s_waitcnt lgkmcnt(0)
	v_pk_mul_f32 v[16:17], v[16:17], s[4:5] op_sel_hi:[1,0]
	v_accvgpr_read_b32 v15, a3
	v_accvgpr_read_b32 v14, a2
	v_bfe_u32 v22, v17, 16, 1
	v_bfe_u32 v23, v16, 16, 1
	v_pk_mul_f32 v[14:15], v[14:15], s[4:5] op_sel_hi:[1,0]
	v_add3_u32 v16, v16, v23, s1
	v_add3_u32 v17, v17, v22, s1
	v_perm_b32 v16, v17, v16, s5
	v_bfe_u32 v17, v15, 16, 1
	v_bfe_u32 v22, v14, 16, 1
	v_add3_u32 v14, v14, v22, s1
	v_add3_u32 v15, v15, v17, s1
	v_perm_b32 v17, v15, v14, s5
	v_mad_u32_u24 v14, v1, 40, v40
	ds_write_b64 v14, v[16:17]
	v_cvt_pk_f32_fp8_e32 v[14:15], v6
	v_cvt_pk_f32_fp8_sdwa v[16:17], v6 src0_sel:WORD_1
	v_cvt_pk_f32_fp8_e32 v[22:23], v7
	v_cvt_pk_f32_fp8_sdwa v[6:7], v7 src0_sel:WORD_1
	v_perm_b32 v14, v15, v14, s5
	v_perm_b32 v15, v17, v16, s5
	;; [unrolled: 1-line block ×4, first 2 shown]
	v_mfma_f32_4x4x4_16b_bf16 a[0:3], v[34:35], v[14:15], 0 cbsz:4
	v_cvt_pk_f32_fp8_e32 v[6:7], v8
	v_cvt_pk_f32_fp8_sdwa v[14:15], v8 src0_sel:WORD_1
	v_mfma_f32_4x4x4_16b_bf16 a[0:3], v[34:35], v[16:17], a[0:3] cbsz:4 abid:1
	v_cvt_pk_f32_fp8_e32 v[16:17], v9
	v_cvt_pk_f32_fp8_sdwa v[8:9], v9 src0_sel:WORD_1
	v_perm_b32 v6, v7, v6, s5
	v_perm_b32 v7, v15, v14, s5
	v_perm_b32 v14, v17, v16, s5
	v_perm_b32 v15, v9, v8, s5
	v_mfma_f32_4x4x4_16b_bf16 a[0:3], v[34:35], v[6:7], a[0:3] cbsz:4 abid:2
	v_cvt_pk_f32_fp8_e32 v[6:7], v2
	v_cvt_pk_f32_fp8_sdwa v[8:9], v2 src0_sel:WORD_1
	v_mfma_f32_4x4x4_16b_bf16 a[0:3], v[34:35], v[14:15], a[0:3] cbsz:4 abid:3
	v_cvt_pk_f32_fp8_e32 v[14:15], v3
	v_cvt_pk_f32_fp8_sdwa v[2:3], v3 src0_sel:WORD_1
	v_perm_b32 v6, v7, v6, s5
	v_perm_b32 v7, v9, v8, s5
	v_perm_b32 v8, v15, v14, s5
	v_perm_b32 v9, v3, v2, s5
	v_mfma_f32_4x4x4_16b_bf16 a[0:3], v[34:35], v[6:7], a[0:3] cbsz:4 abid:4
	;; [unrolled: 10-line block ×3, first 2 shown]
	s_waitcnt vmcnt(0)
	v_cvt_pk_f32_fp8_e32 v[2:3], v18
	v_cvt_pk_f32_fp8_sdwa v[4:5], v18 src0_sel:WORD_1
	v_mfma_f32_4x4x4_16b_bf16 a[0:3], v[34:35], v[6:7], a[0:3] cbsz:4 abid:7
	v_cvt_pk_f32_fp8_e32 v[6:7], v19
	v_cvt_pk_f32_fp8_sdwa v[8:9], v19 src0_sel:WORD_1
	v_perm_b32 v2, v3, v2, s5
	v_perm_b32 v3, v5, v4, s5
	;; [unrolled: 1-line block ×4, first 2 shown]
	v_mfma_f32_4x4x4_16b_bf16 a[0:3], v[34:35], v[2:3], a[0:3] cbsz:4 abid:8
	v_cvt_pk_f32_fp8_e32 v[2:3], v20
	v_cvt_pk_f32_fp8_e32 v[6:7], v21
	v_mfma_f32_4x4x4_16b_bf16 a[0:3], v[34:35], v[4:5], a[0:3] cbsz:4 abid:9
	v_cvt_pk_f32_fp8_sdwa v[4:5], v20 src0_sel:WORD_1
	v_cvt_pk_f32_fp8_sdwa v[8:9], v21 src0_sel:WORD_1
	v_perm_b32 v2, v3, v2, s5
	v_perm_b32 v3, v5, v4, s5
	v_perm_b32 v4, v7, v6, s5
	s_nop 0
	v_mfma_f32_4x4x4_16b_bf16 a[0:3], v[34:35], v[2:3], a[0:3] cbsz:4 abid:10
	v_perm_b32 v5, v9, v8, s5
	v_cvt_pk_f32_fp8_e32 v[2:3], v10
	v_cvt_pk_f32_fp8_e32 v[6:7], v11
	v_mfma_f32_4x4x4_16b_bf16 a[0:3], v[34:35], v[4:5], a[0:3] cbsz:4 abid:11
	v_cvt_pk_f32_fp8_sdwa v[4:5], v10 src0_sel:WORD_1
	v_cvt_pk_f32_fp8_sdwa v[8:9], v11 src0_sel:WORD_1
	v_perm_b32 v2, v3, v2, s5
	v_perm_b32 v3, v5, v4, s5
	v_perm_b32 v4, v7, v6, s5
	s_nop 0
	v_mfma_f32_4x4x4_16b_bf16 a[0:3], v[34:35], v[2:3], a[0:3] cbsz:4 abid:12
	v_perm_b32 v5, v9, v8, s5
	;; [unrolled: 11-line block ×3, first 2 shown]
	s_nop 1
	v_mfma_f32_4x4x4_16b_bf16 a[0:3], v[34:35], v[4:5], a[0:3] cbsz:4 abid:15
	s_nop 4
	v_accvgpr_read_b32 v5, a1
	v_accvgpr_read_b32 v4, a0
	;; [unrolled: 1-line block ×4, first 2 shown]
	v_pk_mul_f32 v[4:5], v[4:5], s[4:5] op_sel_hi:[1,0]
	v_pk_mul_f32 v[2:3], v[2:3], s[4:5] op_sel_hi:[1,0]
	v_bfe_u32 v6, v5, 16, 1
	v_bfe_u32 v7, v4, 16, 1
	v_add3_u32 v4, v4, v7, s1
	v_add3_u32 v5, v5, v6, s1
	v_bfe_u32 v6, v3, 16, 1
	v_bfe_u32 v7, v2, 16, 1
	v_add3_u32 v2, v2, v7, s1
	v_add3_u32 v3, v3, v6, s1
	v_perm_b32 v39, v3, v2, s5
	v_perm_b32 v38, v5, v4, s5
.LBB1329_25:
	s_or_b64 exec, exec, s[2:3]
	s_waitcnt vmcnt(5)
	v_mad_u32_u24 v2, v1, 40, v40
	v_cmp_gt_u32_e32 vcc, 64, v0
	ds_write_b64 v2, v[38:39] offset:2560
	s_waitcnt lgkmcnt(0)
	s_barrier
	s_and_saveexec_b64 s[2:3], vcc
	s_cbranch_execz .LBB1329_27
; %bb.26:
	s_waitcnt vmcnt(4)
	v_mul_u32_u24_e32 v6, 40, v1
	ds_read2_b64 v[2:5], v6 offset1:1
	ds_read2_b64 v[6:9], v6 offset0:2 offset1:3
	s_mov_b32 s1, 0
	s_lshl_b32 s0, s0, 7
	s_lshl_b64 s[2:3], s[0:1], 1
	s_waitcnt lgkmcnt(1)
	v_and_b32_e32 v3, 0xffff0000, v2
	v_add_f32_e32 v3, 0, v3
	v_and_b32_e32 v5, 0xffff0000, v4
	v_and_b32_e32 v3, 0xffff0000, v3
	v_add_f32_e32 v3, v3, v5
	s_waitcnt lgkmcnt(0)
	v_and_b32_e32 v7, 0xffff0000, v6
	v_and_b32_e32 v3, 0xffff0000, v3
	v_add_f32_e32 v3, v3, v7
	v_mov_b32_e32 v7, 0xa00
	v_mad_u32_u24 v7, v1, 40, v7
	s_waitcnt vmcnt(1)
	ds_read2_b64 v[10:13], v7 offset1:1
	v_and_b32_e32 v3, 0xffff0000, v3
	v_and_b32_e32 v5, 0xffff0000, v8
	v_add_f32_e32 v7, v3, v5
	v_mov_b32_e32 v3, 0xa10
	v_mad_u32_u24 v1, v1, 40, v3
	ds_read2_b64 v[14:17], v1 offset1:1
	s_waitcnt lgkmcnt(1)
	v_lshlrev_b32_e32 v1, 16, v10
	v_add_f32_e32 v1, 0, v1
	v_and_b32_e32 v3, 0xffff0000, v10
	v_and_b32_e32 v1, 0xffff0000, v1
	v_add_f32_e32 v3, 0, v3
	v_lshlrev_b32_e32 v5, 16, v12
	v_and_b32_e32 v3, 0xffff0000, v3
	v_add_f32_e32 v1, v1, v5
	v_and_b32_e32 v5, 0xffff0000, v12
	v_and_b32_e32 v1, 0xffff0000, v1
	v_add_f32_e32 v3, v3, v5
	s_waitcnt lgkmcnt(0)
	v_lshlrev_b32_e32 v5, 16, v14
	v_and_b32_e32 v3, 0xffff0000, v3
	v_add_f32_e32 v1, v1, v5
	v_and_b32_e32 v5, 0xffff0000, v14
	v_and_b32_e32 v1, 0xffff0000, v1
	v_add_f32_e32 v3, v3, v5
	v_lshlrev_b32_e32 v5, 16, v16
	v_and_b32_e32 v3, 0xffff0000, v3
	v_add_f32_e32 v9, v1, v5
	v_and_b32_e32 v1, 0xffff0000, v16
	v_add_f32_e32 v10, v3, v1
	v_lshlrev_b32_e32 v1, 16, v2
	s_add_u32 s2, s22, s2
	v_add_f32_e32 v1, 0, v1
	s_addc_u32 s3, s23, s3
	s_lshl_b32 s0, s20, 7
	v_and_b32_e32 v1, 0xffff0000, v1
	v_lshlrev_b32_e32 v2, 16, v4
	s_lshl_b64 s[0:1], s[0:1], 1
	v_add_f32_e32 v1, v1, v2
	s_add_u32 s0, s2, s0
	v_and_b32_e32 v1, 0xffff0000, v1
	v_lshlrev_b32_e32 v2, 16, v6
	s_addc_u32 s1, s3, s1
	s_lshl_b32 s2, s38, 7
	v_add_f32_e32 v1, v1, v2
	v_and_b32_e32 v1, 0xffff0000, v1
	v_lshlrev_b32_e32 v2, 16, v8
	s_mul_i32 s3, s2, s33
	v_add_f32_e32 v1, v1, v2
	v_or_b32_e32 v2, s3, v0
	v_mov_b32_e32 v3, 0
	s_add_i32 s3, s3, s2
	v_lshl_add_u64 v[4:5], v[2:3], 1, s[0:1]
	v_or_b32_e32 v2, s3, v0
	global_store_short_d16_hi v[4:5], v1, off
	v_lshl_add_u64 v[0:1], v[2:3], 1, s[0:1]
	global_store_short_d16_hi v[0:1], v7, off
	global_store_short_d16_hi v[4:5], v9, off offset:128
	global_store_short_d16_hi v[0:1], v10, off offset:128
.LBB1329_27:
	s_endpgm
	.section	.rodata,"a",@progbits
	.p2align	6, 0x0
	.amdhsa_kernel _Z38paged_attention_ll4mi_QKV_mfma4_kernelI14__hip_bfloat16hLN4vllm18Fp8KVCacheDataTypeE1EhLi32ELi128ELi256ELb1ELi2EEvPKT_PKT0_S8_ifPKiSA_SA_iPKfiiiPfSD_PS3_PT2_iSC_SC_
		.amdhsa_group_segment_fixed_size 5280
		.amdhsa_private_segment_fixed_size 0
		.amdhsa_kernarg_size 400
		.amdhsa_user_sgpr_count 2
		.amdhsa_user_sgpr_dispatch_ptr 0
		.amdhsa_user_sgpr_queue_ptr 0
		.amdhsa_user_sgpr_kernarg_segment_ptr 1
		.amdhsa_user_sgpr_dispatch_id 0
		.amdhsa_user_sgpr_kernarg_preload_length 0
		.amdhsa_user_sgpr_kernarg_preload_offset 0
		.amdhsa_user_sgpr_private_segment_size 0
		.amdhsa_uses_dynamic_stack 0
		.amdhsa_enable_private_segment 0
		.amdhsa_system_sgpr_workgroup_id_x 1
		.amdhsa_system_sgpr_workgroup_id_y 1
		.amdhsa_system_sgpr_workgroup_id_z 1
		.amdhsa_system_sgpr_workgroup_info 0
		.amdhsa_system_vgpr_workitem_id 0
		.amdhsa_next_free_vgpr 60
		.amdhsa_next_free_sgpr 44
		.amdhsa_accum_offset 56
		.amdhsa_reserve_vcc 1
		.amdhsa_float_round_mode_32 0
		.amdhsa_float_round_mode_16_64 0
		.amdhsa_float_denorm_mode_32 3
		.amdhsa_float_denorm_mode_16_64 3
		.amdhsa_dx10_clamp 1
		.amdhsa_ieee_mode 1
		.amdhsa_fp16_overflow 0
		.amdhsa_tg_split 0
		.amdhsa_exception_fp_ieee_invalid_op 0
		.amdhsa_exception_fp_denorm_src 0
		.amdhsa_exception_fp_ieee_div_zero 0
		.amdhsa_exception_fp_ieee_overflow 0
		.amdhsa_exception_fp_ieee_underflow 0
		.amdhsa_exception_fp_ieee_inexact 0
		.amdhsa_exception_int_div_zero 0
	.end_amdhsa_kernel
	.section	.text._Z38paged_attention_ll4mi_QKV_mfma4_kernelI14__hip_bfloat16hLN4vllm18Fp8KVCacheDataTypeE1EhLi32ELi128ELi256ELb1ELi2EEvPKT_PKT0_S8_ifPKiSA_SA_iPKfiiiPfSD_PS3_PT2_iSC_SC_,"axG",@progbits,_Z38paged_attention_ll4mi_QKV_mfma4_kernelI14__hip_bfloat16hLN4vllm18Fp8KVCacheDataTypeE1EhLi32ELi128ELi256ELb1ELi2EEvPKT_PKT0_S8_ifPKiSA_SA_iPKfiiiPfSD_PS3_PT2_iSC_SC_,comdat
.Lfunc_end1329:
	.size	_Z38paged_attention_ll4mi_QKV_mfma4_kernelI14__hip_bfloat16hLN4vllm18Fp8KVCacheDataTypeE1EhLi32ELi128ELi256ELb1ELi2EEvPKT_PKT0_S8_ifPKiSA_SA_iPKfiiiPfSD_PS3_PT2_iSC_SC_, .Lfunc_end1329-_Z38paged_attention_ll4mi_QKV_mfma4_kernelI14__hip_bfloat16hLN4vllm18Fp8KVCacheDataTypeE1EhLi32ELi128ELi256ELb1ELi2EEvPKT_PKT0_S8_ifPKiSA_SA_iPKfiiiPfSD_PS3_PT2_iSC_SC_
                                        ; -- End function
	.section	.AMDGPU.csdata,"",@progbits
; Kernel info:
; codeLenInByte = 5684
; NumSgprs: 50
; NumVgprs: 56
; NumAgprs: 4
; TotalNumVgprs: 60
; ScratchSize: 0
; MemoryBound: 0
; FloatMode: 240
; IeeeMode: 1
; LDSByteSize: 5280 bytes/workgroup (compile time only)
; SGPRBlocks: 6
; VGPRBlocks: 7
; NumSGPRsForWavesPerEU: 50
; NumVGPRsForWavesPerEU: 60
; AccumOffset: 56
; Occupancy: 8
; WaveLimiterHint : 1
; COMPUTE_PGM_RSRC2:SCRATCH_EN: 0
; COMPUTE_PGM_RSRC2:USER_SGPR: 2
; COMPUTE_PGM_RSRC2:TRAP_HANDLER: 0
; COMPUTE_PGM_RSRC2:TGID_X_EN: 1
; COMPUTE_PGM_RSRC2:TGID_Y_EN: 1
; COMPUTE_PGM_RSRC2:TGID_Z_EN: 1
; COMPUTE_PGM_RSRC2:TIDIG_COMP_CNT: 0
; COMPUTE_PGM_RSRC3_GFX90A:ACCUM_OFFSET: 13
; COMPUTE_PGM_RSRC3_GFX90A:TG_SPLIT: 0
	.section	.text._Z38paged_attention_ll4mi_QKV_mfma4_kernelI14__hip_bfloat16hLN4vllm18Fp8KVCacheDataTypeE1EhLi32ELi128ELi256ELb1ELi3EEvPKT_PKT0_S8_ifPKiSA_SA_iPKfiiiPfSD_PS3_PT2_iSC_SC_,"axG",@progbits,_Z38paged_attention_ll4mi_QKV_mfma4_kernelI14__hip_bfloat16hLN4vllm18Fp8KVCacheDataTypeE1EhLi32ELi128ELi256ELb1ELi3EEvPKT_PKT0_S8_ifPKiSA_SA_iPKfiiiPfSD_PS3_PT2_iSC_SC_,comdat
	.protected	_Z38paged_attention_ll4mi_QKV_mfma4_kernelI14__hip_bfloat16hLN4vllm18Fp8KVCacheDataTypeE1EhLi32ELi128ELi256ELb1ELi3EEvPKT_PKT0_S8_ifPKiSA_SA_iPKfiiiPfSD_PS3_PT2_iSC_SC_ ; -- Begin function _Z38paged_attention_ll4mi_QKV_mfma4_kernelI14__hip_bfloat16hLN4vllm18Fp8KVCacheDataTypeE1EhLi32ELi128ELi256ELb1ELi3EEvPKT_PKT0_S8_ifPKiSA_SA_iPKfiiiPfSD_PS3_PT2_iSC_SC_
	.globl	_Z38paged_attention_ll4mi_QKV_mfma4_kernelI14__hip_bfloat16hLN4vllm18Fp8KVCacheDataTypeE1EhLi32ELi128ELi256ELb1ELi3EEvPKT_PKT0_S8_ifPKiSA_SA_iPKfiiiPfSD_PS3_PT2_iSC_SC_
	.p2align	8
	.type	_Z38paged_attention_ll4mi_QKV_mfma4_kernelI14__hip_bfloat16hLN4vllm18Fp8KVCacheDataTypeE1EhLi32ELi128ELi256ELb1ELi3EEvPKT_PKT0_S8_ifPKiSA_SA_iPKfiiiPfSD_PS3_PT2_iSC_SC_,@function
_Z38paged_attention_ll4mi_QKV_mfma4_kernelI14__hip_bfloat16hLN4vllm18Fp8KVCacheDataTypeE1EhLi32ELi128ELi256ELb1ELi3EEvPKT_PKT0_S8_ifPKiSA_SA_iPKfiiiPfSD_PS3_PT2_iSC_SC_: ; @_Z38paged_attention_ll4mi_QKV_mfma4_kernelI14__hip_bfloat16hLN4vllm18Fp8KVCacheDataTypeE1EhLi32ELi128ELi256ELb1ELi3EEvPKT_PKT0_S8_ifPKiSA_SA_iPKfiiiPfSD_PS3_PT2_iSC_SC_
; %bb.0:
	s_load_dwordx2 s[16:17], s[0:1], 0x30
	s_mov_b32 s20, s3
	s_mov_b64 s[6:7], 0
	s_waitcnt lgkmcnt(0)
	s_cmp_lg_u64 s[16:17], 0
	s_cselect_b64 s[18:19], -1, 0
	s_and_b64 vcc, exec, s[18:19]
	s_cbranch_vccz .LBB1330_10
; %bb.1:
	s_add_i32 s8, s2, 1
	s_mov_b32 s9, 0
	s_lshl_b64 s[10:11], s[8:9], 2
	s_add_u32 s10, s16, s10
	s_mov_b32 s3, s9
	s_addc_u32 s11, s17, s11
	s_lshl_b64 s[8:9], s[2:3], 2
	s_add_u32 s8, s16, s8
	s_addc_u32 s9, s17, s9
	s_load_dword s5, s[10:11], 0x0
	s_load_dword s12, s[8:9], 0x0
	s_waitcnt lgkmcnt(0)
	s_sub_i32 s5, s5, s12
	s_cmp_eq_u32 s5, 1
	s_cselect_b64 s[8:9], -1, 0
	s_andn2_b64 vcc, exec, s[6:7]
	s_cbranch_vccnz .LBB1330_3
.LBB1330_2:
	s_mov_b32 s3, 0
	s_mov_b64 s[8:9], -1
.LBB1330_3:
	s_andn2_b64 vcc, exec, s[8:9]
	s_cbranch_vccnz .LBB1330_27
; %bb.4:
	s_load_dword s5, s[0:1], 0x9c
	s_load_dwordx2 s[6:7], s[0:1], 0x28
	s_add_u32 s24, s0, 0x90
	s_addc_u32 s25, s1, 0
	s_lshl_b64 s[28:29], s[2:3], 2
	s_waitcnt lgkmcnt(0)
	s_and_b32 s5, s5, 0xffff
	s_add_u32 s6, s6, s28
	s_addc_u32 s7, s7, s29
	s_load_dword s3, s[6:7], 0x0
	s_mul_i32 s5, s20, s5
	s_waitcnt lgkmcnt(0)
	s_cmp_ge_i32 s5, s3
	s_cbranch_scc1 .LBB1330_27
; %bb.5:
	v_and_b32_e32 v1, 0xc0, v0
	v_add_u32_e32 v4, s5, v1
	v_lshrrev_b32_e32 v46, 6, v0
	v_cmp_le_i32_e64 s[6:7], s3, v4
                                        ; implicit-def: $sgpr30
                                        ; implicit-def: $sgpr21
	s_and_saveexec_b64 s[8:9], s[6:7]
	s_xor_b64 s[8:9], exec, s[8:9]
	s_cbranch_execz .LBB1330_7
; %bb.6:
	v_mul_u32_u24_e32 v1, 20, v46
	v_or_b32_e32 v1, 0x1400, v1
	v_mov_b32_e32 v2, 0x1450
	v_mov_b32_e32 v3, 0xff7fffff
	v_mad_u32_u24 v2, v46, 20, v2
	ds_write2_b32 v1, v3, v3 offset1:1
	v_mov_b32_e32 v1, 0
	ds_write2_b32 v2, v1, v1 offset1:1
	v_mov_b32_e32 v2, 0x1408
	v_mov_b32_e32 v4, 0x1458
	s_mov_b32 s21, 0xff7fffff
	s_mov_b32 s30, 0
	v_mad_u32_u24 v2, v46, 20, v2
	v_mad_u32_u24 v4, v46, 20, v4
	ds_write2_b32 v2, v3, v3 offset1:1
	ds_write2_b32 v4, v1, v1 offset1:1
                                        ; implicit-def: $vgpr4
.LBB1330_7:
	s_or_saveexec_b64 s[26:27], s[8:9]
	s_load_dwordx2 s[22:23], s[0:1], 0x68
	s_load_dwordx4 s[12:15], s[0:1], 0x58
	s_load_dword s38, s[24:25], 0x4
	s_load_dwordx4 s[8:11], s[0:1], 0x80
	v_and_b32_e32 v1, 63, v0
	v_and_b32_e32 v47, 3, v0
	s_mul_i32 s33, s4, 3
	v_mov_b32_e32 v37, s30
	v_mov_b32_e32 v41, s21
	;; [unrolled: 1-line block ×5, first 2 shown]
                                        ; implicit-def: $vgpr26_vgpr27
                                        ; implicit-def: $vgpr10_vgpr11
                                        ; implicit-def: $vgpr30_vgpr31
                                        ; implicit-def: $vgpr18_vgpr19
                                        ; implicit-def: $vgpr6_vgpr7
                                        ; implicit-def: $vgpr2_vgpr3
                                        ; implicit-def: $vgpr22_vgpr23
                                        ; implicit-def: $vgpr14_vgpr15
	s_xor_b64 exec, exec, s[26:27]
	s_cbranch_execz .LBB1330_19
; %bb.8:
	s_load_dwordx2 s[30:31], s[0:1], 0x20
	s_load_dword s21, s[0:1], 0x38
	s_add_i32 s34, s3, 31
	s_ashr_i32 s35, s34, 31
	s_lshr_b32 s35, s35, 27
	v_add_u32_e32 v48, s5, v0
	s_add_i32 s34, s34, s35
	v_ashrrev_i32_e32 v2, 31, v48
	s_ashr_i32 s34, s34, 5
	v_lshrrev_b32_e32 v2, 27, v2
	s_add_i32 s36, s34, -1
	s_waitcnt lgkmcnt(0)
	s_mul_i32 s34, s2, s21
	s_mov_b32 s35, 0
	v_add_u32_e32 v2, v48, v2
	s_lshl_b64 s[34:35], s[34:35], 2
	v_ashrrev_i32_e32 v2, 5, v2
	v_mov_b32_e32 v3, s36
	v_cmp_gt_i32_e32 vcc, s3, v48
	s_add_u32 s30, s30, s34
	s_addc_u32 s31, s31, s35
	v_cndmask_b32_e32 v2, v3, v2, vcc
	v_ashrrev_i32_e32 v3, 31, v2
	v_lshl_add_u64 v[6:7], v[2:3], 2, s[30:31]
	v_ashrrev_i32_e32 v2, 31, v4
	v_lshrrev_b32_e32 v2, 27, v2
	v_add_u32_e32 v2, v4, v2
	v_ashrrev_i32_e32 v8, 5, v2
	v_min_i32_e32 v2, s36, v8
	v_ashrrev_i32_e32 v3, 31, v2
	v_lshl_add_u64 v[4:5], v[2:3], 2, s[30:31]
	v_add_u32_e32 v2, 1, v8
	v_min_i32_e32 v2, s36, v2
	v_ashrrev_i32_e32 v3, 31, v2
	v_lshl_add_u64 v[8:9], v[2:3], 2, s[30:31]
	global_load_dword v2, v[6:7], off
	global_load_dword v29, v[4:5], off
	global_load_dword v28, v[8:9], off
	s_load_dwordx2 s[30:31], s[0:1], 0x8
	s_andn2_b64 vcc, exec, s[18:19]
	s_cbranch_vccnz .LBB1330_11
; %bb.9:
	s_add_u32 s16, s16, s28
	s_addc_u32 s17, s17, s29
	s_load_dword s5, s[16:17], 0x0
	s_branch .LBB1330_12
.LBB1330_10:
	s_mov_b64 s[8:9], 0
	s_branch .LBB1330_2
.LBB1330_11:
	s_mov_b32 s5, s2
.LBB1330_12:
	s_load_dwordx2 s[28:29], s[0:1], 0x10
	s_load_dwordx4 s[16:19], s[0:1], 0x48
	v_cmp_ne_u32_e32 vcc, 3, v47
	s_mov_b32 s37, 0
	v_mov_b32_e32 v27, 0
	v_mov_b32_e32 v14, 0
	;; [unrolled: 1-line block ×5, first 2 shown]
	s_and_saveexec_b64 s[34:35], vcc
	s_cbranch_execz .LBB1330_14
; %bb.13:
	s_load_dwordx2 s[40:41], s[0:1], 0x0
	s_waitcnt lgkmcnt(0)
	s_ashr_i32 s19, s16, 31
	s_mul_hi_u32 s21, s5, s16
	s_mul_i32 s19, s5, s19
	s_add_i32 s43, s21, s19
	s_mul_i32 s42, s5, s16
	s_lshl_b64 s[42:43], s[42:43], 1
	s_add_u32 s5, s40, s42
	s_mul_i32 s36, s4, 0x180
	s_addc_u32 s16, s41, s43
	s_lshl_b64 s[36:37], s[36:37], 1
	v_lshlrev_b32_e32 v3, 2, v1
	s_add_u32 s36, s5, s36
	v_and_b32_e32 v3, 0xf0, v3
	s_addc_u32 s37, s16, s37
	v_lshl_or_b32 v3, v47, 8, v3
	global_load_dwordx4 v[14:17], v3, s[36:37]
.LBB1330_14:
	s_or_b64 exec, exec, s[34:35]
	s_waitcnt lgkmcnt(0)
	s_mul_i32 s16, s4, s18
	s_add_u32 s4, s16, s30
	s_addc_u32 s5, 0, s31
	v_mov_b64_e32 v[4:5], s[4:5]
	s_waitcnt vmcnt(2)
	v_mad_i64_i32 v[2:3], s[4:5], v2, s17, v[4:5]
	v_lshlrev_b32_e32 v4, 4, v0
	v_and_b32_e32 v26, 0x1f0, v4
	v_lshl_add_u64 v[42:43], v[2:3], 0, v[26:27]
	global_load_dwordx4 v[10:13], v[42:43], off
	global_load_dwordx4 v[6:9], v[42:43], off offset:512
	global_load_dwordx4 v[2:5], v[42:43], off offset:1024
	;; [unrolled: 1-line block ×7, first 2 shown]
	v_mov_b32_e32 v43, 1.0
	v_mov_b32_e32 v42, 0
	s_and_saveexec_b64 s[4:5], vcc
	s_cbranch_execz .LBB1330_16
; %bb.15:
	s_load_dwordx2 s[18:19], s[0:1], 0x40
	v_add_u32_e32 v42, s33, v47
	v_mov_b32_e32 v43, 0
	s_waitcnt lgkmcnt(0)
	v_lshl_add_u64 v[44:45], v[42:43], 2, s[18:19]
	global_load_dword v42, v[44:45], off
.LBB1330_16:
	s_or_b64 exec, exec, s[4:5]
	s_waitcnt vmcnt(9)
	v_mul_hi_i32 v26, v29, s17
	v_ashrrev_i32_e32 v26, 31, v26
	v_lshrrev_b32_e32 v44, 29, v26
	v_mov_b32_e32 v45, 0
	v_mad_i64_i32 v[50:51], s[18:19], v29, s17, v[44:45]
	s_waitcnt vmcnt(8)
	v_mul_hi_i32 v29, v28, s17
	v_ashrrev_i32_e32 v29, 31, v29
	v_lshrrev_b32_e32 v44, 29, v29
	s_add_u32 s4, s28, s16
	v_mad_i64_i32 v[28:29], s[16:17], v28, s17, v[44:45]
	s_addc_u32 s5, s29, 0
	v_and_b32_e32 v50, -8, v50
	v_and_b32_e32 v28, -8, v28
	v_lshl_add_u64 v[50:51], s[4:5], 0, v[50:51]
	v_lshlrev_b32_e32 v26, 5, v1
	v_lshl_add_u64 v[28:29], s[4:5], 0, v[28:29]
	v_lshl_add_u64 v[50:51], v[50:51], 0, v[26:27]
	;; [unrolled: 1-line block ×3, first 2 shown]
	s_waitcnt vmcnt(7)
	v_cvt_pk_f32_fp8_e32 v[26:27], v10
	v_cvt_pk_f32_fp8_sdwa v[28:29], v10 src0_sel:WORD_1
	v_cvt_pk_f32_fp8_e32 v[52:53], v11
	v_cvt_pk_f32_fp8_sdwa v[10:11], v11 src0_sel:WORD_1
	s_mov_b32 s4, 0x7060302
	v_perm_b32 v26, v27, v26, s4
	v_perm_b32 v27, v29, v28, s4
	;; [unrolled: 1-line block ×3, first 2 shown]
	v_cvt_pk_f32_fp8_e32 v[10:11], v12
	v_mfma_f32_4x4x4_16b_bf16 a[0:3], v[14:15], v[26:27], 0 cbsz:4
	v_cvt_pk_f32_fp8_sdwa v[26:27], v12 src0_sel:WORD_1
	v_perm_b32 v28, v53, v52, s4
	v_perm_b32 v10, v11, v10, s4
	s_waitcnt vmcnt(4)
	v_cvt_pk_f32_fp8_e32 v[52:53], v41
	v_mfma_f32_4x4x4_16b_bf16 a[0:3], v[16:17], v[28:29], a[0:3] cbsz:4
	v_cvt_pk_f32_fp8_e32 v[28:29], v13
	v_cvt_pk_f32_fp8_sdwa v[12:13], v13 src0_sel:WORD_1
	v_perm_b32 v11, v27, v26, s4
	s_load_dword s0, s[0:1], 0x1c
	v_perm_b32 v26, v29, v28, s4
	v_mfma_f32_4x4x4_16b_bf16 a[0:3], v[14:15], v[10:11], a[0:3] cbsz:4 abid:1
	v_perm_b32 v27, v13, v12, s4
	v_cvt_pk_f32_fp8_e32 v[10:11], v6
	v_cvt_pk_f32_fp8_sdwa v[12:13], v6 src0_sel:WORD_1
	v_mfma_f32_4x4x4_16b_bf16 a[0:3], v[16:17], v[26:27], a[0:3] cbsz:4 abid:1
	v_cvt_pk_f32_fp8_e32 v[26:27], v7
	v_cvt_pk_f32_fp8_sdwa v[6:7], v7 src0_sel:WORD_1
	v_perm_b32 v28, v11, v10, s4
	v_perm_b32 v29, v13, v12, s4
	;; [unrolled: 1-line block ×4, first 2 shown]
	v_mfma_f32_4x4x4_16b_bf16 a[0:3], v[14:15], v[28:29], a[0:3] cbsz:4 abid:2
	v_cvt_pk_f32_fp8_e32 v[6:7], v8
	v_cvt_pk_f32_fp8_sdwa v[28:29], v8 src0_sel:WORD_1
	v_mfma_f32_4x4x4_16b_bf16 a[0:3], v[16:17], v[26:27], a[0:3] cbsz:4 abid:2
	v_cvt_pk_f32_fp8_e32 v[26:27], v9
	v_perm_b32 v6, v7, v6, s4
	v_perm_b32 v7, v29, v28, s4
	v_cvt_pk_f32_fp8_sdwa v[8:9], v9 src0_sel:WORD_1
	v_cvt_pk_f32_fp8_sdwa v[28:29], v2 src0_sel:WORD_1
	v_mfma_f32_4x4x4_16b_bf16 a[0:3], v[14:15], v[6:7], a[0:3] cbsz:4 abid:3
	v_cvt_pk_f32_fp8_e32 v[6:7], v2
	v_perm_b32 v26, v27, v26, s4
	v_perm_b32 v27, v9, v8, s4
	v_cvt_pk_f32_fp8_sdwa v[8:9], v3 src0_sel:WORD_1
	v_perm_b32 v2, v7, v6, s4
	v_cvt_pk_f32_fp8_e32 v[6:7], v3
	v_mfma_f32_4x4x4_16b_bf16 a[0:3], v[16:17], v[26:27], a[0:3] cbsz:4 abid:3
	v_perm_b32 v3, v29, v28, s4
	global_load_dwordx4 v[10:13], v[50:51], off offset:16
	global_load_dwordx4 v[26:29], v[50:51], off
	v_mfma_f32_4x4x4_16b_bf16 a[0:3], v[14:15], v[2:3], a[0:3] cbsz:4 abid:4
	v_perm_b32 v6, v7, v6, s4
	v_perm_b32 v7, v9, v8, s4
	v_cvt_pk_f32_fp8_e32 v[2:3], v4
	v_cvt_pk_f32_fp8_e32 v[8:9], v5
	v_mfma_f32_4x4x4_16b_bf16 a[0:3], v[16:17], v[6:7], a[0:3] cbsz:4 abid:4
	v_cvt_pk_f32_fp8_sdwa v[6:7], v4 src0_sel:WORD_1
	v_cvt_pk_f32_fp8_sdwa v[4:5], v5 src0_sel:WORD_1
	v_perm_b32 v2, v3, v2, s4
	s_load_dword s1, s[8:9], 0x0
	v_perm_b32 v3, v7, v6, s4
	v_perm_b32 v7, v5, v4, s4
	v_cvt_pk_f32_fp8_sdwa v[4:5], v38 src0_sel:WORD_1
	v_mfma_f32_4x4x4_16b_bf16 a[0:3], v[14:15], v[2:3], a[0:3] cbsz:4 abid:5
	v_cvt_pk_f32_fp8_e32 v[2:3], v38
	v_perm_b32 v6, v9, v8, s4
	v_cvt_pk_f32_fp8_sdwa v[8:9], v39 src0_sel:WORD_1
	v_cmp_eq_u32_e32 vcc, 0, v47
	v_mfma_f32_4x4x4_16b_bf16 a[0:3], v[16:17], v[6:7], a[0:3] cbsz:4 abid:5
	v_cvt_pk_f32_fp8_e32 v[6:7], v39
	v_perm_b32 v38, v3, v2, s4
	v_perm_b32 v39, v5, v4, s4
	global_load_dwordx4 v[2:5], v[50:51], off offset:2064
	v_perm_b32 v6, v7, v6, s4
	v_mfma_f32_4x4x4_16b_bf16 a[0:3], v[14:15], v[38:39], a[0:3] cbsz:4 abid:6
	v_cvt_pk_f32_fp8_sdwa v[38:39], v40 src0_sel:WORD_1
	v_perm_b32 v7, v9, v8, s4
	v_cvt_pk_f32_fp8_e32 v[8:9], v40
	v_perm_b32 v40, v53, v52, s4
	v_perm_b32 v55, v39, v38, s4
	v_cvt_pk_f32_fp8_sdwa v[38:39], v41 src0_sel:WORD_1
	v_mfma_f32_4x4x4_16b_bf16 a[0:3], v[16:17], v[6:7], a[0:3] cbsz:4 abid:6
	v_perm_b32 v54, v9, v8, s4
	global_load_dwordx4 v[6:9], v[50:51], off offset:2048
	s_waitcnt vmcnt(7)
	v_cvt_pk_f32_fp8_e32 v[50:51], v18
	v_mfma_f32_4x4x4_16b_bf16 a[0:3], v[14:15], v[54:55], a[0:3] cbsz:4 abid:7
	v_cvt_pk_f32_fp8_sdwa v[52:53], v18 src0_sel:WORD_1
	v_perm_b32 v41, v39, v38, s4
	v_cvt_pk_f32_fp8_e32 v[38:39], v19
	v_perm_b32 v18, v51, v50, s4
	v_mfma_f32_4x4x4_16b_bf16 a[0:3], v[16:17], v[40:41], a[0:3] cbsz:4 abid:7
	v_cvt_pk_f32_fp8_sdwa v[40:41], v19 src0_sel:WORD_1
	v_perm_b32 v19, v53, v52, s4
	v_perm_b32 v38, v39, v38, s4
	v_cvt_pk_f32_fp8_e32 v[50:51], v21
	v_mfma_f32_4x4x4_16b_bf16 a[0:3], v[14:15], v[18:19], a[0:3] cbsz:4 abid:8
	v_perm_b32 v39, v41, v40, s4
	v_cvt_pk_f32_fp8_sdwa v[40:41], v20 src0_sel:WORD_1
	v_cvt_pk_f32_fp8_sdwa v[52:53], v21 src0_sel:WORD_1
	v_mfma_f32_4x4x4_16b_bf16 a[0:3], v[16:17], v[38:39], a[0:3] cbsz:4 abid:8
	v_cvt_pk_f32_fp8_e32 v[38:39], v20
	global_load_dwordx4 v[18:21], v[44:45], off offset:16
	v_perm_b32 v38, v39, v38, s4
	v_perm_b32 v39, v41, v40, s4
	;; [unrolled: 1-line block ×4, first 2 shown]
	v_mfma_f32_4x4x4_16b_bf16 a[0:3], v[14:15], v[38:39], a[0:3] cbsz:4 abid:9
	s_waitcnt vmcnt(7)
	v_cvt_pk_f32_fp8_e32 v[38:39], v30
	v_cvt_pk_f32_fp8_e32 v[50:51], v31
	v_mfma_f32_4x4x4_16b_bf16 a[0:3], v[16:17], v[40:41], a[0:3] cbsz:4 abid:9
	v_cvt_pk_f32_fp8_sdwa v[40:41], v30 src0_sel:WORD_1
	v_perm_b32 v30, v39, v38, s4
	v_cvt_pk_f32_fp8_sdwa v[38:39], v31 src0_sel:WORD_1
	v_cvt_pk_f32_fp8_sdwa v[52:53], v33 src0_sel:WORD_1
	v_perm_b32 v31, v41, v40, s4
	v_perm_b32 v40, v51, v50, s4
	v_perm_b32 v41, v39, v38, s4
	v_mfma_f32_4x4x4_16b_bf16 a[0:3], v[14:15], v[30:31], a[0:3] cbsz:4 abid:10
	v_cvt_pk_f32_fp8_e32 v[38:39], v32
	v_cvt_pk_f32_fp8_e32 v[50:51], v33
	v_mfma_f32_4x4x4_16b_bf16 a[0:3], v[16:17], v[40:41], a[0:3] cbsz:4 abid:10
	v_cvt_pk_f32_fp8_sdwa v[40:41], v32 src0_sel:WORD_1
	global_load_dwordx4 v[30:33], v[44:45], off
	v_perm_b32 v38, v39, v38, s4
	v_perm_b32 v39, v41, v40, s4
	;; [unrolled: 1-line block ×3, first 2 shown]
	s_nop 0
	v_mfma_f32_4x4x4_16b_bf16 a[0:3], v[14:15], v[38:39], a[0:3] cbsz:4 abid:11
	s_waitcnt vmcnt(7)
	v_cvt_pk_f32_fp8_e32 v[38:39], v34
	v_perm_b32 v41, v53, v52, s4
	v_cvt_pk_f32_fp8_e32 v[50:51], v35
	s_nop 0
	v_mfma_f32_4x4x4_16b_bf16 a[0:3], v[16:17], v[40:41], a[0:3] cbsz:4 abid:11
	v_cvt_pk_f32_fp8_sdwa v[40:41], v34 src0_sel:WORD_1
	v_perm_b32 v34, v39, v38, s4
	v_cvt_pk_f32_fp8_sdwa v[38:39], v35 src0_sel:WORD_1
	v_perm_b32 v35, v41, v40, s4
	v_perm_b32 v40, v51, v50, s4
	s_nop 0
	v_mfma_f32_4x4x4_16b_bf16 a[0:3], v[14:15], v[34:35], a[0:3] cbsz:4 abid:12
	v_perm_b32 v41, v39, v38, s4
	v_cvt_pk_f32_fp8_e32 v[34:35], v36
	v_cvt_pk_f32_fp8_sdwa v[38:39], v36 src0_sel:WORD_1
	v_mfma_f32_4x4x4_16b_bf16 a[0:3], v[16:17], v[40:41], a[0:3] cbsz:4 abid:12
	v_cvt_pk_f32_fp8_e32 v[40:41], v37
	v_cvt_pk_f32_fp8_sdwa v[36:37], v37 src0_sel:WORD_1
	v_perm_b32 v34, v35, v34, s4
	v_perm_b32 v35, v39, v38, s4
	;; [unrolled: 1-line block ×4, first 2 shown]
	v_mfma_f32_4x4x4_16b_bf16 a[0:3], v[14:15], v[34:35], a[0:3] cbsz:4 abid:13
	s_waitcnt vmcnt(6)
	v_cvt_pk_f32_fp8_e32 v[34:35], v22
	v_cvt_pk_f32_fp8_sdwa v[36:37], v22 src0_sel:WORD_1
	v_mfma_f32_4x4x4_16b_bf16 a[0:3], v[16:17], v[38:39], a[0:3] cbsz:4 abid:13
	v_cvt_pk_f32_fp8_e32 v[38:39], v23
	v_perm_b32 v22, v35, v34, s4
	v_cvt_pk_f32_fp8_sdwa v[34:35], v23 src0_sel:WORD_1
	v_perm_b32 v23, v37, v36, s4
	v_perm_b32 v36, v39, v38, s4
	v_mov_b32_e32 v41, 0xff7fffff
	v_mfma_f32_4x4x4_16b_bf16 a[0:3], v[14:15], v[22:23], a[0:3] cbsz:4 abid:14
	v_perm_b32 v37, v35, v34, s4
	v_cvt_pk_f32_fp8_e32 v[22:23], v24
	v_cvt_pk_f32_fp8_sdwa v[34:35], v24 src0_sel:WORD_1
	v_mfma_f32_4x4x4_16b_bf16 a[0:3], v[16:17], v[36:37], a[0:3] cbsz:4 abid:14
	v_cvt_pk_f32_fp8_e32 v[36:37], v25
	v_cvt_pk_f32_fp8_sdwa v[24:25], v25 src0_sel:WORD_1
	v_perm_b32 v22, v23, v22, s4
	v_perm_b32 v23, v35, v34, s4
	;; [unrolled: 1-line block ×4, first 2 shown]
	v_mfma_f32_4x4x4_16b_bf16 a[0:3], v[14:15], v[22:23], a[0:3] cbsz:4 abid:15
	s_waitcnt lgkmcnt(0)
	v_mov_b32_e32 v14, s0
	v_mfma_f32_4x4x4_16b_bf16 a[0:3], v[16:17], v[34:35], a[0:3] cbsz:4 abid:15
	v_mul_f32_e32 v16, s1, v14
	s_nop 3
	v_accvgpr_read_b32 v23, a1
	v_accvgpr_read_b32 v22, a0
	v_pk_mul_f32 v[22:23], v[22:23], v[16:17] op_sel_hi:[1,0]
	v_accvgpr_read_b32 v15, a3
	v_accvgpr_read_b32 v14, a2
	v_pk_mul_f32 v[34:35], v[14:15], v[16:17] op_sel_hi:[1,0]
	v_cndmask_b32_e64 v14, 0, 1.0, vcc
	v_cmp_eq_u32_e32 vcc, 1, v47
	s_nop 0
	v_mfma_f32_4x4x1_16b_f32 a[0:3], v22, v14, 0
	v_cndmask_b32_e64 v14, 0, 1.0, vcc
	v_cmp_eq_u32_e32 vcc, 2, v47
	s_nop 0
	v_mfma_f32_4x4x1_16b_f32 a[0:3], v23, v14, a[0:3]
	v_cndmask_b32_e64 v14, 0, 1.0, vcc
	s_nop 1
	v_mfma_f32_4x4x1_16b_f32 a[0:3], v34, v14, a[0:3]
	global_load_dwordx4 v[14:17], v[44:45], off offset:2064
	global_load_dwordx4 v[22:25], v[44:45], off offset:2048
	v_and_b32_e32 v34, -4, v48
	v_mfma_f32_4x4x1_16b_f32 a[0:3], v35, v43, a[0:3]
	v_subrev_u32_e32 v35, s3, v34
	v_add_u32_e32 v36, 1, v35
	v_cvt_f32_i32_e32 v36, v36
	v_add_u32_e32 v37, 2, v35
	v_cvt_f32_i32_e32 v37, v37
	v_accvgpr_read_b32 v38, a0
	v_fma_f32 v36, v42, v36, v38
	v_accvgpr_read_b32 v38, a1
	v_fma_f32 v37, v42, v37, v38
	v_add_u32_e32 v38, 3, v35
	v_cvt_f32_i32_e32 v38, v38
	v_add_u32_e32 v35, 4, v35
	v_cvt_f32_i32_e32 v35, v35
	v_accvgpr_read_b32 v39, a2
	v_max_f32_e32 v40, 0xff7fffff, v36
	v_cmp_gt_i32_e32 vcc, s3, v34
	v_fma_f32 v38, v42, v38, v39
	v_accvgpr_read_b32 v39, a3
	v_cndmask_b32_e32 v40, v41, v40, vcc
	v_or_b32_e32 v41, 1, v34
	v_fmac_f32_e32 v39, v42, v35
	v_max_f32_e32 v42, v40, v37
	v_cmp_gt_i32_e64 s[0:1], s3, v41
	v_or_b32_e32 v34, 2, v34
	v_cmp_gt_i32_e64 s[4:5], s3, v34
	v_cndmask_b32_e64 v40, v40, v42, s[0:1]
	v_max_f32_e32 v41, v40, v38
	v_cndmask_b32_e64 v34, v40, v41, s[4:5]
	v_or_b32_e32 v40, 3, v48
	v_max_f32_e32 v41, v34, v39
	v_cmp_gt_i32_e64 s[8:9], s3, v40
	v_lshlrev_b32_e32 v35, 2, v0
	v_and_or_b32 v35, v35, 48, v47
	v_cndmask_b32_e64 v34, v34, v41, s[8:9]
	;;#ASMSTART
	v_nop
 v_nop
 v_max_f32_dpp v34, v34, v34 row_ror:4
	;;#ASMEND
	v_lshlrev_b32_e32 v40, 2, v35
	;;#ASMSTART
	v_nop
 v_nop
 v_max_f32_dpp v34, v34, v34 row_ror:8
	;;#ASMEND
	ds_bpermute_b32 v34, v40, v34
	s_waitcnt lgkmcnt(0)
	;;#ASMSTART
	v_nop
 v_nop
 v_max_f32_dpp v34, v34, v34 row_ror:4
	;;#ASMEND
	s_nop 0
	;;#ASMSTART
	v_nop
 v_nop
 v_max_f32_dpp v41, v34, v34 row_ror:8
	;;#ASMEND
	s_nop 0
	v_sub_f32_e32 v34, v36, v41
	v_mul_f32_e32 v34, 0x3fb8aa3b, v34
	v_sub_f32_e32 v35, v37, v41
	v_exp_f32_e32 v34, v34
	v_mul_f32_e32 v35, 0x3fb8aa3b, v35
	v_sub_f32_e32 v37, v38, v41
	v_exp_f32_e32 v35, v35
	;; [unrolled: 3-line block ×3, first 2 shown]
	v_mul_f32_e32 v38, 0x3fb8aa3b, v38
	v_exp_f32_e32 v38, v38
	v_cndmask_b32_e32 v34, 0, v34, vcc
	v_add_f32_e32 v36, 0, v34
	v_cndmask_b32_e64 v35, 0, v35, s[0:1]
	v_add_f32_e32 v39, v36, v35
	v_cndmask_b32_e64 v36, 0, v37, s[4:5]
	;; [unrolled: 2-line block ×3, first 2 shown]
	v_add_f32_e32 v38, v39, v37
	;;#ASMSTART
	v_nop
 v_nop
 v_add_f32_dpp v38, v38, v38 row_ror:4
	;;#ASMEND
	v_cmp_gt_u32_e32 vcc, 4, v1
	;;#ASMSTART
	v_nop
 v_nop
 v_add_f32_dpp v38, v38, v38 row_ror:8
	;;#ASMEND
	ds_bpermute_b32 v38, v40, v38
	s_waitcnt lgkmcnt(0)
	;;#ASMSTART
	v_nop
 v_nop
 v_add_f32_dpp v38, v38, v38 row_ror:4
	;;#ASMEND
	s_nop 0
	;;#ASMSTART
	v_nop
 v_nop
 v_add_f32_dpp v38, v38, v38 row_ror:8
	;;#ASMEND
	s_and_saveexec_b64 s[0:1], vcc
	s_cbranch_execz .LBB1330_18
; %bb.17:
	v_mul_u32_u24_e32 v39, 20, v46
	v_lshl_add_u32 v39, v47, 2, v39
	v_add_u32_e32 v39, 0x1400, v39
	ds_write2_b32 v39, v41, v38 offset1:20
.LBB1330_18:
	s_or_b64 exec, exec, s[0:1]
.LBB1330_19:
	s_or_b64 exec, exec, s[26:27]
	s_waitcnt lgkmcnt(0)
	s_barrier
	s_load_dword s0, s[24:25], 0x8
	v_lshlrev_b32_e32 v38, 2, v47
	v_add_u32_e32 v40, 0x1400, v38
	ds_read2_b32 v[38:39], v40 offset1:5
	ds_read2_b32 v[44:45], v40 offset0:10 offset1:15
	s_mul_i32 s1, s2, s38
	s_waitcnt lgkmcnt(0)
	s_mul_i32 s0, s1, s0
	s_mov_b32 s1, 0xff7fffff
	v_max3_f32 v42, v38, s1, v39
	v_max3_f32 v42, v42, v44, v45
	v_sub_f32_e32 v38, v38, v42
	v_mul_f32_e32 v38, 0x3fb8aa3b, v38
	v_exp_f32_e32 v43, v38
	v_sub_f32_e32 v38, v39, v42
	ds_read2_b32 v[48:49], v40 offset0:20 offset1:25
	v_mul_f32_e32 v38, 0x3fb8aa3b, v38
	v_exp_f32_e32 v50, v38
	ds_read2_b32 v[38:39], v40 offset0:30 offset1:35
	v_sub_f32_e32 v40, v44, v42
	v_mul_f32_e32 v40, 0x3fb8aa3b, v40
	v_sub_f32_e32 v44, v45, v42
	v_exp_f32_e32 v40, v40
	v_mul_f32_e32 v44, 0x3fb8aa3b, v44
	v_exp_f32_e32 v44, v44
	s_waitcnt lgkmcnt(1)
	v_fma_f32 v43, v43, v48, 0
	v_fmac_f32_e32 v43, v50, v49
	s_waitcnt lgkmcnt(0)
	v_fmac_f32_e32 v43, v40, v38
	s_mul_i32 s0, s0, 3
	v_fmac_f32_e32 v43, v44, v39
	v_cmp_ne_u32_e32 vcc, 3, v47
	s_and_saveexec_b64 s[2:3], vcc
	s_cbranch_execz .LBB1330_21
; %bb.20:
	s_mov_b32 s1, 0
	s_lshl_b64 s[4:5], s[0:1], 2
	s_add_u32 s12, s12, s4
	s_mov_b32 s21, s1
	s_addc_u32 s13, s13, s5
	s_lshl_b64 s[8:9], s[20:21], 2
	s_add_u32 s12, s12, s8
	s_addc_u32 s13, s13, s9
	s_add_u32 s1, s14, s4
	s_addc_u32 s5, s15, s5
	v_add_u32_e32 v38, s33, v47
	s_add_u32 s4, s1, s8
	v_mul_lo_u32 v38, s38, v38
	v_mov_b32_e32 v39, 0
	s_addc_u32 s5, s5, s9
	v_lshlrev_b64 v[38:39], 2, v[38:39]
	v_lshl_add_u64 v[44:45], s[12:13], 0, v[38:39]
	v_lshl_add_u64 v[38:39], s[4:5], 0, v[38:39]
	global_store_dword v[38:39], v42, off
	global_store_dword v[44:45], v43, off
.LBB1330_21:
	s_or_b64 exec, exec, s[2:3]
	v_lshlrev_b32_e32 v40, 3, v46
                                        ; implicit-def: $sgpr1
	s_and_saveexec_b64 s[2:3], s[6:7]
	s_xor_b64 s[2:3], exec, s[2:3]
	s_cbranch_execz .LBB1330_23
; %bb.22:
	s_waitcnt vmcnt(5)
	v_mov_b32_e32 v2, 0
	v_mad_u32_u24 v4, v1, 40, v40
	s_mov_b32 s1, 0
	v_mov_b32_e32 v3, v2
	ds_write_b64 v4, v[2:3]
                                        ; implicit-def: $vgpr37
                                        ; implicit-def: $vgpr35
                                        ; implicit-def: $vgpr41
                                        ; implicit-def: $vgpr26_vgpr27
                                        ; implicit-def: $vgpr10_vgpr11
                                        ; implicit-def: $vgpr30_vgpr31
                                        ; implicit-def: $vgpr18_vgpr19
                                        ; implicit-def: $vgpr6_vgpr7
                                        ; implicit-def: $vgpr2_vgpr3
                                        ; implicit-def: $vgpr22_vgpr23
                                        ; implicit-def: $vgpr14_vgpr15
                                        ; implicit-def: $vgpr42
                                        ; implicit-def: $vgpr43
.LBB1330_23:
	s_or_saveexec_b64 s[2:3], s[2:3]
	v_mov_b32_e32 v38, s1
	v_mov_b32_e32 v39, s1
	s_xor_b64 exec, exec, s[2:3]
	s_cbranch_execz .LBB1330_25
; %bb.24:
	v_add_f32_e32 v38, 0x358637bd, v43
	v_div_scale_f32 v39, s[4:5], v38, v38, 1.0
	v_rcp_f32_e32 v43, v39
	v_sub_f32_e32 v41, v41, v42
	v_mul_f32_e32 v41, 0x3fb8aa3b, v41
	v_exp_f32_e32 v41, v41
	v_fma_f32 v42, -v39, v43, 1.0
	v_fmac_f32_e32 v43, v42, v43
	v_div_scale_f32 v42, vcc, 1.0, v38, 1.0
	v_mul_f32_e32 v44, v42, v43
	v_fma_f32 v45, -v39, v44, v42
	v_fmac_f32_e32 v44, v45, v43
	v_fma_f32 v39, -v39, v44, v42
	v_div_fmas_f32 v39, v39, v43, v44
	v_div_fixup_f32 v38, v39, v38, 1.0
	v_mul_f32_e32 v38, v41, v38
	v_pk_mul_f32 v[34:35], v[34:35], v[38:39] op_sel_hi:[1,0]
	v_pk_mul_f32 v[36:37], v[36:37], v[38:39] op_sel_hi:[1,0]
	v_bfe_u32 v38, v35, 16, 1
	v_bfe_u32 v39, v34, 16, 1
	s_movk_i32 s1, 0x7fff
	v_add3_u32 v34, v34, v39, s1
	v_add3_u32 v35, v35, v38, s1
	s_mov_b32 s5, 0x7060302
	v_perm_b32 v34, v35, v34, s5
	v_bfe_u32 v35, v37, 16, 1
	v_bfe_u32 v38, v36, 16, 1
	v_add3_u32 v36, v36, v38, s1
	v_add3_u32 v35, v37, v35, s1
	v_perm_b32 v35, v35, v36, s5
	s_waitcnt vmcnt(6)
	v_cvt_pk_f32_fp8_e32 v[36:37], v26
	v_cvt_pk_f32_fp8_sdwa v[38:39], v26 src0_sel:WORD_1
	v_cvt_pk_f32_fp8_e32 v[42:43], v27
	v_cvt_pk_f32_fp8_sdwa v[26:27], v27 src0_sel:WORD_1
	v_perm_b32 v36, v37, v36, s5
	v_perm_b32 v37, v39, v38, s5
	;; [unrolled: 1-line block ×4, first 2 shown]
	v_mfma_f32_4x4x4_16b_bf16 a[0:3], v[34:35], v[36:37], 0 cbsz:4
	v_cvt_pk_f32_fp8_e32 v[26:27], v28
	v_cvt_pk_f32_fp8_sdwa v[36:37], v28 src0_sel:WORD_1
	v_mfma_f32_4x4x4_16b_bf16 a[0:3], v[34:35], v[38:39], a[0:3] cbsz:4 abid:1
	v_cvt_pk_f32_fp8_e32 v[38:39], v29
	v_cvt_pk_f32_fp8_sdwa v[28:29], v29 src0_sel:WORD_1
	v_perm_b32 v26, v27, v26, s5
	v_perm_b32 v27, v37, v36, s5
	v_perm_b32 v36, v39, v38, s5
	v_perm_b32 v37, v29, v28, s5
	v_mfma_f32_4x4x4_16b_bf16 a[0:3], v[34:35], v[26:27], a[0:3] cbsz:4 abid:2
	v_cvt_pk_f32_fp8_e32 v[26:27], v10
	v_cvt_pk_f32_fp8_sdwa v[28:29], v10 src0_sel:WORD_1
	v_mfma_f32_4x4x4_16b_bf16 a[0:3], v[34:35], v[36:37], a[0:3] cbsz:4 abid:3
	v_cvt_pk_f32_fp8_e32 v[36:37], v11
	v_cvt_pk_f32_fp8_sdwa v[10:11], v11 src0_sel:WORD_1
	v_perm_b32 v26, v27, v26, s5
	v_perm_b32 v27, v29, v28, s5
	v_perm_b32 v28, v37, v36, s5
	v_perm_b32 v29, v11, v10, s5
	v_mfma_f32_4x4x4_16b_bf16 a[0:3], v[34:35], v[26:27], a[0:3] cbsz:4 abid:4
	;; [unrolled: 10-line block ×3, first 2 shown]
	s_waitcnt vmcnt(2)
	v_cvt_pk_f32_fp8_e32 v[10:11], v30
	v_cvt_pk_f32_fp8_sdwa v[12:13], v30 src0_sel:WORD_1
	v_mfma_f32_4x4x4_16b_bf16 a[0:3], v[34:35], v[26:27], a[0:3] cbsz:4 abid:7
	v_cvt_pk_f32_fp8_e32 v[26:27], v31
	v_cvt_pk_f32_fp8_sdwa v[28:29], v31 src0_sel:WORD_1
	v_perm_b32 v10, v11, v10, s5
	v_perm_b32 v11, v13, v12, s5
	;; [unrolled: 1-line block ×4, first 2 shown]
	v_mfma_f32_4x4x4_16b_bf16 a[0:3], v[34:35], v[10:11], a[0:3] cbsz:4 abid:8
	v_cvt_pk_f32_fp8_e32 v[10:11], v32
	v_cvt_pk_f32_fp8_e32 v[26:27], v33
	v_mfma_f32_4x4x4_16b_bf16 a[0:3], v[34:35], v[12:13], a[0:3] cbsz:4 abid:9
	v_cvt_pk_f32_fp8_sdwa v[12:13], v32 src0_sel:WORD_1
	v_cvt_pk_f32_fp8_sdwa v[28:29], v33 src0_sel:WORD_1
	v_perm_b32 v10, v11, v10, s5
	s_load_dword s4, s[10:11], 0x0
	v_perm_b32 v11, v13, v12, s5
	v_perm_b32 v12, v27, v26, s5
	;; [unrolled: 1-line block ×3, first 2 shown]
	v_mfma_f32_4x4x4_16b_bf16 a[0:3], v[34:35], v[10:11], a[0:3] cbsz:4 abid:10
	v_cvt_pk_f32_fp8_e32 v[10:11], v18
	v_cvt_pk_f32_fp8_e32 v[26:27], v19
	v_mfma_f32_4x4x4_16b_bf16 a[0:3], v[34:35], v[12:13], a[0:3] cbsz:4 abid:11
	v_cvt_pk_f32_fp8_sdwa v[12:13], v18 src0_sel:WORD_1
	v_cvt_pk_f32_fp8_sdwa v[18:19], v19 src0_sel:WORD_1
	v_perm_b32 v10, v11, v10, s5
	v_perm_b32 v11, v13, v12, s5
	;; [unrolled: 1-line block ×3, first 2 shown]
	s_nop 0
	v_mfma_f32_4x4x4_16b_bf16 a[0:3], v[34:35], v[10:11], a[0:3] cbsz:4 abid:12
	v_perm_b32 v13, v19, v18, s5
	v_cvt_pk_f32_fp8_e32 v[10:11], v20
	v_cvt_pk_f32_fp8_e32 v[18:19], v21
	v_mfma_f32_4x4x4_16b_bf16 a[0:3], v[34:35], v[12:13], a[0:3] cbsz:4 abid:13
	v_cvt_pk_f32_fp8_sdwa v[12:13], v20 src0_sel:WORD_1
	v_cvt_pk_f32_fp8_sdwa v[20:21], v21 src0_sel:WORD_1
	v_perm_b32 v10, v11, v10, s5
	v_perm_b32 v11, v13, v12, s5
	v_perm_b32 v12, v19, v18, s5
	s_nop 0
	v_mfma_f32_4x4x4_16b_bf16 a[0:3], v[34:35], v[10:11], a[0:3] cbsz:4 abid:14
	v_perm_b32 v13, v21, v20, s5
	s_nop 1
	v_mfma_f32_4x4x4_16b_bf16 a[0:3], v[34:35], v[12:13], a[0:3] cbsz:4 abid:15
	s_nop 4
	v_accvgpr_read_b32 v13, a1
	v_accvgpr_read_b32 v12, a0
	s_waitcnt lgkmcnt(0)
	v_pk_mul_f32 v[12:13], v[12:13], s[4:5] op_sel_hi:[1,0]
	v_accvgpr_read_b32 v11, a3
	v_accvgpr_read_b32 v10, a2
	v_bfe_u32 v18, v13, 16, 1
	v_bfe_u32 v19, v12, 16, 1
	v_pk_mul_f32 v[10:11], v[10:11], s[4:5] op_sel_hi:[1,0]
	v_add3_u32 v12, v12, v19, s1
	v_add3_u32 v13, v13, v18, s1
	v_perm_b32 v12, v13, v12, s5
	v_bfe_u32 v13, v11, 16, 1
	v_bfe_u32 v18, v10, 16, 1
	v_add3_u32 v10, v10, v18, s1
	v_add3_u32 v11, v11, v13, s1
	v_perm_b32 v13, v11, v10, s5
	v_mad_u32_u24 v10, v1, 40, v40
	ds_write_b64 v10, v[12:13]
	v_cvt_pk_f32_fp8_e32 v[10:11], v6
	v_cvt_pk_f32_fp8_sdwa v[12:13], v6 src0_sel:WORD_1
	v_cvt_pk_f32_fp8_e32 v[18:19], v7
	v_cvt_pk_f32_fp8_sdwa v[6:7], v7 src0_sel:WORD_1
	v_perm_b32 v10, v11, v10, s5
	v_perm_b32 v11, v13, v12, s5
	v_perm_b32 v12, v19, v18, s5
	v_perm_b32 v13, v7, v6, s5
	v_mfma_f32_4x4x4_16b_bf16 a[0:3], v[34:35], v[10:11], 0 cbsz:4
	v_cvt_pk_f32_fp8_e32 v[6:7], v8
	v_cvt_pk_f32_fp8_sdwa v[10:11], v8 src0_sel:WORD_1
	v_mfma_f32_4x4x4_16b_bf16 a[0:3], v[34:35], v[12:13], a[0:3] cbsz:4 abid:1
	v_cvt_pk_f32_fp8_e32 v[12:13], v9
	v_cvt_pk_f32_fp8_sdwa v[8:9], v9 src0_sel:WORD_1
	v_perm_b32 v6, v7, v6, s5
	v_perm_b32 v7, v11, v10, s5
	v_perm_b32 v10, v13, v12, s5
	v_perm_b32 v11, v9, v8, s5
	v_mfma_f32_4x4x4_16b_bf16 a[0:3], v[34:35], v[6:7], a[0:3] cbsz:4 abid:2
	v_cvt_pk_f32_fp8_e32 v[6:7], v2
	v_cvt_pk_f32_fp8_sdwa v[8:9], v2 src0_sel:WORD_1
	v_mfma_f32_4x4x4_16b_bf16 a[0:3], v[34:35], v[10:11], a[0:3] cbsz:4 abid:3
	v_cvt_pk_f32_fp8_e32 v[10:11], v3
	v_cvt_pk_f32_fp8_sdwa v[2:3], v3 src0_sel:WORD_1
	v_perm_b32 v6, v7, v6, s5
	v_perm_b32 v7, v9, v8, s5
	v_perm_b32 v8, v11, v10, s5
	v_perm_b32 v9, v3, v2, s5
	v_mfma_f32_4x4x4_16b_bf16 a[0:3], v[34:35], v[6:7], a[0:3] cbsz:4 abid:4
	;; [unrolled: 10-line block ×3, first 2 shown]
	s_waitcnt vmcnt(0)
	v_cvt_pk_f32_fp8_e32 v[2:3], v22
	v_cvt_pk_f32_fp8_sdwa v[4:5], v22 src0_sel:WORD_1
	v_mfma_f32_4x4x4_16b_bf16 a[0:3], v[34:35], v[6:7], a[0:3] cbsz:4 abid:7
	v_cvt_pk_f32_fp8_e32 v[6:7], v23
	v_cvt_pk_f32_fp8_sdwa v[8:9], v23 src0_sel:WORD_1
	v_perm_b32 v2, v3, v2, s5
	v_perm_b32 v3, v5, v4, s5
	;; [unrolled: 1-line block ×4, first 2 shown]
	v_mfma_f32_4x4x4_16b_bf16 a[0:3], v[34:35], v[2:3], a[0:3] cbsz:4 abid:8
	v_cvt_pk_f32_fp8_e32 v[2:3], v24
	v_cvt_pk_f32_fp8_e32 v[6:7], v25
	v_mfma_f32_4x4x4_16b_bf16 a[0:3], v[34:35], v[4:5], a[0:3] cbsz:4 abid:9
	v_cvt_pk_f32_fp8_sdwa v[4:5], v24 src0_sel:WORD_1
	v_cvt_pk_f32_fp8_sdwa v[8:9], v25 src0_sel:WORD_1
	v_perm_b32 v2, v3, v2, s5
	v_perm_b32 v3, v5, v4, s5
	v_perm_b32 v4, v7, v6, s5
	s_nop 0
	v_mfma_f32_4x4x4_16b_bf16 a[0:3], v[34:35], v[2:3], a[0:3] cbsz:4 abid:10
	v_perm_b32 v5, v9, v8, s5
	v_cvt_pk_f32_fp8_e32 v[2:3], v14
	v_cvt_pk_f32_fp8_e32 v[6:7], v15
	v_mfma_f32_4x4x4_16b_bf16 a[0:3], v[34:35], v[4:5], a[0:3] cbsz:4 abid:11
	v_cvt_pk_f32_fp8_sdwa v[4:5], v14 src0_sel:WORD_1
	v_cvt_pk_f32_fp8_sdwa v[8:9], v15 src0_sel:WORD_1
	v_perm_b32 v2, v3, v2, s5
	v_perm_b32 v3, v5, v4, s5
	v_perm_b32 v4, v7, v6, s5
	s_nop 0
	v_mfma_f32_4x4x4_16b_bf16 a[0:3], v[34:35], v[2:3], a[0:3] cbsz:4 abid:12
	v_perm_b32 v5, v9, v8, s5
	;; [unrolled: 11-line block ×3, first 2 shown]
	s_nop 1
	v_mfma_f32_4x4x4_16b_bf16 a[0:3], v[34:35], v[4:5], a[0:3] cbsz:4 abid:15
	s_nop 4
	v_accvgpr_read_b32 v5, a1
	v_accvgpr_read_b32 v4, a0
	;; [unrolled: 1-line block ×4, first 2 shown]
	v_pk_mul_f32 v[4:5], v[4:5], s[4:5] op_sel_hi:[1,0]
	v_pk_mul_f32 v[2:3], v[2:3], s[4:5] op_sel_hi:[1,0]
	v_bfe_u32 v6, v5, 16, 1
	v_bfe_u32 v7, v4, 16, 1
	v_add3_u32 v4, v4, v7, s1
	v_add3_u32 v5, v5, v6, s1
	v_bfe_u32 v6, v3, 16, 1
	v_bfe_u32 v7, v2, 16, 1
	v_add3_u32 v2, v2, v7, s1
	v_add3_u32 v3, v3, v6, s1
	v_perm_b32 v39, v3, v2, s5
	v_perm_b32 v38, v5, v4, s5
.LBB1330_25:
	s_or_b64 exec, exec, s[2:3]
	s_waitcnt vmcnt(5)
	v_mad_u32_u24 v2, v1, 40, v40
	v_cmp_gt_u32_e32 vcc, 64, v0
	ds_write_b64 v2, v[38:39] offset:2560
	s_waitcnt lgkmcnt(0)
	s_barrier
	s_and_saveexec_b64 s[2:3], vcc
	s_cbranch_execz .LBB1330_27
; %bb.26:
	s_waitcnt vmcnt(4)
	v_mul_u32_u24_e32 v6, 40, v1
	ds_read2_b64 v[2:5], v6 offset1:1
	ds_read2_b64 v[6:9], v6 offset0:2 offset1:3
	s_mov_b32 s1, 0
	s_lshl_b32 s0, s0, 7
	s_lshl_b64 s[2:3], s[0:1], 1
	s_waitcnt lgkmcnt(1)
	v_and_b32_e32 v10, 0xffff0000, v2
	v_lshlrev_b32_e32 v3, 16, v3
	v_add_f32_e32 v10, 0, v10
	v_add_f32_e32 v3, 0, v3
	v_and_b32_e32 v10, 0xffff0000, v10
	v_and_b32_e32 v11, 0xffff0000, v4
	;; [unrolled: 1-line block ×3, first 2 shown]
	v_add_f32_e32 v10, v10, v11
	v_lshlrev_b32_e32 v5, 16, v5
	v_and_b32_e32 v10, 0xffff0000, v10
	v_add_f32_e32 v3, v3, v5
	s_waitcnt lgkmcnt(0)
	v_and_b32_e32 v5, 0xffff0000, v6
	v_and_b32_e32 v3, 0xffff0000, v3
	v_add_f32_e32 v5, v10, v5
	v_lshlrev_b32_e32 v7, 16, v7
	v_and_b32_e32 v5, 0xffff0000, v5
	v_add_f32_e32 v3, v3, v7
	v_and_b32_e32 v7, 0xffff0000, v8
	s_waitcnt vmcnt(3)
	v_add_f32_e32 v18, v5, v7
	v_mov_b32_e32 v7, 0xa00
	v_mad_u32_u24 v7, v1, 40, v7
	ds_read2_b64 v[10:13], v7 offset1:1
	v_and_b32_e32 v3, 0xffff0000, v3
	v_lshlrev_b32_e32 v5, 16, v9
	v_add_f32_e32 v9, v3, v5
	v_mov_b32_e32 v3, 0xa10
	v_mad_u32_u24 v1, v1, 40, v3
	s_waitcnt vmcnt(1)
	ds_read2_b64 v[14:17], v1 offset1:1
	s_waitcnt lgkmcnt(1)
	v_lshlrev_b32_e32 v1, 16, v10
	v_add_f32_e32 v1, 0, v1
	v_and_b32_e32 v3, 0xffff0000, v10
	v_and_b32_e32 v1, 0xffff0000, v1
	v_add_f32_e32 v3, 0, v3
	v_lshlrev_b32_e32 v5, 16, v11
	v_lshlrev_b32_e32 v7, 16, v12
	v_and_b32_e32 v3, 0xffff0000, v3
	v_add_f32_e32 v5, 0, v5
	v_add_f32_e32 v1, v1, v7
	v_and_b32_e32 v7, 0xffff0000, v12
	v_and_b32_e32 v5, 0xffff0000, v5
	v_add_f32_e32 v3, v3, v7
	v_lshlrev_b32_e32 v7, 16, v13
	v_and_b32_e32 v1, 0xffff0000, v1
	v_add_f32_e32 v5, v5, v7
	s_waitcnt lgkmcnt(0)
	v_lshlrev_b32_e32 v7, 16, v14
	v_and_b32_e32 v3, 0xffff0000, v3
	v_add_f32_e32 v1, v1, v7
	v_and_b32_e32 v7, 0xffff0000, v14
	v_and_b32_e32 v5, 0xffff0000, v5
	v_add_f32_e32 v3, v3, v7
	v_lshlrev_b32_e32 v7, 16, v15
	v_and_b32_e32 v1, 0xffff0000, v1
	v_add_f32_e32 v5, v5, v7
	v_lshlrev_b32_e32 v7, 16, v16
	v_and_b32_e32 v3, 0xffff0000, v3
	v_add_f32_e32 v10, v1, v7
	v_and_b32_e32 v1, 0xffff0000, v16
	v_and_b32_e32 v5, 0xffff0000, v5
	v_add_f32_e32 v11, v3, v1
	v_lshlrev_b32_e32 v1, 16, v17
	v_add_f32_e32 v12, v5, v1
	v_lshlrev_b32_e32 v1, 16, v2
	s_add_u32 s2, s22, s2
	v_add_f32_e32 v1, 0, v1
	s_addc_u32 s3, s23, s3
	s_lshl_b32 s0, s20, 7
	v_and_b32_e32 v1, 0xffff0000, v1
	v_lshlrev_b32_e32 v2, 16, v4
	s_lshl_b64 s[0:1], s[0:1], 1
	v_add_f32_e32 v1, v1, v2
	s_add_u32 s0, s2, s0
	v_and_b32_e32 v1, 0xffff0000, v1
	v_lshlrev_b32_e32 v2, 16, v6
	s_addc_u32 s1, s3, s1
	s_lshl_b32 s2, s38, 7
	v_add_f32_e32 v1, v1, v2
	v_and_b32_e32 v1, 0xffff0000, v1
	v_lshlrev_b32_e32 v2, 16, v8
	s_mul_i32 s3, s2, s33
	v_add_f32_e32 v1, v1, v2
	v_or_b32_e32 v2, s3, v0
	v_mov_b32_e32 v3, 0
	s_add_i32 s3, s3, s2
	v_lshl_add_u64 v[4:5], v[2:3], 1, s[0:1]
	v_or_b32_e32 v2, s3, v0
	s_add_i32 s3, s3, s2
	v_lshl_add_u64 v[6:7], v[2:3], 1, s[0:1]
	v_or_b32_e32 v2, s3, v0
	global_store_short_d16_hi v[4:5], v1, off
	v_lshl_add_u64 v[0:1], v[2:3], 1, s[0:1]
	global_store_short_d16_hi v[6:7], v18, off
	global_store_short_d16_hi v[0:1], v9, off
	global_store_short_d16_hi v[4:5], v10, off offset:128
	global_store_short_d16_hi v[6:7], v11, off offset:128
	;; [unrolled: 1-line block ×3, first 2 shown]
.LBB1330_27:
	s_endpgm
	.section	.rodata,"a",@progbits
	.p2align	6, 0x0
	.amdhsa_kernel _Z38paged_attention_ll4mi_QKV_mfma4_kernelI14__hip_bfloat16hLN4vllm18Fp8KVCacheDataTypeE1EhLi32ELi128ELi256ELb1ELi3EEvPKT_PKT0_S8_ifPKiSA_SA_iPKfiiiPfSD_PS3_PT2_iSC_SC_
		.amdhsa_group_segment_fixed_size 5280
		.amdhsa_private_segment_fixed_size 0
		.amdhsa_kernarg_size 400
		.amdhsa_user_sgpr_count 2
		.amdhsa_user_sgpr_dispatch_ptr 0
		.amdhsa_user_sgpr_queue_ptr 0
		.amdhsa_user_sgpr_kernarg_segment_ptr 1
		.amdhsa_user_sgpr_dispatch_id 0
		.amdhsa_user_sgpr_kernarg_preload_length 0
		.amdhsa_user_sgpr_kernarg_preload_offset 0
		.amdhsa_user_sgpr_private_segment_size 0
		.amdhsa_uses_dynamic_stack 0
		.amdhsa_enable_private_segment 0
		.amdhsa_system_sgpr_workgroup_id_x 1
		.amdhsa_system_sgpr_workgroup_id_y 1
		.amdhsa_system_sgpr_workgroup_id_z 1
		.amdhsa_system_sgpr_workgroup_info 0
		.amdhsa_system_vgpr_workitem_id 0
		.amdhsa_next_free_vgpr 60
		.amdhsa_next_free_sgpr 44
		.amdhsa_accum_offset 56
		.amdhsa_reserve_vcc 1
		.amdhsa_float_round_mode_32 0
		.amdhsa_float_round_mode_16_64 0
		.amdhsa_float_denorm_mode_32 3
		.amdhsa_float_denorm_mode_16_64 3
		.amdhsa_dx10_clamp 1
		.amdhsa_ieee_mode 1
		.amdhsa_fp16_overflow 0
		.amdhsa_tg_split 0
		.amdhsa_exception_fp_ieee_invalid_op 0
		.amdhsa_exception_fp_denorm_src 0
		.amdhsa_exception_fp_ieee_div_zero 0
		.amdhsa_exception_fp_ieee_overflow 0
		.amdhsa_exception_fp_ieee_underflow 0
		.amdhsa_exception_fp_ieee_inexact 0
		.amdhsa_exception_int_div_zero 0
	.end_amdhsa_kernel
	.section	.text._Z38paged_attention_ll4mi_QKV_mfma4_kernelI14__hip_bfloat16hLN4vllm18Fp8KVCacheDataTypeE1EhLi32ELi128ELi256ELb1ELi3EEvPKT_PKT0_S8_ifPKiSA_SA_iPKfiiiPfSD_PS3_PT2_iSC_SC_,"axG",@progbits,_Z38paged_attention_ll4mi_QKV_mfma4_kernelI14__hip_bfloat16hLN4vllm18Fp8KVCacheDataTypeE1EhLi32ELi128ELi256ELb1ELi3EEvPKT_PKT0_S8_ifPKiSA_SA_iPKfiiiPfSD_PS3_PT2_iSC_SC_,comdat
.Lfunc_end1330:
	.size	_Z38paged_attention_ll4mi_QKV_mfma4_kernelI14__hip_bfloat16hLN4vllm18Fp8KVCacheDataTypeE1EhLi32ELi128ELi256ELb1ELi3EEvPKT_PKT0_S8_ifPKiSA_SA_iPKfiiiPfSD_PS3_PT2_iSC_SC_, .Lfunc_end1330-_Z38paged_attention_ll4mi_QKV_mfma4_kernelI14__hip_bfloat16hLN4vllm18Fp8KVCacheDataTypeE1EhLi32ELi128ELi256ELb1ELi3EEvPKT_PKT0_S8_ifPKiSA_SA_iPKfiiiPfSD_PS3_PT2_iSC_SC_
                                        ; -- End function
	.section	.AMDGPU.csdata,"",@progbits
; Kernel info:
; codeLenInByte = 5836
; NumSgprs: 50
; NumVgprs: 56
; NumAgprs: 4
; TotalNumVgprs: 60
; ScratchSize: 0
; MemoryBound: 0
; FloatMode: 240
; IeeeMode: 1
; LDSByteSize: 5280 bytes/workgroup (compile time only)
; SGPRBlocks: 6
; VGPRBlocks: 7
; NumSGPRsForWavesPerEU: 50
; NumVGPRsForWavesPerEU: 60
; AccumOffset: 56
; Occupancy: 8
; WaveLimiterHint : 1
; COMPUTE_PGM_RSRC2:SCRATCH_EN: 0
; COMPUTE_PGM_RSRC2:USER_SGPR: 2
; COMPUTE_PGM_RSRC2:TRAP_HANDLER: 0
; COMPUTE_PGM_RSRC2:TGID_X_EN: 1
; COMPUTE_PGM_RSRC2:TGID_Y_EN: 1
; COMPUTE_PGM_RSRC2:TGID_Z_EN: 1
; COMPUTE_PGM_RSRC2:TIDIG_COMP_CNT: 0
; COMPUTE_PGM_RSRC3_GFX90A:ACCUM_OFFSET: 13
; COMPUTE_PGM_RSRC3_GFX90A:TG_SPLIT: 0
	.section	.text._Z38paged_attention_ll4mi_QKV_mfma4_kernelI14__hip_bfloat16hLN4vllm18Fp8KVCacheDataTypeE1EhLi32ELi128ELi256ELb1ELi4EEvPKT_PKT0_S8_ifPKiSA_SA_iPKfiiiPfSD_PS3_PT2_iSC_SC_,"axG",@progbits,_Z38paged_attention_ll4mi_QKV_mfma4_kernelI14__hip_bfloat16hLN4vllm18Fp8KVCacheDataTypeE1EhLi32ELi128ELi256ELb1ELi4EEvPKT_PKT0_S8_ifPKiSA_SA_iPKfiiiPfSD_PS3_PT2_iSC_SC_,comdat
	.protected	_Z38paged_attention_ll4mi_QKV_mfma4_kernelI14__hip_bfloat16hLN4vllm18Fp8KVCacheDataTypeE1EhLi32ELi128ELi256ELb1ELi4EEvPKT_PKT0_S8_ifPKiSA_SA_iPKfiiiPfSD_PS3_PT2_iSC_SC_ ; -- Begin function _Z38paged_attention_ll4mi_QKV_mfma4_kernelI14__hip_bfloat16hLN4vllm18Fp8KVCacheDataTypeE1EhLi32ELi128ELi256ELb1ELi4EEvPKT_PKT0_S8_ifPKiSA_SA_iPKfiiiPfSD_PS3_PT2_iSC_SC_
	.globl	_Z38paged_attention_ll4mi_QKV_mfma4_kernelI14__hip_bfloat16hLN4vllm18Fp8KVCacheDataTypeE1EhLi32ELi128ELi256ELb1ELi4EEvPKT_PKT0_S8_ifPKiSA_SA_iPKfiiiPfSD_PS3_PT2_iSC_SC_
	.p2align	8
	.type	_Z38paged_attention_ll4mi_QKV_mfma4_kernelI14__hip_bfloat16hLN4vllm18Fp8KVCacheDataTypeE1EhLi32ELi128ELi256ELb1ELi4EEvPKT_PKT0_S8_ifPKiSA_SA_iPKfiiiPfSD_PS3_PT2_iSC_SC_,@function
_Z38paged_attention_ll4mi_QKV_mfma4_kernelI14__hip_bfloat16hLN4vllm18Fp8KVCacheDataTypeE1EhLi32ELi128ELi256ELb1ELi4EEvPKT_PKT0_S8_ifPKiSA_SA_iPKfiiiPfSD_PS3_PT2_iSC_SC_: ; @_Z38paged_attention_ll4mi_QKV_mfma4_kernelI14__hip_bfloat16hLN4vllm18Fp8KVCacheDataTypeE1EhLi32ELi128ELi256ELb1ELi4EEvPKT_PKT0_S8_ifPKiSA_SA_iPKfiiiPfSD_PS3_PT2_iSC_SC_
; %bb.0:
	s_load_dwordx2 s[16:17], s[0:1], 0x30
	s_mov_b32 s24, s3
	s_mov_b64 s[6:7], 0
	s_waitcnt lgkmcnt(0)
	s_cmp_lg_u64 s[16:17], 0
	s_cselect_b64 s[18:19], -1, 0
	s_and_b64 vcc, exec, s[18:19]
	s_cbranch_vccz .LBB1331_20
; %bb.1:
	s_add_i32 s8, s2, 1
	s_mov_b32 s9, 0
	s_lshl_b64 s[10:11], s[8:9], 2
	s_add_u32 s10, s16, s10
	s_mov_b32 s3, s9
	s_addc_u32 s11, s17, s11
	s_lshl_b64 s[8:9], s[2:3], 2
	s_add_u32 s8, s16, s8
	s_addc_u32 s9, s17, s9
	s_load_dword s5, s[10:11], 0x0
	s_load_dword s12, s[8:9], 0x0
	s_mov_b64 s[34:35], s[2:3]
	s_waitcnt lgkmcnt(0)
	s_sub_i32 s5, s5, s12
	s_cmp_eq_u32 s5, 1
	s_cselect_b64 s[8:9], -1, 0
	s_andn2_b64 vcc, exec, s[6:7]
	s_cbranch_vccnz .LBB1331_3
.LBB1331_2:
	s_mov_b32 s3, 0
	s_mov_b64 s[8:9], -1
	s_mov_b64 s[34:35], s[2:3]
.LBB1331_3:
	s_andn2_b64 vcc, exec, s[8:9]
	s_cbranch_vccnz .LBB1331_19
; %bb.4:
	s_load_dword s3, s[0:1], 0x9c
	s_load_dwordx2 s[6:7], s[0:1], 0x28
	s_add_u32 s28, s0, 0x90
	s_addc_u32 s29, s1, 0
	s_lshl_b64 s[42:43], s[34:35], 2
	s_waitcnt lgkmcnt(0)
	s_and_b32 s5, s3, 0xffff
	s_add_u32 s6, s6, s42
	s_addc_u32 s7, s7, s43
	s_load_dword s3, s[6:7], 0x0
	s_mul_i32 s5, s24, s5
	s_waitcnt lgkmcnt(0)
	s_cmp_ge_i32 s5, s3
	s_cbranch_scc1 .LBB1331_19
; %bb.5:
	v_and_b32_e32 v1, 0xc0, v0
	v_and_b32_e32 v41, 3, v0
	s_lshl_b32 s33, s4, 2
	v_add_u32_e32 v4, s5, v1
	v_lshrrev_b32_e32 v40, 6, v0
	v_cmp_le_i32_e64 s[6:7], s3, v4
	v_or_b32_e32 v34, s33, v41
                                        ; implicit-def: $sgpr21
                                        ; implicit-def: $sgpr20
	s_and_saveexec_b64 s[8:9], s[6:7]
	s_xor_b64 s[8:9], exec, s[8:9]
	s_cbranch_execz .LBB1331_7
; %bb.6:
	v_mul_u32_u24_e32 v1, 20, v40
	v_or_b32_e32 v1, 0x1400, v1
	v_mov_b32_e32 v2, 0x1450
	v_mov_b32_e32 v3, 0xff7fffff
	v_mad_u32_u24 v2, v40, 20, v2
	ds_write2_b32 v1, v3, v3 offset1:1
	v_mov_b32_e32 v1, 0
	ds_write2_b32 v2, v1, v1 offset1:1
	v_mov_b32_e32 v2, 0x1408
	v_mov_b32_e32 v4, 0x1458
	s_mov_b32 s20, 0xff7fffff
	s_mov_b32 s21, 0
	v_mad_u32_u24 v2, v40, 20, v2
	v_mad_u32_u24 v4, v40, 20, v4
	v_or_b32_e32 v34, s33, v41
	ds_write2_b32 v2, v3, v3 offset1:1
	ds_write2_b32 v4, v1, v1 offset1:1
                                        ; implicit-def: $vgpr4
.LBB1331_7:
	s_or_saveexec_b64 s[30:31], s[8:9]
	s_load_dwordx2 s[26:27], s[0:1], 0x68
	s_load_dwordx4 s[12:15], s[0:1], 0x58
	s_load_dword s44, s[28:29], 0x4
	s_load_dwordx4 s[8:11], s[0:1], 0x80
	v_and_b32_e32 v1, 63, v0
	v_mov_b32_e32 v39, s21
	v_mov_b32_e32 v42, s20
	;; [unrolled: 1-line block ×5, first 2 shown]
                                        ; implicit-def: $vgpr30_vgpr31
                                        ; implicit-def: $vgpr22_vgpr23
                                        ; implicit-def: $vgpr26_vgpr27
                                        ; implicit-def: $vgpr18_vgpr19
                                        ; implicit-def: $vgpr10_vgpr11
                                        ; implicit-def: $vgpr2_vgpr3
                                        ; implicit-def: $vgpr14_vgpr15
                                        ; implicit-def: $vgpr6_vgpr7
	s_xor_b64 exec, exec, s[30:31]
	s_cbranch_execz .LBB1331_13
; %bb.8:
	s_load_dwordx2 s[20:21], s[0:1], 0x20
	s_load_dword s22, s[0:1], 0x38
	s_add_i32 s23, s3, 31
	s_ashr_i32 s25, s23, 31
	s_lshr_b32 s25, s25, 27
	v_add_u32_e32 v36, s5, v0
	s_add_i32 s23, s23, s25
	v_ashrrev_i32_e32 v2, 31, v36
	s_ashr_i32 s23, s23, 5
	v_lshrrev_b32_e32 v2, 27, v2
	s_add_i32 s25, s23, -1
	s_waitcnt lgkmcnt(0)
	s_mul_i32 s36, s2, s22
	s_mov_b32 s37, 0
	v_add_u32_e32 v2, v36, v2
	s_lshl_b64 s[22:23], s[36:37], 2
	v_ashrrev_i32_e32 v2, 5, v2
	v_mov_b32_e32 v3, s25
	v_cmp_gt_i32_e32 vcc, s3, v36
	s_add_u32 s20, s20, s22
	s_addc_u32 s21, s21, s23
	v_cndmask_b32_e32 v2, v3, v2, vcc
	v_ashrrev_i32_e32 v3, 31, v2
	v_lshl_add_u64 v[6:7], v[2:3], 2, s[20:21]
	v_ashrrev_i32_e32 v2, 31, v4
	v_lshrrev_b32_e32 v2, 27, v2
	v_add_u32_e32 v2, v4, v2
	v_ashrrev_i32_e32 v4, 5, v2
	v_min_i32_e32 v2, s25, v4
	v_ashrrev_i32_e32 v3, 31, v2
	v_lshl_add_u64 v[8:9], v[2:3], 2, s[20:21]
	v_add_u32_e32 v2, 1, v4
	v_min_i32_e32 v2, s25, v2
	v_ashrrev_i32_e32 v3, 31, v2
	v_lshl_add_u64 v[10:11], v[2:3], 2, s[20:21]
	global_load_dword v4, v[6:7], off
	global_load_dword v2, v[8:9], off
	global_load_dword v3, v[10:11], off
	s_load_dwordx2 s[40:41], s[0:1], 0x40
	s_load_dwordx4 s[20:23], s[0:1], 0x0
	s_load_dwordx2 s[38:39], s[0:1], 0x10
	s_andn2_b64 vcc, exec, s[18:19]
	s_cbranch_vccnz .LBB1331_10
; %bb.9:
	s_add_u32 s16, s16, s42
	s_addc_u32 s17, s17, s43
	s_load_dword s36, s[16:17], 0x0
	s_waitcnt lgkmcnt(0)
	s_mov_b64 s[34:35], s[36:37]
.LBB1331_10:
	s_load_dwordx4 s[16:19], s[0:1], 0x48
	s_load_dword s5, s[0:1], 0x1c
	v_mov_b32_e32 v17, 0
	v_mov_b32_e32 v35, v17
	s_waitcnt lgkmcnt(0)
	v_lshl_add_u64 v[22:23], v[34:35], 2, s[40:41]
	s_ashr_i32 s1, s16, 31
	s_mul_hi_u32 s19, s34, s16
	s_mul_i32 s1, s34, s1
	s_mul_i32 s25, s35, s16
	s_add_i32 s1, s19, s1
	s_mul_i32 s0, s34, s16
	s_add_i32 s1, s1, s25
	s_lshl_b64 s[0:1], s[0:1], 1
	s_add_u32 s16, s20, s0
	s_addc_u32 s19, s21, s1
	s_lshl_b32 s36, s4, 9
	s_lshl_b64 s[0:1], s[36:37], 1
	s_add_u32 s0, s16, s0
	s_addc_u32 s1, s19, s1
	s_mul_i32 s4, s4, s18
	s_add_u32 s18, s4, s22
	s_addc_u32 s19, 0, s23
	v_mov_b64_e32 v[6:7], s[18:19]
	s_waitcnt vmcnt(2)
	v_mad_i64_i32 v[4:5], s[18:19], v4, s17, v[6:7]
	v_lshlrev_b32_e32 v6, 4, v0
	v_and_b32_e32 v16, 0x1f0, v6
	v_lshl_add_u64 v[18:19], v[4:5], 0, v[16:17]
	global_load_dwordx4 v[4:7], v[18:19], off
	global_load_dwordx4 v[8:11], v[18:19], off offset:512
	global_load_dwordx4 v[12:15], v[18:19], off offset:1024
	v_lshlrev_b32_e32 v16, 2, v1
	v_and_b32_e32 v16, 0xf0, v16
	v_lshl_or_b32 v16, v41, 8, v16
	global_load_dwordx4 v[42:45], v16, s[0:1]
	global_load_dwordx4 v[46:49], v[18:19], off offset:1536
	global_load_dword v35, v[22:23], off
	global_load_dwordx4 v[50:53], v[18:19], off offset:2048
	global_load_dwordx4 v[54:57], v[18:19], off offset:2560
	;; [unrolled: 1-line block ×4, first 2 shown]
	s_waitcnt vmcnt(10)
	v_mul_hi_i32 v20, v3, s17
	v_mul_hi_i32 v16, v2, s17
	v_ashrrev_i32_e32 v20, 31, v20
	v_mov_b32_e32 v21, v17
	v_ashrrev_i32_e32 v16, 31, v16
	v_lshrrev_b32_e32 v20, 29, v20
	v_mad_i64_i32 v[20:21], s[18:19], v3, s17, v[20:21]
	v_lshrrev_b32_e32 v16, 29, v16
	s_add_u32 s18, s38, s4
	v_mad_i64_i32 v[2:3], s[16:17], v2, s17, v[16:17]
	v_and_b32_e32 v20, -8, v20
	s_addc_u32 s19, s39, 0
	v_and_b32_e32 v2, -8, v2
	v_lshl_add_u64 v[20:21], s[18:19], 0, v[20:21]
	v_lshlrev_b32_e32 v16, 5, v1
	v_lshl_add_u64 v[2:3], s[18:19], 0, v[2:3]
	v_lshl_add_u64 v[38:39], v[20:21], 0, v[16:17]
	;; [unrolled: 1-line block ×3, first 2 shown]
	s_mov_b32 s0, 0x7060302
	v_mov_b32_e32 v37, s5
	v_cmp_eq_u32_e32 vcc, 0, v41
	s_waitcnt vmcnt(9)
	v_cvt_pk_f32_fp8_e32 v[2:3], v4
	v_cvt_pk_f32_fp8_sdwa v[20:21], v4 src0_sel:WORD_1
	v_cvt_pk_f32_fp8_e32 v[22:23], v5
	v_cvt_pk_f32_fp8_sdwa v[4:5], v5 src0_sel:WORD_1
	;; [unrolled: 2-line block ×3, first 2 shown]
	v_perm_b32 v2, v3, v2, s0
	v_perm_b32 v3, v21, v20, s0
	v_cvt_pk_f32_fp8_e32 v[28:29], v7
	v_cvt_pk_f32_fp8_sdwa v[6:7], v7 src0_sel:WORD_1
	s_waitcnt vmcnt(6)
	v_mfma_f32_4x4x4_16b_bf16 a[0:3], v[42:43], v[2:3], 0 cbsz:4
	v_perm_b32 v20, v23, v22, s0
	v_perm_b32 v21, v5, v4, s0
	v_cvt_pk_f32_fp8_e32 v[30:31], v8
	v_cvt_pk_f32_fp8_sdwa v[32:33], v8 src0_sel:WORD_1
	v_mfma_f32_4x4x4_16b_bf16 a[0:3], v[44:45], v[20:21], a[0:3] cbsz:4
	v_perm_b32 v18, v25, v24, s0
	v_perm_b32 v19, v27, v26, s0
	v_cvt_pk_f32_fp8_e32 v[66:67], v9
	v_cvt_pk_f32_fp8_sdwa v[8:9], v9 src0_sel:WORD_1
	v_mfma_f32_4x4x4_16b_bf16 a[0:3], v[42:43], v[18:19], a[0:3] cbsz:4 abid:1
	v_perm_b32 v26, v29, v28, s0
	v_perm_b32 v27, v7, v6, s0
	v_cvt_pk_f32_fp8_e32 v[68:69], v10
	v_cvt_pk_f32_fp8_sdwa v[70:71], v10 src0_sel:WORD_1
	v_mfma_f32_4x4x4_16b_bf16 a[0:3], v[44:45], v[26:27], a[0:3] cbsz:4 abid:1
	;; [unrolled: 5-line block ×7, first 2 shown]
	v_perm_b32 v6, v79, v78, s0
	v_perm_b32 v7, v81, v80, s0
	global_load_dwordx4 v[22:25], v[16:17], off offset:16
	global_load_dwordx4 v[30:33], v[16:17], off
	v_mfma_f32_4x4x4_16b_bf16 a[0:3], v[44:45], v[6:7], a[0:3] cbsz:4 abid:4
	global_load_dwordx4 v[2:5], v[16:17], off offset:2064
	global_load_dwordx4 v[10:13], v[16:17], off offset:2048
	s_waitcnt vmcnt(9)
	v_cvt_pk_f32_fp8_e32 v[16:17], v46
	v_cvt_pk_f32_fp8_sdwa v[18:19], v46 src0_sel:WORD_1
	v_perm_b32 v8, v83, v82, s0
	v_perm_b32 v9, v85, v84, s0
	;; [unrolled: 1-line block ×4, first 2 shown]
	v_mfma_f32_4x4x4_16b_bf16 a[0:3], v[42:43], v[8:9], a[0:3] cbsz:4 abid:5
	v_cvt_pk_f32_fp8_e32 v[8:9], v47
	v_cvt_pk_f32_fp8_sdwa v[14:15], v47 src0_sel:WORD_1
	v_mfma_f32_4x4x4_16b_bf16 a[0:3], v[44:45], v[6:7], a[0:3] cbsz:4 abid:5
	v_perm_b32 v6, v17, v16, s0
	v_perm_b32 v7, v19, v18, s0
	;; [unrolled: 1-line block ×4, first 2 shown]
	v_mfma_f32_4x4x4_16b_bf16 a[0:3], v[42:43], v[6:7], a[0:3] cbsz:4 abid:6
	v_cvt_pk_f32_fp8_e32 v[6:7], v48
	v_cvt_pk_f32_fp8_e32 v[14:15], v49
	v_mfma_f32_4x4x4_16b_bf16 a[0:3], v[44:45], v[8:9], a[0:3] cbsz:4 abid:6
	v_cvt_pk_f32_fp8_sdwa v[8:9], v48 src0_sel:WORD_1
	v_cvt_pk_f32_fp8_sdwa v[16:17], v49 src0_sel:WORD_1
	v_perm_b32 v6, v7, v6, s0
	s_waitcnt vmcnt(7)
	v_cvt_pk_f32_fp8_e32 v[46:47], v52
	v_perm_b32 v7, v9, v8, s0
	v_perm_b32 v8, v15, v14, s0
	;; [unrolled: 1-line block ×3, first 2 shown]
	v_mfma_f32_4x4x4_16b_bf16 a[0:3], v[42:43], v[6:7], a[0:3] cbsz:4 abid:7
	v_cvt_pk_f32_fp8_e32 v[6:7], v50
	v_cvt_pk_f32_fp8_e32 v[14:15], v51
	v_mfma_f32_4x4x4_16b_bf16 a[0:3], v[44:45], v[8:9], a[0:3] cbsz:4 abid:7
	v_cvt_pk_f32_fp8_sdwa v[8:9], v50 src0_sel:WORD_1
	v_cvt_pk_f32_fp8_sdwa v[16:17], v51 src0_sel:WORD_1
	v_perm_b32 v6, v7, v6, s0
	v_cvt_pk_f32_fp8_sdwa v[48:49], v52 src0_sel:WORD_1
	v_perm_b32 v7, v9, v8, s0
	v_perm_b32 v8, v15, v14, s0
	;; [unrolled: 1-line block ×3, first 2 shown]
	v_mfma_f32_4x4x4_16b_bf16 a[0:3], v[42:43], v[6:7], a[0:3] cbsz:4 abid:8
	v_cvt_pk_f32_fp8_e32 v[50:51], v53
	v_cvt_pk_f32_fp8_sdwa v[52:53], v53 src0_sel:WORD_1
	v_mfma_f32_4x4x4_16b_bf16 a[0:3], v[44:45], v[8:9], a[0:3] cbsz:4 abid:8
	global_load_dwordx4 v[18:21], v[38:39], off offset:16
	global_load_dwordx4 v[26:29], v[38:39], off
	global_load_dwordx4 v[6:9], v[38:39], off offset:2064
	global_load_dwordx4 v[14:17], v[38:39], off offset:2048
	v_perm_b32 v38, v47, v46, s0
	v_perm_b32 v39, v49, v48, s0
	;; [unrolled: 1-line block ×4, first 2 shown]
	v_mfma_f32_4x4x4_16b_bf16 a[0:3], v[42:43], v[38:39], a[0:3] cbsz:4 abid:9
	s_waitcnt vmcnt(10)
	v_cvt_pk_f32_fp8_e32 v[38:39], v54
	v_cvt_pk_f32_fp8_e32 v[48:49], v55
	v_mfma_f32_4x4x4_16b_bf16 a[0:3], v[44:45], v[46:47], a[0:3] cbsz:4 abid:9
	v_cvt_pk_f32_fp8_sdwa v[46:47], v54 src0_sel:WORD_1
	v_cvt_pk_f32_fp8_sdwa v[50:51], v55 src0_sel:WORD_1
	v_perm_b32 v38, v39, v38, s0
	v_perm_b32 v39, v47, v46, s0
	;; [unrolled: 1-line block ×3, first 2 shown]
	s_nop 0
	v_mfma_f32_4x4x4_16b_bf16 a[0:3], v[42:43], v[38:39], a[0:3] cbsz:4 abid:10
	v_perm_b32 v47, v51, v50, s0
	v_cvt_pk_f32_fp8_e32 v[38:39], v56
	v_cvt_pk_f32_fp8_e32 v[48:49], v57
	v_mfma_f32_4x4x4_16b_bf16 a[0:3], v[44:45], v[46:47], a[0:3] cbsz:4 abid:10
	v_cvt_pk_f32_fp8_sdwa v[46:47], v56 src0_sel:WORD_1
	v_cvt_pk_f32_fp8_sdwa v[50:51], v57 src0_sel:WORD_1
	v_perm_b32 v38, v39, v38, s0
	v_perm_b32 v39, v47, v46, s0
	;; [unrolled: 1-line block ×3, first 2 shown]
	s_nop 0
	v_mfma_f32_4x4x4_16b_bf16 a[0:3], v[42:43], v[38:39], a[0:3] cbsz:4 abid:11
	v_perm_b32 v47, v51, v50, s0
	s_waitcnt vmcnt(9)
	v_cvt_pk_f32_fp8_e32 v[38:39], v58
	v_cvt_pk_f32_fp8_e32 v[48:49], v59
	v_mfma_f32_4x4x4_16b_bf16 a[0:3], v[44:45], v[46:47], a[0:3] cbsz:4 abid:11
	v_cvt_pk_f32_fp8_sdwa v[46:47], v58 src0_sel:WORD_1
	v_cvt_pk_f32_fp8_sdwa v[50:51], v59 src0_sel:WORD_1
	v_perm_b32 v38, v39, v38, s0
	v_perm_b32 v39, v47, v46, s0
	;; [unrolled: 1-line block ×3, first 2 shown]
	s_nop 0
	v_mfma_f32_4x4x4_16b_bf16 a[0:3], v[42:43], v[38:39], a[0:3] cbsz:4 abid:12
	v_perm_b32 v47, v51, v50, s0
	v_cvt_pk_f32_fp8_e32 v[38:39], v60
	v_cvt_pk_f32_fp8_e32 v[48:49], v61
	v_mfma_f32_4x4x4_16b_bf16 a[0:3], v[44:45], v[46:47], a[0:3] cbsz:4 abid:12
	v_cvt_pk_f32_fp8_sdwa v[46:47], v60 src0_sel:WORD_1
	v_cvt_pk_f32_fp8_sdwa v[50:51], v61 src0_sel:WORD_1
	v_perm_b32 v38, v39, v38, s0
	v_perm_b32 v39, v47, v46, s0
	;; [unrolled: 1-line block ×3, first 2 shown]
	s_nop 0
	v_mfma_f32_4x4x4_16b_bf16 a[0:3], v[42:43], v[38:39], a[0:3] cbsz:4 abid:13
	v_perm_b32 v47, v51, v50, s0
	s_waitcnt vmcnt(8)
	v_cvt_pk_f32_fp8_e32 v[38:39], v62
	v_cvt_pk_f32_fp8_e32 v[48:49], v63
	v_mfma_f32_4x4x4_16b_bf16 a[0:3], v[44:45], v[46:47], a[0:3] cbsz:4 abid:13
	v_cvt_pk_f32_fp8_sdwa v[46:47], v62 src0_sel:WORD_1
	v_cvt_pk_f32_fp8_sdwa v[50:51], v63 src0_sel:WORD_1
	v_perm_b32 v38, v39, v38, s0
	v_perm_b32 v39, v47, v46, s0
	;; [unrolled: 1-line block ×3, first 2 shown]
	s_nop 0
	v_mfma_f32_4x4x4_16b_bf16 a[0:3], v[42:43], v[38:39], a[0:3] cbsz:4 abid:14
	v_perm_b32 v47, v51, v50, s0
	v_cvt_pk_f32_fp8_e32 v[38:39], v64
	v_cvt_pk_f32_fp8_e32 v[48:49], v65
	v_mfma_f32_4x4x4_16b_bf16 a[0:3], v[44:45], v[46:47], a[0:3] cbsz:4 abid:14
	v_cvt_pk_f32_fp8_sdwa v[46:47], v64 src0_sel:WORD_1
	v_cvt_pk_f32_fp8_sdwa v[50:51], v65 src0_sel:WORD_1
	v_perm_b32 v38, v39, v38, s0
	v_perm_b32 v39, v47, v46, s0
	;; [unrolled: 1-line block ×4, first 2 shown]
	v_mfma_f32_4x4x4_16b_bf16 a[0:3], v[42:43], v[38:39], a[0:3] cbsz:4 abid:15
	s_load_dword s0, s[8:9], 0x0
	s_waitcnt lgkmcnt(0)
	v_mul_f32_e32 v42, s0, v37
	v_mfma_f32_4x4x4_16b_bf16 a[0:3], v[44:45], v[46:47], a[0:3] cbsz:4 abid:15
	v_cndmask_b32_e64 v37, 0, 1.0, vcc
	v_cmp_eq_u32_e32 vcc, 1, v41
	s_nop 2
	v_accvgpr_read_b32 v45, a1
	v_accvgpr_read_b32 v44, a0
	v_pk_mul_f32 v[44:45], v[44:45], v[42:43] op_sel_hi:[1,0]
	v_accvgpr_read_b32 v39, a3
	v_accvgpr_read_b32 v38, a2
	v_pk_mul_f32 v[38:39], v[38:39], v[42:43] op_sel_hi:[1,0]
	v_mfma_f32_4x4x1_16b_f32 a[0:3], v44, v37, 0
	v_cndmask_b32_e64 v37, 0, 1.0, vcc
	v_cmp_eq_u32_e32 vcc, 2, v41
	s_nop 0
	v_mfma_f32_4x4x1_16b_f32 a[0:3], v45, v37, a[0:3]
	v_cndmask_b32_e64 v37, 0, 1.0, vcc
	v_cmp_eq_u32_e32 vcc, 3, v41
	s_nop 0
	v_mfma_f32_4x4x1_16b_f32 a[0:3], v38, v37, a[0:3]
	v_cndmask_b32_e64 v37, 0, 1.0, vcc
	s_nop 1
	v_mfma_f32_4x4x1_16b_f32 a[0:3], v39, v37, a[0:3]
	v_and_b32_e32 v37, -4, v36
	v_subrev_u32_e32 v38, s3, v37
	v_add_u32_e32 v39, 1, v38
	v_cvt_f32_i32_e32 v39, v39
	v_add_u32_e32 v42, 2, v38
	v_cvt_f32_i32_e32 v42, v42
	v_accvgpr_read_b32 v43, a0
	v_fma_f32 v39, v35, v39, v43
	v_accvgpr_read_b32 v43, a1
	v_fma_f32 v43, v35, v42, v43
	v_add_u32_e32 v42, 3, v38
	v_add_u32_e32 v38, 4, v38
	v_cvt_f32_i32_e32 v42, v42
	v_cvt_f32_i32_e32 v38, v38
	v_accvgpr_read_b32 v44, a2
	v_accvgpr_read_b32 v45, a3
	v_fma_f32 v44, v35, v42, v44
	v_fmac_f32_e32 v45, v35, v38
	v_max_f32_e32 v38, 0xff7fffff, v39
	v_mov_b32_e32 v42, 0xff7fffff
	v_cmp_gt_i32_e32 vcc, s3, v37
	v_or_b32_e32 v36, 3, v36
	v_cmp_gt_i32_e64 s[8:9], s3, v36
	v_cndmask_b32_e32 v38, v42, v38, vcc
	v_or_b32_e32 v42, 1, v37
	v_max_f32_e32 v46, v38, v43
	v_cmp_gt_i32_e64 s[0:1], s3, v42
	v_or_b32_e32 v37, 2, v37
	v_cmp_gt_i32_e64 s[4:5], s3, v37
	v_cndmask_b32_e64 v38, v38, v46, s[0:1]
	v_max_f32_e32 v42, v38, v44
	v_cndmask_b32_e64 v37, v38, v42, s[4:5]
	v_max_f32_e32 v38, v37, v45
	v_lshlrev_b32_e32 v35, 2, v0
	v_cndmask_b32_e64 v36, v37, v38, s[8:9]
	v_and_or_b32 v35, v35, 48, v41
	;;#ASMSTART
	v_nop
 v_nop
 v_max_f32_dpp v36, v36, v36 row_ror:4
	;;#ASMEND
	v_lshlrev_b32_e32 v35, 2, v35
	;;#ASMSTART
	v_nop
 v_nop
 v_max_f32_dpp v36, v36, v36 row_ror:8
	;;#ASMEND
	ds_bpermute_b32 v36, v35, v36
	s_waitcnt lgkmcnt(0)
	;;#ASMSTART
	v_nop
 v_nop
 v_max_f32_dpp v36, v36, v36 row_ror:4
	;;#ASMEND
	s_nop 0
	;;#ASMSTART
	v_nop
 v_nop
 v_max_f32_dpp v42, v36, v36 row_ror:8
	;;#ASMEND
	s_nop 0
	v_sub_f32_e32 v36, v39, v42
	v_mul_f32_e32 v36, 0x3fb8aa3b, v36
	v_sub_f32_e32 v37, v43, v42
	v_exp_f32_e32 v36, v36
	v_mul_f32_e32 v37, 0x3fb8aa3b, v37
	v_sub_f32_e32 v39, v44, v42
	v_exp_f32_e32 v37, v37
	v_mul_f32_e32 v39, 0x3fb8aa3b, v39
	v_sub_f32_e32 v43, v45, v42
	v_exp_f32_e32 v39, v39
	v_mul_f32_e32 v43, 0x3fb8aa3b, v43
	v_exp_f32_e32 v43, v43
	v_cndmask_b32_e32 v36, 0, v36, vcc
	v_add_f32_e32 v38, 0, v36
	v_cndmask_b32_e64 v37, 0, v37, s[0:1]
	v_add_f32_e32 v44, v38, v37
	v_cndmask_b32_e64 v38, 0, v39, s[4:5]
	;; [unrolled: 2-line block ×3, first 2 shown]
	v_add_f32_e32 v43, v44, v39
	;;#ASMSTART
	v_nop
 v_nop
 v_add_f32_dpp v43, v43, v43 row_ror:4
	;;#ASMEND
	v_cmp_gt_u32_e32 vcc, 4, v1
	;;#ASMSTART
	v_nop
 v_nop
 v_add_f32_dpp v43, v43, v43 row_ror:8
	;;#ASMEND
	ds_bpermute_b32 v35, v35, v43
	s_waitcnt lgkmcnt(0)
	;;#ASMSTART
	v_nop
 v_nop
 v_add_f32_dpp v35, v35, v35 row_ror:4
	;;#ASMEND
	s_nop 0
	;;#ASMSTART
	v_nop
 v_nop
 v_add_f32_dpp v35, v35, v35 row_ror:8
	;;#ASMEND
	s_and_saveexec_b64 s[0:1], vcc
	s_cbranch_execz .LBB1331_12
; %bb.11:
	v_mul_u32_u24_e32 v43, 20, v40
	v_lshl_add_u32 v43, v41, 2, v43
	v_add_u32_e32 v43, 0x1400, v43
	ds_write2_b32 v43, v42, v35 offset1:20
.LBB1331_12:
	s_or_b64 exec, exec, s[0:1]
.LBB1331_13:
	s_or_b64 exec, exec, s[30:31]
	v_lshlrev_b32_e32 v35, 2, v41
	v_add_u32_e32 v35, 0x1400, v35
	s_waitcnt lgkmcnt(0)
	s_barrier
	s_load_dword s0, s[28:29], 0x8
	ds_read2_b32 v[44:45], v35 offset1:5
	ds_read2_b32 v[46:47], v35 offset0:10 offset1:15
	s_mov_b32 s4, 0xff7fffff
	s_mul_i32 s1, s2, s44
	ds_read2_b32 v[48:49], v35 offset0:20 offset1:25
	s_waitcnt lgkmcnt(0)
	v_max3_f32 v41, v44, s4, v45
	s_mul_i32 s1, s1, s0
	v_max3_f32 v41, v41, v46, v47
	s_lshl_b32 s0, s1, 2
	s_mov_b32 s1, 0
	v_sub_f32_e32 v43, v44, v41
	v_sub_f32_e32 v44, v45, v41
	s_lshl_b64 s[2:3], s[0:1], 2
	v_mul_f32_e32 v43, 0x3fb8aa3b, v43
	v_mul_f32_e32 v44, 0x3fb8aa3b, v44
	s_add_u32 s8, s12, s2
	v_exp_f32_e32 v43, v43
	v_exp_f32_e32 v50, v44
	ds_read2_b32 v[44:45], v35 offset0:30 offset1:35
	v_sub_f32_e32 v35, v46, v41
	s_addc_u32 s9, s13, s3
	v_mul_f32_e32 v35, 0x3fb8aa3b, v35
	v_sub_f32_e32 v46, v47, v41
	s_mov_b32 s25, s1
	s_add_u32 s4, s14, s2
	v_exp_f32_e32 v35, v35
	v_mul_f32_e32 v46, 0x3fb8aa3b, v46
	s_addc_u32 s5, s15, s3
	s_lshl_b64 s[2:3], s[24:25], 2
	v_exp_f32_e32 v46, v46
	s_add_u32 s4, s4, s2
	v_fma_f32 v43, v43, v48, 0
	s_addc_u32 s5, s5, s3
	v_fmac_f32_e32 v43, v50, v49
	s_waitcnt lgkmcnt(0)
	v_fmac_f32_e32 v43, v35, v44
	s_add_u32 s2, s8, s2
	v_mul_lo_u32 v34, s44, v34
	v_mov_b32_e32 v35, 0
	v_fmac_f32_e32 v43, v46, v45
	s_addc_u32 s3, s9, s3
	v_lshlrev_b64 v[44:45], 2, v[34:35]
	v_lshl_add_u64 v[46:47], s[4:5], 0, v[44:45]
	v_lshl_add_u64 v[44:45], s[2:3], 0, v[44:45]
	v_lshlrev_b32_e32 v40, 3, v40
	global_store_dword v[46:47], v41, off
	global_store_dword v[44:45], v43, off
	s_and_saveexec_b64 s[2:3], s[6:7]
	s_xor_b64 s[2:3], exec, s[2:3]
	s_cbranch_execz .LBB1331_15
; %bb.14:
	s_waitcnt vmcnt(7)
	v_mad_u32_u24 v2, v1, 40, v40
	v_mov_b32_e32 v34, v35
	ds_write_b64 v2, v[34:35]
                                        ; implicit-def: $vgpr39
                                        ; implicit-def: $vgpr37
                                        ; implicit-def: $vgpr42
                                        ; implicit-def: $vgpr30_vgpr31
                                        ; implicit-def: $vgpr22_vgpr23
                                        ; implicit-def: $vgpr26_vgpr27
                                        ; implicit-def: $vgpr18_vgpr19
                                        ; implicit-def: $vgpr10_vgpr11
                                        ; implicit-def: $vgpr2_vgpr3
                                        ; implicit-def: $vgpr14_vgpr15
                                        ; implicit-def: $vgpr6_vgpr7
                                        ; implicit-def: $vgpr41
                                        ; implicit-def: $vgpr43
.LBB1331_15:
	s_or_saveexec_b64 s[2:3], s[2:3]
	v_mov_b32_e32 v34, s1
	v_mov_b32_e32 v35, s1
	s_xor_b64 exec, exec, s[2:3]
	s_cbranch_execz .LBB1331_17
; %bb.16:
	v_add_f32_e32 v34, 0x358637bd, v43
	v_div_scale_f32 v35, s[4:5], v34, v34, 1.0
	v_rcp_f32_e32 v43, v35
	v_sub_f32_e32 v41, v42, v41
	v_mul_f32_e32 v41, 0x3fb8aa3b, v41
	v_exp_f32_e32 v41, v41
	v_fma_f32 v42, -v35, v43, 1.0
	v_fmac_f32_e32 v43, v42, v43
	v_div_scale_f32 v42, vcc, 1.0, v34, 1.0
	v_mul_f32_e32 v44, v42, v43
	v_fma_f32 v45, -v35, v44, v42
	v_fmac_f32_e32 v44, v45, v43
	v_fma_f32 v35, -v35, v44, v42
	v_div_fmas_f32 v35, v35, v43, v44
	v_div_fixup_f32 v34, v35, v34, 1.0
	v_mul_f32_e32 v34, v41, v34
	v_pk_mul_f32 v[38:39], v[38:39], v[34:35] op_sel_hi:[1,0]
	v_pk_mul_f32 v[34:35], v[36:37], v[34:35] op_sel_hi:[1,0]
	s_movk_i32 s1, 0x7fff
	v_bfe_u32 v36, v35, 16, 1
	v_bfe_u32 v37, v34, 16, 1
	v_add3_u32 v34, v34, v37, s1
	v_add3_u32 v35, v35, v36, s1
	s_mov_b32 s5, 0x7060302
	v_perm_b32 v34, v35, v34, s5
	v_bfe_u32 v35, v39, 16, 1
	v_bfe_u32 v36, v38, 16, 1
	v_add3_u32 v36, v38, v36, s1
	v_add3_u32 v35, v39, v35, s1
	v_perm_b32 v35, v35, v36, s5
	s_waitcnt vmcnt(8)
	v_cvt_pk_f32_fp8_e32 v[36:37], v30
	v_cvt_pk_f32_fp8_sdwa v[38:39], v30 src0_sel:WORD_1
	v_cvt_pk_f32_fp8_e32 v[42:43], v31
	v_cvt_pk_f32_fp8_sdwa v[30:31], v31 src0_sel:WORD_1
	v_perm_b32 v36, v37, v36, s5
	v_perm_b32 v37, v39, v38, s5
	;; [unrolled: 1-line block ×4, first 2 shown]
	v_mfma_f32_4x4x4_16b_bf16 a[0:3], v[34:35], v[36:37], 0 cbsz:4
	v_cvt_pk_f32_fp8_e32 v[30:31], v32
	v_cvt_pk_f32_fp8_sdwa v[36:37], v32 src0_sel:WORD_1
	v_mfma_f32_4x4x4_16b_bf16 a[0:3], v[34:35], v[38:39], a[0:3] cbsz:4 abid:1
	v_cvt_pk_f32_fp8_e32 v[38:39], v33
	v_cvt_pk_f32_fp8_sdwa v[32:33], v33 src0_sel:WORD_1
	v_perm_b32 v30, v31, v30, s5
	v_perm_b32 v31, v37, v36, s5
	v_perm_b32 v36, v39, v38, s5
	v_perm_b32 v37, v33, v32, s5
	v_mfma_f32_4x4x4_16b_bf16 a[0:3], v[34:35], v[30:31], a[0:3] cbsz:4 abid:2
	v_cvt_pk_f32_fp8_e32 v[30:31], v22
	v_cvt_pk_f32_fp8_sdwa v[32:33], v22 src0_sel:WORD_1
	v_mfma_f32_4x4x4_16b_bf16 a[0:3], v[34:35], v[36:37], a[0:3] cbsz:4 abid:3
	v_cvt_pk_f32_fp8_e32 v[36:37], v23
	v_cvt_pk_f32_fp8_sdwa v[22:23], v23 src0_sel:WORD_1
	v_perm_b32 v30, v31, v30, s5
	v_perm_b32 v31, v33, v32, s5
	v_perm_b32 v32, v37, v36, s5
	v_perm_b32 v33, v23, v22, s5
	v_mfma_f32_4x4x4_16b_bf16 a[0:3], v[34:35], v[30:31], a[0:3] cbsz:4 abid:4
	;; [unrolled: 10-line block ×3, first 2 shown]
	s_waitcnt vmcnt(4)
	v_cvt_pk_f32_fp8_e32 v[22:23], v26
	v_cvt_pk_f32_fp8_sdwa v[24:25], v26 src0_sel:WORD_1
	v_mfma_f32_4x4x4_16b_bf16 a[0:3], v[34:35], v[30:31], a[0:3] cbsz:4 abid:7
	v_cvt_pk_f32_fp8_e32 v[30:31], v27
	v_cvt_pk_f32_fp8_sdwa v[26:27], v27 src0_sel:WORD_1
	v_perm_b32 v22, v23, v22, s5
	v_perm_b32 v23, v25, v24, s5
	;; [unrolled: 1-line block ×4, first 2 shown]
	v_mfma_f32_4x4x4_16b_bf16 a[0:3], v[34:35], v[22:23], a[0:3] cbsz:4 abid:8
	v_cvt_pk_f32_fp8_e32 v[22:23], v28
	v_cvt_pk_f32_fp8_e32 v[26:27], v29
	v_mfma_f32_4x4x4_16b_bf16 a[0:3], v[34:35], v[24:25], a[0:3] cbsz:4 abid:9
	v_cvt_pk_f32_fp8_sdwa v[24:25], v28 src0_sel:WORD_1
	v_cvt_pk_f32_fp8_sdwa v[28:29], v29 src0_sel:WORD_1
	v_perm_b32 v22, v23, v22, s5
	s_load_dword s4, s[10:11], 0x0
	v_perm_b32 v23, v25, v24, s5
	v_perm_b32 v24, v27, v26, s5
	;; [unrolled: 1-line block ×3, first 2 shown]
	v_mfma_f32_4x4x4_16b_bf16 a[0:3], v[34:35], v[22:23], a[0:3] cbsz:4 abid:10
	v_cvt_pk_f32_fp8_e32 v[22:23], v18
	v_cvt_pk_f32_fp8_e32 v[26:27], v19
	v_mfma_f32_4x4x4_16b_bf16 a[0:3], v[34:35], v[24:25], a[0:3] cbsz:4 abid:11
	v_cvt_pk_f32_fp8_sdwa v[24:25], v18 src0_sel:WORD_1
	v_cvt_pk_f32_fp8_sdwa v[18:19], v19 src0_sel:WORD_1
	v_perm_b32 v22, v23, v22, s5
	v_perm_b32 v23, v25, v24, s5
	;; [unrolled: 1-line block ×3, first 2 shown]
	s_nop 0
	v_mfma_f32_4x4x4_16b_bf16 a[0:3], v[34:35], v[22:23], a[0:3] cbsz:4 abid:12
	v_cvt_pk_f32_fp8_e32 v[18:19], v20
	v_cvt_pk_f32_fp8_sdwa v[22:23], v20 src0_sel:WORD_1
	v_perm_b32 v24, v27, v26, s5
	v_perm_b32 v18, v19, v18, s5
	s_nop 0
	v_mfma_f32_4x4x4_16b_bf16 a[0:3], v[34:35], v[24:25], a[0:3] cbsz:4 abid:13
	v_cvt_pk_f32_fp8_e32 v[24:25], v21
	v_cvt_pk_f32_fp8_sdwa v[20:21], v21 src0_sel:WORD_1
	v_perm_b32 v19, v23, v22, s5
	v_perm_b32 v22, v25, v24, s5
	s_nop 0
	v_mfma_f32_4x4x4_16b_bf16 a[0:3], v[34:35], v[18:19], a[0:3] cbsz:4 abid:14
	v_perm_b32 v23, v21, v20, s5
	s_nop 1
	v_mfma_f32_4x4x4_16b_bf16 a[0:3], v[34:35], v[22:23], a[0:3] cbsz:4 abid:15
	s_nop 4
	v_accvgpr_read_b32 v21, a1
	v_accvgpr_read_b32 v20, a0
	s_waitcnt lgkmcnt(0)
	v_pk_mul_f32 v[20:21], v[20:21], s[4:5] op_sel_hi:[1,0]
	v_accvgpr_read_b32 v19, a3
	v_accvgpr_read_b32 v18, a2
	v_bfe_u32 v22, v21, 16, 1
	v_bfe_u32 v23, v20, 16, 1
	v_pk_mul_f32 v[18:19], v[18:19], s[4:5] op_sel_hi:[1,0]
	v_add3_u32 v20, v20, v23, s1
	v_add3_u32 v21, v21, v22, s1
	v_perm_b32 v20, v21, v20, s5
	v_bfe_u32 v21, v19, 16, 1
	v_bfe_u32 v22, v18, 16, 1
	v_add3_u32 v18, v18, v22, s1
	v_add3_u32 v19, v19, v21, s1
	v_perm_b32 v21, v19, v18, s5
	v_mad_u32_u24 v18, v1, 40, v40
	ds_write_b64 v18, v[20:21]
	v_cvt_pk_f32_fp8_e32 v[18:19], v10
	v_cvt_pk_f32_fp8_sdwa v[20:21], v10 src0_sel:WORD_1
	v_cvt_pk_f32_fp8_e32 v[22:23], v11
	v_cvt_pk_f32_fp8_sdwa v[10:11], v11 src0_sel:WORD_1
	v_perm_b32 v18, v19, v18, s5
	v_perm_b32 v19, v21, v20, s5
	;; [unrolled: 1-line block ×4, first 2 shown]
	v_mfma_f32_4x4x4_16b_bf16 a[0:3], v[34:35], v[18:19], 0 cbsz:4
	v_cvt_pk_f32_fp8_e32 v[10:11], v12
	v_cvt_pk_f32_fp8_sdwa v[18:19], v12 src0_sel:WORD_1
	v_mfma_f32_4x4x4_16b_bf16 a[0:3], v[34:35], v[20:21], a[0:3] cbsz:4 abid:1
	v_cvt_pk_f32_fp8_e32 v[20:21], v13
	v_cvt_pk_f32_fp8_sdwa v[12:13], v13 src0_sel:WORD_1
	v_perm_b32 v10, v11, v10, s5
	v_perm_b32 v11, v19, v18, s5
	v_perm_b32 v18, v21, v20, s5
	v_perm_b32 v19, v13, v12, s5
	v_mfma_f32_4x4x4_16b_bf16 a[0:3], v[34:35], v[10:11], a[0:3] cbsz:4 abid:2
	v_cvt_pk_f32_fp8_e32 v[10:11], v2
	v_cvt_pk_f32_fp8_sdwa v[12:13], v2 src0_sel:WORD_1
	v_mfma_f32_4x4x4_16b_bf16 a[0:3], v[34:35], v[18:19], a[0:3] cbsz:4 abid:3
	v_cvt_pk_f32_fp8_e32 v[18:19], v3
	v_cvt_pk_f32_fp8_sdwa v[2:3], v3 src0_sel:WORD_1
	v_perm_b32 v10, v11, v10, s5
	v_perm_b32 v11, v13, v12, s5
	v_perm_b32 v12, v19, v18, s5
	v_perm_b32 v13, v3, v2, s5
	v_mfma_f32_4x4x4_16b_bf16 a[0:3], v[34:35], v[10:11], a[0:3] cbsz:4 abid:4
	;; [unrolled: 10-line block ×3, first 2 shown]
	s_waitcnt vmcnt(2)
	v_cvt_pk_f32_fp8_e32 v[2:3], v14
	v_cvt_pk_f32_fp8_sdwa v[4:5], v14 src0_sel:WORD_1
	v_mfma_f32_4x4x4_16b_bf16 a[0:3], v[34:35], v[10:11], a[0:3] cbsz:4 abid:7
	v_cvt_pk_f32_fp8_e32 v[10:11], v15
	v_cvt_pk_f32_fp8_sdwa v[12:13], v15 src0_sel:WORD_1
	v_perm_b32 v2, v3, v2, s5
	v_perm_b32 v3, v5, v4, s5
	;; [unrolled: 1-line block ×4, first 2 shown]
	v_mfma_f32_4x4x4_16b_bf16 a[0:3], v[34:35], v[2:3], a[0:3] cbsz:4 abid:8
	v_cvt_pk_f32_fp8_e32 v[2:3], v16
	v_cvt_pk_f32_fp8_e32 v[10:11], v17
	v_mfma_f32_4x4x4_16b_bf16 a[0:3], v[34:35], v[4:5], a[0:3] cbsz:4 abid:9
	v_cvt_pk_f32_fp8_sdwa v[4:5], v16 src0_sel:WORD_1
	v_cvt_pk_f32_fp8_sdwa v[12:13], v17 src0_sel:WORD_1
	v_perm_b32 v2, v3, v2, s5
	v_perm_b32 v3, v5, v4, s5
	v_perm_b32 v4, v11, v10, s5
	s_nop 0
	v_mfma_f32_4x4x4_16b_bf16 a[0:3], v[34:35], v[2:3], a[0:3] cbsz:4 abid:10
	v_perm_b32 v5, v13, v12, s5
	v_cvt_pk_f32_fp8_e32 v[2:3], v6
	v_cvt_pk_f32_fp8_e32 v[10:11], v7
	v_mfma_f32_4x4x4_16b_bf16 a[0:3], v[34:35], v[4:5], a[0:3] cbsz:4 abid:11
	v_cvt_pk_f32_fp8_sdwa v[4:5], v6 src0_sel:WORD_1
	v_cvt_pk_f32_fp8_sdwa v[6:7], v7 src0_sel:WORD_1
	v_perm_b32 v2, v3, v2, s5
	v_perm_b32 v3, v5, v4, s5
	v_perm_b32 v4, v11, v10, s5
	s_nop 0
	v_mfma_f32_4x4x4_16b_bf16 a[0:3], v[34:35], v[2:3], a[0:3] cbsz:4 abid:12
	v_perm_b32 v5, v7, v6, s5
	;; [unrolled: 11-line block ×3, first 2 shown]
	s_nop 1
	v_mfma_f32_4x4x4_16b_bf16 a[0:3], v[34:35], v[4:5], a[0:3] cbsz:4 abid:15
	s_nop 4
	v_accvgpr_read_b32 v5, a1
	v_accvgpr_read_b32 v4, a0
	;; [unrolled: 1-line block ×4, first 2 shown]
	v_pk_mul_f32 v[4:5], v[4:5], s[4:5] op_sel_hi:[1,0]
	v_pk_mul_f32 v[2:3], v[2:3], s[4:5] op_sel_hi:[1,0]
	v_bfe_u32 v6, v5, 16, 1
	v_bfe_u32 v7, v4, 16, 1
	v_add3_u32 v4, v4, v7, s1
	v_add3_u32 v5, v5, v6, s1
	v_bfe_u32 v6, v3, 16, 1
	v_bfe_u32 v7, v2, 16, 1
	v_add3_u32 v2, v2, v7, s1
	v_add3_u32 v3, v3, v6, s1
	v_perm_b32 v35, v3, v2, s5
	v_perm_b32 v34, v5, v4, s5
.LBB1331_17:
	s_or_b64 exec, exec, s[2:3]
	s_waitcnt vmcnt(7)
	v_mad_u32_u24 v2, v1, 40, v40
	v_cmp_gt_u32_e32 vcc, 64, v0
	ds_write_b64 v2, v[34:35] offset:2560
	s_waitcnt lgkmcnt(0)
	s_barrier
	s_and_saveexec_b64 s[2:3], vcc
	s_cbranch_execz .LBB1331_19
; %bb.18:
	s_waitcnt vmcnt(3)
	v_mul_u32_u24_e32 v6, 40, v1
	ds_read2_b64 v[2:5], v6 offset1:1
	ds_read2_b64 v[6:9], v6 offset0:2 offset1:3
	s_mov_b32 s1, 0
	s_lshl_b32 s0, s0, 7
	s_lshl_b64 s[2:3], s[0:1], 1
	s_waitcnt lgkmcnt(1)
	v_lshlrev_b32_e32 v10, 16, v2
	v_and_b32_e32 v2, 0xffff0000, v2
	v_add_f32_e32 v2, 0, v2
	v_lshlrev_b32_e32 v11, 16, v3
	v_and_b32_e32 v3, 0xffff0000, v3
	v_and_b32_e32 v2, 0xffff0000, v2
	v_add_f32_e32 v11, 0, v11
	v_add_f32_e32 v3, 0, v3
	v_lshlrev_b32_e32 v12, 16, v4
	v_and_b32_e32 v4, 0xffff0000, v4
	v_add_f32_e32 v10, 0, v10
	v_and_b32_e32 v11, 0xffff0000, v11
	v_and_b32_e32 v3, 0xffff0000, v3
	v_add_f32_e32 v2, v2, v4
	v_lshlrev_b32_e32 v4, 16, v5
	v_and_b32_e32 v5, 0xffff0000, v5
	v_and_b32_e32 v10, 0xffff0000, v10
	;; [unrolled: 1-line block ×3, first 2 shown]
	v_add_f32_e32 v4, v11, v4
	v_add_f32_e32 v3, v3, v5
	s_waitcnt lgkmcnt(0)
	v_lshlrev_b32_e32 v5, 16, v6
	v_and_b32_e32 v6, 0xffff0000, v6
	v_add_f32_e32 v10, v10, v12
	v_and_b32_e32 v4, 0xffff0000, v4
	v_add_f32_e32 v2, v2, v6
	v_lshlrev_b32_e32 v6, 16, v7
	v_and_b32_e32 v10, 0xffff0000, v10
	v_and_b32_e32 v3, 0xffff0000, v3
	v_add_f32_e32 v4, v4, v6
	v_and_b32_e32 v6, 0xffff0000, v7
	v_add_f32_e32 v5, v10, v5
	v_add_f32_e32 v3, v3, v6
	v_and_b32_e32 v5, 0xffff0000, v5
	v_and_b32_e32 v6, 0xffff0000, v3
	v_lshlrev_b32_e32 v3, 16, v8
	v_and_b32_e32 v2, 0xffff0000, v2
	v_add_f32_e32 v10, v5, v3
	v_and_b32_e32 v3, 0xffff0000, v8
	v_and_b32_e32 v4, 0xffff0000, v4
	v_add_f32_e32 v11, v2, v3
	v_lshlrev_b32_e32 v2, 16, v9
	v_add_f32_e32 v12, v4, v2
	v_mov_b32_e32 v2, 0xa00
	v_mad_u32_u24 v2, v1, 40, v2
	ds_read2_b64 v[2:5], v2 offset1:1
	v_and_b32_e32 v7, 0xffff0000, v9
	v_add_f32_e32 v13, v6, v7
	v_mov_b32_e32 v6, 0xa10
	v_mad_u32_u24 v1, v1, 40, v6
	ds_read2_b64 v[6:9], v1 offset1:1
	s_waitcnt lgkmcnt(1)
	v_lshlrev_b32_e32 v1, 16, v2
	v_and_b32_e32 v2, 0xffff0000, v2
	v_add_f32_e32 v1, 0, v1
	v_add_f32_e32 v2, 0, v2
	s_waitcnt vmcnt(2)
	v_lshlrev_b32_e32 v14, 16, v3
	v_and_b32_e32 v3, 0xffff0000, v3
	v_and_b32_e32 v1, 0xffff0000, v1
	;; [unrolled: 1-line block ×3, first 2 shown]
	v_add_f32_e32 v3, 0, v3
	v_lshlrev_b32_e32 v15, 16, v4
	v_and_b32_e32 v4, 0xffff0000, v4
	v_add_f32_e32 v14, 0, v14
	v_and_b32_e32 v3, 0xffff0000, v3
	v_add_f32_e32 v1, v1, v15
	v_add_f32_e32 v2, v2, v4
	v_lshlrev_b32_e32 v4, 16, v5
	v_and_b32_e32 v5, 0xffff0000, v5
	v_and_b32_e32 v14, 0xffff0000, v14
	;; [unrolled: 1-line block ×3, first 2 shown]
	v_add_f32_e32 v3, v3, v5
	s_waitcnt lgkmcnt(0)
	v_lshlrev_b32_e32 v5, 16, v6
	v_and_b32_e32 v2, 0xffff0000, v2
	v_add_f32_e32 v4, v14, v4
	v_add_f32_e32 v1, v1, v5
	v_and_b32_e32 v5, 0xffff0000, v6
	v_and_b32_e32 v4, 0xffff0000, v4
	v_add_f32_e32 v2, v2, v5
	v_lshlrev_b32_e32 v5, 16, v7
	s_add_u32 s2, s26, s2
	v_and_b32_e32 v3, 0xffff0000, v3
	v_add_f32_e32 v4, v4, v5
	v_and_b32_e32 v5, 0xffff0000, v7
	s_addc_u32 s3, s27, s3
	s_lshl_b32 s0, s24, 7
	v_and_b32_e32 v1, 0xffff0000, v1
	v_add_f32_e32 v3, v3, v5
	v_lshlrev_b32_e32 v5, 16, v8
	s_lshl_b64 s[0:1], s[0:1], 1
	v_and_b32_e32 v2, 0xffff0000, v2
	v_add_f32_e32 v14, v1, v5
	v_and_b32_e32 v1, 0xffff0000, v8
	s_add_u32 s0, s2, s0
	v_and_b32_e32 v4, 0xffff0000, v4
	v_add_f32_e32 v15, v2, v1
	v_lshlrev_b32_e32 v1, 16, v9
	s_addc_u32 s1, s3, s1
	s_lshl_b32 s2, s44, 7
	v_and_b32_e32 v3, 0xffff0000, v3
	v_add_f32_e32 v16, v4, v1
	v_and_b32_e32 v1, 0xffff0000, v9
	s_mul_i32 s3, s2, s33
	v_add_f32_e32 v17, v3, v1
	v_or_b32_e32 v2, s3, v0
	v_mov_b32_e32 v3, 0
	s_add_i32 s3, s3, s2
	v_lshl_add_u64 v[4:5], v[2:3], 1, s[0:1]
	v_or_b32_e32 v2, s3, v0
	s_add_i32 s3, s3, s2
	v_lshl_add_u64 v[6:7], v[2:3], 1, s[0:1]
	v_or_b32_e32 v2, s3, v0
	s_add_i32 s3, s3, s2
	v_lshl_add_u64 v[8:9], v[2:3], 1, s[0:1]
	v_or_b32_e32 v2, s3, v0
	v_lshl_add_u64 v[0:1], v[2:3], 1, s[0:1]
	global_store_short_d16_hi v[4:5], v10, off
	global_store_short_d16_hi v[6:7], v11, off
	;; [unrolled: 1-line block ×4, first 2 shown]
	global_store_short_d16_hi v[4:5], v14, off offset:128
	global_store_short_d16_hi v[6:7], v15, off offset:128
	;; [unrolled: 1-line block ×4, first 2 shown]
.LBB1331_19:
	s_endpgm
.LBB1331_20:
	s_mov_b64 s[8:9], 0
                                        ; implicit-def: $sgpr34_sgpr35
	s_branch .LBB1331_2
	.section	.rodata,"a",@progbits
	.p2align	6, 0x0
	.amdhsa_kernel _Z38paged_attention_ll4mi_QKV_mfma4_kernelI14__hip_bfloat16hLN4vllm18Fp8KVCacheDataTypeE1EhLi32ELi128ELi256ELb1ELi4EEvPKT_PKT0_S8_ifPKiSA_SA_iPKfiiiPfSD_PS3_PT2_iSC_SC_
		.amdhsa_group_segment_fixed_size 5280
		.amdhsa_private_segment_fixed_size 0
		.amdhsa_kernarg_size 400
		.amdhsa_user_sgpr_count 2
		.amdhsa_user_sgpr_dispatch_ptr 0
		.amdhsa_user_sgpr_queue_ptr 0
		.amdhsa_user_sgpr_kernarg_segment_ptr 1
		.amdhsa_user_sgpr_dispatch_id 0
		.amdhsa_user_sgpr_kernarg_preload_length 0
		.amdhsa_user_sgpr_kernarg_preload_offset 0
		.amdhsa_user_sgpr_private_segment_size 0
		.amdhsa_uses_dynamic_stack 0
		.amdhsa_enable_private_segment 0
		.amdhsa_system_sgpr_workgroup_id_x 1
		.amdhsa_system_sgpr_workgroup_id_y 1
		.amdhsa_system_sgpr_workgroup_id_z 1
		.amdhsa_system_sgpr_workgroup_info 0
		.amdhsa_system_vgpr_workitem_id 0
		.amdhsa_next_free_vgpr 92
		.amdhsa_next_free_sgpr 45
		.amdhsa_accum_offset 88
		.amdhsa_reserve_vcc 1
		.amdhsa_float_round_mode_32 0
		.amdhsa_float_round_mode_16_64 0
		.amdhsa_float_denorm_mode_32 3
		.amdhsa_float_denorm_mode_16_64 3
		.amdhsa_dx10_clamp 1
		.amdhsa_ieee_mode 1
		.amdhsa_fp16_overflow 0
		.amdhsa_tg_split 0
		.amdhsa_exception_fp_ieee_invalid_op 0
		.amdhsa_exception_fp_denorm_src 0
		.amdhsa_exception_fp_ieee_div_zero 0
		.amdhsa_exception_fp_ieee_overflow 0
		.amdhsa_exception_fp_ieee_underflow 0
		.amdhsa_exception_fp_ieee_inexact 0
		.amdhsa_exception_int_div_zero 0
	.end_amdhsa_kernel
	.section	.text._Z38paged_attention_ll4mi_QKV_mfma4_kernelI14__hip_bfloat16hLN4vllm18Fp8KVCacheDataTypeE1EhLi32ELi128ELi256ELb1ELi4EEvPKT_PKT0_S8_ifPKiSA_SA_iPKfiiiPfSD_PS3_PT2_iSC_SC_,"axG",@progbits,_Z38paged_attention_ll4mi_QKV_mfma4_kernelI14__hip_bfloat16hLN4vllm18Fp8KVCacheDataTypeE1EhLi32ELi128ELi256ELb1ELi4EEvPKT_PKT0_S8_ifPKiSA_SA_iPKfiiiPfSD_PS3_PT2_iSC_SC_,comdat
.Lfunc_end1331:
	.size	_Z38paged_attention_ll4mi_QKV_mfma4_kernelI14__hip_bfloat16hLN4vllm18Fp8KVCacheDataTypeE1EhLi32ELi128ELi256ELb1ELi4EEvPKT_PKT0_S8_ifPKiSA_SA_iPKfiiiPfSD_PS3_PT2_iSC_SC_, .Lfunc_end1331-_Z38paged_attention_ll4mi_QKV_mfma4_kernelI14__hip_bfloat16hLN4vllm18Fp8KVCacheDataTypeE1EhLi32ELi128ELi256ELb1ELi4EEvPKT_PKT0_S8_ifPKiSA_SA_iPKfiiiPfSD_PS3_PT2_iSC_SC_
                                        ; -- End function
	.section	.AMDGPU.csdata,"",@progbits
; Kernel info:
; codeLenInByte = 5944
; NumSgprs: 51
; NumVgprs: 88
; NumAgprs: 4
; TotalNumVgprs: 92
; ScratchSize: 0
; MemoryBound: 0
; FloatMode: 240
; IeeeMode: 1
; LDSByteSize: 5280 bytes/workgroup (compile time only)
; SGPRBlocks: 6
; VGPRBlocks: 11
; NumSGPRsForWavesPerEU: 51
; NumVGPRsForWavesPerEU: 92
; AccumOffset: 88
; Occupancy: 5
; WaveLimiterHint : 1
; COMPUTE_PGM_RSRC2:SCRATCH_EN: 0
; COMPUTE_PGM_RSRC2:USER_SGPR: 2
; COMPUTE_PGM_RSRC2:TRAP_HANDLER: 0
; COMPUTE_PGM_RSRC2:TGID_X_EN: 1
; COMPUTE_PGM_RSRC2:TGID_Y_EN: 1
; COMPUTE_PGM_RSRC2:TGID_Z_EN: 1
; COMPUTE_PGM_RSRC2:TIDIG_COMP_CNT: 0
; COMPUTE_PGM_RSRC3_GFX90A:ACCUM_OFFSET: 21
; COMPUTE_PGM_RSRC3_GFX90A:TG_SPLIT: 0
	.section	.text._Z39paged_attention_ll4mi_QKV_mfma16_kernelI14__hip_bfloat16hLN4vllm18Fp8KVCacheDataTypeE1EhLi32ELi128ELi256ELb1ELi5EEvPKT_PKT0_S8_ifPKiSA_SA_iPKfiiiPfSD_PS3_PT2_iSC_SC_,"axG",@progbits,_Z39paged_attention_ll4mi_QKV_mfma16_kernelI14__hip_bfloat16hLN4vllm18Fp8KVCacheDataTypeE1EhLi32ELi128ELi256ELb1ELi5EEvPKT_PKT0_S8_ifPKiSA_SA_iPKfiiiPfSD_PS3_PT2_iSC_SC_,comdat
	.protected	_Z39paged_attention_ll4mi_QKV_mfma16_kernelI14__hip_bfloat16hLN4vllm18Fp8KVCacheDataTypeE1EhLi32ELi128ELi256ELb1ELi5EEvPKT_PKT0_S8_ifPKiSA_SA_iPKfiiiPfSD_PS3_PT2_iSC_SC_ ; -- Begin function _Z39paged_attention_ll4mi_QKV_mfma16_kernelI14__hip_bfloat16hLN4vllm18Fp8KVCacheDataTypeE1EhLi32ELi128ELi256ELb1ELi5EEvPKT_PKT0_S8_ifPKiSA_SA_iPKfiiiPfSD_PS3_PT2_iSC_SC_
	.globl	_Z39paged_attention_ll4mi_QKV_mfma16_kernelI14__hip_bfloat16hLN4vllm18Fp8KVCacheDataTypeE1EhLi32ELi128ELi256ELb1ELi5EEvPKT_PKT0_S8_ifPKiSA_SA_iPKfiiiPfSD_PS3_PT2_iSC_SC_
	.p2align	8
	.type	_Z39paged_attention_ll4mi_QKV_mfma16_kernelI14__hip_bfloat16hLN4vllm18Fp8KVCacheDataTypeE1EhLi32ELi128ELi256ELb1ELi5EEvPKT_PKT0_S8_ifPKiSA_SA_iPKfiiiPfSD_PS3_PT2_iSC_SC_,@function
_Z39paged_attention_ll4mi_QKV_mfma16_kernelI14__hip_bfloat16hLN4vllm18Fp8KVCacheDataTypeE1EhLi32ELi128ELi256ELb1ELi5EEvPKT_PKT0_S8_ifPKiSA_SA_iPKfiiiPfSD_PS3_PT2_iSC_SC_: ; @_Z39paged_attention_ll4mi_QKV_mfma16_kernelI14__hip_bfloat16hLN4vllm18Fp8KVCacheDataTypeE1EhLi32ELi128ELi256ELb1ELi5EEvPKT_PKT0_S8_ifPKiSA_SA_iPKfiiiPfSD_PS3_PT2_iSC_SC_
; %bb.0:
	s_load_dwordx2 s[10:11], s[0:1], 0x30
	s_mov_b32 s6, s3
	s_mov_b64 s[8:9], 0
	s_waitcnt lgkmcnt(0)
	s_cmp_lg_u64 s[10:11], 0
	s_cselect_b64 s[12:13], -1, 0
	s_and_b64 vcc, exec, s[12:13]
	s_cbranch_vccz .LBB1332_7
; %bb.1:
	s_add_i32 s14, s2, 1
	s_mov_b32 s15, 0
	s_lshl_b64 s[16:17], s[14:15], 2
	s_add_u32 s16, s10, s16
	s_mov_b32 s3, s15
	s_addc_u32 s17, s11, s17
	s_lshl_b64 s[14:15], s[2:3], 2
	s_add_u32 s14, s10, s14
	s_addc_u32 s15, s11, s15
	s_load_dword s5, s[16:17], 0x0
	s_load_dword s7, s[14:15], 0x0
	s_waitcnt lgkmcnt(0)
	s_sub_i32 s5, s5, s7
	s_cmp_eq_u32 s5, 1
	s_cselect_b64 s[14:15], -1, 0
	s_andn2_b64 vcc, exec, s[8:9]
	s_cbranch_vccnz .LBB1332_3
.LBB1332_2:
	s_mov_b32 s3, 0
	s_mov_b64 s[14:15], -1
.LBB1332_3:
	s_andn2_b64 vcc, exec, s[14:15]
	s_cbranch_vccnz .LBB1332_20
; %bb.4:
	s_load_dwordx2 s[8:9], s[0:1], 0x28
	s_lshl_b64 s[14:15], s[2:3], 2
	s_waitcnt lgkmcnt(0)
	s_add_u32 s8, s8, s14
	s_addc_u32 s9, s9, s15
	s_load_dword s7, s[8:9], 0x0
	s_lshl_b32 s18, s6, 8
	s_waitcnt lgkmcnt(0)
	s_cmp_ge_i32 s18, s7
	s_cbranch_scc1 .LBB1332_20
; %bb.5:
	s_load_dwordx2 s[8:9], s[0:1], 0x20
	s_load_dword s5, s[0:1], 0x38
	s_add_i32 s16, s7, 31
	s_ashr_i32 s17, s16, 31
	v_and_b32_e32 v1, 0xcf, v0
	s_lshr_b32 s17, s17, 27
	v_add_u32_e32 v1, s18, v1
	s_add_i32 s16, s16, s17
	v_ashrrev_i32_e32 v2, 31, v1
	s_ashr_i32 s19, s16, 5
	v_lshrrev_b32_e32 v4, 27, v2
	s_add_i32 s19, s19, -1
	s_waitcnt lgkmcnt(0)
	s_mul_i32 s16, s2, s5
	s_mov_b32 s17, 0
	v_add_u32_e32 v2, v1, v4
	s_lshl_b64 s[16:17], s[16:17], 2
	v_ashrrev_i32_e32 v2, 5, v2
	v_mov_b32_e32 v5, s19
	v_cmp_gt_i32_e32 vcc, s7, v1
	s_add_u32 s8, s8, s16
	s_addc_u32 s9, s9, s17
	v_cndmask_b32_e32 v2, v5, v2, vcc
	v_ashrrev_i32_e32 v3, 31, v2
	v_lshl_add_u64 v[6:7], v[2:3], 2, s[8:9]
	v_or_b32_e32 v2, 16, v1
	v_add_u32_e32 v3, v2, v4
	v_ashrrev_i32_e32 v3, 5, v3
	v_cmp_gt_i32_e32 vcc, s7, v2
	s_load_dwordx2 s[16:17], s[0:1], 0x8
	s_nop 0
	v_cndmask_b32_e32 v2, v5, v3, vcc
	v_ashrrev_i32_e32 v3, 31, v2
	v_lshl_add_u64 v[8:9], v[2:3], 2, s[8:9]
	v_or_b32_e32 v2, 32, v1
	v_add_u32_e32 v3, v2, v4
	v_ashrrev_i32_e32 v3, 5, v3
	v_cmp_gt_i32_e32 vcc, s7, v2
	v_or_b32_e32 v1, 48, v1
	s_nop 0
	v_cndmask_b32_e32 v2, v5, v3, vcc
	v_ashrrev_i32_e32 v3, 31, v2
	v_lshl_add_u64 v[12:13], v[2:3], 2, s[8:9]
	v_add_u32_e32 v2, v1, v4
	v_ashrrev_i32_e32 v2, 5, v2
	v_cmp_gt_i32_e32 vcc, s7, v1
	s_nop 1
	v_cndmask_b32_e32 v2, v5, v2, vcc
	v_ashrrev_i32_e32 v3, 31, v2
	v_lshl_add_u64 v[14:15], v[2:3], 2, s[8:9]
	global_load_dword v4, v[6:7], off
	global_load_dword v3, v[8:9], off
	;; [unrolled: 1-line block ×4, first 2 shown]
	s_andn2_b64 vcc, exec, s[12:13]
	s_cbranch_vccnz .LBB1332_8
; %bb.6:
	s_add_u32 s10, s10, s14
	s_addc_u32 s11, s11, s15
	s_load_dword s5, s[10:11], 0x0
	s_branch .LBB1332_9
.LBB1332_7:
	s_mov_b64 s[14:15], 0
	s_branch .LBB1332_2
.LBB1332_8:
	s_mov_b32 s5, s2
.LBB1332_9:
	s_load_dwordx2 s[10:11], s[0:1], 0x10
	s_load_dwordx4 s[44:47], s[0:1], 0x48
	v_lshrrev_b32_e32 v57, 6, v0
	v_bfe_u32 v62, v0, 4, 2
	v_and_b32_e32 v56, 15, v0
	v_lshl_or_b32 v5, v57, 2, v62
	v_lshlrev_b32_e32 v1, 3, v56
	s_mul_i32 s48, s4, 5
	v_cmp_gt_u32_e32 vcc, 5, v5
	v_lshlrev_b32_e32 v54, 1, v1
	v_lshlrev_b32_e32 v1, 4, v0
	s_and_saveexec_b64 s[12:13], vcc
	s_cbranch_execz .LBB1332_11
; %bb.10:
	s_load_dwordx2 s[14:15], s[0:1], 0x0
	s_waitcnt lgkmcnt(0)
	s_ashr_i32 s20, s44, 31
	s_mul_hi_u32 s21, s5, s44
	s_mul_i32 s20, s5, s20
	s_add_i32 s21, s21, s20
	s_mul_i32 s20, s5, s44
	s_lshl_b64 s[20:21], s[20:21], 1
	s_add_u32 s14, s14, s20
	v_add_lshl_u32 v6, v5, s48, 7
	s_addc_u32 s15, s15, s21
	v_ashrrev_i32_e32 v7, 31, v6
	v_lshl_add_u64 v[6:7], v[6:7], 1, s[14:15]
	v_mov_b32_e32 v55, 0
	v_lshl_add_u64 v[6:7], v[6:7], 0, v[54:55]
	global_load_dwordx4 v[6:9], v[6:7], off
	v_lshlrev_b32_e32 v12, 8, v0
	v_lshlrev_b32_e32 v11, 8, v56
	v_and_b32_e32 v12, 0x600, v12
	s_movk_i32 s5, 0x800
	v_and_or_b32 v11, v11, s5, v12
	v_lshlrev_b32_e32 v5, 5, v5
	v_and_b32_e32 v12, 16, v1
	v_or3_b32 v5, v11, v5, v12
	s_waitcnt vmcnt(0)
	ds_write_b128 v5, v[6:9]
.LBB1332_11:
	s_or_b64 exec, exec, s[12:13]
	s_waitcnt lgkmcnt(0)
	s_mul_i32 s12, s4, s46
	s_add_u32 s4, s16, s12
	s_addc_u32 s5, s17, 0
	v_mov_b32_e32 v59, 0
	v_mov_b64_e32 v[12:13], s[4:5]
	v_and_b32_e32 v34, 48, v0
	s_waitcnt vmcnt(3)
	v_mad_i64_i32 v[4:5], s[4:5], v4, s45, v[12:13]
	v_lshlrev_b32_e32 v14, 4, v56
	v_mov_b32_e32 v15, v59
	v_lshlrev_b32_e32 v58, 5, v34
	v_lshl_add_u64 v[4:5], v[4:5], 0, v[14:15]
	v_lshl_add_u64 v[4:5], v[4:5], 0, v[58:59]
	s_barrier
	global_load_dwordx4 v[50:53], v[4:5], off
	global_load_dwordx4 v[46:49], v[4:5], off offset:2048
	s_waitcnt vmcnt(4)
	v_mad_i64_i32 v[4:5], s[4:5], v3, s45, v[12:13]
	v_or_b32_e32 v16, 0x100, v14
	v_mov_b32_e32 v17, v59
	s_waitcnt vmcnt(3)
	v_mad_i64_i32 v[2:3], s[4:5], v2, s45, v[12:13]
	v_lshl_add_u64 v[4:5], v[4:5], 0, v[16:17]
	v_lshl_add_u64 v[2:3], v[2:3], 0, v[14:15]
	s_waitcnt vmcnt(2)
	v_mad_i64_i32 v[10:11], s[4:5], v10, s45, v[12:13]
	v_lshl_add_u64 v[4:5], v[4:5], 0, v[58:59]
	v_lshl_add_u64 v[14:15], v[2:3], 0, v[58:59]
	v_lshl_add_u64 v[10:11], v[10:11], 0, v[16:17]
	global_load_dwordx4 v[36:39], v[4:5], off
	global_load_dwordx4 v[6:9], v[4:5], off offset:2048
	s_nop 0
	global_load_dwordx4 v[2:5], v[14:15], off
	global_load_dwordx4 v[42:45], v[14:15], off offset:2048
	v_lshl_add_u64 v[14:15], v[10:11], 0, v[58:59]
	global_load_dwordx4 v[26:29], v[14:15], off
	global_load_dwordx4 v[10:13], v[14:15], off offset:2048
	v_mul_lo_u16_e32 v14, 52, v56
	v_mov_b32_e32 v15, 5
	v_mul_lo_u16_sdwa v14, v14, v15 dst_sel:DWORD dst_unused:UNUSED_PAD src0_sel:BYTE_1 src1_sel:DWORD
	v_sub_u16_e32 v14, v56, v14
	v_lshlrev_b32_sdwa v14, v15, v14 dst_sel:DWORD dst_unused:UNUSED_PAD src0_sel:DWORD src1_sel:BYTE_0
	v_lshl_add_u32 v14, v62, 9, v14
	ds_read_b128 v[30:33], v14
	ds_read_b128 v[22:25], v14 offset:16
	ds_read_b128 v[18:21], v14 offset:2048
	ds_read_b128 v[14:17], v14 offset:2064
	v_and_b32_e32 v55, 63, v0
	v_cmp_gt_u32_e32 vcc, 5, v56
	v_mov_b32_e32 v63, 0
	s_and_saveexec_b64 s[4:5], vcc
	s_cbranch_execz .LBB1332_13
; %bb.12:
	s_load_dwordx2 s[14:15], s[0:1], 0x40
	v_add_u32_e32 v40, s48, v56
	v_ashrrev_i32_e32 v41, 31, v40
	s_waitcnt lgkmcnt(0)
	v_lshl_add_u64 v[40:41], v[40:41], 2, s[14:15]
	global_load_dword v63, v[40:41], off
.LBB1332_13:
	s_or_b64 exec, exec, s[4:5]
	s_ashr_i32 s4, s18, 31
	v_or_b32_e32 v58, s18, v34
	s_lshr_b32 s4, s4, 27
	v_add_u32_e32 v34, s4, v58
	v_or_b32_e32 v40, 64, v58
	v_ashrrev_i32_e32 v34, 5, v34
	v_mov_b32_e32 v64, s19
	v_cmp_gt_i32_e32 vcc, s7, v58
	v_add_u32_e32 v41, s4, v40
	v_or_b32_e32 v60, 0x80, v58
	v_cndmask_b32_e32 v34, v64, v34, vcc
	v_ashrrev_i32_e32 v41, 5, v41
	v_cmp_gt_i32_e32 vcc, s7, v40
	v_add_u32_e32 v61, s4, v60
	v_or_b32_e32 v58, 0xc0, v58
	v_cndmask_b32_e32 v40, v64, v41, vcc
	v_ashrrev_i32_e32 v61, 5, v61
	v_cmp_gt_i32_e32 vcc, s7, v60
	v_add_u32_e32 v65, s4, v58
	v_ashrrev_i32_e32 v65, 5, v65
	v_cndmask_b32_e32 v60, v64, v61, vcc
	v_cmp_gt_i32_e32 vcc, s7, v58
	s_waitcnt vmcnt(7)
	v_cvt_pk_f32_fp8_sdwa v[66:67], v50 src0_sel:WORD_1
	s_mov_b32 s33, 0x7060302
	v_cndmask_b32_e32 v68, v64, v65, vcc
	v_cvt_pk_f32_fp8_e32 v[64:65], v50
	v_cvt_pk_f32_fp8_e32 v[70:71], v51
	v_cvt_pk_f32_fp8_sdwa v[50:51], v51 src0_sel:WORD_1
	v_cvt_pk_f32_fp8_e32 v[72:73], v52
	v_perm_b32 v64, v65, v64, s33
	v_perm_b32 v65, v67, v66, s33
	;; [unrolled: 1-line block ×3, first 2 shown]
	v_cvt_pk_f32_fp8_sdwa v[74:75], v52 src0_sel:WORD_1
	v_perm_b32 v71, v51, v50, s33
	s_waitcnt lgkmcnt(3)
	v_mfma_f32_16x16x16_bf16 v[64:67], v[64:65], v[30:31], 0
	v_perm_b32 v72, v73, v72, s33
	v_perm_b32 v73, v75, v74, s33
	v_cvt_pk_f32_fp8_e32 v[74:75], v53
	v_cvt_pk_f32_fp8_sdwa v[76:77], v53 src0_sel:WORD_1
	v_mfma_f32_16x16x16_bf16 v[50:53], v[70:71], v[32:33], v[64:67]
	v_ashrrev_i32_e32 v35, 31, v34
	v_lshl_add_u64 v[34:35], v[34:35], 2, s[8:9]
	v_ashrrev_i32_e32 v41, 31, v40
	v_perm_b32 v64, v75, v74, s33
	v_perm_b32 v65, v77, v76, s33
	s_waitcnt lgkmcnt(2)
	v_mfma_f32_16x16x16_bf16 v[50:53], v[72:73], v[22:23], v[50:53]
	s_waitcnt vmcnt(6)
	v_cvt_pk_f32_fp8_e32 v[66:67], v46
	v_ashrrev_i32_e32 v61, 31, v60
	v_ashrrev_i32_e32 v69, 31, v68
	v_lshl_add_u64 v[40:41], v[40:41], 2, s[8:9]
	v_lshl_add_u64 v[60:61], v[60:61], 2, s[8:9]
	;; [unrolled: 1-line block ×3, first 2 shown]
	v_mfma_f32_16x16x16_bf16 v[50:53], v[64:65], v[24:25], v[50:53]
	v_perm_b32 v74, v67, v66, s33
	global_load_dword v68, v[34:35], off
	global_load_dword v66, v[40:41], off
	;; [unrolled: 1-line block ×4, first 2 shown]
	v_cvt_pk_f32_fp8_sdwa v[70:71], v46 src0_sel:WORD_1
	v_cvt_pk_f32_fp8_e32 v[40:41], v48
	s_waitcnt vmcnt(9)
	v_cvt_pk_f32_fp8_e32 v[60:61], v36
	s_add_u32 s4, s10, s12
	v_perm_b32 v75, v71, v70, s33
	v_cvt_pk_f32_fp8_e32 v[70:71], v47
	v_cvt_pk_f32_fp8_sdwa v[46:47], v47 src0_sel:WORD_1
	s_waitcnt lgkmcnt(1)
	v_mfma_f32_16x16x16_bf16 v[50:53], v[74:75], v[18:19], v[50:53]
	v_perm_b32 v34, v71, v70, s33
	v_perm_b32 v35, v47, v46, s33
	v_cvt_pk_f32_fp8_sdwa v[46:47], v48 src0_sel:WORD_1
	v_perm_b32 v40, v41, v40, s33
	v_mfma_f32_16x16x16_bf16 v[50:53], v[34:35], v[20:21], v[50:53]
	v_perm_b32 v41, v47, v46, s33
	v_cvt_pk_f32_fp8_e32 v[34:35], v49
	v_cvt_pk_f32_fp8_sdwa v[46:47], v49 src0_sel:WORD_1
	v_cvt_pk_f32_fp8_sdwa v[70:71], v36 src0_sel:WORD_1
	s_addc_u32 s5, s11, 0
	v_perm_b32 v34, v35, v34, s33
	v_perm_b32 v35, v47, v46, s33
	s_waitcnt lgkmcnt(0)
	v_mfma_f32_16x16x16_bf16 v[46:49], v[40:41], v[14:15], v[50:53]
	v_perm_b32 v40, v61, v60, s33
	v_perm_b32 v41, v71, v70, s33
	s_waitcnt vmcnt(8)
	v_cvt_pk_f32_fp8_sdwa v[60:61], v6 src0_sel:WORD_1
	v_cvt_pk_f32_fp8_e32 v[50:51], v37
	v_cvt_pk_f32_fp8_sdwa v[52:53], v37 src0_sel:WORD_1
	v_mfma_f32_16x16x16_bf16 v[34:37], v[34:35], v[16:17], v[46:49]
	v_and_b32_e32 v58, 16, v0
	v_perm_b32 v50, v51, v50, s33
	v_perm_b32 v51, v53, v52, s33
	v_mfma_f32_16x16x16_bf16 v[46:49], v[40:41], v[30:31], 0
	v_cvt_pk_f32_fp8_e32 v[40:41], v38
	v_cvt_pk_f32_fp8_sdwa v[52:53], v38 src0_sel:WORD_1
	v_lshl_or_b32 v64, v57, 4, v56
	v_mfma_f32_16x16x16_bf16 v[46:49], v[50:51], v[32:33], v[46:49]
	v_cvt_pk_f32_fp8_e32 v[50:51], v39
	v_perm_b32 v40, v41, v40, s33
	v_perm_b32 v41, v53, v52, s33
	v_cvt_pk_f32_fp8_sdwa v[38:39], v39 src0_sel:WORD_1
	v_perm_b32 v50, v51, v50, s33
	v_cvt_pk_f32_fp8_e32 v[52:53], v6
	s_waitcnt vmcnt(6)
	v_cvt_pk_f32_fp8_e32 v[74:75], v43
	v_perm_b32 v51, v39, v38, s33
	v_mfma_f32_16x16x16_bf16 v[38:41], v[40:41], v[22:23], v[46:49]
	s_nop 2
	v_perm_b32 v48, v53, v52, s33
	v_perm_b32 v49, v61, v60, s33
	v_cvt_pk_f32_fp8_e32 v[52:53], v7
	v_cvt_pk_f32_fp8_sdwa v[6:7], v7 src0_sel:WORD_1
	v_mfma_f32_16x16x16_bf16 v[38:41], v[50:51], v[24:25], v[38:41]
	v_lshl_add_u64 v[46:47], s[4:5], 0, v[58:59]
	v_perm_b32 v50, v53, v52, s33
	v_perm_b32 v51, v7, v6, s33
	v_mfma_f32_16x16x16_bf16 v[38:41], v[48:49], v[18:19], v[38:41]
	v_cvt_pk_f32_fp8_e32 v[6:7], v8
	v_cvt_pk_f32_fp8_sdwa v[48:49], v8 src0_sel:WORD_1
	v_cvt_pk_f32_fp8_sdwa v[52:53], v2 src0_sel:WORD_1
	v_mfma_f32_16x16x16_bf16 v[38:41], v[50:51], v[20:21], v[38:41]
	v_cvt_pk_f32_fp8_e32 v[50:51], v9
	v_perm_b32 v6, v7, v6, s33
	v_perm_b32 v7, v49, v48, s33
	v_cvt_pk_f32_fp8_sdwa v[8:9], v9 src0_sel:WORD_1
	v_perm_b32 v48, v51, v50, s33
	v_cvt_pk_f32_fp8_e32 v[50:51], v2
	v_lshlrev_b32_e32 v58, 5, v64
	v_perm_b32 v49, v9, v8, s33
	v_mfma_f32_16x16x16_bf16 v[6:9], v[6:7], v[14:15], v[38:41]
	v_perm_b32 v50, v51, v50, s33
	v_perm_b32 v51, v53, v52, s33
	v_cvt_pk_f32_fp8_e32 v[52:53], v3
	v_cvt_pk_f32_fp8_sdwa v[2:3], v3 src0_sel:WORD_1
	v_mfma_f32_16x16x16_bf16 v[38:41], v[48:49], v[16:17], v[6:9]
	v_lshl_add_u64 v[48:49], v[46:47], 0, v[58:59]
	v_perm_b32 v52, v53, v52, s33
	v_perm_b32 v53, v3, v2, s33
	v_mfma_f32_16x16x16_bf16 v[6:9], v[50:51], v[30:31], 0
	v_cvt_pk_f32_fp8_e32 v[2:3], v4
	v_cvt_pk_f32_fp8_sdwa v[50:51], v4 src0_sel:WORD_1
	s_waitcnt vmcnt(3)
	v_mad_i64_i32 v[60:61], s[4:5], v68, s45, v[48:49]
	v_perm_b32 v2, v3, v2, s33
	v_perm_b32 v3, v51, v50, s33
	v_mfma_f32_16x16x16_bf16 v[6:9], v[52:53], v[32:33], v[6:9]
	v_cvt_pk_f32_fp8_e32 v[50:51], v5
	v_cvt_pk_f32_fp8_sdwa v[4:5], v5 src0_sel:WORD_1
	s_waitcnt vmcnt(2)
	v_mad_i64_i32 v[70:71], s[4:5], v66, s45, v[48:49]
	v_perm_b32 v50, v51, v50, s33
	v_perm_b32 v51, v5, v4, s33
	v_mfma_f32_16x16x16_bf16 v[2:5], v[2:3], v[22:23], v[6:9]
	v_or_b32_e32 v58, 0x800, v58
	s_nop 1
	v_cvt_pk_f32_fp8_e32 v[6:7], v42
	v_cvt_pk_f32_fp8_sdwa v[8:9], v42 src0_sel:WORD_1
	v_cvt_pk_f32_fp8_sdwa v[42:43], v43 src0_sel:WORD_1
	v_mfma_f32_16x16x16_bf16 v[50:53], v[50:51], v[24:25], v[2:5]
	v_perm_b32 v72, v7, v6, s33
	v_perm_b32 v73, v9, v8, s33
	global_load_dwordx4 v[6:9], v[60:61], off
	global_load_dwordx4 v[2:5], v[70:71], off
	v_perm_b32 v60, v75, v74, s33
	v_perm_b32 v61, v43, v42, s33
	v_mfma_f32_16x16x16_bf16 v[70:73], v[72:73], v[18:19], v[50:53]
	v_cvt_pk_f32_fp8_e32 v[42:43], v44
	v_perm_b32 v42, v43, v42, s33
	s_nop 0
	v_cvt_pk_f32_fp8_sdwa v[52:53], v44 src0_sel:WORD_1
	v_mfma_f32_16x16x16_bf16 v[70:73], v[60:61], v[20:21], v[70:73]
	v_cvt_pk_f32_fp8_e32 v[60:61], v45
	s_waitcnt vmcnt(3)
	v_mad_i64_i32 v[50:51], s[4:5], v67, s45, v[48:49]
	s_load_dword s4, s[0:1], 0x1c
	s_load_dwordx4 s[40:43], s[0:1], 0x80
	v_perm_b32 v43, v53, v52, s33
	v_perm_b32 v74, v61, v60, s33
	v_cvt_pk_f32_fp8_e32 v[52:53], v26
	v_cvt_pk_f32_fp8_sdwa v[60:61], v26 src0_sel:WORD_1
	s_load_dword s44, s[0:1], 0x98
	s_waitcnt lgkmcnt(0)
	s_load_dword s5, s[40:41], 0x0
	v_cvt_pk_f32_fp8_sdwa v[44:45], v45 src0_sel:WORD_1
	v_perm_b32 v52, v53, v52, s33
	v_perm_b32 v53, v61, v60, s33
	v_cvt_pk_f32_fp8_e32 v[60:61], v27
	v_cvt_pk_f32_fp8_sdwa v[26:27], v27 src0_sel:WORD_1
	v_perm_b32 v75, v45, v44, s33
	v_mfma_f32_16x16x16_bf16 v[42:45], v[42:43], v[14:15], v[70:73]
	v_perm_b32 v60, v61, v60, s33
	v_perm_b32 v61, v27, v26, s33
	v_mov_b32_e32 v26, s4
	v_mfma_f32_16x16x16_bf16 v[70:73], v[52:53], v[30:31], 0
	s_waitcnt lgkmcnt(0)
	v_mul_f32_e32 v52, s5, v26
	v_cvt_pk_f32_fp8_e32 v[26:27], v28
	v_cvt_pk_f32_fp8_sdwa v[30:31], v28 src0_sel:WORD_1
	v_mfma_f32_16x16x16_bf16 v[70:73], v[60:61], v[32:33], v[70:73]
	v_cvt_pk_f32_fp8_e32 v[32:33], v29
	v_cvt_pk_f32_fp8_sdwa v[28:29], v29 src0_sel:WORD_1
	v_perm_b32 v26, v27, v26, s33
	v_perm_b32 v27, v31, v30, s33
	v_mfma_f32_16x16x16_bf16 v[42:45], v[74:75], v[16:17], v[42:45]
	v_perm_b32 v32, v33, v32, s33
	v_perm_b32 v33, v29, v28, s33
	v_cvt_pk_f32_fp8_e32 v[60:61], v10
	v_cvt_pk_f32_fp8_sdwa v[74:75], v10 src0_sel:WORD_1
	v_mfma_f32_16x16x16_bf16 v[26:29], v[26:27], v[22:23], v[70:73]
	v_pk_mul_f32 v[30:31], v[52:53], v[36:37] op_sel_hi:[0,1]
	v_perm_b32 v36, v61, v60, s33
	v_perm_b32 v37, v75, v74, s33
	v_cvt_pk_f32_fp8_e32 v[60:61], v11
	v_cvt_pk_f32_fp8_sdwa v[70:71], v11 src0_sel:WORD_1
	v_mfma_f32_16x16x16_bf16 v[22:25], v[32:33], v[24:25], v[26:29]
	v_pk_mul_f32 v[10:11], v[52:53], v[34:35] op_sel_hi:[0,1]
	v_perm_b32 v60, v61, v60, s33
	v_perm_b32 v61, v71, v70, s33
	v_mfma_f32_16x16x16_bf16 v[32:35], v[36:37], v[18:19], v[22:25]
	v_cvt_pk_f32_fp8_e32 v[18:19], v12
	v_cvt_pk_f32_fp8_sdwa v[36:37], v12 src0_sel:WORD_1
	s_waitcnt vmcnt(2)
	v_mad_i64_i32 v[48:49], s[8:9], v65, s45, v[48:49]
	global_load_dwordx4 v[26:29], v[50:51], off
	global_load_dwordx4 v[22:25], v[48:49], off
	v_perm_b32 v48, v19, v18, s33
	v_perm_b32 v49, v37, v36, s33
	v_cvt_pk_f32_fp8_e32 v[36:37], v13
	v_cvt_pk_f32_fp8_sdwa v[12:13], v13 src0_sel:WORD_1
	v_mfma_f32_16x16x16_bf16 v[18:21], v[60:61], v[20:21], v[32:35]
	v_pk_mul_f32 v[40:41], v[52:53], v[40:41] op_sel_hi:[0,1]
	v_pk_mul_f32 v[42:43], v[52:53], v[42:43] op_sel_hi:[0,1]
	s_mov_b32 s40, 0xff7fffff
	v_perm_b32 v32, v37, v36, s33
	v_perm_b32 v33, v13, v12, s33
	v_mfma_f32_16x16x16_bf16 v[12:15], v[48:49], v[14:15], v[18:21]
	v_pk_mul_f32 v[48:49], v[52:53], v[38:39] op_sel_hi:[0,1]
	v_pk_mul_f32 v[38:39], v[52:53], v[44:45] op_sel_hi:[0,1]
	v_mfma_f32_16x16x16_bf16 v[12:15], v[32:33], v[16:17], v[12:15]
	s_nop 6
	v_pk_mul_f32 v[36:37], v[52:53], v[12:13] op_sel_hi:[0,1]
	v_and_b32_e32 v12, 0xc0, v0
	v_add_u32_e32 v12, s18, v12
	v_lshl_or_b32 v12, v62, 2, v12
	v_or_b32_e32 v13, 1, v12
	v_pk_mul_f32 v[34:35], v[52:53], v[14:15] op_sel_hi:[0,1]
	v_subrev_u32_e32 v14, s7, v13
	v_add_u32_e32 v16, 1, v14
	v_add_u32_e32 v17, 2, v14
	v_cvt_f32_i32_e32 v15, v14
	v_cvt_f32_i32_e32 v16, v16
	;; [unrolled: 1-line block ×3, first 2 shown]
	v_add_u32_e32 v18, 3, v14
	v_fma_f32 v10, v63, v15, v10
	v_fmac_f32_e32 v11, v63, v16
	v_fma_f32 v51, v63, v17, v30
	v_add_u32_e32 v15, 16, v14
	v_add_u32_e32 v16, 17, v14
	;; [unrolled: 1-line block ×3, first 2 shown]
	v_cvt_f32_i32_e32 v18, v18
	v_cvt_f32_i32_e32 v15, v15
	;; [unrolled: 1-line block ×4, first 2 shown]
	v_fmac_f32_e32 v31, v63, v18
	v_add_u32_e32 v18, 19, v14
	v_fma_f32 v48, v63, v15, v48
	v_fmac_f32_e32 v49, v63, v16
	v_fma_f32 v40, v63, v17, v40
	v_add_u32_e32 v15, 32, v14
	v_add_u32_e32 v16, 33, v14
	;; [unrolled: 1-line block ×3, first 2 shown]
	v_cvt_f32_i32_e32 v18, v18
	v_cvt_f32_i32_e32 v15, v15
	;; [unrolled: 1-line block ×4, first 2 shown]
	v_fmac_f32_e32 v41, v63, v18
	v_add_u32_e32 v18, 35, v14
	v_fma_f32 v42, v63, v15, v42
	v_fmac_f32_e32 v43, v63, v16
	v_fma_f32 v38, v63, v17, v38
	v_add_u32_e32 v15, 48, v14
	v_add_u32_e32 v16, 49, v14
	;; [unrolled: 1-line block ×4, first 2 shown]
	v_cvt_f32_i32_e32 v14, v14
	v_cvt_f32_i32_e32 v15, v15
	;; [unrolled: 1-line block ×3, first 2 shown]
	v_cmp_gt_i32_e64 s[8:9], s7, v12
	v_fmac_f32_e32 v35, v63, v14
	v_mov_b32_e32 v14, 0xff7fffff
	v_cmp_gt_i32_e64 s[10:11], s7, v13
	v_fma_f32 v36, v63, v15, v36
	v_cndmask_b32_e64 v15, v14, v10, s[8:9]
	v_cndmask_b32_e64 v13, v14, v11, s[10:11]
	v_fmac_f32_e32 v37, v63, v16
	v_max3_f32 v13, v15, s40, v13
	v_or_b32_e32 v15, 2, v12
	v_or_b32_e32 v16, 3, v12
	v_cmp_gt_i32_e64 s[12:13], s7, v15
	v_cmp_gt_i32_e64 s[14:15], s7, v16
	v_cvt_f32_i32_e32 v18, v18
	v_cndmask_b32_e64 v15, v14, v51, s[12:13]
	v_cndmask_b32_e64 v16, v14, v31, s[14:15]
	v_max3_f32 v13, v13, v15, v16
	v_or_b32_e32 v15, 16, v12
	v_or_b32_e32 v16, 17, v12
	v_cmp_gt_i32_e64 s[16:17], s7, v15
	v_cmp_gt_i32_e64 s[18:19], s7, v16
	v_fmac_f32_e32 v39, v63, v18
	v_cndmask_b32_e64 v15, v14, v48, s[16:17]
	v_cndmask_b32_e64 v16, v14, v49, s[18:19]
	v_max3_f32 v13, v13, v15, v16
	v_or_b32_e32 v15, 18, v12
	v_or_b32_e32 v16, 19, v12
	v_cmp_gt_i32_e64 s[20:21], s7, v15
	v_cmp_gt_i32_e64 s[22:23], s7, v16
	v_cvt_f32_i32_e32 v17, v17
	v_cndmask_b32_e64 v15, v14, v40, s[20:21]
	v_cndmask_b32_e64 v16, v14, v41, s[22:23]
	v_max3_f32 v13, v13, v15, v16
	v_or_b32_e32 v15, 32, v12
	v_or_b32_e32 v16, 33, v12
	v_cmp_gt_i32_e64 s[24:25], s7, v15
	v_cmp_gt_i32_e64 s[26:27], s7, v16
	v_fma_f32 v34, v63, v17, v34
	v_cndmask_b32_e64 v15, v14, v42, s[24:25]
	v_cndmask_b32_e64 v16, v14, v43, s[26:27]
	v_max3_f32 v13, v13, v15, v16
	v_or_b32_e32 v15, 34, v12
	v_or_b32_e32 v16, 35, v12
	v_cmp_gt_i32_e64 s[28:29], s7, v15
	v_cmp_gt_i32_e64 s[30:31], s7, v16
	s_nop 0
	v_cndmask_b32_e64 v15, v14, v38, s[28:29]
	v_cndmask_b32_e64 v16, v14, v39, s[30:31]
	v_max3_f32 v13, v13, v15, v16
	v_or_b32_e32 v15, 48, v12
	v_or_b32_e32 v16, 49, v12
	v_cmp_gt_i32_e64 s[34:35], s7, v15
	v_cmp_gt_i32_e64 s[36:37], s7, v16
	s_nop 0
	v_cndmask_b32_e64 v15, v14, v36, s[34:35]
	v_cndmask_b32_e64 v16, v14, v37, s[36:37]
	v_max3_f32 v13, v13, v15, v16
	v_or_b32_e32 v15, 50, v12
	v_or_b32_e32 v12, 51, v12
	v_cmp_gt_i32_e32 vcc, s7, v15
	v_cmp_gt_i32_e64 s[4:5], s7, v12
	s_nop 0
	v_cndmask_b32_e32 v15, v14, v34, vcc
	v_cndmask_b32_e64 v12, v14, v35, s[4:5]
	v_max3_f32 v16, v13, v15, v12
	v_mbcnt_lo_u32_b32 v12, -1, 0
	v_mbcnt_hi_u32_b32 v17, -1, v12
	v_and_b32_e32 v12, 64, v17
	v_add_u32_e32 v18, 64, v12
	v_xor_b32_e32 v12, 32, v17
	v_cmp_lt_i32_e64 s[38:39], v12, v18
	s_nop 1
	v_cndmask_b32_e64 v12, v17, v12, s[38:39]
	v_lshlrev_b32_e32 v52, 2, v12
	ds_bpermute_b32 v19, v52, v16
	v_lshl_add_u64 v[12:13], v[46:47], 0, v[58:59]
	v_mad_i64_i32 v[14:15], s[38:39], v68, s45, v[12:13]
	s_waitcnt lgkmcnt(0)
	v_max_f32_e32 v19, v19, v19
	v_max_f32_e32 v19, v16, v19
	v_xor_b32_e32 v16, 16, v17
	v_cmp_lt_i32_e64 s[38:39], v16, v18
	s_nop 1
	v_cndmask_b32_e64 v16, v17, v16, s[38:39]
	v_lshlrev_b32_e32 v53, 2, v16
	ds_bpermute_b32 v18, v53, v19
	v_mad_i64_i32 v[16:17], s[38:39], v66, s45, v[12:13]
	v_mad_i64_i32 v[44:45], s[38:39], v67, s45, v[12:13]
	s_waitcnt lgkmcnt(0)
	v_max_f32_e32 v18, v18, v18
	v_max_f32_e32 v50, v19, v18
	v_sub_f32_e32 v10, v10, v50
	v_mul_f32_e32 v10, 0x3fb8aa3b, v10
	v_exp_f32_e32 v18, v10
	v_sub_f32_e32 v10, v11, v50
	v_mul_f32_e32 v10, 0x3fb8aa3b, v10
	v_exp_f32_e32 v19, v10
	v_mad_i64_i32 v[10:11], s[38:39], v65, s45, v[12:13]
	v_sub_f32_e32 v12, v51, v50
	v_mul_f32_e32 v12, 0x3fb8aa3b, v12
	v_cndmask_b32_e64 v46, 0, v18, s[8:9]
	v_cndmask_b32_e64 v47, 0, v19, s[10:11]
	v_sub_f32_e32 v58, v31, v50
	global_load_dwordx4 v[30:33], v[14:15], off
	global_load_dwordx4 v[18:21], v[16:17], off
	v_exp_f32_e32 v51, v12
	global_load_dwordx4 v[14:17], v[44:45], off
	s_nop 0
	global_load_dwordx4 v[10:13], v[10:11], off
	v_sub_f32_e32 v45, v48, v50
	v_sub_f32_e32 v48, v49, v50
	;; [unrolled: 1-line block ×4, first 2 shown]
	v_mul_f32_e32 v44, 0x3fb8aa3b, v58
	v_mul_f32_e32 v45, 0x3fb8aa3b, v45
	;; [unrolled: 1-line block ×5, first 2 shown]
	v_exp_f32_e32 v44, v44
	v_exp_f32_e32 v45, v45
	;; [unrolled: 1-line block ×3, first 2 shown]
	v_cndmask_b32_e64 v48, 0, v51, s[12:13]
	v_exp_f32_e32 v40, v40
	v_exp_f32_e32 v51, v42
	v_sub_f32_e32 v42, v43, v50
	v_mul_f32_e32 v42, 0x3fb8aa3b, v42
	v_cndmask_b32_e64 v49, 0, v44, s[14:15]
	v_cndmask_b32_e64 v44, 0, v45, s[16:17]
	;; [unrolled: 1-line block ×3, first 2 shown]
	v_sub_f32_e32 v41, v41, v50
	v_exp_f32_e32 v58, v42
	v_cndmask_b32_e64 v42, 0, v40, s[20:21]
	v_cndmask_b32_e64 v40, 0, v51, s[24:25]
	v_add_f32_e32 v51, 0, v46
	v_mul_f32_e32 v41, 0x3fb8aa3b, v41
	v_add_f32_e32 v51, v51, v47
	v_exp_f32_e32 v41, v41
	v_add_f32_e32 v51, v51, v48
	v_sub_f32_e32 v38, v38, v50
	v_add_f32_e32 v51, v51, v49
	v_sub_f32_e32 v39, v39, v50
	v_mul_f32_e32 v38, 0x3fb8aa3b, v38
	v_add_f32_e32 v51, v51, v44
	v_exp_f32_e32 v38, v38
	v_mul_f32_e32 v39, 0x3fb8aa3b, v39
	v_sub_f32_e32 v36, v36, v50
	v_add_f32_e32 v51, v51, v45
	v_cndmask_b32_e64 v43, 0, v41, s[22:23]
	v_exp_f32_e32 v39, v39
	v_mul_f32_e32 v36, 0x3fb8aa3b, v36
	v_sub_f32_e32 v37, v37, v50
	v_add_f32_e32 v51, v51, v42
	v_exp_f32_e32 v36, v36
	v_mul_f32_e32 v37, 0x3fb8aa3b, v37
	v_add_f32_e32 v51, v51, v43
	v_sub_f32_e32 v34, v34, v50
	v_cndmask_b32_e64 v41, 0, v58, s[26:27]
	v_exp_f32_e32 v37, v37
	v_add_f32_e32 v51, v51, v40
	v_mul_f32_e32 v34, 0x3fb8aa3b, v34
	v_sub_f32_e32 v35, v35, v50
	v_cndmask_b32_e64 v38, 0, v38, s[28:29]
	v_add_f32_e32 v51, v51, v41
	v_exp_f32_e32 v34, v34
	v_mul_f32_e32 v35, 0x3fb8aa3b, v35
	v_cndmask_b32_e64 v39, 0, v39, s[30:31]
	v_add_f32_e32 v51, v51, v38
	v_exp_f32_e32 v35, v35
	v_cndmask_b32_e64 v36, 0, v36, s[34:35]
	v_add_f32_e32 v51, v51, v39
	v_cndmask_b32_e64 v37, 0, v37, s[36:37]
	v_add_f32_e32 v51, v51, v36
	v_add_f32_e32 v51, v51, v37
	v_cndmask_b32_e32 v34, 0, v34, vcc
	v_add_f32_e32 v51, v51, v34
	v_cndmask_b32_e64 v35, 0, v35, s[4:5]
	v_add_f32_e32 v51, v51, v35
	ds_bpermute_b32 v52, v52, v51
	v_cmp_gt_u32_e64 s[4:5], 16, v55
	s_waitcnt lgkmcnt(0)
	s_barrier
	v_add_f32_e32 v51, v51, v52
	ds_bpermute_b32 v52, v53, v51
	s_and_saveexec_b64 s[8:9], s[4:5]
	s_cbranch_execz .LBB1332_15
; %bb.14:
	s_waitcnt lgkmcnt(0)
	v_add_f32_e32 v51, v51, v52
	v_lshlrev_b32_e32 v52, 2, v64
	ds_write2st64_b32 v52, v50, v51 offset1:1
.LBB1332_15:
	s_or_b64 exec, exec, s[8:9]
	v_lshlrev_b32_e32 v51, 2, v56
	s_load_dword s7, s[0:1], 0x94
	s_waitcnt lgkmcnt(0)
	s_barrier
	ds_read2_b32 v[52:53], v51 offset1:16
	ds_read2_b32 v[58:59], v51 offset0:32 offset1:48
	ds_read2_b32 v[60:61], v51 offset0:64 offset1:80
	s_movk_i32 s11, 0x7fff
	s_mul_i32 s10, s44, 5
	s_waitcnt lgkmcnt(2)
	v_max3_f32 v50, v52, s40, v53
	s_waitcnt lgkmcnt(1)
	v_max3_f32 v50, v50, v58, v59
	v_sub_f32_e32 v52, v52, v50
	v_mul_f32_e32 v52, 0x3fb8aa3b, v52
	v_exp_f32_e32 v55, v52
	v_sub_f32_e32 v52, v53, v50
	v_mul_f32_e32 v52, 0x3fb8aa3b, v52
	v_exp_f32_e32 v63, v52
	v_sub_f32_e32 v52, v58, v50
	v_mul_f32_e32 v52, 0x3fb8aa3b, v52
	v_exp_f32_e32 v58, v52
	ds_read2_b32 v[52:53], v51 offset0:96 offset1:112
	v_sub_f32_e32 v51, v59, v50
	v_mul_f32_e32 v51, 0x3fb8aa3b, v51
	v_exp_f32_e32 v59, v51
	s_waitcnt lgkmcnt(1)
	v_fma_f32 v51, v55, v60, 0
	v_fmac_f32_e32 v51, v63, v61
	s_waitcnt lgkmcnt(0)
	v_fmac_f32_e32 v51, v58, v52
	v_fmac_f32_e32 v51, v59, v53
	v_add_f32_e32 v52, 0x358637bd, v51
	v_div_scale_f32 v53, s[8:9], v52, v52, 1.0
	v_rcp_f32_e32 v60, v53
	s_barrier
	v_fma_f32 v61, -v53, v60, 1.0
	v_fmac_f32_e32 v60, v61, v60
	v_div_scale_f32 v61, vcc, 1.0, v52, 1.0
	v_mul_f32_e32 v64, v61, v60
	v_fma_f32 v65, -v53, v64, v61
	v_fmac_f32_e32 v64, v65, v60
	v_fma_f32 v53, -v53, v64, v61
	v_div_fmas_f32 v53, v53, v60, v64
	v_cmp_eq_u32_e32 vcc, 1, v57
	v_div_fixup_f32 v52, v53, v52, 1.0
	s_nop 0
	v_cndmask_b32_e32 v53, v55, v63, vcc
	v_cmp_eq_u32_e32 vcc, 2, v57
	s_nop 1
	v_cndmask_b32_e32 v53, v53, v58, vcc
	v_cmp_eq_u32_e32 vcc, 3, v57
	s_nop 1
	v_cndmask_b32_e32 v53, v53, v59, vcc
	v_mul_f32_e32 v52, v53, v52
	v_pk_mul_f32 v[46:47], v[52:53], v[46:47] op_sel_hi:[0,1]
	v_pk_mul_f32 v[48:49], v[52:53], v[48:49] op_sel_hi:[0,1]
	v_bfe_u32 v53, v47, 16, 1
	v_bfe_u32 v55, v46, 16, 1
	v_add3_u32 v46, v46, v55, s11
	v_add3_u32 v47, v47, v53, s11
	v_perm_b32 v58, v47, v46, s33
	v_bfe_u32 v46, v49, 16, 1
	v_bfe_u32 v47, v48, 16, 1
	v_add3_u32 v47, v48, v47, s11
	v_add3_u32 v46, v49, v46, s11
	v_perm_b32 v59, v46, v47, s33
	v_lshlrev_b32_e32 v47, 3, v62
	v_lshlrev_b32_e32 v46, 5, v56
	v_lshlrev_b32_e32 v48, 11, v57
	v_pk_mul_f32 v[44:45], v[52:53], v[44:45] op_sel_hi:[0,1]
	v_or3_b32 v55, v48, v46, v47
	v_bfe_u32 v47, v45, 16, 1
	v_bfe_u32 v48, v44, 16, 1
	v_pk_mul_f32 v[42:43], v[52:53], v[42:43] op_sel_hi:[0,1]
	v_add3_u32 v44, v44, v48, s11
	v_add3_u32 v45, v45, v47, s11
	v_perm_b32 v44, v45, v44, s33
	v_bfe_u32 v45, v43, 16, 1
	v_bfe_u32 v47, v42, 16, 1
	v_add3_u32 v42, v42, v47, s11
	v_add3_u32 v43, v43, v45, s11
	v_pk_mul_f32 v[40:41], v[52:53], v[40:41] op_sel_hi:[0,1]
	v_perm_b32 v45, v43, v42, s33
	v_bfe_u32 v42, v41, 16, 1
	v_bfe_u32 v43, v40, 16, 1
	v_pk_mul_f32 v[38:39], v[52:53], v[38:39] op_sel_hi:[0,1]
	v_add3_u32 v40, v40, v43, s11
	v_add3_u32 v41, v41, v42, s11
	v_perm_b32 v40, v41, v40, s33
	v_bfe_u32 v41, v39, 16, 1
	v_bfe_u32 v42, v38, 16, 1
	v_add3_u32 v38, v38, v42, s11
	v_add3_u32 v39, v39, v41, s11
	v_pk_mul_f32 v[36:37], v[52:53], v[36:37] op_sel_hi:[0,1]
	v_perm_b32 v41, v39, v38, s33
	v_bfe_u32 v38, v37, 16, 1
	v_bfe_u32 v39, v36, 16, 1
	v_pk_mul_f32 v[34:35], v[52:53], v[34:35] op_sel_hi:[0,1]
	v_add3_u32 v36, v36, v39, s11
	v_add3_u32 v37, v37, v38, s11
	v_perm_b32 v36, v37, v36, s33
	v_bfe_u32 v37, v35, 16, 1
	v_bfe_u32 v38, v34, 16, 1
	v_add3_u32 v34, v34, v38, s11
	v_add3_u32 v35, v35, v37, s11
	v_perm_b32 v37, v35, v34, s33
	v_cmp_gt_u32_e32 vcc, 5, v0
	ds_write2st64_b64 v55, v[58:59], v[44:45] offset1:1
	ds_write2st64_b64 v55, v[40:41], v[36:37] offset0:2 offset1:3
	s_and_saveexec_b64 s[8:9], vcc
	s_cbranch_execz .LBB1332_17
; %bb.16:
	s_mov_b32 s49, 0
	v_mov_b32_e32 v57, 0
	v_lshl_add_u64 v[34:35], s[48:49], 0, v[56:57]
	v_mov_b32_e32 v36, s10
	v_mad_u64_u32 v[34:35], s[16:17], s2, v36, v[34:35]
	s_mul_i32 s3, s3, s10
	v_mov_b32_e32 v36, s6
	v_mov_b32_e32 v37, v57
	s_load_dwordx4 s[12:15], s[0:1], 0x58
	v_add_u32_e32 v38, s3, v35
	v_mad_u64_u32 v[34:35], s[16:17], v34, s7, v[36:37]
	v_mov_b32_e32 v36, v35
	v_mad_u64_u32 v[36:37], s[16:17], v38, s7, v[36:37]
	v_mov_b32_e32 v35, v36
	v_lshlrev_b64 v[34:35], 2, v[34:35]
	s_waitcnt lgkmcnt(0)
	v_lshl_add_u64 v[36:37], s[14:15], 0, v[34:35]
	v_lshl_add_u64 v[34:35], s[12:13], 0, v[34:35]
	global_store_dword v[36:37], v50, off
	global_store_dword v[34:35], v51, off
.LBB1332_17:
	s_or_b64 exec, exec, s[8:9]
	s_waitcnt vmcnt(7)
	v_cvt_pk_f32_fp8_e32 v[34:35], v6
	v_cvt_pk_f32_fp8_sdwa v[36:37], v6 src0_sel:WORD_1
	v_lshl_or_b32 v50, v62, 9, v46
	s_mov_b32 s9, 0x7060302
	s_waitcnt lgkmcnt(0)
	s_barrier
	v_cvt_pk_f32_fp8_e32 v[38:39], v7
	v_perm_b32 v6, v35, v34, s9
	v_cvt_pk_f32_fp8_sdwa v[40:41], v7 src0_sel:WORD_1
	v_perm_b32 v7, v37, v36, s9
	ds_read_b128 v[34:37], v50
	v_perm_b32 v46, v39, v38, s9
	v_perm_b32 v47, v41, v40, s9
	ds_read_b128 v[38:41], v50 offset:16
	v_cvt_pk_f32_fp8_e32 v[48:49], v8
	v_cvt_pk_f32_fp8_sdwa v[52:53], v8 src0_sel:WORD_1
	s_waitcnt lgkmcnt(1)
	v_mfma_f32_16x16x16_bf16 v[42:45], v[6:7], v[34:35], 0
	s_waitcnt vmcnt(6)
	v_cvt_pk_f32_fp8_e32 v[58:59], v4
	v_perm_b32 v6, v49, v48, s9
	v_perm_b32 v7, v53, v52, s9
	v_cvt_pk_f32_fp8_e32 v[48:49], v9
	v_mfma_f32_16x16x16_bf16 v[42:45], v[46:47], v[36:37], v[42:45]
	v_cvt_pk_f32_fp8_sdwa v[46:47], v9 src0_sel:WORD_1
	v_cvt_pk_f32_fp8_sdwa v[60:61], v4 src0_sel:WORD_1
	v_perm_b32 v48, v49, v48, s9
	s_waitcnt lgkmcnt(0)
	v_mfma_f32_16x16x16_bf16 v[6:9], v[6:7], v[38:39], v[42:45]
	v_perm_b32 v49, v47, v46, s9
	s_waitcnt vmcnt(5)
	v_cvt_pk_f32_fp8_e32 v[64:65], v28
	v_cvt_pk_f32_fp8_sdwa v[66:67], v28 src0_sel:WORD_1
	v_cvt_pk_f32_fp8_e32 v[42:43], v2
	v_mfma_f32_16x16x16_bf16 v[46:49], v[48:49], v[40:41], v[6:9]
	s_waitcnt vmcnt(4)
	v_cvt_pk_f32_fp8_sdwa v[68:69], v24 src0_sel:WORD_1
	s_load_dword s8, s[42:43], 0x0
	v_cvt_pk_f32_fp8_sdwa v[6:7], v2 src0_sel:WORD_1
	v_cvt_pk_f32_fp8_e32 v[8:9], v3
	v_perm_b32 v2, v43, v42, s9
	v_cvt_pk_f32_fp8_sdwa v[42:43], v3 src0_sel:WORD_1
	v_perm_b32 v3, v7, v6, s9
	v_perm_b32 v52, v9, v8, s9
	ds_read_b128 v[6:9], v50 offset:2048
	v_perm_b32 v53, v43, v42, s9
	ds_read_b128 v[42:45], v50 offset:2064
	s_waitcnt lgkmcnt(0)
	v_mfma_f32_16x16x16_bf16 v[46:49], v[2:3], v[6:7], v[46:49]
	v_perm_b32 v2, v59, v58, s9
	v_perm_b32 v3, v61, v60, s9
	v_cvt_pk_f32_fp8_e32 v[58:59], v5
	v_mfma_f32_16x16x16_bf16 v[46:49], v[52:53], v[8:9], v[46:49]
	v_cvt_pk_f32_fp8_sdwa v[52:53], v5 src0_sel:WORD_1
	s_waitcnt vmcnt(3)
	v_cvt_pk_f32_fp8_sdwa v[70:71], v32 src0_sel:WORD_1
	v_perm_b32 v58, v59, v58, s9
	v_mfma_f32_16x16x16_bf16 v[2:5], v[2:3], v[42:43], v[46:49]
	v_perm_b32 v59, v53, v52, s9
	s_mov_b32 s3, 0
	v_cmp_gt_u32_e32 vcc, 64, v0
	v_cvt_pk_f32_fp8_e32 v[46:47], v26
	v_mfma_f32_16x16x16_bf16 v[58:61], v[58:59], v[44:45], v[2:5]
	s_nop 2
	v_cvt_pk_f32_fp8_sdwa v[2:3], v26 src0_sel:WORD_1
	v_cvt_pk_f32_fp8_e32 v[4:5], v27
	v_perm_b32 v26, v47, v46, s9
	v_cvt_pk_f32_fp8_sdwa v[46:47], v27 src0_sel:WORD_1
	v_perm_b32 v27, v3, v2, s9
	v_perm_b32 v52, v5, v4, s9
	ds_read_b128 v[2:5], v50 offset:4096
	v_perm_b32 v53, v47, v46, s9
	ds_read_b128 v[46:49], v50 offset:4112
	s_waitcnt lgkmcnt(1)
	v_mfma_f32_16x16x16_bf16 v[58:61], v[26:27], v[2:3], v[58:61]
	v_perm_b32 v26, v65, v64, s9
	v_perm_b32 v27, v67, v66, s9
	v_cvt_pk_f32_fp8_e32 v[64:65], v29
	v_mfma_f32_16x16x16_bf16 v[58:61], v[52:53], v[4:5], v[58:61]
	v_cvt_pk_f32_fp8_sdwa v[52:53], v29 src0_sel:WORD_1
	v_cvt_pk_f32_fp8_e32 v[66:67], v24
	v_perm_b32 v64, v65, v64, s9
	s_waitcnt lgkmcnt(0)
	v_mfma_f32_16x16x16_bf16 v[26:29], v[26:27], v[46:47], v[58:61]
	v_perm_b32 v65, v53, v52, s9
	v_cvt_pk_f32_fp8_e32 v[52:53], v22
	s_nop 0
	v_mfma_f32_16x16x16_bf16 v[58:61], v[64:65], v[48:49], v[26:29]
	s_nop 2
	v_cvt_pk_f32_fp8_sdwa v[26:27], v22 src0_sel:WORD_1
	v_cvt_pk_f32_fp8_e32 v[28:29], v23
	v_perm_b32 v22, v53, v52, s9
	v_cvt_pk_f32_fp8_sdwa v[52:53], v23 src0_sel:WORD_1
	v_perm_b32 v23, v27, v26, s9
	v_perm_b32 v64, v29, v28, s9
	ds_read_b128 v[26:29], v50 offset:6144
	v_perm_b32 v65, v53, v52, s9
	s_waitcnt lgkmcnt(0)
	v_mfma_f32_16x16x16_bf16 v[58:61], v[22:23], v[26:27], v[58:61]
	ds_read_b128 v[50:53], v50 offset:6160
	v_perm_b32 v22, v67, v66, s9
	v_perm_b32 v23, v69, v68, s9
	v_cvt_pk_f32_fp8_e32 v[66:67], v25
	v_mfma_f32_16x16x16_bf16 v[58:61], v[64:65], v[28:29], v[58:61]
	v_cvt_pk_f32_fp8_sdwa v[64:65], v25 src0_sel:WORD_1
	v_cvt_pk_f32_fp8_e32 v[68:69], v32
	v_perm_b32 v66, v67, v66, s9
	s_waitcnt lgkmcnt(0)
	v_mfma_f32_16x16x16_bf16 v[22:25], v[22:23], v[50:51], v[58:61]
	v_perm_b32 v67, v65, v64, s9
	s_barrier
	s_nop 0
	v_mfma_f32_16x16x16_bf16 v[58:61], v[66:67], v[52:53], v[22:25]
	s_nop 2
	v_cvt_pk_f32_fp8_e32 v[24:25], v30
	v_perm_b32 v24, v25, v24, s9
	s_nop 1
	v_pk_mul_f32 v[22:23], v[60:61], s[8:9] op_sel_hi:[1,0]
	v_cvt_pk_f32_fp8_sdwa v[60:61], v30 src0_sel:WORD_1
	v_pk_mul_f32 v[64:65], v[58:59], s[8:9] op_sel_hi:[1,0]
	v_cvt_pk_f32_fp8_e32 v[58:59], v31
	v_cvt_pk_f32_fp8_sdwa v[30:31], v31 src0_sel:WORD_1
	v_perm_b32 v25, v61, v60, s9
	v_bfe_u32 v57, v65, 16, 1
	v_perm_b32 v66, v59, v58, s9
	v_perm_b32 v67, v31, v30, s9
	v_mfma_f32_16x16x16_bf16 v[58:61], v[24:25], v[34:35], 0
	v_perm_b32 v24, v69, v68, s9
	v_perm_b32 v25, v71, v70, s9
	v_cvt_pk_f32_fp8_e32 v[34:35], v33
	v_cvt_pk_f32_fp8_sdwa v[68:69], v33 src0_sel:WORD_1
	v_mfma_f32_16x16x16_bf16 v[30:33], v[66:67], v[36:37], v[58:61]
	s_waitcnt vmcnt(2)
	v_cvt_pk_f32_fp8_sdwa v[36:37], v18 src0_sel:WORD_1
	v_perm_b32 v34, v35, v34, s9
	v_perm_b32 v35, v69, v68, s9
	v_mfma_f32_16x16x16_bf16 v[30:33], v[24:25], v[38:39], v[30:33]
	v_cvt_pk_f32_fp8_e32 v[24:25], v18
	v_cvt_pk_f32_fp8_sdwa v[38:39], v20 src0_sel:WORD_1
	v_bfe_u32 v58, v64, 16, 1
	v_mfma_f32_16x16x16_bf16 v[30:33], v[34:35], v[40:41], v[30:33]
	v_cvt_pk_f32_fp8_e32 v[34:35], v19
	v_perm_b32 v24, v25, v24, s9
	v_perm_b32 v25, v37, v36, s9
	v_cvt_pk_f32_fp8_sdwa v[18:19], v19 src0_sel:WORD_1
	v_perm_b32 v34, v35, v34, s9
	v_cvt_pk_f32_fp8_e32 v[36:37], v20
	v_mfma_f32_16x16x16_bf16 v[30:33], v[24:25], v[6:7], v[30:33]
	v_perm_b32 v35, v19, v18, s9
	v_perm_b32 v18, v37, v36, s9
	;; [unrolled: 1-line block ×3, first 2 shown]
	v_cvt_pk_f32_fp8_e32 v[24:25], v21
	v_cvt_pk_f32_fp8_sdwa v[20:21], v21 src0_sel:WORD_1
	v_mfma_f32_16x16x16_bf16 v[6:9], v[34:35], v[8:9], v[30:33]
	v_perm_b32 v24, v25, v24, s9
	v_perm_b32 v25, v21, v20, s9
	v_mfma_f32_16x16x16_bf16 v[6:9], v[18:19], v[42:43], v[6:9]
	s_waitcnt vmcnt(1)
	v_cvt_pk_f32_fp8_e32 v[18:19], v14
	v_cvt_pk_f32_fp8_sdwa v[20:21], v14 src0_sel:WORD_1
	v_cvt_pk_f32_fp8_sdwa v[30:31], v16 src0_sel:WORD_1
	v_mfma_f32_16x16x16_bf16 v[6:9], v[24:25], v[44:45], v[6:9]
	v_cvt_pk_f32_fp8_e32 v[24:25], v15
	v_perm_b32 v18, v19, v18, s9
	v_perm_b32 v19, v21, v20, s9
	v_cvt_pk_f32_fp8_sdwa v[14:15], v15 src0_sel:WORD_1
	v_perm_b32 v20, v25, v24, s9
	v_cvt_pk_f32_fp8_e32 v[24:25], v16
	v_mfma_f32_16x16x16_bf16 v[6:9], v[18:19], v[2:3], v[6:9]
	v_perm_b32 v21, v15, v14, s9
	v_perm_b32 v14, v25, v24, s9
	;; [unrolled: 1-line block ×3, first 2 shown]
	v_cvt_pk_f32_fp8_e32 v[18:19], v17
	v_cvt_pk_f32_fp8_sdwa v[16:17], v17 src0_sel:WORD_1
	v_mfma_f32_16x16x16_bf16 v[2:5], v[20:21], v[4:5], v[6:9]
	v_add3_u32 v32, v64, v58, s11
	v_add3_u32 v33, v65, v57, s11
	s_nop 0
	v_perm_b32 v8, v19, v18, s9
	v_perm_b32 v9, v17, v16, s9
	v_mfma_f32_16x16x16_bf16 v[2:5], v[14:15], v[46:47], v[2:5]
	s_waitcnt vmcnt(0)
	v_cvt_pk_f32_fp8_e32 v[14:15], v10
	v_cvt_pk_f32_fp8_sdwa v[16:17], v10 src0_sel:WORD_1
	v_cvt_pk_f32_fp8_sdwa v[18:19], v12 src0_sel:WORD_1
	v_mfma_f32_16x16x16_bf16 v[2:5], v[8:9], v[48:49], v[2:5]
	v_cvt_pk_f32_fp8_e32 v[8:9], v11
	v_perm_b32 v14, v15, v14, s9
	v_perm_b32 v15, v17, v16, s9
	v_cvt_pk_f32_fp8_sdwa v[10:11], v11 src0_sel:WORD_1
	v_perm_b32 v8, v9, v8, s9
	v_cvt_pk_f32_fp8_e32 v[16:17], v12
	v_mfma_f32_16x16x16_bf16 v[2:5], v[14:15], v[26:27], v[2:5]
	v_perm_b32 v9, v11, v10, s9
	v_perm_b32 v10, v17, v16, s9
	;; [unrolled: 1-line block ×3, first 2 shown]
	v_cvt_pk_f32_fp8_e32 v[14:15], v13
	v_cvt_pk_f32_fp8_sdwa v[12:13], v13 src0_sel:WORD_1
	v_mfma_f32_16x16x16_bf16 v[2:5], v[8:9], v[28:29], v[2:5]
	v_bfe_u32 v7, v23, 16, 1
	v_perm_b32 v8, v15, v14, s9
	v_perm_b32 v9, v13, v12, s9
	v_mfma_f32_16x16x16_bf16 v[2:5], v[10:11], v[50:51], v[2:5]
	v_bfe_u32 v16, v22, 16, 1
	v_add3_u32 v10, v22, v16, s11
	v_add3_u32 v7, v23, v7, s11
	v_mfma_f32_16x16x16_bf16 v[2:5], v[8:9], v[52:53], v[2:5]
	v_perm_b32 v6, v33, v32, s9
	v_perm_b32 v7, v7, v10, s9
	s_nop 4
	v_pk_mul_f32 v[2:3], v[2:3], s[8:9] op_sel_hi:[1,0]
	v_pk_mul_f32 v[4:5], v[4:5], s[8:9] op_sel_hi:[1,0]
	v_bfe_u32 v8, v3, 16, 1
	v_bfe_u32 v9, v2, 16, 1
	v_add3_u32 v2, v2, v9, s11
	v_add3_u32 v3, v3, v8, s11
	v_perm_b32 v2, v3, v2, s9
	v_bfe_u32 v3, v5, 16, 1
	v_bfe_u32 v8, v4, 16, 1
	v_add3_u32 v4, v4, v8, s11
	v_add3_u32 v3, v5, v3, s11
	v_perm_b32 v3, v3, v4, s9
	ds_write2st64_b64 v55, v[6:7], v[2:3] offset1:1
	s_waitcnt lgkmcnt(0)
	s_barrier
	s_and_saveexec_b64 s[8:9], vcc
	s_cbranch_execz .LBB1332_20
; %bb.18:
	s_load_dwordx2 s[8:9], s[0:1], 0x68
	s_lshl_b32 s0, s7, 7
	s_mul_i32 s1, s10, s2
	v_lshlrev_b32_e32 v3, 6, v56
	s_mul_hi_u32 s11, s1, s0
	s_mul_i32 s10, s1, s0
	v_lshl_or_b32 v0, v0, 10, v3
	s_lshl_b64 s[10:11], s[10:11], 1
	v_lshlrev_b32_e32 v2, 5, v62
	v_and_b32_e32 v1, 16, v1
	v_and_b32_e32 v0, 0x1a00, v0
	s_waitcnt lgkmcnt(0)
	s_add_u32 s1, s8, s10
	v_or3_b32 v2, v0, v2, v1
	s_addc_u32 s7, s9, s11
	s_lshl_b32 s2, s6, 7
	s_lshl_b64 s[2:3], s[2:3], 1
	ds_read_b128 v[4:7], v2
	s_add_u32 s2, s1, s2
	s_addc_u32 s3, s7, s3
	v_mov_b32_e32 v55, 0
	v_add_u32_e32 v3, s48, v62
	v_lshl_add_u64 v[0:1], s[2:3], 0, v[54:55]
	v_mad_u64_u32 v[8:9], s[2:3], v3, s0, 0
	v_lshl_add_u64 v[8:9], v[8:9], 1, v[0:1]
	s_waitcnt lgkmcnt(0)
	global_store_dwordx4 v[8:9], v[4:7], off
	s_and_b64 exec, exec, s[4:5]
	s_cbranch_execz .LBB1332_20
; %bb.19:
	ds_read_b128 v[2:5], v2 offset:128
	v_add3_u32 v6, s48, v62, 4
	v_mad_u64_u32 v[6:7], s[0:1], v6, s0, 0
	v_lshl_add_u64 v[0:1], v[6:7], 1, v[0:1]
	s_waitcnt lgkmcnt(0)
	global_store_dwordx4 v[0:1], v[2:5], off
.LBB1332_20:
	s_endpgm
	.section	.rodata,"a",@progbits
	.p2align	6, 0x0
	.amdhsa_kernel _Z39paged_attention_ll4mi_QKV_mfma16_kernelI14__hip_bfloat16hLN4vllm18Fp8KVCacheDataTypeE1EhLi32ELi128ELi256ELb1ELi5EEvPKT_PKT0_S8_ifPKiSA_SA_iPKfiiiPfSD_PS3_PT2_iSC_SC_
		.amdhsa_group_segment_fixed_size 8192
		.amdhsa_private_segment_fixed_size 0
		.amdhsa_kernarg_size 400
		.amdhsa_user_sgpr_count 2
		.amdhsa_user_sgpr_dispatch_ptr 0
		.amdhsa_user_sgpr_queue_ptr 0
		.amdhsa_user_sgpr_kernarg_segment_ptr 1
		.amdhsa_user_sgpr_dispatch_id 0
		.amdhsa_user_sgpr_kernarg_preload_length 0
		.amdhsa_user_sgpr_kernarg_preload_offset 0
		.amdhsa_user_sgpr_private_segment_size 0
		.amdhsa_uses_dynamic_stack 0
		.amdhsa_enable_private_segment 0
		.amdhsa_system_sgpr_workgroup_id_x 1
		.amdhsa_system_sgpr_workgroup_id_y 1
		.amdhsa_system_sgpr_workgroup_id_z 1
		.amdhsa_system_sgpr_workgroup_info 0
		.amdhsa_system_vgpr_workitem_id 0
		.amdhsa_next_free_vgpr 78
		.amdhsa_next_free_sgpr 50
		.amdhsa_accum_offset 80
		.amdhsa_reserve_vcc 1
		.amdhsa_float_round_mode_32 0
		.amdhsa_float_round_mode_16_64 0
		.amdhsa_float_denorm_mode_32 3
		.amdhsa_float_denorm_mode_16_64 3
		.amdhsa_dx10_clamp 1
		.amdhsa_ieee_mode 1
		.amdhsa_fp16_overflow 0
		.amdhsa_tg_split 0
		.amdhsa_exception_fp_ieee_invalid_op 0
		.amdhsa_exception_fp_denorm_src 0
		.amdhsa_exception_fp_ieee_div_zero 0
		.amdhsa_exception_fp_ieee_overflow 0
		.amdhsa_exception_fp_ieee_underflow 0
		.amdhsa_exception_fp_ieee_inexact 0
		.amdhsa_exception_int_div_zero 0
	.end_amdhsa_kernel
	.section	.text._Z39paged_attention_ll4mi_QKV_mfma16_kernelI14__hip_bfloat16hLN4vllm18Fp8KVCacheDataTypeE1EhLi32ELi128ELi256ELb1ELi5EEvPKT_PKT0_S8_ifPKiSA_SA_iPKfiiiPfSD_PS3_PT2_iSC_SC_,"axG",@progbits,_Z39paged_attention_ll4mi_QKV_mfma16_kernelI14__hip_bfloat16hLN4vllm18Fp8KVCacheDataTypeE1EhLi32ELi128ELi256ELb1ELi5EEvPKT_PKT0_S8_ifPKiSA_SA_iPKfiiiPfSD_PS3_PT2_iSC_SC_,comdat
.Lfunc_end1332:
	.size	_Z39paged_attention_ll4mi_QKV_mfma16_kernelI14__hip_bfloat16hLN4vllm18Fp8KVCacheDataTypeE1EhLi32ELi128ELi256ELb1ELi5EEvPKT_PKT0_S8_ifPKiSA_SA_iPKfiiiPfSD_PS3_PT2_iSC_SC_, .Lfunc_end1332-_Z39paged_attention_ll4mi_QKV_mfma16_kernelI14__hip_bfloat16hLN4vllm18Fp8KVCacheDataTypeE1EhLi32ELi128ELi256ELb1ELi5EEvPKT_PKT0_S8_ifPKiSA_SA_iPKfiiiPfSD_PS3_PT2_iSC_SC_
                                        ; -- End function
	.section	.AMDGPU.csdata,"",@progbits
; Kernel info:
; codeLenInByte = 6664
; NumSgprs: 56
; NumVgprs: 78
; NumAgprs: 0
; TotalNumVgprs: 78
; ScratchSize: 0
; MemoryBound: 0
; FloatMode: 240
; IeeeMode: 1
; LDSByteSize: 8192 bytes/workgroup (compile time only)
; SGPRBlocks: 6
; VGPRBlocks: 9
; NumSGPRsForWavesPerEU: 56
; NumVGPRsForWavesPerEU: 78
; AccumOffset: 80
; Occupancy: 6
; WaveLimiterHint : 1
; COMPUTE_PGM_RSRC2:SCRATCH_EN: 0
; COMPUTE_PGM_RSRC2:USER_SGPR: 2
; COMPUTE_PGM_RSRC2:TRAP_HANDLER: 0
; COMPUTE_PGM_RSRC2:TGID_X_EN: 1
; COMPUTE_PGM_RSRC2:TGID_Y_EN: 1
; COMPUTE_PGM_RSRC2:TGID_Z_EN: 1
; COMPUTE_PGM_RSRC2:TIDIG_COMP_CNT: 0
; COMPUTE_PGM_RSRC3_GFX90A:ACCUM_OFFSET: 19
; COMPUTE_PGM_RSRC3_GFX90A:TG_SPLIT: 0
	.section	.text._Z39paged_attention_ll4mi_QKV_mfma16_kernelI14__hip_bfloat16hLN4vllm18Fp8KVCacheDataTypeE1EhLi32ELi128ELi256ELb1ELi6EEvPKT_PKT0_S8_ifPKiSA_SA_iPKfiiiPfSD_PS3_PT2_iSC_SC_,"axG",@progbits,_Z39paged_attention_ll4mi_QKV_mfma16_kernelI14__hip_bfloat16hLN4vllm18Fp8KVCacheDataTypeE1EhLi32ELi128ELi256ELb1ELi6EEvPKT_PKT0_S8_ifPKiSA_SA_iPKfiiiPfSD_PS3_PT2_iSC_SC_,comdat
	.protected	_Z39paged_attention_ll4mi_QKV_mfma16_kernelI14__hip_bfloat16hLN4vllm18Fp8KVCacheDataTypeE1EhLi32ELi128ELi256ELb1ELi6EEvPKT_PKT0_S8_ifPKiSA_SA_iPKfiiiPfSD_PS3_PT2_iSC_SC_ ; -- Begin function _Z39paged_attention_ll4mi_QKV_mfma16_kernelI14__hip_bfloat16hLN4vllm18Fp8KVCacheDataTypeE1EhLi32ELi128ELi256ELb1ELi6EEvPKT_PKT0_S8_ifPKiSA_SA_iPKfiiiPfSD_PS3_PT2_iSC_SC_
	.globl	_Z39paged_attention_ll4mi_QKV_mfma16_kernelI14__hip_bfloat16hLN4vllm18Fp8KVCacheDataTypeE1EhLi32ELi128ELi256ELb1ELi6EEvPKT_PKT0_S8_ifPKiSA_SA_iPKfiiiPfSD_PS3_PT2_iSC_SC_
	.p2align	8
	.type	_Z39paged_attention_ll4mi_QKV_mfma16_kernelI14__hip_bfloat16hLN4vllm18Fp8KVCacheDataTypeE1EhLi32ELi128ELi256ELb1ELi6EEvPKT_PKT0_S8_ifPKiSA_SA_iPKfiiiPfSD_PS3_PT2_iSC_SC_,@function
_Z39paged_attention_ll4mi_QKV_mfma16_kernelI14__hip_bfloat16hLN4vllm18Fp8KVCacheDataTypeE1EhLi32ELi128ELi256ELb1ELi6EEvPKT_PKT0_S8_ifPKiSA_SA_iPKfiiiPfSD_PS3_PT2_iSC_SC_: ; @_Z39paged_attention_ll4mi_QKV_mfma16_kernelI14__hip_bfloat16hLN4vllm18Fp8KVCacheDataTypeE1EhLi32ELi128ELi256ELb1ELi6EEvPKT_PKT0_S8_ifPKiSA_SA_iPKfiiiPfSD_PS3_PT2_iSC_SC_
; %bb.0:
	s_load_dwordx2 s[10:11], s[0:1], 0x30
	s_mov_b32 s6, s3
	s_mov_b64 s[8:9], 0
	s_waitcnt lgkmcnt(0)
	s_cmp_lg_u64 s[10:11], 0
	s_cselect_b64 s[12:13], -1, 0
	s_and_b64 vcc, exec, s[12:13]
	s_cbranch_vccz .LBB1333_7
; %bb.1:
	s_add_i32 s14, s2, 1
	s_mov_b32 s15, 0
	s_lshl_b64 s[16:17], s[14:15], 2
	s_add_u32 s16, s10, s16
	s_mov_b32 s3, s15
	s_addc_u32 s17, s11, s17
	s_lshl_b64 s[14:15], s[2:3], 2
	s_add_u32 s14, s10, s14
	s_addc_u32 s15, s11, s15
	s_load_dword s5, s[16:17], 0x0
	s_load_dword s7, s[14:15], 0x0
	s_waitcnt lgkmcnt(0)
	s_sub_i32 s5, s5, s7
	s_cmp_eq_u32 s5, 1
	s_cselect_b64 s[14:15], -1, 0
	s_andn2_b64 vcc, exec, s[8:9]
	s_cbranch_vccnz .LBB1333_3
.LBB1333_2:
	s_mov_b32 s3, 0
	s_mov_b64 s[14:15], -1
.LBB1333_3:
	s_andn2_b64 vcc, exec, s[14:15]
	s_cbranch_vccnz .LBB1333_20
; %bb.4:
	s_load_dwordx2 s[8:9], s[0:1], 0x28
	s_lshl_b64 s[16:17], s[2:3], 2
	s_waitcnt lgkmcnt(0)
	s_add_u32 s8, s8, s16
	s_addc_u32 s9, s9, s17
	s_load_dword s7, s[8:9], 0x0
	s_lshl_b32 s18, s6, 8
	s_waitcnt lgkmcnt(0)
	s_cmp_ge_i32 s18, s7
	s_cbranch_scc1 .LBB1333_20
; %bb.5:
	s_load_dwordx2 s[8:9], s[0:1], 0x20
	s_load_dword s5, s[0:1], 0x38
	s_add_i32 s14, s7, 31
	s_ashr_i32 s15, s14, 31
	v_and_b32_e32 v1, 0xcf, v0
	s_lshr_b32 s15, s15, 27
	v_add_u32_e32 v1, s18, v1
	s_add_i32 s14, s14, s15
	v_ashrrev_i32_e32 v2, 31, v1
	s_ashr_i32 s19, s14, 5
	v_lshrrev_b32_e32 v4, 27, v2
	s_add_i32 s19, s19, -1
	s_waitcnt lgkmcnt(0)
	s_mul_i32 s14, s2, s5
	s_mov_b32 s15, 0
	v_add_u32_e32 v2, v1, v4
	s_lshl_b64 s[14:15], s[14:15], 2
	v_ashrrev_i32_e32 v2, 5, v2
	v_mov_b32_e32 v5, s19
	v_cmp_gt_i32_e32 vcc, s7, v1
	s_add_u32 s8, s8, s14
	s_addc_u32 s9, s9, s15
	v_cndmask_b32_e32 v2, v5, v2, vcc
	v_ashrrev_i32_e32 v3, 31, v2
	v_lshl_add_u64 v[6:7], v[2:3], 2, s[8:9]
	v_or_b32_e32 v2, 16, v1
	v_add_u32_e32 v3, v2, v4
	v_ashrrev_i32_e32 v3, 5, v3
	v_cmp_gt_i32_e32 vcc, s7, v2
	s_load_dwordx2 s[14:15], s[0:1], 0x8
	s_nop 0
	v_cndmask_b32_e32 v2, v5, v3, vcc
	v_ashrrev_i32_e32 v3, 31, v2
	v_lshl_add_u64 v[8:9], v[2:3], 2, s[8:9]
	v_or_b32_e32 v2, 32, v1
	v_add_u32_e32 v3, v2, v4
	v_ashrrev_i32_e32 v3, 5, v3
	v_cmp_gt_i32_e32 vcc, s7, v2
	v_or_b32_e32 v1, 48, v1
	s_nop 0
	v_cndmask_b32_e32 v2, v5, v3, vcc
	v_ashrrev_i32_e32 v3, 31, v2
	v_lshl_add_u64 v[12:13], v[2:3], 2, s[8:9]
	v_add_u32_e32 v2, v1, v4
	v_ashrrev_i32_e32 v2, 5, v2
	v_cmp_gt_i32_e32 vcc, s7, v1
	s_nop 1
	v_cndmask_b32_e32 v2, v5, v2, vcc
	v_ashrrev_i32_e32 v3, 31, v2
	v_lshl_add_u64 v[14:15], v[2:3], 2, s[8:9]
	global_load_dword v4, v[6:7], off
	global_load_dword v3, v[8:9], off
	;; [unrolled: 1-line block ×4, first 2 shown]
	s_andn2_b64 vcc, exec, s[12:13]
	s_cbranch_vccnz .LBB1333_8
; %bb.6:
	s_add_u32 s10, s10, s16
	s_addc_u32 s11, s11, s17
	s_load_dword s5, s[10:11], 0x0
	s_branch .LBB1333_9
.LBB1333_7:
	s_mov_b64 s[14:15], 0
	s_branch .LBB1333_2
.LBB1333_8:
	s_mov_b32 s5, s2
.LBB1333_9:
	s_load_dwordx2 s[10:11], s[0:1], 0x10
	s_load_dwordx4 s[44:47], s[0:1], 0x48
	v_lshrrev_b32_e32 v57, 6, v0
	v_bfe_u32 v62, v0, 4, 2
	v_and_b32_e32 v56, 15, v0
	v_lshl_or_b32 v5, v57, 2, v62
	v_lshlrev_b32_e32 v1, 3, v56
	s_mul_i32 s48, s4, 6
	v_cmp_gt_u32_e32 vcc, 6, v5
	v_lshlrev_b32_e32 v54, 1, v1
	v_lshlrev_b32_e32 v1, 4, v0
	s_and_saveexec_b64 s[12:13], vcc
	s_cbranch_execz .LBB1333_11
; %bb.10:
	s_load_dwordx2 s[16:17], s[0:1], 0x0
	s_waitcnt lgkmcnt(0)
	s_ashr_i32 s20, s44, 31
	s_mul_hi_u32 s21, s5, s44
	s_mul_i32 s20, s5, s20
	s_add_i32 s21, s21, s20
	s_mul_i32 s20, s5, s44
	s_lshl_b64 s[20:21], s[20:21], 1
	s_add_u32 s16, s16, s20
	v_add_lshl_u32 v6, v5, s48, 7
	s_addc_u32 s17, s17, s21
	v_ashrrev_i32_e32 v7, 31, v6
	v_lshl_add_u64 v[6:7], v[6:7], 1, s[16:17]
	v_mov_b32_e32 v55, 0
	v_lshl_add_u64 v[6:7], v[6:7], 0, v[54:55]
	global_load_dwordx4 v[6:9], v[6:7], off
	v_lshlrev_b32_e32 v12, 8, v0
	v_lshlrev_b32_e32 v11, 8, v56
	v_and_b32_e32 v12, 0x600, v12
	s_movk_i32 s5, 0x800
	v_and_or_b32 v11, v11, s5, v12
	v_lshlrev_b32_e32 v5, 5, v5
	v_and_b32_e32 v12, 16, v1
	v_or3_b32 v5, v11, v5, v12
	s_waitcnt vmcnt(0)
	ds_write_b128 v5, v[6:9]
.LBB1333_11:
	s_or_b64 exec, exec, s[12:13]
	s_waitcnt lgkmcnt(0)
	s_mul_i32 s12, s4, s46
	s_add_u32 s4, s14, s12
	s_addc_u32 s5, s15, 0
	v_mov_b32_e32 v59, 0
	v_mov_b64_e32 v[12:13], s[4:5]
	v_and_b32_e32 v34, 48, v0
	s_waitcnt vmcnt(3)
	v_mad_i64_i32 v[4:5], s[4:5], v4, s45, v[12:13]
	v_lshlrev_b32_e32 v14, 4, v56
	v_mov_b32_e32 v15, v59
	v_lshlrev_b32_e32 v58, 5, v34
	v_lshl_add_u64 v[4:5], v[4:5], 0, v[14:15]
	v_lshl_add_u64 v[4:5], v[4:5], 0, v[58:59]
	s_barrier
	global_load_dwordx4 v[50:53], v[4:5], off
	global_load_dwordx4 v[46:49], v[4:5], off offset:2048
	s_waitcnt vmcnt(4)
	v_mad_i64_i32 v[4:5], s[4:5], v3, s45, v[12:13]
	v_or_b32_e32 v16, 0x100, v14
	v_mov_b32_e32 v17, v59
	s_waitcnt vmcnt(3)
	v_mad_i64_i32 v[2:3], s[4:5], v2, s45, v[12:13]
	v_lshl_add_u64 v[4:5], v[4:5], 0, v[16:17]
	v_lshl_add_u64 v[2:3], v[2:3], 0, v[14:15]
	s_waitcnt vmcnt(2)
	v_mad_i64_i32 v[10:11], s[4:5], v10, s45, v[12:13]
	v_lshl_add_u64 v[4:5], v[4:5], 0, v[58:59]
	v_lshl_add_u64 v[14:15], v[2:3], 0, v[58:59]
	v_lshl_add_u64 v[10:11], v[10:11], 0, v[16:17]
	global_load_dwordx4 v[36:39], v[4:5], off
	global_load_dwordx4 v[6:9], v[4:5], off offset:2048
	s_nop 0
	global_load_dwordx4 v[2:5], v[14:15], off
	global_load_dwordx4 v[42:45], v[14:15], off offset:2048
	v_lshl_add_u64 v[14:15], v[10:11], 0, v[58:59]
	global_load_dwordx4 v[26:29], v[14:15], off
	global_load_dwordx4 v[10:13], v[14:15], off offset:2048
	v_mul_lo_u16_e32 v14, 43, v56
	v_mov_b32_e32 v15, 6
	v_mul_lo_u16_sdwa v14, v14, v15 dst_sel:DWORD dst_unused:UNUSED_PAD src0_sel:BYTE_1 src1_sel:DWORD
	v_sub_u16_e32 v14, v56, v14
	v_mov_b32_e32 v15, 5
	v_lshlrev_b32_sdwa v14, v15, v14 dst_sel:DWORD dst_unused:UNUSED_PAD src0_sel:DWORD src1_sel:BYTE_0
	v_lshl_add_u32 v14, v62, 9, v14
	ds_read_b128 v[30:33], v14
	ds_read_b128 v[22:25], v14 offset:16
	ds_read_b128 v[18:21], v14 offset:2048
	;; [unrolled: 1-line block ×3, first 2 shown]
	v_and_b32_e32 v55, 63, v0
	v_cmp_gt_u32_e32 vcc, 6, v56
	v_mov_b32_e32 v63, 0
	s_and_saveexec_b64 s[4:5], vcc
	s_cbranch_execz .LBB1333_13
; %bb.12:
	s_load_dwordx2 s[14:15], s[0:1], 0x40
	v_add_u32_e32 v40, s48, v56
	v_ashrrev_i32_e32 v41, 31, v40
	s_waitcnt lgkmcnt(0)
	v_lshl_add_u64 v[40:41], v[40:41], 2, s[14:15]
	global_load_dword v63, v[40:41], off
.LBB1333_13:
	s_or_b64 exec, exec, s[4:5]
	s_ashr_i32 s4, s18, 31
	v_or_b32_e32 v58, s18, v34
	s_lshr_b32 s4, s4, 27
	v_add_u32_e32 v34, s4, v58
	v_or_b32_e32 v40, 64, v58
	v_ashrrev_i32_e32 v34, 5, v34
	v_mov_b32_e32 v64, s19
	v_cmp_gt_i32_e32 vcc, s7, v58
	v_add_u32_e32 v41, s4, v40
	v_or_b32_e32 v60, 0x80, v58
	v_cndmask_b32_e32 v34, v64, v34, vcc
	v_ashrrev_i32_e32 v41, 5, v41
	v_cmp_gt_i32_e32 vcc, s7, v40
	v_add_u32_e32 v61, s4, v60
	v_or_b32_e32 v58, 0xc0, v58
	v_cndmask_b32_e32 v40, v64, v41, vcc
	v_ashrrev_i32_e32 v61, 5, v61
	v_cmp_gt_i32_e32 vcc, s7, v60
	v_add_u32_e32 v65, s4, v58
	v_ashrrev_i32_e32 v65, 5, v65
	v_cndmask_b32_e32 v60, v64, v61, vcc
	v_cmp_gt_i32_e32 vcc, s7, v58
	s_waitcnt vmcnt(7)
	v_cvt_pk_f32_fp8_sdwa v[66:67], v50 src0_sel:WORD_1
	s_mov_b32 s33, 0x7060302
	v_cndmask_b32_e32 v68, v64, v65, vcc
	v_cvt_pk_f32_fp8_e32 v[64:65], v50
	v_cvt_pk_f32_fp8_e32 v[70:71], v51
	v_cvt_pk_f32_fp8_sdwa v[50:51], v51 src0_sel:WORD_1
	v_cvt_pk_f32_fp8_e32 v[72:73], v52
	v_perm_b32 v64, v65, v64, s33
	v_perm_b32 v65, v67, v66, s33
	;; [unrolled: 1-line block ×3, first 2 shown]
	v_cvt_pk_f32_fp8_sdwa v[74:75], v52 src0_sel:WORD_1
	v_perm_b32 v71, v51, v50, s33
	s_waitcnt lgkmcnt(3)
	v_mfma_f32_16x16x16_bf16 v[64:67], v[64:65], v[30:31], 0
	v_perm_b32 v72, v73, v72, s33
	v_perm_b32 v73, v75, v74, s33
	v_cvt_pk_f32_fp8_e32 v[74:75], v53
	v_cvt_pk_f32_fp8_sdwa v[76:77], v53 src0_sel:WORD_1
	v_mfma_f32_16x16x16_bf16 v[50:53], v[70:71], v[32:33], v[64:67]
	v_ashrrev_i32_e32 v35, 31, v34
	v_lshl_add_u64 v[34:35], v[34:35], 2, s[8:9]
	v_ashrrev_i32_e32 v41, 31, v40
	v_perm_b32 v64, v75, v74, s33
	v_perm_b32 v65, v77, v76, s33
	s_waitcnt lgkmcnt(2)
	v_mfma_f32_16x16x16_bf16 v[50:53], v[72:73], v[22:23], v[50:53]
	s_waitcnt vmcnt(6)
	v_cvt_pk_f32_fp8_e32 v[66:67], v46
	v_ashrrev_i32_e32 v61, 31, v60
	v_ashrrev_i32_e32 v69, 31, v68
	v_lshl_add_u64 v[40:41], v[40:41], 2, s[8:9]
	v_lshl_add_u64 v[60:61], v[60:61], 2, s[8:9]
	;; [unrolled: 1-line block ×3, first 2 shown]
	v_mfma_f32_16x16x16_bf16 v[50:53], v[64:65], v[24:25], v[50:53]
	v_perm_b32 v74, v67, v66, s33
	global_load_dword v68, v[34:35], off
	global_load_dword v66, v[40:41], off
	;; [unrolled: 1-line block ×4, first 2 shown]
	v_cvt_pk_f32_fp8_sdwa v[70:71], v46 src0_sel:WORD_1
	v_cvt_pk_f32_fp8_e32 v[40:41], v48
	s_waitcnt vmcnt(9)
	v_cvt_pk_f32_fp8_e32 v[60:61], v36
	s_add_u32 s4, s10, s12
	v_perm_b32 v75, v71, v70, s33
	v_cvt_pk_f32_fp8_e32 v[70:71], v47
	v_cvt_pk_f32_fp8_sdwa v[46:47], v47 src0_sel:WORD_1
	s_waitcnt lgkmcnt(1)
	v_mfma_f32_16x16x16_bf16 v[50:53], v[74:75], v[18:19], v[50:53]
	v_perm_b32 v34, v71, v70, s33
	v_perm_b32 v35, v47, v46, s33
	v_cvt_pk_f32_fp8_sdwa v[46:47], v48 src0_sel:WORD_1
	v_perm_b32 v40, v41, v40, s33
	v_mfma_f32_16x16x16_bf16 v[50:53], v[34:35], v[20:21], v[50:53]
	v_perm_b32 v41, v47, v46, s33
	v_cvt_pk_f32_fp8_e32 v[34:35], v49
	v_cvt_pk_f32_fp8_sdwa v[46:47], v49 src0_sel:WORD_1
	v_cvt_pk_f32_fp8_sdwa v[70:71], v36 src0_sel:WORD_1
	s_addc_u32 s5, s11, 0
	v_perm_b32 v34, v35, v34, s33
	v_perm_b32 v35, v47, v46, s33
	s_waitcnt lgkmcnt(0)
	v_mfma_f32_16x16x16_bf16 v[46:49], v[40:41], v[14:15], v[50:53]
	v_perm_b32 v40, v61, v60, s33
	v_perm_b32 v41, v71, v70, s33
	s_waitcnt vmcnt(8)
	v_cvt_pk_f32_fp8_sdwa v[60:61], v6 src0_sel:WORD_1
	v_cvt_pk_f32_fp8_e32 v[50:51], v37
	v_cvt_pk_f32_fp8_sdwa v[52:53], v37 src0_sel:WORD_1
	v_mfma_f32_16x16x16_bf16 v[34:37], v[34:35], v[16:17], v[46:49]
	v_and_b32_e32 v58, 16, v0
	v_perm_b32 v50, v51, v50, s33
	v_perm_b32 v51, v53, v52, s33
	v_mfma_f32_16x16x16_bf16 v[46:49], v[40:41], v[30:31], 0
	v_cvt_pk_f32_fp8_e32 v[40:41], v38
	v_cvt_pk_f32_fp8_sdwa v[52:53], v38 src0_sel:WORD_1
	v_lshl_or_b32 v64, v57, 4, v56
	v_mfma_f32_16x16x16_bf16 v[46:49], v[50:51], v[32:33], v[46:49]
	v_cvt_pk_f32_fp8_e32 v[50:51], v39
	v_perm_b32 v40, v41, v40, s33
	v_perm_b32 v41, v53, v52, s33
	v_cvt_pk_f32_fp8_sdwa v[38:39], v39 src0_sel:WORD_1
	v_perm_b32 v50, v51, v50, s33
	v_cvt_pk_f32_fp8_e32 v[52:53], v6
	s_waitcnt vmcnt(6)
	v_cvt_pk_f32_fp8_e32 v[74:75], v43
	v_perm_b32 v51, v39, v38, s33
	v_mfma_f32_16x16x16_bf16 v[38:41], v[40:41], v[22:23], v[46:49]
	s_nop 2
	v_perm_b32 v48, v53, v52, s33
	v_perm_b32 v49, v61, v60, s33
	v_cvt_pk_f32_fp8_e32 v[52:53], v7
	v_cvt_pk_f32_fp8_sdwa v[6:7], v7 src0_sel:WORD_1
	v_mfma_f32_16x16x16_bf16 v[38:41], v[50:51], v[24:25], v[38:41]
	v_lshl_add_u64 v[46:47], s[4:5], 0, v[58:59]
	v_perm_b32 v50, v53, v52, s33
	v_perm_b32 v51, v7, v6, s33
	v_mfma_f32_16x16x16_bf16 v[38:41], v[48:49], v[18:19], v[38:41]
	v_cvt_pk_f32_fp8_e32 v[6:7], v8
	v_cvt_pk_f32_fp8_sdwa v[48:49], v8 src0_sel:WORD_1
	v_cvt_pk_f32_fp8_sdwa v[52:53], v2 src0_sel:WORD_1
	v_mfma_f32_16x16x16_bf16 v[38:41], v[50:51], v[20:21], v[38:41]
	v_cvt_pk_f32_fp8_e32 v[50:51], v9
	v_perm_b32 v6, v7, v6, s33
	v_perm_b32 v7, v49, v48, s33
	v_cvt_pk_f32_fp8_sdwa v[8:9], v9 src0_sel:WORD_1
	v_perm_b32 v48, v51, v50, s33
	v_cvt_pk_f32_fp8_e32 v[50:51], v2
	v_lshlrev_b32_e32 v58, 5, v64
	v_perm_b32 v49, v9, v8, s33
	v_mfma_f32_16x16x16_bf16 v[6:9], v[6:7], v[14:15], v[38:41]
	v_perm_b32 v50, v51, v50, s33
	v_perm_b32 v51, v53, v52, s33
	v_cvt_pk_f32_fp8_e32 v[52:53], v3
	v_cvt_pk_f32_fp8_sdwa v[2:3], v3 src0_sel:WORD_1
	v_mfma_f32_16x16x16_bf16 v[38:41], v[48:49], v[16:17], v[6:9]
	v_lshl_add_u64 v[48:49], v[46:47], 0, v[58:59]
	v_perm_b32 v52, v53, v52, s33
	v_perm_b32 v53, v3, v2, s33
	v_mfma_f32_16x16x16_bf16 v[6:9], v[50:51], v[30:31], 0
	v_cvt_pk_f32_fp8_e32 v[2:3], v4
	v_cvt_pk_f32_fp8_sdwa v[50:51], v4 src0_sel:WORD_1
	s_waitcnt vmcnt(3)
	v_mad_i64_i32 v[60:61], s[4:5], v68, s45, v[48:49]
	v_perm_b32 v2, v3, v2, s33
	v_perm_b32 v3, v51, v50, s33
	v_mfma_f32_16x16x16_bf16 v[6:9], v[52:53], v[32:33], v[6:9]
	v_cvt_pk_f32_fp8_e32 v[50:51], v5
	v_cvt_pk_f32_fp8_sdwa v[4:5], v5 src0_sel:WORD_1
	s_waitcnt vmcnt(2)
	v_mad_i64_i32 v[70:71], s[4:5], v66, s45, v[48:49]
	v_perm_b32 v50, v51, v50, s33
	v_perm_b32 v51, v5, v4, s33
	v_mfma_f32_16x16x16_bf16 v[2:5], v[2:3], v[22:23], v[6:9]
	v_or_b32_e32 v58, 0x800, v58
	s_nop 1
	v_cvt_pk_f32_fp8_e32 v[6:7], v42
	v_cvt_pk_f32_fp8_sdwa v[8:9], v42 src0_sel:WORD_1
	v_cvt_pk_f32_fp8_sdwa v[42:43], v43 src0_sel:WORD_1
	v_mfma_f32_16x16x16_bf16 v[50:53], v[50:51], v[24:25], v[2:5]
	v_perm_b32 v72, v7, v6, s33
	v_perm_b32 v73, v9, v8, s33
	global_load_dwordx4 v[6:9], v[60:61], off
	global_load_dwordx4 v[2:5], v[70:71], off
	v_perm_b32 v60, v75, v74, s33
	v_perm_b32 v61, v43, v42, s33
	v_mfma_f32_16x16x16_bf16 v[70:73], v[72:73], v[18:19], v[50:53]
	v_cvt_pk_f32_fp8_e32 v[42:43], v44
	v_perm_b32 v42, v43, v42, s33
	s_nop 0
	v_cvt_pk_f32_fp8_sdwa v[52:53], v44 src0_sel:WORD_1
	v_mfma_f32_16x16x16_bf16 v[70:73], v[60:61], v[20:21], v[70:73]
	v_cvt_pk_f32_fp8_e32 v[60:61], v45
	s_waitcnt vmcnt(3)
	v_mad_i64_i32 v[50:51], s[4:5], v67, s45, v[48:49]
	s_load_dword s4, s[0:1], 0x1c
	s_load_dwordx4 s[40:43], s[0:1], 0x80
	v_perm_b32 v43, v53, v52, s33
	v_perm_b32 v74, v61, v60, s33
	v_cvt_pk_f32_fp8_e32 v[52:53], v26
	v_cvt_pk_f32_fp8_sdwa v[60:61], v26 src0_sel:WORD_1
	s_load_dword s44, s[0:1], 0x98
	s_waitcnt lgkmcnt(0)
	s_load_dword s5, s[40:41], 0x0
	v_cvt_pk_f32_fp8_sdwa v[44:45], v45 src0_sel:WORD_1
	v_perm_b32 v52, v53, v52, s33
	v_perm_b32 v53, v61, v60, s33
	v_cvt_pk_f32_fp8_e32 v[60:61], v27
	v_cvt_pk_f32_fp8_sdwa v[26:27], v27 src0_sel:WORD_1
	v_perm_b32 v75, v45, v44, s33
	v_mfma_f32_16x16x16_bf16 v[42:45], v[42:43], v[14:15], v[70:73]
	v_perm_b32 v60, v61, v60, s33
	v_perm_b32 v61, v27, v26, s33
	v_mov_b32_e32 v26, s4
	v_mfma_f32_16x16x16_bf16 v[70:73], v[52:53], v[30:31], 0
	s_waitcnt lgkmcnt(0)
	v_mul_f32_e32 v52, s5, v26
	v_cvt_pk_f32_fp8_e32 v[26:27], v28
	v_cvt_pk_f32_fp8_sdwa v[30:31], v28 src0_sel:WORD_1
	v_mfma_f32_16x16x16_bf16 v[70:73], v[60:61], v[32:33], v[70:73]
	v_cvt_pk_f32_fp8_e32 v[32:33], v29
	v_cvt_pk_f32_fp8_sdwa v[28:29], v29 src0_sel:WORD_1
	v_perm_b32 v26, v27, v26, s33
	v_perm_b32 v27, v31, v30, s33
	v_mfma_f32_16x16x16_bf16 v[42:45], v[74:75], v[16:17], v[42:45]
	v_perm_b32 v32, v33, v32, s33
	v_perm_b32 v33, v29, v28, s33
	v_cvt_pk_f32_fp8_e32 v[60:61], v10
	v_cvt_pk_f32_fp8_sdwa v[74:75], v10 src0_sel:WORD_1
	v_mfma_f32_16x16x16_bf16 v[26:29], v[26:27], v[22:23], v[70:73]
	v_pk_mul_f32 v[30:31], v[52:53], v[36:37] op_sel_hi:[0,1]
	v_perm_b32 v36, v61, v60, s33
	v_perm_b32 v37, v75, v74, s33
	v_cvt_pk_f32_fp8_e32 v[60:61], v11
	v_cvt_pk_f32_fp8_sdwa v[70:71], v11 src0_sel:WORD_1
	v_mfma_f32_16x16x16_bf16 v[22:25], v[32:33], v[24:25], v[26:29]
	v_pk_mul_f32 v[10:11], v[52:53], v[34:35] op_sel_hi:[0,1]
	v_perm_b32 v60, v61, v60, s33
	v_perm_b32 v61, v71, v70, s33
	v_mfma_f32_16x16x16_bf16 v[32:35], v[36:37], v[18:19], v[22:25]
	v_cvt_pk_f32_fp8_e32 v[18:19], v12
	v_cvt_pk_f32_fp8_sdwa v[36:37], v12 src0_sel:WORD_1
	s_waitcnt vmcnt(2)
	v_mad_i64_i32 v[48:49], s[8:9], v65, s45, v[48:49]
	global_load_dwordx4 v[26:29], v[50:51], off
	global_load_dwordx4 v[22:25], v[48:49], off
	v_perm_b32 v48, v19, v18, s33
	v_perm_b32 v49, v37, v36, s33
	v_cvt_pk_f32_fp8_e32 v[36:37], v13
	v_cvt_pk_f32_fp8_sdwa v[12:13], v13 src0_sel:WORD_1
	v_mfma_f32_16x16x16_bf16 v[18:21], v[60:61], v[20:21], v[32:35]
	v_pk_mul_f32 v[40:41], v[52:53], v[40:41] op_sel_hi:[0,1]
	v_pk_mul_f32 v[42:43], v[52:53], v[42:43] op_sel_hi:[0,1]
	s_mov_b32 s40, 0xff7fffff
	v_perm_b32 v32, v37, v36, s33
	v_perm_b32 v33, v13, v12, s33
	v_mfma_f32_16x16x16_bf16 v[12:15], v[48:49], v[14:15], v[18:21]
	v_pk_mul_f32 v[48:49], v[52:53], v[38:39] op_sel_hi:[0,1]
	v_pk_mul_f32 v[38:39], v[52:53], v[44:45] op_sel_hi:[0,1]
	v_mfma_f32_16x16x16_bf16 v[12:15], v[32:33], v[16:17], v[12:15]
	s_nop 6
	v_pk_mul_f32 v[36:37], v[52:53], v[12:13] op_sel_hi:[0,1]
	v_and_b32_e32 v12, 0xc0, v0
	v_add_u32_e32 v12, s18, v12
	v_lshl_or_b32 v12, v62, 2, v12
	v_or_b32_e32 v13, 1, v12
	v_pk_mul_f32 v[34:35], v[52:53], v[14:15] op_sel_hi:[0,1]
	v_subrev_u32_e32 v14, s7, v13
	v_add_u32_e32 v16, 1, v14
	v_add_u32_e32 v17, 2, v14
	v_cvt_f32_i32_e32 v15, v14
	v_cvt_f32_i32_e32 v16, v16
	;; [unrolled: 1-line block ×3, first 2 shown]
	v_add_u32_e32 v18, 3, v14
	v_fma_f32 v10, v63, v15, v10
	v_fmac_f32_e32 v11, v63, v16
	v_fma_f32 v51, v63, v17, v30
	v_add_u32_e32 v15, 16, v14
	v_add_u32_e32 v16, 17, v14
	;; [unrolled: 1-line block ×3, first 2 shown]
	v_cvt_f32_i32_e32 v18, v18
	v_cvt_f32_i32_e32 v15, v15
	;; [unrolled: 1-line block ×4, first 2 shown]
	v_fmac_f32_e32 v31, v63, v18
	v_add_u32_e32 v18, 19, v14
	v_fma_f32 v48, v63, v15, v48
	v_fmac_f32_e32 v49, v63, v16
	v_fma_f32 v40, v63, v17, v40
	v_add_u32_e32 v15, 32, v14
	v_add_u32_e32 v16, 33, v14
	;; [unrolled: 1-line block ×3, first 2 shown]
	v_cvt_f32_i32_e32 v18, v18
	v_cvt_f32_i32_e32 v15, v15
	;; [unrolled: 1-line block ×4, first 2 shown]
	v_fmac_f32_e32 v41, v63, v18
	v_add_u32_e32 v18, 35, v14
	v_fma_f32 v42, v63, v15, v42
	v_fmac_f32_e32 v43, v63, v16
	v_fma_f32 v38, v63, v17, v38
	v_add_u32_e32 v15, 48, v14
	v_add_u32_e32 v16, 49, v14
	;; [unrolled: 1-line block ×4, first 2 shown]
	v_cvt_f32_i32_e32 v14, v14
	v_cvt_f32_i32_e32 v15, v15
	;; [unrolled: 1-line block ×3, first 2 shown]
	v_cmp_gt_i32_e64 s[8:9], s7, v12
	v_fmac_f32_e32 v35, v63, v14
	v_mov_b32_e32 v14, 0xff7fffff
	v_cmp_gt_i32_e64 s[10:11], s7, v13
	v_fma_f32 v36, v63, v15, v36
	v_cndmask_b32_e64 v15, v14, v10, s[8:9]
	v_cndmask_b32_e64 v13, v14, v11, s[10:11]
	v_fmac_f32_e32 v37, v63, v16
	v_max3_f32 v13, v15, s40, v13
	v_or_b32_e32 v15, 2, v12
	v_or_b32_e32 v16, 3, v12
	v_cmp_gt_i32_e64 s[12:13], s7, v15
	v_cmp_gt_i32_e64 s[14:15], s7, v16
	v_cvt_f32_i32_e32 v18, v18
	v_cndmask_b32_e64 v15, v14, v51, s[12:13]
	v_cndmask_b32_e64 v16, v14, v31, s[14:15]
	v_max3_f32 v13, v13, v15, v16
	v_or_b32_e32 v15, 16, v12
	v_or_b32_e32 v16, 17, v12
	v_cmp_gt_i32_e64 s[16:17], s7, v15
	v_cmp_gt_i32_e64 s[18:19], s7, v16
	v_fmac_f32_e32 v39, v63, v18
	v_cndmask_b32_e64 v15, v14, v48, s[16:17]
	v_cndmask_b32_e64 v16, v14, v49, s[18:19]
	v_max3_f32 v13, v13, v15, v16
	v_or_b32_e32 v15, 18, v12
	v_or_b32_e32 v16, 19, v12
	v_cmp_gt_i32_e64 s[20:21], s7, v15
	v_cmp_gt_i32_e64 s[22:23], s7, v16
	v_cvt_f32_i32_e32 v17, v17
	v_cndmask_b32_e64 v15, v14, v40, s[20:21]
	v_cndmask_b32_e64 v16, v14, v41, s[22:23]
	v_max3_f32 v13, v13, v15, v16
	v_or_b32_e32 v15, 32, v12
	v_or_b32_e32 v16, 33, v12
	v_cmp_gt_i32_e64 s[24:25], s7, v15
	v_cmp_gt_i32_e64 s[26:27], s7, v16
	v_fma_f32 v34, v63, v17, v34
	v_cndmask_b32_e64 v15, v14, v42, s[24:25]
	v_cndmask_b32_e64 v16, v14, v43, s[26:27]
	v_max3_f32 v13, v13, v15, v16
	v_or_b32_e32 v15, 34, v12
	v_or_b32_e32 v16, 35, v12
	v_cmp_gt_i32_e64 s[28:29], s7, v15
	v_cmp_gt_i32_e64 s[30:31], s7, v16
	s_nop 0
	v_cndmask_b32_e64 v15, v14, v38, s[28:29]
	v_cndmask_b32_e64 v16, v14, v39, s[30:31]
	v_max3_f32 v13, v13, v15, v16
	v_or_b32_e32 v15, 48, v12
	v_or_b32_e32 v16, 49, v12
	v_cmp_gt_i32_e64 s[34:35], s7, v15
	v_cmp_gt_i32_e64 s[36:37], s7, v16
	s_nop 0
	v_cndmask_b32_e64 v15, v14, v36, s[34:35]
	v_cndmask_b32_e64 v16, v14, v37, s[36:37]
	v_max3_f32 v13, v13, v15, v16
	v_or_b32_e32 v15, 50, v12
	v_or_b32_e32 v12, 51, v12
	v_cmp_gt_i32_e32 vcc, s7, v15
	v_cmp_gt_i32_e64 s[4:5], s7, v12
	s_nop 0
	v_cndmask_b32_e32 v15, v14, v34, vcc
	v_cndmask_b32_e64 v12, v14, v35, s[4:5]
	v_max3_f32 v16, v13, v15, v12
	v_mbcnt_lo_u32_b32 v12, -1, 0
	v_mbcnt_hi_u32_b32 v17, -1, v12
	v_and_b32_e32 v12, 64, v17
	v_add_u32_e32 v18, 64, v12
	v_xor_b32_e32 v12, 32, v17
	v_cmp_lt_i32_e64 s[38:39], v12, v18
	s_nop 1
	v_cndmask_b32_e64 v12, v17, v12, s[38:39]
	v_lshlrev_b32_e32 v52, 2, v12
	ds_bpermute_b32 v19, v52, v16
	v_lshl_add_u64 v[12:13], v[46:47], 0, v[58:59]
	v_mad_i64_i32 v[14:15], s[38:39], v68, s45, v[12:13]
	s_waitcnt lgkmcnt(0)
	v_max_f32_e32 v19, v19, v19
	v_max_f32_e32 v19, v16, v19
	v_xor_b32_e32 v16, 16, v17
	v_cmp_lt_i32_e64 s[38:39], v16, v18
	s_nop 1
	v_cndmask_b32_e64 v16, v17, v16, s[38:39]
	v_lshlrev_b32_e32 v53, 2, v16
	ds_bpermute_b32 v18, v53, v19
	v_mad_i64_i32 v[16:17], s[38:39], v66, s45, v[12:13]
	v_mad_i64_i32 v[44:45], s[38:39], v67, s45, v[12:13]
	s_waitcnt lgkmcnt(0)
	v_max_f32_e32 v18, v18, v18
	v_max_f32_e32 v50, v19, v18
	v_sub_f32_e32 v10, v10, v50
	v_mul_f32_e32 v10, 0x3fb8aa3b, v10
	v_exp_f32_e32 v18, v10
	v_sub_f32_e32 v10, v11, v50
	v_mul_f32_e32 v10, 0x3fb8aa3b, v10
	v_exp_f32_e32 v19, v10
	v_mad_i64_i32 v[10:11], s[38:39], v65, s45, v[12:13]
	v_sub_f32_e32 v12, v51, v50
	v_mul_f32_e32 v12, 0x3fb8aa3b, v12
	v_cndmask_b32_e64 v46, 0, v18, s[8:9]
	v_cndmask_b32_e64 v47, 0, v19, s[10:11]
	v_sub_f32_e32 v58, v31, v50
	global_load_dwordx4 v[30:33], v[14:15], off
	global_load_dwordx4 v[18:21], v[16:17], off
	v_exp_f32_e32 v51, v12
	global_load_dwordx4 v[14:17], v[44:45], off
	s_nop 0
	global_load_dwordx4 v[10:13], v[10:11], off
	v_sub_f32_e32 v45, v48, v50
	v_sub_f32_e32 v48, v49, v50
	;; [unrolled: 1-line block ×4, first 2 shown]
	v_mul_f32_e32 v44, 0x3fb8aa3b, v58
	v_mul_f32_e32 v45, 0x3fb8aa3b, v45
	;; [unrolled: 1-line block ×5, first 2 shown]
	v_exp_f32_e32 v44, v44
	v_exp_f32_e32 v45, v45
	;; [unrolled: 1-line block ×3, first 2 shown]
	v_cndmask_b32_e64 v48, 0, v51, s[12:13]
	v_exp_f32_e32 v40, v40
	v_exp_f32_e32 v51, v42
	v_sub_f32_e32 v42, v43, v50
	v_mul_f32_e32 v42, 0x3fb8aa3b, v42
	v_cndmask_b32_e64 v49, 0, v44, s[14:15]
	v_cndmask_b32_e64 v44, 0, v45, s[16:17]
	;; [unrolled: 1-line block ×3, first 2 shown]
	v_sub_f32_e32 v41, v41, v50
	v_exp_f32_e32 v58, v42
	v_cndmask_b32_e64 v42, 0, v40, s[20:21]
	v_cndmask_b32_e64 v40, 0, v51, s[24:25]
	v_add_f32_e32 v51, 0, v46
	v_mul_f32_e32 v41, 0x3fb8aa3b, v41
	v_add_f32_e32 v51, v51, v47
	v_exp_f32_e32 v41, v41
	v_add_f32_e32 v51, v51, v48
	v_sub_f32_e32 v38, v38, v50
	v_add_f32_e32 v51, v51, v49
	v_sub_f32_e32 v39, v39, v50
	v_mul_f32_e32 v38, 0x3fb8aa3b, v38
	v_add_f32_e32 v51, v51, v44
	v_exp_f32_e32 v38, v38
	v_mul_f32_e32 v39, 0x3fb8aa3b, v39
	v_sub_f32_e32 v36, v36, v50
	v_add_f32_e32 v51, v51, v45
	v_cndmask_b32_e64 v43, 0, v41, s[22:23]
	v_exp_f32_e32 v39, v39
	v_mul_f32_e32 v36, 0x3fb8aa3b, v36
	v_sub_f32_e32 v37, v37, v50
	v_add_f32_e32 v51, v51, v42
	v_exp_f32_e32 v36, v36
	v_mul_f32_e32 v37, 0x3fb8aa3b, v37
	v_add_f32_e32 v51, v51, v43
	v_sub_f32_e32 v34, v34, v50
	v_cndmask_b32_e64 v41, 0, v58, s[26:27]
	v_exp_f32_e32 v37, v37
	v_add_f32_e32 v51, v51, v40
	v_mul_f32_e32 v34, 0x3fb8aa3b, v34
	v_sub_f32_e32 v35, v35, v50
	v_cndmask_b32_e64 v38, 0, v38, s[28:29]
	v_add_f32_e32 v51, v51, v41
	v_exp_f32_e32 v34, v34
	v_mul_f32_e32 v35, 0x3fb8aa3b, v35
	v_cndmask_b32_e64 v39, 0, v39, s[30:31]
	v_add_f32_e32 v51, v51, v38
	v_exp_f32_e32 v35, v35
	v_cndmask_b32_e64 v36, 0, v36, s[34:35]
	v_add_f32_e32 v51, v51, v39
	v_cndmask_b32_e64 v37, 0, v37, s[36:37]
	v_add_f32_e32 v51, v51, v36
	v_add_f32_e32 v51, v51, v37
	v_cndmask_b32_e32 v34, 0, v34, vcc
	v_add_f32_e32 v51, v51, v34
	v_cndmask_b32_e64 v35, 0, v35, s[4:5]
	v_add_f32_e32 v51, v51, v35
	ds_bpermute_b32 v52, v52, v51
	v_cmp_gt_u32_e32 vcc, 16, v55
	s_waitcnt lgkmcnt(0)
	s_barrier
	v_add_f32_e32 v51, v51, v52
	ds_bpermute_b32 v52, v53, v51
	s_and_saveexec_b64 s[4:5], vcc
	s_cbranch_execz .LBB1333_15
; %bb.14:
	s_waitcnt lgkmcnt(0)
	v_add_f32_e32 v51, v51, v52
	v_lshlrev_b32_e32 v52, 2, v64
	ds_write2st64_b32 v52, v50, v51 offset1:1
.LBB1333_15:
	s_or_b64 exec, exec, s[4:5]
	v_lshlrev_b32_e32 v51, 2, v56
	s_load_dword s7, s[0:1], 0x94
	s_waitcnt lgkmcnt(0)
	s_barrier
	ds_read2_b32 v[52:53], v51 offset1:16
	ds_read2_b32 v[58:59], v51 offset0:32 offset1:48
	ds_read2_b32 v[60:61], v51 offset0:64 offset1:80
	s_movk_i32 s9, 0x7fff
	s_mul_i32 s8, s44, 6
	s_waitcnt lgkmcnt(2)
	v_max3_f32 v50, v52, s40, v53
	s_waitcnt lgkmcnt(1)
	v_max3_f32 v50, v50, v58, v59
	v_sub_f32_e32 v52, v52, v50
	v_mul_f32_e32 v52, 0x3fb8aa3b, v52
	v_exp_f32_e32 v55, v52
	v_sub_f32_e32 v52, v53, v50
	v_mul_f32_e32 v52, 0x3fb8aa3b, v52
	v_exp_f32_e32 v63, v52
	;; [unrolled: 3-line block ×3, first 2 shown]
	ds_read2_b32 v[52:53], v51 offset0:96 offset1:112
	v_sub_f32_e32 v51, v59, v50
	v_mul_f32_e32 v51, 0x3fb8aa3b, v51
	v_exp_f32_e32 v59, v51
	s_waitcnt lgkmcnt(1)
	v_fma_f32 v51, v55, v60, 0
	v_fmac_f32_e32 v51, v63, v61
	s_waitcnt lgkmcnt(0)
	v_fmac_f32_e32 v51, v58, v52
	v_fmac_f32_e32 v51, v59, v53
	v_add_f32_e32 v52, 0x358637bd, v51
	v_div_scale_f32 v53, s[4:5], v52, v52, 1.0
	v_rcp_f32_e32 v60, v53
	s_barrier
	v_fma_f32 v61, -v53, v60, 1.0
	v_fmac_f32_e32 v60, v61, v60
	v_div_scale_f32 v61, vcc, 1.0, v52, 1.0
	v_mul_f32_e32 v64, v61, v60
	v_fma_f32 v65, -v53, v64, v61
	v_fmac_f32_e32 v64, v65, v60
	v_fma_f32 v53, -v53, v64, v61
	v_div_fmas_f32 v53, v53, v60, v64
	v_cmp_eq_u32_e32 vcc, 1, v57
	v_div_fixup_f32 v52, v53, v52, 1.0
	s_nop 0
	v_cndmask_b32_e32 v53, v55, v63, vcc
	v_cmp_eq_u32_e32 vcc, 2, v57
	s_nop 1
	v_cndmask_b32_e32 v53, v53, v58, vcc
	v_cmp_eq_u32_e32 vcc, 3, v57
	s_nop 1
	v_cndmask_b32_e32 v53, v53, v59, vcc
	v_mul_f32_e32 v52, v53, v52
	v_pk_mul_f32 v[46:47], v[52:53], v[46:47] op_sel_hi:[0,1]
	v_pk_mul_f32 v[48:49], v[52:53], v[48:49] op_sel_hi:[0,1]
	v_bfe_u32 v53, v47, 16, 1
	v_bfe_u32 v55, v46, 16, 1
	v_add3_u32 v46, v46, v55, s9
	v_add3_u32 v47, v47, v53, s9
	v_perm_b32 v58, v47, v46, s33
	v_bfe_u32 v46, v49, 16, 1
	v_bfe_u32 v47, v48, 16, 1
	v_add3_u32 v47, v48, v47, s9
	v_add3_u32 v46, v49, v46, s9
	v_perm_b32 v59, v46, v47, s33
	v_lshlrev_b32_e32 v47, 3, v62
	v_lshlrev_b32_e32 v46, 5, v56
	;; [unrolled: 1-line block ×3, first 2 shown]
	v_pk_mul_f32 v[44:45], v[52:53], v[44:45] op_sel_hi:[0,1]
	v_or3_b32 v55, v48, v46, v47
	v_bfe_u32 v47, v45, 16, 1
	v_bfe_u32 v48, v44, 16, 1
	v_pk_mul_f32 v[42:43], v[52:53], v[42:43] op_sel_hi:[0,1]
	v_add3_u32 v44, v44, v48, s9
	v_add3_u32 v45, v45, v47, s9
	v_perm_b32 v44, v45, v44, s33
	v_bfe_u32 v45, v43, 16, 1
	v_bfe_u32 v47, v42, 16, 1
	v_add3_u32 v42, v42, v47, s9
	v_add3_u32 v43, v43, v45, s9
	v_pk_mul_f32 v[40:41], v[52:53], v[40:41] op_sel_hi:[0,1]
	v_perm_b32 v45, v43, v42, s33
	v_bfe_u32 v42, v41, 16, 1
	v_bfe_u32 v43, v40, 16, 1
	v_pk_mul_f32 v[38:39], v[52:53], v[38:39] op_sel_hi:[0,1]
	v_add3_u32 v40, v40, v43, s9
	v_add3_u32 v41, v41, v42, s9
	v_perm_b32 v40, v41, v40, s33
	v_bfe_u32 v41, v39, 16, 1
	v_bfe_u32 v42, v38, 16, 1
	v_add3_u32 v38, v38, v42, s9
	v_add3_u32 v39, v39, v41, s9
	v_pk_mul_f32 v[36:37], v[52:53], v[36:37] op_sel_hi:[0,1]
	v_perm_b32 v41, v39, v38, s33
	v_bfe_u32 v38, v37, 16, 1
	v_bfe_u32 v39, v36, 16, 1
	v_pk_mul_f32 v[34:35], v[52:53], v[34:35] op_sel_hi:[0,1]
	v_add3_u32 v36, v36, v39, s9
	v_add3_u32 v37, v37, v38, s9
	v_perm_b32 v36, v37, v36, s33
	v_bfe_u32 v37, v35, 16, 1
	v_bfe_u32 v38, v34, 16, 1
	v_add3_u32 v34, v34, v38, s9
	v_add3_u32 v35, v35, v37, s9
	v_perm_b32 v37, v35, v34, s33
	v_cmp_gt_u32_e32 vcc, 6, v0
	ds_write2st64_b64 v55, v[58:59], v[44:45] offset1:1
	ds_write2st64_b64 v55, v[40:41], v[36:37] offset0:2 offset1:3
	s_and_saveexec_b64 s[4:5], vcc
	s_cbranch_execz .LBB1333_17
; %bb.16:
	s_mov_b32 s49, 0
	v_mov_b32_e32 v57, 0
	v_lshl_add_u64 v[34:35], s[48:49], 0, v[56:57]
	v_mov_b32_e32 v36, s8
	v_mad_u64_u32 v[34:35], s[10:11], s2, v36, v[34:35]
	s_mul_i32 s3, s3, s8
	v_mov_b32_e32 v36, s6
	v_mov_b32_e32 v37, v57
	s_load_dwordx4 s[12:15], s[0:1], 0x58
	v_add_u32_e32 v38, s3, v35
	v_mad_u64_u32 v[34:35], s[10:11], v34, s7, v[36:37]
	v_mov_b32_e32 v36, v35
	v_mad_u64_u32 v[36:37], s[10:11], v38, s7, v[36:37]
	v_mov_b32_e32 v35, v36
	v_lshlrev_b64 v[34:35], 2, v[34:35]
	s_waitcnt lgkmcnt(0)
	v_lshl_add_u64 v[36:37], s[14:15], 0, v[34:35]
	v_lshl_add_u64 v[34:35], s[12:13], 0, v[34:35]
	global_store_dword v[36:37], v50, off
	global_store_dword v[34:35], v51, off
.LBB1333_17:
	s_or_b64 exec, exec, s[4:5]
	s_waitcnt vmcnt(7)
	v_cvt_pk_f32_fp8_e32 v[34:35], v6
	v_cvt_pk_f32_fp8_sdwa v[36:37], v6 src0_sel:WORD_1
	v_lshl_or_b32 v50, v62, 9, v46
	s_mov_b32 s5, 0x7060302
	s_waitcnt lgkmcnt(0)
	s_barrier
	v_cvt_pk_f32_fp8_e32 v[38:39], v7
	v_perm_b32 v6, v35, v34, s5
	v_cvt_pk_f32_fp8_sdwa v[40:41], v7 src0_sel:WORD_1
	v_perm_b32 v7, v37, v36, s5
	ds_read_b128 v[34:37], v50
	v_perm_b32 v46, v39, v38, s5
	v_perm_b32 v47, v41, v40, s5
	ds_read_b128 v[38:41], v50 offset:16
	v_cvt_pk_f32_fp8_e32 v[48:49], v8
	v_cvt_pk_f32_fp8_sdwa v[52:53], v8 src0_sel:WORD_1
	s_waitcnt lgkmcnt(1)
	v_mfma_f32_16x16x16_bf16 v[42:45], v[6:7], v[34:35], 0
	s_waitcnt vmcnt(6)
	v_cvt_pk_f32_fp8_e32 v[58:59], v4
	v_perm_b32 v6, v49, v48, s5
	v_perm_b32 v7, v53, v52, s5
	v_cvt_pk_f32_fp8_e32 v[48:49], v9
	v_mfma_f32_16x16x16_bf16 v[42:45], v[46:47], v[36:37], v[42:45]
	v_cvt_pk_f32_fp8_sdwa v[46:47], v9 src0_sel:WORD_1
	v_cvt_pk_f32_fp8_sdwa v[60:61], v4 src0_sel:WORD_1
	v_perm_b32 v48, v49, v48, s5
	s_waitcnt lgkmcnt(0)
	v_mfma_f32_16x16x16_bf16 v[6:9], v[6:7], v[38:39], v[42:45]
	v_perm_b32 v49, v47, v46, s5
	s_waitcnt vmcnt(5)
	v_cvt_pk_f32_fp8_e32 v[64:65], v28
	v_cvt_pk_f32_fp8_sdwa v[66:67], v28 src0_sel:WORD_1
	v_cvt_pk_f32_fp8_e32 v[42:43], v2
	v_mfma_f32_16x16x16_bf16 v[46:49], v[48:49], v[40:41], v[6:9]
	s_waitcnt vmcnt(4)
	v_cvt_pk_f32_fp8_sdwa v[68:69], v24 src0_sel:WORD_1
	s_load_dword s4, s[42:43], 0x0
	v_cvt_pk_f32_fp8_sdwa v[6:7], v2 src0_sel:WORD_1
	v_cvt_pk_f32_fp8_e32 v[8:9], v3
	v_perm_b32 v2, v43, v42, s5
	v_cvt_pk_f32_fp8_sdwa v[42:43], v3 src0_sel:WORD_1
	v_perm_b32 v3, v7, v6, s5
	v_perm_b32 v52, v9, v8, s5
	ds_read_b128 v[6:9], v50 offset:2048
	v_perm_b32 v53, v43, v42, s5
	ds_read_b128 v[42:45], v50 offset:2064
	s_waitcnt lgkmcnt(0)
	v_mfma_f32_16x16x16_bf16 v[46:49], v[2:3], v[6:7], v[46:49]
	v_perm_b32 v2, v59, v58, s5
	v_perm_b32 v3, v61, v60, s5
	v_cvt_pk_f32_fp8_e32 v[58:59], v5
	v_mfma_f32_16x16x16_bf16 v[46:49], v[52:53], v[8:9], v[46:49]
	v_cvt_pk_f32_fp8_sdwa v[52:53], v5 src0_sel:WORD_1
	s_waitcnt vmcnt(3)
	v_cvt_pk_f32_fp8_sdwa v[70:71], v32 src0_sel:WORD_1
	v_perm_b32 v58, v59, v58, s5
	v_mfma_f32_16x16x16_bf16 v[2:5], v[2:3], v[42:43], v[46:49]
	v_perm_b32 v59, v53, v52, s5
	s_mov_b32 s3, 0
	v_cmp_gt_u32_e32 vcc, 64, v0
	v_cvt_pk_f32_fp8_e32 v[46:47], v26
	v_mfma_f32_16x16x16_bf16 v[58:61], v[58:59], v[44:45], v[2:5]
	s_nop 2
	v_cvt_pk_f32_fp8_sdwa v[2:3], v26 src0_sel:WORD_1
	v_cvt_pk_f32_fp8_e32 v[4:5], v27
	v_perm_b32 v26, v47, v46, s5
	v_cvt_pk_f32_fp8_sdwa v[46:47], v27 src0_sel:WORD_1
	v_perm_b32 v27, v3, v2, s5
	v_perm_b32 v52, v5, v4, s5
	ds_read_b128 v[2:5], v50 offset:4096
	v_perm_b32 v53, v47, v46, s5
	ds_read_b128 v[46:49], v50 offset:4112
	s_waitcnt lgkmcnt(1)
	v_mfma_f32_16x16x16_bf16 v[58:61], v[26:27], v[2:3], v[58:61]
	v_perm_b32 v26, v65, v64, s5
	v_perm_b32 v27, v67, v66, s5
	v_cvt_pk_f32_fp8_e32 v[64:65], v29
	v_mfma_f32_16x16x16_bf16 v[58:61], v[52:53], v[4:5], v[58:61]
	v_cvt_pk_f32_fp8_sdwa v[52:53], v29 src0_sel:WORD_1
	v_cvt_pk_f32_fp8_e32 v[66:67], v24
	v_perm_b32 v64, v65, v64, s5
	s_waitcnt lgkmcnt(0)
	v_mfma_f32_16x16x16_bf16 v[26:29], v[26:27], v[46:47], v[58:61]
	v_perm_b32 v65, v53, v52, s5
	v_cvt_pk_f32_fp8_e32 v[52:53], v22
	s_nop 0
	v_mfma_f32_16x16x16_bf16 v[58:61], v[64:65], v[48:49], v[26:29]
	s_nop 2
	v_cvt_pk_f32_fp8_sdwa v[26:27], v22 src0_sel:WORD_1
	v_cvt_pk_f32_fp8_e32 v[28:29], v23
	v_perm_b32 v22, v53, v52, s5
	v_cvt_pk_f32_fp8_sdwa v[52:53], v23 src0_sel:WORD_1
	v_perm_b32 v23, v27, v26, s5
	v_perm_b32 v64, v29, v28, s5
	ds_read_b128 v[26:29], v50 offset:6144
	v_perm_b32 v65, v53, v52, s5
	s_waitcnt lgkmcnt(0)
	v_mfma_f32_16x16x16_bf16 v[58:61], v[22:23], v[26:27], v[58:61]
	ds_read_b128 v[50:53], v50 offset:6160
	v_perm_b32 v22, v67, v66, s5
	v_perm_b32 v23, v69, v68, s5
	v_cvt_pk_f32_fp8_e32 v[66:67], v25
	v_mfma_f32_16x16x16_bf16 v[58:61], v[64:65], v[28:29], v[58:61]
	v_cvt_pk_f32_fp8_sdwa v[64:65], v25 src0_sel:WORD_1
	v_cvt_pk_f32_fp8_e32 v[68:69], v32
	v_perm_b32 v66, v67, v66, s5
	s_waitcnt lgkmcnt(0)
	v_mfma_f32_16x16x16_bf16 v[22:25], v[22:23], v[50:51], v[58:61]
	v_perm_b32 v67, v65, v64, s5
	s_barrier
	s_nop 0
	v_mfma_f32_16x16x16_bf16 v[58:61], v[66:67], v[52:53], v[22:25]
	s_nop 2
	v_cvt_pk_f32_fp8_e32 v[24:25], v30
	v_perm_b32 v24, v25, v24, s5
	s_nop 1
	v_pk_mul_f32 v[22:23], v[60:61], s[4:5] op_sel_hi:[1,0]
	v_cvt_pk_f32_fp8_sdwa v[60:61], v30 src0_sel:WORD_1
	v_pk_mul_f32 v[64:65], v[58:59], s[4:5] op_sel_hi:[1,0]
	v_cvt_pk_f32_fp8_e32 v[58:59], v31
	v_cvt_pk_f32_fp8_sdwa v[30:31], v31 src0_sel:WORD_1
	v_perm_b32 v25, v61, v60, s5
	v_bfe_u32 v57, v65, 16, 1
	v_perm_b32 v66, v59, v58, s5
	v_perm_b32 v67, v31, v30, s5
	v_mfma_f32_16x16x16_bf16 v[58:61], v[24:25], v[34:35], 0
	v_perm_b32 v24, v69, v68, s5
	v_perm_b32 v25, v71, v70, s5
	v_cvt_pk_f32_fp8_e32 v[34:35], v33
	v_cvt_pk_f32_fp8_sdwa v[68:69], v33 src0_sel:WORD_1
	v_mfma_f32_16x16x16_bf16 v[30:33], v[66:67], v[36:37], v[58:61]
	s_waitcnt vmcnt(2)
	v_cvt_pk_f32_fp8_sdwa v[36:37], v18 src0_sel:WORD_1
	v_perm_b32 v34, v35, v34, s5
	v_perm_b32 v35, v69, v68, s5
	v_mfma_f32_16x16x16_bf16 v[30:33], v[24:25], v[38:39], v[30:33]
	v_cvt_pk_f32_fp8_e32 v[24:25], v18
	v_cvt_pk_f32_fp8_sdwa v[38:39], v20 src0_sel:WORD_1
	v_bfe_u32 v58, v64, 16, 1
	v_mfma_f32_16x16x16_bf16 v[30:33], v[34:35], v[40:41], v[30:33]
	v_cvt_pk_f32_fp8_e32 v[34:35], v19
	v_perm_b32 v24, v25, v24, s5
	v_perm_b32 v25, v37, v36, s5
	v_cvt_pk_f32_fp8_sdwa v[18:19], v19 src0_sel:WORD_1
	v_perm_b32 v34, v35, v34, s5
	v_cvt_pk_f32_fp8_e32 v[36:37], v20
	v_mfma_f32_16x16x16_bf16 v[30:33], v[24:25], v[6:7], v[30:33]
	v_perm_b32 v35, v19, v18, s5
	v_perm_b32 v18, v37, v36, s5
	;; [unrolled: 1-line block ×3, first 2 shown]
	v_cvt_pk_f32_fp8_e32 v[24:25], v21
	v_cvt_pk_f32_fp8_sdwa v[20:21], v21 src0_sel:WORD_1
	v_mfma_f32_16x16x16_bf16 v[6:9], v[34:35], v[8:9], v[30:33]
	v_perm_b32 v24, v25, v24, s5
	v_perm_b32 v25, v21, v20, s5
	v_mfma_f32_16x16x16_bf16 v[6:9], v[18:19], v[42:43], v[6:9]
	s_waitcnt vmcnt(1)
	v_cvt_pk_f32_fp8_e32 v[18:19], v14
	v_cvt_pk_f32_fp8_sdwa v[20:21], v14 src0_sel:WORD_1
	v_cvt_pk_f32_fp8_sdwa v[30:31], v16 src0_sel:WORD_1
	v_mfma_f32_16x16x16_bf16 v[6:9], v[24:25], v[44:45], v[6:9]
	v_cvt_pk_f32_fp8_e32 v[24:25], v15
	v_perm_b32 v18, v19, v18, s5
	v_perm_b32 v19, v21, v20, s5
	v_cvt_pk_f32_fp8_sdwa v[14:15], v15 src0_sel:WORD_1
	v_perm_b32 v20, v25, v24, s5
	v_cvt_pk_f32_fp8_e32 v[24:25], v16
	v_mfma_f32_16x16x16_bf16 v[6:9], v[18:19], v[2:3], v[6:9]
	v_perm_b32 v21, v15, v14, s5
	v_perm_b32 v14, v25, v24, s5
	;; [unrolled: 1-line block ×3, first 2 shown]
	v_cvt_pk_f32_fp8_e32 v[18:19], v17
	v_cvt_pk_f32_fp8_sdwa v[16:17], v17 src0_sel:WORD_1
	v_mfma_f32_16x16x16_bf16 v[2:5], v[20:21], v[4:5], v[6:9]
	v_add3_u32 v32, v64, v58, s9
	v_add3_u32 v33, v65, v57, s9
	s_nop 0
	v_perm_b32 v8, v19, v18, s5
	v_perm_b32 v9, v17, v16, s5
	v_mfma_f32_16x16x16_bf16 v[2:5], v[14:15], v[46:47], v[2:5]
	s_waitcnt vmcnt(0)
	v_cvt_pk_f32_fp8_e32 v[14:15], v10
	v_cvt_pk_f32_fp8_sdwa v[16:17], v10 src0_sel:WORD_1
	v_cvt_pk_f32_fp8_sdwa v[18:19], v12 src0_sel:WORD_1
	v_mfma_f32_16x16x16_bf16 v[2:5], v[8:9], v[48:49], v[2:5]
	v_cvt_pk_f32_fp8_e32 v[8:9], v11
	v_perm_b32 v14, v15, v14, s5
	v_perm_b32 v15, v17, v16, s5
	v_cvt_pk_f32_fp8_sdwa v[10:11], v11 src0_sel:WORD_1
	v_perm_b32 v8, v9, v8, s5
	v_cvt_pk_f32_fp8_e32 v[16:17], v12
	v_mfma_f32_16x16x16_bf16 v[2:5], v[14:15], v[26:27], v[2:5]
	v_perm_b32 v9, v11, v10, s5
	v_perm_b32 v10, v17, v16, s5
	;; [unrolled: 1-line block ×3, first 2 shown]
	v_cvt_pk_f32_fp8_e32 v[14:15], v13
	v_cvt_pk_f32_fp8_sdwa v[12:13], v13 src0_sel:WORD_1
	v_mfma_f32_16x16x16_bf16 v[2:5], v[8:9], v[28:29], v[2:5]
	v_bfe_u32 v7, v23, 16, 1
	v_perm_b32 v8, v15, v14, s5
	v_perm_b32 v9, v13, v12, s5
	v_mfma_f32_16x16x16_bf16 v[2:5], v[10:11], v[50:51], v[2:5]
	v_bfe_u32 v16, v22, 16, 1
	v_add3_u32 v10, v22, v16, s9
	v_add3_u32 v7, v23, v7, s9
	v_mfma_f32_16x16x16_bf16 v[2:5], v[8:9], v[52:53], v[2:5]
	v_perm_b32 v6, v33, v32, s5
	v_perm_b32 v7, v7, v10, s5
	s_nop 4
	v_pk_mul_f32 v[2:3], v[2:3], s[4:5] op_sel_hi:[1,0]
	v_pk_mul_f32 v[4:5], v[4:5], s[4:5] op_sel_hi:[1,0]
	v_bfe_u32 v8, v3, 16, 1
	v_bfe_u32 v9, v2, 16, 1
	v_add3_u32 v2, v2, v9, s9
	v_add3_u32 v3, v3, v8, s9
	v_perm_b32 v2, v3, v2, s5
	v_bfe_u32 v3, v5, 16, 1
	v_bfe_u32 v8, v4, 16, 1
	v_add3_u32 v4, v4, v8, s9
	v_add3_u32 v3, v5, v3, s9
	v_perm_b32 v3, v3, v4, s5
	ds_write2st64_b64 v55, v[6:7], v[2:3] offset1:1
	s_waitcnt lgkmcnt(0)
	s_barrier
	s_and_saveexec_b64 s[4:5], vcc
	s_cbranch_execz .LBB1333_20
; %bb.18:
	s_load_dwordx2 s[4:5], s[0:1], 0x68
	s_lshl_b32 s0, s7, 7
	s_mul_i32 s1, s8, s2
	v_lshlrev_b32_e32 v4, 6, v56
	s_mul_hi_u32 s9, s1, s0
	s_mul_i32 s8, s1, s0
	v_lshl_or_b32 v0, v0, 10, v4
	s_lshl_b64 s[8:9], s[8:9], 1
	v_lshlrev_b32_e32 v3, 5, v62
	v_and_b32_e32 v1, 16, v1
	v_and_b32_e32 v0, 0x1a00, v0
	s_waitcnt lgkmcnt(0)
	s_add_u32 s1, s4, s8
	v_or3_b32 v3, v0, v3, v1
	s_addc_u32 s4, s5, s9
	s_lshl_b32 s2, s6, 7
	s_lshl_b64 s[2:3], s[2:3], 1
	ds_read_b128 v[4:7], v3
	s_add_u32 s2, s1, s2
	s_addc_u32 s3, s4, s3
	v_mov_b32_e32 v55, 0
	v_add_u32_e32 v8, s48, v62
	v_or_b32_e32 v2, 4, v62
	v_lshl_add_u64 v[0:1], s[2:3], 0, v[54:55]
	v_mad_u64_u32 v[8:9], s[2:3], v8, s0, 0
	v_lshl_add_u64 v[8:9], v[8:9], 1, v[0:1]
	v_cmp_gt_u32_e32 vcc, 6, v2
	s_waitcnt lgkmcnt(0)
	global_store_dwordx4 v[8:9], v[4:7], off
	s_and_b64 exec, exec, vcc
	s_cbranch_execz .LBB1333_20
; %bb.19:
	ds_read_b128 v[4:7], v3 offset:128
	v_add_u32_e32 v2, s48, v2
	v_mad_u64_u32 v[2:3], s[0:1], v2, s0, 0
	v_lshl_add_u64 v[0:1], v[2:3], 1, v[0:1]
	s_waitcnt lgkmcnt(0)
	global_store_dwordx4 v[0:1], v[4:7], off
.LBB1333_20:
	s_endpgm
	.section	.rodata,"a",@progbits
	.p2align	6, 0x0
	.amdhsa_kernel _Z39paged_attention_ll4mi_QKV_mfma16_kernelI14__hip_bfloat16hLN4vllm18Fp8KVCacheDataTypeE1EhLi32ELi128ELi256ELb1ELi6EEvPKT_PKT0_S8_ifPKiSA_SA_iPKfiiiPfSD_PS3_PT2_iSC_SC_
		.amdhsa_group_segment_fixed_size 8192
		.amdhsa_private_segment_fixed_size 0
		.amdhsa_kernarg_size 400
		.amdhsa_user_sgpr_count 2
		.amdhsa_user_sgpr_dispatch_ptr 0
		.amdhsa_user_sgpr_queue_ptr 0
		.amdhsa_user_sgpr_kernarg_segment_ptr 1
		.amdhsa_user_sgpr_dispatch_id 0
		.amdhsa_user_sgpr_kernarg_preload_length 0
		.amdhsa_user_sgpr_kernarg_preload_offset 0
		.amdhsa_user_sgpr_private_segment_size 0
		.amdhsa_uses_dynamic_stack 0
		.amdhsa_enable_private_segment 0
		.amdhsa_system_sgpr_workgroup_id_x 1
		.amdhsa_system_sgpr_workgroup_id_y 1
		.amdhsa_system_sgpr_workgroup_id_z 1
		.amdhsa_system_sgpr_workgroup_info 0
		.amdhsa_system_vgpr_workitem_id 0
		.amdhsa_next_free_vgpr 78
		.amdhsa_next_free_sgpr 50
		.amdhsa_accum_offset 80
		.amdhsa_reserve_vcc 1
		.amdhsa_float_round_mode_32 0
		.amdhsa_float_round_mode_16_64 0
		.amdhsa_float_denorm_mode_32 3
		.amdhsa_float_denorm_mode_16_64 3
		.amdhsa_dx10_clamp 1
		.amdhsa_ieee_mode 1
		.amdhsa_fp16_overflow 0
		.amdhsa_tg_split 0
		.amdhsa_exception_fp_ieee_invalid_op 0
		.amdhsa_exception_fp_denorm_src 0
		.amdhsa_exception_fp_ieee_div_zero 0
		.amdhsa_exception_fp_ieee_overflow 0
		.amdhsa_exception_fp_ieee_underflow 0
		.amdhsa_exception_fp_ieee_inexact 0
		.amdhsa_exception_int_div_zero 0
	.end_amdhsa_kernel
	.section	.text._Z39paged_attention_ll4mi_QKV_mfma16_kernelI14__hip_bfloat16hLN4vllm18Fp8KVCacheDataTypeE1EhLi32ELi128ELi256ELb1ELi6EEvPKT_PKT0_S8_ifPKiSA_SA_iPKfiiiPfSD_PS3_PT2_iSC_SC_,"axG",@progbits,_Z39paged_attention_ll4mi_QKV_mfma16_kernelI14__hip_bfloat16hLN4vllm18Fp8KVCacheDataTypeE1EhLi32ELi128ELi256ELb1ELi6EEvPKT_PKT0_S8_ifPKiSA_SA_iPKfiiiPfSD_PS3_PT2_iSC_SC_,comdat
.Lfunc_end1333:
	.size	_Z39paged_attention_ll4mi_QKV_mfma16_kernelI14__hip_bfloat16hLN4vllm18Fp8KVCacheDataTypeE1EhLi32ELi128ELi256ELb1ELi6EEvPKT_PKT0_S8_ifPKiSA_SA_iPKfiiiPfSD_PS3_PT2_iSC_SC_, .Lfunc_end1333-_Z39paged_attention_ll4mi_QKV_mfma16_kernelI14__hip_bfloat16hLN4vllm18Fp8KVCacheDataTypeE1EhLi32ELi128ELi256ELb1ELi6EEvPKT_PKT0_S8_ifPKiSA_SA_iPKfiiiPfSD_PS3_PT2_iSC_SC_
                                        ; -- End function
	.section	.AMDGPU.csdata,"",@progbits
; Kernel info:
; codeLenInByte = 6668
; NumSgprs: 56
; NumVgprs: 78
; NumAgprs: 0
; TotalNumVgprs: 78
; ScratchSize: 0
; MemoryBound: 0
; FloatMode: 240
; IeeeMode: 1
; LDSByteSize: 8192 bytes/workgroup (compile time only)
; SGPRBlocks: 6
; VGPRBlocks: 9
; NumSGPRsForWavesPerEU: 56
; NumVGPRsForWavesPerEU: 78
; AccumOffset: 80
; Occupancy: 6
; WaveLimiterHint : 1
; COMPUTE_PGM_RSRC2:SCRATCH_EN: 0
; COMPUTE_PGM_RSRC2:USER_SGPR: 2
; COMPUTE_PGM_RSRC2:TRAP_HANDLER: 0
; COMPUTE_PGM_RSRC2:TGID_X_EN: 1
; COMPUTE_PGM_RSRC2:TGID_Y_EN: 1
; COMPUTE_PGM_RSRC2:TGID_Z_EN: 1
; COMPUTE_PGM_RSRC2:TIDIG_COMP_CNT: 0
; COMPUTE_PGM_RSRC3_GFX90A:ACCUM_OFFSET: 19
; COMPUTE_PGM_RSRC3_GFX90A:TG_SPLIT: 0
	.section	.text._Z39paged_attention_ll4mi_QKV_mfma16_kernelI14__hip_bfloat16hLN4vllm18Fp8KVCacheDataTypeE1EhLi32ELi128ELi256ELb1ELi7EEvPKT_PKT0_S8_ifPKiSA_SA_iPKfiiiPfSD_PS3_PT2_iSC_SC_,"axG",@progbits,_Z39paged_attention_ll4mi_QKV_mfma16_kernelI14__hip_bfloat16hLN4vllm18Fp8KVCacheDataTypeE1EhLi32ELi128ELi256ELb1ELi7EEvPKT_PKT0_S8_ifPKiSA_SA_iPKfiiiPfSD_PS3_PT2_iSC_SC_,comdat
	.protected	_Z39paged_attention_ll4mi_QKV_mfma16_kernelI14__hip_bfloat16hLN4vllm18Fp8KVCacheDataTypeE1EhLi32ELi128ELi256ELb1ELi7EEvPKT_PKT0_S8_ifPKiSA_SA_iPKfiiiPfSD_PS3_PT2_iSC_SC_ ; -- Begin function _Z39paged_attention_ll4mi_QKV_mfma16_kernelI14__hip_bfloat16hLN4vllm18Fp8KVCacheDataTypeE1EhLi32ELi128ELi256ELb1ELi7EEvPKT_PKT0_S8_ifPKiSA_SA_iPKfiiiPfSD_PS3_PT2_iSC_SC_
	.globl	_Z39paged_attention_ll4mi_QKV_mfma16_kernelI14__hip_bfloat16hLN4vllm18Fp8KVCacheDataTypeE1EhLi32ELi128ELi256ELb1ELi7EEvPKT_PKT0_S8_ifPKiSA_SA_iPKfiiiPfSD_PS3_PT2_iSC_SC_
	.p2align	8
	.type	_Z39paged_attention_ll4mi_QKV_mfma16_kernelI14__hip_bfloat16hLN4vllm18Fp8KVCacheDataTypeE1EhLi32ELi128ELi256ELb1ELi7EEvPKT_PKT0_S8_ifPKiSA_SA_iPKfiiiPfSD_PS3_PT2_iSC_SC_,@function
_Z39paged_attention_ll4mi_QKV_mfma16_kernelI14__hip_bfloat16hLN4vllm18Fp8KVCacheDataTypeE1EhLi32ELi128ELi256ELb1ELi7EEvPKT_PKT0_S8_ifPKiSA_SA_iPKfiiiPfSD_PS3_PT2_iSC_SC_: ; @_Z39paged_attention_ll4mi_QKV_mfma16_kernelI14__hip_bfloat16hLN4vllm18Fp8KVCacheDataTypeE1EhLi32ELi128ELi256ELb1ELi7EEvPKT_PKT0_S8_ifPKiSA_SA_iPKfiiiPfSD_PS3_PT2_iSC_SC_
; %bb.0:
	s_load_dwordx2 s[10:11], s[0:1], 0x30
	s_mov_b32 s6, s3
	s_mov_b64 s[8:9], 0
	s_waitcnt lgkmcnt(0)
	s_cmp_lg_u64 s[10:11], 0
	s_cselect_b64 s[12:13], -1, 0
	s_and_b64 vcc, exec, s[12:13]
	s_cbranch_vccz .LBB1334_7
; %bb.1:
	s_add_i32 s14, s2, 1
	s_mov_b32 s15, 0
	s_lshl_b64 s[16:17], s[14:15], 2
	s_add_u32 s16, s10, s16
	s_mov_b32 s3, s15
	s_addc_u32 s17, s11, s17
	s_lshl_b64 s[14:15], s[2:3], 2
	s_add_u32 s14, s10, s14
	s_addc_u32 s15, s11, s15
	s_load_dword s5, s[16:17], 0x0
	s_load_dword s7, s[14:15], 0x0
	s_waitcnt lgkmcnt(0)
	s_sub_i32 s5, s5, s7
	s_cmp_eq_u32 s5, 1
	s_cselect_b64 s[14:15], -1, 0
	s_andn2_b64 vcc, exec, s[8:9]
	s_cbranch_vccnz .LBB1334_3
.LBB1334_2:
	s_mov_b32 s3, 0
	s_mov_b64 s[14:15], -1
.LBB1334_3:
	s_andn2_b64 vcc, exec, s[14:15]
	s_cbranch_vccnz .LBB1334_20
; %bb.4:
	s_load_dwordx2 s[8:9], s[0:1], 0x28
	s_lshl_b64 s[16:17], s[2:3], 2
	s_waitcnt lgkmcnt(0)
	s_add_u32 s8, s8, s16
	s_addc_u32 s9, s9, s17
	s_load_dword s7, s[8:9], 0x0
	s_lshl_b32 s18, s6, 8
	s_waitcnt lgkmcnt(0)
	s_cmp_ge_i32 s18, s7
	s_cbranch_scc1 .LBB1334_20
; %bb.5:
	s_load_dwordx2 s[8:9], s[0:1], 0x20
	s_load_dword s5, s[0:1], 0x38
	s_add_i32 s14, s7, 31
	s_ashr_i32 s15, s14, 31
	v_and_b32_e32 v1, 0xcf, v0
	s_lshr_b32 s15, s15, 27
	v_add_u32_e32 v1, s18, v1
	s_add_i32 s14, s14, s15
	v_ashrrev_i32_e32 v2, 31, v1
	s_ashr_i32 s19, s14, 5
	v_lshrrev_b32_e32 v4, 27, v2
	s_add_i32 s19, s19, -1
	s_waitcnt lgkmcnt(0)
	s_mul_i32 s14, s2, s5
	s_mov_b32 s15, 0
	v_add_u32_e32 v2, v1, v4
	s_lshl_b64 s[14:15], s[14:15], 2
	v_ashrrev_i32_e32 v2, 5, v2
	v_mov_b32_e32 v5, s19
	v_cmp_gt_i32_e32 vcc, s7, v1
	s_add_u32 s8, s8, s14
	s_addc_u32 s9, s9, s15
	v_cndmask_b32_e32 v2, v5, v2, vcc
	v_ashrrev_i32_e32 v3, 31, v2
	v_lshl_add_u64 v[6:7], v[2:3], 2, s[8:9]
	v_or_b32_e32 v2, 16, v1
	v_add_u32_e32 v3, v2, v4
	v_ashrrev_i32_e32 v3, 5, v3
	v_cmp_gt_i32_e32 vcc, s7, v2
	s_load_dwordx2 s[14:15], s[0:1], 0x8
	s_nop 0
	v_cndmask_b32_e32 v2, v5, v3, vcc
	v_ashrrev_i32_e32 v3, 31, v2
	v_lshl_add_u64 v[8:9], v[2:3], 2, s[8:9]
	v_or_b32_e32 v2, 32, v1
	v_add_u32_e32 v3, v2, v4
	v_ashrrev_i32_e32 v3, 5, v3
	v_cmp_gt_i32_e32 vcc, s7, v2
	v_or_b32_e32 v1, 48, v1
	s_nop 0
	v_cndmask_b32_e32 v2, v5, v3, vcc
	v_ashrrev_i32_e32 v3, 31, v2
	v_lshl_add_u64 v[12:13], v[2:3], 2, s[8:9]
	v_add_u32_e32 v2, v1, v4
	v_ashrrev_i32_e32 v2, 5, v2
	v_cmp_gt_i32_e32 vcc, s7, v1
	s_nop 1
	v_cndmask_b32_e32 v2, v5, v2, vcc
	v_ashrrev_i32_e32 v3, 31, v2
	v_lshl_add_u64 v[14:15], v[2:3], 2, s[8:9]
	global_load_dword v4, v[6:7], off
	global_load_dword v3, v[8:9], off
	;; [unrolled: 1-line block ×4, first 2 shown]
	s_andn2_b64 vcc, exec, s[12:13]
	s_cbranch_vccnz .LBB1334_8
; %bb.6:
	s_add_u32 s10, s10, s16
	s_addc_u32 s11, s11, s17
	s_load_dword s5, s[10:11], 0x0
	s_branch .LBB1334_9
.LBB1334_7:
	s_mov_b64 s[14:15], 0
	s_branch .LBB1334_2
.LBB1334_8:
	s_mov_b32 s5, s2
.LBB1334_9:
	s_load_dwordx2 s[10:11], s[0:1], 0x10
	s_load_dwordx4 s[44:47], s[0:1], 0x48
	v_lshrrev_b32_e32 v57, 6, v0
	v_bfe_u32 v62, v0, 4, 2
	v_and_b32_e32 v56, 15, v0
	v_lshl_or_b32 v5, v57, 2, v62
	v_lshlrev_b32_e32 v1, 3, v56
	s_mul_i32 s48, s4, 7
	v_cmp_gt_u32_e32 vcc, 7, v5
	v_lshlrev_b32_e32 v54, 1, v1
	v_lshlrev_b32_e32 v1, 4, v0
	s_and_saveexec_b64 s[12:13], vcc
	s_cbranch_execz .LBB1334_11
; %bb.10:
	s_load_dwordx2 s[16:17], s[0:1], 0x0
	s_waitcnt lgkmcnt(0)
	s_ashr_i32 s20, s44, 31
	s_mul_hi_u32 s21, s5, s44
	s_mul_i32 s20, s5, s20
	s_add_i32 s21, s21, s20
	s_mul_i32 s20, s5, s44
	s_lshl_b64 s[20:21], s[20:21], 1
	s_add_u32 s16, s16, s20
	v_add_lshl_u32 v6, v5, s48, 7
	s_addc_u32 s17, s17, s21
	v_ashrrev_i32_e32 v7, 31, v6
	v_lshl_add_u64 v[6:7], v[6:7], 1, s[16:17]
	v_mov_b32_e32 v55, 0
	v_lshl_add_u64 v[6:7], v[6:7], 0, v[54:55]
	global_load_dwordx4 v[6:9], v[6:7], off
	v_lshlrev_b32_e32 v12, 8, v0
	v_lshlrev_b32_e32 v11, 8, v56
	v_and_b32_e32 v12, 0x600, v12
	s_movk_i32 s5, 0x800
	v_and_or_b32 v11, v11, s5, v12
	v_lshlrev_b32_e32 v5, 5, v5
	v_and_b32_e32 v12, 16, v1
	v_or3_b32 v5, v11, v5, v12
	s_waitcnt vmcnt(0)
	ds_write_b128 v5, v[6:9]
.LBB1334_11:
	s_or_b64 exec, exec, s[12:13]
	s_waitcnt lgkmcnt(0)
	s_mul_i32 s12, s4, s46
	s_add_u32 s4, s14, s12
	s_addc_u32 s5, s15, 0
	v_mov_b32_e32 v59, 0
	v_mov_b64_e32 v[12:13], s[4:5]
	v_and_b32_e32 v34, 48, v0
	s_waitcnt vmcnt(3)
	v_mad_i64_i32 v[4:5], s[4:5], v4, s45, v[12:13]
	v_lshlrev_b32_e32 v14, 4, v56
	v_mov_b32_e32 v15, v59
	v_lshlrev_b32_e32 v58, 5, v34
	v_lshl_add_u64 v[4:5], v[4:5], 0, v[14:15]
	v_lshl_add_u64 v[4:5], v[4:5], 0, v[58:59]
	s_barrier
	global_load_dwordx4 v[50:53], v[4:5], off
	global_load_dwordx4 v[46:49], v[4:5], off offset:2048
	s_waitcnt vmcnt(4)
	v_mad_i64_i32 v[4:5], s[4:5], v3, s45, v[12:13]
	v_or_b32_e32 v16, 0x100, v14
	v_mov_b32_e32 v17, v59
	s_waitcnt vmcnt(3)
	v_mad_i64_i32 v[2:3], s[4:5], v2, s45, v[12:13]
	v_lshl_add_u64 v[4:5], v[4:5], 0, v[16:17]
	v_lshl_add_u64 v[2:3], v[2:3], 0, v[14:15]
	s_waitcnt vmcnt(2)
	v_mad_i64_i32 v[10:11], s[4:5], v10, s45, v[12:13]
	v_lshl_add_u64 v[4:5], v[4:5], 0, v[58:59]
	v_lshl_add_u64 v[14:15], v[2:3], 0, v[58:59]
	;; [unrolled: 1-line block ×3, first 2 shown]
	global_load_dwordx4 v[36:39], v[4:5], off
	global_load_dwordx4 v[6:9], v[4:5], off offset:2048
	s_nop 0
	global_load_dwordx4 v[2:5], v[14:15], off
	global_load_dwordx4 v[42:45], v[14:15], off offset:2048
	v_lshl_add_u64 v[14:15], v[10:11], 0, v[58:59]
	global_load_dwordx4 v[26:29], v[14:15], off
	global_load_dwordx4 v[10:13], v[14:15], off offset:2048
	v_mul_lo_u16_e32 v14, 37, v56
	v_mov_b32_e32 v15, 7
	v_mul_lo_u16_sdwa v14, v14, v15 dst_sel:DWORD dst_unused:UNUSED_PAD src0_sel:BYTE_1 src1_sel:DWORD
	v_sub_u16_e32 v14, v56, v14
	v_mov_b32_e32 v15, 5
	v_lshlrev_b32_sdwa v14, v15, v14 dst_sel:DWORD dst_unused:UNUSED_PAD src0_sel:DWORD src1_sel:BYTE_0
	v_lshl_add_u32 v14, v62, 9, v14
	ds_read_b128 v[30:33], v14
	ds_read_b128 v[22:25], v14 offset:16
	ds_read_b128 v[18:21], v14 offset:2048
	;; [unrolled: 1-line block ×3, first 2 shown]
	v_and_b32_e32 v55, 63, v0
	v_cmp_gt_u32_e32 vcc, 7, v56
	v_mov_b32_e32 v63, 0
	s_and_saveexec_b64 s[4:5], vcc
	s_cbranch_execz .LBB1334_13
; %bb.12:
	s_load_dwordx2 s[14:15], s[0:1], 0x40
	v_add_u32_e32 v40, s48, v56
	v_ashrrev_i32_e32 v41, 31, v40
	s_waitcnt lgkmcnt(0)
	v_lshl_add_u64 v[40:41], v[40:41], 2, s[14:15]
	global_load_dword v63, v[40:41], off
.LBB1334_13:
	s_or_b64 exec, exec, s[4:5]
	s_ashr_i32 s4, s18, 31
	v_or_b32_e32 v58, s18, v34
	s_lshr_b32 s4, s4, 27
	v_add_u32_e32 v34, s4, v58
	v_or_b32_e32 v40, 64, v58
	v_ashrrev_i32_e32 v34, 5, v34
	v_mov_b32_e32 v64, s19
	v_cmp_gt_i32_e32 vcc, s7, v58
	v_add_u32_e32 v41, s4, v40
	v_or_b32_e32 v60, 0x80, v58
	v_cndmask_b32_e32 v34, v64, v34, vcc
	v_ashrrev_i32_e32 v41, 5, v41
	v_cmp_gt_i32_e32 vcc, s7, v40
	v_add_u32_e32 v61, s4, v60
	v_or_b32_e32 v58, 0xc0, v58
	v_cndmask_b32_e32 v40, v64, v41, vcc
	v_ashrrev_i32_e32 v61, 5, v61
	v_cmp_gt_i32_e32 vcc, s7, v60
	v_add_u32_e32 v65, s4, v58
	v_ashrrev_i32_e32 v65, 5, v65
	v_cndmask_b32_e32 v60, v64, v61, vcc
	v_cmp_gt_i32_e32 vcc, s7, v58
	s_waitcnt vmcnt(7)
	v_cvt_pk_f32_fp8_sdwa v[66:67], v50 src0_sel:WORD_1
	s_mov_b32 s33, 0x7060302
	v_cndmask_b32_e32 v68, v64, v65, vcc
	v_cvt_pk_f32_fp8_e32 v[64:65], v50
	v_cvt_pk_f32_fp8_e32 v[70:71], v51
	v_cvt_pk_f32_fp8_sdwa v[50:51], v51 src0_sel:WORD_1
	v_cvt_pk_f32_fp8_e32 v[72:73], v52
	v_perm_b32 v64, v65, v64, s33
	v_perm_b32 v65, v67, v66, s33
	;; [unrolled: 1-line block ×3, first 2 shown]
	v_cvt_pk_f32_fp8_sdwa v[74:75], v52 src0_sel:WORD_1
	v_perm_b32 v71, v51, v50, s33
	s_waitcnt lgkmcnt(3)
	v_mfma_f32_16x16x16_bf16 v[64:67], v[64:65], v[30:31], 0
	v_perm_b32 v72, v73, v72, s33
	v_perm_b32 v73, v75, v74, s33
	v_cvt_pk_f32_fp8_e32 v[74:75], v53
	v_cvt_pk_f32_fp8_sdwa v[76:77], v53 src0_sel:WORD_1
	v_mfma_f32_16x16x16_bf16 v[50:53], v[70:71], v[32:33], v[64:67]
	v_ashrrev_i32_e32 v35, 31, v34
	v_lshl_add_u64 v[34:35], v[34:35], 2, s[8:9]
	v_ashrrev_i32_e32 v41, 31, v40
	v_perm_b32 v64, v75, v74, s33
	v_perm_b32 v65, v77, v76, s33
	s_waitcnt lgkmcnt(2)
	v_mfma_f32_16x16x16_bf16 v[50:53], v[72:73], v[22:23], v[50:53]
	s_waitcnt vmcnt(6)
	v_cvt_pk_f32_fp8_e32 v[66:67], v46
	v_ashrrev_i32_e32 v61, 31, v60
	v_ashrrev_i32_e32 v69, 31, v68
	v_lshl_add_u64 v[40:41], v[40:41], 2, s[8:9]
	v_lshl_add_u64 v[60:61], v[60:61], 2, s[8:9]
	;; [unrolled: 1-line block ×3, first 2 shown]
	v_mfma_f32_16x16x16_bf16 v[50:53], v[64:65], v[24:25], v[50:53]
	v_perm_b32 v74, v67, v66, s33
	global_load_dword v68, v[34:35], off
	global_load_dword v66, v[40:41], off
	;; [unrolled: 1-line block ×4, first 2 shown]
	v_cvt_pk_f32_fp8_sdwa v[70:71], v46 src0_sel:WORD_1
	v_cvt_pk_f32_fp8_e32 v[40:41], v48
	s_waitcnt vmcnt(9)
	v_cvt_pk_f32_fp8_e32 v[60:61], v36
	s_add_u32 s4, s10, s12
	v_perm_b32 v75, v71, v70, s33
	v_cvt_pk_f32_fp8_e32 v[70:71], v47
	v_cvt_pk_f32_fp8_sdwa v[46:47], v47 src0_sel:WORD_1
	s_waitcnt lgkmcnt(1)
	v_mfma_f32_16x16x16_bf16 v[50:53], v[74:75], v[18:19], v[50:53]
	v_perm_b32 v34, v71, v70, s33
	v_perm_b32 v35, v47, v46, s33
	v_cvt_pk_f32_fp8_sdwa v[46:47], v48 src0_sel:WORD_1
	v_perm_b32 v40, v41, v40, s33
	v_mfma_f32_16x16x16_bf16 v[50:53], v[34:35], v[20:21], v[50:53]
	v_perm_b32 v41, v47, v46, s33
	v_cvt_pk_f32_fp8_e32 v[34:35], v49
	v_cvt_pk_f32_fp8_sdwa v[46:47], v49 src0_sel:WORD_1
	v_cvt_pk_f32_fp8_sdwa v[70:71], v36 src0_sel:WORD_1
	s_addc_u32 s5, s11, 0
	v_perm_b32 v34, v35, v34, s33
	v_perm_b32 v35, v47, v46, s33
	s_waitcnt lgkmcnt(0)
	v_mfma_f32_16x16x16_bf16 v[46:49], v[40:41], v[14:15], v[50:53]
	v_perm_b32 v40, v61, v60, s33
	v_perm_b32 v41, v71, v70, s33
	s_waitcnt vmcnt(8)
	v_cvt_pk_f32_fp8_sdwa v[60:61], v6 src0_sel:WORD_1
	v_cvt_pk_f32_fp8_e32 v[50:51], v37
	v_cvt_pk_f32_fp8_sdwa v[52:53], v37 src0_sel:WORD_1
	v_mfma_f32_16x16x16_bf16 v[34:37], v[34:35], v[16:17], v[46:49]
	v_and_b32_e32 v58, 16, v0
	v_perm_b32 v50, v51, v50, s33
	v_perm_b32 v51, v53, v52, s33
	v_mfma_f32_16x16x16_bf16 v[46:49], v[40:41], v[30:31], 0
	v_cvt_pk_f32_fp8_e32 v[40:41], v38
	v_cvt_pk_f32_fp8_sdwa v[52:53], v38 src0_sel:WORD_1
	v_lshl_or_b32 v64, v57, 4, v56
	v_mfma_f32_16x16x16_bf16 v[46:49], v[50:51], v[32:33], v[46:49]
	v_cvt_pk_f32_fp8_e32 v[50:51], v39
	v_perm_b32 v40, v41, v40, s33
	v_perm_b32 v41, v53, v52, s33
	v_cvt_pk_f32_fp8_sdwa v[38:39], v39 src0_sel:WORD_1
	v_perm_b32 v50, v51, v50, s33
	v_cvt_pk_f32_fp8_e32 v[52:53], v6
	s_waitcnt vmcnt(6)
	v_cvt_pk_f32_fp8_e32 v[74:75], v43
	v_perm_b32 v51, v39, v38, s33
	v_mfma_f32_16x16x16_bf16 v[38:41], v[40:41], v[22:23], v[46:49]
	s_nop 2
	v_perm_b32 v48, v53, v52, s33
	v_perm_b32 v49, v61, v60, s33
	v_cvt_pk_f32_fp8_e32 v[52:53], v7
	v_cvt_pk_f32_fp8_sdwa v[6:7], v7 src0_sel:WORD_1
	v_mfma_f32_16x16x16_bf16 v[38:41], v[50:51], v[24:25], v[38:41]
	v_lshl_add_u64 v[46:47], s[4:5], 0, v[58:59]
	v_perm_b32 v50, v53, v52, s33
	v_perm_b32 v51, v7, v6, s33
	v_mfma_f32_16x16x16_bf16 v[38:41], v[48:49], v[18:19], v[38:41]
	v_cvt_pk_f32_fp8_e32 v[6:7], v8
	v_cvt_pk_f32_fp8_sdwa v[48:49], v8 src0_sel:WORD_1
	v_cvt_pk_f32_fp8_sdwa v[52:53], v2 src0_sel:WORD_1
	v_mfma_f32_16x16x16_bf16 v[38:41], v[50:51], v[20:21], v[38:41]
	v_cvt_pk_f32_fp8_e32 v[50:51], v9
	v_perm_b32 v6, v7, v6, s33
	v_perm_b32 v7, v49, v48, s33
	v_cvt_pk_f32_fp8_sdwa v[8:9], v9 src0_sel:WORD_1
	v_perm_b32 v48, v51, v50, s33
	v_cvt_pk_f32_fp8_e32 v[50:51], v2
	v_lshlrev_b32_e32 v58, 5, v64
	v_perm_b32 v49, v9, v8, s33
	v_mfma_f32_16x16x16_bf16 v[6:9], v[6:7], v[14:15], v[38:41]
	v_perm_b32 v50, v51, v50, s33
	v_perm_b32 v51, v53, v52, s33
	v_cvt_pk_f32_fp8_e32 v[52:53], v3
	v_cvt_pk_f32_fp8_sdwa v[2:3], v3 src0_sel:WORD_1
	v_mfma_f32_16x16x16_bf16 v[38:41], v[48:49], v[16:17], v[6:9]
	v_lshl_add_u64 v[48:49], v[46:47], 0, v[58:59]
	v_perm_b32 v52, v53, v52, s33
	v_perm_b32 v53, v3, v2, s33
	v_mfma_f32_16x16x16_bf16 v[6:9], v[50:51], v[30:31], 0
	v_cvt_pk_f32_fp8_e32 v[2:3], v4
	v_cvt_pk_f32_fp8_sdwa v[50:51], v4 src0_sel:WORD_1
	s_waitcnt vmcnt(3)
	v_mad_i64_i32 v[60:61], s[4:5], v68, s45, v[48:49]
	v_perm_b32 v2, v3, v2, s33
	v_perm_b32 v3, v51, v50, s33
	v_mfma_f32_16x16x16_bf16 v[6:9], v[52:53], v[32:33], v[6:9]
	v_cvt_pk_f32_fp8_e32 v[50:51], v5
	v_cvt_pk_f32_fp8_sdwa v[4:5], v5 src0_sel:WORD_1
	s_waitcnt vmcnt(2)
	v_mad_i64_i32 v[70:71], s[4:5], v66, s45, v[48:49]
	v_perm_b32 v50, v51, v50, s33
	v_perm_b32 v51, v5, v4, s33
	v_mfma_f32_16x16x16_bf16 v[2:5], v[2:3], v[22:23], v[6:9]
	v_or_b32_e32 v58, 0x800, v58
	s_nop 1
	v_cvt_pk_f32_fp8_e32 v[6:7], v42
	v_cvt_pk_f32_fp8_sdwa v[8:9], v42 src0_sel:WORD_1
	v_cvt_pk_f32_fp8_sdwa v[42:43], v43 src0_sel:WORD_1
	v_mfma_f32_16x16x16_bf16 v[50:53], v[50:51], v[24:25], v[2:5]
	v_perm_b32 v72, v7, v6, s33
	v_perm_b32 v73, v9, v8, s33
	global_load_dwordx4 v[6:9], v[60:61], off
	global_load_dwordx4 v[2:5], v[70:71], off
	v_perm_b32 v60, v75, v74, s33
	v_perm_b32 v61, v43, v42, s33
	v_mfma_f32_16x16x16_bf16 v[70:73], v[72:73], v[18:19], v[50:53]
	v_cvt_pk_f32_fp8_e32 v[42:43], v44
	v_perm_b32 v42, v43, v42, s33
	s_nop 0
	v_cvt_pk_f32_fp8_sdwa v[52:53], v44 src0_sel:WORD_1
	v_mfma_f32_16x16x16_bf16 v[70:73], v[60:61], v[20:21], v[70:73]
	v_cvt_pk_f32_fp8_e32 v[60:61], v45
	s_waitcnt vmcnt(3)
	v_mad_i64_i32 v[50:51], s[4:5], v67, s45, v[48:49]
	s_load_dword s4, s[0:1], 0x1c
	s_load_dwordx4 s[40:43], s[0:1], 0x80
	v_perm_b32 v43, v53, v52, s33
	v_perm_b32 v74, v61, v60, s33
	v_cvt_pk_f32_fp8_e32 v[52:53], v26
	v_cvt_pk_f32_fp8_sdwa v[60:61], v26 src0_sel:WORD_1
	s_load_dword s44, s[0:1], 0x98
	s_waitcnt lgkmcnt(0)
	s_load_dword s5, s[40:41], 0x0
	v_cvt_pk_f32_fp8_sdwa v[44:45], v45 src0_sel:WORD_1
	v_perm_b32 v52, v53, v52, s33
	v_perm_b32 v53, v61, v60, s33
	v_cvt_pk_f32_fp8_e32 v[60:61], v27
	v_cvt_pk_f32_fp8_sdwa v[26:27], v27 src0_sel:WORD_1
	v_perm_b32 v75, v45, v44, s33
	v_mfma_f32_16x16x16_bf16 v[42:45], v[42:43], v[14:15], v[70:73]
	v_perm_b32 v60, v61, v60, s33
	v_perm_b32 v61, v27, v26, s33
	v_mov_b32_e32 v26, s4
	v_mfma_f32_16x16x16_bf16 v[70:73], v[52:53], v[30:31], 0
	s_waitcnt lgkmcnt(0)
	v_mul_f32_e32 v52, s5, v26
	v_cvt_pk_f32_fp8_e32 v[26:27], v28
	v_cvt_pk_f32_fp8_sdwa v[30:31], v28 src0_sel:WORD_1
	v_mfma_f32_16x16x16_bf16 v[70:73], v[60:61], v[32:33], v[70:73]
	v_cvt_pk_f32_fp8_e32 v[32:33], v29
	v_cvt_pk_f32_fp8_sdwa v[28:29], v29 src0_sel:WORD_1
	v_perm_b32 v26, v27, v26, s33
	v_perm_b32 v27, v31, v30, s33
	v_mfma_f32_16x16x16_bf16 v[42:45], v[74:75], v[16:17], v[42:45]
	v_perm_b32 v32, v33, v32, s33
	v_perm_b32 v33, v29, v28, s33
	v_cvt_pk_f32_fp8_e32 v[60:61], v10
	v_cvt_pk_f32_fp8_sdwa v[74:75], v10 src0_sel:WORD_1
	v_mfma_f32_16x16x16_bf16 v[26:29], v[26:27], v[22:23], v[70:73]
	v_pk_mul_f32 v[30:31], v[52:53], v[36:37] op_sel_hi:[0,1]
	v_perm_b32 v36, v61, v60, s33
	v_perm_b32 v37, v75, v74, s33
	v_cvt_pk_f32_fp8_e32 v[60:61], v11
	v_cvt_pk_f32_fp8_sdwa v[70:71], v11 src0_sel:WORD_1
	v_mfma_f32_16x16x16_bf16 v[22:25], v[32:33], v[24:25], v[26:29]
	v_pk_mul_f32 v[10:11], v[52:53], v[34:35] op_sel_hi:[0,1]
	v_perm_b32 v60, v61, v60, s33
	v_perm_b32 v61, v71, v70, s33
	v_mfma_f32_16x16x16_bf16 v[32:35], v[36:37], v[18:19], v[22:25]
	v_cvt_pk_f32_fp8_e32 v[18:19], v12
	v_cvt_pk_f32_fp8_sdwa v[36:37], v12 src0_sel:WORD_1
	s_waitcnt vmcnt(2)
	v_mad_i64_i32 v[48:49], s[8:9], v65, s45, v[48:49]
	global_load_dwordx4 v[26:29], v[50:51], off
	global_load_dwordx4 v[22:25], v[48:49], off
	v_perm_b32 v48, v19, v18, s33
	v_perm_b32 v49, v37, v36, s33
	v_cvt_pk_f32_fp8_e32 v[36:37], v13
	v_cvt_pk_f32_fp8_sdwa v[12:13], v13 src0_sel:WORD_1
	v_mfma_f32_16x16x16_bf16 v[18:21], v[60:61], v[20:21], v[32:35]
	v_pk_mul_f32 v[40:41], v[52:53], v[40:41] op_sel_hi:[0,1]
	v_pk_mul_f32 v[42:43], v[52:53], v[42:43] op_sel_hi:[0,1]
	s_mov_b32 s40, 0xff7fffff
	v_perm_b32 v32, v37, v36, s33
	v_perm_b32 v33, v13, v12, s33
	v_mfma_f32_16x16x16_bf16 v[12:15], v[48:49], v[14:15], v[18:21]
	v_pk_mul_f32 v[48:49], v[52:53], v[38:39] op_sel_hi:[0,1]
	v_pk_mul_f32 v[38:39], v[52:53], v[44:45] op_sel_hi:[0,1]
	v_mfma_f32_16x16x16_bf16 v[12:15], v[32:33], v[16:17], v[12:15]
	s_nop 6
	v_pk_mul_f32 v[36:37], v[52:53], v[12:13] op_sel_hi:[0,1]
	v_and_b32_e32 v12, 0xc0, v0
	v_add_u32_e32 v12, s18, v12
	v_lshl_or_b32 v12, v62, 2, v12
	v_or_b32_e32 v13, 1, v12
	v_pk_mul_f32 v[34:35], v[52:53], v[14:15] op_sel_hi:[0,1]
	v_subrev_u32_e32 v14, s7, v13
	v_add_u32_e32 v16, 1, v14
	v_add_u32_e32 v17, 2, v14
	v_cvt_f32_i32_e32 v15, v14
	v_cvt_f32_i32_e32 v16, v16
	;; [unrolled: 1-line block ×3, first 2 shown]
	v_add_u32_e32 v18, 3, v14
	v_fma_f32 v10, v63, v15, v10
	v_fmac_f32_e32 v11, v63, v16
	v_fma_f32 v51, v63, v17, v30
	v_add_u32_e32 v15, 16, v14
	v_add_u32_e32 v16, 17, v14
	;; [unrolled: 1-line block ×3, first 2 shown]
	v_cvt_f32_i32_e32 v18, v18
	v_cvt_f32_i32_e32 v15, v15
	;; [unrolled: 1-line block ×4, first 2 shown]
	v_fmac_f32_e32 v31, v63, v18
	v_add_u32_e32 v18, 19, v14
	v_fma_f32 v48, v63, v15, v48
	v_fmac_f32_e32 v49, v63, v16
	v_fma_f32 v40, v63, v17, v40
	v_add_u32_e32 v15, 32, v14
	v_add_u32_e32 v16, 33, v14
	;; [unrolled: 1-line block ×3, first 2 shown]
	v_cvt_f32_i32_e32 v18, v18
	v_cvt_f32_i32_e32 v15, v15
	;; [unrolled: 1-line block ×4, first 2 shown]
	v_fmac_f32_e32 v41, v63, v18
	v_add_u32_e32 v18, 35, v14
	v_fma_f32 v42, v63, v15, v42
	v_fmac_f32_e32 v43, v63, v16
	v_fma_f32 v38, v63, v17, v38
	v_add_u32_e32 v15, 48, v14
	v_add_u32_e32 v16, 49, v14
	v_add_u32_e32 v17, 50, v14
	v_add_u32_e32 v14, 51, v14
	v_cvt_f32_i32_e32 v14, v14
	v_cvt_f32_i32_e32 v15, v15
	;; [unrolled: 1-line block ×3, first 2 shown]
	v_cmp_gt_i32_e64 s[8:9], s7, v12
	v_fmac_f32_e32 v35, v63, v14
	v_mov_b32_e32 v14, 0xff7fffff
	v_cmp_gt_i32_e64 s[10:11], s7, v13
	v_fma_f32 v36, v63, v15, v36
	v_cndmask_b32_e64 v15, v14, v10, s[8:9]
	v_cndmask_b32_e64 v13, v14, v11, s[10:11]
	v_fmac_f32_e32 v37, v63, v16
	v_max3_f32 v13, v15, s40, v13
	v_or_b32_e32 v15, 2, v12
	v_or_b32_e32 v16, 3, v12
	v_cmp_gt_i32_e64 s[12:13], s7, v15
	v_cmp_gt_i32_e64 s[14:15], s7, v16
	v_cvt_f32_i32_e32 v18, v18
	v_cndmask_b32_e64 v15, v14, v51, s[12:13]
	v_cndmask_b32_e64 v16, v14, v31, s[14:15]
	v_max3_f32 v13, v13, v15, v16
	v_or_b32_e32 v15, 16, v12
	v_or_b32_e32 v16, 17, v12
	v_cmp_gt_i32_e64 s[16:17], s7, v15
	v_cmp_gt_i32_e64 s[18:19], s7, v16
	v_fmac_f32_e32 v39, v63, v18
	v_cndmask_b32_e64 v15, v14, v48, s[16:17]
	v_cndmask_b32_e64 v16, v14, v49, s[18:19]
	v_max3_f32 v13, v13, v15, v16
	v_or_b32_e32 v15, 18, v12
	v_or_b32_e32 v16, 19, v12
	v_cmp_gt_i32_e64 s[20:21], s7, v15
	v_cmp_gt_i32_e64 s[22:23], s7, v16
	v_cvt_f32_i32_e32 v17, v17
	v_cndmask_b32_e64 v15, v14, v40, s[20:21]
	v_cndmask_b32_e64 v16, v14, v41, s[22:23]
	v_max3_f32 v13, v13, v15, v16
	v_or_b32_e32 v15, 32, v12
	v_or_b32_e32 v16, 33, v12
	v_cmp_gt_i32_e64 s[24:25], s7, v15
	v_cmp_gt_i32_e64 s[26:27], s7, v16
	v_fma_f32 v34, v63, v17, v34
	v_cndmask_b32_e64 v15, v14, v42, s[24:25]
	v_cndmask_b32_e64 v16, v14, v43, s[26:27]
	v_max3_f32 v13, v13, v15, v16
	v_or_b32_e32 v15, 34, v12
	v_or_b32_e32 v16, 35, v12
	v_cmp_gt_i32_e64 s[28:29], s7, v15
	v_cmp_gt_i32_e64 s[30:31], s7, v16
	s_nop 0
	v_cndmask_b32_e64 v15, v14, v38, s[28:29]
	v_cndmask_b32_e64 v16, v14, v39, s[30:31]
	v_max3_f32 v13, v13, v15, v16
	v_or_b32_e32 v15, 48, v12
	v_or_b32_e32 v16, 49, v12
	v_cmp_gt_i32_e64 s[34:35], s7, v15
	v_cmp_gt_i32_e64 s[36:37], s7, v16
	s_nop 0
	v_cndmask_b32_e64 v15, v14, v36, s[34:35]
	v_cndmask_b32_e64 v16, v14, v37, s[36:37]
	v_max3_f32 v13, v13, v15, v16
	v_or_b32_e32 v15, 50, v12
	v_or_b32_e32 v12, 51, v12
	v_cmp_gt_i32_e32 vcc, s7, v15
	v_cmp_gt_i32_e64 s[4:5], s7, v12
	s_nop 0
	v_cndmask_b32_e32 v15, v14, v34, vcc
	v_cndmask_b32_e64 v12, v14, v35, s[4:5]
	v_max3_f32 v16, v13, v15, v12
	v_mbcnt_lo_u32_b32 v12, -1, 0
	v_mbcnt_hi_u32_b32 v17, -1, v12
	v_and_b32_e32 v12, 64, v17
	v_add_u32_e32 v18, 64, v12
	v_xor_b32_e32 v12, 32, v17
	v_cmp_lt_i32_e64 s[38:39], v12, v18
	s_nop 1
	v_cndmask_b32_e64 v12, v17, v12, s[38:39]
	v_lshlrev_b32_e32 v52, 2, v12
	ds_bpermute_b32 v19, v52, v16
	v_lshl_add_u64 v[12:13], v[46:47], 0, v[58:59]
	v_mad_i64_i32 v[14:15], s[38:39], v68, s45, v[12:13]
	s_waitcnt lgkmcnt(0)
	v_max_f32_e32 v19, v19, v19
	v_max_f32_e32 v19, v16, v19
	v_xor_b32_e32 v16, 16, v17
	v_cmp_lt_i32_e64 s[38:39], v16, v18
	s_nop 1
	v_cndmask_b32_e64 v16, v17, v16, s[38:39]
	v_lshlrev_b32_e32 v53, 2, v16
	ds_bpermute_b32 v18, v53, v19
	v_mad_i64_i32 v[16:17], s[38:39], v66, s45, v[12:13]
	v_mad_i64_i32 v[44:45], s[38:39], v67, s45, v[12:13]
	s_waitcnt lgkmcnt(0)
	v_max_f32_e32 v18, v18, v18
	v_max_f32_e32 v50, v19, v18
	v_sub_f32_e32 v10, v10, v50
	v_mul_f32_e32 v10, 0x3fb8aa3b, v10
	v_exp_f32_e32 v18, v10
	v_sub_f32_e32 v10, v11, v50
	v_mul_f32_e32 v10, 0x3fb8aa3b, v10
	v_exp_f32_e32 v19, v10
	v_mad_i64_i32 v[10:11], s[38:39], v65, s45, v[12:13]
	v_sub_f32_e32 v12, v51, v50
	v_mul_f32_e32 v12, 0x3fb8aa3b, v12
	v_cndmask_b32_e64 v46, 0, v18, s[8:9]
	v_cndmask_b32_e64 v47, 0, v19, s[10:11]
	v_sub_f32_e32 v58, v31, v50
	global_load_dwordx4 v[30:33], v[14:15], off
	global_load_dwordx4 v[18:21], v[16:17], off
	v_exp_f32_e32 v51, v12
	global_load_dwordx4 v[14:17], v[44:45], off
	s_nop 0
	global_load_dwordx4 v[10:13], v[10:11], off
	v_sub_f32_e32 v45, v48, v50
	v_sub_f32_e32 v48, v49, v50
	;; [unrolled: 1-line block ×4, first 2 shown]
	v_mul_f32_e32 v44, 0x3fb8aa3b, v58
	v_mul_f32_e32 v45, 0x3fb8aa3b, v45
	;; [unrolled: 1-line block ×5, first 2 shown]
	v_exp_f32_e32 v44, v44
	v_exp_f32_e32 v45, v45
	;; [unrolled: 1-line block ×3, first 2 shown]
	v_cndmask_b32_e64 v48, 0, v51, s[12:13]
	v_exp_f32_e32 v40, v40
	v_exp_f32_e32 v51, v42
	v_sub_f32_e32 v42, v43, v50
	v_mul_f32_e32 v42, 0x3fb8aa3b, v42
	v_cndmask_b32_e64 v49, 0, v44, s[14:15]
	v_cndmask_b32_e64 v44, 0, v45, s[16:17]
	;; [unrolled: 1-line block ×3, first 2 shown]
	v_sub_f32_e32 v41, v41, v50
	v_exp_f32_e32 v58, v42
	v_cndmask_b32_e64 v42, 0, v40, s[20:21]
	v_cndmask_b32_e64 v40, 0, v51, s[24:25]
	v_add_f32_e32 v51, 0, v46
	v_mul_f32_e32 v41, 0x3fb8aa3b, v41
	v_add_f32_e32 v51, v51, v47
	v_exp_f32_e32 v41, v41
	v_add_f32_e32 v51, v51, v48
	v_sub_f32_e32 v38, v38, v50
	v_add_f32_e32 v51, v51, v49
	v_sub_f32_e32 v39, v39, v50
	v_mul_f32_e32 v38, 0x3fb8aa3b, v38
	v_add_f32_e32 v51, v51, v44
	v_exp_f32_e32 v38, v38
	v_mul_f32_e32 v39, 0x3fb8aa3b, v39
	v_sub_f32_e32 v36, v36, v50
	v_add_f32_e32 v51, v51, v45
	v_cndmask_b32_e64 v43, 0, v41, s[22:23]
	v_exp_f32_e32 v39, v39
	v_mul_f32_e32 v36, 0x3fb8aa3b, v36
	v_sub_f32_e32 v37, v37, v50
	v_add_f32_e32 v51, v51, v42
	v_exp_f32_e32 v36, v36
	v_mul_f32_e32 v37, 0x3fb8aa3b, v37
	v_add_f32_e32 v51, v51, v43
	v_sub_f32_e32 v34, v34, v50
	v_cndmask_b32_e64 v41, 0, v58, s[26:27]
	v_exp_f32_e32 v37, v37
	v_add_f32_e32 v51, v51, v40
	v_mul_f32_e32 v34, 0x3fb8aa3b, v34
	v_sub_f32_e32 v35, v35, v50
	v_cndmask_b32_e64 v38, 0, v38, s[28:29]
	v_add_f32_e32 v51, v51, v41
	v_exp_f32_e32 v34, v34
	v_mul_f32_e32 v35, 0x3fb8aa3b, v35
	v_cndmask_b32_e64 v39, 0, v39, s[30:31]
	v_add_f32_e32 v51, v51, v38
	v_exp_f32_e32 v35, v35
	v_cndmask_b32_e64 v36, 0, v36, s[34:35]
	v_add_f32_e32 v51, v51, v39
	v_cndmask_b32_e64 v37, 0, v37, s[36:37]
	v_add_f32_e32 v51, v51, v36
	v_add_f32_e32 v51, v51, v37
	v_cndmask_b32_e32 v34, 0, v34, vcc
	v_add_f32_e32 v51, v51, v34
	v_cndmask_b32_e64 v35, 0, v35, s[4:5]
	v_add_f32_e32 v51, v51, v35
	ds_bpermute_b32 v52, v52, v51
	v_cmp_gt_u32_e32 vcc, 16, v55
	s_waitcnt lgkmcnt(0)
	s_barrier
	v_add_f32_e32 v51, v51, v52
	ds_bpermute_b32 v52, v53, v51
	s_and_saveexec_b64 s[4:5], vcc
	s_cbranch_execz .LBB1334_15
; %bb.14:
	s_waitcnt lgkmcnt(0)
	v_add_f32_e32 v51, v51, v52
	v_lshlrev_b32_e32 v52, 2, v64
	ds_write2st64_b32 v52, v50, v51 offset1:1
.LBB1334_15:
	s_or_b64 exec, exec, s[4:5]
	v_lshlrev_b32_e32 v51, 2, v56
	s_load_dword s7, s[0:1], 0x94
	s_waitcnt lgkmcnt(0)
	s_barrier
	ds_read2_b32 v[52:53], v51 offset1:16
	ds_read2_b32 v[58:59], v51 offset0:32 offset1:48
	ds_read2_b32 v[60:61], v51 offset0:64 offset1:80
	s_movk_i32 s9, 0x7fff
	s_mul_i32 s8, s44, 7
	s_waitcnt lgkmcnt(2)
	v_max3_f32 v50, v52, s40, v53
	s_waitcnt lgkmcnt(1)
	v_max3_f32 v50, v50, v58, v59
	v_sub_f32_e32 v52, v52, v50
	v_mul_f32_e32 v52, 0x3fb8aa3b, v52
	v_exp_f32_e32 v55, v52
	v_sub_f32_e32 v52, v53, v50
	v_mul_f32_e32 v52, 0x3fb8aa3b, v52
	v_exp_f32_e32 v63, v52
	;; [unrolled: 3-line block ×3, first 2 shown]
	ds_read2_b32 v[52:53], v51 offset0:96 offset1:112
	v_sub_f32_e32 v51, v59, v50
	v_mul_f32_e32 v51, 0x3fb8aa3b, v51
	v_exp_f32_e32 v59, v51
	s_waitcnt lgkmcnt(1)
	v_fma_f32 v51, v55, v60, 0
	v_fmac_f32_e32 v51, v63, v61
	s_waitcnt lgkmcnt(0)
	v_fmac_f32_e32 v51, v58, v52
	v_fmac_f32_e32 v51, v59, v53
	v_add_f32_e32 v52, 0x358637bd, v51
	v_div_scale_f32 v53, s[4:5], v52, v52, 1.0
	v_rcp_f32_e32 v60, v53
	s_barrier
	v_fma_f32 v61, -v53, v60, 1.0
	v_fmac_f32_e32 v60, v61, v60
	v_div_scale_f32 v61, vcc, 1.0, v52, 1.0
	v_mul_f32_e32 v64, v61, v60
	v_fma_f32 v65, -v53, v64, v61
	v_fmac_f32_e32 v64, v65, v60
	v_fma_f32 v53, -v53, v64, v61
	v_div_fmas_f32 v53, v53, v60, v64
	v_cmp_eq_u32_e32 vcc, 1, v57
	v_div_fixup_f32 v52, v53, v52, 1.0
	s_nop 0
	v_cndmask_b32_e32 v53, v55, v63, vcc
	v_cmp_eq_u32_e32 vcc, 2, v57
	s_nop 1
	v_cndmask_b32_e32 v53, v53, v58, vcc
	v_cmp_eq_u32_e32 vcc, 3, v57
	s_nop 1
	v_cndmask_b32_e32 v53, v53, v59, vcc
	v_mul_f32_e32 v52, v53, v52
	v_pk_mul_f32 v[46:47], v[52:53], v[46:47] op_sel_hi:[0,1]
	v_pk_mul_f32 v[48:49], v[52:53], v[48:49] op_sel_hi:[0,1]
	v_bfe_u32 v53, v47, 16, 1
	v_bfe_u32 v55, v46, 16, 1
	v_add3_u32 v46, v46, v55, s9
	v_add3_u32 v47, v47, v53, s9
	v_perm_b32 v58, v47, v46, s33
	v_bfe_u32 v46, v49, 16, 1
	v_bfe_u32 v47, v48, 16, 1
	v_add3_u32 v47, v48, v47, s9
	v_add3_u32 v46, v49, v46, s9
	v_perm_b32 v59, v46, v47, s33
	v_lshlrev_b32_e32 v47, 3, v62
	v_lshlrev_b32_e32 v46, 5, v56
	;; [unrolled: 1-line block ×3, first 2 shown]
	v_pk_mul_f32 v[44:45], v[52:53], v[44:45] op_sel_hi:[0,1]
	v_or3_b32 v55, v48, v46, v47
	v_bfe_u32 v47, v45, 16, 1
	v_bfe_u32 v48, v44, 16, 1
	v_pk_mul_f32 v[42:43], v[52:53], v[42:43] op_sel_hi:[0,1]
	v_add3_u32 v44, v44, v48, s9
	v_add3_u32 v45, v45, v47, s9
	v_perm_b32 v44, v45, v44, s33
	v_bfe_u32 v45, v43, 16, 1
	v_bfe_u32 v47, v42, 16, 1
	v_add3_u32 v42, v42, v47, s9
	v_add3_u32 v43, v43, v45, s9
	v_pk_mul_f32 v[40:41], v[52:53], v[40:41] op_sel_hi:[0,1]
	v_perm_b32 v45, v43, v42, s33
	v_bfe_u32 v42, v41, 16, 1
	v_bfe_u32 v43, v40, 16, 1
	v_pk_mul_f32 v[38:39], v[52:53], v[38:39] op_sel_hi:[0,1]
	v_add3_u32 v40, v40, v43, s9
	v_add3_u32 v41, v41, v42, s9
	v_perm_b32 v40, v41, v40, s33
	v_bfe_u32 v41, v39, 16, 1
	v_bfe_u32 v42, v38, 16, 1
	v_add3_u32 v38, v38, v42, s9
	v_add3_u32 v39, v39, v41, s9
	v_pk_mul_f32 v[36:37], v[52:53], v[36:37] op_sel_hi:[0,1]
	v_perm_b32 v41, v39, v38, s33
	v_bfe_u32 v38, v37, 16, 1
	v_bfe_u32 v39, v36, 16, 1
	v_pk_mul_f32 v[34:35], v[52:53], v[34:35] op_sel_hi:[0,1]
	v_add3_u32 v36, v36, v39, s9
	v_add3_u32 v37, v37, v38, s9
	v_perm_b32 v36, v37, v36, s33
	v_bfe_u32 v37, v35, 16, 1
	v_bfe_u32 v38, v34, 16, 1
	v_add3_u32 v34, v34, v38, s9
	v_add3_u32 v35, v35, v37, s9
	v_perm_b32 v37, v35, v34, s33
	v_cmp_gt_u32_e32 vcc, 7, v0
	ds_write2st64_b64 v55, v[58:59], v[44:45] offset1:1
	ds_write2st64_b64 v55, v[40:41], v[36:37] offset0:2 offset1:3
	s_and_saveexec_b64 s[4:5], vcc
	s_cbranch_execz .LBB1334_17
; %bb.16:
	s_mov_b32 s49, 0
	v_mov_b32_e32 v57, 0
	v_lshl_add_u64 v[34:35], s[48:49], 0, v[56:57]
	v_mov_b32_e32 v36, s8
	v_mad_u64_u32 v[34:35], s[10:11], s2, v36, v[34:35]
	s_mul_i32 s3, s3, s8
	v_mov_b32_e32 v36, s6
	v_mov_b32_e32 v37, v57
	s_load_dwordx4 s[12:15], s[0:1], 0x58
	v_add_u32_e32 v38, s3, v35
	v_mad_u64_u32 v[34:35], s[10:11], v34, s7, v[36:37]
	v_mov_b32_e32 v36, v35
	v_mad_u64_u32 v[36:37], s[10:11], v38, s7, v[36:37]
	v_mov_b32_e32 v35, v36
	v_lshlrev_b64 v[34:35], 2, v[34:35]
	s_waitcnt lgkmcnt(0)
	v_lshl_add_u64 v[36:37], s[14:15], 0, v[34:35]
	v_lshl_add_u64 v[34:35], s[12:13], 0, v[34:35]
	global_store_dword v[36:37], v50, off
	global_store_dword v[34:35], v51, off
.LBB1334_17:
	s_or_b64 exec, exec, s[4:5]
	s_waitcnt vmcnt(7)
	v_cvt_pk_f32_fp8_e32 v[34:35], v6
	v_cvt_pk_f32_fp8_sdwa v[36:37], v6 src0_sel:WORD_1
	v_lshl_or_b32 v50, v62, 9, v46
	s_mov_b32 s5, 0x7060302
	s_waitcnt lgkmcnt(0)
	s_barrier
	v_cvt_pk_f32_fp8_e32 v[38:39], v7
	v_perm_b32 v6, v35, v34, s5
	v_cvt_pk_f32_fp8_sdwa v[40:41], v7 src0_sel:WORD_1
	v_perm_b32 v7, v37, v36, s5
	ds_read_b128 v[34:37], v50
	v_perm_b32 v46, v39, v38, s5
	v_perm_b32 v47, v41, v40, s5
	ds_read_b128 v[38:41], v50 offset:16
	v_cvt_pk_f32_fp8_e32 v[48:49], v8
	v_cvt_pk_f32_fp8_sdwa v[52:53], v8 src0_sel:WORD_1
	s_waitcnt lgkmcnt(1)
	v_mfma_f32_16x16x16_bf16 v[42:45], v[6:7], v[34:35], 0
	s_waitcnt vmcnt(6)
	v_cvt_pk_f32_fp8_e32 v[58:59], v4
	v_perm_b32 v6, v49, v48, s5
	v_perm_b32 v7, v53, v52, s5
	v_cvt_pk_f32_fp8_e32 v[48:49], v9
	v_mfma_f32_16x16x16_bf16 v[42:45], v[46:47], v[36:37], v[42:45]
	v_cvt_pk_f32_fp8_sdwa v[46:47], v9 src0_sel:WORD_1
	v_cvt_pk_f32_fp8_sdwa v[60:61], v4 src0_sel:WORD_1
	v_perm_b32 v48, v49, v48, s5
	s_waitcnt lgkmcnt(0)
	v_mfma_f32_16x16x16_bf16 v[6:9], v[6:7], v[38:39], v[42:45]
	v_perm_b32 v49, v47, v46, s5
	s_waitcnt vmcnt(5)
	v_cvt_pk_f32_fp8_e32 v[64:65], v28
	v_cvt_pk_f32_fp8_sdwa v[66:67], v28 src0_sel:WORD_1
	v_cvt_pk_f32_fp8_e32 v[42:43], v2
	v_mfma_f32_16x16x16_bf16 v[46:49], v[48:49], v[40:41], v[6:9]
	s_waitcnt vmcnt(4)
	v_cvt_pk_f32_fp8_sdwa v[68:69], v24 src0_sel:WORD_1
	s_load_dword s4, s[42:43], 0x0
	v_cvt_pk_f32_fp8_sdwa v[6:7], v2 src0_sel:WORD_1
	v_cvt_pk_f32_fp8_e32 v[8:9], v3
	v_perm_b32 v2, v43, v42, s5
	v_cvt_pk_f32_fp8_sdwa v[42:43], v3 src0_sel:WORD_1
	v_perm_b32 v3, v7, v6, s5
	v_perm_b32 v52, v9, v8, s5
	ds_read_b128 v[6:9], v50 offset:2048
	v_perm_b32 v53, v43, v42, s5
	ds_read_b128 v[42:45], v50 offset:2064
	s_waitcnt lgkmcnt(0)
	v_mfma_f32_16x16x16_bf16 v[46:49], v[2:3], v[6:7], v[46:49]
	v_perm_b32 v2, v59, v58, s5
	v_perm_b32 v3, v61, v60, s5
	v_cvt_pk_f32_fp8_e32 v[58:59], v5
	v_mfma_f32_16x16x16_bf16 v[46:49], v[52:53], v[8:9], v[46:49]
	v_cvt_pk_f32_fp8_sdwa v[52:53], v5 src0_sel:WORD_1
	s_waitcnt vmcnt(3)
	v_cvt_pk_f32_fp8_sdwa v[70:71], v32 src0_sel:WORD_1
	v_perm_b32 v58, v59, v58, s5
	v_mfma_f32_16x16x16_bf16 v[2:5], v[2:3], v[42:43], v[46:49]
	v_perm_b32 v59, v53, v52, s5
	s_mov_b32 s3, 0
	v_cmp_gt_u32_e32 vcc, 64, v0
	v_cvt_pk_f32_fp8_e32 v[46:47], v26
	v_mfma_f32_16x16x16_bf16 v[58:61], v[58:59], v[44:45], v[2:5]
	s_nop 2
	v_cvt_pk_f32_fp8_sdwa v[2:3], v26 src0_sel:WORD_1
	v_cvt_pk_f32_fp8_e32 v[4:5], v27
	v_perm_b32 v26, v47, v46, s5
	v_cvt_pk_f32_fp8_sdwa v[46:47], v27 src0_sel:WORD_1
	v_perm_b32 v27, v3, v2, s5
	v_perm_b32 v52, v5, v4, s5
	ds_read_b128 v[2:5], v50 offset:4096
	v_perm_b32 v53, v47, v46, s5
	ds_read_b128 v[46:49], v50 offset:4112
	s_waitcnt lgkmcnt(1)
	v_mfma_f32_16x16x16_bf16 v[58:61], v[26:27], v[2:3], v[58:61]
	v_perm_b32 v26, v65, v64, s5
	v_perm_b32 v27, v67, v66, s5
	v_cvt_pk_f32_fp8_e32 v[64:65], v29
	v_mfma_f32_16x16x16_bf16 v[58:61], v[52:53], v[4:5], v[58:61]
	v_cvt_pk_f32_fp8_sdwa v[52:53], v29 src0_sel:WORD_1
	v_cvt_pk_f32_fp8_e32 v[66:67], v24
	v_perm_b32 v64, v65, v64, s5
	s_waitcnt lgkmcnt(0)
	v_mfma_f32_16x16x16_bf16 v[26:29], v[26:27], v[46:47], v[58:61]
	v_perm_b32 v65, v53, v52, s5
	v_cvt_pk_f32_fp8_e32 v[52:53], v22
	s_nop 0
	v_mfma_f32_16x16x16_bf16 v[58:61], v[64:65], v[48:49], v[26:29]
	s_nop 2
	v_cvt_pk_f32_fp8_sdwa v[26:27], v22 src0_sel:WORD_1
	v_cvt_pk_f32_fp8_e32 v[28:29], v23
	v_perm_b32 v22, v53, v52, s5
	v_cvt_pk_f32_fp8_sdwa v[52:53], v23 src0_sel:WORD_1
	v_perm_b32 v23, v27, v26, s5
	v_perm_b32 v64, v29, v28, s5
	ds_read_b128 v[26:29], v50 offset:6144
	v_perm_b32 v65, v53, v52, s5
	s_waitcnt lgkmcnt(0)
	v_mfma_f32_16x16x16_bf16 v[58:61], v[22:23], v[26:27], v[58:61]
	ds_read_b128 v[50:53], v50 offset:6160
	v_perm_b32 v22, v67, v66, s5
	v_perm_b32 v23, v69, v68, s5
	v_cvt_pk_f32_fp8_e32 v[66:67], v25
	v_mfma_f32_16x16x16_bf16 v[58:61], v[64:65], v[28:29], v[58:61]
	v_cvt_pk_f32_fp8_sdwa v[64:65], v25 src0_sel:WORD_1
	v_cvt_pk_f32_fp8_e32 v[68:69], v32
	v_perm_b32 v66, v67, v66, s5
	s_waitcnt lgkmcnt(0)
	v_mfma_f32_16x16x16_bf16 v[22:25], v[22:23], v[50:51], v[58:61]
	v_perm_b32 v67, v65, v64, s5
	s_barrier
	s_nop 0
	v_mfma_f32_16x16x16_bf16 v[58:61], v[66:67], v[52:53], v[22:25]
	s_nop 2
	v_cvt_pk_f32_fp8_e32 v[24:25], v30
	v_perm_b32 v24, v25, v24, s5
	s_nop 1
	v_pk_mul_f32 v[22:23], v[60:61], s[4:5] op_sel_hi:[1,0]
	v_cvt_pk_f32_fp8_sdwa v[60:61], v30 src0_sel:WORD_1
	v_pk_mul_f32 v[64:65], v[58:59], s[4:5] op_sel_hi:[1,0]
	v_cvt_pk_f32_fp8_e32 v[58:59], v31
	v_cvt_pk_f32_fp8_sdwa v[30:31], v31 src0_sel:WORD_1
	v_perm_b32 v25, v61, v60, s5
	v_bfe_u32 v57, v65, 16, 1
	v_perm_b32 v66, v59, v58, s5
	v_perm_b32 v67, v31, v30, s5
	v_mfma_f32_16x16x16_bf16 v[58:61], v[24:25], v[34:35], 0
	v_perm_b32 v24, v69, v68, s5
	v_perm_b32 v25, v71, v70, s5
	v_cvt_pk_f32_fp8_e32 v[34:35], v33
	v_cvt_pk_f32_fp8_sdwa v[68:69], v33 src0_sel:WORD_1
	v_mfma_f32_16x16x16_bf16 v[30:33], v[66:67], v[36:37], v[58:61]
	s_waitcnt vmcnt(2)
	v_cvt_pk_f32_fp8_sdwa v[36:37], v18 src0_sel:WORD_1
	v_perm_b32 v34, v35, v34, s5
	v_perm_b32 v35, v69, v68, s5
	v_mfma_f32_16x16x16_bf16 v[30:33], v[24:25], v[38:39], v[30:33]
	v_cvt_pk_f32_fp8_e32 v[24:25], v18
	v_cvt_pk_f32_fp8_sdwa v[38:39], v20 src0_sel:WORD_1
	v_bfe_u32 v58, v64, 16, 1
	v_mfma_f32_16x16x16_bf16 v[30:33], v[34:35], v[40:41], v[30:33]
	v_cvt_pk_f32_fp8_e32 v[34:35], v19
	v_perm_b32 v24, v25, v24, s5
	v_perm_b32 v25, v37, v36, s5
	v_cvt_pk_f32_fp8_sdwa v[18:19], v19 src0_sel:WORD_1
	v_perm_b32 v34, v35, v34, s5
	v_cvt_pk_f32_fp8_e32 v[36:37], v20
	v_mfma_f32_16x16x16_bf16 v[30:33], v[24:25], v[6:7], v[30:33]
	v_perm_b32 v35, v19, v18, s5
	v_perm_b32 v18, v37, v36, s5
	;; [unrolled: 1-line block ×3, first 2 shown]
	v_cvt_pk_f32_fp8_e32 v[24:25], v21
	v_cvt_pk_f32_fp8_sdwa v[20:21], v21 src0_sel:WORD_1
	v_mfma_f32_16x16x16_bf16 v[6:9], v[34:35], v[8:9], v[30:33]
	v_perm_b32 v24, v25, v24, s5
	v_perm_b32 v25, v21, v20, s5
	v_mfma_f32_16x16x16_bf16 v[6:9], v[18:19], v[42:43], v[6:9]
	s_waitcnt vmcnt(1)
	v_cvt_pk_f32_fp8_e32 v[18:19], v14
	v_cvt_pk_f32_fp8_sdwa v[20:21], v14 src0_sel:WORD_1
	v_cvt_pk_f32_fp8_sdwa v[30:31], v16 src0_sel:WORD_1
	v_mfma_f32_16x16x16_bf16 v[6:9], v[24:25], v[44:45], v[6:9]
	v_cvt_pk_f32_fp8_e32 v[24:25], v15
	v_perm_b32 v18, v19, v18, s5
	v_perm_b32 v19, v21, v20, s5
	v_cvt_pk_f32_fp8_sdwa v[14:15], v15 src0_sel:WORD_1
	v_perm_b32 v20, v25, v24, s5
	v_cvt_pk_f32_fp8_e32 v[24:25], v16
	v_mfma_f32_16x16x16_bf16 v[6:9], v[18:19], v[2:3], v[6:9]
	v_perm_b32 v21, v15, v14, s5
	v_perm_b32 v14, v25, v24, s5
	;; [unrolled: 1-line block ×3, first 2 shown]
	v_cvt_pk_f32_fp8_e32 v[18:19], v17
	v_cvt_pk_f32_fp8_sdwa v[16:17], v17 src0_sel:WORD_1
	v_mfma_f32_16x16x16_bf16 v[2:5], v[20:21], v[4:5], v[6:9]
	v_add3_u32 v32, v64, v58, s9
	v_add3_u32 v33, v65, v57, s9
	s_nop 0
	v_perm_b32 v8, v19, v18, s5
	v_perm_b32 v9, v17, v16, s5
	v_mfma_f32_16x16x16_bf16 v[2:5], v[14:15], v[46:47], v[2:5]
	s_waitcnt vmcnt(0)
	v_cvt_pk_f32_fp8_e32 v[14:15], v10
	v_cvt_pk_f32_fp8_sdwa v[16:17], v10 src0_sel:WORD_1
	v_cvt_pk_f32_fp8_sdwa v[18:19], v12 src0_sel:WORD_1
	v_mfma_f32_16x16x16_bf16 v[2:5], v[8:9], v[48:49], v[2:5]
	v_cvt_pk_f32_fp8_e32 v[8:9], v11
	v_perm_b32 v14, v15, v14, s5
	v_perm_b32 v15, v17, v16, s5
	v_cvt_pk_f32_fp8_sdwa v[10:11], v11 src0_sel:WORD_1
	v_perm_b32 v8, v9, v8, s5
	v_cvt_pk_f32_fp8_e32 v[16:17], v12
	v_mfma_f32_16x16x16_bf16 v[2:5], v[14:15], v[26:27], v[2:5]
	v_perm_b32 v9, v11, v10, s5
	v_perm_b32 v10, v17, v16, s5
	;; [unrolled: 1-line block ×3, first 2 shown]
	v_cvt_pk_f32_fp8_e32 v[14:15], v13
	v_cvt_pk_f32_fp8_sdwa v[12:13], v13 src0_sel:WORD_1
	v_mfma_f32_16x16x16_bf16 v[2:5], v[8:9], v[28:29], v[2:5]
	v_bfe_u32 v7, v23, 16, 1
	v_perm_b32 v8, v15, v14, s5
	v_perm_b32 v9, v13, v12, s5
	v_mfma_f32_16x16x16_bf16 v[2:5], v[10:11], v[50:51], v[2:5]
	v_bfe_u32 v16, v22, 16, 1
	v_add3_u32 v10, v22, v16, s9
	v_add3_u32 v7, v23, v7, s9
	v_mfma_f32_16x16x16_bf16 v[2:5], v[8:9], v[52:53], v[2:5]
	v_perm_b32 v6, v33, v32, s5
	v_perm_b32 v7, v7, v10, s5
	s_nop 4
	v_pk_mul_f32 v[2:3], v[2:3], s[4:5] op_sel_hi:[1,0]
	v_pk_mul_f32 v[4:5], v[4:5], s[4:5] op_sel_hi:[1,0]
	v_bfe_u32 v8, v3, 16, 1
	v_bfe_u32 v9, v2, 16, 1
	v_add3_u32 v2, v2, v9, s9
	v_add3_u32 v3, v3, v8, s9
	v_perm_b32 v2, v3, v2, s5
	v_bfe_u32 v3, v5, 16, 1
	v_bfe_u32 v8, v4, 16, 1
	v_add3_u32 v4, v4, v8, s9
	v_add3_u32 v3, v5, v3, s9
	v_perm_b32 v3, v3, v4, s5
	ds_write2st64_b64 v55, v[6:7], v[2:3] offset1:1
	s_waitcnt lgkmcnt(0)
	s_barrier
	s_and_saveexec_b64 s[4:5], vcc
	s_cbranch_execz .LBB1334_20
; %bb.18:
	s_load_dwordx2 s[4:5], s[0:1], 0x68
	s_lshl_b32 s0, s7, 7
	s_mul_i32 s1, s8, s2
	v_lshlrev_b32_e32 v3, 6, v56
	s_mul_hi_u32 s9, s1, s0
	s_mul_i32 s8, s1, s0
	v_lshl_or_b32 v0, v0, 10, v3
	s_lshl_b64 s[8:9], s[8:9], 1
	v_lshlrev_b32_e32 v2, 5, v62
	v_and_b32_e32 v1, 16, v1
	v_and_b32_e32 v0, 0x1a00, v0
	s_waitcnt lgkmcnt(0)
	s_add_u32 s1, s4, s8
	v_or3_b32 v2, v0, v2, v1
	s_addc_u32 s4, s5, s9
	s_lshl_b32 s2, s6, 7
	s_lshl_b64 s[2:3], s[2:3], 1
	ds_read_b128 v[4:7], v2
	s_add_u32 s2, s1, s2
	s_addc_u32 s3, s4, s3
	v_mov_b32_e32 v55, 0
	v_add_u32_e32 v3, s48, v62
	v_lshl_add_u64 v[0:1], s[2:3], 0, v[54:55]
	v_mad_u64_u32 v[8:9], s[2:3], v3, s0, 0
	v_lshl_add_u64 v[8:9], v[8:9], 1, v[0:1]
	v_cmp_ne_u32_e32 vcc, 3, v62
	s_waitcnt lgkmcnt(0)
	global_store_dwordx4 v[8:9], v[4:7], off
	s_and_b64 exec, exec, vcc
	s_cbranch_execz .LBB1334_20
; %bb.19:
	ds_read_b128 v[2:5], v2 offset:128
	v_add3_u32 v6, s48, v62, 4
	v_mad_u64_u32 v[6:7], s[0:1], v6, s0, 0
	v_lshl_add_u64 v[0:1], v[6:7], 1, v[0:1]
	s_waitcnt lgkmcnt(0)
	global_store_dwordx4 v[0:1], v[2:5], off
.LBB1334_20:
	s_endpgm
	.section	.rodata,"a",@progbits
	.p2align	6, 0x0
	.amdhsa_kernel _Z39paged_attention_ll4mi_QKV_mfma16_kernelI14__hip_bfloat16hLN4vllm18Fp8KVCacheDataTypeE1EhLi32ELi128ELi256ELb1ELi7EEvPKT_PKT0_S8_ifPKiSA_SA_iPKfiiiPfSD_PS3_PT2_iSC_SC_
		.amdhsa_group_segment_fixed_size 8192
		.amdhsa_private_segment_fixed_size 0
		.amdhsa_kernarg_size 400
		.amdhsa_user_sgpr_count 2
		.amdhsa_user_sgpr_dispatch_ptr 0
		.amdhsa_user_sgpr_queue_ptr 0
		.amdhsa_user_sgpr_kernarg_segment_ptr 1
		.amdhsa_user_sgpr_dispatch_id 0
		.amdhsa_user_sgpr_kernarg_preload_length 0
		.amdhsa_user_sgpr_kernarg_preload_offset 0
		.amdhsa_user_sgpr_private_segment_size 0
		.amdhsa_uses_dynamic_stack 0
		.amdhsa_enable_private_segment 0
		.amdhsa_system_sgpr_workgroup_id_x 1
		.amdhsa_system_sgpr_workgroup_id_y 1
		.amdhsa_system_sgpr_workgroup_id_z 1
		.amdhsa_system_sgpr_workgroup_info 0
		.amdhsa_system_vgpr_workitem_id 0
		.amdhsa_next_free_vgpr 78
		.amdhsa_next_free_sgpr 50
		.amdhsa_accum_offset 80
		.amdhsa_reserve_vcc 1
		.amdhsa_float_round_mode_32 0
		.amdhsa_float_round_mode_16_64 0
		.amdhsa_float_denorm_mode_32 3
		.amdhsa_float_denorm_mode_16_64 3
		.amdhsa_dx10_clamp 1
		.amdhsa_ieee_mode 1
		.amdhsa_fp16_overflow 0
		.amdhsa_tg_split 0
		.amdhsa_exception_fp_ieee_invalid_op 0
		.amdhsa_exception_fp_denorm_src 0
		.amdhsa_exception_fp_ieee_div_zero 0
		.amdhsa_exception_fp_ieee_overflow 0
		.amdhsa_exception_fp_ieee_underflow 0
		.amdhsa_exception_fp_ieee_inexact 0
		.amdhsa_exception_int_div_zero 0
	.end_amdhsa_kernel
	.section	.text._Z39paged_attention_ll4mi_QKV_mfma16_kernelI14__hip_bfloat16hLN4vllm18Fp8KVCacheDataTypeE1EhLi32ELi128ELi256ELb1ELi7EEvPKT_PKT0_S8_ifPKiSA_SA_iPKfiiiPfSD_PS3_PT2_iSC_SC_,"axG",@progbits,_Z39paged_attention_ll4mi_QKV_mfma16_kernelI14__hip_bfloat16hLN4vllm18Fp8KVCacheDataTypeE1EhLi32ELi128ELi256ELb1ELi7EEvPKT_PKT0_S8_ifPKiSA_SA_iPKfiiiPfSD_PS3_PT2_iSC_SC_,comdat
.Lfunc_end1334:
	.size	_Z39paged_attention_ll4mi_QKV_mfma16_kernelI14__hip_bfloat16hLN4vllm18Fp8KVCacheDataTypeE1EhLi32ELi128ELi256ELb1ELi7EEvPKT_PKT0_S8_ifPKiSA_SA_iPKfiiiPfSD_PS3_PT2_iSC_SC_, .Lfunc_end1334-_Z39paged_attention_ll4mi_QKV_mfma16_kernelI14__hip_bfloat16hLN4vllm18Fp8KVCacheDataTypeE1EhLi32ELi128ELi256ELb1ELi7EEvPKT_PKT0_S8_ifPKiSA_SA_iPKfiiiPfSD_PS3_PT2_iSC_SC_
                                        ; -- End function
	.section	.AMDGPU.csdata,"",@progbits
; Kernel info:
; codeLenInByte = 6668
; NumSgprs: 56
; NumVgprs: 78
; NumAgprs: 0
; TotalNumVgprs: 78
; ScratchSize: 0
; MemoryBound: 0
; FloatMode: 240
; IeeeMode: 1
; LDSByteSize: 8192 bytes/workgroup (compile time only)
; SGPRBlocks: 6
; VGPRBlocks: 9
; NumSGPRsForWavesPerEU: 56
; NumVGPRsForWavesPerEU: 78
; AccumOffset: 80
; Occupancy: 6
; WaveLimiterHint : 1
; COMPUTE_PGM_RSRC2:SCRATCH_EN: 0
; COMPUTE_PGM_RSRC2:USER_SGPR: 2
; COMPUTE_PGM_RSRC2:TRAP_HANDLER: 0
; COMPUTE_PGM_RSRC2:TGID_X_EN: 1
; COMPUTE_PGM_RSRC2:TGID_Y_EN: 1
; COMPUTE_PGM_RSRC2:TGID_Z_EN: 1
; COMPUTE_PGM_RSRC2:TIDIG_COMP_CNT: 0
; COMPUTE_PGM_RSRC3_GFX90A:ACCUM_OFFSET: 19
; COMPUTE_PGM_RSRC3_GFX90A:TG_SPLIT: 0
	.section	.text._Z39paged_attention_ll4mi_QKV_mfma16_kernelI14__hip_bfloat16hLN4vllm18Fp8KVCacheDataTypeE1EhLi32ELi128ELi256ELb1ELi8EEvPKT_PKT0_S8_ifPKiSA_SA_iPKfiiiPfSD_PS3_PT2_iSC_SC_,"axG",@progbits,_Z39paged_attention_ll4mi_QKV_mfma16_kernelI14__hip_bfloat16hLN4vllm18Fp8KVCacheDataTypeE1EhLi32ELi128ELi256ELb1ELi8EEvPKT_PKT0_S8_ifPKiSA_SA_iPKfiiiPfSD_PS3_PT2_iSC_SC_,comdat
	.protected	_Z39paged_attention_ll4mi_QKV_mfma16_kernelI14__hip_bfloat16hLN4vllm18Fp8KVCacheDataTypeE1EhLi32ELi128ELi256ELb1ELi8EEvPKT_PKT0_S8_ifPKiSA_SA_iPKfiiiPfSD_PS3_PT2_iSC_SC_ ; -- Begin function _Z39paged_attention_ll4mi_QKV_mfma16_kernelI14__hip_bfloat16hLN4vllm18Fp8KVCacheDataTypeE1EhLi32ELi128ELi256ELb1ELi8EEvPKT_PKT0_S8_ifPKiSA_SA_iPKfiiiPfSD_PS3_PT2_iSC_SC_
	.globl	_Z39paged_attention_ll4mi_QKV_mfma16_kernelI14__hip_bfloat16hLN4vllm18Fp8KVCacheDataTypeE1EhLi32ELi128ELi256ELb1ELi8EEvPKT_PKT0_S8_ifPKiSA_SA_iPKfiiiPfSD_PS3_PT2_iSC_SC_
	.p2align	8
	.type	_Z39paged_attention_ll4mi_QKV_mfma16_kernelI14__hip_bfloat16hLN4vllm18Fp8KVCacheDataTypeE1EhLi32ELi128ELi256ELb1ELi8EEvPKT_PKT0_S8_ifPKiSA_SA_iPKfiiiPfSD_PS3_PT2_iSC_SC_,@function
_Z39paged_attention_ll4mi_QKV_mfma16_kernelI14__hip_bfloat16hLN4vllm18Fp8KVCacheDataTypeE1EhLi32ELi128ELi256ELb1ELi8EEvPKT_PKT0_S8_ifPKiSA_SA_iPKfiiiPfSD_PS3_PT2_iSC_SC_: ; @_Z39paged_attention_ll4mi_QKV_mfma16_kernelI14__hip_bfloat16hLN4vllm18Fp8KVCacheDataTypeE1EhLi32ELi128ELi256ELb1ELi8EEvPKT_PKT0_S8_ifPKiSA_SA_iPKfiiiPfSD_PS3_PT2_iSC_SC_
; %bb.0:
	s_load_dwordx2 s[8:9], s[0:1], 0x30
	s_mov_b32 s10, s3
	s_mov_b64 s[6:7], 0
	s_waitcnt lgkmcnt(0)
	s_cmp_lg_u64 s[8:9], 0
	s_cselect_b64 s[12:13], -1, 0
	s_and_b64 vcc, exec, s[12:13]
	s_cbranch_vccz .LBB1335_7
; %bb.1:
	s_add_i32 s14, s2, 1
	s_mov_b32 s15, 0
	s_lshl_b64 s[16:17], s[14:15], 2
	s_add_u32 s16, s8, s16
	s_mov_b32 s3, s15
	s_addc_u32 s17, s9, s17
	s_lshl_b64 s[14:15], s[2:3], 2
	s_add_u32 s14, s8, s14
	s_addc_u32 s15, s9, s15
	s_load_dword s5, s[16:17], 0x0
	s_load_dword s11, s[14:15], 0x0
	s_waitcnt lgkmcnt(0)
	s_sub_i32 s5, s5, s11
	s_cmp_eq_u32 s5, 1
	s_cselect_b64 s[14:15], -1, 0
	s_andn2_b64 vcc, exec, s[6:7]
	s_cbranch_vccnz .LBB1335_3
.LBB1335_2:
	s_mov_b32 s3, 0
	s_mov_b64 s[14:15], -1
.LBB1335_3:
	s_andn2_b64 vcc, exec, s[14:15]
	s_cbranch_vccnz .LBB1335_19
; %bb.4:
	s_load_dwordx2 s[6:7], s[0:1], 0x28
	s_lshl_b64 s[14:15], s[2:3], 2
	s_waitcnt lgkmcnt(0)
	s_add_u32 s6, s6, s14
	s_addc_u32 s7, s7, s15
	s_load_dword s33, s[6:7], 0x0
	s_lshl_b32 s18, s10, 8
	s_waitcnt lgkmcnt(0)
	s_cmp_ge_i32 s18, s33
	s_cbranch_scc1 .LBB1335_19
; %bb.5:
	s_load_dwordx2 s[6:7], s[0:1], 0x20
	s_load_dword s5, s[0:1], 0x38
	s_add_i32 s11, s33, 31
	s_ashr_i32 s16, s11, 31
	v_and_b32_e32 v1, 0xcf, v0
	s_lshr_b32 s16, s16, 27
	v_add_u32_e32 v1, s18, v1
	s_add_i32 s11, s11, s16
	v_ashrrev_i32_e32 v2, 31, v1
	s_ashr_i32 s19, s11, 5
	v_lshrrev_b32_e32 v4, 27, v2
	s_add_i32 s19, s19, -1
	s_waitcnt lgkmcnt(0)
	s_mul_i32 s16, s2, s5
	s_mov_b32 s17, 0
	v_add_u32_e32 v2, v1, v4
	s_lshl_b64 s[16:17], s[16:17], 2
	v_ashrrev_i32_e32 v2, 5, v2
	v_mov_b32_e32 v5, s19
	v_cmp_gt_i32_e32 vcc, s33, v1
	s_add_u32 s6, s6, s16
	s_addc_u32 s7, s7, s17
	v_cndmask_b32_e32 v2, v5, v2, vcc
	v_ashrrev_i32_e32 v3, 31, v2
	v_lshl_add_u64 v[6:7], v[2:3], 2, s[6:7]
	v_or_b32_e32 v2, 16, v1
	v_add_u32_e32 v3, v2, v4
	v_ashrrev_i32_e32 v3, 5, v3
	v_cmp_gt_i32_e32 vcc, s33, v2
	s_load_dwordx2 s[16:17], s[0:1], 0x8
	s_nop 0
	v_cndmask_b32_e32 v2, v5, v3, vcc
	v_ashrrev_i32_e32 v3, 31, v2
	v_lshl_add_u64 v[8:9], v[2:3], 2, s[6:7]
	v_or_b32_e32 v2, 32, v1
	v_add_u32_e32 v3, v2, v4
	v_ashrrev_i32_e32 v3, 5, v3
	v_cmp_gt_i32_e32 vcc, s33, v2
	v_or_b32_e32 v1, 48, v1
	s_nop 0
	v_cndmask_b32_e32 v2, v5, v3, vcc
	v_ashrrev_i32_e32 v3, 31, v2
	v_lshl_add_u64 v[12:13], v[2:3], 2, s[6:7]
	v_add_u32_e32 v2, v1, v4
	v_ashrrev_i32_e32 v2, 5, v2
	v_cmp_gt_i32_e32 vcc, s33, v1
	s_nop 1
	v_cndmask_b32_e32 v2, v5, v2, vcc
	v_ashrrev_i32_e32 v3, 31, v2
	v_lshl_add_u64 v[14:15], v[2:3], 2, s[6:7]
	global_load_dword v4, v[6:7], off
	global_load_dword v3, v[8:9], off
	;; [unrolled: 1-line block ×4, first 2 shown]
	s_andn2_b64 vcc, exec, s[12:13]
	s_cbranch_vccnz .LBB1335_8
; %bb.6:
	s_add_u32 s8, s8, s14
	s_addc_u32 s9, s9, s15
	s_load_dword s5, s[8:9], 0x0
	s_branch .LBB1335_9
.LBB1335_7:
	s_mov_b64 s[14:15], 0
	s_branch .LBB1335_2
.LBB1335_8:
	s_mov_b32 s5, s2
.LBB1335_9:
	s_load_dwordx2 s[8:9], s[0:1], 0x10
	s_load_dwordx4 s[44:47], s[0:1], 0x48
	v_and_b32_e32 v56, 15, v0
	v_lshlrev_b32_e32 v5, 3, v56
	s_movk_i32 s12, 0x80
	v_lshrrev_b32_e32 v58, 6, v0
	v_bfe_u32 v1, v0, 4, 2
	s_lshl_b32 s11, s4, 3
	v_cmp_gt_u32_e32 vcc, s12, v0
	v_lshlrev_b32_e32 v54, 1, v5
	v_lshlrev_b32_e32 v57, 4, v0
	s_and_saveexec_b64 s[12:13], vcc
	s_cbranch_execz .LBB1335_11
; %bb.10:
	s_load_dwordx2 s[14:15], s[0:1], 0x0
	s_waitcnt lgkmcnt(0)
	s_ashr_i32 s20, s44, 31
	s_mul_hi_u32 s21, s5, s44
	s_mul_i32 s20, s5, s20
	s_add_i32 s21, s21, s20
	s_mul_i32 s20, s5, s44
	v_lshl_or_b32 v5, v58, 2, v1
	s_lshl_b64 s[20:21], s[20:21], 1
	s_add_u32 s14, s14, s20
	v_add_lshl_u32 v6, v5, s11, 7
	s_addc_u32 s15, s15, s21
	v_ashrrev_i32_e32 v7, 31, v6
	v_lshl_add_u64 v[6:7], v[6:7], 1, s[14:15]
	v_mov_b32_e32 v55, 0
	v_lshl_add_u64 v[6:7], v[6:7], 0, v[54:55]
	global_load_dwordx4 v[6:9], v[6:7], off
	v_lshlrev_b32_e32 v12, 8, v0
	v_lshlrev_b32_e32 v11, 8, v56
	v_and_b32_e32 v12, 0x600, v12
	s_movk_i32 s5, 0x800
	v_and_or_b32 v11, v11, s5, v12
	v_lshlrev_b32_e32 v5, 5, v5
	v_and_b32_e32 v12, 16, v57
	v_or3_b32 v5, v11, v5, v12
	s_waitcnt vmcnt(0)
	ds_write_b128 v5, v[6:9]
.LBB1335_11:
	s_or_b64 exec, exec, s[12:13]
	s_waitcnt lgkmcnt(0)
	s_mul_i32 s12, s4, s46
	s_add_u32 s4, s16, s12
	s_addc_u32 s5, s17, 0
	v_mov_b32_e32 v51, 0
	v_mov_b64_e32 v[12:13], s[4:5]
	v_and_b32_e32 v52, 48, v0
	s_waitcnt vmcnt(3)
	v_mad_i64_i32 v[4:5], s[4:5], v4, s45, v[12:13]
	v_lshlrev_b32_e32 v14, 4, v56
	v_mov_b32_e32 v15, v51
	v_lshlrev_b32_e32 v50, 5, v52
	v_lshl_add_u64 v[4:5], v[4:5], 0, v[14:15]
	v_lshl_add_u64 v[4:5], v[4:5], 0, v[50:51]
	s_barrier
	global_load_dwordx4 v[46:49], v[4:5], off
	global_load_dwordx4 v[34:37], v[4:5], off offset:2048
	s_waitcnt vmcnt(4)
	v_mad_i64_i32 v[4:5], s[4:5], v3, s45, v[12:13]
	v_or_b32_e32 v16, 0x100, v14
	v_mov_b32_e32 v17, v51
	s_waitcnt vmcnt(3)
	v_mad_i64_i32 v[2:3], s[4:5], v2, s45, v[12:13]
	s_waitcnt vmcnt(2)
	v_mad_i64_i32 v[10:11], s[4:5], v10, s45, v[12:13]
	v_lshl_add_u64 v[4:5], v[4:5], 0, v[16:17]
	v_lshl_add_u64 v[2:3], v[2:3], 0, v[14:15]
	;; [unrolled: 1-line block ×6, first 2 shown]
	global_load_dwordx4 v[38:41], v[4:5], off
	global_load_dwordx4 v[6:9], v[4:5], off offset:2048
	s_nop 0
	global_load_dwordx4 v[2:5], v[14:15], off
	global_load_dwordx4 v[42:45], v[14:15], off offset:2048
	global_load_dwordx4 v[26:29], v[10:11], off
	s_nop 0
	global_load_dwordx4 v[14:17], v[10:11], off offset:2048
	v_and_b32_e32 v10, 7, v0
	v_lshlrev_b32_e32 v10, 5, v10
	v_lshl_or_b32 v10, v1, 9, v10
	ds_read_b128 v[30:33], v10
	ds_read_b128 v[22:25], v10 offset:16
	ds_read_b128 v[18:21], v10 offset:2048
	;; [unrolled: 1-line block ×3, first 2 shown]
	v_and_b32_e32 v55, 63, v0
	v_cmp_gt_u32_e32 vcc, 8, v56
	v_mov_b32_e32 v59, 0
	s_and_saveexec_b64 s[4:5], vcc
	s_cbranch_execz .LBB1335_13
; %bb.12:
	s_load_dwordx2 s[14:15], s[0:1], 0x40
	v_or_b32_e32 v60, s11, v56
	v_ashrrev_i32_e32 v61, 31, v60
	s_waitcnt lgkmcnt(0)
	v_lshl_add_u64 v[60:61], v[60:61], 2, s[14:15]
	global_load_dword v59, v[60:61], off
.LBB1335_13:
	s_or_b64 exec, exec, s[4:5]
	s_ashr_i32 s4, s18, 31
	v_or_b32_e32 v50, s18, v52
	s_lshr_b32 s4, s4, 27
	v_add_u32_e32 v52, s4, v50
	v_or_b32_e32 v60, 64, v50
	v_ashrrev_i32_e32 v52, 5, v52
	v_mov_b32_e32 v66, s19
	v_cmp_gt_i32_e32 vcc, s33, v50
	v_add_u32_e32 v61, s4, v60
	v_ashrrev_i32_e32 v61, 5, v61
	v_cndmask_b32_e32 v52, v66, v52, vcc
	v_cmp_gt_i32_e32 vcc, s33, v60
	s_waitcnt vmcnt(7)
	v_cvt_pk_f32_fp8_sdwa v[62:63], v46 src0_sel:WORD_1
	s_mov_b32 s44, 0x7060302
	v_cndmask_b32_e32 v60, v66, v61, vcc
	v_ashrrev_i32_e32 v61, 31, v60
	v_lshl_add_u64 v[64:65], v[60:61], 2, s[6:7]
	v_or_b32_e32 v60, 0x80, v50
	v_add_u32_e32 v61, s4, v60
	v_ashrrev_i32_e32 v61, 5, v61
	v_cmp_gt_i32_e32 vcc, s33, v60
	v_or_b32_e32 v50, 0xc0, v50
	v_add_u32_e32 v67, s4, v50
	v_cndmask_b32_e32 v60, v66, v61, vcc
	v_ashrrev_i32_e32 v61, 31, v60
	v_lshl_add_u64 v[70:71], v[60:61], 2, s[6:7]
	v_cvt_pk_f32_fp8_e32 v[60:61], v46
	v_ashrrev_i32_e32 v67, 5, v67
	v_cmp_gt_i32_e32 vcc, s33, v50
	v_ashrrev_i32_e32 v53, 31, v52
	v_perm_b32 v60, v61, v60, s44
	v_perm_b32 v61, v63, v62, s44
	v_cvt_pk_f32_fp8_e32 v[62:63], v47
	v_cvt_pk_f32_fp8_sdwa v[46:47], v47 src0_sel:WORD_1
	v_cndmask_b32_e32 v66, v66, v67, vcc
	v_cvt_pk_f32_fp8_sdwa v[72:73], v48 src0_sel:WORD_1
	v_perm_b32 v68, v63, v62, s44
	v_perm_b32 v69, v47, v46, s44
	s_waitcnt lgkmcnt(3)
	v_mfma_f32_16x16x16_bf16 v[60:63], v[60:61], v[30:31], 0
	v_cvt_pk_f32_fp8_e32 v[46:47], v48
	v_lshl_add_u64 v[52:53], v[52:53], 2, s[6:7]
	v_ashrrev_i32_e32 v67, 31, v66
	v_lshl_add_u64 v[74:75], v[66:67], 2, s[6:7]
	v_mfma_f32_16x16x16_bf16 v[66:69], v[68:69], v[32:33], v[60:63]
	s_nop 2
	global_load_dword v63, v[52:53], off
	s_nop 0
	global_load_dword v64, v[64:65], off
	s_nop 0
	global_load_dword v61, v[70:71], off
	global_load_dword v62, v[74:75], off
	v_perm_b32 v46, v47, v46, s44
	v_perm_b32 v47, v73, v72, s44
	v_cvt_pk_f32_fp8_e32 v[72:73], v49
	v_cvt_pk_f32_fp8_sdwa v[48:49], v49 src0_sel:WORD_1
	s_waitcnt vmcnt(10)
	v_cvt_pk_f32_fp8_sdwa v[70:71], v36 src0_sel:WORD_1
	s_waitcnt vmcnt(7)
	v_cvt_pk_f32_fp8_sdwa v[76:77], v5 src0_sel:WORD_1
	v_perm_b32 v52, v73, v72, s44
	v_perm_b32 v53, v49, v48, s44
	s_waitcnt lgkmcnt(2)
	v_mfma_f32_16x16x16_bf16 v[46:49], v[46:47], v[22:23], v[66:69]
	v_cvt_pk_f32_fp8_sdwa v[72:73], v4 src0_sel:WORD_1
	s_add_u32 s4, s8, s12
	s_addc_u32 s5, s9, 0
	v_cvt_pk_f32_fp8_e32 v[66:67], v34
	v_cvt_pk_f32_fp8_sdwa v[68:69], v34 src0_sel:WORD_1
	v_mfma_f32_16x16x16_bf16 v[46:49], v[52:53], v[24:25], v[46:49]
	v_cvt_pk_f32_fp8_e32 v[52:53], v35
	v_perm_b32 v66, v67, v66, s44
	v_perm_b32 v67, v69, v68, s44
	v_cvt_pk_f32_fp8_sdwa v[34:35], v35 src0_sel:WORD_1
	v_perm_b32 v52, v53, v52, s44
	v_cvt_pk_f32_fp8_e32 v[68:69], v36
	s_waitcnt lgkmcnt(1)
	v_mfma_f32_16x16x16_bf16 v[46:49], v[66:67], v[18:19], v[46:49]
	v_perm_b32 v53, v35, v34, s44
	v_perm_b32 v66, v69, v68, s44
	;; [unrolled: 1-line block ×3, first 2 shown]
	v_cvt_pk_f32_fp8_e32 v[68:69], v37
	v_cvt_pk_f32_fp8_sdwa v[70:71], v37 src0_sel:WORD_1
	v_mfma_f32_16x16x16_bf16 v[34:37], v[52:53], v[20:21], v[46:49]
	v_cvt_pk_f32_fp8_sdwa v[52:53], v38 src0_sel:WORD_1
	v_and_b32_e32 v50, 16, v0
	v_lshl_or_b32 v60, v58, 4, v56
	v_perm_b32 v46, v69, v68, s44
	v_perm_b32 v47, v71, v70, s44
	s_waitcnt lgkmcnt(0)
	v_mfma_f32_16x16x16_bf16 v[34:37], v[66:67], v[10:11], v[34:37]
	v_cvt_pk_f32_fp8_e32 v[48:49], v38
	v_cvt_pk_f32_fp8_e32 v[66:67], v40
	v_cvt_pk_f32_fp8_sdwa v[68:69], v40 src0_sel:WORD_1
	v_mfma_f32_16x16x16_bf16 v[34:37], v[46:47], v[12:13], v[34:37]
	v_cvt_pk_f32_fp8_e32 v[46:47], v39
	v_perm_b32 v48, v49, v48, s44
	v_perm_b32 v49, v53, v52, s44
	v_cvt_pk_f32_fp8_sdwa v[38:39], v39 src0_sel:WORD_1
	v_perm_b32 v52, v47, v46, s44
	v_mfma_f32_16x16x16_bf16 v[46:49], v[48:49], v[30:31], 0
	v_perm_b32 v53, v39, v38, s44
	v_perm_b32 v66, v67, v66, s44
	;; [unrolled: 1-line block ×3, first 2 shown]
	v_cvt_pk_f32_fp8_e32 v[68:69], v41
	v_cvt_pk_f32_fp8_sdwa v[70:71], v41 src0_sel:WORD_1
	v_mfma_f32_16x16x16_bf16 v[38:41], v[52:53], v[32:33], v[46:49]
	v_cvt_pk_f32_fp8_e32 v[52:53], v6
	v_perm_b32 v52, v53, v52, s44
	s_nop 0
	v_perm_b32 v48, v69, v68, s44
	v_perm_b32 v49, v71, v70, s44
	v_mfma_f32_16x16x16_bf16 v[38:41], v[66:67], v[22:23], v[38:41]
	v_cvt_pk_f32_fp8_sdwa v[66:67], v6 src0_sel:WORD_1
	v_cvt_pk_f32_fp8_sdwa v[68:69], v8 src0_sel:WORD_1
	v_lshl_add_u64 v[46:47], s[4:5], 0, v[50:51]
	v_mfma_f32_16x16x16_bf16 v[38:41], v[48:49], v[24:25], v[38:41]
	v_cvt_pk_f32_fp8_e32 v[48:49], v7
	v_perm_b32 v53, v67, v66, s44
	v_cvt_pk_f32_fp8_sdwa v[6:7], v7 src0_sel:WORD_1
	v_cvt_pk_f32_fp8_e32 v[66:67], v8
	v_perm_b32 v48, v49, v48, s44
	v_mfma_f32_16x16x16_bf16 v[38:41], v[52:53], v[18:19], v[38:41]
	v_perm_b32 v49, v7, v6, s44
	v_perm_b32 v52, v67, v66, s44
	;; [unrolled: 1-line block ×3, first 2 shown]
	v_cvt_pk_f32_fp8_e32 v[66:67], v9
	v_cvt_pk_f32_fp8_sdwa v[68:69], v9 src0_sel:WORD_1
	v_mfma_f32_16x16x16_bf16 v[6:9], v[48:49], v[20:21], v[38:41]
	v_cvt_pk_f32_fp8_e32 v[48:49], v2
	v_lshlrev_b32_e32 v50, 5, v60
	v_lshl_add_u64 v[70:71], v[46:47], 0, v[50:51]
	v_perm_b32 v38, v67, v66, s44
	v_perm_b32 v39, v69, v68, s44
	v_mfma_f32_16x16x16_bf16 v[6:9], v[52:53], v[10:11], v[6:9]
	v_cvt_pk_f32_fp8_sdwa v[52:53], v2 src0_sel:WORD_1
	s_waitcnt vmcnt(2)
	v_mad_i64_i32 v[74:75], s[4:5], v64, s45, v[70:71]
	v_mfma_f32_16x16x16_bf16 v[38:41], v[38:39], v[12:13], v[6:9]
	v_or_b32_e32 v50, 0x800, v50
	v_lshl_add_u64 v[46:47], v[46:47], 0, v[50:51]
	s_nop 0
	v_perm_b32 v6, v49, v48, s44
	v_perm_b32 v7, v53, v52, s44
	v_cvt_pk_f32_fp8_e32 v[8:9], v3
	v_cvt_pk_f32_fp8_sdwa v[2:3], v3 src0_sel:WORD_1
	v_mad_i64_i32 v[48:49], s[4:5], v63, s45, v[70:71]
	v_perm_b32 v52, v9, v8, s44
	v_perm_b32 v53, v3, v2, s44
	v_mfma_f32_16x16x16_bf16 v[6:9], v[6:7], v[30:31], 0
	v_cvt_pk_f32_fp8_e32 v[2:3], v4
	v_mfma_f32_16x16x16_bf16 v[66:69], v[52:53], v[32:33], v[6:9]
	v_perm_b32 v52, v3, v2, s44
	v_perm_b32 v53, v73, v72, s44
	v_cvt_pk_f32_fp8_e32 v[72:73], v5
	s_nop 1
	global_load_dwordx4 v[6:9], v[48:49], off
	global_load_dwordx4 v[2:5], v[74:75], off
	v_mfma_f32_16x16x16_bf16 v[66:69], v[52:53], v[22:23], v[66:69]
	v_perm_b32 v72, v73, v72, s44
	v_perm_b32 v73, v77, v76, s44
	s_waitcnt vmcnt(3)
	v_mad_i64_i32 v[48:49], s[4:5], v61, s45, v[70:71]
	s_waitcnt vmcnt(2)
	v_mad_i64_i32 v[52:53], s[4:5], v62, s45, v[70:71]
	v_mfma_f32_16x16x16_bf16 v[66:69], v[72:73], v[24:25], v[66:69]
	v_cvt_pk_f32_fp8_e32 v[70:71], v42
	v_cvt_pk_f32_fp8_sdwa v[72:73], v42 src0_sel:WORD_1
	v_cvt_pk_f32_fp8_e32 v[74:75], v43
	v_cvt_pk_f32_fp8_sdwa v[42:43], v43 src0_sel:WORD_1
	v_perm_b32 v70, v71, v70, s44
	v_perm_b32 v71, v73, v72, s44
	;; [unrolled: 1-line block ×4, first 2 shown]
	v_cvt_pk_f32_fp8_e32 v[42:43], v44
	v_cvt_pk_f32_fp8_sdwa v[74:75], v44 src0_sel:WORD_1
	v_mfma_f32_16x16x16_bf16 v[66:69], v[70:71], v[18:19], v[66:69]
	v_cvt_pk_f32_fp8_sdwa v[76:77], v45 src0_sel:WORD_1
	v_perm_b32 v70, v43, v42, s44
	v_perm_b32 v71, v75, v74, s44
	v_cvt_pk_f32_fp8_e32 v[74:75], v45
	v_mfma_f32_16x16x16_bf16 v[42:45], v[72:73], v[20:21], v[66:69]
	v_perm_b32 v51, v77, v76, s44
	v_cvt_pk_f32_fp8_sdwa v[72:73], v26 src0_sel:WORD_1
	v_perm_b32 v50, v75, v74, s44
	v_mfma_f32_16x16x16_bf16 v[42:45], v[70:71], v[10:11], v[42:45]
	v_cvt_pk_f32_fp8_e32 v[70:71], v26
	s_load_dword s4, s[0:1], 0x1c
	s_load_dwordx4 s[40:43], s[0:1], 0x80
	s_load_dword s46, s[0:1], 0x98
	s_waitcnt lgkmcnt(0)
	s_load_dword s5, s[40:41], 0x0
	v_mfma_f32_16x16x16_bf16 v[66:69], v[50:51], v[12:13], v[42:45]
	s_mov_b32 s40, 0xff7fffff
	s_nop 1
	v_cvt_pk_f32_fp8_e32 v[42:43], v27
	v_perm_b32 v44, v71, v70, s44
	v_perm_b32 v45, v73, v72, s44
	v_cvt_pk_f32_fp8_sdwa v[26:27], v27 src0_sel:WORD_1
	v_perm_b32 v50, v43, v42, s44
	v_cvt_pk_f32_fp8_e32 v[70:71], v28
	v_cvt_pk_f32_fp8_sdwa v[72:73], v28 src0_sel:WORD_1
	v_perm_b32 v51, v27, v26, s44
	v_mfma_f32_16x16x16_bf16 v[42:45], v[44:45], v[30:31], 0
	v_perm_b32 v30, v71, v70, s44
	v_perm_b32 v31, v73, v72, s44
	v_cvt_pk_f32_fp8_e32 v[70:71], v29
	v_cvt_pk_f32_fp8_sdwa v[72:73], v29 src0_sel:WORD_1
	v_mfma_f32_16x16x16_bf16 v[26:29], v[50:51], v[32:33], v[42:45]
	v_perm_b32 v32, v71, v70, s44
	v_perm_b32 v33, v73, v72, s44
	v_mfma_f32_16x16x16_bf16 v[26:29], v[30:31], v[22:23], v[26:29]
	v_mov_b32_e32 v42, s4
	s_waitcnt lgkmcnt(0)
	v_mul_f32_e32 v50, s5, v42
	v_pk_mul_f32 v[30:31], v[50:51], v[34:35] op_sel_hi:[0,1]
	v_mfma_f32_16x16x16_bf16 v[32:35], v[32:33], v[24:25], v[26:29]
	v_cvt_pk_f32_fp8_e32 v[22:23], v14
	v_cvt_pk_f32_fp8_sdwa v[24:25], v14 src0_sel:WORD_1
	v_pk_mul_f32 v[42:43], v[50:51], v[36:37] op_sel_hi:[0,1]
	v_cvt_pk_f32_fp8_e32 v[26:27], v15
	v_cvt_pk_f32_fp8_sdwa v[14:15], v15 src0_sel:WORD_1
	v_perm_b32 v36, v23, v22, s44
	v_perm_b32 v37, v25, v24, s44
	;; [unrolled: 1-line block ×4, first 2 shown]
	v_cvt_pk_f32_fp8_e32 v[14:15], v16
	v_cvt_pk_f32_fp8_sdwa v[70:71], v16 src0_sel:WORD_1
	v_mfma_f32_16x16x16_bf16 v[32:35], v[36:37], v[18:19], v[32:35]
	global_load_dwordx4 v[26:29], v[48:49], off
	global_load_dwordx4 v[22:25], v[52:53], off
	v_perm_b32 v18, v15, v14, s44
	v_perm_b32 v19, v71, v70, s44
	v_cvt_pk_f32_fp8_e32 v[36:37], v17
	v_cvt_pk_f32_fp8_sdwa v[48:49], v17 src0_sel:WORD_1
	v_mfma_f32_16x16x16_bf16 v[14:17], v[44:45], v[20:21], v[32:35]
	v_pk_mul_f32 v[44:45], v[50:51], v[40:41] op_sel_hi:[0,1]
	v_perm_b32 v20, v37, v36, s44
	v_perm_b32 v21, v49, v48, s44
	v_mfma_f32_16x16x16_bf16 v[14:17], v[18:19], v[10:11], v[14:17]
	v_pk_mul_f32 v[48:49], v[50:51], v[38:39] op_sel_hi:[0,1]
	v_pk_mul_f32 v[38:39], v[50:51], v[68:69] op_sel_hi:[0,1]
	v_pk_mul_f32 v[40:41], v[50:51], v[66:67] op_sel_hi:[0,1]
	v_mfma_f32_16x16x16_bf16 v[10:13], v[20:21], v[12:13], v[14:17]
	s_nop 6
	v_pk_mul_f32 v[36:37], v[50:51], v[10:11] op_sel_hi:[0,1]
	v_and_b32_e32 v10, 0xc0, v0
	v_add_u32_e32 v10, s18, v10
	v_lshl_or_b32 v10, v1, 2, v10
	v_or_b32_e32 v11, 1, v10
	v_pk_mul_f32 v[34:35], v[50:51], v[12:13] op_sel_hi:[0,1]
	v_subrev_u32_e32 v12, s33, v11
	v_add_u32_e32 v14, 1, v12
	v_add_u32_e32 v15, 2, v12
	v_cvt_f32_i32_e32 v13, v12
	v_cvt_f32_i32_e32 v14, v14
	;; [unrolled: 1-line block ×3, first 2 shown]
	v_add_u32_e32 v16, 3, v12
	v_fma_f32 v17, v59, v13, v30
	v_fmac_f32_e32 v31, v59, v14
	v_fma_f32 v42, v59, v15, v42
	v_add_u32_e32 v13, 16, v12
	v_add_u32_e32 v14, 17, v12
	;; [unrolled: 1-line block ×3, first 2 shown]
	v_cvt_f32_i32_e32 v16, v16
	v_cvt_f32_i32_e32 v13, v13
	;; [unrolled: 1-line block ×4, first 2 shown]
	v_fmac_f32_e32 v43, v59, v16
	v_add_u32_e32 v16, 19, v12
	v_fma_f32 v52, v59, v13, v48
	v_fmac_f32_e32 v49, v59, v14
	v_fma_f32 v44, v59, v15, v44
	v_add_u32_e32 v13, 32, v12
	v_add_u32_e32 v14, 33, v12
	;; [unrolled: 1-line block ×3, first 2 shown]
	v_cvt_f32_i32_e32 v16, v16
	v_cvt_f32_i32_e32 v13, v13
	;; [unrolled: 1-line block ×4, first 2 shown]
	v_fmac_f32_e32 v45, v59, v16
	v_add_u32_e32 v16, 35, v12
	v_fma_f32 v40, v59, v13, v40
	v_fmac_f32_e32 v41, v59, v14
	v_fma_f32 v38, v59, v15, v38
	v_add_u32_e32 v13, 48, v12
	v_add_u32_e32 v14, 49, v12
	;; [unrolled: 1-line block ×4, first 2 shown]
	v_cvt_f32_i32_e32 v12, v12
	v_cvt_f32_i32_e32 v13, v13
	;; [unrolled: 1-line block ×3, first 2 shown]
	v_cmp_gt_i32_e64 s[12:13], s33, v10
	v_fmac_f32_e32 v35, v59, v12
	v_mov_b32_e32 v12, 0xff7fffff
	v_cmp_gt_i32_e64 s[14:15], s33, v11
	v_fma_f32 v36, v59, v13, v36
	v_cndmask_b32_e64 v13, v12, v17, s[12:13]
	v_cndmask_b32_e64 v11, v12, v31, s[14:15]
	v_fmac_f32_e32 v37, v59, v14
	v_max3_f32 v11, v13, s40, v11
	v_or_b32_e32 v13, 2, v10
	v_or_b32_e32 v14, 3, v10
	v_cmp_gt_i32_e64 s[16:17], s33, v13
	v_cmp_gt_i32_e64 s[18:19], s33, v14
	v_cvt_f32_i32_e32 v16, v16
	v_cndmask_b32_e64 v13, v12, v42, s[16:17]
	v_cndmask_b32_e64 v14, v12, v43, s[18:19]
	v_max3_f32 v11, v11, v13, v14
	v_or_b32_e32 v13, 16, v10
	v_or_b32_e32 v14, 17, v10
	v_cmp_gt_i32_e64 s[20:21], s33, v13
	v_cmp_gt_i32_e64 s[22:23], s33, v14
	v_fmac_f32_e32 v39, v59, v16
	v_cndmask_b32_e64 v13, v12, v52, s[20:21]
	v_cndmask_b32_e64 v14, v12, v49, s[22:23]
	v_max3_f32 v11, v11, v13, v14
	v_or_b32_e32 v13, 18, v10
	v_or_b32_e32 v14, 19, v10
	v_cmp_gt_i32_e64 s[24:25], s33, v13
	v_cmp_gt_i32_e64 s[26:27], s33, v14
	v_cvt_f32_i32_e32 v15, v15
	v_cndmask_b32_e64 v13, v12, v44, s[24:25]
	v_cndmask_b32_e64 v14, v12, v45, s[26:27]
	v_max3_f32 v11, v11, v13, v14
	v_or_b32_e32 v13, 32, v10
	v_or_b32_e32 v14, 33, v10
	v_cmp_gt_i32_e64 s[28:29], s33, v13
	v_cmp_gt_i32_e64 s[30:31], s33, v14
	v_fma_f32 v34, v59, v15, v34
	v_cndmask_b32_e64 v13, v12, v40, s[28:29]
	v_cndmask_b32_e64 v14, v12, v41, s[30:31]
	v_max3_f32 v11, v11, v13, v14
	v_or_b32_e32 v13, 34, v10
	v_or_b32_e32 v14, 35, v10
	v_cmp_gt_i32_e64 s[34:35], s33, v13
	v_cmp_gt_i32_e64 s[36:37], s33, v14
	s_nop 0
	v_cndmask_b32_e64 v13, v12, v38, s[34:35]
	v_cndmask_b32_e64 v14, v12, v39, s[36:37]
	v_max3_f32 v11, v11, v13, v14
	v_or_b32_e32 v13, 48, v10
	v_or_b32_e32 v14, 49, v10
	v_cmp_gt_i32_e64 s[6:7], s33, v13
	v_cmp_gt_i32_e64 s[8:9], s33, v14
	s_nop 0
	v_cndmask_b32_e64 v13, v12, v36, s[6:7]
	v_cndmask_b32_e64 v14, v12, v37, s[8:9]
	v_max3_f32 v11, v11, v13, v14
	v_or_b32_e32 v13, 50, v10
	v_or_b32_e32 v10, 51, v10
	v_cmp_gt_i32_e32 vcc, s33, v13
	v_cmp_gt_i32_e64 s[4:5], s33, v10
	s_nop 0
	v_cndmask_b32_e32 v13, v12, v34, vcc
	v_cndmask_b32_e64 v10, v12, v35, s[4:5]
	v_max3_f32 v14, v11, v13, v10
	v_mbcnt_lo_u32_b32 v10, -1, 0
	v_mbcnt_hi_u32_b32 v15, -1, v10
	v_and_b32_e32 v10, 64, v15
	v_add_u32_e32 v16, 64, v10
	v_xor_b32_e32 v10, 32, v15
	v_cmp_lt_i32_e64 s[38:39], v10, v16
	s_nop 1
	v_cndmask_b32_e64 v10, v15, v10, s[38:39]
	v_lshlrev_b32_e32 v53, 2, v10
	ds_bpermute_b32 v18, v53, v14
	v_mad_i64_i32 v[10:11], s[38:39], v63, s45, v[46:47]
	v_mad_i64_i32 v[12:13], s[38:39], v64, s45, v[46:47]
	s_waitcnt lgkmcnt(0)
	v_max_f32_e32 v18, v18, v18
	v_max_f32_e32 v18, v14, v18
	v_xor_b32_e32 v14, 16, v15
	v_cmp_lt_i32_e64 s[38:39], v14, v16
	s_nop 1
	v_cndmask_b32_e64 v14, v15, v14, s[38:39]
	v_lshlrev_b32_e32 v59, 2, v14
	ds_bpermute_b32 v16, v59, v18
	v_mad_i64_i32 v[14:15], s[38:39], v61, s45, v[46:47]
	v_mad_i64_i32 v[46:47], s[38:39], v62, s45, v[46:47]
	s_waitcnt lgkmcnt(0)
	v_max_f32_e32 v16, v16, v16
	v_max_f32_e32 v48, v18, v16
	v_sub_f32_e32 v16, v31, v48
	global_load_dwordx4 v[30:33], v[10:11], off
	global_load_dwordx4 v[18:21], v[12:13], off
	v_sub_f32_e32 v10, v17, v48
	v_mul_f32_e32 v10, 0x3fb8aa3b, v10
	v_exp_f32_e32 v50, v10
	v_mul_f32_e32 v10, 0x3fb8aa3b, v16
	v_exp_f32_e32 v51, v10
	v_sub_f32_e32 v10, v42, v48
	v_mul_f32_e32 v10, 0x3fb8aa3b, v10
	v_exp_f32_e32 v42, v10
	v_sub_f32_e32 v10, v43, v48
	v_mul_f32_e32 v10, 0x3fb8aa3b, v10
	v_exp_f32_e32 v43, v10
	global_load_dwordx4 v[14:17], v[14:15], off
	s_nop 0
	global_load_dwordx4 v[10:13], v[46:47], off
	v_sub_f32_e32 v40, v40, v48
	v_sub_f32_e32 v38, v38, v48
	v_mul_f32_e32 v40, 0x3fb8aa3b, v40
	v_mul_f32_e32 v38, 0x3fb8aa3b, v38
	v_cndmask_b32_e64 v47, 0, v51, s[14:15]
	v_cndmask_b32_e64 v51, 0, v43, s[18:19]
	v_sub_f32_e32 v43, v49, v48
	v_exp_f32_e32 v40, v40
	v_exp_f32_e32 v49, v38
	v_cndmask_b32_e64 v46, 0, v50, s[12:13]
	v_cndmask_b32_e64 v50, 0, v42, s[16:17]
	v_sub_f32_e32 v42, v52, v48
	v_mul_f32_e32 v42, 0x3fb8aa3b, v42
	v_sub_f32_e32 v38, v39, v48
	v_exp_f32_e32 v42, v42
	v_mul_f32_e32 v43, 0x3fb8aa3b, v43
	v_sub_f32_e32 v44, v44, v48
	v_mul_f32_e32 v38, 0x3fb8aa3b, v38
	v_exp_f32_e32 v43, v43
	v_mul_f32_e32 v44, 0x3fb8aa3b, v44
	v_sub_f32_e32 v45, v45, v48
	v_exp_f32_e32 v52, v38
	v_cndmask_b32_e64 v38, 0, v40, s[28:29]
	v_cndmask_b32_e64 v40, 0, v49, s[34:35]
	v_add_f32_e32 v49, 0, v46
	v_exp_f32_e32 v44, v44
	v_mul_f32_e32 v45, 0x3fb8aa3b, v45
	v_add_f32_e32 v49, v49, v47
	v_exp_f32_e32 v45, v45
	v_sub_f32_e32 v41, v41, v48
	v_add_f32_e32 v49, v49, v50
	v_cndmask_b32_e64 v42, 0, v42, s[20:21]
	v_mul_f32_e32 v41, 0x3fb8aa3b, v41
	v_add_f32_e32 v49, v49, v51
	v_cndmask_b32_e64 v43, 0, v43, s[22:23]
	v_exp_f32_e32 v41, v41
	v_add_f32_e32 v49, v49, v42
	v_cndmask_b32_e64 v44, 0, v44, s[24:25]
	v_add_f32_e32 v49, v49, v43
	v_sub_f32_e32 v36, v36, v48
	v_cndmask_b32_e64 v45, 0, v45, s[26:27]
	v_add_f32_e32 v49, v49, v44
	v_mul_f32_e32 v36, 0x3fb8aa3b, v36
	v_sub_f32_e32 v37, v37, v48
	v_add_f32_e32 v49, v49, v45
	v_exp_f32_e32 v36, v36
	v_mul_f32_e32 v37, 0x3fb8aa3b, v37
	v_sub_f32_e32 v34, v34, v48
	v_cndmask_b32_e64 v39, 0, v41, s[30:31]
	v_add_f32_e32 v49, v49, v38
	v_exp_f32_e32 v37, v37
	v_mul_f32_e32 v34, 0x3fb8aa3b, v34
	v_sub_f32_e32 v35, v35, v48
	v_add_f32_e32 v49, v49, v39
	v_exp_f32_e32 v34, v34
	v_mul_f32_e32 v35, 0x3fb8aa3b, v35
	v_cndmask_b32_e64 v41, 0, v52, s[36:37]
	v_add_f32_e32 v49, v49, v40
	v_exp_f32_e32 v35, v35
	v_add_f32_e32 v49, v49, v41
	v_cndmask_b32_e64 v36, 0, v36, s[6:7]
	v_add_f32_e32 v49, v49, v36
	v_cndmask_b32_e64 v37, 0, v37, s[8:9]
	v_add_f32_e32 v49, v49, v37
	v_cndmask_b32_e32 v34, 0, v34, vcc
	v_add_f32_e32 v49, v49, v34
	v_cndmask_b32_e64 v35, 0, v35, s[4:5]
	v_add_f32_e32 v49, v49, v35
	ds_bpermute_b32 v52, v53, v49
	v_cmp_gt_u32_e32 vcc, 16, v55
	s_waitcnt lgkmcnt(0)
	s_barrier
	v_add_f32_e32 v49, v49, v52
	ds_bpermute_b32 v52, v59, v49
	s_and_saveexec_b64 s[4:5], vcc
	s_cbranch_execz .LBB1335_15
; %bb.14:
	s_waitcnt lgkmcnt(0)
	v_add_f32_e32 v49, v49, v52
	v_lshlrev_b32_e32 v52, 2, v60
	ds_write2st64_b32 v52, v48, v49 offset1:1
.LBB1335_15:
	s_or_b64 exec, exec, s[4:5]
	v_lshlrev_b32_e32 v49, 2, v56
	s_load_dword s6, s[0:1], 0x94
	s_waitcnt lgkmcnt(0)
	s_barrier
	ds_read2_b32 v[52:53], v49 offset1:16
	ds_read2_b32 v[60:61], v49 offset0:32 offset1:48
	ds_read2_b32 v[62:63], v49 offset0:64 offset1:80
	s_movk_i32 s8, 0x7fff
	s_lshl_b32 s7, s46, 3
	s_waitcnt lgkmcnt(2)
	v_max3_f32 v48, v52, s40, v53
	s_waitcnt lgkmcnt(1)
	v_max3_f32 v48, v48, v60, v61
	v_sub_f32_e32 v52, v52, v48
	v_mul_f32_e32 v52, 0x3fb8aa3b, v52
	v_exp_f32_e32 v55, v52
	v_sub_f32_e32 v52, v53, v48
	v_mul_f32_e32 v52, 0x3fb8aa3b, v52
	v_exp_f32_e32 v59, v52
	;; [unrolled: 3-line block ×3, first 2 shown]
	ds_read2_b32 v[52:53], v49 offset0:96 offset1:112
	v_sub_f32_e32 v49, v61, v48
	v_mul_f32_e32 v49, 0x3fb8aa3b, v49
	v_exp_f32_e32 v61, v49
	s_waitcnt lgkmcnt(1)
	v_fma_f32 v49, v55, v62, 0
	v_fmac_f32_e32 v49, v59, v63
	s_waitcnt lgkmcnt(0)
	v_fmac_f32_e32 v49, v60, v52
	v_fmac_f32_e32 v49, v61, v53
	v_add_f32_e32 v52, 0x358637bd, v49
	v_div_scale_f32 v53, s[4:5], v52, v52, 1.0
	v_rcp_f32_e32 v62, v53
	s_barrier
	v_fma_f32 v63, -v53, v62, 1.0
	v_fmac_f32_e32 v62, v63, v62
	v_div_scale_f32 v63, vcc, 1.0, v52, 1.0
	v_mul_f32_e32 v64, v63, v62
	v_fma_f32 v65, -v53, v64, v63
	v_fmac_f32_e32 v64, v65, v62
	v_fma_f32 v53, -v53, v64, v63
	v_div_fmas_f32 v53, v53, v62, v64
	v_cmp_eq_u32_e32 vcc, 1, v58
	v_div_fixup_f32 v52, v53, v52, 1.0
	s_nop 0
	v_cndmask_b32_e32 v53, v55, v59, vcc
	v_cmp_eq_u32_e32 vcc, 2, v58
	s_nop 1
	v_cndmask_b32_e32 v53, v53, v60, vcc
	v_cmp_eq_u32_e32 vcc, 3, v58
	s_nop 1
	v_cndmask_b32_e32 v53, v53, v61, vcc
	v_mul_f32_e32 v52, v53, v52
	v_pk_mul_f32 v[46:47], v[52:53], v[46:47] op_sel_hi:[0,1]
	v_pk_mul_f32 v[50:51], v[52:53], v[50:51] op_sel_hi:[0,1]
	v_bfe_u32 v53, v47, 16, 1
	v_bfe_u32 v55, v46, 16, 1
	v_add3_u32 v46, v46, v55, s8
	v_add3_u32 v47, v47, v53, s8
	v_perm_b32 v60, v47, v46, s44
	v_bfe_u32 v46, v51, 16, 1
	v_bfe_u32 v47, v50, 16, 1
	v_add3_u32 v47, v50, v47, s8
	v_add3_u32 v46, v51, v46, s8
	v_perm_b32 v61, v46, v47, s44
	v_lshlrev_b32_e32 v47, 3, v1
	v_lshlrev_b32_e32 v46, 5, v56
	;; [unrolled: 1-line block ×3, first 2 shown]
	v_pk_mul_f32 v[42:43], v[52:53], v[42:43] op_sel_hi:[0,1]
	v_or3_b32 v55, v50, v46, v47
	v_bfe_u32 v47, v43, 16, 1
	v_bfe_u32 v50, v42, 16, 1
	v_pk_mul_f32 v[44:45], v[52:53], v[44:45] op_sel_hi:[0,1]
	v_add3_u32 v42, v42, v50, s8
	v_add3_u32 v43, v43, v47, s8
	v_perm_b32 v42, v43, v42, s44
	v_bfe_u32 v43, v45, 16, 1
	v_bfe_u32 v47, v44, 16, 1
	v_add3_u32 v44, v44, v47, s8
	v_add3_u32 v43, v45, v43, s8
	v_perm_b32 v43, v43, v44, s44
	v_pk_mul_f32 v[38:39], v[52:53], v[38:39] op_sel_hi:[0,1]
	ds_write2st64_b64 v55, v[60:61], v[42:43] offset1:1
	v_bfe_u32 v42, v39, 16, 1
	v_bfe_u32 v43, v38, 16, 1
	v_pk_mul_f32 v[40:41], v[52:53], v[40:41] op_sel_hi:[0,1]
	v_add3_u32 v38, v38, v43, s8
	v_add3_u32 v39, v39, v42, s8
	v_perm_b32 v38, v39, v38, s44
	v_bfe_u32 v39, v41, 16, 1
	v_bfe_u32 v42, v40, 16, 1
	v_add3_u32 v40, v40, v42, s8
	v_add3_u32 v39, v41, v39, s8
	v_pk_mul_f32 v[36:37], v[52:53], v[36:37] op_sel_hi:[0,1]
	v_perm_b32 v39, v39, v40, s44
	v_bfe_u32 v40, v37, 16, 1
	v_bfe_u32 v41, v36, 16, 1
	v_pk_mul_f32 v[34:35], v[52:53], v[34:35] op_sel_hi:[0,1]
	v_add3_u32 v36, v36, v41, s8
	v_add3_u32 v37, v37, v40, s8
	v_perm_b32 v36, v37, v36, s44
	v_bfe_u32 v37, v35, 16, 1
	v_bfe_u32 v40, v34, 16, 1
	v_add3_u32 v34, v34, v40, s8
	v_add3_u32 v35, v35, v37, s8
	v_perm_b32 v37, v35, v34, s44
	v_cmp_gt_u32_e32 vcc, 8, v0
	ds_write2st64_b64 v55, v[38:39], v[36:37] offset0:2 offset1:3
	s_and_saveexec_b64 s[4:5], vcc
	s_cbranch_execz .LBB1335_17
; %bb.16:
	v_or_b32_e32 v34, s11, v0
	v_mov_b32_e32 v35, 0
	v_mov_b32_e32 v36, s7
	v_mad_u64_u32 v[36:37], s[16:17], s2, v36, v[34:35]
	v_mov_b32_e32 v34, s10
	s_load_dwordx4 s[12:15], s[0:1], 0x58
	s_mul_i32 s3, s3, s7
	v_mad_u64_u32 v[34:35], s[16:17], v36, s6, v[34:35]
	v_add_u32_e32 v37, s3, v37
	v_mov_b32_e32 v36, v35
	v_mad_u64_u32 v[36:37], s[16:17], v37, s6, v[36:37]
	v_mov_b32_e32 v35, v36
	v_lshlrev_b64 v[34:35], 2, v[34:35]
	s_waitcnt lgkmcnt(0)
	v_lshl_add_u64 v[36:37], s[14:15], 0, v[34:35]
	v_lshl_add_u64 v[34:35], s[12:13], 0, v[34:35]
	global_store_dword v[36:37], v48, off
	global_store_dword v[34:35], v49, off
.LBB1335_17:
	s_or_b64 exec, exec, s[4:5]
	s_waitcnt vmcnt(7)
	v_cvt_pk_f32_fp8_e32 v[34:35], v6
	v_cvt_pk_f32_fp8_sdwa v[36:37], v6 src0_sel:WORD_1
	v_lshl_or_b32 v50, v1, 9, v46
	s_mov_b32 s5, 0x7060302
	s_waitcnt lgkmcnt(0)
	s_barrier
	v_cvt_pk_f32_fp8_e32 v[38:39], v7
	v_perm_b32 v6, v35, v34, s5
	v_cvt_pk_f32_fp8_sdwa v[40:41], v7 src0_sel:WORD_1
	v_perm_b32 v7, v37, v36, s5
	ds_read_b128 v[34:37], v50
	v_perm_b32 v46, v39, v38, s5
	v_perm_b32 v47, v41, v40, s5
	ds_read_b128 v[38:41], v50 offset:16
	v_cvt_pk_f32_fp8_e32 v[48:49], v8
	v_cvt_pk_f32_fp8_sdwa v[52:53], v8 src0_sel:WORD_1
	s_waitcnt lgkmcnt(1)
	v_mfma_f32_16x16x16_bf16 v[42:45], v[6:7], v[34:35], 0
	s_waitcnt vmcnt(6)
	v_cvt_pk_f32_fp8_e32 v[58:59], v4
	v_perm_b32 v6, v49, v48, s5
	v_perm_b32 v7, v53, v52, s5
	v_cvt_pk_f32_fp8_e32 v[48:49], v9
	v_mfma_f32_16x16x16_bf16 v[42:45], v[46:47], v[36:37], v[42:45]
	v_cvt_pk_f32_fp8_sdwa v[46:47], v9 src0_sel:WORD_1
	v_cvt_pk_f32_fp8_sdwa v[60:61], v4 src0_sel:WORD_1
	v_perm_b32 v48, v49, v48, s5
	s_waitcnt lgkmcnt(0)
	v_mfma_f32_16x16x16_bf16 v[6:9], v[6:7], v[38:39], v[42:45]
	v_perm_b32 v49, v47, v46, s5
	s_waitcnt vmcnt(5)
	v_cvt_pk_f32_fp8_e32 v[62:63], v28
	v_cvt_pk_f32_fp8_sdwa v[64:65], v28 src0_sel:WORD_1
	v_cvt_pk_f32_fp8_e32 v[42:43], v2
	v_mfma_f32_16x16x16_bf16 v[46:49], v[48:49], v[40:41], v[6:9]
	s_waitcnt vmcnt(4)
	v_cvt_pk_f32_fp8_sdwa v[66:67], v24 src0_sel:WORD_1
	s_load_dword s4, s[42:43], 0x0
	v_cvt_pk_f32_fp8_sdwa v[6:7], v2 src0_sel:WORD_1
	v_cvt_pk_f32_fp8_e32 v[8:9], v3
	v_perm_b32 v2, v43, v42, s5
	v_cvt_pk_f32_fp8_sdwa v[42:43], v3 src0_sel:WORD_1
	v_perm_b32 v3, v7, v6, s5
	v_perm_b32 v52, v9, v8, s5
	ds_read_b128 v[6:9], v50 offset:2048
	v_perm_b32 v53, v43, v42, s5
	ds_read_b128 v[42:45], v50 offset:2064
	s_waitcnt lgkmcnt(0)
	v_mfma_f32_16x16x16_bf16 v[46:49], v[2:3], v[6:7], v[46:49]
	v_perm_b32 v2, v59, v58, s5
	v_perm_b32 v3, v61, v60, s5
	v_cvt_pk_f32_fp8_e32 v[58:59], v5
	v_mfma_f32_16x16x16_bf16 v[46:49], v[52:53], v[8:9], v[46:49]
	v_cvt_pk_f32_fp8_sdwa v[52:53], v5 src0_sel:WORD_1
	s_waitcnt vmcnt(3)
	v_cvt_pk_f32_fp8_sdwa v[68:69], v32 src0_sel:WORD_1
	v_perm_b32 v58, v59, v58, s5
	v_mfma_f32_16x16x16_bf16 v[2:5], v[2:3], v[42:43], v[46:49]
	v_perm_b32 v59, v53, v52, s5
	s_mov_b32 s3, 0
	v_cmp_gt_u32_e32 vcc, 64, v0
	v_cvt_pk_f32_fp8_e32 v[46:47], v26
	v_mfma_f32_16x16x16_bf16 v[58:61], v[58:59], v[44:45], v[2:5]
	s_nop 2
	v_cvt_pk_f32_fp8_sdwa v[2:3], v26 src0_sel:WORD_1
	v_cvt_pk_f32_fp8_e32 v[4:5], v27
	v_perm_b32 v26, v47, v46, s5
	v_cvt_pk_f32_fp8_sdwa v[46:47], v27 src0_sel:WORD_1
	v_perm_b32 v27, v3, v2, s5
	v_perm_b32 v52, v5, v4, s5
	ds_read_b128 v[2:5], v50 offset:4096
	v_perm_b32 v53, v47, v46, s5
	ds_read_b128 v[46:49], v50 offset:4112
	s_waitcnt lgkmcnt(1)
	v_mfma_f32_16x16x16_bf16 v[58:61], v[26:27], v[2:3], v[58:61]
	v_perm_b32 v26, v63, v62, s5
	v_perm_b32 v27, v65, v64, s5
	v_cvt_pk_f32_fp8_e32 v[62:63], v29
	v_mfma_f32_16x16x16_bf16 v[58:61], v[52:53], v[4:5], v[58:61]
	v_cvt_pk_f32_fp8_sdwa v[52:53], v29 src0_sel:WORD_1
	v_cvt_pk_f32_fp8_e32 v[64:65], v24
	v_perm_b32 v62, v63, v62, s5
	s_waitcnt lgkmcnt(0)
	v_mfma_f32_16x16x16_bf16 v[26:29], v[26:27], v[46:47], v[58:61]
	v_perm_b32 v63, v53, v52, s5
	v_cvt_pk_f32_fp8_e32 v[52:53], v22
	s_nop 0
	v_mfma_f32_16x16x16_bf16 v[58:61], v[62:63], v[48:49], v[26:29]
	s_nop 2
	v_cvt_pk_f32_fp8_sdwa v[26:27], v22 src0_sel:WORD_1
	v_cvt_pk_f32_fp8_e32 v[28:29], v23
	v_perm_b32 v22, v53, v52, s5
	v_cvt_pk_f32_fp8_sdwa v[52:53], v23 src0_sel:WORD_1
	v_perm_b32 v23, v27, v26, s5
	v_perm_b32 v62, v29, v28, s5
	ds_read_b128 v[26:29], v50 offset:6144
	v_perm_b32 v63, v53, v52, s5
	s_waitcnt lgkmcnt(0)
	v_mfma_f32_16x16x16_bf16 v[58:61], v[22:23], v[26:27], v[58:61]
	ds_read_b128 v[50:53], v50 offset:6160
	v_perm_b32 v22, v65, v64, s5
	v_perm_b32 v23, v67, v66, s5
	v_cvt_pk_f32_fp8_e32 v[64:65], v25
	v_mfma_f32_16x16x16_bf16 v[58:61], v[62:63], v[28:29], v[58:61]
	v_cvt_pk_f32_fp8_sdwa v[62:63], v25 src0_sel:WORD_1
	v_cvt_pk_f32_fp8_e32 v[66:67], v32
	v_perm_b32 v64, v65, v64, s5
	s_waitcnt lgkmcnt(0)
	v_mfma_f32_16x16x16_bf16 v[22:25], v[22:23], v[50:51], v[58:61]
	v_perm_b32 v65, v63, v62, s5
	s_barrier
	s_nop 0
	v_mfma_f32_16x16x16_bf16 v[58:61], v[64:65], v[52:53], v[22:25]
	s_nop 2
	v_cvt_pk_f32_fp8_e32 v[24:25], v30
	v_perm_b32 v24, v25, v24, s5
	s_nop 1
	v_pk_mul_f32 v[22:23], v[60:61], s[4:5] op_sel_hi:[1,0]
	v_cvt_pk_f32_fp8_sdwa v[60:61], v30 src0_sel:WORD_1
	v_pk_mul_f32 v[62:63], v[58:59], s[4:5] op_sel_hi:[1,0]
	v_cvt_pk_f32_fp8_e32 v[58:59], v31
	v_cvt_pk_f32_fp8_sdwa v[30:31], v31 src0_sel:WORD_1
	v_perm_b32 v25, v61, v60, s5
	v_perm_b32 v64, v59, v58, s5
	;; [unrolled: 1-line block ×3, first 2 shown]
	v_mfma_f32_16x16x16_bf16 v[58:61], v[24:25], v[34:35], 0
	v_perm_b32 v24, v67, v66, s5
	v_perm_b32 v25, v69, v68, s5
	v_cvt_pk_f32_fp8_e32 v[34:35], v33
	v_cvt_pk_f32_fp8_sdwa v[66:67], v33 src0_sel:WORD_1
	v_mfma_f32_16x16x16_bf16 v[30:33], v[64:65], v[36:37], v[58:61]
	s_waitcnt vmcnt(2)
	v_cvt_pk_f32_fp8_sdwa v[36:37], v18 src0_sel:WORD_1
	v_perm_b32 v34, v35, v34, s5
	v_perm_b32 v35, v67, v66, s5
	v_mfma_f32_16x16x16_bf16 v[30:33], v[24:25], v[38:39], v[30:33]
	v_cvt_pk_f32_fp8_e32 v[24:25], v18
	v_cvt_pk_f32_fp8_sdwa v[38:39], v20 src0_sel:WORD_1
	v_bfe_u32 v58, v63, 16, 1
	v_mfma_f32_16x16x16_bf16 v[30:33], v[34:35], v[40:41], v[30:33]
	v_cvt_pk_f32_fp8_e32 v[34:35], v19
	v_perm_b32 v24, v25, v24, s5
	v_perm_b32 v25, v37, v36, s5
	v_cvt_pk_f32_fp8_sdwa v[18:19], v19 src0_sel:WORD_1
	v_perm_b32 v34, v35, v34, s5
	v_cvt_pk_f32_fp8_e32 v[36:37], v20
	v_mfma_f32_16x16x16_bf16 v[30:33], v[24:25], v[6:7], v[30:33]
	v_perm_b32 v35, v19, v18, s5
	v_perm_b32 v18, v37, v36, s5
	;; [unrolled: 1-line block ×3, first 2 shown]
	v_cvt_pk_f32_fp8_e32 v[24:25], v21
	v_cvt_pk_f32_fp8_sdwa v[20:21], v21 src0_sel:WORD_1
	v_mfma_f32_16x16x16_bf16 v[6:9], v[34:35], v[8:9], v[30:33]
	v_bfe_u32 v59, v62, 16, 1
	v_perm_b32 v24, v25, v24, s5
	v_perm_b32 v25, v21, v20, s5
	v_mfma_f32_16x16x16_bf16 v[6:9], v[18:19], v[42:43], v[6:9]
	s_waitcnt vmcnt(1)
	v_cvt_pk_f32_fp8_e32 v[18:19], v14
	v_cvt_pk_f32_fp8_sdwa v[20:21], v14 src0_sel:WORD_1
	v_cvt_pk_f32_fp8_sdwa v[30:31], v16 src0_sel:WORD_1
	v_mfma_f32_16x16x16_bf16 v[6:9], v[24:25], v[44:45], v[6:9]
	v_cvt_pk_f32_fp8_e32 v[24:25], v15
	v_perm_b32 v18, v19, v18, s5
	v_perm_b32 v19, v21, v20, s5
	v_cvt_pk_f32_fp8_sdwa v[14:15], v15 src0_sel:WORD_1
	v_perm_b32 v20, v25, v24, s5
	v_cvt_pk_f32_fp8_e32 v[24:25], v16
	v_mfma_f32_16x16x16_bf16 v[6:9], v[18:19], v[2:3], v[6:9]
	v_perm_b32 v21, v15, v14, s5
	v_perm_b32 v14, v25, v24, s5
	;; [unrolled: 1-line block ×3, first 2 shown]
	v_cvt_pk_f32_fp8_e32 v[18:19], v17
	v_cvt_pk_f32_fp8_sdwa v[16:17], v17 src0_sel:WORD_1
	v_mfma_f32_16x16x16_bf16 v[2:5], v[20:21], v[4:5], v[6:9]
	v_add3_u32 v32, v62, v59, s8
	v_add3_u32 v33, v63, v58, s8
	s_nop 0
	v_perm_b32 v8, v19, v18, s5
	v_perm_b32 v9, v17, v16, s5
	v_mfma_f32_16x16x16_bf16 v[2:5], v[14:15], v[46:47], v[2:5]
	s_waitcnt vmcnt(0)
	v_cvt_pk_f32_fp8_e32 v[14:15], v10
	v_cvt_pk_f32_fp8_sdwa v[16:17], v10 src0_sel:WORD_1
	v_cvt_pk_f32_fp8_sdwa v[18:19], v12 src0_sel:WORD_1
	v_mfma_f32_16x16x16_bf16 v[2:5], v[8:9], v[48:49], v[2:5]
	v_cvt_pk_f32_fp8_e32 v[8:9], v11
	v_perm_b32 v14, v15, v14, s5
	v_perm_b32 v15, v17, v16, s5
	v_cvt_pk_f32_fp8_sdwa v[10:11], v11 src0_sel:WORD_1
	v_perm_b32 v8, v9, v8, s5
	v_cvt_pk_f32_fp8_e32 v[16:17], v12
	v_mfma_f32_16x16x16_bf16 v[2:5], v[14:15], v[26:27], v[2:5]
	v_perm_b32 v9, v11, v10, s5
	v_perm_b32 v10, v17, v16, s5
	;; [unrolled: 1-line block ×3, first 2 shown]
	v_cvt_pk_f32_fp8_e32 v[14:15], v13
	v_cvt_pk_f32_fp8_sdwa v[12:13], v13 src0_sel:WORD_1
	v_mfma_f32_16x16x16_bf16 v[2:5], v[8:9], v[28:29], v[2:5]
	v_bfe_u32 v7, v23, 16, 1
	v_perm_b32 v8, v15, v14, s5
	v_perm_b32 v9, v13, v12, s5
	v_mfma_f32_16x16x16_bf16 v[2:5], v[10:11], v[50:51], v[2:5]
	v_bfe_u32 v16, v22, 16, 1
	v_add3_u32 v10, v22, v16, s8
	v_add3_u32 v7, v23, v7, s8
	v_mfma_f32_16x16x16_bf16 v[2:5], v[8:9], v[52:53], v[2:5]
	v_perm_b32 v6, v33, v32, s5
	v_perm_b32 v7, v7, v10, s5
	s_nop 4
	v_pk_mul_f32 v[2:3], v[2:3], s[4:5] op_sel_hi:[1,0]
	v_pk_mul_f32 v[4:5], v[4:5], s[4:5] op_sel_hi:[1,0]
	v_bfe_u32 v8, v3, 16, 1
	v_bfe_u32 v9, v2, 16, 1
	v_add3_u32 v2, v2, v9, s8
	v_add3_u32 v3, v3, v8, s8
	v_perm_b32 v2, v3, v2, s5
	v_bfe_u32 v3, v5, 16, 1
	v_bfe_u32 v8, v4, 16, 1
	v_add3_u32 v4, v4, v8, s8
	v_add3_u32 v3, v5, v3, s8
	v_perm_b32 v3, v3, v4, s5
	ds_write2st64_b64 v55, v[6:7], v[2:3] offset1:1
	s_waitcnt lgkmcnt(0)
	s_barrier
	s_and_saveexec_b64 s[4:5], vcc
	s_cbranch_execz .LBB1335_19
; %bb.18:
	s_load_dwordx2 s[0:1], s[0:1], 0x68
	s_lshl_b32 s6, s6, 7
	s_mul_i32 s2, s7, s2
	s_mul_hi_u32 s5, s2, s6
	s_mul_i32 s4, s2, s6
	v_lshlrev_b32_e32 v4, 6, v56
	s_lshl_b64 s[4:5], s[4:5], 1
	v_lshl_or_b32 v0, v0, 10, v4
	s_waitcnt lgkmcnt(0)
	s_add_u32 s4, s0, s4
	v_lshlrev_b32_e32 v2, 5, v1
	v_and_b32_e32 v3, 16, v57
	v_and_b32_e32 v0, 0x1a00, v0
	s_addc_u32 s5, s1, s5
	s_lshl_b32 s2, s10, 7
	v_or3_b32 v0, v0, v2, v3
	s_lshl_b64 s[0:1], s[2:3], 1
	ds_read_b128 v[2:5], v0
	ds_read_b128 v[6:9], v0 offset:128
	s_add_u32 s0, s4, s0
	s_addc_u32 s1, s5, s1
	v_mov_b32_e32 v55, 0
	v_or_b32_e32 v12, s11, v1
	v_lshl_add_u64 v[10:11], s[0:1], 0, v[54:55]
	v_mad_u64_u32 v[0:1], s[0:1], v12, s6, 0
	v_lshl_add_u64 v[0:1], v[0:1], 1, v[10:11]
	s_waitcnt lgkmcnt(1)
	global_store_dwordx4 v[0:1], v[2:5], off
	v_or_b32_e32 v0, 4, v12
	v_mad_u64_u32 v[0:1], s[0:1], v0, s6, 0
	v_lshl_add_u64 v[0:1], v[0:1], 1, v[10:11]
	s_waitcnt lgkmcnt(0)
	global_store_dwordx4 v[0:1], v[6:9], off
.LBB1335_19:
	s_endpgm
	.section	.rodata,"a",@progbits
	.p2align	6, 0x0
	.amdhsa_kernel _Z39paged_attention_ll4mi_QKV_mfma16_kernelI14__hip_bfloat16hLN4vllm18Fp8KVCacheDataTypeE1EhLi32ELi128ELi256ELb1ELi8EEvPKT_PKT0_S8_ifPKiSA_SA_iPKfiiiPfSD_PS3_PT2_iSC_SC_
		.amdhsa_group_segment_fixed_size 8192
		.amdhsa_private_segment_fixed_size 0
		.amdhsa_kernarg_size 400
		.amdhsa_user_sgpr_count 2
		.amdhsa_user_sgpr_dispatch_ptr 0
		.amdhsa_user_sgpr_queue_ptr 0
		.amdhsa_user_sgpr_kernarg_segment_ptr 1
		.amdhsa_user_sgpr_dispatch_id 0
		.amdhsa_user_sgpr_kernarg_preload_length 0
		.amdhsa_user_sgpr_kernarg_preload_offset 0
		.amdhsa_user_sgpr_private_segment_size 0
		.amdhsa_uses_dynamic_stack 0
		.amdhsa_enable_private_segment 0
		.amdhsa_system_sgpr_workgroup_id_x 1
		.amdhsa_system_sgpr_workgroup_id_y 1
		.amdhsa_system_sgpr_workgroup_id_z 1
		.amdhsa_system_sgpr_workgroup_info 0
		.amdhsa_system_vgpr_workitem_id 0
		.amdhsa_next_free_vgpr 78
		.amdhsa_next_free_sgpr 48
		.amdhsa_accum_offset 80
		.amdhsa_reserve_vcc 1
		.amdhsa_float_round_mode_32 0
		.amdhsa_float_round_mode_16_64 0
		.amdhsa_float_denorm_mode_32 3
		.amdhsa_float_denorm_mode_16_64 3
		.amdhsa_dx10_clamp 1
		.amdhsa_ieee_mode 1
		.amdhsa_fp16_overflow 0
		.amdhsa_tg_split 0
		.amdhsa_exception_fp_ieee_invalid_op 0
		.amdhsa_exception_fp_denorm_src 0
		.amdhsa_exception_fp_ieee_div_zero 0
		.amdhsa_exception_fp_ieee_overflow 0
		.amdhsa_exception_fp_ieee_underflow 0
		.amdhsa_exception_fp_ieee_inexact 0
		.amdhsa_exception_int_div_zero 0
	.end_amdhsa_kernel
	.section	.text._Z39paged_attention_ll4mi_QKV_mfma16_kernelI14__hip_bfloat16hLN4vllm18Fp8KVCacheDataTypeE1EhLi32ELi128ELi256ELb1ELi8EEvPKT_PKT0_S8_ifPKiSA_SA_iPKfiiiPfSD_PS3_PT2_iSC_SC_,"axG",@progbits,_Z39paged_attention_ll4mi_QKV_mfma16_kernelI14__hip_bfloat16hLN4vllm18Fp8KVCacheDataTypeE1EhLi32ELi128ELi256ELb1ELi8EEvPKT_PKT0_S8_ifPKiSA_SA_iPKfiiiPfSD_PS3_PT2_iSC_SC_,comdat
.Lfunc_end1335:
	.size	_Z39paged_attention_ll4mi_QKV_mfma16_kernelI14__hip_bfloat16hLN4vllm18Fp8KVCacheDataTypeE1EhLi32ELi128ELi256ELb1ELi8EEvPKT_PKT0_S8_ifPKiSA_SA_iPKfiiiPfSD_PS3_PT2_iSC_SC_, .Lfunc_end1335-_Z39paged_attention_ll4mi_QKV_mfma16_kernelI14__hip_bfloat16hLN4vllm18Fp8KVCacheDataTypeE1EhLi32ELi128ELi256ELb1ELi8EEvPKT_PKT0_S8_ifPKiSA_SA_iPKfiiiPfSD_PS3_PT2_iSC_SC_
                                        ; -- End function
	.section	.AMDGPU.csdata,"",@progbits
; Kernel info:
; codeLenInByte = 6628
; NumSgprs: 54
; NumVgprs: 78
; NumAgprs: 0
; TotalNumVgprs: 78
; ScratchSize: 0
; MemoryBound: 0
; FloatMode: 240
; IeeeMode: 1
; LDSByteSize: 8192 bytes/workgroup (compile time only)
; SGPRBlocks: 6
; VGPRBlocks: 9
; NumSGPRsForWavesPerEU: 54
; NumVGPRsForWavesPerEU: 78
; AccumOffset: 80
; Occupancy: 6
; WaveLimiterHint : 1
; COMPUTE_PGM_RSRC2:SCRATCH_EN: 0
; COMPUTE_PGM_RSRC2:USER_SGPR: 2
; COMPUTE_PGM_RSRC2:TRAP_HANDLER: 0
; COMPUTE_PGM_RSRC2:TGID_X_EN: 1
; COMPUTE_PGM_RSRC2:TGID_Y_EN: 1
; COMPUTE_PGM_RSRC2:TGID_Z_EN: 1
; COMPUTE_PGM_RSRC2:TIDIG_COMP_CNT: 0
; COMPUTE_PGM_RSRC3_GFX90A:ACCUM_OFFSET: 19
; COMPUTE_PGM_RSRC3_GFX90A:TG_SPLIT: 0
	.section	.text._Z39paged_attention_ll4mi_QKV_mfma16_kernelI14__hip_bfloat16hLN4vllm18Fp8KVCacheDataTypeE1EhLi32ELi128ELi256ELb1ELi9EEvPKT_PKT0_S8_ifPKiSA_SA_iPKfiiiPfSD_PS3_PT2_iSC_SC_,"axG",@progbits,_Z39paged_attention_ll4mi_QKV_mfma16_kernelI14__hip_bfloat16hLN4vllm18Fp8KVCacheDataTypeE1EhLi32ELi128ELi256ELb1ELi9EEvPKT_PKT0_S8_ifPKiSA_SA_iPKfiiiPfSD_PS3_PT2_iSC_SC_,comdat
	.protected	_Z39paged_attention_ll4mi_QKV_mfma16_kernelI14__hip_bfloat16hLN4vllm18Fp8KVCacheDataTypeE1EhLi32ELi128ELi256ELb1ELi9EEvPKT_PKT0_S8_ifPKiSA_SA_iPKfiiiPfSD_PS3_PT2_iSC_SC_ ; -- Begin function _Z39paged_attention_ll4mi_QKV_mfma16_kernelI14__hip_bfloat16hLN4vllm18Fp8KVCacheDataTypeE1EhLi32ELi128ELi256ELb1ELi9EEvPKT_PKT0_S8_ifPKiSA_SA_iPKfiiiPfSD_PS3_PT2_iSC_SC_
	.globl	_Z39paged_attention_ll4mi_QKV_mfma16_kernelI14__hip_bfloat16hLN4vllm18Fp8KVCacheDataTypeE1EhLi32ELi128ELi256ELb1ELi9EEvPKT_PKT0_S8_ifPKiSA_SA_iPKfiiiPfSD_PS3_PT2_iSC_SC_
	.p2align	8
	.type	_Z39paged_attention_ll4mi_QKV_mfma16_kernelI14__hip_bfloat16hLN4vllm18Fp8KVCacheDataTypeE1EhLi32ELi128ELi256ELb1ELi9EEvPKT_PKT0_S8_ifPKiSA_SA_iPKfiiiPfSD_PS3_PT2_iSC_SC_,@function
_Z39paged_attention_ll4mi_QKV_mfma16_kernelI14__hip_bfloat16hLN4vllm18Fp8KVCacheDataTypeE1EhLi32ELi128ELi256ELb1ELi9EEvPKT_PKT0_S8_ifPKiSA_SA_iPKfiiiPfSD_PS3_PT2_iSC_SC_: ; @_Z39paged_attention_ll4mi_QKV_mfma16_kernelI14__hip_bfloat16hLN4vllm18Fp8KVCacheDataTypeE1EhLi32ELi128ELi256ELb1ELi9EEvPKT_PKT0_S8_ifPKiSA_SA_iPKfiiiPfSD_PS3_PT2_iSC_SC_
; %bb.0:
	s_load_dwordx2 s[10:11], s[0:1], 0x30
	s_mov_b32 s6, s3
	s_mov_b64 s[8:9], 0
	s_waitcnt lgkmcnt(0)
	s_cmp_lg_u64 s[10:11], 0
	s_cselect_b64 s[12:13], -1, 0
	s_and_b64 vcc, exec, s[12:13]
	s_cbranch_vccz .LBB1336_7
; %bb.1:
	s_add_i32 s14, s2, 1
	s_mov_b32 s15, 0
	s_lshl_b64 s[16:17], s[14:15], 2
	s_add_u32 s16, s10, s16
	s_mov_b32 s3, s15
	s_addc_u32 s17, s11, s17
	s_lshl_b64 s[14:15], s[2:3], 2
	s_add_u32 s14, s10, s14
	s_addc_u32 s15, s11, s15
	s_load_dword s5, s[16:17], 0x0
	s_load_dword s7, s[14:15], 0x0
	s_waitcnt lgkmcnt(0)
	s_sub_i32 s5, s5, s7
	s_cmp_eq_u32 s5, 1
	s_cselect_b64 s[14:15], -1, 0
	s_andn2_b64 vcc, exec, s[8:9]
	s_cbranch_vccnz .LBB1336_3
.LBB1336_2:
	s_mov_b32 s3, 0
	s_mov_b64 s[14:15], -1
.LBB1336_3:
	s_andn2_b64 vcc, exec, s[14:15]
	s_cbranch_vccnz .LBB1336_20
; %bb.4:
	s_load_dwordx2 s[8:9], s[0:1], 0x28
	s_lshl_b64 s[14:15], s[2:3], 2
	s_waitcnt lgkmcnt(0)
	s_add_u32 s8, s8, s14
	s_addc_u32 s9, s9, s15
	s_load_dword s7, s[8:9], 0x0
	s_lshl_b32 s18, s6, 8
	s_waitcnt lgkmcnt(0)
	s_cmp_ge_i32 s18, s7
	s_cbranch_scc1 .LBB1336_20
; %bb.5:
	s_load_dwordx2 s[8:9], s[0:1], 0x20
	s_load_dword s5, s[0:1], 0x38
	s_add_i32 s16, s7, 31
	s_ashr_i32 s17, s16, 31
	v_and_b32_e32 v1, 0xcf, v0
	s_lshr_b32 s17, s17, 27
	v_add_u32_e32 v1, s18, v1
	s_add_i32 s16, s16, s17
	v_ashrrev_i32_e32 v2, 31, v1
	s_ashr_i32 s19, s16, 5
	v_lshrrev_b32_e32 v4, 27, v2
	s_add_i32 s19, s19, -1
	s_waitcnt lgkmcnt(0)
	s_mul_i32 s16, s2, s5
	s_mov_b32 s17, 0
	v_add_u32_e32 v2, v1, v4
	s_lshl_b64 s[16:17], s[16:17], 2
	v_ashrrev_i32_e32 v2, 5, v2
	v_mov_b32_e32 v5, s19
	v_cmp_gt_i32_e32 vcc, s7, v1
	s_add_u32 s8, s8, s16
	s_addc_u32 s9, s9, s17
	v_cndmask_b32_e32 v2, v5, v2, vcc
	v_ashrrev_i32_e32 v3, 31, v2
	v_lshl_add_u64 v[6:7], v[2:3], 2, s[8:9]
	v_or_b32_e32 v2, 16, v1
	v_add_u32_e32 v3, v2, v4
	v_ashrrev_i32_e32 v3, 5, v3
	v_cmp_gt_i32_e32 vcc, s7, v2
	s_load_dwordx2 s[16:17], s[0:1], 0x8
	s_nop 0
	v_cndmask_b32_e32 v2, v5, v3, vcc
	v_ashrrev_i32_e32 v3, 31, v2
	v_lshl_add_u64 v[8:9], v[2:3], 2, s[8:9]
	v_or_b32_e32 v2, 32, v1
	v_add_u32_e32 v3, v2, v4
	v_ashrrev_i32_e32 v3, 5, v3
	v_cmp_gt_i32_e32 vcc, s7, v2
	v_or_b32_e32 v1, 48, v1
	s_nop 0
	v_cndmask_b32_e32 v2, v5, v3, vcc
	v_ashrrev_i32_e32 v3, 31, v2
	v_lshl_add_u64 v[12:13], v[2:3], 2, s[8:9]
	v_add_u32_e32 v2, v1, v4
	v_ashrrev_i32_e32 v2, 5, v2
	v_cmp_gt_i32_e32 vcc, s7, v1
	s_nop 1
	v_cndmask_b32_e32 v2, v5, v2, vcc
	v_ashrrev_i32_e32 v3, 31, v2
	v_lshl_add_u64 v[14:15], v[2:3], 2, s[8:9]
	global_load_dword v4, v[6:7], off
	global_load_dword v3, v[8:9], off
	;; [unrolled: 1-line block ×4, first 2 shown]
	s_andn2_b64 vcc, exec, s[12:13]
	s_cbranch_vccnz .LBB1336_8
; %bb.6:
	s_add_u32 s10, s10, s14
	s_addc_u32 s11, s11, s15
	s_load_dword s5, s[10:11], 0x0
	s_branch .LBB1336_9
.LBB1336_7:
	s_mov_b64 s[14:15], 0
	s_branch .LBB1336_2
.LBB1336_8:
	s_mov_b32 s5, s2
.LBB1336_9:
	s_load_dwordx2 s[10:11], s[0:1], 0x10
	s_load_dwordx4 s[44:47], s[0:1], 0x48
	v_lshrrev_b32_e32 v57, 6, v0
	v_bfe_u32 v62, v0, 4, 2
	v_and_b32_e32 v56, 15, v0
	v_lshl_or_b32 v5, v57, 2, v62
	v_lshlrev_b32_e32 v1, 3, v56
	s_mul_i32 s48, s4, 9
	v_cmp_gt_u32_e32 vcc, 9, v5
	v_lshlrev_b32_e32 v54, 1, v1
	v_lshlrev_b32_e32 v1, 4, v0
	s_and_saveexec_b64 s[12:13], vcc
	s_cbranch_execz .LBB1336_11
; %bb.10:
	s_load_dwordx2 s[14:15], s[0:1], 0x0
	s_waitcnt lgkmcnt(0)
	s_ashr_i32 s20, s44, 31
	s_mul_hi_u32 s21, s5, s44
	s_mul_i32 s20, s5, s20
	s_add_i32 s21, s21, s20
	s_mul_i32 s20, s5, s44
	s_lshl_b64 s[20:21], s[20:21], 1
	s_add_u32 s14, s14, s20
	v_add_lshl_u32 v6, v5, s48, 7
	s_addc_u32 s15, s15, s21
	v_ashrrev_i32_e32 v7, 31, v6
	v_lshl_add_u64 v[6:7], v[6:7], 1, s[14:15]
	v_mov_b32_e32 v55, 0
	v_lshl_add_u64 v[6:7], v[6:7], 0, v[54:55]
	global_load_dwordx4 v[6:9], v[6:7], off
	v_lshlrev_b32_e32 v12, 8, v0
	v_lshlrev_b32_e32 v11, 8, v56
	v_and_b32_e32 v12, 0x600, v12
	s_movk_i32 s5, 0x800
	v_and_or_b32 v11, v11, s5, v12
	v_lshlrev_b32_e32 v5, 5, v5
	v_and_b32_e32 v12, 16, v1
	v_or3_b32 v5, v11, v5, v12
	s_waitcnt vmcnt(0)
	ds_write_b128 v5, v[6:9]
.LBB1336_11:
	s_or_b64 exec, exec, s[12:13]
	s_waitcnt lgkmcnt(0)
	s_mul_i32 s12, s4, s46
	s_add_u32 s4, s16, s12
	s_addc_u32 s5, s17, 0
	v_mov_b32_e32 v59, 0
	v_mov_b64_e32 v[12:13], s[4:5]
	v_and_b32_e32 v34, 48, v0
	s_waitcnt vmcnt(3)
	v_mad_i64_i32 v[4:5], s[4:5], v4, s45, v[12:13]
	v_lshlrev_b32_e32 v14, 4, v56
	v_mov_b32_e32 v15, v59
	v_lshlrev_b32_e32 v58, 5, v34
	v_lshl_add_u64 v[4:5], v[4:5], 0, v[14:15]
	v_lshl_add_u64 v[4:5], v[4:5], 0, v[58:59]
	s_barrier
	global_load_dwordx4 v[50:53], v[4:5], off
	global_load_dwordx4 v[46:49], v[4:5], off offset:2048
	s_waitcnt vmcnt(4)
	v_mad_i64_i32 v[4:5], s[4:5], v3, s45, v[12:13]
	v_or_b32_e32 v16, 0x100, v14
	v_mov_b32_e32 v17, v59
	s_waitcnt vmcnt(3)
	v_mad_i64_i32 v[2:3], s[4:5], v2, s45, v[12:13]
	v_lshl_add_u64 v[4:5], v[4:5], 0, v[16:17]
	v_lshl_add_u64 v[2:3], v[2:3], 0, v[14:15]
	s_waitcnt vmcnt(2)
	v_mad_i64_i32 v[10:11], s[4:5], v10, s45, v[12:13]
	v_lshl_add_u64 v[4:5], v[4:5], 0, v[58:59]
	v_lshl_add_u64 v[14:15], v[2:3], 0, v[58:59]
	;; [unrolled: 1-line block ×3, first 2 shown]
	global_load_dwordx4 v[36:39], v[4:5], off
	global_load_dwordx4 v[6:9], v[4:5], off offset:2048
	s_nop 0
	global_load_dwordx4 v[2:5], v[14:15], off
	global_load_dwordx4 v[42:45], v[14:15], off offset:2048
	v_lshl_add_u64 v[14:15], v[10:11], 0, v[58:59]
	global_load_dwordx4 v[26:29], v[14:15], off
	global_load_dwordx4 v[10:13], v[14:15], off offset:2048
	v_add_u32_e32 v14, -9, v56
	v_cmp_gt_u32_e32 vcc, 9, v56
	v_and_b32_e32 v55, 63, v0
	v_mov_b32_e32 v63, 0
	v_cndmask_b32_e32 v14, v14, v56, vcc
	v_lshlrev_b32_e32 v14, 5, v14
	v_lshl_add_u32 v14, v62, 9, v14
	ds_read_b128 v[30:33], v14
	ds_read_b128 v[22:25], v14 offset:16
	ds_read_b128 v[18:21], v14 offset:2048
	;; [unrolled: 1-line block ×3, first 2 shown]
	s_and_saveexec_b64 s[4:5], vcc
	s_cbranch_execz .LBB1336_13
; %bb.12:
	s_load_dwordx2 s[14:15], s[0:1], 0x40
	v_add_u32_e32 v40, s48, v56
	v_ashrrev_i32_e32 v41, 31, v40
	s_waitcnt lgkmcnt(0)
	v_lshl_add_u64 v[40:41], v[40:41], 2, s[14:15]
	global_load_dword v63, v[40:41], off
.LBB1336_13:
	s_or_b64 exec, exec, s[4:5]
	s_ashr_i32 s4, s18, 31
	v_or_b32_e32 v58, s18, v34
	s_lshr_b32 s4, s4, 27
	v_add_u32_e32 v34, s4, v58
	v_or_b32_e32 v40, 64, v58
	v_ashrrev_i32_e32 v34, 5, v34
	v_mov_b32_e32 v64, s19
	v_cmp_gt_i32_e32 vcc, s7, v58
	v_add_u32_e32 v41, s4, v40
	v_or_b32_e32 v60, 0x80, v58
	v_cndmask_b32_e32 v34, v64, v34, vcc
	v_ashrrev_i32_e32 v41, 5, v41
	v_cmp_gt_i32_e32 vcc, s7, v40
	v_add_u32_e32 v61, s4, v60
	v_or_b32_e32 v58, 0xc0, v58
	v_cndmask_b32_e32 v40, v64, v41, vcc
	v_ashrrev_i32_e32 v61, 5, v61
	v_cmp_gt_i32_e32 vcc, s7, v60
	v_add_u32_e32 v65, s4, v58
	v_ashrrev_i32_e32 v65, 5, v65
	v_cndmask_b32_e32 v60, v64, v61, vcc
	v_cmp_gt_i32_e32 vcc, s7, v58
	s_waitcnt vmcnt(7)
	v_cvt_pk_f32_fp8_sdwa v[66:67], v50 src0_sel:WORD_1
	s_mov_b32 s33, 0x7060302
	v_cndmask_b32_e32 v68, v64, v65, vcc
	v_cvt_pk_f32_fp8_e32 v[64:65], v50
	v_cvt_pk_f32_fp8_e32 v[70:71], v51
	v_cvt_pk_f32_fp8_sdwa v[50:51], v51 src0_sel:WORD_1
	v_cvt_pk_f32_fp8_e32 v[72:73], v52
	v_perm_b32 v64, v65, v64, s33
	v_perm_b32 v65, v67, v66, s33
	;; [unrolled: 1-line block ×3, first 2 shown]
	v_cvt_pk_f32_fp8_sdwa v[74:75], v52 src0_sel:WORD_1
	v_perm_b32 v71, v51, v50, s33
	s_waitcnt lgkmcnt(3)
	v_mfma_f32_16x16x16_bf16 v[64:67], v[64:65], v[30:31], 0
	v_perm_b32 v72, v73, v72, s33
	v_perm_b32 v73, v75, v74, s33
	v_cvt_pk_f32_fp8_e32 v[74:75], v53
	v_cvt_pk_f32_fp8_sdwa v[76:77], v53 src0_sel:WORD_1
	v_mfma_f32_16x16x16_bf16 v[50:53], v[70:71], v[32:33], v[64:67]
	v_ashrrev_i32_e32 v35, 31, v34
	v_lshl_add_u64 v[34:35], v[34:35], 2, s[8:9]
	v_ashrrev_i32_e32 v41, 31, v40
	v_perm_b32 v64, v75, v74, s33
	v_perm_b32 v65, v77, v76, s33
	s_waitcnt lgkmcnt(2)
	v_mfma_f32_16x16x16_bf16 v[50:53], v[72:73], v[22:23], v[50:53]
	s_waitcnt vmcnt(6)
	v_cvt_pk_f32_fp8_e32 v[66:67], v46
	v_ashrrev_i32_e32 v61, 31, v60
	v_ashrrev_i32_e32 v69, 31, v68
	v_lshl_add_u64 v[40:41], v[40:41], 2, s[8:9]
	v_lshl_add_u64 v[60:61], v[60:61], 2, s[8:9]
	;; [unrolled: 1-line block ×3, first 2 shown]
	v_mfma_f32_16x16x16_bf16 v[50:53], v[64:65], v[24:25], v[50:53]
	v_perm_b32 v74, v67, v66, s33
	global_load_dword v68, v[34:35], off
	global_load_dword v66, v[40:41], off
	global_load_dword v67, v[60:61], off
	global_load_dword v65, v[72:73], off
	v_cvt_pk_f32_fp8_sdwa v[70:71], v46 src0_sel:WORD_1
	v_cvt_pk_f32_fp8_e32 v[40:41], v48
	s_waitcnt vmcnt(9)
	v_cvt_pk_f32_fp8_e32 v[60:61], v36
	s_add_u32 s4, s10, s12
	v_perm_b32 v75, v71, v70, s33
	v_cvt_pk_f32_fp8_e32 v[70:71], v47
	v_cvt_pk_f32_fp8_sdwa v[46:47], v47 src0_sel:WORD_1
	s_waitcnt lgkmcnt(1)
	v_mfma_f32_16x16x16_bf16 v[50:53], v[74:75], v[18:19], v[50:53]
	v_perm_b32 v34, v71, v70, s33
	v_perm_b32 v35, v47, v46, s33
	v_cvt_pk_f32_fp8_sdwa v[46:47], v48 src0_sel:WORD_1
	v_perm_b32 v40, v41, v40, s33
	v_mfma_f32_16x16x16_bf16 v[50:53], v[34:35], v[20:21], v[50:53]
	v_perm_b32 v41, v47, v46, s33
	v_cvt_pk_f32_fp8_e32 v[34:35], v49
	v_cvt_pk_f32_fp8_sdwa v[46:47], v49 src0_sel:WORD_1
	v_cvt_pk_f32_fp8_sdwa v[70:71], v36 src0_sel:WORD_1
	s_addc_u32 s5, s11, 0
	v_perm_b32 v34, v35, v34, s33
	v_perm_b32 v35, v47, v46, s33
	s_waitcnt lgkmcnt(0)
	v_mfma_f32_16x16x16_bf16 v[46:49], v[40:41], v[14:15], v[50:53]
	v_perm_b32 v40, v61, v60, s33
	v_perm_b32 v41, v71, v70, s33
	s_waitcnt vmcnt(8)
	v_cvt_pk_f32_fp8_sdwa v[60:61], v6 src0_sel:WORD_1
	v_cvt_pk_f32_fp8_e32 v[50:51], v37
	v_cvt_pk_f32_fp8_sdwa v[52:53], v37 src0_sel:WORD_1
	v_mfma_f32_16x16x16_bf16 v[34:37], v[34:35], v[16:17], v[46:49]
	v_and_b32_e32 v58, 16, v0
	v_perm_b32 v50, v51, v50, s33
	v_perm_b32 v51, v53, v52, s33
	v_mfma_f32_16x16x16_bf16 v[46:49], v[40:41], v[30:31], 0
	v_cvt_pk_f32_fp8_e32 v[40:41], v38
	v_cvt_pk_f32_fp8_sdwa v[52:53], v38 src0_sel:WORD_1
	v_lshl_or_b32 v64, v57, 4, v56
	v_mfma_f32_16x16x16_bf16 v[46:49], v[50:51], v[32:33], v[46:49]
	v_cvt_pk_f32_fp8_e32 v[50:51], v39
	v_perm_b32 v40, v41, v40, s33
	v_perm_b32 v41, v53, v52, s33
	v_cvt_pk_f32_fp8_sdwa v[38:39], v39 src0_sel:WORD_1
	v_perm_b32 v50, v51, v50, s33
	v_cvt_pk_f32_fp8_e32 v[52:53], v6
	s_waitcnt vmcnt(6)
	v_cvt_pk_f32_fp8_e32 v[74:75], v43
	v_perm_b32 v51, v39, v38, s33
	v_mfma_f32_16x16x16_bf16 v[38:41], v[40:41], v[22:23], v[46:49]
	s_nop 2
	v_perm_b32 v48, v53, v52, s33
	v_perm_b32 v49, v61, v60, s33
	v_cvt_pk_f32_fp8_e32 v[52:53], v7
	v_cvt_pk_f32_fp8_sdwa v[6:7], v7 src0_sel:WORD_1
	v_mfma_f32_16x16x16_bf16 v[38:41], v[50:51], v[24:25], v[38:41]
	v_lshl_add_u64 v[46:47], s[4:5], 0, v[58:59]
	v_perm_b32 v50, v53, v52, s33
	v_perm_b32 v51, v7, v6, s33
	v_mfma_f32_16x16x16_bf16 v[38:41], v[48:49], v[18:19], v[38:41]
	v_cvt_pk_f32_fp8_e32 v[6:7], v8
	v_cvt_pk_f32_fp8_sdwa v[48:49], v8 src0_sel:WORD_1
	v_cvt_pk_f32_fp8_sdwa v[52:53], v2 src0_sel:WORD_1
	v_mfma_f32_16x16x16_bf16 v[38:41], v[50:51], v[20:21], v[38:41]
	v_cvt_pk_f32_fp8_e32 v[50:51], v9
	v_perm_b32 v6, v7, v6, s33
	v_perm_b32 v7, v49, v48, s33
	v_cvt_pk_f32_fp8_sdwa v[8:9], v9 src0_sel:WORD_1
	v_perm_b32 v48, v51, v50, s33
	v_cvt_pk_f32_fp8_e32 v[50:51], v2
	v_lshlrev_b32_e32 v58, 5, v64
	v_perm_b32 v49, v9, v8, s33
	v_mfma_f32_16x16x16_bf16 v[6:9], v[6:7], v[14:15], v[38:41]
	v_perm_b32 v50, v51, v50, s33
	v_perm_b32 v51, v53, v52, s33
	v_cvt_pk_f32_fp8_e32 v[52:53], v3
	v_cvt_pk_f32_fp8_sdwa v[2:3], v3 src0_sel:WORD_1
	v_mfma_f32_16x16x16_bf16 v[38:41], v[48:49], v[16:17], v[6:9]
	v_lshl_add_u64 v[48:49], v[46:47], 0, v[58:59]
	v_perm_b32 v52, v53, v52, s33
	v_perm_b32 v53, v3, v2, s33
	v_mfma_f32_16x16x16_bf16 v[6:9], v[50:51], v[30:31], 0
	v_cvt_pk_f32_fp8_e32 v[2:3], v4
	v_cvt_pk_f32_fp8_sdwa v[50:51], v4 src0_sel:WORD_1
	s_waitcnt vmcnt(3)
	v_mad_i64_i32 v[60:61], s[4:5], v68, s45, v[48:49]
	v_perm_b32 v2, v3, v2, s33
	v_perm_b32 v3, v51, v50, s33
	v_mfma_f32_16x16x16_bf16 v[6:9], v[52:53], v[32:33], v[6:9]
	v_cvt_pk_f32_fp8_e32 v[50:51], v5
	v_cvt_pk_f32_fp8_sdwa v[4:5], v5 src0_sel:WORD_1
	s_waitcnt vmcnt(2)
	v_mad_i64_i32 v[70:71], s[4:5], v66, s45, v[48:49]
	v_perm_b32 v50, v51, v50, s33
	v_perm_b32 v51, v5, v4, s33
	v_mfma_f32_16x16x16_bf16 v[2:5], v[2:3], v[22:23], v[6:9]
	v_or_b32_e32 v58, 0x800, v58
	s_nop 1
	v_cvt_pk_f32_fp8_e32 v[6:7], v42
	v_cvt_pk_f32_fp8_sdwa v[8:9], v42 src0_sel:WORD_1
	v_cvt_pk_f32_fp8_sdwa v[42:43], v43 src0_sel:WORD_1
	v_mfma_f32_16x16x16_bf16 v[50:53], v[50:51], v[24:25], v[2:5]
	v_perm_b32 v72, v7, v6, s33
	v_perm_b32 v73, v9, v8, s33
	global_load_dwordx4 v[6:9], v[60:61], off
	global_load_dwordx4 v[2:5], v[70:71], off
	v_perm_b32 v60, v75, v74, s33
	v_perm_b32 v61, v43, v42, s33
	v_mfma_f32_16x16x16_bf16 v[70:73], v[72:73], v[18:19], v[50:53]
	v_cvt_pk_f32_fp8_e32 v[42:43], v44
	v_perm_b32 v42, v43, v42, s33
	s_nop 0
	v_cvt_pk_f32_fp8_sdwa v[52:53], v44 src0_sel:WORD_1
	v_mfma_f32_16x16x16_bf16 v[70:73], v[60:61], v[20:21], v[70:73]
	v_cvt_pk_f32_fp8_e32 v[60:61], v45
	s_waitcnt vmcnt(3)
	v_mad_i64_i32 v[50:51], s[4:5], v67, s45, v[48:49]
	s_load_dword s4, s[0:1], 0x1c
	s_load_dwordx4 s[40:43], s[0:1], 0x80
	v_perm_b32 v43, v53, v52, s33
	v_perm_b32 v74, v61, v60, s33
	v_cvt_pk_f32_fp8_e32 v[52:53], v26
	v_cvt_pk_f32_fp8_sdwa v[60:61], v26 src0_sel:WORD_1
	s_load_dword s44, s[0:1], 0x98
	s_waitcnt lgkmcnt(0)
	s_load_dword s5, s[40:41], 0x0
	v_cvt_pk_f32_fp8_sdwa v[44:45], v45 src0_sel:WORD_1
	v_perm_b32 v52, v53, v52, s33
	v_perm_b32 v53, v61, v60, s33
	v_cvt_pk_f32_fp8_e32 v[60:61], v27
	v_cvt_pk_f32_fp8_sdwa v[26:27], v27 src0_sel:WORD_1
	v_perm_b32 v75, v45, v44, s33
	v_mfma_f32_16x16x16_bf16 v[42:45], v[42:43], v[14:15], v[70:73]
	v_perm_b32 v60, v61, v60, s33
	v_perm_b32 v61, v27, v26, s33
	v_mov_b32_e32 v26, s4
	v_mfma_f32_16x16x16_bf16 v[70:73], v[52:53], v[30:31], 0
	s_waitcnt lgkmcnt(0)
	v_mul_f32_e32 v52, s5, v26
	v_cvt_pk_f32_fp8_e32 v[26:27], v28
	v_cvt_pk_f32_fp8_sdwa v[30:31], v28 src0_sel:WORD_1
	v_mfma_f32_16x16x16_bf16 v[70:73], v[60:61], v[32:33], v[70:73]
	v_cvt_pk_f32_fp8_e32 v[32:33], v29
	v_cvt_pk_f32_fp8_sdwa v[28:29], v29 src0_sel:WORD_1
	v_perm_b32 v26, v27, v26, s33
	v_perm_b32 v27, v31, v30, s33
	v_mfma_f32_16x16x16_bf16 v[42:45], v[74:75], v[16:17], v[42:45]
	v_perm_b32 v32, v33, v32, s33
	v_perm_b32 v33, v29, v28, s33
	v_cvt_pk_f32_fp8_e32 v[60:61], v10
	v_cvt_pk_f32_fp8_sdwa v[74:75], v10 src0_sel:WORD_1
	v_mfma_f32_16x16x16_bf16 v[26:29], v[26:27], v[22:23], v[70:73]
	v_pk_mul_f32 v[30:31], v[52:53], v[36:37] op_sel_hi:[0,1]
	v_perm_b32 v36, v61, v60, s33
	v_perm_b32 v37, v75, v74, s33
	v_cvt_pk_f32_fp8_e32 v[60:61], v11
	v_cvt_pk_f32_fp8_sdwa v[70:71], v11 src0_sel:WORD_1
	v_mfma_f32_16x16x16_bf16 v[22:25], v[32:33], v[24:25], v[26:29]
	v_pk_mul_f32 v[10:11], v[52:53], v[34:35] op_sel_hi:[0,1]
	v_perm_b32 v60, v61, v60, s33
	v_perm_b32 v61, v71, v70, s33
	v_mfma_f32_16x16x16_bf16 v[32:35], v[36:37], v[18:19], v[22:25]
	v_cvt_pk_f32_fp8_e32 v[18:19], v12
	v_cvt_pk_f32_fp8_sdwa v[36:37], v12 src0_sel:WORD_1
	s_waitcnt vmcnt(2)
	v_mad_i64_i32 v[48:49], s[8:9], v65, s45, v[48:49]
	global_load_dwordx4 v[26:29], v[50:51], off
	global_load_dwordx4 v[22:25], v[48:49], off
	v_perm_b32 v48, v19, v18, s33
	v_perm_b32 v49, v37, v36, s33
	v_cvt_pk_f32_fp8_e32 v[36:37], v13
	v_cvt_pk_f32_fp8_sdwa v[12:13], v13 src0_sel:WORD_1
	v_mfma_f32_16x16x16_bf16 v[18:21], v[60:61], v[20:21], v[32:35]
	v_pk_mul_f32 v[40:41], v[52:53], v[40:41] op_sel_hi:[0,1]
	v_pk_mul_f32 v[42:43], v[52:53], v[42:43] op_sel_hi:[0,1]
	s_mov_b32 s40, 0xff7fffff
	v_perm_b32 v32, v37, v36, s33
	v_perm_b32 v33, v13, v12, s33
	v_mfma_f32_16x16x16_bf16 v[12:15], v[48:49], v[14:15], v[18:21]
	v_pk_mul_f32 v[48:49], v[52:53], v[38:39] op_sel_hi:[0,1]
	v_pk_mul_f32 v[38:39], v[52:53], v[44:45] op_sel_hi:[0,1]
	v_mfma_f32_16x16x16_bf16 v[12:15], v[32:33], v[16:17], v[12:15]
	s_nop 6
	v_pk_mul_f32 v[36:37], v[52:53], v[12:13] op_sel_hi:[0,1]
	v_and_b32_e32 v12, 0xc0, v0
	v_add_u32_e32 v12, s18, v12
	v_lshl_or_b32 v12, v62, 2, v12
	v_or_b32_e32 v13, 1, v12
	v_pk_mul_f32 v[34:35], v[52:53], v[14:15] op_sel_hi:[0,1]
	v_subrev_u32_e32 v14, s7, v13
	v_add_u32_e32 v16, 1, v14
	v_add_u32_e32 v17, 2, v14
	v_cvt_f32_i32_e32 v15, v14
	v_cvt_f32_i32_e32 v16, v16
	;; [unrolled: 1-line block ×3, first 2 shown]
	v_add_u32_e32 v18, 3, v14
	v_fma_f32 v10, v63, v15, v10
	v_fmac_f32_e32 v11, v63, v16
	v_fma_f32 v51, v63, v17, v30
	v_add_u32_e32 v15, 16, v14
	v_add_u32_e32 v16, 17, v14
	;; [unrolled: 1-line block ×3, first 2 shown]
	v_cvt_f32_i32_e32 v18, v18
	v_cvt_f32_i32_e32 v15, v15
	;; [unrolled: 1-line block ×4, first 2 shown]
	v_fmac_f32_e32 v31, v63, v18
	v_add_u32_e32 v18, 19, v14
	v_fma_f32 v48, v63, v15, v48
	v_fmac_f32_e32 v49, v63, v16
	v_fma_f32 v40, v63, v17, v40
	v_add_u32_e32 v15, 32, v14
	v_add_u32_e32 v16, 33, v14
	;; [unrolled: 1-line block ×3, first 2 shown]
	v_cvt_f32_i32_e32 v18, v18
	v_cvt_f32_i32_e32 v15, v15
	v_cvt_f32_i32_e32 v16, v16
	v_cvt_f32_i32_e32 v17, v17
	v_fmac_f32_e32 v41, v63, v18
	v_add_u32_e32 v18, 35, v14
	v_fma_f32 v42, v63, v15, v42
	v_fmac_f32_e32 v43, v63, v16
	v_fma_f32 v38, v63, v17, v38
	v_add_u32_e32 v15, 48, v14
	v_add_u32_e32 v16, 49, v14
	;; [unrolled: 1-line block ×4, first 2 shown]
	v_cvt_f32_i32_e32 v14, v14
	v_cvt_f32_i32_e32 v15, v15
	;; [unrolled: 1-line block ×3, first 2 shown]
	v_cmp_gt_i32_e64 s[8:9], s7, v12
	v_fmac_f32_e32 v35, v63, v14
	v_mov_b32_e32 v14, 0xff7fffff
	v_cmp_gt_i32_e64 s[10:11], s7, v13
	v_fma_f32 v36, v63, v15, v36
	v_cndmask_b32_e64 v15, v14, v10, s[8:9]
	v_cndmask_b32_e64 v13, v14, v11, s[10:11]
	v_fmac_f32_e32 v37, v63, v16
	v_max3_f32 v13, v15, s40, v13
	v_or_b32_e32 v15, 2, v12
	v_or_b32_e32 v16, 3, v12
	v_cmp_gt_i32_e64 s[12:13], s7, v15
	v_cmp_gt_i32_e64 s[14:15], s7, v16
	v_cvt_f32_i32_e32 v18, v18
	v_cndmask_b32_e64 v15, v14, v51, s[12:13]
	v_cndmask_b32_e64 v16, v14, v31, s[14:15]
	v_max3_f32 v13, v13, v15, v16
	v_or_b32_e32 v15, 16, v12
	v_or_b32_e32 v16, 17, v12
	v_cmp_gt_i32_e64 s[16:17], s7, v15
	v_cmp_gt_i32_e64 s[18:19], s7, v16
	v_fmac_f32_e32 v39, v63, v18
	v_cndmask_b32_e64 v15, v14, v48, s[16:17]
	v_cndmask_b32_e64 v16, v14, v49, s[18:19]
	v_max3_f32 v13, v13, v15, v16
	v_or_b32_e32 v15, 18, v12
	v_or_b32_e32 v16, 19, v12
	v_cmp_gt_i32_e64 s[20:21], s7, v15
	v_cmp_gt_i32_e64 s[22:23], s7, v16
	v_cvt_f32_i32_e32 v17, v17
	v_cndmask_b32_e64 v15, v14, v40, s[20:21]
	v_cndmask_b32_e64 v16, v14, v41, s[22:23]
	v_max3_f32 v13, v13, v15, v16
	v_or_b32_e32 v15, 32, v12
	v_or_b32_e32 v16, 33, v12
	v_cmp_gt_i32_e64 s[24:25], s7, v15
	v_cmp_gt_i32_e64 s[26:27], s7, v16
	v_fma_f32 v34, v63, v17, v34
	v_cndmask_b32_e64 v15, v14, v42, s[24:25]
	v_cndmask_b32_e64 v16, v14, v43, s[26:27]
	v_max3_f32 v13, v13, v15, v16
	v_or_b32_e32 v15, 34, v12
	v_or_b32_e32 v16, 35, v12
	v_cmp_gt_i32_e64 s[28:29], s7, v15
	v_cmp_gt_i32_e64 s[30:31], s7, v16
	s_nop 0
	v_cndmask_b32_e64 v15, v14, v38, s[28:29]
	v_cndmask_b32_e64 v16, v14, v39, s[30:31]
	v_max3_f32 v13, v13, v15, v16
	v_or_b32_e32 v15, 48, v12
	v_or_b32_e32 v16, 49, v12
	v_cmp_gt_i32_e64 s[34:35], s7, v15
	v_cmp_gt_i32_e64 s[36:37], s7, v16
	s_nop 0
	v_cndmask_b32_e64 v15, v14, v36, s[34:35]
	v_cndmask_b32_e64 v16, v14, v37, s[36:37]
	v_max3_f32 v13, v13, v15, v16
	v_or_b32_e32 v15, 50, v12
	v_or_b32_e32 v12, 51, v12
	v_cmp_gt_i32_e32 vcc, s7, v15
	v_cmp_gt_i32_e64 s[4:5], s7, v12
	s_nop 0
	v_cndmask_b32_e32 v15, v14, v34, vcc
	v_cndmask_b32_e64 v12, v14, v35, s[4:5]
	v_max3_f32 v16, v13, v15, v12
	v_mbcnt_lo_u32_b32 v12, -1, 0
	v_mbcnt_hi_u32_b32 v17, -1, v12
	v_and_b32_e32 v12, 64, v17
	v_add_u32_e32 v18, 64, v12
	v_xor_b32_e32 v12, 32, v17
	v_cmp_lt_i32_e64 s[38:39], v12, v18
	s_nop 1
	v_cndmask_b32_e64 v12, v17, v12, s[38:39]
	v_lshlrev_b32_e32 v52, 2, v12
	ds_bpermute_b32 v19, v52, v16
	v_lshl_add_u64 v[12:13], v[46:47], 0, v[58:59]
	v_mad_i64_i32 v[14:15], s[38:39], v68, s45, v[12:13]
	s_waitcnt lgkmcnt(0)
	v_max_f32_e32 v19, v19, v19
	v_max_f32_e32 v19, v16, v19
	v_xor_b32_e32 v16, 16, v17
	v_cmp_lt_i32_e64 s[38:39], v16, v18
	s_nop 1
	v_cndmask_b32_e64 v16, v17, v16, s[38:39]
	v_lshlrev_b32_e32 v53, 2, v16
	ds_bpermute_b32 v18, v53, v19
	v_mad_i64_i32 v[16:17], s[38:39], v66, s45, v[12:13]
	v_mad_i64_i32 v[44:45], s[38:39], v67, s45, v[12:13]
	s_waitcnt lgkmcnt(0)
	v_max_f32_e32 v18, v18, v18
	v_max_f32_e32 v50, v19, v18
	v_sub_f32_e32 v10, v10, v50
	v_mul_f32_e32 v10, 0x3fb8aa3b, v10
	v_exp_f32_e32 v18, v10
	v_sub_f32_e32 v10, v11, v50
	v_mul_f32_e32 v10, 0x3fb8aa3b, v10
	v_exp_f32_e32 v19, v10
	v_mad_i64_i32 v[10:11], s[38:39], v65, s45, v[12:13]
	v_sub_f32_e32 v12, v51, v50
	v_mul_f32_e32 v12, 0x3fb8aa3b, v12
	v_cndmask_b32_e64 v46, 0, v18, s[8:9]
	v_cndmask_b32_e64 v47, 0, v19, s[10:11]
	v_sub_f32_e32 v58, v31, v50
	global_load_dwordx4 v[30:33], v[14:15], off
	global_load_dwordx4 v[18:21], v[16:17], off
	v_exp_f32_e32 v51, v12
	global_load_dwordx4 v[14:17], v[44:45], off
	s_nop 0
	global_load_dwordx4 v[10:13], v[10:11], off
	v_sub_f32_e32 v45, v48, v50
	v_sub_f32_e32 v48, v49, v50
	;; [unrolled: 1-line block ×4, first 2 shown]
	v_mul_f32_e32 v44, 0x3fb8aa3b, v58
	v_mul_f32_e32 v45, 0x3fb8aa3b, v45
	;; [unrolled: 1-line block ×5, first 2 shown]
	v_exp_f32_e32 v44, v44
	v_exp_f32_e32 v45, v45
	;; [unrolled: 1-line block ×3, first 2 shown]
	v_cndmask_b32_e64 v48, 0, v51, s[12:13]
	v_exp_f32_e32 v40, v40
	v_exp_f32_e32 v51, v42
	v_sub_f32_e32 v42, v43, v50
	v_mul_f32_e32 v42, 0x3fb8aa3b, v42
	v_cndmask_b32_e64 v49, 0, v44, s[14:15]
	v_cndmask_b32_e64 v44, 0, v45, s[16:17]
	;; [unrolled: 1-line block ×3, first 2 shown]
	v_sub_f32_e32 v41, v41, v50
	v_exp_f32_e32 v58, v42
	v_cndmask_b32_e64 v42, 0, v40, s[20:21]
	v_cndmask_b32_e64 v40, 0, v51, s[24:25]
	v_add_f32_e32 v51, 0, v46
	v_mul_f32_e32 v41, 0x3fb8aa3b, v41
	v_add_f32_e32 v51, v51, v47
	v_exp_f32_e32 v41, v41
	v_add_f32_e32 v51, v51, v48
	v_sub_f32_e32 v38, v38, v50
	v_add_f32_e32 v51, v51, v49
	v_sub_f32_e32 v39, v39, v50
	v_mul_f32_e32 v38, 0x3fb8aa3b, v38
	v_add_f32_e32 v51, v51, v44
	v_exp_f32_e32 v38, v38
	v_mul_f32_e32 v39, 0x3fb8aa3b, v39
	v_sub_f32_e32 v36, v36, v50
	v_add_f32_e32 v51, v51, v45
	v_cndmask_b32_e64 v43, 0, v41, s[22:23]
	v_exp_f32_e32 v39, v39
	v_mul_f32_e32 v36, 0x3fb8aa3b, v36
	v_sub_f32_e32 v37, v37, v50
	v_add_f32_e32 v51, v51, v42
	v_exp_f32_e32 v36, v36
	v_mul_f32_e32 v37, 0x3fb8aa3b, v37
	v_add_f32_e32 v51, v51, v43
	v_sub_f32_e32 v34, v34, v50
	v_cndmask_b32_e64 v41, 0, v58, s[26:27]
	v_exp_f32_e32 v37, v37
	v_add_f32_e32 v51, v51, v40
	v_mul_f32_e32 v34, 0x3fb8aa3b, v34
	v_sub_f32_e32 v35, v35, v50
	v_cndmask_b32_e64 v38, 0, v38, s[28:29]
	v_add_f32_e32 v51, v51, v41
	v_exp_f32_e32 v34, v34
	v_mul_f32_e32 v35, 0x3fb8aa3b, v35
	v_cndmask_b32_e64 v39, 0, v39, s[30:31]
	v_add_f32_e32 v51, v51, v38
	v_exp_f32_e32 v35, v35
	v_cndmask_b32_e64 v36, 0, v36, s[34:35]
	v_add_f32_e32 v51, v51, v39
	v_cndmask_b32_e64 v37, 0, v37, s[36:37]
	v_add_f32_e32 v51, v51, v36
	v_add_f32_e32 v51, v51, v37
	v_cndmask_b32_e32 v34, 0, v34, vcc
	v_add_f32_e32 v51, v51, v34
	v_cndmask_b32_e64 v35, 0, v35, s[4:5]
	v_add_f32_e32 v51, v51, v35
	ds_bpermute_b32 v52, v52, v51
	v_cmp_gt_u32_e64 s[4:5], 16, v55
	s_waitcnt lgkmcnt(0)
	s_barrier
	v_add_f32_e32 v51, v51, v52
	ds_bpermute_b32 v52, v53, v51
	s_and_saveexec_b64 s[8:9], s[4:5]
	s_cbranch_execz .LBB1336_15
; %bb.14:
	s_waitcnt lgkmcnt(0)
	v_add_f32_e32 v51, v51, v52
	v_lshlrev_b32_e32 v52, 2, v64
	ds_write2st64_b32 v52, v50, v51 offset1:1
.LBB1336_15:
	s_or_b64 exec, exec, s[8:9]
	v_lshlrev_b32_e32 v51, 2, v56
	s_load_dword s7, s[0:1], 0x94
	s_waitcnt lgkmcnt(0)
	s_barrier
	ds_read2_b32 v[52:53], v51 offset1:16
	ds_read2_b32 v[58:59], v51 offset0:32 offset1:48
	ds_read2_b32 v[60:61], v51 offset0:64 offset1:80
	s_movk_i32 s11, 0x7fff
	s_mul_i32 s10, s44, 9
	s_waitcnt lgkmcnt(2)
	v_max3_f32 v50, v52, s40, v53
	s_waitcnt lgkmcnt(1)
	v_max3_f32 v50, v50, v58, v59
	v_sub_f32_e32 v52, v52, v50
	v_mul_f32_e32 v52, 0x3fb8aa3b, v52
	v_exp_f32_e32 v55, v52
	v_sub_f32_e32 v52, v53, v50
	v_mul_f32_e32 v52, 0x3fb8aa3b, v52
	v_exp_f32_e32 v63, v52
	;; [unrolled: 3-line block ×3, first 2 shown]
	ds_read2_b32 v[52:53], v51 offset0:96 offset1:112
	v_sub_f32_e32 v51, v59, v50
	v_mul_f32_e32 v51, 0x3fb8aa3b, v51
	v_exp_f32_e32 v59, v51
	s_waitcnt lgkmcnt(1)
	v_fma_f32 v51, v55, v60, 0
	v_fmac_f32_e32 v51, v63, v61
	s_waitcnt lgkmcnt(0)
	v_fmac_f32_e32 v51, v58, v52
	v_fmac_f32_e32 v51, v59, v53
	v_add_f32_e32 v52, 0x358637bd, v51
	v_div_scale_f32 v53, s[8:9], v52, v52, 1.0
	v_rcp_f32_e32 v60, v53
	s_barrier
	v_fma_f32 v61, -v53, v60, 1.0
	v_fmac_f32_e32 v60, v61, v60
	v_div_scale_f32 v61, vcc, 1.0, v52, 1.0
	v_mul_f32_e32 v64, v61, v60
	v_fma_f32 v65, -v53, v64, v61
	v_fmac_f32_e32 v64, v65, v60
	v_fma_f32 v53, -v53, v64, v61
	v_div_fmas_f32 v53, v53, v60, v64
	v_cmp_eq_u32_e32 vcc, 1, v57
	v_div_fixup_f32 v52, v53, v52, 1.0
	s_nop 0
	v_cndmask_b32_e32 v53, v55, v63, vcc
	v_cmp_eq_u32_e32 vcc, 2, v57
	s_nop 1
	v_cndmask_b32_e32 v53, v53, v58, vcc
	v_cmp_eq_u32_e32 vcc, 3, v57
	s_nop 1
	v_cndmask_b32_e32 v53, v53, v59, vcc
	v_mul_f32_e32 v52, v53, v52
	v_pk_mul_f32 v[46:47], v[52:53], v[46:47] op_sel_hi:[0,1]
	v_pk_mul_f32 v[48:49], v[52:53], v[48:49] op_sel_hi:[0,1]
	v_bfe_u32 v53, v47, 16, 1
	v_bfe_u32 v55, v46, 16, 1
	v_add3_u32 v46, v46, v55, s11
	v_add3_u32 v47, v47, v53, s11
	v_perm_b32 v58, v47, v46, s33
	v_bfe_u32 v46, v49, 16, 1
	v_bfe_u32 v47, v48, 16, 1
	v_add3_u32 v47, v48, v47, s11
	v_add3_u32 v46, v49, v46, s11
	v_perm_b32 v59, v46, v47, s33
	v_lshlrev_b32_e32 v47, 3, v62
	v_lshlrev_b32_e32 v46, 5, v56
	;; [unrolled: 1-line block ×3, first 2 shown]
	v_pk_mul_f32 v[44:45], v[52:53], v[44:45] op_sel_hi:[0,1]
	v_or3_b32 v55, v48, v46, v47
	v_bfe_u32 v47, v45, 16, 1
	v_bfe_u32 v48, v44, 16, 1
	v_pk_mul_f32 v[42:43], v[52:53], v[42:43] op_sel_hi:[0,1]
	v_add3_u32 v44, v44, v48, s11
	v_add3_u32 v45, v45, v47, s11
	v_perm_b32 v44, v45, v44, s33
	v_bfe_u32 v45, v43, 16, 1
	v_bfe_u32 v47, v42, 16, 1
	v_add3_u32 v42, v42, v47, s11
	v_add3_u32 v43, v43, v45, s11
	v_pk_mul_f32 v[40:41], v[52:53], v[40:41] op_sel_hi:[0,1]
	v_perm_b32 v45, v43, v42, s33
	v_bfe_u32 v42, v41, 16, 1
	v_bfe_u32 v43, v40, 16, 1
	v_pk_mul_f32 v[38:39], v[52:53], v[38:39] op_sel_hi:[0,1]
	v_add3_u32 v40, v40, v43, s11
	v_add3_u32 v41, v41, v42, s11
	v_perm_b32 v40, v41, v40, s33
	v_bfe_u32 v41, v39, 16, 1
	v_bfe_u32 v42, v38, 16, 1
	v_add3_u32 v38, v38, v42, s11
	v_add3_u32 v39, v39, v41, s11
	v_pk_mul_f32 v[36:37], v[52:53], v[36:37] op_sel_hi:[0,1]
	v_perm_b32 v41, v39, v38, s33
	v_bfe_u32 v38, v37, 16, 1
	v_bfe_u32 v39, v36, 16, 1
	v_pk_mul_f32 v[34:35], v[52:53], v[34:35] op_sel_hi:[0,1]
	v_add3_u32 v36, v36, v39, s11
	v_add3_u32 v37, v37, v38, s11
	v_perm_b32 v36, v37, v36, s33
	v_bfe_u32 v37, v35, 16, 1
	v_bfe_u32 v38, v34, 16, 1
	v_add3_u32 v34, v34, v38, s11
	v_add3_u32 v35, v35, v37, s11
	v_perm_b32 v37, v35, v34, s33
	v_cmp_gt_u32_e32 vcc, 9, v0
	ds_write2st64_b64 v55, v[58:59], v[44:45] offset1:1
	ds_write2st64_b64 v55, v[40:41], v[36:37] offset0:2 offset1:3
	s_and_saveexec_b64 s[8:9], vcc
	s_cbranch_execz .LBB1336_17
; %bb.16:
	s_mov_b32 s49, 0
	v_mov_b32_e32 v57, 0
	v_lshl_add_u64 v[34:35], s[48:49], 0, v[56:57]
	v_mov_b32_e32 v36, s10
	v_mad_u64_u32 v[34:35], s[16:17], s2, v36, v[34:35]
	s_mul_i32 s3, s3, s10
	v_mov_b32_e32 v36, s6
	v_mov_b32_e32 v37, v57
	s_load_dwordx4 s[12:15], s[0:1], 0x58
	v_add_u32_e32 v38, s3, v35
	v_mad_u64_u32 v[34:35], s[16:17], v34, s7, v[36:37]
	v_mov_b32_e32 v36, v35
	v_mad_u64_u32 v[36:37], s[16:17], v38, s7, v[36:37]
	v_mov_b32_e32 v35, v36
	v_lshlrev_b64 v[34:35], 2, v[34:35]
	s_waitcnt lgkmcnt(0)
	v_lshl_add_u64 v[36:37], s[14:15], 0, v[34:35]
	v_lshl_add_u64 v[34:35], s[12:13], 0, v[34:35]
	global_store_dword v[36:37], v50, off
	global_store_dword v[34:35], v51, off
.LBB1336_17:
	s_or_b64 exec, exec, s[8:9]
	s_waitcnt vmcnt(7)
	v_cvt_pk_f32_fp8_e32 v[34:35], v6
	v_cvt_pk_f32_fp8_sdwa v[36:37], v6 src0_sel:WORD_1
	v_lshl_or_b32 v50, v62, 9, v46
	s_mov_b32 s9, 0x7060302
	s_waitcnt lgkmcnt(0)
	s_barrier
	v_cvt_pk_f32_fp8_e32 v[38:39], v7
	v_perm_b32 v6, v35, v34, s9
	v_cvt_pk_f32_fp8_sdwa v[40:41], v7 src0_sel:WORD_1
	v_perm_b32 v7, v37, v36, s9
	ds_read_b128 v[34:37], v50
	v_perm_b32 v46, v39, v38, s9
	v_perm_b32 v47, v41, v40, s9
	ds_read_b128 v[38:41], v50 offset:16
	v_cvt_pk_f32_fp8_e32 v[48:49], v8
	v_cvt_pk_f32_fp8_sdwa v[52:53], v8 src0_sel:WORD_1
	s_waitcnt lgkmcnt(1)
	v_mfma_f32_16x16x16_bf16 v[42:45], v[6:7], v[34:35], 0
	s_waitcnt vmcnt(6)
	v_cvt_pk_f32_fp8_e32 v[58:59], v4
	v_perm_b32 v6, v49, v48, s9
	v_perm_b32 v7, v53, v52, s9
	v_cvt_pk_f32_fp8_e32 v[48:49], v9
	v_mfma_f32_16x16x16_bf16 v[42:45], v[46:47], v[36:37], v[42:45]
	v_cvt_pk_f32_fp8_sdwa v[46:47], v9 src0_sel:WORD_1
	v_cvt_pk_f32_fp8_sdwa v[60:61], v4 src0_sel:WORD_1
	v_perm_b32 v48, v49, v48, s9
	s_waitcnt lgkmcnt(0)
	v_mfma_f32_16x16x16_bf16 v[6:9], v[6:7], v[38:39], v[42:45]
	v_perm_b32 v49, v47, v46, s9
	s_waitcnt vmcnt(5)
	v_cvt_pk_f32_fp8_e32 v[64:65], v28
	v_cvt_pk_f32_fp8_sdwa v[66:67], v28 src0_sel:WORD_1
	v_cvt_pk_f32_fp8_e32 v[42:43], v2
	v_mfma_f32_16x16x16_bf16 v[46:49], v[48:49], v[40:41], v[6:9]
	s_waitcnt vmcnt(4)
	v_cvt_pk_f32_fp8_sdwa v[68:69], v24 src0_sel:WORD_1
	s_load_dword s8, s[42:43], 0x0
	v_cvt_pk_f32_fp8_sdwa v[6:7], v2 src0_sel:WORD_1
	v_cvt_pk_f32_fp8_e32 v[8:9], v3
	v_perm_b32 v2, v43, v42, s9
	v_cvt_pk_f32_fp8_sdwa v[42:43], v3 src0_sel:WORD_1
	v_perm_b32 v3, v7, v6, s9
	v_perm_b32 v52, v9, v8, s9
	ds_read_b128 v[6:9], v50 offset:2048
	v_perm_b32 v53, v43, v42, s9
	ds_read_b128 v[42:45], v50 offset:2064
	s_waitcnt lgkmcnt(0)
	v_mfma_f32_16x16x16_bf16 v[46:49], v[2:3], v[6:7], v[46:49]
	v_perm_b32 v2, v59, v58, s9
	v_perm_b32 v3, v61, v60, s9
	v_cvt_pk_f32_fp8_e32 v[58:59], v5
	v_mfma_f32_16x16x16_bf16 v[46:49], v[52:53], v[8:9], v[46:49]
	v_cvt_pk_f32_fp8_sdwa v[52:53], v5 src0_sel:WORD_1
	s_waitcnt vmcnt(3)
	v_cvt_pk_f32_fp8_sdwa v[70:71], v32 src0_sel:WORD_1
	v_perm_b32 v58, v59, v58, s9
	v_mfma_f32_16x16x16_bf16 v[2:5], v[2:3], v[42:43], v[46:49]
	v_perm_b32 v59, v53, v52, s9
	s_mov_b32 s3, 0
	v_cmp_gt_u32_e32 vcc, 64, v0
	v_cvt_pk_f32_fp8_e32 v[46:47], v26
	v_mfma_f32_16x16x16_bf16 v[58:61], v[58:59], v[44:45], v[2:5]
	s_nop 2
	v_cvt_pk_f32_fp8_sdwa v[2:3], v26 src0_sel:WORD_1
	v_cvt_pk_f32_fp8_e32 v[4:5], v27
	v_perm_b32 v26, v47, v46, s9
	v_cvt_pk_f32_fp8_sdwa v[46:47], v27 src0_sel:WORD_1
	v_perm_b32 v27, v3, v2, s9
	v_perm_b32 v52, v5, v4, s9
	ds_read_b128 v[2:5], v50 offset:4096
	v_perm_b32 v53, v47, v46, s9
	ds_read_b128 v[46:49], v50 offset:4112
	s_waitcnt lgkmcnt(1)
	v_mfma_f32_16x16x16_bf16 v[58:61], v[26:27], v[2:3], v[58:61]
	v_perm_b32 v26, v65, v64, s9
	v_perm_b32 v27, v67, v66, s9
	v_cvt_pk_f32_fp8_e32 v[64:65], v29
	v_mfma_f32_16x16x16_bf16 v[58:61], v[52:53], v[4:5], v[58:61]
	v_cvt_pk_f32_fp8_sdwa v[52:53], v29 src0_sel:WORD_1
	v_cvt_pk_f32_fp8_e32 v[66:67], v24
	v_perm_b32 v64, v65, v64, s9
	s_waitcnt lgkmcnt(0)
	v_mfma_f32_16x16x16_bf16 v[26:29], v[26:27], v[46:47], v[58:61]
	v_perm_b32 v65, v53, v52, s9
	v_cvt_pk_f32_fp8_e32 v[52:53], v22
	s_nop 0
	v_mfma_f32_16x16x16_bf16 v[58:61], v[64:65], v[48:49], v[26:29]
	s_nop 2
	v_cvt_pk_f32_fp8_sdwa v[26:27], v22 src0_sel:WORD_1
	v_cvt_pk_f32_fp8_e32 v[28:29], v23
	v_perm_b32 v22, v53, v52, s9
	v_cvt_pk_f32_fp8_sdwa v[52:53], v23 src0_sel:WORD_1
	v_perm_b32 v23, v27, v26, s9
	v_perm_b32 v64, v29, v28, s9
	ds_read_b128 v[26:29], v50 offset:6144
	v_perm_b32 v65, v53, v52, s9
	s_waitcnt lgkmcnt(0)
	v_mfma_f32_16x16x16_bf16 v[58:61], v[22:23], v[26:27], v[58:61]
	ds_read_b128 v[50:53], v50 offset:6160
	v_perm_b32 v22, v67, v66, s9
	v_perm_b32 v23, v69, v68, s9
	v_cvt_pk_f32_fp8_e32 v[66:67], v25
	v_mfma_f32_16x16x16_bf16 v[58:61], v[64:65], v[28:29], v[58:61]
	v_cvt_pk_f32_fp8_sdwa v[64:65], v25 src0_sel:WORD_1
	v_cvt_pk_f32_fp8_e32 v[68:69], v32
	v_perm_b32 v66, v67, v66, s9
	s_waitcnt lgkmcnt(0)
	v_mfma_f32_16x16x16_bf16 v[22:25], v[22:23], v[50:51], v[58:61]
	v_perm_b32 v67, v65, v64, s9
	s_barrier
	s_nop 0
	v_mfma_f32_16x16x16_bf16 v[58:61], v[66:67], v[52:53], v[22:25]
	s_nop 2
	v_cvt_pk_f32_fp8_e32 v[24:25], v30
	v_perm_b32 v24, v25, v24, s9
	s_nop 1
	v_pk_mul_f32 v[22:23], v[60:61], s[8:9] op_sel_hi:[1,0]
	v_cvt_pk_f32_fp8_sdwa v[60:61], v30 src0_sel:WORD_1
	v_pk_mul_f32 v[64:65], v[58:59], s[8:9] op_sel_hi:[1,0]
	v_cvt_pk_f32_fp8_e32 v[58:59], v31
	v_cvt_pk_f32_fp8_sdwa v[30:31], v31 src0_sel:WORD_1
	v_perm_b32 v25, v61, v60, s9
	v_bfe_u32 v57, v65, 16, 1
	v_perm_b32 v66, v59, v58, s9
	v_perm_b32 v67, v31, v30, s9
	v_mfma_f32_16x16x16_bf16 v[58:61], v[24:25], v[34:35], 0
	v_perm_b32 v24, v69, v68, s9
	v_perm_b32 v25, v71, v70, s9
	v_cvt_pk_f32_fp8_e32 v[34:35], v33
	v_cvt_pk_f32_fp8_sdwa v[68:69], v33 src0_sel:WORD_1
	v_mfma_f32_16x16x16_bf16 v[30:33], v[66:67], v[36:37], v[58:61]
	s_waitcnt vmcnt(2)
	v_cvt_pk_f32_fp8_sdwa v[36:37], v18 src0_sel:WORD_1
	v_perm_b32 v34, v35, v34, s9
	v_perm_b32 v35, v69, v68, s9
	v_mfma_f32_16x16x16_bf16 v[30:33], v[24:25], v[38:39], v[30:33]
	v_cvt_pk_f32_fp8_e32 v[24:25], v18
	v_cvt_pk_f32_fp8_sdwa v[38:39], v20 src0_sel:WORD_1
	v_bfe_u32 v58, v64, 16, 1
	v_mfma_f32_16x16x16_bf16 v[30:33], v[34:35], v[40:41], v[30:33]
	v_cvt_pk_f32_fp8_e32 v[34:35], v19
	v_perm_b32 v24, v25, v24, s9
	v_perm_b32 v25, v37, v36, s9
	v_cvt_pk_f32_fp8_sdwa v[18:19], v19 src0_sel:WORD_1
	v_perm_b32 v34, v35, v34, s9
	v_cvt_pk_f32_fp8_e32 v[36:37], v20
	v_mfma_f32_16x16x16_bf16 v[30:33], v[24:25], v[6:7], v[30:33]
	v_perm_b32 v35, v19, v18, s9
	v_perm_b32 v18, v37, v36, s9
	;; [unrolled: 1-line block ×3, first 2 shown]
	v_cvt_pk_f32_fp8_e32 v[24:25], v21
	v_cvt_pk_f32_fp8_sdwa v[20:21], v21 src0_sel:WORD_1
	v_mfma_f32_16x16x16_bf16 v[6:9], v[34:35], v[8:9], v[30:33]
	v_perm_b32 v24, v25, v24, s9
	v_perm_b32 v25, v21, v20, s9
	v_mfma_f32_16x16x16_bf16 v[6:9], v[18:19], v[42:43], v[6:9]
	s_waitcnt vmcnt(1)
	v_cvt_pk_f32_fp8_e32 v[18:19], v14
	v_cvt_pk_f32_fp8_sdwa v[20:21], v14 src0_sel:WORD_1
	v_cvt_pk_f32_fp8_sdwa v[30:31], v16 src0_sel:WORD_1
	v_mfma_f32_16x16x16_bf16 v[6:9], v[24:25], v[44:45], v[6:9]
	v_cvt_pk_f32_fp8_e32 v[24:25], v15
	v_perm_b32 v18, v19, v18, s9
	v_perm_b32 v19, v21, v20, s9
	v_cvt_pk_f32_fp8_sdwa v[14:15], v15 src0_sel:WORD_1
	v_perm_b32 v20, v25, v24, s9
	v_cvt_pk_f32_fp8_e32 v[24:25], v16
	v_mfma_f32_16x16x16_bf16 v[6:9], v[18:19], v[2:3], v[6:9]
	v_perm_b32 v21, v15, v14, s9
	v_perm_b32 v14, v25, v24, s9
	;; [unrolled: 1-line block ×3, first 2 shown]
	v_cvt_pk_f32_fp8_e32 v[18:19], v17
	v_cvt_pk_f32_fp8_sdwa v[16:17], v17 src0_sel:WORD_1
	v_mfma_f32_16x16x16_bf16 v[2:5], v[20:21], v[4:5], v[6:9]
	v_add3_u32 v32, v64, v58, s11
	v_add3_u32 v33, v65, v57, s11
	s_nop 0
	v_perm_b32 v8, v19, v18, s9
	v_perm_b32 v9, v17, v16, s9
	v_mfma_f32_16x16x16_bf16 v[2:5], v[14:15], v[46:47], v[2:5]
	s_waitcnt vmcnt(0)
	v_cvt_pk_f32_fp8_e32 v[14:15], v10
	v_cvt_pk_f32_fp8_sdwa v[16:17], v10 src0_sel:WORD_1
	v_cvt_pk_f32_fp8_sdwa v[18:19], v12 src0_sel:WORD_1
	v_mfma_f32_16x16x16_bf16 v[2:5], v[8:9], v[48:49], v[2:5]
	v_cvt_pk_f32_fp8_e32 v[8:9], v11
	v_perm_b32 v14, v15, v14, s9
	v_perm_b32 v15, v17, v16, s9
	v_cvt_pk_f32_fp8_sdwa v[10:11], v11 src0_sel:WORD_1
	v_perm_b32 v8, v9, v8, s9
	v_cvt_pk_f32_fp8_e32 v[16:17], v12
	v_mfma_f32_16x16x16_bf16 v[2:5], v[14:15], v[26:27], v[2:5]
	v_perm_b32 v9, v11, v10, s9
	v_perm_b32 v10, v17, v16, s9
	v_perm_b32 v11, v19, v18, s9
	v_cvt_pk_f32_fp8_e32 v[14:15], v13
	v_cvt_pk_f32_fp8_sdwa v[12:13], v13 src0_sel:WORD_1
	v_mfma_f32_16x16x16_bf16 v[2:5], v[8:9], v[28:29], v[2:5]
	v_bfe_u32 v7, v23, 16, 1
	v_perm_b32 v8, v15, v14, s9
	v_perm_b32 v9, v13, v12, s9
	v_mfma_f32_16x16x16_bf16 v[2:5], v[10:11], v[50:51], v[2:5]
	v_bfe_u32 v16, v22, 16, 1
	v_add3_u32 v10, v22, v16, s11
	v_add3_u32 v7, v23, v7, s11
	v_mfma_f32_16x16x16_bf16 v[2:5], v[8:9], v[52:53], v[2:5]
	v_perm_b32 v6, v33, v32, s9
	v_perm_b32 v7, v7, v10, s9
	s_nop 4
	v_pk_mul_f32 v[2:3], v[2:3], s[8:9] op_sel_hi:[1,0]
	v_pk_mul_f32 v[4:5], v[4:5], s[8:9] op_sel_hi:[1,0]
	v_bfe_u32 v8, v3, 16, 1
	v_bfe_u32 v9, v2, 16, 1
	v_add3_u32 v2, v2, v9, s11
	v_add3_u32 v3, v3, v8, s11
	v_perm_b32 v2, v3, v2, s9
	v_bfe_u32 v3, v5, 16, 1
	v_bfe_u32 v8, v4, 16, 1
	v_add3_u32 v4, v4, v8, s11
	v_add3_u32 v3, v5, v3, s11
	v_perm_b32 v3, v3, v4, s9
	ds_write2st64_b64 v55, v[6:7], v[2:3] offset1:1
	s_waitcnt lgkmcnt(0)
	s_barrier
	s_and_saveexec_b64 s[8:9], vcc
	s_cbranch_execz .LBB1336_20
; %bb.18:
	s_load_dwordx2 s[8:9], s[0:1], 0x68
	s_lshl_b32 s0, s7, 7
	s_mul_i32 s1, s10, s2
	v_lshlrev_b32_e32 v3, 6, v56
	s_mul_hi_u32 s11, s1, s0
	s_mul_i32 s10, s1, s0
	v_lshl_or_b32 v0, v0, 10, v3
	s_lshl_b64 s[10:11], s[10:11], 1
	v_lshlrev_b32_e32 v2, 5, v62
	v_and_b32_e32 v1, 16, v1
	v_and_b32_e32 v0, 0x1a00, v0
	s_waitcnt lgkmcnt(0)
	s_add_u32 s1, s8, s10
	v_or3_b32 v2, v0, v2, v1
	s_addc_u32 s7, s9, s11
	s_lshl_b32 s2, s6, 7
	s_lshl_b64 s[2:3], s[2:3], 1
	ds_read_b128 v[4:7], v2 offset:128
	ds_read_b128 v[8:11], v2
	s_add_u32 s2, s1, s2
	s_addc_u32 s3, s7, s3
	v_mov_b32_e32 v55, 0
	v_add_u32_e32 v3, s48, v62
	v_lshl_add_u64 v[0:1], s[2:3], 0, v[54:55]
	v_mad_u64_u32 v[12:13], s[2:3], v3, s0, 0
	v_lshl_add_u64 v[12:13], v[12:13], 1, v[0:1]
	v_add_u32_e32 v3, 4, v3
	s_waitcnt lgkmcnt(0)
	global_store_dwordx4 v[12:13], v[8:11], off
	s_nop 1
	v_mad_u64_u32 v[8:9], s[2:3], v3, s0, 0
	v_lshl_add_u64 v[8:9], v[8:9], 1, v[0:1]
	global_store_dwordx4 v[8:9], v[4:7], off
	s_and_b64 exec, exec, s[4:5]
	s_cbranch_execz .LBB1336_20
; %bb.19:
	ds_read_b128 v[2:5], v2 offset:256
	v_add3_u32 v6, s48, v62, 8
	v_mad_u64_u32 v[6:7], s[0:1], v6, s0, 0
	v_lshl_add_u64 v[0:1], v[6:7], 1, v[0:1]
	s_waitcnt lgkmcnt(0)
	global_store_dwordx4 v[0:1], v[2:5], off
.LBB1336_20:
	s_endpgm
	.section	.rodata,"a",@progbits
	.p2align	6, 0x0
	.amdhsa_kernel _Z39paged_attention_ll4mi_QKV_mfma16_kernelI14__hip_bfloat16hLN4vllm18Fp8KVCacheDataTypeE1EhLi32ELi128ELi256ELb1ELi9EEvPKT_PKT0_S8_ifPKiSA_SA_iPKfiiiPfSD_PS3_PT2_iSC_SC_
		.amdhsa_group_segment_fixed_size 8192
		.amdhsa_private_segment_fixed_size 0
		.amdhsa_kernarg_size 400
		.amdhsa_user_sgpr_count 2
		.amdhsa_user_sgpr_dispatch_ptr 0
		.amdhsa_user_sgpr_queue_ptr 0
		.amdhsa_user_sgpr_kernarg_segment_ptr 1
		.amdhsa_user_sgpr_dispatch_id 0
		.amdhsa_user_sgpr_kernarg_preload_length 0
		.amdhsa_user_sgpr_kernarg_preload_offset 0
		.amdhsa_user_sgpr_private_segment_size 0
		.amdhsa_uses_dynamic_stack 0
		.amdhsa_enable_private_segment 0
		.amdhsa_system_sgpr_workgroup_id_x 1
		.amdhsa_system_sgpr_workgroup_id_y 1
		.amdhsa_system_sgpr_workgroup_id_z 1
		.amdhsa_system_sgpr_workgroup_info 0
		.amdhsa_system_vgpr_workitem_id 0
		.amdhsa_next_free_vgpr 78
		.amdhsa_next_free_sgpr 50
		.amdhsa_accum_offset 80
		.amdhsa_reserve_vcc 1
		.amdhsa_float_round_mode_32 0
		.amdhsa_float_round_mode_16_64 0
		.amdhsa_float_denorm_mode_32 3
		.amdhsa_float_denorm_mode_16_64 3
		.amdhsa_dx10_clamp 1
		.amdhsa_ieee_mode 1
		.amdhsa_fp16_overflow 0
		.amdhsa_tg_split 0
		.amdhsa_exception_fp_ieee_invalid_op 0
		.amdhsa_exception_fp_denorm_src 0
		.amdhsa_exception_fp_ieee_div_zero 0
		.amdhsa_exception_fp_ieee_overflow 0
		.amdhsa_exception_fp_ieee_underflow 0
		.amdhsa_exception_fp_ieee_inexact 0
		.amdhsa_exception_int_div_zero 0
	.end_amdhsa_kernel
	.section	.text._Z39paged_attention_ll4mi_QKV_mfma16_kernelI14__hip_bfloat16hLN4vllm18Fp8KVCacheDataTypeE1EhLi32ELi128ELi256ELb1ELi9EEvPKT_PKT0_S8_ifPKiSA_SA_iPKfiiiPfSD_PS3_PT2_iSC_SC_,"axG",@progbits,_Z39paged_attention_ll4mi_QKV_mfma16_kernelI14__hip_bfloat16hLN4vllm18Fp8KVCacheDataTypeE1EhLi32ELi128ELi256ELb1ELi9EEvPKT_PKT0_S8_ifPKiSA_SA_iPKfiiiPfSD_PS3_PT2_iSC_SC_,comdat
.Lfunc_end1336:
	.size	_Z39paged_attention_ll4mi_QKV_mfma16_kernelI14__hip_bfloat16hLN4vllm18Fp8KVCacheDataTypeE1EhLi32ELi128ELi256ELb1ELi9EEvPKT_PKT0_S8_ifPKiSA_SA_iPKfiiiPfSD_PS3_PT2_iSC_SC_, .Lfunc_end1336-_Z39paged_attention_ll4mi_QKV_mfma16_kernelI14__hip_bfloat16hLN4vllm18Fp8KVCacheDataTypeE1EhLi32ELi128ELi256ELb1ELi9EEvPKT_PKT0_S8_ifPKiSA_SA_iPKfiiiPfSD_PS3_PT2_iSC_SC_
                                        ; -- End function
	.section	.AMDGPU.csdata,"",@progbits
; Kernel info:
; codeLenInByte = 6688
; NumSgprs: 56
; NumVgprs: 78
; NumAgprs: 0
; TotalNumVgprs: 78
; ScratchSize: 0
; MemoryBound: 0
; FloatMode: 240
; IeeeMode: 1
; LDSByteSize: 8192 bytes/workgroup (compile time only)
; SGPRBlocks: 6
; VGPRBlocks: 9
; NumSGPRsForWavesPerEU: 56
; NumVGPRsForWavesPerEU: 78
; AccumOffset: 80
; Occupancy: 6
; WaveLimiterHint : 1
; COMPUTE_PGM_RSRC2:SCRATCH_EN: 0
; COMPUTE_PGM_RSRC2:USER_SGPR: 2
; COMPUTE_PGM_RSRC2:TRAP_HANDLER: 0
; COMPUTE_PGM_RSRC2:TGID_X_EN: 1
; COMPUTE_PGM_RSRC2:TGID_Y_EN: 1
; COMPUTE_PGM_RSRC2:TGID_Z_EN: 1
; COMPUTE_PGM_RSRC2:TIDIG_COMP_CNT: 0
; COMPUTE_PGM_RSRC3_GFX90A:ACCUM_OFFSET: 19
; COMPUTE_PGM_RSRC3_GFX90A:TG_SPLIT: 0
	.section	.text._Z39paged_attention_ll4mi_QKV_mfma16_kernelI14__hip_bfloat16hLN4vllm18Fp8KVCacheDataTypeE1EhLi32ELi128ELi256ELb1ELi10EEvPKT_PKT0_S8_ifPKiSA_SA_iPKfiiiPfSD_PS3_PT2_iSC_SC_,"axG",@progbits,_Z39paged_attention_ll4mi_QKV_mfma16_kernelI14__hip_bfloat16hLN4vllm18Fp8KVCacheDataTypeE1EhLi32ELi128ELi256ELb1ELi10EEvPKT_PKT0_S8_ifPKiSA_SA_iPKfiiiPfSD_PS3_PT2_iSC_SC_,comdat
	.protected	_Z39paged_attention_ll4mi_QKV_mfma16_kernelI14__hip_bfloat16hLN4vllm18Fp8KVCacheDataTypeE1EhLi32ELi128ELi256ELb1ELi10EEvPKT_PKT0_S8_ifPKiSA_SA_iPKfiiiPfSD_PS3_PT2_iSC_SC_ ; -- Begin function _Z39paged_attention_ll4mi_QKV_mfma16_kernelI14__hip_bfloat16hLN4vllm18Fp8KVCacheDataTypeE1EhLi32ELi128ELi256ELb1ELi10EEvPKT_PKT0_S8_ifPKiSA_SA_iPKfiiiPfSD_PS3_PT2_iSC_SC_
	.globl	_Z39paged_attention_ll4mi_QKV_mfma16_kernelI14__hip_bfloat16hLN4vllm18Fp8KVCacheDataTypeE1EhLi32ELi128ELi256ELb1ELi10EEvPKT_PKT0_S8_ifPKiSA_SA_iPKfiiiPfSD_PS3_PT2_iSC_SC_
	.p2align	8
	.type	_Z39paged_attention_ll4mi_QKV_mfma16_kernelI14__hip_bfloat16hLN4vllm18Fp8KVCacheDataTypeE1EhLi32ELi128ELi256ELb1ELi10EEvPKT_PKT0_S8_ifPKiSA_SA_iPKfiiiPfSD_PS3_PT2_iSC_SC_,@function
_Z39paged_attention_ll4mi_QKV_mfma16_kernelI14__hip_bfloat16hLN4vllm18Fp8KVCacheDataTypeE1EhLi32ELi128ELi256ELb1ELi10EEvPKT_PKT0_S8_ifPKiSA_SA_iPKfiiiPfSD_PS3_PT2_iSC_SC_: ; @_Z39paged_attention_ll4mi_QKV_mfma16_kernelI14__hip_bfloat16hLN4vllm18Fp8KVCacheDataTypeE1EhLi32ELi128ELi256ELb1ELi10EEvPKT_PKT0_S8_ifPKiSA_SA_iPKfiiiPfSD_PS3_PT2_iSC_SC_
; %bb.0:
	s_load_dwordx2 s[10:11], s[0:1], 0x30
	s_mov_b32 s6, s3
	s_mov_b64 s[8:9], 0
	s_waitcnt lgkmcnt(0)
	s_cmp_lg_u64 s[10:11], 0
	s_cselect_b64 s[12:13], -1, 0
	s_and_b64 vcc, exec, s[12:13]
	s_cbranch_vccz .LBB1337_7
; %bb.1:
	s_add_i32 s14, s2, 1
	s_mov_b32 s15, 0
	s_lshl_b64 s[16:17], s[14:15], 2
	s_add_u32 s16, s10, s16
	s_mov_b32 s3, s15
	s_addc_u32 s17, s11, s17
	s_lshl_b64 s[14:15], s[2:3], 2
	s_add_u32 s14, s10, s14
	s_addc_u32 s15, s11, s15
	s_load_dword s5, s[16:17], 0x0
	s_load_dword s7, s[14:15], 0x0
	s_waitcnt lgkmcnt(0)
	s_sub_i32 s5, s5, s7
	s_cmp_eq_u32 s5, 1
	s_cselect_b64 s[14:15], -1, 0
	s_andn2_b64 vcc, exec, s[8:9]
	s_cbranch_vccnz .LBB1337_3
.LBB1337_2:
	s_mov_b32 s3, 0
	s_mov_b64 s[14:15], -1
.LBB1337_3:
	s_andn2_b64 vcc, exec, s[14:15]
	s_cbranch_vccnz .LBB1337_20
; %bb.4:
	s_load_dwordx2 s[8:9], s[0:1], 0x28
	s_lshl_b64 s[14:15], s[2:3], 2
	s_waitcnt lgkmcnt(0)
	s_add_u32 s8, s8, s14
	s_addc_u32 s9, s9, s15
	s_load_dword s7, s[8:9], 0x0
	s_lshl_b32 s18, s6, 8
	s_waitcnt lgkmcnt(0)
	s_cmp_ge_i32 s18, s7
	s_cbranch_scc1 .LBB1337_20
; %bb.5:
	s_load_dwordx2 s[8:9], s[0:1], 0x20
	s_load_dword s5, s[0:1], 0x38
	s_add_i32 s16, s7, 31
	s_ashr_i32 s17, s16, 31
	v_and_b32_e32 v1, 0xcf, v0
	s_lshr_b32 s17, s17, 27
	v_add_u32_e32 v1, s18, v1
	s_add_i32 s16, s16, s17
	v_ashrrev_i32_e32 v2, 31, v1
	s_ashr_i32 s19, s16, 5
	v_lshrrev_b32_e32 v4, 27, v2
	s_add_i32 s19, s19, -1
	s_waitcnt lgkmcnt(0)
	s_mul_i32 s16, s2, s5
	s_mov_b32 s17, 0
	v_add_u32_e32 v2, v1, v4
	s_lshl_b64 s[16:17], s[16:17], 2
	v_ashrrev_i32_e32 v2, 5, v2
	v_mov_b32_e32 v5, s19
	v_cmp_gt_i32_e32 vcc, s7, v1
	s_add_u32 s8, s8, s16
	s_addc_u32 s9, s9, s17
	v_cndmask_b32_e32 v2, v5, v2, vcc
	v_ashrrev_i32_e32 v3, 31, v2
	v_lshl_add_u64 v[6:7], v[2:3], 2, s[8:9]
	v_or_b32_e32 v2, 16, v1
	v_add_u32_e32 v3, v2, v4
	v_ashrrev_i32_e32 v3, 5, v3
	v_cmp_gt_i32_e32 vcc, s7, v2
	s_load_dwordx2 s[16:17], s[0:1], 0x8
	s_nop 0
	v_cndmask_b32_e32 v2, v5, v3, vcc
	v_ashrrev_i32_e32 v3, 31, v2
	v_lshl_add_u64 v[8:9], v[2:3], 2, s[8:9]
	v_or_b32_e32 v2, 32, v1
	v_add_u32_e32 v3, v2, v4
	v_ashrrev_i32_e32 v3, 5, v3
	v_cmp_gt_i32_e32 vcc, s7, v2
	v_or_b32_e32 v1, 48, v1
	s_nop 0
	v_cndmask_b32_e32 v2, v5, v3, vcc
	v_ashrrev_i32_e32 v3, 31, v2
	v_lshl_add_u64 v[12:13], v[2:3], 2, s[8:9]
	v_add_u32_e32 v2, v1, v4
	v_ashrrev_i32_e32 v2, 5, v2
	v_cmp_gt_i32_e32 vcc, s7, v1
	s_nop 1
	v_cndmask_b32_e32 v2, v5, v2, vcc
	v_ashrrev_i32_e32 v3, 31, v2
	v_lshl_add_u64 v[14:15], v[2:3], 2, s[8:9]
	global_load_dword v4, v[6:7], off
	global_load_dword v3, v[8:9], off
	;; [unrolled: 1-line block ×4, first 2 shown]
	s_andn2_b64 vcc, exec, s[12:13]
	s_cbranch_vccnz .LBB1337_8
; %bb.6:
	s_add_u32 s10, s10, s14
	s_addc_u32 s11, s11, s15
	s_load_dword s5, s[10:11], 0x0
	s_branch .LBB1337_9
.LBB1337_7:
	s_mov_b64 s[14:15], 0
	s_branch .LBB1337_2
.LBB1337_8:
	s_mov_b32 s5, s2
.LBB1337_9:
	s_load_dwordx2 s[10:11], s[0:1], 0x10
	s_load_dwordx4 s[44:47], s[0:1], 0x48
	v_lshrrev_b32_e32 v57, 6, v0
	v_bfe_u32 v62, v0, 4, 2
	v_and_b32_e32 v56, 15, v0
	v_lshl_or_b32 v5, v57, 2, v62
	v_lshlrev_b32_e32 v1, 3, v56
	s_mul_i32 s48, s4, 10
	v_cmp_gt_u32_e32 vcc, 10, v5
	v_lshlrev_b32_e32 v54, 1, v1
	v_lshlrev_b32_e32 v1, 4, v0
	s_and_saveexec_b64 s[12:13], vcc
	s_cbranch_execz .LBB1337_11
; %bb.10:
	s_load_dwordx2 s[14:15], s[0:1], 0x0
	s_waitcnt lgkmcnt(0)
	s_ashr_i32 s20, s44, 31
	s_mul_hi_u32 s21, s5, s44
	s_mul_i32 s20, s5, s20
	s_add_i32 s21, s21, s20
	s_mul_i32 s20, s5, s44
	s_lshl_b64 s[20:21], s[20:21], 1
	s_add_u32 s14, s14, s20
	v_add_lshl_u32 v6, v5, s48, 7
	s_addc_u32 s15, s15, s21
	v_ashrrev_i32_e32 v7, 31, v6
	v_lshl_add_u64 v[6:7], v[6:7], 1, s[14:15]
	v_mov_b32_e32 v55, 0
	v_lshl_add_u64 v[6:7], v[6:7], 0, v[54:55]
	global_load_dwordx4 v[6:9], v[6:7], off
	v_lshlrev_b32_e32 v12, 8, v0
	v_lshlrev_b32_e32 v11, 8, v56
	v_and_b32_e32 v12, 0x600, v12
	s_movk_i32 s5, 0x800
	v_and_or_b32 v11, v11, s5, v12
	v_lshlrev_b32_e32 v5, 5, v5
	v_and_b32_e32 v12, 16, v1
	v_or3_b32 v5, v11, v5, v12
	s_waitcnt vmcnt(0)
	ds_write_b128 v5, v[6:9]
.LBB1337_11:
	s_or_b64 exec, exec, s[12:13]
	s_waitcnt lgkmcnt(0)
	s_mul_i32 s12, s4, s46
	s_add_u32 s4, s16, s12
	s_addc_u32 s5, s17, 0
	v_mov_b32_e32 v59, 0
	v_mov_b64_e32 v[12:13], s[4:5]
	v_and_b32_e32 v34, 48, v0
	s_waitcnt vmcnt(3)
	v_mad_i64_i32 v[4:5], s[4:5], v4, s45, v[12:13]
	v_lshlrev_b32_e32 v14, 4, v56
	v_mov_b32_e32 v15, v59
	v_lshlrev_b32_e32 v58, 5, v34
	v_lshl_add_u64 v[4:5], v[4:5], 0, v[14:15]
	v_lshl_add_u64 v[4:5], v[4:5], 0, v[58:59]
	s_barrier
	global_load_dwordx4 v[50:53], v[4:5], off
	global_load_dwordx4 v[46:49], v[4:5], off offset:2048
	s_waitcnt vmcnt(4)
	v_mad_i64_i32 v[4:5], s[4:5], v3, s45, v[12:13]
	v_or_b32_e32 v16, 0x100, v14
	v_mov_b32_e32 v17, v59
	s_waitcnt vmcnt(3)
	v_mad_i64_i32 v[2:3], s[4:5], v2, s45, v[12:13]
	v_lshl_add_u64 v[4:5], v[4:5], 0, v[16:17]
	v_lshl_add_u64 v[2:3], v[2:3], 0, v[14:15]
	s_waitcnt vmcnt(2)
	v_mad_i64_i32 v[10:11], s[4:5], v10, s45, v[12:13]
	v_lshl_add_u64 v[4:5], v[4:5], 0, v[58:59]
	v_lshl_add_u64 v[14:15], v[2:3], 0, v[58:59]
	;; [unrolled: 1-line block ×3, first 2 shown]
	global_load_dwordx4 v[36:39], v[4:5], off
	global_load_dwordx4 v[6:9], v[4:5], off offset:2048
	s_nop 0
	global_load_dwordx4 v[2:5], v[14:15], off
	global_load_dwordx4 v[42:45], v[14:15], off offset:2048
	v_lshl_add_u64 v[14:15], v[10:11], 0, v[58:59]
	global_load_dwordx4 v[26:29], v[14:15], off
	global_load_dwordx4 v[10:13], v[14:15], off offset:2048
	v_add_u32_e32 v14, -10, v56
	v_cmp_gt_u32_e32 vcc, 10, v56
	v_and_b32_e32 v55, 63, v0
	v_mov_b32_e32 v63, 0
	v_cndmask_b32_e32 v14, v14, v56, vcc
	v_lshlrev_b32_e32 v14, 5, v14
	v_lshl_add_u32 v14, v62, 9, v14
	ds_read_b128 v[30:33], v14
	ds_read_b128 v[22:25], v14 offset:16
	ds_read_b128 v[18:21], v14 offset:2048
	;; [unrolled: 1-line block ×3, first 2 shown]
	s_and_saveexec_b64 s[4:5], vcc
	s_cbranch_execz .LBB1337_13
; %bb.12:
	s_load_dwordx2 s[14:15], s[0:1], 0x40
	v_add_u32_e32 v40, s48, v56
	v_ashrrev_i32_e32 v41, 31, v40
	s_waitcnt lgkmcnt(0)
	v_lshl_add_u64 v[40:41], v[40:41], 2, s[14:15]
	global_load_dword v63, v[40:41], off
.LBB1337_13:
	s_or_b64 exec, exec, s[4:5]
	s_ashr_i32 s4, s18, 31
	v_or_b32_e32 v58, s18, v34
	s_lshr_b32 s4, s4, 27
	v_add_u32_e32 v34, s4, v58
	v_or_b32_e32 v40, 64, v58
	v_ashrrev_i32_e32 v34, 5, v34
	v_mov_b32_e32 v64, s19
	v_cmp_gt_i32_e32 vcc, s7, v58
	v_add_u32_e32 v41, s4, v40
	v_or_b32_e32 v60, 0x80, v58
	v_cndmask_b32_e32 v34, v64, v34, vcc
	v_ashrrev_i32_e32 v41, 5, v41
	v_cmp_gt_i32_e32 vcc, s7, v40
	v_add_u32_e32 v61, s4, v60
	v_or_b32_e32 v58, 0xc0, v58
	v_cndmask_b32_e32 v40, v64, v41, vcc
	v_ashrrev_i32_e32 v61, 5, v61
	v_cmp_gt_i32_e32 vcc, s7, v60
	v_add_u32_e32 v65, s4, v58
	v_ashrrev_i32_e32 v65, 5, v65
	v_cndmask_b32_e32 v60, v64, v61, vcc
	v_cmp_gt_i32_e32 vcc, s7, v58
	s_waitcnt vmcnt(7)
	v_cvt_pk_f32_fp8_sdwa v[66:67], v50 src0_sel:WORD_1
	s_mov_b32 s33, 0x7060302
	v_cndmask_b32_e32 v68, v64, v65, vcc
	v_cvt_pk_f32_fp8_e32 v[64:65], v50
	v_cvt_pk_f32_fp8_e32 v[70:71], v51
	v_cvt_pk_f32_fp8_sdwa v[50:51], v51 src0_sel:WORD_1
	v_cvt_pk_f32_fp8_e32 v[72:73], v52
	v_perm_b32 v64, v65, v64, s33
	v_perm_b32 v65, v67, v66, s33
	;; [unrolled: 1-line block ×3, first 2 shown]
	v_cvt_pk_f32_fp8_sdwa v[74:75], v52 src0_sel:WORD_1
	v_perm_b32 v71, v51, v50, s33
	s_waitcnt lgkmcnt(3)
	v_mfma_f32_16x16x16_bf16 v[64:67], v[64:65], v[30:31], 0
	v_perm_b32 v72, v73, v72, s33
	v_perm_b32 v73, v75, v74, s33
	v_cvt_pk_f32_fp8_e32 v[74:75], v53
	v_cvt_pk_f32_fp8_sdwa v[76:77], v53 src0_sel:WORD_1
	v_mfma_f32_16x16x16_bf16 v[50:53], v[70:71], v[32:33], v[64:67]
	v_ashrrev_i32_e32 v35, 31, v34
	v_lshl_add_u64 v[34:35], v[34:35], 2, s[8:9]
	v_ashrrev_i32_e32 v41, 31, v40
	v_perm_b32 v64, v75, v74, s33
	v_perm_b32 v65, v77, v76, s33
	s_waitcnt lgkmcnt(2)
	v_mfma_f32_16x16x16_bf16 v[50:53], v[72:73], v[22:23], v[50:53]
	s_waitcnt vmcnt(6)
	v_cvt_pk_f32_fp8_e32 v[66:67], v46
	v_ashrrev_i32_e32 v61, 31, v60
	v_ashrrev_i32_e32 v69, 31, v68
	v_lshl_add_u64 v[40:41], v[40:41], 2, s[8:9]
	v_lshl_add_u64 v[60:61], v[60:61], 2, s[8:9]
	v_lshl_add_u64 v[72:73], v[68:69], 2, s[8:9]
	v_mfma_f32_16x16x16_bf16 v[50:53], v[64:65], v[24:25], v[50:53]
	v_perm_b32 v74, v67, v66, s33
	global_load_dword v68, v[34:35], off
	global_load_dword v66, v[40:41], off
	;; [unrolled: 1-line block ×4, first 2 shown]
	v_cvt_pk_f32_fp8_sdwa v[70:71], v46 src0_sel:WORD_1
	v_cvt_pk_f32_fp8_e32 v[40:41], v48
	s_waitcnt vmcnt(9)
	v_cvt_pk_f32_fp8_e32 v[60:61], v36
	s_add_u32 s4, s10, s12
	v_perm_b32 v75, v71, v70, s33
	v_cvt_pk_f32_fp8_e32 v[70:71], v47
	v_cvt_pk_f32_fp8_sdwa v[46:47], v47 src0_sel:WORD_1
	s_waitcnt lgkmcnt(1)
	v_mfma_f32_16x16x16_bf16 v[50:53], v[74:75], v[18:19], v[50:53]
	v_perm_b32 v34, v71, v70, s33
	v_perm_b32 v35, v47, v46, s33
	v_cvt_pk_f32_fp8_sdwa v[46:47], v48 src0_sel:WORD_1
	v_perm_b32 v40, v41, v40, s33
	v_mfma_f32_16x16x16_bf16 v[50:53], v[34:35], v[20:21], v[50:53]
	v_perm_b32 v41, v47, v46, s33
	v_cvt_pk_f32_fp8_e32 v[34:35], v49
	v_cvt_pk_f32_fp8_sdwa v[46:47], v49 src0_sel:WORD_1
	v_cvt_pk_f32_fp8_sdwa v[70:71], v36 src0_sel:WORD_1
	s_addc_u32 s5, s11, 0
	v_perm_b32 v34, v35, v34, s33
	v_perm_b32 v35, v47, v46, s33
	s_waitcnt lgkmcnt(0)
	v_mfma_f32_16x16x16_bf16 v[46:49], v[40:41], v[14:15], v[50:53]
	v_perm_b32 v40, v61, v60, s33
	v_perm_b32 v41, v71, v70, s33
	s_waitcnt vmcnt(8)
	v_cvt_pk_f32_fp8_sdwa v[60:61], v6 src0_sel:WORD_1
	v_cvt_pk_f32_fp8_e32 v[50:51], v37
	v_cvt_pk_f32_fp8_sdwa v[52:53], v37 src0_sel:WORD_1
	v_mfma_f32_16x16x16_bf16 v[34:37], v[34:35], v[16:17], v[46:49]
	v_and_b32_e32 v58, 16, v0
	v_perm_b32 v50, v51, v50, s33
	v_perm_b32 v51, v53, v52, s33
	v_mfma_f32_16x16x16_bf16 v[46:49], v[40:41], v[30:31], 0
	v_cvt_pk_f32_fp8_e32 v[40:41], v38
	v_cvt_pk_f32_fp8_sdwa v[52:53], v38 src0_sel:WORD_1
	v_lshl_or_b32 v64, v57, 4, v56
	v_mfma_f32_16x16x16_bf16 v[46:49], v[50:51], v[32:33], v[46:49]
	v_cvt_pk_f32_fp8_e32 v[50:51], v39
	v_perm_b32 v40, v41, v40, s33
	v_perm_b32 v41, v53, v52, s33
	v_cvt_pk_f32_fp8_sdwa v[38:39], v39 src0_sel:WORD_1
	v_perm_b32 v50, v51, v50, s33
	v_cvt_pk_f32_fp8_e32 v[52:53], v6
	s_waitcnt vmcnt(6)
	v_cvt_pk_f32_fp8_e32 v[74:75], v43
	v_perm_b32 v51, v39, v38, s33
	v_mfma_f32_16x16x16_bf16 v[38:41], v[40:41], v[22:23], v[46:49]
	s_nop 2
	v_perm_b32 v48, v53, v52, s33
	v_perm_b32 v49, v61, v60, s33
	v_cvt_pk_f32_fp8_e32 v[52:53], v7
	v_cvt_pk_f32_fp8_sdwa v[6:7], v7 src0_sel:WORD_1
	v_mfma_f32_16x16x16_bf16 v[38:41], v[50:51], v[24:25], v[38:41]
	v_lshl_add_u64 v[46:47], s[4:5], 0, v[58:59]
	v_perm_b32 v50, v53, v52, s33
	v_perm_b32 v51, v7, v6, s33
	v_mfma_f32_16x16x16_bf16 v[38:41], v[48:49], v[18:19], v[38:41]
	v_cvt_pk_f32_fp8_e32 v[6:7], v8
	v_cvt_pk_f32_fp8_sdwa v[48:49], v8 src0_sel:WORD_1
	v_cvt_pk_f32_fp8_sdwa v[52:53], v2 src0_sel:WORD_1
	v_mfma_f32_16x16x16_bf16 v[38:41], v[50:51], v[20:21], v[38:41]
	v_cvt_pk_f32_fp8_e32 v[50:51], v9
	v_perm_b32 v6, v7, v6, s33
	v_perm_b32 v7, v49, v48, s33
	v_cvt_pk_f32_fp8_sdwa v[8:9], v9 src0_sel:WORD_1
	v_perm_b32 v48, v51, v50, s33
	v_cvt_pk_f32_fp8_e32 v[50:51], v2
	v_lshlrev_b32_e32 v58, 5, v64
	v_perm_b32 v49, v9, v8, s33
	v_mfma_f32_16x16x16_bf16 v[6:9], v[6:7], v[14:15], v[38:41]
	v_perm_b32 v50, v51, v50, s33
	v_perm_b32 v51, v53, v52, s33
	v_cvt_pk_f32_fp8_e32 v[52:53], v3
	v_cvt_pk_f32_fp8_sdwa v[2:3], v3 src0_sel:WORD_1
	v_mfma_f32_16x16x16_bf16 v[38:41], v[48:49], v[16:17], v[6:9]
	v_lshl_add_u64 v[48:49], v[46:47], 0, v[58:59]
	v_perm_b32 v52, v53, v52, s33
	v_perm_b32 v53, v3, v2, s33
	v_mfma_f32_16x16x16_bf16 v[6:9], v[50:51], v[30:31], 0
	v_cvt_pk_f32_fp8_e32 v[2:3], v4
	v_cvt_pk_f32_fp8_sdwa v[50:51], v4 src0_sel:WORD_1
	s_waitcnt vmcnt(3)
	v_mad_i64_i32 v[60:61], s[4:5], v68, s45, v[48:49]
	v_perm_b32 v2, v3, v2, s33
	v_perm_b32 v3, v51, v50, s33
	v_mfma_f32_16x16x16_bf16 v[6:9], v[52:53], v[32:33], v[6:9]
	v_cvt_pk_f32_fp8_e32 v[50:51], v5
	v_cvt_pk_f32_fp8_sdwa v[4:5], v5 src0_sel:WORD_1
	s_waitcnt vmcnt(2)
	v_mad_i64_i32 v[70:71], s[4:5], v66, s45, v[48:49]
	v_perm_b32 v50, v51, v50, s33
	v_perm_b32 v51, v5, v4, s33
	v_mfma_f32_16x16x16_bf16 v[2:5], v[2:3], v[22:23], v[6:9]
	v_or_b32_e32 v58, 0x800, v58
	s_nop 1
	v_cvt_pk_f32_fp8_e32 v[6:7], v42
	v_cvt_pk_f32_fp8_sdwa v[8:9], v42 src0_sel:WORD_1
	v_cvt_pk_f32_fp8_sdwa v[42:43], v43 src0_sel:WORD_1
	v_mfma_f32_16x16x16_bf16 v[50:53], v[50:51], v[24:25], v[2:5]
	v_perm_b32 v72, v7, v6, s33
	v_perm_b32 v73, v9, v8, s33
	global_load_dwordx4 v[6:9], v[60:61], off
	global_load_dwordx4 v[2:5], v[70:71], off
	v_perm_b32 v60, v75, v74, s33
	v_perm_b32 v61, v43, v42, s33
	v_mfma_f32_16x16x16_bf16 v[70:73], v[72:73], v[18:19], v[50:53]
	v_cvt_pk_f32_fp8_e32 v[42:43], v44
	v_perm_b32 v42, v43, v42, s33
	s_nop 0
	v_cvt_pk_f32_fp8_sdwa v[52:53], v44 src0_sel:WORD_1
	v_mfma_f32_16x16x16_bf16 v[70:73], v[60:61], v[20:21], v[70:73]
	v_cvt_pk_f32_fp8_e32 v[60:61], v45
	s_waitcnt vmcnt(3)
	v_mad_i64_i32 v[50:51], s[4:5], v67, s45, v[48:49]
	s_load_dword s4, s[0:1], 0x1c
	s_load_dwordx4 s[40:43], s[0:1], 0x80
	v_perm_b32 v43, v53, v52, s33
	v_perm_b32 v74, v61, v60, s33
	v_cvt_pk_f32_fp8_e32 v[52:53], v26
	v_cvt_pk_f32_fp8_sdwa v[60:61], v26 src0_sel:WORD_1
	s_load_dword s44, s[0:1], 0x98
	s_waitcnt lgkmcnt(0)
	s_load_dword s5, s[40:41], 0x0
	v_cvt_pk_f32_fp8_sdwa v[44:45], v45 src0_sel:WORD_1
	v_perm_b32 v52, v53, v52, s33
	v_perm_b32 v53, v61, v60, s33
	v_cvt_pk_f32_fp8_e32 v[60:61], v27
	v_cvt_pk_f32_fp8_sdwa v[26:27], v27 src0_sel:WORD_1
	v_perm_b32 v75, v45, v44, s33
	v_mfma_f32_16x16x16_bf16 v[42:45], v[42:43], v[14:15], v[70:73]
	v_perm_b32 v60, v61, v60, s33
	v_perm_b32 v61, v27, v26, s33
	v_mov_b32_e32 v26, s4
	v_mfma_f32_16x16x16_bf16 v[70:73], v[52:53], v[30:31], 0
	s_waitcnt lgkmcnt(0)
	v_mul_f32_e32 v52, s5, v26
	v_cvt_pk_f32_fp8_e32 v[26:27], v28
	v_cvt_pk_f32_fp8_sdwa v[30:31], v28 src0_sel:WORD_1
	v_mfma_f32_16x16x16_bf16 v[70:73], v[60:61], v[32:33], v[70:73]
	v_cvt_pk_f32_fp8_e32 v[32:33], v29
	v_cvt_pk_f32_fp8_sdwa v[28:29], v29 src0_sel:WORD_1
	v_perm_b32 v26, v27, v26, s33
	v_perm_b32 v27, v31, v30, s33
	v_mfma_f32_16x16x16_bf16 v[42:45], v[74:75], v[16:17], v[42:45]
	v_perm_b32 v32, v33, v32, s33
	v_perm_b32 v33, v29, v28, s33
	v_cvt_pk_f32_fp8_e32 v[60:61], v10
	v_cvt_pk_f32_fp8_sdwa v[74:75], v10 src0_sel:WORD_1
	v_mfma_f32_16x16x16_bf16 v[26:29], v[26:27], v[22:23], v[70:73]
	v_pk_mul_f32 v[30:31], v[52:53], v[36:37] op_sel_hi:[0,1]
	v_perm_b32 v36, v61, v60, s33
	v_perm_b32 v37, v75, v74, s33
	v_cvt_pk_f32_fp8_e32 v[60:61], v11
	v_cvt_pk_f32_fp8_sdwa v[70:71], v11 src0_sel:WORD_1
	v_mfma_f32_16x16x16_bf16 v[22:25], v[32:33], v[24:25], v[26:29]
	v_pk_mul_f32 v[10:11], v[52:53], v[34:35] op_sel_hi:[0,1]
	v_perm_b32 v60, v61, v60, s33
	v_perm_b32 v61, v71, v70, s33
	v_mfma_f32_16x16x16_bf16 v[32:35], v[36:37], v[18:19], v[22:25]
	v_cvt_pk_f32_fp8_e32 v[18:19], v12
	v_cvt_pk_f32_fp8_sdwa v[36:37], v12 src0_sel:WORD_1
	s_waitcnt vmcnt(2)
	v_mad_i64_i32 v[48:49], s[8:9], v65, s45, v[48:49]
	global_load_dwordx4 v[26:29], v[50:51], off
	global_load_dwordx4 v[22:25], v[48:49], off
	v_perm_b32 v48, v19, v18, s33
	v_perm_b32 v49, v37, v36, s33
	v_cvt_pk_f32_fp8_e32 v[36:37], v13
	v_cvt_pk_f32_fp8_sdwa v[12:13], v13 src0_sel:WORD_1
	v_mfma_f32_16x16x16_bf16 v[18:21], v[60:61], v[20:21], v[32:35]
	v_pk_mul_f32 v[40:41], v[52:53], v[40:41] op_sel_hi:[0,1]
	v_pk_mul_f32 v[42:43], v[52:53], v[42:43] op_sel_hi:[0,1]
	s_mov_b32 s40, 0xff7fffff
	v_perm_b32 v32, v37, v36, s33
	v_perm_b32 v33, v13, v12, s33
	v_mfma_f32_16x16x16_bf16 v[12:15], v[48:49], v[14:15], v[18:21]
	v_pk_mul_f32 v[48:49], v[52:53], v[38:39] op_sel_hi:[0,1]
	v_pk_mul_f32 v[38:39], v[52:53], v[44:45] op_sel_hi:[0,1]
	v_mfma_f32_16x16x16_bf16 v[12:15], v[32:33], v[16:17], v[12:15]
	s_nop 6
	v_pk_mul_f32 v[36:37], v[52:53], v[12:13] op_sel_hi:[0,1]
	v_and_b32_e32 v12, 0xc0, v0
	v_add_u32_e32 v12, s18, v12
	v_lshl_or_b32 v12, v62, 2, v12
	v_or_b32_e32 v13, 1, v12
	v_pk_mul_f32 v[34:35], v[52:53], v[14:15] op_sel_hi:[0,1]
	v_subrev_u32_e32 v14, s7, v13
	v_add_u32_e32 v16, 1, v14
	v_add_u32_e32 v17, 2, v14
	v_cvt_f32_i32_e32 v15, v14
	v_cvt_f32_i32_e32 v16, v16
	;; [unrolled: 1-line block ×3, first 2 shown]
	v_add_u32_e32 v18, 3, v14
	v_fma_f32 v10, v63, v15, v10
	v_fmac_f32_e32 v11, v63, v16
	v_fma_f32 v51, v63, v17, v30
	v_add_u32_e32 v15, 16, v14
	v_add_u32_e32 v16, 17, v14
	;; [unrolled: 1-line block ×3, first 2 shown]
	v_cvt_f32_i32_e32 v18, v18
	v_cvt_f32_i32_e32 v15, v15
	;; [unrolled: 1-line block ×4, first 2 shown]
	v_fmac_f32_e32 v31, v63, v18
	v_add_u32_e32 v18, 19, v14
	v_fma_f32 v48, v63, v15, v48
	v_fmac_f32_e32 v49, v63, v16
	v_fma_f32 v40, v63, v17, v40
	v_add_u32_e32 v15, 32, v14
	v_add_u32_e32 v16, 33, v14
	;; [unrolled: 1-line block ×3, first 2 shown]
	v_cvt_f32_i32_e32 v18, v18
	v_cvt_f32_i32_e32 v15, v15
	;; [unrolled: 1-line block ×4, first 2 shown]
	v_fmac_f32_e32 v41, v63, v18
	v_add_u32_e32 v18, 35, v14
	v_fma_f32 v42, v63, v15, v42
	v_fmac_f32_e32 v43, v63, v16
	v_fma_f32 v38, v63, v17, v38
	v_add_u32_e32 v15, 48, v14
	v_add_u32_e32 v16, 49, v14
	;; [unrolled: 1-line block ×4, first 2 shown]
	v_cvt_f32_i32_e32 v14, v14
	v_cvt_f32_i32_e32 v15, v15
	v_cvt_f32_i32_e32 v16, v16
	v_cmp_gt_i32_e64 s[8:9], s7, v12
	v_fmac_f32_e32 v35, v63, v14
	v_mov_b32_e32 v14, 0xff7fffff
	v_cmp_gt_i32_e64 s[10:11], s7, v13
	v_fma_f32 v36, v63, v15, v36
	v_cndmask_b32_e64 v15, v14, v10, s[8:9]
	v_cndmask_b32_e64 v13, v14, v11, s[10:11]
	v_fmac_f32_e32 v37, v63, v16
	v_max3_f32 v13, v15, s40, v13
	v_or_b32_e32 v15, 2, v12
	v_or_b32_e32 v16, 3, v12
	v_cmp_gt_i32_e64 s[12:13], s7, v15
	v_cmp_gt_i32_e64 s[14:15], s7, v16
	v_cvt_f32_i32_e32 v18, v18
	v_cndmask_b32_e64 v15, v14, v51, s[12:13]
	v_cndmask_b32_e64 v16, v14, v31, s[14:15]
	v_max3_f32 v13, v13, v15, v16
	v_or_b32_e32 v15, 16, v12
	v_or_b32_e32 v16, 17, v12
	v_cmp_gt_i32_e64 s[16:17], s7, v15
	v_cmp_gt_i32_e64 s[18:19], s7, v16
	v_fmac_f32_e32 v39, v63, v18
	v_cndmask_b32_e64 v15, v14, v48, s[16:17]
	v_cndmask_b32_e64 v16, v14, v49, s[18:19]
	v_max3_f32 v13, v13, v15, v16
	v_or_b32_e32 v15, 18, v12
	v_or_b32_e32 v16, 19, v12
	v_cmp_gt_i32_e64 s[20:21], s7, v15
	v_cmp_gt_i32_e64 s[22:23], s7, v16
	v_cvt_f32_i32_e32 v17, v17
	v_cndmask_b32_e64 v15, v14, v40, s[20:21]
	v_cndmask_b32_e64 v16, v14, v41, s[22:23]
	v_max3_f32 v13, v13, v15, v16
	v_or_b32_e32 v15, 32, v12
	v_or_b32_e32 v16, 33, v12
	v_cmp_gt_i32_e64 s[24:25], s7, v15
	v_cmp_gt_i32_e64 s[26:27], s7, v16
	v_fma_f32 v34, v63, v17, v34
	v_cndmask_b32_e64 v15, v14, v42, s[24:25]
	v_cndmask_b32_e64 v16, v14, v43, s[26:27]
	v_max3_f32 v13, v13, v15, v16
	v_or_b32_e32 v15, 34, v12
	v_or_b32_e32 v16, 35, v12
	v_cmp_gt_i32_e64 s[28:29], s7, v15
	v_cmp_gt_i32_e64 s[30:31], s7, v16
	s_nop 0
	v_cndmask_b32_e64 v15, v14, v38, s[28:29]
	v_cndmask_b32_e64 v16, v14, v39, s[30:31]
	v_max3_f32 v13, v13, v15, v16
	v_or_b32_e32 v15, 48, v12
	v_or_b32_e32 v16, 49, v12
	v_cmp_gt_i32_e64 s[34:35], s7, v15
	v_cmp_gt_i32_e64 s[36:37], s7, v16
	s_nop 0
	v_cndmask_b32_e64 v15, v14, v36, s[34:35]
	v_cndmask_b32_e64 v16, v14, v37, s[36:37]
	v_max3_f32 v13, v13, v15, v16
	v_or_b32_e32 v15, 50, v12
	v_or_b32_e32 v12, 51, v12
	v_cmp_gt_i32_e32 vcc, s7, v15
	v_cmp_gt_i32_e64 s[4:5], s7, v12
	s_nop 0
	v_cndmask_b32_e32 v15, v14, v34, vcc
	v_cndmask_b32_e64 v12, v14, v35, s[4:5]
	v_max3_f32 v16, v13, v15, v12
	v_mbcnt_lo_u32_b32 v12, -1, 0
	v_mbcnt_hi_u32_b32 v17, -1, v12
	v_and_b32_e32 v12, 64, v17
	v_add_u32_e32 v18, 64, v12
	v_xor_b32_e32 v12, 32, v17
	v_cmp_lt_i32_e64 s[38:39], v12, v18
	s_nop 1
	v_cndmask_b32_e64 v12, v17, v12, s[38:39]
	v_lshlrev_b32_e32 v52, 2, v12
	ds_bpermute_b32 v19, v52, v16
	v_lshl_add_u64 v[12:13], v[46:47], 0, v[58:59]
	v_mad_i64_i32 v[14:15], s[38:39], v68, s45, v[12:13]
	s_waitcnt lgkmcnt(0)
	v_max_f32_e32 v19, v19, v19
	v_max_f32_e32 v19, v16, v19
	v_xor_b32_e32 v16, 16, v17
	v_cmp_lt_i32_e64 s[38:39], v16, v18
	s_nop 1
	v_cndmask_b32_e64 v16, v17, v16, s[38:39]
	v_lshlrev_b32_e32 v53, 2, v16
	ds_bpermute_b32 v18, v53, v19
	v_mad_i64_i32 v[16:17], s[38:39], v66, s45, v[12:13]
	v_mad_i64_i32 v[44:45], s[38:39], v67, s45, v[12:13]
	s_waitcnt lgkmcnt(0)
	v_max_f32_e32 v18, v18, v18
	v_max_f32_e32 v50, v19, v18
	v_sub_f32_e32 v10, v10, v50
	v_mul_f32_e32 v10, 0x3fb8aa3b, v10
	v_exp_f32_e32 v18, v10
	v_sub_f32_e32 v10, v11, v50
	v_mul_f32_e32 v10, 0x3fb8aa3b, v10
	v_exp_f32_e32 v19, v10
	v_mad_i64_i32 v[10:11], s[38:39], v65, s45, v[12:13]
	v_sub_f32_e32 v12, v51, v50
	v_mul_f32_e32 v12, 0x3fb8aa3b, v12
	v_cndmask_b32_e64 v46, 0, v18, s[8:9]
	v_cndmask_b32_e64 v47, 0, v19, s[10:11]
	v_sub_f32_e32 v58, v31, v50
	global_load_dwordx4 v[30:33], v[14:15], off
	global_load_dwordx4 v[18:21], v[16:17], off
	v_exp_f32_e32 v51, v12
	global_load_dwordx4 v[14:17], v[44:45], off
	s_nop 0
	global_load_dwordx4 v[10:13], v[10:11], off
	v_sub_f32_e32 v45, v48, v50
	v_sub_f32_e32 v48, v49, v50
	;; [unrolled: 1-line block ×4, first 2 shown]
	v_mul_f32_e32 v44, 0x3fb8aa3b, v58
	v_mul_f32_e32 v45, 0x3fb8aa3b, v45
	;; [unrolled: 1-line block ×5, first 2 shown]
	v_exp_f32_e32 v44, v44
	v_exp_f32_e32 v45, v45
	;; [unrolled: 1-line block ×3, first 2 shown]
	v_cndmask_b32_e64 v48, 0, v51, s[12:13]
	v_exp_f32_e32 v40, v40
	v_exp_f32_e32 v51, v42
	v_sub_f32_e32 v42, v43, v50
	v_mul_f32_e32 v42, 0x3fb8aa3b, v42
	v_cndmask_b32_e64 v49, 0, v44, s[14:15]
	v_cndmask_b32_e64 v44, 0, v45, s[16:17]
	v_cndmask_b32_e64 v45, 0, v58, s[18:19]
	v_sub_f32_e32 v41, v41, v50
	v_exp_f32_e32 v58, v42
	v_cndmask_b32_e64 v42, 0, v40, s[20:21]
	v_cndmask_b32_e64 v40, 0, v51, s[24:25]
	v_add_f32_e32 v51, 0, v46
	v_mul_f32_e32 v41, 0x3fb8aa3b, v41
	v_add_f32_e32 v51, v51, v47
	v_exp_f32_e32 v41, v41
	v_add_f32_e32 v51, v51, v48
	v_sub_f32_e32 v38, v38, v50
	v_add_f32_e32 v51, v51, v49
	v_sub_f32_e32 v39, v39, v50
	v_mul_f32_e32 v38, 0x3fb8aa3b, v38
	v_add_f32_e32 v51, v51, v44
	v_exp_f32_e32 v38, v38
	v_mul_f32_e32 v39, 0x3fb8aa3b, v39
	v_sub_f32_e32 v36, v36, v50
	v_add_f32_e32 v51, v51, v45
	v_cndmask_b32_e64 v43, 0, v41, s[22:23]
	v_exp_f32_e32 v39, v39
	v_mul_f32_e32 v36, 0x3fb8aa3b, v36
	v_sub_f32_e32 v37, v37, v50
	v_add_f32_e32 v51, v51, v42
	v_exp_f32_e32 v36, v36
	v_mul_f32_e32 v37, 0x3fb8aa3b, v37
	v_add_f32_e32 v51, v51, v43
	v_sub_f32_e32 v34, v34, v50
	v_cndmask_b32_e64 v41, 0, v58, s[26:27]
	v_exp_f32_e32 v37, v37
	v_add_f32_e32 v51, v51, v40
	v_mul_f32_e32 v34, 0x3fb8aa3b, v34
	v_sub_f32_e32 v35, v35, v50
	v_cndmask_b32_e64 v38, 0, v38, s[28:29]
	v_add_f32_e32 v51, v51, v41
	v_exp_f32_e32 v34, v34
	v_mul_f32_e32 v35, 0x3fb8aa3b, v35
	v_cndmask_b32_e64 v39, 0, v39, s[30:31]
	v_add_f32_e32 v51, v51, v38
	v_exp_f32_e32 v35, v35
	v_cndmask_b32_e64 v36, 0, v36, s[34:35]
	v_add_f32_e32 v51, v51, v39
	v_cndmask_b32_e64 v37, 0, v37, s[36:37]
	v_add_f32_e32 v51, v51, v36
	v_add_f32_e32 v51, v51, v37
	v_cndmask_b32_e32 v34, 0, v34, vcc
	v_add_f32_e32 v51, v51, v34
	v_cndmask_b32_e64 v35, 0, v35, s[4:5]
	v_add_f32_e32 v51, v51, v35
	ds_bpermute_b32 v52, v52, v51
	v_cmp_gt_u32_e32 vcc, 16, v55
	s_waitcnt lgkmcnt(0)
	s_barrier
	v_add_f32_e32 v51, v51, v52
	ds_bpermute_b32 v52, v53, v51
	s_and_saveexec_b64 s[4:5], vcc
	s_cbranch_execz .LBB1337_15
; %bb.14:
	s_waitcnt lgkmcnt(0)
	v_add_f32_e32 v51, v51, v52
	v_lshlrev_b32_e32 v52, 2, v64
	ds_write2st64_b32 v52, v50, v51 offset1:1
.LBB1337_15:
	s_or_b64 exec, exec, s[4:5]
	v_lshlrev_b32_e32 v51, 2, v56
	s_load_dword s7, s[0:1], 0x94
	s_waitcnt lgkmcnt(0)
	s_barrier
	ds_read2_b32 v[52:53], v51 offset1:16
	ds_read2_b32 v[58:59], v51 offset0:32 offset1:48
	ds_read2_b32 v[60:61], v51 offset0:64 offset1:80
	s_movk_i32 s9, 0x7fff
	s_mul_i32 s8, s44, 10
	s_waitcnt lgkmcnt(2)
	v_max3_f32 v50, v52, s40, v53
	s_waitcnt lgkmcnt(1)
	v_max3_f32 v50, v50, v58, v59
	v_sub_f32_e32 v52, v52, v50
	v_mul_f32_e32 v52, 0x3fb8aa3b, v52
	v_exp_f32_e32 v55, v52
	v_sub_f32_e32 v52, v53, v50
	v_mul_f32_e32 v52, 0x3fb8aa3b, v52
	v_exp_f32_e32 v63, v52
	;; [unrolled: 3-line block ×3, first 2 shown]
	ds_read2_b32 v[52:53], v51 offset0:96 offset1:112
	v_sub_f32_e32 v51, v59, v50
	v_mul_f32_e32 v51, 0x3fb8aa3b, v51
	v_exp_f32_e32 v59, v51
	s_waitcnt lgkmcnt(1)
	v_fma_f32 v51, v55, v60, 0
	v_fmac_f32_e32 v51, v63, v61
	s_waitcnt lgkmcnt(0)
	v_fmac_f32_e32 v51, v58, v52
	v_fmac_f32_e32 v51, v59, v53
	v_add_f32_e32 v52, 0x358637bd, v51
	v_div_scale_f32 v53, s[4:5], v52, v52, 1.0
	v_rcp_f32_e32 v60, v53
	s_barrier
	v_fma_f32 v61, -v53, v60, 1.0
	v_fmac_f32_e32 v60, v61, v60
	v_div_scale_f32 v61, vcc, 1.0, v52, 1.0
	v_mul_f32_e32 v64, v61, v60
	v_fma_f32 v65, -v53, v64, v61
	v_fmac_f32_e32 v64, v65, v60
	v_fma_f32 v53, -v53, v64, v61
	v_div_fmas_f32 v53, v53, v60, v64
	v_cmp_eq_u32_e32 vcc, 1, v57
	v_div_fixup_f32 v52, v53, v52, 1.0
	s_nop 0
	v_cndmask_b32_e32 v53, v55, v63, vcc
	v_cmp_eq_u32_e32 vcc, 2, v57
	s_nop 1
	v_cndmask_b32_e32 v53, v53, v58, vcc
	v_cmp_eq_u32_e32 vcc, 3, v57
	s_nop 1
	v_cndmask_b32_e32 v53, v53, v59, vcc
	v_mul_f32_e32 v52, v53, v52
	v_pk_mul_f32 v[46:47], v[52:53], v[46:47] op_sel_hi:[0,1]
	v_pk_mul_f32 v[48:49], v[52:53], v[48:49] op_sel_hi:[0,1]
	v_bfe_u32 v53, v47, 16, 1
	v_bfe_u32 v55, v46, 16, 1
	v_add3_u32 v46, v46, v55, s9
	v_add3_u32 v47, v47, v53, s9
	v_perm_b32 v58, v47, v46, s33
	v_bfe_u32 v46, v49, 16, 1
	v_bfe_u32 v47, v48, 16, 1
	v_add3_u32 v47, v48, v47, s9
	v_add3_u32 v46, v49, v46, s9
	v_perm_b32 v59, v46, v47, s33
	v_lshlrev_b32_e32 v47, 3, v62
	v_lshlrev_b32_e32 v46, 5, v56
	;; [unrolled: 1-line block ×3, first 2 shown]
	v_pk_mul_f32 v[44:45], v[52:53], v[44:45] op_sel_hi:[0,1]
	v_or3_b32 v55, v48, v46, v47
	v_bfe_u32 v47, v45, 16, 1
	v_bfe_u32 v48, v44, 16, 1
	v_pk_mul_f32 v[42:43], v[52:53], v[42:43] op_sel_hi:[0,1]
	v_add3_u32 v44, v44, v48, s9
	v_add3_u32 v45, v45, v47, s9
	v_perm_b32 v44, v45, v44, s33
	v_bfe_u32 v45, v43, 16, 1
	v_bfe_u32 v47, v42, 16, 1
	v_add3_u32 v42, v42, v47, s9
	v_add3_u32 v43, v43, v45, s9
	v_pk_mul_f32 v[40:41], v[52:53], v[40:41] op_sel_hi:[0,1]
	v_perm_b32 v45, v43, v42, s33
	v_bfe_u32 v42, v41, 16, 1
	v_bfe_u32 v43, v40, 16, 1
	v_pk_mul_f32 v[38:39], v[52:53], v[38:39] op_sel_hi:[0,1]
	v_add3_u32 v40, v40, v43, s9
	v_add3_u32 v41, v41, v42, s9
	v_perm_b32 v40, v41, v40, s33
	v_bfe_u32 v41, v39, 16, 1
	v_bfe_u32 v42, v38, 16, 1
	v_add3_u32 v38, v38, v42, s9
	v_add3_u32 v39, v39, v41, s9
	v_pk_mul_f32 v[36:37], v[52:53], v[36:37] op_sel_hi:[0,1]
	v_perm_b32 v41, v39, v38, s33
	v_bfe_u32 v38, v37, 16, 1
	v_bfe_u32 v39, v36, 16, 1
	v_pk_mul_f32 v[34:35], v[52:53], v[34:35] op_sel_hi:[0,1]
	v_add3_u32 v36, v36, v39, s9
	v_add3_u32 v37, v37, v38, s9
	v_perm_b32 v36, v37, v36, s33
	v_bfe_u32 v37, v35, 16, 1
	v_bfe_u32 v38, v34, 16, 1
	v_add3_u32 v34, v34, v38, s9
	v_add3_u32 v35, v35, v37, s9
	v_perm_b32 v37, v35, v34, s33
	v_cmp_gt_u32_e32 vcc, 10, v0
	ds_write2st64_b64 v55, v[58:59], v[44:45] offset1:1
	ds_write2st64_b64 v55, v[40:41], v[36:37] offset0:2 offset1:3
	s_and_saveexec_b64 s[4:5], vcc
	s_cbranch_execz .LBB1337_17
; %bb.16:
	s_mov_b32 s49, 0
	v_mov_b32_e32 v57, 0
	v_lshl_add_u64 v[34:35], s[48:49], 0, v[56:57]
	v_mov_b32_e32 v36, s8
	v_mad_u64_u32 v[34:35], s[10:11], s2, v36, v[34:35]
	s_mul_i32 s3, s3, s8
	v_mov_b32_e32 v36, s6
	v_mov_b32_e32 v37, v57
	s_load_dwordx4 s[12:15], s[0:1], 0x58
	v_add_u32_e32 v38, s3, v35
	v_mad_u64_u32 v[34:35], s[10:11], v34, s7, v[36:37]
	v_mov_b32_e32 v36, v35
	v_mad_u64_u32 v[36:37], s[10:11], v38, s7, v[36:37]
	v_mov_b32_e32 v35, v36
	v_lshlrev_b64 v[34:35], 2, v[34:35]
	s_waitcnt lgkmcnt(0)
	v_lshl_add_u64 v[36:37], s[14:15], 0, v[34:35]
	v_lshl_add_u64 v[34:35], s[12:13], 0, v[34:35]
	global_store_dword v[36:37], v50, off
	global_store_dword v[34:35], v51, off
.LBB1337_17:
	s_or_b64 exec, exec, s[4:5]
	s_waitcnt vmcnt(7)
	v_cvt_pk_f32_fp8_e32 v[34:35], v6
	v_cvt_pk_f32_fp8_sdwa v[36:37], v6 src0_sel:WORD_1
	v_lshl_or_b32 v50, v62, 9, v46
	s_mov_b32 s5, 0x7060302
	s_waitcnt lgkmcnt(0)
	s_barrier
	v_cvt_pk_f32_fp8_e32 v[38:39], v7
	v_perm_b32 v6, v35, v34, s5
	v_cvt_pk_f32_fp8_sdwa v[40:41], v7 src0_sel:WORD_1
	v_perm_b32 v7, v37, v36, s5
	ds_read_b128 v[34:37], v50
	v_perm_b32 v46, v39, v38, s5
	v_perm_b32 v47, v41, v40, s5
	ds_read_b128 v[38:41], v50 offset:16
	v_cvt_pk_f32_fp8_e32 v[48:49], v8
	v_cvt_pk_f32_fp8_sdwa v[52:53], v8 src0_sel:WORD_1
	s_waitcnt lgkmcnt(1)
	v_mfma_f32_16x16x16_bf16 v[42:45], v[6:7], v[34:35], 0
	s_waitcnt vmcnt(6)
	v_cvt_pk_f32_fp8_e32 v[58:59], v4
	v_perm_b32 v6, v49, v48, s5
	v_perm_b32 v7, v53, v52, s5
	v_cvt_pk_f32_fp8_e32 v[48:49], v9
	v_mfma_f32_16x16x16_bf16 v[42:45], v[46:47], v[36:37], v[42:45]
	v_cvt_pk_f32_fp8_sdwa v[46:47], v9 src0_sel:WORD_1
	v_cvt_pk_f32_fp8_sdwa v[60:61], v4 src0_sel:WORD_1
	v_perm_b32 v48, v49, v48, s5
	s_waitcnt lgkmcnt(0)
	v_mfma_f32_16x16x16_bf16 v[6:9], v[6:7], v[38:39], v[42:45]
	v_perm_b32 v49, v47, v46, s5
	s_waitcnt vmcnt(5)
	v_cvt_pk_f32_fp8_e32 v[64:65], v28
	v_cvt_pk_f32_fp8_sdwa v[66:67], v28 src0_sel:WORD_1
	v_cvt_pk_f32_fp8_e32 v[42:43], v2
	v_mfma_f32_16x16x16_bf16 v[46:49], v[48:49], v[40:41], v[6:9]
	s_waitcnt vmcnt(4)
	v_cvt_pk_f32_fp8_sdwa v[68:69], v24 src0_sel:WORD_1
	s_load_dword s4, s[42:43], 0x0
	v_cvt_pk_f32_fp8_sdwa v[6:7], v2 src0_sel:WORD_1
	v_cvt_pk_f32_fp8_e32 v[8:9], v3
	v_perm_b32 v2, v43, v42, s5
	v_cvt_pk_f32_fp8_sdwa v[42:43], v3 src0_sel:WORD_1
	v_perm_b32 v3, v7, v6, s5
	v_perm_b32 v52, v9, v8, s5
	ds_read_b128 v[6:9], v50 offset:2048
	v_perm_b32 v53, v43, v42, s5
	ds_read_b128 v[42:45], v50 offset:2064
	s_waitcnt lgkmcnt(0)
	v_mfma_f32_16x16x16_bf16 v[46:49], v[2:3], v[6:7], v[46:49]
	v_perm_b32 v2, v59, v58, s5
	v_perm_b32 v3, v61, v60, s5
	v_cvt_pk_f32_fp8_e32 v[58:59], v5
	v_mfma_f32_16x16x16_bf16 v[46:49], v[52:53], v[8:9], v[46:49]
	v_cvt_pk_f32_fp8_sdwa v[52:53], v5 src0_sel:WORD_1
	s_waitcnt vmcnt(3)
	v_cvt_pk_f32_fp8_sdwa v[70:71], v32 src0_sel:WORD_1
	v_perm_b32 v58, v59, v58, s5
	v_mfma_f32_16x16x16_bf16 v[2:5], v[2:3], v[42:43], v[46:49]
	v_perm_b32 v59, v53, v52, s5
	s_mov_b32 s3, 0
	v_cmp_gt_u32_e32 vcc, 64, v0
	v_cvt_pk_f32_fp8_e32 v[46:47], v26
	v_mfma_f32_16x16x16_bf16 v[58:61], v[58:59], v[44:45], v[2:5]
	s_nop 2
	v_cvt_pk_f32_fp8_sdwa v[2:3], v26 src0_sel:WORD_1
	v_cvt_pk_f32_fp8_e32 v[4:5], v27
	v_perm_b32 v26, v47, v46, s5
	v_cvt_pk_f32_fp8_sdwa v[46:47], v27 src0_sel:WORD_1
	v_perm_b32 v27, v3, v2, s5
	v_perm_b32 v52, v5, v4, s5
	ds_read_b128 v[2:5], v50 offset:4096
	v_perm_b32 v53, v47, v46, s5
	ds_read_b128 v[46:49], v50 offset:4112
	s_waitcnt lgkmcnt(1)
	v_mfma_f32_16x16x16_bf16 v[58:61], v[26:27], v[2:3], v[58:61]
	v_perm_b32 v26, v65, v64, s5
	v_perm_b32 v27, v67, v66, s5
	v_cvt_pk_f32_fp8_e32 v[64:65], v29
	v_mfma_f32_16x16x16_bf16 v[58:61], v[52:53], v[4:5], v[58:61]
	v_cvt_pk_f32_fp8_sdwa v[52:53], v29 src0_sel:WORD_1
	v_cvt_pk_f32_fp8_e32 v[66:67], v24
	v_perm_b32 v64, v65, v64, s5
	s_waitcnt lgkmcnt(0)
	v_mfma_f32_16x16x16_bf16 v[26:29], v[26:27], v[46:47], v[58:61]
	v_perm_b32 v65, v53, v52, s5
	v_cvt_pk_f32_fp8_e32 v[52:53], v22
	s_nop 0
	v_mfma_f32_16x16x16_bf16 v[58:61], v[64:65], v[48:49], v[26:29]
	s_nop 2
	v_cvt_pk_f32_fp8_sdwa v[26:27], v22 src0_sel:WORD_1
	v_cvt_pk_f32_fp8_e32 v[28:29], v23
	v_perm_b32 v22, v53, v52, s5
	v_cvt_pk_f32_fp8_sdwa v[52:53], v23 src0_sel:WORD_1
	v_perm_b32 v23, v27, v26, s5
	v_perm_b32 v64, v29, v28, s5
	ds_read_b128 v[26:29], v50 offset:6144
	v_perm_b32 v65, v53, v52, s5
	s_waitcnt lgkmcnt(0)
	v_mfma_f32_16x16x16_bf16 v[58:61], v[22:23], v[26:27], v[58:61]
	ds_read_b128 v[50:53], v50 offset:6160
	v_perm_b32 v22, v67, v66, s5
	v_perm_b32 v23, v69, v68, s5
	v_cvt_pk_f32_fp8_e32 v[66:67], v25
	v_mfma_f32_16x16x16_bf16 v[58:61], v[64:65], v[28:29], v[58:61]
	v_cvt_pk_f32_fp8_sdwa v[64:65], v25 src0_sel:WORD_1
	v_cvt_pk_f32_fp8_e32 v[68:69], v32
	v_perm_b32 v66, v67, v66, s5
	s_waitcnt lgkmcnt(0)
	v_mfma_f32_16x16x16_bf16 v[22:25], v[22:23], v[50:51], v[58:61]
	v_perm_b32 v67, v65, v64, s5
	s_barrier
	s_nop 0
	v_mfma_f32_16x16x16_bf16 v[58:61], v[66:67], v[52:53], v[22:25]
	s_nop 2
	v_cvt_pk_f32_fp8_e32 v[24:25], v30
	v_perm_b32 v24, v25, v24, s5
	s_nop 1
	v_pk_mul_f32 v[22:23], v[60:61], s[4:5] op_sel_hi:[1,0]
	v_cvt_pk_f32_fp8_sdwa v[60:61], v30 src0_sel:WORD_1
	v_pk_mul_f32 v[64:65], v[58:59], s[4:5] op_sel_hi:[1,0]
	v_cvt_pk_f32_fp8_e32 v[58:59], v31
	v_cvt_pk_f32_fp8_sdwa v[30:31], v31 src0_sel:WORD_1
	v_perm_b32 v25, v61, v60, s5
	v_bfe_u32 v57, v65, 16, 1
	v_perm_b32 v66, v59, v58, s5
	v_perm_b32 v67, v31, v30, s5
	v_mfma_f32_16x16x16_bf16 v[58:61], v[24:25], v[34:35], 0
	v_perm_b32 v24, v69, v68, s5
	v_perm_b32 v25, v71, v70, s5
	v_cvt_pk_f32_fp8_e32 v[34:35], v33
	v_cvt_pk_f32_fp8_sdwa v[68:69], v33 src0_sel:WORD_1
	v_mfma_f32_16x16x16_bf16 v[30:33], v[66:67], v[36:37], v[58:61]
	s_waitcnt vmcnt(2)
	v_cvt_pk_f32_fp8_sdwa v[36:37], v18 src0_sel:WORD_1
	v_perm_b32 v34, v35, v34, s5
	v_perm_b32 v35, v69, v68, s5
	v_mfma_f32_16x16x16_bf16 v[30:33], v[24:25], v[38:39], v[30:33]
	v_cvt_pk_f32_fp8_e32 v[24:25], v18
	v_cvt_pk_f32_fp8_sdwa v[38:39], v20 src0_sel:WORD_1
	v_bfe_u32 v58, v64, 16, 1
	v_mfma_f32_16x16x16_bf16 v[30:33], v[34:35], v[40:41], v[30:33]
	v_cvt_pk_f32_fp8_e32 v[34:35], v19
	v_perm_b32 v24, v25, v24, s5
	v_perm_b32 v25, v37, v36, s5
	v_cvt_pk_f32_fp8_sdwa v[18:19], v19 src0_sel:WORD_1
	v_perm_b32 v34, v35, v34, s5
	v_cvt_pk_f32_fp8_e32 v[36:37], v20
	v_mfma_f32_16x16x16_bf16 v[30:33], v[24:25], v[6:7], v[30:33]
	v_perm_b32 v35, v19, v18, s5
	v_perm_b32 v18, v37, v36, s5
	v_perm_b32 v19, v39, v38, s5
	v_cvt_pk_f32_fp8_e32 v[24:25], v21
	v_cvt_pk_f32_fp8_sdwa v[20:21], v21 src0_sel:WORD_1
	v_mfma_f32_16x16x16_bf16 v[6:9], v[34:35], v[8:9], v[30:33]
	v_perm_b32 v24, v25, v24, s5
	v_perm_b32 v25, v21, v20, s5
	v_mfma_f32_16x16x16_bf16 v[6:9], v[18:19], v[42:43], v[6:9]
	s_waitcnt vmcnt(1)
	v_cvt_pk_f32_fp8_e32 v[18:19], v14
	v_cvt_pk_f32_fp8_sdwa v[20:21], v14 src0_sel:WORD_1
	v_cvt_pk_f32_fp8_sdwa v[30:31], v16 src0_sel:WORD_1
	v_mfma_f32_16x16x16_bf16 v[6:9], v[24:25], v[44:45], v[6:9]
	v_cvt_pk_f32_fp8_e32 v[24:25], v15
	v_perm_b32 v18, v19, v18, s5
	v_perm_b32 v19, v21, v20, s5
	v_cvt_pk_f32_fp8_sdwa v[14:15], v15 src0_sel:WORD_1
	v_perm_b32 v20, v25, v24, s5
	v_cvt_pk_f32_fp8_e32 v[24:25], v16
	v_mfma_f32_16x16x16_bf16 v[6:9], v[18:19], v[2:3], v[6:9]
	v_perm_b32 v21, v15, v14, s5
	v_perm_b32 v14, v25, v24, s5
	;; [unrolled: 1-line block ×3, first 2 shown]
	v_cvt_pk_f32_fp8_e32 v[18:19], v17
	v_cvt_pk_f32_fp8_sdwa v[16:17], v17 src0_sel:WORD_1
	v_mfma_f32_16x16x16_bf16 v[2:5], v[20:21], v[4:5], v[6:9]
	v_add3_u32 v32, v64, v58, s9
	v_add3_u32 v33, v65, v57, s9
	s_nop 0
	v_perm_b32 v8, v19, v18, s5
	v_perm_b32 v9, v17, v16, s5
	v_mfma_f32_16x16x16_bf16 v[2:5], v[14:15], v[46:47], v[2:5]
	s_waitcnt vmcnt(0)
	v_cvt_pk_f32_fp8_e32 v[14:15], v10
	v_cvt_pk_f32_fp8_sdwa v[16:17], v10 src0_sel:WORD_1
	v_cvt_pk_f32_fp8_sdwa v[18:19], v12 src0_sel:WORD_1
	v_mfma_f32_16x16x16_bf16 v[2:5], v[8:9], v[48:49], v[2:5]
	v_cvt_pk_f32_fp8_e32 v[8:9], v11
	v_perm_b32 v14, v15, v14, s5
	v_perm_b32 v15, v17, v16, s5
	v_cvt_pk_f32_fp8_sdwa v[10:11], v11 src0_sel:WORD_1
	v_perm_b32 v8, v9, v8, s5
	v_cvt_pk_f32_fp8_e32 v[16:17], v12
	v_mfma_f32_16x16x16_bf16 v[2:5], v[14:15], v[26:27], v[2:5]
	v_perm_b32 v9, v11, v10, s5
	v_perm_b32 v10, v17, v16, s5
	;; [unrolled: 1-line block ×3, first 2 shown]
	v_cvt_pk_f32_fp8_e32 v[14:15], v13
	v_cvt_pk_f32_fp8_sdwa v[12:13], v13 src0_sel:WORD_1
	v_mfma_f32_16x16x16_bf16 v[2:5], v[8:9], v[28:29], v[2:5]
	v_bfe_u32 v7, v23, 16, 1
	v_perm_b32 v8, v15, v14, s5
	v_perm_b32 v9, v13, v12, s5
	v_mfma_f32_16x16x16_bf16 v[2:5], v[10:11], v[50:51], v[2:5]
	v_bfe_u32 v16, v22, 16, 1
	v_add3_u32 v10, v22, v16, s9
	v_add3_u32 v7, v23, v7, s9
	v_mfma_f32_16x16x16_bf16 v[2:5], v[8:9], v[52:53], v[2:5]
	v_perm_b32 v6, v33, v32, s5
	v_perm_b32 v7, v7, v10, s5
	s_nop 4
	v_pk_mul_f32 v[2:3], v[2:3], s[4:5] op_sel_hi:[1,0]
	v_pk_mul_f32 v[4:5], v[4:5], s[4:5] op_sel_hi:[1,0]
	v_bfe_u32 v8, v3, 16, 1
	v_bfe_u32 v9, v2, 16, 1
	v_add3_u32 v2, v2, v9, s9
	v_add3_u32 v3, v3, v8, s9
	v_perm_b32 v2, v3, v2, s5
	v_bfe_u32 v3, v5, 16, 1
	v_bfe_u32 v8, v4, 16, 1
	v_add3_u32 v4, v4, v8, s9
	v_add3_u32 v3, v5, v3, s9
	v_perm_b32 v3, v3, v4, s5
	ds_write2st64_b64 v55, v[6:7], v[2:3] offset1:1
	s_waitcnt lgkmcnt(0)
	s_barrier
	s_and_saveexec_b64 s[4:5], vcc
	s_cbranch_execz .LBB1337_20
; %bb.18:
	s_load_dwordx2 s[4:5], s[0:1], 0x68
	s_lshl_b32 s0, s7, 7
	s_mul_i32 s1, s8, s2
	v_lshlrev_b32_e32 v3, 6, v56
	s_mul_hi_u32 s9, s1, s0
	s_mul_i32 s8, s1, s0
	v_lshl_or_b32 v0, v0, 10, v3
	s_lshl_b64 s[8:9], s[8:9], 1
	v_lshlrev_b32_e32 v2, 5, v62
	v_and_b32_e32 v1, 16, v1
	v_and_b32_e32 v0, 0x1a00, v0
	s_waitcnt lgkmcnt(0)
	s_add_u32 s1, s4, s8
	v_or3_b32 v2, v0, v2, v1
	s_addc_u32 s4, s5, s9
	s_lshl_b32 s2, s6, 7
	s_lshl_b64 s[2:3], s[2:3], 1
	ds_read_b128 v[4:7], v2 offset:128
	ds_read_b128 v[8:11], v2
	s_add_u32 s2, s1, s2
	s_addc_u32 s3, s4, s3
	v_mov_b32_e32 v55, 0
	v_add_u32_e32 v14, s48, v62
	v_lshl_add_u64 v[0:1], s[2:3], 0, v[54:55]
	v_mad_u64_u32 v[12:13], s[2:3], v14, s0, 0
	v_lshl_add_u64 v[12:13], v[12:13], 1, v[0:1]
	s_waitcnt lgkmcnt(0)
	global_store_dwordx4 v[12:13], v[8:11], off
	v_or_b32_e32 v3, 8, v62
	v_cmp_gt_u32_e32 vcc, 10, v3
	v_add_u32_e32 v8, 4, v14
	v_mad_u64_u32 v[8:9], s[2:3], v8, s0, 0
	v_lshl_add_u64 v[8:9], v[8:9], 1, v[0:1]
	global_store_dwordx4 v[8:9], v[4:7], off
	s_and_b64 exec, exec, vcc
	s_cbranch_execz .LBB1337_20
; %bb.19:
	ds_read_b128 v[4:7], v2 offset:256
	v_add_u32_e32 v2, s48, v3
	v_mad_u64_u32 v[2:3], s[0:1], v2, s0, 0
	v_lshl_add_u64 v[0:1], v[2:3], 1, v[0:1]
	s_waitcnt lgkmcnt(0)
	global_store_dwordx4 v[0:1], v[4:7], off
.LBB1337_20:
	s_endpgm
	.section	.rodata,"a",@progbits
	.p2align	6, 0x0
	.amdhsa_kernel _Z39paged_attention_ll4mi_QKV_mfma16_kernelI14__hip_bfloat16hLN4vllm18Fp8KVCacheDataTypeE1EhLi32ELi128ELi256ELb1ELi10EEvPKT_PKT0_S8_ifPKiSA_SA_iPKfiiiPfSD_PS3_PT2_iSC_SC_
		.amdhsa_group_segment_fixed_size 8192
		.amdhsa_private_segment_fixed_size 0
		.amdhsa_kernarg_size 400
		.amdhsa_user_sgpr_count 2
		.amdhsa_user_sgpr_dispatch_ptr 0
		.amdhsa_user_sgpr_queue_ptr 0
		.amdhsa_user_sgpr_kernarg_segment_ptr 1
		.amdhsa_user_sgpr_dispatch_id 0
		.amdhsa_user_sgpr_kernarg_preload_length 0
		.amdhsa_user_sgpr_kernarg_preload_offset 0
		.amdhsa_user_sgpr_private_segment_size 0
		.amdhsa_uses_dynamic_stack 0
		.amdhsa_enable_private_segment 0
		.amdhsa_system_sgpr_workgroup_id_x 1
		.amdhsa_system_sgpr_workgroup_id_y 1
		.amdhsa_system_sgpr_workgroup_id_z 1
		.amdhsa_system_sgpr_workgroup_info 0
		.amdhsa_system_vgpr_workitem_id 0
		.amdhsa_next_free_vgpr 78
		.amdhsa_next_free_sgpr 50
		.amdhsa_accum_offset 80
		.amdhsa_reserve_vcc 1
		.amdhsa_float_round_mode_32 0
		.amdhsa_float_round_mode_16_64 0
		.amdhsa_float_denorm_mode_32 3
		.amdhsa_float_denorm_mode_16_64 3
		.amdhsa_dx10_clamp 1
		.amdhsa_ieee_mode 1
		.amdhsa_fp16_overflow 0
		.amdhsa_tg_split 0
		.amdhsa_exception_fp_ieee_invalid_op 0
		.amdhsa_exception_fp_denorm_src 0
		.amdhsa_exception_fp_ieee_div_zero 0
		.amdhsa_exception_fp_ieee_overflow 0
		.amdhsa_exception_fp_ieee_underflow 0
		.amdhsa_exception_fp_ieee_inexact 0
		.amdhsa_exception_int_div_zero 0
	.end_amdhsa_kernel
	.section	.text._Z39paged_attention_ll4mi_QKV_mfma16_kernelI14__hip_bfloat16hLN4vllm18Fp8KVCacheDataTypeE1EhLi32ELi128ELi256ELb1ELi10EEvPKT_PKT0_S8_ifPKiSA_SA_iPKfiiiPfSD_PS3_PT2_iSC_SC_,"axG",@progbits,_Z39paged_attention_ll4mi_QKV_mfma16_kernelI14__hip_bfloat16hLN4vllm18Fp8KVCacheDataTypeE1EhLi32ELi128ELi256ELb1ELi10EEvPKT_PKT0_S8_ifPKiSA_SA_iPKfiiiPfSD_PS3_PT2_iSC_SC_,comdat
.Lfunc_end1337:
	.size	_Z39paged_attention_ll4mi_QKV_mfma16_kernelI14__hip_bfloat16hLN4vllm18Fp8KVCacheDataTypeE1EhLi32ELi128ELi256ELb1ELi10EEvPKT_PKT0_S8_ifPKiSA_SA_iPKfiiiPfSD_PS3_PT2_iSC_SC_, .Lfunc_end1337-_Z39paged_attention_ll4mi_QKV_mfma16_kernelI14__hip_bfloat16hLN4vllm18Fp8KVCacheDataTypeE1EhLi32ELi128ELi256ELb1ELi10EEvPKT_PKT0_S8_ifPKiSA_SA_iPKfiiiPfSD_PS3_PT2_iSC_SC_
                                        ; -- End function
	.section	.AMDGPU.csdata,"",@progbits
; Kernel info:
; codeLenInByte = 6684
; NumSgprs: 56
; NumVgprs: 78
; NumAgprs: 0
; TotalNumVgprs: 78
; ScratchSize: 0
; MemoryBound: 0
; FloatMode: 240
; IeeeMode: 1
; LDSByteSize: 8192 bytes/workgroup (compile time only)
; SGPRBlocks: 6
; VGPRBlocks: 9
; NumSGPRsForWavesPerEU: 56
; NumVGPRsForWavesPerEU: 78
; AccumOffset: 80
; Occupancy: 6
; WaveLimiterHint : 1
; COMPUTE_PGM_RSRC2:SCRATCH_EN: 0
; COMPUTE_PGM_RSRC2:USER_SGPR: 2
; COMPUTE_PGM_RSRC2:TRAP_HANDLER: 0
; COMPUTE_PGM_RSRC2:TGID_X_EN: 1
; COMPUTE_PGM_RSRC2:TGID_Y_EN: 1
; COMPUTE_PGM_RSRC2:TGID_Z_EN: 1
; COMPUTE_PGM_RSRC2:TIDIG_COMP_CNT: 0
; COMPUTE_PGM_RSRC3_GFX90A:ACCUM_OFFSET: 19
; COMPUTE_PGM_RSRC3_GFX90A:TG_SPLIT: 0
	.section	.text._Z39paged_attention_ll4mi_QKV_mfma16_kernelI14__hip_bfloat16hLN4vllm18Fp8KVCacheDataTypeE1EhLi32ELi128ELi256ELb1ELi11EEvPKT_PKT0_S8_ifPKiSA_SA_iPKfiiiPfSD_PS3_PT2_iSC_SC_,"axG",@progbits,_Z39paged_attention_ll4mi_QKV_mfma16_kernelI14__hip_bfloat16hLN4vllm18Fp8KVCacheDataTypeE1EhLi32ELi128ELi256ELb1ELi11EEvPKT_PKT0_S8_ifPKiSA_SA_iPKfiiiPfSD_PS3_PT2_iSC_SC_,comdat
	.protected	_Z39paged_attention_ll4mi_QKV_mfma16_kernelI14__hip_bfloat16hLN4vllm18Fp8KVCacheDataTypeE1EhLi32ELi128ELi256ELb1ELi11EEvPKT_PKT0_S8_ifPKiSA_SA_iPKfiiiPfSD_PS3_PT2_iSC_SC_ ; -- Begin function _Z39paged_attention_ll4mi_QKV_mfma16_kernelI14__hip_bfloat16hLN4vllm18Fp8KVCacheDataTypeE1EhLi32ELi128ELi256ELb1ELi11EEvPKT_PKT0_S8_ifPKiSA_SA_iPKfiiiPfSD_PS3_PT2_iSC_SC_
	.globl	_Z39paged_attention_ll4mi_QKV_mfma16_kernelI14__hip_bfloat16hLN4vllm18Fp8KVCacheDataTypeE1EhLi32ELi128ELi256ELb1ELi11EEvPKT_PKT0_S8_ifPKiSA_SA_iPKfiiiPfSD_PS3_PT2_iSC_SC_
	.p2align	8
	.type	_Z39paged_attention_ll4mi_QKV_mfma16_kernelI14__hip_bfloat16hLN4vllm18Fp8KVCacheDataTypeE1EhLi32ELi128ELi256ELb1ELi11EEvPKT_PKT0_S8_ifPKiSA_SA_iPKfiiiPfSD_PS3_PT2_iSC_SC_,@function
_Z39paged_attention_ll4mi_QKV_mfma16_kernelI14__hip_bfloat16hLN4vllm18Fp8KVCacheDataTypeE1EhLi32ELi128ELi256ELb1ELi11EEvPKT_PKT0_S8_ifPKiSA_SA_iPKfiiiPfSD_PS3_PT2_iSC_SC_: ; @_Z39paged_attention_ll4mi_QKV_mfma16_kernelI14__hip_bfloat16hLN4vllm18Fp8KVCacheDataTypeE1EhLi32ELi128ELi256ELb1ELi11EEvPKT_PKT0_S8_ifPKiSA_SA_iPKfiiiPfSD_PS3_PT2_iSC_SC_
; %bb.0:
	s_load_dwordx2 s[10:11], s[0:1], 0x30
	s_mov_b32 s6, s3
	s_mov_b64 s[8:9], 0
	s_waitcnt lgkmcnt(0)
	s_cmp_lg_u64 s[10:11], 0
	s_cselect_b64 s[12:13], -1, 0
	s_and_b64 vcc, exec, s[12:13]
	s_cbranch_vccz .LBB1338_7
; %bb.1:
	s_add_i32 s14, s2, 1
	s_mov_b32 s15, 0
	s_lshl_b64 s[16:17], s[14:15], 2
	s_add_u32 s16, s10, s16
	s_mov_b32 s3, s15
	s_addc_u32 s17, s11, s17
	s_lshl_b64 s[14:15], s[2:3], 2
	s_add_u32 s14, s10, s14
	s_addc_u32 s15, s11, s15
	s_load_dword s5, s[16:17], 0x0
	s_load_dword s7, s[14:15], 0x0
	s_waitcnt lgkmcnt(0)
	s_sub_i32 s5, s5, s7
	s_cmp_eq_u32 s5, 1
	s_cselect_b64 s[14:15], -1, 0
	s_andn2_b64 vcc, exec, s[8:9]
	s_cbranch_vccnz .LBB1338_3
.LBB1338_2:
	s_mov_b32 s3, 0
	s_mov_b64 s[14:15], -1
.LBB1338_3:
	s_andn2_b64 vcc, exec, s[14:15]
	s_cbranch_vccnz .LBB1338_20
; %bb.4:
	s_load_dwordx2 s[8:9], s[0:1], 0x28
	s_lshl_b64 s[14:15], s[2:3], 2
	s_waitcnt lgkmcnt(0)
	s_add_u32 s8, s8, s14
	s_addc_u32 s9, s9, s15
	s_load_dword s7, s[8:9], 0x0
	s_lshl_b32 s18, s6, 8
	s_waitcnt lgkmcnt(0)
	s_cmp_ge_i32 s18, s7
	s_cbranch_scc1 .LBB1338_20
; %bb.5:
	s_load_dwordx2 s[8:9], s[0:1], 0x20
	s_load_dword s5, s[0:1], 0x38
	s_add_i32 s16, s7, 31
	s_ashr_i32 s17, s16, 31
	v_and_b32_e32 v1, 0xcf, v0
	s_lshr_b32 s17, s17, 27
	v_add_u32_e32 v1, s18, v1
	s_add_i32 s16, s16, s17
	v_ashrrev_i32_e32 v2, 31, v1
	s_ashr_i32 s19, s16, 5
	v_lshrrev_b32_e32 v4, 27, v2
	s_add_i32 s19, s19, -1
	s_waitcnt lgkmcnt(0)
	s_mul_i32 s16, s2, s5
	s_mov_b32 s17, 0
	v_add_u32_e32 v2, v1, v4
	s_lshl_b64 s[16:17], s[16:17], 2
	v_ashrrev_i32_e32 v2, 5, v2
	v_mov_b32_e32 v5, s19
	v_cmp_gt_i32_e32 vcc, s7, v1
	s_add_u32 s8, s8, s16
	s_addc_u32 s9, s9, s17
	v_cndmask_b32_e32 v2, v5, v2, vcc
	v_ashrrev_i32_e32 v3, 31, v2
	v_lshl_add_u64 v[6:7], v[2:3], 2, s[8:9]
	v_or_b32_e32 v2, 16, v1
	v_add_u32_e32 v3, v2, v4
	v_ashrrev_i32_e32 v3, 5, v3
	v_cmp_gt_i32_e32 vcc, s7, v2
	s_load_dwordx2 s[16:17], s[0:1], 0x8
	s_nop 0
	v_cndmask_b32_e32 v2, v5, v3, vcc
	v_ashrrev_i32_e32 v3, 31, v2
	v_lshl_add_u64 v[8:9], v[2:3], 2, s[8:9]
	v_or_b32_e32 v2, 32, v1
	v_add_u32_e32 v3, v2, v4
	v_ashrrev_i32_e32 v3, 5, v3
	v_cmp_gt_i32_e32 vcc, s7, v2
	v_or_b32_e32 v1, 48, v1
	s_nop 0
	v_cndmask_b32_e32 v2, v5, v3, vcc
	v_ashrrev_i32_e32 v3, 31, v2
	v_lshl_add_u64 v[12:13], v[2:3], 2, s[8:9]
	v_add_u32_e32 v2, v1, v4
	v_ashrrev_i32_e32 v2, 5, v2
	v_cmp_gt_i32_e32 vcc, s7, v1
	s_nop 1
	v_cndmask_b32_e32 v2, v5, v2, vcc
	v_ashrrev_i32_e32 v3, 31, v2
	v_lshl_add_u64 v[14:15], v[2:3], 2, s[8:9]
	global_load_dword v4, v[6:7], off
	global_load_dword v3, v[8:9], off
	;; [unrolled: 1-line block ×4, first 2 shown]
	s_andn2_b64 vcc, exec, s[12:13]
	s_cbranch_vccnz .LBB1338_8
; %bb.6:
	s_add_u32 s10, s10, s14
	s_addc_u32 s11, s11, s15
	s_load_dword s5, s[10:11], 0x0
	s_branch .LBB1338_9
.LBB1338_7:
	s_mov_b64 s[14:15], 0
	s_branch .LBB1338_2
.LBB1338_8:
	s_mov_b32 s5, s2
.LBB1338_9:
	s_load_dwordx2 s[10:11], s[0:1], 0x10
	s_load_dwordx4 s[44:47], s[0:1], 0x48
	v_lshrrev_b32_e32 v57, 6, v0
	v_bfe_u32 v62, v0, 4, 2
	v_and_b32_e32 v56, 15, v0
	v_lshl_or_b32 v5, v57, 2, v62
	v_lshlrev_b32_e32 v1, 3, v56
	s_mul_i32 s48, s4, 11
	v_cmp_gt_u32_e32 vcc, 11, v5
	v_lshlrev_b32_e32 v54, 1, v1
	v_lshlrev_b32_e32 v1, 4, v0
	s_and_saveexec_b64 s[12:13], vcc
	s_cbranch_execz .LBB1338_11
; %bb.10:
	s_load_dwordx2 s[14:15], s[0:1], 0x0
	s_waitcnt lgkmcnt(0)
	s_ashr_i32 s20, s44, 31
	s_mul_hi_u32 s21, s5, s44
	s_mul_i32 s20, s5, s20
	s_add_i32 s21, s21, s20
	s_mul_i32 s20, s5, s44
	s_lshl_b64 s[20:21], s[20:21], 1
	s_add_u32 s14, s14, s20
	v_add_lshl_u32 v6, v5, s48, 7
	s_addc_u32 s15, s15, s21
	v_ashrrev_i32_e32 v7, 31, v6
	v_lshl_add_u64 v[6:7], v[6:7], 1, s[14:15]
	v_mov_b32_e32 v55, 0
	v_lshl_add_u64 v[6:7], v[6:7], 0, v[54:55]
	global_load_dwordx4 v[6:9], v[6:7], off
	v_lshlrev_b32_e32 v12, 8, v0
	v_lshlrev_b32_e32 v11, 8, v56
	v_and_b32_e32 v12, 0x600, v12
	s_movk_i32 s5, 0x800
	v_and_or_b32 v11, v11, s5, v12
	v_lshlrev_b32_e32 v5, 5, v5
	v_and_b32_e32 v12, 16, v1
	v_or3_b32 v5, v11, v5, v12
	s_waitcnt vmcnt(0)
	ds_write_b128 v5, v[6:9]
.LBB1338_11:
	s_or_b64 exec, exec, s[12:13]
	s_waitcnt lgkmcnt(0)
	s_mul_i32 s12, s4, s46
	s_add_u32 s4, s16, s12
	s_addc_u32 s5, s17, 0
	v_mov_b32_e32 v59, 0
	v_mov_b64_e32 v[12:13], s[4:5]
	v_and_b32_e32 v34, 48, v0
	s_waitcnt vmcnt(3)
	v_mad_i64_i32 v[4:5], s[4:5], v4, s45, v[12:13]
	v_lshlrev_b32_e32 v14, 4, v56
	v_mov_b32_e32 v15, v59
	v_lshlrev_b32_e32 v58, 5, v34
	v_lshl_add_u64 v[4:5], v[4:5], 0, v[14:15]
	v_lshl_add_u64 v[4:5], v[4:5], 0, v[58:59]
	s_barrier
	global_load_dwordx4 v[50:53], v[4:5], off
	global_load_dwordx4 v[46:49], v[4:5], off offset:2048
	s_waitcnt vmcnt(4)
	v_mad_i64_i32 v[4:5], s[4:5], v3, s45, v[12:13]
	v_or_b32_e32 v16, 0x100, v14
	v_mov_b32_e32 v17, v59
	s_waitcnt vmcnt(3)
	v_mad_i64_i32 v[2:3], s[4:5], v2, s45, v[12:13]
	v_lshl_add_u64 v[4:5], v[4:5], 0, v[16:17]
	v_lshl_add_u64 v[2:3], v[2:3], 0, v[14:15]
	s_waitcnt vmcnt(2)
	v_mad_i64_i32 v[10:11], s[4:5], v10, s45, v[12:13]
	v_lshl_add_u64 v[4:5], v[4:5], 0, v[58:59]
	v_lshl_add_u64 v[14:15], v[2:3], 0, v[58:59]
	v_lshl_add_u64 v[10:11], v[10:11], 0, v[16:17]
	global_load_dwordx4 v[36:39], v[4:5], off
	global_load_dwordx4 v[6:9], v[4:5], off offset:2048
	s_nop 0
	global_load_dwordx4 v[2:5], v[14:15], off
	global_load_dwordx4 v[42:45], v[14:15], off offset:2048
	v_lshl_add_u64 v[14:15], v[10:11], 0, v[58:59]
	global_load_dwordx4 v[26:29], v[14:15], off
	global_load_dwordx4 v[10:13], v[14:15], off offset:2048
	v_add_u32_e32 v14, -11, v56
	v_cmp_gt_u32_e32 vcc, 11, v56
	v_and_b32_e32 v55, 63, v0
	v_mov_b32_e32 v63, 0
	v_cndmask_b32_e32 v14, v14, v56, vcc
	v_lshlrev_b32_e32 v14, 5, v14
	v_lshl_add_u32 v14, v62, 9, v14
	ds_read_b128 v[30:33], v14
	ds_read_b128 v[22:25], v14 offset:16
	ds_read_b128 v[18:21], v14 offset:2048
	;; [unrolled: 1-line block ×3, first 2 shown]
	s_and_saveexec_b64 s[4:5], vcc
	s_cbranch_execz .LBB1338_13
; %bb.12:
	s_load_dwordx2 s[14:15], s[0:1], 0x40
	v_add_u32_e32 v40, s48, v56
	v_ashrrev_i32_e32 v41, 31, v40
	s_waitcnt lgkmcnt(0)
	v_lshl_add_u64 v[40:41], v[40:41], 2, s[14:15]
	global_load_dword v63, v[40:41], off
.LBB1338_13:
	s_or_b64 exec, exec, s[4:5]
	s_ashr_i32 s4, s18, 31
	v_or_b32_e32 v58, s18, v34
	s_lshr_b32 s4, s4, 27
	v_add_u32_e32 v34, s4, v58
	v_or_b32_e32 v40, 64, v58
	v_ashrrev_i32_e32 v34, 5, v34
	v_mov_b32_e32 v64, s19
	v_cmp_gt_i32_e32 vcc, s7, v58
	v_add_u32_e32 v41, s4, v40
	v_or_b32_e32 v60, 0x80, v58
	v_cndmask_b32_e32 v34, v64, v34, vcc
	v_ashrrev_i32_e32 v41, 5, v41
	v_cmp_gt_i32_e32 vcc, s7, v40
	v_add_u32_e32 v61, s4, v60
	v_or_b32_e32 v58, 0xc0, v58
	v_cndmask_b32_e32 v40, v64, v41, vcc
	v_ashrrev_i32_e32 v61, 5, v61
	v_cmp_gt_i32_e32 vcc, s7, v60
	v_add_u32_e32 v65, s4, v58
	v_ashrrev_i32_e32 v65, 5, v65
	v_cndmask_b32_e32 v60, v64, v61, vcc
	v_cmp_gt_i32_e32 vcc, s7, v58
	s_waitcnt vmcnt(7)
	v_cvt_pk_f32_fp8_sdwa v[66:67], v50 src0_sel:WORD_1
	s_mov_b32 s33, 0x7060302
	v_cndmask_b32_e32 v68, v64, v65, vcc
	v_cvt_pk_f32_fp8_e32 v[64:65], v50
	v_cvt_pk_f32_fp8_e32 v[70:71], v51
	v_cvt_pk_f32_fp8_sdwa v[50:51], v51 src0_sel:WORD_1
	v_cvt_pk_f32_fp8_e32 v[72:73], v52
	v_perm_b32 v64, v65, v64, s33
	v_perm_b32 v65, v67, v66, s33
	;; [unrolled: 1-line block ×3, first 2 shown]
	v_cvt_pk_f32_fp8_sdwa v[74:75], v52 src0_sel:WORD_1
	v_perm_b32 v71, v51, v50, s33
	s_waitcnt lgkmcnt(3)
	v_mfma_f32_16x16x16_bf16 v[64:67], v[64:65], v[30:31], 0
	v_perm_b32 v72, v73, v72, s33
	v_perm_b32 v73, v75, v74, s33
	v_cvt_pk_f32_fp8_e32 v[74:75], v53
	v_cvt_pk_f32_fp8_sdwa v[76:77], v53 src0_sel:WORD_1
	v_mfma_f32_16x16x16_bf16 v[50:53], v[70:71], v[32:33], v[64:67]
	v_ashrrev_i32_e32 v35, 31, v34
	v_lshl_add_u64 v[34:35], v[34:35], 2, s[8:9]
	v_ashrrev_i32_e32 v41, 31, v40
	v_perm_b32 v64, v75, v74, s33
	v_perm_b32 v65, v77, v76, s33
	s_waitcnt lgkmcnt(2)
	v_mfma_f32_16x16x16_bf16 v[50:53], v[72:73], v[22:23], v[50:53]
	s_waitcnt vmcnt(6)
	v_cvt_pk_f32_fp8_e32 v[66:67], v46
	v_ashrrev_i32_e32 v61, 31, v60
	v_ashrrev_i32_e32 v69, 31, v68
	v_lshl_add_u64 v[40:41], v[40:41], 2, s[8:9]
	v_lshl_add_u64 v[60:61], v[60:61], 2, s[8:9]
	;; [unrolled: 1-line block ×3, first 2 shown]
	v_mfma_f32_16x16x16_bf16 v[50:53], v[64:65], v[24:25], v[50:53]
	v_perm_b32 v74, v67, v66, s33
	global_load_dword v68, v[34:35], off
	global_load_dword v66, v[40:41], off
	;; [unrolled: 1-line block ×4, first 2 shown]
	v_cvt_pk_f32_fp8_sdwa v[70:71], v46 src0_sel:WORD_1
	v_cvt_pk_f32_fp8_e32 v[40:41], v48
	s_waitcnt vmcnt(9)
	v_cvt_pk_f32_fp8_e32 v[60:61], v36
	s_add_u32 s4, s10, s12
	v_perm_b32 v75, v71, v70, s33
	v_cvt_pk_f32_fp8_e32 v[70:71], v47
	v_cvt_pk_f32_fp8_sdwa v[46:47], v47 src0_sel:WORD_1
	s_waitcnt lgkmcnt(1)
	v_mfma_f32_16x16x16_bf16 v[50:53], v[74:75], v[18:19], v[50:53]
	v_perm_b32 v34, v71, v70, s33
	v_perm_b32 v35, v47, v46, s33
	v_cvt_pk_f32_fp8_sdwa v[46:47], v48 src0_sel:WORD_1
	v_perm_b32 v40, v41, v40, s33
	v_mfma_f32_16x16x16_bf16 v[50:53], v[34:35], v[20:21], v[50:53]
	v_perm_b32 v41, v47, v46, s33
	v_cvt_pk_f32_fp8_e32 v[34:35], v49
	v_cvt_pk_f32_fp8_sdwa v[46:47], v49 src0_sel:WORD_1
	v_cvt_pk_f32_fp8_sdwa v[70:71], v36 src0_sel:WORD_1
	s_addc_u32 s5, s11, 0
	v_perm_b32 v34, v35, v34, s33
	v_perm_b32 v35, v47, v46, s33
	s_waitcnt lgkmcnt(0)
	v_mfma_f32_16x16x16_bf16 v[46:49], v[40:41], v[14:15], v[50:53]
	v_perm_b32 v40, v61, v60, s33
	v_perm_b32 v41, v71, v70, s33
	s_waitcnt vmcnt(8)
	v_cvt_pk_f32_fp8_sdwa v[60:61], v6 src0_sel:WORD_1
	v_cvt_pk_f32_fp8_e32 v[50:51], v37
	v_cvt_pk_f32_fp8_sdwa v[52:53], v37 src0_sel:WORD_1
	v_mfma_f32_16x16x16_bf16 v[34:37], v[34:35], v[16:17], v[46:49]
	v_and_b32_e32 v58, 16, v0
	v_perm_b32 v50, v51, v50, s33
	v_perm_b32 v51, v53, v52, s33
	v_mfma_f32_16x16x16_bf16 v[46:49], v[40:41], v[30:31], 0
	v_cvt_pk_f32_fp8_e32 v[40:41], v38
	v_cvt_pk_f32_fp8_sdwa v[52:53], v38 src0_sel:WORD_1
	v_lshl_or_b32 v64, v57, 4, v56
	v_mfma_f32_16x16x16_bf16 v[46:49], v[50:51], v[32:33], v[46:49]
	v_cvt_pk_f32_fp8_e32 v[50:51], v39
	v_perm_b32 v40, v41, v40, s33
	v_perm_b32 v41, v53, v52, s33
	v_cvt_pk_f32_fp8_sdwa v[38:39], v39 src0_sel:WORD_1
	v_perm_b32 v50, v51, v50, s33
	v_cvt_pk_f32_fp8_e32 v[52:53], v6
	s_waitcnt vmcnt(6)
	v_cvt_pk_f32_fp8_e32 v[74:75], v43
	v_perm_b32 v51, v39, v38, s33
	v_mfma_f32_16x16x16_bf16 v[38:41], v[40:41], v[22:23], v[46:49]
	s_nop 2
	v_perm_b32 v48, v53, v52, s33
	v_perm_b32 v49, v61, v60, s33
	v_cvt_pk_f32_fp8_e32 v[52:53], v7
	v_cvt_pk_f32_fp8_sdwa v[6:7], v7 src0_sel:WORD_1
	v_mfma_f32_16x16x16_bf16 v[38:41], v[50:51], v[24:25], v[38:41]
	v_lshl_add_u64 v[46:47], s[4:5], 0, v[58:59]
	v_perm_b32 v50, v53, v52, s33
	v_perm_b32 v51, v7, v6, s33
	v_mfma_f32_16x16x16_bf16 v[38:41], v[48:49], v[18:19], v[38:41]
	v_cvt_pk_f32_fp8_e32 v[6:7], v8
	v_cvt_pk_f32_fp8_sdwa v[48:49], v8 src0_sel:WORD_1
	v_cvt_pk_f32_fp8_sdwa v[52:53], v2 src0_sel:WORD_1
	v_mfma_f32_16x16x16_bf16 v[38:41], v[50:51], v[20:21], v[38:41]
	v_cvt_pk_f32_fp8_e32 v[50:51], v9
	v_perm_b32 v6, v7, v6, s33
	v_perm_b32 v7, v49, v48, s33
	v_cvt_pk_f32_fp8_sdwa v[8:9], v9 src0_sel:WORD_1
	v_perm_b32 v48, v51, v50, s33
	v_cvt_pk_f32_fp8_e32 v[50:51], v2
	v_lshlrev_b32_e32 v58, 5, v64
	v_perm_b32 v49, v9, v8, s33
	v_mfma_f32_16x16x16_bf16 v[6:9], v[6:7], v[14:15], v[38:41]
	v_perm_b32 v50, v51, v50, s33
	v_perm_b32 v51, v53, v52, s33
	v_cvt_pk_f32_fp8_e32 v[52:53], v3
	v_cvt_pk_f32_fp8_sdwa v[2:3], v3 src0_sel:WORD_1
	v_mfma_f32_16x16x16_bf16 v[38:41], v[48:49], v[16:17], v[6:9]
	v_lshl_add_u64 v[48:49], v[46:47], 0, v[58:59]
	v_perm_b32 v52, v53, v52, s33
	v_perm_b32 v53, v3, v2, s33
	v_mfma_f32_16x16x16_bf16 v[6:9], v[50:51], v[30:31], 0
	v_cvt_pk_f32_fp8_e32 v[2:3], v4
	v_cvt_pk_f32_fp8_sdwa v[50:51], v4 src0_sel:WORD_1
	s_waitcnt vmcnt(3)
	v_mad_i64_i32 v[60:61], s[4:5], v68, s45, v[48:49]
	v_perm_b32 v2, v3, v2, s33
	v_perm_b32 v3, v51, v50, s33
	v_mfma_f32_16x16x16_bf16 v[6:9], v[52:53], v[32:33], v[6:9]
	v_cvt_pk_f32_fp8_e32 v[50:51], v5
	v_cvt_pk_f32_fp8_sdwa v[4:5], v5 src0_sel:WORD_1
	s_waitcnt vmcnt(2)
	v_mad_i64_i32 v[70:71], s[4:5], v66, s45, v[48:49]
	v_perm_b32 v50, v51, v50, s33
	v_perm_b32 v51, v5, v4, s33
	v_mfma_f32_16x16x16_bf16 v[2:5], v[2:3], v[22:23], v[6:9]
	v_or_b32_e32 v58, 0x800, v58
	s_nop 1
	v_cvt_pk_f32_fp8_e32 v[6:7], v42
	v_cvt_pk_f32_fp8_sdwa v[8:9], v42 src0_sel:WORD_1
	v_cvt_pk_f32_fp8_sdwa v[42:43], v43 src0_sel:WORD_1
	v_mfma_f32_16x16x16_bf16 v[50:53], v[50:51], v[24:25], v[2:5]
	v_perm_b32 v72, v7, v6, s33
	v_perm_b32 v73, v9, v8, s33
	global_load_dwordx4 v[6:9], v[60:61], off
	global_load_dwordx4 v[2:5], v[70:71], off
	v_perm_b32 v60, v75, v74, s33
	v_perm_b32 v61, v43, v42, s33
	v_mfma_f32_16x16x16_bf16 v[70:73], v[72:73], v[18:19], v[50:53]
	v_cvt_pk_f32_fp8_e32 v[42:43], v44
	v_perm_b32 v42, v43, v42, s33
	s_nop 0
	v_cvt_pk_f32_fp8_sdwa v[52:53], v44 src0_sel:WORD_1
	v_mfma_f32_16x16x16_bf16 v[70:73], v[60:61], v[20:21], v[70:73]
	v_cvt_pk_f32_fp8_e32 v[60:61], v45
	s_waitcnt vmcnt(3)
	v_mad_i64_i32 v[50:51], s[4:5], v67, s45, v[48:49]
	s_load_dword s4, s[0:1], 0x1c
	s_load_dwordx4 s[40:43], s[0:1], 0x80
	v_perm_b32 v43, v53, v52, s33
	v_perm_b32 v74, v61, v60, s33
	v_cvt_pk_f32_fp8_e32 v[52:53], v26
	v_cvt_pk_f32_fp8_sdwa v[60:61], v26 src0_sel:WORD_1
	s_load_dword s44, s[0:1], 0x98
	s_waitcnt lgkmcnt(0)
	s_load_dword s5, s[40:41], 0x0
	v_cvt_pk_f32_fp8_sdwa v[44:45], v45 src0_sel:WORD_1
	v_perm_b32 v52, v53, v52, s33
	v_perm_b32 v53, v61, v60, s33
	v_cvt_pk_f32_fp8_e32 v[60:61], v27
	v_cvt_pk_f32_fp8_sdwa v[26:27], v27 src0_sel:WORD_1
	v_perm_b32 v75, v45, v44, s33
	v_mfma_f32_16x16x16_bf16 v[42:45], v[42:43], v[14:15], v[70:73]
	v_perm_b32 v60, v61, v60, s33
	v_perm_b32 v61, v27, v26, s33
	v_mov_b32_e32 v26, s4
	v_mfma_f32_16x16x16_bf16 v[70:73], v[52:53], v[30:31], 0
	s_waitcnt lgkmcnt(0)
	v_mul_f32_e32 v52, s5, v26
	v_cvt_pk_f32_fp8_e32 v[26:27], v28
	v_cvt_pk_f32_fp8_sdwa v[30:31], v28 src0_sel:WORD_1
	v_mfma_f32_16x16x16_bf16 v[70:73], v[60:61], v[32:33], v[70:73]
	v_cvt_pk_f32_fp8_e32 v[32:33], v29
	v_cvt_pk_f32_fp8_sdwa v[28:29], v29 src0_sel:WORD_1
	v_perm_b32 v26, v27, v26, s33
	v_perm_b32 v27, v31, v30, s33
	v_mfma_f32_16x16x16_bf16 v[42:45], v[74:75], v[16:17], v[42:45]
	v_perm_b32 v32, v33, v32, s33
	v_perm_b32 v33, v29, v28, s33
	v_cvt_pk_f32_fp8_e32 v[60:61], v10
	v_cvt_pk_f32_fp8_sdwa v[74:75], v10 src0_sel:WORD_1
	v_mfma_f32_16x16x16_bf16 v[26:29], v[26:27], v[22:23], v[70:73]
	v_pk_mul_f32 v[30:31], v[52:53], v[36:37] op_sel_hi:[0,1]
	v_perm_b32 v36, v61, v60, s33
	v_perm_b32 v37, v75, v74, s33
	v_cvt_pk_f32_fp8_e32 v[60:61], v11
	v_cvt_pk_f32_fp8_sdwa v[70:71], v11 src0_sel:WORD_1
	v_mfma_f32_16x16x16_bf16 v[22:25], v[32:33], v[24:25], v[26:29]
	v_pk_mul_f32 v[10:11], v[52:53], v[34:35] op_sel_hi:[0,1]
	v_perm_b32 v60, v61, v60, s33
	v_perm_b32 v61, v71, v70, s33
	v_mfma_f32_16x16x16_bf16 v[32:35], v[36:37], v[18:19], v[22:25]
	v_cvt_pk_f32_fp8_e32 v[18:19], v12
	v_cvt_pk_f32_fp8_sdwa v[36:37], v12 src0_sel:WORD_1
	s_waitcnt vmcnt(2)
	v_mad_i64_i32 v[48:49], s[8:9], v65, s45, v[48:49]
	global_load_dwordx4 v[26:29], v[50:51], off
	global_load_dwordx4 v[22:25], v[48:49], off
	v_perm_b32 v48, v19, v18, s33
	v_perm_b32 v49, v37, v36, s33
	v_cvt_pk_f32_fp8_e32 v[36:37], v13
	v_cvt_pk_f32_fp8_sdwa v[12:13], v13 src0_sel:WORD_1
	v_mfma_f32_16x16x16_bf16 v[18:21], v[60:61], v[20:21], v[32:35]
	v_pk_mul_f32 v[40:41], v[52:53], v[40:41] op_sel_hi:[0,1]
	v_pk_mul_f32 v[42:43], v[52:53], v[42:43] op_sel_hi:[0,1]
	s_mov_b32 s40, 0xff7fffff
	v_perm_b32 v32, v37, v36, s33
	v_perm_b32 v33, v13, v12, s33
	v_mfma_f32_16x16x16_bf16 v[12:15], v[48:49], v[14:15], v[18:21]
	v_pk_mul_f32 v[48:49], v[52:53], v[38:39] op_sel_hi:[0,1]
	v_pk_mul_f32 v[38:39], v[52:53], v[44:45] op_sel_hi:[0,1]
	v_mfma_f32_16x16x16_bf16 v[12:15], v[32:33], v[16:17], v[12:15]
	s_nop 6
	v_pk_mul_f32 v[36:37], v[52:53], v[12:13] op_sel_hi:[0,1]
	v_and_b32_e32 v12, 0xc0, v0
	v_add_u32_e32 v12, s18, v12
	v_lshl_or_b32 v12, v62, 2, v12
	v_or_b32_e32 v13, 1, v12
	v_pk_mul_f32 v[34:35], v[52:53], v[14:15] op_sel_hi:[0,1]
	v_subrev_u32_e32 v14, s7, v13
	v_add_u32_e32 v16, 1, v14
	v_add_u32_e32 v17, 2, v14
	v_cvt_f32_i32_e32 v15, v14
	v_cvt_f32_i32_e32 v16, v16
	v_cvt_f32_i32_e32 v17, v17
	v_add_u32_e32 v18, 3, v14
	v_fma_f32 v10, v63, v15, v10
	v_fmac_f32_e32 v11, v63, v16
	v_fma_f32 v51, v63, v17, v30
	v_add_u32_e32 v15, 16, v14
	v_add_u32_e32 v16, 17, v14
	;; [unrolled: 1-line block ×3, first 2 shown]
	v_cvt_f32_i32_e32 v18, v18
	v_cvt_f32_i32_e32 v15, v15
	;; [unrolled: 1-line block ×4, first 2 shown]
	v_fmac_f32_e32 v31, v63, v18
	v_add_u32_e32 v18, 19, v14
	v_fma_f32 v48, v63, v15, v48
	v_fmac_f32_e32 v49, v63, v16
	v_fma_f32 v40, v63, v17, v40
	v_add_u32_e32 v15, 32, v14
	v_add_u32_e32 v16, 33, v14
	;; [unrolled: 1-line block ×3, first 2 shown]
	v_cvt_f32_i32_e32 v18, v18
	v_cvt_f32_i32_e32 v15, v15
	;; [unrolled: 1-line block ×4, first 2 shown]
	v_fmac_f32_e32 v41, v63, v18
	v_add_u32_e32 v18, 35, v14
	v_fma_f32 v42, v63, v15, v42
	v_fmac_f32_e32 v43, v63, v16
	v_fma_f32 v38, v63, v17, v38
	v_add_u32_e32 v15, 48, v14
	v_add_u32_e32 v16, 49, v14
	;; [unrolled: 1-line block ×4, first 2 shown]
	v_cvt_f32_i32_e32 v14, v14
	v_cvt_f32_i32_e32 v15, v15
	;; [unrolled: 1-line block ×3, first 2 shown]
	v_cmp_gt_i32_e64 s[8:9], s7, v12
	v_fmac_f32_e32 v35, v63, v14
	v_mov_b32_e32 v14, 0xff7fffff
	v_cmp_gt_i32_e64 s[10:11], s7, v13
	v_fma_f32 v36, v63, v15, v36
	v_cndmask_b32_e64 v15, v14, v10, s[8:9]
	v_cndmask_b32_e64 v13, v14, v11, s[10:11]
	v_fmac_f32_e32 v37, v63, v16
	v_max3_f32 v13, v15, s40, v13
	v_or_b32_e32 v15, 2, v12
	v_or_b32_e32 v16, 3, v12
	v_cmp_gt_i32_e64 s[12:13], s7, v15
	v_cmp_gt_i32_e64 s[14:15], s7, v16
	v_cvt_f32_i32_e32 v18, v18
	v_cndmask_b32_e64 v15, v14, v51, s[12:13]
	v_cndmask_b32_e64 v16, v14, v31, s[14:15]
	v_max3_f32 v13, v13, v15, v16
	v_or_b32_e32 v15, 16, v12
	v_or_b32_e32 v16, 17, v12
	v_cmp_gt_i32_e64 s[16:17], s7, v15
	v_cmp_gt_i32_e64 s[18:19], s7, v16
	v_fmac_f32_e32 v39, v63, v18
	v_cndmask_b32_e64 v15, v14, v48, s[16:17]
	v_cndmask_b32_e64 v16, v14, v49, s[18:19]
	v_max3_f32 v13, v13, v15, v16
	v_or_b32_e32 v15, 18, v12
	v_or_b32_e32 v16, 19, v12
	v_cmp_gt_i32_e64 s[20:21], s7, v15
	v_cmp_gt_i32_e64 s[22:23], s7, v16
	v_cvt_f32_i32_e32 v17, v17
	v_cndmask_b32_e64 v15, v14, v40, s[20:21]
	v_cndmask_b32_e64 v16, v14, v41, s[22:23]
	v_max3_f32 v13, v13, v15, v16
	v_or_b32_e32 v15, 32, v12
	v_or_b32_e32 v16, 33, v12
	v_cmp_gt_i32_e64 s[24:25], s7, v15
	v_cmp_gt_i32_e64 s[26:27], s7, v16
	v_fma_f32 v34, v63, v17, v34
	v_cndmask_b32_e64 v15, v14, v42, s[24:25]
	v_cndmask_b32_e64 v16, v14, v43, s[26:27]
	v_max3_f32 v13, v13, v15, v16
	v_or_b32_e32 v15, 34, v12
	v_or_b32_e32 v16, 35, v12
	v_cmp_gt_i32_e64 s[28:29], s7, v15
	v_cmp_gt_i32_e64 s[30:31], s7, v16
	s_nop 0
	v_cndmask_b32_e64 v15, v14, v38, s[28:29]
	v_cndmask_b32_e64 v16, v14, v39, s[30:31]
	v_max3_f32 v13, v13, v15, v16
	v_or_b32_e32 v15, 48, v12
	v_or_b32_e32 v16, 49, v12
	v_cmp_gt_i32_e64 s[34:35], s7, v15
	v_cmp_gt_i32_e64 s[36:37], s7, v16
	s_nop 0
	v_cndmask_b32_e64 v15, v14, v36, s[34:35]
	v_cndmask_b32_e64 v16, v14, v37, s[36:37]
	v_max3_f32 v13, v13, v15, v16
	v_or_b32_e32 v15, 50, v12
	v_or_b32_e32 v12, 51, v12
	v_cmp_gt_i32_e32 vcc, s7, v15
	v_cmp_gt_i32_e64 s[4:5], s7, v12
	s_nop 0
	v_cndmask_b32_e32 v15, v14, v34, vcc
	v_cndmask_b32_e64 v12, v14, v35, s[4:5]
	v_max3_f32 v16, v13, v15, v12
	v_mbcnt_lo_u32_b32 v12, -1, 0
	v_mbcnt_hi_u32_b32 v17, -1, v12
	v_and_b32_e32 v12, 64, v17
	v_add_u32_e32 v18, 64, v12
	v_xor_b32_e32 v12, 32, v17
	v_cmp_lt_i32_e64 s[38:39], v12, v18
	s_nop 1
	v_cndmask_b32_e64 v12, v17, v12, s[38:39]
	v_lshlrev_b32_e32 v52, 2, v12
	ds_bpermute_b32 v19, v52, v16
	v_lshl_add_u64 v[12:13], v[46:47], 0, v[58:59]
	v_mad_i64_i32 v[14:15], s[38:39], v68, s45, v[12:13]
	s_waitcnt lgkmcnt(0)
	v_max_f32_e32 v19, v19, v19
	v_max_f32_e32 v19, v16, v19
	v_xor_b32_e32 v16, 16, v17
	v_cmp_lt_i32_e64 s[38:39], v16, v18
	s_nop 1
	v_cndmask_b32_e64 v16, v17, v16, s[38:39]
	v_lshlrev_b32_e32 v53, 2, v16
	ds_bpermute_b32 v18, v53, v19
	v_mad_i64_i32 v[16:17], s[38:39], v66, s45, v[12:13]
	v_mad_i64_i32 v[44:45], s[38:39], v67, s45, v[12:13]
	s_waitcnt lgkmcnt(0)
	v_max_f32_e32 v18, v18, v18
	v_max_f32_e32 v50, v19, v18
	v_sub_f32_e32 v10, v10, v50
	v_mul_f32_e32 v10, 0x3fb8aa3b, v10
	v_exp_f32_e32 v18, v10
	v_sub_f32_e32 v10, v11, v50
	v_mul_f32_e32 v10, 0x3fb8aa3b, v10
	v_exp_f32_e32 v19, v10
	v_mad_i64_i32 v[10:11], s[38:39], v65, s45, v[12:13]
	v_sub_f32_e32 v12, v51, v50
	v_mul_f32_e32 v12, 0x3fb8aa3b, v12
	v_cndmask_b32_e64 v46, 0, v18, s[8:9]
	v_cndmask_b32_e64 v47, 0, v19, s[10:11]
	v_sub_f32_e32 v58, v31, v50
	global_load_dwordx4 v[30:33], v[14:15], off
	global_load_dwordx4 v[18:21], v[16:17], off
	v_exp_f32_e32 v51, v12
	global_load_dwordx4 v[14:17], v[44:45], off
	s_nop 0
	global_load_dwordx4 v[10:13], v[10:11], off
	v_sub_f32_e32 v45, v48, v50
	v_sub_f32_e32 v48, v49, v50
	;; [unrolled: 1-line block ×4, first 2 shown]
	v_mul_f32_e32 v44, 0x3fb8aa3b, v58
	v_mul_f32_e32 v45, 0x3fb8aa3b, v45
	v_mul_f32_e32 v48, 0x3fb8aa3b, v48
	v_mul_f32_e32 v40, 0x3fb8aa3b, v40
	v_mul_f32_e32 v42, 0x3fb8aa3b, v42
	v_exp_f32_e32 v44, v44
	v_exp_f32_e32 v45, v45
	;; [unrolled: 1-line block ×3, first 2 shown]
	v_cndmask_b32_e64 v48, 0, v51, s[12:13]
	v_exp_f32_e32 v40, v40
	v_exp_f32_e32 v51, v42
	v_sub_f32_e32 v42, v43, v50
	v_mul_f32_e32 v42, 0x3fb8aa3b, v42
	v_cndmask_b32_e64 v49, 0, v44, s[14:15]
	v_cndmask_b32_e64 v44, 0, v45, s[16:17]
	;; [unrolled: 1-line block ×3, first 2 shown]
	v_sub_f32_e32 v41, v41, v50
	v_exp_f32_e32 v58, v42
	v_cndmask_b32_e64 v42, 0, v40, s[20:21]
	v_cndmask_b32_e64 v40, 0, v51, s[24:25]
	v_add_f32_e32 v51, 0, v46
	v_mul_f32_e32 v41, 0x3fb8aa3b, v41
	v_add_f32_e32 v51, v51, v47
	v_exp_f32_e32 v41, v41
	v_add_f32_e32 v51, v51, v48
	v_sub_f32_e32 v38, v38, v50
	v_add_f32_e32 v51, v51, v49
	v_sub_f32_e32 v39, v39, v50
	v_mul_f32_e32 v38, 0x3fb8aa3b, v38
	v_add_f32_e32 v51, v51, v44
	v_exp_f32_e32 v38, v38
	v_mul_f32_e32 v39, 0x3fb8aa3b, v39
	v_sub_f32_e32 v36, v36, v50
	v_add_f32_e32 v51, v51, v45
	v_cndmask_b32_e64 v43, 0, v41, s[22:23]
	v_exp_f32_e32 v39, v39
	v_mul_f32_e32 v36, 0x3fb8aa3b, v36
	v_sub_f32_e32 v37, v37, v50
	v_add_f32_e32 v51, v51, v42
	v_exp_f32_e32 v36, v36
	v_mul_f32_e32 v37, 0x3fb8aa3b, v37
	v_add_f32_e32 v51, v51, v43
	v_sub_f32_e32 v34, v34, v50
	v_cndmask_b32_e64 v41, 0, v58, s[26:27]
	v_exp_f32_e32 v37, v37
	v_add_f32_e32 v51, v51, v40
	v_mul_f32_e32 v34, 0x3fb8aa3b, v34
	v_sub_f32_e32 v35, v35, v50
	v_cndmask_b32_e64 v38, 0, v38, s[28:29]
	v_add_f32_e32 v51, v51, v41
	v_exp_f32_e32 v34, v34
	v_mul_f32_e32 v35, 0x3fb8aa3b, v35
	v_cndmask_b32_e64 v39, 0, v39, s[30:31]
	v_add_f32_e32 v51, v51, v38
	v_exp_f32_e32 v35, v35
	v_cndmask_b32_e64 v36, 0, v36, s[34:35]
	v_add_f32_e32 v51, v51, v39
	v_cndmask_b32_e64 v37, 0, v37, s[36:37]
	v_add_f32_e32 v51, v51, v36
	v_add_f32_e32 v51, v51, v37
	v_cndmask_b32_e32 v34, 0, v34, vcc
	v_add_f32_e32 v51, v51, v34
	v_cndmask_b32_e64 v35, 0, v35, s[4:5]
	v_add_f32_e32 v51, v51, v35
	ds_bpermute_b32 v52, v52, v51
	v_cmp_gt_u32_e32 vcc, 16, v55
	s_waitcnt lgkmcnt(0)
	s_barrier
	v_add_f32_e32 v51, v51, v52
	ds_bpermute_b32 v52, v53, v51
	s_and_saveexec_b64 s[4:5], vcc
	s_cbranch_execz .LBB1338_15
; %bb.14:
	s_waitcnt lgkmcnt(0)
	v_add_f32_e32 v51, v51, v52
	v_lshlrev_b32_e32 v52, 2, v64
	ds_write2st64_b32 v52, v50, v51 offset1:1
.LBB1338_15:
	s_or_b64 exec, exec, s[4:5]
	v_lshlrev_b32_e32 v51, 2, v56
	s_load_dword s7, s[0:1], 0x94
	s_waitcnt lgkmcnt(0)
	s_barrier
	ds_read2_b32 v[52:53], v51 offset1:16
	ds_read2_b32 v[58:59], v51 offset0:32 offset1:48
	ds_read2_b32 v[60:61], v51 offset0:64 offset1:80
	s_movk_i32 s9, 0x7fff
	s_mul_i32 s8, s44, 11
	s_waitcnt lgkmcnt(2)
	v_max3_f32 v50, v52, s40, v53
	s_waitcnt lgkmcnt(1)
	v_max3_f32 v50, v50, v58, v59
	v_sub_f32_e32 v52, v52, v50
	v_mul_f32_e32 v52, 0x3fb8aa3b, v52
	v_exp_f32_e32 v55, v52
	v_sub_f32_e32 v52, v53, v50
	v_mul_f32_e32 v52, 0x3fb8aa3b, v52
	v_exp_f32_e32 v63, v52
	;; [unrolled: 3-line block ×3, first 2 shown]
	ds_read2_b32 v[52:53], v51 offset0:96 offset1:112
	v_sub_f32_e32 v51, v59, v50
	v_mul_f32_e32 v51, 0x3fb8aa3b, v51
	v_exp_f32_e32 v59, v51
	s_waitcnt lgkmcnt(1)
	v_fma_f32 v51, v55, v60, 0
	v_fmac_f32_e32 v51, v63, v61
	s_waitcnt lgkmcnt(0)
	v_fmac_f32_e32 v51, v58, v52
	v_fmac_f32_e32 v51, v59, v53
	v_add_f32_e32 v52, 0x358637bd, v51
	v_div_scale_f32 v53, s[4:5], v52, v52, 1.0
	v_rcp_f32_e32 v60, v53
	s_barrier
	v_fma_f32 v61, -v53, v60, 1.0
	v_fmac_f32_e32 v60, v61, v60
	v_div_scale_f32 v61, vcc, 1.0, v52, 1.0
	v_mul_f32_e32 v64, v61, v60
	v_fma_f32 v65, -v53, v64, v61
	v_fmac_f32_e32 v64, v65, v60
	v_fma_f32 v53, -v53, v64, v61
	v_div_fmas_f32 v53, v53, v60, v64
	v_cmp_eq_u32_e32 vcc, 1, v57
	v_div_fixup_f32 v52, v53, v52, 1.0
	s_nop 0
	v_cndmask_b32_e32 v53, v55, v63, vcc
	v_cmp_eq_u32_e32 vcc, 2, v57
	s_nop 1
	v_cndmask_b32_e32 v53, v53, v58, vcc
	v_cmp_eq_u32_e32 vcc, 3, v57
	s_nop 1
	v_cndmask_b32_e32 v53, v53, v59, vcc
	v_mul_f32_e32 v52, v53, v52
	v_pk_mul_f32 v[46:47], v[52:53], v[46:47] op_sel_hi:[0,1]
	v_pk_mul_f32 v[48:49], v[52:53], v[48:49] op_sel_hi:[0,1]
	v_bfe_u32 v53, v47, 16, 1
	v_bfe_u32 v55, v46, 16, 1
	v_add3_u32 v46, v46, v55, s9
	v_add3_u32 v47, v47, v53, s9
	v_perm_b32 v58, v47, v46, s33
	v_bfe_u32 v46, v49, 16, 1
	v_bfe_u32 v47, v48, 16, 1
	v_add3_u32 v47, v48, v47, s9
	v_add3_u32 v46, v49, v46, s9
	v_perm_b32 v59, v46, v47, s33
	v_lshlrev_b32_e32 v47, 3, v62
	v_lshlrev_b32_e32 v46, 5, v56
	;; [unrolled: 1-line block ×3, first 2 shown]
	v_pk_mul_f32 v[44:45], v[52:53], v[44:45] op_sel_hi:[0,1]
	v_or3_b32 v55, v48, v46, v47
	v_bfe_u32 v47, v45, 16, 1
	v_bfe_u32 v48, v44, 16, 1
	v_pk_mul_f32 v[42:43], v[52:53], v[42:43] op_sel_hi:[0,1]
	v_add3_u32 v44, v44, v48, s9
	v_add3_u32 v45, v45, v47, s9
	v_perm_b32 v44, v45, v44, s33
	v_bfe_u32 v45, v43, 16, 1
	v_bfe_u32 v47, v42, 16, 1
	v_add3_u32 v42, v42, v47, s9
	v_add3_u32 v43, v43, v45, s9
	v_pk_mul_f32 v[40:41], v[52:53], v[40:41] op_sel_hi:[0,1]
	v_perm_b32 v45, v43, v42, s33
	v_bfe_u32 v42, v41, 16, 1
	v_bfe_u32 v43, v40, 16, 1
	v_pk_mul_f32 v[38:39], v[52:53], v[38:39] op_sel_hi:[0,1]
	v_add3_u32 v40, v40, v43, s9
	v_add3_u32 v41, v41, v42, s9
	v_perm_b32 v40, v41, v40, s33
	v_bfe_u32 v41, v39, 16, 1
	v_bfe_u32 v42, v38, 16, 1
	v_add3_u32 v38, v38, v42, s9
	v_add3_u32 v39, v39, v41, s9
	v_pk_mul_f32 v[36:37], v[52:53], v[36:37] op_sel_hi:[0,1]
	v_perm_b32 v41, v39, v38, s33
	v_bfe_u32 v38, v37, 16, 1
	v_bfe_u32 v39, v36, 16, 1
	v_pk_mul_f32 v[34:35], v[52:53], v[34:35] op_sel_hi:[0,1]
	v_add3_u32 v36, v36, v39, s9
	v_add3_u32 v37, v37, v38, s9
	v_perm_b32 v36, v37, v36, s33
	v_bfe_u32 v37, v35, 16, 1
	v_bfe_u32 v38, v34, 16, 1
	v_add3_u32 v34, v34, v38, s9
	v_add3_u32 v35, v35, v37, s9
	v_perm_b32 v37, v35, v34, s33
	v_cmp_gt_u32_e32 vcc, 11, v0
	ds_write2st64_b64 v55, v[58:59], v[44:45] offset1:1
	ds_write2st64_b64 v55, v[40:41], v[36:37] offset0:2 offset1:3
	s_and_saveexec_b64 s[4:5], vcc
	s_cbranch_execz .LBB1338_17
; %bb.16:
	s_mov_b32 s49, 0
	v_mov_b32_e32 v57, 0
	v_lshl_add_u64 v[34:35], s[48:49], 0, v[56:57]
	v_mov_b32_e32 v36, s8
	v_mad_u64_u32 v[34:35], s[10:11], s2, v36, v[34:35]
	s_mul_i32 s3, s3, s8
	v_mov_b32_e32 v36, s6
	v_mov_b32_e32 v37, v57
	s_load_dwordx4 s[12:15], s[0:1], 0x58
	v_add_u32_e32 v38, s3, v35
	v_mad_u64_u32 v[34:35], s[10:11], v34, s7, v[36:37]
	v_mov_b32_e32 v36, v35
	v_mad_u64_u32 v[36:37], s[10:11], v38, s7, v[36:37]
	v_mov_b32_e32 v35, v36
	v_lshlrev_b64 v[34:35], 2, v[34:35]
	s_waitcnt lgkmcnt(0)
	v_lshl_add_u64 v[36:37], s[14:15], 0, v[34:35]
	v_lshl_add_u64 v[34:35], s[12:13], 0, v[34:35]
	global_store_dword v[36:37], v50, off
	global_store_dword v[34:35], v51, off
.LBB1338_17:
	s_or_b64 exec, exec, s[4:5]
	s_waitcnt vmcnt(7)
	v_cvt_pk_f32_fp8_e32 v[34:35], v6
	v_cvt_pk_f32_fp8_sdwa v[36:37], v6 src0_sel:WORD_1
	v_lshl_or_b32 v50, v62, 9, v46
	s_mov_b32 s5, 0x7060302
	s_waitcnt lgkmcnt(0)
	s_barrier
	v_cvt_pk_f32_fp8_e32 v[38:39], v7
	v_perm_b32 v6, v35, v34, s5
	v_cvt_pk_f32_fp8_sdwa v[40:41], v7 src0_sel:WORD_1
	v_perm_b32 v7, v37, v36, s5
	ds_read_b128 v[34:37], v50
	v_perm_b32 v46, v39, v38, s5
	v_perm_b32 v47, v41, v40, s5
	ds_read_b128 v[38:41], v50 offset:16
	v_cvt_pk_f32_fp8_e32 v[48:49], v8
	v_cvt_pk_f32_fp8_sdwa v[52:53], v8 src0_sel:WORD_1
	s_waitcnt lgkmcnt(1)
	v_mfma_f32_16x16x16_bf16 v[42:45], v[6:7], v[34:35], 0
	s_waitcnt vmcnt(6)
	v_cvt_pk_f32_fp8_e32 v[58:59], v4
	v_perm_b32 v6, v49, v48, s5
	v_perm_b32 v7, v53, v52, s5
	v_cvt_pk_f32_fp8_e32 v[48:49], v9
	v_mfma_f32_16x16x16_bf16 v[42:45], v[46:47], v[36:37], v[42:45]
	v_cvt_pk_f32_fp8_sdwa v[46:47], v9 src0_sel:WORD_1
	v_cvt_pk_f32_fp8_sdwa v[60:61], v4 src0_sel:WORD_1
	v_perm_b32 v48, v49, v48, s5
	s_waitcnt lgkmcnt(0)
	v_mfma_f32_16x16x16_bf16 v[6:9], v[6:7], v[38:39], v[42:45]
	v_perm_b32 v49, v47, v46, s5
	s_waitcnt vmcnt(5)
	v_cvt_pk_f32_fp8_e32 v[64:65], v28
	v_cvt_pk_f32_fp8_sdwa v[66:67], v28 src0_sel:WORD_1
	v_cvt_pk_f32_fp8_e32 v[42:43], v2
	v_mfma_f32_16x16x16_bf16 v[46:49], v[48:49], v[40:41], v[6:9]
	s_waitcnt vmcnt(4)
	v_cvt_pk_f32_fp8_sdwa v[68:69], v24 src0_sel:WORD_1
	s_load_dword s4, s[42:43], 0x0
	v_cvt_pk_f32_fp8_sdwa v[6:7], v2 src0_sel:WORD_1
	v_cvt_pk_f32_fp8_e32 v[8:9], v3
	v_perm_b32 v2, v43, v42, s5
	v_cvt_pk_f32_fp8_sdwa v[42:43], v3 src0_sel:WORD_1
	v_perm_b32 v3, v7, v6, s5
	v_perm_b32 v52, v9, v8, s5
	ds_read_b128 v[6:9], v50 offset:2048
	v_perm_b32 v53, v43, v42, s5
	ds_read_b128 v[42:45], v50 offset:2064
	s_waitcnt lgkmcnt(0)
	v_mfma_f32_16x16x16_bf16 v[46:49], v[2:3], v[6:7], v[46:49]
	v_perm_b32 v2, v59, v58, s5
	v_perm_b32 v3, v61, v60, s5
	v_cvt_pk_f32_fp8_e32 v[58:59], v5
	v_mfma_f32_16x16x16_bf16 v[46:49], v[52:53], v[8:9], v[46:49]
	v_cvt_pk_f32_fp8_sdwa v[52:53], v5 src0_sel:WORD_1
	s_waitcnt vmcnt(3)
	v_cvt_pk_f32_fp8_sdwa v[70:71], v32 src0_sel:WORD_1
	v_perm_b32 v58, v59, v58, s5
	v_mfma_f32_16x16x16_bf16 v[2:5], v[2:3], v[42:43], v[46:49]
	v_perm_b32 v59, v53, v52, s5
	s_mov_b32 s3, 0
	v_cmp_gt_u32_e32 vcc, 64, v0
	v_cvt_pk_f32_fp8_e32 v[46:47], v26
	v_mfma_f32_16x16x16_bf16 v[58:61], v[58:59], v[44:45], v[2:5]
	s_nop 2
	v_cvt_pk_f32_fp8_sdwa v[2:3], v26 src0_sel:WORD_1
	v_cvt_pk_f32_fp8_e32 v[4:5], v27
	v_perm_b32 v26, v47, v46, s5
	v_cvt_pk_f32_fp8_sdwa v[46:47], v27 src0_sel:WORD_1
	v_perm_b32 v27, v3, v2, s5
	v_perm_b32 v52, v5, v4, s5
	ds_read_b128 v[2:5], v50 offset:4096
	v_perm_b32 v53, v47, v46, s5
	ds_read_b128 v[46:49], v50 offset:4112
	s_waitcnt lgkmcnt(1)
	v_mfma_f32_16x16x16_bf16 v[58:61], v[26:27], v[2:3], v[58:61]
	v_perm_b32 v26, v65, v64, s5
	v_perm_b32 v27, v67, v66, s5
	v_cvt_pk_f32_fp8_e32 v[64:65], v29
	v_mfma_f32_16x16x16_bf16 v[58:61], v[52:53], v[4:5], v[58:61]
	v_cvt_pk_f32_fp8_sdwa v[52:53], v29 src0_sel:WORD_1
	v_cvt_pk_f32_fp8_e32 v[66:67], v24
	v_perm_b32 v64, v65, v64, s5
	s_waitcnt lgkmcnt(0)
	v_mfma_f32_16x16x16_bf16 v[26:29], v[26:27], v[46:47], v[58:61]
	v_perm_b32 v65, v53, v52, s5
	v_cvt_pk_f32_fp8_e32 v[52:53], v22
	s_nop 0
	v_mfma_f32_16x16x16_bf16 v[58:61], v[64:65], v[48:49], v[26:29]
	s_nop 2
	v_cvt_pk_f32_fp8_sdwa v[26:27], v22 src0_sel:WORD_1
	v_cvt_pk_f32_fp8_e32 v[28:29], v23
	v_perm_b32 v22, v53, v52, s5
	v_cvt_pk_f32_fp8_sdwa v[52:53], v23 src0_sel:WORD_1
	v_perm_b32 v23, v27, v26, s5
	v_perm_b32 v64, v29, v28, s5
	ds_read_b128 v[26:29], v50 offset:6144
	v_perm_b32 v65, v53, v52, s5
	s_waitcnt lgkmcnt(0)
	v_mfma_f32_16x16x16_bf16 v[58:61], v[22:23], v[26:27], v[58:61]
	ds_read_b128 v[50:53], v50 offset:6160
	v_perm_b32 v22, v67, v66, s5
	v_perm_b32 v23, v69, v68, s5
	v_cvt_pk_f32_fp8_e32 v[66:67], v25
	v_mfma_f32_16x16x16_bf16 v[58:61], v[64:65], v[28:29], v[58:61]
	v_cvt_pk_f32_fp8_sdwa v[64:65], v25 src0_sel:WORD_1
	v_cvt_pk_f32_fp8_e32 v[68:69], v32
	v_perm_b32 v66, v67, v66, s5
	s_waitcnt lgkmcnt(0)
	v_mfma_f32_16x16x16_bf16 v[22:25], v[22:23], v[50:51], v[58:61]
	v_perm_b32 v67, v65, v64, s5
	s_barrier
	s_nop 0
	v_mfma_f32_16x16x16_bf16 v[58:61], v[66:67], v[52:53], v[22:25]
	s_nop 2
	v_cvt_pk_f32_fp8_e32 v[24:25], v30
	v_perm_b32 v24, v25, v24, s5
	s_nop 1
	v_pk_mul_f32 v[22:23], v[60:61], s[4:5] op_sel_hi:[1,0]
	v_cvt_pk_f32_fp8_sdwa v[60:61], v30 src0_sel:WORD_1
	v_pk_mul_f32 v[64:65], v[58:59], s[4:5] op_sel_hi:[1,0]
	v_cvt_pk_f32_fp8_e32 v[58:59], v31
	v_cvt_pk_f32_fp8_sdwa v[30:31], v31 src0_sel:WORD_1
	v_perm_b32 v25, v61, v60, s5
	v_bfe_u32 v57, v65, 16, 1
	v_perm_b32 v66, v59, v58, s5
	v_perm_b32 v67, v31, v30, s5
	v_mfma_f32_16x16x16_bf16 v[58:61], v[24:25], v[34:35], 0
	v_perm_b32 v24, v69, v68, s5
	v_perm_b32 v25, v71, v70, s5
	v_cvt_pk_f32_fp8_e32 v[34:35], v33
	v_cvt_pk_f32_fp8_sdwa v[68:69], v33 src0_sel:WORD_1
	v_mfma_f32_16x16x16_bf16 v[30:33], v[66:67], v[36:37], v[58:61]
	s_waitcnt vmcnt(2)
	v_cvt_pk_f32_fp8_sdwa v[36:37], v18 src0_sel:WORD_1
	v_perm_b32 v34, v35, v34, s5
	v_perm_b32 v35, v69, v68, s5
	v_mfma_f32_16x16x16_bf16 v[30:33], v[24:25], v[38:39], v[30:33]
	v_cvt_pk_f32_fp8_e32 v[24:25], v18
	v_cvt_pk_f32_fp8_sdwa v[38:39], v20 src0_sel:WORD_1
	v_bfe_u32 v58, v64, 16, 1
	v_mfma_f32_16x16x16_bf16 v[30:33], v[34:35], v[40:41], v[30:33]
	v_cvt_pk_f32_fp8_e32 v[34:35], v19
	v_perm_b32 v24, v25, v24, s5
	v_perm_b32 v25, v37, v36, s5
	v_cvt_pk_f32_fp8_sdwa v[18:19], v19 src0_sel:WORD_1
	v_perm_b32 v34, v35, v34, s5
	v_cvt_pk_f32_fp8_e32 v[36:37], v20
	v_mfma_f32_16x16x16_bf16 v[30:33], v[24:25], v[6:7], v[30:33]
	v_perm_b32 v35, v19, v18, s5
	v_perm_b32 v18, v37, v36, s5
	;; [unrolled: 1-line block ×3, first 2 shown]
	v_cvt_pk_f32_fp8_e32 v[24:25], v21
	v_cvt_pk_f32_fp8_sdwa v[20:21], v21 src0_sel:WORD_1
	v_mfma_f32_16x16x16_bf16 v[6:9], v[34:35], v[8:9], v[30:33]
	v_perm_b32 v24, v25, v24, s5
	v_perm_b32 v25, v21, v20, s5
	v_mfma_f32_16x16x16_bf16 v[6:9], v[18:19], v[42:43], v[6:9]
	s_waitcnt vmcnt(1)
	v_cvt_pk_f32_fp8_e32 v[18:19], v14
	v_cvt_pk_f32_fp8_sdwa v[20:21], v14 src0_sel:WORD_1
	v_cvt_pk_f32_fp8_sdwa v[30:31], v16 src0_sel:WORD_1
	v_mfma_f32_16x16x16_bf16 v[6:9], v[24:25], v[44:45], v[6:9]
	v_cvt_pk_f32_fp8_e32 v[24:25], v15
	v_perm_b32 v18, v19, v18, s5
	v_perm_b32 v19, v21, v20, s5
	v_cvt_pk_f32_fp8_sdwa v[14:15], v15 src0_sel:WORD_1
	v_perm_b32 v20, v25, v24, s5
	v_cvt_pk_f32_fp8_e32 v[24:25], v16
	v_mfma_f32_16x16x16_bf16 v[6:9], v[18:19], v[2:3], v[6:9]
	v_perm_b32 v21, v15, v14, s5
	v_perm_b32 v14, v25, v24, s5
	;; [unrolled: 1-line block ×3, first 2 shown]
	v_cvt_pk_f32_fp8_e32 v[18:19], v17
	v_cvt_pk_f32_fp8_sdwa v[16:17], v17 src0_sel:WORD_1
	v_mfma_f32_16x16x16_bf16 v[2:5], v[20:21], v[4:5], v[6:9]
	v_add3_u32 v32, v64, v58, s9
	v_add3_u32 v33, v65, v57, s9
	s_nop 0
	v_perm_b32 v8, v19, v18, s5
	v_perm_b32 v9, v17, v16, s5
	v_mfma_f32_16x16x16_bf16 v[2:5], v[14:15], v[46:47], v[2:5]
	s_waitcnt vmcnt(0)
	v_cvt_pk_f32_fp8_e32 v[14:15], v10
	v_cvt_pk_f32_fp8_sdwa v[16:17], v10 src0_sel:WORD_1
	v_cvt_pk_f32_fp8_sdwa v[18:19], v12 src0_sel:WORD_1
	v_mfma_f32_16x16x16_bf16 v[2:5], v[8:9], v[48:49], v[2:5]
	v_cvt_pk_f32_fp8_e32 v[8:9], v11
	v_perm_b32 v14, v15, v14, s5
	v_perm_b32 v15, v17, v16, s5
	v_cvt_pk_f32_fp8_sdwa v[10:11], v11 src0_sel:WORD_1
	v_perm_b32 v8, v9, v8, s5
	v_cvt_pk_f32_fp8_e32 v[16:17], v12
	v_mfma_f32_16x16x16_bf16 v[2:5], v[14:15], v[26:27], v[2:5]
	v_perm_b32 v9, v11, v10, s5
	v_perm_b32 v10, v17, v16, s5
	;; [unrolled: 1-line block ×3, first 2 shown]
	v_cvt_pk_f32_fp8_e32 v[14:15], v13
	v_cvt_pk_f32_fp8_sdwa v[12:13], v13 src0_sel:WORD_1
	v_mfma_f32_16x16x16_bf16 v[2:5], v[8:9], v[28:29], v[2:5]
	v_bfe_u32 v7, v23, 16, 1
	v_perm_b32 v8, v15, v14, s5
	v_perm_b32 v9, v13, v12, s5
	v_mfma_f32_16x16x16_bf16 v[2:5], v[10:11], v[50:51], v[2:5]
	v_bfe_u32 v16, v22, 16, 1
	v_add3_u32 v10, v22, v16, s9
	v_add3_u32 v7, v23, v7, s9
	v_mfma_f32_16x16x16_bf16 v[2:5], v[8:9], v[52:53], v[2:5]
	v_perm_b32 v6, v33, v32, s5
	v_perm_b32 v7, v7, v10, s5
	s_nop 4
	v_pk_mul_f32 v[2:3], v[2:3], s[4:5] op_sel_hi:[1,0]
	v_pk_mul_f32 v[4:5], v[4:5], s[4:5] op_sel_hi:[1,0]
	v_bfe_u32 v8, v3, 16, 1
	v_bfe_u32 v9, v2, 16, 1
	v_add3_u32 v2, v2, v9, s9
	v_add3_u32 v3, v3, v8, s9
	v_perm_b32 v2, v3, v2, s5
	v_bfe_u32 v3, v5, 16, 1
	v_bfe_u32 v8, v4, 16, 1
	v_add3_u32 v4, v4, v8, s9
	v_add3_u32 v3, v5, v3, s9
	v_perm_b32 v3, v3, v4, s5
	ds_write2st64_b64 v55, v[6:7], v[2:3] offset1:1
	s_waitcnt lgkmcnt(0)
	s_barrier
	s_and_saveexec_b64 s[4:5], vcc
	s_cbranch_execz .LBB1338_20
; %bb.18:
	s_load_dwordx2 s[4:5], s[0:1], 0x68
	s_lshl_b32 s0, s7, 7
	s_mul_i32 s1, s8, s2
	v_lshlrev_b32_e32 v3, 6, v56
	s_mul_hi_u32 s9, s1, s0
	s_mul_i32 s8, s1, s0
	v_lshl_or_b32 v0, v0, 10, v3
	s_lshl_b64 s[8:9], s[8:9], 1
	v_lshlrev_b32_e32 v2, 5, v62
	v_and_b32_e32 v1, 16, v1
	v_and_b32_e32 v0, 0x1a00, v0
	s_waitcnt lgkmcnt(0)
	s_add_u32 s1, s4, s8
	v_or3_b32 v2, v0, v2, v1
	s_addc_u32 s4, s5, s9
	s_lshl_b32 s2, s6, 7
	s_lshl_b64 s[2:3], s[2:3], 1
	ds_read_b128 v[4:7], v2 offset:128
	ds_read_b128 v[8:11], v2
	s_add_u32 s2, s1, s2
	s_addc_u32 s3, s4, s3
	v_mov_b32_e32 v55, 0
	v_add_u32_e32 v3, s48, v62
	v_lshl_add_u64 v[0:1], s[2:3], 0, v[54:55]
	v_mad_u64_u32 v[12:13], s[2:3], v3, s0, 0
	v_lshl_add_u64 v[12:13], v[12:13], 1, v[0:1]
	v_add_u32_e32 v3, 4, v3
	s_waitcnt lgkmcnt(0)
	global_store_dwordx4 v[12:13], v[8:11], off
	v_cmp_ne_u32_e32 vcc, 3, v62
	s_nop 0
	v_mad_u64_u32 v[8:9], s[2:3], v3, s0, 0
	v_lshl_add_u64 v[8:9], v[8:9], 1, v[0:1]
	global_store_dwordx4 v[8:9], v[4:7], off
	s_and_b64 exec, exec, vcc
	s_cbranch_execz .LBB1338_20
; %bb.19:
	ds_read_b128 v[2:5], v2 offset:256
	v_add3_u32 v6, s48, v62, 8
	v_mad_u64_u32 v[6:7], s[0:1], v6, s0, 0
	v_lshl_add_u64 v[0:1], v[6:7], 1, v[0:1]
	s_waitcnt lgkmcnt(0)
	global_store_dwordx4 v[0:1], v[2:5], off
.LBB1338_20:
	s_endpgm
	.section	.rodata,"a",@progbits
	.p2align	6, 0x0
	.amdhsa_kernel _Z39paged_attention_ll4mi_QKV_mfma16_kernelI14__hip_bfloat16hLN4vllm18Fp8KVCacheDataTypeE1EhLi32ELi128ELi256ELb1ELi11EEvPKT_PKT0_S8_ifPKiSA_SA_iPKfiiiPfSD_PS3_PT2_iSC_SC_
		.amdhsa_group_segment_fixed_size 8192
		.amdhsa_private_segment_fixed_size 0
		.amdhsa_kernarg_size 400
		.amdhsa_user_sgpr_count 2
		.amdhsa_user_sgpr_dispatch_ptr 0
		.amdhsa_user_sgpr_queue_ptr 0
		.amdhsa_user_sgpr_kernarg_segment_ptr 1
		.amdhsa_user_sgpr_dispatch_id 0
		.amdhsa_user_sgpr_kernarg_preload_length 0
		.amdhsa_user_sgpr_kernarg_preload_offset 0
		.amdhsa_user_sgpr_private_segment_size 0
		.amdhsa_uses_dynamic_stack 0
		.amdhsa_enable_private_segment 0
		.amdhsa_system_sgpr_workgroup_id_x 1
		.amdhsa_system_sgpr_workgroup_id_y 1
		.amdhsa_system_sgpr_workgroup_id_z 1
		.amdhsa_system_sgpr_workgroup_info 0
		.amdhsa_system_vgpr_workitem_id 0
		.amdhsa_next_free_vgpr 78
		.amdhsa_next_free_sgpr 50
		.amdhsa_accum_offset 80
		.amdhsa_reserve_vcc 1
		.amdhsa_float_round_mode_32 0
		.amdhsa_float_round_mode_16_64 0
		.amdhsa_float_denorm_mode_32 3
		.amdhsa_float_denorm_mode_16_64 3
		.amdhsa_dx10_clamp 1
		.amdhsa_ieee_mode 1
		.amdhsa_fp16_overflow 0
		.amdhsa_tg_split 0
		.amdhsa_exception_fp_ieee_invalid_op 0
		.amdhsa_exception_fp_denorm_src 0
		.amdhsa_exception_fp_ieee_div_zero 0
		.amdhsa_exception_fp_ieee_overflow 0
		.amdhsa_exception_fp_ieee_underflow 0
		.amdhsa_exception_fp_ieee_inexact 0
		.amdhsa_exception_int_div_zero 0
	.end_amdhsa_kernel
	.section	.text._Z39paged_attention_ll4mi_QKV_mfma16_kernelI14__hip_bfloat16hLN4vllm18Fp8KVCacheDataTypeE1EhLi32ELi128ELi256ELb1ELi11EEvPKT_PKT0_S8_ifPKiSA_SA_iPKfiiiPfSD_PS3_PT2_iSC_SC_,"axG",@progbits,_Z39paged_attention_ll4mi_QKV_mfma16_kernelI14__hip_bfloat16hLN4vllm18Fp8KVCacheDataTypeE1EhLi32ELi128ELi256ELb1ELi11EEvPKT_PKT0_S8_ifPKiSA_SA_iPKfiiiPfSD_PS3_PT2_iSC_SC_,comdat
.Lfunc_end1338:
	.size	_Z39paged_attention_ll4mi_QKV_mfma16_kernelI14__hip_bfloat16hLN4vllm18Fp8KVCacheDataTypeE1EhLi32ELi128ELi256ELb1ELi11EEvPKT_PKT0_S8_ifPKiSA_SA_iPKfiiiPfSD_PS3_PT2_iSC_SC_, .Lfunc_end1338-_Z39paged_attention_ll4mi_QKV_mfma16_kernelI14__hip_bfloat16hLN4vllm18Fp8KVCacheDataTypeE1EhLi32ELi128ELi256ELb1ELi11EEvPKT_PKT0_S8_ifPKiSA_SA_iPKfiiiPfSD_PS3_PT2_iSC_SC_
                                        ; -- End function
	.section	.AMDGPU.csdata,"",@progbits
; Kernel info:
; codeLenInByte = 6688
; NumSgprs: 56
; NumVgprs: 78
; NumAgprs: 0
; TotalNumVgprs: 78
; ScratchSize: 0
; MemoryBound: 0
; FloatMode: 240
; IeeeMode: 1
; LDSByteSize: 8192 bytes/workgroup (compile time only)
; SGPRBlocks: 6
; VGPRBlocks: 9
; NumSGPRsForWavesPerEU: 56
; NumVGPRsForWavesPerEU: 78
; AccumOffset: 80
; Occupancy: 6
; WaveLimiterHint : 1
; COMPUTE_PGM_RSRC2:SCRATCH_EN: 0
; COMPUTE_PGM_RSRC2:USER_SGPR: 2
; COMPUTE_PGM_RSRC2:TRAP_HANDLER: 0
; COMPUTE_PGM_RSRC2:TGID_X_EN: 1
; COMPUTE_PGM_RSRC2:TGID_Y_EN: 1
; COMPUTE_PGM_RSRC2:TGID_Z_EN: 1
; COMPUTE_PGM_RSRC2:TIDIG_COMP_CNT: 0
; COMPUTE_PGM_RSRC3_GFX90A:ACCUM_OFFSET: 19
; COMPUTE_PGM_RSRC3_GFX90A:TG_SPLIT: 0
	.section	.text._Z39paged_attention_ll4mi_QKV_mfma16_kernelI14__hip_bfloat16hLN4vllm18Fp8KVCacheDataTypeE1EhLi32ELi128ELi256ELb1ELi12EEvPKT_PKT0_S8_ifPKiSA_SA_iPKfiiiPfSD_PS3_PT2_iSC_SC_,"axG",@progbits,_Z39paged_attention_ll4mi_QKV_mfma16_kernelI14__hip_bfloat16hLN4vllm18Fp8KVCacheDataTypeE1EhLi32ELi128ELi256ELb1ELi12EEvPKT_PKT0_S8_ifPKiSA_SA_iPKfiiiPfSD_PS3_PT2_iSC_SC_,comdat
	.protected	_Z39paged_attention_ll4mi_QKV_mfma16_kernelI14__hip_bfloat16hLN4vllm18Fp8KVCacheDataTypeE1EhLi32ELi128ELi256ELb1ELi12EEvPKT_PKT0_S8_ifPKiSA_SA_iPKfiiiPfSD_PS3_PT2_iSC_SC_ ; -- Begin function _Z39paged_attention_ll4mi_QKV_mfma16_kernelI14__hip_bfloat16hLN4vllm18Fp8KVCacheDataTypeE1EhLi32ELi128ELi256ELb1ELi12EEvPKT_PKT0_S8_ifPKiSA_SA_iPKfiiiPfSD_PS3_PT2_iSC_SC_
	.globl	_Z39paged_attention_ll4mi_QKV_mfma16_kernelI14__hip_bfloat16hLN4vllm18Fp8KVCacheDataTypeE1EhLi32ELi128ELi256ELb1ELi12EEvPKT_PKT0_S8_ifPKiSA_SA_iPKfiiiPfSD_PS3_PT2_iSC_SC_
	.p2align	8
	.type	_Z39paged_attention_ll4mi_QKV_mfma16_kernelI14__hip_bfloat16hLN4vllm18Fp8KVCacheDataTypeE1EhLi32ELi128ELi256ELb1ELi12EEvPKT_PKT0_S8_ifPKiSA_SA_iPKfiiiPfSD_PS3_PT2_iSC_SC_,@function
_Z39paged_attention_ll4mi_QKV_mfma16_kernelI14__hip_bfloat16hLN4vllm18Fp8KVCacheDataTypeE1EhLi32ELi128ELi256ELb1ELi12EEvPKT_PKT0_S8_ifPKiSA_SA_iPKfiiiPfSD_PS3_PT2_iSC_SC_: ; @_Z39paged_attention_ll4mi_QKV_mfma16_kernelI14__hip_bfloat16hLN4vllm18Fp8KVCacheDataTypeE1EhLi32ELi128ELi256ELb1ELi12EEvPKT_PKT0_S8_ifPKiSA_SA_iPKfiiiPfSD_PS3_PT2_iSC_SC_
; %bb.0:
	s_load_dwordx2 s[10:11], s[0:1], 0x30
	s_mov_b32 s6, s3
	s_mov_b64 s[8:9], 0
	s_waitcnt lgkmcnt(0)
	s_cmp_lg_u64 s[10:11], 0
	s_cselect_b64 s[12:13], -1, 0
	s_and_b64 vcc, exec, s[12:13]
	s_cbranch_vccz .LBB1339_7
; %bb.1:
	s_add_i32 s14, s2, 1
	s_mov_b32 s15, 0
	s_lshl_b64 s[16:17], s[14:15], 2
	s_add_u32 s16, s10, s16
	s_mov_b32 s3, s15
	s_addc_u32 s17, s11, s17
	s_lshl_b64 s[14:15], s[2:3], 2
	s_add_u32 s14, s10, s14
	s_addc_u32 s15, s11, s15
	s_load_dword s5, s[16:17], 0x0
	s_load_dword s7, s[14:15], 0x0
	s_waitcnt lgkmcnt(0)
	s_sub_i32 s5, s5, s7
	s_cmp_eq_u32 s5, 1
	s_cselect_b64 s[14:15], -1, 0
	s_andn2_b64 vcc, exec, s[8:9]
	s_cbranch_vccnz .LBB1339_3
.LBB1339_2:
	s_mov_b32 s3, 0
	s_mov_b64 s[14:15], -1
.LBB1339_3:
	s_andn2_b64 vcc, exec, s[14:15]
	s_cbranch_vccnz .LBB1339_19
; %bb.4:
	s_load_dwordx2 s[8:9], s[0:1], 0x28
	s_lshl_b64 s[14:15], s[2:3], 2
	s_waitcnt lgkmcnt(0)
	s_add_u32 s8, s8, s14
	s_addc_u32 s9, s9, s15
	s_load_dword s7, s[8:9], 0x0
	s_lshl_b32 s18, s6, 8
	s_waitcnt lgkmcnt(0)
	s_cmp_ge_i32 s18, s7
	s_cbranch_scc1 .LBB1339_19
; %bb.5:
	s_load_dwordx2 s[8:9], s[0:1], 0x20
	s_load_dword s5, s[0:1], 0x38
	s_add_i32 s16, s7, 31
	s_ashr_i32 s17, s16, 31
	v_and_b32_e32 v1, 0xcf, v0
	s_lshr_b32 s17, s17, 27
	v_add_u32_e32 v1, s18, v1
	s_add_i32 s16, s16, s17
	v_ashrrev_i32_e32 v2, 31, v1
	s_ashr_i32 s19, s16, 5
	v_lshrrev_b32_e32 v4, 27, v2
	s_add_i32 s19, s19, -1
	s_waitcnt lgkmcnt(0)
	s_mul_i32 s16, s2, s5
	s_mov_b32 s17, 0
	v_add_u32_e32 v2, v1, v4
	s_lshl_b64 s[16:17], s[16:17], 2
	v_ashrrev_i32_e32 v2, 5, v2
	v_mov_b32_e32 v5, s19
	v_cmp_gt_i32_e32 vcc, s7, v1
	s_add_u32 s8, s8, s16
	s_addc_u32 s9, s9, s17
	v_cndmask_b32_e32 v2, v5, v2, vcc
	v_ashrrev_i32_e32 v3, 31, v2
	v_lshl_add_u64 v[6:7], v[2:3], 2, s[8:9]
	v_or_b32_e32 v2, 16, v1
	v_add_u32_e32 v3, v2, v4
	v_ashrrev_i32_e32 v3, 5, v3
	v_cmp_gt_i32_e32 vcc, s7, v2
	s_load_dwordx2 s[16:17], s[0:1], 0x8
	s_nop 0
	v_cndmask_b32_e32 v2, v5, v3, vcc
	v_ashrrev_i32_e32 v3, 31, v2
	v_lshl_add_u64 v[8:9], v[2:3], 2, s[8:9]
	v_or_b32_e32 v2, 32, v1
	v_add_u32_e32 v3, v2, v4
	v_ashrrev_i32_e32 v3, 5, v3
	v_cmp_gt_i32_e32 vcc, s7, v2
	v_or_b32_e32 v1, 48, v1
	s_nop 0
	v_cndmask_b32_e32 v2, v5, v3, vcc
	v_ashrrev_i32_e32 v3, 31, v2
	v_lshl_add_u64 v[12:13], v[2:3], 2, s[8:9]
	v_add_u32_e32 v2, v1, v4
	v_ashrrev_i32_e32 v2, 5, v2
	v_cmp_gt_i32_e32 vcc, s7, v1
	s_nop 1
	v_cndmask_b32_e32 v2, v5, v2, vcc
	v_ashrrev_i32_e32 v3, 31, v2
	v_lshl_add_u64 v[14:15], v[2:3], 2, s[8:9]
	global_load_dword v4, v[6:7], off
	global_load_dword v3, v[8:9], off
	;; [unrolled: 1-line block ×4, first 2 shown]
	s_andn2_b64 vcc, exec, s[12:13]
	s_cbranch_vccnz .LBB1339_8
; %bb.6:
	s_add_u32 s10, s10, s14
	s_addc_u32 s11, s11, s15
	s_load_dword s5, s[10:11], 0x0
	s_branch .LBB1339_9
.LBB1339_7:
	s_mov_b64 s[14:15], 0
	s_branch .LBB1339_2
.LBB1339_8:
	s_mov_b32 s5, s2
.LBB1339_9:
	s_load_dwordx2 s[10:11], s[0:1], 0x10
	s_load_dwordx4 s[44:47], s[0:1], 0x48
	v_and_b32_e32 v56, 15, v0
	v_lshlrev_b32_e32 v5, 3, v56
	s_movk_i32 s12, 0xc0
	v_lshrrev_b32_e32 v57, 6, v0
	v_bfe_u32 v1, v0, 4, 2
	s_mul_i32 s48, s4, 12
	v_cmp_gt_u32_e32 vcc, s12, v0
	v_lshlrev_b32_e32 v54, 1, v5
	v_lshlrev_b32_e32 v62, 4, v0
	s_and_saveexec_b64 s[12:13], vcc
	s_cbranch_execz .LBB1339_11
; %bb.10:
	s_load_dwordx2 s[14:15], s[0:1], 0x0
	s_waitcnt lgkmcnt(0)
	s_ashr_i32 s20, s44, 31
	s_mul_hi_u32 s21, s5, s44
	s_mul_i32 s20, s5, s20
	s_add_i32 s21, s21, s20
	s_mul_i32 s20, s5, s44
	v_lshl_or_b32 v5, v57, 2, v1
	s_lshl_b64 s[20:21], s[20:21], 1
	s_add_u32 s14, s14, s20
	v_add_lshl_u32 v6, v5, s48, 7
	s_addc_u32 s15, s15, s21
	v_ashrrev_i32_e32 v7, 31, v6
	v_lshl_add_u64 v[6:7], v[6:7], 1, s[14:15]
	v_mov_b32_e32 v55, 0
	v_lshl_add_u64 v[6:7], v[6:7], 0, v[54:55]
	global_load_dwordx4 v[6:9], v[6:7], off
	v_lshlrev_b32_e32 v12, 8, v0
	v_lshlrev_b32_e32 v11, 8, v56
	v_and_b32_e32 v12, 0x600, v12
	s_movk_i32 s5, 0x800
	v_and_or_b32 v11, v11, s5, v12
	v_lshlrev_b32_e32 v5, 5, v5
	v_and_b32_e32 v12, 16, v62
	v_or3_b32 v5, v11, v5, v12
	s_waitcnt vmcnt(0)
	ds_write_b128 v5, v[6:9]
.LBB1339_11:
	s_or_b64 exec, exec, s[12:13]
	s_waitcnt lgkmcnt(0)
	s_mul_i32 s12, s4, s46
	s_add_u32 s4, s16, s12
	s_addc_u32 s5, s17, 0
	v_mov_b32_e32 v59, 0
	v_mov_b64_e32 v[12:13], s[4:5]
	v_and_b32_e32 v34, 48, v0
	s_waitcnt vmcnt(3)
	v_mad_i64_i32 v[4:5], s[4:5], v4, s45, v[12:13]
	v_lshlrev_b32_e32 v14, 4, v56
	v_mov_b32_e32 v15, v59
	v_lshlrev_b32_e32 v58, 5, v34
	v_lshl_add_u64 v[4:5], v[4:5], 0, v[14:15]
	v_lshl_add_u64 v[4:5], v[4:5], 0, v[58:59]
	s_barrier
	global_load_dwordx4 v[50:53], v[4:5], off
	global_load_dwordx4 v[46:49], v[4:5], off offset:2048
	s_waitcnt vmcnt(4)
	v_mad_i64_i32 v[4:5], s[4:5], v3, s45, v[12:13]
	v_or_b32_e32 v16, 0x100, v14
	v_mov_b32_e32 v17, v59
	s_waitcnt vmcnt(3)
	v_mad_i64_i32 v[2:3], s[4:5], v2, s45, v[12:13]
	v_lshl_add_u64 v[4:5], v[4:5], 0, v[16:17]
	v_lshl_add_u64 v[2:3], v[2:3], 0, v[14:15]
	s_waitcnt vmcnt(2)
	v_mad_i64_i32 v[10:11], s[4:5], v10, s45, v[12:13]
	v_lshl_add_u64 v[4:5], v[4:5], 0, v[58:59]
	v_lshl_add_u64 v[14:15], v[2:3], 0, v[58:59]
	;; [unrolled: 1-line block ×3, first 2 shown]
	global_load_dwordx4 v[36:39], v[4:5], off
	global_load_dwordx4 v[6:9], v[4:5], off offset:2048
	s_nop 0
	global_load_dwordx4 v[2:5], v[14:15], off
	global_load_dwordx4 v[42:45], v[14:15], off offset:2048
	v_lshl_add_u64 v[14:15], v[10:11], 0, v[58:59]
	global_load_dwordx4 v[26:29], v[14:15], off
	global_load_dwordx4 v[10:13], v[14:15], off offset:2048
	v_add_u32_e32 v14, -12, v56
	v_cmp_gt_u32_e32 vcc, 12, v56
	v_and_b32_e32 v55, 63, v0
	v_mov_b32_e32 v63, 0
	v_cndmask_b32_e32 v14, v14, v56, vcc
	v_lshlrev_b32_e32 v14, 5, v14
	v_lshl_add_u32 v14, v1, 9, v14
	ds_read_b128 v[30:33], v14
	ds_read_b128 v[22:25], v14 offset:16
	ds_read_b128 v[18:21], v14 offset:2048
	;; [unrolled: 1-line block ×3, first 2 shown]
	s_and_saveexec_b64 s[4:5], vcc
	s_cbranch_execz .LBB1339_13
; %bb.12:
	s_load_dwordx2 s[14:15], s[0:1], 0x40
	v_add_u32_e32 v40, s48, v56
	v_ashrrev_i32_e32 v41, 31, v40
	s_waitcnt lgkmcnt(0)
	v_lshl_add_u64 v[40:41], v[40:41], 2, s[14:15]
	global_load_dword v63, v[40:41], off
.LBB1339_13:
	s_or_b64 exec, exec, s[4:5]
	s_ashr_i32 s4, s18, 31
	v_or_b32_e32 v58, s18, v34
	s_lshr_b32 s4, s4, 27
	v_add_u32_e32 v34, s4, v58
	v_or_b32_e32 v40, 64, v58
	v_ashrrev_i32_e32 v34, 5, v34
	v_mov_b32_e32 v64, s19
	v_cmp_gt_i32_e32 vcc, s7, v58
	v_add_u32_e32 v41, s4, v40
	v_or_b32_e32 v60, 0x80, v58
	v_cndmask_b32_e32 v34, v64, v34, vcc
	v_ashrrev_i32_e32 v41, 5, v41
	v_cmp_gt_i32_e32 vcc, s7, v40
	v_add_u32_e32 v61, s4, v60
	v_or_b32_e32 v58, 0xc0, v58
	v_cndmask_b32_e32 v40, v64, v41, vcc
	v_ashrrev_i32_e32 v61, 5, v61
	v_cmp_gt_i32_e32 vcc, s7, v60
	v_add_u32_e32 v65, s4, v58
	v_ashrrev_i32_e32 v65, 5, v65
	v_cndmask_b32_e32 v60, v64, v61, vcc
	v_cmp_gt_i32_e32 vcc, s7, v58
	s_waitcnt vmcnt(7)
	v_cvt_pk_f32_fp8_sdwa v[66:67], v50 src0_sel:WORD_1
	s_mov_b32 s33, 0x7060302
	v_cndmask_b32_e32 v68, v64, v65, vcc
	v_cvt_pk_f32_fp8_e32 v[64:65], v50
	v_cvt_pk_f32_fp8_e32 v[70:71], v51
	v_cvt_pk_f32_fp8_sdwa v[50:51], v51 src0_sel:WORD_1
	v_cvt_pk_f32_fp8_e32 v[72:73], v52
	v_perm_b32 v64, v65, v64, s33
	v_perm_b32 v65, v67, v66, s33
	;; [unrolled: 1-line block ×3, first 2 shown]
	v_cvt_pk_f32_fp8_sdwa v[74:75], v52 src0_sel:WORD_1
	v_perm_b32 v71, v51, v50, s33
	s_waitcnt lgkmcnt(3)
	v_mfma_f32_16x16x16_bf16 v[64:67], v[64:65], v[30:31], 0
	v_perm_b32 v72, v73, v72, s33
	v_perm_b32 v73, v75, v74, s33
	v_cvt_pk_f32_fp8_e32 v[74:75], v53
	v_cvt_pk_f32_fp8_sdwa v[76:77], v53 src0_sel:WORD_1
	v_mfma_f32_16x16x16_bf16 v[50:53], v[70:71], v[32:33], v[64:67]
	v_ashrrev_i32_e32 v35, 31, v34
	v_lshl_add_u64 v[34:35], v[34:35], 2, s[8:9]
	v_ashrrev_i32_e32 v41, 31, v40
	v_perm_b32 v64, v75, v74, s33
	v_perm_b32 v65, v77, v76, s33
	s_waitcnt lgkmcnt(2)
	v_mfma_f32_16x16x16_bf16 v[50:53], v[72:73], v[22:23], v[50:53]
	s_waitcnt vmcnt(6)
	v_cvt_pk_f32_fp8_e32 v[66:67], v46
	v_ashrrev_i32_e32 v61, 31, v60
	v_ashrrev_i32_e32 v69, 31, v68
	v_lshl_add_u64 v[40:41], v[40:41], 2, s[8:9]
	v_lshl_add_u64 v[60:61], v[60:61], 2, s[8:9]
	;; [unrolled: 1-line block ×3, first 2 shown]
	v_mfma_f32_16x16x16_bf16 v[50:53], v[64:65], v[24:25], v[50:53]
	v_perm_b32 v74, v67, v66, s33
	global_load_dword v68, v[34:35], off
	global_load_dword v66, v[40:41], off
	global_load_dword v67, v[60:61], off
	global_load_dword v65, v[72:73], off
	v_cvt_pk_f32_fp8_sdwa v[70:71], v46 src0_sel:WORD_1
	v_cvt_pk_f32_fp8_e32 v[40:41], v48
	s_waitcnt vmcnt(9)
	v_cvt_pk_f32_fp8_e32 v[60:61], v36
	s_add_u32 s4, s10, s12
	v_perm_b32 v75, v71, v70, s33
	v_cvt_pk_f32_fp8_e32 v[70:71], v47
	v_cvt_pk_f32_fp8_sdwa v[46:47], v47 src0_sel:WORD_1
	s_waitcnt lgkmcnt(1)
	v_mfma_f32_16x16x16_bf16 v[50:53], v[74:75], v[18:19], v[50:53]
	v_perm_b32 v34, v71, v70, s33
	v_perm_b32 v35, v47, v46, s33
	v_cvt_pk_f32_fp8_sdwa v[46:47], v48 src0_sel:WORD_1
	v_perm_b32 v40, v41, v40, s33
	v_mfma_f32_16x16x16_bf16 v[50:53], v[34:35], v[20:21], v[50:53]
	v_perm_b32 v41, v47, v46, s33
	v_cvt_pk_f32_fp8_e32 v[34:35], v49
	v_cvt_pk_f32_fp8_sdwa v[46:47], v49 src0_sel:WORD_1
	v_cvt_pk_f32_fp8_sdwa v[70:71], v36 src0_sel:WORD_1
	s_addc_u32 s5, s11, 0
	v_perm_b32 v34, v35, v34, s33
	v_perm_b32 v35, v47, v46, s33
	s_waitcnt lgkmcnt(0)
	v_mfma_f32_16x16x16_bf16 v[46:49], v[40:41], v[14:15], v[50:53]
	v_perm_b32 v40, v61, v60, s33
	v_perm_b32 v41, v71, v70, s33
	s_waitcnt vmcnt(8)
	v_cvt_pk_f32_fp8_sdwa v[60:61], v6 src0_sel:WORD_1
	v_cvt_pk_f32_fp8_e32 v[50:51], v37
	v_cvt_pk_f32_fp8_sdwa v[52:53], v37 src0_sel:WORD_1
	v_mfma_f32_16x16x16_bf16 v[34:37], v[34:35], v[16:17], v[46:49]
	v_and_b32_e32 v58, 16, v0
	v_perm_b32 v50, v51, v50, s33
	v_perm_b32 v51, v53, v52, s33
	v_mfma_f32_16x16x16_bf16 v[46:49], v[40:41], v[30:31], 0
	v_cvt_pk_f32_fp8_e32 v[40:41], v38
	v_cvt_pk_f32_fp8_sdwa v[52:53], v38 src0_sel:WORD_1
	v_lshl_or_b32 v64, v57, 4, v56
	v_mfma_f32_16x16x16_bf16 v[46:49], v[50:51], v[32:33], v[46:49]
	v_cvt_pk_f32_fp8_e32 v[50:51], v39
	v_perm_b32 v40, v41, v40, s33
	v_perm_b32 v41, v53, v52, s33
	v_cvt_pk_f32_fp8_sdwa v[38:39], v39 src0_sel:WORD_1
	v_perm_b32 v50, v51, v50, s33
	v_cvt_pk_f32_fp8_e32 v[52:53], v6
	s_waitcnt vmcnt(6)
	v_cvt_pk_f32_fp8_e32 v[74:75], v43
	v_perm_b32 v51, v39, v38, s33
	v_mfma_f32_16x16x16_bf16 v[38:41], v[40:41], v[22:23], v[46:49]
	s_nop 2
	v_perm_b32 v48, v53, v52, s33
	v_perm_b32 v49, v61, v60, s33
	v_cvt_pk_f32_fp8_e32 v[52:53], v7
	v_cvt_pk_f32_fp8_sdwa v[6:7], v7 src0_sel:WORD_1
	v_mfma_f32_16x16x16_bf16 v[38:41], v[50:51], v[24:25], v[38:41]
	v_lshl_add_u64 v[46:47], s[4:5], 0, v[58:59]
	v_perm_b32 v50, v53, v52, s33
	v_perm_b32 v51, v7, v6, s33
	v_mfma_f32_16x16x16_bf16 v[38:41], v[48:49], v[18:19], v[38:41]
	v_cvt_pk_f32_fp8_e32 v[6:7], v8
	v_cvt_pk_f32_fp8_sdwa v[48:49], v8 src0_sel:WORD_1
	v_cvt_pk_f32_fp8_sdwa v[52:53], v2 src0_sel:WORD_1
	v_mfma_f32_16x16x16_bf16 v[38:41], v[50:51], v[20:21], v[38:41]
	v_cvt_pk_f32_fp8_e32 v[50:51], v9
	v_perm_b32 v6, v7, v6, s33
	v_perm_b32 v7, v49, v48, s33
	v_cvt_pk_f32_fp8_sdwa v[8:9], v9 src0_sel:WORD_1
	v_perm_b32 v48, v51, v50, s33
	v_cvt_pk_f32_fp8_e32 v[50:51], v2
	v_lshlrev_b32_e32 v58, 5, v64
	v_perm_b32 v49, v9, v8, s33
	v_mfma_f32_16x16x16_bf16 v[6:9], v[6:7], v[14:15], v[38:41]
	v_perm_b32 v50, v51, v50, s33
	v_perm_b32 v51, v53, v52, s33
	v_cvt_pk_f32_fp8_e32 v[52:53], v3
	v_cvt_pk_f32_fp8_sdwa v[2:3], v3 src0_sel:WORD_1
	v_mfma_f32_16x16x16_bf16 v[38:41], v[48:49], v[16:17], v[6:9]
	v_lshl_add_u64 v[48:49], v[46:47], 0, v[58:59]
	v_perm_b32 v52, v53, v52, s33
	v_perm_b32 v53, v3, v2, s33
	v_mfma_f32_16x16x16_bf16 v[6:9], v[50:51], v[30:31], 0
	v_cvt_pk_f32_fp8_e32 v[2:3], v4
	v_cvt_pk_f32_fp8_sdwa v[50:51], v4 src0_sel:WORD_1
	s_waitcnt vmcnt(3)
	v_mad_i64_i32 v[60:61], s[4:5], v68, s45, v[48:49]
	v_perm_b32 v2, v3, v2, s33
	v_perm_b32 v3, v51, v50, s33
	v_mfma_f32_16x16x16_bf16 v[6:9], v[52:53], v[32:33], v[6:9]
	v_cvt_pk_f32_fp8_e32 v[50:51], v5
	v_cvt_pk_f32_fp8_sdwa v[4:5], v5 src0_sel:WORD_1
	s_waitcnt vmcnt(2)
	v_mad_i64_i32 v[70:71], s[4:5], v66, s45, v[48:49]
	v_perm_b32 v50, v51, v50, s33
	v_perm_b32 v51, v5, v4, s33
	v_mfma_f32_16x16x16_bf16 v[2:5], v[2:3], v[22:23], v[6:9]
	v_or_b32_e32 v58, 0x800, v58
	s_nop 1
	v_cvt_pk_f32_fp8_e32 v[6:7], v42
	v_cvt_pk_f32_fp8_sdwa v[8:9], v42 src0_sel:WORD_1
	v_cvt_pk_f32_fp8_sdwa v[42:43], v43 src0_sel:WORD_1
	v_mfma_f32_16x16x16_bf16 v[50:53], v[50:51], v[24:25], v[2:5]
	v_perm_b32 v72, v7, v6, s33
	v_perm_b32 v73, v9, v8, s33
	global_load_dwordx4 v[6:9], v[60:61], off
	global_load_dwordx4 v[2:5], v[70:71], off
	v_perm_b32 v60, v75, v74, s33
	v_perm_b32 v61, v43, v42, s33
	v_mfma_f32_16x16x16_bf16 v[70:73], v[72:73], v[18:19], v[50:53]
	v_cvt_pk_f32_fp8_e32 v[42:43], v44
	v_perm_b32 v42, v43, v42, s33
	s_nop 0
	v_cvt_pk_f32_fp8_sdwa v[52:53], v44 src0_sel:WORD_1
	v_mfma_f32_16x16x16_bf16 v[70:73], v[60:61], v[20:21], v[70:73]
	v_cvt_pk_f32_fp8_e32 v[60:61], v45
	s_waitcnt vmcnt(3)
	v_mad_i64_i32 v[50:51], s[4:5], v67, s45, v[48:49]
	s_load_dword s4, s[0:1], 0x1c
	s_load_dwordx4 s[40:43], s[0:1], 0x80
	v_perm_b32 v43, v53, v52, s33
	v_perm_b32 v74, v61, v60, s33
	v_cvt_pk_f32_fp8_e32 v[52:53], v26
	v_cvt_pk_f32_fp8_sdwa v[60:61], v26 src0_sel:WORD_1
	s_load_dword s44, s[0:1], 0x98
	s_waitcnt lgkmcnt(0)
	s_load_dword s5, s[40:41], 0x0
	v_cvt_pk_f32_fp8_sdwa v[44:45], v45 src0_sel:WORD_1
	v_perm_b32 v52, v53, v52, s33
	v_perm_b32 v53, v61, v60, s33
	v_cvt_pk_f32_fp8_e32 v[60:61], v27
	v_cvt_pk_f32_fp8_sdwa v[26:27], v27 src0_sel:WORD_1
	v_perm_b32 v75, v45, v44, s33
	v_mfma_f32_16x16x16_bf16 v[42:45], v[42:43], v[14:15], v[70:73]
	v_perm_b32 v60, v61, v60, s33
	v_perm_b32 v61, v27, v26, s33
	v_mov_b32_e32 v26, s4
	v_mfma_f32_16x16x16_bf16 v[70:73], v[52:53], v[30:31], 0
	s_waitcnt lgkmcnt(0)
	v_mul_f32_e32 v52, s5, v26
	v_cvt_pk_f32_fp8_e32 v[26:27], v28
	v_cvt_pk_f32_fp8_sdwa v[30:31], v28 src0_sel:WORD_1
	v_mfma_f32_16x16x16_bf16 v[70:73], v[60:61], v[32:33], v[70:73]
	v_cvt_pk_f32_fp8_e32 v[32:33], v29
	v_cvt_pk_f32_fp8_sdwa v[28:29], v29 src0_sel:WORD_1
	v_perm_b32 v26, v27, v26, s33
	v_perm_b32 v27, v31, v30, s33
	v_mfma_f32_16x16x16_bf16 v[42:45], v[74:75], v[16:17], v[42:45]
	v_perm_b32 v32, v33, v32, s33
	v_perm_b32 v33, v29, v28, s33
	v_cvt_pk_f32_fp8_e32 v[60:61], v10
	v_cvt_pk_f32_fp8_sdwa v[74:75], v10 src0_sel:WORD_1
	v_mfma_f32_16x16x16_bf16 v[26:29], v[26:27], v[22:23], v[70:73]
	v_pk_mul_f32 v[30:31], v[52:53], v[36:37] op_sel_hi:[0,1]
	v_perm_b32 v36, v61, v60, s33
	v_perm_b32 v37, v75, v74, s33
	v_cvt_pk_f32_fp8_e32 v[60:61], v11
	v_cvt_pk_f32_fp8_sdwa v[70:71], v11 src0_sel:WORD_1
	v_mfma_f32_16x16x16_bf16 v[22:25], v[32:33], v[24:25], v[26:29]
	v_pk_mul_f32 v[10:11], v[52:53], v[34:35] op_sel_hi:[0,1]
	v_perm_b32 v60, v61, v60, s33
	v_perm_b32 v61, v71, v70, s33
	v_mfma_f32_16x16x16_bf16 v[32:35], v[36:37], v[18:19], v[22:25]
	v_cvt_pk_f32_fp8_e32 v[18:19], v12
	v_cvt_pk_f32_fp8_sdwa v[36:37], v12 src0_sel:WORD_1
	s_waitcnt vmcnt(2)
	v_mad_i64_i32 v[48:49], s[8:9], v65, s45, v[48:49]
	global_load_dwordx4 v[26:29], v[50:51], off
	global_load_dwordx4 v[22:25], v[48:49], off
	v_perm_b32 v48, v19, v18, s33
	v_perm_b32 v49, v37, v36, s33
	v_cvt_pk_f32_fp8_e32 v[36:37], v13
	v_cvt_pk_f32_fp8_sdwa v[12:13], v13 src0_sel:WORD_1
	v_mfma_f32_16x16x16_bf16 v[18:21], v[60:61], v[20:21], v[32:35]
	v_pk_mul_f32 v[40:41], v[52:53], v[40:41] op_sel_hi:[0,1]
	v_pk_mul_f32 v[42:43], v[52:53], v[42:43] op_sel_hi:[0,1]
	s_mov_b32 s40, 0xff7fffff
	v_perm_b32 v32, v37, v36, s33
	v_perm_b32 v33, v13, v12, s33
	v_mfma_f32_16x16x16_bf16 v[12:15], v[48:49], v[14:15], v[18:21]
	v_pk_mul_f32 v[48:49], v[52:53], v[38:39] op_sel_hi:[0,1]
	v_pk_mul_f32 v[38:39], v[52:53], v[44:45] op_sel_hi:[0,1]
	v_mfma_f32_16x16x16_bf16 v[12:15], v[32:33], v[16:17], v[12:15]
	s_nop 6
	v_pk_mul_f32 v[36:37], v[52:53], v[12:13] op_sel_hi:[0,1]
	v_and_b32_e32 v12, 0xc0, v0
	v_add_u32_e32 v12, s18, v12
	v_lshl_or_b32 v12, v1, 2, v12
	v_or_b32_e32 v13, 1, v12
	v_pk_mul_f32 v[34:35], v[52:53], v[14:15] op_sel_hi:[0,1]
	v_subrev_u32_e32 v14, s7, v13
	v_add_u32_e32 v16, 1, v14
	v_add_u32_e32 v17, 2, v14
	v_cvt_f32_i32_e32 v15, v14
	v_cvt_f32_i32_e32 v16, v16
	;; [unrolled: 1-line block ×3, first 2 shown]
	v_add_u32_e32 v18, 3, v14
	v_fma_f32 v10, v63, v15, v10
	v_fmac_f32_e32 v11, v63, v16
	v_fma_f32 v51, v63, v17, v30
	v_add_u32_e32 v15, 16, v14
	v_add_u32_e32 v16, 17, v14
	;; [unrolled: 1-line block ×3, first 2 shown]
	v_cvt_f32_i32_e32 v18, v18
	v_cvt_f32_i32_e32 v15, v15
	;; [unrolled: 1-line block ×4, first 2 shown]
	v_fmac_f32_e32 v31, v63, v18
	v_add_u32_e32 v18, 19, v14
	v_fma_f32 v48, v63, v15, v48
	v_fmac_f32_e32 v49, v63, v16
	v_fma_f32 v40, v63, v17, v40
	v_add_u32_e32 v15, 32, v14
	v_add_u32_e32 v16, 33, v14
	;; [unrolled: 1-line block ×3, first 2 shown]
	v_cvt_f32_i32_e32 v18, v18
	v_cvt_f32_i32_e32 v15, v15
	;; [unrolled: 1-line block ×4, first 2 shown]
	v_fmac_f32_e32 v41, v63, v18
	v_add_u32_e32 v18, 35, v14
	v_fma_f32 v42, v63, v15, v42
	v_fmac_f32_e32 v43, v63, v16
	v_fma_f32 v38, v63, v17, v38
	v_add_u32_e32 v15, 48, v14
	v_add_u32_e32 v16, 49, v14
	;; [unrolled: 1-line block ×4, first 2 shown]
	v_cvt_f32_i32_e32 v14, v14
	v_cvt_f32_i32_e32 v15, v15
	;; [unrolled: 1-line block ×3, first 2 shown]
	v_cmp_gt_i32_e64 s[8:9], s7, v12
	v_fmac_f32_e32 v35, v63, v14
	v_mov_b32_e32 v14, 0xff7fffff
	v_cmp_gt_i32_e64 s[10:11], s7, v13
	v_fma_f32 v36, v63, v15, v36
	v_cndmask_b32_e64 v15, v14, v10, s[8:9]
	v_cndmask_b32_e64 v13, v14, v11, s[10:11]
	v_fmac_f32_e32 v37, v63, v16
	v_max3_f32 v13, v15, s40, v13
	v_or_b32_e32 v15, 2, v12
	v_or_b32_e32 v16, 3, v12
	v_cmp_gt_i32_e64 s[12:13], s7, v15
	v_cmp_gt_i32_e64 s[14:15], s7, v16
	v_cvt_f32_i32_e32 v18, v18
	v_cndmask_b32_e64 v15, v14, v51, s[12:13]
	v_cndmask_b32_e64 v16, v14, v31, s[14:15]
	v_max3_f32 v13, v13, v15, v16
	v_or_b32_e32 v15, 16, v12
	v_or_b32_e32 v16, 17, v12
	v_cmp_gt_i32_e64 s[16:17], s7, v15
	v_cmp_gt_i32_e64 s[18:19], s7, v16
	v_fmac_f32_e32 v39, v63, v18
	v_cndmask_b32_e64 v15, v14, v48, s[16:17]
	v_cndmask_b32_e64 v16, v14, v49, s[18:19]
	v_max3_f32 v13, v13, v15, v16
	v_or_b32_e32 v15, 18, v12
	v_or_b32_e32 v16, 19, v12
	v_cmp_gt_i32_e64 s[20:21], s7, v15
	v_cmp_gt_i32_e64 s[22:23], s7, v16
	v_cvt_f32_i32_e32 v17, v17
	v_cndmask_b32_e64 v15, v14, v40, s[20:21]
	v_cndmask_b32_e64 v16, v14, v41, s[22:23]
	v_max3_f32 v13, v13, v15, v16
	v_or_b32_e32 v15, 32, v12
	v_or_b32_e32 v16, 33, v12
	v_cmp_gt_i32_e64 s[24:25], s7, v15
	v_cmp_gt_i32_e64 s[26:27], s7, v16
	v_fma_f32 v34, v63, v17, v34
	v_cndmask_b32_e64 v15, v14, v42, s[24:25]
	v_cndmask_b32_e64 v16, v14, v43, s[26:27]
	v_max3_f32 v13, v13, v15, v16
	v_or_b32_e32 v15, 34, v12
	v_or_b32_e32 v16, 35, v12
	v_cmp_gt_i32_e64 s[28:29], s7, v15
	v_cmp_gt_i32_e64 s[30:31], s7, v16
	s_nop 0
	v_cndmask_b32_e64 v15, v14, v38, s[28:29]
	v_cndmask_b32_e64 v16, v14, v39, s[30:31]
	v_max3_f32 v13, v13, v15, v16
	v_or_b32_e32 v15, 48, v12
	v_or_b32_e32 v16, 49, v12
	v_cmp_gt_i32_e64 s[34:35], s7, v15
	v_cmp_gt_i32_e64 s[36:37], s7, v16
	s_nop 0
	v_cndmask_b32_e64 v15, v14, v36, s[34:35]
	v_cndmask_b32_e64 v16, v14, v37, s[36:37]
	v_max3_f32 v13, v13, v15, v16
	v_or_b32_e32 v15, 50, v12
	v_or_b32_e32 v12, 51, v12
	v_cmp_gt_i32_e32 vcc, s7, v15
	v_cmp_gt_i32_e64 s[4:5], s7, v12
	s_nop 0
	v_cndmask_b32_e32 v15, v14, v34, vcc
	v_cndmask_b32_e64 v12, v14, v35, s[4:5]
	v_max3_f32 v16, v13, v15, v12
	v_mbcnt_lo_u32_b32 v12, -1, 0
	v_mbcnt_hi_u32_b32 v17, -1, v12
	v_and_b32_e32 v12, 64, v17
	v_add_u32_e32 v18, 64, v12
	v_xor_b32_e32 v12, 32, v17
	v_cmp_lt_i32_e64 s[38:39], v12, v18
	s_nop 1
	v_cndmask_b32_e64 v12, v17, v12, s[38:39]
	v_lshlrev_b32_e32 v52, 2, v12
	ds_bpermute_b32 v19, v52, v16
	v_lshl_add_u64 v[12:13], v[46:47], 0, v[58:59]
	v_mad_i64_i32 v[14:15], s[38:39], v68, s45, v[12:13]
	s_waitcnt lgkmcnt(0)
	v_max_f32_e32 v19, v19, v19
	v_max_f32_e32 v19, v16, v19
	v_xor_b32_e32 v16, 16, v17
	v_cmp_lt_i32_e64 s[38:39], v16, v18
	s_nop 1
	v_cndmask_b32_e64 v16, v17, v16, s[38:39]
	v_lshlrev_b32_e32 v53, 2, v16
	ds_bpermute_b32 v18, v53, v19
	v_mad_i64_i32 v[16:17], s[38:39], v66, s45, v[12:13]
	v_mad_i64_i32 v[44:45], s[38:39], v67, s45, v[12:13]
	s_waitcnt lgkmcnt(0)
	v_max_f32_e32 v18, v18, v18
	v_max_f32_e32 v50, v19, v18
	v_sub_f32_e32 v10, v10, v50
	v_mul_f32_e32 v10, 0x3fb8aa3b, v10
	v_exp_f32_e32 v18, v10
	v_sub_f32_e32 v10, v11, v50
	v_mul_f32_e32 v10, 0x3fb8aa3b, v10
	v_exp_f32_e32 v19, v10
	v_mad_i64_i32 v[10:11], s[38:39], v65, s45, v[12:13]
	v_sub_f32_e32 v12, v51, v50
	v_mul_f32_e32 v12, 0x3fb8aa3b, v12
	v_cndmask_b32_e64 v46, 0, v18, s[8:9]
	v_cndmask_b32_e64 v47, 0, v19, s[10:11]
	v_sub_f32_e32 v58, v31, v50
	global_load_dwordx4 v[30:33], v[14:15], off
	global_load_dwordx4 v[18:21], v[16:17], off
	v_exp_f32_e32 v51, v12
	global_load_dwordx4 v[14:17], v[44:45], off
	s_nop 0
	global_load_dwordx4 v[10:13], v[10:11], off
	v_sub_f32_e32 v45, v48, v50
	v_sub_f32_e32 v48, v49, v50
	;; [unrolled: 1-line block ×4, first 2 shown]
	v_mul_f32_e32 v44, 0x3fb8aa3b, v58
	v_mul_f32_e32 v45, 0x3fb8aa3b, v45
	;; [unrolled: 1-line block ×5, first 2 shown]
	v_exp_f32_e32 v44, v44
	v_exp_f32_e32 v45, v45
	;; [unrolled: 1-line block ×3, first 2 shown]
	v_cndmask_b32_e64 v48, 0, v51, s[12:13]
	v_exp_f32_e32 v40, v40
	v_exp_f32_e32 v51, v42
	v_sub_f32_e32 v42, v43, v50
	v_mul_f32_e32 v42, 0x3fb8aa3b, v42
	v_cndmask_b32_e64 v49, 0, v44, s[14:15]
	v_cndmask_b32_e64 v44, 0, v45, s[16:17]
	v_cndmask_b32_e64 v45, 0, v58, s[18:19]
	v_sub_f32_e32 v41, v41, v50
	v_exp_f32_e32 v58, v42
	v_cndmask_b32_e64 v42, 0, v40, s[20:21]
	v_cndmask_b32_e64 v40, 0, v51, s[24:25]
	v_add_f32_e32 v51, 0, v46
	v_mul_f32_e32 v41, 0x3fb8aa3b, v41
	v_add_f32_e32 v51, v51, v47
	v_exp_f32_e32 v41, v41
	v_add_f32_e32 v51, v51, v48
	v_sub_f32_e32 v38, v38, v50
	v_add_f32_e32 v51, v51, v49
	v_sub_f32_e32 v39, v39, v50
	v_mul_f32_e32 v38, 0x3fb8aa3b, v38
	v_add_f32_e32 v51, v51, v44
	v_exp_f32_e32 v38, v38
	v_mul_f32_e32 v39, 0x3fb8aa3b, v39
	v_sub_f32_e32 v36, v36, v50
	v_add_f32_e32 v51, v51, v45
	v_cndmask_b32_e64 v43, 0, v41, s[22:23]
	v_exp_f32_e32 v39, v39
	v_mul_f32_e32 v36, 0x3fb8aa3b, v36
	v_sub_f32_e32 v37, v37, v50
	v_add_f32_e32 v51, v51, v42
	v_exp_f32_e32 v36, v36
	v_mul_f32_e32 v37, 0x3fb8aa3b, v37
	v_add_f32_e32 v51, v51, v43
	v_sub_f32_e32 v34, v34, v50
	v_cndmask_b32_e64 v41, 0, v58, s[26:27]
	v_exp_f32_e32 v37, v37
	v_add_f32_e32 v51, v51, v40
	v_mul_f32_e32 v34, 0x3fb8aa3b, v34
	v_sub_f32_e32 v35, v35, v50
	v_cndmask_b32_e64 v38, 0, v38, s[28:29]
	v_add_f32_e32 v51, v51, v41
	v_exp_f32_e32 v34, v34
	v_mul_f32_e32 v35, 0x3fb8aa3b, v35
	v_cndmask_b32_e64 v39, 0, v39, s[30:31]
	v_add_f32_e32 v51, v51, v38
	v_exp_f32_e32 v35, v35
	v_cndmask_b32_e64 v36, 0, v36, s[34:35]
	v_add_f32_e32 v51, v51, v39
	v_cndmask_b32_e64 v37, 0, v37, s[36:37]
	v_add_f32_e32 v51, v51, v36
	v_add_f32_e32 v51, v51, v37
	v_cndmask_b32_e32 v34, 0, v34, vcc
	v_add_f32_e32 v51, v51, v34
	v_cndmask_b32_e64 v35, 0, v35, s[4:5]
	v_add_f32_e32 v51, v51, v35
	ds_bpermute_b32 v52, v52, v51
	v_cmp_gt_u32_e32 vcc, 16, v55
	s_waitcnt lgkmcnt(0)
	s_barrier
	v_add_f32_e32 v51, v51, v52
	ds_bpermute_b32 v52, v53, v51
	s_and_saveexec_b64 s[4:5], vcc
	s_cbranch_execz .LBB1339_15
; %bb.14:
	s_waitcnt lgkmcnt(0)
	v_add_f32_e32 v51, v51, v52
	v_lshlrev_b32_e32 v52, 2, v64
	ds_write2st64_b32 v52, v50, v51 offset1:1
.LBB1339_15:
	s_or_b64 exec, exec, s[4:5]
	v_lshlrev_b32_e32 v51, 2, v56
	s_load_dword s7, s[0:1], 0x94
	s_waitcnt lgkmcnt(0)
	s_barrier
	ds_read2_b32 v[52:53], v51 offset1:16
	ds_read2_b32 v[58:59], v51 offset0:32 offset1:48
	ds_read2_b32 v[60:61], v51 offset0:64 offset1:80
	s_movk_i32 s9, 0x7fff
	s_mul_i32 s8, s44, 12
	s_waitcnt lgkmcnt(2)
	v_max3_f32 v50, v52, s40, v53
	s_waitcnt lgkmcnt(1)
	v_max3_f32 v50, v50, v58, v59
	v_sub_f32_e32 v52, v52, v50
	v_mul_f32_e32 v52, 0x3fb8aa3b, v52
	v_exp_f32_e32 v55, v52
	v_sub_f32_e32 v52, v53, v50
	v_mul_f32_e32 v52, 0x3fb8aa3b, v52
	v_exp_f32_e32 v63, v52
	;; [unrolled: 3-line block ×3, first 2 shown]
	ds_read2_b32 v[52:53], v51 offset0:96 offset1:112
	v_sub_f32_e32 v51, v59, v50
	v_mul_f32_e32 v51, 0x3fb8aa3b, v51
	v_exp_f32_e32 v59, v51
	s_waitcnt lgkmcnt(1)
	v_fma_f32 v51, v55, v60, 0
	v_fmac_f32_e32 v51, v63, v61
	s_waitcnt lgkmcnt(0)
	v_fmac_f32_e32 v51, v58, v52
	v_fmac_f32_e32 v51, v59, v53
	v_add_f32_e32 v52, 0x358637bd, v51
	v_div_scale_f32 v53, s[4:5], v52, v52, 1.0
	v_rcp_f32_e32 v60, v53
	s_barrier
	v_fma_f32 v61, -v53, v60, 1.0
	v_fmac_f32_e32 v60, v61, v60
	v_div_scale_f32 v61, vcc, 1.0, v52, 1.0
	v_mul_f32_e32 v64, v61, v60
	v_fma_f32 v65, -v53, v64, v61
	v_fmac_f32_e32 v64, v65, v60
	v_fma_f32 v53, -v53, v64, v61
	v_div_fmas_f32 v53, v53, v60, v64
	v_cmp_eq_u32_e32 vcc, 1, v57
	v_div_fixup_f32 v52, v53, v52, 1.0
	s_nop 0
	v_cndmask_b32_e32 v53, v55, v63, vcc
	v_cmp_eq_u32_e32 vcc, 2, v57
	s_nop 1
	v_cndmask_b32_e32 v53, v53, v58, vcc
	v_cmp_eq_u32_e32 vcc, 3, v57
	s_nop 1
	v_cndmask_b32_e32 v53, v53, v59, vcc
	v_mul_f32_e32 v52, v53, v52
	v_pk_mul_f32 v[46:47], v[52:53], v[46:47] op_sel_hi:[0,1]
	v_pk_mul_f32 v[48:49], v[52:53], v[48:49] op_sel_hi:[0,1]
	v_bfe_u32 v53, v47, 16, 1
	v_bfe_u32 v55, v46, 16, 1
	v_add3_u32 v46, v46, v55, s9
	v_add3_u32 v47, v47, v53, s9
	v_perm_b32 v58, v47, v46, s33
	v_bfe_u32 v46, v49, 16, 1
	v_bfe_u32 v47, v48, 16, 1
	v_add3_u32 v47, v48, v47, s9
	v_add3_u32 v46, v49, v46, s9
	v_perm_b32 v59, v46, v47, s33
	v_lshlrev_b32_e32 v47, 3, v1
	v_lshlrev_b32_e32 v46, 5, v56
	;; [unrolled: 1-line block ×3, first 2 shown]
	v_pk_mul_f32 v[44:45], v[52:53], v[44:45] op_sel_hi:[0,1]
	v_or3_b32 v55, v48, v46, v47
	v_bfe_u32 v47, v45, 16, 1
	v_bfe_u32 v48, v44, 16, 1
	v_pk_mul_f32 v[42:43], v[52:53], v[42:43] op_sel_hi:[0,1]
	v_add3_u32 v44, v44, v48, s9
	v_add3_u32 v45, v45, v47, s9
	v_perm_b32 v44, v45, v44, s33
	v_bfe_u32 v45, v43, 16, 1
	v_bfe_u32 v47, v42, 16, 1
	v_add3_u32 v42, v42, v47, s9
	v_add3_u32 v43, v43, v45, s9
	v_pk_mul_f32 v[40:41], v[52:53], v[40:41] op_sel_hi:[0,1]
	v_perm_b32 v45, v43, v42, s33
	v_bfe_u32 v42, v41, 16, 1
	v_bfe_u32 v43, v40, 16, 1
	v_pk_mul_f32 v[38:39], v[52:53], v[38:39] op_sel_hi:[0,1]
	v_add3_u32 v40, v40, v43, s9
	v_add3_u32 v41, v41, v42, s9
	v_perm_b32 v40, v41, v40, s33
	v_bfe_u32 v41, v39, 16, 1
	v_bfe_u32 v42, v38, 16, 1
	v_add3_u32 v38, v38, v42, s9
	v_add3_u32 v39, v39, v41, s9
	v_pk_mul_f32 v[36:37], v[52:53], v[36:37] op_sel_hi:[0,1]
	v_perm_b32 v41, v39, v38, s33
	v_bfe_u32 v38, v37, 16, 1
	v_bfe_u32 v39, v36, 16, 1
	v_pk_mul_f32 v[34:35], v[52:53], v[34:35] op_sel_hi:[0,1]
	v_add3_u32 v36, v36, v39, s9
	v_add3_u32 v37, v37, v38, s9
	v_perm_b32 v36, v37, v36, s33
	v_bfe_u32 v37, v35, 16, 1
	v_bfe_u32 v38, v34, 16, 1
	v_add3_u32 v34, v34, v38, s9
	v_add3_u32 v35, v35, v37, s9
	v_perm_b32 v37, v35, v34, s33
	v_cmp_gt_u32_e32 vcc, 12, v0
	ds_write2st64_b64 v55, v[58:59], v[44:45] offset1:1
	ds_write2st64_b64 v55, v[40:41], v[36:37] offset0:2 offset1:3
	s_and_saveexec_b64 s[4:5], vcc
	s_cbranch_execz .LBB1339_17
; %bb.16:
	s_mov_b32 s49, 0
	v_mov_b32_e32 v57, 0
	v_lshl_add_u64 v[34:35], s[48:49], 0, v[56:57]
	v_mov_b32_e32 v36, s8
	v_mad_u64_u32 v[34:35], s[10:11], s2, v36, v[34:35]
	s_mul_i32 s3, s3, s8
	v_mov_b32_e32 v36, s6
	v_mov_b32_e32 v37, v57
	s_load_dwordx4 s[12:15], s[0:1], 0x58
	v_add_u32_e32 v38, s3, v35
	v_mad_u64_u32 v[34:35], s[10:11], v34, s7, v[36:37]
	v_mov_b32_e32 v36, v35
	v_mad_u64_u32 v[36:37], s[10:11], v38, s7, v[36:37]
	v_mov_b32_e32 v35, v36
	v_lshlrev_b64 v[34:35], 2, v[34:35]
	s_waitcnt lgkmcnt(0)
	v_lshl_add_u64 v[36:37], s[14:15], 0, v[34:35]
	v_lshl_add_u64 v[34:35], s[12:13], 0, v[34:35]
	global_store_dword v[36:37], v50, off
	global_store_dword v[34:35], v51, off
.LBB1339_17:
	s_or_b64 exec, exec, s[4:5]
	s_waitcnt vmcnt(7)
	v_cvt_pk_f32_fp8_e32 v[34:35], v6
	v_cvt_pk_f32_fp8_sdwa v[36:37], v6 src0_sel:WORD_1
	v_lshl_or_b32 v50, v1, 9, v46
	s_mov_b32 s5, 0x7060302
	s_waitcnt lgkmcnt(0)
	s_barrier
	v_cvt_pk_f32_fp8_e32 v[38:39], v7
	v_perm_b32 v6, v35, v34, s5
	v_cvt_pk_f32_fp8_sdwa v[40:41], v7 src0_sel:WORD_1
	v_perm_b32 v7, v37, v36, s5
	ds_read_b128 v[34:37], v50
	v_perm_b32 v46, v39, v38, s5
	v_perm_b32 v47, v41, v40, s5
	ds_read_b128 v[38:41], v50 offset:16
	v_cvt_pk_f32_fp8_e32 v[48:49], v8
	v_cvt_pk_f32_fp8_sdwa v[52:53], v8 src0_sel:WORD_1
	s_waitcnt lgkmcnt(1)
	v_mfma_f32_16x16x16_bf16 v[42:45], v[6:7], v[34:35], 0
	s_waitcnt vmcnt(6)
	v_cvt_pk_f32_fp8_e32 v[58:59], v4
	v_perm_b32 v6, v49, v48, s5
	v_perm_b32 v7, v53, v52, s5
	v_cvt_pk_f32_fp8_e32 v[48:49], v9
	v_mfma_f32_16x16x16_bf16 v[42:45], v[46:47], v[36:37], v[42:45]
	v_cvt_pk_f32_fp8_sdwa v[46:47], v9 src0_sel:WORD_1
	v_cvt_pk_f32_fp8_sdwa v[60:61], v4 src0_sel:WORD_1
	v_perm_b32 v48, v49, v48, s5
	s_waitcnt lgkmcnt(0)
	v_mfma_f32_16x16x16_bf16 v[6:9], v[6:7], v[38:39], v[42:45]
	v_perm_b32 v49, v47, v46, s5
	s_waitcnt vmcnt(5)
	v_cvt_pk_f32_fp8_e32 v[64:65], v28
	v_cvt_pk_f32_fp8_sdwa v[66:67], v28 src0_sel:WORD_1
	v_cvt_pk_f32_fp8_e32 v[42:43], v2
	v_mfma_f32_16x16x16_bf16 v[46:49], v[48:49], v[40:41], v[6:9]
	s_waitcnt vmcnt(4)
	v_cvt_pk_f32_fp8_sdwa v[68:69], v24 src0_sel:WORD_1
	s_load_dword s4, s[42:43], 0x0
	v_cvt_pk_f32_fp8_sdwa v[6:7], v2 src0_sel:WORD_1
	v_cvt_pk_f32_fp8_e32 v[8:9], v3
	v_perm_b32 v2, v43, v42, s5
	v_cvt_pk_f32_fp8_sdwa v[42:43], v3 src0_sel:WORD_1
	v_perm_b32 v3, v7, v6, s5
	v_perm_b32 v52, v9, v8, s5
	ds_read_b128 v[6:9], v50 offset:2048
	v_perm_b32 v53, v43, v42, s5
	ds_read_b128 v[42:45], v50 offset:2064
	s_waitcnt lgkmcnt(0)
	v_mfma_f32_16x16x16_bf16 v[46:49], v[2:3], v[6:7], v[46:49]
	v_perm_b32 v2, v59, v58, s5
	v_perm_b32 v3, v61, v60, s5
	v_cvt_pk_f32_fp8_e32 v[58:59], v5
	v_mfma_f32_16x16x16_bf16 v[46:49], v[52:53], v[8:9], v[46:49]
	v_cvt_pk_f32_fp8_sdwa v[52:53], v5 src0_sel:WORD_1
	s_waitcnt vmcnt(3)
	v_cvt_pk_f32_fp8_sdwa v[70:71], v32 src0_sel:WORD_1
	v_perm_b32 v58, v59, v58, s5
	v_mfma_f32_16x16x16_bf16 v[2:5], v[2:3], v[42:43], v[46:49]
	v_perm_b32 v59, v53, v52, s5
	s_mov_b32 s3, 0
	v_cmp_gt_u32_e32 vcc, 64, v0
	v_cvt_pk_f32_fp8_e32 v[46:47], v26
	v_mfma_f32_16x16x16_bf16 v[58:61], v[58:59], v[44:45], v[2:5]
	s_nop 2
	v_cvt_pk_f32_fp8_sdwa v[2:3], v26 src0_sel:WORD_1
	v_cvt_pk_f32_fp8_e32 v[4:5], v27
	v_perm_b32 v26, v47, v46, s5
	v_cvt_pk_f32_fp8_sdwa v[46:47], v27 src0_sel:WORD_1
	v_perm_b32 v27, v3, v2, s5
	v_perm_b32 v52, v5, v4, s5
	ds_read_b128 v[2:5], v50 offset:4096
	v_perm_b32 v53, v47, v46, s5
	ds_read_b128 v[46:49], v50 offset:4112
	s_waitcnt lgkmcnt(1)
	v_mfma_f32_16x16x16_bf16 v[58:61], v[26:27], v[2:3], v[58:61]
	v_perm_b32 v26, v65, v64, s5
	v_perm_b32 v27, v67, v66, s5
	v_cvt_pk_f32_fp8_e32 v[64:65], v29
	v_mfma_f32_16x16x16_bf16 v[58:61], v[52:53], v[4:5], v[58:61]
	v_cvt_pk_f32_fp8_sdwa v[52:53], v29 src0_sel:WORD_1
	v_cvt_pk_f32_fp8_e32 v[66:67], v24
	v_perm_b32 v64, v65, v64, s5
	s_waitcnt lgkmcnt(0)
	v_mfma_f32_16x16x16_bf16 v[26:29], v[26:27], v[46:47], v[58:61]
	v_perm_b32 v65, v53, v52, s5
	v_cvt_pk_f32_fp8_e32 v[52:53], v22
	s_nop 0
	v_mfma_f32_16x16x16_bf16 v[58:61], v[64:65], v[48:49], v[26:29]
	s_nop 2
	v_cvt_pk_f32_fp8_sdwa v[26:27], v22 src0_sel:WORD_1
	v_cvt_pk_f32_fp8_e32 v[28:29], v23
	v_perm_b32 v22, v53, v52, s5
	v_cvt_pk_f32_fp8_sdwa v[52:53], v23 src0_sel:WORD_1
	v_perm_b32 v23, v27, v26, s5
	v_perm_b32 v64, v29, v28, s5
	ds_read_b128 v[26:29], v50 offset:6144
	v_perm_b32 v65, v53, v52, s5
	s_waitcnt lgkmcnt(0)
	v_mfma_f32_16x16x16_bf16 v[58:61], v[22:23], v[26:27], v[58:61]
	ds_read_b128 v[50:53], v50 offset:6160
	v_perm_b32 v22, v67, v66, s5
	v_perm_b32 v23, v69, v68, s5
	v_cvt_pk_f32_fp8_e32 v[66:67], v25
	v_mfma_f32_16x16x16_bf16 v[58:61], v[64:65], v[28:29], v[58:61]
	v_cvt_pk_f32_fp8_sdwa v[64:65], v25 src0_sel:WORD_1
	v_cvt_pk_f32_fp8_e32 v[68:69], v32
	v_perm_b32 v66, v67, v66, s5
	s_waitcnt lgkmcnt(0)
	v_mfma_f32_16x16x16_bf16 v[22:25], v[22:23], v[50:51], v[58:61]
	v_perm_b32 v67, v65, v64, s5
	s_barrier
	s_nop 0
	v_mfma_f32_16x16x16_bf16 v[58:61], v[66:67], v[52:53], v[22:25]
	s_nop 2
	v_cvt_pk_f32_fp8_e32 v[24:25], v30
	v_perm_b32 v24, v25, v24, s5
	s_nop 1
	v_pk_mul_f32 v[22:23], v[60:61], s[4:5] op_sel_hi:[1,0]
	v_cvt_pk_f32_fp8_sdwa v[60:61], v30 src0_sel:WORD_1
	v_pk_mul_f32 v[64:65], v[58:59], s[4:5] op_sel_hi:[1,0]
	v_cvt_pk_f32_fp8_e32 v[58:59], v31
	v_cvt_pk_f32_fp8_sdwa v[30:31], v31 src0_sel:WORD_1
	v_perm_b32 v25, v61, v60, s5
	v_bfe_u32 v57, v65, 16, 1
	v_perm_b32 v66, v59, v58, s5
	v_perm_b32 v67, v31, v30, s5
	v_mfma_f32_16x16x16_bf16 v[58:61], v[24:25], v[34:35], 0
	v_perm_b32 v24, v69, v68, s5
	v_perm_b32 v25, v71, v70, s5
	v_cvt_pk_f32_fp8_e32 v[34:35], v33
	v_cvt_pk_f32_fp8_sdwa v[68:69], v33 src0_sel:WORD_1
	v_mfma_f32_16x16x16_bf16 v[30:33], v[66:67], v[36:37], v[58:61]
	s_waitcnt vmcnt(2)
	v_cvt_pk_f32_fp8_sdwa v[36:37], v18 src0_sel:WORD_1
	v_perm_b32 v34, v35, v34, s5
	v_perm_b32 v35, v69, v68, s5
	v_mfma_f32_16x16x16_bf16 v[30:33], v[24:25], v[38:39], v[30:33]
	v_cvt_pk_f32_fp8_e32 v[24:25], v18
	v_cvt_pk_f32_fp8_sdwa v[38:39], v20 src0_sel:WORD_1
	v_bfe_u32 v58, v64, 16, 1
	v_mfma_f32_16x16x16_bf16 v[30:33], v[34:35], v[40:41], v[30:33]
	v_cvt_pk_f32_fp8_e32 v[34:35], v19
	v_perm_b32 v24, v25, v24, s5
	v_perm_b32 v25, v37, v36, s5
	v_cvt_pk_f32_fp8_sdwa v[18:19], v19 src0_sel:WORD_1
	v_perm_b32 v34, v35, v34, s5
	v_cvt_pk_f32_fp8_e32 v[36:37], v20
	v_mfma_f32_16x16x16_bf16 v[30:33], v[24:25], v[6:7], v[30:33]
	v_perm_b32 v35, v19, v18, s5
	v_perm_b32 v18, v37, v36, s5
	;; [unrolled: 1-line block ×3, first 2 shown]
	v_cvt_pk_f32_fp8_e32 v[24:25], v21
	v_cvt_pk_f32_fp8_sdwa v[20:21], v21 src0_sel:WORD_1
	v_mfma_f32_16x16x16_bf16 v[6:9], v[34:35], v[8:9], v[30:33]
	v_perm_b32 v24, v25, v24, s5
	v_perm_b32 v25, v21, v20, s5
	v_mfma_f32_16x16x16_bf16 v[6:9], v[18:19], v[42:43], v[6:9]
	s_waitcnt vmcnt(1)
	v_cvt_pk_f32_fp8_e32 v[18:19], v14
	v_cvt_pk_f32_fp8_sdwa v[20:21], v14 src0_sel:WORD_1
	v_cvt_pk_f32_fp8_sdwa v[30:31], v16 src0_sel:WORD_1
	v_mfma_f32_16x16x16_bf16 v[6:9], v[24:25], v[44:45], v[6:9]
	v_cvt_pk_f32_fp8_e32 v[24:25], v15
	v_perm_b32 v18, v19, v18, s5
	v_perm_b32 v19, v21, v20, s5
	v_cvt_pk_f32_fp8_sdwa v[14:15], v15 src0_sel:WORD_1
	v_perm_b32 v20, v25, v24, s5
	v_cvt_pk_f32_fp8_e32 v[24:25], v16
	v_mfma_f32_16x16x16_bf16 v[6:9], v[18:19], v[2:3], v[6:9]
	v_perm_b32 v21, v15, v14, s5
	v_perm_b32 v14, v25, v24, s5
	;; [unrolled: 1-line block ×3, first 2 shown]
	v_cvt_pk_f32_fp8_e32 v[18:19], v17
	v_cvt_pk_f32_fp8_sdwa v[16:17], v17 src0_sel:WORD_1
	v_mfma_f32_16x16x16_bf16 v[2:5], v[20:21], v[4:5], v[6:9]
	v_add3_u32 v32, v64, v58, s9
	v_add3_u32 v33, v65, v57, s9
	s_nop 0
	v_perm_b32 v8, v19, v18, s5
	v_perm_b32 v9, v17, v16, s5
	v_mfma_f32_16x16x16_bf16 v[2:5], v[14:15], v[46:47], v[2:5]
	s_waitcnt vmcnt(0)
	v_cvt_pk_f32_fp8_e32 v[14:15], v10
	v_cvt_pk_f32_fp8_sdwa v[16:17], v10 src0_sel:WORD_1
	v_cvt_pk_f32_fp8_sdwa v[18:19], v12 src0_sel:WORD_1
	v_mfma_f32_16x16x16_bf16 v[2:5], v[8:9], v[48:49], v[2:5]
	v_cvt_pk_f32_fp8_e32 v[8:9], v11
	v_perm_b32 v14, v15, v14, s5
	v_perm_b32 v15, v17, v16, s5
	v_cvt_pk_f32_fp8_sdwa v[10:11], v11 src0_sel:WORD_1
	v_perm_b32 v8, v9, v8, s5
	v_cvt_pk_f32_fp8_e32 v[16:17], v12
	v_mfma_f32_16x16x16_bf16 v[2:5], v[14:15], v[26:27], v[2:5]
	v_perm_b32 v9, v11, v10, s5
	v_perm_b32 v10, v17, v16, s5
	;; [unrolled: 1-line block ×3, first 2 shown]
	v_cvt_pk_f32_fp8_e32 v[14:15], v13
	v_cvt_pk_f32_fp8_sdwa v[12:13], v13 src0_sel:WORD_1
	v_mfma_f32_16x16x16_bf16 v[2:5], v[8:9], v[28:29], v[2:5]
	v_bfe_u32 v7, v23, 16, 1
	v_perm_b32 v8, v15, v14, s5
	v_perm_b32 v9, v13, v12, s5
	v_mfma_f32_16x16x16_bf16 v[2:5], v[10:11], v[50:51], v[2:5]
	v_bfe_u32 v16, v22, 16, 1
	v_add3_u32 v10, v22, v16, s9
	v_add3_u32 v7, v23, v7, s9
	v_mfma_f32_16x16x16_bf16 v[2:5], v[8:9], v[52:53], v[2:5]
	v_perm_b32 v6, v33, v32, s5
	v_perm_b32 v7, v7, v10, s5
	s_nop 4
	v_pk_mul_f32 v[2:3], v[2:3], s[4:5] op_sel_hi:[1,0]
	v_pk_mul_f32 v[4:5], v[4:5], s[4:5] op_sel_hi:[1,0]
	v_bfe_u32 v8, v3, 16, 1
	v_bfe_u32 v9, v2, 16, 1
	v_add3_u32 v2, v2, v9, s9
	v_add3_u32 v3, v3, v8, s9
	v_perm_b32 v2, v3, v2, s5
	v_bfe_u32 v3, v5, 16, 1
	v_bfe_u32 v8, v4, 16, 1
	v_add3_u32 v4, v4, v8, s9
	v_add3_u32 v3, v5, v3, s9
	v_perm_b32 v3, v3, v4, s5
	ds_write2st64_b64 v55, v[6:7], v[2:3] offset1:1
	s_waitcnt lgkmcnt(0)
	s_barrier
	s_and_saveexec_b64 s[4:5], vcc
	s_cbranch_execz .LBB1339_19
; %bb.18:
	s_load_dwordx2 s[0:1], s[0:1], 0x68
	s_lshl_b32 s7, s7, 7
	s_mul_i32 s2, s8, s2
	s_mul_hi_u32 s5, s2, s7
	s_mul_i32 s4, s2, s7
	s_lshl_b64 s[4:5], s[4:5], 1
	v_lshlrev_b32_e32 v4, 6, v56
	s_waitcnt lgkmcnt(0)
	s_add_u32 s4, s0, s4
	v_lshl_or_b32 v0, v0, 10, v4
	s_addc_u32 s5, s1, s5
	s_lshl_b32 s2, s6, 7
	v_lshlrev_b32_e32 v2, 5, v1
	v_and_b32_e32 v3, 16, v62
	v_and_b32_e32 v0, 0x1a00, v0
	s_lshl_b64 s[0:1], s[2:3], 1
	v_or3_b32 v0, v0, v2, v3
	s_add_u32 s0, s4, s0
	ds_read_b128 v[2:5], v0
	ds_read_b128 v[6:9], v0 offset:128
	ds_read_b128 v[10:13], v0 offset:256
	s_addc_u32 s1, s5, s1
	v_or_b32_e32 v16, s48, v1
	v_mov_b32_e32 v55, 0
	v_lshl_add_u64 v[0:1], s[0:1], 0, v[54:55]
	v_mad_u64_u32 v[14:15], s[0:1], v16, s7, 0
	v_lshl_add_u64 v[14:15], v[14:15], 1, v[0:1]
	s_waitcnt lgkmcnt(2)
	global_store_dwordx4 v[14:15], v[2:5], off
	s_nop 1
	v_add_u32_e32 v2, 4, v16
	v_mad_u64_u32 v[2:3], s[0:1], v2, s7, 0
	v_lshl_add_u64 v[2:3], v[2:3], 1, v[0:1]
	s_waitcnt lgkmcnt(1)
	global_store_dwordx4 v[2:3], v[6:9], off
	v_add_u32_e32 v2, 8, v16
	v_mad_u64_u32 v[2:3], s[0:1], v2, s7, 0
	v_lshl_add_u64 v[0:1], v[2:3], 1, v[0:1]
	s_waitcnt lgkmcnt(0)
	global_store_dwordx4 v[0:1], v[10:13], off
.LBB1339_19:
	s_endpgm
	.section	.rodata,"a",@progbits
	.p2align	6, 0x0
	.amdhsa_kernel _Z39paged_attention_ll4mi_QKV_mfma16_kernelI14__hip_bfloat16hLN4vllm18Fp8KVCacheDataTypeE1EhLi32ELi128ELi256ELb1ELi12EEvPKT_PKT0_S8_ifPKiSA_SA_iPKfiiiPfSD_PS3_PT2_iSC_SC_
		.amdhsa_group_segment_fixed_size 8192
		.amdhsa_private_segment_fixed_size 0
		.amdhsa_kernarg_size 400
		.amdhsa_user_sgpr_count 2
		.amdhsa_user_sgpr_dispatch_ptr 0
		.amdhsa_user_sgpr_queue_ptr 0
		.amdhsa_user_sgpr_kernarg_segment_ptr 1
		.amdhsa_user_sgpr_dispatch_id 0
		.amdhsa_user_sgpr_kernarg_preload_length 0
		.amdhsa_user_sgpr_kernarg_preload_offset 0
		.amdhsa_user_sgpr_private_segment_size 0
		.amdhsa_uses_dynamic_stack 0
		.amdhsa_enable_private_segment 0
		.amdhsa_system_sgpr_workgroup_id_x 1
		.amdhsa_system_sgpr_workgroup_id_y 1
		.amdhsa_system_sgpr_workgroup_id_z 1
		.amdhsa_system_sgpr_workgroup_info 0
		.amdhsa_system_vgpr_workitem_id 0
		.amdhsa_next_free_vgpr 78
		.amdhsa_next_free_sgpr 50
		.amdhsa_accum_offset 80
		.amdhsa_reserve_vcc 1
		.amdhsa_float_round_mode_32 0
		.amdhsa_float_round_mode_16_64 0
		.amdhsa_float_denorm_mode_32 3
		.amdhsa_float_denorm_mode_16_64 3
		.amdhsa_dx10_clamp 1
		.amdhsa_ieee_mode 1
		.amdhsa_fp16_overflow 0
		.amdhsa_tg_split 0
		.amdhsa_exception_fp_ieee_invalid_op 0
		.amdhsa_exception_fp_denorm_src 0
		.amdhsa_exception_fp_ieee_div_zero 0
		.amdhsa_exception_fp_ieee_overflow 0
		.amdhsa_exception_fp_ieee_underflow 0
		.amdhsa_exception_fp_ieee_inexact 0
		.amdhsa_exception_int_div_zero 0
	.end_amdhsa_kernel
	.section	.text._Z39paged_attention_ll4mi_QKV_mfma16_kernelI14__hip_bfloat16hLN4vllm18Fp8KVCacheDataTypeE1EhLi32ELi128ELi256ELb1ELi12EEvPKT_PKT0_S8_ifPKiSA_SA_iPKfiiiPfSD_PS3_PT2_iSC_SC_,"axG",@progbits,_Z39paged_attention_ll4mi_QKV_mfma16_kernelI14__hip_bfloat16hLN4vllm18Fp8KVCacheDataTypeE1EhLi32ELi128ELi256ELb1ELi12EEvPKT_PKT0_S8_ifPKiSA_SA_iPKfiiiPfSD_PS3_PT2_iSC_SC_,comdat
.Lfunc_end1339:
	.size	_Z39paged_attention_ll4mi_QKV_mfma16_kernelI14__hip_bfloat16hLN4vllm18Fp8KVCacheDataTypeE1EhLi32ELi128ELi256ELb1ELi12EEvPKT_PKT0_S8_ifPKiSA_SA_iPKfiiiPfSD_PS3_PT2_iSC_SC_, .Lfunc_end1339-_Z39paged_attention_ll4mi_QKV_mfma16_kernelI14__hip_bfloat16hLN4vllm18Fp8KVCacheDataTypeE1EhLi32ELi128ELi256ELb1ELi12EEvPKT_PKT0_S8_ifPKiSA_SA_iPKfiiiPfSD_PS3_PT2_iSC_SC_
                                        ; -- End function
	.section	.AMDGPU.csdata,"",@progbits
; Kernel info:
; codeLenInByte = 6680
; NumSgprs: 56
; NumVgprs: 78
; NumAgprs: 0
; TotalNumVgprs: 78
; ScratchSize: 0
; MemoryBound: 0
; FloatMode: 240
; IeeeMode: 1
; LDSByteSize: 8192 bytes/workgroup (compile time only)
; SGPRBlocks: 6
; VGPRBlocks: 9
; NumSGPRsForWavesPerEU: 56
; NumVGPRsForWavesPerEU: 78
; AccumOffset: 80
; Occupancy: 6
; WaveLimiterHint : 1
; COMPUTE_PGM_RSRC2:SCRATCH_EN: 0
; COMPUTE_PGM_RSRC2:USER_SGPR: 2
; COMPUTE_PGM_RSRC2:TRAP_HANDLER: 0
; COMPUTE_PGM_RSRC2:TGID_X_EN: 1
; COMPUTE_PGM_RSRC2:TGID_Y_EN: 1
; COMPUTE_PGM_RSRC2:TGID_Z_EN: 1
; COMPUTE_PGM_RSRC2:TIDIG_COMP_CNT: 0
; COMPUTE_PGM_RSRC3_GFX90A:ACCUM_OFFSET: 19
; COMPUTE_PGM_RSRC3_GFX90A:TG_SPLIT: 0
	.section	.text._Z39paged_attention_ll4mi_QKV_mfma16_kernelI14__hip_bfloat16hLN4vllm18Fp8KVCacheDataTypeE1EhLi32ELi128ELi256ELb1ELi13EEvPKT_PKT0_S8_ifPKiSA_SA_iPKfiiiPfSD_PS3_PT2_iSC_SC_,"axG",@progbits,_Z39paged_attention_ll4mi_QKV_mfma16_kernelI14__hip_bfloat16hLN4vllm18Fp8KVCacheDataTypeE1EhLi32ELi128ELi256ELb1ELi13EEvPKT_PKT0_S8_ifPKiSA_SA_iPKfiiiPfSD_PS3_PT2_iSC_SC_,comdat
	.protected	_Z39paged_attention_ll4mi_QKV_mfma16_kernelI14__hip_bfloat16hLN4vllm18Fp8KVCacheDataTypeE1EhLi32ELi128ELi256ELb1ELi13EEvPKT_PKT0_S8_ifPKiSA_SA_iPKfiiiPfSD_PS3_PT2_iSC_SC_ ; -- Begin function _Z39paged_attention_ll4mi_QKV_mfma16_kernelI14__hip_bfloat16hLN4vllm18Fp8KVCacheDataTypeE1EhLi32ELi128ELi256ELb1ELi13EEvPKT_PKT0_S8_ifPKiSA_SA_iPKfiiiPfSD_PS3_PT2_iSC_SC_
	.globl	_Z39paged_attention_ll4mi_QKV_mfma16_kernelI14__hip_bfloat16hLN4vllm18Fp8KVCacheDataTypeE1EhLi32ELi128ELi256ELb1ELi13EEvPKT_PKT0_S8_ifPKiSA_SA_iPKfiiiPfSD_PS3_PT2_iSC_SC_
	.p2align	8
	.type	_Z39paged_attention_ll4mi_QKV_mfma16_kernelI14__hip_bfloat16hLN4vllm18Fp8KVCacheDataTypeE1EhLi32ELi128ELi256ELb1ELi13EEvPKT_PKT0_S8_ifPKiSA_SA_iPKfiiiPfSD_PS3_PT2_iSC_SC_,@function
_Z39paged_attention_ll4mi_QKV_mfma16_kernelI14__hip_bfloat16hLN4vllm18Fp8KVCacheDataTypeE1EhLi32ELi128ELi256ELb1ELi13EEvPKT_PKT0_S8_ifPKiSA_SA_iPKfiiiPfSD_PS3_PT2_iSC_SC_: ; @_Z39paged_attention_ll4mi_QKV_mfma16_kernelI14__hip_bfloat16hLN4vllm18Fp8KVCacheDataTypeE1EhLi32ELi128ELi256ELb1ELi13EEvPKT_PKT0_S8_ifPKiSA_SA_iPKfiiiPfSD_PS3_PT2_iSC_SC_
; %bb.0:
	s_load_dwordx2 s[10:11], s[0:1], 0x30
	s_mov_b32 s6, s3
	s_mov_b64 s[8:9], 0
	s_waitcnt lgkmcnt(0)
	s_cmp_lg_u64 s[10:11], 0
	s_cselect_b64 s[12:13], -1, 0
	s_and_b64 vcc, exec, s[12:13]
	s_cbranch_vccz .LBB1340_7
; %bb.1:
	s_add_i32 s14, s2, 1
	s_mov_b32 s15, 0
	s_lshl_b64 s[16:17], s[14:15], 2
	s_add_u32 s16, s10, s16
	s_mov_b32 s3, s15
	s_addc_u32 s17, s11, s17
	s_lshl_b64 s[14:15], s[2:3], 2
	s_add_u32 s14, s10, s14
	s_addc_u32 s15, s11, s15
	s_load_dword s5, s[16:17], 0x0
	s_load_dword s7, s[14:15], 0x0
	s_waitcnt lgkmcnt(0)
	s_sub_i32 s5, s5, s7
	s_cmp_eq_u32 s5, 1
	s_cselect_b64 s[14:15], -1, 0
	s_andn2_b64 vcc, exec, s[8:9]
	s_cbranch_vccnz .LBB1340_3
.LBB1340_2:
	s_mov_b32 s3, 0
	s_mov_b64 s[14:15], -1
.LBB1340_3:
	s_andn2_b64 vcc, exec, s[14:15]
	s_cbranch_vccnz .LBB1340_20
; %bb.4:
	s_load_dwordx2 s[8:9], s[0:1], 0x28
	s_lshl_b64 s[14:15], s[2:3], 2
	s_waitcnt lgkmcnt(0)
	s_add_u32 s8, s8, s14
	s_addc_u32 s9, s9, s15
	s_load_dword s7, s[8:9], 0x0
	s_lshl_b32 s18, s6, 8
	s_waitcnt lgkmcnt(0)
	s_cmp_ge_i32 s18, s7
	s_cbranch_scc1 .LBB1340_20
; %bb.5:
	s_load_dwordx2 s[8:9], s[0:1], 0x20
	s_load_dword s5, s[0:1], 0x38
	s_add_i32 s16, s7, 31
	s_ashr_i32 s17, s16, 31
	v_and_b32_e32 v1, 0xcf, v0
	s_lshr_b32 s17, s17, 27
	v_add_u32_e32 v1, s18, v1
	s_add_i32 s16, s16, s17
	v_ashrrev_i32_e32 v2, 31, v1
	s_ashr_i32 s19, s16, 5
	v_lshrrev_b32_e32 v4, 27, v2
	s_add_i32 s19, s19, -1
	s_waitcnt lgkmcnt(0)
	s_mul_i32 s16, s2, s5
	s_mov_b32 s17, 0
	v_add_u32_e32 v2, v1, v4
	s_lshl_b64 s[16:17], s[16:17], 2
	v_ashrrev_i32_e32 v2, 5, v2
	v_mov_b32_e32 v5, s19
	v_cmp_gt_i32_e32 vcc, s7, v1
	s_add_u32 s8, s8, s16
	s_addc_u32 s9, s9, s17
	v_cndmask_b32_e32 v2, v5, v2, vcc
	v_ashrrev_i32_e32 v3, 31, v2
	v_lshl_add_u64 v[6:7], v[2:3], 2, s[8:9]
	v_or_b32_e32 v2, 16, v1
	v_add_u32_e32 v3, v2, v4
	v_ashrrev_i32_e32 v3, 5, v3
	v_cmp_gt_i32_e32 vcc, s7, v2
	s_load_dwordx2 s[16:17], s[0:1], 0x8
	s_nop 0
	v_cndmask_b32_e32 v2, v5, v3, vcc
	v_ashrrev_i32_e32 v3, 31, v2
	v_lshl_add_u64 v[8:9], v[2:3], 2, s[8:9]
	v_or_b32_e32 v2, 32, v1
	v_add_u32_e32 v3, v2, v4
	v_ashrrev_i32_e32 v3, 5, v3
	v_cmp_gt_i32_e32 vcc, s7, v2
	v_or_b32_e32 v1, 48, v1
	s_nop 0
	v_cndmask_b32_e32 v2, v5, v3, vcc
	v_ashrrev_i32_e32 v3, 31, v2
	v_lshl_add_u64 v[12:13], v[2:3], 2, s[8:9]
	v_add_u32_e32 v2, v1, v4
	v_ashrrev_i32_e32 v2, 5, v2
	v_cmp_gt_i32_e32 vcc, s7, v1
	s_nop 1
	v_cndmask_b32_e32 v2, v5, v2, vcc
	v_ashrrev_i32_e32 v3, 31, v2
	v_lshl_add_u64 v[14:15], v[2:3], 2, s[8:9]
	global_load_dword v4, v[6:7], off
	global_load_dword v3, v[8:9], off
	;; [unrolled: 1-line block ×4, first 2 shown]
	s_andn2_b64 vcc, exec, s[12:13]
	s_cbranch_vccnz .LBB1340_8
; %bb.6:
	s_add_u32 s10, s10, s14
	s_addc_u32 s11, s11, s15
	s_load_dword s5, s[10:11], 0x0
	s_branch .LBB1340_9
.LBB1340_7:
	s_mov_b64 s[14:15], 0
	s_branch .LBB1340_2
.LBB1340_8:
	s_mov_b32 s5, s2
.LBB1340_9:
	s_load_dwordx2 s[10:11], s[0:1], 0x10
	s_load_dwordx4 s[44:47], s[0:1], 0x48
	v_lshrrev_b32_e32 v57, 6, v0
	v_bfe_u32 v62, v0, 4, 2
	v_and_b32_e32 v56, 15, v0
	v_lshl_or_b32 v5, v57, 2, v62
	v_lshlrev_b32_e32 v1, 3, v56
	s_mul_i32 s48, s4, 13
	v_cmp_gt_u32_e32 vcc, 13, v5
	v_lshlrev_b32_e32 v54, 1, v1
	v_lshlrev_b32_e32 v1, 4, v0
	s_and_saveexec_b64 s[12:13], vcc
	s_cbranch_execz .LBB1340_11
; %bb.10:
	s_load_dwordx2 s[14:15], s[0:1], 0x0
	s_waitcnt lgkmcnt(0)
	s_ashr_i32 s20, s44, 31
	s_mul_hi_u32 s21, s5, s44
	s_mul_i32 s20, s5, s20
	s_add_i32 s21, s21, s20
	s_mul_i32 s20, s5, s44
	s_lshl_b64 s[20:21], s[20:21], 1
	s_add_u32 s14, s14, s20
	v_add_lshl_u32 v6, v5, s48, 7
	s_addc_u32 s15, s15, s21
	v_ashrrev_i32_e32 v7, 31, v6
	v_lshl_add_u64 v[6:7], v[6:7], 1, s[14:15]
	v_mov_b32_e32 v55, 0
	v_lshl_add_u64 v[6:7], v[6:7], 0, v[54:55]
	global_load_dwordx4 v[6:9], v[6:7], off
	v_lshlrev_b32_e32 v12, 8, v0
	v_lshlrev_b32_e32 v11, 8, v56
	v_and_b32_e32 v12, 0x600, v12
	s_movk_i32 s5, 0x800
	v_and_or_b32 v11, v11, s5, v12
	v_lshlrev_b32_e32 v5, 5, v5
	v_and_b32_e32 v12, 16, v1
	v_or3_b32 v5, v11, v5, v12
	s_waitcnt vmcnt(0)
	ds_write_b128 v5, v[6:9]
.LBB1340_11:
	s_or_b64 exec, exec, s[12:13]
	s_waitcnt lgkmcnt(0)
	s_mul_i32 s12, s4, s46
	s_add_u32 s4, s16, s12
	s_addc_u32 s5, s17, 0
	v_mov_b32_e32 v59, 0
	v_mov_b64_e32 v[12:13], s[4:5]
	v_and_b32_e32 v34, 48, v0
	s_waitcnt vmcnt(3)
	v_mad_i64_i32 v[4:5], s[4:5], v4, s45, v[12:13]
	v_lshlrev_b32_e32 v14, 4, v56
	v_mov_b32_e32 v15, v59
	v_lshlrev_b32_e32 v58, 5, v34
	v_lshl_add_u64 v[4:5], v[4:5], 0, v[14:15]
	v_lshl_add_u64 v[4:5], v[4:5], 0, v[58:59]
	s_barrier
	global_load_dwordx4 v[50:53], v[4:5], off
	global_load_dwordx4 v[46:49], v[4:5], off offset:2048
	s_waitcnt vmcnt(4)
	v_mad_i64_i32 v[4:5], s[4:5], v3, s45, v[12:13]
	v_or_b32_e32 v16, 0x100, v14
	v_mov_b32_e32 v17, v59
	s_waitcnt vmcnt(3)
	v_mad_i64_i32 v[2:3], s[4:5], v2, s45, v[12:13]
	v_lshl_add_u64 v[4:5], v[4:5], 0, v[16:17]
	v_lshl_add_u64 v[2:3], v[2:3], 0, v[14:15]
	s_waitcnt vmcnt(2)
	v_mad_i64_i32 v[10:11], s[4:5], v10, s45, v[12:13]
	v_lshl_add_u64 v[4:5], v[4:5], 0, v[58:59]
	v_lshl_add_u64 v[14:15], v[2:3], 0, v[58:59]
	;; [unrolled: 1-line block ×3, first 2 shown]
	global_load_dwordx4 v[36:39], v[4:5], off
	global_load_dwordx4 v[6:9], v[4:5], off offset:2048
	s_nop 0
	global_load_dwordx4 v[2:5], v[14:15], off
	global_load_dwordx4 v[42:45], v[14:15], off offset:2048
	v_lshl_add_u64 v[14:15], v[10:11], 0, v[58:59]
	global_load_dwordx4 v[26:29], v[14:15], off
	global_load_dwordx4 v[10:13], v[14:15], off offset:2048
	v_add_u32_e32 v14, -13, v56
	v_cmp_gt_u32_e32 vcc, 13, v56
	v_and_b32_e32 v55, 63, v0
	v_mov_b32_e32 v63, 0
	v_cndmask_b32_e32 v14, v14, v56, vcc
	v_lshlrev_b32_e32 v14, 5, v14
	v_lshl_add_u32 v14, v62, 9, v14
	ds_read_b128 v[30:33], v14
	ds_read_b128 v[22:25], v14 offset:16
	ds_read_b128 v[18:21], v14 offset:2048
	;; [unrolled: 1-line block ×3, first 2 shown]
	s_and_saveexec_b64 s[4:5], vcc
	s_cbranch_execz .LBB1340_13
; %bb.12:
	s_load_dwordx2 s[14:15], s[0:1], 0x40
	v_add_u32_e32 v40, s48, v56
	v_ashrrev_i32_e32 v41, 31, v40
	s_waitcnt lgkmcnt(0)
	v_lshl_add_u64 v[40:41], v[40:41], 2, s[14:15]
	global_load_dword v63, v[40:41], off
.LBB1340_13:
	s_or_b64 exec, exec, s[4:5]
	s_ashr_i32 s4, s18, 31
	v_or_b32_e32 v58, s18, v34
	s_lshr_b32 s4, s4, 27
	v_add_u32_e32 v34, s4, v58
	v_or_b32_e32 v40, 64, v58
	v_ashrrev_i32_e32 v34, 5, v34
	v_mov_b32_e32 v64, s19
	v_cmp_gt_i32_e32 vcc, s7, v58
	v_add_u32_e32 v41, s4, v40
	v_or_b32_e32 v60, 0x80, v58
	v_cndmask_b32_e32 v34, v64, v34, vcc
	v_ashrrev_i32_e32 v41, 5, v41
	v_cmp_gt_i32_e32 vcc, s7, v40
	v_add_u32_e32 v61, s4, v60
	v_or_b32_e32 v58, 0xc0, v58
	v_cndmask_b32_e32 v40, v64, v41, vcc
	v_ashrrev_i32_e32 v61, 5, v61
	v_cmp_gt_i32_e32 vcc, s7, v60
	v_add_u32_e32 v65, s4, v58
	v_ashrrev_i32_e32 v65, 5, v65
	v_cndmask_b32_e32 v60, v64, v61, vcc
	v_cmp_gt_i32_e32 vcc, s7, v58
	s_waitcnt vmcnt(7)
	v_cvt_pk_f32_fp8_sdwa v[66:67], v50 src0_sel:WORD_1
	s_mov_b32 s33, 0x7060302
	v_cndmask_b32_e32 v68, v64, v65, vcc
	v_cvt_pk_f32_fp8_e32 v[64:65], v50
	v_cvt_pk_f32_fp8_e32 v[70:71], v51
	v_cvt_pk_f32_fp8_sdwa v[50:51], v51 src0_sel:WORD_1
	v_cvt_pk_f32_fp8_e32 v[72:73], v52
	v_perm_b32 v64, v65, v64, s33
	v_perm_b32 v65, v67, v66, s33
	v_perm_b32 v70, v71, v70, s33
	v_cvt_pk_f32_fp8_sdwa v[74:75], v52 src0_sel:WORD_1
	v_perm_b32 v71, v51, v50, s33
	s_waitcnt lgkmcnt(3)
	v_mfma_f32_16x16x16_bf16 v[64:67], v[64:65], v[30:31], 0
	v_perm_b32 v72, v73, v72, s33
	v_perm_b32 v73, v75, v74, s33
	v_cvt_pk_f32_fp8_e32 v[74:75], v53
	v_cvt_pk_f32_fp8_sdwa v[76:77], v53 src0_sel:WORD_1
	v_mfma_f32_16x16x16_bf16 v[50:53], v[70:71], v[32:33], v[64:67]
	v_ashrrev_i32_e32 v35, 31, v34
	v_lshl_add_u64 v[34:35], v[34:35], 2, s[8:9]
	v_ashrrev_i32_e32 v41, 31, v40
	v_perm_b32 v64, v75, v74, s33
	v_perm_b32 v65, v77, v76, s33
	s_waitcnt lgkmcnt(2)
	v_mfma_f32_16x16x16_bf16 v[50:53], v[72:73], v[22:23], v[50:53]
	s_waitcnt vmcnt(6)
	v_cvt_pk_f32_fp8_e32 v[66:67], v46
	v_ashrrev_i32_e32 v61, 31, v60
	v_ashrrev_i32_e32 v69, 31, v68
	v_lshl_add_u64 v[40:41], v[40:41], 2, s[8:9]
	v_lshl_add_u64 v[60:61], v[60:61], 2, s[8:9]
	;; [unrolled: 1-line block ×3, first 2 shown]
	v_mfma_f32_16x16x16_bf16 v[50:53], v[64:65], v[24:25], v[50:53]
	v_perm_b32 v74, v67, v66, s33
	global_load_dword v68, v[34:35], off
	global_load_dword v66, v[40:41], off
	;; [unrolled: 1-line block ×4, first 2 shown]
	v_cvt_pk_f32_fp8_sdwa v[70:71], v46 src0_sel:WORD_1
	v_cvt_pk_f32_fp8_e32 v[40:41], v48
	s_waitcnt vmcnt(9)
	v_cvt_pk_f32_fp8_e32 v[60:61], v36
	s_add_u32 s4, s10, s12
	v_perm_b32 v75, v71, v70, s33
	v_cvt_pk_f32_fp8_e32 v[70:71], v47
	v_cvt_pk_f32_fp8_sdwa v[46:47], v47 src0_sel:WORD_1
	s_waitcnt lgkmcnt(1)
	v_mfma_f32_16x16x16_bf16 v[50:53], v[74:75], v[18:19], v[50:53]
	v_perm_b32 v34, v71, v70, s33
	v_perm_b32 v35, v47, v46, s33
	v_cvt_pk_f32_fp8_sdwa v[46:47], v48 src0_sel:WORD_1
	v_perm_b32 v40, v41, v40, s33
	v_mfma_f32_16x16x16_bf16 v[50:53], v[34:35], v[20:21], v[50:53]
	v_perm_b32 v41, v47, v46, s33
	v_cvt_pk_f32_fp8_e32 v[34:35], v49
	v_cvt_pk_f32_fp8_sdwa v[46:47], v49 src0_sel:WORD_1
	v_cvt_pk_f32_fp8_sdwa v[70:71], v36 src0_sel:WORD_1
	s_addc_u32 s5, s11, 0
	v_perm_b32 v34, v35, v34, s33
	v_perm_b32 v35, v47, v46, s33
	s_waitcnt lgkmcnt(0)
	v_mfma_f32_16x16x16_bf16 v[46:49], v[40:41], v[14:15], v[50:53]
	v_perm_b32 v40, v61, v60, s33
	v_perm_b32 v41, v71, v70, s33
	s_waitcnt vmcnt(8)
	v_cvt_pk_f32_fp8_sdwa v[60:61], v6 src0_sel:WORD_1
	v_cvt_pk_f32_fp8_e32 v[50:51], v37
	v_cvt_pk_f32_fp8_sdwa v[52:53], v37 src0_sel:WORD_1
	v_mfma_f32_16x16x16_bf16 v[34:37], v[34:35], v[16:17], v[46:49]
	v_and_b32_e32 v58, 16, v0
	v_perm_b32 v50, v51, v50, s33
	v_perm_b32 v51, v53, v52, s33
	v_mfma_f32_16x16x16_bf16 v[46:49], v[40:41], v[30:31], 0
	v_cvt_pk_f32_fp8_e32 v[40:41], v38
	v_cvt_pk_f32_fp8_sdwa v[52:53], v38 src0_sel:WORD_1
	v_lshl_or_b32 v64, v57, 4, v56
	v_mfma_f32_16x16x16_bf16 v[46:49], v[50:51], v[32:33], v[46:49]
	v_cvt_pk_f32_fp8_e32 v[50:51], v39
	v_perm_b32 v40, v41, v40, s33
	v_perm_b32 v41, v53, v52, s33
	v_cvt_pk_f32_fp8_sdwa v[38:39], v39 src0_sel:WORD_1
	v_perm_b32 v50, v51, v50, s33
	v_cvt_pk_f32_fp8_e32 v[52:53], v6
	s_waitcnt vmcnt(6)
	v_cvt_pk_f32_fp8_e32 v[74:75], v43
	v_perm_b32 v51, v39, v38, s33
	v_mfma_f32_16x16x16_bf16 v[38:41], v[40:41], v[22:23], v[46:49]
	s_nop 2
	v_perm_b32 v48, v53, v52, s33
	v_perm_b32 v49, v61, v60, s33
	v_cvt_pk_f32_fp8_e32 v[52:53], v7
	v_cvt_pk_f32_fp8_sdwa v[6:7], v7 src0_sel:WORD_1
	v_mfma_f32_16x16x16_bf16 v[38:41], v[50:51], v[24:25], v[38:41]
	v_lshl_add_u64 v[46:47], s[4:5], 0, v[58:59]
	v_perm_b32 v50, v53, v52, s33
	v_perm_b32 v51, v7, v6, s33
	v_mfma_f32_16x16x16_bf16 v[38:41], v[48:49], v[18:19], v[38:41]
	v_cvt_pk_f32_fp8_e32 v[6:7], v8
	v_cvt_pk_f32_fp8_sdwa v[48:49], v8 src0_sel:WORD_1
	v_cvt_pk_f32_fp8_sdwa v[52:53], v2 src0_sel:WORD_1
	v_mfma_f32_16x16x16_bf16 v[38:41], v[50:51], v[20:21], v[38:41]
	v_cvt_pk_f32_fp8_e32 v[50:51], v9
	v_perm_b32 v6, v7, v6, s33
	v_perm_b32 v7, v49, v48, s33
	v_cvt_pk_f32_fp8_sdwa v[8:9], v9 src0_sel:WORD_1
	v_perm_b32 v48, v51, v50, s33
	v_cvt_pk_f32_fp8_e32 v[50:51], v2
	v_lshlrev_b32_e32 v58, 5, v64
	v_perm_b32 v49, v9, v8, s33
	v_mfma_f32_16x16x16_bf16 v[6:9], v[6:7], v[14:15], v[38:41]
	v_perm_b32 v50, v51, v50, s33
	v_perm_b32 v51, v53, v52, s33
	v_cvt_pk_f32_fp8_e32 v[52:53], v3
	v_cvt_pk_f32_fp8_sdwa v[2:3], v3 src0_sel:WORD_1
	v_mfma_f32_16x16x16_bf16 v[38:41], v[48:49], v[16:17], v[6:9]
	v_lshl_add_u64 v[48:49], v[46:47], 0, v[58:59]
	v_perm_b32 v52, v53, v52, s33
	v_perm_b32 v53, v3, v2, s33
	v_mfma_f32_16x16x16_bf16 v[6:9], v[50:51], v[30:31], 0
	v_cvt_pk_f32_fp8_e32 v[2:3], v4
	v_cvt_pk_f32_fp8_sdwa v[50:51], v4 src0_sel:WORD_1
	s_waitcnt vmcnt(3)
	v_mad_i64_i32 v[60:61], s[4:5], v68, s45, v[48:49]
	v_perm_b32 v2, v3, v2, s33
	v_perm_b32 v3, v51, v50, s33
	v_mfma_f32_16x16x16_bf16 v[6:9], v[52:53], v[32:33], v[6:9]
	v_cvt_pk_f32_fp8_e32 v[50:51], v5
	v_cvt_pk_f32_fp8_sdwa v[4:5], v5 src0_sel:WORD_1
	s_waitcnt vmcnt(2)
	v_mad_i64_i32 v[70:71], s[4:5], v66, s45, v[48:49]
	v_perm_b32 v50, v51, v50, s33
	v_perm_b32 v51, v5, v4, s33
	v_mfma_f32_16x16x16_bf16 v[2:5], v[2:3], v[22:23], v[6:9]
	v_or_b32_e32 v58, 0x800, v58
	s_nop 1
	v_cvt_pk_f32_fp8_e32 v[6:7], v42
	v_cvt_pk_f32_fp8_sdwa v[8:9], v42 src0_sel:WORD_1
	v_cvt_pk_f32_fp8_sdwa v[42:43], v43 src0_sel:WORD_1
	v_mfma_f32_16x16x16_bf16 v[50:53], v[50:51], v[24:25], v[2:5]
	v_perm_b32 v72, v7, v6, s33
	v_perm_b32 v73, v9, v8, s33
	global_load_dwordx4 v[6:9], v[60:61], off
	global_load_dwordx4 v[2:5], v[70:71], off
	v_perm_b32 v60, v75, v74, s33
	v_perm_b32 v61, v43, v42, s33
	v_mfma_f32_16x16x16_bf16 v[70:73], v[72:73], v[18:19], v[50:53]
	v_cvt_pk_f32_fp8_e32 v[42:43], v44
	v_perm_b32 v42, v43, v42, s33
	s_nop 0
	v_cvt_pk_f32_fp8_sdwa v[52:53], v44 src0_sel:WORD_1
	v_mfma_f32_16x16x16_bf16 v[70:73], v[60:61], v[20:21], v[70:73]
	v_cvt_pk_f32_fp8_e32 v[60:61], v45
	s_waitcnt vmcnt(3)
	v_mad_i64_i32 v[50:51], s[4:5], v67, s45, v[48:49]
	s_load_dword s4, s[0:1], 0x1c
	s_load_dwordx4 s[40:43], s[0:1], 0x80
	v_perm_b32 v43, v53, v52, s33
	v_perm_b32 v74, v61, v60, s33
	v_cvt_pk_f32_fp8_e32 v[52:53], v26
	v_cvt_pk_f32_fp8_sdwa v[60:61], v26 src0_sel:WORD_1
	s_load_dword s44, s[0:1], 0x98
	s_waitcnt lgkmcnt(0)
	s_load_dword s5, s[40:41], 0x0
	v_cvt_pk_f32_fp8_sdwa v[44:45], v45 src0_sel:WORD_1
	v_perm_b32 v52, v53, v52, s33
	v_perm_b32 v53, v61, v60, s33
	v_cvt_pk_f32_fp8_e32 v[60:61], v27
	v_cvt_pk_f32_fp8_sdwa v[26:27], v27 src0_sel:WORD_1
	v_perm_b32 v75, v45, v44, s33
	v_mfma_f32_16x16x16_bf16 v[42:45], v[42:43], v[14:15], v[70:73]
	v_perm_b32 v60, v61, v60, s33
	v_perm_b32 v61, v27, v26, s33
	v_mov_b32_e32 v26, s4
	v_mfma_f32_16x16x16_bf16 v[70:73], v[52:53], v[30:31], 0
	s_waitcnt lgkmcnt(0)
	v_mul_f32_e32 v52, s5, v26
	v_cvt_pk_f32_fp8_e32 v[26:27], v28
	v_cvt_pk_f32_fp8_sdwa v[30:31], v28 src0_sel:WORD_1
	v_mfma_f32_16x16x16_bf16 v[70:73], v[60:61], v[32:33], v[70:73]
	v_cvt_pk_f32_fp8_e32 v[32:33], v29
	v_cvt_pk_f32_fp8_sdwa v[28:29], v29 src0_sel:WORD_1
	v_perm_b32 v26, v27, v26, s33
	v_perm_b32 v27, v31, v30, s33
	v_mfma_f32_16x16x16_bf16 v[42:45], v[74:75], v[16:17], v[42:45]
	v_perm_b32 v32, v33, v32, s33
	v_perm_b32 v33, v29, v28, s33
	v_cvt_pk_f32_fp8_e32 v[60:61], v10
	v_cvt_pk_f32_fp8_sdwa v[74:75], v10 src0_sel:WORD_1
	v_mfma_f32_16x16x16_bf16 v[26:29], v[26:27], v[22:23], v[70:73]
	v_pk_mul_f32 v[30:31], v[52:53], v[36:37] op_sel_hi:[0,1]
	v_perm_b32 v36, v61, v60, s33
	v_perm_b32 v37, v75, v74, s33
	v_cvt_pk_f32_fp8_e32 v[60:61], v11
	v_cvt_pk_f32_fp8_sdwa v[70:71], v11 src0_sel:WORD_1
	v_mfma_f32_16x16x16_bf16 v[22:25], v[32:33], v[24:25], v[26:29]
	v_pk_mul_f32 v[10:11], v[52:53], v[34:35] op_sel_hi:[0,1]
	v_perm_b32 v60, v61, v60, s33
	v_perm_b32 v61, v71, v70, s33
	v_mfma_f32_16x16x16_bf16 v[32:35], v[36:37], v[18:19], v[22:25]
	v_cvt_pk_f32_fp8_e32 v[18:19], v12
	v_cvt_pk_f32_fp8_sdwa v[36:37], v12 src0_sel:WORD_1
	s_waitcnt vmcnt(2)
	v_mad_i64_i32 v[48:49], s[8:9], v65, s45, v[48:49]
	global_load_dwordx4 v[26:29], v[50:51], off
	global_load_dwordx4 v[22:25], v[48:49], off
	v_perm_b32 v48, v19, v18, s33
	v_perm_b32 v49, v37, v36, s33
	v_cvt_pk_f32_fp8_e32 v[36:37], v13
	v_cvt_pk_f32_fp8_sdwa v[12:13], v13 src0_sel:WORD_1
	v_mfma_f32_16x16x16_bf16 v[18:21], v[60:61], v[20:21], v[32:35]
	v_pk_mul_f32 v[40:41], v[52:53], v[40:41] op_sel_hi:[0,1]
	v_pk_mul_f32 v[42:43], v[52:53], v[42:43] op_sel_hi:[0,1]
	s_mov_b32 s40, 0xff7fffff
	v_perm_b32 v32, v37, v36, s33
	v_perm_b32 v33, v13, v12, s33
	v_mfma_f32_16x16x16_bf16 v[12:15], v[48:49], v[14:15], v[18:21]
	v_pk_mul_f32 v[48:49], v[52:53], v[38:39] op_sel_hi:[0,1]
	v_pk_mul_f32 v[38:39], v[52:53], v[44:45] op_sel_hi:[0,1]
	v_mfma_f32_16x16x16_bf16 v[12:15], v[32:33], v[16:17], v[12:15]
	s_nop 6
	v_pk_mul_f32 v[36:37], v[52:53], v[12:13] op_sel_hi:[0,1]
	v_and_b32_e32 v12, 0xc0, v0
	v_add_u32_e32 v12, s18, v12
	v_lshl_or_b32 v12, v62, 2, v12
	v_or_b32_e32 v13, 1, v12
	v_pk_mul_f32 v[34:35], v[52:53], v[14:15] op_sel_hi:[0,1]
	v_subrev_u32_e32 v14, s7, v13
	v_add_u32_e32 v16, 1, v14
	v_add_u32_e32 v17, 2, v14
	v_cvt_f32_i32_e32 v15, v14
	v_cvt_f32_i32_e32 v16, v16
	;; [unrolled: 1-line block ×3, first 2 shown]
	v_add_u32_e32 v18, 3, v14
	v_fma_f32 v10, v63, v15, v10
	v_fmac_f32_e32 v11, v63, v16
	v_fma_f32 v51, v63, v17, v30
	v_add_u32_e32 v15, 16, v14
	v_add_u32_e32 v16, 17, v14
	;; [unrolled: 1-line block ×3, first 2 shown]
	v_cvt_f32_i32_e32 v18, v18
	v_cvt_f32_i32_e32 v15, v15
	;; [unrolled: 1-line block ×4, first 2 shown]
	v_fmac_f32_e32 v31, v63, v18
	v_add_u32_e32 v18, 19, v14
	v_fma_f32 v48, v63, v15, v48
	v_fmac_f32_e32 v49, v63, v16
	v_fma_f32 v40, v63, v17, v40
	v_add_u32_e32 v15, 32, v14
	v_add_u32_e32 v16, 33, v14
	;; [unrolled: 1-line block ×3, first 2 shown]
	v_cvt_f32_i32_e32 v18, v18
	v_cvt_f32_i32_e32 v15, v15
	v_cvt_f32_i32_e32 v16, v16
	v_cvt_f32_i32_e32 v17, v17
	v_fmac_f32_e32 v41, v63, v18
	v_add_u32_e32 v18, 35, v14
	v_fma_f32 v42, v63, v15, v42
	v_fmac_f32_e32 v43, v63, v16
	v_fma_f32 v38, v63, v17, v38
	v_add_u32_e32 v15, 48, v14
	v_add_u32_e32 v16, 49, v14
	;; [unrolled: 1-line block ×4, first 2 shown]
	v_cvt_f32_i32_e32 v14, v14
	v_cvt_f32_i32_e32 v15, v15
	v_cvt_f32_i32_e32 v16, v16
	v_cmp_gt_i32_e64 s[8:9], s7, v12
	v_fmac_f32_e32 v35, v63, v14
	v_mov_b32_e32 v14, 0xff7fffff
	v_cmp_gt_i32_e64 s[10:11], s7, v13
	v_fma_f32 v36, v63, v15, v36
	v_cndmask_b32_e64 v15, v14, v10, s[8:9]
	v_cndmask_b32_e64 v13, v14, v11, s[10:11]
	v_fmac_f32_e32 v37, v63, v16
	v_max3_f32 v13, v15, s40, v13
	v_or_b32_e32 v15, 2, v12
	v_or_b32_e32 v16, 3, v12
	v_cmp_gt_i32_e64 s[12:13], s7, v15
	v_cmp_gt_i32_e64 s[14:15], s7, v16
	v_cvt_f32_i32_e32 v18, v18
	v_cndmask_b32_e64 v15, v14, v51, s[12:13]
	v_cndmask_b32_e64 v16, v14, v31, s[14:15]
	v_max3_f32 v13, v13, v15, v16
	v_or_b32_e32 v15, 16, v12
	v_or_b32_e32 v16, 17, v12
	v_cmp_gt_i32_e64 s[16:17], s7, v15
	v_cmp_gt_i32_e64 s[18:19], s7, v16
	v_fmac_f32_e32 v39, v63, v18
	v_cndmask_b32_e64 v15, v14, v48, s[16:17]
	v_cndmask_b32_e64 v16, v14, v49, s[18:19]
	v_max3_f32 v13, v13, v15, v16
	v_or_b32_e32 v15, 18, v12
	v_or_b32_e32 v16, 19, v12
	v_cmp_gt_i32_e64 s[20:21], s7, v15
	v_cmp_gt_i32_e64 s[22:23], s7, v16
	v_cvt_f32_i32_e32 v17, v17
	v_cndmask_b32_e64 v15, v14, v40, s[20:21]
	v_cndmask_b32_e64 v16, v14, v41, s[22:23]
	v_max3_f32 v13, v13, v15, v16
	v_or_b32_e32 v15, 32, v12
	v_or_b32_e32 v16, 33, v12
	v_cmp_gt_i32_e64 s[24:25], s7, v15
	v_cmp_gt_i32_e64 s[26:27], s7, v16
	v_fma_f32 v34, v63, v17, v34
	v_cndmask_b32_e64 v15, v14, v42, s[24:25]
	v_cndmask_b32_e64 v16, v14, v43, s[26:27]
	v_max3_f32 v13, v13, v15, v16
	v_or_b32_e32 v15, 34, v12
	v_or_b32_e32 v16, 35, v12
	v_cmp_gt_i32_e64 s[28:29], s7, v15
	v_cmp_gt_i32_e64 s[30:31], s7, v16
	s_nop 0
	v_cndmask_b32_e64 v15, v14, v38, s[28:29]
	v_cndmask_b32_e64 v16, v14, v39, s[30:31]
	v_max3_f32 v13, v13, v15, v16
	v_or_b32_e32 v15, 48, v12
	v_or_b32_e32 v16, 49, v12
	v_cmp_gt_i32_e64 s[34:35], s7, v15
	v_cmp_gt_i32_e64 s[36:37], s7, v16
	s_nop 0
	v_cndmask_b32_e64 v15, v14, v36, s[34:35]
	v_cndmask_b32_e64 v16, v14, v37, s[36:37]
	v_max3_f32 v13, v13, v15, v16
	v_or_b32_e32 v15, 50, v12
	v_or_b32_e32 v12, 51, v12
	v_cmp_gt_i32_e32 vcc, s7, v15
	v_cmp_gt_i32_e64 s[4:5], s7, v12
	s_nop 0
	v_cndmask_b32_e32 v15, v14, v34, vcc
	v_cndmask_b32_e64 v12, v14, v35, s[4:5]
	v_max3_f32 v16, v13, v15, v12
	v_mbcnt_lo_u32_b32 v12, -1, 0
	v_mbcnt_hi_u32_b32 v17, -1, v12
	v_and_b32_e32 v12, 64, v17
	v_add_u32_e32 v18, 64, v12
	v_xor_b32_e32 v12, 32, v17
	v_cmp_lt_i32_e64 s[38:39], v12, v18
	s_nop 1
	v_cndmask_b32_e64 v12, v17, v12, s[38:39]
	v_lshlrev_b32_e32 v52, 2, v12
	ds_bpermute_b32 v19, v52, v16
	v_lshl_add_u64 v[12:13], v[46:47], 0, v[58:59]
	v_mad_i64_i32 v[14:15], s[38:39], v68, s45, v[12:13]
	s_waitcnt lgkmcnt(0)
	v_max_f32_e32 v19, v19, v19
	v_max_f32_e32 v19, v16, v19
	v_xor_b32_e32 v16, 16, v17
	v_cmp_lt_i32_e64 s[38:39], v16, v18
	s_nop 1
	v_cndmask_b32_e64 v16, v17, v16, s[38:39]
	v_lshlrev_b32_e32 v53, 2, v16
	ds_bpermute_b32 v18, v53, v19
	v_mad_i64_i32 v[16:17], s[38:39], v66, s45, v[12:13]
	v_mad_i64_i32 v[44:45], s[38:39], v67, s45, v[12:13]
	s_waitcnt lgkmcnt(0)
	v_max_f32_e32 v18, v18, v18
	v_max_f32_e32 v50, v19, v18
	v_sub_f32_e32 v10, v10, v50
	v_mul_f32_e32 v10, 0x3fb8aa3b, v10
	v_exp_f32_e32 v18, v10
	v_sub_f32_e32 v10, v11, v50
	v_mul_f32_e32 v10, 0x3fb8aa3b, v10
	v_exp_f32_e32 v19, v10
	v_mad_i64_i32 v[10:11], s[38:39], v65, s45, v[12:13]
	v_sub_f32_e32 v12, v51, v50
	v_mul_f32_e32 v12, 0x3fb8aa3b, v12
	v_cndmask_b32_e64 v46, 0, v18, s[8:9]
	v_cndmask_b32_e64 v47, 0, v19, s[10:11]
	v_sub_f32_e32 v58, v31, v50
	global_load_dwordx4 v[30:33], v[14:15], off
	global_load_dwordx4 v[18:21], v[16:17], off
	v_exp_f32_e32 v51, v12
	global_load_dwordx4 v[14:17], v[44:45], off
	s_nop 0
	global_load_dwordx4 v[10:13], v[10:11], off
	v_sub_f32_e32 v45, v48, v50
	v_sub_f32_e32 v48, v49, v50
	;; [unrolled: 1-line block ×4, first 2 shown]
	v_mul_f32_e32 v44, 0x3fb8aa3b, v58
	v_mul_f32_e32 v45, 0x3fb8aa3b, v45
	;; [unrolled: 1-line block ×5, first 2 shown]
	v_exp_f32_e32 v44, v44
	v_exp_f32_e32 v45, v45
	;; [unrolled: 1-line block ×3, first 2 shown]
	v_cndmask_b32_e64 v48, 0, v51, s[12:13]
	v_exp_f32_e32 v40, v40
	v_exp_f32_e32 v51, v42
	v_sub_f32_e32 v42, v43, v50
	v_mul_f32_e32 v42, 0x3fb8aa3b, v42
	v_cndmask_b32_e64 v49, 0, v44, s[14:15]
	v_cndmask_b32_e64 v44, 0, v45, s[16:17]
	;; [unrolled: 1-line block ×3, first 2 shown]
	v_sub_f32_e32 v41, v41, v50
	v_exp_f32_e32 v58, v42
	v_cndmask_b32_e64 v42, 0, v40, s[20:21]
	v_cndmask_b32_e64 v40, 0, v51, s[24:25]
	v_add_f32_e32 v51, 0, v46
	v_mul_f32_e32 v41, 0x3fb8aa3b, v41
	v_add_f32_e32 v51, v51, v47
	v_exp_f32_e32 v41, v41
	v_add_f32_e32 v51, v51, v48
	v_sub_f32_e32 v38, v38, v50
	v_add_f32_e32 v51, v51, v49
	v_sub_f32_e32 v39, v39, v50
	v_mul_f32_e32 v38, 0x3fb8aa3b, v38
	v_add_f32_e32 v51, v51, v44
	v_exp_f32_e32 v38, v38
	v_mul_f32_e32 v39, 0x3fb8aa3b, v39
	v_sub_f32_e32 v36, v36, v50
	v_add_f32_e32 v51, v51, v45
	v_cndmask_b32_e64 v43, 0, v41, s[22:23]
	v_exp_f32_e32 v39, v39
	v_mul_f32_e32 v36, 0x3fb8aa3b, v36
	v_sub_f32_e32 v37, v37, v50
	v_add_f32_e32 v51, v51, v42
	v_exp_f32_e32 v36, v36
	v_mul_f32_e32 v37, 0x3fb8aa3b, v37
	v_add_f32_e32 v51, v51, v43
	v_sub_f32_e32 v34, v34, v50
	v_cndmask_b32_e64 v41, 0, v58, s[26:27]
	v_exp_f32_e32 v37, v37
	v_add_f32_e32 v51, v51, v40
	v_mul_f32_e32 v34, 0x3fb8aa3b, v34
	v_sub_f32_e32 v35, v35, v50
	v_cndmask_b32_e64 v38, 0, v38, s[28:29]
	v_add_f32_e32 v51, v51, v41
	v_exp_f32_e32 v34, v34
	v_mul_f32_e32 v35, 0x3fb8aa3b, v35
	v_cndmask_b32_e64 v39, 0, v39, s[30:31]
	v_add_f32_e32 v51, v51, v38
	v_exp_f32_e32 v35, v35
	v_cndmask_b32_e64 v36, 0, v36, s[34:35]
	v_add_f32_e32 v51, v51, v39
	v_cndmask_b32_e64 v37, 0, v37, s[36:37]
	v_add_f32_e32 v51, v51, v36
	v_add_f32_e32 v51, v51, v37
	v_cndmask_b32_e32 v34, 0, v34, vcc
	v_add_f32_e32 v51, v51, v34
	v_cndmask_b32_e64 v35, 0, v35, s[4:5]
	v_add_f32_e32 v51, v51, v35
	ds_bpermute_b32 v52, v52, v51
	v_cmp_gt_u32_e64 s[4:5], 16, v55
	s_waitcnt lgkmcnt(0)
	s_barrier
	v_add_f32_e32 v51, v51, v52
	ds_bpermute_b32 v52, v53, v51
	s_and_saveexec_b64 s[8:9], s[4:5]
	s_cbranch_execz .LBB1340_15
; %bb.14:
	s_waitcnt lgkmcnt(0)
	v_add_f32_e32 v51, v51, v52
	v_lshlrev_b32_e32 v52, 2, v64
	ds_write2st64_b32 v52, v50, v51 offset1:1
.LBB1340_15:
	s_or_b64 exec, exec, s[8:9]
	v_lshlrev_b32_e32 v51, 2, v56
	s_load_dword s7, s[0:1], 0x94
	s_waitcnt lgkmcnt(0)
	s_barrier
	ds_read2_b32 v[52:53], v51 offset1:16
	ds_read2_b32 v[58:59], v51 offset0:32 offset1:48
	ds_read2_b32 v[60:61], v51 offset0:64 offset1:80
	s_movk_i32 s11, 0x7fff
	s_mul_i32 s10, s44, 13
	s_waitcnt lgkmcnt(2)
	v_max3_f32 v50, v52, s40, v53
	s_waitcnt lgkmcnt(1)
	v_max3_f32 v50, v50, v58, v59
	v_sub_f32_e32 v52, v52, v50
	v_mul_f32_e32 v52, 0x3fb8aa3b, v52
	v_exp_f32_e32 v55, v52
	v_sub_f32_e32 v52, v53, v50
	v_mul_f32_e32 v52, 0x3fb8aa3b, v52
	v_exp_f32_e32 v63, v52
	;; [unrolled: 3-line block ×3, first 2 shown]
	ds_read2_b32 v[52:53], v51 offset0:96 offset1:112
	v_sub_f32_e32 v51, v59, v50
	v_mul_f32_e32 v51, 0x3fb8aa3b, v51
	v_exp_f32_e32 v59, v51
	s_waitcnt lgkmcnt(1)
	v_fma_f32 v51, v55, v60, 0
	v_fmac_f32_e32 v51, v63, v61
	s_waitcnt lgkmcnt(0)
	v_fmac_f32_e32 v51, v58, v52
	v_fmac_f32_e32 v51, v59, v53
	v_add_f32_e32 v52, 0x358637bd, v51
	v_div_scale_f32 v53, s[8:9], v52, v52, 1.0
	v_rcp_f32_e32 v60, v53
	s_barrier
	v_fma_f32 v61, -v53, v60, 1.0
	v_fmac_f32_e32 v60, v61, v60
	v_div_scale_f32 v61, vcc, 1.0, v52, 1.0
	v_mul_f32_e32 v64, v61, v60
	v_fma_f32 v65, -v53, v64, v61
	v_fmac_f32_e32 v64, v65, v60
	v_fma_f32 v53, -v53, v64, v61
	v_div_fmas_f32 v53, v53, v60, v64
	v_cmp_eq_u32_e32 vcc, 1, v57
	v_div_fixup_f32 v52, v53, v52, 1.0
	s_nop 0
	v_cndmask_b32_e32 v53, v55, v63, vcc
	v_cmp_eq_u32_e32 vcc, 2, v57
	s_nop 1
	v_cndmask_b32_e32 v53, v53, v58, vcc
	v_cmp_eq_u32_e32 vcc, 3, v57
	s_nop 1
	v_cndmask_b32_e32 v53, v53, v59, vcc
	v_mul_f32_e32 v52, v53, v52
	v_pk_mul_f32 v[46:47], v[52:53], v[46:47] op_sel_hi:[0,1]
	v_pk_mul_f32 v[48:49], v[52:53], v[48:49] op_sel_hi:[0,1]
	v_bfe_u32 v53, v47, 16, 1
	v_bfe_u32 v55, v46, 16, 1
	v_add3_u32 v46, v46, v55, s11
	v_add3_u32 v47, v47, v53, s11
	v_perm_b32 v58, v47, v46, s33
	v_bfe_u32 v46, v49, 16, 1
	v_bfe_u32 v47, v48, 16, 1
	v_add3_u32 v47, v48, v47, s11
	v_add3_u32 v46, v49, v46, s11
	v_perm_b32 v59, v46, v47, s33
	v_lshlrev_b32_e32 v47, 3, v62
	v_lshlrev_b32_e32 v46, 5, v56
	;; [unrolled: 1-line block ×3, first 2 shown]
	v_pk_mul_f32 v[44:45], v[52:53], v[44:45] op_sel_hi:[0,1]
	v_or3_b32 v55, v48, v46, v47
	v_bfe_u32 v47, v45, 16, 1
	v_bfe_u32 v48, v44, 16, 1
	v_pk_mul_f32 v[42:43], v[52:53], v[42:43] op_sel_hi:[0,1]
	v_add3_u32 v44, v44, v48, s11
	v_add3_u32 v45, v45, v47, s11
	v_perm_b32 v44, v45, v44, s33
	v_bfe_u32 v45, v43, 16, 1
	v_bfe_u32 v47, v42, 16, 1
	v_add3_u32 v42, v42, v47, s11
	v_add3_u32 v43, v43, v45, s11
	v_pk_mul_f32 v[40:41], v[52:53], v[40:41] op_sel_hi:[0,1]
	v_perm_b32 v45, v43, v42, s33
	v_bfe_u32 v42, v41, 16, 1
	v_bfe_u32 v43, v40, 16, 1
	v_pk_mul_f32 v[38:39], v[52:53], v[38:39] op_sel_hi:[0,1]
	v_add3_u32 v40, v40, v43, s11
	v_add3_u32 v41, v41, v42, s11
	v_perm_b32 v40, v41, v40, s33
	v_bfe_u32 v41, v39, 16, 1
	v_bfe_u32 v42, v38, 16, 1
	v_add3_u32 v38, v38, v42, s11
	v_add3_u32 v39, v39, v41, s11
	v_pk_mul_f32 v[36:37], v[52:53], v[36:37] op_sel_hi:[0,1]
	v_perm_b32 v41, v39, v38, s33
	v_bfe_u32 v38, v37, 16, 1
	v_bfe_u32 v39, v36, 16, 1
	v_pk_mul_f32 v[34:35], v[52:53], v[34:35] op_sel_hi:[0,1]
	v_add3_u32 v36, v36, v39, s11
	v_add3_u32 v37, v37, v38, s11
	v_perm_b32 v36, v37, v36, s33
	v_bfe_u32 v37, v35, 16, 1
	v_bfe_u32 v38, v34, 16, 1
	v_add3_u32 v34, v34, v38, s11
	v_add3_u32 v35, v35, v37, s11
	v_perm_b32 v37, v35, v34, s33
	v_cmp_gt_u32_e32 vcc, 13, v0
	ds_write2st64_b64 v55, v[58:59], v[44:45] offset1:1
	ds_write2st64_b64 v55, v[40:41], v[36:37] offset0:2 offset1:3
	s_and_saveexec_b64 s[8:9], vcc
	s_cbranch_execz .LBB1340_17
; %bb.16:
	s_mov_b32 s49, 0
	v_mov_b32_e32 v57, 0
	v_lshl_add_u64 v[34:35], s[48:49], 0, v[56:57]
	v_mov_b32_e32 v36, s10
	v_mad_u64_u32 v[34:35], s[16:17], s2, v36, v[34:35]
	s_mul_i32 s3, s3, s10
	v_mov_b32_e32 v36, s6
	v_mov_b32_e32 v37, v57
	s_load_dwordx4 s[12:15], s[0:1], 0x58
	v_add_u32_e32 v38, s3, v35
	v_mad_u64_u32 v[34:35], s[16:17], v34, s7, v[36:37]
	v_mov_b32_e32 v36, v35
	v_mad_u64_u32 v[36:37], s[16:17], v38, s7, v[36:37]
	v_mov_b32_e32 v35, v36
	v_lshlrev_b64 v[34:35], 2, v[34:35]
	s_waitcnt lgkmcnt(0)
	v_lshl_add_u64 v[36:37], s[14:15], 0, v[34:35]
	v_lshl_add_u64 v[34:35], s[12:13], 0, v[34:35]
	global_store_dword v[36:37], v50, off
	global_store_dword v[34:35], v51, off
.LBB1340_17:
	s_or_b64 exec, exec, s[8:9]
	s_waitcnt vmcnt(7)
	v_cvt_pk_f32_fp8_e32 v[34:35], v6
	v_cvt_pk_f32_fp8_sdwa v[36:37], v6 src0_sel:WORD_1
	v_lshl_or_b32 v50, v62, 9, v46
	s_mov_b32 s9, 0x7060302
	s_waitcnt lgkmcnt(0)
	s_barrier
	v_cvt_pk_f32_fp8_e32 v[38:39], v7
	v_perm_b32 v6, v35, v34, s9
	v_cvt_pk_f32_fp8_sdwa v[40:41], v7 src0_sel:WORD_1
	v_perm_b32 v7, v37, v36, s9
	ds_read_b128 v[34:37], v50
	v_perm_b32 v46, v39, v38, s9
	v_perm_b32 v47, v41, v40, s9
	ds_read_b128 v[38:41], v50 offset:16
	v_cvt_pk_f32_fp8_e32 v[48:49], v8
	v_cvt_pk_f32_fp8_sdwa v[52:53], v8 src0_sel:WORD_1
	s_waitcnt lgkmcnt(1)
	v_mfma_f32_16x16x16_bf16 v[42:45], v[6:7], v[34:35], 0
	s_waitcnt vmcnt(6)
	v_cvt_pk_f32_fp8_e32 v[58:59], v4
	v_perm_b32 v6, v49, v48, s9
	v_perm_b32 v7, v53, v52, s9
	v_cvt_pk_f32_fp8_e32 v[48:49], v9
	v_mfma_f32_16x16x16_bf16 v[42:45], v[46:47], v[36:37], v[42:45]
	v_cvt_pk_f32_fp8_sdwa v[46:47], v9 src0_sel:WORD_1
	v_cvt_pk_f32_fp8_sdwa v[60:61], v4 src0_sel:WORD_1
	v_perm_b32 v48, v49, v48, s9
	s_waitcnt lgkmcnt(0)
	v_mfma_f32_16x16x16_bf16 v[6:9], v[6:7], v[38:39], v[42:45]
	v_perm_b32 v49, v47, v46, s9
	s_waitcnt vmcnt(5)
	v_cvt_pk_f32_fp8_e32 v[64:65], v28
	v_cvt_pk_f32_fp8_sdwa v[66:67], v28 src0_sel:WORD_1
	v_cvt_pk_f32_fp8_e32 v[42:43], v2
	v_mfma_f32_16x16x16_bf16 v[46:49], v[48:49], v[40:41], v[6:9]
	s_waitcnt vmcnt(4)
	v_cvt_pk_f32_fp8_sdwa v[68:69], v24 src0_sel:WORD_1
	s_load_dword s8, s[42:43], 0x0
	v_cvt_pk_f32_fp8_sdwa v[6:7], v2 src0_sel:WORD_1
	v_cvt_pk_f32_fp8_e32 v[8:9], v3
	v_perm_b32 v2, v43, v42, s9
	v_cvt_pk_f32_fp8_sdwa v[42:43], v3 src0_sel:WORD_1
	v_perm_b32 v3, v7, v6, s9
	v_perm_b32 v52, v9, v8, s9
	ds_read_b128 v[6:9], v50 offset:2048
	v_perm_b32 v53, v43, v42, s9
	ds_read_b128 v[42:45], v50 offset:2064
	s_waitcnt lgkmcnt(0)
	v_mfma_f32_16x16x16_bf16 v[46:49], v[2:3], v[6:7], v[46:49]
	v_perm_b32 v2, v59, v58, s9
	v_perm_b32 v3, v61, v60, s9
	v_cvt_pk_f32_fp8_e32 v[58:59], v5
	v_mfma_f32_16x16x16_bf16 v[46:49], v[52:53], v[8:9], v[46:49]
	v_cvt_pk_f32_fp8_sdwa v[52:53], v5 src0_sel:WORD_1
	s_waitcnt vmcnt(3)
	v_cvt_pk_f32_fp8_sdwa v[70:71], v32 src0_sel:WORD_1
	v_perm_b32 v58, v59, v58, s9
	v_mfma_f32_16x16x16_bf16 v[2:5], v[2:3], v[42:43], v[46:49]
	v_perm_b32 v59, v53, v52, s9
	s_mov_b32 s3, 0
	v_cmp_gt_u32_e32 vcc, 64, v0
	v_cvt_pk_f32_fp8_e32 v[46:47], v26
	v_mfma_f32_16x16x16_bf16 v[58:61], v[58:59], v[44:45], v[2:5]
	s_nop 2
	v_cvt_pk_f32_fp8_sdwa v[2:3], v26 src0_sel:WORD_1
	v_cvt_pk_f32_fp8_e32 v[4:5], v27
	v_perm_b32 v26, v47, v46, s9
	v_cvt_pk_f32_fp8_sdwa v[46:47], v27 src0_sel:WORD_1
	v_perm_b32 v27, v3, v2, s9
	v_perm_b32 v52, v5, v4, s9
	ds_read_b128 v[2:5], v50 offset:4096
	v_perm_b32 v53, v47, v46, s9
	ds_read_b128 v[46:49], v50 offset:4112
	s_waitcnt lgkmcnt(1)
	v_mfma_f32_16x16x16_bf16 v[58:61], v[26:27], v[2:3], v[58:61]
	v_perm_b32 v26, v65, v64, s9
	v_perm_b32 v27, v67, v66, s9
	v_cvt_pk_f32_fp8_e32 v[64:65], v29
	v_mfma_f32_16x16x16_bf16 v[58:61], v[52:53], v[4:5], v[58:61]
	v_cvt_pk_f32_fp8_sdwa v[52:53], v29 src0_sel:WORD_1
	v_cvt_pk_f32_fp8_e32 v[66:67], v24
	v_perm_b32 v64, v65, v64, s9
	s_waitcnt lgkmcnt(0)
	v_mfma_f32_16x16x16_bf16 v[26:29], v[26:27], v[46:47], v[58:61]
	v_perm_b32 v65, v53, v52, s9
	v_cvt_pk_f32_fp8_e32 v[52:53], v22
	s_nop 0
	v_mfma_f32_16x16x16_bf16 v[58:61], v[64:65], v[48:49], v[26:29]
	s_nop 2
	v_cvt_pk_f32_fp8_sdwa v[26:27], v22 src0_sel:WORD_1
	v_cvt_pk_f32_fp8_e32 v[28:29], v23
	v_perm_b32 v22, v53, v52, s9
	v_cvt_pk_f32_fp8_sdwa v[52:53], v23 src0_sel:WORD_1
	v_perm_b32 v23, v27, v26, s9
	v_perm_b32 v64, v29, v28, s9
	ds_read_b128 v[26:29], v50 offset:6144
	v_perm_b32 v65, v53, v52, s9
	s_waitcnt lgkmcnt(0)
	v_mfma_f32_16x16x16_bf16 v[58:61], v[22:23], v[26:27], v[58:61]
	ds_read_b128 v[50:53], v50 offset:6160
	v_perm_b32 v22, v67, v66, s9
	v_perm_b32 v23, v69, v68, s9
	v_cvt_pk_f32_fp8_e32 v[66:67], v25
	v_mfma_f32_16x16x16_bf16 v[58:61], v[64:65], v[28:29], v[58:61]
	v_cvt_pk_f32_fp8_sdwa v[64:65], v25 src0_sel:WORD_1
	v_cvt_pk_f32_fp8_e32 v[68:69], v32
	v_perm_b32 v66, v67, v66, s9
	s_waitcnt lgkmcnt(0)
	v_mfma_f32_16x16x16_bf16 v[22:25], v[22:23], v[50:51], v[58:61]
	v_perm_b32 v67, v65, v64, s9
	s_barrier
	s_nop 0
	v_mfma_f32_16x16x16_bf16 v[58:61], v[66:67], v[52:53], v[22:25]
	s_nop 2
	v_cvt_pk_f32_fp8_e32 v[24:25], v30
	v_perm_b32 v24, v25, v24, s9
	s_nop 1
	v_pk_mul_f32 v[22:23], v[60:61], s[8:9] op_sel_hi:[1,0]
	v_cvt_pk_f32_fp8_sdwa v[60:61], v30 src0_sel:WORD_1
	v_pk_mul_f32 v[64:65], v[58:59], s[8:9] op_sel_hi:[1,0]
	v_cvt_pk_f32_fp8_e32 v[58:59], v31
	v_cvt_pk_f32_fp8_sdwa v[30:31], v31 src0_sel:WORD_1
	v_perm_b32 v25, v61, v60, s9
	v_bfe_u32 v57, v65, 16, 1
	v_perm_b32 v66, v59, v58, s9
	v_perm_b32 v67, v31, v30, s9
	v_mfma_f32_16x16x16_bf16 v[58:61], v[24:25], v[34:35], 0
	v_perm_b32 v24, v69, v68, s9
	v_perm_b32 v25, v71, v70, s9
	v_cvt_pk_f32_fp8_e32 v[34:35], v33
	v_cvt_pk_f32_fp8_sdwa v[68:69], v33 src0_sel:WORD_1
	v_mfma_f32_16x16x16_bf16 v[30:33], v[66:67], v[36:37], v[58:61]
	s_waitcnt vmcnt(2)
	v_cvt_pk_f32_fp8_sdwa v[36:37], v18 src0_sel:WORD_1
	v_perm_b32 v34, v35, v34, s9
	v_perm_b32 v35, v69, v68, s9
	v_mfma_f32_16x16x16_bf16 v[30:33], v[24:25], v[38:39], v[30:33]
	v_cvt_pk_f32_fp8_e32 v[24:25], v18
	v_cvt_pk_f32_fp8_sdwa v[38:39], v20 src0_sel:WORD_1
	v_bfe_u32 v58, v64, 16, 1
	v_mfma_f32_16x16x16_bf16 v[30:33], v[34:35], v[40:41], v[30:33]
	v_cvt_pk_f32_fp8_e32 v[34:35], v19
	v_perm_b32 v24, v25, v24, s9
	v_perm_b32 v25, v37, v36, s9
	v_cvt_pk_f32_fp8_sdwa v[18:19], v19 src0_sel:WORD_1
	v_perm_b32 v34, v35, v34, s9
	v_cvt_pk_f32_fp8_e32 v[36:37], v20
	v_mfma_f32_16x16x16_bf16 v[30:33], v[24:25], v[6:7], v[30:33]
	v_perm_b32 v35, v19, v18, s9
	v_perm_b32 v18, v37, v36, s9
	;; [unrolled: 1-line block ×3, first 2 shown]
	v_cvt_pk_f32_fp8_e32 v[24:25], v21
	v_cvt_pk_f32_fp8_sdwa v[20:21], v21 src0_sel:WORD_1
	v_mfma_f32_16x16x16_bf16 v[6:9], v[34:35], v[8:9], v[30:33]
	v_perm_b32 v24, v25, v24, s9
	v_perm_b32 v25, v21, v20, s9
	v_mfma_f32_16x16x16_bf16 v[6:9], v[18:19], v[42:43], v[6:9]
	s_waitcnt vmcnt(1)
	v_cvt_pk_f32_fp8_e32 v[18:19], v14
	v_cvt_pk_f32_fp8_sdwa v[20:21], v14 src0_sel:WORD_1
	v_cvt_pk_f32_fp8_sdwa v[30:31], v16 src0_sel:WORD_1
	v_mfma_f32_16x16x16_bf16 v[6:9], v[24:25], v[44:45], v[6:9]
	v_cvt_pk_f32_fp8_e32 v[24:25], v15
	v_perm_b32 v18, v19, v18, s9
	v_perm_b32 v19, v21, v20, s9
	v_cvt_pk_f32_fp8_sdwa v[14:15], v15 src0_sel:WORD_1
	v_perm_b32 v20, v25, v24, s9
	v_cvt_pk_f32_fp8_e32 v[24:25], v16
	v_mfma_f32_16x16x16_bf16 v[6:9], v[18:19], v[2:3], v[6:9]
	v_perm_b32 v21, v15, v14, s9
	v_perm_b32 v14, v25, v24, s9
	;; [unrolled: 1-line block ×3, first 2 shown]
	v_cvt_pk_f32_fp8_e32 v[18:19], v17
	v_cvt_pk_f32_fp8_sdwa v[16:17], v17 src0_sel:WORD_1
	v_mfma_f32_16x16x16_bf16 v[2:5], v[20:21], v[4:5], v[6:9]
	v_add3_u32 v32, v64, v58, s11
	v_add3_u32 v33, v65, v57, s11
	s_nop 0
	v_perm_b32 v8, v19, v18, s9
	v_perm_b32 v9, v17, v16, s9
	v_mfma_f32_16x16x16_bf16 v[2:5], v[14:15], v[46:47], v[2:5]
	s_waitcnt vmcnt(0)
	v_cvt_pk_f32_fp8_e32 v[14:15], v10
	v_cvt_pk_f32_fp8_sdwa v[16:17], v10 src0_sel:WORD_1
	v_cvt_pk_f32_fp8_sdwa v[18:19], v12 src0_sel:WORD_1
	v_mfma_f32_16x16x16_bf16 v[2:5], v[8:9], v[48:49], v[2:5]
	v_cvt_pk_f32_fp8_e32 v[8:9], v11
	v_perm_b32 v14, v15, v14, s9
	v_perm_b32 v15, v17, v16, s9
	v_cvt_pk_f32_fp8_sdwa v[10:11], v11 src0_sel:WORD_1
	v_perm_b32 v8, v9, v8, s9
	v_cvt_pk_f32_fp8_e32 v[16:17], v12
	v_mfma_f32_16x16x16_bf16 v[2:5], v[14:15], v[26:27], v[2:5]
	v_perm_b32 v9, v11, v10, s9
	v_perm_b32 v10, v17, v16, s9
	;; [unrolled: 1-line block ×3, first 2 shown]
	v_cvt_pk_f32_fp8_e32 v[14:15], v13
	v_cvt_pk_f32_fp8_sdwa v[12:13], v13 src0_sel:WORD_1
	v_mfma_f32_16x16x16_bf16 v[2:5], v[8:9], v[28:29], v[2:5]
	v_bfe_u32 v7, v23, 16, 1
	v_perm_b32 v8, v15, v14, s9
	v_perm_b32 v9, v13, v12, s9
	v_mfma_f32_16x16x16_bf16 v[2:5], v[10:11], v[50:51], v[2:5]
	v_bfe_u32 v16, v22, 16, 1
	v_add3_u32 v10, v22, v16, s11
	v_add3_u32 v7, v23, v7, s11
	v_mfma_f32_16x16x16_bf16 v[2:5], v[8:9], v[52:53], v[2:5]
	v_perm_b32 v6, v33, v32, s9
	v_perm_b32 v7, v7, v10, s9
	s_nop 4
	v_pk_mul_f32 v[2:3], v[2:3], s[8:9] op_sel_hi:[1,0]
	v_pk_mul_f32 v[4:5], v[4:5], s[8:9] op_sel_hi:[1,0]
	v_bfe_u32 v8, v3, 16, 1
	v_bfe_u32 v9, v2, 16, 1
	v_add3_u32 v2, v2, v9, s11
	v_add3_u32 v3, v3, v8, s11
	v_perm_b32 v2, v3, v2, s9
	v_bfe_u32 v3, v5, 16, 1
	v_bfe_u32 v8, v4, 16, 1
	v_add3_u32 v4, v4, v8, s11
	v_add3_u32 v3, v5, v3, s11
	v_perm_b32 v3, v3, v4, s9
	ds_write2st64_b64 v55, v[6:7], v[2:3] offset1:1
	s_waitcnt lgkmcnt(0)
	s_barrier
	s_and_saveexec_b64 s[8:9], vcc
	s_cbranch_execz .LBB1340_20
; %bb.18:
	s_load_dwordx2 s[8:9], s[0:1], 0x68
	s_lshl_b32 s0, s7, 7
	s_mul_i32 s1, s10, s2
	v_lshlrev_b32_e32 v3, 6, v56
	s_mul_hi_u32 s11, s1, s0
	s_mul_i32 s10, s1, s0
	v_lshl_or_b32 v0, v0, 10, v3
	s_lshl_b64 s[10:11], s[10:11], 1
	v_lshlrev_b32_e32 v2, 5, v62
	v_and_b32_e32 v1, 16, v1
	v_and_b32_e32 v0, 0x1a00, v0
	s_waitcnt lgkmcnt(0)
	s_add_u32 s1, s8, s10
	v_or3_b32 v2, v0, v2, v1
	s_addc_u32 s7, s9, s11
	s_lshl_b32 s2, s6, 7
	ds_read_b128 v[4:7], v2 offset:256
	s_lshl_b64 s[2:3], s[2:3], 1
	ds_read_b128 v[8:11], v2 offset:128
	ds_read_b128 v[12:15], v2
	s_add_u32 s2, s1, s2
	s_addc_u32 s3, s7, s3
	v_mov_b32_e32 v55, 0
	v_add_u32_e32 v3, s48, v62
	v_lshl_add_u64 v[0:1], s[2:3], 0, v[54:55]
	v_mad_u64_u32 v[16:17], s[2:3], v3, s0, 0
	v_lshl_add_u64 v[16:17], v[16:17], 1, v[0:1]
	s_waitcnt lgkmcnt(0)
	global_store_dwordx4 v[16:17], v[12:15], off
	s_nop 1
	v_add_u32_e32 v12, 4, v3
	v_mad_u64_u32 v[12:13], s[2:3], v12, s0, 0
	v_lshl_add_u64 v[12:13], v[12:13], 1, v[0:1]
	v_add_u32_e32 v3, 8, v3
	global_store_dwordx4 v[12:13], v[8:11], off
	s_nop 1
	v_mad_u64_u32 v[8:9], s[2:3], v3, s0, 0
	v_lshl_add_u64 v[8:9], v[8:9], 1, v[0:1]
	global_store_dwordx4 v[8:9], v[4:7], off
	s_and_b64 exec, exec, s[4:5]
	s_cbranch_execz .LBB1340_20
; %bb.19:
	ds_read_b128 v[2:5], v2 offset:384
	v_add3_u32 v6, s48, v62, 12
	v_mad_u64_u32 v[6:7], s[0:1], v6, s0, 0
	v_lshl_add_u64 v[0:1], v[6:7], 1, v[0:1]
	s_waitcnt lgkmcnt(0)
	global_store_dwordx4 v[0:1], v[2:5], off
.LBB1340_20:
	s_endpgm
	.section	.rodata,"a",@progbits
	.p2align	6, 0x0
	.amdhsa_kernel _Z39paged_attention_ll4mi_QKV_mfma16_kernelI14__hip_bfloat16hLN4vllm18Fp8KVCacheDataTypeE1EhLi32ELi128ELi256ELb1ELi13EEvPKT_PKT0_S8_ifPKiSA_SA_iPKfiiiPfSD_PS3_PT2_iSC_SC_
		.amdhsa_group_segment_fixed_size 8192
		.amdhsa_private_segment_fixed_size 0
		.amdhsa_kernarg_size 400
		.amdhsa_user_sgpr_count 2
		.amdhsa_user_sgpr_dispatch_ptr 0
		.amdhsa_user_sgpr_queue_ptr 0
		.amdhsa_user_sgpr_kernarg_segment_ptr 1
		.amdhsa_user_sgpr_dispatch_id 0
		.amdhsa_user_sgpr_kernarg_preload_length 0
		.amdhsa_user_sgpr_kernarg_preload_offset 0
		.amdhsa_user_sgpr_private_segment_size 0
		.amdhsa_uses_dynamic_stack 0
		.amdhsa_enable_private_segment 0
		.amdhsa_system_sgpr_workgroup_id_x 1
		.amdhsa_system_sgpr_workgroup_id_y 1
		.amdhsa_system_sgpr_workgroup_id_z 1
		.amdhsa_system_sgpr_workgroup_info 0
		.amdhsa_system_vgpr_workitem_id 0
		.amdhsa_next_free_vgpr 78
		.amdhsa_next_free_sgpr 50
		.amdhsa_accum_offset 80
		.amdhsa_reserve_vcc 1
		.amdhsa_float_round_mode_32 0
		.amdhsa_float_round_mode_16_64 0
		.amdhsa_float_denorm_mode_32 3
		.amdhsa_float_denorm_mode_16_64 3
		.amdhsa_dx10_clamp 1
		.amdhsa_ieee_mode 1
		.amdhsa_fp16_overflow 0
		.amdhsa_tg_split 0
		.amdhsa_exception_fp_ieee_invalid_op 0
		.amdhsa_exception_fp_denorm_src 0
		.amdhsa_exception_fp_ieee_div_zero 0
		.amdhsa_exception_fp_ieee_overflow 0
		.amdhsa_exception_fp_ieee_underflow 0
		.amdhsa_exception_fp_ieee_inexact 0
		.amdhsa_exception_int_div_zero 0
	.end_amdhsa_kernel
	.section	.text._Z39paged_attention_ll4mi_QKV_mfma16_kernelI14__hip_bfloat16hLN4vllm18Fp8KVCacheDataTypeE1EhLi32ELi128ELi256ELb1ELi13EEvPKT_PKT0_S8_ifPKiSA_SA_iPKfiiiPfSD_PS3_PT2_iSC_SC_,"axG",@progbits,_Z39paged_attention_ll4mi_QKV_mfma16_kernelI14__hip_bfloat16hLN4vllm18Fp8KVCacheDataTypeE1EhLi32ELi128ELi256ELb1ELi13EEvPKT_PKT0_S8_ifPKiSA_SA_iPKfiiiPfSD_PS3_PT2_iSC_SC_,comdat
.Lfunc_end1340:
	.size	_Z39paged_attention_ll4mi_QKV_mfma16_kernelI14__hip_bfloat16hLN4vllm18Fp8KVCacheDataTypeE1EhLi32ELi128ELi256ELb1ELi13EEvPKT_PKT0_S8_ifPKiSA_SA_iPKfiiiPfSD_PS3_PT2_iSC_SC_, .Lfunc_end1340-_Z39paged_attention_ll4mi_QKV_mfma16_kernelI14__hip_bfloat16hLN4vllm18Fp8KVCacheDataTypeE1EhLi32ELi128ELi256ELb1ELi13EEvPKT_PKT0_S8_ifPKiSA_SA_iPKfiiiPfSD_PS3_PT2_iSC_SC_
                                        ; -- End function
	.section	.AMDGPU.csdata,"",@progbits
; Kernel info:
; codeLenInByte = 6728
; NumSgprs: 56
; NumVgprs: 78
; NumAgprs: 0
; TotalNumVgprs: 78
; ScratchSize: 0
; MemoryBound: 0
; FloatMode: 240
; IeeeMode: 1
; LDSByteSize: 8192 bytes/workgroup (compile time only)
; SGPRBlocks: 6
; VGPRBlocks: 9
; NumSGPRsForWavesPerEU: 56
; NumVGPRsForWavesPerEU: 78
; AccumOffset: 80
; Occupancy: 6
; WaveLimiterHint : 1
; COMPUTE_PGM_RSRC2:SCRATCH_EN: 0
; COMPUTE_PGM_RSRC2:USER_SGPR: 2
; COMPUTE_PGM_RSRC2:TRAP_HANDLER: 0
; COMPUTE_PGM_RSRC2:TGID_X_EN: 1
; COMPUTE_PGM_RSRC2:TGID_Y_EN: 1
; COMPUTE_PGM_RSRC2:TGID_Z_EN: 1
; COMPUTE_PGM_RSRC2:TIDIG_COMP_CNT: 0
; COMPUTE_PGM_RSRC3_GFX90A:ACCUM_OFFSET: 19
; COMPUTE_PGM_RSRC3_GFX90A:TG_SPLIT: 0
	.section	.text._Z39paged_attention_ll4mi_QKV_mfma16_kernelI14__hip_bfloat16hLN4vllm18Fp8KVCacheDataTypeE1EhLi32ELi128ELi256ELb1ELi14EEvPKT_PKT0_S8_ifPKiSA_SA_iPKfiiiPfSD_PS3_PT2_iSC_SC_,"axG",@progbits,_Z39paged_attention_ll4mi_QKV_mfma16_kernelI14__hip_bfloat16hLN4vllm18Fp8KVCacheDataTypeE1EhLi32ELi128ELi256ELb1ELi14EEvPKT_PKT0_S8_ifPKiSA_SA_iPKfiiiPfSD_PS3_PT2_iSC_SC_,comdat
	.protected	_Z39paged_attention_ll4mi_QKV_mfma16_kernelI14__hip_bfloat16hLN4vllm18Fp8KVCacheDataTypeE1EhLi32ELi128ELi256ELb1ELi14EEvPKT_PKT0_S8_ifPKiSA_SA_iPKfiiiPfSD_PS3_PT2_iSC_SC_ ; -- Begin function _Z39paged_attention_ll4mi_QKV_mfma16_kernelI14__hip_bfloat16hLN4vllm18Fp8KVCacheDataTypeE1EhLi32ELi128ELi256ELb1ELi14EEvPKT_PKT0_S8_ifPKiSA_SA_iPKfiiiPfSD_PS3_PT2_iSC_SC_
	.globl	_Z39paged_attention_ll4mi_QKV_mfma16_kernelI14__hip_bfloat16hLN4vllm18Fp8KVCacheDataTypeE1EhLi32ELi128ELi256ELb1ELi14EEvPKT_PKT0_S8_ifPKiSA_SA_iPKfiiiPfSD_PS3_PT2_iSC_SC_
	.p2align	8
	.type	_Z39paged_attention_ll4mi_QKV_mfma16_kernelI14__hip_bfloat16hLN4vllm18Fp8KVCacheDataTypeE1EhLi32ELi128ELi256ELb1ELi14EEvPKT_PKT0_S8_ifPKiSA_SA_iPKfiiiPfSD_PS3_PT2_iSC_SC_,@function
_Z39paged_attention_ll4mi_QKV_mfma16_kernelI14__hip_bfloat16hLN4vllm18Fp8KVCacheDataTypeE1EhLi32ELi128ELi256ELb1ELi14EEvPKT_PKT0_S8_ifPKiSA_SA_iPKfiiiPfSD_PS3_PT2_iSC_SC_: ; @_Z39paged_attention_ll4mi_QKV_mfma16_kernelI14__hip_bfloat16hLN4vllm18Fp8KVCacheDataTypeE1EhLi32ELi128ELi256ELb1ELi14EEvPKT_PKT0_S8_ifPKiSA_SA_iPKfiiiPfSD_PS3_PT2_iSC_SC_
; %bb.0:
	s_load_dwordx2 s[10:11], s[0:1], 0x30
	s_mov_b32 s6, s3
	s_mov_b64 s[8:9], 0
	s_waitcnt lgkmcnt(0)
	s_cmp_lg_u64 s[10:11], 0
	s_cselect_b64 s[12:13], -1, 0
	s_and_b64 vcc, exec, s[12:13]
	s_cbranch_vccz .LBB1341_7
; %bb.1:
	s_add_i32 s14, s2, 1
	s_mov_b32 s15, 0
	s_lshl_b64 s[16:17], s[14:15], 2
	s_add_u32 s16, s10, s16
	s_mov_b32 s3, s15
	s_addc_u32 s17, s11, s17
	s_lshl_b64 s[14:15], s[2:3], 2
	s_add_u32 s14, s10, s14
	s_addc_u32 s15, s11, s15
	s_load_dword s5, s[16:17], 0x0
	s_load_dword s7, s[14:15], 0x0
	s_waitcnt lgkmcnt(0)
	s_sub_i32 s5, s5, s7
	s_cmp_eq_u32 s5, 1
	s_cselect_b64 s[14:15], -1, 0
	s_andn2_b64 vcc, exec, s[8:9]
	s_cbranch_vccnz .LBB1341_3
.LBB1341_2:
	s_mov_b32 s3, 0
	s_mov_b64 s[14:15], -1
.LBB1341_3:
	s_andn2_b64 vcc, exec, s[14:15]
	s_cbranch_vccnz .LBB1341_20
; %bb.4:
	s_load_dwordx2 s[8:9], s[0:1], 0x28
	s_lshl_b64 s[14:15], s[2:3], 2
	s_waitcnt lgkmcnt(0)
	s_add_u32 s8, s8, s14
	s_addc_u32 s9, s9, s15
	s_load_dword s7, s[8:9], 0x0
	s_lshl_b32 s18, s6, 8
	s_waitcnt lgkmcnt(0)
	s_cmp_ge_i32 s18, s7
	s_cbranch_scc1 .LBB1341_20
; %bb.5:
	s_load_dwordx2 s[8:9], s[0:1], 0x20
	s_load_dword s5, s[0:1], 0x38
	s_add_i32 s16, s7, 31
	s_ashr_i32 s17, s16, 31
	v_and_b32_e32 v1, 0xcf, v0
	s_lshr_b32 s17, s17, 27
	v_add_u32_e32 v1, s18, v1
	s_add_i32 s16, s16, s17
	v_ashrrev_i32_e32 v2, 31, v1
	s_ashr_i32 s19, s16, 5
	v_lshrrev_b32_e32 v4, 27, v2
	s_add_i32 s19, s19, -1
	s_waitcnt lgkmcnt(0)
	s_mul_i32 s16, s2, s5
	s_mov_b32 s17, 0
	v_add_u32_e32 v2, v1, v4
	s_lshl_b64 s[16:17], s[16:17], 2
	v_ashrrev_i32_e32 v2, 5, v2
	v_mov_b32_e32 v5, s19
	v_cmp_gt_i32_e32 vcc, s7, v1
	s_add_u32 s8, s8, s16
	s_addc_u32 s9, s9, s17
	v_cndmask_b32_e32 v2, v5, v2, vcc
	v_ashrrev_i32_e32 v3, 31, v2
	v_lshl_add_u64 v[6:7], v[2:3], 2, s[8:9]
	v_or_b32_e32 v2, 16, v1
	v_add_u32_e32 v3, v2, v4
	v_ashrrev_i32_e32 v3, 5, v3
	v_cmp_gt_i32_e32 vcc, s7, v2
	s_load_dwordx2 s[16:17], s[0:1], 0x8
	s_nop 0
	v_cndmask_b32_e32 v2, v5, v3, vcc
	v_ashrrev_i32_e32 v3, 31, v2
	v_lshl_add_u64 v[8:9], v[2:3], 2, s[8:9]
	v_or_b32_e32 v2, 32, v1
	v_add_u32_e32 v3, v2, v4
	v_ashrrev_i32_e32 v3, 5, v3
	v_cmp_gt_i32_e32 vcc, s7, v2
	v_or_b32_e32 v1, 48, v1
	s_nop 0
	v_cndmask_b32_e32 v2, v5, v3, vcc
	v_ashrrev_i32_e32 v3, 31, v2
	v_lshl_add_u64 v[12:13], v[2:3], 2, s[8:9]
	v_add_u32_e32 v2, v1, v4
	v_ashrrev_i32_e32 v2, 5, v2
	v_cmp_gt_i32_e32 vcc, s7, v1
	s_nop 1
	v_cndmask_b32_e32 v2, v5, v2, vcc
	v_ashrrev_i32_e32 v3, 31, v2
	v_lshl_add_u64 v[14:15], v[2:3], 2, s[8:9]
	global_load_dword v4, v[6:7], off
	global_load_dword v3, v[8:9], off
	;; [unrolled: 1-line block ×4, first 2 shown]
	s_andn2_b64 vcc, exec, s[12:13]
	s_cbranch_vccnz .LBB1341_8
; %bb.6:
	s_add_u32 s10, s10, s14
	s_addc_u32 s11, s11, s15
	s_load_dword s5, s[10:11], 0x0
	s_branch .LBB1341_9
.LBB1341_7:
	s_mov_b64 s[14:15], 0
	s_branch .LBB1341_2
.LBB1341_8:
	s_mov_b32 s5, s2
.LBB1341_9:
	s_load_dwordx2 s[10:11], s[0:1], 0x10
	s_load_dwordx4 s[44:47], s[0:1], 0x48
	v_lshrrev_b32_e32 v57, 6, v0
	v_bfe_u32 v62, v0, 4, 2
	v_and_b32_e32 v56, 15, v0
	v_lshl_or_b32 v5, v57, 2, v62
	v_lshlrev_b32_e32 v1, 3, v56
	s_mul_i32 s48, s4, 14
	v_cmp_gt_u32_e32 vcc, 14, v5
	v_lshlrev_b32_e32 v54, 1, v1
	v_lshlrev_b32_e32 v1, 4, v0
	s_and_saveexec_b64 s[12:13], vcc
	s_cbranch_execz .LBB1341_11
; %bb.10:
	s_load_dwordx2 s[14:15], s[0:1], 0x0
	s_waitcnt lgkmcnt(0)
	s_ashr_i32 s20, s44, 31
	s_mul_hi_u32 s21, s5, s44
	s_mul_i32 s20, s5, s20
	s_add_i32 s21, s21, s20
	s_mul_i32 s20, s5, s44
	s_lshl_b64 s[20:21], s[20:21], 1
	s_add_u32 s14, s14, s20
	v_add_lshl_u32 v6, v5, s48, 7
	s_addc_u32 s15, s15, s21
	v_ashrrev_i32_e32 v7, 31, v6
	v_lshl_add_u64 v[6:7], v[6:7], 1, s[14:15]
	v_mov_b32_e32 v55, 0
	v_lshl_add_u64 v[6:7], v[6:7], 0, v[54:55]
	global_load_dwordx4 v[6:9], v[6:7], off
	v_lshlrev_b32_e32 v12, 8, v0
	v_lshlrev_b32_e32 v11, 8, v56
	v_and_b32_e32 v12, 0x600, v12
	s_movk_i32 s5, 0x800
	v_and_or_b32 v11, v11, s5, v12
	v_lshlrev_b32_e32 v5, 5, v5
	v_and_b32_e32 v12, 16, v1
	v_or3_b32 v5, v11, v5, v12
	s_waitcnt vmcnt(0)
	ds_write_b128 v5, v[6:9]
.LBB1341_11:
	s_or_b64 exec, exec, s[12:13]
	s_waitcnt lgkmcnt(0)
	s_mul_i32 s12, s4, s46
	s_add_u32 s4, s16, s12
	s_addc_u32 s5, s17, 0
	v_mov_b32_e32 v59, 0
	v_mov_b64_e32 v[12:13], s[4:5]
	v_and_b32_e32 v34, 48, v0
	s_waitcnt vmcnt(3)
	v_mad_i64_i32 v[4:5], s[4:5], v4, s45, v[12:13]
	v_lshlrev_b32_e32 v14, 4, v56
	v_mov_b32_e32 v15, v59
	v_lshlrev_b32_e32 v58, 5, v34
	v_lshl_add_u64 v[4:5], v[4:5], 0, v[14:15]
	v_lshl_add_u64 v[4:5], v[4:5], 0, v[58:59]
	s_barrier
	global_load_dwordx4 v[50:53], v[4:5], off
	global_load_dwordx4 v[46:49], v[4:5], off offset:2048
	s_waitcnt vmcnt(4)
	v_mad_i64_i32 v[4:5], s[4:5], v3, s45, v[12:13]
	v_or_b32_e32 v16, 0x100, v14
	v_mov_b32_e32 v17, v59
	s_waitcnt vmcnt(3)
	v_mad_i64_i32 v[2:3], s[4:5], v2, s45, v[12:13]
	v_lshl_add_u64 v[4:5], v[4:5], 0, v[16:17]
	v_lshl_add_u64 v[2:3], v[2:3], 0, v[14:15]
	s_waitcnt vmcnt(2)
	v_mad_i64_i32 v[10:11], s[4:5], v10, s45, v[12:13]
	v_lshl_add_u64 v[4:5], v[4:5], 0, v[58:59]
	v_lshl_add_u64 v[14:15], v[2:3], 0, v[58:59]
	;; [unrolled: 1-line block ×3, first 2 shown]
	global_load_dwordx4 v[36:39], v[4:5], off
	global_load_dwordx4 v[6:9], v[4:5], off offset:2048
	s_nop 0
	global_load_dwordx4 v[2:5], v[14:15], off
	global_load_dwordx4 v[42:45], v[14:15], off offset:2048
	v_lshl_add_u64 v[14:15], v[10:11], 0, v[58:59]
	global_load_dwordx4 v[26:29], v[14:15], off
	global_load_dwordx4 v[10:13], v[14:15], off offset:2048
	v_add_u32_e32 v14, -14, v56
	v_cmp_gt_u32_e32 vcc, 14, v56
	v_and_b32_e32 v55, 63, v0
	v_mov_b32_e32 v63, 0
	v_cndmask_b32_e32 v14, v14, v56, vcc
	v_lshlrev_b32_e32 v14, 5, v14
	v_lshl_add_u32 v14, v62, 9, v14
	ds_read_b128 v[30:33], v14
	ds_read_b128 v[22:25], v14 offset:16
	ds_read_b128 v[18:21], v14 offset:2048
	;; [unrolled: 1-line block ×3, first 2 shown]
	s_and_saveexec_b64 s[4:5], vcc
	s_cbranch_execz .LBB1341_13
; %bb.12:
	s_load_dwordx2 s[14:15], s[0:1], 0x40
	v_add_u32_e32 v40, s48, v56
	v_ashrrev_i32_e32 v41, 31, v40
	s_waitcnt lgkmcnt(0)
	v_lshl_add_u64 v[40:41], v[40:41], 2, s[14:15]
	global_load_dword v63, v[40:41], off
.LBB1341_13:
	s_or_b64 exec, exec, s[4:5]
	s_ashr_i32 s4, s18, 31
	v_or_b32_e32 v58, s18, v34
	s_lshr_b32 s4, s4, 27
	v_add_u32_e32 v34, s4, v58
	v_or_b32_e32 v40, 64, v58
	v_ashrrev_i32_e32 v34, 5, v34
	v_mov_b32_e32 v64, s19
	v_cmp_gt_i32_e32 vcc, s7, v58
	v_add_u32_e32 v41, s4, v40
	v_or_b32_e32 v60, 0x80, v58
	v_cndmask_b32_e32 v34, v64, v34, vcc
	v_ashrrev_i32_e32 v41, 5, v41
	v_cmp_gt_i32_e32 vcc, s7, v40
	v_add_u32_e32 v61, s4, v60
	v_or_b32_e32 v58, 0xc0, v58
	v_cndmask_b32_e32 v40, v64, v41, vcc
	v_ashrrev_i32_e32 v61, 5, v61
	v_cmp_gt_i32_e32 vcc, s7, v60
	v_add_u32_e32 v65, s4, v58
	v_ashrrev_i32_e32 v65, 5, v65
	v_cndmask_b32_e32 v60, v64, v61, vcc
	v_cmp_gt_i32_e32 vcc, s7, v58
	s_waitcnt vmcnt(7)
	v_cvt_pk_f32_fp8_sdwa v[66:67], v50 src0_sel:WORD_1
	s_mov_b32 s33, 0x7060302
	v_cndmask_b32_e32 v68, v64, v65, vcc
	v_cvt_pk_f32_fp8_e32 v[64:65], v50
	v_cvt_pk_f32_fp8_e32 v[70:71], v51
	v_cvt_pk_f32_fp8_sdwa v[50:51], v51 src0_sel:WORD_1
	v_cvt_pk_f32_fp8_e32 v[72:73], v52
	v_perm_b32 v64, v65, v64, s33
	v_perm_b32 v65, v67, v66, s33
	;; [unrolled: 1-line block ×3, first 2 shown]
	v_cvt_pk_f32_fp8_sdwa v[74:75], v52 src0_sel:WORD_1
	v_perm_b32 v71, v51, v50, s33
	s_waitcnt lgkmcnt(3)
	v_mfma_f32_16x16x16_bf16 v[64:67], v[64:65], v[30:31], 0
	v_perm_b32 v72, v73, v72, s33
	v_perm_b32 v73, v75, v74, s33
	v_cvt_pk_f32_fp8_e32 v[74:75], v53
	v_cvt_pk_f32_fp8_sdwa v[76:77], v53 src0_sel:WORD_1
	v_mfma_f32_16x16x16_bf16 v[50:53], v[70:71], v[32:33], v[64:67]
	v_ashrrev_i32_e32 v35, 31, v34
	v_lshl_add_u64 v[34:35], v[34:35], 2, s[8:9]
	v_ashrrev_i32_e32 v41, 31, v40
	v_perm_b32 v64, v75, v74, s33
	v_perm_b32 v65, v77, v76, s33
	s_waitcnt lgkmcnt(2)
	v_mfma_f32_16x16x16_bf16 v[50:53], v[72:73], v[22:23], v[50:53]
	s_waitcnt vmcnt(6)
	v_cvt_pk_f32_fp8_e32 v[66:67], v46
	v_ashrrev_i32_e32 v61, 31, v60
	v_ashrrev_i32_e32 v69, 31, v68
	v_lshl_add_u64 v[40:41], v[40:41], 2, s[8:9]
	v_lshl_add_u64 v[60:61], v[60:61], 2, s[8:9]
	;; [unrolled: 1-line block ×3, first 2 shown]
	v_mfma_f32_16x16x16_bf16 v[50:53], v[64:65], v[24:25], v[50:53]
	v_perm_b32 v74, v67, v66, s33
	global_load_dword v68, v[34:35], off
	global_load_dword v66, v[40:41], off
	;; [unrolled: 1-line block ×4, first 2 shown]
	v_cvt_pk_f32_fp8_sdwa v[70:71], v46 src0_sel:WORD_1
	v_cvt_pk_f32_fp8_e32 v[40:41], v48
	s_waitcnt vmcnt(9)
	v_cvt_pk_f32_fp8_e32 v[60:61], v36
	s_add_u32 s4, s10, s12
	v_perm_b32 v75, v71, v70, s33
	v_cvt_pk_f32_fp8_e32 v[70:71], v47
	v_cvt_pk_f32_fp8_sdwa v[46:47], v47 src0_sel:WORD_1
	s_waitcnt lgkmcnt(1)
	v_mfma_f32_16x16x16_bf16 v[50:53], v[74:75], v[18:19], v[50:53]
	v_perm_b32 v34, v71, v70, s33
	v_perm_b32 v35, v47, v46, s33
	v_cvt_pk_f32_fp8_sdwa v[46:47], v48 src0_sel:WORD_1
	v_perm_b32 v40, v41, v40, s33
	v_mfma_f32_16x16x16_bf16 v[50:53], v[34:35], v[20:21], v[50:53]
	v_perm_b32 v41, v47, v46, s33
	v_cvt_pk_f32_fp8_e32 v[34:35], v49
	v_cvt_pk_f32_fp8_sdwa v[46:47], v49 src0_sel:WORD_1
	v_cvt_pk_f32_fp8_sdwa v[70:71], v36 src0_sel:WORD_1
	s_addc_u32 s5, s11, 0
	v_perm_b32 v34, v35, v34, s33
	v_perm_b32 v35, v47, v46, s33
	s_waitcnt lgkmcnt(0)
	v_mfma_f32_16x16x16_bf16 v[46:49], v[40:41], v[14:15], v[50:53]
	v_perm_b32 v40, v61, v60, s33
	v_perm_b32 v41, v71, v70, s33
	s_waitcnt vmcnt(8)
	v_cvt_pk_f32_fp8_sdwa v[60:61], v6 src0_sel:WORD_1
	v_cvt_pk_f32_fp8_e32 v[50:51], v37
	v_cvt_pk_f32_fp8_sdwa v[52:53], v37 src0_sel:WORD_1
	v_mfma_f32_16x16x16_bf16 v[34:37], v[34:35], v[16:17], v[46:49]
	v_and_b32_e32 v58, 16, v0
	v_perm_b32 v50, v51, v50, s33
	v_perm_b32 v51, v53, v52, s33
	v_mfma_f32_16x16x16_bf16 v[46:49], v[40:41], v[30:31], 0
	v_cvt_pk_f32_fp8_e32 v[40:41], v38
	v_cvt_pk_f32_fp8_sdwa v[52:53], v38 src0_sel:WORD_1
	v_lshl_or_b32 v64, v57, 4, v56
	v_mfma_f32_16x16x16_bf16 v[46:49], v[50:51], v[32:33], v[46:49]
	v_cvt_pk_f32_fp8_e32 v[50:51], v39
	v_perm_b32 v40, v41, v40, s33
	v_perm_b32 v41, v53, v52, s33
	v_cvt_pk_f32_fp8_sdwa v[38:39], v39 src0_sel:WORD_1
	v_perm_b32 v50, v51, v50, s33
	v_cvt_pk_f32_fp8_e32 v[52:53], v6
	s_waitcnt vmcnt(6)
	v_cvt_pk_f32_fp8_e32 v[74:75], v43
	v_perm_b32 v51, v39, v38, s33
	v_mfma_f32_16x16x16_bf16 v[38:41], v[40:41], v[22:23], v[46:49]
	s_nop 2
	v_perm_b32 v48, v53, v52, s33
	v_perm_b32 v49, v61, v60, s33
	v_cvt_pk_f32_fp8_e32 v[52:53], v7
	v_cvt_pk_f32_fp8_sdwa v[6:7], v7 src0_sel:WORD_1
	v_mfma_f32_16x16x16_bf16 v[38:41], v[50:51], v[24:25], v[38:41]
	v_lshl_add_u64 v[46:47], s[4:5], 0, v[58:59]
	v_perm_b32 v50, v53, v52, s33
	v_perm_b32 v51, v7, v6, s33
	v_mfma_f32_16x16x16_bf16 v[38:41], v[48:49], v[18:19], v[38:41]
	v_cvt_pk_f32_fp8_e32 v[6:7], v8
	v_cvt_pk_f32_fp8_sdwa v[48:49], v8 src0_sel:WORD_1
	v_cvt_pk_f32_fp8_sdwa v[52:53], v2 src0_sel:WORD_1
	v_mfma_f32_16x16x16_bf16 v[38:41], v[50:51], v[20:21], v[38:41]
	v_cvt_pk_f32_fp8_e32 v[50:51], v9
	v_perm_b32 v6, v7, v6, s33
	v_perm_b32 v7, v49, v48, s33
	v_cvt_pk_f32_fp8_sdwa v[8:9], v9 src0_sel:WORD_1
	v_perm_b32 v48, v51, v50, s33
	v_cvt_pk_f32_fp8_e32 v[50:51], v2
	v_lshlrev_b32_e32 v58, 5, v64
	v_perm_b32 v49, v9, v8, s33
	v_mfma_f32_16x16x16_bf16 v[6:9], v[6:7], v[14:15], v[38:41]
	v_perm_b32 v50, v51, v50, s33
	v_perm_b32 v51, v53, v52, s33
	v_cvt_pk_f32_fp8_e32 v[52:53], v3
	v_cvt_pk_f32_fp8_sdwa v[2:3], v3 src0_sel:WORD_1
	v_mfma_f32_16x16x16_bf16 v[38:41], v[48:49], v[16:17], v[6:9]
	v_lshl_add_u64 v[48:49], v[46:47], 0, v[58:59]
	v_perm_b32 v52, v53, v52, s33
	v_perm_b32 v53, v3, v2, s33
	v_mfma_f32_16x16x16_bf16 v[6:9], v[50:51], v[30:31], 0
	v_cvt_pk_f32_fp8_e32 v[2:3], v4
	v_cvt_pk_f32_fp8_sdwa v[50:51], v4 src0_sel:WORD_1
	s_waitcnt vmcnt(3)
	v_mad_i64_i32 v[60:61], s[4:5], v68, s45, v[48:49]
	v_perm_b32 v2, v3, v2, s33
	v_perm_b32 v3, v51, v50, s33
	v_mfma_f32_16x16x16_bf16 v[6:9], v[52:53], v[32:33], v[6:9]
	v_cvt_pk_f32_fp8_e32 v[50:51], v5
	v_cvt_pk_f32_fp8_sdwa v[4:5], v5 src0_sel:WORD_1
	s_waitcnt vmcnt(2)
	v_mad_i64_i32 v[70:71], s[4:5], v66, s45, v[48:49]
	v_perm_b32 v50, v51, v50, s33
	v_perm_b32 v51, v5, v4, s33
	v_mfma_f32_16x16x16_bf16 v[2:5], v[2:3], v[22:23], v[6:9]
	v_or_b32_e32 v58, 0x800, v58
	s_nop 1
	v_cvt_pk_f32_fp8_e32 v[6:7], v42
	v_cvt_pk_f32_fp8_sdwa v[8:9], v42 src0_sel:WORD_1
	v_cvt_pk_f32_fp8_sdwa v[42:43], v43 src0_sel:WORD_1
	v_mfma_f32_16x16x16_bf16 v[50:53], v[50:51], v[24:25], v[2:5]
	v_perm_b32 v72, v7, v6, s33
	v_perm_b32 v73, v9, v8, s33
	global_load_dwordx4 v[6:9], v[60:61], off
	global_load_dwordx4 v[2:5], v[70:71], off
	v_perm_b32 v60, v75, v74, s33
	v_perm_b32 v61, v43, v42, s33
	v_mfma_f32_16x16x16_bf16 v[70:73], v[72:73], v[18:19], v[50:53]
	v_cvt_pk_f32_fp8_e32 v[42:43], v44
	v_perm_b32 v42, v43, v42, s33
	s_nop 0
	v_cvt_pk_f32_fp8_sdwa v[52:53], v44 src0_sel:WORD_1
	v_mfma_f32_16x16x16_bf16 v[70:73], v[60:61], v[20:21], v[70:73]
	v_cvt_pk_f32_fp8_e32 v[60:61], v45
	s_waitcnt vmcnt(3)
	v_mad_i64_i32 v[50:51], s[4:5], v67, s45, v[48:49]
	s_load_dword s4, s[0:1], 0x1c
	s_load_dwordx4 s[40:43], s[0:1], 0x80
	v_perm_b32 v43, v53, v52, s33
	v_perm_b32 v74, v61, v60, s33
	v_cvt_pk_f32_fp8_e32 v[52:53], v26
	v_cvt_pk_f32_fp8_sdwa v[60:61], v26 src0_sel:WORD_1
	s_load_dword s44, s[0:1], 0x98
	s_waitcnt lgkmcnt(0)
	s_load_dword s5, s[40:41], 0x0
	v_cvt_pk_f32_fp8_sdwa v[44:45], v45 src0_sel:WORD_1
	v_perm_b32 v52, v53, v52, s33
	v_perm_b32 v53, v61, v60, s33
	v_cvt_pk_f32_fp8_e32 v[60:61], v27
	v_cvt_pk_f32_fp8_sdwa v[26:27], v27 src0_sel:WORD_1
	v_perm_b32 v75, v45, v44, s33
	v_mfma_f32_16x16x16_bf16 v[42:45], v[42:43], v[14:15], v[70:73]
	v_perm_b32 v60, v61, v60, s33
	v_perm_b32 v61, v27, v26, s33
	v_mov_b32_e32 v26, s4
	v_mfma_f32_16x16x16_bf16 v[70:73], v[52:53], v[30:31], 0
	s_waitcnt lgkmcnt(0)
	v_mul_f32_e32 v52, s5, v26
	v_cvt_pk_f32_fp8_e32 v[26:27], v28
	v_cvt_pk_f32_fp8_sdwa v[30:31], v28 src0_sel:WORD_1
	v_mfma_f32_16x16x16_bf16 v[70:73], v[60:61], v[32:33], v[70:73]
	v_cvt_pk_f32_fp8_e32 v[32:33], v29
	v_cvt_pk_f32_fp8_sdwa v[28:29], v29 src0_sel:WORD_1
	v_perm_b32 v26, v27, v26, s33
	v_perm_b32 v27, v31, v30, s33
	v_mfma_f32_16x16x16_bf16 v[42:45], v[74:75], v[16:17], v[42:45]
	v_perm_b32 v32, v33, v32, s33
	v_perm_b32 v33, v29, v28, s33
	v_cvt_pk_f32_fp8_e32 v[60:61], v10
	v_cvt_pk_f32_fp8_sdwa v[74:75], v10 src0_sel:WORD_1
	v_mfma_f32_16x16x16_bf16 v[26:29], v[26:27], v[22:23], v[70:73]
	v_pk_mul_f32 v[30:31], v[52:53], v[36:37] op_sel_hi:[0,1]
	v_perm_b32 v36, v61, v60, s33
	v_perm_b32 v37, v75, v74, s33
	v_cvt_pk_f32_fp8_e32 v[60:61], v11
	v_cvt_pk_f32_fp8_sdwa v[70:71], v11 src0_sel:WORD_1
	v_mfma_f32_16x16x16_bf16 v[22:25], v[32:33], v[24:25], v[26:29]
	v_pk_mul_f32 v[10:11], v[52:53], v[34:35] op_sel_hi:[0,1]
	v_perm_b32 v60, v61, v60, s33
	v_perm_b32 v61, v71, v70, s33
	v_mfma_f32_16x16x16_bf16 v[32:35], v[36:37], v[18:19], v[22:25]
	v_cvt_pk_f32_fp8_e32 v[18:19], v12
	v_cvt_pk_f32_fp8_sdwa v[36:37], v12 src0_sel:WORD_1
	s_waitcnt vmcnt(2)
	v_mad_i64_i32 v[48:49], s[8:9], v65, s45, v[48:49]
	global_load_dwordx4 v[26:29], v[50:51], off
	global_load_dwordx4 v[22:25], v[48:49], off
	v_perm_b32 v48, v19, v18, s33
	v_perm_b32 v49, v37, v36, s33
	v_cvt_pk_f32_fp8_e32 v[36:37], v13
	v_cvt_pk_f32_fp8_sdwa v[12:13], v13 src0_sel:WORD_1
	v_mfma_f32_16x16x16_bf16 v[18:21], v[60:61], v[20:21], v[32:35]
	v_pk_mul_f32 v[40:41], v[52:53], v[40:41] op_sel_hi:[0,1]
	v_pk_mul_f32 v[42:43], v[52:53], v[42:43] op_sel_hi:[0,1]
	s_mov_b32 s40, 0xff7fffff
	v_perm_b32 v32, v37, v36, s33
	v_perm_b32 v33, v13, v12, s33
	v_mfma_f32_16x16x16_bf16 v[12:15], v[48:49], v[14:15], v[18:21]
	v_pk_mul_f32 v[48:49], v[52:53], v[38:39] op_sel_hi:[0,1]
	v_pk_mul_f32 v[38:39], v[52:53], v[44:45] op_sel_hi:[0,1]
	v_mfma_f32_16x16x16_bf16 v[12:15], v[32:33], v[16:17], v[12:15]
	s_nop 6
	v_pk_mul_f32 v[36:37], v[52:53], v[12:13] op_sel_hi:[0,1]
	v_and_b32_e32 v12, 0xc0, v0
	v_add_u32_e32 v12, s18, v12
	v_lshl_or_b32 v12, v62, 2, v12
	v_or_b32_e32 v13, 1, v12
	v_pk_mul_f32 v[34:35], v[52:53], v[14:15] op_sel_hi:[0,1]
	v_subrev_u32_e32 v14, s7, v13
	v_add_u32_e32 v16, 1, v14
	v_add_u32_e32 v17, 2, v14
	v_cvt_f32_i32_e32 v15, v14
	v_cvt_f32_i32_e32 v16, v16
	;; [unrolled: 1-line block ×3, first 2 shown]
	v_add_u32_e32 v18, 3, v14
	v_fma_f32 v10, v63, v15, v10
	v_fmac_f32_e32 v11, v63, v16
	v_fma_f32 v51, v63, v17, v30
	v_add_u32_e32 v15, 16, v14
	v_add_u32_e32 v16, 17, v14
	;; [unrolled: 1-line block ×3, first 2 shown]
	v_cvt_f32_i32_e32 v18, v18
	v_cvt_f32_i32_e32 v15, v15
	;; [unrolled: 1-line block ×4, first 2 shown]
	v_fmac_f32_e32 v31, v63, v18
	v_add_u32_e32 v18, 19, v14
	v_fma_f32 v48, v63, v15, v48
	v_fmac_f32_e32 v49, v63, v16
	v_fma_f32 v40, v63, v17, v40
	v_add_u32_e32 v15, 32, v14
	v_add_u32_e32 v16, 33, v14
	;; [unrolled: 1-line block ×3, first 2 shown]
	v_cvt_f32_i32_e32 v18, v18
	v_cvt_f32_i32_e32 v15, v15
	;; [unrolled: 1-line block ×4, first 2 shown]
	v_fmac_f32_e32 v41, v63, v18
	v_add_u32_e32 v18, 35, v14
	v_fma_f32 v42, v63, v15, v42
	v_fmac_f32_e32 v43, v63, v16
	v_fma_f32 v38, v63, v17, v38
	v_add_u32_e32 v15, 48, v14
	v_add_u32_e32 v16, 49, v14
	;; [unrolled: 1-line block ×4, first 2 shown]
	v_cvt_f32_i32_e32 v14, v14
	v_cvt_f32_i32_e32 v15, v15
	;; [unrolled: 1-line block ×3, first 2 shown]
	v_cmp_gt_i32_e64 s[8:9], s7, v12
	v_fmac_f32_e32 v35, v63, v14
	v_mov_b32_e32 v14, 0xff7fffff
	v_cmp_gt_i32_e64 s[10:11], s7, v13
	v_fma_f32 v36, v63, v15, v36
	v_cndmask_b32_e64 v15, v14, v10, s[8:9]
	v_cndmask_b32_e64 v13, v14, v11, s[10:11]
	v_fmac_f32_e32 v37, v63, v16
	v_max3_f32 v13, v15, s40, v13
	v_or_b32_e32 v15, 2, v12
	v_or_b32_e32 v16, 3, v12
	v_cmp_gt_i32_e64 s[12:13], s7, v15
	v_cmp_gt_i32_e64 s[14:15], s7, v16
	v_cvt_f32_i32_e32 v18, v18
	v_cndmask_b32_e64 v15, v14, v51, s[12:13]
	v_cndmask_b32_e64 v16, v14, v31, s[14:15]
	v_max3_f32 v13, v13, v15, v16
	v_or_b32_e32 v15, 16, v12
	v_or_b32_e32 v16, 17, v12
	v_cmp_gt_i32_e64 s[16:17], s7, v15
	v_cmp_gt_i32_e64 s[18:19], s7, v16
	v_fmac_f32_e32 v39, v63, v18
	v_cndmask_b32_e64 v15, v14, v48, s[16:17]
	v_cndmask_b32_e64 v16, v14, v49, s[18:19]
	v_max3_f32 v13, v13, v15, v16
	v_or_b32_e32 v15, 18, v12
	v_or_b32_e32 v16, 19, v12
	v_cmp_gt_i32_e64 s[20:21], s7, v15
	v_cmp_gt_i32_e64 s[22:23], s7, v16
	v_cvt_f32_i32_e32 v17, v17
	v_cndmask_b32_e64 v15, v14, v40, s[20:21]
	v_cndmask_b32_e64 v16, v14, v41, s[22:23]
	v_max3_f32 v13, v13, v15, v16
	v_or_b32_e32 v15, 32, v12
	v_or_b32_e32 v16, 33, v12
	v_cmp_gt_i32_e64 s[24:25], s7, v15
	v_cmp_gt_i32_e64 s[26:27], s7, v16
	v_fma_f32 v34, v63, v17, v34
	v_cndmask_b32_e64 v15, v14, v42, s[24:25]
	v_cndmask_b32_e64 v16, v14, v43, s[26:27]
	v_max3_f32 v13, v13, v15, v16
	v_or_b32_e32 v15, 34, v12
	v_or_b32_e32 v16, 35, v12
	v_cmp_gt_i32_e64 s[28:29], s7, v15
	v_cmp_gt_i32_e64 s[30:31], s7, v16
	s_nop 0
	v_cndmask_b32_e64 v15, v14, v38, s[28:29]
	v_cndmask_b32_e64 v16, v14, v39, s[30:31]
	v_max3_f32 v13, v13, v15, v16
	v_or_b32_e32 v15, 48, v12
	v_or_b32_e32 v16, 49, v12
	v_cmp_gt_i32_e64 s[34:35], s7, v15
	v_cmp_gt_i32_e64 s[36:37], s7, v16
	s_nop 0
	v_cndmask_b32_e64 v15, v14, v36, s[34:35]
	v_cndmask_b32_e64 v16, v14, v37, s[36:37]
	v_max3_f32 v13, v13, v15, v16
	v_or_b32_e32 v15, 50, v12
	v_or_b32_e32 v12, 51, v12
	v_cmp_gt_i32_e32 vcc, s7, v15
	v_cmp_gt_i32_e64 s[4:5], s7, v12
	s_nop 0
	v_cndmask_b32_e32 v15, v14, v34, vcc
	v_cndmask_b32_e64 v12, v14, v35, s[4:5]
	v_max3_f32 v16, v13, v15, v12
	v_mbcnt_lo_u32_b32 v12, -1, 0
	v_mbcnt_hi_u32_b32 v17, -1, v12
	v_and_b32_e32 v12, 64, v17
	v_add_u32_e32 v18, 64, v12
	v_xor_b32_e32 v12, 32, v17
	v_cmp_lt_i32_e64 s[38:39], v12, v18
	s_nop 1
	v_cndmask_b32_e64 v12, v17, v12, s[38:39]
	v_lshlrev_b32_e32 v52, 2, v12
	ds_bpermute_b32 v19, v52, v16
	v_lshl_add_u64 v[12:13], v[46:47], 0, v[58:59]
	v_mad_i64_i32 v[14:15], s[38:39], v68, s45, v[12:13]
	s_waitcnt lgkmcnt(0)
	v_max_f32_e32 v19, v19, v19
	v_max_f32_e32 v19, v16, v19
	v_xor_b32_e32 v16, 16, v17
	v_cmp_lt_i32_e64 s[38:39], v16, v18
	s_nop 1
	v_cndmask_b32_e64 v16, v17, v16, s[38:39]
	v_lshlrev_b32_e32 v53, 2, v16
	ds_bpermute_b32 v18, v53, v19
	v_mad_i64_i32 v[16:17], s[38:39], v66, s45, v[12:13]
	v_mad_i64_i32 v[44:45], s[38:39], v67, s45, v[12:13]
	s_waitcnt lgkmcnt(0)
	v_max_f32_e32 v18, v18, v18
	v_max_f32_e32 v50, v19, v18
	v_sub_f32_e32 v10, v10, v50
	v_mul_f32_e32 v10, 0x3fb8aa3b, v10
	v_exp_f32_e32 v18, v10
	v_sub_f32_e32 v10, v11, v50
	v_mul_f32_e32 v10, 0x3fb8aa3b, v10
	v_exp_f32_e32 v19, v10
	v_mad_i64_i32 v[10:11], s[38:39], v65, s45, v[12:13]
	v_sub_f32_e32 v12, v51, v50
	v_mul_f32_e32 v12, 0x3fb8aa3b, v12
	v_cndmask_b32_e64 v46, 0, v18, s[8:9]
	v_cndmask_b32_e64 v47, 0, v19, s[10:11]
	v_sub_f32_e32 v58, v31, v50
	global_load_dwordx4 v[30:33], v[14:15], off
	global_load_dwordx4 v[18:21], v[16:17], off
	v_exp_f32_e32 v51, v12
	global_load_dwordx4 v[14:17], v[44:45], off
	s_nop 0
	global_load_dwordx4 v[10:13], v[10:11], off
	v_sub_f32_e32 v45, v48, v50
	v_sub_f32_e32 v48, v49, v50
	v_sub_f32_e32 v40, v40, v50
	v_sub_f32_e32 v42, v42, v50
	v_mul_f32_e32 v44, 0x3fb8aa3b, v58
	v_mul_f32_e32 v45, 0x3fb8aa3b, v45
	;; [unrolled: 1-line block ×5, first 2 shown]
	v_exp_f32_e32 v44, v44
	v_exp_f32_e32 v45, v45
	;; [unrolled: 1-line block ×3, first 2 shown]
	v_cndmask_b32_e64 v48, 0, v51, s[12:13]
	v_exp_f32_e32 v40, v40
	v_exp_f32_e32 v51, v42
	v_sub_f32_e32 v42, v43, v50
	v_mul_f32_e32 v42, 0x3fb8aa3b, v42
	v_cndmask_b32_e64 v49, 0, v44, s[14:15]
	v_cndmask_b32_e64 v44, 0, v45, s[16:17]
	;; [unrolled: 1-line block ×3, first 2 shown]
	v_sub_f32_e32 v41, v41, v50
	v_exp_f32_e32 v58, v42
	v_cndmask_b32_e64 v42, 0, v40, s[20:21]
	v_cndmask_b32_e64 v40, 0, v51, s[24:25]
	v_add_f32_e32 v51, 0, v46
	v_mul_f32_e32 v41, 0x3fb8aa3b, v41
	v_add_f32_e32 v51, v51, v47
	v_exp_f32_e32 v41, v41
	v_add_f32_e32 v51, v51, v48
	v_sub_f32_e32 v38, v38, v50
	v_add_f32_e32 v51, v51, v49
	v_sub_f32_e32 v39, v39, v50
	v_mul_f32_e32 v38, 0x3fb8aa3b, v38
	v_add_f32_e32 v51, v51, v44
	v_exp_f32_e32 v38, v38
	v_mul_f32_e32 v39, 0x3fb8aa3b, v39
	v_sub_f32_e32 v36, v36, v50
	v_add_f32_e32 v51, v51, v45
	v_cndmask_b32_e64 v43, 0, v41, s[22:23]
	v_exp_f32_e32 v39, v39
	v_mul_f32_e32 v36, 0x3fb8aa3b, v36
	v_sub_f32_e32 v37, v37, v50
	v_add_f32_e32 v51, v51, v42
	v_exp_f32_e32 v36, v36
	v_mul_f32_e32 v37, 0x3fb8aa3b, v37
	v_add_f32_e32 v51, v51, v43
	v_sub_f32_e32 v34, v34, v50
	v_cndmask_b32_e64 v41, 0, v58, s[26:27]
	v_exp_f32_e32 v37, v37
	v_add_f32_e32 v51, v51, v40
	v_mul_f32_e32 v34, 0x3fb8aa3b, v34
	v_sub_f32_e32 v35, v35, v50
	v_cndmask_b32_e64 v38, 0, v38, s[28:29]
	v_add_f32_e32 v51, v51, v41
	v_exp_f32_e32 v34, v34
	v_mul_f32_e32 v35, 0x3fb8aa3b, v35
	v_cndmask_b32_e64 v39, 0, v39, s[30:31]
	v_add_f32_e32 v51, v51, v38
	v_exp_f32_e32 v35, v35
	v_cndmask_b32_e64 v36, 0, v36, s[34:35]
	v_add_f32_e32 v51, v51, v39
	v_cndmask_b32_e64 v37, 0, v37, s[36:37]
	v_add_f32_e32 v51, v51, v36
	v_add_f32_e32 v51, v51, v37
	v_cndmask_b32_e32 v34, 0, v34, vcc
	v_add_f32_e32 v51, v51, v34
	v_cndmask_b32_e64 v35, 0, v35, s[4:5]
	v_add_f32_e32 v51, v51, v35
	ds_bpermute_b32 v52, v52, v51
	v_cmp_gt_u32_e32 vcc, 16, v55
	s_waitcnt lgkmcnt(0)
	s_barrier
	v_add_f32_e32 v51, v51, v52
	ds_bpermute_b32 v52, v53, v51
	s_and_saveexec_b64 s[4:5], vcc
	s_cbranch_execz .LBB1341_15
; %bb.14:
	s_waitcnt lgkmcnt(0)
	v_add_f32_e32 v51, v51, v52
	v_lshlrev_b32_e32 v52, 2, v64
	ds_write2st64_b32 v52, v50, v51 offset1:1
.LBB1341_15:
	s_or_b64 exec, exec, s[4:5]
	v_lshlrev_b32_e32 v51, 2, v56
	s_load_dword s7, s[0:1], 0x94
	s_waitcnt lgkmcnt(0)
	s_barrier
	ds_read2_b32 v[52:53], v51 offset1:16
	ds_read2_b32 v[58:59], v51 offset0:32 offset1:48
	ds_read2_b32 v[60:61], v51 offset0:64 offset1:80
	s_movk_i32 s9, 0x7fff
	s_mul_i32 s8, s44, 14
	s_waitcnt lgkmcnt(2)
	v_max3_f32 v50, v52, s40, v53
	s_waitcnt lgkmcnt(1)
	v_max3_f32 v50, v50, v58, v59
	v_sub_f32_e32 v52, v52, v50
	v_mul_f32_e32 v52, 0x3fb8aa3b, v52
	v_exp_f32_e32 v55, v52
	v_sub_f32_e32 v52, v53, v50
	v_mul_f32_e32 v52, 0x3fb8aa3b, v52
	v_exp_f32_e32 v63, v52
	;; [unrolled: 3-line block ×3, first 2 shown]
	ds_read2_b32 v[52:53], v51 offset0:96 offset1:112
	v_sub_f32_e32 v51, v59, v50
	v_mul_f32_e32 v51, 0x3fb8aa3b, v51
	v_exp_f32_e32 v59, v51
	s_waitcnt lgkmcnt(1)
	v_fma_f32 v51, v55, v60, 0
	v_fmac_f32_e32 v51, v63, v61
	s_waitcnt lgkmcnt(0)
	v_fmac_f32_e32 v51, v58, v52
	v_fmac_f32_e32 v51, v59, v53
	v_add_f32_e32 v52, 0x358637bd, v51
	v_div_scale_f32 v53, s[4:5], v52, v52, 1.0
	v_rcp_f32_e32 v60, v53
	s_barrier
	v_fma_f32 v61, -v53, v60, 1.0
	v_fmac_f32_e32 v60, v61, v60
	v_div_scale_f32 v61, vcc, 1.0, v52, 1.0
	v_mul_f32_e32 v64, v61, v60
	v_fma_f32 v65, -v53, v64, v61
	v_fmac_f32_e32 v64, v65, v60
	v_fma_f32 v53, -v53, v64, v61
	v_div_fmas_f32 v53, v53, v60, v64
	v_cmp_eq_u32_e32 vcc, 1, v57
	v_div_fixup_f32 v52, v53, v52, 1.0
	s_nop 0
	v_cndmask_b32_e32 v53, v55, v63, vcc
	v_cmp_eq_u32_e32 vcc, 2, v57
	s_nop 1
	v_cndmask_b32_e32 v53, v53, v58, vcc
	v_cmp_eq_u32_e32 vcc, 3, v57
	s_nop 1
	v_cndmask_b32_e32 v53, v53, v59, vcc
	v_mul_f32_e32 v52, v53, v52
	v_pk_mul_f32 v[46:47], v[52:53], v[46:47] op_sel_hi:[0,1]
	v_pk_mul_f32 v[48:49], v[52:53], v[48:49] op_sel_hi:[0,1]
	v_bfe_u32 v53, v47, 16, 1
	v_bfe_u32 v55, v46, 16, 1
	v_add3_u32 v46, v46, v55, s9
	v_add3_u32 v47, v47, v53, s9
	v_perm_b32 v58, v47, v46, s33
	v_bfe_u32 v46, v49, 16, 1
	v_bfe_u32 v47, v48, 16, 1
	v_add3_u32 v47, v48, v47, s9
	v_add3_u32 v46, v49, v46, s9
	v_perm_b32 v59, v46, v47, s33
	v_lshlrev_b32_e32 v47, 3, v62
	v_lshlrev_b32_e32 v46, 5, v56
	;; [unrolled: 1-line block ×3, first 2 shown]
	v_pk_mul_f32 v[44:45], v[52:53], v[44:45] op_sel_hi:[0,1]
	v_or3_b32 v55, v48, v46, v47
	v_bfe_u32 v47, v45, 16, 1
	v_bfe_u32 v48, v44, 16, 1
	v_pk_mul_f32 v[42:43], v[52:53], v[42:43] op_sel_hi:[0,1]
	v_add3_u32 v44, v44, v48, s9
	v_add3_u32 v45, v45, v47, s9
	v_perm_b32 v44, v45, v44, s33
	v_bfe_u32 v45, v43, 16, 1
	v_bfe_u32 v47, v42, 16, 1
	v_add3_u32 v42, v42, v47, s9
	v_add3_u32 v43, v43, v45, s9
	v_pk_mul_f32 v[40:41], v[52:53], v[40:41] op_sel_hi:[0,1]
	v_perm_b32 v45, v43, v42, s33
	v_bfe_u32 v42, v41, 16, 1
	v_bfe_u32 v43, v40, 16, 1
	v_pk_mul_f32 v[38:39], v[52:53], v[38:39] op_sel_hi:[0,1]
	v_add3_u32 v40, v40, v43, s9
	v_add3_u32 v41, v41, v42, s9
	v_perm_b32 v40, v41, v40, s33
	v_bfe_u32 v41, v39, 16, 1
	v_bfe_u32 v42, v38, 16, 1
	v_add3_u32 v38, v38, v42, s9
	v_add3_u32 v39, v39, v41, s9
	v_pk_mul_f32 v[36:37], v[52:53], v[36:37] op_sel_hi:[0,1]
	v_perm_b32 v41, v39, v38, s33
	v_bfe_u32 v38, v37, 16, 1
	v_bfe_u32 v39, v36, 16, 1
	v_pk_mul_f32 v[34:35], v[52:53], v[34:35] op_sel_hi:[0,1]
	v_add3_u32 v36, v36, v39, s9
	v_add3_u32 v37, v37, v38, s9
	v_perm_b32 v36, v37, v36, s33
	v_bfe_u32 v37, v35, 16, 1
	v_bfe_u32 v38, v34, 16, 1
	v_add3_u32 v34, v34, v38, s9
	v_add3_u32 v35, v35, v37, s9
	v_perm_b32 v37, v35, v34, s33
	v_cmp_gt_u32_e32 vcc, 14, v0
	ds_write2st64_b64 v55, v[58:59], v[44:45] offset1:1
	ds_write2st64_b64 v55, v[40:41], v[36:37] offset0:2 offset1:3
	s_and_saveexec_b64 s[4:5], vcc
	s_cbranch_execz .LBB1341_17
; %bb.16:
	s_mov_b32 s49, 0
	v_mov_b32_e32 v57, 0
	v_lshl_add_u64 v[34:35], s[48:49], 0, v[56:57]
	v_mov_b32_e32 v36, s8
	v_mad_u64_u32 v[34:35], s[10:11], s2, v36, v[34:35]
	s_mul_i32 s3, s3, s8
	v_mov_b32_e32 v36, s6
	v_mov_b32_e32 v37, v57
	s_load_dwordx4 s[12:15], s[0:1], 0x58
	v_add_u32_e32 v38, s3, v35
	v_mad_u64_u32 v[34:35], s[10:11], v34, s7, v[36:37]
	v_mov_b32_e32 v36, v35
	v_mad_u64_u32 v[36:37], s[10:11], v38, s7, v[36:37]
	v_mov_b32_e32 v35, v36
	v_lshlrev_b64 v[34:35], 2, v[34:35]
	s_waitcnt lgkmcnt(0)
	v_lshl_add_u64 v[36:37], s[14:15], 0, v[34:35]
	v_lshl_add_u64 v[34:35], s[12:13], 0, v[34:35]
	global_store_dword v[36:37], v50, off
	global_store_dword v[34:35], v51, off
.LBB1341_17:
	s_or_b64 exec, exec, s[4:5]
	s_waitcnt vmcnt(7)
	v_cvt_pk_f32_fp8_e32 v[34:35], v6
	v_cvt_pk_f32_fp8_sdwa v[36:37], v6 src0_sel:WORD_1
	v_lshl_or_b32 v50, v62, 9, v46
	s_mov_b32 s5, 0x7060302
	s_waitcnt lgkmcnt(0)
	s_barrier
	v_cvt_pk_f32_fp8_e32 v[38:39], v7
	v_perm_b32 v6, v35, v34, s5
	v_cvt_pk_f32_fp8_sdwa v[40:41], v7 src0_sel:WORD_1
	v_perm_b32 v7, v37, v36, s5
	ds_read_b128 v[34:37], v50
	v_perm_b32 v46, v39, v38, s5
	v_perm_b32 v47, v41, v40, s5
	ds_read_b128 v[38:41], v50 offset:16
	v_cvt_pk_f32_fp8_e32 v[48:49], v8
	v_cvt_pk_f32_fp8_sdwa v[52:53], v8 src0_sel:WORD_1
	s_waitcnt lgkmcnt(1)
	v_mfma_f32_16x16x16_bf16 v[42:45], v[6:7], v[34:35], 0
	s_waitcnt vmcnt(6)
	v_cvt_pk_f32_fp8_e32 v[58:59], v4
	v_perm_b32 v6, v49, v48, s5
	v_perm_b32 v7, v53, v52, s5
	v_cvt_pk_f32_fp8_e32 v[48:49], v9
	v_mfma_f32_16x16x16_bf16 v[42:45], v[46:47], v[36:37], v[42:45]
	v_cvt_pk_f32_fp8_sdwa v[46:47], v9 src0_sel:WORD_1
	v_cvt_pk_f32_fp8_sdwa v[60:61], v4 src0_sel:WORD_1
	v_perm_b32 v48, v49, v48, s5
	s_waitcnt lgkmcnt(0)
	v_mfma_f32_16x16x16_bf16 v[6:9], v[6:7], v[38:39], v[42:45]
	v_perm_b32 v49, v47, v46, s5
	s_waitcnt vmcnt(5)
	v_cvt_pk_f32_fp8_e32 v[64:65], v28
	v_cvt_pk_f32_fp8_sdwa v[66:67], v28 src0_sel:WORD_1
	v_cvt_pk_f32_fp8_e32 v[42:43], v2
	v_mfma_f32_16x16x16_bf16 v[46:49], v[48:49], v[40:41], v[6:9]
	s_waitcnt vmcnt(4)
	v_cvt_pk_f32_fp8_sdwa v[68:69], v24 src0_sel:WORD_1
	s_load_dword s4, s[42:43], 0x0
	v_cvt_pk_f32_fp8_sdwa v[6:7], v2 src0_sel:WORD_1
	v_cvt_pk_f32_fp8_e32 v[8:9], v3
	v_perm_b32 v2, v43, v42, s5
	v_cvt_pk_f32_fp8_sdwa v[42:43], v3 src0_sel:WORD_1
	v_perm_b32 v3, v7, v6, s5
	v_perm_b32 v52, v9, v8, s5
	ds_read_b128 v[6:9], v50 offset:2048
	v_perm_b32 v53, v43, v42, s5
	ds_read_b128 v[42:45], v50 offset:2064
	s_waitcnt lgkmcnt(0)
	v_mfma_f32_16x16x16_bf16 v[46:49], v[2:3], v[6:7], v[46:49]
	v_perm_b32 v2, v59, v58, s5
	v_perm_b32 v3, v61, v60, s5
	v_cvt_pk_f32_fp8_e32 v[58:59], v5
	v_mfma_f32_16x16x16_bf16 v[46:49], v[52:53], v[8:9], v[46:49]
	v_cvt_pk_f32_fp8_sdwa v[52:53], v5 src0_sel:WORD_1
	s_waitcnt vmcnt(3)
	v_cvt_pk_f32_fp8_sdwa v[70:71], v32 src0_sel:WORD_1
	v_perm_b32 v58, v59, v58, s5
	v_mfma_f32_16x16x16_bf16 v[2:5], v[2:3], v[42:43], v[46:49]
	v_perm_b32 v59, v53, v52, s5
	s_mov_b32 s3, 0
	v_cmp_gt_u32_e32 vcc, 64, v0
	v_cvt_pk_f32_fp8_e32 v[46:47], v26
	v_mfma_f32_16x16x16_bf16 v[58:61], v[58:59], v[44:45], v[2:5]
	s_nop 2
	v_cvt_pk_f32_fp8_sdwa v[2:3], v26 src0_sel:WORD_1
	v_cvt_pk_f32_fp8_e32 v[4:5], v27
	v_perm_b32 v26, v47, v46, s5
	v_cvt_pk_f32_fp8_sdwa v[46:47], v27 src0_sel:WORD_1
	v_perm_b32 v27, v3, v2, s5
	v_perm_b32 v52, v5, v4, s5
	ds_read_b128 v[2:5], v50 offset:4096
	v_perm_b32 v53, v47, v46, s5
	ds_read_b128 v[46:49], v50 offset:4112
	s_waitcnt lgkmcnt(1)
	v_mfma_f32_16x16x16_bf16 v[58:61], v[26:27], v[2:3], v[58:61]
	v_perm_b32 v26, v65, v64, s5
	v_perm_b32 v27, v67, v66, s5
	v_cvt_pk_f32_fp8_e32 v[64:65], v29
	v_mfma_f32_16x16x16_bf16 v[58:61], v[52:53], v[4:5], v[58:61]
	v_cvt_pk_f32_fp8_sdwa v[52:53], v29 src0_sel:WORD_1
	v_cvt_pk_f32_fp8_e32 v[66:67], v24
	v_perm_b32 v64, v65, v64, s5
	s_waitcnt lgkmcnt(0)
	v_mfma_f32_16x16x16_bf16 v[26:29], v[26:27], v[46:47], v[58:61]
	v_perm_b32 v65, v53, v52, s5
	v_cvt_pk_f32_fp8_e32 v[52:53], v22
	s_nop 0
	v_mfma_f32_16x16x16_bf16 v[58:61], v[64:65], v[48:49], v[26:29]
	s_nop 2
	v_cvt_pk_f32_fp8_sdwa v[26:27], v22 src0_sel:WORD_1
	v_cvt_pk_f32_fp8_e32 v[28:29], v23
	v_perm_b32 v22, v53, v52, s5
	v_cvt_pk_f32_fp8_sdwa v[52:53], v23 src0_sel:WORD_1
	v_perm_b32 v23, v27, v26, s5
	v_perm_b32 v64, v29, v28, s5
	ds_read_b128 v[26:29], v50 offset:6144
	v_perm_b32 v65, v53, v52, s5
	s_waitcnt lgkmcnt(0)
	v_mfma_f32_16x16x16_bf16 v[58:61], v[22:23], v[26:27], v[58:61]
	ds_read_b128 v[50:53], v50 offset:6160
	v_perm_b32 v22, v67, v66, s5
	v_perm_b32 v23, v69, v68, s5
	v_cvt_pk_f32_fp8_e32 v[66:67], v25
	v_mfma_f32_16x16x16_bf16 v[58:61], v[64:65], v[28:29], v[58:61]
	v_cvt_pk_f32_fp8_sdwa v[64:65], v25 src0_sel:WORD_1
	v_cvt_pk_f32_fp8_e32 v[68:69], v32
	v_perm_b32 v66, v67, v66, s5
	s_waitcnt lgkmcnt(0)
	v_mfma_f32_16x16x16_bf16 v[22:25], v[22:23], v[50:51], v[58:61]
	v_perm_b32 v67, v65, v64, s5
	s_barrier
	s_nop 0
	v_mfma_f32_16x16x16_bf16 v[58:61], v[66:67], v[52:53], v[22:25]
	s_nop 2
	v_cvt_pk_f32_fp8_e32 v[24:25], v30
	v_perm_b32 v24, v25, v24, s5
	s_nop 1
	v_pk_mul_f32 v[22:23], v[60:61], s[4:5] op_sel_hi:[1,0]
	v_cvt_pk_f32_fp8_sdwa v[60:61], v30 src0_sel:WORD_1
	v_pk_mul_f32 v[64:65], v[58:59], s[4:5] op_sel_hi:[1,0]
	v_cvt_pk_f32_fp8_e32 v[58:59], v31
	v_cvt_pk_f32_fp8_sdwa v[30:31], v31 src0_sel:WORD_1
	v_perm_b32 v25, v61, v60, s5
	v_bfe_u32 v57, v65, 16, 1
	v_perm_b32 v66, v59, v58, s5
	v_perm_b32 v67, v31, v30, s5
	v_mfma_f32_16x16x16_bf16 v[58:61], v[24:25], v[34:35], 0
	v_perm_b32 v24, v69, v68, s5
	v_perm_b32 v25, v71, v70, s5
	v_cvt_pk_f32_fp8_e32 v[34:35], v33
	v_cvt_pk_f32_fp8_sdwa v[68:69], v33 src0_sel:WORD_1
	v_mfma_f32_16x16x16_bf16 v[30:33], v[66:67], v[36:37], v[58:61]
	s_waitcnt vmcnt(2)
	v_cvt_pk_f32_fp8_sdwa v[36:37], v18 src0_sel:WORD_1
	v_perm_b32 v34, v35, v34, s5
	v_perm_b32 v35, v69, v68, s5
	v_mfma_f32_16x16x16_bf16 v[30:33], v[24:25], v[38:39], v[30:33]
	v_cvt_pk_f32_fp8_e32 v[24:25], v18
	v_cvt_pk_f32_fp8_sdwa v[38:39], v20 src0_sel:WORD_1
	v_bfe_u32 v58, v64, 16, 1
	v_mfma_f32_16x16x16_bf16 v[30:33], v[34:35], v[40:41], v[30:33]
	v_cvt_pk_f32_fp8_e32 v[34:35], v19
	v_perm_b32 v24, v25, v24, s5
	v_perm_b32 v25, v37, v36, s5
	v_cvt_pk_f32_fp8_sdwa v[18:19], v19 src0_sel:WORD_1
	v_perm_b32 v34, v35, v34, s5
	v_cvt_pk_f32_fp8_e32 v[36:37], v20
	v_mfma_f32_16x16x16_bf16 v[30:33], v[24:25], v[6:7], v[30:33]
	v_perm_b32 v35, v19, v18, s5
	v_perm_b32 v18, v37, v36, s5
	;; [unrolled: 1-line block ×3, first 2 shown]
	v_cvt_pk_f32_fp8_e32 v[24:25], v21
	v_cvt_pk_f32_fp8_sdwa v[20:21], v21 src0_sel:WORD_1
	v_mfma_f32_16x16x16_bf16 v[6:9], v[34:35], v[8:9], v[30:33]
	v_perm_b32 v24, v25, v24, s5
	v_perm_b32 v25, v21, v20, s5
	v_mfma_f32_16x16x16_bf16 v[6:9], v[18:19], v[42:43], v[6:9]
	s_waitcnt vmcnt(1)
	v_cvt_pk_f32_fp8_e32 v[18:19], v14
	v_cvt_pk_f32_fp8_sdwa v[20:21], v14 src0_sel:WORD_1
	v_cvt_pk_f32_fp8_sdwa v[30:31], v16 src0_sel:WORD_1
	v_mfma_f32_16x16x16_bf16 v[6:9], v[24:25], v[44:45], v[6:9]
	v_cvt_pk_f32_fp8_e32 v[24:25], v15
	v_perm_b32 v18, v19, v18, s5
	v_perm_b32 v19, v21, v20, s5
	v_cvt_pk_f32_fp8_sdwa v[14:15], v15 src0_sel:WORD_1
	v_perm_b32 v20, v25, v24, s5
	v_cvt_pk_f32_fp8_e32 v[24:25], v16
	v_mfma_f32_16x16x16_bf16 v[6:9], v[18:19], v[2:3], v[6:9]
	v_perm_b32 v21, v15, v14, s5
	v_perm_b32 v14, v25, v24, s5
	;; [unrolled: 1-line block ×3, first 2 shown]
	v_cvt_pk_f32_fp8_e32 v[18:19], v17
	v_cvt_pk_f32_fp8_sdwa v[16:17], v17 src0_sel:WORD_1
	v_mfma_f32_16x16x16_bf16 v[2:5], v[20:21], v[4:5], v[6:9]
	v_add3_u32 v32, v64, v58, s9
	v_add3_u32 v33, v65, v57, s9
	s_nop 0
	v_perm_b32 v8, v19, v18, s5
	v_perm_b32 v9, v17, v16, s5
	v_mfma_f32_16x16x16_bf16 v[2:5], v[14:15], v[46:47], v[2:5]
	s_waitcnt vmcnt(0)
	v_cvt_pk_f32_fp8_e32 v[14:15], v10
	v_cvt_pk_f32_fp8_sdwa v[16:17], v10 src0_sel:WORD_1
	v_cvt_pk_f32_fp8_sdwa v[18:19], v12 src0_sel:WORD_1
	v_mfma_f32_16x16x16_bf16 v[2:5], v[8:9], v[48:49], v[2:5]
	v_cvt_pk_f32_fp8_e32 v[8:9], v11
	v_perm_b32 v14, v15, v14, s5
	v_perm_b32 v15, v17, v16, s5
	v_cvt_pk_f32_fp8_sdwa v[10:11], v11 src0_sel:WORD_1
	v_perm_b32 v8, v9, v8, s5
	v_cvt_pk_f32_fp8_e32 v[16:17], v12
	v_mfma_f32_16x16x16_bf16 v[2:5], v[14:15], v[26:27], v[2:5]
	v_perm_b32 v9, v11, v10, s5
	v_perm_b32 v10, v17, v16, s5
	;; [unrolled: 1-line block ×3, first 2 shown]
	v_cvt_pk_f32_fp8_e32 v[14:15], v13
	v_cvt_pk_f32_fp8_sdwa v[12:13], v13 src0_sel:WORD_1
	v_mfma_f32_16x16x16_bf16 v[2:5], v[8:9], v[28:29], v[2:5]
	v_bfe_u32 v7, v23, 16, 1
	v_perm_b32 v8, v15, v14, s5
	v_perm_b32 v9, v13, v12, s5
	v_mfma_f32_16x16x16_bf16 v[2:5], v[10:11], v[50:51], v[2:5]
	v_bfe_u32 v16, v22, 16, 1
	v_add3_u32 v10, v22, v16, s9
	v_add3_u32 v7, v23, v7, s9
	v_mfma_f32_16x16x16_bf16 v[2:5], v[8:9], v[52:53], v[2:5]
	v_perm_b32 v6, v33, v32, s5
	v_perm_b32 v7, v7, v10, s5
	s_nop 4
	v_pk_mul_f32 v[2:3], v[2:3], s[4:5] op_sel_hi:[1,0]
	v_pk_mul_f32 v[4:5], v[4:5], s[4:5] op_sel_hi:[1,0]
	v_bfe_u32 v8, v3, 16, 1
	v_bfe_u32 v9, v2, 16, 1
	v_add3_u32 v2, v2, v9, s9
	v_add3_u32 v3, v3, v8, s9
	v_perm_b32 v2, v3, v2, s5
	v_bfe_u32 v3, v5, 16, 1
	v_bfe_u32 v8, v4, 16, 1
	v_add3_u32 v4, v4, v8, s9
	v_add3_u32 v3, v5, v3, s9
	v_perm_b32 v3, v3, v4, s5
	ds_write2st64_b64 v55, v[6:7], v[2:3] offset1:1
	s_waitcnt lgkmcnt(0)
	s_barrier
	s_and_saveexec_b64 s[4:5], vcc
	s_cbranch_execz .LBB1341_20
; %bb.18:
	s_load_dwordx2 s[4:5], s[0:1], 0x68
	s_lshl_b32 s0, s7, 7
	s_mul_i32 s1, s8, s2
	v_lshlrev_b32_e32 v3, 6, v56
	s_mul_hi_u32 s9, s1, s0
	s_mul_i32 s8, s1, s0
	v_lshl_or_b32 v0, v0, 10, v3
	s_lshl_b64 s[8:9], s[8:9], 1
	v_lshlrev_b32_e32 v2, 5, v62
	v_and_b32_e32 v1, 16, v1
	v_and_b32_e32 v0, 0x1a00, v0
	s_waitcnt lgkmcnt(0)
	s_add_u32 s1, s4, s8
	v_or3_b32 v2, v0, v2, v1
	s_addc_u32 s4, s5, s9
	s_lshl_b32 s2, s6, 7
	ds_read_b128 v[4:7], v2 offset:256
	s_lshl_b64 s[2:3], s[2:3], 1
	ds_read_b128 v[8:11], v2 offset:128
	ds_read_b128 v[12:15], v2
	s_add_u32 s2, s1, s2
	s_addc_u32 s3, s4, s3
	v_mov_b32_e32 v55, 0
	v_add_u32_e32 v18, s48, v62
	v_lshl_add_u64 v[0:1], s[2:3], 0, v[54:55]
	v_mad_u64_u32 v[16:17], s[2:3], v18, s0, 0
	v_lshl_add_u64 v[16:17], v[16:17], 1, v[0:1]
	s_waitcnt lgkmcnt(0)
	global_store_dwordx4 v[16:17], v[12:15], off
	v_or_b32_e32 v3, 12, v62
	v_cmp_gt_u32_e32 vcc, 14, v3
	v_add_u32_e32 v12, 4, v18
	v_mad_u64_u32 v[12:13], s[2:3], v12, s0, 0
	v_lshl_add_u64 v[12:13], v[12:13], 1, v[0:1]
	global_store_dwordx4 v[12:13], v[8:11], off
	s_nop 1
	v_add_u32_e32 v8, 8, v18
	v_mad_u64_u32 v[8:9], s[2:3], v8, s0, 0
	v_lshl_add_u64 v[8:9], v[8:9], 1, v[0:1]
	global_store_dwordx4 v[8:9], v[4:7], off
	s_and_b64 exec, exec, vcc
	s_cbranch_execz .LBB1341_20
; %bb.19:
	ds_read_b128 v[4:7], v2 offset:384
	v_add_u32_e32 v2, s48, v3
	v_mad_u64_u32 v[2:3], s[0:1], v2, s0, 0
	v_lshl_add_u64 v[0:1], v[2:3], 1, v[0:1]
	s_waitcnt lgkmcnt(0)
	global_store_dwordx4 v[0:1], v[4:7], off
.LBB1341_20:
	s_endpgm
	.section	.rodata,"a",@progbits
	.p2align	6, 0x0
	.amdhsa_kernel _Z39paged_attention_ll4mi_QKV_mfma16_kernelI14__hip_bfloat16hLN4vllm18Fp8KVCacheDataTypeE1EhLi32ELi128ELi256ELb1ELi14EEvPKT_PKT0_S8_ifPKiSA_SA_iPKfiiiPfSD_PS3_PT2_iSC_SC_
		.amdhsa_group_segment_fixed_size 8192
		.amdhsa_private_segment_fixed_size 0
		.amdhsa_kernarg_size 400
		.amdhsa_user_sgpr_count 2
		.amdhsa_user_sgpr_dispatch_ptr 0
		.amdhsa_user_sgpr_queue_ptr 0
		.amdhsa_user_sgpr_kernarg_segment_ptr 1
		.amdhsa_user_sgpr_dispatch_id 0
		.amdhsa_user_sgpr_kernarg_preload_length 0
		.amdhsa_user_sgpr_kernarg_preload_offset 0
		.amdhsa_user_sgpr_private_segment_size 0
		.amdhsa_uses_dynamic_stack 0
		.amdhsa_enable_private_segment 0
		.amdhsa_system_sgpr_workgroup_id_x 1
		.amdhsa_system_sgpr_workgroup_id_y 1
		.amdhsa_system_sgpr_workgroup_id_z 1
		.amdhsa_system_sgpr_workgroup_info 0
		.amdhsa_system_vgpr_workitem_id 0
		.amdhsa_next_free_vgpr 78
		.amdhsa_next_free_sgpr 50
		.amdhsa_accum_offset 80
		.amdhsa_reserve_vcc 1
		.amdhsa_float_round_mode_32 0
		.amdhsa_float_round_mode_16_64 0
		.amdhsa_float_denorm_mode_32 3
		.amdhsa_float_denorm_mode_16_64 3
		.amdhsa_dx10_clamp 1
		.amdhsa_ieee_mode 1
		.amdhsa_fp16_overflow 0
		.amdhsa_tg_split 0
		.amdhsa_exception_fp_ieee_invalid_op 0
		.amdhsa_exception_fp_denorm_src 0
		.amdhsa_exception_fp_ieee_div_zero 0
		.amdhsa_exception_fp_ieee_overflow 0
		.amdhsa_exception_fp_ieee_underflow 0
		.amdhsa_exception_fp_ieee_inexact 0
		.amdhsa_exception_int_div_zero 0
	.end_amdhsa_kernel
	.section	.text._Z39paged_attention_ll4mi_QKV_mfma16_kernelI14__hip_bfloat16hLN4vllm18Fp8KVCacheDataTypeE1EhLi32ELi128ELi256ELb1ELi14EEvPKT_PKT0_S8_ifPKiSA_SA_iPKfiiiPfSD_PS3_PT2_iSC_SC_,"axG",@progbits,_Z39paged_attention_ll4mi_QKV_mfma16_kernelI14__hip_bfloat16hLN4vllm18Fp8KVCacheDataTypeE1EhLi32ELi128ELi256ELb1ELi14EEvPKT_PKT0_S8_ifPKiSA_SA_iPKfiiiPfSD_PS3_PT2_iSC_SC_,comdat
.Lfunc_end1341:
	.size	_Z39paged_attention_ll4mi_QKV_mfma16_kernelI14__hip_bfloat16hLN4vllm18Fp8KVCacheDataTypeE1EhLi32ELi128ELi256ELb1ELi14EEvPKT_PKT0_S8_ifPKiSA_SA_iPKfiiiPfSD_PS3_PT2_iSC_SC_, .Lfunc_end1341-_Z39paged_attention_ll4mi_QKV_mfma16_kernelI14__hip_bfloat16hLN4vllm18Fp8KVCacheDataTypeE1EhLi32ELi128ELi256ELb1ELi14EEvPKT_PKT0_S8_ifPKiSA_SA_iPKfiiiPfSD_PS3_PT2_iSC_SC_
                                        ; -- End function
	.section	.AMDGPU.csdata,"",@progbits
; Kernel info:
; codeLenInByte = 6724
; NumSgprs: 56
; NumVgprs: 78
; NumAgprs: 0
; TotalNumVgprs: 78
; ScratchSize: 0
; MemoryBound: 0
; FloatMode: 240
; IeeeMode: 1
; LDSByteSize: 8192 bytes/workgroup (compile time only)
; SGPRBlocks: 6
; VGPRBlocks: 9
; NumSGPRsForWavesPerEU: 56
; NumVGPRsForWavesPerEU: 78
; AccumOffset: 80
; Occupancy: 6
; WaveLimiterHint : 1
; COMPUTE_PGM_RSRC2:SCRATCH_EN: 0
; COMPUTE_PGM_RSRC2:USER_SGPR: 2
; COMPUTE_PGM_RSRC2:TRAP_HANDLER: 0
; COMPUTE_PGM_RSRC2:TGID_X_EN: 1
; COMPUTE_PGM_RSRC2:TGID_Y_EN: 1
; COMPUTE_PGM_RSRC2:TGID_Z_EN: 1
; COMPUTE_PGM_RSRC2:TIDIG_COMP_CNT: 0
; COMPUTE_PGM_RSRC3_GFX90A:ACCUM_OFFSET: 19
; COMPUTE_PGM_RSRC3_GFX90A:TG_SPLIT: 0
	.section	.text._Z39paged_attention_ll4mi_QKV_mfma16_kernelI14__hip_bfloat16hLN4vllm18Fp8KVCacheDataTypeE1EhLi32ELi128ELi256ELb1ELi15EEvPKT_PKT0_S8_ifPKiSA_SA_iPKfiiiPfSD_PS3_PT2_iSC_SC_,"axG",@progbits,_Z39paged_attention_ll4mi_QKV_mfma16_kernelI14__hip_bfloat16hLN4vllm18Fp8KVCacheDataTypeE1EhLi32ELi128ELi256ELb1ELi15EEvPKT_PKT0_S8_ifPKiSA_SA_iPKfiiiPfSD_PS3_PT2_iSC_SC_,comdat
	.protected	_Z39paged_attention_ll4mi_QKV_mfma16_kernelI14__hip_bfloat16hLN4vllm18Fp8KVCacheDataTypeE1EhLi32ELi128ELi256ELb1ELi15EEvPKT_PKT0_S8_ifPKiSA_SA_iPKfiiiPfSD_PS3_PT2_iSC_SC_ ; -- Begin function _Z39paged_attention_ll4mi_QKV_mfma16_kernelI14__hip_bfloat16hLN4vllm18Fp8KVCacheDataTypeE1EhLi32ELi128ELi256ELb1ELi15EEvPKT_PKT0_S8_ifPKiSA_SA_iPKfiiiPfSD_PS3_PT2_iSC_SC_
	.globl	_Z39paged_attention_ll4mi_QKV_mfma16_kernelI14__hip_bfloat16hLN4vllm18Fp8KVCacheDataTypeE1EhLi32ELi128ELi256ELb1ELi15EEvPKT_PKT0_S8_ifPKiSA_SA_iPKfiiiPfSD_PS3_PT2_iSC_SC_
	.p2align	8
	.type	_Z39paged_attention_ll4mi_QKV_mfma16_kernelI14__hip_bfloat16hLN4vllm18Fp8KVCacheDataTypeE1EhLi32ELi128ELi256ELb1ELi15EEvPKT_PKT0_S8_ifPKiSA_SA_iPKfiiiPfSD_PS3_PT2_iSC_SC_,@function
_Z39paged_attention_ll4mi_QKV_mfma16_kernelI14__hip_bfloat16hLN4vllm18Fp8KVCacheDataTypeE1EhLi32ELi128ELi256ELb1ELi15EEvPKT_PKT0_S8_ifPKiSA_SA_iPKfiiiPfSD_PS3_PT2_iSC_SC_: ; @_Z39paged_attention_ll4mi_QKV_mfma16_kernelI14__hip_bfloat16hLN4vllm18Fp8KVCacheDataTypeE1EhLi32ELi128ELi256ELb1ELi15EEvPKT_PKT0_S8_ifPKiSA_SA_iPKfiiiPfSD_PS3_PT2_iSC_SC_
; %bb.0:
	s_load_dwordx2 s[10:11], s[0:1], 0x30
	s_mov_b32 s6, s3
	s_mov_b64 s[8:9], 0
	s_waitcnt lgkmcnt(0)
	s_cmp_lg_u64 s[10:11], 0
	s_cselect_b64 s[12:13], -1, 0
	s_and_b64 vcc, exec, s[12:13]
	s_cbranch_vccz .LBB1342_7
; %bb.1:
	s_add_i32 s14, s2, 1
	s_mov_b32 s15, 0
	s_lshl_b64 s[16:17], s[14:15], 2
	s_add_u32 s16, s10, s16
	s_mov_b32 s3, s15
	s_addc_u32 s17, s11, s17
	s_lshl_b64 s[14:15], s[2:3], 2
	s_add_u32 s14, s10, s14
	s_addc_u32 s15, s11, s15
	s_load_dword s5, s[16:17], 0x0
	s_load_dword s7, s[14:15], 0x0
	s_waitcnt lgkmcnt(0)
	s_sub_i32 s5, s5, s7
	s_cmp_eq_u32 s5, 1
	s_cselect_b64 s[14:15], -1, 0
	s_andn2_b64 vcc, exec, s[8:9]
	s_cbranch_vccnz .LBB1342_3
.LBB1342_2:
	s_mov_b32 s3, 0
	s_mov_b64 s[14:15], -1
.LBB1342_3:
	s_andn2_b64 vcc, exec, s[14:15]
	s_cbranch_vccnz .LBB1342_20
; %bb.4:
	s_load_dwordx2 s[8:9], s[0:1], 0x28
	s_lshl_b64 s[14:15], s[2:3], 2
	s_waitcnt lgkmcnt(0)
	s_add_u32 s8, s8, s14
	s_addc_u32 s9, s9, s15
	s_load_dword s7, s[8:9], 0x0
	s_lshl_b32 s18, s6, 8
	s_waitcnt lgkmcnt(0)
	s_cmp_ge_i32 s18, s7
	s_cbranch_scc1 .LBB1342_20
; %bb.5:
	s_load_dwordx2 s[8:9], s[0:1], 0x20
	s_load_dword s5, s[0:1], 0x38
	s_add_i32 s16, s7, 31
	s_ashr_i32 s17, s16, 31
	v_and_b32_e32 v1, 0xcf, v0
	s_lshr_b32 s17, s17, 27
	v_add_u32_e32 v1, s18, v1
	s_add_i32 s16, s16, s17
	v_ashrrev_i32_e32 v2, 31, v1
	s_ashr_i32 s19, s16, 5
	v_lshrrev_b32_e32 v4, 27, v2
	s_add_i32 s19, s19, -1
	s_waitcnt lgkmcnt(0)
	s_mul_i32 s16, s2, s5
	s_mov_b32 s17, 0
	v_add_u32_e32 v2, v1, v4
	s_lshl_b64 s[16:17], s[16:17], 2
	v_ashrrev_i32_e32 v2, 5, v2
	v_mov_b32_e32 v5, s19
	v_cmp_gt_i32_e32 vcc, s7, v1
	s_add_u32 s8, s8, s16
	s_addc_u32 s9, s9, s17
	v_cndmask_b32_e32 v2, v5, v2, vcc
	v_ashrrev_i32_e32 v3, 31, v2
	v_lshl_add_u64 v[6:7], v[2:3], 2, s[8:9]
	v_or_b32_e32 v2, 16, v1
	v_add_u32_e32 v3, v2, v4
	v_ashrrev_i32_e32 v3, 5, v3
	v_cmp_gt_i32_e32 vcc, s7, v2
	s_load_dwordx2 s[16:17], s[0:1], 0x8
	s_nop 0
	v_cndmask_b32_e32 v2, v5, v3, vcc
	v_ashrrev_i32_e32 v3, 31, v2
	v_lshl_add_u64 v[8:9], v[2:3], 2, s[8:9]
	v_or_b32_e32 v2, 32, v1
	v_add_u32_e32 v3, v2, v4
	v_ashrrev_i32_e32 v3, 5, v3
	v_cmp_gt_i32_e32 vcc, s7, v2
	v_or_b32_e32 v1, 48, v1
	s_nop 0
	v_cndmask_b32_e32 v2, v5, v3, vcc
	v_ashrrev_i32_e32 v3, 31, v2
	v_lshl_add_u64 v[12:13], v[2:3], 2, s[8:9]
	v_add_u32_e32 v2, v1, v4
	v_ashrrev_i32_e32 v2, 5, v2
	v_cmp_gt_i32_e32 vcc, s7, v1
	s_nop 1
	v_cndmask_b32_e32 v2, v5, v2, vcc
	v_ashrrev_i32_e32 v3, 31, v2
	v_lshl_add_u64 v[14:15], v[2:3], 2, s[8:9]
	global_load_dword v4, v[6:7], off
	global_load_dword v3, v[8:9], off
	;; [unrolled: 1-line block ×4, first 2 shown]
	s_andn2_b64 vcc, exec, s[12:13]
	s_cbranch_vccnz .LBB1342_8
; %bb.6:
	s_add_u32 s10, s10, s14
	s_addc_u32 s11, s11, s15
	s_load_dword s5, s[10:11], 0x0
	s_branch .LBB1342_9
.LBB1342_7:
	s_mov_b64 s[14:15], 0
	s_branch .LBB1342_2
.LBB1342_8:
	s_mov_b32 s5, s2
.LBB1342_9:
	s_load_dwordx2 s[10:11], s[0:1], 0x10
	s_load_dwordx4 s[44:47], s[0:1], 0x48
	v_lshrrev_b32_e32 v57, 6, v0
	v_bfe_u32 v62, v0, 4, 2
	v_and_b32_e32 v56, 15, v0
	v_lshl_or_b32 v5, v57, 2, v62
	v_lshlrev_b32_e32 v1, 3, v56
	s_mul_i32 s48, s4, 15
	v_cmp_gt_u32_e32 vcc, 15, v5
	v_lshlrev_b32_e32 v54, 1, v1
	v_lshlrev_b32_e32 v1, 4, v0
	s_and_saveexec_b64 s[12:13], vcc
	s_cbranch_execz .LBB1342_11
; %bb.10:
	s_load_dwordx2 s[14:15], s[0:1], 0x0
	s_waitcnt lgkmcnt(0)
	s_ashr_i32 s20, s44, 31
	s_mul_hi_u32 s21, s5, s44
	s_mul_i32 s20, s5, s20
	s_add_i32 s21, s21, s20
	s_mul_i32 s20, s5, s44
	s_lshl_b64 s[20:21], s[20:21], 1
	s_add_u32 s14, s14, s20
	v_add_lshl_u32 v6, v5, s48, 7
	s_addc_u32 s15, s15, s21
	v_ashrrev_i32_e32 v7, 31, v6
	v_lshl_add_u64 v[6:7], v[6:7], 1, s[14:15]
	v_mov_b32_e32 v55, 0
	v_lshl_add_u64 v[6:7], v[6:7], 0, v[54:55]
	global_load_dwordx4 v[6:9], v[6:7], off
	v_lshlrev_b32_e32 v12, 8, v0
	v_lshlrev_b32_e32 v11, 8, v56
	v_and_b32_e32 v12, 0x600, v12
	s_movk_i32 s5, 0x800
	v_and_or_b32 v11, v11, s5, v12
	v_lshlrev_b32_e32 v5, 5, v5
	v_and_b32_e32 v12, 16, v1
	v_or3_b32 v5, v11, v5, v12
	s_waitcnt vmcnt(0)
	ds_write_b128 v5, v[6:9]
.LBB1342_11:
	s_or_b64 exec, exec, s[12:13]
	s_waitcnt lgkmcnt(0)
	s_mul_i32 s12, s4, s46
	s_add_u32 s4, s16, s12
	s_addc_u32 s5, s17, 0
	v_mov_b32_e32 v59, 0
	v_mov_b64_e32 v[12:13], s[4:5]
	v_and_b32_e32 v34, 48, v0
	s_waitcnt vmcnt(3)
	v_mad_i64_i32 v[4:5], s[4:5], v4, s45, v[12:13]
	v_lshlrev_b32_e32 v14, 4, v56
	v_mov_b32_e32 v15, v59
	v_lshlrev_b32_e32 v58, 5, v34
	v_lshl_add_u64 v[4:5], v[4:5], 0, v[14:15]
	v_lshl_add_u64 v[4:5], v[4:5], 0, v[58:59]
	s_barrier
	global_load_dwordx4 v[50:53], v[4:5], off
	global_load_dwordx4 v[46:49], v[4:5], off offset:2048
	s_waitcnt vmcnt(4)
	v_mad_i64_i32 v[4:5], s[4:5], v3, s45, v[12:13]
	v_or_b32_e32 v16, 0x100, v14
	v_mov_b32_e32 v17, v59
	s_waitcnt vmcnt(3)
	v_mad_i64_i32 v[2:3], s[4:5], v2, s45, v[12:13]
	s_waitcnt vmcnt(2)
	v_mad_i64_i32 v[10:11], s[4:5], v10, s45, v[12:13]
	v_lshl_add_u64 v[4:5], v[4:5], 0, v[16:17]
	v_lshl_add_u64 v[2:3], v[2:3], 0, v[14:15]
	;; [unrolled: 1-line block ×6, first 2 shown]
	global_load_dwordx4 v[36:39], v[4:5], off
	global_load_dwordx4 v[6:9], v[4:5], off offset:2048
	s_nop 0
	global_load_dwordx4 v[2:5], v[14:15], off
	global_load_dwordx4 v[42:45], v[14:15], off offset:2048
	global_load_dwordx4 v[26:29], v[10:11], off
	s_nop 0
	global_load_dwordx4 v[14:17], v[10:11], off offset:2048
	v_cmp_ne_u32_e32 vcc, 15, v56
	v_and_b32_e32 v55, 63, v0
	v_mov_b32_e32 v63, 0
	v_cndmask_b32_e32 v10, 0, v56, vcc
	v_lshlrev_b32_e32 v10, 5, v10
	v_lshl_or_b32 v10, v62, 9, v10
	ds_read_b128 v[30:33], v10
	ds_read_b128 v[22:25], v10 offset:16
	ds_read_b128 v[18:21], v10 offset:2048
	;; [unrolled: 1-line block ×3, first 2 shown]
	s_and_saveexec_b64 s[4:5], vcc
	s_cbranch_execz .LBB1342_13
; %bb.12:
	s_load_dwordx2 s[14:15], s[0:1], 0x40
	v_add_u32_e32 v40, s48, v56
	v_ashrrev_i32_e32 v41, 31, v40
	s_waitcnt lgkmcnt(0)
	v_lshl_add_u64 v[40:41], v[40:41], 2, s[14:15]
	global_load_dword v63, v[40:41], off
.LBB1342_13:
	s_or_b64 exec, exec, s[4:5]
	s_ashr_i32 s4, s18, 31
	v_or_b32_e32 v58, s18, v34
	s_lshr_b32 s4, s4, 27
	v_add_u32_e32 v34, s4, v58
	v_or_b32_e32 v40, 64, v58
	v_ashrrev_i32_e32 v34, 5, v34
	v_mov_b32_e32 v64, s19
	v_cmp_gt_i32_e32 vcc, s7, v58
	v_add_u32_e32 v41, s4, v40
	v_or_b32_e32 v60, 0x80, v58
	v_cndmask_b32_e32 v34, v64, v34, vcc
	v_ashrrev_i32_e32 v41, 5, v41
	v_cmp_gt_i32_e32 vcc, s7, v40
	v_add_u32_e32 v61, s4, v60
	v_or_b32_e32 v58, 0xc0, v58
	v_cndmask_b32_e32 v40, v64, v41, vcc
	v_ashrrev_i32_e32 v61, 5, v61
	v_cmp_gt_i32_e32 vcc, s7, v60
	v_add_u32_e32 v65, s4, v58
	v_ashrrev_i32_e32 v65, 5, v65
	v_cndmask_b32_e32 v60, v64, v61, vcc
	v_cmp_gt_i32_e32 vcc, s7, v58
	s_waitcnt vmcnt(7)
	v_cvt_pk_f32_fp8_sdwa v[66:67], v50 src0_sel:WORD_1
	s_mov_b32 s33, 0x7060302
	v_cndmask_b32_e32 v68, v64, v65, vcc
	v_cvt_pk_f32_fp8_e32 v[64:65], v50
	v_cvt_pk_f32_fp8_e32 v[70:71], v51
	v_cvt_pk_f32_fp8_sdwa v[50:51], v51 src0_sel:WORD_1
	v_cvt_pk_f32_fp8_e32 v[72:73], v52
	v_perm_b32 v64, v65, v64, s33
	v_perm_b32 v65, v67, v66, s33
	;; [unrolled: 1-line block ×3, first 2 shown]
	v_cvt_pk_f32_fp8_sdwa v[74:75], v52 src0_sel:WORD_1
	v_perm_b32 v71, v51, v50, s33
	s_waitcnt lgkmcnt(3)
	v_mfma_f32_16x16x16_bf16 v[64:67], v[64:65], v[30:31], 0
	v_perm_b32 v72, v73, v72, s33
	v_perm_b32 v73, v75, v74, s33
	v_cvt_pk_f32_fp8_e32 v[74:75], v53
	v_cvt_pk_f32_fp8_sdwa v[76:77], v53 src0_sel:WORD_1
	v_mfma_f32_16x16x16_bf16 v[50:53], v[70:71], v[32:33], v[64:67]
	v_ashrrev_i32_e32 v35, 31, v34
	v_lshl_add_u64 v[34:35], v[34:35], 2, s[8:9]
	v_ashrrev_i32_e32 v41, 31, v40
	v_perm_b32 v64, v75, v74, s33
	v_perm_b32 v65, v77, v76, s33
	s_waitcnt lgkmcnt(2)
	v_mfma_f32_16x16x16_bf16 v[50:53], v[72:73], v[22:23], v[50:53]
	s_waitcnt vmcnt(6)
	v_cvt_pk_f32_fp8_e32 v[66:67], v46
	v_ashrrev_i32_e32 v61, 31, v60
	v_ashrrev_i32_e32 v69, 31, v68
	v_lshl_add_u64 v[40:41], v[40:41], 2, s[8:9]
	v_lshl_add_u64 v[60:61], v[60:61], 2, s[8:9]
	;; [unrolled: 1-line block ×3, first 2 shown]
	v_mfma_f32_16x16x16_bf16 v[50:53], v[64:65], v[24:25], v[50:53]
	v_perm_b32 v74, v67, v66, s33
	global_load_dword v68, v[34:35], off
	global_load_dword v66, v[40:41], off
	;; [unrolled: 1-line block ×4, first 2 shown]
	v_cvt_pk_f32_fp8_sdwa v[70:71], v46 src0_sel:WORD_1
	v_cvt_pk_f32_fp8_e32 v[40:41], v48
	s_waitcnt vmcnt(9)
	v_cvt_pk_f32_fp8_e32 v[60:61], v36
	s_add_u32 s4, s10, s12
	v_perm_b32 v75, v71, v70, s33
	v_cvt_pk_f32_fp8_e32 v[70:71], v47
	v_cvt_pk_f32_fp8_sdwa v[46:47], v47 src0_sel:WORD_1
	s_waitcnt lgkmcnt(1)
	v_mfma_f32_16x16x16_bf16 v[50:53], v[74:75], v[18:19], v[50:53]
	v_perm_b32 v34, v71, v70, s33
	v_perm_b32 v35, v47, v46, s33
	v_cvt_pk_f32_fp8_sdwa v[46:47], v48 src0_sel:WORD_1
	v_perm_b32 v40, v41, v40, s33
	v_mfma_f32_16x16x16_bf16 v[50:53], v[34:35], v[20:21], v[50:53]
	v_perm_b32 v41, v47, v46, s33
	v_cvt_pk_f32_fp8_e32 v[34:35], v49
	v_cvt_pk_f32_fp8_sdwa v[46:47], v49 src0_sel:WORD_1
	v_cvt_pk_f32_fp8_sdwa v[70:71], v36 src0_sel:WORD_1
	s_addc_u32 s5, s11, 0
	v_perm_b32 v34, v35, v34, s33
	v_perm_b32 v35, v47, v46, s33
	s_waitcnt lgkmcnt(0)
	v_mfma_f32_16x16x16_bf16 v[46:49], v[40:41], v[10:11], v[50:53]
	v_perm_b32 v40, v61, v60, s33
	v_perm_b32 v41, v71, v70, s33
	s_waitcnt vmcnt(8)
	v_cvt_pk_f32_fp8_sdwa v[60:61], v6 src0_sel:WORD_1
	v_cvt_pk_f32_fp8_e32 v[50:51], v37
	v_cvt_pk_f32_fp8_sdwa v[52:53], v37 src0_sel:WORD_1
	v_mfma_f32_16x16x16_bf16 v[34:37], v[34:35], v[12:13], v[46:49]
	v_and_b32_e32 v58, 16, v0
	v_perm_b32 v50, v51, v50, s33
	v_perm_b32 v51, v53, v52, s33
	v_mfma_f32_16x16x16_bf16 v[46:49], v[40:41], v[30:31], 0
	v_cvt_pk_f32_fp8_e32 v[40:41], v38
	v_cvt_pk_f32_fp8_sdwa v[52:53], v38 src0_sel:WORD_1
	v_lshl_or_b32 v64, v57, 4, v56
	v_mfma_f32_16x16x16_bf16 v[46:49], v[50:51], v[32:33], v[46:49]
	v_cvt_pk_f32_fp8_e32 v[50:51], v39
	v_perm_b32 v40, v41, v40, s33
	v_perm_b32 v41, v53, v52, s33
	v_cvt_pk_f32_fp8_sdwa v[38:39], v39 src0_sel:WORD_1
	v_perm_b32 v50, v51, v50, s33
	v_cvt_pk_f32_fp8_e32 v[52:53], v6
	s_waitcnt vmcnt(6)
	v_cvt_pk_f32_fp8_e32 v[74:75], v43
	v_perm_b32 v51, v39, v38, s33
	v_mfma_f32_16x16x16_bf16 v[38:41], v[40:41], v[22:23], v[46:49]
	s_nop 2
	v_perm_b32 v48, v53, v52, s33
	v_perm_b32 v49, v61, v60, s33
	v_cvt_pk_f32_fp8_e32 v[52:53], v7
	v_cvt_pk_f32_fp8_sdwa v[6:7], v7 src0_sel:WORD_1
	v_mfma_f32_16x16x16_bf16 v[38:41], v[50:51], v[24:25], v[38:41]
	v_lshl_add_u64 v[46:47], s[4:5], 0, v[58:59]
	v_perm_b32 v50, v53, v52, s33
	v_perm_b32 v51, v7, v6, s33
	v_mfma_f32_16x16x16_bf16 v[38:41], v[48:49], v[18:19], v[38:41]
	v_cvt_pk_f32_fp8_e32 v[6:7], v8
	v_cvt_pk_f32_fp8_sdwa v[48:49], v8 src0_sel:WORD_1
	v_cvt_pk_f32_fp8_sdwa v[52:53], v2 src0_sel:WORD_1
	v_mfma_f32_16x16x16_bf16 v[38:41], v[50:51], v[20:21], v[38:41]
	v_cvt_pk_f32_fp8_e32 v[50:51], v9
	v_perm_b32 v6, v7, v6, s33
	v_perm_b32 v7, v49, v48, s33
	v_cvt_pk_f32_fp8_sdwa v[8:9], v9 src0_sel:WORD_1
	v_perm_b32 v48, v51, v50, s33
	v_cvt_pk_f32_fp8_e32 v[50:51], v2
	v_lshlrev_b32_e32 v58, 5, v64
	v_perm_b32 v49, v9, v8, s33
	v_mfma_f32_16x16x16_bf16 v[6:9], v[6:7], v[10:11], v[38:41]
	v_perm_b32 v50, v51, v50, s33
	v_perm_b32 v51, v53, v52, s33
	v_cvt_pk_f32_fp8_e32 v[52:53], v3
	v_cvt_pk_f32_fp8_sdwa v[2:3], v3 src0_sel:WORD_1
	v_mfma_f32_16x16x16_bf16 v[38:41], v[48:49], v[12:13], v[6:9]
	v_lshl_add_u64 v[48:49], v[46:47], 0, v[58:59]
	v_perm_b32 v52, v53, v52, s33
	v_perm_b32 v53, v3, v2, s33
	v_mfma_f32_16x16x16_bf16 v[6:9], v[50:51], v[30:31], 0
	v_cvt_pk_f32_fp8_e32 v[2:3], v4
	v_cvt_pk_f32_fp8_sdwa v[50:51], v4 src0_sel:WORD_1
	s_waitcnt vmcnt(3)
	v_mad_i64_i32 v[60:61], s[4:5], v68, s45, v[48:49]
	v_perm_b32 v2, v3, v2, s33
	v_perm_b32 v3, v51, v50, s33
	v_mfma_f32_16x16x16_bf16 v[6:9], v[52:53], v[32:33], v[6:9]
	v_cvt_pk_f32_fp8_e32 v[50:51], v5
	v_cvt_pk_f32_fp8_sdwa v[4:5], v5 src0_sel:WORD_1
	s_waitcnt vmcnt(2)
	v_mad_i64_i32 v[70:71], s[4:5], v66, s45, v[48:49]
	v_perm_b32 v50, v51, v50, s33
	v_perm_b32 v51, v5, v4, s33
	v_mfma_f32_16x16x16_bf16 v[2:5], v[2:3], v[22:23], v[6:9]
	v_or_b32_e32 v58, 0x800, v58
	s_nop 1
	v_cvt_pk_f32_fp8_e32 v[6:7], v42
	v_cvt_pk_f32_fp8_sdwa v[8:9], v42 src0_sel:WORD_1
	v_cvt_pk_f32_fp8_sdwa v[42:43], v43 src0_sel:WORD_1
	v_mfma_f32_16x16x16_bf16 v[50:53], v[50:51], v[24:25], v[2:5]
	v_perm_b32 v72, v7, v6, s33
	v_perm_b32 v73, v9, v8, s33
	global_load_dwordx4 v[6:9], v[60:61], off
	global_load_dwordx4 v[2:5], v[70:71], off
	v_perm_b32 v60, v75, v74, s33
	v_perm_b32 v61, v43, v42, s33
	v_mfma_f32_16x16x16_bf16 v[70:73], v[72:73], v[18:19], v[50:53]
	v_cvt_pk_f32_fp8_e32 v[42:43], v44
	v_perm_b32 v42, v43, v42, s33
	s_nop 0
	v_cvt_pk_f32_fp8_sdwa v[52:53], v44 src0_sel:WORD_1
	v_mfma_f32_16x16x16_bf16 v[70:73], v[60:61], v[20:21], v[70:73]
	v_cvt_pk_f32_fp8_e32 v[60:61], v45
	s_waitcnt vmcnt(3)
	v_mad_i64_i32 v[50:51], s[4:5], v67, s45, v[48:49]
	s_load_dword s4, s[0:1], 0x1c
	s_load_dwordx4 s[40:43], s[0:1], 0x80
	v_perm_b32 v43, v53, v52, s33
	v_perm_b32 v74, v61, v60, s33
	v_cvt_pk_f32_fp8_e32 v[52:53], v26
	v_cvt_pk_f32_fp8_sdwa v[60:61], v26 src0_sel:WORD_1
	s_load_dword s44, s[0:1], 0x98
	s_waitcnt lgkmcnt(0)
	s_load_dword s5, s[40:41], 0x0
	v_cvt_pk_f32_fp8_sdwa v[44:45], v45 src0_sel:WORD_1
	v_perm_b32 v52, v53, v52, s33
	v_perm_b32 v53, v61, v60, s33
	v_cvt_pk_f32_fp8_e32 v[60:61], v27
	v_cvt_pk_f32_fp8_sdwa v[26:27], v27 src0_sel:WORD_1
	v_perm_b32 v75, v45, v44, s33
	v_mfma_f32_16x16x16_bf16 v[42:45], v[42:43], v[10:11], v[70:73]
	v_perm_b32 v60, v61, v60, s33
	v_perm_b32 v61, v27, v26, s33
	v_mov_b32_e32 v26, s4
	v_mfma_f32_16x16x16_bf16 v[70:73], v[52:53], v[30:31], 0
	s_waitcnt lgkmcnt(0)
	v_mul_f32_e32 v52, s5, v26
	v_cvt_pk_f32_fp8_e32 v[26:27], v28
	v_cvt_pk_f32_fp8_sdwa v[30:31], v28 src0_sel:WORD_1
	v_mfma_f32_16x16x16_bf16 v[70:73], v[60:61], v[32:33], v[70:73]
	v_cvt_pk_f32_fp8_e32 v[32:33], v29
	v_cvt_pk_f32_fp8_sdwa v[28:29], v29 src0_sel:WORD_1
	v_perm_b32 v26, v27, v26, s33
	v_perm_b32 v27, v31, v30, s33
	v_mfma_f32_16x16x16_bf16 v[42:45], v[74:75], v[12:13], v[42:45]
	v_perm_b32 v32, v33, v32, s33
	v_perm_b32 v33, v29, v28, s33
	v_cvt_pk_f32_fp8_e32 v[60:61], v14
	v_cvt_pk_f32_fp8_sdwa v[74:75], v14 src0_sel:WORD_1
	v_mfma_f32_16x16x16_bf16 v[26:29], v[26:27], v[22:23], v[70:73]
	v_pk_mul_f32 v[30:31], v[52:53], v[36:37] op_sel_hi:[0,1]
	v_perm_b32 v36, v61, v60, s33
	v_perm_b32 v37, v75, v74, s33
	v_cvt_pk_f32_fp8_e32 v[60:61], v15
	v_cvt_pk_f32_fp8_sdwa v[70:71], v15 src0_sel:WORD_1
	v_mfma_f32_16x16x16_bf16 v[22:25], v[32:33], v[24:25], v[26:29]
	v_pk_mul_f32 v[14:15], v[52:53], v[34:35] op_sel_hi:[0,1]
	v_perm_b32 v60, v61, v60, s33
	v_perm_b32 v61, v71, v70, s33
	v_mfma_f32_16x16x16_bf16 v[32:35], v[36:37], v[18:19], v[22:25]
	v_cvt_pk_f32_fp8_e32 v[18:19], v16
	v_cvt_pk_f32_fp8_sdwa v[36:37], v16 src0_sel:WORD_1
	s_waitcnt vmcnt(2)
	v_mad_i64_i32 v[48:49], s[8:9], v65, s45, v[48:49]
	global_load_dwordx4 v[26:29], v[50:51], off
	global_load_dwordx4 v[22:25], v[48:49], off
	v_perm_b32 v48, v19, v18, s33
	v_perm_b32 v49, v37, v36, s33
	v_cvt_pk_f32_fp8_e32 v[36:37], v17
	v_cvt_pk_f32_fp8_sdwa v[50:51], v17 src0_sel:WORD_1
	v_mfma_f32_16x16x16_bf16 v[16:19], v[60:61], v[20:21], v[32:35]
	v_pk_mul_f32 v[40:41], v[52:53], v[40:41] op_sel_hi:[0,1]
	v_perm_b32 v20, v37, v36, s33
	v_perm_b32 v21, v51, v50, s33
	v_mfma_f32_16x16x16_bf16 v[16:19], v[48:49], v[10:11], v[16:19]
	v_pk_mul_f32 v[48:49], v[52:53], v[38:39] op_sel_hi:[0,1]
	v_pk_mul_f32 v[38:39], v[52:53], v[44:45] op_sel_hi:[0,1]
	;; [unrolled: 1-line block ×3, first 2 shown]
	v_mfma_f32_16x16x16_bf16 v[10:13], v[20:21], v[12:13], v[16:19]
	s_mov_b32 s40, 0xff7fffff
	s_nop 5
	v_pk_mul_f32 v[36:37], v[52:53], v[10:11] op_sel_hi:[0,1]
	v_and_b32_e32 v10, 0xc0, v0
	v_add_u32_e32 v10, s18, v10
	v_lshl_or_b32 v10, v62, 2, v10
	v_or_b32_e32 v11, 1, v10
	v_pk_mul_f32 v[34:35], v[52:53], v[12:13] op_sel_hi:[0,1]
	v_subrev_u32_e32 v12, s7, v11
	v_add_u32_e32 v16, 1, v12
	v_add_u32_e32 v17, 2, v12
	v_cvt_f32_i32_e32 v13, v12
	v_cvt_f32_i32_e32 v16, v16
	;; [unrolled: 1-line block ×3, first 2 shown]
	v_add_u32_e32 v18, 3, v12
	v_fma_f32 v14, v63, v13, v14
	v_fmac_f32_e32 v15, v63, v16
	v_fma_f32 v51, v63, v17, v30
	v_add_u32_e32 v13, 16, v12
	v_add_u32_e32 v16, 17, v12
	;; [unrolled: 1-line block ×3, first 2 shown]
	v_cvt_f32_i32_e32 v18, v18
	v_cvt_f32_i32_e32 v13, v13
	;; [unrolled: 1-line block ×4, first 2 shown]
	v_fmac_f32_e32 v31, v63, v18
	v_add_u32_e32 v18, 19, v12
	v_fma_f32 v48, v63, v13, v48
	v_fmac_f32_e32 v49, v63, v16
	v_fma_f32 v40, v63, v17, v40
	v_add_u32_e32 v13, 32, v12
	v_add_u32_e32 v16, 33, v12
	;; [unrolled: 1-line block ×3, first 2 shown]
	v_cvt_f32_i32_e32 v18, v18
	v_cvt_f32_i32_e32 v13, v13
	;; [unrolled: 1-line block ×4, first 2 shown]
	v_fmac_f32_e32 v41, v63, v18
	v_add_u32_e32 v18, 35, v12
	v_fma_f32 v42, v63, v13, v42
	v_fmac_f32_e32 v43, v63, v16
	v_fma_f32 v38, v63, v17, v38
	v_add_u32_e32 v13, 48, v12
	v_add_u32_e32 v16, 49, v12
	;; [unrolled: 1-line block ×4, first 2 shown]
	v_cvt_f32_i32_e32 v12, v12
	v_cvt_f32_i32_e32 v13, v13
	;; [unrolled: 1-line block ×3, first 2 shown]
	v_cmp_gt_i32_e64 s[8:9], s7, v10
	v_fmac_f32_e32 v35, v63, v12
	v_mov_b32_e32 v12, 0xff7fffff
	v_cmp_gt_i32_e64 s[10:11], s7, v11
	v_fma_f32 v36, v63, v13, v36
	v_cndmask_b32_e64 v13, v12, v14, s[8:9]
	v_cndmask_b32_e64 v11, v12, v15, s[10:11]
	v_fmac_f32_e32 v37, v63, v16
	v_max3_f32 v11, v13, s40, v11
	v_or_b32_e32 v13, 2, v10
	v_or_b32_e32 v16, 3, v10
	v_cmp_gt_i32_e64 s[12:13], s7, v13
	v_cmp_gt_i32_e64 s[14:15], s7, v16
	v_cvt_f32_i32_e32 v18, v18
	v_cndmask_b32_e64 v13, v12, v51, s[12:13]
	v_cndmask_b32_e64 v16, v12, v31, s[14:15]
	v_max3_f32 v11, v11, v13, v16
	v_or_b32_e32 v13, 16, v10
	v_or_b32_e32 v16, 17, v10
	v_cmp_gt_i32_e64 s[16:17], s7, v13
	v_cmp_gt_i32_e64 s[18:19], s7, v16
	v_fmac_f32_e32 v39, v63, v18
	v_cndmask_b32_e64 v13, v12, v48, s[16:17]
	v_cndmask_b32_e64 v16, v12, v49, s[18:19]
	v_max3_f32 v11, v11, v13, v16
	v_or_b32_e32 v13, 18, v10
	v_or_b32_e32 v16, 19, v10
	v_cmp_gt_i32_e64 s[20:21], s7, v13
	v_cmp_gt_i32_e64 s[22:23], s7, v16
	v_cvt_f32_i32_e32 v17, v17
	v_cndmask_b32_e64 v13, v12, v40, s[20:21]
	v_cndmask_b32_e64 v16, v12, v41, s[22:23]
	v_max3_f32 v11, v11, v13, v16
	v_or_b32_e32 v13, 32, v10
	v_or_b32_e32 v16, 33, v10
	v_cmp_gt_i32_e64 s[24:25], s7, v13
	v_cmp_gt_i32_e64 s[26:27], s7, v16
	v_fma_f32 v34, v63, v17, v34
	v_cndmask_b32_e64 v13, v12, v42, s[24:25]
	v_cndmask_b32_e64 v16, v12, v43, s[26:27]
	v_max3_f32 v11, v11, v13, v16
	v_or_b32_e32 v13, 34, v10
	v_or_b32_e32 v16, 35, v10
	v_cmp_gt_i32_e64 s[28:29], s7, v13
	v_cmp_gt_i32_e64 s[30:31], s7, v16
	s_nop 0
	v_cndmask_b32_e64 v13, v12, v38, s[28:29]
	v_cndmask_b32_e64 v16, v12, v39, s[30:31]
	v_max3_f32 v11, v11, v13, v16
	v_or_b32_e32 v13, 48, v10
	v_or_b32_e32 v16, 49, v10
	v_cmp_gt_i32_e64 s[34:35], s7, v13
	v_cmp_gt_i32_e64 s[36:37], s7, v16
	s_nop 0
	v_cndmask_b32_e64 v13, v12, v36, s[34:35]
	v_cndmask_b32_e64 v16, v12, v37, s[36:37]
	v_max3_f32 v11, v11, v13, v16
	v_or_b32_e32 v13, 50, v10
	v_or_b32_e32 v10, 51, v10
	v_cmp_gt_i32_e32 vcc, s7, v13
	v_cmp_gt_i32_e64 s[4:5], s7, v10
	s_nop 0
	v_cndmask_b32_e32 v13, v12, v34, vcc
	v_cndmask_b32_e64 v10, v12, v35, s[4:5]
	v_max3_f32 v16, v11, v13, v10
	v_mbcnt_lo_u32_b32 v10, -1, 0
	v_mbcnt_hi_u32_b32 v17, -1, v10
	v_and_b32_e32 v10, 64, v17
	v_add_u32_e32 v18, 64, v10
	v_xor_b32_e32 v10, 32, v17
	v_cmp_lt_i32_e64 s[38:39], v10, v18
	s_nop 1
	v_cndmask_b32_e64 v10, v17, v10, s[38:39]
	v_lshlrev_b32_e32 v52, 2, v10
	ds_bpermute_b32 v19, v52, v16
	v_lshl_add_u64 v[10:11], v[46:47], 0, v[58:59]
	v_mad_i64_i32 v[12:13], s[38:39], v68, s45, v[10:11]
	s_waitcnt lgkmcnt(0)
	v_max_f32_e32 v19, v19, v19
	v_max_f32_e32 v19, v16, v19
	v_xor_b32_e32 v16, 16, v17
	v_cmp_lt_i32_e64 s[38:39], v16, v18
	s_nop 1
	v_cndmask_b32_e64 v16, v17, v16, s[38:39]
	v_lshlrev_b32_e32 v53, 2, v16
	ds_bpermute_b32 v18, v53, v19
	v_mad_i64_i32 v[16:17], s[38:39], v66, s45, v[10:11]
	v_mad_i64_i32 v[44:45], s[38:39], v67, s45, v[10:11]
	s_waitcnt lgkmcnt(0)
	v_max_f32_e32 v18, v18, v18
	v_max_f32_e32 v50, v19, v18
	v_sub_f32_e32 v14, v14, v50
	v_sub_f32_e32 v15, v15, v50
	v_mul_f32_e32 v14, 0x3fb8aa3b, v14
	v_mul_f32_e32 v15, 0x3fb8aa3b, v15
	v_exp_f32_e32 v14, v14
	v_exp_f32_e32 v15, v15
	v_sub_f32_e32 v58, v31, v50
	global_load_dwordx4 v[30:33], v[12:13], off
	global_load_dwordx4 v[18:21], v[16:17], off
	v_sub_f32_e32 v12, v51, v50
	v_mad_i64_i32 v[10:11], s[38:39], v65, s45, v[10:11]
	v_mul_f32_e32 v12, 0x3fb8aa3b, v12
	v_cndmask_b32_e64 v46, 0, v14, s[8:9]
	v_cndmask_b32_e64 v47, 0, v15, s[10:11]
	v_exp_f32_e32 v51, v12
	global_load_dwordx4 v[14:17], v[44:45], off
	s_nop 0
	global_load_dwordx4 v[10:13], v[10:11], off
	v_sub_f32_e32 v45, v48, v50
	v_sub_f32_e32 v48, v49, v50
	;; [unrolled: 1-line block ×4, first 2 shown]
	v_mul_f32_e32 v44, 0x3fb8aa3b, v58
	v_mul_f32_e32 v45, 0x3fb8aa3b, v45
	;; [unrolled: 1-line block ×5, first 2 shown]
	v_exp_f32_e32 v44, v44
	v_exp_f32_e32 v45, v45
	;; [unrolled: 1-line block ×3, first 2 shown]
	v_cndmask_b32_e64 v48, 0, v51, s[12:13]
	v_exp_f32_e32 v40, v40
	v_exp_f32_e32 v51, v42
	v_sub_f32_e32 v42, v43, v50
	v_mul_f32_e32 v42, 0x3fb8aa3b, v42
	v_cndmask_b32_e64 v49, 0, v44, s[14:15]
	v_cndmask_b32_e64 v44, 0, v45, s[16:17]
	;; [unrolled: 1-line block ×3, first 2 shown]
	v_sub_f32_e32 v41, v41, v50
	v_exp_f32_e32 v58, v42
	v_cndmask_b32_e64 v42, 0, v40, s[20:21]
	v_cndmask_b32_e64 v40, 0, v51, s[24:25]
	v_add_f32_e32 v51, 0, v46
	v_mul_f32_e32 v41, 0x3fb8aa3b, v41
	v_add_f32_e32 v51, v51, v47
	v_exp_f32_e32 v41, v41
	v_add_f32_e32 v51, v51, v48
	v_sub_f32_e32 v38, v38, v50
	v_add_f32_e32 v51, v51, v49
	v_sub_f32_e32 v39, v39, v50
	v_mul_f32_e32 v38, 0x3fb8aa3b, v38
	v_add_f32_e32 v51, v51, v44
	v_exp_f32_e32 v38, v38
	v_mul_f32_e32 v39, 0x3fb8aa3b, v39
	v_sub_f32_e32 v36, v36, v50
	v_add_f32_e32 v51, v51, v45
	v_cndmask_b32_e64 v43, 0, v41, s[22:23]
	v_exp_f32_e32 v39, v39
	v_mul_f32_e32 v36, 0x3fb8aa3b, v36
	v_sub_f32_e32 v37, v37, v50
	v_add_f32_e32 v51, v51, v42
	v_exp_f32_e32 v36, v36
	v_mul_f32_e32 v37, 0x3fb8aa3b, v37
	v_add_f32_e32 v51, v51, v43
	v_sub_f32_e32 v34, v34, v50
	v_cndmask_b32_e64 v41, 0, v58, s[26:27]
	v_exp_f32_e32 v37, v37
	v_add_f32_e32 v51, v51, v40
	v_mul_f32_e32 v34, 0x3fb8aa3b, v34
	v_sub_f32_e32 v35, v35, v50
	v_cndmask_b32_e64 v38, 0, v38, s[28:29]
	v_add_f32_e32 v51, v51, v41
	v_exp_f32_e32 v34, v34
	v_mul_f32_e32 v35, 0x3fb8aa3b, v35
	v_cndmask_b32_e64 v39, 0, v39, s[30:31]
	v_add_f32_e32 v51, v51, v38
	v_exp_f32_e32 v35, v35
	v_cndmask_b32_e64 v36, 0, v36, s[34:35]
	v_add_f32_e32 v51, v51, v39
	v_cndmask_b32_e64 v37, 0, v37, s[36:37]
	v_add_f32_e32 v51, v51, v36
	v_add_f32_e32 v51, v51, v37
	v_cndmask_b32_e32 v34, 0, v34, vcc
	v_add_f32_e32 v51, v51, v34
	v_cndmask_b32_e64 v35, 0, v35, s[4:5]
	v_add_f32_e32 v51, v51, v35
	ds_bpermute_b32 v52, v52, v51
	v_cmp_gt_u32_e32 vcc, 16, v55
	s_waitcnt lgkmcnt(0)
	s_barrier
	v_add_f32_e32 v51, v51, v52
	ds_bpermute_b32 v52, v53, v51
	s_and_saveexec_b64 s[4:5], vcc
	s_cbranch_execz .LBB1342_15
; %bb.14:
	s_waitcnt lgkmcnt(0)
	v_add_f32_e32 v51, v51, v52
	v_lshlrev_b32_e32 v52, 2, v64
	ds_write2st64_b32 v52, v50, v51 offset1:1
.LBB1342_15:
	s_or_b64 exec, exec, s[4:5]
	v_lshlrev_b32_e32 v51, 2, v56
	s_load_dword s7, s[0:1], 0x94
	s_waitcnt lgkmcnt(0)
	s_barrier
	ds_read2_b32 v[52:53], v51 offset1:16
	ds_read2_b32 v[58:59], v51 offset0:32 offset1:48
	ds_read2_b32 v[60:61], v51 offset0:64 offset1:80
	s_movk_i32 s9, 0x7fff
	s_mul_i32 s8, s44, 15
	s_waitcnt lgkmcnt(2)
	v_max3_f32 v50, v52, s40, v53
	s_waitcnt lgkmcnt(1)
	v_max3_f32 v50, v50, v58, v59
	v_sub_f32_e32 v52, v52, v50
	v_mul_f32_e32 v52, 0x3fb8aa3b, v52
	v_exp_f32_e32 v55, v52
	v_sub_f32_e32 v52, v53, v50
	v_mul_f32_e32 v52, 0x3fb8aa3b, v52
	v_exp_f32_e32 v63, v52
	;; [unrolled: 3-line block ×3, first 2 shown]
	ds_read2_b32 v[52:53], v51 offset0:96 offset1:112
	v_sub_f32_e32 v51, v59, v50
	v_mul_f32_e32 v51, 0x3fb8aa3b, v51
	v_exp_f32_e32 v59, v51
	s_waitcnt lgkmcnt(1)
	v_fma_f32 v51, v55, v60, 0
	v_fmac_f32_e32 v51, v63, v61
	s_waitcnt lgkmcnt(0)
	v_fmac_f32_e32 v51, v58, v52
	v_fmac_f32_e32 v51, v59, v53
	v_add_f32_e32 v52, 0x358637bd, v51
	v_div_scale_f32 v53, s[4:5], v52, v52, 1.0
	v_rcp_f32_e32 v60, v53
	s_barrier
	v_fma_f32 v61, -v53, v60, 1.0
	v_fmac_f32_e32 v60, v61, v60
	v_div_scale_f32 v61, vcc, 1.0, v52, 1.0
	v_mul_f32_e32 v64, v61, v60
	v_fma_f32 v65, -v53, v64, v61
	v_fmac_f32_e32 v64, v65, v60
	v_fma_f32 v53, -v53, v64, v61
	v_div_fmas_f32 v53, v53, v60, v64
	v_cmp_eq_u32_e32 vcc, 1, v57
	v_div_fixup_f32 v52, v53, v52, 1.0
	s_nop 0
	v_cndmask_b32_e32 v53, v55, v63, vcc
	v_cmp_eq_u32_e32 vcc, 2, v57
	s_nop 1
	v_cndmask_b32_e32 v53, v53, v58, vcc
	v_cmp_eq_u32_e32 vcc, 3, v57
	s_nop 1
	v_cndmask_b32_e32 v53, v53, v59, vcc
	v_mul_f32_e32 v52, v53, v52
	v_pk_mul_f32 v[46:47], v[52:53], v[46:47] op_sel_hi:[0,1]
	v_pk_mul_f32 v[48:49], v[52:53], v[48:49] op_sel_hi:[0,1]
	v_bfe_u32 v53, v47, 16, 1
	v_bfe_u32 v55, v46, 16, 1
	v_add3_u32 v46, v46, v55, s9
	v_add3_u32 v47, v47, v53, s9
	v_perm_b32 v58, v47, v46, s33
	v_bfe_u32 v46, v49, 16, 1
	v_bfe_u32 v47, v48, 16, 1
	v_add3_u32 v47, v48, v47, s9
	v_add3_u32 v46, v49, v46, s9
	v_perm_b32 v59, v46, v47, s33
	v_lshlrev_b32_e32 v47, 3, v62
	v_lshlrev_b32_e32 v46, 5, v56
	;; [unrolled: 1-line block ×3, first 2 shown]
	v_pk_mul_f32 v[44:45], v[52:53], v[44:45] op_sel_hi:[0,1]
	v_or3_b32 v55, v48, v46, v47
	v_bfe_u32 v47, v45, 16, 1
	v_bfe_u32 v48, v44, 16, 1
	v_pk_mul_f32 v[42:43], v[52:53], v[42:43] op_sel_hi:[0,1]
	v_add3_u32 v44, v44, v48, s9
	v_add3_u32 v45, v45, v47, s9
	v_perm_b32 v44, v45, v44, s33
	v_bfe_u32 v45, v43, 16, 1
	v_bfe_u32 v47, v42, 16, 1
	v_add3_u32 v42, v42, v47, s9
	v_add3_u32 v43, v43, v45, s9
	v_pk_mul_f32 v[40:41], v[52:53], v[40:41] op_sel_hi:[0,1]
	v_perm_b32 v45, v43, v42, s33
	v_bfe_u32 v42, v41, 16, 1
	v_bfe_u32 v43, v40, 16, 1
	v_pk_mul_f32 v[38:39], v[52:53], v[38:39] op_sel_hi:[0,1]
	v_add3_u32 v40, v40, v43, s9
	v_add3_u32 v41, v41, v42, s9
	v_perm_b32 v40, v41, v40, s33
	v_bfe_u32 v41, v39, 16, 1
	v_bfe_u32 v42, v38, 16, 1
	v_add3_u32 v38, v38, v42, s9
	v_add3_u32 v39, v39, v41, s9
	v_pk_mul_f32 v[36:37], v[52:53], v[36:37] op_sel_hi:[0,1]
	v_perm_b32 v41, v39, v38, s33
	v_bfe_u32 v38, v37, 16, 1
	v_bfe_u32 v39, v36, 16, 1
	v_pk_mul_f32 v[34:35], v[52:53], v[34:35] op_sel_hi:[0,1]
	v_add3_u32 v36, v36, v39, s9
	v_add3_u32 v37, v37, v38, s9
	v_perm_b32 v36, v37, v36, s33
	v_bfe_u32 v37, v35, 16, 1
	v_bfe_u32 v38, v34, 16, 1
	v_add3_u32 v34, v34, v38, s9
	v_add3_u32 v35, v35, v37, s9
	v_perm_b32 v37, v35, v34, s33
	v_cmp_gt_u32_e32 vcc, 15, v0
	ds_write2st64_b64 v55, v[58:59], v[44:45] offset1:1
	ds_write2st64_b64 v55, v[40:41], v[36:37] offset0:2 offset1:3
	s_and_saveexec_b64 s[4:5], vcc
	s_cbranch_execz .LBB1342_17
; %bb.16:
	s_mov_b32 s49, 0
	v_mov_b32_e32 v57, 0
	v_lshl_add_u64 v[34:35], s[48:49], 0, v[56:57]
	v_mov_b32_e32 v36, s8
	v_mad_u64_u32 v[34:35], s[10:11], s2, v36, v[34:35]
	s_mul_i32 s3, s3, s8
	v_mov_b32_e32 v36, s6
	v_mov_b32_e32 v37, v57
	s_load_dwordx4 s[12:15], s[0:1], 0x58
	v_add_u32_e32 v38, s3, v35
	v_mad_u64_u32 v[34:35], s[10:11], v34, s7, v[36:37]
	v_mov_b32_e32 v36, v35
	v_mad_u64_u32 v[36:37], s[10:11], v38, s7, v[36:37]
	v_mov_b32_e32 v35, v36
	v_lshlrev_b64 v[34:35], 2, v[34:35]
	s_waitcnt lgkmcnt(0)
	v_lshl_add_u64 v[36:37], s[14:15], 0, v[34:35]
	v_lshl_add_u64 v[34:35], s[12:13], 0, v[34:35]
	global_store_dword v[36:37], v50, off
	global_store_dword v[34:35], v51, off
.LBB1342_17:
	s_or_b64 exec, exec, s[4:5]
	s_waitcnt vmcnt(7)
	v_cvt_pk_f32_fp8_e32 v[34:35], v6
	v_cvt_pk_f32_fp8_sdwa v[36:37], v6 src0_sel:WORD_1
	v_lshl_or_b32 v50, v62, 9, v46
	s_mov_b32 s5, 0x7060302
	s_waitcnt lgkmcnt(0)
	s_barrier
	v_cvt_pk_f32_fp8_e32 v[38:39], v7
	v_perm_b32 v6, v35, v34, s5
	v_cvt_pk_f32_fp8_sdwa v[40:41], v7 src0_sel:WORD_1
	v_perm_b32 v7, v37, v36, s5
	ds_read_b128 v[34:37], v50
	v_perm_b32 v46, v39, v38, s5
	v_perm_b32 v47, v41, v40, s5
	ds_read_b128 v[38:41], v50 offset:16
	v_cvt_pk_f32_fp8_e32 v[48:49], v8
	v_cvt_pk_f32_fp8_sdwa v[52:53], v8 src0_sel:WORD_1
	s_waitcnt lgkmcnt(1)
	v_mfma_f32_16x16x16_bf16 v[42:45], v[6:7], v[34:35], 0
	s_waitcnt vmcnt(6)
	v_cvt_pk_f32_fp8_e32 v[58:59], v4
	v_perm_b32 v6, v49, v48, s5
	v_perm_b32 v7, v53, v52, s5
	v_cvt_pk_f32_fp8_e32 v[48:49], v9
	v_mfma_f32_16x16x16_bf16 v[42:45], v[46:47], v[36:37], v[42:45]
	v_cvt_pk_f32_fp8_sdwa v[46:47], v9 src0_sel:WORD_1
	v_cvt_pk_f32_fp8_sdwa v[60:61], v4 src0_sel:WORD_1
	v_perm_b32 v48, v49, v48, s5
	s_waitcnt lgkmcnt(0)
	v_mfma_f32_16x16x16_bf16 v[6:9], v[6:7], v[38:39], v[42:45]
	v_perm_b32 v49, v47, v46, s5
	s_waitcnt vmcnt(5)
	v_cvt_pk_f32_fp8_e32 v[64:65], v28
	v_cvt_pk_f32_fp8_sdwa v[66:67], v28 src0_sel:WORD_1
	v_cvt_pk_f32_fp8_e32 v[42:43], v2
	v_mfma_f32_16x16x16_bf16 v[46:49], v[48:49], v[40:41], v[6:9]
	s_waitcnt vmcnt(4)
	v_cvt_pk_f32_fp8_sdwa v[68:69], v24 src0_sel:WORD_1
	s_load_dword s4, s[42:43], 0x0
	v_cvt_pk_f32_fp8_sdwa v[6:7], v2 src0_sel:WORD_1
	v_cvt_pk_f32_fp8_e32 v[8:9], v3
	v_perm_b32 v2, v43, v42, s5
	v_cvt_pk_f32_fp8_sdwa v[42:43], v3 src0_sel:WORD_1
	v_perm_b32 v3, v7, v6, s5
	v_perm_b32 v52, v9, v8, s5
	ds_read_b128 v[6:9], v50 offset:2048
	v_perm_b32 v53, v43, v42, s5
	ds_read_b128 v[42:45], v50 offset:2064
	s_waitcnt lgkmcnt(0)
	v_mfma_f32_16x16x16_bf16 v[46:49], v[2:3], v[6:7], v[46:49]
	v_perm_b32 v2, v59, v58, s5
	v_perm_b32 v3, v61, v60, s5
	v_cvt_pk_f32_fp8_e32 v[58:59], v5
	v_mfma_f32_16x16x16_bf16 v[46:49], v[52:53], v[8:9], v[46:49]
	v_cvt_pk_f32_fp8_sdwa v[52:53], v5 src0_sel:WORD_1
	s_waitcnt vmcnt(3)
	v_cvt_pk_f32_fp8_sdwa v[70:71], v32 src0_sel:WORD_1
	v_perm_b32 v58, v59, v58, s5
	v_mfma_f32_16x16x16_bf16 v[2:5], v[2:3], v[42:43], v[46:49]
	v_perm_b32 v59, v53, v52, s5
	s_mov_b32 s3, 0
	v_cmp_gt_u32_e32 vcc, 64, v0
	v_cvt_pk_f32_fp8_e32 v[46:47], v26
	v_mfma_f32_16x16x16_bf16 v[58:61], v[58:59], v[44:45], v[2:5]
	s_nop 2
	v_cvt_pk_f32_fp8_sdwa v[2:3], v26 src0_sel:WORD_1
	v_cvt_pk_f32_fp8_e32 v[4:5], v27
	v_perm_b32 v26, v47, v46, s5
	v_cvt_pk_f32_fp8_sdwa v[46:47], v27 src0_sel:WORD_1
	v_perm_b32 v27, v3, v2, s5
	v_perm_b32 v52, v5, v4, s5
	ds_read_b128 v[2:5], v50 offset:4096
	v_perm_b32 v53, v47, v46, s5
	ds_read_b128 v[46:49], v50 offset:4112
	s_waitcnt lgkmcnt(1)
	v_mfma_f32_16x16x16_bf16 v[58:61], v[26:27], v[2:3], v[58:61]
	v_perm_b32 v26, v65, v64, s5
	v_perm_b32 v27, v67, v66, s5
	v_cvt_pk_f32_fp8_e32 v[64:65], v29
	v_mfma_f32_16x16x16_bf16 v[58:61], v[52:53], v[4:5], v[58:61]
	v_cvt_pk_f32_fp8_sdwa v[52:53], v29 src0_sel:WORD_1
	v_cvt_pk_f32_fp8_e32 v[66:67], v24
	v_perm_b32 v64, v65, v64, s5
	s_waitcnt lgkmcnt(0)
	v_mfma_f32_16x16x16_bf16 v[26:29], v[26:27], v[46:47], v[58:61]
	v_perm_b32 v65, v53, v52, s5
	v_cvt_pk_f32_fp8_e32 v[52:53], v22
	s_nop 0
	v_mfma_f32_16x16x16_bf16 v[58:61], v[64:65], v[48:49], v[26:29]
	s_nop 2
	v_cvt_pk_f32_fp8_sdwa v[26:27], v22 src0_sel:WORD_1
	v_cvt_pk_f32_fp8_e32 v[28:29], v23
	v_perm_b32 v22, v53, v52, s5
	v_cvt_pk_f32_fp8_sdwa v[52:53], v23 src0_sel:WORD_1
	v_perm_b32 v23, v27, v26, s5
	v_perm_b32 v64, v29, v28, s5
	ds_read_b128 v[26:29], v50 offset:6144
	v_perm_b32 v65, v53, v52, s5
	s_waitcnt lgkmcnt(0)
	v_mfma_f32_16x16x16_bf16 v[58:61], v[22:23], v[26:27], v[58:61]
	ds_read_b128 v[50:53], v50 offset:6160
	v_perm_b32 v22, v67, v66, s5
	v_perm_b32 v23, v69, v68, s5
	v_cvt_pk_f32_fp8_e32 v[66:67], v25
	v_mfma_f32_16x16x16_bf16 v[58:61], v[64:65], v[28:29], v[58:61]
	v_cvt_pk_f32_fp8_sdwa v[64:65], v25 src0_sel:WORD_1
	v_cvt_pk_f32_fp8_e32 v[68:69], v32
	v_perm_b32 v66, v67, v66, s5
	s_waitcnt lgkmcnt(0)
	v_mfma_f32_16x16x16_bf16 v[22:25], v[22:23], v[50:51], v[58:61]
	v_perm_b32 v67, v65, v64, s5
	s_barrier
	s_nop 0
	v_mfma_f32_16x16x16_bf16 v[58:61], v[66:67], v[52:53], v[22:25]
	s_nop 2
	v_cvt_pk_f32_fp8_e32 v[24:25], v30
	v_perm_b32 v24, v25, v24, s5
	s_nop 1
	v_pk_mul_f32 v[22:23], v[60:61], s[4:5] op_sel_hi:[1,0]
	v_cvt_pk_f32_fp8_sdwa v[60:61], v30 src0_sel:WORD_1
	v_pk_mul_f32 v[64:65], v[58:59], s[4:5] op_sel_hi:[1,0]
	v_cvt_pk_f32_fp8_e32 v[58:59], v31
	v_cvt_pk_f32_fp8_sdwa v[30:31], v31 src0_sel:WORD_1
	v_perm_b32 v25, v61, v60, s5
	v_bfe_u32 v57, v65, 16, 1
	v_perm_b32 v66, v59, v58, s5
	v_perm_b32 v67, v31, v30, s5
	v_mfma_f32_16x16x16_bf16 v[58:61], v[24:25], v[34:35], 0
	v_perm_b32 v24, v69, v68, s5
	v_perm_b32 v25, v71, v70, s5
	v_cvt_pk_f32_fp8_e32 v[34:35], v33
	v_cvt_pk_f32_fp8_sdwa v[68:69], v33 src0_sel:WORD_1
	v_mfma_f32_16x16x16_bf16 v[30:33], v[66:67], v[36:37], v[58:61]
	s_waitcnt vmcnt(2)
	v_cvt_pk_f32_fp8_sdwa v[36:37], v18 src0_sel:WORD_1
	v_perm_b32 v34, v35, v34, s5
	v_perm_b32 v35, v69, v68, s5
	v_mfma_f32_16x16x16_bf16 v[30:33], v[24:25], v[38:39], v[30:33]
	v_cvt_pk_f32_fp8_e32 v[24:25], v18
	v_cvt_pk_f32_fp8_sdwa v[38:39], v20 src0_sel:WORD_1
	v_bfe_u32 v58, v64, 16, 1
	v_mfma_f32_16x16x16_bf16 v[30:33], v[34:35], v[40:41], v[30:33]
	v_cvt_pk_f32_fp8_e32 v[34:35], v19
	v_perm_b32 v24, v25, v24, s5
	v_perm_b32 v25, v37, v36, s5
	v_cvt_pk_f32_fp8_sdwa v[18:19], v19 src0_sel:WORD_1
	v_perm_b32 v34, v35, v34, s5
	v_cvt_pk_f32_fp8_e32 v[36:37], v20
	v_mfma_f32_16x16x16_bf16 v[30:33], v[24:25], v[6:7], v[30:33]
	v_perm_b32 v35, v19, v18, s5
	v_perm_b32 v18, v37, v36, s5
	;; [unrolled: 1-line block ×3, first 2 shown]
	v_cvt_pk_f32_fp8_e32 v[24:25], v21
	v_cvt_pk_f32_fp8_sdwa v[20:21], v21 src0_sel:WORD_1
	v_mfma_f32_16x16x16_bf16 v[6:9], v[34:35], v[8:9], v[30:33]
	v_perm_b32 v24, v25, v24, s5
	v_perm_b32 v25, v21, v20, s5
	v_mfma_f32_16x16x16_bf16 v[6:9], v[18:19], v[42:43], v[6:9]
	s_waitcnt vmcnt(1)
	v_cvt_pk_f32_fp8_e32 v[18:19], v14
	v_cvt_pk_f32_fp8_sdwa v[20:21], v14 src0_sel:WORD_1
	v_cvt_pk_f32_fp8_sdwa v[30:31], v16 src0_sel:WORD_1
	v_mfma_f32_16x16x16_bf16 v[6:9], v[24:25], v[44:45], v[6:9]
	v_cvt_pk_f32_fp8_e32 v[24:25], v15
	v_perm_b32 v18, v19, v18, s5
	v_perm_b32 v19, v21, v20, s5
	v_cvt_pk_f32_fp8_sdwa v[14:15], v15 src0_sel:WORD_1
	v_perm_b32 v20, v25, v24, s5
	v_cvt_pk_f32_fp8_e32 v[24:25], v16
	v_mfma_f32_16x16x16_bf16 v[6:9], v[18:19], v[2:3], v[6:9]
	v_perm_b32 v21, v15, v14, s5
	v_perm_b32 v14, v25, v24, s5
	;; [unrolled: 1-line block ×3, first 2 shown]
	v_cvt_pk_f32_fp8_e32 v[18:19], v17
	v_cvt_pk_f32_fp8_sdwa v[16:17], v17 src0_sel:WORD_1
	v_mfma_f32_16x16x16_bf16 v[2:5], v[20:21], v[4:5], v[6:9]
	v_add3_u32 v32, v64, v58, s9
	v_add3_u32 v33, v65, v57, s9
	s_nop 0
	v_perm_b32 v8, v19, v18, s5
	v_perm_b32 v9, v17, v16, s5
	v_mfma_f32_16x16x16_bf16 v[2:5], v[14:15], v[46:47], v[2:5]
	s_waitcnt vmcnt(0)
	v_cvt_pk_f32_fp8_e32 v[14:15], v10
	v_cvt_pk_f32_fp8_sdwa v[16:17], v10 src0_sel:WORD_1
	v_cvt_pk_f32_fp8_sdwa v[18:19], v12 src0_sel:WORD_1
	v_mfma_f32_16x16x16_bf16 v[2:5], v[8:9], v[48:49], v[2:5]
	v_cvt_pk_f32_fp8_e32 v[8:9], v11
	v_perm_b32 v14, v15, v14, s5
	v_perm_b32 v15, v17, v16, s5
	v_cvt_pk_f32_fp8_sdwa v[10:11], v11 src0_sel:WORD_1
	v_perm_b32 v8, v9, v8, s5
	v_cvt_pk_f32_fp8_e32 v[16:17], v12
	v_mfma_f32_16x16x16_bf16 v[2:5], v[14:15], v[26:27], v[2:5]
	v_perm_b32 v9, v11, v10, s5
	v_perm_b32 v10, v17, v16, s5
	;; [unrolled: 1-line block ×3, first 2 shown]
	v_cvt_pk_f32_fp8_e32 v[14:15], v13
	v_cvt_pk_f32_fp8_sdwa v[12:13], v13 src0_sel:WORD_1
	v_mfma_f32_16x16x16_bf16 v[2:5], v[8:9], v[28:29], v[2:5]
	v_bfe_u32 v7, v23, 16, 1
	v_perm_b32 v8, v15, v14, s5
	v_perm_b32 v9, v13, v12, s5
	v_mfma_f32_16x16x16_bf16 v[2:5], v[10:11], v[50:51], v[2:5]
	v_bfe_u32 v16, v22, 16, 1
	v_add3_u32 v10, v22, v16, s9
	v_add3_u32 v7, v23, v7, s9
	v_mfma_f32_16x16x16_bf16 v[2:5], v[8:9], v[52:53], v[2:5]
	v_perm_b32 v6, v33, v32, s5
	v_perm_b32 v7, v7, v10, s5
	s_nop 4
	v_pk_mul_f32 v[2:3], v[2:3], s[4:5] op_sel_hi:[1,0]
	v_pk_mul_f32 v[4:5], v[4:5], s[4:5] op_sel_hi:[1,0]
	v_bfe_u32 v8, v3, 16, 1
	v_bfe_u32 v9, v2, 16, 1
	v_add3_u32 v2, v2, v9, s9
	v_add3_u32 v3, v3, v8, s9
	v_perm_b32 v2, v3, v2, s5
	v_bfe_u32 v3, v5, 16, 1
	v_bfe_u32 v8, v4, 16, 1
	v_add3_u32 v4, v4, v8, s9
	v_add3_u32 v3, v5, v3, s9
	v_perm_b32 v3, v3, v4, s5
	ds_write2st64_b64 v55, v[6:7], v[2:3] offset1:1
	s_waitcnt lgkmcnt(0)
	s_barrier
	s_and_saveexec_b64 s[4:5], vcc
	s_cbranch_execz .LBB1342_20
; %bb.18:
	s_load_dwordx2 s[4:5], s[0:1], 0x68
	s_lshl_b32 s0, s7, 7
	s_mul_i32 s1, s8, s2
	v_lshlrev_b32_e32 v3, 6, v56
	s_mul_hi_u32 s9, s1, s0
	s_mul_i32 s8, s1, s0
	v_lshl_or_b32 v0, v0, 10, v3
	s_lshl_b64 s[8:9], s[8:9], 1
	v_lshlrev_b32_e32 v2, 5, v62
	v_and_b32_e32 v1, 16, v1
	v_and_b32_e32 v0, 0x1a00, v0
	s_waitcnt lgkmcnt(0)
	s_add_u32 s1, s4, s8
	v_or3_b32 v2, v0, v2, v1
	s_addc_u32 s4, s5, s9
	s_lshl_b32 s2, s6, 7
	ds_read_b128 v[4:7], v2 offset:256
	s_lshl_b64 s[2:3], s[2:3], 1
	ds_read_b128 v[8:11], v2 offset:128
	ds_read_b128 v[12:15], v2
	s_add_u32 s2, s1, s2
	s_addc_u32 s3, s4, s3
	v_mov_b32_e32 v55, 0
	v_add_u32_e32 v3, s48, v62
	v_lshl_add_u64 v[0:1], s[2:3], 0, v[54:55]
	v_mad_u64_u32 v[16:17], s[2:3], v3, s0, 0
	v_lshl_add_u64 v[16:17], v[16:17], 1, v[0:1]
	s_waitcnt lgkmcnt(0)
	global_store_dwordx4 v[16:17], v[12:15], off
	v_cmp_ne_u32_e32 vcc, 3, v62
	s_nop 0
	v_add_u32_e32 v12, 4, v3
	v_mad_u64_u32 v[12:13], s[2:3], v12, s0, 0
	v_lshl_add_u64 v[12:13], v[12:13], 1, v[0:1]
	v_add_u32_e32 v3, 8, v3
	global_store_dwordx4 v[12:13], v[8:11], off
	s_nop 1
	v_mad_u64_u32 v[8:9], s[2:3], v3, s0, 0
	v_lshl_add_u64 v[8:9], v[8:9], 1, v[0:1]
	global_store_dwordx4 v[8:9], v[4:7], off
	s_and_b64 exec, exec, vcc
	s_cbranch_execz .LBB1342_20
; %bb.19:
	ds_read_b128 v[2:5], v2 offset:384
	v_add3_u32 v6, s48, v62, 12
	v_mad_u64_u32 v[6:7], s[0:1], v6, s0, 0
	v_lshl_add_u64 v[0:1], v[6:7], 1, v[0:1]
	s_waitcnt lgkmcnt(0)
	global_store_dwordx4 v[0:1], v[2:5], off
.LBB1342_20:
	s_endpgm
	.section	.rodata,"a",@progbits
	.p2align	6, 0x0
	.amdhsa_kernel _Z39paged_attention_ll4mi_QKV_mfma16_kernelI14__hip_bfloat16hLN4vllm18Fp8KVCacheDataTypeE1EhLi32ELi128ELi256ELb1ELi15EEvPKT_PKT0_S8_ifPKiSA_SA_iPKfiiiPfSD_PS3_PT2_iSC_SC_
		.amdhsa_group_segment_fixed_size 8192
		.amdhsa_private_segment_fixed_size 0
		.amdhsa_kernarg_size 400
		.amdhsa_user_sgpr_count 2
		.amdhsa_user_sgpr_dispatch_ptr 0
		.amdhsa_user_sgpr_queue_ptr 0
		.amdhsa_user_sgpr_kernarg_segment_ptr 1
		.amdhsa_user_sgpr_dispatch_id 0
		.amdhsa_user_sgpr_kernarg_preload_length 0
		.amdhsa_user_sgpr_kernarg_preload_offset 0
		.amdhsa_user_sgpr_private_segment_size 0
		.amdhsa_uses_dynamic_stack 0
		.amdhsa_enable_private_segment 0
		.amdhsa_system_sgpr_workgroup_id_x 1
		.amdhsa_system_sgpr_workgroup_id_y 1
		.amdhsa_system_sgpr_workgroup_id_z 1
		.amdhsa_system_sgpr_workgroup_info 0
		.amdhsa_system_vgpr_workitem_id 0
		.amdhsa_next_free_vgpr 78
		.amdhsa_next_free_sgpr 50
		.amdhsa_accum_offset 80
		.amdhsa_reserve_vcc 1
		.amdhsa_float_round_mode_32 0
		.amdhsa_float_round_mode_16_64 0
		.amdhsa_float_denorm_mode_32 3
		.amdhsa_float_denorm_mode_16_64 3
		.amdhsa_dx10_clamp 1
		.amdhsa_ieee_mode 1
		.amdhsa_fp16_overflow 0
		.amdhsa_tg_split 0
		.amdhsa_exception_fp_ieee_invalid_op 0
		.amdhsa_exception_fp_denorm_src 0
		.amdhsa_exception_fp_ieee_div_zero 0
		.amdhsa_exception_fp_ieee_overflow 0
		.amdhsa_exception_fp_ieee_underflow 0
		.amdhsa_exception_fp_ieee_inexact 0
		.amdhsa_exception_int_div_zero 0
	.end_amdhsa_kernel
	.section	.text._Z39paged_attention_ll4mi_QKV_mfma16_kernelI14__hip_bfloat16hLN4vllm18Fp8KVCacheDataTypeE1EhLi32ELi128ELi256ELb1ELi15EEvPKT_PKT0_S8_ifPKiSA_SA_iPKfiiiPfSD_PS3_PT2_iSC_SC_,"axG",@progbits,_Z39paged_attention_ll4mi_QKV_mfma16_kernelI14__hip_bfloat16hLN4vllm18Fp8KVCacheDataTypeE1EhLi32ELi128ELi256ELb1ELi15EEvPKT_PKT0_S8_ifPKiSA_SA_iPKfiiiPfSD_PS3_PT2_iSC_SC_,comdat
.Lfunc_end1342:
	.size	_Z39paged_attention_ll4mi_QKV_mfma16_kernelI14__hip_bfloat16hLN4vllm18Fp8KVCacheDataTypeE1EhLi32ELi128ELi256ELb1ELi15EEvPKT_PKT0_S8_ifPKiSA_SA_iPKfiiiPfSD_PS3_PT2_iSC_SC_, .Lfunc_end1342-_Z39paged_attention_ll4mi_QKV_mfma16_kernelI14__hip_bfloat16hLN4vllm18Fp8KVCacheDataTypeE1EhLi32ELi128ELi256ELb1ELi15EEvPKT_PKT0_S8_ifPKiSA_SA_iPKfiiiPfSD_PS3_PT2_iSC_SC_
                                        ; -- End function
	.section	.AMDGPU.csdata,"",@progbits
; Kernel info:
; codeLenInByte = 6728
; NumSgprs: 56
; NumVgprs: 78
; NumAgprs: 0
; TotalNumVgprs: 78
; ScratchSize: 0
; MemoryBound: 0
; FloatMode: 240
; IeeeMode: 1
; LDSByteSize: 8192 bytes/workgroup (compile time only)
; SGPRBlocks: 6
; VGPRBlocks: 9
; NumSGPRsForWavesPerEU: 56
; NumVGPRsForWavesPerEU: 78
; AccumOffset: 80
; Occupancy: 6
; WaveLimiterHint : 1
; COMPUTE_PGM_RSRC2:SCRATCH_EN: 0
; COMPUTE_PGM_RSRC2:USER_SGPR: 2
; COMPUTE_PGM_RSRC2:TRAP_HANDLER: 0
; COMPUTE_PGM_RSRC2:TGID_X_EN: 1
; COMPUTE_PGM_RSRC2:TGID_Y_EN: 1
; COMPUTE_PGM_RSRC2:TGID_Z_EN: 1
; COMPUTE_PGM_RSRC2:TIDIG_COMP_CNT: 0
; COMPUTE_PGM_RSRC3_GFX90A:ACCUM_OFFSET: 19
; COMPUTE_PGM_RSRC3_GFX90A:TG_SPLIT: 0
	.section	.text._Z39paged_attention_ll4mi_QKV_mfma16_kernelI14__hip_bfloat16hLN4vllm18Fp8KVCacheDataTypeE1EhLi32ELi128ELi256ELb1ELi16EEvPKT_PKT0_S8_ifPKiSA_SA_iPKfiiiPfSD_PS3_PT2_iSC_SC_,"axG",@progbits,_Z39paged_attention_ll4mi_QKV_mfma16_kernelI14__hip_bfloat16hLN4vllm18Fp8KVCacheDataTypeE1EhLi32ELi128ELi256ELb1ELi16EEvPKT_PKT0_S8_ifPKiSA_SA_iPKfiiiPfSD_PS3_PT2_iSC_SC_,comdat
	.protected	_Z39paged_attention_ll4mi_QKV_mfma16_kernelI14__hip_bfloat16hLN4vllm18Fp8KVCacheDataTypeE1EhLi32ELi128ELi256ELb1ELi16EEvPKT_PKT0_S8_ifPKiSA_SA_iPKfiiiPfSD_PS3_PT2_iSC_SC_ ; -- Begin function _Z39paged_attention_ll4mi_QKV_mfma16_kernelI14__hip_bfloat16hLN4vllm18Fp8KVCacheDataTypeE1EhLi32ELi128ELi256ELb1ELi16EEvPKT_PKT0_S8_ifPKiSA_SA_iPKfiiiPfSD_PS3_PT2_iSC_SC_
	.globl	_Z39paged_attention_ll4mi_QKV_mfma16_kernelI14__hip_bfloat16hLN4vllm18Fp8KVCacheDataTypeE1EhLi32ELi128ELi256ELb1ELi16EEvPKT_PKT0_S8_ifPKiSA_SA_iPKfiiiPfSD_PS3_PT2_iSC_SC_
	.p2align	8
	.type	_Z39paged_attention_ll4mi_QKV_mfma16_kernelI14__hip_bfloat16hLN4vllm18Fp8KVCacheDataTypeE1EhLi32ELi128ELi256ELb1ELi16EEvPKT_PKT0_S8_ifPKiSA_SA_iPKfiiiPfSD_PS3_PT2_iSC_SC_,@function
_Z39paged_attention_ll4mi_QKV_mfma16_kernelI14__hip_bfloat16hLN4vllm18Fp8KVCacheDataTypeE1EhLi32ELi128ELi256ELb1ELi16EEvPKT_PKT0_S8_ifPKiSA_SA_iPKfiiiPfSD_PS3_PT2_iSC_SC_: ; @_Z39paged_attention_ll4mi_QKV_mfma16_kernelI14__hip_bfloat16hLN4vllm18Fp8KVCacheDataTypeE1EhLi32ELi128ELi256ELb1ELi16EEvPKT_PKT0_S8_ifPKiSA_SA_iPKfiiiPfSD_PS3_PT2_iSC_SC_
; %bb.0:
	s_load_dwordx2 s[14:15], s[0:1], 0x30
	s_mov_b32 s33, s3
	s_mov_b64 s[6:7], 0
	s_waitcnt lgkmcnt(0)
	s_cmp_lg_u64 s[14:15], 0
	s_cselect_b64 s[16:17], -1, 0
	s_and_b64 vcc, exec, s[16:17]
	s_cbranch_vccz .LBB1343_7
; %bb.1:
	s_add_i32 s8, s2, 1
	s_mov_b32 s9, 0
	s_lshl_b64 s[10:11], s[8:9], 2
	s_add_u32 s10, s14, s10
	s_mov_b32 s3, s9
	s_addc_u32 s11, s15, s11
	s_lshl_b64 s[8:9], s[2:3], 2
	s_add_u32 s8, s14, s8
	s_addc_u32 s9, s15, s9
	s_load_dword s5, s[10:11], 0x0
	s_load_dword s12, s[8:9], 0x0
	s_waitcnt lgkmcnt(0)
	s_sub_i32 s5, s5, s12
	s_cmp_eq_u32 s5, 1
	s_cselect_b64 s[8:9], -1, 0
	s_andn2_b64 vcc, exec, s[6:7]
	s_cbranch_vccnz .LBB1343_3
.LBB1343_2:
	s_mov_b32 s3, 0
	s_mov_b64 s[8:9], -1
.LBB1343_3:
	s_andn2_b64 vcc, exec, s[8:9]
	s_cbranch_vccnz .LBB1343_17
; %bb.4:
	s_load_dwordx2 s[6:7], s[0:1], 0x28
	s_lshl_b64 s[18:19], s[2:3], 2
	s_waitcnt lgkmcnt(0)
	s_add_u32 s6, s6, s18
	s_addc_u32 s7, s7, s19
	s_load_dword s5, s[6:7], 0x0
	s_lshl_b32 s20, s33, 8
	s_waitcnt lgkmcnt(0)
	s_cmp_ge_i32 s20, s5
	s_cbranch_scc1 .LBB1343_17
; %bb.5:
	s_load_dwordx2 s[6:7], s[0:1], 0x20
	s_load_dword s8, s[0:1], 0x38
	s_add_i32 s9, s5, 31
	s_ashr_i32 s10, s9, 31
	v_and_b32_e32 v1, 0xcf, v0
	s_lshr_b32 s10, s10, 27
	v_add_u32_e32 v1, s20, v1
	s_add_i32 s9, s9, s10
	v_ashrrev_i32_e32 v2, 31, v1
	s_ashr_i32 s21, s9, 5
	v_lshrrev_b32_e32 v10, 27, v2
	s_add_i32 s21, s21, -1
	s_waitcnt lgkmcnt(0)
	s_mul_i32 s8, s2, s8
	s_mov_b32 s9, 0
	v_add_u32_e32 v2, v1, v10
	s_lshl_b64 s[8:9], s[8:9], 2
	v_ashrrev_i32_e32 v2, 5, v2
	v_mov_b32_e32 v11, s21
	v_cmp_gt_i32_e32 vcc, s5, v1
	s_add_u32 s6, s6, s8
	s_addc_u32 s7, s7, s9
	v_cndmask_b32_e32 v2, v11, v2, vcc
	v_ashrrev_i32_e32 v3, 31, v2
	v_lshl_add_u64 v[4:5], v[2:3], 2, s[6:7]
	v_or_b32_e32 v2, 16, v1
	v_add_u32_e32 v3, v2, v10
	v_ashrrev_i32_e32 v3, 5, v3
	v_cmp_gt_i32_e32 vcc, s5, v2
	s_nop 1
	v_cndmask_b32_e32 v2, v11, v3, vcc
	v_ashrrev_i32_e32 v3, 31, v2
	v_lshl_add_u64 v[6:7], v[2:3], 2, s[6:7]
	v_or_b32_e32 v2, 32, v1
	v_add_u32_e32 v3, v2, v10
	v_ashrrev_i32_e32 v3, 5, v3
	v_cmp_gt_i32_e32 vcc, s5, v2
	v_or_b32_e32 v1, 48, v1
	s_nop 0
	v_cndmask_b32_e32 v2, v11, v3, vcc
	v_ashrrev_i32_e32 v3, 31, v2
	v_lshl_add_u64 v[8:9], v[2:3], 2, s[6:7]
	v_add_u32_e32 v2, v1, v10
	v_ashrrev_i32_e32 v2, 5, v2
	v_cmp_gt_i32_e32 vcc, s5, v1
	s_nop 1
	v_cndmask_b32_e32 v2, v11, v2, vcc
	v_ashrrev_i32_e32 v3, 31, v2
	v_lshl_add_u64 v[10:11], v[2:3], 2, s[6:7]
	global_load_dword v2, v[4:5], off
	global_load_dword v28, v[6:7], off
	;; [unrolled: 1-line block ×4, first 2 shown]
	s_load_dwordx2 s[12:13], s[0:1], 0x40
	s_load_dwordx4 s[8:11], s[0:1], 0x8
	s_andn2_b64 vcc, exec, s[16:17]
	s_cbranch_vccnz .LBB1343_8
; %bb.6:
	s_add_u32 s14, s14, s18
	s_addc_u32 s15, s15, s19
	s_load_dword s16, s[14:15], 0x0
	s_branch .LBB1343_9
.LBB1343_7:
	s_mov_b64 s[8:9], 0
	s_branch .LBB1343_2
.LBB1343_8:
	s_mov_b32 s16, s2
.LBB1343_9:
	s_load_dwordx4 s[40:43], s[0:1], 0x48
	v_and_b32_e32 v58, 15, v0
	v_lshlrev_b32_e32 v3, 3, v58
	s_movk_i32 s14, 0x100
	v_lshrrev_b32_e32 v60, 6, v0
	v_and_b32_e32 v61, 63, v0
	v_bfe_u32 v1, v0, 4, 2
	s_lshl_b32 s44, s4, 4
	v_cmp_gt_u32_e32 vcc, s14, v0
	v_lshlrev_b32_e32 v54, 1, v3
	v_lshlrev_b32_e32 v59, 4, v0
	s_and_saveexec_b64 s[14:15], vcc
	s_cbranch_execz .LBB1343_11
; %bb.10:
	s_load_dwordx2 s[18:19], s[0:1], 0x0
	s_waitcnt lgkmcnt(0)
	s_ashr_i32 s17, s40, 31
	s_mul_hi_u32 s22, s16, s40
	s_mul_i32 s17, s16, s17
	s_add_i32 s17, s22, s17
	s_mul_i32 s16, s16, s40
	v_lshl_or_b32 v3, v60, 2, v1
	s_lshl_b64 s[16:17], s[16:17], 1
	s_add_u32 s16, s18, s16
	v_add_lshl_u32 v4, v3, s44, 7
	s_addc_u32 s17, s19, s17
	v_ashrrev_i32_e32 v5, 31, v4
	v_lshl_add_u64 v[4:5], v[4:5], 1, s[16:17]
	v_mov_b32_e32 v55, 0
	v_lshl_add_u64 v[4:5], v[4:5], 0, v[54:55]
	global_load_dwordx4 v[4:7], v[4:5], off
	v_lshlrev_b32_e32 v9, 8, v0
	v_lshlrev_b32_e32 v8, 8, v58
	v_and_b32_e32 v9, 0x600, v9
	s_movk_i32 s16, 0x800
	v_and_or_b32 v8, v8, s16, v9
	v_lshlrev_b32_e32 v3, 5, v3
	v_and_b32_e32 v9, 16, v59
	v_or3_b32 v3, v8, v3, v9
	s_waitcnt vmcnt(0)
	ds_write_b128 v3, v[4:7]
.LBB1343_11:
	s_or_b64 exec, exec, s[14:15]
	s_waitcnt lgkmcnt(0)
	s_mul_i32 s14, s4, s42
	s_add_u32 s8, s8, s14
	s_addc_u32 s9, s9, 0
	v_mov_b32_e32 v53, 0
	v_mov_b64_e32 v[24:25], s[8:9]
	v_and_b32_e32 v4, 48, v0
	s_waitcnt vmcnt(3)
	v_mad_i64_i32 v[2:3], s[8:9], v2, s41, v[24:25]
	v_lshlrev_b32_e32 v22, 4, v58
	v_mov_b32_e32 v23, v53
	v_lshlrev_b32_e32 v52, 5, v4
	v_lshl_add_u64 v[2:3], v[2:3], 0, v[22:23]
	v_lshl_add_u64 v[2:3], v[2:3], 0, v[52:53]
	s_load_dword s40, s[0:1], 0x98
	s_load_dwordx4 s[36:39], s[0:1], 0x80
	s_waitcnt lgkmcnt(0)
	s_barrier
	global_load_dwordx4 v[34:37], v[2:3], off
	global_load_dwordx4 v[18:21], v[2:3], off offset:2048
	v_or_b32_e32 v30, 0x100, v22
	v_mov_b32_e32 v31, v53
	s_waitcnt vmcnt(4)
	v_mad_i64_i32 v[28:29], s[8:9], v28, s41, v[24:25]
	v_lshlrev_b32_e32 v62, 5, v58
	v_lshl_add_u64 v[28:29], v[28:29], 0, v[30:31]
	v_lshl_or_b32 v55, v1, 9, v62
	v_lshl_add_u64 v[28:29], v[28:29], 0, v[52:53]
	v_or_b32_e32 v39, s20, v4
	ds_read_b128 v[14:17], v55
	ds_read_b128 v[2:5], v55 offset:16
	ds_read_b128 v[10:13], v55 offset:2048
	;; [unrolled: 1-line block ×3, first 2 shown]
	global_load_dwordx4 v[46:49], v[28:29], off
	v_or_b32_e32 v50, s44, v58
	v_ashrrev_i32_e32 v51, 31, v50
	v_lshl_add_u64 v[32:33], v[50:51], 2, s[12:13]
	s_ashr_i32 s12, s20, 31
	v_or_b32_e32 v41, 0x80, v39
	v_or_b32_e32 v51, 0xc0, v39
	s_lshr_b32 s12, s12, 27
	global_load_dword v63, v[32:33], off
	s_waitcnt vmcnt(5)
	v_mad_i64_i32 v[32:33], s[8:9], v26, s41, v[24:25]
	s_waitcnt vmcnt(4)
	v_mad_i64_i32 v[24:25], s[8:9], v27, s41, v[24:25]
	v_add_u32_e32 v42, s12, v41
	v_add_u32_e32 v43, s12, v51
	v_lshl_add_u64 v[24:25], v[24:25], 0, v[30:31]
	v_ashrrev_i32_e32 v30, 5, v42
	v_ashrrev_i32_e32 v31, 5, v43
	global_load_dwordx4 v[42:45], v[28:29], off offset:2048
	v_or_b32_e32 v40, 64, v39
	v_add_u32_e32 v26, s12, v39
	v_mov_b32_e32 v38, s21
	v_add_u32_e32 v27, s12, v40
	v_ashrrev_i32_e32 v26, 5, v26
	v_cmp_gt_i32_e32 vcc, s5, v39
	v_ashrrev_i32_e32 v27, 5, v27
	v_lshl_add_u64 v[22:23], v[32:33], 0, v[22:23]
	v_cndmask_b32_e32 v64, v38, v26, vcc
	v_cmp_gt_i32_e32 vcc, s5, v40
	v_lshl_add_u64 v[22:23], v[22:23], 0, v[52:53]
	v_lshl_add_u64 v[24:25], v[24:25], 0, v[52:53]
	v_cndmask_b32_e32 v66, v38, v27, vcc
	v_cmp_gt_i32_e32 vcc, s5, v41
	s_mov_b32 s42, 0x7060302
	v_ashrrev_i32_e32 v65, 31, v64
	v_cndmask_b32_e32 v68, v38, v30, vcc
	v_cmp_gt_i32_e32 vcc, s5, v51
	v_ashrrev_i32_e32 v67, 31, v66
	v_ashrrev_i32_e32 v69, 31, v68
	v_cndmask_b32_e32 v56, v38, v31, vcc
	global_load_dwordx4 v[38:41], v[22:23], off
	global_load_dwordx4 v[30:33], v[22:23], off offset:2048
	global_load_dwordx4 v[26:29], v[24:25], off
	s_nop 0
	global_load_dwordx4 v[22:25], v[24:25], off offset:2048
	v_ashrrev_i32_e32 v57, 31, v56
	v_lshl_add_u64 v[64:65], v[64:65], 2, s[6:7]
	v_lshl_add_u64 v[66:67], v[66:67], 2, s[6:7]
	;; [unrolled: 1-line block ×4, first 2 shown]
	global_load_dword v65, v[64:65], off
	s_nop 0
	global_load_dword v64, v[66:67], off
	global_load_dword v51, v[68:69], off
	s_nop 0
	global_load_dword v56, v[56:57], off
	s_add_u32 s6, s10, s14
	s_addc_u32 s7, s11, 0
	v_and_b32_e32 v52, 16, v0
	v_lshl_or_b32 v57, v60, 4, v58
	s_load_dword s4, s[0:1], 0x1c
	s_mov_b32 s43, 0xff7fffff
	s_waitcnt vmcnt(12)
	v_cvt_pk_f32_fp8_e32 v[70:71], v34
	v_cvt_pk_f32_fp8_sdwa v[72:73], v34 src0_sel:WORD_1
	v_cvt_pk_f32_fp8_e32 v[74:75], v35
	v_cvt_pk_f32_fp8_sdwa v[34:35], v35 src0_sel:WORD_1
	v_perm_b32 v70, v71, v70, s42
	v_perm_b32 v71, v73, v72, s42
	v_cvt_pk_f32_fp8_e32 v[76:77], v36
	v_cvt_pk_f32_fp8_sdwa v[78:79], v36 src0_sel:WORD_1
	v_perm_b32 v74, v75, v74, s42
	v_perm_b32 v75, v35, v34, s42
	v_cvt_pk_f32_fp8_e32 v[80:81], v37
	v_cvt_pk_f32_fp8_sdwa v[72:73], v37 src0_sel:WORD_1
	s_waitcnt lgkmcnt(0)
	v_mfma_f32_16x16x16_bf16 v[34:37], v[70:71], v[14:15], 0
	v_perm_b32 v76, v77, v76, s42
	v_perm_b32 v77, v79, v78, s42
	s_waitcnt vmcnt(11)
	v_cvt_pk_f32_fp8_e32 v[82:83], v18
	v_mfma_f32_16x16x16_bf16 v[34:37], v[74:75], v[16:17], v[34:37]
	v_cvt_pk_f32_fp8_sdwa v[70:71], v18 src0_sel:WORD_1
	v_perm_b32 v78, v81, v80, s42
	v_perm_b32 v79, v73, v72, s42
	v_mfma_f32_16x16x16_bf16 v[34:37], v[76:77], v[2:3], v[34:37]
	v_cvt_pk_f32_fp8_e32 v[74:75], v19
	v_cvt_pk_f32_fp8_sdwa v[18:19], v19 src0_sel:WORD_1
	v_perm_b32 v72, v83, v82, s42
	v_perm_b32 v73, v71, v70, s42
	v_mfma_f32_16x16x16_bf16 v[34:37], v[78:79], v[4:5], v[34:37]
	v_perm_b32 v70, v75, v74, s42
	v_perm_b32 v71, v19, v18, s42
	v_cvt_pk_f32_fp8_e32 v[18:19], v20
	v_cvt_pk_f32_fp8_sdwa v[66:67], v20 src0_sel:WORD_1
	v_mfma_f32_16x16x16_bf16 v[34:37], v[72:73], v[10:11], v[34:37]
	v_cvt_pk_f32_fp8_e32 v[68:69], v21
	v_perm_b32 v18, v19, v18, s42
	v_perm_b32 v19, v67, v66, s42
	v_cvt_pk_f32_fp8_sdwa v[20:21], v21 src0_sel:WORD_1
	v_mfma_f32_16x16x16_bf16 v[34:37], v[70:71], v[12:13], v[34:37]
	v_perm_b32 v66, v69, v68, s42
	s_waitcnt vmcnt(10)
	v_cvt_pk_f32_fp8_e32 v[68:69], v46
	v_cvt_pk_f32_fp8_sdwa v[70:71], v46 src0_sel:WORD_1
	v_perm_b32 v67, v21, v20, s42
	v_mfma_f32_16x16x16_bf16 v[18:21], v[18:19], v[6:7], v[34:37]
	s_waitcnt vmcnt(5)
	v_cvt_pk_f32_fp8_sdwa v[72:73], v28 src0_sel:WORD_1
	s_nop 0
	v_perm_b32 v34, v69, v68, s42
	v_perm_b32 v35, v71, v70, s42
	v_cvt_pk_f32_fp8_e32 v[36:37], v47
	v_cvt_pk_f32_fp8_sdwa v[46:47], v47 src0_sel:WORD_1
	v_mfma_f32_16x16x16_bf16 v[18:21], v[66:67], v[8:9], v[18:21]
	v_cvt_pk_f32_fp8_sdwa v[68:69], v48 src0_sel:WORD_1
	v_perm_b32 v66, v37, v36, s42
	v_perm_b32 v67, v47, v46, s42
	v_mfma_f32_16x16x16_bf16 v[34:37], v[34:35], v[14:15], 0
	v_cvt_pk_f32_fp8_e32 v[46:47], v48
	v_cvt_pk_f32_fp8_sdwa v[70:71], v42 src0_sel:WORD_1
	v_perm_b32 v46, v47, v46, s42
	v_mfma_f32_16x16x16_bf16 v[34:37], v[66:67], v[16:17], v[34:37]
	v_cvt_pk_f32_fp8_e32 v[66:67], v49
	v_perm_b32 v47, v69, v68, s42
	v_cvt_pk_f32_fp8_sdwa v[48:49], v49 src0_sel:WORD_1
	v_cvt_pk_f32_fp8_e32 v[68:69], v42
	v_perm_b32 v66, v67, v66, s42
	v_mfma_f32_16x16x16_bf16 v[34:37], v[46:47], v[2:3], v[34:37]
	v_perm_b32 v67, v49, v48, s42
	v_perm_b32 v46, v69, v68, s42
	;; [unrolled: 1-line block ×3, first 2 shown]
	v_cvt_pk_f32_fp8_e32 v[48:49], v43
	v_cvt_pk_f32_fp8_sdwa v[42:43], v43 src0_sel:WORD_1
	v_mfma_f32_16x16x16_bf16 v[34:37], v[66:67], v[4:5], v[34:37]
	v_cvt_pk_f32_fp8_sdwa v[66:67], v44 src0_sel:WORD_1
	v_perm_b32 v48, v49, v48, s42
	v_perm_b32 v49, v43, v42, s42
	v_mfma_f32_16x16x16_bf16 v[34:37], v[46:47], v[10:11], v[34:37]
	v_cvt_pk_f32_fp8_e32 v[46:47], v44
	v_cvt_pk_f32_fp8_sdwa v[68:69], v38 src0_sel:WORD_1
	v_lshl_add_u64 v[42:43], s[6:7], 0, v[52:53]
	v_mfma_f32_16x16x16_bf16 v[34:37], v[48:49], v[12:13], v[34:37]
	v_cvt_pk_f32_fp8_e32 v[48:49], v45
	v_perm_b32 v46, v47, v46, s42
	v_perm_b32 v47, v67, v66, s42
	v_cvt_pk_f32_fp8_sdwa v[44:45], v45 src0_sel:WORD_1
	v_cvt_pk_f32_fp8_e32 v[66:67], v38
	v_perm_b32 v48, v49, v48, s42
	v_mfma_f32_16x16x16_bf16 v[34:37], v[46:47], v[6:7], v[34:37]
	v_perm_b32 v49, v45, v44, s42
	v_perm_b32 v44, v67, v66, s42
	;; [unrolled: 1-line block ×3, first 2 shown]
	v_cvt_pk_f32_fp8_e32 v[46:47], v39
	v_cvt_pk_f32_fp8_sdwa v[38:39], v39 src0_sel:WORD_1
	v_mfma_f32_16x16x16_bf16 v[34:37], v[48:49], v[8:9], v[34:37]
	v_cvt_pk_f32_fp8_sdwa v[66:67], v40 src0_sel:WORD_1
	v_perm_b32 v48, v47, v46, s42
	v_perm_b32 v49, v39, v38, s42
	v_mfma_f32_16x16x16_bf16 v[44:47], v[44:45], v[14:15], 0
	v_cvt_pk_f32_fp8_e32 v[38:39], v40
	v_cvt_pk_f32_fp8_sdwa v[68:69], v30 src0_sel:WORD_1
	v_lshlrev_b32_e32 v52, 5, v57
	v_mfma_f32_16x16x16_bf16 v[44:47], v[48:49], v[16:17], v[44:47]
	v_cvt_pk_f32_fp8_e32 v[48:49], v41
	v_perm_b32 v38, v39, v38, s42
	v_perm_b32 v39, v67, v66, s42
	v_cvt_pk_f32_fp8_sdwa v[40:41], v41 src0_sel:WORD_1
	v_perm_b32 v48, v49, v48, s42
	v_cvt_pk_f32_fp8_e32 v[66:67], v30
	v_perm_b32 v49, v41, v40, s42
	v_mfma_f32_16x16x16_bf16 v[38:41], v[38:39], v[2:3], v[44:47]
	s_nop 2
	v_perm_b32 v44, v67, v66, s42
	v_perm_b32 v45, v69, v68, s42
	v_cvt_pk_f32_fp8_e32 v[46:47], v31
	v_cvt_pk_f32_fp8_sdwa v[66:67], v31 src0_sel:WORD_1
	v_mfma_f32_16x16x16_bf16 v[38:41], v[48:49], v[4:5], v[38:41]
	v_cvt_pk_f32_fp8_sdwa v[48:49], v32 src0_sel:WORD_1
	v_perm_b32 v46, v47, v46, s42
	v_perm_b32 v47, v67, v66, s42
	v_mfma_f32_16x16x16_bf16 v[38:41], v[44:45], v[10:11], v[38:41]
	v_cvt_pk_f32_fp8_e32 v[44:45], v32
	v_lshl_add_u64 v[30:31], v[42:43], 0, v[52:53]
	s_waitcnt vmcnt(3)
	v_mad_i64_i32 v[70:71], s[6:7], v65, s41, v[30:31]
	v_mfma_f32_16x16x16_bf16 v[38:41], v[46:47], v[12:13], v[38:41]
	v_perm_b32 v44, v45, v44, s42
	v_perm_b32 v45, v49, v48, s42
	v_cvt_pk_f32_fp8_e32 v[46:47], v33
	v_cvt_pk_f32_fp8_sdwa v[32:33], v33 src0_sel:WORD_1
	v_mfma_f32_16x16x16_bf16 v[38:41], v[44:45], v[6:7], v[38:41]
	v_perm_b32 v46, v47, v46, s42
	v_perm_b32 v47, v33, v32, s42
	v_cvt_pk_f32_fp8_e32 v[32:33], v26
	v_cvt_pk_f32_fp8_sdwa v[44:45], v26 src0_sel:WORD_1
	v_mfma_f32_16x16x16_bf16 v[66:69], v[46:47], v[8:9], v[38:41]
	v_perm_b32 v32, v33, v32, s42
	s_nop 1
	v_cvt_pk_f32_fp8_e32 v[38:39], v27
	v_perm_b32 v33, v45, v44, s42
	v_cvt_pk_f32_fp8_sdwa v[26:27], v27 src0_sel:WORD_1
	v_cvt_pk_f32_fp8_e32 v[46:47], v28
	v_perm_b32 v44, v39, v38, s42
	v_mfma_f32_16x16x16_bf16 v[38:41], v[32:33], v[14:15], 0
	v_perm_b32 v45, v27, v26, s42
	v_perm_b32 v26, v47, v46, s42
	;; [unrolled: 1-line block ×3, first 2 shown]
	v_cvt_pk_f32_fp8_e32 v[32:33], v29
	v_cvt_pk_f32_fp8_sdwa v[28:29], v29 src0_sel:WORD_1
	v_mfma_f32_16x16x16_bf16 v[14:17], v[44:45], v[16:17], v[38:41]
	s_waitcnt vmcnt(2)
	v_mad_i64_i32 v[48:49], s[6:7], v64, s41, v[30:31]
	s_load_dword s6, s[36:37], 0x0
	v_perm_b32 v32, v33, v32, s42
	v_perm_b32 v33, v29, v28, s42
	v_mfma_f32_16x16x16_bf16 v[26:29], v[26:27], v[2:3], v[14:17]
	v_mov_b32_e32 v38, s4
	s_waitcnt lgkmcnt(0)
	v_mul_f32_e32 v72, s6, v38
	v_cvt_pk_f32_fp8_e32 v[2:3], v22
	v_pk_mul_f32 v[14:15], v[72:73], v[20:21] op_sel_hi:[0,1]
	v_pk_mul_f32 v[16:17], v[72:73], v[18:19] op_sel_hi:[0,1]
	v_mfma_f32_16x16x16_bf16 v[18:21], v[32:33], v[4:5], v[26:29]
	v_cvt_pk_f32_fp8_sdwa v[4:5], v22 src0_sel:WORD_1
	v_perm_b32 v32, v3, v2, s42
	v_cvt_pk_f32_fp8_sdwa v[40:41], v24 src0_sel:WORD_1
	v_cvt_pk_f32_fp8_e32 v[26:27], v23
	v_cvt_pk_f32_fp8_sdwa v[22:23], v23 src0_sel:WORD_1
	v_perm_b32 v33, v5, v4, s42
	v_pk_mul_f32 v[46:47], v[72:73], v[34:35] op_sel_hi:[0,1]
	v_perm_b32 v38, v27, v26, s42
	v_perm_b32 v39, v23, v22, s42
	v_cvt_pk_f32_fp8_e32 v[22:23], v24
	v_mfma_f32_16x16x16_bf16 v[18:21], v[32:33], v[10:11], v[18:21]
	v_cvt_pk_f32_fp8_e32 v[32:33], v25
	v_cvt_pk_f32_fp8_sdwa v[24:25], v25 src0_sel:WORD_1
	v_perm_b32 v22, v23, v22, s42
	v_perm_b32 v23, v41, v40, s42
	v_mfma_f32_16x16x16_bf16 v[10:13], v[38:39], v[12:13], v[18:21]
	v_pk_mul_f32 v[40:41], v[72:73], v[36:37] op_sel_hi:[0,1]
	v_pk_mul_f32 v[38:39], v[72:73], v[68:69] op_sel_hi:[0,1]
	;; [unrolled: 1-line block ×3, first 2 shown]
	v_perm_b32 v18, v33, v32, s42
	v_perm_b32 v19, v25, v24, s42
	v_mfma_f32_16x16x16_bf16 v[10:13], v[22:23], v[6:7], v[10:13]
	global_load_dwordx4 v[26:29], v[70:71], off
	global_load_dwordx4 v[2:5], v[48:49], off
	v_or_b32_e32 v52, 0x800, v52
	v_mfma_f32_16x16x16_bf16 v[6:9], v[18:19], v[8:9], v[10:13]
	s_nop 6
	v_pk_mul_f32 v[36:37], v[72:73], v[6:7] op_sel_hi:[0,1]
	v_and_b32_e32 v6, 0xc0, v0
	v_add_u32_e32 v6, s20, v6
	v_lshl_or_b32 v6, v1, 2, v6
	v_or_b32_e32 v7, 1, v6
	v_pk_mul_f32 v[34:35], v[72:73], v[8:9] op_sel_hi:[0,1]
	v_subrev_u32_e32 v8, s5, v7
	v_add_u32_e32 v10, 1, v8
	v_add_u32_e32 v11, 2, v8
	v_cvt_f32_i32_e32 v9, v8
	v_cvt_f32_i32_e32 v10, v10
	;; [unrolled: 1-line block ×3, first 2 shown]
	v_add_u32_e32 v12, 3, v8
	v_fma_f32 v13, v63, v9, v16
	v_fmac_f32_e32 v17, v63, v10
	v_fma_f32 v14, v63, v11, v14
	v_add_u32_e32 v9, 16, v8
	v_add_u32_e32 v10, 17, v8
	;; [unrolled: 1-line block ×3, first 2 shown]
	v_cvt_f32_i32_e32 v12, v12
	v_cvt_f32_i32_e32 v9, v9
	;; [unrolled: 1-line block ×4, first 2 shown]
	v_fmac_f32_e32 v15, v63, v12
	v_add_u32_e32 v12, 19, v8
	v_fma_f32 v46, v63, v9, v46
	v_fmac_f32_e32 v47, v63, v10
	v_fma_f32 v40, v63, v11, v40
	v_add_u32_e32 v9, 32, v8
	v_add_u32_e32 v10, 33, v8
	;; [unrolled: 1-line block ×3, first 2 shown]
	v_cvt_f32_i32_e32 v12, v12
	v_cvt_f32_i32_e32 v9, v9
	v_cvt_f32_i32_e32 v10, v10
	v_cvt_f32_i32_e32 v11, v11
	v_fmac_f32_e32 v41, v63, v12
	v_add_u32_e32 v12, 35, v8
	v_fma_f32 v44, v63, v9, v44
	v_fmac_f32_e32 v45, v63, v10
	v_fma_f32 v38, v63, v11, v38
	v_add_u32_e32 v9, 48, v8
	v_add_u32_e32 v10, 49, v8
	;; [unrolled: 1-line block ×4, first 2 shown]
	v_cvt_f32_i32_e32 v8, v8
	v_cvt_f32_i32_e32 v9, v9
	;; [unrolled: 1-line block ×3, first 2 shown]
	v_cmp_gt_i32_e64 s[18:19], s5, v6
	v_fmac_f32_e32 v35, v63, v8
	v_mov_b32_e32 v8, 0xff7fffff
	v_cmp_gt_i32_e64 s[22:23], s5, v7
	v_fma_f32 v36, v63, v9, v36
	v_cndmask_b32_e64 v9, v8, v13, s[18:19]
	v_cndmask_b32_e64 v7, v8, v17, s[22:23]
	v_fmac_f32_e32 v37, v63, v10
	v_max3_f32 v7, v9, s43, v7
	v_or_b32_e32 v9, 2, v6
	v_or_b32_e32 v10, 3, v6
	v_cmp_gt_i32_e64 s[28:29], s5, v9
	v_cmp_gt_i32_e64 s[34:35], s5, v10
	v_cvt_f32_i32_e32 v12, v12
	v_cndmask_b32_e64 v9, v8, v14, s[28:29]
	v_cndmask_b32_e64 v10, v8, v15, s[34:35]
	v_max3_f32 v7, v7, v9, v10
	v_or_b32_e32 v9, 16, v6
	v_or_b32_e32 v10, 17, v6
	v_cmp_gt_i32_e64 s[12:13], s5, v9
	v_cmp_gt_i32_e64 s[16:17], s5, v10
	v_fmac_f32_e32 v39, v63, v12
	v_cndmask_b32_e64 v9, v8, v46, s[12:13]
	v_cndmask_b32_e64 v10, v8, v47, s[16:17]
	v_max3_f32 v7, v7, v9, v10
	v_or_b32_e32 v9, 18, v6
	v_or_b32_e32 v10, 19, v6
	v_cmp_gt_i32_e64 s[24:25], s5, v9
	v_cmp_gt_i32_e64 s[30:31], s5, v10
	v_cvt_f32_i32_e32 v11, v11
	v_cndmask_b32_e64 v9, v8, v40, s[24:25]
	v_cndmask_b32_e64 v10, v8, v41, s[30:31]
	v_max3_f32 v7, v7, v9, v10
	v_or_b32_e32 v9, 32, v6
	v_or_b32_e32 v10, 33, v6
	v_cmp_gt_i32_e64 s[10:11], s5, v9
	v_cmp_gt_i32_e64 s[14:15], s5, v10
	v_fma_f32 v34, v63, v11, v34
	v_cndmask_b32_e64 v9, v8, v44, s[10:11]
	v_cndmask_b32_e64 v10, v8, v45, s[14:15]
	v_max3_f32 v7, v7, v9, v10
	v_or_b32_e32 v9, 34, v6
	v_or_b32_e32 v10, 35, v6
	v_cmp_gt_i32_e64 s[20:21], s5, v9
	v_cmp_gt_i32_e64 s[26:27], s5, v10
	s_nop 0
	v_cndmask_b32_e64 v9, v8, v38, s[20:21]
	v_cndmask_b32_e64 v10, v8, v39, s[26:27]
	v_max3_f32 v7, v7, v9, v10
	v_or_b32_e32 v9, 48, v6
	v_or_b32_e32 v10, 49, v6
	v_cmp_gt_i32_e64 s[6:7], s5, v9
	v_cmp_gt_i32_e64 s[8:9], s5, v10
	s_nop 0
	v_cndmask_b32_e64 v9, v8, v36, s[6:7]
	v_cndmask_b32_e64 v10, v8, v37, s[8:9]
	v_max3_f32 v7, v7, v9, v10
	v_or_b32_e32 v9, 50, v6
	v_or_b32_e32 v6, 51, v6
	v_cmp_gt_i32_e32 vcc, s5, v9
	v_cmp_gt_i32_e64 s[4:5], s5, v6
	s_nop 0
	v_cndmask_b32_e32 v9, v8, v34, vcc
	v_cndmask_b32_e64 v6, v8, v35, s[4:5]
	v_max3_f32 v6, v7, v9, v6
	v_mbcnt_lo_u32_b32 v7, -1, 0
	v_mbcnt_hi_u32_b32 v7, -1, v7
	v_and_b32_e32 v8, 64, v7
	v_add_u32_e32 v12, 64, v8
	v_xor_b32_e32 v8, 32, v7
	v_cmp_lt_i32_e64 s[36:37], v8, v12
	s_nop 1
	v_cndmask_b32_e64 v8, v7, v8, s[36:37]
	v_lshlrev_b32_e32 v63, 2, v8
	ds_bpermute_b32 v16, v63, v6
	s_waitcnt vmcnt(3)
	v_mad_i64_i32 v[8:9], s[36:37], v51, s41, v[30:31]
	s_waitcnt vmcnt(2)
	v_mad_i64_i32 v[10:11], s[36:37], v56, s41, v[30:31]
	s_waitcnt lgkmcnt(0)
	v_max_f32_e32 v16, v16, v16
	v_max_f32_e32 v16, v6, v16
	v_xor_b32_e32 v6, 16, v7
	v_cmp_lt_i32_e64 s[36:37], v6, v12
	global_load_dwordx4 v[30:33], v[8:9], off
	global_load_dwordx4 v[18:21], v[10:11], off
	v_cndmask_b32_e64 v6, v7, v6, s[36:37]
	v_lshlrev_b32_e32 v67, 2, v6
	ds_bpermute_b32 v12, v67, v16
	v_lshl_add_u64 v[6:7], v[42:43], 0, v[52:53]
	v_mad_i64_i32 v[10:11], s[36:37], v64, s41, v[6:7]
	s_waitcnt lgkmcnt(0)
	v_max_f32_e32 v8, v12, v12
	v_max_f32_e32 v66, v16, v8
	v_sub_f32_e32 v12, v17, v66
	v_mul_f32_e32 v12, 0x3fb8aa3b, v12
	v_exp_f32_e32 v43, v12
	v_sub_f32_e32 v12, v14, v66
	v_mul_f32_e32 v12, 0x3fb8aa3b, v12
	v_sub_f32_e32 v13, v13, v66
	v_exp_f32_e32 v52, v12
	v_sub_f32_e32 v12, v15, v66
	v_mad_i64_i32 v[8:9], s[36:37], v65, s41, v[6:7]
	v_mul_f32_e32 v13, 0x3fb8aa3b, v13
	v_mul_f32_e32 v12, 0x3fb8aa3b, v12
	v_exp_f32_e32 v42, v13
	v_exp_f32_e32 v53, v12
	global_load_dwordx4 v[22:25], v[8:9], off
	s_nop 0
	global_load_dwordx4 v[10:13], v[10:11], off
	v_mad_i64_i32 v[8:9], s[36:37], v51, s41, v[6:7]
	v_mad_i64_i32 v[6:7], s[36:37], v56, s41, v[6:7]
	global_load_dwordx4 v[14:17], v[8:9], off
	s_nop 0
	global_load_dwordx4 v[6:9], v[6:7], off
	v_cndmask_b32_e64 v48, 0, v42, s[18:19]
	v_sub_f32_e32 v42, v46, v66
	v_mul_f32_e32 v42, 0x3fb8aa3b, v42
	v_cndmask_b32_e64 v49, 0, v43, s[22:23]
	v_exp_f32_e32 v42, v42
	v_sub_f32_e32 v43, v47, v66
	v_sub_f32_e32 v40, v40, v66
	v_mul_f32_e32 v43, 0x3fb8aa3b, v43
	v_mul_f32_e32 v40, 0x3fb8aa3b, v40
	v_exp_f32_e32 v43, v43
	v_exp_f32_e32 v46, v40
	v_sub_f32_e32 v40, v41, v66
	v_mul_f32_e32 v40, 0x3fb8aa3b, v40
	v_exp_f32_e32 v47, v40
	v_cndmask_b32_e64 v40, 0, v42, s[12:13]
	v_sub_f32_e32 v42, v45, v66
	v_sub_f32_e32 v38, v38, v66
	v_mul_f32_e32 v42, 0x3fb8aa3b, v42
	v_mul_f32_e32 v38, 0x3fb8aa3b, v38
	v_cndmask_b32_e64 v41, 0, v43, s[16:17]
	v_sub_f32_e32 v43, v44, v66
	v_exp_f32_e32 v42, v42
	v_exp_f32_e32 v44, v38
	v_sub_f32_e32 v38, v39, v66
	v_cndmask_b32_e64 v52, 0, v52, s[28:29]
	v_cndmask_b32_e64 v39, 0, v42, s[14:15]
	;; [unrolled: 1-line block ×3, first 2 shown]
	v_add_f32_e32 v44, 0, v48
	v_add_f32_e32 v44, v44, v49
	v_cndmask_b32_e64 v53, 0, v53, s[34:35]
	v_mul_f32_e32 v43, 0x3fb8aa3b, v43
	v_add_f32_e32 v44, v44, v52
	v_exp_f32_e32 v43, v43
	v_add_f32_e32 v44, v44, v53
	v_add_f32_e32 v44, v44, v40
	v_cndmask_b32_e64 v46, 0, v46, s[24:25]
	v_mul_f32_e32 v38, 0x3fb8aa3b, v38
	v_add_f32_e32 v44, v44, v41
	v_sub_f32_e32 v36, v36, v66
	v_cndmask_b32_e64 v47, 0, v47, s[30:31]
	v_exp_f32_e32 v45, v38
	v_add_f32_e32 v44, v44, v46
	v_mul_f32_e32 v36, 0x3fb8aa3b, v36
	v_sub_f32_e32 v37, v37, v66
	v_cndmask_b32_e64 v38, 0, v43, s[10:11]
	v_add_f32_e32 v44, v44, v47
	v_exp_f32_e32 v36, v36
	v_mul_f32_e32 v37, 0x3fb8aa3b, v37
	v_sub_f32_e32 v34, v34, v66
	v_add_f32_e32 v44, v44, v38
	v_exp_f32_e32 v37, v37
	v_mul_f32_e32 v34, 0x3fb8aa3b, v34
	v_sub_f32_e32 v35, v35, v66
	v_add_f32_e32 v44, v44, v39
	v_exp_f32_e32 v34, v34
	v_mul_f32_e32 v35, 0x3fb8aa3b, v35
	v_cndmask_b32_e64 v43, 0, v45, s[26:27]
	v_add_f32_e32 v44, v44, v42
	v_exp_f32_e32 v35, v35
	v_add_f32_e32 v44, v44, v43
	v_cndmask_b32_e64 v36, 0, v36, s[6:7]
	v_add_f32_e32 v44, v44, v36
	v_cndmask_b32_e64 v37, 0, v37, s[8:9]
	v_add_f32_e32 v44, v44, v37
	v_cndmask_b32_e32 v34, 0, v34, vcc
	v_add_f32_e32 v44, v44, v34
	v_cndmask_b32_e64 v35, 0, v35, s[4:5]
	v_add_f32_e32 v44, v44, v35
	ds_bpermute_b32 v45, v63, v44
	v_cmp_gt_u32_e32 vcc, 16, v61
	s_waitcnt lgkmcnt(0)
	s_barrier
	v_add_f32_e32 v44, v44, v45
	ds_bpermute_b32 v45, v67, v44
	s_and_saveexec_b64 s[4:5], vcc
	s_cbranch_execz .LBB1343_13
; %bb.12:
	s_waitcnt lgkmcnt(0)
	v_add_f32_e32 v44, v44, v45
	v_lshlrev_b32_e32 v45, 2, v57
	ds_write2st64_b32 v45, v66, v44 offset1:1
.LBB1343_13:
	s_or_b64 exec, exec, s[4:5]
	s_waitcnt lgkmcnt(0)
	v_lshlrev_b32_e32 v45, 2, v58
	s_load_dword s6, s[0:1], 0x94
	s_waitcnt lgkmcnt(0)
	s_barrier
	ds_read2_b32 v[56:57], v45 offset1:16
	ds_read2_b32 v[64:65], v45 offset0:32 offset1:48
	ds_read2_b32 v[66:67], v45 offset0:64 offset1:80
	s_movk_i32 s8, 0x7fff
	s_lshl_b32 s7, s40, 4
	s_waitcnt lgkmcnt(2)
	v_max3_f32 v44, v56, s43, v57
	s_waitcnt lgkmcnt(1)
	v_max3_f32 v44, v44, v64, v65
	v_sub_f32_e32 v51, v56, v44
	v_sub_f32_e32 v56, v57, v44
	v_mul_f32_e32 v56, 0x3fb8aa3b, v56
	v_mul_f32_e32 v51, 0x3fb8aa3b, v51
	v_exp_f32_e32 v61, v56
	v_sub_f32_e32 v56, v64, v44
	v_exp_f32_e32 v51, v51
	v_mul_f32_e32 v56, 0x3fb8aa3b, v56
	v_exp_f32_e32 v63, v56
	ds_read2_b32 v[56:57], v45 offset0:96 offset1:112
	v_sub_f32_e32 v45, v65, v44
	v_mul_f32_e32 v45, 0x3fb8aa3b, v45
	v_exp_f32_e32 v64, v45
	s_waitcnt lgkmcnt(1)
	v_fma_f32 v45, v51, v66, 0
	v_fmac_f32_e32 v45, v61, v67
	s_waitcnt lgkmcnt(0)
	v_fmac_f32_e32 v45, v63, v56
	v_fmac_f32_e32 v45, v64, v57
	v_add_f32_e32 v56, 0x358637bd, v45
	v_div_scale_f32 v57, s[4:5], v56, v56, 1.0
	v_rcp_f32_e32 v65, v57
	s_barrier
	v_fma_f32 v66, -v57, v65, 1.0
	v_fmac_f32_e32 v65, v66, v65
	v_div_scale_f32 v66, vcc, 1.0, v56, 1.0
	v_mul_f32_e32 v67, v66, v65
	v_fma_f32 v68, -v57, v67, v66
	v_fmac_f32_e32 v67, v68, v65
	v_fma_f32 v57, -v57, v67, v66
	v_div_fmas_f32 v57, v57, v65, v67
	v_cmp_eq_u32_e32 vcc, 1, v60
	v_div_fixup_f32 v56, v57, v56, 1.0
	s_nop 0
	v_cndmask_b32_e32 v51, v51, v61, vcc
	v_cmp_eq_u32_e32 vcc, 2, v60
	s_nop 1
	v_cndmask_b32_e32 v51, v51, v63, vcc
	v_cmp_eq_u32_e32 vcc, 3, v60
	s_nop 1
	v_cndmask_b32_e32 v51, v51, v64, vcc
	v_mul_f32_e32 v64, v51, v56
	v_pk_mul_f32 v[48:49], v[64:65], v[48:49] op_sel_hi:[0,1]
	v_bfe_u32 v51, v49, 16, 1
	v_bfe_u32 v56, v48, 16, 1
	v_pk_mul_f32 v[52:53], v[64:65], v[52:53] op_sel_hi:[0,1]
	v_add3_u32 v48, v48, v56, s8
	v_add3_u32 v49, v49, v51, s8
	v_perm_b32 v48, v49, v48, s42
	v_bfe_u32 v49, v53, 16, 1
	v_bfe_u32 v51, v52, 16, 1
	v_add3_u32 v51, v52, v51, s8
	v_add3_u32 v49, v53, v49, s8
	v_perm_b32 v49, v49, v51, s42
	v_lshlrev_b32_e32 v51, 3, v1
	v_lshlrev_b32_e32 v52, 11, v60
	v_pk_mul_f32 v[40:41], v[64:65], v[40:41] op_sel_hi:[0,1]
	v_or3_b32 v56, v52, v62, v51
	v_bfe_u32 v51, v41, 16, 1
	v_bfe_u32 v52, v40, 16, 1
	v_pk_mul_f32 v[46:47], v[64:65], v[46:47] op_sel_hi:[0,1]
	v_add3_u32 v40, v40, v52, s8
	v_add3_u32 v41, v41, v51, s8
	v_perm_b32 v40, v41, v40, s42
	v_bfe_u32 v41, v47, 16, 1
	v_bfe_u32 v51, v46, 16, 1
	v_add3_u32 v46, v46, v51, s8
	v_add3_u32 v41, v47, v41, s8
	v_perm_b32 v41, v41, v46, s42
	v_pk_mul_f32 v[38:39], v[64:65], v[38:39] op_sel_hi:[0,1]
	ds_write2st64_b64 v56, v[48:49], v[40:41] offset1:1
	v_pk_mul_f32 v[40:41], v[64:65], v[42:43] op_sel_hi:[0,1]
	v_bfe_u32 v42, v39, 16, 1
	v_bfe_u32 v43, v38, 16, 1
	v_add3_u32 v38, v38, v43, s8
	v_add3_u32 v39, v39, v42, s8
	v_perm_b32 v38, v39, v38, s42
	v_bfe_u32 v39, v41, 16, 1
	v_bfe_u32 v42, v40, 16, 1
	v_add3_u32 v40, v40, v42, s8
	v_add3_u32 v39, v41, v39, s8
	v_pk_mul_f32 v[36:37], v[64:65], v[36:37] op_sel_hi:[0,1]
	v_perm_b32 v39, v39, v40, s42
	v_bfe_u32 v40, v37, 16, 1
	v_bfe_u32 v41, v36, 16, 1
	v_pk_mul_f32 v[34:35], v[64:65], v[34:35] op_sel_hi:[0,1]
	v_add3_u32 v36, v36, v41, s8
	v_add3_u32 v37, v37, v40, s8
	v_perm_b32 v36, v37, v36, s42
	v_bfe_u32 v37, v35, 16, 1
	v_bfe_u32 v40, v34, 16, 1
	v_add3_u32 v34, v34, v40, s8
	v_add3_u32 v35, v35, v37, s8
	v_perm_b32 v37, v35, v34, s42
	v_cmp_gt_u32_e32 vcc, 16, v0
	ds_write2st64_b64 v56, v[38:39], v[36:37] offset0:2 offset1:3
	s_and_saveexec_b64 s[4:5], vcc
	s_cbranch_execz .LBB1343_15
; %bb.14:
	v_mov_b32_e32 v51, 0
	v_mov_b32_e32 v34, s7
	s_mul_i32 s3, s3, s7
	v_mad_u64_u32 v[34:35], s[10:11], s2, v34, v[50:51]
	v_mov_b32_e32 v50, s33
	s_load_dwordx4 s[12:15], s[0:1], 0x58
	v_add_u32_e32 v37, s3, v35
	v_mad_u64_u32 v[34:35], s[10:11], v34, s6, v[50:51]
	v_mov_b32_e32 v36, v35
	v_mad_u64_u32 v[36:37], s[10:11], v37, s6, v[36:37]
	v_mov_b32_e32 v35, v36
	v_lshlrev_b64 v[34:35], 2, v[34:35]
	s_waitcnt lgkmcnt(0)
	v_lshl_add_u64 v[36:37], s[14:15], 0, v[34:35]
	v_lshl_add_u64 v[34:35], s[12:13], 0, v[34:35]
	global_store_dword v[36:37], v44, off
	global_store_dword v[34:35], v45, off
.LBB1343_15:
	s_or_b64 exec, exec, s[4:5]
	s_waitcnt vmcnt(7)
	v_cvt_pk_f32_fp8_e32 v[34:35], v26
	v_cvt_pk_f32_fp8_sdwa v[36:37], v26 src0_sel:WORD_1
	s_mov_b32 s5, 0x7060302
	s_waitcnt lgkmcnt(0)
	s_barrier
	v_cvt_pk_f32_fp8_e32 v[38:39], v27
	v_perm_b32 v26, v35, v34, s5
	v_cvt_pk_f32_fp8_sdwa v[40:41], v27 src0_sel:WORD_1
	v_perm_b32 v27, v37, v36, s5
	ds_read_b128 v[34:37], v55
	v_perm_b32 v46, v39, v38, s5
	v_perm_b32 v47, v41, v40, s5
	ds_read_b128 v[38:41], v55 offset:16
	v_cvt_pk_f32_fp8_e32 v[48:49], v28
	v_cvt_pk_f32_fp8_sdwa v[50:51], v28 src0_sel:WORD_1
	s_waitcnt lgkmcnt(1)
	v_mfma_f32_16x16x16_bf16 v[42:45], v[26:27], v[34:35], 0
	s_waitcnt vmcnt(6)
	v_cvt_pk_f32_fp8_e32 v[52:53], v4
	v_perm_b32 v26, v49, v48, s5
	v_perm_b32 v27, v51, v50, s5
	v_cvt_pk_f32_fp8_e32 v[48:49], v29
	v_mfma_f32_16x16x16_bf16 v[42:45], v[46:47], v[36:37], v[42:45]
	v_cvt_pk_f32_fp8_sdwa v[46:47], v29 src0_sel:WORD_1
	v_cvt_pk_f32_fp8_sdwa v[60:61], v4 src0_sel:WORD_1
	v_perm_b32 v48, v49, v48, s5
	s_waitcnt lgkmcnt(0)
	v_mfma_f32_16x16x16_bf16 v[26:29], v[26:27], v[38:39], v[42:45]
	v_perm_b32 v49, v47, v46, s5
	s_waitcnt vmcnt(5)
	v_cvt_pk_f32_fp8_e32 v[62:63], v32
	v_cvt_pk_f32_fp8_sdwa v[64:65], v32 src0_sel:WORD_1
	v_cvt_pk_f32_fp8_e32 v[42:43], v2
	v_mfma_f32_16x16x16_bf16 v[46:49], v[48:49], v[40:41], v[26:29]
	s_waitcnt vmcnt(4)
	v_cvt_pk_f32_fp8_e32 v[66:67], v20
	v_cvt_pk_f32_fp8_sdwa v[68:69], v20 src0_sel:WORD_1
	v_cvt_pk_f32_fp8_sdwa v[26:27], v2 src0_sel:WORD_1
	v_cvt_pk_f32_fp8_e32 v[28:29], v3
	v_perm_b32 v2, v43, v42, s5
	v_cvt_pk_f32_fp8_sdwa v[42:43], v3 src0_sel:WORD_1
	v_perm_b32 v3, v27, v26, s5
	v_perm_b32 v50, v29, v28, s5
	ds_read_b128 v[26:29], v55 offset:2048
	v_perm_b32 v51, v43, v42, s5
	ds_read_b128 v[42:45], v55 offset:2064
	s_waitcnt lgkmcnt(1)
	v_mfma_f32_16x16x16_bf16 v[46:49], v[2:3], v[26:27], v[46:49]
	v_perm_b32 v2, v53, v52, s5
	v_perm_b32 v3, v61, v60, s5
	v_cvt_pk_f32_fp8_e32 v[52:53], v5
	v_mfma_f32_16x16x16_bf16 v[46:49], v[50:51], v[28:29], v[46:49]
	v_cvt_pk_f32_fp8_sdwa v[50:51], v5 src0_sel:WORD_1
	s_load_dword s4, s[38:39], 0x0
	v_perm_b32 v52, v53, v52, s5
	s_waitcnt lgkmcnt(0)
	v_mfma_f32_16x16x16_bf16 v[2:5], v[2:3], v[42:43], v[46:49]
	v_perm_b32 v53, v51, v50, s5
	s_mov_b32 s3, 0
	v_cmp_gt_u32_e32 vcc, 64, v0
	v_cvt_pk_f32_fp8_e32 v[46:47], v30
	v_mfma_f32_16x16x16_bf16 v[50:53], v[52:53], v[44:45], v[2:5]
	s_nop 2
	v_cvt_pk_f32_fp8_sdwa v[2:3], v30 src0_sel:WORD_1
	v_cvt_pk_f32_fp8_e32 v[4:5], v31
	v_perm_b32 v30, v47, v46, s5
	v_cvt_pk_f32_fp8_sdwa v[46:47], v31 src0_sel:WORD_1
	v_perm_b32 v31, v3, v2, s5
	v_perm_b32 v60, v5, v4, s5
	ds_read_b128 v[2:5], v55 offset:4096
	v_perm_b32 v61, v47, v46, s5
	ds_read_b128 v[46:49], v55 offset:4112
	s_waitcnt lgkmcnt(1)
	v_mfma_f32_16x16x16_bf16 v[50:53], v[30:31], v[2:3], v[50:53]
	v_perm_b32 v30, v63, v62, s5
	v_perm_b32 v31, v65, v64, s5
	v_cvt_pk_f32_fp8_e32 v[62:63], v33
	v_mfma_f32_16x16x16_bf16 v[50:53], v[60:61], v[4:5], v[50:53]
	v_cvt_pk_f32_fp8_sdwa v[60:61], v33 src0_sel:WORD_1
	v_perm_b32 v62, v63, v62, s5
	s_waitcnt lgkmcnt(0)
	v_mfma_f32_16x16x16_bf16 v[30:33], v[30:31], v[46:47], v[50:53]
	v_perm_b32 v63, v61, v60, s5
	s_nop 1
	v_cvt_pk_f32_fp8_e32 v[50:51], v18
	v_mfma_f32_16x16x16_bf16 v[60:63], v[62:63], v[48:49], v[30:33]
	s_nop 2
	v_cvt_pk_f32_fp8_sdwa v[30:31], v18 src0_sel:WORD_1
	v_cvt_pk_f32_fp8_e32 v[32:33], v19
	v_perm_b32 v18, v51, v50, s5
	v_cvt_pk_f32_fp8_sdwa v[50:51], v19 src0_sel:WORD_1
	v_perm_b32 v19, v31, v30, s5
	v_perm_b32 v64, v33, v32, s5
	ds_read_b128 v[30:33], v55 offset:6144
	v_perm_b32 v65, v51, v50, s5
	ds_read_b128 v[50:53], v55 offset:6160
	s_waitcnt lgkmcnt(1)
	v_mfma_f32_16x16x16_bf16 v[60:63], v[18:19], v[30:31], v[60:63]
	v_perm_b32 v18, v67, v66, s5
	v_perm_b32 v19, v69, v68, s5
	v_cvt_pk_f32_fp8_e32 v[66:67], v21
	v_mfma_f32_16x16x16_bf16 v[60:63], v[64:65], v[32:33], v[60:63]
	v_cvt_pk_f32_fp8_sdwa v[64:65], v21 src0_sel:WORD_1
	s_waitcnt lgkmcnt(0)
	v_perm_b32 v66, v67, v66, s5
	v_mfma_f32_16x16x16_bf16 v[18:21], v[18:19], v[50:51], v[60:63]
	v_perm_b32 v67, v65, v64, s5
	s_waitcnt vmcnt(3)
	v_cvt_pk_f32_fp8_e32 v[64:65], v23
	s_barrier
	v_mfma_f32_16x16x16_bf16 v[60:63], v[66:67], v[52:53], v[18:21]
	v_cvt_pk_f32_fp8_sdwa v[66:67], v24 src0_sel:WORD_1
	s_nop 1
	v_cvt_pk_f32_fp8_e32 v[20:21], v22
	s_nop 2
	v_pk_mul_f32 v[18:19], v[62:63], s[4:5] op_sel_hi:[1,0]
	v_cvt_pk_f32_fp8_sdwa v[62:63], v22 src0_sel:WORD_1
	v_perm_b32 v20, v21, v20, s5
	v_cvt_pk_f32_fp8_sdwa v[22:23], v23 src0_sel:WORD_1
	v_pk_mul_f32 v[60:61], v[60:61], s[4:5] op_sel_hi:[1,0]
	v_perm_b32 v21, v63, v62, s5
	v_perm_b32 v62, v65, v64, s5
	v_cvt_pk_f32_fp8_e32 v[64:65], v24
	v_perm_b32 v63, v23, v22, s5
	v_mfma_f32_16x16x16_bf16 v[20:23], v[20:21], v[34:35], 0
	v_perm_b32 v34, v65, v64, s5
	v_perm_b32 v35, v67, v66, s5
	v_cvt_pk_f32_fp8_e32 v[64:65], v25
	v_cvt_pk_f32_fp8_sdwa v[24:25], v25 src0_sel:WORD_1
	v_mfma_f32_16x16x16_bf16 v[20:23], v[62:63], v[36:37], v[20:23]
	v_bfe_u32 v55, v61, 16, 1
	v_perm_b32 v36, v65, v64, s5
	v_perm_b32 v37, v25, v24, s5
	v_mfma_f32_16x16x16_bf16 v[20:23], v[34:35], v[38:39], v[20:23]
	s_waitcnt vmcnt(2)
	v_cvt_pk_f32_fp8_e32 v[24:25], v10
	v_cvt_pk_f32_fp8_sdwa v[34:35], v10 src0_sel:WORD_1
	v_cvt_pk_f32_fp8_sdwa v[38:39], v12 src0_sel:WORD_1
	v_mfma_f32_16x16x16_bf16 v[20:23], v[36:37], v[40:41], v[20:23]
	v_cvt_pk_f32_fp8_e32 v[36:37], v11
	v_perm_b32 v24, v25, v24, s5
	v_perm_b32 v25, v35, v34, s5
	v_cvt_pk_f32_fp8_sdwa v[10:11], v11 src0_sel:WORD_1
	v_perm_b32 v34, v37, v36, s5
	v_cvt_pk_f32_fp8_e32 v[36:37], v12
	v_mfma_f32_16x16x16_bf16 v[20:23], v[24:25], v[26:27], v[20:23]
	v_perm_b32 v35, v11, v10, s5
	v_perm_b32 v24, v37, v36, s5
	;; [unrolled: 1-line block ×3, first 2 shown]
	v_cvt_pk_f32_fp8_e32 v[26:27], v13
	v_cvt_pk_f32_fp8_sdwa v[36:37], v13 src0_sel:WORD_1
	v_mfma_f32_16x16x16_bf16 v[10:13], v[34:35], v[28:29], v[20:23]
	v_bfe_u32 v57, v60, 16, 1
	v_add3_u32 v28, v60, v57, s8
	v_add3_u32 v29, v61, v55, s8
	v_perm_b32 v20, v27, v26, s5
	v_perm_b32 v21, v37, v36, s5
	v_mfma_f32_16x16x16_bf16 v[10:13], v[24:25], v[42:43], v[10:13]
	s_waitcnt vmcnt(1)
	v_cvt_pk_f32_fp8_e32 v[22:23], v14
	v_cvt_pk_f32_fp8_sdwa v[24:25], v14 src0_sel:WORD_1
	v_cvt_pk_f32_fp8_sdwa v[26:27], v16 src0_sel:WORD_1
	v_mfma_f32_16x16x16_bf16 v[10:13], v[20:21], v[44:45], v[10:13]
	v_cvt_pk_f32_fp8_e32 v[20:21], v15
	v_perm_b32 v22, v23, v22, s5
	v_perm_b32 v23, v25, v24, s5
	v_cvt_pk_f32_fp8_sdwa v[14:15], v15 src0_sel:WORD_1
	v_perm_b32 v20, v21, v20, s5
	v_cvt_pk_f32_fp8_e32 v[24:25], v16
	v_mfma_f32_16x16x16_bf16 v[10:13], v[22:23], v[2:3], v[10:13]
	v_perm_b32 v21, v15, v14, s5
	v_perm_b32 v14, v25, v24, s5
	;; [unrolled: 1-line block ×3, first 2 shown]
	v_cvt_pk_f32_fp8_e32 v[22:23], v17
	v_cvt_pk_f32_fp8_sdwa v[16:17], v17 src0_sel:WORD_1
	v_mfma_f32_16x16x16_bf16 v[2:5], v[20:21], v[4:5], v[10:13]
	s_waitcnt vmcnt(0)
	v_cvt_pk_f32_fp8_sdwa v[20:21], v8 src0_sel:WORD_1
	s_nop 0
	v_perm_b32 v12, v23, v22, s5
	v_perm_b32 v13, v17, v16, s5
	v_mfma_f32_16x16x16_bf16 v[2:5], v[14:15], v[46:47], v[2:5]
	v_cvt_pk_f32_fp8_e32 v[14:15], v6
	v_cvt_pk_f32_fp8_sdwa v[16:17], v6 src0_sel:WORD_1
	v_bfe_u32 v11, v19, 16, 1
	v_mfma_f32_16x16x16_bf16 v[2:5], v[12:13], v[48:49], v[2:5]
	v_cvt_pk_f32_fp8_e32 v[12:13], v7
	v_perm_b32 v14, v15, v14, s5
	v_perm_b32 v15, v17, v16, s5
	v_cvt_pk_f32_fp8_sdwa v[6:7], v7 src0_sel:WORD_1
	v_perm_b32 v12, v13, v12, s5
	v_cvt_pk_f32_fp8_e32 v[16:17], v8
	v_mfma_f32_16x16x16_bf16 v[2:5], v[14:15], v[30:31], v[2:5]
	v_perm_b32 v13, v7, v6, s5
	v_perm_b32 v6, v17, v16, s5
	;; [unrolled: 1-line block ×3, first 2 shown]
	v_cvt_pk_f32_fp8_e32 v[14:15], v9
	v_cvt_pk_f32_fp8_sdwa v[8:9], v9 src0_sel:WORD_1
	v_mfma_f32_16x16x16_bf16 v[2:5], v[12:13], v[32:33], v[2:5]
	v_bfe_u32 v16, v18, 16, 1
	v_perm_b32 v12, v15, v14, s5
	v_perm_b32 v13, v9, v8, s5
	v_mfma_f32_16x16x16_bf16 v[2:5], v[6:7], v[50:51], v[2:5]
	v_add3_u32 v6, v18, v16, s8
	v_add3_u32 v7, v19, v11, s8
	v_perm_b32 v11, v7, v6, s5
	v_mfma_f32_16x16x16_bf16 v[2:5], v[12:13], v[52:53], v[2:5]
	v_perm_b32 v10, v29, v28, s5
	s_nop 5
	v_pk_mul_f32 v[2:3], v[2:3], s[4:5] op_sel_hi:[1,0]
	v_pk_mul_f32 v[4:5], v[4:5], s[4:5] op_sel_hi:[1,0]
	v_bfe_u32 v6, v3, 16, 1
	v_bfe_u32 v7, v2, 16, 1
	v_add3_u32 v2, v2, v7, s8
	v_add3_u32 v3, v3, v6, s8
	v_perm_b32 v2, v3, v2, s5
	v_bfe_u32 v3, v5, 16, 1
	v_bfe_u32 v6, v4, 16, 1
	v_add3_u32 v4, v4, v6, s8
	v_add3_u32 v3, v5, v3, s8
	v_perm_b32 v3, v3, v4, s5
	ds_write2st64_b64 v56, v[10:11], v[2:3] offset1:1
	s_waitcnt lgkmcnt(0)
	s_barrier
	s_and_saveexec_b64 s[4:5], vcc
	s_cbranch_execz .LBB1343_17
; %bb.16:
	s_load_dwordx2 s[0:1], s[0:1], 0x68
	s_lshl_b32 s6, s6, 7
	s_mul_i32 s2, s7, s2
	s_mul_hi_u32 s5, s2, s6
	s_mul_i32 s4, s2, s6
	s_lshl_b64 s[4:5], s[4:5], 1
	s_waitcnt lgkmcnt(0)
	s_add_u32 s4, s0, s4
	v_lshlrev_b32_e32 v4, 6, v58
	s_addc_u32 s5, s1, s5
	s_lshl_b32 s2, s33, 7
	v_lshl_or_b32 v0, v0, 10, v4
	s_lshl_b64 s[0:1], s[2:3], 1
	v_lshlrev_b32_e32 v2, 5, v1
	v_and_b32_e32 v3, 16, v59
	v_and_b32_e32 v0, 0x1a00, v0
	s_add_u32 s0, s4, s0
	v_or3_b32 v0, v0, v2, v3
	s_addc_u32 s1, s5, s1
	v_mov_b32_e32 v55, 0
	v_or_b32_e32 v20, s44, v1
	ds_read_b128 v[2:5], v0
	ds_read_b128 v[6:9], v0 offset:128
	ds_read_b128 v[10:13], v0 offset:256
	;; [unrolled: 1-line block ×3, first 2 shown]
	v_lshl_add_u64 v[18:19], s[0:1], 0, v[54:55]
	v_mad_u64_u32 v[0:1], s[0:1], v20, s6, 0
	v_lshl_add_u64 v[0:1], v[0:1], 1, v[18:19]
	s_waitcnt lgkmcnt(3)
	global_store_dwordx4 v[0:1], v[2:5], off
	v_or_b32_e32 v0, 4, v20
	v_mad_u64_u32 v[0:1], s[0:1], v0, s6, 0
	v_lshl_add_u64 v[0:1], v[0:1], 1, v[18:19]
	s_waitcnt lgkmcnt(2)
	global_store_dwordx4 v[0:1], v[6:9], off
	v_or_b32_e32 v0, 8, v20
	;; [unrolled: 5-line block ×3, first 2 shown]
	v_mad_u64_u32 v[0:1], s[0:1], v0, s6, 0
	v_lshl_add_u64 v[0:1], v[0:1], 1, v[18:19]
	s_waitcnt lgkmcnt(0)
	global_store_dwordx4 v[0:1], v[14:17], off
.LBB1343_17:
	s_endpgm
	.section	.rodata,"a",@progbits
	.p2align	6, 0x0
	.amdhsa_kernel _Z39paged_attention_ll4mi_QKV_mfma16_kernelI14__hip_bfloat16hLN4vllm18Fp8KVCacheDataTypeE1EhLi32ELi128ELi256ELb1ELi16EEvPKT_PKT0_S8_ifPKiSA_SA_iPKfiiiPfSD_PS3_PT2_iSC_SC_
		.amdhsa_group_segment_fixed_size 8192
		.amdhsa_private_segment_fixed_size 0
		.amdhsa_kernarg_size 400
		.amdhsa_user_sgpr_count 2
		.amdhsa_user_sgpr_dispatch_ptr 0
		.amdhsa_user_sgpr_queue_ptr 0
		.amdhsa_user_sgpr_kernarg_segment_ptr 1
		.amdhsa_user_sgpr_dispatch_id 0
		.amdhsa_user_sgpr_kernarg_preload_length 0
		.amdhsa_user_sgpr_kernarg_preload_offset 0
		.amdhsa_user_sgpr_private_segment_size 0
		.amdhsa_uses_dynamic_stack 0
		.amdhsa_enable_private_segment 0
		.amdhsa_system_sgpr_workgroup_id_x 1
		.amdhsa_system_sgpr_workgroup_id_y 1
		.amdhsa_system_sgpr_workgroup_id_z 1
		.amdhsa_system_sgpr_workgroup_info 0
		.amdhsa_system_vgpr_workitem_id 0
		.amdhsa_next_free_vgpr 84
		.amdhsa_next_free_sgpr 45
		.amdhsa_accum_offset 84
		.amdhsa_reserve_vcc 1
		.amdhsa_float_round_mode_32 0
		.amdhsa_float_round_mode_16_64 0
		.amdhsa_float_denorm_mode_32 3
		.amdhsa_float_denorm_mode_16_64 3
		.amdhsa_dx10_clamp 1
		.amdhsa_ieee_mode 1
		.amdhsa_fp16_overflow 0
		.amdhsa_tg_split 0
		.amdhsa_exception_fp_ieee_invalid_op 0
		.amdhsa_exception_fp_denorm_src 0
		.amdhsa_exception_fp_ieee_div_zero 0
		.amdhsa_exception_fp_ieee_overflow 0
		.amdhsa_exception_fp_ieee_underflow 0
		.amdhsa_exception_fp_ieee_inexact 0
		.amdhsa_exception_int_div_zero 0
	.end_amdhsa_kernel
	.section	.text._Z39paged_attention_ll4mi_QKV_mfma16_kernelI14__hip_bfloat16hLN4vllm18Fp8KVCacheDataTypeE1EhLi32ELi128ELi256ELb1ELi16EEvPKT_PKT0_S8_ifPKiSA_SA_iPKfiiiPfSD_PS3_PT2_iSC_SC_,"axG",@progbits,_Z39paged_attention_ll4mi_QKV_mfma16_kernelI14__hip_bfloat16hLN4vllm18Fp8KVCacheDataTypeE1EhLi32ELi128ELi256ELb1ELi16EEvPKT_PKT0_S8_ifPKiSA_SA_iPKfiiiPfSD_PS3_PT2_iSC_SC_,comdat
.Lfunc_end1343:
	.size	_Z39paged_attention_ll4mi_QKV_mfma16_kernelI14__hip_bfloat16hLN4vllm18Fp8KVCacheDataTypeE1EhLi32ELi128ELi256ELb1ELi16EEvPKT_PKT0_S8_ifPKiSA_SA_iPKfiiiPfSD_PS3_PT2_iSC_SC_, .Lfunc_end1343-_Z39paged_attention_ll4mi_QKV_mfma16_kernelI14__hip_bfloat16hLN4vllm18Fp8KVCacheDataTypeE1EhLi32ELi128ELi256ELb1ELi16EEvPKT_PKT0_S8_ifPKiSA_SA_iPKfiiiPfSD_PS3_PT2_iSC_SC_
                                        ; -- End function
	.section	.AMDGPU.csdata,"",@progbits
; Kernel info:
; codeLenInByte = 6644
; NumSgprs: 51
; NumVgprs: 84
; NumAgprs: 0
; TotalNumVgprs: 84
; ScratchSize: 0
; MemoryBound: 0
; FloatMode: 240
; IeeeMode: 1
; LDSByteSize: 8192 bytes/workgroup (compile time only)
; SGPRBlocks: 6
; VGPRBlocks: 10
; NumSGPRsForWavesPerEU: 51
; NumVGPRsForWavesPerEU: 84
; AccumOffset: 84
; Occupancy: 5
; WaveLimiterHint : 1
; COMPUTE_PGM_RSRC2:SCRATCH_EN: 0
; COMPUTE_PGM_RSRC2:USER_SGPR: 2
; COMPUTE_PGM_RSRC2:TRAP_HANDLER: 0
; COMPUTE_PGM_RSRC2:TGID_X_EN: 1
; COMPUTE_PGM_RSRC2:TGID_Y_EN: 1
; COMPUTE_PGM_RSRC2:TGID_Z_EN: 1
; COMPUTE_PGM_RSRC2:TIDIG_COMP_CNT: 0
; COMPUTE_PGM_RSRC3_GFX90A:ACCUM_OFFSET: 20
; COMPUTE_PGM_RSRC3_GFX90A:TG_SPLIT: 0
	.section	.text._Z39paged_attention_ll4mi_QKV_mfma16_kernelI14__hip_bfloat16hLN4vllm18Fp8KVCacheDataTypeE1EhLi32ELi128ELi256ELb1ELi1EEvPKT_PKT0_S8_ifPKiSA_SA_iPKfiiiPfSD_PS3_PT2_iSC_SC_,"axG",@progbits,_Z39paged_attention_ll4mi_QKV_mfma16_kernelI14__hip_bfloat16hLN4vllm18Fp8KVCacheDataTypeE1EhLi32ELi128ELi256ELb1ELi1EEvPKT_PKT0_S8_ifPKiSA_SA_iPKfiiiPfSD_PS3_PT2_iSC_SC_,comdat
	.protected	_Z39paged_attention_ll4mi_QKV_mfma16_kernelI14__hip_bfloat16hLN4vllm18Fp8KVCacheDataTypeE1EhLi32ELi128ELi256ELb1ELi1EEvPKT_PKT0_S8_ifPKiSA_SA_iPKfiiiPfSD_PS3_PT2_iSC_SC_ ; -- Begin function _Z39paged_attention_ll4mi_QKV_mfma16_kernelI14__hip_bfloat16hLN4vllm18Fp8KVCacheDataTypeE1EhLi32ELi128ELi256ELb1ELi1EEvPKT_PKT0_S8_ifPKiSA_SA_iPKfiiiPfSD_PS3_PT2_iSC_SC_
	.globl	_Z39paged_attention_ll4mi_QKV_mfma16_kernelI14__hip_bfloat16hLN4vllm18Fp8KVCacheDataTypeE1EhLi32ELi128ELi256ELb1ELi1EEvPKT_PKT0_S8_ifPKiSA_SA_iPKfiiiPfSD_PS3_PT2_iSC_SC_
	.p2align	8
	.type	_Z39paged_attention_ll4mi_QKV_mfma16_kernelI14__hip_bfloat16hLN4vllm18Fp8KVCacheDataTypeE1EhLi32ELi128ELi256ELb1ELi1EEvPKT_PKT0_S8_ifPKiSA_SA_iPKfiiiPfSD_PS3_PT2_iSC_SC_,@function
_Z39paged_attention_ll4mi_QKV_mfma16_kernelI14__hip_bfloat16hLN4vllm18Fp8KVCacheDataTypeE1EhLi32ELi128ELi256ELb1ELi1EEvPKT_PKT0_S8_ifPKiSA_SA_iPKfiiiPfSD_PS3_PT2_iSC_SC_: ; @_Z39paged_attention_ll4mi_QKV_mfma16_kernelI14__hip_bfloat16hLN4vllm18Fp8KVCacheDataTypeE1EhLi32ELi128ELi256ELb1ELi1EEvPKT_PKT0_S8_ifPKiSA_SA_iPKfiiiPfSD_PS3_PT2_iSC_SC_
; %bb.0:
	s_load_dwordx2 s[8:9], s[0:1], 0x30
	s_mov_b32 s33, s3
	s_mov_b64 s[6:7], 0
	s_waitcnt lgkmcnt(0)
	s_cmp_lg_u64 s[8:9], 0
	s_cselect_b64 s[10:11], -1, 0
	s_and_b64 vcc, exec, s[10:11]
	s_cbranch_vccz .LBB1344_7
; %bb.1:
	s_add_i32 s12, s2, 1
	s_mov_b32 s13, 0
	s_lshl_b64 s[14:15], s[12:13], 2
	s_add_u32 s14, s8, s14
	s_mov_b32 s3, s13
	s_addc_u32 s15, s9, s15
	s_lshl_b64 s[12:13], s[2:3], 2
	s_add_u32 s12, s8, s12
	s_addc_u32 s13, s9, s13
	s_load_dword s5, s[14:15], 0x0
	s_load_dword s16, s[12:13], 0x0
	s_waitcnt lgkmcnt(0)
	s_sub_i32 s5, s5, s16
	s_cmp_eq_u32 s5, 1
	s_cselect_b64 s[12:13], -1, 0
	s_andn2_b64 vcc, exec, s[6:7]
	s_cbranch_vccnz .LBB1344_3
.LBB1344_2:
	s_mov_b32 s3, 0
	s_mov_b64 s[12:13], -1
.LBB1344_3:
	s_andn2_b64 vcc, exec, s[12:13]
	s_cbranch_vccnz .LBB1344_19
; %bb.4:
	s_load_dwordx2 s[6:7], s[0:1], 0x28
	s_lshl_b64 s[12:13], s[2:3], 2
	s_waitcnt lgkmcnt(0)
	s_add_u32 s6, s6, s12
	s_addc_u32 s7, s7, s13
	s_load_dword s38, s[6:7], 0x0
	s_lshl_b32 s16, s33, 8
	s_waitcnt lgkmcnt(0)
	s_cmp_ge_i32 s16, s38
	s_cbranch_scc1 .LBB1344_19
; %bb.5:
	s_load_dwordx2 s[6:7], s[0:1], 0x20
	s_load_dword s5, s[0:1], 0x38
	s_add_i32 s14, s38, 31
	s_ashr_i32 s15, s14, 31
	v_and_b32_e32 v1, 0xcf, v0
	s_lshr_b32 s15, s15, 27
	v_add_u32_e32 v1, s16, v1
	s_add_i32 s14, s14, s15
	v_ashrrev_i32_e32 v2, 31, v1
	s_ashr_i32 s17, s14, 5
	v_lshrrev_b32_e32 v4, 27, v2
	s_add_i32 s17, s17, -1
	s_waitcnt lgkmcnt(0)
	s_mul_i32 s14, s2, s5
	s_mov_b32 s15, 0
	v_add_u32_e32 v2, v1, v4
	s_lshl_b64 s[14:15], s[14:15], 2
	v_ashrrev_i32_e32 v2, 5, v2
	v_mov_b32_e32 v5, s17
	v_cmp_gt_i32_e32 vcc, s38, v1
	s_add_u32 s6, s6, s14
	s_addc_u32 s7, s7, s15
	v_cndmask_b32_e32 v2, v5, v2, vcc
	v_ashrrev_i32_e32 v3, 31, v2
	v_lshl_add_u64 v[6:7], v[2:3], 2, s[6:7]
	v_or_b32_e32 v2, 16, v1
	v_add_u32_e32 v3, v2, v4
	v_ashrrev_i32_e32 v3, 5, v3
	v_cmp_gt_i32_e32 vcc, s38, v2
	s_load_dwordx2 s[14:15], s[0:1], 0x8
	s_nop 0
	v_cndmask_b32_e32 v2, v5, v3, vcc
	v_ashrrev_i32_e32 v3, 31, v2
	v_lshl_add_u64 v[8:9], v[2:3], 2, s[6:7]
	v_or_b32_e32 v2, 32, v1
	v_add_u32_e32 v3, v2, v4
	v_ashrrev_i32_e32 v3, 5, v3
	v_cmp_gt_i32_e32 vcc, s38, v2
	v_or_b32_e32 v1, 48, v1
	s_nop 0
	v_cndmask_b32_e32 v2, v5, v3, vcc
	v_ashrrev_i32_e32 v3, 31, v2
	v_lshl_add_u64 v[10:11], v[2:3], 2, s[6:7]
	v_add_u32_e32 v2, v1, v4
	v_ashrrev_i32_e32 v2, 5, v2
	v_cmp_gt_i32_e32 vcc, s38, v1
	s_nop 1
	v_cndmask_b32_e32 v2, v5, v2, vcc
	v_ashrrev_i32_e32 v3, 31, v2
	v_lshl_add_u64 v[12:13], v[2:3], 2, s[6:7]
	global_load_dword v5, v[6:7], off
	global_load_dword v4, v[8:9], off
	;; [unrolled: 1-line block ×4, first 2 shown]
	s_andn2_b64 vcc, exec, s[10:11]
	s_cbranch_vccnz .LBB1344_8
; %bb.6:
	s_add_u32 s8, s8, s12
	s_addc_u32 s9, s9, s13
	s_load_dword s5, s[8:9], 0x0
	s_branch .LBB1344_9
.LBB1344_7:
	s_mov_b64 s[12:13], 0
	s_branch .LBB1344_2
.LBB1344_8:
	s_mov_b32 s5, s2
.LBB1344_9:
	s_load_dwordx2 s[8:9], s[0:1], 0x10
	s_load_dwordx4 s[44:47], s[0:1], 0x48
	v_lshrrev_b32_e32 v59, 6, v0
	v_bfe_u32 v56, v0, 4, 2
	v_and_b32_e32 v57, 15, v0
	v_lshl_or_b32 v1, v59, 2, v56
	v_lshlrev_b32_e32 v6, 3, v57
	v_cmp_eq_u32_e32 vcc, 0, v1
	v_lshlrev_b32_e32 v1, 1, v6
	v_lshlrev_b32_e32 v58, 4, v0
	s_and_saveexec_b64 s[10:11], vcc
	s_cbranch_execz .LBB1344_11
; %bb.10:
	s_load_dwordx2 s[12:13], s[0:1], 0x0
	s_waitcnt lgkmcnt(0)
	s_ashr_i32 s18, s44, 31
	s_mul_hi_u32 s19, s5, s44
	s_mul_i32 s18, s5, s18
	s_add_i32 s19, s19, s18
	s_mul_i32 s18, s5, s44
	s_lshl_b64 s[18:19], s[18:19], 1
	s_add_u32 s5, s12, s18
	s_addc_u32 s18, s13, s19
	s_lshl_b32 s12, s4, 7
	s_ashr_i32 s13, s12, 31
	s_lshl_b64 s[12:13], s[12:13], 1
	s_add_u32 s12, s5, s12
	s_addc_u32 s13, s18, s13
	global_load_dwordx4 v[6:9], v1, s[12:13]
	v_lshlrev_b32_e32 v10, 8, v0
	v_lshlrev_b32_e32 v11, 8, v57
	v_and_b32_e32 v10, 0x600, v10
	v_and_b32_e32 v11, 0x800, v11
	v_and_b32_e32 v12, 16, v58
	v_or3_b32 v10, v11, v10, v12
	s_waitcnt vmcnt(0)
	ds_write_b128 v10, v[6:9]
.LBB1344_11:
	s_or_b64 exec, exec, s[10:11]
	s_waitcnt lgkmcnt(0)
	s_mul_i32 s12, s4, s46
	s_add_u32 s10, s14, s12
	s_addc_u32 s11, s15, 0
	v_mov_b32_e32 v51, 0
	v_mov_b64_e32 v[10:11], s[10:11]
	v_lshlrev_b32_e32 v8, 4, v57
	v_and_b32_e32 v52, 48, v0
	s_waitcnt vmcnt(3)
	v_mad_i64_i32 v[6:7], s[10:11], v5, s45, v[10:11]
	v_mov_b32_e32 v9, v51
	s_waitcnt vmcnt(2)
	v_mad_i64_i32 v[4:5], s[10:11], v4, s45, v[10:11]
	v_or_b32_e32 v12, 0x100, v8
	v_mov_b32_e32 v13, v51
	v_lshlrev_b32_e32 v50, 5, v52
	v_lshl_add_u64 v[6:7], v[6:7], 0, v[8:9]
	v_lshl_add_u64 v[4:5], v[4:5], 0, v[12:13]
	;; [unrolled: 1-line block ×4, first 2 shown]
	s_barrier
	global_load_dwordx4 v[46:49], v[6:7], off
	global_load_dwordx4 v[42:45], v[6:7], off offset:2048
	global_load_dwordx4 v[38:41], v[4:5], off
	global_load_dwordx4 v[18:21], v[4:5], off offset:2048
	s_waitcnt vmcnt(5)
	v_mad_i64_i32 v[4:5], s[10:11], v3, s45, v[10:11]
	s_waitcnt vmcnt(4)
	v_mad_i64_i32 v[2:3], s[10:11], v2, s45, v[10:11]
	v_lshl_add_u64 v[4:5], v[4:5], 0, v[8:9]
	v_lshl_add_u64 v[2:3], v[2:3], 0, v[12:13]
	v_lshl_add_u64 v[4:5], v[4:5], 0, v[50:51]
	v_lshl_add_u64 v[2:3], v[2:3], 0, v[50:51]
	global_load_dwordx4 v[6:9], v[4:5], off
	global_load_dwordx4 v[34:37], v[4:5], off offset:2048
	global_load_dwordx4 v[10:13], v[2:3], off
	global_load_dwordx4 v[22:25], v[2:3], off offset:2048
	v_lshlrev_b32_e32 v14, 9, v56
	ds_read_b128 v[30:33], v14
	ds_read_b128 v[2:5], v14 offset:16
	ds_read_b128 v[26:29], v14 offset:2048
	;; [unrolled: 1-line block ×3, first 2 shown]
	v_and_b32_e32 v60, 63, v0
	v_cmp_eq_u32_e32 vcc, 0, v57
	v_mov_b32_e32 v61, 0
	s_and_saveexec_b64 s[10:11], vcc
	s_cbranch_execz .LBB1344_13
; %bb.12:
	s_load_dwordx2 s[14:15], s[0:1], 0x40
	s_ashr_i32 s5, s4, 31
	s_lshl_b64 s[18:19], s[4:5], 2
	s_waitcnt lgkmcnt(0)
	s_add_u32 s14, s14, s18
	s_addc_u32 s15, s15, s19
	s_load_dword s5, s[14:15], 0x0
	s_waitcnt lgkmcnt(0)
	v_mov_b32_e32 v61, s5
.LBB1344_13:
	s_or_b64 exec, exec, s[10:11]
	s_ashr_i32 s5, s16, 31
	v_or_b32_e32 v50, s16, v52
	s_lshr_b32 s5, s5, 27
	v_add_u32_e32 v52, s5, v50
	v_or_b32_e32 v54, 64, v50
	v_ashrrev_i32_e32 v52, 5, v52
	v_mov_b32_e32 v66, s17
	v_cmp_gt_i32_e32 vcc, s38, v50
	v_add_u32_e32 v55, s5, v54
	v_or_b32_e32 v62, 0x80, v50
	v_cndmask_b32_e32 v52, v66, v52, vcc
	v_ashrrev_i32_e32 v55, 5, v55
	v_cmp_gt_i32_e32 vcc, s38, v54
	v_add_u32_e32 v63, s5, v62
	v_ashrrev_i32_e32 v63, 5, v63
	v_cndmask_b32_e32 v54, v66, v55, vcc
	v_cmp_gt_i32_e32 vcc, s38, v62
	s_waitcnt vmcnt(7)
	v_cvt_pk_f32_fp8_sdwa v[64:65], v46 src0_sel:WORD_1
	v_or_b32_e32 v50, 0xc0, v50
	v_cndmask_b32_e32 v62, v66, v63, vcc
	v_ashrrev_i32_e32 v63, 31, v62
	v_lshl_add_u64 v[72:73], v[62:63], 2, s[6:7]
	v_cvt_pk_f32_fp8_e32 v[62:63], v46
	v_add_u32_e32 v67, s5, v50
	s_mov_b32 s5, 0x7060302
	v_ashrrev_i32_e32 v67, 5, v67
	v_perm_b32 v62, v63, v62, s5
	v_perm_b32 v63, v65, v64, s5
	v_cvt_pk_f32_fp8_e32 v[64:65], v47
	v_cvt_pk_f32_fp8_sdwa v[46:47], v47 src0_sel:WORD_1
	v_cmp_gt_i32_e32 vcc, s38, v50
	v_ashrrev_i32_e32 v53, 31, v52
	v_perm_b32 v68, v65, v64, s5
	v_perm_b32 v69, v47, v46, s5
	s_waitcnt lgkmcnt(3)
	v_mfma_f32_16x16x16_bf16 v[62:65], v[62:63], v[30:31], 0
	v_cndmask_b32_e32 v66, v66, v67, vcc
	v_lshl_add_u64 v[52:53], v[52:53], 2, s[6:7]
	v_ashrrev_i32_e32 v55, 31, v54
	v_ashrrev_i32_e32 v67, 31, v66
	s_load_dword s10, s[0:1], 0x1c
	s_load_dwordx4 s[40:43], s[0:1], 0x80
	v_lshl_add_u64 v[54:55], v[54:55], 2, s[6:7]
	v_lshl_add_u64 v[76:77], v[66:67], 2, s[6:7]
	v_mfma_f32_16x16x16_bf16 v[68:71], v[68:69], v[32:33], v[62:65]
	s_nop 2
	global_load_dword v65, v[52:53], off
	global_load_dword v66, v[54:55], off
	;; [unrolled: 1-line block ×4, first 2 shown]
	v_cvt_pk_f32_fp8_e32 v[46:47], v48
	v_cvt_pk_f32_fp8_sdwa v[74:75], v48 src0_sel:WORD_1
	s_waitcnt vmcnt(10)
	v_cvt_pk_f32_fp8_e32 v[54:55], v42
	s_add_u32 s6, s8, s12
	v_perm_b32 v46, v47, v46, s5
	v_perm_b32 v47, v75, v74, s5
	v_cvt_pk_f32_fp8_e32 v[74:75], v49
	v_cvt_pk_f32_fp8_sdwa v[48:49], v49 src0_sel:WORD_1
	v_perm_b32 v54, v55, v54, s5
	s_addc_u32 s7, s9, 0
	v_perm_b32 v52, v75, v74, s5
	v_perm_b32 v53, v49, v48, s5
	s_waitcnt lgkmcnt(0)
	v_mfma_f32_16x16x16_bf16 v[46:49], v[46:47], v[2:3], v[68:71]
	v_and_b32_e32 v50, 16, v0
	v_lshl_or_b32 v62, v59, 4, v57
	s_waitcnt vmcnt(7)
	v_cvt_pk_f32_fp8_sdwa v[76:77], v9 src0_sel:WORD_1
	v_cvt_pk_f32_fp8_sdwa v[68:69], v42 src0_sel:WORD_1
	v_mfma_f32_16x16x16_bf16 v[46:49], v[52:53], v[4:5], v[46:49]
	v_cvt_pk_f32_fp8_e32 v[52:53], v43
	v_cvt_pk_f32_fp8_sdwa v[42:43], v43 src0_sel:WORD_1
	v_perm_b32 v55, v69, v68, s5
	v_cvt_pk_f32_fp8_e32 v[68:69], v44
	v_perm_b32 v52, v53, v52, s5
	v_cvt_pk_f32_fp8_sdwa v[70:71], v44 src0_sel:WORD_1
	v_perm_b32 v53, v43, v42, s5
	v_mfma_f32_16x16x16_bf16 v[46:49], v[54:55], v[26:27], v[46:49]
	v_perm_b32 v54, v69, v68, s5
	v_perm_b32 v55, v71, v70, s5
	v_cvt_pk_f32_fp8_e32 v[68:69], v45
	v_cvt_pk_f32_fp8_sdwa v[70:71], v45 src0_sel:WORD_1
	v_mfma_f32_16x16x16_bf16 v[42:45], v[52:53], v[28:29], v[46:49]
	v_cvt_pk_f32_fp8_sdwa v[52:53], v38 src0_sel:WORD_1
	s_nop 1
	v_perm_b32 v46, v69, v68, s5
	v_perm_b32 v47, v71, v70, s5
	v_mfma_f32_16x16x16_bf16 v[42:45], v[54:55], v[14:15], v[42:45]
	v_cvt_pk_f32_fp8_e32 v[48:49], v38
	v_cvt_pk_f32_fp8_e32 v[54:55], v40
	v_cvt_pk_f32_fp8_sdwa v[68:69], v40 src0_sel:WORD_1
	v_mfma_f32_16x16x16_bf16 v[42:45], v[46:47], v[16:17], v[42:45]
	v_cvt_pk_f32_fp8_e32 v[46:47], v39
	v_perm_b32 v48, v49, v48, s5
	v_perm_b32 v49, v53, v52, s5
	v_cvt_pk_f32_fp8_sdwa v[38:39], v39 src0_sel:WORD_1
	v_perm_b32 v52, v47, v46, s5
	v_mfma_f32_16x16x16_bf16 v[46:49], v[48:49], v[30:31], 0
	v_perm_b32 v53, v39, v38, s5
	v_perm_b32 v54, v55, v54, s5
	;; [unrolled: 1-line block ×3, first 2 shown]
	v_cvt_pk_f32_fp8_e32 v[68:69], v41
	v_cvt_pk_f32_fp8_sdwa v[70:71], v41 src0_sel:WORD_1
	v_mfma_f32_16x16x16_bf16 v[38:41], v[52:53], v[32:33], v[46:49]
	v_cvt_pk_f32_fp8_e32 v[52:53], v18
	v_perm_b32 v52, v53, v52, s5
	s_nop 0
	v_perm_b32 v48, v69, v68, s5
	v_perm_b32 v49, v71, v70, s5
	v_mfma_f32_16x16x16_bf16 v[38:41], v[54:55], v[2:3], v[38:41]
	v_cvt_pk_f32_fp8_sdwa v[54:55], v18 src0_sel:WORD_1
	v_cvt_pk_f32_fp8_sdwa v[68:69], v20 src0_sel:WORD_1
	v_lshl_add_u64 v[46:47], s[6:7], 0, v[50:51]
	v_mfma_f32_16x16x16_bf16 v[38:41], v[48:49], v[4:5], v[38:41]
	v_cvt_pk_f32_fp8_e32 v[48:49], v19
	v_perm_b32 v53, v55, v54, s5
	v_cvt_pk_f32_fp8_sdwa v[18:19], v19 src0_sel:WORD_1
	v_cvt_pk_f32_fp8_e32 v[54:55], v20
	v_perm_b32 v48, v49, v48, s5
	v_mfma_f32_16x16x16_bf16 v[38:41], v[52:53], v[26:27], v[38:41]
	v_perm_b32 v49, v19, v18, s5
	v_perm_b32 v52, v55, v54, s5
	;; [unrolled: 1-line block ×3, first 2 shown]
	v_cvt_pk_f32_fp8_e32 v[54:55], v21
	v_cvt_pk_f32_fp8_sdwa v[68:69], v21 src0_sel:WORD_1
	v_mfma_f32_16x16x16_bf16 v[18:21], v[48:49], v[28:29], v[38:41]
	v_cvt_pk_f32_fp8_e32 v[48:49], v6
	v_lshlrev_b32_e32 v50, 5, v62
	v_lshl_add_u64 v[72:73], v[46:47], 0, v[50:51]
	v_perm_b32 v38, v55, v54, s5
	v_perm_b32 v39, v69, v68, s5
	v_mfma_f32_16x16x16_bf16 v[18:21], v[52:53], v[14:15], v[18:21]
	v_cvt_pk_f32_fp8_sdwa v[52:53], v6 src0_sel:WORD_1
	v_cvt_pk_f32_fp8_sdwa v[68:69], v8 src0_sel:WORD_1
	s_waitcnt vmcnt(2)
	v_mad_i64_i32 v[70:71], s[6:7], v66, s45, v[72:73]
	v_mfma_f32_16x16x16_bf16 v[38:41], v[38:39], v[16:17], v[18:21]
	v_perm_b32 v75, v69, v68, s5
	v_cvt_pk_f32_fp8_e32 v[68:69], v9
	v_or_b32_e32 v50, 0x800, v50
	v_perm_b32 v18, v49, v48, s5
	v_perm_b32 v19, v53, v52, s5
	v_cvt_pk_f32_fp8_e32 v[20:21], v7
	v_cvt_pk_f32_fp8_sdwa v[6:7], v7 src0_sel:WORD_1
	v_mad_i64_i32 v[48:49], s[6:7], v65, s45, v[72:73]
	v_perm_b32 v52, v21, v20, s5
	v_perm_b32 v53, v7, v6, s5
	v_cvt_pk_f32_fp8_e32 v[6:7], v8
	v_mfma_f32_16x16x16_bf16 v[18:21], v[18:19], v[30:31], 0
	v_lshl_add_u64 v[46:47], v[46:47], 0, v[50:51]
	v_perm_b32 v74, v7, v6, s5
	v_mfma_f32_16x16x16_bf16 v[52:55], v[52:53], v[32:33], v[18:21]
	s_nop 3
	global_load_dwordx4 v[18:21], v[48:49], off
	global_load_dwordx4 v[6:9], v[70:71], off
	v_perm_b32 v48, v69, v68, s5
	v_perm_b32 v49, v77, v76, s5
	v_mfma_f32_16x16x16_bf16 v[68:71], v[74:75], v[2:3], v[52:55]
	v_cvt_pk_f32_fp8_e32 v[74:75], v35
	v_cvt_pk_f32_fp8_sdwa v[76:77], v37 src0_sel:WORD_1
	s_waitcnt vmcnt(3)
	v_mad_i64_i32 v[52:53], s[6:7], v63, s45, v[72:73]
	s_waitcnt vmcnt(2)
	v_mad_i64_i32 v[54:55], s[6:7], v64, s45, v[72:73]
	v_mfma_f32_16x16x16_bf16 v[68:71], v[48:49], v[4:5], v[68:71]
	v_cvt_pk_f32_fp8_e32 v[48:49], v34
	v_cvt_pk_f32_fp8_sdwa v[72:73], v34 src0_sel:WORD_1
	v_cvt_pk_f32_fp8_sdwa v[34:35], v35 src0_sel:WORD_1
	v_perm_b32 v51, v77, v76, s5
	v_perm_b32 v48, v49, v48, s5
	;; [unrolled: 1-line block ×5, first 2 shown]
	v_cvt_pk_f32_fp8_e32 v[34:35], v36
	v_cvt_pk_f32_fp8_sdwa v[74:75], v36 src0_sel:WORD_1
	v_mfma_f32_16x16x16_bf16 v[68:71], v[48:49], v[26:27], v[68:71]
	s_load_dword s6, s[40:41], 0x0
	v_perm_b32 v48, v35, v34, s5
	v_perm_b32 v49, v75, v74, s5
	v_cvt_pk_f32_fp8_e32 v[74:75], v37
	v_mfma_f32_16x16x16_bf16 v[34:37], v[72:73], v[28:29], v[68:71]
	v_cvt_pk_f32_fp8_sdwa v[72:73], v12 src0_sel:WORD_1
	s_mov_b32 s40, 0xff7fffff
	v_perm_b32 v50, v75, v74, s5
	v_mfma_f32_16x16x16_bf16 v[34:37], v[48:49], v[14:15], v[34:37]
	v_cvt_pk_f32_fp8_e32 v[48:49], v10
	v_cvt_pk_f32_fp8_sdwa v[68:69], v10 src0_sel:WORD_1
	v_cvt_pk_f32_fp8_e32 v[70:71], v12
	v_mfma_f32_16x16x16_bf16 v[34:37], v[50:51], v[16:17], v[34:37]
	v_cvt_pk_f32_fp8_e32 v[50:51], v11
	v_perm_b32 v48, v49, v48, s5
	v_perm_b32 v49, v69, v68, s5
	v_cvt_pk_f32_fp8_sdwa v[10:11], v11 src0_sel:WORD_1
	v_perm_b32 v68, v51, v50, s5
	v_mfma_f32_16x16x16_bf16 v[48:51], v[48:49], v[30:31], 0
	v_perm_b32 v69, v11, v10, s5
	v_perm_b32 v30, v71, v70, s5
	v_perm_b32 v31, v73, v72, s5
	v_cvt_pk_f32_fp8_e32 v[70:71], v13
	v_cvt_pk_f32_fp8_sdwa v[72:73], v13 src0_sel:WORD_1
	v_mfma_f32_16x16x16_bf16 v[10:13], v[68:69], v[32:33], v[48:51]
	v_cvt_pk_f32_fp8_e32 v[68:69], v24
	v_perm_b32 v32, v71, v70, s5
	v_perm_b32 v33, v73, v72, s5
	v_mfma_f32_16x16x16_bf16 v[10:13], v[30:31], v[2:3], v[10:13]
	v_mov_b32_e32 v48, s10
	s_waitcnt lgkmcnt(0)
	v_mul_f32_e32 v50, s6, v48
	v_pk_mul_f32 v[48:49], v[50:51], v[44:45] op_sel_hi:[0,1]
	v_pk_mul_f32 v[30:31], v[50:51], v[42:43] op_sel_hi:[0,1]
	v_mfma_f32_16x16x16_bf16 v[42:45], v[32:33], v[4:5], v[10:13]
	v_cvt_pk_f32_fp8_e32 v[2:3], v22
	v_cvt_pk_f32_fp8_sdwa v[4:5], v22 src0_sel:WORD_1
	v_cvt_pk_f32_fp8_sdwa v[70:71], v24 src0_sel:WORD_1
	v_cvt_pk_f32_fp8_e32 v[10:11], v23
	v_cvt_pk_f32_fp8_sdwa v[12:13], v23 src0_sel:WORD_1
	v_perm_b32 v22, v3, v2, s5
	v_perm_b32 v23, v5, v4, s5
	;; [unrolled: 1-line block ×4, first 2 shown]
	v_mfma_f32_16x16x16_bf16 v[42:45], v[22:23], v[26:27], v[42:45]
	global_load_dwordx4 v[10:13], v[52:53], off
	global_load_dwordx4 v[2:5], v[54:55], off
	v_perm_b32 v26, v69, v68, s5
	v_perm_b32 v27, v71, v70, s5
	v_cvt_pk_f32_fp8_e32 v[52:53], v25
	v_cvt_pk_f32_fp8_sdwa v[54:55], v25 src0_sel:WORD_1
	v_mfma_f32_16x16x16_bf16 v[22:25], v[32:33], v[28:29], v[42:45]
	v_pk_mul_f32 v[40:41], v[50:51], v[40:41] op_sel_hi:[0,1]
	v_perm_b32 v28, v53, v52, s5
	v_perm_b32 v29, v55, v54, s5
	v_mfma_f32_16x16x16_bf16 v[22:25], v[26:27], v[14:15], v[22:25]
	v_pk_mul_f32 v[44:45], v[50:51], v[38:39] op_sel_hi:[0,1]
	v_pk_mul_f32 v[38:39], v[50:51], v[36:37] op_sel_hi:[0,1]
	;; [unrolled: 1-line block ×3, first 2 shown]
	v_mfma_f32_16x16x16_bf16 v[14:17], v[28:29], v[16:17], v[22:25]
	s_nop 6
	v_pk_mul_f32 v[36:37], v[50:51], v[14:15] op_sel_hi:[0,1]
	v_and_b32_e32 v14, 0xc0, v0
	v_add_u32_e32 v14, s16, v14
	v_lshl_or_b32 v14, v56, 2, v14
	v_or_b32_e32 v15, 1, v14
	v_pk_mul_f32 v[34:35], v[50:51], v[16:17] op_sel_hi:[0,1]
	v_subrev_u32_e32 v16, s38, v15
	v_add_u32_e32 v22, 1, v16
	v_add_u32_e32 v23, 2, v16
	v_cvt_f32_i32_e32 v17, v16
	v_cvt_f32_i32_e32 v22, v22
	;; [unrolled: 1-line block ×3, first 2 shown]
	v_add_u32_e32 v24, 3, v16
	v_fma_f32 v28, v61, v17, v30
	v_fmac_f32_e32 v31, v61, v22
	v_fma_f32 v29, v61, v23, v48
	v_add_u32_e32 v17, 16, v16
	v_add_u32_e32 v22, 17, v16
	;; [unrolled: 1-line block ×3, first 2 shown]
	v_cvt_f32_i32_e32 v24, v24
	v_cvt_f32_i32_e32 v17, v17
	;; [unrolled: 1-line block ×4, first 2 shown]
	v_fmac_f32_e32 v49, v61, v24
	v_add_u32_e32 v24, 19, v16
	v_fma_f32 v44, v61, v17, v44
	v_fmac_f32_e32 v45, v61, v22
	v_fma_f32 v40, v61, v23, v40
	v_add_u32_e32 v17, 32, v16
	v_add_u32_e32 v22, 33, v16
	;; [unrolled: 1-line block ×3, first 2 shown]
	v_cvt_f32_i32_e32 v24, v24
	v_cvt_f32_i32_e32 v17, v17
	;; [unrolled: 1-line block ×4, first 2 shown]
	v_fmac_f32_e32 v41, v61, v24
	v_add_u32_e32 v24, 35, v16
	v_fma_f32 v42, v61, v17, v42
	v_fmac_f32_e32 v43, v61, v22
	v_fma_f32 v38, v61, v23, v38
	v_add_u32_e32 v17, 48, v16
	v_add_u32_e32 v22, 49, v16
	;; [unrolled: 1-line block ×4, first 2 shown]
	v_cvt_f32_i32_e32 v16, v16
	v_cvt_f32_i32_e32 v17, v17
	;; [unrolled: 1-line block ×3, first 2 shown]
	v_cmp_gt_i32_e64 s[36:37], s38, v14
	v_fmac_f32_e32 v35, v61, v16
	v_mov_b32_e32 v16, 0xff7fffff
	v_cmp_gt_i32_e64 s[24:25], s38, v15
	v_fma_f32 v36, v61, v17, v36
	v_cndmask_b32_e64 v17, v16, v28, s[36:37]
	v_cndmask_b32_e64 v15, v16, v31, s[24:25]
	v_fmac_f32_e32 v37, v61, v22
	v_max3_f32 v15, v17, s40, v15
	v_or_b32_e32 v17, 2, v14
	v_or_b32_e32 v22, 3, v14
	v_cmp_gt_i32_e64 s[28:29], s38, v17
	v_cmp_gt_i32_e64 s[34:35], s38, v22
	v_cvt_f32_i32_e32 v24, v24
	v_cndmask_b32_e64 v17, v16, v29, s[28:29]
	v_cndmask_b32_e64 v22, v16, v49, s[34:35]
	v_max3_f32 v15, v15, v17, v22
	v_or_b32_e32 v17, 16, v14
	v_or_b32_e32 v22, 17, v14
	v_cmp_gt_i32_e64 s[18:19], s38, v17
	v_cmp_gt_i32_e64 s[22:23], s38, v22
	v_fmac_f32_e32 v39, v61, v24
	v_cndmask_b32_e64 v17, v16, v44, s[18:19]
	v_cndmask_b32_e64 v22, v16, v45, s[22:23]
	v_max3_f32 v15, v15, v17, v22
	v_or_b32_e32 v17, 18, v14
	v_or_b32_e32 v22, 19, v14
	v_cmp_gt_i32_e64 s[26:27], s38, v17
	v_cmp_gt_i32_e64 s[30:31], s38, v22
	v_cvt_f32_i32_e32 v23, v23
	v_cndmask_b32_e64 v17, v16, v40, s[26:27]
	v_cndmask_b32_e64 v22, v16, v41, s[30:31]
	v_max3_f32 v15, v15, v17, v22
	v_or_b32_e32 v17, 32, v14
	v_or_b32_e32 v22, 33, v14
	v_cmp_gt_i32_e64 s[12:13], s38, v17
	v_cmp_gt_i32_e64 s[14:15], s38, v22
	v_fma_f32 v34, v61, v23, v34
	v_cndmask_b32_e64 v17, v16, v42, s[12:13]
	v_cndmask_b32_e64 v22, v16, v43, s[14:15]
	v_max3_f32 v15, v15, v17, v22
	v_or_b32_e32 v17, 34, v14
	v_or_b32_e32 v22, 35, v14
	v_cmp_gt_i32_e64 s[16:17], s38, v17
	v_cmp_gt_i32_e64 s[20:21], s38, v22
	s_nop 0
	v_cndmask_b32_e64 v17, v16, v38, s[16:17]
	v_cndmask_b32_e64 v22, v16, v39, s[20:21]
	v_max3_f32 v15, v15, v17, v22
	v_or_b32_e32 v17, 48, v14
	v_or_b32_e32 v22, 49, v14
	v_cmp_gt_i32_e64 s[8:9], s38, v17
	v_cmp_gt_i32_e64 s[10:11], s38, v22
	s_nop 0
	v_cndmask_b32_e64 v17, v16, v36, s[8:9]
	v_cndmask_b32_e64 v22, v16, v37, s[10:11]
	v_max3_f32 v15, v15, v17, v22
	v_or_b32_e32 v17, 50, v14
	v_or_b32_e32 v14, 51, v14
	v_cmp_gt_i32_e32 vcc, s38, v17
	v_cmp_gt_i32_e64 s[6:7], s38, v14
	s_nop 0
	v_cndmask_b32_e32 v17, v16, v34, vcc
	v_cndmask_b32_e64 v14, v16, v35, s[6:7]
	v_max3_f32 v22, v15, v17, v14
	v_mbcnt_lo_u32_b32 v14, -1, 0
	v_mbcnt_hi_u32_b32 v23, -1, v14
	v_and_b32_e32 v14, 64, v23
	v_add_u32_e32 v24, 64, v14
	v_xor_b32_e32 v14, 32, v23
	v_cmp_lt_i32_e64 s[38:39], v14, v24
	s_nop 1
	v_cndmask_b32_e64 v14, v23, v14, s[38:39]
	v_lshlrev_b32_e32 v51, 2, v14
	ds_bpermute_b32 v25, v51, v22
	v_mad_i64_i32 v[14:15], s[38:39], v65, s45, v[46:47]
	v_mad_i64_i32 v[16:17], s[38:39], v66, s45, v[46:47]
	s_waitcnt lgkmcnt(0)
	v_max_f32_e32 v25, v25, v25
	v_max_f32_e32 v22, v22, v25
	v_xor_b32_e32 v25, 16, v23
	v_cmp_lt_i32_e64 s[38:39], v25, v24
	s_nop 1
	v_cndmask_b32_e64 v23, v23, v25, s[38:39]
	v_lshlrev_b32_e32 v54, 2, v23
	ds_bpermute_b32 v23, v54, v22
	v_mad_i64_i32 v[26:27], s[38:39], v63, s45, v[46:47]
	v_mad_i64_i32 v[52:53], s[38:39], v64, s45, v[46:47]
	s_waitcnt lgkmcnt(0)
	v_max_f32_e32 v23, v23, v23
	v_max_f32_e32 v50, v22, v23
	v_sub_f32_e32 v46, v31, v50
	global_load_dwordx4 v[30:33], v[14:15], off
	global_load_dwordx4 v[22:25], v[16:17], off
	v_sub_f32_e32 v14, v28, v50
	v_mul_f32_e32 v14, 0x3fb8aa3b, v14
	v_mul_f32_e32 v15, 0x3fb8aa3b, v46
	v_exp_f32_e32 v14, v14
	v_exp_f32_e32 v47, v15
	v_sub_f32_e32 v15, v29, v50
	v_mul_f32_e32 v15, 0x3fb8aa3b, v15
	v_exp_f32_e32 v48, v15
	v_sub_f32_e32 v15, v49, v50
	v_mul_f32_e32 v15, 0x3fb8aa3b, v15
	v_exp_f32_e32 v49, v15
	v_cndmask_b32_e64 v46, 0, v14, s[36:37]
	global_load_dwordx4 v[26:29], v[26:27], off
	s_nop 0
	global_load_dwordx4 v[14:17], v[52:53], off
	v_sub_f32_e32 v44, v44, v50
	v_sub_f32_e32 v40, v40, v50
	v_mul_f32_e32 v44, 0x3fb8aa3b, v44
	v_mul_f32_e32 v40, 0x3fb8aa3b, v40
	v_exp_f32_e32 v44, v44
	v_exp_f32_e32 v52, v40
	v_sub_f32_e32 v45, v45, v50
	v_sub_f32_e32 v40, v41, v50
	;; [unrolled: 1-line block ×4, first 2 shown]
	v_mul_f32_e32 v45, 0x3fb8aa3b, v45
	v_mul_f32_e32 v40, 0x3fb8aa3b, v40
	;; [unrolled: 1-line block ×4, first 2 shown]
	v_exp_f32_e32 v45, v45
	v_exp_f32_e32 v53, v40
	v_cndmask_b32_e64 v40, 0, v44, s[18:19]
	v_cndmask_b32_e64 v44, 0, v52, s[26:27]
	v_exp_f32_e32 v42, v42
	v_exp_f32_e32 v52, v38
	v_sub_f32_e32 v38, v39, v50
	v_mul_f32_e32 v38, 0x3fb8aa3b, v38
	v_cndmask_b32_e64 v47, 0, v47, s[24:25]
	v_cndmask_b32_e64 v41, 0, v45, s[22:23]
	;; [unrolled: 1-line block ×3, first 2 shown]
	v_exp_f32_e32 v53, v38
	v_cndmask_b32_e64 v38, 0, v42, s[12:13]
	v_cndmask_b32_e64 v42, 0, v52, s[16:17]
	v_add_f32_e32 v52, 0, v46
	v_cndmask_b32_e64 v48, 0, v48, s[28:29]
	v_add_f32_e32 v52, v52, v47
	v_cndmask_b32_e64 v49, 0, v49, s[34:35]
	v_sub_f32_e32 v43, v43, v50
	v_add_f32_e32 v52, v52, v48
	v_mul_f32_e32 v43, 0x3fb8aa3b, v43
	v_add_f32_e32 v52, v52, v49
	v_exp_f32_e32 v43, v43
	v_add_f32_e32 v52, v52, v40
	v_add_f32_e32 v52, v52, v41
	v_sub_f32_e32 v36, v36, v50
	v_add_f32_e32 v52, v52, v44
	v_mul_f32_e32 v36, 0x3fb8aa3b, v36
	v_sub_f32_e32 v37, v37, v50
	v_add_f32_e32 v52, v52, v45
	v_exp_f32_e32 v36, v36
	v_mul_f32_e32 v37, 0x3fb8aa3b, v37
	v_sub_f32_e32 v34, v34, v50
	v_cndmask_b32_e64 v39, 0, v43, s[14:15]
	v_add_f32_e32 v52, v52, v38
	v_exp_f32_e32 v37, v37
	v_mul_f32_e32 v34, 0x3fb8aa3b, v34
	v_sub_f32_e32 v35, v35, v50
	v_add_f32_e32 v52, v52, v39
	v_exp_f32_e32 v34, v34
	v_mul_f32_e32 v35, 0x3fb8aa3b, v35
	v_cndmask_b32_e64 v43, 0, v53, s[20:21]
	v_add_f32_e32 v52, v52, v42
	v_exp_f32_e32 v35, v35
	v_add_f32_e32 v52, v52, v43
	v_cndmask_b32_e64 v36, 0, v36, s[8:9]
	v_add_f32_e32 v52, v52, v36
	v_cndmask_b32_e64 v37, 0, v37, s[10:11]
	v_add_f32_e32 v52, v52, v37
	v_cndmask_b32_e32 v34, 0, v34, vcc
	v_add_f32_e32 v52, v52, v34
	v_cndmask_b32_e64 v35, 0, v35, s[6:7]
	v_add_f32_e32 v52, v52, v35
	ds_bpermute_b32 v51, v51, v52
	v_cmp_lt_u32_e64 s[6:7], 15, v60
	v_cmp_gt_u32_e32 vcc, 16, v60
	s_waitcnt lgkmcnt(0)
	s_barrier
	v_add_f32_e32 v51, v52, v51
	ds_bpermute_b32 v52, v54, v51
	s_waitcnt lgkmcnt(0)
	s_and_saveexec_b64 s[8:9], vcc
	s_cbranch_execz .LBB1344_15
; %bb.14:
	v_add_f32_e32 v51, v51, v52
	v_lshlrev_b32_e32 v52, 2, v62
	ds_write2st64_b32 v52, v50, v51 offset1:1
.LBB1344_15:
	s_or_b64 exec, exec, s[8:9]
	v_lshlrev_b32_e32 v51, 2, v57
	s_load_dwordx2 s[8:9], s[0:1], 0x94
	s_waitcnt lgkmcnt(0)
	s_barrier
	ds_read2_b32 v[52:53], v51 offset1:16
	ds_read2_b32 v[54:55], v51 offset0:32 offset1:48
	ds_read2_b32 v[60:61], v51 offset0:64 offset1:80
	s_movk_i32 s12, 0x7fff
	s_waitcnt lgkmcnt(2)
	v_max3_f32 v50, v52, s40, v53
	s_waitcnt lgkmcnt(1)
	v_max3_f32 v50, v50, v54, v55
	v_sub_f32_e32 v52, v52, v50
	v_mul_f32_e32 v52, 0x3fb8aa3b, v52
	v_exp_f32_e32 v62, v52
	v_sub_f32_e32 v52, v53, v50
	v_mul_f32_e32 v52, 0x3fb8aa3b, v52
	v_exp_f32_e32 v63, v52
	;; [unrolled: 3-line block ×3, first 2 shown]
	ds_read2_b32 v[52:53], v51 offset0:96 offset1:112
	v_sub_f32_e32 v51, v55, v50
	v_mul_f32_e32 v51, 0x3fb8aa3b, v51
	v_exp_f32_e32 v55, v51
	s_waitcnt lgkmcnt(1)
	v_fma_f32 v51, v62, v60, 0
	v_fmac_f32_e32 v51, v63, v61
	s_waitcnt lgkmcnt(0)
	v_fmac_f32_e32 v51, v54, v52
	v_fmac_f32_e32 v51, v55, v53
	v_add_f32_e32 v53, 0x358637bd, v51
	v_div_scale_f32 v60, s[10:11], v53, v53, 1.0
	v_rcp_f32_e32 v61, v60
	s_barrier
	v_fma_f32 v64, -v60, v61, 1.0
	v_fmac_f32_e32 v61, v64, v61
	v_div_scale_f32 v64, vcc, 1.0, v53, 1.0
	v_mul_f32_e32 v65, v64, v61
	v_fma_f32 v66, -v60, v65, v64
	v_fmac_f32_e32 v65, v66, v61
	v_fma_f32 v60, -v60, v65, v64
	v_div_fmas_f32 v60, v60, v61, v65
	v_cmp_eq_u32_e32 vcc, 1, v59
	v_div_fixup_f32 v53, v60, v53, 1.0
	v_mov_b32_e32 v52, 0
	v_cndmask_b32_e32 v60, v62, v63, vcc
	v_cmp_eq_u32_e32 vcc, 2, v59
	s_nop 1
	v_cndmask_b32_e32 v54, v60, v54, vcc
	v_cmp_eq_u32_e32 vcc, 3, v59
	s_nop 1
	v_cndmask_b32_e32 v54, v54, v55, vcc
	v_mul_f32_e32 v60, v54, v53
	v_pk_mul_f32 v[46:47], v[60:61], v[46:47] op_sel_hi:[0,1]
	v_bfe_u32 v53, v47, 16, 1
	v_bfe_u32 v54, v46, 16, 1
	v_pk_mul_f32 v[48:49], v[60:61], v[48:49] op_sel_hi:[0,1]
	v_add3_u32 v46, v46, v54, s12
	v_add3_u32 v47, v47, v53, s12
	v_perm_b32 v62, v47, v46, s5
	v_bfe_u32 v46, v49, 16, 1
	v_bfe_u32 v47, v48, 16, 1
	v_add3_u32 v47, v48, v47, s12
	v_add3_u32 v46, v49, v46, s12
	v_perm_b32 v63, v46, v47, s5
	v_lshlrev_b32_e32 v47, 3, v56
	v_lshlrev_b32_e32 v46, 5, v57
	;; [unrolled: 1-line block ×3, first 2 shown]
	v_pk_mul_f32 v[40:41], v[60:61], v[40:41] op_sel_hi:[0,1]
	v_or3_b32 v54, v48, v46, v47
	v_bfe_u32 v47, v41, 16, 1
	v_bfe_u32 v48, v40, 16, 1
	v_pk_mul_f32 v[44:45], v[60:61], v[44:45] op_sel_hi:[0,1]
	v_add3_u32 v40, v40, v48, s12
	v_add3_u32 v41, v41, v47, s12
	v_perm_b32 v40, v41, v40, s5
	v_bfe_u32 v41, v45, 16, 1
	v_bfe_u32 v47, v44, 16, 1
	v_add3_u32 v44, v44, v47, s12
	v_add3_u32 v41, v45, v41, s12
	v_perm_b32 v41, v41, v44, s5
	v_pk_mul_f32 v[38:39], v[60:61], v[38:39] op_sel_hi:[0,1]
	ds_write2st64_b64 v54, v[62:63], v[40:41] offset1:1
	v_pk_mul_f32 v[40:41], v[60:61], v[42:43] op_sel_hi:[0,1]
	v_bfe_u32 v42, v39, 16, 1
	v_bfe_u32 v43, v38, 16, 1
	v_add3_u32 v38, v38, v43, s12
	v_add3_u32 v39, v39, v42, s12
	v_perm_b32 v38, v39, v38, s5
	v_bfe_u32 v39, v41, 16, 1
	v_bfe_u32 v42, v40, 16, 1
	v_add3_u32 v40, v40, v42, s12
	v_add3_u32 v39, v41, v39, s12
	v_pk_mul_f32 v[36:37], v[60:61], v[36:37] op_sel_hi:[0,1]
	v_perm_b32 v39, v39, v40, s5
	v_bfe_u32 v40, v37, 16, 1
	v_bfe_u32 v41, v36, 16, 1
	v_pk_mul_f32 v[34:35], v[60:61], v[34:35] op_sel_hi:[0,1]
	v_add3_u32 v36, v36, v41, s12
	v_add3_u32 v37, v37, v40, s12
	v_perm_b32 v36, v37, v36, s5
	v_bfe_u32 v37, v35, 16, 1
	v_bfe_u32 v40, v34, 16, 1
	v_add3_u32 v34, v34, v40, s12
	v_add3_u32 v35, v35, v37, s12
	v_perm_b32 v37, v35, v34, s5
	v_cmp_eq_u32_e32 vcc, 0, v0
	ds_write2st64_b64 v54, v[38:39], v[36:37] offset0:2 offset1:3
	s_and_saveexec_b64 s[10:11], vcc
	s_cbranch_execz .LBB1344_17
; %bb.16:
	s_mul_i32 s3, s3, s9
	s_mul_hi_u32 s5, s2, s9
	s_add_i32 s5, s5, s3
	s_mul_i32 s3, s2, s9
	s_add_u32 s3, s3, s4
	s_addc_u32 s5, s5, 0
	s_load_dwordx4 s[16:19], s[0:1], 0x58
	s_mul_i32 s5, s5, s8
	s_mul_hi_u32 s13, s3, s8
	s_add_i32 s13, s13, s5
	s_mul_i32 s3, s3, s8
	s_add_u32 s14, s3, s33
	s_addc_u32 s15, s13, 0
	s_lshl_b64 s[14:15], s[14:15], 2
	s_waitcnt lgkmcnt(0)
	s_add_u32 s18, s18, s14
	s_addc_u32 s19, s19, s15
	s_add_u32 s14, s16, s14
	s_addc_u32 s15, s17, s15
	global_store_dword v52, v50, s[18:19]
	global_store_dword v52, v51, s[14:15]
.LBB1344_17:
	s_or_b64 exec, exec, s[10:11]
	s_waitcnt vmcnt(7)
	v_cvt_pk_f32_fp8_e32 v[34:35], v18
	v_cvt_pk_f32_fp8_sdwa v[36:37], v18 src0_sel:WORD_1
	v_lshl_or_b32 v50, v56, 9, v46
	s_mov_b32 s5, 0x7060302
	s_waitcnt lgkmcnt(0)
	s_barrier
	v_cvt_pk_f32_fp8_e32 v[38:39], v19
	v_perm_b32 v18, v35, v34, s5
	v_cvt_pk_f32_fp8_sdwa v[40:41], v19 src0_sel:WORD_1
	v_perm_b32 v19, v37, v36, s5
	ds_read_b128 v[34:37], v50
	v_perm_b32 v46, v39, v38, s5
	v_perm_b32 v47, v41, v40, s5
	ds_read_b128 v[38:41], v50 offset:16
	v_cvt_pk_f32_fp8_e32 v[48:49], v20
	v_cvt_pk_f32_fp8_sdwa v[52:53], v20 src0_sel:WORD_1
	s_waitcnt lgkmcnt(1)
	v_mfma_f32_16x16x16_bf16 v[42:45], v[18:19], v[34:35], 0
	s_waitcnt vmcnt(6)
	v_cvt_pk_f32_fp8_e32 v[60:61], v8
	v_perm_b32 v18, v49, v48, s5
	v_perm_b32 v19, v53, v52, s5
	v_cvt_pk_f32_fp8_e32 v[48:49], v21
	v_mfma_f32_16x16x16_bf16 v[42:45], v[46:47], v[36:37], v[42:45]
	v_cvt_pk_f32_fp8_sdwa v[46:47], v21 src0_sel:WORD_1
	v_cvt_pk_f32_fp8_sdwa v[62:63], v8 src0_sel:WORD_1
	v_perm_b32 v48, v49, v48, s5
	s_waitcnt lgkmcnt(0)
	v_mfma_f32_16x16x16_bf16 v[18:21], v[18:19], v[38:39], v[42:45]
	v_perm_b32 v49, v47, v46, s5
	s_waitcnt vmcnt(5)
	v_cvt_pk_f32_fp8_e32 v[64:65], v12
	v_cvt_pk_f32_fp8_sdwa v[66:67], v12 src0_sel:WORD_1
	v_cvt_pk_f32_fp8_e32 v[42:43], v6
	v_mfma_f32_16x16x16_bf16 v[46:49], v[48:49], v[40:41], v[18:21]
	s_waitcnt vmcnt(4)
	v_cvt_pk_f32_fp8_sdwa v[68:69], v4 src0_sel:WORD_1
	s_load_dword s10, s[42:43], 0x0
	v_cvt_pk_f32_fp8_sdwa v[18:19], v6 src0_sel:WORD_1
	v_cvt_pk_f32_fp8_e32 v[20:21], v7
	v_perm_b32 v6, v43, v42, s5
	v_cvt_pk_f32_fp8_sdwa v[42:43], v7 src0_sel:WORD_1
	v_perm_b32 v7, v19, v18, s5
	v_perm_b32 v52, v21, v20, s5
	ds_read_b128 v[18:21], v50 offset:2048
	v_perm_b32 v53, v43, v42, s5
	ds_read_b128 v[42:45], v50 offset:2064
	s_waitcnt lgkmcnt(0)
	v_mfma_f32_16x16x16_bf16 v[46:49], v[6:7], v[18:19], v[46:49]
	v_perm_b32 v6, v61, v60, s5
	v_perm_b32 v7, v63, v62, s5
	v_cvt_pk_f32_fp8_e32 v[60:61], v9
	v_mfma_f32_16x16x16_bf16 v[46:49], v[52:53], v[20:21], v[46:49]
	v_cvt_pk_f32_fp8_sdwa v[52:53], v9 src0_sel:WORD_1
	s_waitcnt vmcnt(3)
	v_cvt_pk_f32_fp8_sdwa v[70:71], v32 src0_sel:WORD_1
	v_perm_b32 v60, v61, v60, s5
	v_mfma_f32_16x16x16_bf16 v[6:9], v[6:7], v[42:43], v[46:49]
	v_perm_b32 v61, v53, v52, s5
	v_cmp_gt_u32_e32 vcc, 64, v0
	s_xor_b64 s[6:7], s[6:7], -1
	v_cvt_pk_f32_fp8_e32 v[46:47], v10
	v_mfma_f32_16x16x16_bf16 v[60:63], v[60:61], v[44:45], v[6:9]
	s_mov_b32 s3, 0
	s_and_b64 s[6:7], vcc, s[6:7]
	s_nop 0
	v_cvt_pk_f32_fp8_sdwa v[6:7], v10 src0_sel:WORD_1
	v_cvt_pk_f32_fp8_e32 v[8:9], v11
	v_perm_b32 v10, v47, v46, s5
	v_cvt_pk_f32_fp8_sdwa v[46:47], v11 src0_sel:WORD_1
	v_perm_b32 v11, v7, v6, s5
	v_perm_b32 v52, v9, v8, s5
	ds_read_b128 v[6:9], v50 offset:4096
	v_perm_b32 v53, v47, v46, s5
	ds_read_b128 v[46:49], v50 offset:4112
	s_waitcnt lgkmcnt(1)
	v_mfma_f32_16x16x16_bf16 v[60:63], v[10:11], v[6:7], v[60:63]
	v_perm_b32 v10, v65, v64, s5
	v_perm_b32 v11, v67, v66, s5
	v_cvt_pk_f32_fp8_e32 v[64:65], v13
	v_mfma_f32_16x16x16_bf16 v[60:63], v[52:53], v[8:9], v[60:63]
	v_cvt_pk_f32_fp8_sdwa v[52:53], v13 src0_sel:WORD_1
	v_cvt_pk_f32_fp8_e32 v[66:67], v4
	v_perm_b32 v64, v65, v64, s5
	s_waitcnt lgkmcnt(0)
	v_mfma_f32_16x16x16_bf16 v[10:13], v[10:11], v[46:47], v[60:63]
	v_perm_b32 v65, v53, v52, s5
	v_cvt_pk_f32_fp8_e32 v[52:53], v2
	s_nop 0
	v_mfma_f32_16x16x16_bf16 v[60:63], v[64:65], v[48:49], v[10:13]
	s_nop 2
	v_cvt_pk_f32_fp8_sdwa v[10:11], v2 src0_sel:WORD_1
	v_cvt_pk_f32_fp8_e32 v[12:13], v3
	v_perm_b32 v2, v53, v52, s5
	v_cvt_pk_f32_fp8_sdwa v[52:53], v3 src0_sel:WORD_1
	v_perm_b32 v3, v11, v10, s5
	v_perm_b32 v64, v13, v12, s5
	ds_read_b128 v[10:13], v50 offset:6144
	v_perm_b32 v65, v53, v52, s5
	s_waitcnt lgkmcnt(0)
	v_mfma_f32_16x16x16_bf16 v[60:63], v[2:3], v[10:11], v[60:63]
	ds_read_b128 v[50:53], v50 offset:6160
	v_perm_b32 v2, v67, v66, s5
	v_perm_b32 v3, v69, v68, s5
	v_cvt_pk_f32_fp8_e32 v[66:67], v5
	v_mfma_f32_16x16x16_bf16 v[60:63], v[64:65], v[12:13], v[60:63]
	v_cvt_pk_f32_fp8_sdwa v[64:65], v5 src0_sel:WORD_1
	v_cvt_pk_f32_fp8_e32 v[68:69], v32
	v_perm_b32 v66, v67, v66, s5
	s_waitcnt lgkmcnt(0)
	v_mfma_f32_16x16x16_bf16 v[2:5], v[2:3], v[50:51], v[60:63]
	v_perm_b32 v67, v65, v64, s5
	s_barrier
	s_nop 0
	v_mfma_f32_16x16x16_bf16 v[60:63], v[66:67], v[52:53], v[2:5]
	s_nop 2
	v_cvt_pk_f32_fp8_e32 v[4:5], v30
	v_perm_b32 v4, v5, v4, s5
	s_nop 1
	v_pk_mul_f32 v[2:3], v[62:63], s[10:11] op_sel_hi:[1,0]
	v_cvt_pk_f32_fp8_sdwa v[62:63], v30 src0_sel:WORD_1
	v_pk_mul_f32 v[64:65], v[60:61], s[10:11] op_sel_hi:[1,0]
	v_cvt_pk_f32_fp8_e32 v[60:61], v31
	v_cvt_pk_f32_fp8_sdwa v[30:31], v31 src0_sel:WORD_1
	v_perm_b32 v5, v63, v62, s5
	v_bfe_u32 v55, v65, 16, 1
	v_perm_b32 v66, v61, v60, s5
	v_perm_b32 v67, v31, v30, s5
	v_mfma_f32_16x16x16_bf16 v[60:63], v[4:5], v[34:35], 0
	v_perm_b32 v4, v69, v68, s5
	v_perm_b32 v5, v71, v70, s5
	v_cvt_pk_f32_fp8_e32 v[34:35], v33
	v_cvt_pk_f32_fp8_sdwa v[68:69], v33 src0_sel:WORD_1
	v_mfma_f32_16x16x16_bf16 v[30:33], v[66:67], v[36:37], v[60:63]
	s_waitcnt vmcnt(2)
	v_cvt_pk_f32_fp8_sdwa v[36:37], v22 src0_sel:WORD_1
	v_perm_b32 v34, v35, v34, s5
	v_perm_b32 v35, v69, v68, s5
	v_mfma_f32_16x16x16_bf16 v[30:33], v[4:5], v[38:39], v[30:33]
	v_cvt_pk_f32_fp8_e32 v[4:5], v22
	v_cvt_pk_f32_fp8_sdwa v[38:39], v24 src0_sel:WORD_1
	v_bfe_u32 v59, v64, 16, 1
	v_mfma_f32_16x16x16_bf16 v[30:33], v[34:35], v[40:41], v[30:33]
	v_cvt_pk_f32_fp8_e32 v[34:35], v23
	v_perm_b32 v4, v5, v4, s5
	v_perm_b32 v5, v37, v36, s5
	v_cvt_pk_f32_fp8_sdwa v[22:23], v23 src0_sel:WORD_1
	v_perm_b32 v34, v35, v34, s5
	v_cvt_pk_f32_fp8_e32 v[36:37], v24
	v_mfma_f32_16x16x16_bf16 v[30:33], v[4:5], v[18:19], v[30:33]
	v_perm_b32 v35, v23, v22, s5
	v_perm_b32 v4, v37, v36, s5
	;; [unrolled: 1-line block ×3, first 2 shown]
	v_cvt_pk_f32_fp8_e32 v[22:23], v25
	v_cvt_pk_f32_fp8_sdwa v[24:25], v25 src0_sel:WORD_1
	v_mfma_f32_16x16x16_bf16 v[18:21], v[34:35], v[20:21], v[30:33]
	v_perm_b32 v22, v23, v22, s5
	v_perm_b32 v23, v25, v24, s5
	v_mfma_f32_16x16x16_bf16 v[18:21], v[4:5], v[42:43], v[18:21]
	s_waitcnt vmcnt(1)
	v_cvt_pk_f32_fp8_e32 v[4:5], v26
	v_cvt_pk_f32_fp8_sdwa v[24:25], v26 src0_sel:WORD_1
	v_cvt_pk_f32_fp8_sdwa v[30:31], v28 src0_sel:WORD_1
	v_mfma_f32_16x16x16_bf16 v[18:21], v[22:23], v[44:45], v[18:21]
	v_cvt_pk_f32_fp8_e32 v[22:23], v27
	v_perm_b32 v4, v5, v4, s5
	v_perm_b32 v5, v25, v24, s5
	v_cvt_pk_f32_fp8_sdwa v[24:25], v27 src0_sel:WORD_1
	v_perm_b32 v22, v23, v22, s5
	v_cvt_pk_f32_fp8_e32 v[26:27], v28
	v_mfma_f32_16x16x16_bf16 v[4:7], v[4:5], v[6:7], v[18:21]
	v_perm_b32 v23, v25, v24, s5
	v_cvt_pk_f32_fp8_sdwa v[24:25], v29 src0_sel:WORD_1
	s_nop 0
	v_perm_b32 v18, v27, v26, s5
	v_perm_b32 v19, v31, v30, s5
	v_cvt_pk_f32_fp8_e32 v[20:21], v29
	v_mfma_f32_16x16x16_bf16 v[4:7], v[22:23], v[8:9], v[4:7]
	s_waitcnt vmcnt(0)
	v_cvt_pk_f32_fp8_sdwa v[22:23], v14 src0_sel:WORD_1
	v_bfe_u32 v9, v3, 16, 1
	v_perm_b32 v20, v21, v20, s5
	v_perm_b32 v21, v25, v24, s5
	v_mfma_f32_16x16x16_bf16 v[4:7], v[18:19], v[46:47], v[4:7]
	v_cvt_pk_f32_fp8_e32 v[18:19], v14
	v_cvt_pk_f32_fp8_sdwa v[24:25], v16 src0_sel:WORD_1
	v_add3_u32 v3, v3, v9, s12
	v_mfma_f32_16x16x16_bf16 v[4:7], v[20:21], v[48:49], v[4:7]
	v_cvt_pk_f32_fp8_e32 v[20:21], v15
	v_perm_b32 v18, v19, v18, s5
	v_perm_b32 v19, v23, v22, s5
	v_cvt_pk_f32_fp8_sdwa v[14:15], v15 src0_sel:WORD_1
	v_perm_b32 v20, v21, v20, s5
	v_cvt_pk_f32_fp8_e32 v[22:23], v16
	v_mfma_f32_16x16x16_bf16 v[4:7], v[18:19], v[10:11], v[4:7]
	v_perm_b32 v21, v15, v14, s5
	v_perm_b32 v10, v23, v22, s5
	;; [unrolled: 1-line block ×3, first 2 shown]
	v_cvt_pk_f32_fp8_e32 v[14:15], v17
	v_cvt_pk_f32_fp8_sdwa v[16:17], v17 src0_sel:WORD_1
	v_mfma_f32_16x16x16_bf16 v[4:7], v[20:21], v[12:13], v[4:7]
	v_bfe_u32 v18, v2, 16, 1
	v_perm_b32 v12, v15, v14, s5
	v_perm_b32 v13, v17, v16, s5
	v_mfma_f32_16x16x16_bf16 v[4:7], v[10:11], v[50:51], v[4:7]
	v_add3_u32 v2, v2, v18, s12
	v_perm_b32 v9, v3, v2, s5
	v_add3_u32 v32, v64, v59, s12
	v_mfma_f32_16x16x16_bf16 v[2:5], v[12:13], v[52:53], v[4:7]
	v_add3_u32 v33, v65, v55, s12
	v_perm_b32 v8, v33, v32, s5
	s_nop 4
	v_pk_mul_f32 v[2:3], v[2:3], s[10:11] op_sel_hi:[1,0]
	v_pk_mul_f32 v[4:5], v[4:5], s[10:11] op_sel_hi:[1,0]
	v_bfe_u32 v6, v3, 16, 1
	v_bfe_u32 v7, v2, 16, 1
	v_add3_u32 v2, v2, v7, s12
	v_add3_u32 v3, v3, v6, s12
	v_perm_b32 v2, v3, v2, s5
	v_bfe_u32 v3, v5, 16, 1
	v_bfe_u32 v6, v4, 16, 1
	v_add3_u32 v4, v4, v6, s12
	v_add3_u32 v3, v5, v3, s12
	v_perm_b32 v3, v3, v4, s5
	ds_write2st64_b64 v54, v[8:9], v[2:3] offset1:1
	s_waitcnt lgkmcnt(0)
	s_barrier
	s_and_saveexec_b64 s[10:11], s[6:7]
	s_cbranch_execz .LBB1344_19
; %bb.18:
	s_load_dwordx2 s[0:1], s[0:1], 0x68
	s_mul_i32 s2, s9, s2
	s_lshl_b32 s5, s8, 7
	s_mul_hi_u32 s7, s2, s5
	s_mul_i32 s6, s2, s5
	v_lshlrev_b32_e32 v4, 6, v57
	s_lshl_b64 s[6:7], s[6:7], 1
	v_lshl_or_b32 v0, v0, 10, v4
	s_waitcnt lgkmcnt(0)
	s_add_u32 s6, s0, s6
	v_lshlrev_b32_e32 v2, 5, v56
	v_and_b32_e32 v3, 16, v58
	v_and_b32_e32 v0, 0x1a00, v0
	s_addc_u32 s7, s1, s7
	s_lshl_b32 s2, s33, 7
	v_or3_b32 v0, v0, v2, v3
	s_lshl_b64 s[0:1], s[2:3], 1
	ds_read_b128 v[2:5], v0
	s_add_u32 s2, s6, s0
	s_addc_u32 s3, s7, s1
	s_mul_hi_u32 s1, s5, s4
	s_mul_i32 s0, s5, s4
	s_lshl_b64 s[0:1], s[0:1], 1
	s_add_u32 s0, s2, s0
	s_addc_u32 s1, s3, s1
	s_waitcnt lgkmcnt(0)
	global_store_dwordx4 v1, v[2:5], s[0:1]
.LBB1344_19:
	s_endpgm
	.section	.rodata,"a",@progbits
	.p2align	6, 0x0
	.amdhsa_kernel _Z39paged_attention_ll4mi_QKV_mfma16_kernelI14__hip_bfloat16hLN4vllm18Fp8KVCacheDataTypeE1EhLi32ELi128ELi256ELb1ELi1EEvPKT_PKT0_S8_ifPKiSA_SA_iPKfiiiPfSD_PS3_PT2_iSC_SC_
		.amdhsa_group_segment_fixed_size 8192
		.amdhsa_private_segment_fixed_size 0
		.amdhsa_kernarg_size 400
		.amdhsa_user_sgpr_count 2
		.amdhsa_user_sgpr_dispatch_ptr 0
		.amdhsa_user_sgpr_queue_ptr 0
		.amdhsa_user_sgpr_kernarg_segment_ptr 1
		.amdhsa_user_sgpr_dispatch_id 0
		.amdhsa_user_sgpr_kernarg_preload_length 0
		.amdhsa_user_sgpr_kernarg_preload_offset 0
		.amdhsa_user_sgpr_private_segment_size 0
		.amdhsa_uses_dynamic_stack 0
		.amdhsa_enable_private_segment 0
		.amdhsa_system_sgpr_workgroup_id_x 1
		.amdhsa_system_sgpr_workgroup_id_y 1
		.amdhsa_system_sgpr_workgroup_id_z 1
		.amdhsa_system_sgpr_workgroup_info 0
		.amdhsa_system_vgpr_workitem_id 0
		.amdhsa_next_free_vgpr 78
		.amdhsa_next_free_sgpr 48
		.amdhsa_accum_offset 80
		.amdhsa_reserve_vcc 1
		.amdhsa_float_round_mode_32 0
		.amdhsa_float_round_mode_16_64 0
		.amdhsa_float_denorm_mode_32 3
		.amdhsa_float_denorm_mode_16_64 3
		.amdhsa_dx10_clamp 1
		.amdhsa_ieee_mode 1
		.amdhsa_fp16_overflow 0
		.amdhsa_tg_split 0
		.amdhsa_exception_fp_ieee_invalid_op 0
		.amdhsa_exception_fp_denorm_src 0
		.amdhsa_exception_fp_ieee_div_zero 0
		.amdhsa_exception_fp_ieee_overflow 0
		.amdhsa_exception_fp_ieee_underflow 0
		.amdhsa_exception_fp_ieee_inexact 0
		.amdhsa_exception_int_div_zero 0
	.end_amdhsa_kernel
	.section	.text._Z39paged_attention_ll4mi_QKV_mfma16_kernelI14__hip_bfloat16hLN4vllm18Fp8KVCacheDataTypeE1EhLi32ELi128ELi256ELb1ELi1EEvPKT_PKT0_S8_ifPKiSA_SA_iPKfiiiPfSD_PS3_PT2_iSC_SC_,"axG",@progbits,_Z39paged_attention_ll4mi_QKV_mfma16_kernelI14__hip_bfloat16hLN4vllm18Fp8KVCacheDataTypeE1EhLi32ELi128ELi256ELb1ELi1EEvPKT_PKT0_S8_ifPKiSA_SA_iPKfiiiPfSD_PS3_PT2_iSC_SC_,comdat
.Lfunc_end1344:
	.size	_Z39paged_attention_ll4mi_QKV_mfma16_kernelI14__hip_bfloat16hLN4vllm18Fp8KVCacheDataTypeE1EhLi32ELi128ELi256ELb1ELi1EEvPKT_PKT0_S8_ifPKiSA_SA_iPKfiiiPfSD_PS3_PT2_iSC_SC_, .Lfunc_end1344-_Z39paged_attention_ll4mi_QKV_mfma16_kernelI14__hip_bfloat16hLN4vllm18Fp8KVCacheDataTypeE1EhLi32ELi128ELi256ELb1ELi1EEvPKT_PKT0_S8_ifPKiSA_SA_iPKfiiiPfSD_PS3_PT2_iSC_SC_
                                        ; -- End function
	.section	.AMDGPU.csdata,"",@progbits
; Kernel info:
; codeLenInByte = 6504
; NumSgprs: 54
; NumVgprs: 78
; NumAgprs: 0
; TotalNumVgprs: 78
; ScratchSize: 0
; MemoryBound: 0
; FloatMode: 240
; IeeeMode: 1
; LDSByteSize: 8192 bytes/workgroup (compile time only)
; SGPRBlocks: 6
; VGPRBlocks: 9
; NumSGPRsForWavesPerEU: 54
; NumVGPRsForWavesPerEU: 78
; AccumOffset: 80
; Occupancy: 6
; WaveLimiterHint : 1
; COMPUTE_PGM_RSRC2:SCRATCH_EN: 0
; COMPUTE_PGM_RSRC2:USER_SGPR: 2
; COMPUTE_PGM_RSRC2:TRAP_HANDLER: 0
; COMPUTE_PGM_RSRC2:TGID_X_EN: 1
; COMPUTE_PGM_RSRC2:TGID_Y_EN: 1
; COMPUTE_PGM_RSRC2:TGID_Z_EN: 1
; COMPUTE_PGM_RSRC2:TIDIG_COMP_CNT: 0
; COMPUTE_PGM_RSRC3_GFX90A:ACCUM_OFFSET: 19
; COMPUTE_PGM_RSRC3_GFX90A:TG_SPLIT: 0
	.section	.text._Z39paged_attention_ll4mi_QKV_mfma16_kernelI14__hip_bfloat16hLN4vllm18Fp8KVCacheDataTypeE1EhLi32ELi128ELi256ELb1ELi2EEvPKT_PKT0_S8_ifPKiSA_SA_iPKfiiiPfSD_PS3_PT2_iSC_SC_,"axG",@progbits,_Z39paged_attention_ll4mi_QKV_mfma16_kernelI14__hip_bfloat16hLN4vllm18Fp8KVCacheDataTypeE1EhLi32ELi128ELi256ELb1ELi2EEvPKT_PKT0_S8_ifPKiSA_SA_iPKfiiiPfSD_PS3_PT2_iSC_SC_,comdat
	.protected	_Z39paged_attention_ll4mi_QKV_mfma16_kernelI14__hip_bfloat16hLN4vllm18Fp8KVCacheDataTypeE1EhLi32ELi128ELi256ELb1ELi2EEvPKT_PKT0_S8_ifPKiSA_SA_iPKfiiiPfSD_PS3_PT2_iSC_SC_ ; -- Begin function _Z39paged_attention_ll4mi_QKV_mfma16_kernelI14__hip_bfloat16hLN4vllm18Fp8KVCacheDataTypeE1EhLi32ELi128ELi256ELb1ELi2EEvPKT_PKT0_S8_ifPKiSA_SA_iPKfiiiPfSD_PS3_PT2_iSC_SC_
	.globl	_Z39paged_attention_ll4mi_QKV_mfma16_kernelI14__hip_bfloat16hLN4vllm18Fp8KVCacheDataTypeE1EhLi32ELi128ELi256ELb1ELi2EEvPKT_PKT0_S8_ifPKiSA_SA_iPKfiiiPfSD_PS3_PT2_iSC_SC_
	.p2align	8
	.type	_Z39paged_attention_ll4mi_QKV_mfma16_kernelI14__hip_bfloat16hLN4vllm18Fp8KVCacheDataTypeE1EhLi32ELi128ELi256ELb1ELi2EEvPKT_PKT0_S8_ifPKiSA_SA_iPKfiiiPfSD_PS3_PT2_iSC_SC_,@function
_Z39paged_attention_ll4mi_QKV_mfma16_kernelI14__hip_bfloat16hLN4vllm18Fp8KVCacheDataTypeE1EhLi32ELi128ELi256ELb1ELi2EEvPKT_PKT0_S8_ifPKiSA_SA_iPKfiiiPfSD_PS3_PT2_iSC_SC_: ; @_Z39paged_attention_ll4mi_QKV_mfma16_kernelI14__hip_bfloat16hLN4vllm18Fp8KVCacheDataTypeE1EhLi32ELi128ELi256ELb1ELi2EEvPKT_PKT0_S8_ifPKiSA_SA_iPKfiiiPfSD_PS3_PT2_iSC_SC_
; %bb.0:
	s_load_dwordx2 s[8:9], s[0:1], 0x30
	s_mov_b32 s10, s3
	s_mov_b64 s[6:7], 0
	s_waitcnt lgkmcnt(0)
	s_cmp_lg_u64 s[8:9], 0
	s_cselect_b64 s[12:13], -1, 0
	s_and_b64 vcc, exec, s[12:13]
	s_cbranch_vccz .LBB1345_7
; %bb.1:
	s_add_i32 s14, s2, 1
	s_mov_b32 s15, 0
	s_lshl_b64 s[16:17], s[14:15], 2
	s_add_u32 s16, s8, s16
	s_mov_b32 s3, s15
	s_addc_u32 s17, s9, s17
	s_lshl_b64 s[14:15], s[2:3], 2
	s_add_u32 s14, s8, s14
	s_addc_u32 s15, s9, s15
	s_load_dword s5, s[16:17], 0x0
	s_load_dword s11, s[14:15], 0x0
	s_waitcnt lgkmcnt(0)
	s_sub_i32 s5, s5, s11
	s_cmp_eq_u32 s5, 1
	s_cselect_b64 s[14:15], -1, 0
	s_andn2_b64 vcc, exec, s[6:7]
	s_cbranch_vccnz .LBB1345_3
.LBB1345_2:
	s_mov_b32 s3, 0
	s_mov_b64 s[14:15], -1
.LBB1345_3:
	s_andn2_b64 vcc, exec, s[14:15]
	s_cbranch_vccnz .LBB1345_19
; %bb.4:
	s_load_dwordx2 s[6:7], s[0:1], 0x28
	s_lshl_b64 s[14:15], s[2:3], 2
	s_waitcnt lgkmcnt(0)
	s_add_u32 s6, s6, s14
	s_addc_u32 s7, s7, s15
	s_load_dword s33, s[6:7], 0x0
	s_lshl_b32 s18, s10, 8
	s_waitcnt lgkmcnt(0)
	s_cmp_ge_i32 s18, s33
	s_cbranch_scc1 .LBB1345_19
; %bb.5:
	s_load_dwordx2 s[6:7], s[0:1], 0x20
	s_load_dword s5, s[0:1], 0x38
	s_add_i32 s11, s33, 31
	s_ashr_i32 s16, s11, 31
	v_and_b32_e32 v1, 0xcf, v0
	s_lshr_b32 s16, s16, 27
	v_add_u32_e32 v1, s18, v1
	s_add_i32 s11, s11, s16
	v_ashrrev_i32_e32 v2, 31, v1
	s_ashr_i32 s19, s11, 5
	v_lshrrev_b32_e32 v4, 27, v2
	s_add_i32 s19, s19, -1
	s_waitcnt lgkmcnt(0)
	s_mul_i32 s16, s2, s5
	s_mov_b32 s17, 0
	v_add_u32_e32 v2, v1, v4
	s_lshl_b64 s[16:17], s[16:17], 2
	v_ashrrev_i32_e32 v2, 5, v2
	v_mov_b32_e32 v5, s19
	v_cmp_gt_i32_e32 vcc, s33, v1
	s_add_u32 s6, s6, s16
	s_addc_u32 s7, s7, s17
	v_cndmask_b32_e32 v2, v5, v2, vcc
	v_ashrrev_i32_e32 v3, 31, v2
	v_lshl_add_u64 v[6:7], v[2:3], 2, s[6:7]
	v_or_b32_e32 v2, 16, v1
	v_add_u32_e32 v3, v2, v4
	v_ashrrev_i32_e32 v3, 5, v3
	v_cmp_gt_i32_e32 vcc, s33, v2
	s_load_dwordx2 s[16:17], s[0:1], 0x8
	s_nop 0
	v_cndmask_b32_e32 v2, v5, v3, vcc
	v_ashrrev_i32_e32 v3, 31, v2
	v_lshl_add_u64 v[8:9], v[2:3], 2, s[6:7]
	v_or_b32_e32 v2, 32, v1
	v_add_u32_e32 v3, v2, v4
	v_ashrrev_i32_e32 v3, 5, v3
	v_cmp_gt_i32_e32 vcc, s33, v2
	v_or_b32_e32 v1, 48, v1
	s_nop 0
	v_cndmask_b32_e32 v2, v5, v3, vcc
	v_ashrrev_i32_e32 v3, 31, v2
	v_lshl_add_u64 v[12:13], v[2:3], 2, s[6:7]
	v_add_u32_e32 v2, v1, v4
	v_ashrrev_i32_e32 v2, 5, v2
	v_cmp_gt_i32_e32 vcc, s33, v1
	s_nop 1
	v_cndmask_b32_e32 v2, v5, v2, vcc
	v_ashrrev_i32_e32 v3, 31, v2
	v_lshl_add_u64 v[14:15], v[2:3], 2, s[6:7]
	global_load_dword v4, v[6:7], off
	global_load_dword v3, v[8:9], off
	;; [unrolled: 1-line block ×4, first 2 shown]
	s_andn2_b64 vcc, exec, s[12:13]
	s_cbranch_vccnz .LBB1345_8
; %bb.6:
	s_add_u32 s8, s8, s14
	s_addc_u32 s9, s9, s15
	s_load_dword s5, s[8:9], 0x0
	s_branch .LBB1345_9
.LBB1345_7:
	s_mov_b64 s[14:15], 0
	s_branch .LBB1345_2
.LBB1345_8:
	s_mov_b32 s5, s2
.LBB1345_9:
	s_load_dwordx2 s[8:9], s[0:1], 0x10
	s_load_dwordx4 s[44:47], s[0:1], 0x48
	v_lshrrev_b32_e32 v58, 6, v0
	v_bfe_u32 v1, v0, 4, 2
	v_and_b32_e32 v56, 15, v0
	v_lshl_or_b32 v5, v58, 2, v1
	v_lshlrev_b32_e32 v6, 3, v56
	s_lshl_b32 s11, s4, 1
	v_cmp_gt_u32_e32 vcc, 2, v5
	v_lshlrev_b32_e32 v54, 1, v6
	v_lshlrev_b32_e32 v57, 4, v0
	s_and_saveexec_b64 s[12:13], vcc
	s_cbranch_execz .LBB1345_11
; %bb.10:
	s_load_dwordx2 s[14:15], s[0:1], 0x0
	s_waitcnt lgkmcnt(0)
	s_ashr_i32 s20, s44, 31
	s_mul_hi_u32 s21, s5, s44
	s_mul_i32 s20, s5, s20
	s_add_i32 s21, s21, s20
	s_mul_i32 s20, s5, s44
	s_lshl_b64 s[20:21], s[20:21], 1
	s_add_u32 s14, s14, s20
	v_add_lshl_u32 v6, v1, s11, 7
	s_addc_u32 s15, s15, s21
	v_ashrrev_i32_e32 v7, 31, v6
	v_lshl_add_u64 v[6:7], v[6:7], 1, s[14:15]
	v_mov_b32_e32 v55, 0
	v_lshl_add_u64 v[6:7], v[6:7], 0, v[54:55]
	global_load_dwordx4 v[6:9], v[6:7], off
	v_lshlrev_b32_e32 v12, 8, v0
	v_lshlrev_b32_e32 v11, 8, v56
	v_and_b32_e32 v12, 0x600, v12
	s_movk_i32 s5, 0x800
	v_and_or_b32 v11, v11, s5, v12
	v_lshlrev_b32_e32 v5, 5, v5
	v_and_b32_e32 v12, 16, v57
	v_or3_b32 v5, v11, v5, v12
	s_waitcnt vmcnt(0)
	ds_write_b128 v5, v[6:9]
.LBB1345_11:
	s_or_b64 exec, exec, s[12:13]
	s_waitcnt lgkmcnt(0)
	s_mul_i32 s12, s4, s46
	s_add_u32 s4, s16, s12
	s_addc_u32 s5, s17, 0
	v_mov_b32_e32 v51, 0
	v_mov_b64_e32 v[12:13], s[4:5]
	v_and_b32_e32 v52, 48, v0
	s_waitcnt vmcnt(3)
	v_mad_i64_i32 v[4:5], s[4:5], v4, s45, v[12:13]
	v_lshlrev_b32_e32 v14, 4, v56
	v_mov_b32_e32 v15, v51
	v_lshlrev_b32_e32 v50, 5, v52
	v_lshl_add_u64 v[4:5], v[4:5], 0, v[14:15]
	v_lshl_add_u64 v[4:5], v[4:5], 0, v[50:51]
	s_barrier
	global_load_dwordx4 v[46:49], v[4:5], off
	global_load_dwordx4 v[34:37], v[4:5], off offset:2048
	s_waitcnt vmcnt(4)
	v_mad_i64_i32 v[4:5], s[4:5], v3, s45, v[12:13]
	v_or_b32_e32 v16, 0x100, v14
	v_mov_b32_e32 v17, v51
	s_waitcnt vmcnt(3)
	v_mad_i64_i32 v[2:3], s[4:5], v2, s45, v[12:13]
	s_waitcnt vmcnt(2)
	v_mad_i64_i32 v[10:11], s[4:5], v10, s45, v[12:13]
	v_lshl_add_u64 v[4:5], v[4:5], 0, v[16:17]
	v_lshl_add_u64 v[2:3], v[2:3], 0, v[14:15]
	v_lshl_add_u64 v[10:11], v[10:11], 0, v[16:17]
	v_lshl_add_u64 v[4:5], v[4:5], 0, v[50:51]
	v_lshl_add_u64 v[14:15], v[2:3], 0, v[50:51]
	v_lshl_add_u64 v[10:11], v[10:11], 0, v[50:51]
	global_load_dwordx4 v[38:41], v[4:5], off
	global_load_dwordx4 v[6:9], v[4:5], off offset:2048
	s_nop 0
	global_load_dwordx4 v[2:5], v[14:15], off
	global_load_dwordx4 v[42:45], v[14:15], off offset:2048
	global_load_dwordx4 v[26:29], v[10:11], off
	s_nop 0
	global_load_dwordx4 v[14:17], v[10:11], off offset:2048
	v_and_b32_e32 v10, 1, v0
	v_lshlrev_b32_e32 v10, 5, v10
	v_lshl_or_b32 v10, v1, 9, v10
	ds_read_b128 v[30:33], v10
	ds_read_b128 v[22:25], v10 offset:16
	ds_read_b128 v[18:21], v10 offset:2048
	;; [unrolled: 1-line block ×3, first 2 shown]
	v_and_b32_e32 v55, 63, v0
	v_cmp_gt_u32_e32 vcc, 2, v56
	v_mov_b32_e32 v59, 0
	s_and_saveexec_b64 s[4:5], vcc
	s_cbranch_execz .LBB1345_13
; %bb.12:
	s_load_dwordx2 s[14:15], s[0:1], 0x40
	v_or_b32_e32 v60, s11, v56
	v_ashrrev_i32_e32 v61, 31, v60
	s_waitcnt lgkmcnt(0)
	v_lshl_add_u64 v[60:61], v[60:61], 2, s[14:15]
	global_load_dword v59, v[60:61], off
.LBB1345_13:
	s_or_b64 exec, exec, s[4:5]
	s_ashr_i32 s4, s18, 31
	v_or_b32_e32 v50, s18, v52
	s_lshr_b32 s4, s4, 27
	v_add_u32_e32 v52, s4, v50
	v_or_b32_e32 v60, 64, v50
	v_ashrrev_i32_e32 v52, 5, v52
	v_mov_b32_e32 v66, s19
	v_cmp_gt_i32_e32 vcc, s33, v50
	v_add_u32_e32 v61, s4, v60
	v_ashrrev_i32_e32 v61, 5, v61
	v_cndmask_b32_e32 v52, v66, v52, vcc
	v_cmp_gt_i32_e32 vcc, s33, v60
	s_waitcnt vmcnt(7)
	v_cvt_pk_f32_fp8_sdwa v[62:63], v46 src0_sel:WORD_1
	s_mov_b32 s44, 0x7060302
	v_cndmask_b32_e32 v60, v66, v61, vcc
	v_ashrrev_i32_e32 v61, 31, v60
	v_lshl_add_u64 v[64:65], v[60:61], 2, s[6:7]
	v_or_b32_e32 v60, 0x80, v50
	v_add_u32_e32 v61, s4, v60
	v_ashrrev_i32_e32 v61, 5, v61
	v_cmp_gt_i32_e32 vcc, s33, v60
	v_or_b32_e32 v50, 0xc0, v50
	v_add_u32_e32 v67, s4, v50
	v_cndmask_b32_e32 v60, v66, v61, vcc
	v_ashrrev_i32_e32 v61, 31, v60
	v_lshl_add_u64 v[70:71], v[60:61], 2, s[6:7]
	v_cvt_pk_f32_fp8_e32 v[60:61], v46
	v_ashrrev_i32_e32 v67, 5, v67
	v_cmp_gt_i32_e32 vcc, s33, v50
	v_ashrrev_i32_e32 v53, 31, v52
	v_perm_b32 v60, v61, v60, s44
	v_perm_b32 v61, v63, v62, s44
	v_cvt_pk_f32_fp8_e32 v[62:63], v47
	v_cvt_pk_f32_fp8_sdwa v[46:47], v47 src0_sel:WORD_1
	v_cndmask_b32_e32 v66, v66, v67, vcc
	v_cvt_pk_f32_fp8_sdwa v[72:73], v48 src0_sel:WORD_1
	v_perm_b32 v68, v63, v62, s44
	v_perm_b32 v69, v47, v46, s44
	s_waitcnt lgkmcnt(3)
	v_mfma_f32_16x16x16_bf16 v[60:63], v[60:61], v[30:31], 0
	v_cvt_pk_f32_fp8_e32 v[46:47], v48
	v_lshl_add_u64 v[52:53], v[52:53], 2, s[6:7]
	v_ashrrev_i32_e32 v67, 31, v66
	v_lshl_add_u64 v[74:75], v[66:67], 2, s[6:7]
	v_mfma_f32_16x16x16_bf16 v[66:69], v[68:69], v[32:33], v[60:63]
	s_nop 2
	global_load_dword v63, v[52:53], off
	s_nop 0
	global_load_dword v64, v[64:65], off
	;; [unrolled: 2-line block ×3, first 2 shown]
	global_load_dword v62, v[74:75], off
	v_perm_b32 v46, v47, v46, s44
	v_perm_b32 v47, v73, v72, s44
	v_cvt_pk_f32_fp8_e32 v[72:73], v49
	v_cvt_pk_f32_fp8_sdwa v[48:49], v49 src0_sel:WORD_1
	s_waitcnt vmcnt(10)
	v_cvt_pk_f32_fp8_sdwa v[70:71], v36 src0_sel:WORD_1
	s_waitcnt vmcnt(7)
	v_cvt_pk_f32_fp8_sdwa v[76:77], v5 src0_sel:WORD_1
	v_perm_b32 v52, v73, v72, s44
	v_perm_b32 v53, v49, v48, s44
	s_waitcnt lgkmcnt(2)
	v_mfma_f32_16x16x16_bf16 v[46:49], v[46:47], v[22:23], v[66:69]
	v_cvt_pk_f32_fp8_sdwa v[72:73], v4 src0_sel:WORD_1
	s_add_u32 s4, s8, s12
	s_addc_u32 s5, s9, 0
	v_cvt_pk_f32_fp8_e32 v[66:67], v34
	v_cvt_pk_f32_fp8_sdwa v[68:69], v34 src0_sel:WORD_1
	v_mfma_f32_16x16x16_bf16 v[46:49], v[52:53], v[24:25], v[46:49]
	v_cvt_pk_f32_fp8_e32 v[52:53], v35
	v_perm_b32 v66, v67, v66, s44
	v_perm_b32 v67, v69, v68, s44
	v_cvt_pk_f32_fp8_sdwa v[34:35], v35 src0_sel:WORD_1
	v_perm_b32 v52, v53, v52, s44
	v_cvt_pk_f32_fp8_e32 v[68:69], v36
	s_waitcnt lgkmcnt(1)
	v_mfma_f32_16x16x16_bf16 v[46:49], v[66:67], v[18:19], v[46:49]
	v_perm_b32 v53, v35, v34, s44
	v_perm_b32 v66, v69, v68, s44
	;; [unrolled: 1-line block ×3, first 2 shown]
	v_cvt_pk_f32_fp8_e32 v[68:69], v37
	v_cvt_pk_f32_fp8_sdwa v[70:71], v37 src0_sel:WORD_1
	v_mfma_f32_16x16x16_bf16 v[34:37], v[52:53], v[20:21], v[46:49]
	v_cvt_pk_f32_fp8_sdwa v[52:53], v38 src0_sel:WORD_1
	v_and_b32_e32 v50, 16, v0
	v_lshl_or_b32 v60, v58, 4, v56
	v_perm_b32 v46, v69, v68, s44
	v_perm_b32 v47, v71, v70, s44
	s_waitcnt lgkmcnt(0)
	v_mfma_f32_16x16x16_bf16 v[34:37], v[66:67], v[10:11], v[34:37]
	v_cvt_pk_f32_fp8_e32 v[48:49], v38
	v_cvt_pk_f32_fp8_e32 v[66:67], v40
	v_cvt_pk_f32_fp8_sdwa v[68:69], v40 src0_sel:WORD_1
	v_mfma_f32_16x16x16_bf16 v[34:37], v[46:47], v[12:13], v[34:37]
	v_cvt_pk_f32_fp8_e32 v[46:47], v39
	v_perm_b32 v48, v49, v48, s44
	v_perm_b32 v49, v53, v52, s44
	v_cvt_pk_f32_fp8_sdwa v[38:39], v39 src0_sel:WORD_1
	v_perm_b32 v52, v47, v46, s44
	v_mfma_f32_16x16x16_bf16 v[46:49], v[48:49], v[30:31], 0
	v_perm_b32 v53, v39, v38, s44
	v_perm_b32 v66, v67, v66, s44
	v_perm_b32 v67, v69, v68, s44
	v_cvt_pk_f32_fp8_e32 v[68:69], v41
	v_cvt_pk_f32_fp8_sdwa v[70:71], v41 src0_sel:WORD_1
	v_mfma_f32_16x16x16_bf16 v[38:41], v[52:53], v[32:33], v[46:49]
	v_cvt_pk_f32_fp8_e32 v[52:53], v6
	v_perm_b32 v52, v53, v52, s44
	s_nop 0
	v_perm_b32 v48, v69, v68, s44
	v_perm_b32 v49, v71, v70, s44
	v_mfma_f32_16x16x16_bf16 v[38:41], v[66:67], v[22:23], v[38:41]
	v_cvt_pk_f32_fp8_sdwa v[66:67], v6 src0_sel:WORD_1
	v_cvt_pk_f32_fp8_sdwa v[68:69], v8 src0_sel:WORD_1
	v_lshl_add_u64 v[46:47], s[4:5], 0, v[50:51]
	v_mfma_f32_16x16x16_bf16 v[38:41], v[48:49], v[24:25], v[38:41]
	v_cvt_pk_f32_fp8_e32 v[48:49], v7
	v_perm_b32 v53, v67, v66, s44
	v_cvt_pk_f32_fp8_sdwa v[6:7], v7 src0_sel:WORD_1
	v_cvt_pk_f32_fp8_e32 v[66:67], v8
	v_perm_b32 v48, v49, v48, s44
	v_mfma_f32_16x16x16_bf16 v[38:41], v[52:53], v[18:19], v[38:41]
	v_perm_b32 v49, v7, v6, s44
	v_perm_b32 v52, v67, v66, s44
	v_perm_b32 v53, v69, v68, s44
	v_cvt_pk_f32_fp8_e32 v[66:67], v9
	v_cvt_pk_f32_fp8_sdwa v[68:69], v9 src0_sel:WORD_1
	v_mfma_f32_16x16x16_bf16 v[6:9], v[48:49], v[20:21], v[38:41]
	v_cvt_pk_f32_fp8_e32 v[48:49], v2
	v_lshlrev_b32_e32 v50, 5, v60
	v_lshl_add_u64 v[70:71], v[46:47], 0, v[50:51]
	v_perm_b32 v38, v67, v66, s44
	v_perm_b32 v39, v69, v68, s44
	v_mfma_f32_16x16x16_bf16 v[6:9], v[52:53], v[10:11], v[6:9]
	v_cvt_pk_f32_fp8_sdwa v[52:53], v2 src0_sel:WORD_1
	s_waitcnt vmcnt(2)
	v_mad_i64_i32 v[74:75], s[4:5], v64, s45, v[70:71]
	v_mfma_f32_16x16x16_bf16 v[38:41], v[38:39], v[12:13], v[6:9]
	v_or_b32_e32 v50, 0x800, v50
	v_lshl_add_u64 v[46:47], v[46:47], 0, v[50:51]
	s_nop 0
	v_perm_b32 v6, v49, v48, s44
	v_perm_b32 v7, v53, v52, s44
	v_cvt_pk_f32_fp8_e32 v[8:9], v3
	v_cvt_pk_f32_fp8_sdwa v[2:3], v3 src0_sel:WORD_1
	v_mad_i64_i32 v[48:49], s[4:5], v63, s45, v[70:71]
	v_perm_b32 v52, v9, v8, s44
	v_perm_b32 v53, v3, v2, s44
	v_mfma_f32_16x16x16_bf16 v[6:9], v[6:7], v[30:31], 0
	v_cvt_pk_f32_fp8_e32 v[2:3], v4
	v_mfma_f32_16x16x16_bf16 v[66:69], v[52:53], v[32:33], v[6:9]
	v_perm_b32 v52, v3, v2, s44
	v_perm_b32 v53, v73, v72, s44
	v_cvt_pk_f32_fp8_e32 v[72:73], v5
	s_nop 1
	global_load_dwordx4 v[6:9], v[48:49], off
	global_load_dwordx4 v[2:5], v[74:75], off
	v_mfma_f32_16x16x16_bf16 v[66:69], v[52:53], v[22:23], v[66:69]
	v_perm_b32 v72, v73, v72, s44
	v_perm_b32 v73, v77, v76, s44
	s_waitcnt vmcnt(3)
	v_mad_i64_i32 v[48:49], s[4:5], v61, s45, v[70:71]
	s_waitcnt vmcnt(2)
	v_mad_i64_i32 v[52:53], s[4:5], v62, s45, v[70:71]
	v_mfma_f32_16x16x16_bf16 v[66:69], v[72:73], v[24:25], v[66:69]
	v_cvt_pk_f32_fp8_e32 v[70:71], v42
	v_cvt_pk_f32_fp8_sdwa v[72:73], v42 src0_sel:WORD_1
	v_cvt_pk_f32_fp8_e32 v[74:75], v43
	v_cvt_pk_f32_fp8_sdwa v[42:43], v43 src0_sel:WORD_1
	v_perm_b32 v70, v71, v70, s44
	v_perm_b32 v71, v73, v72, s44
	;; [unrolled: 1-line block ×4, first 2 shown]
	v_cvt_pk_f32_fp8_e32 v[42:43], v44
	v_cvt_pk_f32_fp8_sdwa v[74:75], v44 src0_sel:WORD_1
	v_mfma_f32_16x16x16_bf16 v[66:69], v[70:71], v[18:19], v[66:69]
	v_cvt_pk_f32_fp8_sdwa v[76:77], v45 src0_sel:WORD_1
	v_perm_b32 v70, v43, v42, s44
	v_perm_b32 v71, v75, v74, s44
	v_cvt_pk_f32_fp8_e32 v[74:75], v45
	v_mfma_f32_16x16x16_bf16 v[42:45], v[72:73], v[20:21], v[66:69]
	v_perm_b32 v51, v77, v76, s44
	v_cvt_pk_f32_fp8_sdwa v[72:73], v26 src0_sel:WORD_1
	v_perm_b32 v50, v75, v74, s44
	v_mfma_f32_16x16x16_bf16 v[42:45], v[70:71], v[10:11], v[42:45]
	v_cvt_pk_f32_fp8_e32 v[70:71], v26
	s_load_dword s4, s[0:1], 0x1c
	s_load_dwordx4 s[40:43], s[0:1], 0x80
	s_load_dword s46, s[0:1], 0x98
	s_waitcnt lgkmcnt(0)
	s_load_dword s5, s[40:41], 0x0
	v_mfma_f32_16x16x16_bf16 v[66:69], v[50:51], v[12:13], v[42:45]
	s_mov_b32 s40, 0xff7fffff
	s_nop 1
	v_cvt_pk_f32_fp8_e32 v[42:43], v27
	v_perm_b32 v44, v71, v70, s44
	v_perm_b32 v45, v73, v72, s44
	v_cvt_pk_f32_fp8_sdwa v[26:27], v27 src0_sel:WORD_1
	v_perm_b32 v50, v43, v42, s44
	v_cvt_pk_f32_fp8_e32 v[70:71], v28
	v_cvt_pk_f32_fp8_sdwa v[72:73], v28 src0_sel:WORD_1
	v_perm_b32 v51, v27, v26, s44
	v_mfma_f32_16x16x16_bf16 v[42:45], v[44:45], v[30:31], 0
	v_perm_b32 v30, v71, v70, s44
	v_perm_b32 v31, v73, v72, s44
	v_cvt_pk_f32_fp8_e32 v[70:71], v29
	v_cvt_pk_f32_fp8_sdwa v[72:73], v29 src0_sel:WORD_1
	v_mfma_f32_16x16x16_bf16 v[26:29], v[50:51], v[32:33], v[42:45]
	v_perm_b32 v32, v71, v70, s44
	v_perm_b32 v33, v73, v72, s44
	v_mfma_f32_16x16x16_bf16 v[26:29], v[30:31], v[22:23], v[26:29]
	v_mov_b32_e32 v42, s4
	s_waitcnt lgkmcnt(0)
	v_mul_f32_e32 v50, s5, v42
	v_pk_mul_f32 v[30:31], v[50:51], v[34:35] op_sel_hi:[0,1]
	v_mfma_f32_16x16x16_bf16 v[32:35], v[32:33], v[24:25], v[26:29]
	v_cvt_pk_f32_fp8_e32 v[22:23], v14
	v_cvt_pk_f32_fp8_sdwa v[24:25], v14 src0_sel:WORD_1
	v_pk_mul_f32 v[42:43], v[50:51], v[36:37] op_sel_hi:[0,1]
	v_cvt_pk_f32_fp8_e32 v[26:27], v15
	v_cvt_pk_f32_fp8_sdwa v[14:15], v15 src0_sel:WORD_1
	v_perm_b32 v36, v23, v22, s44
	v_perm_b32 v37, v25, v24, s44
	;; [unrolled: 1-line block ×4, first 2 shown]
	v_cvt_pk_f32_fp8_e32 v[14:15], v16
	v_cvt_pk_f32_fp8_sdwa v[70:71], v16 src0_sel:WORD_1
	v_mfma_f32_16x16x16_bf16 v[32:35], v[36:37], v[18:19], v[32:35]
	global_load_dwordx4 v[26:29], v[48:49], off
	global_load_dwordx4 v[22:25], v[52:53], off
	v_perm_b32 v18, v15, v14, s44
	v_perm_b32 v19, v71, v70, s44
	v_cvt_pk_f32_fp8_e32 v[36:37], v17
	v_cvt_pk_f32_fp8_sdwa v[48:49], v17 src0_sel:WORD_1
	v_mfma_f32_16x16x16_bf16 v[14:17], v[44:45], v[20:21], v[32:35]
	v_pk_mul_f32 v[44:45], v[50:51], v[40:41] op_sel_hi:[0,1]
	v_perm_b32 v20, v37, v36, s44
	v_perm_b32 v21, v49, v48, s44
	v_mfma_f32_16x16x16_bf16 v[14:17], v[18:19], v[10:11], v[14:17]
	v_pk_mul_f32 v[48:49], v[50:51], v[38:39] op_sel_hi:[0,1]
	v_pk_mul_f32 v[38:39], v[50:51], v[68:69] op_sel_hi:[0,1]
	v_pk_mul_f32 v[40:41], v[50:51], v[66:67] op_sel_hi:[0,1]
	v_mfma_f32_16x16x16_bf16 v[10:13], v[20:21], v[12:13], v[14:17]
	s_nop 6
	v_pk_mul_f32 v[36:37], v[50:51], v[10:11] op_sel_hi:[0,1]
	v_and_b32_e32 v10, 0xc0, v0
	v_add_u32_e32 v10, s18, v10
	v_lshl_or_b32 v10, v1, 2, v10
	v_or_b32_e32 v11, 1, v10
	v_pk_mul_f32 v[34:35], v[50:51], v[12:13] op_sel_hi:[0,1]
	v_subrev_u32_e32 v12, s33, v11
	v_add_u32_e32 v14, 1, v12
	v_add_u32_e32 v15, 2, v12
	v_cvt_f32_i32_e32 v13, v12
	v_cvt_f32_i32_e32 v14, v14
	;; [unrolled: 1-line block ×3, first 2 shown]
	v_add_u32_e32 v16, 3, v12
	v_fma_f32 v17, v59, v13, v30
	v_fmac_f32_e32 v31, v59, v14
	v_fma_f32 v42, v59, v15, v42
	v_add_u32_e32 v13, 16, v12
	v_add_u32_e32 v14, 17, v12
	;; [unrolled: 1-line block ×3, first 2 shown]
	v_cvt_f32_i32_e32 v16, v16
	v_cvt_f32_i32_e32 v13, v13
	;; [unrolled: 1-line block ×4, first 2 shown]
	v_fmac_f32_e32 v43, v59, v16
	v_add_u32_e32 v16, 19, v12
	v_fma_f32 v52, v59, v13, v48
	v_fmac_f32_e32 v49, v59, v14
	v_fma_f32 v44, v59, v15, v44
	v_add_u32_e32 v13, 32, v12
	v_add_u32_e32 v14, 33, v12
	;; [unrolled: 1-line block ×3, first 2 shown]
	v_cvt_f32_i32_e32 v16, v16
	v_cvt_f32_i32_e32 v13, v13
	;; [unrolled: 1-line block ×4, first 2 shown]
	v_fmac_f32_e32 v45, v59, v16
	v_add_u32_e32 v16, 35, v12
	v_fma_f32 v40, v59, v13, v40
	v_fmac_f32_e32 v41, v59, v14
	v_fma_f32 v38, v59, v15, v38
	v_add_u32_e32 v13, 48, v12
	v_add_u32_e32 v14, 49, v12
	;; [unrolled: 1-line block ×4, first 2 shown]
	v_cvt_f32_i32_e32 v12, v12
	v_cvt_f32_i32_e32 v13, v13
	;; [unrolled: 1-line block ×3, first 2 shown]
	v_cmp_gt_i32_e64 s[12:13], s33, v10
	v_fmac_f32_e32 v35, v59, v12
	v_mov_b32_e32 v12, 0xff7fffff
	v_cmp_gt_i32_e64 s[14:15], s33, v11
	v_fma_f32 v36, v59, v13, v36
	v_cndmask_b32_e64 v13, v12, v17, s[12:13]
	v_cndmask_b32_e64 v11, v12, v31, s[14:15]
	v_fmac_f32_e32 v37, v59, v14
	v_max3_f32 v11, v13, s40, v11
	v_or_b32_e32 v13, 2, v10
	v_or_b32_e32 v14, 3, v10
	v_cmp_gt_i32_e64 s[16:17], s33, v13
	v_cmp_gt_i32_e64 s[18:19], s33, v14
	v_cvt_f32_i32_e32 v16, v16
	v_cndmask_b32_e64 v13, v12, v42, s[16:17]
	v_cndmask_b32_e64 v14, v12, v43, s[18:19]
	v_max3_f32 v11, v11, v13, v14
	v_or_b32_e32 v13, 16, v10
	v_or_b32_e32 v14, 17, v10
	v_cmp_gt_i32_e64 s[20:21], s33, v13
	v_cmp_gt_i32_e64 s[22:23], s33, v14
	v_fmac_f32_e32 v39, v59, v16
	v_cndmask_b32_e64 v13, v12, v52, s[20:21]
	v_cndmask_b32_e64 v14, v12, v49, s[22:23]
	v_max3_f32 v11, v11, v13, v14
	v_or_b32_e32 v13, 18, v10
	v_or_b32_e32 v14, 19, v10
	v_cmp_gt_i32_e64 s[24:25], s33, v13
	v_cmp_gt_i32_e64 s[26:27], s33, v14
	v_cvt_f32_i32_e32 v15, v15
	v_cndmask_b32_e64 v13, v12, v44, s[24:25]
	v_cndmask_b32_e64 v14, v12, v45, s[26:27]
	v_max3_f32 v11, v11, v13, v14
	v_or_b32_e32 v13, 32, v10
	v_or_b32_e32 v14, 33, v10
	v_cmp_gt_i32_e64 s[28:29], s33, v13
	v_cmp_gt_i32_e64 s[30:31], s33, v14
	v_fma_f32 v34, v59, v15, v34
	v_cndmask_b32_e64 v13, v12, v40, s[28:29]
	v_cndmask_b32_e64 v14, v12, v41, s[30:31]
	v_max3_f32 v11, v11, v13, v14
	v_or_b32_e32 v13, 34, v10
	v_or_b32_e32 v14, 35, v10
	v_cmp_gt_i32_e64 s[34:35], s33, v13
	v_cmp_gt_i32_e64 s[36:37], s33, v14
	s_nop 0
	v_cndmask_b32_e64 v13, v12, v38, s[34:35]
	v_cndmask_b32_e64 v14, v12, v39, s[36:37]
	v_max3_f32 v11, v11, v13, v14
	v_or_b32_e32 v13, 48, v10
	v_or_b32_e32 v14, 49, v10
	v_cmp_gt_i32_e64 s[6:7], s33, v13
	v_cmp_gt_i32_e64 s[8:9], s33, v14
	s_nop 0
	v_cndmask_b32_e64 v13, v12, v36, s[6:7]
	v_cndmask_b32_e64 v14, v12, v37, s[8:9]
	v_max3_f32 v11, v11, v13, v14
	v_or_b32_e32 v13, 50, v10
	v_or_b32_e32 v10, 51, v10
	v_cmp_gt_i32_e32 vcc, s33, v13
	v_cmp_gt_i32_e64 s[4:5], s33, v10
	s_nop 0
	v_cndmask_b32_e32 v13, v12, v34, vcc
	v_cndmask_b32_e64 v10, v12, v35, s[4:5]
	v_max3_f32 v14, v11, v13, v10
	v_mbcnt_lo_u32_b32 v10, -1, 0
	v_mbcnt_hi_u32_b32 v15, -1, v10
	v_and_b32_e32 v10, 64, v15
	v_add_u32_e32 v16, 64, v10
	v_xor_b32_e32 v10, 32, v15
	v_cmp_lt_i32_e64 s[38:39], v10, v16
	s_nop 1
	v_cndmask_b32_e64 v10, v15, v10, s[38:39]
	v_lshlrev_b32_e32 v53, 2, v10
	ds_bpermute_b32 v18, v53, v14
	v_mad_i64_i32 v[10:11], s[38:39], v63, s45, v[46:47]
	v_mad_i64_i32 v[12:13], s[38:39], v64, s45, v[46:47]
	s_waitcnt lgkmcnt(0)
	v_max_f32_e32 v18, v18, v18
	v_max_f32_e32 v18, v14, v18
	v_xor_b32_e32 v14, 16, v15
	v_cmp_lt_i32_e64 s[38:39], v14, v16
	s_nop 1
	v_cndmask_b32_e64 v14, v15, v14, s[38:39]
	v_lshlrev_b32_e32 v59, 2, v14
	ds_bpermute_b32 v16, v59, v18
	v_mad_i64_i32 v[14:15], s[38:39], v61, s45, v[46:47]
	v_mad_i64_i32 v[46:47], s[38:39], v62, s45, v[46:47]
	s_waitcnt lgkmcnt(0)
	v_max_f32_e32 v16, v16, v16
	v_max_f32_e32 v48, v18, v16
	v_sub_f32_e32 v16, v31, v48
	global_load_dwordx4 v[30:33], v[10:11], off
	global_load_dwordx4 v[18:21], v[12:13], off
	v_sub_f32_e32 v10, v17, v48
	v_mul_f32_e32 v10, 0x3fb8aa3b, v10
	v_exp_f32_e32 v50, v10
	v_mul_f32_e32 v10, 0x3fb8aa3b, v16
	v_exp_f32_e32 v51, v10
	v_sub_f32_e32 v10, v42, v48
	v_mul_f32_e32 v10, 0x3fb8aa3b, v10
	v_exp_f32_e32 v42, v10
	v_sub_f32_e32 v10, v43, v48
	v_mul_f32_e32 v10, 0x3fb8aa3b, v10
	v_exp_f32_e32 v43, v10
	global_load_dwordx4 v[14:17], v[14:15], off
	s_nop 0
	global_load_dwordx4 v[10:13], v[46:47], off
	v_sub_f32_e32 v40, v40, v48
	v_sub_f32_e32 v38, v38, v48
	v_mul_f32_e32 v40, 0x3fb8aa3b, v40
	v_mul_f32_e32 v38, 0x3fb8aa3b, v38
	v_cndmask_b32_e64 v47, 0, v51, s[14:15]
	v_cndmask_b32_e64 v51, 0, v43, s[18:19]
	v_sub_f32_e32 v43, v49, v48
	v_exp_f32_e32 v40, v40
	v_exp_f32_e32 v49, v38
	v_cndmask_b32_e64 v46, 0, v50, s[12:13]
	v_cndmask_b32_e64 v50, 0, v42, s[16:17]
	v_sub_f32_e32 v42, v52, v48
	v_mul_f32_e32 v42, 0x3fb8aa3b, v42
	v_sub_f32_e32 v38, v39, v48
	v_exp_f32_e32 v42, v42
	v_mul_f32_e32 v43, 0x3fb8aa3b, v43
	v_sub_f32_e32 v44, v44, v48
	v_mul_f32_e32 v38, 0x3fb8aa3b, v38
	v_exp_f32_e32 v43, v43
	v_mul_f32_e32 v44, 0x3fb8aa3b, v44
	v_sub_f32_e32 v45, v45, v48
	v_exp_f32_e32 v52, v38
	v_cndmask_b32_e64 v38, 0, v40, s[28:29]
	v_cndmask_b32_e64 v40, 0, v49, s[34:35]
	v_add_f32_e32 v49, 0, v46
	v_exp_f32_e32 v44, v44
	v_mul_f32_e32 v45, 0x3fb8aa3b, v45
	v_add_f32_e32 v49, v49, v47
	v_exp_f32_e32 v45, v45
	v_sub_f32_e32 v41, v41, v48
	v_add_f32_e32 v49, v49, v50
	v_cndmask_b32_e64 v42, 0, v42, s[20:21]
	v_mul_f32_e32 v41, 0x3fb8aa3b, v41
	v_add_f32_e32 v49, v49, v51
	v_cndmask_b32_e64 v43, 0, v43, s[22:23]
	v_exp_f32_e32 v41, v41
	v_add_f32_e32 v49, v49, v42
	v_cndmask_b32_e64 v44, 0, v44, s[24:25]
	v_add_f32_e32 v49, v49, v43
	v_sub_f32_e32 v36, v36, v48
	v_cndmask_b32_e64 v45, 0, v45, s[26:27]
	v_add_f32_e32 v49, v49, v44
	v_mul_f32_e32 v36, 0x3fb8aa3b, v36
	v_sub_f32_e32 v37, v37, v48
	v_add_f32_e32 v49, v49, v45
	v_exp_f32_e32 v36, v36
	v_mul_f32_e32 v37, 0x3fb8aa3b, v37
	v_sub_f32_e32 v34, v34, v48
	v_cndmask_b32_e64 v39, 0, v41, s[30:31]
	v_add_f32_e32 v49, v49, v38
	v_exp_f32_e32 v37, v37
	v_mul_f32_e32 v34, 0x3fb8aa3b, v34
	v_sub_f32_e32 v35, v35, v48
	v_add_f32_e32 v49, v49, v39
	v_exp_f32_e32 v34, v34
	v_mul_f32_e32 v35, 0x3fb8aa3b, v35
	v_cndmask_b32_e64 v41, 0, v52, s[36:37]
	v_add_f32_e32 v49, v49, v40
	v_exp_f32_e32 v35, v35
	v_add_f32_e32 v49, v49, v41
	v_cndmask_b32_e64 v36, 0, v36, s[6:7]
	v_add_f32_e32 v49, v49, v36
	v_cndmask_b32_e64 v37, 0, v37, s[8:9]
	v_add_f32_e32 v49, v49, v37
	v_cndmask_b32_e32 v34, 0, v34, vcc
	v_add_f32_e32 v49, v49, v34
	v_cndmask_b32_e64 v35, 0, v35, s[4:5]
	v_add_f32_e32 v49, v49, v35
	ds_bpermute_b32 v52, v53, v49
	v_cmp_gt_u32_e32 vcc, 16, v55
	s_waitcnt lgkmcnt(0)
	s_barrier
	v_add_f32_e32 v49, v49, v52
	ds_bpermute_b32 v52, v59, v49
	s_and_saveexec_b64 s[4:5], vcc
	s_cbranch_execz .LBB1345_15
; %bb.14:
	s_waitcnt lgkmcnt(0)
	v_add_f32_e32 v49, v49, v52
	v_lshlrev_b32_e32 v52, 2, v60
	ds_write2st64_b32 v52, v48, v49 offset1:1
.LBB1345_15:
	s_or_b64 exec, exec, s[4:5]
	v_lshlrev_b32_e32 v49, 2, v56
	s_load_dword s6, s[0:1], 0x94
	s_waitcnt lgkmcnt(0)
	s_barrier
	ds_read2_b32 v[52:53], v49 offset1:16
	ds_read2_b32 v[60:61], v49 offset0:32 offset1:48
	ds_read2_b32 v[62:63], v49 offset0:64 offset1:80
	s_movk_i32 s8, 0x7fff
	s_lshl_b32 s7, s46, 1
	s_waitcnt lgkmcnt(2)
	v_max3_f32 v48, v52, s40, v53
	s_waitcnt lgkmcnt(1)
	v_max3_f32 v48, v48, v60, v61
	v_sub_f32_e32 v52, v52, v48
	v_mul_f32_e32 v52, 0x3fb8aa3b, v52
	v_exp_f32_e32 v59, v52
	v_sub_f32_e32 v52, v53, v48
	v_mul_f32_e32 v52, 0x3fb8aa3b, v52
	v_exp_f32_e32 v64, v52
	v_sub_f32_e32 v52, v60, v48
	v_mul_f32_e32 v52, 0x3fb8aa3b, v52
	v_exp_f32_e32 v60, v52
	ds_read2_b32 v[52:53], v49 offset0:96 offset1:112
	v_sub_f32_e32 v49, v61, v48
	v_mul_f32_e32 v49, 0x3fb8aa3b, v49
	v_exp_f32_e32 v61, v49
	s_waitcnt lgkmcnt(1)
	v_fma_f32 v49, v59, v62, 0
	v_fmac_f32_e32 v49, v64, v63
	s_waitcnt lgkmcnt(0)
	v_fmac_f32_e32 v49, v60, v52
	v_fmac_f32_e32 v49, v61, v53
	v_add_f32_e32 v52, 0x358637bd, v49
	v_div_scale_f32 v53, s[4:5], v52, v52, 1.0
	v_rcp_f32_e32 v62, v53
	s_barrier
	v_fma_f32 v63, -v53, v62, 1.0
	v_fmac_f32_e32 v62, v63, v62
	v_div_scale_f32 v63, vcc, 1.0, v52, 1.0
	v_mul_f32_e32 v65, v63, v62
	v_fma_f32 v66, -v53, v65, v63
	v_fmac_f32_e32 v65, v66, v62
	v_fma_f32 v53, -v53, v65, v63
	v_div_fmas_f32 v53, v53, v62, v65
	v_cmp_eq_u32_e32 vcc, 1, v58
	v_div_fixup_f32 v52, v53, v52, 1.0
	s_nop 0
	v_cndmask_b32_e32 v53, v59, v64, vcc
	v_cmp_eq_u32_e32 vcc, 2, v58
	s_nop 1
	v_cndmask_b32_e32 v53, v53, v60, vcc
	v_cmp_eq_u32_e32 vcc, 3, v58
	s_nop 1
	v_cndmask_b32_e32 v53, v53, v61, vcc
	v_mul_f32_e32 v52, v53, v52
	v_pk_mul_f32 v[46:47], v[52:53], v[46:47] op_sel_hi:[0,1]
	v_pk_mul_f32 v[50:51], v[52:53], v[50:51] op_sel_hi:[0,1]
	v_bfe_u32 v53, v47, 16, 1
	v_bfe_u32 v59, v46, 16, 1
	v_add3_u32 v46, v46, v59, s8
	v_add3_u32 v47, v47, v53, s8
	v_perm_b32 v60, v47, v46, s44
	v_bfe_u32 v46, v51, 16, 1
	v_bfe_u32 v47, v50, 16, 1
	v_add3_u32 v47, v50, v47, s8
	v_add3_u32 v46, v51, v46, s8
	v_perm_b32 v61, v46, v47, s44
	v_lshlrev_b32_e32 v47, 3, v1
	v_lshlrev_b32_e32 v46, 5, v56
	;; [unrolled: 1-line block ×3, first 2 shown]
	v_pk_mul_f32 v[42:43], v[52:53], v[42:43] op_sel_hi:[0,1]
	v_or3_b32 v58, v50, v46, v47
	v_bfe_u32 v47, v43, 16, 1
	v_bfe_u32 v50, v42, 16, 1
	v_pk_mul_f32 v[44:45], v[52:53], v[44:45] op_sel_hi:[0,1]
	v_add3_u32 v42, v42, v50, s8
	v_add3_u32 v43, v43, v47, s8
	v_perm_b32 v42, v43, v42, s44
	v_bfe_u32 v43, v45, 16, 1
	v_bfe_u32 v47, v44, 16, 1
	v_add3_u32 v44, v44, v47, s8
	v_add3_u32 v43, v45, v43, s8
	v_perm_b32 v43, v43, v44, s44
	v_pk_mul_f32 v[38:39], v[52:53], v[38:39] op_sel_hi:[0,1]
	ds_write2st64_b64 v58, v[60:61], v[42:43] offset1:1
	v_bfe_u32 v42, v39, 16, 1
	v_bfe_u32 v43, v38, 16, 1
	v_pk_mul_f32 v[40:41], v[52:53], v[40:41] op_sel_hi:[0,1]
	v_add3_u32 v38, v38, v43, s8
	v_add3_u32 v39, v39, v42, s8
	v_perm_b32 v38, v39, v38, s44
	v_bfe_u32 v39, v41, 16, 1
	v_bfe_u32 v42, v40, 16, 1
	v_add3_u32 v40, v40, v42, s8
	v_add3_u32 v39, v41, v39, s8
	v_pk_mul_f32 v[36:37], v[52:53], v[36:37] op_sel_hi:[0,1]
	v_perm_b32 v39, v39, v40, s44
	v_bfe_u32 v40, v37, 16, 1
	v_bfe_u32 v41, v36, 16, 1
	v_pk_mul_f32 v[34:35], v[52:53], v[34:35] op_sel_hi:[0,1]
	v_add3_u32 v36, v36, v41, s8
	v_add3_u32 v37, v37, v40, s8
	v_perm_b32 v36, v37, v36, s44
	v_bfe_u32 v37, v35, 16, 1
	v_bfe_u32 v40, v34, 16, 1
	v_add3_u32 v34, v34, v40, s8
	v_add3_u32 v35, v35, v37, s8
	v_perm_b32 v37, v35, v34, s44
	v_cmp_gt_u32_e32 vcc, 2, v0
	ds_write2st64_b64 v58, v[38:39], v[36:37] offset0:2 offset1:3
	s_and_saveexec_b64 s[4:5], vcc
	s_cbranch_execz .LBB1345_17
; %bb.16:
	v_or_b32_e32 v34, s11, v0
	v_mov_b32_e32 v35, 0
	v_mov_b32_e32 v36, s7
	v_mad_u64_u32 v[36:37], s[16:17], s2, v36, v[34:35]
	v_mov_b32_e32 v34, s10
	s_load_dwordx4 s[12:15], s[0:1], 0x58
	s_mul_i32 s3, s3, s7
	v_mad_u64_u32 v[34:35], s[16:17], v36, s6, v[34:35]
	v_add_u32_e32 v37, s3, v37
	v_mov_b32_e32 v36, v35
	v_mad_u64_u32 v[36:37], s[16:17], v37, s6, v[36:37]
	v_mov_b32_e32 v35, v36
	v_lshlrev_b64 v[34:35], 2, v[34:35]
	s_waitcnt lgkmcnt(0)
	v_lshl_add_u64 v[36:37], s[14:15], 0, v[34:35]
	v_lshl_add_u64 v[34:35], s[12:13], 0, v[34:35]
	global_store_dword v[36:37], v48, off
	global_store_dword v[34:35], v49, off
.LBB1345_17:
	s_or_b64 exec, exec, s[4:5]
	s_waitcnt vmcnt(7)
	v_cvt_pk_f32_fp8_e32 v[34:35], v6
	v_cvt_pk_f32_fp8_sdwa v[36:37], v6 src0_sel:WORD_1
	v_lshl_or_b32 v50, v1, 9, v46
	s_mov_b32 s5, 0x7060302
	s_waitcnt lgkmcnt(0)
	s_barrier
	v_cvt_pk_f32_fp8_e32 v[38:39], v7
	v_perm_b32 v6, v35, v34, s5
	v_cvt_pk_f32_fp8_sdwa v[40:41], v7 src0_sel:WORD_1
	v_perm_b32 v7, v37, v36, s5
	ds_read_b128 v[34:37], v50
	v_perm_b32 v46, v39, v38, s5
	v_perm_b32 v47, v41, v40, s5
	ds_read_b128 v[38:41], v50 offset:16
	v_cvt_pk_f32_fp8_e32 v[48:49], v8
	v_cvt_pk_f32_fp8_sdwa v[52:53], v8 src0_sel:WORD_1
	s_waitcnt lgkmcnt(1)
	v_mfma_f32_16x16x16_bf16 v[42:45], v[6:7], v[34:35], 0
	s_waitcnt vmcnt(6)
	v_cvt_pk_f32_fp8_e32 v[60:61], v4
	v_perm_b32 v6, v49, v48, s5
	v_perm_b32 v7, v53, v52, s5
	v_cvt_pk_f32_fp8_e32 v[48:49], v9
	v_mfma_f32_16x16x16_bf16 v[42:45], v[46:47], v[36:37], v[42:45]
	v_cvt_pk_f32_fp8_sdwa v[46:47], v9 src0_sel:WORD_1
	v_cvt_pk_f32_fp8_sdwa v[62:63], v4 src0_sel:WORD_1
	v_perm_b32 v48, v49, v48, s5
	s_waitcnt lgkmcnt(0)
	v_mfma_f32_16x16x16_bf16 v[6:9], v[6:7], v[38:39], v[42:45]
	v_perm_b32 v49, v47, v46, s5
	s_waitcnt vmcnt(5)
	v_cvt_pk_f32_fp8_e32 v[64:65], v28
	v_cvt_pk_f32_fp8_sdwa v[66:67], v28 src0_sel:WORD_1
	v_cvt_pk_f32_fp8_e32 v[42:43], v2
	v_mfma_f32_16x16x16_bf16 v[46:49], v[48:49], v[40:41], v[6:9]
	s_waitcnt vmcnt(4)
	v_cvt_pk_f32_fp8_sdwa v[68:69], v24 src0_sel:WORD_1
	s_load_dword s4, s[42:43], 0x0
	v_cvt_pk_f32_fp8_sdwa v[6:7], v2 src0_sel:WORD_1
	v_cvt_pk_f32_fp8_e32 v[8:9], v3
	v_perm_b32 v2, v43, v42, s5
	v_cvt_pk_f32_fp8_sdwa v[42:43], v3 src0_sel:WORD_1
	v_perm_b32 v3, v7, v6, s5
	v_perm_b32 v52, v9, v8, s5
	ds_read_b128 v[6:9], v50 offset:2048
	v_perm_b32 v53, v43, v42, s5
	ds_read_b128 v[42:45], v50 offset:2064
	s_waitcnt lgkmcnt(0)
	v_mfma_f32_16x16x16_bf16 v[46:49], v[2:3], v[6:7], v[46:49]
	v_perm_b32 v2, v61, v60, s5
	v_perm_b32 v3, v63, v62, s5
	v_cvt_pk_f32_fp8_e32 v[60:61], v5
	v_mfma_f32_16x16x16_bf16 v[46:49], v[52:53], v[8:9], v[46:49]
	v_cvt_pk_f32_fp8_sdwa v[52:53], v5 src0_sel:WORD_1
	s_waitcnt vmcnt(3)
	v_cvt_pk_f32_fp8_sdwa v[70:71], v32 src0_sel:WORD_1
	v_perm_b32 v60, v61, v60, s5
	v_mfma_f32_16x16x16_bf16 v[2:5], v[2:3], v[42:43], v[46:49]
	v_perm_b32 v61, v53, v52, s5
	v_cmp_gt_u32_e32 vcc, 64, v0
	s_mov_b32 s3, 0
	v_cvt_pk_f32_fp8_e32 v[46:47], v26
	v_mfma_f32_16x16x16_bf16 v[60:63], v[60:61], v[44:45], v[2:5]
	s_nop 2
	v_cvt_pk_f32_fp8_sdwa v[2:3], v26 src0_sel:WORD_1
	v_cvt_pk_f32_fp8_e32 v[4:5], v27
	v_perm_b32 v26, v47, v46, s5
	v_cvt_pk_f32_fp8_sdwa v[46:47], v27 src0_sel:WORD_1
	v_perm_b32 v27, v3, v2, s5
	v_perm_b32 v52, v5, v4, s5
	ds_read_b128 v[2:5], v50 offset:4096
	v_perm_b32 v53, v47, v46, s5
	ds_read_b128 v[46:49], v50 offset:4112
	s_waitcnt lgkmcnt(1)
	v_mfma_f32_16x16x16_bf16 v[60:63], v[26:27], v[2:3], v[60:63]
	v_perm_b32 v26, v65, v64, s5
	v_perm_b32 v27, v67, v66, s5
	v_cvt_pk_f32_fp8_e32 v[64:65], v29
	v_mfma_f32_16x16x16_bf16 v[60:63], v[52:53], v[4:5], v[60:63]
	v_cvt_pk_f32_fp8_sdwa v[52:53], v29 src0_sel:WORD_1
	v_cvt_pk_f32_fp8_e32 v[66:67], v24
	v_perm_b32 v64, v65, v64, s5
	s_waitcnt lgkmcnt(0)
	v_mfma_f32_16x16x16_bf16 v[26:29], v[26:27], v[46:47], v[60:63]
	v_perm_b32 v65, v53, v52, s5
	v_cvt_pk_f32_fp8_e32 v[52:53], v22
	s_nop 0
	v_mfma_f32_16x16x16_bf16 v[60:63], v[64:65], v[48:49], v[26:29]
	s_nop 2
	v_cvt_pk_f32_fp8_sdwa v[26:27], v22 src0_sel:WORD_1
	v_cvt_pk_f32_fp8_e32 v[28:29], v23
	v_perm_b32 v22, v53, v52, s5
	v_cvt_pk_f32_fp8_sdwa v[52:53], v23 src0_sel:WORD_1
	v_perm_b32 v23, v27, v26, s5
	v_perm_b32 v64, v29, v28, s5
	ds_read_b128 v[26:29], v50 offset:6144
	v_perm_b32 v65, v53, v52, s5
	s_waitcnt lgkmcnt(0)
	v_mfma_f32_16x16x16_bf16 v[60:63], v[22:23], v[26:27], v[60:63]
	ds_read_b128 v[50:53], v50 offset:6160
	v_perm_b32 v22, v67, v66, s5
	v_perm_b32 v23, v69, v68, s5
	v_cvt_pk_f32_fp8_e32 v[66:67], v25
	v_mfma_f32_16x16x16_bf16 v[60:63], v[64:65], v[28:29], v[60:63]
	v_cvt_pk_f32_fp8_sdwa v[64:65], v25 src0_sel:WORD_1
	v_cvt_pk_f32_fp8_e32 v[68:69], v32
	v_perm_b32 v66, v67, v66, s5
	s_waitcnt lgkmcnt(0)
	v_mfma_f32_16x16x16_bf16 v[22:25], v[22:23], v[50:51], v[60:63]
	v_perm_b32 v67, v65, v64, s5
	s_barrier
	s_nop 0
	v_mfma_f32_16x16x16_bf16 v[60:63], v[66:67], v[52:53], v[22:25]
	s_nop 2
	v_cvt_pk_f32_fp8_e32 v[24:25], v30
	v_perm_b32 v24, v25, v24, s5
	s_nop 1
	v_pk_mul_f32 v[22:23], v[62:63], s[4:5] op_sel_hi:[1,0]
	v_cvt_pk_f32_fp8_sdwa v[62:63], v30 src0_sel:WORD_1
	v_pk_mul_f32 v[64:65], v[60:61], s[4:5] op_sel_hi:[1,0]
	v_cvt_pk_f32_fp8_e32 v[60:61], v31
	v_cvt_pk_f32_fp8_sdwa v[30:31], v31 src0_sel:WORD_1
	v_perm_b32 v25, v63, v62, s5
	v_bfe_u32 v59, v65, 16, 1
	v_perm_b32 v66, v61, v60, s5
	v_perm_b32 v67, v31, v30, s5
	v_mfma_f32_16x16x16_bf16 v[60:63], v[24:25], v[34:35], 0
	v_perm_b32 v24, v69, v68, s5
	v_perm_b32 v25, v71, v70, s5
	v_cvt_pk_f32_fp8_e32 v[34:35], v33
	v_cvt_pk_f32_fp8_sdwa v[68:69], v33 src0_sel:WORD_1
	v_mfma_f32_16x16x16_bf16 v[30:33], v[66:67], v[36:37], v[60:63]
	s_waitcnt vmcnt(2)
	v_cvt_pk_f32_fp8_sdwa v[36:37], v18 src0_sel:WORD_1
	v_perm_b32 v34, v35, v34, s5
	v_perm_b32 v35, v69, v68, s5
	v_mfma_f32_16x16x16_bf16 v[30:33], v[24:25], v[38:39], v[30:33]
	v_cvt_pk_f32_fp8_e32 v[24:25], v18
	v_cvt_pk_f32_fp8_sdwa v[38:39], v20 src0_sel:WORD_1
	v_bfe_u32 v60, v64, 16, 1
	v_mfma_f32_16x16x16_bf16 v[30:33], v[34:35], v[40:41], v[30:33]
	v_cvt_pk_f32_fp8_e32 v[34:35], v19
	v_perm_b32 v24, v25, v24, s5
	v_perm_b32 v25, v37, v36, s5
	v_cvt_pk_f32_fp8_sdwa v[18:19], v19 src0_sel:WORD_1
	v_perm_b32 v34, v35, v34, s5
	v_cvt_pk_f32_fp8_e32 v[36:37], v20
	v_mfma_f32_16x16x16_bf16 v[30:33], v[24:25], v[6:7], v[30:33]
	v_perm_b32 v35, v19, v18, s5
	v_perm_b32 v18, v37, v36, s5
	;; [unrolled: 1-line block ×3, first 2 shown]
	v_cvt_pk_f32_fp8_e32 v[24:25], v21
	v_cvt_pk_f32_fp8_sdwa v[20:21], v21 src0_sel:WORD_1
	v_mfma_f32_16x16x16_bf16 v[6:9], v[34:35], v[8:9], v[30:33]
	v_perm_b32 v24, v25, v24, s5
	v_perm_b32 v25, v21, v20, s5
	v_mfma_f32_16x16x16_bf16 v[6:9], v[18:19], v[42:43], v[6:9]
	s_waitcnt vmcnt(1)
	v_cvt_pk_f32_fp8_e32 v[18:19], v14
	v_cvt_pk_f32_fp8_sdwa v[20:21], v14 src0_sel:WORD_1
	v_cvt_pk_f32_fp8_sdwa v[30:31], v16 src0_sel:WORD_1
	v_mfma_f32_16x16x16_bf16 v[6:9], v[24:25], v[44:45], v[6:9]
	v_cvt_pk_f32_fp8_e32 v[24:25], v15
	v_perm_b32 v18, v19, v18, s5
	v_perm_b32 v19, v21, v20, s5
	v_cvt_pk_f32_fp8_sdwa v[14:15], v15 src0_sel:WORD_1
	v_perm_b32 v20, v25, v24, s5
	v_cvt_pk_f32_fp8_e32 v[24:25], v16
	v_mfma_f32_16x16x16_bf16 v[6:9], v[18:19], v[2:3], v[6:9]
	v_perm_b32 v21, v15, v14, s5
	v_perm_b32 v14, v25, v24, s5
	v_perm_b32 v15, v31, v30, s5
	v_cvt_pk_f32_fp8_e32 v[18:19], v17
	v_cvt_pk_f32_fp8_sdwa v[16:17], v17 src0_sel:WORD_1
	v_mfma_f32_16x16x16_bf16 v[2:5], v[20:21], v[4:5], v[6:9]
	v_add3_u32 v32, v64, v60, s8
	v_add3_u32 v33, v65, v59, s8
	s_nop 0
	v_perm_b32 v8, v19, v18, s5
	v_perm_b32 v9, v17, v16, s5
	v_mfma_f32_16x16x16_bf16 v[2:5], v[14:15], v[46:47], v[2:5]
	s_waitcnt vmcnt(0)
	v_cvt_pk_f32_fp8_e32 v[14:15], v10
	v_cvt_pk_f32_fp8_sdwa v[16:17], v10 src0_sel:WORD_1
	v_cvt_pk_f32_fp8_sdwa v[18:19], v12 src0_sel:WORD_1
	v_mfma_f32_16x16x16_bf16 v[2:5], v[8:9], v[48:49], v[2:5]
	v_cvt_pk_f32_fp8_e32 v[8:9], v11
	v_perm_b32 v14, v15, v14, s5
	v_perm_b32 v15, v17, v16, s5
	v_cvt_pk_f32_fp8_sdwa v[10:11], v11 src0_sel:WORD_1
	v_perm_b32 v8, v9, v8, s5
	v_cvt_pk_f32_fp8_e32 v[16:17], v12
	v_mfma_f32_16x16x16_bf16 v[2:5], v[14:15], v[26:27], v[2:5]
	v_perm_b32 v9, v11, v10, s5
	v_perm_b32 v10, v17, v16, s5
	;; [unrolled: 1-line block ×3, first 2 shown]
	v_cvt_pk_f32_fp8_e32 v[14:15], v13
	v_cvt_pk_f32_fp8_sdwa v[12:13], v13 src0_sel:WORD_1
	v_mfma_f32_16x16x16_bf16 v[2:5], v[8:9], v[28:29], v[2:5]
	v_bfe_u32 v7, v23, 16, 1
	v_perm_b32 v8, v15, v14, s5
	v_perm_b32 v9, v13, v12, s5
	v_mfma_f32_16x16x16_bf16 v[2:5], v[10:11], v[50:51], v[2:5]
	v_bfe_u32 v16, v22, 16, 1
	v_add3_u32 v10, v22, v16, s8
	v_add3_u32 v7, v23, v7, s8
	v_mfma_f32_16x16x16_bf16 v[2:5], v[8:9], v[52:53], v[2:5]
	v_perm_b32 v6, v33, v32, s5
	v_perm_b32 v7, v7, v10, s5
	s_nop 4
	v_pk_mul_f32 v[2:3], v[2:3], s[4:5] op_sel_hi:[1,0]
	v_pk_mul_f32 v[4:5], v[4:5], s[4:5] op_sel_hi:[1,0]
	v_bfe_u32 v8, v3, 16, 1
	v_bfe_u32 v9, v2, 16, 1
	v_add3_u32 v2, v2, v9, s8
	v_add3_u32 v3, v3, v8, s8
	v_perm_b32 v2, v3, v2, s5
	v_bfe_u32 v3, v5, 16, 1
	v_bfe_u32 v8, v4, 16, 1
	v_add3_u32 v4, v4, v8, s8
	v_add3_u32 v3, v5, v3, s8
	v_perm_b32 v3, v3, v4, s5
	v_cmp_gt_u32_e64 s[4:5], 32, v55
	s_and_b64 s[4:5], vcc, s[4:5]
	ds_write2st64_b64 v58, v[6:7], v[2:3] offset1:1
	s_waitcnt lgkmcnt(0)
	s_barrier
	s_and_saveexec_b64 s[8:9], s[4:5]
	s_cbranch_execz .LBB1345_19
; %bb.18:
	s_load_dwordx2 s[0:1], s[0:1], 0x68
	s_mul_i32 s2, s7, s2
	s_lshl_b32 s6, s6, 7
	v_lshlrev_b32_e32 v4, 6, v56
	s_mul_hi_u32 s5, s2, s6
	s_mul_i32 s4, s2, s6
	v_lshl_or_b32 v0, v0, 10, v4
	s_lshl_b64 s[4:5], s[4:5], 1
	v_lshlrev_b32_e32 v2, 5, v1
	v_and_b32_e32 v3, 16, v57
	v_and_b32_e32 v0, 0x1a00, v0
	s_waitcnt lgkmcnt(0)
	s_add_u32 s4, s0, s4
	v_or3_b32 v0, v0, v2, v3
	s_addc_u32 s5, s1, s5
	s_lshl_b32 s2, s10, 7
	ds_read_b128 v[2:5], v0
	s_lshl_b64 s[0:1], s[2:3], 1
	s_add_u32 s0, s4, s0
	v_or_b32_e32 v0, s11, v1
	s_addc_u32 s1, s5, s1
	v_mad_u64_u32 v[0:1], s[2:3], s6, v0, 0
	v_lshl_add_u64 v[0:1], v[0:1], 1, s[0:1]
	v_mov_b32_e32 v55, 0
	v_lshl_add_u64 v[0:1], v[0:1], 0, v[54:55]
	s_waitcnt lgkmcnt(0)
	global_store_dwordx4 v[0:1], v[2:5], off
.LBB1345_19:
	s_endpgm
	.section	.rodata,"a",@progbits
	.p2align	6, 0x0
	.amdhsa_kernel _Z39paged_attention_ll4mi_QKV_mfma16_kernelI14__hip_bfloat16hLN4vllm18Fp8KVCacheDataTypeE1EhLi32ELi128ELi256ELb1ELi2EEvPKT_PKT0_S8_ifPKiSA_SA_iPKfiiiPfSD_PS3_PT2_iSC_SC_
		.amdhsa_group_segment_fixed_size 8192
		.amdhsa_private_segment_fixed_size 0
		.amdhsa_kernarg_size 400
		.amdhsa_user_sgpr_count 2
		.amdhsa_user_sgpr_dispatch_ptr 0
		.amdhsa_user_sgpr_queue_ptr 0
		.amdhsa_user_sgpr_kernarg_segment_ptr 1
		.amdhsa_user_sgpr_dispatch_id 0
		.amdhsa_user_sgpr_kernarg_preload_length 0
		.amdhsa_user_sgpr_kernarg_preload_offset 0
		.amdhsa_user_sgpr_private_segment_size 0
		.amdhsa_uses_dynamic_stack 0
		.amdhsa_enable_private_segment 0
		.amdhsa_system_sgpr_workgroup_id_x 1
		.amdhsa_system_sgpr_workgroup_id_y 1
		.amdhsa_system_sgpr_workgroup_id_z 1
		.amdhsa_system_sgpr_workgroup_info 0
		.amdhsa_system_vgpr_workitem_id 0
		.amdhsa_next_free_vgpr 78
		.amdhsa_next_free_sgpr 48
		.amdhsa_accum_offset 80
		.amdhsa_reserve_vcc 1
		.amdhsa_float_round_mode_32 0
		.amdhsa_float_round_mode_16_64 0
		.amdhsa_float_denorm_mode_32 3
		.amdhsa_float_denorm_mode_16_64 3
		.amdhsa_dx10_clamp 1
		.amdhsa_ieee_mode 1
		.amdhsa_fp16_overflow 0
		.amdhsa_tg_split 0
		.amdhsa_exception_fp_ieee_invalid_op 0
		.amdhsa_exception_fp_denorm_src 0
		.amdhsa_exception_fp_ieee_div_zero 0
		.amdhsa_exception_fp_ieee_overflow 0
		.amdhsa_exception_fp_ieee_underflow 0
		.amdhsa_exception_fp_ieee_inexact 0
		.amdhsa_exception_int_div_zero 0
	.end_amdhsa_kernel
	.section	.text._Z39paged_attention_ll4mi_QKV_mfma16_kernelI14__hip_bfloat16hLN4vllm18Fp8KVCacheDataTypeE1EhLi32ELi128ELi256ELb1ELi2EEvPKT_PKT0_S8_ifPKiSA_SA_iPKfiiiPfSD_PS3_PT2_iSC_SC_,"axG",@progbits,_Z39paged_attention_ll4mi_QKV_mfma16_kernelI14__hip_bfloat16hLN4vllm18Fp8KVCacheDataTypeE1EhLi32ELi128ELi256ELb1ELi2EEvPKT_PKT0_S8_ifPKiSA_SA_iPKfiiiPfSD_PS3_PT2_iSC_SC_,comdat
.Lfunc_end1345:
	.size	_Z39paged_attention_ll4mi_QKV_mfma16_kernelI14__hip_bfloat16hLN4vllm18Fp8KVCacheDataTypeE1EhLi32ELi128ELi256ELb1ELi2EEvPKT_PKT0_S8_ifPKiSA_SA_iPKfiiiPfSD_PS3_PT2_iSC_SC_, .Lfunc_end1345-_Z39paged_attention_ll4mi_QKV_mfma16_kernelI14__hip_bfloat16hLN4vllm18Fp8KVCacheDataTypeE1EhLi32ELi128ELi256ELb1ELi2EEvPKT_PKT0_S8_ifPKiSA_SA_iPKfiiiPfSD_PS3_PT2_iSC_SC_
                                        ; -- End function
	.section	.AMDGPU.csdata,"",@progbits
; Kernel info:
; codeLenInByte = 6596
; NumSgprs: 54
; NumVgprs: 78
; NumAgprs: 0
; TotalNumVgprs: 78
; ScratchSize: 0
; MemoryBound: 0
; FloatMode: 240
; IeeeMode: 1
; LDSByteSize: 8192 bytes/workgroup (compile time only)
; SGPRBlocks: 6
; VGPRBlocks: 9
; NumSGPRsForWavesPerEU: 54
; NumVGPRsForWavesPerEU: 78
; AccumOffset: 80
; Occupancy: 6
; WaveLimiterHint : 1
; COMPUTE_PGM_RSRC2:SCRATCH_EN: 0
; COMPUTE_PGM_RSRC2:USER_SGPR: 2
; COMPUTE_PGM_RSRC2:TRAP_HANDLER: 0
; COMPUTE_PGM_RSRC2:TGID_X_EN: 1
; COMPUTE_PGM_RSRC2:TGID_Y_EN: 1
; COMPUTE_PGM_RSRC2:TGID_Z_EN: 1
; COMPUTE_PGM_RSRC2:TIDIG_COMP_CNT: 0
; COMPUTE_PGM_RSRC3_GFX90A:ACCUM_OFFSET: 19
; COMPUTE_PGM_RSRC3_GFX90A:TG_SPLIT: 0
	.section	.text._Z39paged_attention_ll4mi_QKV_mfma16_kernelI14__hip_bfloat16hLN4vllm18Fp8KVCacheDataTypeE1EhLi32ELi128ELi256ELb1ELi3EEvPKT_PKT0_S8_ifPKiSA_SA_iPKfiiiPfSD_PS3_PT2_iSC_SC_,"axG",@progbits,_Z39paged_attention_ll4mi_QKV_mfma16_kernelI14__hip_bfloat16hLN4vllm18Fp8KVCacheDataTypeE1EhLi32ELi128ELi256ELb1ELi3EEvPKT_PKT0_S8_ifPKiSA_SA_iPKfiiiPfSD_PS3_PT2_iSC_SC_,comdat
	.protected	_Z39paged_attention_ll4mi_QKV_mfma16_kernelI14__hip_bfloat16hLN4vllm18Fp8KVCacheDataTypeE1EhLi32ELi128ELi256ELb1ELi3EEvPKT_PKT0_S8_ifPKiSA_SA_iPKfiiiPfSD_PS3_PT2_iSC_SC_ ; -- Begin function _Z39paged_attention_ll4mi_QKV_mfma16_kernelI14__hip_bfloat16hLN4vllm18Fp8KVCacheDataTypeE1EhLi32ELi128ELi256ELb1ELi3EEvPKT_PKT0_S8_ifPKiSA_SA_iPKfiiiPfSD_PS3_PT2_iSC_SC_
	.globl	_Z39paged_attention_ll4mi_QKV_mfma16_kernelI14__hip_bfloat16hLN4vllm18Fp8KVCacheDataTypeE1EhLi32ELi128ELi256ELb1ELi3EEvPKT_PKT0_S8_ifPKiSA_SA_iPKfiiiPfSD_PS3_PT2_iSC_SC_
	.p2align	8
	.type	_Z39paged_attention_ll4mi_QKV_mfma16_kernelI14__hip_bfloat16hLN4vllm18Fp8KVCacheDataTypeE1EhLi32ELi128ELi256ELb1ELi3EEvPKT_PKT0_S8_ifPKiSA_SA_iPKfiiiPfSD_PS3_PT2_iSC_SC_,@function
_Z39paged_attention_ll4mi_QKV_mfma16_kernelI14__hip_bfloat16hLN4vllm18Fp8KVCacheDataTypeE1EhLi32ELi128ELi256ELb1ELi3EEvPKT_PKT0_S8_ifPKiSA_SA_iPKfiiiPfSD_PS3_PT2_iSC_SC_: ; @_Z39paged_attention_ll4mi_QKV_mfma16_kernelI14__hip_bfloat16hLN4vllm18Fp8KVCacheDataTypeE1EhLi32ELi128ELi256ELb1ELi3EEvPKT_PKT0_S8_ifPKiSA_SA_iPKfiiiPfSD_PS3_PT2_iSC_SC_
; %bb.0:
	s_load_dwordx2 s[10:11], s[0:1], 0x30
	s_mov_b32 s6, s3
	s_mov_b64 s[8:9], 0
	s_waitcnt lgkmcnt(0)
	s_cmp_lg_u64 s[10:11], 0
	s_cselect_b64 s[12:13], -1, 0
	s_and_b64 vcc, exec, s[12:13]
	s_cbranch_vccz .LBB1346_7
; %bb.1:
	s_add_i32 s14, s2, 1
	s_mov_b32 s15, 0
	s_lshl_b64 s[16:17], s[14:15], 2
	s_add_u32 s16, s10, s16
	s_mov_b32 s3, s15
	s_addc_u32 s17, s11, s17
	s_lshl_b64 s[14:15], s[2:3], 2
	s_add_u32 s14, s10, s14
	s_addc_u32 s15, s11, s15
	s_load_dword s5, s[16:17], 0x0
	s_load_dword s7, s[14:15], 0x0
	s_waitcnt lgkmcnt(0)
	s_sub_i32 s5, s5, s7
	s_cmp_eq_u32 s5, 1
	s_cselect_b64 s[14:15], -1, 0
	s_andn2_b64 vcc, exec, s[8:9]
	s_cbranch_vccnz .LBB1346_3
.LBB1346_2:
	s_mov_b32 s3, 0
	s_mov_b64 s[14:15], -1
.LBB1346_3:
	s_andn2_b64 vcc, exec, s[14:15]
	s_cbranch_vccnz .LBB1346_19
; %bb.4:
	s_load_dwordx2 s[8:9], s[0:1], 0x28
	s_lshl_b64 s[16:17], s[2:3], 2
	s_waitcnt lgkmcnt(0)
	s_add_u32 s8, s8, s16
	s_addc_u32 s9, s9, s17
	s_load_dword s7, s[8:9], 0x0
	s_lshl_b32 s18, s6, 8
	s_waitcnt lgkmcnt(0)
	s_cmp_ge_i32 s18, s7
	s_cbranch_scc1 .LBB1346_19
; %bb.5:
	s_load_dwordx2 s[8:9], s[0:1], 0x20
	s_load_dword s5, s[0:1], 0x38
	s_add_i32 s14, s7, 31
	s_ashr_i32 s15, s14, 31
	v_and_b32_e32 v1, 0xcf, v0
	s_lshr_b32 s15, s15, 27
	v_add_u32_e32 v1, s18, v1
	s_add_i32 s14, s14, s15
	v_ashrrev_i32_e32 v2, 31, v1
	s_ashr_i32 s19, s14, 5
	v_lshrrev_b32_e32 v4, 27, v2
	s_add_i32 s19, s19, -1
	s_waitcnt lgkmcnt(0)
	s_mul_i32 s14, s2, s5
	s_mov_b32 s15, 0
	v_add_u32_e32 v2, v1, v4
	s_lshl_b64 s[14:15], s[14:15], 2
	v_ashrrev_i32_e32 v2, 5, v2
	v_mov_b32_e32 v5, s19
	v_cmp_gt_i32_e32 vcc, s7, v1
	s_add_u32 s8, s8, s14
	s_addc_u32 s9, s9, s15
	v_cndmask_b32_e32 v2, v5, v2, vcc
	v_ashrrev_i32_e32 v3, 31, v2
	v_lshl_add_u64 v[6:7], v[2:3], 2, s[8:9]
	v_or_b32_e32 v2, 16, v1
	v_add_u32_e32 v3, v2, v4
	v_ashrrev_i32_e32 v3, 5, v3
	v_cmp_gt_i32_e32 vcc, s7, v2
	s_load_dwordx2 s[14:15], s[0:1], 0x8
	s_nop 0
	v_cndmask_b32_e32 v2, v5, v3, vcc
	v_ashrrev_i32_e32 v3, 31, v2
	v_lshl_add_u64 v[8:9], v[2:3], 2, s[8:9]
	v_or_b32_e32 v2, 32, v1
	v_add_u32_e32 v3, v2, v4
	v_ashrrev_i32_e32 v3, 5, v3
	v_cmp_gt_i32_e32 vcc, s7, v2
	v_or_b32_e32 v1, 48, v1
	s_nop 0
	v_cndmask_b32_e32 v2, v5, v3, vcc
	v_ashrrev_i32_e32 v3, 31, v2
	v_lshl_add_u64 v[12:13], v[2:3], 2, s[8:9]
	v_add_u32_e32 v2, v1, v4
	v_ashrrev_i32_e32 v2, 5, v2
	v_cmp_gt_i32_e32 vcc, s7, v1
	s_nop 1
	v_cndmask_b32_e32 v2, v5, v2, vcc
	v_ashrrev_i32_e32 v3, 31, v2
	v_lshl_add_u64 v[14:15], v[2:3], 2, s[8:9]
	global_load_dword v4, v[6:7], off
	global_load_dword v3, v[8:9], off
	;; [unrolled: 1-line block ×4, first 2 shown]
	s_andn2_b64 vcc, exec, s[12:13]
	s_cbranch_vccnz .LBB1346_8
; %bb.6:
	s_add_u32 s10, s10, s16
	s_addc_u32 s11, s11, s17
	s_load_dword s5, s[10:11], 0x0
	s_branch .LBB1346_9
.LBB1346_7:
	s_mov_b64 s[14:15], 0
	s_branch .LBB1346_2
.LBB1346_8:
	s_mov_b32 s5, s2
.LBB1346_9:
	s_load_dwordx2 s[10:11], s[0:1], 0x10
	s_load_dwordx4 s[44:47], s[0:1], 0x48
	v_lshrrev_b32_e32 v57, 6, v0
	v_bfe_u32 v62, v0, 4, 2
	v_and_b32_e32 v56, 15, v0
	s_mul_i32 s48, s4, 3
	v_lshl_or_b32 v5, v57, 2, v62
	v_lshlrev_b32_e32 v6, 3, v56
	v_add_u32_e32 v1, s48, v62
	v_cmp_gt_u32_e32 vcc, 3, v5
	v_lshlrev_b32_e32 v54, 1, v6
	v_lshlrev_b32_e32 v63, 4, v0
	s_and_saveexec_b64 s[12:13], vcc
	s_cbranch_execz .LBB1346_11
; %bb.10:
	s_load_dwordx2 s[16:17], s[0:1], 0x0
	s_waitcnt lgkmcnt(0)
	s_ashr_i32 s20, s44, 31
	s_mul_hi_u32 s21, s5, s44
	s_mul_i32 s20, s5, s20
	s_add_i32 s21, s21, s20
	s_mul_i32 s20, s5, s44
	s_lshl_b64 s[20:21], s[20:21], 1
	s_add_u32 s16, s16, s20
	v_lshlrev_b32_e32 v6, 7, v1
	s_addc_u32 s17, s17, s21
	v_ashrrev_i32_e32 v7, 31, v6
	v_lshl_add_u64 v[6:7], v[6:7], 1, s[16:17]
	v_mov_b32_e32 v55, 0
	v_lshl_add_u64 v[6:7], v[6:7], 0, v[54:55]
	global_load_dwordx4 v[6:9], v[6:7], off
	v_lshlrev_b32_e32 v12, 8, v0
	v_lshlrev_b32_e32 v11, 8, v56
	v_and_b32_e32 v12, 0x600, v12
	s_movk_i32 s5, 0x800
	v_and_or_b32 v11, v11, s5, v12
	v_lshlrev_b32_e32 v5, 5, v5
	v_and_b32_e32 v12, 16, v63
	v_or3_b32 v5, v11, v5, v12
	s_waitcnt vmcnt(0)
	ds_write_b128 v5, v[6:9]
.LBB1346_11:
	s_or_b64 exec, exec, s[12:13]
	s_waitcnt lgkmcnt(0)
	s_mul_i32 s12, s4, s46
	s_add_u32 s4, s14, s12
	s_addc_u32 s5, s15, 0
	v_mov_b32_e32 v59, 0
	v_mov_b64_e32 v[12:13], s[4:5]
	v_and_b32_e32 v34, 48, v0
	s_waitcnt vmcnt(3)
	v_mad_i64_i32 v[4:5], s[4:5], v4, s45, v[12:13]
	v_lshlrev_b32_e32 v14, 4, v56
	v_mov_b32_e32 v15, v59
	v_lshlrev_b32_e32 v58, 5, v34
	v_lshl_add_u64 v[4:5], v[4:5], 0, v[14:15]
	v_lshl_add_u64 v[4:5], v[4:5], 0, v[58:59]
	s_barrier
	global_load_dwordx4 v[50:53], v[4:5], off
	global_load_dwordx4 v[46:49], v[4:5], off offset:2048
	s_waitcnt vmcnt(4)
	v_mad_i64_i32 v[4:5], s[4:5], v3, s45, v[12:13]
	v_or_b32_e32 v16, 0x100, v14
	v_mov_b32_e32 v17, v59
	s_waitcnt vmcnt(3)
	v_mad_i64_i32 v[2:3], s[4:5], v2, s45, v[12:13]
	v_lshl_add_u64 v[4:5], v[4:5], 0, v[16:17]
	v_lshl_add_u64 v[2:3], v[2:3], 0, v[14:15]
	s_waitcnt vmcnt(2)
	v_mad_i64_i32 v[10:11], s[4:5], v10, s45, v[12:13]
	v_lshl_add_u64 v[4:5], v[4:5], 0, v[58:59]
	v_lshl_add_u64 v[14:15], v[2:3], 0, v[58:59]
	;; [unrolled: 1-line block ×3, first 2 shown]
	global_load_dwordx4 v[36:39], v[4:5], off
	global_load_dwordx4 v[6:9], v[4:5], off offset:2048
	s_nop 0
	global_load_dwordx4 v[2:5], v[14:15], off
	global_load_dwordx4 v[42:45], v[14:15], off offset:2048
	v_lshl_add_u64 v[14:15], v[10:11], 0, v[58:59]
	global_load_dwordx4 v[26:29], v[14:15], off
	global_load_dwordx4 v[10:13], v[14:15], off offset:2048
	v_mul_lo_u16_e32 v14, 0x56, v56
	v_mov_b32_e32 v15, 3
	v_mul_lo_u16_sdwa v14, v14, v15 dst_sel:DWORD dst_unused:UNUSED_PAD src0_sel:BYTE_1 src1_sel:DWORD
	v_sub_u16_e32 v14, v56, v14
	v_mov_b32_e32 v15, 5
	v_lshlrev_b32_sdwa v14, v15, v14 dst_sel:DWORD dst_unused:UNUSED_PAD src0_sel:DWORD src1_sel:BYTE_0
	v_lshl_add_u32 v14, v62, 9, v14
	ds_read_b128 v[30:33], v14
	ds_read_b128 v[22:25], v14 offset:16
	ds_read_b128 v[18:21], v14 offset:2048
	;; [unrolled: 1-line block ×3, first 2 shown]
	v_and_b32_e32 v55, 63, v0
	v_cmp_gt_u32_e32 vcc, 3, v56
	v_mov_b32_e32 v64, 0
	s_and_saveexec_b64 s[4:5], vcc
	s_cbranch_execz .LBB1346_13
; %bb.12:
	s_load_dwordx2 s[14:15], s[0:1], 0x40
	v_add_u32_e32 v40, s48, v56
	v_ashrrev_i32_e32 v41, 31, v40
	s_waitcnt lgkmcnt(0)
	v_lshl_add_u64 v[40:41], v[40:41], 2, s[14:15]
	global_load_dword v64, v[40:41], off
.LBB1346_13:
	s_or_b64 exec, exec, s[4:5]
	s_ashr_i32 s4, s18, 31
	v_or_b32_e32 v58, s18, v34
	s_lshr_b32 s4, s4, 27
	v_add_u32_e32 v34, s4, v58
	v_or_b32_e32 v40, 64, v58
	v_ashrrev_i32_e32 v34, 5, v34
	v_mov_b32_e32 v65, s19
	v_cmp_gt_i32_e32 vcc, s7, v58
	v_add_u32_e32 v41, s4, v40
	v_or_b32_e32 v60, 0x80, v58
	v_cndmask_b32_e32 v34, v65, v34, vcc
	v_ashrrev_i32_e32 v41, 5, v41
	v_cmp_gt_i32_e32 vcc, s7, v40
	v_add_u32_e32 v61, s4, v60
	v_or_b32_e32 v58, 0xc0, v58
	v_cndmask_b32_e32 v40, v65, v41, vcc
	v_ashrrev_i32_e32 v61, 5, v61
	v_cmp_gt_i32_e32 vcc, s7, v60
	v_add_u32_e32 v66, s4, v58
	v_ashrrev_i32_e32 v66, 5, v66
	v_cndmask_b32_e32 v60, v65, v61, vcc
	v_cmp_gt_i32_e32 vcc, s7, v58
	s_waitcnt vmcnt(7)
	v_cvt_pk_f32_fp8_sdwa v[68:69], v50 src0_sel:WORD_1
	s_mov_b32 s33, 0x7060302
	v_cndmask_b32_e32 v70, v65, v66, vcc
	v_cvt_pk_f32_fp8_e32 v[66:67], v50
	v_cvt_pk_f32_fp8_e32 v[72:73], v51
	v_cvt_pk_f32_fp8_sdwa v[50:51], v51 src0_sel:WORD_1
	v_cvt_pk_f32_fp8_e32 v[74:75], v52
	v_perm_b32 v66, v67, v66, s33
	v_perm_b32 v67, v69, v68, s33
	;; [unrolled: 1-line block ×3, first 2 shown]
	v_cvt_pk_f32_fp8_sdwa v[76:77], v52 src0_sel:WORD_1
	v_perm_b32 v73, v51, v50, s33
	s_waitcnt lgkmcnt(3)
	v_mfma_f32_16x16x16_bf16 v[66:69], v[66:67], v[30:31], 0
	v_perm_b32 v74, v75, v74, s33
	v_perm_b32 v75, v77, v76, s33
	v_cvt_pk_f32_fp8_e32 v[76:77], v53
	v_cvt_pk_f32_fp8_sdwa v[78:79], v53 src0_sel:WORD_1
	v_mfma_f32_16x16x16_bf16 v[50:53], v[72:73], v[32:33], v[66:69]
	v_ashrrev_i32_e32 v35, 31, v34
	v_lshl_add_u64 v[34:35], v[34:35], 2, s[8:9]
	v_ashrrev_i32_e32 v41, 31, v40
	v_perm_b32 v66, v77, v76, s33
	v_perm_b32 v67, v79, v78, s33
	s_waitcnt lgkmcnt(2)
	v_mfma_f32_16x16x16_bf16 v[50:53], v[74:75], v[22:23], v[50:53]
	s_waitcnt vmcnt(6)
	v_cvt_pk_f32_fp8_e32 v[68:69], v46
	v_ashrrev_i32_e32 v61, 31, v60
	v_ashrrev_i32_e32 v71, 31, v70
	v_lshl_add_u64 v[40:41], v[40:41], 2, s[8:9]
	v_lshl_add_u64 v[60:61], v[60:61], 2, s[8:9]
	;; [unrolled: 1-line block ×3, first 2 shown]
	v_mfma_f32_16x16x16_bf16 v[50:53], v[66:67], v[24:25], v[50:53]
	v_perm_b32 v74, v69, v68, s33
	global_load_dword v69, v[34:35], off
	global_load_dword v67, v[40:41], off
	;; [unrolled: 1-line block ×4, first 2 shown]
	v_cvt_pk_f32_fp8_sdwa v[72:73], v46 src0_sel:WORD_1
	v_cvt_pk_f32_fp8_e32 v[40:41], v48
	s_waitcnt vmcnt(9)
	v_cvt_pk_f32_fp8_e32 v[60:61], v36
	v_cvt_pk_f32_fp8_sdwa v[70:71], v36 src0_sel:WORD_1
	v_perm_b32 v75, v73, v72, s33
	v_cvt_pk_f32_fp8_e32 v[72:73], v47
	v_cvt_pk_f32_fp8_sdwa v[46:47], v47 src0_sel:WORD_1
	s_waitcnt lgkmcnt(1)
	v_mfma_f32_16x16x16_bf16 v[50:53], v[74:75], v[18:19], v[50:53]
	v_perm_b32 v34, v73, v72, s33
	v_perm_b32 v35, v47, v46, s33
	v_cvt_pk_f32_fp8_sdwa v[46:47], v48 src0_sel:WORD_1
	v_perm_b32 v40, v41, v40, s33
	v_mfma_f32_16x16x16_bf16 v[50:53], v[34:35], v[20:21], v[50:53]
	v_perm_b32 v41, v47, v46, s33
	v_cvt_pk_f32_fp8_e32 v[34:35], v49
	v_cvt_pk_f32_fp8_sdwa v[46:47], v49 src0_sel:WORD_1
	s_add_u32 s4, s10, s12
	s_addc_u32 s5, s11, 0
	v_perm_b32 v34, v35, v34, s33
	v_perm_b32 v35, v47, v46, s33
	s_waitcnt lgkmcnt(0)
	v_mfma_f32_16x16x16_bf16 v[46:49], v[40:41], v[14:15], v[50:53]
	v_perm_b32 v40, v61, v60, s33
	v_perm_b32 v41, v71, v70, s33
	s_waitcnt vmcnt(8)
	v_cvt_pk_f32_fp8_sdwa v[60:61], v6 src0_sel:WORD_1
	v_cvt_pk_f32_fp8_e32 v[50:51], v37
	v_cvt_pk_f32_fp8_sdwa v[52:53], v37 src0_sel:WORD_1
	v_mfma_f32_16x16x16_bf16 v[34:37], v[34:35], v[16:17], v[46:49]
	v_and_b32_e32 v58, 16, v0
	v_perm_b32 v50, v51, v50, s33
	v_perm_b32 v51, v53, v52, s33
	v_mfma_f32_16x16x16_bf16 v[46:49], v[40:41], v[30:31], 0
	v_cvt_pk_f32_fp8_e32 v[40:41], v38
	v_cvt_pk_f32_fp8_sdwa v[52:53], v38 src0_sel:WORD_1
	v_lshl_or_b32 v65, v57, 4, v56
	v_mfma_f32_16x16x16_bf16 v[46:49], v[50:51], v[32:33], v[46:49]
	v_cvt_pk_f32_fp8_e32 v[50:51], v39
	v_perm_b32 v40, v41, v40, s33
	v_perm_b32 v41, v53, v52, s33
	v_cvt_pk_f32_fp8_sdwa v[38:39], v39 src0_sel:WORD_1
	v_perm_b32 v50, v51, v50, s33
	v_cvt_pk_f32_fp8_e32 v[52:53], v6
	s_waitcnt vmcnt(6)
	v_cvt_pk_f32_fp8_e32 v[74:75], v43
	v_perm_b32 v51, v39, v38, s33
	v_mfma_f32_16x16x16_bf16 v[38:41], v[40:41], v[22:23], v[46:49]
	s_nop 2
	v_perm_b32 v48, v53, v52, s33
	v_perm_b32 v49, v61, v60, s33
	v_cvt_pk_f32_fp8_e32 v[52:53], v7
	v_cvt_pk_f32_fp8_sdwa v[6:7], v7 src0_sel:WORD_1
	v_mfma_f32_16x16x16_bf16 v[38:41], v[50:51], v[24:25], v[38:41]
	v_lshl_add_u64 v[46:47], s[4:5], 0, v[58:59]
	v_perm_b32 v50, v53, v52, s33
	v_perm_b32 v51, v7, v6, s33
	v_mfma_f32_16x16x16_bf16 v[38:41], v[48:49], v[18:19], v[38:41]
	v_cvt_pk_f32_fp8_e32 v[6:7], v8
	v_cvt_pk_f32_fp8_sdwa v[48:49], v8 src0_sel:WORD_1
	v_cvt_pk_f32_fp8_sdwa v[52:53], v2 src0_sel:WORD_1
	v_mfma_f32_16x16x16_bf16 v[38:41], v[50:51], v[20:21], v[38:41]
	v_cvt_pk_f32_fp8_e32 v[50:51], v9
	v_perm_b32 v6, v7, v6, s33
	v_perm_b32 v7, v49, v48, s33
	v_cvt_pk_f32_fp8_sdwa v[8:9], v9 src0_sel:WORD_1
	v_perm_b32 v48, v51, v50, s33
	v_cvt_pk_f32_fp8_e32 v[50:51], v2
	v_lshlrev_b32_e32 v58, 5, v65
	v_perm_b32 v49, v9, v8, s33
	v_mfma_f32_16x16x16_bf16 v[6:9], v[6:7], v[14:15], v[38:41]
	v_perm_b32 v50, v51, v50, s33
	v_perm_b32 v51, v53, v52, s33
	v_cvt_pk_f32_fp8_e32 v[52:53], v3
	v_cvt_pk_f32_fp8_sdwa v[2:3], v3 src0_sel:WORD_1
	v_mfma_f32_16x16x16_bf16 v[38:41], v[48:49], v[16:17], v[6:9]
	v_lshl_add_u64 v[48:49], v[46:47], 0, v[58:59]
	v_perm_b32 v52, v53, v52, s33
	v_perm_b32 v53, v3, v2, s33
	v_mfma_f32_16x16x16_bf16 v[6:9], v[50:51], v[30:31], 0
	v_cvt_pk_f32_fp8_e32 v[2:3], v4
	v_cvt_pk_f32_fp8_sdwa v[50:51], v4 src0_sel:WORD_1
	s_waitcnt vmcnt(3)
	v_mad_i64_i32 v[60:61], s[4:5], v69, s45, v[48:49]
	v_perm_b32 v2, v3, v2, s33
	v_perm_b32 v3, v51, v50, s33
	v_mfma_f32_16x16x16_bf16 v[6:9], v[52:53], v[32:33], v[6:9]
	v_cvt_pk_f32_fp8_e32 v[50:51], v5
	v_cvt_pk_f32_fp8_sdwa v[4:5], v5 src0_sel:WORD_1
	s_waitcnt vmcnt(2)
	v_mad_i64_i32 v[70:71], s[4:5], v67, s45, v[48:49]
	v_perm_b32 v50, v51, v50, s33
	v_perm_b32 v51, v5, v4, s33
	v_mfma_f32_16x16x16_bf16 v[2:5], v[2:3], v[22:23], v[6:9]
	v_or_b32_e32 v58, 0x800, v58
	s_nop 1
	v_cvt_pk_f32_fp8_e32 v[6:7], v42
	v_cvt_pk_f32_fp8_sdwa v[8:9], v42 src0_sel:WORD_1
	v_cvt_pk_f32_fp8_sdwa v[42:43], v43 src0_sel:WORD_1
	v_mfma_f32_16x16x16_bf16 v[50:53], v[50:51], v[24:25], v[2:5]
	v_perm_b32 v72, v7, v6, s33
	v_perm_b32 v73, v9, v8, s33
	global_load_dwordx4 v[6:9], v[60:61], off
	global_load_dwordx4 v[2:5], v[70:71], off
	v_perm_b32 v60, v75, v74, s33
	v_perm_b32 v61, v43, v42, s33
	v_mfma_f32_16x16x16_bf16 v[70:73], v[72:73], v[18:19], v[50:53]
	v_cvt_pk_f32_fp8_e32 v[42:43], v44
	v_perm_b32 v42, v43, v42, s33
	s_nop 0
	v_cvt_pk_f32_fp8_sdwa v[52:53], v44 src0_sel:WORD_1
	v_mfma_f32_16x16x16_bf16 v[70:73], v[60:61], v[20:21], v[70:73]
	v_cvt_pk_f32_fp8_e32 v[60:61], v45
	s_waitcnt vmcnt(3)
	v_mad_i64_i32 v[50:51], s[4:5], v68, s45, v[48:49]
	s_load_dword s4, s[0:1], 0x1c
	s_load_dwordx4 s[40:43], s[0:1], 0x80
	v_perm_b32 v43, v53, v52, s33
	v_perm_b32 v74, v61, v60, s33
	v_cvt_pk_f32_fp8_e32 v[52:53], v26
	v_cvt_pk_f32_fp8_sdwa v[60:61], v26 src0_sel:WORD_1
	s_load_dword s44, s[0:1], 0x98
	s_waitcnt lgkmcnt(0)
	s_load_dword s5, s[40:41], 0x0
	v_cvt_pk_f32_fp8_sdwa v[44:45], v45 src0_sel:WORD_1
	v_perm_b32 v52, v53, v52, s33
	v_perm_b32 v53, v61, v60, s33
	v_cvt_pk_f32_fp8_e32 v[60:61], v27
	v_cvt_pk_f32_fp8_sdwa v[26:27], v27 src0_sel:WORD_1
	v_perm_b32 v75, v45, v44, s33
	v_mfma_f32_16x16x16_bf16 v[42:45], v[42:43], v[14:15], v[70:73]
	v_perm_b32 v60, v61, v60, s33
	v_perm_b32 v61, v27, v26, s33
	v_mov_b32_e32 v26, s4
	v_mfma_f32_16x16x16_bf16 v[70:73], v[52:53], v[30:31], 0
	s_waitcnt lgkmcnt(0)
	v_mul_f32_e32 v52, s5, v26
	v_cvt_pk_f32_fp8_e32 v[26:27], v28
	v_cvt_pk_f32_fp8_sdwa v[30:31], v28 src0_sel:WORD_1
	v_mfma_f32_16x16x16_bf16 v[70:73], v[60:61], v[32:33], v[70:73]
	v_cvt_pk_f32_fp8_e32 v[32:33], v29
	v_cvt_pk_f32_fp8_sdwa v[28:29], v29 src0_sel:WORD_1
	v_perm_b32 v26, v27, v26, s33
	v_perm_b32 v27, v31, v30, s33
	v_mfma_f32_16x16x16_bf16 v[42:45], v[74:75], v[16:17], v[42:45]
	v_perm_b32 v32, v33, v32, s33
	v_perm_b32 v33, v29, v28, s33
	v_cvt_pk_f32_fp8_e32 v[60:61], v10
	v_cvt_pk_f32_fp8_sdwa v[74:75], v10 src0_sel:WORD_1
	v_mfma_f32_16x16x16_bf16 v[26:29], v[26:27], v[22:23], v[70:73]
	v_pk_mul_f32 v[30:31], v[52:53], v[36:37] op_sel_hi:[0,1]
	v_perm_b32 v36, v61, v60, s33
	v_perm_b32 v37, v75, v74, s33
	v_cvt_pk_f32_fp8_e32 v[60:61], v11
	v_cvt_pk_f32_fp8_sdwa v[70:71], v11 src0_sel:WORD_1
	v_mfma_f32_16x16x16_bf16 v[22:25], v[32:33], v[24:25], v[26:29]
	v_pk_mul_f32 v[10:11], v[52:53], v[34:35] op_sel_hi:[0,1]
	v_perm_b32 v60, v61, v60, s33
	v_perm_b32 v61, v71, v70, s33
	v_mfma_f32_16x16x16_bf16 v[32:35], v[36:37], v[18:19], v[22:25]
	v_cvt_pk_f32_fp8_e32 v[18:19], v12
	v_cvt_pk_f32_fp8_sdwa v[36:37], v12 src0_sel:WORD_1
	s_waitcnt vmcnt(2)
	v_mad_i64_i32 v[48:49], s[8:9], v66, s45, v[48:49]
	global_load_dwordx4 v[26:29], v[50:51], off
	global_load_dwordx4 v[22:25], v[48:49], off
	v_perm_b32 v48, v19, v18, s33
	v_perm_b32 v49, v37, v36, s33
	v_cvt_pk_f32_fp8_e32 v[36:37], v13
	v_cvt_pk_f32_fp8_sdwa v[12:13], v13 src0_sel:WORD_1
	v_mfma_f32_16x16x16_bf16 v[18:21], v[60:61], v[20:21], v[32:35]
	v_pk_mul_f32 v[40:41], v[52:53], v[40:41] op_sel_hi:[0,1]
	v_pk_mul_f32 v[42:43], v[52:53], v[42:43] op_sel_hi:[0,1]
	s_mov_b32 s40, 0xff7fffff
	v_perm_b32 v32, v37, v36, s33
	v_perm_b32 v33, v13, v12, s33
	v_mfma_f32_16x16x16_bf16 v[12:15], v[48:49], v[14:15], v[18:21]
	v_pk_mul_f32 v[48:49], v[52:53], v[38:39] op_sel_hi:[0,1]
	v_pk_mul_f32 v[38:39], v[52:53], v[44:45] op_sel_hi:[0,1]
	v_mfma_f32_16x16x16_bf16 v[12:15], v[32:33], v[16:17], v[12:15]
	s_nop 6
	v_pk_mul_f32 v[36:37], v[52:53], v[12:13] op_sel_hi:[0,1]
	v_and_b32_e32 v12, 0xc0, v0
	v_add_u32_e32 v12, s18, v12
	v_lshl_or_b32 v12, v62, 2, v12
	v_or_b32_e32 v13, 1, v12
	v_pk_mul_f32 v[34:35], v[52:53], v[14:15] op_sel_hi:[0,1]
	v_subrev_u32_e32 v14, s7, v13
	v_add_u32_e32 v16, 1, v14
	v_add_u32_e32 v17, 2, v14
	v_cvt_f32_i32_e32 v15, v14
	v_cvt_f32_i32_e32 v16, v16
	;; [unrolled: 1-line block ×3, first 2 shown]
	v_add_u32_e32 v18, 3, v14
	v_fma_f32 v10, v64, v15, v10
	v_fmac_f32_e32 v11, v64, v16
	v_fma_f32 v51, v64, v17, v30
	v_add_u32_e32 v15, 16, v14
	v_add_u32_e32 v16, 17, v14
	;; [unrolled: 1-line block ×3, first 2 shown]
	v_cvt_f32_i32_e32 v18, v18
	v_cvt_f32_i32_e32 v15, v15
	;; [unrolled: 1-line block ×4, first 2 shown]
	v_fmac_f32_e32 v31, v64, v18
	v_add_u32_e32 v18, 19, v14
	v_fma_f32 v48, v64, v15, v48
	v_fmac_f32_e32 v49, v64, v16
	v_fma_f32 v40, v64, v17, v40
	v_add_u32_e32 v15, 32, v14
	v_add_u32_e32 v16, 33, v14
	;; [unrolled: 1-line block ×3, first 2 shown]
	v_cvt_f32_i32_e32 v18, v18
	v_cvt_f32_i32_e32 v15, v15
	;; [unrolled: 1-line block ×4, first 2 shown]
	v_fmac_f32_e32 v41, v64, v18
	v_add_u32_e32 v18, 35, v14
	v_fma_f32 v42, v64, v15, v42
	v_fmac_f32_e32 v43, v64, v16
	v_fma_f32 v38, v64, v17, v38
	v_add_u32_e32 v15, 48, v14
	v_add_u32_e32 v16, 49, v14
	;; [unrolled: 1-line block ×4, first 2 shown]
	v_cvt_f32_i32_e32 v14, v14
	v_cvt_f32_i32_e32 v15, v15
	;; [unrolled: 1-line block ×3, first 2 shown]
	v_cmp_gt_i32_e64 s[8:9], s7, v12
	v_fmac_f32_e32 v35, v64, v14
	v_mov_b32_e32 v14, 0xff7fffff
	v_cmp_gt_i32_e64 s[10:11], s7, v13
	v_fma_f32 v36, v64, v15, v36
	v_cndmask_b32_e64 v15, v14, v10, s[8:9]
	v_cndmask_b32_e64 v13, v14, v11, s[10:11]
	v_fmac_f32_e32 v37, v64, v16
	v_max3_f32 v13, v15, s40, v13
	v_or_b32_e32 v15, 2, v12
	v_or_b32_e32 v16, 3, v12
	v_cmp_gt_i32_e64 s[12:13], s7, v15
	v_cmp_gt_i32_e64 s[14:15], s7, v16
	v_cvt_f32_i32_e32 v18, v18
	v_cndmask_b32_e64 v15, v14, v51, s[12:13]
	v_cndmask_b32_e64 v16, v14, v31, s[14:15]
	v_max3_f32 v13, v13, v15, v16
	v_or_b32_e32 v15, 16, v12
	v_or_b32_e32 v16, 17, v12
	v_cmp_gt_i32_e64 s[16:17], s7, v15
	v_cmp_gt_i32_e64 s[18:19], s7, v16
	v_fmac_f32_e32 v39, v64, v18
	v_cndmask_b32_e64 v15, v14, v48, s[16:17]
	v_cndmask_b32_e64 v16, v14, v49, s[18:19]
	v_max3_f32 v13, v13, v15, v16
	v_or_b32_e32 v15, 18, v12
	v_or_b32_e32 v16, 19, v12
	v_cmp_gt_i32_e64 s[20:21], s7, v15
	v_cmp_gt_i32_e64 s[22:23], s7, v16
	v_cvt_f32_i32_e32 v17, v17
	v_cndmask_b32_e64 v15, v14, v40, s[20:21]
	v_cndmask_b32_e64 v16, v14, v41, s[22:23]
	v_max3_f32 v13, v13, v15, v16
	v_or_b32_e32 v15, 32, v12
	v_or_b32_e32 v16, 33, v12
	v_cmp_gt_i32_e64 s[24:25], s7, v15
	v_cmp_gt_i32_e64 s[26:27], s7, v16
	v_fma_f32 v34, v64, v17, v34
	v_cndmask_b32_e64 v15, v14, v42, s[24:25]
	v_cndmask_b32_e64 v16, v14, v43, s[26:27]
	v_max3_f32 v13, v13, v15, v16
	v_or_b32_e32 v15, 34, v12
	v_or_b32_e32 v16, 35, v12
	v_cmp_gt_i32_e64 s[28:29], s7, v15
	v_cmp_gt_i32_e64 s[30:31], s7, v16
	s_nop 0
	v_cndmask_b32_e64 v15, v14, v38, s[28:29]
	v_cndmask_b32_e64 v16, v14, v39, s[30:31]
	v_max3_f32 v13, v13, v15, v16
	v_or_b32_e32 v15, 48, v12
	v_or_b32_e32 v16, 49, v12
	v_cmp_gt_i32_e64 s[34:35], s7, v15
	v_cmp_gt_i32_e64 s[36:37], s7, v16
	s_nop 0
	v_cndmask_b32_e64 v15, v14, v36, s[34:35]
	v_cndmask_b32_e64 v16, v14, v37, s[36:37]
	v_max3_f32 v13, v13, v15, v16
	v_or_b32_e32 v15, 50, v12
	v_or_b32_e32 v12, 51, v12
	v_cmp_gt_i32_e32 vcc, s7, v15
	v_cmp_gt_i32_e64 s[4:5], s7, v12
	s_nop 0
	v_cndmask_b32_e32 v15, v14, v34, vcc
	v_cndmask_b32_e64 v12, v14, v35, s[4:5]
	v_max3_f32 v16, v13, v15, v12
	v_mbcnt_lo_u32_b32 v12, -1, 0
	v_mbcnt_hi_u32_b32 v17, -1, v12
	v_and_b32_e32 v12, 64, v17
	v_add_u32_e32 v18, 64, v12
	v_xor_b32_e32 v12, 32, v17
	v_cmp_lt_i32_e64 s[38:39], v12, v18
	s_nop 1
	v_cndmask_b32_e64 v12, v17, v12, s[38:39]
	v_lshlrev_b32_e32 v52, 2, v12
	ds_bpermute_b32 v19, v52, v16
	v_lshl_add_u64 v[12:13], v[46:47], 0, v[58:59]
	v_mad_i64_i32 v[14:15], s[38:39], v69, s45, v[12:13]
	s_waitcnt lgkmcnt(0)
	v_max_f32_e32 v19, v19, v19
	v_max_f32_e32 v19, v16, v19
	v_xor_b32_e32 v16, 16, v17
	v_cmp_lt_i32_e64 s[38:39], v16, v18
	s_nop 1
	v_cndmask_b32_e64 v16, v17, v16, s[38:39]
	v_lshlrev_b32_e32 v53, 2, v16
	ds_bpermute_b32 v18, v53, v19
	v_mad_i64_i32 v[16:17], s[38:39], v67, s45, v[12:13]
	v_mad_i64_i32 v[44:45], s[38:39], v68, s45, v[12:13]
	s_waitcnt lgkmcnt(0)
	v_max_f32_e32 v18, v18, v18
	v_max_f32_e32 v50, v19, v18
	v_sub_f32_e32 v10, v10, v50
	v_mul_f32_e32 v10, 0x3fb8aa3b, v10
	v_exp_f32_e32 v18, v10
	v_sub_f32_e32 v10, v11, v50
	v_mul_f32_e32 v10, 0x3fb8aa3b, v10
	v_exp_f32_e32 v19, v10
	v_mad_i64_i32 v[10:11], s[38:39], v66, s45, v[12:13]
	v_sub_f32_e32 v12, v51, v50
	v_mul_f32_e32 v12, 0x3fb8aa3b, v12
	v_cndmask_b32_e64 v46, 0, v18, s[8:9]
	v_cndmask_b32_e64 v47, 0, v19, s[10:11]
	v_sub_f32_e32 v58, v31, v50
	global_load_dwordx4 v[30:33], v[14:15], off
	global_load_dwordx4 v[18:21], v[16:17], off
	v_exp_f32_e32 v51, v12
	global_load_dwordx4 v[14:17], v[44:45], off
	s_nop 0
	global_load_dwordx4 v[10:13], v[10:11], off
	v_sub_f32_e32 v45, v48, v50
	v_sub_f32_e32 v48, v49, v50
	;; [unrolled: 1-line block ×4, first 2 shown]
	v_mul_f32_e32 v44, 0x3fb8aa3b, v58
	v_mul_f32_e32 v45, 0x3fb8aa3b, v45
	;; [unrolled: 1-line block ×5, first 2 shown]
	v_exp_f32_e32 v44, v44
	v_exp_f32_e32 v45, v45
	;; [unrolled: 1-line block ×3, first 2 shown]
	v_cndmask_b32_e64 v48, 0, v51, s[12:13]
	v_exp_f32_e32 v40, v40
	v_exp_f32_e32 v51, v42
	v_sub_f32_e32 v42, v43, v50
	v_mul_f32_e32 v42, 0x3fb8aa3b, v42
	v_cndmask_b32_e64 v49, 0, v44, s[14:15]
	v_cndmask_b32_e64 v44, 0, v45, s[16:17]
	;; [unrolled: 1-line block ×3, first 2 shown]
	v_sub_f32_e32 v41, v41, v50
	v_exp_f32_e32 v58, v42
	v_cndmask_b32_e64 v42, 0, v40, s[20:21]
	v_cndmask_b32_e64 v40, 0, v51, s[24:25]
	v_add_f32_e32 v51, 0, v46
	v_mul_f32_e32 v41, 0x3fb8aa3b, v41
	v_add_f32_e32 v51, v51, v47
	v_exp_f32_e32 v41, v41
	v_add_f32_e32 v51, v51, v48
	v_sub_f32_e32 v38, v38, v50
	v_add_f32_e32 v51, v51, v49
	v_sub_f32_e32 v39, v39, v50
	v_mul_f32_e32 v38, 0x3fb8aa3b, v38
	v_add_f32_e32 v51, v51, v44
	v_exp_f32_e32 v38, v38
	v_mul_f32_e32 v39, 0x3fb8aa3b, v39
	v_sub_f32_e32 v36, v36, v50
	v_add_f32_e32 v51, v51, v45
	v_cndmask_b32_e64 v43, 0, v41, s[22:23]
	v_exp_f32_e32 v39, v39
	v_mul_f32_e32 v36, 0x3fb8aa3b, v36
	v_sub_f32_e32 v37, v37, v50
	v_add_f32_e32 v51, v51, v42
	v_exp_f32_e32 v36, v36
	v_mul_f32_e32 v37, 0x3fb8aa3b, v37
	v_add_f32_e32 v51, v51, v43
	v_sub_f32_e32 v34, v34, v50
	v_cndmask_b32_e64 v41, 0, v58, s[26:27]
	v_exp_f32_e32 v37, v37
	v_add_f32_e32 v51, v51, v40
	v_mul_f32_e32 v34, 0x3fb8aa3b, v34
	v_sub_f32_e32 v35, v35, v50
	v_cndmask_b32_e64 v38, 0, v38, s[28:29]
	v_add_f32_e32 v51, v51, v41
	v_exp_f32_e32 v34, v34
	v_mul_f32_e32 v35, 0x3fb8aa3b, v35
	v_cndmask_b32_e64 v39, 0, v39, s[30:31]
	v_add_f32_e32 v51, v51, v38
	v_exp_f32_e32 v35, v35
	v_cndmask_b32_e64 v36, 0, v36, s[34:35]
	v_add_f32_e32 v51, v51, v39
	v_cndmask_b32_e64 v37, 0, v37, s[36:37]
	v_add_f32_e32 v51, v51, v36
	v_add_f32_e32 v51, v51, v37
	v_cndmask_b32_e32 v34, 0, v34, vcc
	v_add_f32_e32 v51, v51, v34
	v_cndmask_b32_e64 v35, 0, v35, s[4:5]
	v_add_f32_e32 v51, v51, v35
	ds_bpermute_b32 v52, v52, v51
	v_cmp_gt_u32_e32 vcc, 16, v55
	s_waitcnt lgkmcnt(0)
	s_barrier
	v_add_f32_e32 v51, v51, v52
	ds_bpermute_b32 v52, v53, v51
	s_and_saveexec_b64 s[4:5], vcc
	s_cbranch_execz .LBB1346_15
; %bb.14:
	s_waitcnt lgkmcnt(0)
	v_add_f32_e32 v51, v51, v52
	v_lshlrev_b32_e32 v52, 2, v65
	ds_write2st64_b32 v52, v50, v51 offset1:1
.LBB1346_15:
	s_or_b64 exec, exec, s[4:5]
	v_lshlrev_b32_e32 v51, 2, v56
	s_load_dword s7, s[0:1], 0x94
	s_waitcnt lgkmcnt(0)
	s_barrier
	ds_read2_b32 v[52:53], v51 offset1:16
	ds_read2_b32 v[58:59], v51 offset0:32 offset1:48
	ds_read2_b32 v[60:61], v51 offset0:64 offset1:80
	s_movk_i32 s9, 0x7fff
	s_mul_i32 s8, s44, 3
	s_waitcnt lgkmcnt(2)
	v_max3_f32 v50, v52, s40, v53
	s_waitcnt lgkmcnt(1)
	v_max3_f32 v50, v50, v58, v59
	v_sub_f32_e32 v52, v52, v50
	v_mul_f32_e32 v52, 0x3fb8aa3b, v52
	v_exp_f32_e32 v55, v52
	v_sub_f32_e32 v52, v53, v50
	v_mul_f32_e32 v52, 0x3fb8aa3b, v52
	v_exp_f32_e32 v64, v52
	v_sub_f32_e32 v52, v58, v50
	v_mul_f32_e32 v52, 0x3fb8aa3b, v52
	v_exp_f32_e32 v58, v52
	ds_read2_b32 v[52:53], v51 offset0:96 offset1:112
	v_sub_f32_e32 v51, v59, v50
	v_mul_f32_e32 v51, 0x3fb8aa3b, v51
	v_exp_f32_e32 v59, v51
	s_waitcnt lgkmcnt(1)
	v_fma_f32 v51, v55, v60, 0
	v_fmac_f32_e32 v51, v64, v61
	s_waitcnt lgkmcnt(0)
	v_fmac_f32_e32 v51, v58, v52
	v_fmac_f32_e32 v51, v59, v53
	v_add_f32_e32 v52, 0x358637bd, v51
	v_div_scale_f32 v53, s[4:5], v52, v52, 1.0
	v_rcp_f32_e32 v60, v53
	s_barrier
	v_fma_f32 v61, -v53, v60, 1.0
	v_fmac_f32_e32 v60, v61, v60
	v_div_scale_f32 v61, vcc, 1.0, v52, 1.0
	v_mul_f32_e32 v65, v61, v60
	v_fma_f32 v66, -v53, v65, v61
	v_fmac_f32_e32 v65, v66, v60
	v_fma_f32 v53, -v53, v65, v61
	v_div_fmas_f32 v53, v53, v60, v65
	v_cmp_eq_u32_e32 vcc, 1, v57
	v_div_fixup_f32 v52, v53, v52, 1.0
	s_nop 0
	v_cndmask_b32_e32 v53, v55, v64, vcc
	v_cmp_eq_u32_e32 vcc, 2, v57
	s_nop 1
	v_cndmask_b32_e32 v53, v53, v58, vcc
	v_cmp_eq_u32_e32 vcc, 3, v57
	s_nop 1
	v_cndmask_b32_e32 v53, v53, v59, vcc
	v_mul_f32_e32 v52, v53, v52
	v_pk_mul_f32 v[46:47], v[52:53], v[46:47] op_sel_hi:[0,1]
	v_pk_mul_f32 v[48:49], v[52:53], v[48:49] op_sel_hi:[0,1]
	v_bfe_u32 v53, v47, 16, 1
	v_bfe_u32 v55, v46, 16, 1
	v_add3_u32 v46, v46, v55, s9
	v_add3_u32 v47, v47, v53, s9
	v_perm_b32 v58, v47, v46, s33
	v_bfe_u32 v46, v49, 16, 1
	v_bfe_u32 v47, v48, 16, 1
	v_add3_u32 v47, v48, v47, s9
	v_add3_u32 v46, v49, v46, s9
	v_perm_b32 v59, v46, v47, s33
	v_lshlrev_b32_e32 v47, 3, v62
	v_lshlrev_b32_e32 v46, 5, v56
	;; [unrolled: 1-line block ×3, first 2 shown]
	v_pk_mul_f32 v[44:45], v[52:53], v[44:45] op_sel_hi:[0,1]
	v_or3_b32 v55, v48, v46, v47
	v_bfe_u32 v47, v45, 16, 1
	v_bfe_u32 v48, v44, 16, 1
	v_pk_mul_f32 v[42:43], v[52:53], v[42:43] op_sel_hi:[0,1]
	v_add3_u32 v44, v44, v48, s9
	v_add3_u32 v45, v45, v47, s9
	v_perm_b32 v44, v45, v44, s33
	v_bfe_u32 v45, v43, 16, 1
	v_bfe_u32 v47, v42, 16, 1
	v_add3_u32 v42, v42, v47, s9
	v_add3_u32 v43, v43, v45, s9
	v_pk_mul_f32 v[40:41], v[52:53], v[40:41] op_sel_hi:[0,1]
	v_perm_b32 v45, v43, v42, s33
	v_bfe_u32 v42, v41, 16, 1
	v_bfe_u32 v43, v40, 16, 1
	v_pk_mul_f32 v[38:39], v[52:53], v[38:39] op_sel_hi:[0,1]
	v_add3_u32 v40, v40, v43, s9
	v_add3_u32 v41, v41, v42, s9
	v_perm_b32 v40, v41, v40, s33
	v_bfe_u32 v41, v39, 16, 1
	v_bfe_u32 v42, v38, 16, 1
	v_add3_u32 v38, v38, v42, s9
	v_add3_u32 v39, v39, v41, s9
	v_pk_mul_f32 v[36:37], v[52:53], v[36:37] op_sel_hi:[0,1]
	v_perm_b32 v41, v39, v38, s33
	v_bfe_u32 v38, v37, 16, 1
	v_bfe_u32 v39, v36, 16, 1
	v_pk_mul_f32 v[34:35], v[52:53], v[34:35] op_sel_hi:[0,1]
	v_add3_u32 v36, v36, v39, s9
	v_add3_u32 v37, v37, v38, s9
	v_perm_b32 v36, v37, v36, s33
	v_bfe_u32 v37, v35, 16, 1
	v_bfe_u32 v38, v34, 16, 1
	v_add3_u32 v34, v34, v38, s9
	v_add3_u32 v35, v35, v37, s9
	v_perm_b32 v37, v35, v34, s33
	v_cmp_gt_u32_e32 vcc, 3, v0
	ds_write2st64_b64 v55, v[58:59], v[44:45] offset1:1
	ds_write2st64_b64 v55, v[40:41], v[36:37] offset0:2 offset1:3
	s_and_saveexec_b64 s[4:5], vcc
	s_cbranch_execz .LBB1346_17
; %bb.16:
	s_mov_b32 s49, 0
	v_mov_b32_e32 v57, 0
	v_lshl_add_u64 v[34:35], s[48:49], 0, v[56:57]
	v_mov_b32_e32 v36, s8
	v_mad_u64_u32 v[34:35], s[10:11], s2, v36, v[34:35]
	s_mul_i32 s3, s3, s8
	v_mov_b32_e32 v36, s6
	v_mov_b32_e32 v37, v57
	s_load_dwordx4 s[12:15], s[0:1], 0x58
	v_add_u32_e32 v38, s3, v35
	v_mad_u64_u32 v[34:35], s[10:11], v34, s7, v[36:37]
	v_mov_b32_e32 v36, v35
	v_mad_u64_u32 v[36:37], s[10:11], v38, s7, v[36:37]
	v_mov_b32_e32 v35, v36
	v_lshlrev_b64 v[34:35], 2, v[34:35]
	s_waitcnt lgkmcnt(0)
	v_lshl_add_u64 v[36:37], s[14:15], 0, v[34:35]
	v_lshl_add_u64 v[34:35], s[12:13], 0, v[34:35]
	global_store_dword v[36:37], v50, off
	global_store_dword v[34:35], v51, off
.LBB1346_17:
	s_or_b64 exec, exec, s[4:5]
	s_waitcnt vmcnt(7)
	v_cvt_pk_f32_fp8_e32 v[34:35], v6
	v_cvt_pk_f32_fp8_sdwa v[36:37], v6 src0_sel:WORD_1
	v_lshl_or_b32 v50, v62, 9, v46
	s_mov_b32 s5, 0x7060302
	s_waitcnt lgkmcnt(0)
	s_barrier
	v_cvt_pk_f32_fp8_e32 v[38:39], v7
	v_perm_b32 v6, v35, v34, s5
	v_cvt_pk_f32_fp8_sdwa v[40:41], v7 src0_sel:WORD_1
	v_perm_b32 v7, v37, v36, s5
	ds_read_b128 v[34:37], v50
	v_perm_b32 v46, v39, v38, s5
	v_perm_b32 v47, v41, v40, s5
	ds_read_b128 v[38:41], v50 offset:16
	v_cvt_pk_f32_fp8_e32 v[48:49], v8
	v_cvt_pk_f32_fp8_sdwa v[52:53], v8 src0_sel:WORD_1
	s_waitcnt lgkmcnt(1)
	v_mfma_f32_16x16x16_bf16 v[42:45], v[6:7], v[34:35], 0
	s_waitcnt vmcnt(6)
	v_cvt_pk_f32_fp8_e32 v[58:59], v4
	v_perm_b32 v6, v49, v48, s5
	v_perm_b32 v7, v53, v52, s5
	v_cvt_pk_f32_fp8_e32 v[48:49], v9
	v_mfma_f32_16x16x16_bf16 v[42:45], v[46:47], v[36:37], v[42:45]
	v_cvt_pk_f32_fp8_sdwa v[46:47], v9 src0_sel:WORD_1
	v_cvt_pk_f32_fp8_sdwa v[60:61], v4 src0_sel:WORD_1
	v_perm_b32 v48, v49, v48, s5
	s_waitcnt lgkmcnt(0)
	v_mfma_f32_16x16x16_bf16 v[6:9], v[6:7], v[38:39], v[42:45]
	v_perm_b32 v49, v47, v46, s5
	s_waitcnt vmcnt(5)
	v_cvt_pk_f32_fp8_e32 v[64:65], v28
	v_cvt_pk_f32_fp8_sdwa v[66:67], v28 src0_sel:WORD_1
	v_cvt_pk_f32_fp8_e32 v[42:43], v2
	v_mfma_f32_16x16x16_bf16 v[46:49], v[48:49], v[40:41], v[6:9]
	s_waitcnt vmcnt(4)
	v_cvt_pk_f32_fp8_sdwa v[68:69], v24 src0_sel:WORD_1
	s_load_dword s4, s[42:43], 0x0
	v_cvt_pk_f32_fp8_sdwa v[6:7], v2 src0_sel:WORD_1
	v_cvt_pk_f32_fp8_e32 v[8:9], v3
	v_perm_b32 v2, v43, v42, s5
	v_cvt_pk_f32_fp8_sdwa v[42:43], v3 src0_sel:WORD_1
	v_perm_b32 v3, v7, v6, s5
	v_perm_b32 v52, v9, v8, s5
	ds_read_b128 v[6:9], v50 offset:2048
	v_perm_b32 v53, v43, v42, s5
	ds_read_b128 v[42:45], v50 offset:2064
	s_waitcnt lgkmcnt(0)
	v_mfma_f32_16x16x16_bf16 v[46:49], v[2:3], v[6:7], v[46:49]
	v_perm_b32 v2, v59, v58, s5
	v_perm_b32 v3, v61, v60, s5
	v_cvt_pk_f32_fp8_e32 v[58:59], v5
	v_mfma_f32_16x16x16_bf16 v[46:49], v[52:53], v[8:9], v[46:49]
	v_cvt_pk_f32_fp8_sdwa v[52:53], v5 src0_sel:WORD_1
	s_waitcnt vmcnt(3)
	v_cvt_pk_f32_fp8_sdwa v[70:71], v32 src0_sel:WORD_1
	v_perm_b32 v58, v59, v58, s5
	v_mfma_f32_16x16x16_bf16 v[2:5], v[2:3], v[42:43], v[46:49]
	v_perm_b32 v59, v53, v52, s5
	v_cmp_gt_u32_e32 vcc, 64, v0
	s_mov_b32 s3, 0
	v_cvt_pk_f32_fp8_e32 v[46:47], v26
	v_mfma_f32_16x16x16_bf16 v[58:61], v[58:59], v[44:45], v[2:5]
	s_nop 2
	v_cvt_pk_f32_fp8_sdwa v[2:3], v26 src0_sel:WORD_1
	v_cvt_pk_f32_fp8_e32 v[4:5], v27
	v_perm_b32 v26, v47, v46, s5
	v_cvt_pk_f32_fp8_sdwa v[46:47], v27 src0_sel:WORD_1
	v_perm_b32 v27, v3, v2, s5
	v_perm_b32 v52, v5, v4, s5
	ds_read_b128 v[2:5], v50 offset:4096
	v_perm_b32 v53, v47, v46, s5
	ds_read_b128 v[46:49], v50 offset:4112
	s_waitcnt lgkmcnt(1)
	v_mfma_f32_16x16x16_bf16 v[58:61], v[26:27], v[2:3], v[58:61]
	v_perm_b32 v26, v65, v64, s5
	v_perm_b32 v27, v67, v66, s5
	v_cvt_pk_f32_fp8_e32 v[64:65], v29
	v_mfma_f32_16x16x16_bf16 v[58:61], v[52:53], v[4:5], v[58:61]
	v_cvt_pk_f32_fp8_sdwa v[52:53], v29 src0_sel:WORD_1
	v_cvt_pk_f32_fp8_e32 v[66:67], v24
	v_perm_b32 v64, v65, v64, s5
	s_waitcnt lgkmcnt(0)
	v_mfma_f32_16x16x16_bf16 v[26:29], v[26:27], v[46:47], v[58:61]
	v_perm_b32 v65, v53, v52, s5
	v_cvt_pk_f32_fp8_e32 v[52:53], v22
	s_nop 0
	v_mfma_f32_16x16x16_bf16 v[58:61], v[64:65], v[48:49], v[26:29]
	s_nop 2
	v_cvt_pk_f32_fp8_sdwa v[26:27], v22 src0_sel:WORD_1
	v_cvt_pk_f32_fp8_e32 v[28:29], v23
	v_perm_b32 v22, v53, v52, s5
	v_cvt_pk_f32_fp8_sdwa v[52:53], v23 src0_sel:WORD_1
	v_perm_b32 v23, v27, v26, s5
	v_perm_b32 v64, v29, v28, s5
	ds_read_b128 v[26:29], v50 offset:6144
	v_perm_b32 v65, v53, v52, s5
	s_waitcnt lgkmcnt(0)
	v_mfma_f32_16x16x16_bf16 v[58:61], v[22:23], v[26:27], v[58:61]
	ds_read_b128 v[50:53], v50 offset:6160
	v_perm_b32 v22, v67, v66, s5
	v_perm_b32 v23, v69, v68, s5
	v_cvt_pk_f32_fp8_e32 v[66:67], v25
	v_mfma_f32_16x16x16_bf16 v[58:61], v[64:65], v[28:29], v[58:61]
	v_cvt_pk_f32_fp8_sdwa v[64:65], v25 src0_sel:WORD_1
	v_cvt_pk_f32_fp8_e32 v[68:69], v32
	v_perm_b32 v66, v67, v66, s5
	s_waitcnt lgkmcnt(0)
	v_mfma_f32_16x16x16_bf16 v[22:25], v[22:23], v[50:51], v[58:61]
	v_perm_b32 v67, v65, v64, s5
	s_barrier
	s_nop 0
	v_mfma_f32_16x16x16_bf16 v[58:61], v[66:67], v[52:53], v[22:25]
	s_nop 2
	v_cvt_pk_f32_fp8_e32 v[24:25], v30
	v_perm_b32 v24, v25, v24, s5
	s_nop 1
	v_pk_mul_f32 v[22:23], v[60:61], s[4:5] op_sel_hi:[1,0]
	v_cvt_pk_f32_fp8_sdwa v[60:61], v30 src0_sel:WORD_1
	v_pk_mul_f32 v[64:65], v[58:59], s[4:5] op_sel_hi:[1,0]
	v_cvt_pk_f32_fp8_e32 v[58:59], v31
	v_cvt_pk_f32_fp8_sdwa v[30:31], v31 src0_sel:WORD_1
	v_perm_b32 v25, v61, v60, s5
	v_bfe_u32 v57, v65, 16, 1
	v_perm_b32 v66, v59, v58, s5
	v_perm_b32 v67, v31, v30, s5
	v_mfma_f32_16x16x16_bf16 v[58:61], v[24:25], v[34:35], 0
	v_perm_b32 v24, v69, v68, s5
	v_perm_b32 v25, v71, v70, s5
	v_cvt_pk_f32_fp8_e32 v[34:35], v33
	v_cvt_pk_f32_fp8_sdwa v[68:69], v33 src0_sel:WORD_1
	v_mfma_f32_16x16x16_bf16 v[30:33], v[66:67], v[36:37], v[58:61]
	s_waitcnt vmcnt(2)
	v_cvt_pk_f32_fp8_sdwa v[36:37], v18 src0_sel:WORD_1
	v_perm_b32 v34, v35, v34, s5
	v_perm_b32 v35, v69, v68, s5
	v_mfma_f32_16x16x16_bf16 v[30:33], v[24:25], v[38:39], v[30:33]
	v_cvt_pk_f32_fp8_e32 v[24:25], v18
	v_cvt_pk_f32_fp8_sdwa v[38:39], v20 src0_sel:WORD_1
	v_bfe_u32 v58, v64, 16, 1
	v_mfma_f32_16x16x16_bf16 v[30:33], v[34:35], v[40:41], v[30:33]
	v_cvt_pk_f32_fp8_e32 v[34:35], v19
	v_perm_b32 v24, v25, v24, s5
	v_perm_b32 v25, v37, v36, s5
	v_cvt_pk_f32_fp8_sdwa v[18:19], v19 src0_sel:WORD_1
	v_perm_b32 v34, v35, v34, s5
	v_cvt_pk_f32_fp8_e32 v[36:37], v20
	v_mfma_f32_16x16x16_bf16 v[30:33], v[24:25], v[6:7], v[30:33]
	v_perm_b32 v35, v19, v18, s5
	v_perm_b32 v18, v37, v36, s5
	;; [unrolled: 1-line block ×3, first 2 shown]
	v_cvt_pk_f32_fp8_e32 v[24:25], v21
	v_cvt_pk_f32_fp8_sdwa v[20:21], v21 src0_sel:WORD_1
	v_mfma_f32_16x16x16_bf16 v[6:9], v[34:35], v[8:9], v[30:33]
	v_perm_b32 v24, v25, v24, s5
	v_perm_b32 v25, v21, v20, s5
	v_mfma_f32_16x16x16_bf16 v[6:9], v[18:19], v[42:43], v[6:9]
	s_waitcnt vmcnt(1)
	v_cvt_pk_f32_fp8_e32 v[18:19], v14
	v_cvt_pk_f32_fp8_sdwa v[20:21], v14 src0_sel:WORD_1
	v_cvt_pk_f32_fp8_sdwa v[30:31], v16 src0_sel:WORD_1
	v_mfma_f32_16x16x16_bf16 v[6:9], v[24:25], v[44:45], v[6:9]
	v_cvt_pk_f32_fp8_e32 v[24:25], v15
	v_perm_b32 v18, v19, v18, s5
	v_perm_b32 v19, v21, v20, s5
	v_cvt_pk_f32_fp8_sdwa v[14:15], v15 src0_sel:WORD_1
	v_perm_b32 v20, v25, v24, s5
	v_cvt_pk_f32_fp8_e32 v[24:25], v16
	v_mfma_f32_16x16x16_bf16 v[6:9], v[18:19], v[2:3], v[6:9]
	v_perm_b32 v21, v15, v14, s5
	v_perm_b32 v14, v25, v24, s5
	;; [unrolled: 1-line block ×3, first 2 shown]
	v_cvt_pk_f32_fp8_e32 v[18:19], v17
	v_cvt_pk_f32_fp8_sdwa v[16:17], v17 src0_sel:WORD_1
	v_mfma_f32_16x16x16_bf16 v[2:5], v[20:21], v[4:5], v[6:9]
	v_add3_u32 v32, v64, v58, s9
	v_add3_u32 v33, v65, v57, s9
	s_nop 0
	v_perm_b32 v8, v19, v18, s5
	v_perm_b32 v9, v17, v16, s5
	v_mfma_f32_16x16x16_bf16 v[2:5], v[14:15], v[46:47], v[2:5]
	s_waitcnt vmcnt(0)
	v_cvt_pk_f32_fp8_e32 v[14:15], v10
	v_cvt_pk_f32_fp8_sdwa v[16:17], v10 src0_sel:WORD_1
	v_cvt_pk_f32_fp8_sdwa v[18:19], v12 src0_sel:WORD_1
	v_mfma_f32_16x16x16_bf16 v[2:5], v[8:9], v[48:49], v[2:5]
	v_cvt_pk_f32_fp8_e32 v[8:9], v11
	v_perm_b32 v14, v15, v14, s5
	v_perm_b32 v15, v17, v16, s5
	v_cvt_pk_f32_fp8_sdwa v[10:11], v11 src0_sel:WORD_1
	v_perm_b32 v8, v9, v8, s5
	v_cvt_pk_f32_fp8_e32 v[16:17], v12
	v_mfma_f32_16x16x16_bf16 v[2:5], v[14:15], v[26:27], v[2:5]
	v_perm_b32 v9, v11, v10, s5
	v_perm_b32 v10, v17, v16, s5
	;; [unrolled: 1-line block ×3, first 2 shown]
	v_cvt_pk_f32_fp8_e32 v[14:15], v13
	v_cvt_pk_f32_fp8_sdwa v[12:13], v13 src0_sel:WORD_1
	v_mfma_f32_16x16x16_bf16 v[2:5], v[8:9], v[28:29], v[2:5]
	v_bfe_u32 v7, v23, 16, 1
	v_perm_b32 v8, v15, v14, s5
	v_perm_b32 v9, v13, v12, s5
	v_mfma_f32_16x16x16_bf16 v[2:5], v[10:11], v[50:51], v[2:5]
	v_bfe_u32 v16, v22, 16, 1
	v_add3_u32 v10, v22, v16, s9
	v_add3_u32 v7, v23, v7, s9
	v_mfma_f32_16x16x16_bf16 v[2:5], v[8:9], v[52:53], v[2:5]
	v_perm_b32 v6, v33, v32, s5
	v_perm_b32 v7, v7, v10, s5
	s_nop 4
	v_pk_mul_f32 v[2:3], v[2:3], s[4:5] op_sel_hi:[1,0]
	v_pk_mul_f32 v[4:5], v[4:5], s[4:5] op_sel_hi:[1,0]
	v_bfe_u32 v8, v3, 16, 1
	v_bfe_u32 v9, v2, 16, 1
	v_add3_u32 v2, v2, v9, s9
	v_add3_u32 v3, v3, v8, s9
	v_perm_b32 v2, v3, v2, s5
	v_bfe_u32 v3, v5, 16, 1
	v_bfe_u32 v8, v4, 16, 1
	v_add3_u32 v4, v4, v8, s9
	v_add3_u32 v3, v5, v3, s9
	v_perm_b32 v3, v3, v4, s5
	v_cmp_ne_u32_e64 s[4:5], 3, v62
	s_and_b64 s[4:5], vcc, s[4:5]
	ds_write2st64_b64 v55, v[6:7], v[2:3] offset1:1
	s_waitcnt lgkmcnt(0)
	s_barrier
	s_and_saveexec_b64 s[10:11], s[4:5]
	s_cbranch_execz .LBB1346_19
; %bb.18:
	s_load_dwordx2 s[0:1], s[0:1], 0x68
	s_mul_i32 s2, s8, s2
	s_lshl_b32 s7, s7, 7
	v_lshlrev_b32_e32 v4, 6, v56
	s_mul_hi_u32 s5, s2, s7
	s_mul_i32 s4, s2, s7
	v_lshl_or_b32 v0, v0, 10, v4
	s_lshl_b64 s[4:5], s[4:5], 1
	v_lshlrev_b32_e32 v2, 5, v62
	v_and_b32_e32 v3, 16, v63
	v_and_b32_e32 v0, 0x1a00, v0
	s_waitcnt lgkmcnt(0)
	s_add_u32 s4, s0, s4
	v_or3_b32 v0, v0, v2, v3
	s_addc_u32 s5, s1, s5
	s_lshl_b32 s2, s6, 7
	ds_read_b128 v[2:5], v0
	s_lshl_b64 s[0:1], s[2:3], 1
	s_add_u32 s0, s4, s0
	s_addc_u32 s1, s5, s1
	v_mad_u64_u32 v[0:1], s[2:3], s7, v1, 0
	v_lshl_add_u64 v[0:1], v[0:1], 1, s[0:1]
	v_mov_b32_e32 v55, 0
	v_lshl_add_u64 v[0:1], v[0:1], 0, v[54:55]
	s_waitcnt lgkmcnt(0)
	global_store_dwordx4 v[0:1], v[2:5], off
.LBB1346_19:
	s_endpgm
	.section	.rodata,"a",@progbits
	.p2align	6, 0x0
	.amdhsa_kernel _Z39paged_attention_ll4mi_QKV_mfma16_kernelI14__hip_bfloat16hLN4vllm18Fp8KVCacheDataTypeE1EhLi32ELi128ELi256ELb1ELi3EEvPKT_PKT0_S8_ifPKiSA_SA_iPKfiiiPfSD_PS3_PT2_iSC_SC_
		.amdhsa_group_segment_fixed_size 8192
		.amdhsa_private_segment_fixed_size 0
		.amdhsa_kernarg_size 400
		.amdhsa_user_sgpr_count 2
		.amdhsa_user_sgpr_dispatch_ptr 0
		.amdhsa_user_sgpr_queue_ptr 0
		.amdhsa_user_sgpr_kernarg_segment_ptr 1
		.amdhsa_user_sgpr_dispatch_id 0
		.amdhsa_user_sgpr_kernarg_preload_length 0
		.amdhsa_user_sgpr_kernarg_preload_offset 0
		.amdhsa_user_sgpr_private_segment_size 0
		.amdhsa_uses_dynamic_stack 0
		.amdhsa_enable_private_segment 0
		.amdhsa_system_sgpr_workgroup_id_x 1
		.amdhsa_system_sgpr_workgroup_id_y 1
		.amdhsa_system_sgpr_workgroup_id_z 1
		.amdhsa_system_sgpr_workgroup_info 0
		.amdhsa_system_vgpr_workitem_id 0
		.amdhsa_next_free_vgpr 80
		.amdhsa_next_free_sgpr 50
		.amdhsa_accum_offset 80
		.amdhsa_reserve_vcc 1
		.amdhsa_float_round_mode_32 0
		.amdhsa_float_round_mode_16_64 0
		.amdhsa_float_denorm_mode_32 3
		.amdhsa_float_denorm_mode_16_64 3
		.amdhsa_dx10_clamp 1
		.amdhsa_ieee_mode 1
		.amdhsa_fp16_overflow 0
		.amdhsa_tg_split 0
		.amdhsa_exception_fp_ieee_invalid_op 0
		.amdhsa_exception_fp_denorm_src 0
		.amdhsa_exception_fp_ieee_div_zero 0
		.amdhsa_exception_fp_ieee_overflow 0
		.amdhsa_exception_fp_ieee_underflow 0
		.amdhsa_exception_fp_ieee_inexact 0
		.amdhsa_exception_int_div_zero 0
	.end_amdhsa_kernel
	.section	.text._Z39paged_attention_ll4mi_QKV_mfma16_kernelI14__hip_bfloat16hLN4vllm18Fp8KVCacheDataTypeE1EhLi32ELi128ELi256ELb1ELi3EEvPKT_PKT0_S8_ifPKiSA_SA_iPKfiiiPfSD_PS3_PT2_iSC_SC_,"axG",@progbits,_Z39paged_attention_ll4mi_QKV_mfma16_kernelI14__hip_bfloat16hLN4vllm18Fp8KVCacheDataTypeE1EhLi32ELi128ELi256ELb1ELi3EEvPKT_PKT0_S8_ifPKiSA_SA_iPKfiiiPfSD_PS3_PT2_iSC_SC_,comdat
.Lfunc_end1346:
	.size	_Z39paged_attention_ll4mi_QKV_mfma16_kernelI14__hip_bfloat16hLN4vllm18Fp8KVCacheDataTypeE1EhLi32ELi128ELi256ELb1ELi3EEvPKT_PKT0_S8_ifPKiSA_SA_iPKfiiiPfSD_PS3_PT2_iSC_SC_, .Lfunc_end1346-_Z39paged_attention_ll4mi_QKV_mfma16_kernelI14__hip_bfloat16hLN4vllm18Fp8KVCacheDataTypeE1EhLi32ELi128ELi256ELb1ELi3EEvPKT_PKT0_S8_ifPKiSA_SA_iPKfiiiPfSD_PS3_PT2_iSC_SC_
                                        ; -- End function
	.section	.AMDGPU.csdata,"",@progbits
; Kernel info:
; codeLenInByte = 6624
; NumSgprs: 56
; NumVgprs: 80
; NumAgprs: 0
; TotalNumVgprs: 80
; ScratchSize: 0
; MemoryBound: 0
; FloatMode: 240
; IeeeMode: 1
; LDSByteSize: 8192 bytes/workgroup (compile time only)
; SGPRBlocks: 6
; VGPRBlocks: 9
; NumSGPRsForWavesPerEU: 56
; NumVGPRsForWavesPerEU: 80
; AccumOffset: 80
; Occupancy: 6
; WaveLimiterHint : 1
; COMPUTE_PGM_RSRC2:SCRATCH_EN: 0
; COMPUTE_PGM_RSRC2:USER_SGPR: 2
; COMPUTE_PGM_RSRC2:TRAP_HANDLER: 0
; COMPUTE_PGM_RSRC2:TGID_X_EN: 1
; COMPUTE_PGM_RSRC2:TGID_Y_EN: 1
; COMPUTE_PGM_RSRC2:TGID_Z_EN: 1
; COMPUTE_PGM_RSRC2:TIDIG_COMP_CNT: 0
; COMPUTE_PGM_RSRC3_GFX90A:ACCUM_OFFSET: 19
; COMPUTE_PGM_RSRC3_GFX90A:TG_SPLIT: 0
	.section	.text._Z39paged_attention_ll4mi_QKV_mfma16_kernelI14__hip_bfloat16hLN4vllm18Fp8KVCacheDataTypeE1EhLi32ELi128ELi256ELb1ELi4EEvPKT_PKT0_S8_ifPKiSA_SA_iPKfiiiPfSD_PS3_PT2_iSC_SC_,"axG",@progbits,_Z39paged_attention_ll4mi_QKV_mfma16_kernelI14__hip_bfloat16hLN4vllm18Fp8KVCacheDataTypeE1EhLi32ELi128ELi256ELb1ELi4EEvPKT_PKT0_S8_ifPKiSA_SA_iPKfiiiPfSD_PS3_PT2_iSC_SC_,comdat
	.protected	_Z39paged_attention_ll4mi_QKV_mfma16_kernelI14__hip_bfloat16hLN4vllm18Fp8KVCacheDataTypeE1EhLi32ELi128ELi256ELb1ELi4EEvPKT_PKT0_S8_ifPKiSA_SA_iPKfiiiPfSD_PS3_PT2_iSC_SC_ ; -- Begin function _Z39paged_attention_ll4mi_QKV_mfma16_kernelI14__hip_bfloat16hLN4vllm18Fp8KVCacheDataTypeE1EhLi32ELi128ELi256ELb1ELi4EEvPKT_PKT0_S8_ifPKiSA_SA_iPKfiiiPfSD_PS3_PT2_iSC_SC_
	.globl	_Z39paged_attention_ll4mi_QKV_mfma16_kernelI14__hip_bfloat16hLN4vllm18Fp8KVCacheDataTypeE1EhLi32ELi128ELi256ELb1ELi4EEvPKT_PKT0_S8_ifPKiSA_SA_iPKfiiiPfSD_PS3_PT2_iSC_SC_
	.p2align	8
	.type	_Z39paged_attention_ll4mi_QKV_mfma16_kernelI14__hip_bfloat16hLN4vllm18Fp8KVCacheDataTypeE1EhLi32ELi128ELi256ELb1ELi4EEvPKT_PKT0_S8_ifPKiSA_SA_iPKfiiiPfSD_PS3_PT2_iSC_SC_,@function
_Z39paged_attention_ll4mi_QKV_mfma16_kernelI14__hip_bfloat16hLN4vllm18Fp8KVCacheDataTypeE1EhLi32ELi128ELi256ELb1ELi4EEvPKT_PKT0_S8_ifPKiSA_SA_iPKfiiiPfSD_PS3_PT2_iSC_SC_: ; @_Z39paged_attention_ll4mi_QKV_mfma16_kernelI14__hip_bfloat16hLN4vllm18Fp8KVCacheDataTypeE1EhLi32ELi128ELi256ELb1ELi4EEvPKT_PKT0_S8_ifPKiSA_SA_iPKfiiiPfSD_PS3_PT2_iSC_SC_
; %bb.0:
	s_load_dwordx2 s[8:9], s[0:1], 0x30
	s_mov_b32 s12, s3
	s_mov_b64 s[6:7], 0
	s_waitcnt lgkmcnt(0)
	s_cmp_lg_u64 s[8:9], 0
	s_cselect_b64 s[10:11], -1, 0
	s_and_b64 vcc, exec, s[10:11]
	s_cbranch_vccz .LBB1347_7
; %bb.1:
	s_add_i32 s14, s2, 1
	s_mov_b32 s15, 0
	s_lshl_b64 s[16:17], s[14:15], 2
	s_add_u32 s16, s8, s16
	s_mov_b32 s3, s15
	s_addc_u32 s17, s9, s17
	s_lshl_b64 s[14:15], s[2:3], 2
	s_add_u32 s14, s8, s14
	s_addc_u32 s15, s9, s15
	s_load_dword s5, s[16:17], 0x0
	s_load_dword s13, s[14:15], 0x0
	s_waitcnt lgkmcnt(0)
	s_sub_i32 s5, s5, s13
	s_cmp_eq_u32 s5, 1
	s_cselect_b64 s[14:15], -1, 0
	s_andn2_b64 vcc, exec, s[6:7]
	s_cbranch_vccnz .LBB1347_3
.LBB1347_2:
	s_mov_b32 s3, 0
	s_mov_b64 s[14:15], -1
.LBB1347_3:
	s_andn2_b64 vcc, exec, s[14:15]
	s_cbranch_vccnz .LBB1347_19
; %bb.4:
	s_load_dwordx2 s[6:7], s[0:1], 0x28
	s_lshl_b64 s[14:15], s[2:3], 2
	s_waitcnt lgkmcnt(0)
	s_add_u32 s6, s6, s14
	s_addc_u32 s7, s7, s15
	s_load_dword s33, s[6:7], 0x0
	s_lshl_b32 s18, s12, 8
	s_waitcnt lgkmcnt(0)
	s_cmp_ge_i32 s18, s33
	s_cbranch_scc1 .LBB1347_19
; %bb.5:
	s_load_dwordx2 s[6:7], s[0:1], 0x20
	s_load_dword s5, s[0:1], 0x38
	s_add_i32 s13, s33, 31
	s_ashr_i32 s16, s13, 31
	v_and_b32_e32 v1, 0xcf, v0
	s_lshr_b32 s16, s16, 27
	v_add_u32_e32 v1, s18, v1
	s_add_i32 s13, s13, s16
	v_ashrrev_i32_e32 v2, 31, v1
	s_ashr_i32 s19, s13, 5
	v_lshrrev_b32_e32 v4, 27, v2
	s_add_i32 s19, s19, -1
	s_waitcnt lgkmcnt(0)
	s_mul_i32 s16, s2, s5
	s_mov_b32 s17, 0
	v_add_u32_e32 v2, v1, v4
	s_lshl_b64 s[16:17], s[16:17], 2
	v_ashrrev_i32_e32 v2, 5, v2
	v_mov_b32_e32 v5, s19
	v_cmp_gt_i32_e32 vcc, s33, v1
	s_add_u32 s6, s6, s16
	s_addc_u32 s7, s7, s17
	v_cndmask_b32_e32 v2, v5, v2, vcc
	v_ashrrev_i32_e32 v3, 31, v2
	v_lshl_add_u64 v[6:7], v[2:3], 2, s[6:7]
	v_or_b32_e32 v2, 16, v1
	v_add_u32_e32 v3, v2, v4
	v_ashrrev_i32_e32 v3, 5, v3
	v_cmp_gt_i32_e32 vcc, s33, v2
	s_load_dwordx2 s[16:17], s[0:1], 0x8
	s_nop 0
	v_cndmask_b32_e32 v2, v5, v3, vcc
	v_ashrrev_i32_e32 v3, 31, v2
	v_lshl_add_u64 v[8:9], v[2:3], 2, s[6:7]
	v_or_b32_e32 v2, 32, v1
	v_add_u32_e32 v3, v2, v4
	v_ashrrev_i32_e32 v3, 5, v3
	v_cmp_gt_i32_e32 vcc, s33, v2
	v_or_b32_e32 v1, 48, v1
	s_nop 0
	v_cndmask_b32_e32 v2, v5, v3, vcc
	v_ashrrev_i32_e32 v3, 31, v2
	v_lshl_add_u64 v[12:13], v[2:3], 2, s[6:7]
	v_add_u32_e32 v2, v1, v4
	v_ashrrev_i32_e32 v2, 5, v2
	v_cmp_gt_i32_e32 vcc, s33, v1
	s_nop 1
	v_cndmask_b32_e32 v2, v5, v2, vcc
	v_ashrrev_i32_e32 v3, 31, v2
	v_lshl_add_u64 v[14:15], v[2:3], 2, s[6:7]
	global_load_dword v4, v[6:7], off
	global_load_dword v3, v[8:9], off
	;; [unrolled: 1-line block ×4, first 2 shown]
	s_andn2_b64 vcc, exec, s[10:11]
	s_cbranch_vccnz .LBB1347_8
; %bb.6:
	s_add_u32 s8, s8, s14
	s_addc_u32 s9, s9, s15
	s_load_dword s5, s[8:9], 0x0
	s_branch .LBB1347_9
.LBB1347_7:
	s_mov_b64 s[14:15], 0
	s_branch .LBB1347_2
.LBB1347_8:
	s_mov_b32 s5, s2
.LBB1347_9:
	s_load_dwordx2 s[8:9], s[0:1], 0x10
	s_load_dwordx4 s[44:47], s[0:1], 0x48
	v_and_b32_e32 v56, 15, v0
	v_bfe_u32 v59, v0, 4, 2
	s_lshl_b32 s13, s4, 2
	v_lshlrev_b32_e32 v5, 3, v56
	v_lshrrev_b32_e32 v60, 6, v0
	v_or_b32_e32 v1, s13, v59
	v_cmp_gt_u32_e64 s[14:15], 64, v0
	v_lshlrev_b32_e32 v54, 1, v5
	v_lshlrev_b32_e32 v57, 5, v59
	;; [unrolled: 1-line block ×3, first 2 shown]
	s_and_saveexec_b64 s[10:11], s[14:15]
	s_cbranch_execz .LBB1347_11
; %bb.10:
	s_load_dwordx2 s[20:21], s[0:1], 0x0
	s_waitcnt lgkmcnt(0)
	s_ashr_i32 s22, s44, 31
	s_mul_hi_u32 s23, s5, s44
	s_mul_i32 s22, s5, s22
	s_add_i32 s23, s23, s22
	s_mul_i32 s22, s5, s44
	s_lshl_b64 s[22:23], s[22:23], 1
	s_add_u32 s20, s20, s22
	v_lshlrev_b32_e32 v6, 7, v1
	s_addc_u32 s21, s21, s23
	v_ashrrev_i32_e32 v7, 31, v6
	v_lshl_add_u64 v[6:7], v[6:7], 1, s[20:21]
	v_mov_b32_e32 v55, 0
	v_lshl_add_u64 v[6:7], v[6:7], 0, v[54:55]
	global_load_dwordx4 v[6:9], v[6:7], off
	v_lshlrev_b32_e32 v11, 8, v0
	v_lshlrev_b32_e32 v5, 8, v56
	v_and_b32_e32 v11, 0x600, v11
	s_movk_i32 s5, 0x800
	v_and_or_b32 v5, v5, s5, v11
	v_lshl_or_b32 v11, v60, 7, v57
	v_and_b32_e32 v12, 16, v58
	v_or3_b32 v5, v5, v11, v12
	s_waitcnt vmcnt(0)
	ds_write_b128 v5, v[6:9]
.LBB1347_11:
	s_or_b64 exec, exec, s[10:11]
	s_waitcnt lgkmcnt(0)
	s_mul_i32 s10, s4, s46
	s_add_u32 s4, s16, s10
	s_addc_u32 s5, s17, 0
	v_mov_b32_e32 v51, 0
	v_mov_b64_e32 v[12:13], s[4:5]
	v_and_b32_e32 v52, 48, v0
	s_waitcnt vmcnt(3)
	v_mad_i64_i32 v[4:5], s[4:5], v4, s45, v[12:13]
	v_lshlrev_b32_e32 v14, 4, v56
	v_mov_b32_e32 v15, v51
	v_lshlrev_b32_e32 v50, 5, v52
	v_lshl_add_u64 v[4:5], v[4:5], 0, v[14:15]
	v_lshl_add_u64 v[4:5], v[4:5], 0, v[50:51]
	s_barrier
	global_load_dwordx4 v[46:49], v[4:5], off
	global_load_dwordx4 v[34:37], v[4:5], off offset:2048
	s_waitcnt vmcnt(4)
	v_mad_i64_i32 v[4:5], s[4:5], v3, s45, v[12:13]
	v_or_b32_e32 v16, 0x100, v14
	v_mov_b32_e32 v17, v51
	s_waitcnt vmcnt(3)
	v_mad_i64_i32 v[2:3], s[4:5], v2, s45, v[12:13]
	s_waitcnt vmcnt(2)
	v_mad_i64_i32 v[10:11], s[4:5], v10, s45, v[12:13]
	v_lshl_add_u64 v[4:5], v[4:5], 0, v[16:17]
	v_lshl_add_u64 v[2:3], v[2:3], 0, v[14:15]
	;; [unrolled: 1-line block ×6, first 2 shown]
	global_load_dwordx4 v[38:41], v[4:5], off
	global_load_dwordx4 v[6:9], v[4:5], off offset:2048
	s_nop 0
	global_load_dwordx4 v[2:5], v[14:15], off
	global_load_dwordx4 v[42:45], v[14:15], off offset:2048
	global_load_dwordx4 v[26:29], v[10:11], off
	s_nop 0
	global_load_dwordx4 v[14:17], v[10:11], off offset:2048
	v_and_b32_e32 v10, 3, v0
	v_lshlrev_b32_e32 v10, 5, v10
	v_lshl_or_b32 v10, v59, 9, v10
	ds_read_b128 v[30:33], v10
	ds_read_b128 v[22:25], v10 offset:16
	ds_read_b128 v[18:21], v10 offset:2048
	;; [unrolled: 1-line block ×3, first 2 shown]
	v_and_b32_e32 v55, 63, v0
	v_cmp_gt_u32_e32 vcc, 4, v56
	v_mov_b32_e32 v61, 0
	s_and_saveexec_b64 s[4:5], vcc
	s_cbranch_execz .LBB1347_13
; %bb.12:
	s_load_dwordx2 s[16:17], s[0:1], 0x40
	v_or_b32_e32 v62, s13, v56
	v_ashrrev_i32_e32 v63, 31, v62
	s_waitcnt lgkmcnt(0)
	v_lshl_add_u64 v[62:63], v[62:63], 2, s[16:17]
	global_load_dword v61, v[62:63], off
.LBB1347_13:
	s_or_b64 exec, exec, s[4:5]
	s_ashr_i32 s4, s18, 31
	v_or_b32_e32 v50, s18, v52
	s_lshr_b32 s4, s4, 27
	v_add_u32_e32 v52, s4, v50
	v_or_b32_e32 v62, 64, v50
	v_ashrrev_i32_e32 v52, 5, v52
	v_mov_b32_e32 v68, s19
	v_cmp_gt_i32_e32 vcc, s33, v50
	v_add_u32_e32 v63, s4, v62
	v_ashrrev_i32_e32 v63, 5, v63
	v_cndmask_b32_e32 v52, v68, v52, vcc
	v_cmp_gt_i32_e32 vcc, s33, v62
	s_waitcnt vmcnt(7)
	v_cvt_pk_f32_fp8_sdwa v[64:65], v46 src0_sel:WORD_1
	s_mov_b32 s44, 0x7060302
	v_cndmask_b32_e32 v62, v68, v63, vcc
	v_ashrrev_i32_e32 v63, 31, v62
	v_lshl_add_u64 v[66:67], v[62:63], 2, s[6:7]
	v_or_b32_e32 v62, 0x80, v50
	v_add_u32_e32 v63, s4, v62
	v_ashrrev_i32_e32 v63, 5, v63
	v_cmp_gt_i32_e32 vcc, s33, v62
	v_or_b32_e32 v50, 0xc0, v50
	v_add_u32_e32 v69, s4, v50
	v_cndmask_b32_e32 v62, v68, v63, vcc
	v_ashrrev_i32_e32 v63, 31, v62
	v_lshl_add_u64 v[72:73], v[62:63], 2, s[6:7]
	v_cvt_pk_f32_fp8_e32 v[62:63], v46
	v_ashrrev_i32_e32 v69, 5, v69
	v_cmp_gt_i32_e32 vcc, s33, v50
	v_ashrrev_i32_e32 v53, 31, v52
	v_perm_b32 v62, v63, v62, s44
	v_perm_b32 v63, v65, v64, s44
	v_cvt_pk_f32_fp8_e32 v[64:65], v47
	v_cvt_pk_f32_fp8_sdwa v[46:47], v47 src0_sel:WORD_1
	v_cndmask_b32_e32 v68, v68, v69, vcc
	v_cvt_pk_f32_fp8_sdwa v[74:75], v48 src0_sel:WORD_1
	v_perm_b32 v70, v65, v64, s44
	v_perm_b32 v71, v47, v46, s44
	s_waitcnt lgkmcnt(3)
	v_mfma_f32_16x16x16_bf16 v[62:65], v[62:63], v[30:31], 0
	v_cvt_pk_f32_fp8_e32 v[46:47], v48
	v_lshl_add_u64 v[52:53], v[52:53], 2, s[6:7]
	v_ashrrev_i32_e32 v69, 31, v68
	v_lshl_add_u64 v[76:77], v[68:69], 2, s[6:7]
	v_mfma_f32_16x16x16_bf16 v[68:71], v[70:71], v[32:33], v[62:65]
	s_nop 2
	global_load_dword v65, v[52:53], off
	s_nop 0
	global_load_dword v66, v[66:67], off
	;; [unrolled: 2-line block ×3, first 2 shown]
	global_load_dword v64, v[76:77], off
	v_perm_b32 v46, v47, v46, s44
	v_perm_b32 v47, v75, v74, s44
	v_cvt_pk_f32_fp8_e32 v[74:75], v49
	v_cvt_pk_f32_fp8_sdwa v[48:49], v49 src0_sel:WORD_1
	s_waitcnt vmcnt(10)
	v_cvt_pk_f32_fp8_sdwa v[72:73], v36 src0_sel:WORD_1
	s_waitcnt vmcnt(7)
	v_cvt_pk_f32_fp8_sdwa v[78:79], v5 src0_sel:WORD_1
	v_perm_b32 v52, v75, v74, s44
	v_perm_b32 v53, v49, v48, s44
	s_waitcnt lgkmcnt(2)
	v_mfma_f32_16x16x16_bf16 v[46:49], v[46:47], v[22:23], v[68:71]
	v_cvt_pk_f32_fp8_sdwa v[74:75], v4 src0_sel:WORD_1
	s_add_u32 s4, s8, s10
	s_addc_u32 s5, s9, 0
	v_cvt_pk_f32_fp8_e32 v[68:69], v34
	v_cvt_pk_f32_fp8_sdwa v[70:71], v34 src0_sel:WORD_1
	v_mfma_f32_16x16x16_bf16 v[46:49], v[52:53], v[24:25], v[46:49]
	v_cvt_pk_f32_fp8_e32 v[52:53], v35
	v_perm_b32 v68, v69, v68, s44
	v_perm_b32 v69, v71, v70, s44
	v_cvt_pk_f32_fp8_sdwa v[34:35], v35 src0_sel:WORD_1
	v_perm_b32 v52, v53, v52, s44
	v_cvt_pk_f32_fp8_e32 v[70:71], v36
	s_waitcnt lgkmcnt(1)
	v_mfma_f32_16x16x16_bf16 v[46:49], v[68:69], v[18:19], v[46:49]
	v_perm_b32 v53, v35, v34, s44
	v_perm_b32 v68, v71, v70, s44
	;; [unrolled: 1-line block ×3, first 2 shown]
	v_cvt_pk_f32_fp8_e32 v[70:71], v37
	v_cvt_pk_f32_fp8_sdwa v[72:73], v37 src0_sel:WORD_1
	v_mfma_f32_16x16x16_bf16 v[34:37], v[52:53], v[20:21], v[46:49]
	v_cvt_pk_f32_fp8_sdwa v[52:53], v38 src0_sel:WORD_1
	v_and_b32_e32 v50, 16, v0
	v_lshl_or_b32 v62, v60, 4, v56
	v_perm_b32 v46, v71, v70, s44
	v_perm_b32 v47, v73, v72, s44
	s_waitcnt lgkmcnt(0)
	v_mfma_f32_16x16x16_bf16 v[34:37], v[68:69], v[10:11], v[34:37]
	v_cvt_pk_f32_fp8_e32 v[48:49], v38
	v_cvt_pk_f32_fp8_e32 v[68:69], v40
	v_cvt_pk_f32_fp8_sdwa v[70:71], v40 src0_sel:WORD_1
	v_mfma_f32_16x16x16_bf16 v[34:37], v[46:47], v[12:13], v[34:37]
	v_cvt_pk_f32_fp8_e32 v[46:47], v39
	v_perm_b32 v48, v49, v48, s44
	v_perm_b32 v49, v53, v52, s44
	v_cvt_pk_f32_fp8_sdwa v[38:39], v39 src0_sel:WORD_1
	v_perm_b32 v52, v47, v46, s44
	v_mfma_f32_16x16x16_bf16 v[46:49], v[48:49], v[30:31], 0
	v_perm_b32 v53, v39, v38, s44
	v_perm_b32 v68, v69, v68, s44
	v_perm_b32 v69, v71, v70, s44
	v_cvt_pk_f32_fp8_e32 v[70:71], v41
	v_cvt_pk_f32_fp8_sdwa v[72:73], v41 src0_sel:WORD_1
	v_mfma_f32_16x16x16_bf16 v[38:41], v[52:53], v[32:33], v[46:49]
	v_cvt_pk_f32_fp8_e32 v[52:53], v6
	s_mov_b32 s47, 0xff7fffff
	v_perm_b32 v52, v53, v52, s44
	v_perm_b32 v48, v71, v70, s44
	;; [unrolled: 1-line block ×3, first 2 shown]
	v_mfma_f32_16x16x16_bf16 v[38:41], v[68:69], v[22:23], v[38:41]
	v_cvt_pk_f32_fp8_sdwa v[68:69], v6 src0_sel:WORD_1
	v_cvt_pk_f32_fp8_sdwa v[70:71], v8 src0_sel:WORD_1
	v_lshl_add_u64 v[46:47], s[4:5], 0, v[50:51]
	v_mfma_f32_16x16x16_bf16 v[38:41], v[48:49], v[24:25], v[38:41]
	v_cvt_pk_f32_fp8_e32 v[48:49], v7
	v_perm_b32 v53, v69, v68, s44
	v_cvt_pk_f32_fp8_sdwa v[6:7], v7 src0_sel:WORD_1
	v_cvt_pk_f32_fp8_e32 v[68:69], v8
	v_perm_b32 v48, v49, v48, s44
	v_mfma_f32_16x16x16_bf16 v[38:41], v[52:53], v[18:19], v[38:41]
	v_perm_b32 v49, v7, v6, s44
	v_perm_b32 v52, v69, v68, s44
	;; [unrolled: 1-line block ×3, first 2 shown]
	v_cvt_pk_f32_fp8_e32 v[68:69], v9
	v_cvt_pk_f32_fp8_sdwa v[70:71], v9 src0_sel:WORD_1
	v_mfma_f32_16x16x16_bf16 v[6:9], v[48:49], v[20:21], v[38:41]
	v_cvt_pk_f32_fp8_e32 v[48:49], v2
	v_lshlrev_b32_e32 v50, 5, v62
	v_lshl_add_u64 v[72:73], v[46:47], 0, v[50:51]
	v_perm_b32 v38, v69, v68, s44
	v_perm_b32 v39, v71, v70, s44
	v_mfma_f32_16x16x16_bf16 v[6:9], v[52:53], v[10:11], v[6:9]
	v_cvt_pk_f32_fp8_sdwa v[52:53], v2 src0_sel:WORD_1
	s_waitcnt vmcnt(2)
	v_mad_i64_i32 v[76:77], s[4:5], v66, s45, v[72:73]
	v_mfma_f32_16x16x16_bf16 v[38:41], v[38:39], v[12:13], v[6:9]
	v_or_b32_e32 v50, 0x800, v50
	v_lshl_add_u64 v[46:47], v[46:47], 0, v[50:51]
	s_nop 0
	v_perm_b32 v6, v49, v48, s44
	v_perm_b32 v7, v53, v52, s44
	v_cvt_pk_f32_fp8_e32 v[8:9], v3
	v_cvt_pk_f32_fp8_sdwa v[2:3], v3 src0_sel:WORD_1
	v_mad_i64_i32 v[48:49], s[4:5], v65, s45, v[72:73]
	v_perm_b32 v52, v9, v8, s44
	v_perm_b32 v53, v3, v2, s44
	v_mfma_f32_16x16x16_bf16 v[6:9], v[6:7], v[30:31], 0
	v_cvt_pk_f32_fp8_e32 v[2:3], v4
	v_mfma_f32_16x16x16_bf16 v[68:71], v[52:53], v[32:33], v[6:9]
	v_perm_b32 v52, v3, v2, s44
	v_perm_b32 v53, v75, v74, s44
	v_cvt_pk_f32_fp8_e32 v[74:75], v5
	s_nop 1
	global_load_dwordx4 v[6:9], v[48:49], off
	global_load_dwordx4 v[2:5], v[76:77], off
	v_mfma_f32_16x16x16_bf16 v[68:71], v[52:53], v[22:23], v[68:71]
	v_perm_b32 v74, v75, v74, s44
	v_perm_b32 v75, v79, v78, s44
	s_waitcnt vmcnt(3)
	v_mad_i64_i32 v[48:49], s[4:5], v63, s45, v[72:73]
	s_waitcnt vmcnt(2)
	v_mad_i64_i32 v[52:53], s[4:5], v64, s45, v[72:73]
	v_mfma_f32_16x16x16_bf16 v[68:71], v[74:75], v[24:25], v[68:71]
	v_cvt_pk_f32_fp8_e32 v[72:73], v42
	v_cvt_pk_f32_fp8_sdwa v[74:75], v42 src0_sel:WORD_1
	v_cvt_pk_f32_fp8_e32 v[76:77], v43
	v_cvt_pk_f32_fp8_sdwa v[42:43], v43 src0_sel:WORD_1
	v_perm_b32 v72, v73, v72, s44
	v_perm_b32 v73, v75, v74, s44
	;; [unrolled: 1-line block ×4, first 2 shown]
	v_cvt_pk_f32_fp8_e32 v[42:43], v44
	v_cvt_pk_f32_fp8_sdwa v[76:77], v44 src0_sel:WORD_1
	v_mfma_f32_16x16x16_bf16 v[68:71], v[72:73], v[18:19], v[68:71]
	v_cvt_pk_f32_fp8_sdwa v[78:79], v45 src0_sel:WORD_1
	v_perm_b32 v72, v43, v42, s44
	v_perm_b32 v73, v77, v76, s44
	v_cvt_pk_f32_fp8_e32 v[76:77], v45
	v_mfma_f32_16x16x16_bf16 v[42:45], v[74:75], v[20:21], v[68:71]
	v_perm_b32 v51, v79, v78, s44
	v_cvt_pk_f32_fp8_sdwa v[74:75], v26 src0_sel:WORD_1
	v_perm_b32 v50, v77, v76, s44
	v_mfma_f32_16x16x16_bf16 v[42:45], v[72:73], v[10:11], v[42:45]
	v_cvt_pk_f32_fp8_e32 v[72:73], v26
	s_load_dword s4, s[0:1], 0x1c
	s_load_dwordx4 s[40:43], s[0:1], 0x80
	s_load_dword s46, s[0:1], 0x98
	s_waitcnt lgkmcnt(0)
	s_load_dword s5, s[40:41], 0x0
	v_mfma_f32_16x16x16_bf16 v[68:71], v[50:51], v[12:13], v[42:45]
	s_nop 2
	v_cvt_pk_f32_fp8_e32 v[42:43], v27
	v_perm_b32 v44, v73, v72, s44
	v_perm_b32 v45, v75, v74, s44
	v_cvt_pk_f32_fp8_sdwa v[26:27], v27 src0_sel:WORD_1
	v_perm_b32 v50, v43, v42, s44
	v_cvt_pk_f32_fp8_e32 v[72:73], v28
	v_cvt_pk_f32_fp8_sdwa v[74:75], v28 src0_sel:WORD_1
	v_perm_b32 v51, v27, v26, s44
	v_mfma_f32_16x16x16_bf16 v[42:45], v[44:45], v[30:31], 0
	v_perm_b32 v30, v73, v72, s44
	v_perm_b32 v31, v75, v74, s44
	v_cvt_pk_f32_fp8_e32 v[72:73], v29
	v_cvt_pk_f32_fp8_sdwa v[74:75], v29 src0_sel:WORD_1
	v_mfma_f32_16x16x16_bf16 v[26:29], v[50:51], v[32:33], v[42:45]
	v_perm_b32 v32, v73, v72, s44
	v_perm_b32 v33, v75, v74, s44
	v_mfma_f32_16x16x16_bf16 v[26:29], v[30:31], v[22:23], v[26:29]
	v_mov_b32_e32 v42, s4
	s_waitcnt lgkmcnt(0)
	v_mul_f32_e32 v50, s5, v42
	v_pk_mul_f32 v[30:31], v[50:51], v[34:35] op_sel_hi:[0,1]
	v_mfma_f32_16x16x16_bf16 v[32:35], v[32:33], v[24:25], v[26:29]
	v_cvt_pk_f32_fp8_e32 v[22:23], v14
	v_cvt_pk_f32_fp8_sdwa v[24:25], v14 src0_sel:WORD_1
	v_pk_mul_f32 v[42:43], v[50:51], v[36:37] op_sel_hi:[0,1]
	v_cvt_pk_f32_fp8_e32 v[26:27], v15
	v_cvt_pk_f32_fp8_sdwa v[14:15], v15 src0_sel:WORD_1
	v_perm_b32 v36, v23, v22, s44
	v_perm_b32 v37, v25, v24, s44
	;; [unrolled: 1-line block ×4, first 2 shown]
	v_cvt_pk_f32_fp8_e32 v[14:15], v16
	v_cvt_pk_f32_fp8_sdwa v[72:73], v16 src0_sel:WORD_1
	v_mfma_f32_16x16x16_bf16 v[32:35], v[36:37], v[18:19], v[32:35]
	global_load_dwordx4 v[26:29], v[48:49], off
	global_load_dwordx4 v[22:25], v[52:53], off
	v_perm_b32 v18, v15, v14, s44
	v_perm_b32 v19, v73, v72, s44
	v_cvt_pk_f32_fp8_e32 v[36:37], v17
	v_cvt_pk_f32_fp8_sdwa v[48:49], v17 src0_sel:WORD_1
	v_mfma_f32_16x16x16_bf16 v[14:17], v[44:45], v[20:21], v[32:35]
	v_pk_mul_f32 v[44:45], v[50:51], v[40:41] op_sel_hi:[0,1]
	v_perm_b32 v20, v37, v36, s44
	v_perm_b32 v21, v49, v48, s44
	v_mfma_f32_16x16x16_bf16 v[14:17], v[18:19], v[10:11], v[14:17]
	v_pk_mul_f32 v[48:49], v[50:51], v[38:39] op_sel_hi:[0,1]
	v_pk_mul_f32 v[38:39], v[50:51], v[70:71] op_sel_hi:[0,1]
	;; [unrolled: 1-line block ×3, first 2 shown]
	v_mfma_f32_16x16x16_bf16 v[10:13], v[20:21], v[12:13], v[14:17]
	s_nop 6
	v_pk_mul_f32 v[36:37], v[50:51], v[10:11] op_sel_hi:[0,1]
	v_and_b32_e32 v10, 0xc0, v0
	v_add_u32_e32 v10, s18, v10
	v_lshl_or_b32 v10, v59, 2, v10
	v_or_b32_e32 v11, 1, v10
	v_pk_mul_f32 v[34:35], v[50:51], v[12:13] op_sel_hi:[0,1]
	v_subrev_u32_e32 v12, s33, v11
	v_add_u32_e32 v14, 1, v12
	v_add_u32_e32 v15, 2, v12
	v_cvt_f32_i32_e32 v13, v12
	v_cvt_f32_i32_e32 v14, v14
	;; [unrolled: 1-line block ×3, first 2 shown]
	v_add_u32_e32 v16, 3, v12
	v_fma_f32 v17, v61, v13, v30
	v_fmac_f32_e32 v31, v61, v14
	v_fma_f32 v42, v61, v15, v42
	v_add_u32_e32 v13, 16, v12
	v_add_u32_e32 v14, 17, v12
	;; [unrolled: 1-line block ×3, first 2 shown]
	v_cvt_f32_i32_e32 v16, v16
	v_cvt_f32_i32_e32 v13, v13
	;; [unrolled: 1-line block ×4, first 2 shown]
	v_fmac_f32_e32 v43, v61, v16
	v_add_u32_e32 v16, 19, v12
	v_fma_f32 v52, v61, v13, v48
	v_fmac_f32_e32 v49, v61, v14
	v_fma_f32 v44, v61, v15, v44
	v_add_u32_e32 v13, 32, v12
	v_add_u32_e32 v14, 33, v12
	;; [unrolled: 1-line block ×3, first 2 shown]
	v_cvt_f32_i32_e32 v16, v16
	v_cvt_f32_i32_e32 v13, v13
	;; [unrolled: 1-line block ×4, first 2 shown]
	v_fmac_f32_e32 v45, v61, v16
	v_add_u32_e32 v16, 35, v12
	v_fma_f32 v40, v61, v13, v40
	v_fmac_f32_e32 v41, v61, v14
	v_fma_f32 v38, v61, v15, v38
	v_add_u32_e32 v13, 48, v12
	v_add_u32_e32 v14, 49, v12
	v_add_u32_e32 v15, 50, v12
	v_add_u32_e32 v12, 51, v12
	v_cvt_f32_i32_e32 v12, v12
	v_cvt_f32_i32_e32 v13, v13
	;; [unrolled: 1-line block ×3, first 2 shown]
	v_cmp_gt_i32_e64 s[4:5], s33, v10
	v_fmac_f32_e32 v35, v61, v12
	v_mov_b32_e32 v12, 0xff7fffff
	v_cmp_gt_i32_e64 s[16:17], s33, v11
	v_fma_f32 v36, v61, v13, v36
	v_cndmask_b32_e64 v13, v12, v17, s[4:5]
	v_cndmask_b32_e64 v11, v12, v31, s[16:17]
	v_fmac_f32_e32 v37, v61, v14
	v_max3_f32 v11, v13, s47, v11
	v_or_b32_e32 v13, 2, v10
	v_or_b32_e32 v14, 3, v10
	v_cmp_gt_i32_e64 s[18:19], s33, v13
	v_cmp_gt_i32_e64 s[20:21], s33, v14
	v_cvt_f32_i32_e32 v16, v16
	v_cndmask_b32_e64 v13, v12, v42, s[18:19]
	v_cndmask_b32_e64 v14, v12, v43, s[20:21]
	v_max3_f32 v11, v11, v13, v14
	v_or_b32_e32 v13, 16, v10
	v_or_b32_e32 v14, 17, v10
	v_cmp_gt_i32_e64 s[22:23], s33, v13
	v_cmp_gt_i32_e64 s[24:25], s33, v14
	v_fmac_f32_e32 v39, v61, v16
	v_cndmask_b32_e64 v13, v12, v52, s[22:23]
	v_cndmask_b32_e64 v14, v12, v49, s[24:25]
	v_max3_f32 v11, v11, v13, v14
	v_or_b32_e32 v13, 18, v10
	v_or_b32_e32 v14, 19, v10
	v_cmp_gt_i32_e64 s[26:27], s33, v13
	v_cmp_gt_i32_e64 s[28:29], s33, v14
	v_cvt_f32_i32_e32 v15, v15
	v_cndmask_b32_e64 v13, v12, v44, s[26:27]
	v_cndmask_b32_e64 v14, v12, v45, s[28:29]
	v_max3_f32 v11, v11, v13, v14
	v_or_b32_e32 v13, 32, v10
	v_or_b32_e32 v14, 33, v10
	v_cmp_gt_i32_e64 s[30:31], s33, v13
	v_cmp_gt_i32_e64 s[34:35], s33, v14
	v_fma_f32 v34, v61, v15, v34
	v_cndmask_b32_e64 v13, v12, v40, s[30:31]
	v_cndmask_b32_e64 v14, v12, v41, s[34:35]
	v_max3_f32 v11, v11, v13, v14
	v_or_b32_e32 v13, 34, v10
	v_or_b32_e32 v14, 35, v10
	v_cmp_gt_i32_e64 s[36:37], s33, v13
	v_cmp_gt_i32_e64 s[38:39], s33, v14
	s_nop 0
	v_cndmask_b32_e64 v13, v12, v38, s[36:37]
	v_cndmask_b32_e64 v14, v12, v39, s[38:39]
	v_max3_f32 v11, v11, v13, v14
	v_or_b32_e32 v13, 48, v10
	v_or_b32_e32 v14, 49, v10
	v_cmp_gt_i32_e64 s[8:9], s33, v13
	v_cmp_gt_i32_e64 s[10:11], s33, v14
	s_nop 0
	v_cndmask_b32_e64 v13, v12, v36, s[8:9]
	v_cndmask_b32_e64 v14, v12, v37, s[10:11]
	v_max3_f32 v11, v11, v13, v14
	v_or_b32_e32 v13, 50, v10
	v_or_b32_e32 v10, 51, v10
	v_cmp_gt_i32_e32 vcc, s33, v13
	v_cmp_gt_i32_e64 s[6:7], s33, v10
	s_nop 0
	v_cndmask_b32_e32 v13, v12, v34, vcc
	v_cndmask_b32_e64 v10, v12, v35, s[6:7]
	v_max3_f32 v14, v11, v13, v10
	v_mbcnt_lo_u32_b32 v10, -1, 0
	v_mbcnt_hi_u32_b32 v15, -1, v10
	v_and_b32_e32 v10, 64, v15
	v_add_u32_e32 v16, 64, v10
	v_xor_b32_e32 v10, 32, v15
	v_cmp_lt_i32_e64 s[40:41], v10, v16
	s_nop 1
	v_cndmask_b32_e64 v10, v15, v10, s[40:41]
	v_lshlrev_b32_e32 v53, 2, v10
	ds_bpermute_b32 v18, v53, v14
	v_mad_i64_i32 v[10:11], s[40:41], v65, s45, v[46:47]
	v_mad_i64_i32 v[12:13], s[40:41], v66, s45, v[46:47]
	s_waitcnt lgkmcnt(0)
	v_max_f32_e32 v18, v18, v18
	v_max_f32_e32 v18, v14, v18
	v_xor_b32_e32 v14, 16, v15
	v_cmp_lt_i32_e64 s[40:41], v14, v16
	s_nop 1
	v_cndmask_b32_e64 v14, v15, v14, s[40:41]
	v_lshlrev_b32_e32 v61, 2, v14
	ds_bpermute_b32 v16, v61, v18
	v_mad_i64_i32 v[14:15], s[40:41], v63, s45, v[46:47]
	v_mad_i64_i32 v[46:47], s[40:41], v64, s45, v[46:47]
	s_waitcnt lgkmcnt(0)
	v_max_f32_e32 v16, v16, v16
	v_max_f32_e32 v48, v18, v16
	v_sub_f32_e32 v16, v31, v48
	global_load_dwordx4 v[30:33], v[10:11], off
	global_load_dwordx4 v[18:21], v[12:13], off
	v_sub_f32_e32 v10, v17, v48
	v_mul_f32_e32 v10, 0x3fb8aa3b, v10
	v_exp_f32_e32 v50, v10
	v_mul_f32_e32 v10, 0x3fb8aa3b, v16
	v_exp_f32_e32 v51, v10
	v_sub_f32_e32 v10, v42, v48
	v_mul_f32_e32 v10, 0x3fb8aa3b, v10
	v_exp_f32_e32 v42, v10
	v_sub_f32_e32 v10, v43, v48
	v_mul_f32_e32 v10, 0x3fb8aa3b, v10
	v_exp_f32_e32 v43, v10
	global_load_dwordx4 v[14:17], v[14:15], off
	s_nop 0
	global_load_dwordx4 v[10:13], v[46:47], off
	v_sub_f32_e32 v40, v40, v48
	v_sub_f32_e32 v38, v38, v48
	v_mul_f32_e32 v40, 0x3fb8aa3b, v40
	v_mul_f32_e32 v38, 0x3fb8aa3b, v38
	v_cndmask_b32_e64 v47, 0, v51, s[16:17]
	v_cndmask_b32_e64 v51, 0, v43, s[20:21]
	v_sub_f32_e32 v43, v49, v48
	v_exp_f32_e32 v40, v40
	v_exp_f32_e32 v49, v38
	v_cndmask_b32_e64 v46, 0, v50, s[4:5]
	v_cndmask_b32_e64 v50, 0, v42, s[18:19]
	v_sub_f32_e32 v42, v52, v48
	v_mul_f32_e32 v42, 0x3fb8aa3b, v42
	v_sub_f32_e32 v38, v39, v48
	v_exp_f32_e32 v42, v42
	v_mul_f32_e32 v43, 0x3fb8aa3b, v43
	v_sub_f32_e32 v44, v44, v48
	v_mul_f32_e32 v38, 0x3fb8aa3b, v38
	v_exp_f32_e32 v43, v43
	v_mul_f32_e32 v44, 0x3fb8aa3b, v44
	v_sub_f32_e32 v45, v45, v48
	v_exp_f32_e32 v52, v38
	v_cndmask_b32_e64 v38, 0, v40, s[30:31]
	v_cndmask_b32_e64 v40, 0, v49, s[36:37]
	v_add_f32_e32 v49, 0, v46
	v_exp_f32_e32 v44, v44
	v_mul_f32_e32 v45, 0x3fb8aa3b, v45
	v_add_f32_e32 v49, v49, v47
	v_exp_f32_e32 v45, v45
	v_sub_f32_e32 v41, v41, v48
	v_add_f32_e32 v49, v49, v50
	v_cndmask_b32_e64 v42, 0, v42, s[22:23]
	v_mul_f32_e32 v41, 0x3fb8aa3b, v41
	v_add_f32_e32 v49, v49, v51
	v_cndmask_b32_e64 v43, 0, v43, s[24:25]
	v_exp_f32_e32 v41, v41
	v_add_f32_e32 v49, v49, v42
	v_cndmask_b32_e64 v44, 0, v44, s[26:27]
	v_add_f32_e32 v49, v49, v43
	v_sub_f32_e32 v36, v36, v48
	v_cndmask_b32_e64 v45, 0, v45, s[28:29]
	v_add_f32_e32 v49, v49, v44
	v_mul_f32_e32 v36, 0x3fb8aa3b, v36
	v_sub_f32_e32 v37, v37, v48
	v_add_f32_e32 v49, v49, v45
	v_exp_f32_e32 v36, v36
	v_mul_f32_e32 v37, 0x3fb8aa3b, v37
	v_sub_f32_e32 v34, v34, v48
	v_cndmask_b32_e64 v39, 0, v41, s[34:35]
	v_add_f32_e32 v49, v49, v38
	v_exp_f32_e32 v37, v37
	v_mul_f32_e32 v34, 0x3fb8aa3b, v34
	v_sub_f32_e32 v35, v35, v48
	v_add_f32_e32 v49, v49, v39
	v_exp_f32_e32 v34, v34
	v_mul_f32_e32 v35, 0x3fb8aa3b, v35
	v_cndmask_b32_e64 v41, 0, v52, s[38:39]
	v_add_f32_e32 v49, v49, v40
	v_exp_f32_e32 v35, v35
	v_add_f32_e32 v49, v49, v41
	v_cndmask_b32_e64 v36, 0, v36, s[8:9]
	v_add_f32_e32 v49, v49, v36
	v_cndmask_b32_e64 v37, 0, v37, s[10:11]
	v_add_f32_e32 v49, v49, v37
	v_cndmask_b32_e32 v34, 0, v34, vcc
	v_add_f32_e32 v49, v49, v34
	v_cndmask_b32_e64 v35, 0, v35, s[6:7]
	v_add_f32_e32 v49, v49, v35
	ds_bpermute_b32 v52, v53, v49
	v_cmp_gt_u32_e32 vcc, 16, v55
	s_waitcnt lgkmcnt(0)
	s_barrier
	v_add_f32_e32 v49, v49, v52
	ds_bpermute_b32 v52, v61, v49
	s_and_saveexec_b64 s[4:5], vcc
	s_cbranch_execz .LBB1347_15
; %bb.14:
	s_waitcnt lgkmcnt(0)
	v_add_f32_e32 v49, v49, v52
	v_lshlrev_b32_e32 v52, 2, v62
	ds_write2st64_b32 v52, v48, v49 offset1:1
.LBB1347_15:
	s_or_b64 exec, exec, s[4:5]
	v_lshlrev_b32_e32 v49, 2, v56
	s_load_dword s6, s[0:1], 0x94
	s_waitcnt lgkmcnt(0)
	s_barrier
	ds_read2_b32 v[52:53], v49 offset1:16
	ds_read2_b32 v[62:63], v49 offset0:32 offset1:48
	ds_read2_b32 v[64:65], v49 offset0:64 offset1:80
	s_movk_i32 s8, 0x7fff
	s_lshl_b32 s7, s46, 2
	s_waitcnt lgkmcnt(2)
	v_max3_f32 v48, v52, s47, v53
	s_waitcnt lgkmcnt(1)
	v_max3_f32 v48, v48, v62, v63
	v_sub_f32_e32 v52, v52, v48
	v_mul_f32_e32 v52, 0x3fb8aa3b, v52
	v_exp_f32_e32 v55, v52
	v_sub_f32_e32 v52, v53, v48
	v_mul_f32_e32 v52, 0x3fb8aa3b, v52
	v_exp_f32_e32 v61, v52
	v_sub_f32_e32 v52, v62, v48
	v_mul_f32_e32 v52, 0x3fb8aa3b, v52
	v_exp_f32_e32 v62, v52
	ds_read2_b32 v[52:53], v49 offset0:96 offset1:112
	v_sub_f32_e32 v49, v63, v48
	v_mul_f32_e32 v49, 0x3fb8aa3b, v49
	v_exp_f32_e32 v63, v49
	s_waitcnt lgkmcnt(1)
	v_fma_f32 v49, v55, v64, 0
	v_fmac_f32_e32 v49, v61, v65
	s_waitcnt lgkmcnt(0)
	v_fmac_f32_e32 v49, v62, v52
	v_fmac_f32_e32 v49, v63, v53
	v_add_f32_e32 v52, 0x358637bd, v49
	v_div_scale_f32 v53, s[4:5], v52, v52, 1.0
	v_rcp_f32_e32 v64, v53
	s_barrier
	v_fma_f32 v65, -v53, v64, 1.0
	v_fmac_f32_e32 v64, v65, v64
	v_div_scale_f32 v65, vcc, 1.0, v52, 1.0
	v_mul_f32_e32 v66, v65, v64
	v_fma_f32 v67, -v53, v66, v65
	v_fmac_f32_e32 v66, v67, v64
	v_fma_f32 v53, -v53, v66, v65
	v_div_fmas_f32 v53, v53, v64, v66
	v_cmp_eq_u32_e32 vcc, 1, v60
	v_div_fixup_f32 v52, v53, v52, 1.0
	s_nop 0
	v_cndmask_b32_e32 v53, v55, v61, vcc
	v_cmp_eq_u32_e32 vcc, 2, v60
	s_nop 1
	v_cndmask_b32_e32 v53, v53, v62, vcc
	v_cmp_eq_u32_e32 vcc, 3, v60
	s_nop 1
	v_cndmask_b32_e32 v53, v53, v63, vcc
	v_mul_f32_e32 v52, v53, v52
	v_pk_mul_f32 v[46:47], v[52:53], v[46:47] op_sel_hi:[0,1]
	v_pk_mul_f32 v[50:51], v[52:53], v[50:51] op_sel_hi:[0,1]
	v_bfe_u32 v53, v47, 16, 1
	v_bfe_u32 v55, v46, 16, 1
	v_add3_u32 v46, v46, v55, s8
	v_add3_u32 v47, v47, v53, s8
	v_perm_b32 v62, v47, v46, s44
	v_bfe_u32 v46, v51, 16, 1
	v_bfe_u32 v47, v50, 16, 1
	v_add3_u32 v47, v50, v47, s8
	v_add3_u32 v46, v51, v46, s8
	v_perm_b32 v63, v46, v47, s44
	v_lshlrev_b32_e32 v47, 3, v59
	v_lshlrev_b32_e32 v46, 5, v56
	;; [unrolled: 1-line block ×3, first 2 shown]
	v_pk_mul_f32 v[42:43], v[52:53], v[42:43] op_sel_hi:[0,1]
	v_or3_b32 v55, v50, v46, v47
	v_bfe_u32 v47, v43, 16, 1
	v_bfe_u32 v50, v42, 16, 1
	v_pk_mul_f32 v[44:45], v[52:53], v[44:45] op_sel_hi:[0,1]
	v_add3_u32 v42, v42, v50, s8
	v_add3_u32 v43, v43, v47, s8
	v_perm_b32 v42, v43, v42, s44
	v_bfe_u32 v43, v45, 16, 1
	v_bfe_u32 v47, v44, 16, 1
	v_add3_u32 v44, v44, v47, s8
	v_add3_u32 v43, v45, v43, s8
	v_perm_b32 v43, v43, v44, s44
	v_pk_mul_f32 v[38:39], v[52:53], v[38:39] op_sel_hi:[0,1]
	ds_write2st64_b64 v55, v[62:63], v[42:43] offset1:1
	v_bfe_u32 v42, v39, 16, 1
	v_bfe_u32 v43, v38, 16, 1
	v_pk_mul_f32 v[40:41], v[52:53], v[40:41] op_sel_hi:[0,1]
	v_add3_u32 v38, v38, v43, s8
	v_add3_u32 v39, v39, v42, s8
	v_perm_b32 v38, v39, v38, s44
	v_bfe_u32 v39, v41, 16, 1
	v_bfe_u32 v42, v40, 16, 1
	v_add3_u32 v40, v40, v42, s8
	v_add3_u32 v39, v41, v39, s8
	v_pk_mul_f32 v[36:37], v[52:53], v[36:37] op_sel_hi:[0,1]
	v_perm_b32 v39, v39, v40, s44
	v_bfe_u32 v40, v37, 16, 1
	v_bfe_u32 v41, v36, 16, 1
	v_pk_mul_f32 v[34:35], v[52:53], v[34:35] op_sel_hi:[0,1]
	v_add3_u32 v36, v36, v41, s8
	v_add3_u32 v37, v37, v40, s8
	v_perm_b32 v36, v37, v36, s44
	v_bfe_u32 v37, v35, 16, 1
	v_bfe_u32 v40, v34, 16, 1
	v_add3_u32 v34, v34, v40, s8
	v_add3_u32 v35, v35, v37, s8
	v_perm_b32 v37, v35, v34, s44
	v_cmp_gt_u32_e32 vcc, 4, v0
	ds_write2st64_b64 v55, v[38:39], v[36:37] offset0:2 offset1:3
	s_and_saveexec_b64 s[4:5], vcc
	s_cbranch_execz .LBB1347_17
; %bb.16:
	v_or_b32_e32 v34, s13, v0
	v_mov_b32_e32 v35, 0
	v_mov_b32_e32 v36, s7
	v_mad_u64_u32 v[36:37], s[10:11], s2, v36, v[34:35]
	v_mov_b32_e32 v34, s12
	s_load_dwordx4 s[16:19], s[0:1], 0x58
	s_mul_i32 s3, s3, s7
	v_mad_u64_u32 v[34:35], s[10:11], v36, s6, v[34:35]
	v_add_u32_e32 v37, s3, v37
	v_mov_b32_e32 v36, v35
	v_mad_u64_u32 v[36:37], s[10:11], v37, s6, v[36:37]
	v_mov_b32_e32 v35, v36
	v_lshlrev_b64 v[34:35], 2, v[34:35]
	s_waitcnt lgkmcnt(0)
	v_lshl_add_u64 v[36:37], s[18:19], 0, v[34:35]
	v_lshl_add_u64 v[34:35], s[16:17], 0, v[34:35]
	global_store_dword v[36:37], v48, off
	global_store_dword v[34:35], v49, off
.LBB1347_17:
	s_or_b64 exec, exec, s[4:5]
	s_waitcnt vmcnt(7)
	v_cvt_pk_f32_fp8_e32 v[34:35], v6
	v_cvt_pk_f32_fp8_sdwa v[36:37], v6 src0_sel:WORD_1
	v_lshl_or_b32 v50, v59, 9, v46
	s_mov_b32 s5, 0x7060302
	s_waitcnt lgkmcnt(0)
	s_barrier
	v_cvt_pk_f32_fp8_e32 v[38:39], v7
	v_perm_b32 v6, v35, v34, s5
	v_cvt_pk_f32_fp8_sdwa v[40:41], v7 src0_sel:WORD_1
	v_perm_b32 v7, v37, v36, s5
	ds_read_b128 v[34:37], v50
	v_perm_b32 v46, v39, v38, s5
	v_perm_b32 v47, v41, v40, s5
	ds_read_b128 v[38:41], v50 offset:16
	v_cvt_pk_f32_fp8_e32 v[48:49], v8
	v_cvt_pk_f32_fp8_sdwa v[52:53], v8 src0_sel:WORD_1
	s_waitcnt lgkmcnt(1)
	v_mfma_f32_16x16x16_bf16 v[42:45], v[6:7], v[34:35], 0
	s_waitcnt vmcnt(6)
	v_cvt_pk_f32_fp8_e32 v[60:61], v4
	v_perm_b32 v6, v49, v48, s5
	v_perm_b32 v7, v53, v52, s5
	v_cvt_pk_f32_fp8_e32 v[48:49], v9
	v_mfma_f32_16x16x16_bf16 v[42:45], v[46:47], v[36:37], v[42:45]
	v_cvt_pk_f32_fp8_sdwa v[46:47], v9 src0_sel:WORD_1
	v_cvt_pk_f32_fp8_sdwa v[62:63], v4 src0_sel:WORD_1
	v_perm_b32 v48, v49, v48, s5
	s_waitcnt lgkmcnt(0)
	v_mfma_f32_16x16x16_bf16 v[6:9], v[6:7], v[38:39], v[42:45]
	v_perm_b32 v49, v47, v46, s5
	s_waitcnt vmcnt(5)
	v_cvt_pk_f32_fp8_e32 v[64:65], v28
	v_cvt_pk_f32_fp8_sdwa v[66:67], v28 src0_sel:WORD_1
	v_cvt_pk_f32_fp8_e32 v[42:43], v2
	v_mfma_f32_16x16x16_bf16 v[46:49], v[48:49], v[40:41], v[6:9]
	s_waitcnt vmcnt(4)
	v_cvt_pk_f32_fp8_sdwa v[68:69], v24 src0_sel:WORD_1
	s_load_dword s4, s[42:43], 0x0
	v_cvt_pk_f32_fp8_sdwa v[6:7], v2 src0_sel:WORD_1
	v_cvt_pk_f32_fp8_e32 v[8:9], v3
	v_perm_b32 v2, v43, v42, s5
	v_cvt_pk_f32_fp8_sdwa v[42:43], v3 src0_sel:WORD_1
	v_perm_b32 v3, v7, v6, s5
	v_perm_b32 v52, v9, v8, s5
	ds_read_b128 v[6:9], v50 offset:2048
	v_perm_b32 v53, v43, v42, s5
	ds_read_b128 v[42:45], v50 offset:2064
	s_waitcnt lgkmcnt(0)
	v_mfma_f32_16x16x16_bf16 v[46:49], v[2:3], v[6:7], v[46:49]
	v_perm_b32 v2, v61, v60, s5
	v_perm_b32 v3, v63, v62, s5
	v_cvt_pk_f32_fp8_e32 v[60:61], v5
	v_mfma_f32_16x16x16_bf16 v[46:49], v[52:53], v[8:9], v[46:49]
	v_cvt_pk_f32_fp8_sdwa v[52:53], v5 src0_sel:WORD_1
	s_waitcnt vmcnt(3)
	v_cvt_pk_f32_fp8_sdwa v[70:71], v32 src0_sel:WORD_1
	v_perm_b32 v60, v61, v60, s5
	v_mfma_f32_16x16x16_bf16 v[2:5], v[2:3], v[42:43], v[46:49]
	v_perm_b32 v61, v53, v52, s5
	s_mov_b32 s3, 0
	s_nop 0
	v_cvt_pk_f32_fp8_e32 v[46:47], v26
	v_mfma_f32_16x16x16_bf16 v[60:63], v[60:61], v[44:45], v[2:5]
	s_nop 2
	v_cvt_pk_f32_fp8_sdwa v[2:3], v26 src0_sel:WORD_1
	v_cvt_pk_f32_fp8_e32 v[4:5], v27
	v_perm_b32 v26, v47, v46, s5
	v_cvt_pk_f32_fp8_sdwa v[46:47], v27 src0_sel:WORD_1
	v_perm_b32 v27, v3, v2, s5
	v_perm_b32 v52, v5, v4, s5
	ds_read_b128 v[2:5], v50 offset:4096
	v_perm_b32 v53, v47, v46, s5
	ds_read_b128 v[46:49], v50 offset:4112
	s_waitcnt lgkmcnt(1)
	v_mfma_f32_16x16x16_bf16 v[60:63], v[26:27], v[2:3], v[60:63]
	v_perm_b32 v26, v65, v64, s5
	v_perm_b32 v27, v67, v66, s5
	v_cvt_pk_f32_fp8_e32 v[64:65], v29
	v_mfma_f32_16x16x16_bf16 v[60:63], v[52:53], v[4:5], v[60:63]
	v_cvt_pk_f32_fp8_sdwa v[52:53], v29 src0_sel:WORD_1
	v_cvt_pk_f32_fp8_e32 v[66:67], v24
	v_perm_b32 v64, v65, v64, s5
	s_waitcnt lgkmcnt(0)
	v_mfma_f32_16x16x16_bf16 v[26:29], v[26:27], v[46:47], v[60:63]
	v_perm_b32 v65, v53, v52, s5
	v_cvt_pk_f32_fp8_e32 v[52:53], v22
	s_nop 0
	v_mfma_f32_16x16x16_bf16 v[60:63], v[64:65], v[48:49], v[26:29]
	s_nop 2
	v_cvt_pk_f32_fp8_sdwa v[26:27], v22 src0_sel:WORD_1
	v_cvt_pk_f32_fp8_e32 v[28:29], v23
	v_perm_b32 v22, v53, v52, s5
	v_cvt_pk_f32_fp8_sdwa v[52:53], v23 src0_sel:WORD_1
	v_perm_b32 v23, v27, v26, s5
	v_perm_b32 v64, v29, v28, s5
	ds_read_b128 v[26:29], v50 offset:6144
	v_perm_b32 v65, v53, v52, s5
	s_waitcnt lgkmcnt(0)
	v_mfma_f32_16x16x16_bf16 v[60:63], v[22:23], v[26:27], v[60:63]
	ds_read_b128 v[50:53], v50 offset:6160
	v_perm_b32 v22, v67, v66, s5
	v_perm_b32 v23, v69, v68, s5
	v_cvt_pk_f32_fp8_e32 v[66:67], v25
	v_mfma_f32_16x16x16_bf16 v[60:63], v[64:65], v[28:29], v[60:63]
	v_cvt_pk_f32_fp8_sdwa v[64:65], v25 src0_sel:WORD_1
	v_cvt_pk_f32_fp8_e32 v[68:69], v32
	v_perm_b32 v66, v67, v66, s5
	s_waitcnt lgkmcnt(0)
	v_mfma_f32_16x16x16_bf16 v[22:25], v[22:23], v[50:51], v[60:63]
	v_perm_b32 v67, v65, v64, s5
	s_barrier
	s_nop 0
	v_mfma_f32_16x16x16_bf16 v[60:63], v[66:67], v[52:53], v[22:25]
	s_nop 2
	v_cvt_pk_f32_fp8_e32 v[24:25], v30
	v_perm_b32 v24, v25, v24, s5
	s_nop 1
	v_pk_mul_f32 v[22:23], v[62:63], s[4:5] op_sel_hi:[1,0]
	v_cvt_pk_f32_fp8_sdwa v[62:63], v30 src0_sel:WORD_1
	v_pk_mul_f32 v[64:65], v[60:61], s[4:5] op_sel_hi:[1,0]
	v_cvt_pk_f32_fp8_e32 v[60:61], v31
	v_cvt_pk_f32_fp8_sdwa v[30:31], v31 src0_sel:WORD_1
	v_perm_b32 v25, v63, v62, s5
	v_bfe_u32 v59, v65, 16, 1
	v_perm_b32 v66, v61, v60, s5
	v_perm_b32 v67, v31, v30, s5
	v_mfma_f32_16x16x16_bf16 v[60:63], v[24:25], v[34:35], 0
	v_perm_b32 v24, v69, v68, s5
	v_perm_b32 v25, v71, v70, s5
	v_cvt_pk_f32_fp8_e32 v[34:35], v33
	v_cvt_pk_f32_fp8_sdwa v[68:69], v33 src0_sel:WORD_1
	v_mfma_f32_16x16x16_bf16 v[30:33], v[66:67], v[36:37], v[60:63]
	s_waitcnt vmcnt(2)
	v_cvt_pk_f32_fp8_sdwa v[36:37], v18 src0_sel:WORD_1
	v_perm_b32 v34, v35, v34, s5
	v_perm_b32 v35, v69, v68, s5
	v_mfma_f32_16x16x16_bf16 v[30:33], v[24:25], v[38:39], v[30:33]
	v_cvt_pk_f32_fp8_e32 v[24:25], v18
	v_cvt_pk_f32_fp8_sdwa v[38:39], v20 src0_sel:WORD_1
	v_bfe_u32 v60, v64, 16, 1
	v_mfma_f32_16x16x16_bf16 v[30:33], v[34:35], v[40:41], v[30:33]
	v_cvt_pk_f32_fp8_e32 v[34:35], v19
	v_perm_b32 v24, v25, v24, s5
	v_perm_b32 v25, v37, v36, s5
	v_cvt_pk_f32_fp8_sdwa v[18:19], v19 src0_sel:WORD_1
	v_perm_b32 v34, v35, v34, s5
	v_cvt_pk_f32_fp8_e32 v[36:37], v20
	v_mfma_f32_16x16x16_bf16 v[30:33], v[24:25], v[6:7], v[30:33]
	v_perm_b32 v35, v19, v18, s5
	v_perm_b32 v18, v37, v36, s5
	;; [unrolled: 1-line block ×3, first 2 shown]
	v_cvt_pk_f32_fp8_e32 v[24:25], v21
	v_cvt_pk_f32_fp8_sdwa v[20:21], v21 src0_sel:WORD_1
	v_mfma_f32_16x16x16_bf16 v[6:9], v[34:35], v[8:9], v[30:33]
	v_perm_b32 v24, v25, v24, s5
	v_perm_b32 v25, v21, v20, s5
	v_mfma_f32_16x16x16_bf16 v[6:9], v[18:19], v[42:43], v[6:9]
	s_waitcnt vmcnt(1)
	v_cvt_pk_f32_fp8_e32 v[18:19], v14
	v_cvt_pk_f32_fp8_sdwa v[20:21], v14 src0_sel:WORD_1
	v_cvt_pk_f32_fp8_sdwa v[30:31], v16 src0_sel:WORD_1
	v_mfma_f32_16x16x16_bf16 v[6:9], v[24:25], v[44:45], v[6:9]
	v_cvt_pk_f32_fp8_e32 v[24:25], v15
	v_perm_b32 v18, v19, v18, s5
	v_perm_b32 v19, v21, v20, s5
	v_cvt_pk_f32_fp8_sdwa v[14:15], v15 src0_sel:WORD_1
	v_perm_b32 v20, v25, v24, s5
	v_cvt_pk_f32_fp8_e32 v[24:25], v16
	v_mfma_f32_16x16x16_bf16 v[6:9], v[18:19], v[2:3], v[6:9]
	v_perm_b32 v21, v15, v14, s5
	v_perm_b32 v14, v25, v24, s5
	;; [unrolled: 1-line block ×3, first 2 shown]
	v_cvt_pk_f32_fp8_e32 v[18:19], v17
	v_cvt_pk_f32_fp8_sdwa v[16:17], v17 src0_sel:WORD_1
	v_mfma_f32_16x16x16_bf16 v[2:5], v[20:21], v[4:5], v[6:9]
	v_add3_u32 v32, v64, v60, s8
	v_add3_u32 v33, v65, v59, s8
	s_nop 0
	v_perm_b32 v8, v19, v18, s5
	v_perm_b32 v9, v17, v16, s5
	v_mfma_f32_16x16x16_bf16 v[2:5], v[14:15], v[46:47], v[2:5]
	s_waitcnt vmcnt(0)
	v_cvt_pk_f32_fp8_e32 v[14:15], v10
	v_cvt_pk_f32_fp8_sdwa v[16:17], v10 src0_sel:WORD_1
	v_cvt_pk_f32_fp8_sdwa v[18:19], v12 src0_sel:WORD_1
	v_mfma_f32_16x16x16_bf16 v[2:5], v[8:9], v[48:49], v[2:5]
	v_cvt_pk_f32_fp8_e32 v[8:9], v11
	v_perm_b32 v14, v15, v14, s5
	v_perm_b32 v15, v17, v16, s5
	v_cvt_pk_f32_fp8_sdwa v[10:11], v11 src0_sel:WORD_1
	v_perm_b32 v8, v9, v8, s5
	v_cvt_pk_f32_fp8_e32 v[16:17], v12
	v_mfma_f32_16x16x16_bf16 v[2:5], v[14:15], v[26:27], v[2:5]
	v_perm_b32 v9, v11, v10, s5
	v_perm_b32 v10, v17, v16, s5
	;; [unrolled: 1-line block ×3, first 2 shown]
	v_cvt_pk_f32_fp8_e32 v[14:15], v13
	v_cvt_pk_f32_fp8_sdwa v[12:13], v13 src0_sel:WORD_1
	v_mfma_f32_16x16x16_bf16 v[2:5], v[8:9], v[28:29], v[2:5]
	v_bfe_u32 v7, v23, 16, 1
	v_perm_b32 v8, v15, v14, s5
	v_perm_b32 v9, v13, v12, s5
	v_mfma_f32_16x16x16_bf16 v[2:5], v[10:11], v[50:51], v[2:5]
	v_bfe_u32 v16, v22, 16, 1
	v_add3_u32 v10, v22, v16, s8
	v_add3_u32 v7, v23, v7, s8
	v_mfma_f32_16x16x16_bf16 v[2:5], v[8:9], v[52:53], v[2:5]
	v_perm_b32 v6, v33, v32, s5
	v_perm_b32 v7, v7, v10, s5
	s_nop 4
	v_pk_mul_f32 v[2:3], v[2:3], s[4:5] op_sel_hi:[1,0]
	v_pk_mul_f32 v[4:5], v[4:5], s[4:5] op_sel_hi:[1,0]
	v_bfe_u32 v8, v3, 16, 1
	v_bfe_u32 v9, v2, 16, 1
	v_add3_u32 v2, v2, v9, s8
	v_add3_u32 v3, v3, v8, s8
	v_perm_b32 v2, v3, v2, s5
	v_bfe_u32 v3, v5, 16, 1
	v_bfe_u32 v8, v4, 16, 1
	v_add3_u32 v4, v4, v8, s8
	v_add3_u32 v3, v5, v3, s8
	v_perm_b32 v3, v3, v4, s5
	ds_write2st64_b64 v55, v[6:7], v[2:3] offset1:1
	s_waitcnt lgkmcnt(0)
	s_barrier
	s_and_saveexec_b64 s[4:5], s[14:15]
	s_cbranch_execz .LBB1347_19
; %bb.18:
	s_load_dwordx2 s[0:1], s[0:1], 0x68
	s_lshl_b32 s6, s6, 7
	s_mul_i32 s2, s7, s2
	v_lshlrev_b32_e32 v3, 6, v56
	s_mul_hi_u32 s5, s2, s6
	s_mul_i32 s4, s2, s6
	v_lshl_or_b32 v0, v0, 10, v3
	s_lshl_b64 s[4:5], s[4:5], 1
	v_and_b32_e32 v2, 16, v58
	v_and_b32_e32 v0, 0x1a00, v0
	s_waitcnt lgkmcnt(0)
	s_add_u32 s4, s0, s4
	v_or3_b32 v0, v0, v57, v2
	s_addc_u32 s5, s1, s5
	s_lshl_b32 s2, s12, 7
	ds_read_b128 v[2:5], v0
	s_lshl_b64 s[0:1], s[2:3], 1
	s_add_u32 s0, s4, s0
	s_addc_u32 s1, s5, s1
	v_mad_u64_u32 v[0:1], s[2:3], s6, v1, 0
	v_lshl_add_u64 v[0:1], v[0:1], 1, s[0:1]
	v_mov_b32_e32 v55, 0
	v_lshl_add_u64 v[0:1], v[0:1], 0, v[54:55]
	s_waitcnt lgkmcnt(0)
	global_store_dwordx4 v[0:1], v[2:5], off
.LBB1347_19:
	s_endpgm
	.section	.rodata,"a",@progbits
	.p2align	6, 0x0
	.amdhsa_kernel _Z39paged_attention_ll4mi_QKV_mfma16_kernelI14__hip_bfloat16hLN4vllm18Fp8KVCacheDataTypeE1EhLi32ELi128ELi256ELb1ELi4EEvPKT_PKT0_S8_ifPKiSA_SA_iPKfiiiPfSD_PS3_PT2_iSC_SC_
		.amdhsa_group_segment_fixed_size 8192
		.amdhsa_private_segment_fixed_size 0
		.amdhsa_kernarg_size 400
		.amdhsa_user_sgpr_count 2
		.amdhsa_user_sgpr_dispatch_ptr 0
		.amdhsa_user_sgpr_queue_ptr 0
		.amdhsa_user_sgpr_kernarg_segment_ptr 1
		.amdhsa_user_sgpr_dispatch_id 0
		.amdhsa_user_sgpr_kernarg_preload_length 0
		.amdhsa_user_sgpr_kernarg_preload_offset 0
		.amdhsa_user_sgpr_private_segment_size 0
		.amdhsa_uses_dynamic_stack 0
		.amdhsa_enable_private_segment 0
		.amdhsa_system_sgpr_workgroup_id_x 1
		.amdhsa_system_sgpr_workgroup_id_y 1
		.amdhsa_system_sgpr_workgroup_id_z 1
		.amdhsa_system_sgpr_workgroup_info 0
		.amdhsa_system_vgpr_workitem_id 0
		.amdhsa_next_free_vgpr 80
		.amdhsa_next_free_sgpr 48
		.amdhsa_accum_offset 80
		.amdhsa_reserve_vcc 1
		.amdhsa_float_round_mode_32 0
		.amdhsa_float_round_mode_16_64 0
		.amdhsa_float_denorm_mode_32 3
		.amdhsa_float_denorm_mode_16_64 3
		.amdhsa_dx10_clamp 1
		.amdhsa_ieee_mode 1
		.amdhsa_fp16_overflow 0
		.amdhsa_tg_split 0
		.amdhsa_exception_fp_ieee_invalid_op 0
		.amdhsa_exception_fp_denorm_src 0
		.amdhsa_exception_fp_ieee_div_zero 0
		.amdhsa_exception_fp_ieee_overflow 0
		.amdhsa_exception_fp_ieee_underflow 0
		.amdhsa_exception_fp_ieee_inexact 0
		.amdhsa_exception_int_div_zero 0
	.end_amdhsa_kernel
	.section	.text._Z39paged_attention_ll4mi_QKV_mfma16_kernelI14__hip_bfloat16hLN4vllm18Fp8KVCacheDataTypeE1EhLi32ELi128ELi256ELb1ELi4EEvPKT_PKT0_S8_ifPKiSA_SA_iPKfiiiPfSD_PS3_PT2_iSC_SC_,"axG",@progbits,_Z39paged_attention_ll4mi_QKV_mfma16_kernelI14__hip_bfloat16hLN4vllm18Fp8KVCacheDataTypeE1EhLi32ELi128ELi256ELb1ELi4EEvPKT_PKT0_S8_ifPKiSA_SA_iPKfiiiPfSD_PS3_PT2_iSC_SC_,comdat
.Lfunc_end1347:
	.size	_Z39paged_attention_ll4mi_QKV_mfma16_kernelI14__hip_bfloat16hLN4vllm18Fp8KVCacheDataTypeE1EhLi32ELi128ELi256ELb1ELi4EEvPKT_PKT0_S8_ifPKiSA_SA_iPKfiiiPfSD_PS3_PT2_iSC_SC_, .Lfunc_end1347-_Z39paged_attention_ll4mi_QKV_mfma16_kernelI14__hip_bfloat16hLN4vllm18Fp8KVCacheDataTypeE1EhLi32ELi128ELi256ELb1ELi4EEvPKT_PKT0_S8_ifPKiSA_SA_iPKfiiiPfSD_PS3_PT2_iSC_SC_
                                        ; -- End function
	.section	.AMDGPU.csdata,"",@progbits
; Kernel info:
; codeLenInByte = 6576
; NumSgprs: 54
; NumVgprs: 80
; NumAgprs: 0
; TotalNumVgprs: 80
; ScratchSize: 0
; MemoryBound: 0
; FloatMode: 240
; IeeeMode: 1
; LDSByteSize: 8192 bytes/workgroup (compile time only)
; SGPRBlocks: 6
; VGPRBlocks: 9
; NumSGPRsForWavesPerEU: 54
; NumVGPRsForWavesPerEU: 80
; AccumOffset: 80
; Occupancy: 6
; WaveLimiterHint : 1
; COMPUTE_PGM_RSRC2:SCRATCH_EN: 0
; COMPUTE_PGM_RSRC2:USER_SGPR: 2
; COMPUTE_PGM_RSRC2:TRAP_HANDLER: 0
; COMPUTE_PGM_RSRC2:TGID_X_EN: 1
; COMPUTE_PGM_RSRC2:TGID_Y_EN: 1
; COMPUTE_PGM_RSRC2:TGID_Z_EN: 1
; COMPUTE_PGM_RSRC2:TIDIG_COMP_CNT: 0
; COMPUTE_PGM_RSRC3_GFX90A:ACCUM_OFFSET: 19
; COMPUTE_PGM_RSRC3_GFX90A:TG_SPLIT: 0
	.section	.text._Z38paged_attention_ll4mi_QKV_mfma4_kernelI14__hip_bfloat16hLN4vllm18Fp8KVCacheDataTypeE1EhLi32ELi128ELi256ELb0ELi1EEvPKT_PKT0_S8_ifPKiSA_SA_iPKfiiiPfSD_PS3_PT2_iSC_SC_,"axG",@progbits,_Z38paged_attention_ll4mi_QKV_mfma4_kernelI14__hip_bfloat16hLN4vllm18Fp8KVCacheDataTypeE1EhLi32ELi128ELi256ELb0ELi1EEvPKT_PKT0_S8_ifPKiSA_SA_iPKfiiiPfSD_PS3_PT2_iSC_SC_,comdat
	.protected	_Z38paged_attention_ll4mi_QKV_mfma4_kernelI14__hip_bfloat16hLN4vllm18Fp8KVCacheDataTypeE1EhLi32ELi128ELi256ELb0ELi1EEvPKT_PKT0_S8_ifPKiSA_SA_iPKfiiiPfSD_PS3_PT2_iSC_SC_ ; -- Begin function _Z38paged_attention_ll4mi_QKV_mfma4_kernelI14__hip_bfloat16hLN4vllm18Fp8KVCacheDataTypeE1EhLi32ELi128ELi256ELb0ELi1EEvPKT_PKT0_S8_ifPKiSA_SA_iPKfiiiPfSD_PS3_PT2_iSC_SC_
	.globl	_Z38paged_attention_ll4mi_QKV_mfma4_kernelI14__hip_bfloat16hLN4vllm18Fp8KVCacheDataTypeE1EhLi32ELi128ELi256ELb0ELi1EEvPKT_PKT0_S8_ifPKiSA_SA_iPKfiiiPfSD_PS3_PT2_iSC_SC_
	.p2align	8
	.type	_Z38paged_attention_ll4mi_QKV_mfma4_kernelI14__hip_bfloat16hLN4vllm18Fp8KVCacheDataTypeE1EhLi32ELi128ELi256ELb0ELi1EEvPKT_PKT0_S8_ifPKiSA_SA_iPKfiiiPfSD_PS3_PT2_iSC_SC_,@function
_Z38paged_attention_ll4mi_QKV_mfma4_kernelI14__hip_bfloat16hLN4vllm18Fp8KVCacheDataTypeE1EhLi32ELi128ELi256ELb0ELi1EEvPKT_PKT0_S8_ifPKiSA_SA_iPKfiiiPfSD_PS3_PT2_iSC_SC_: ; @_Z38paged_attention_ll4mi_QKV_mfma4_kernelI14__hip_bfloat16hLN4vllm18Fp8KVCacheDataTypeE1EhLi32ELi128ELi256ELb0ELi1EEvPKT_PKT0_S8_ifPKiSA_SA_iPKfiiiPfSD_PS3_PT2_iSC_SC_
; %bb.0:
	s_load_dwordx2 s[20:21], s[0:1], 0x30
	s_mov_b32 s24, s3
	s_mov_b64 s[6:7], 0
	s_waitcnt lgkmcnt(0)
	s_cmp_lg_u64 s[20:21], 0
	s_cselect_b64 s[22:23], -1, 0
	s_and_b64 vcc, exec, s[22:23]
	s_cbranch_vccz .LBB1348_10
; %bb.1:
	s_add_i32 s8, s2, 1
	s_mov_b32 s9, 0
	s_lshl_b64 s[10:11], s[8:9], 2
	s_add_u32 s10, s20, s10
	s_mov_b32 s3, s9
	s_addc_u32 s11, s21, s11
	s_lshl_b64 s[8:9], s[2:3], 2
	s_add_u32 s8, s20, s8
	s_addc_u32 s9, s21, s9
	s_load_dword s5, s[10:11], 0x0
	s_load_dword s12, s[8:9], 0x0
	s_waitcnt lgkmcnt(0)
	s_sub_i32 s5, s5, s12
	s_cmp_eq_u32 s5, 1
	s_cselect_b64 s[8:9], -1, 0
	s_andn2_b64 vcc, exec, s[6:7]
	s_cbranch_vccnz .LBB1348_3
.LBB1348_2:
	s_mov_b32 s3, 0
	s_mov_b64 s[8:9], -1
.LBB1348_3:
	s_andn2_b64 vcc, exec, s[8:9]
	s_cbranch_vccnz .LBB1348_25
; %bb.4:
	s_load_dword s5, s[0:1], 0x9c
	s_load_dwordx2 s[6:7], s[0:1], 0x28
	s_add_u32 s28, s0, 0x90
	s_addc_u32 s29, s1, 0
	s_lshl_b64 s[34:35], s[2:3], 2
	s_waitcnt lgkmcnt(0)
	s_and_b32 s5, s5, 0xffff
	s_add_u32 s6, s6, s34
	s_addc_u32 s7, s7, s35
	s_load_dword s3, s[6:7], 0x0
	s_mul_i32 s10, s24, s5
	s_waitcnt lgkmcnt(0)
	s_cmp_ge_i32 s10, s3
	s_cbranch_scc1 .LBB1348_25
; %bb.5:
	v_and_b32_e32 v1, 0xc0, v0
	v_add_u32_e32 v4, s10, v1
	v_lshrrev_b32_e32 v38, 6, v0
	v_cmp_le_i32_e64 s[6:7], s3, v4
                                        ; implicit-def: $sgpr25
                                        ; implicit-def: $sgpr11
	s_and_saveexec_b64 s[8:9], s[6:7]
	s_xor_b64 s[8:9], exec, s[8:9]
	s_cbranch_execz .LBB1348_7
; %bb.6:
	v_mul_u32_u24_e32 v1, 20, v38
	v_or_b32_e32 v1, 0x1400, v1
	v_mov_b32_e32 v2, 0x1450
	v_mov_b32_e32 v3, 0xff7fffff
	v_mad_u32_u24 v2, v38, 20, v2
	ds_write2_b32 v1, v3, v3 offset1:1
	v_mov_b32_e32 v1, 0
	ds_write2_b32 v2, v1, v1 offset1:1
	v_mov_b32_e32 v2, 0x1408
	v_mov_b32_e32 v4, 0x1458
	s_mov_b32 s11, 0xff7fffff
	s_mov_b32 s25, 0
	v_mad_u32_u24 v2, v38, 20, v2
	v_mad_u32_u24 v4, v38, 20, v4
	ds_write2_b32 v2, v3, v3 offset1:1
	ds_write2_b32 v4, v1, v1 offset1:1
                                        ; implicit-def: $vgpr4
.LBB1348_7:
	s_or_saveexec_b64 s[30:31], s[8:9]
	s_load_dwordx2 s[26:27], s[0:1], 0x68
	s_load_dwordx4 s[16:19], s[0:1], 0x58
	s_load_dword s5, s[28:29], 0x4
	s_load_dwordx4 s[12:15], s[0:1], 0x80
	v_and_b32_e32 v1, 63, v0
	v_and_b32_e32 v39, 3, v0
	v_mov_b32_e32 v37, s25
	v_mov_b32_e32 v41, s11
	;; [unrolled: 1-line block ×5, first 2 shown]
                                        ; implicit-def: $vgpr30_vgpr31
                                        ; implicit-def: $vgpr18_vgpr19
                                        ; implicit-def: $vgpr26_vgpr27
                                        ; implicit-def: $vgpr14_vgpr15
                                        ; implicit-def: $vgpr6_vgpr7
                                        ; implicit-def: $vgpr2_vgpr3
                                        ; implicit-def: $vgpr22_vgpr23
                                        ; implicit-def: $vgpr10_vgpr11
	s_xor_b64 exec, exec, s[30:31]
	s_cbranch_execz .LBB1348_17
; %bb.8:
	s_load_dwordx2 s[8:9], s[0:1], 0x20
	s_load_dword s11, s[0:1], 0x38
	s_add_i32 s25, s3, 31
	s_ashr_i32 s33, s25, 31
	s_lshr_b32 s33, s33, 27
	v_add_u32_e32 v36, s10, v0
	s_add_i32 s25, s25, s33
	v_ashrrev_i32_e32 v2, 31, v36
	s_ashr_i32 s25, s25, 5
	v_lshrrev_b32_e32 v2, 27, v2
	s_add_i32 s25, s25, -1
	s_waitcnt lgkmcnt(0)
	s_mul_i32 s36, s2, s11
	s_mov_b32 s37, 0
	v_add_u32_e32 v2, v36, v2
	s_lshl_b64 s[36:37], s[36:37], 2
	v_ashrrev_i32_e32 v2, 5, v2
	v_mov_b32_e32 v3, s25
	v_cmp_gt_i32_e32 vcc, s3, v36
	s_add_u32 s8, s8, s36
	s_addc_u32 s9, s9, s37
	v_cndmask_b32_e32 v2, v3, v2, vcc
	v_ashrrev_i32_e32 v3, 31, v2
	v_lshl_add_u64 v[6:7], v[2:3], 2, s[8:9]
	v_ashrrev_i32_e32 v2, 31, v4
	v_lshrrev_b32_e32 v2, 27, v2
	v_add_u32_e32 v2, v4, v2
	v_ashrrev_i32_e32 v8, 5, v2
	v_min_i32_e32 v2, s25, v8
	v_ashrrev_i32_e32 v3, 31, v2
	v_lshl_add_u64 v[4:5], v[2:3], 2, s[8:9]
	v_add_u32_e32 v2, 1, v8
	v_min_i32_e32 v2, s25, v2
	v_ashrrev_i32_e32 v3, 31, v2
	v_lshl_add_u64 v[8:9], v[2:3], 2, s[8:9]
	global_load_dword v2, v[6:7], off
	global_load_dword v26, v[4:5], off
	;; [unrolled: 1-line block ×3, first 2 shown]
	s_load_dwordx4 s[8:11], s[0:1], 0x8
	s_andn2_b64 vcc, exec, s[22:23]
	s_cbranch_vccnz .LBB1348_11
; %bb.9:
	s_add_u32 s20, s20, s34
	s_addc_u32 s21, s21, s35
	s_load_dword s25, s[20:21], 0x0
	s_branch .LBB1348_12
.LBB1348_10:
	s_mov_b64 s[8:9], 0
	s_branch .LBB1348_2
.LBB1348_11:
	s_mov_b32 s25, s2
.LBB1348_12:
	s_load_dwordx4 s[20:23], s[0:1], 0x48
	v_cmp_eq_u32_e32 vcc, 0, v39
	s_mov_b32 s37, 0
	v_mov_b32_e32 v37, 0
	v_mov_b32_e32 v23, 0
	;; [unrolled: 1-line block ×6, first 2 shown]
	s_and_saveexec_b64 s[34:35], vcc
	s_cbranch_execz .LBB1348_14
; %bb.13:
	s_load_dwordx2 s[38:39], s[0:1], 0x0
	s_waitcnt lgkmcnt(0)
	s_ashr_i32 s23, s20, 31
	s_mul_hi_u32 s33, s25, s20
	s_mul_i32 s23, s25, s23
	s_add_i32 s41, s33, s23
	s_mul_i32 s40, s25, s20
	s_lshl_b64 s[40:41], s[40:41], 1
	s_add_u32 s20, s38, s40
	s_addc_u32 s23, s39, s41
	s_lshl_b32 s36, s4, 7
	s_lshl_b64 s[36:37], s[36:37], 1
	s_add_u32 s36, s20, s36
	s_addc_u32 s37, s23, s37
	v_lshlrev_b32_e32 v3, 2, v1
	global_load_dwordx4 v[10:13], v3, s[36:37]
	v_mov_b32_e32 v37, 1.0
.LBB1348_14:
	s_or_b64 exec, exec, s[34:35]
	s_waitcnt lgkmcnt(0)
	s_mul_i32 s20, s4, s22
	s_add_u32 s8, s20, s8
	s_addc_u32 s9, 0, s9
	v_mov_b64_e32 v[4:5], s[8:9]
	s_waitcnt vmcnt(2)
	v_mad_i64_i32 v[2:3], s[8:9], v2, s21, v[4:5]
	v_lshlrev_b32_e32 v4, 4, v0
	v_and_b32_e32 v22, 0x1f0, v4
	v_lshl_add_u64 v[24:25], v[2:3], 0, v[22:23]
	global_load_dwordx4 v[18:21], v[24:25], off
	global_load_dwordx4 v[14:17], v[24:25], off offset:512
	global_load_dwordx4 v[6:9], v[24:25], off offset:1024
	;; [unrolled: 1-line block ×7, first 2 shown]
	s_waitcnt vmcnt(9)
	v_mul_hi_i32 v22, v26, s21
	s_waitcnt vmcnt(8)
	v_mul_hi_i32 v28, v27, s21
	v_ashrrev_i32_e32 v22, 31, v22
	v_ashrrev_i32_e32 v28, 31, v28
	v_mov_b32_e32 v29, v23
	v_lshrrev_b32_e32 v28, 29, v28
	v_lshrrev_b32_e32 v22, 29, v22
	s_add_u32 s10, s10, s20
	v_mad_i64_i32 v[28:29], s[22:23], v27, s21, v[28:29]
	v_mad_i64_i32 v[26:27], s[20:21], v26, s21, v[22:23]
	s_addc_u32 s11, s11, 0
	v_and_b32_e32 v28, -8, v28
	v_and_b32_e32 v26, -8, v26
	v_lshl_add_u64 v[28:29], s[10:11], 0, v[28:29]
	v_lshlrev_b32_e32 v22, 5, v1
	v_lshl_add_u64 v[26:27], s[10:11], 0, v[26:27]
	v_lshl_add_u64 v[34:35], v[28:29], 0, v[22:23]
	;; [unrolled: 1-line block ×3, first 2 shown]
	s_mov_b32 s8, 0x7060302
	s_load_dword s0, s[0:1], 0x1c
	v_cmp_eq_u32_e32 vcc, 1, v39
	s_waitcnt vmcnt(7)
	v_cvt_pk_f32_fp8_e32 v[26:27], v18
	v_cvt_pk_f32_fp8_sdwa v[28:29], v18 src0_sel:WORD_1
	v_cvt_pk_f32_fp8_e32 v[30:31], v19
	v_cvt_pk_f32_fp8_sdwa v[18:19], v19 src0_sel:WORD_1
	;; [unrolled: 2-line block ×3, first 2 shown]
	s_waitcnt vmcnt(4)
	v_cvt_pk_f32_fp8_e32 v[88:89], v2
	v_cvt_pk_f32_fp8_sdwa v[90:91], v2 src0_sel:WORD_1
	v_cvt_pk_f32_fp8_e32 v[92:93], v3
	v_cvt_pk_f32_fp8_sdwa v[94:95], v3 src0_sel:WORD_1
	v_perm_b32 v2, v27, v26, s8
	v_perm_b32 v3, v29, v28, s8
	v_cvt_pk_f32_fp8_e32 v[58:59], v21
	v_cvt_pk_f32_fp8_sdwa v[20:21], v21 src0_sel:WORD_1
	v_mfma_f32_4x4x4_16b_bf16 a[0:3], v[10:11], v[2:3], 0 cbsz:4
	v_perm_b32 v24, v31, v30, s8
	v_perm_b32 v25, v19, v18, s8
	v_cvt_pk_f32_fp8_e32 v[60:61], v14
	v_cvt_pk_f32_fp8_sdwa v[62:63], v14 src0_sel:WORD_1
	v_mfma_f32_4x4x4_16b_bf16 a[0:3], v[12:13], v[24:25], a[0:3] cbsz:4
	v_perm_b32 v26, v33, v32, s8
	v_perm_b32 v27, v57, v56, s8
	v_cvt_pk_f32_fp8_e32 v[64:65], v15
	v_cvt_pk_f32_fp8_sdwa v[14:15], v15 src0_sel:WORD_1
	v_mfma_f32_4x4x4_16b_bf16 a[0:3], v[10:11], v[26:27], a[0:3] cbsz:4 abid:1
	v_perm_b32 v28, v59, v58, s8
	v_perm_b32 v29, v21, v20, s8
	v_cvt_pk_f32_fp8_e32 v[66:67], v16
	v_cvt_pk_f32_fp8_sdwa v[68:69], v16 src0_sel:WORD_1
	v_mfma_f32_4x4x4_16b_bf16 a[0:3], v[12:13], v[28:29], a[0:3] cbsz:4 abid:1
	;; [unrolled: 5-line block ×5, first 2 shown]
	v_cvt_pk_f32_fp8_e32 v[80:81], v8
	v_cvt_pk_f32_fp8_sdwa v[82:83], v8 src0_sel:WORD_1
	v_cvt_pk_f32_fp8_e32 v[84:85], v9
	v_cvt_pk_f32_fp8_sdwa v[86:87], v9 src0_sel:WORD_1
	;; [unrolled: 2-line block ×4, first 2 shown]
	global_load_dwordx4 v[18:21], v[22:23], off offset:16
	global_load_dwordx4 v[30:33], v[22:23], off
	global_load_dwordx4 v[2:5], v[22:23], off offset:2064
	global_load_dwordx4 v[6:9], v[22:23], off offset:2048
	v_perm_b32 v22, v71, v70, s8
	v_perm_b32 v23, v17, v16, s8
	;; [unrolled: 1-line block ×4, first 2 shown]
	v_mfma_f32_4x4x4_16b_bf16 a[0:3], v[12:13], v[22:23], a[0:3] cbsz:4 abid:3
	v_perm_b32 v24, v77, v76, s8
	v_perm_b32 v25, v79, v78, s8
	v_mfma_f32_4x4x4_16b_bf16 a[0:3], v[10:11], v[16:17], a[0:3] cbsz:4 abid:4
	v_perm_b32 v26, v81, v80, s8
	v_perm_b32 v27, v83, v82, s8
	;; [unrolled: 3-line block ×7, first 2 shown]
	v_mfma_f32_4x4x4_16b_bf16 a[0:3], v[10:11], v[22:23], a[0:3] cbsz:4 abid:7
	s_waitcnt vmcnt(7)
	v_cvt_pk_f32_fp8_e32 v[22:23], v40
	v_cvt_pk_f32_fp8_e32 v[56:57], v41
	v_mfma_f32_4x4x4_16b_bf16 a[0:3], v[12:13], v[24:25], a[0:3] cbsz:4 abid:7
	v_cvt_pk_f32_fp8_sdwa v[24:25], v40 src0_sel:WORD_1
	v_cvt_pk_f32_fp8_sdwa v[40:41], v41 src0_sel:WORD_1
	v_perm_b32 v22, v23, v22, s8
	global_load_dwordx4 v[14:17], v[34:35], off offset:16
	global_load_dwordx4 v[26:29], v[34:35], off
	v_perm_b32 v23, v25, v24, s8
	v_perm_b32 v24, v57, v56, s8
	;; [unrolled: 1-line block ×3, first 2 shown]
	v_mfma_f32_4x4x4_16b_bf16 a[0:3], v[10:11], v[22:23], a[0:3] cbsz:4 abid:8
	v_cvt_pk_f32_fp8_e32 v[22:23], v42
	v_cvt_pk_f32_fp8_e32 v[40:41], v43
	v_mfma_f32_4x4x4_16b_bf16 a[0:3], v[12:13], v[24:25], a[0:3] cbsz:4 abid:8
	v_cvt_pk_f32_fp8_sdwa v[24:25], v42 src0_sel:WORD_1
	v_cvt_pk_f32_fp8_sdwa v[42:43], v43 src0_sel:WORD_1
	v_perm_b32 v22, v23, v22, s8
	s_load_dword s1, s[12:13], 0x0
	v_perm_b32 v23, v25, v24, s8
	v_perm_b32 v24, v41, v40, s8
	v_perm_b32 v25, v43, v42, s8
	v_mfma_f32_4x4x4_16b_bf16 a[0:3], v[10:11], v[22:23], a[0:3] cbsz:4 abid:9
	s_waitcnt vmcnt(8)
	v_cvt_pk_f32_fp8_e32 v[22:23], v44
	v_cvt_pk_f32_fp8_e32 v[40:41], v45
	v_mfma_f32_4x4x4_16b_bf16 a[0:3], v[12:13], v[24:25], a[0:3] cbsz:4 abid:9
	v_cvt_pk_f32_fp8_sdwa v[24:25], v44 src0_sel:WORD_1
	v_cvt_pk_f32_fp8_sdwa v[42:43], v45 src0_sel:WORD_1
	v_perm_b32 v22, v23, v22, s8
	v_perm_b32 v23, v25, v24, s8
	;; [unrolled: 1-line block ×3, first 2 shown]
	s_nop 0
	v_mfma_f32_4x4x4_16b_bf16 a[0:3], v[10:11], v[22:23], a[0:3] cbsz:4 abid:10
	v_perm_b32 v25, v43, v42, s8
	v_cvt_pk_f32_fp8_e32 v[22:23], v46
	v_cvt_pk_f32_fp8_e32 v[40:41], v47
	v_mfma_f32_4x4x4_16b_bf16 a[0:3], v[12:13], v[24:25], a[0:3] cbsz:4 abid:10
	v_cvt_pk_f32_fp8_sdwa v[24:25], v46 src0_sel:WORD_1
	v_cvt_pk_f32_fp8_sdwa v[42:43], v47 src0_sel:WORD_1
	v_perm_b32 v22, v23, v22, s8
	v_perm_b32 v23, v25, v24, s8
	;; [unrolled: 1-line block ×3, first 2 shown]
	s_nop 0
	v_mfma_f32_4x4x4_16b_bf16 a[0:3], v[10:11], v[22:23], a[0:3] cbsz:4 abid:11
	v_perm_b32 v25, v43, v42, s8
	s_waitcnt vmcnt(7)
	v_cvt_pk_f32_fp8_e32 v[22:23], v48
	v_cvt_pk_f32_fp8_e32 v[40:41], v49
	v_mfma_f32_4x4x4_16b_bf16 a[0:3], v[12:13], v[24:25], a[0:3] cbsz:4 abid:11
	v_cvt_pk_f32_fp8_sdwa v[24:25], v48 src0_sel:WORD_1
	v_cvt_pk_f32_fp8_sdwa v[42:43], v49 src0_sel:WORD_1
	v_perm_b32 v22, v23, v22, s8
	v_perm_b32 v23, v25, v24, s8
	;; [unrolled: 1-line block ×3, first 2 shown]
	s_nop 0
	v_mfma_f32_4x4x4_16b_bf16 a[0:3], v[10:11], v[22:23], a[0:3] cbsz:4 abid:12
	v_perm_b32 v25, v43, v42, s8
	v_cvt_pk_f32_fp8_e32 v[22:23], v50
	v_cvt_pk_f32_fp8_e32 v[40:41], v51
	v_mfma_f32_4x4x4_16b_bf16 a[0:3], v[12:13], v[24:25], a[0:3] cbsz:4 abid:12
	v_cvt_pk_f32_fp8_sdwa v[24:25], v50 src0_sel:WORD_1
	v_cvt_pk_f32_fp8_sdwa v[42:43], v51 src0_sel:WORD_1
	v_perm_b32 v22, v23, v22, s8
	v_perm_b32 v23, v25, v24, s8
	;; [unrolled: 1-line block ×3, first 2 shown]
	s_nop 0
	v_mfma_f32_4x4x4_16b_bf16 a[0:3], v[10:11], v[22:23], a[0:3] cbsz:4 abid:13
	v_perm_b32 v25, v43, v42, s8
	s_waitcnt vmcnt(6)
	v_cvt_pk_f32_fp8_e32 v[22:23], v52
	v_cvt_pk_f32_fp8_e32 v[40:41], v53
	v_mfma_f32_4x4x4_16b_bf16 a[0:3], v[12:13], v[24:25], a[0:3] cbsz:4 abid:13
	v_cvt_pk_f32_fp8_sdwa v[24:25], v52 src0_sel:WORD_1
	v_cvt_pk_f32_fp8_sdwa v[42:43], v53 src0_sel:WORD_1
	v_perm_b32 v22, v23, v22, s8
	v_perm_b32 v23, v25, v24, s8
	;; [unrolled: 1-line block ×3, first 2 shown]
	s_nop 0
	v_mfma_f32_4x4x4_16b_bf16 a[0:3], v[10:11], v[22:23], a[0:3] cbsz:4 abid:14
	v_cvt_pk_f32_fp8_e32 v[22:23], v54
	v_cvt_pk_f32_fp8_sdwa v[40:41], v54 src0_sel:WORD_1
	v_perm_b32 v25, v43, v42, s8
	v_perm_b32 v22, v23, v22, s8
	s_nop 0
	v_mfma_f32_4x4x4_16b_bf16 a[0:3], v[12:13], v[24:25], a[0:3] cbsz:4 abid:14
	v_cvt_pk_f32_fp8_e32 v[24:25], v55
	v_perm_b32 v23, v41, v40, s8
	v_cvt_pk_f32_fp8_sdwa v[40:41], v55 src0_sel:WORD_1
	v_perm_b32 v24, v25, v24, s8
	v_mfma_f32_4x4x4_16b_bf16 a[0:3], v[10:11], v[22:23], a[0:3] cbsz:4 abid:15
	v_perm_b32 v25, v41, v40, s8
	s_waitcnt lgkmcnt(0)
	v_mov_b32_e32 v10, s0
	v_mul_f32_e32 v40, s1, v10
	v_mfma_f32_4x4x4_16b_bf16 a[0:3], v[12:13], v[24:25], a[0:3] cbsz:4 abid:15
	s_nop 4
	v_accvgpr_read_b32 v11, a1
	v_accvgpr_read_b32 v10, a0
	v_pk_mul_f32 v[42:43], v[10:11], v[40:41] op_sel_hi:[1,0]
	global_load_dwordx4 v[10:13], v[34:35], off offset:2064
	global_load_dwordx4 v[22:25], v[34:35], off offset:2048
	v_accvgpr_read_b32 v35, a3
	v_accvgpr_read_b32 v34, a2
	v_pk_mul_f32 v[34:35], v[34:35], v[40:41] op_sel_hi:[1,0]
	v_mfma_f32_4x4x1_16b_f32 a[0:3], v42, v37, 0
	v_cndmask_b32_e64 v37, 0, 1.0, vcc
	v_cmp_eq_u32_e32 vcc, 2, v39
	v_mov_b32_e32 v41, 0xff7fffff
	v_mfma_f32_4x4x1_16b_f32 a[0:3], v43, v37, a[0:3]
	v_cndmask_b32_e64 v37, 0, 1.0, vcc
	v_cmp_eq_u32_e32 vcc, 3, v39
	s_nop 0
	v_mfma_f32_4x4x1_16b_f32 a[0:3], v34, v37, a[0:3]
	v_cndmask_b32_e64 v34, 0, 1.0, vcc
	s_nop 1
	v_mfma_f32_4x4x1_16b_f32 a[0:3], v35, v34, a[0:3]
	v_and_b32_e32 v34, -4, v36
	v_cmp_gt_i32_e32 vcc, s3, v34
	v_or_b32_e32 v36, 3, v36
	v_cmp_gt_i32_e64 s[10:11], s3, v36
	v_accvgpr_read_b32 v37, a0
	v_max_f32_e32 v40, v37, v37
	v_max_f32_e32 v40, 0xff7fffff, v40
	v_accvgpr_read_b32 v42, a1
	v_cndmask_b32_e32 v40, v41, v40, vcc
	v_or_b32_e32 v41, 1, v34
	v_max_f32_e32 v43, v42, v42
	v_max_f32_e32 v43, v40, v43
	v_cmp_gt_i32_e64 s[0:1], s3, v41
	v_or_b32_e32 v34, 2, v34
	v_cmp_gt_i32_e64 s[8:9], s3, v34
	v_cndmask_b32_e64 v40, v40, v43, s[0:1]
	v_accvgpr_read_b32 v43, a2
	v_max_f32_e32 v41, v43, v43
	v_max_f32_e32 v41, v40, v41
	v_cndmask_b32_e64 v34, v40, v41, s[8:9]
	v_accvgpr_read_b32 v40, a3
	v_max_f32_e32 v41, v40, v40
	v_max_f32_e32 v41, v34, v41
	v_lshlrev_b32_e32 v35, 2, v0
	v_cndmask_b32_e64 v34, v34, v41, s[10:11]
	v_and_or_b32 v35, v35, 48, v39
	;;#ASMSTART
	v_nop
 v_nop
 v_max_f32_dpp v34, v34, v34 row_ror:4
	;;#ASMEND
	v_lshlrev_b32_e32 v44, 2, v35
	;;#ASMSTART
	v_nop
 v_nop
 v_max_f32_dpp v34, v34, v34 row_ror:8
	;;#ASMEND
	ds_bpermute_b32 v34, v44, v34
	s_waitcnt lgkmcnt(0)
	;;#ASMSTART
	v_nop
 v_nop
 v_max_f32_dpp v34, v34, v34 row_ror:4
	;;#ASMEND
	s_nop 0
	;;#ASMSTART
	v_nop
 v_nop
 v_max_f32_dpp v41, v34, v34 row_ror:8
	;;#ASMEND
	s_nop 0
	v_sub_f32_e32 v34, v37, v41
	v_mul_f32_e32 v34, 0x3fb8aa3b, v34
	v_sub_f32_e32 v35, v42, v41
	v_exp_f32_e32 v34, v34
	v_mul_f32_e32 v35, 0x3fb8aa3b, v35
	v_sub_f32_e32 v37, v43, v41
	v_exp_f32_e32 v35, v35
	;; [unrolled: 3-line block ×3, first 2 shown]
	v_mul_f32_e32 v40, 0x3fb8aa3b, v40
	v_exp_f32_e32 v40, v40
	v_cndmask_b32_e32 v34, 0, v34, vcc
	v_add_f32_e32 v36, 0, v34
	v_cndmask_b32_e64 v35, 0, v35, s[0:1]
	v_add_f32_e32 v42, v36, v35
	v_cndmask_b32_e64 v36, 0, v37, s[8:9]
	;; [unrolled: 2-line block ×3, first 2 shown]
	v_add_f32_e32 v40, v42, v37
	;;#ASMSTART
	v_nop
 v_nop
 v_add_f32_dpp v40, v40, v40 row_ror:4
	;;#ASMEND
	v_cmp_gt_u32_e32 vcc, 4, v1
	;;#ASMSTART
	v_nop
 v_nop
 v_add_f32_dpp v40, v40, v40 row_ror:8
	;;#ASMEND
	ds_bpermute_b32 v40, v44, v40
	s_waitcnt lgkmcnt(0)
	;;#ASMSTART
	v_nop
 v_nop
 v_add_f32_dpp v40, v40, v40 row_ror:4
	;;#ASMEND
	s_nop 0
	;;#ASMSTART
	v_nop
 v_nop
 v_add_f32_dpp v40, v40, v40 row_ror:8
	;;#ASMEND
	s_and_saveexec_b64 s[0:1], vcc
	s_cbranch_execz .LBB1348_16
; %bb.15:
	v_mul_u32_u24_e32 v42, 20, v38
	v_lshl_add_u32 v42, v39, 2, v42
	v_add_u32_e32 v42, 0x1400, v42
	ds_write2_b32 v42, v41, v40 offset1:20
.LBB1348_16:
	s_or_b64 exec, exec, s[0:1]
.LBB1348_17:
	s_or_b64 exec, exec, s[30:31]
	s_waitcnt lgkmcnt(0)
	s_barrier
	s_load_dword s0, s[28:29], 0x8
	v_lshlrev_b32_e32 v40, 2, v39
	v_add_u32_e32 v43, 0x1400, v40
	ds_read2_b32 v[44:45], v43 offset1:5
	ds_read2_b32 v[46:47], v43 offset0:10 offset1:15
	s_mul_i32 s1, s5, s2
	s_waitcnt lgkmcnt(0)
	s_mul_i32 s0, s1, s0
	s_mov_b32 s1, 0xff7fffff
	v_max3_f32 v40, v44, s1, v45
	v_max3_f32 v42, v40, v46, v47
	v_sub_f32_e32 v40, v44, v42
	v_sub_f32_e32 v44, v45, v42
	v_mul_f32_e32 v44, 0x3fb8aa3b, v44
	ds_read2_b32 v[48:49], v43 offset0:20 offset1:25
	v_mul_f32_e32 v40, 0x3fb8aa3b, v40
	v_exp_f32_e32 v51, v44
	ds_read2_b32 v[44:45], v43 offset0:30 offset1:35
	v_sub_f32_e32 v43, v46, v42
	v_exp_f32_e32 v50, v40
	v_mul_f32_e32 v43, 0x3fb8aa3b, v43
	v_exp_f32_e32 v46, v43
	v_sub_f32_e32 v43, v47, v42
	v_mul_f32_e32 v43, 0x3fb8aa3b, v43
	v_exp_f32_e32 v47, v43
	s_waitcnt lgkmcnt(1)
	v_fma_f32 v43, v50, v48, 0
	v_fmac_f32_e32 v43, v51, v49
	s_waitcnt lgkmcnt(0)
	v_fmac_f32_e32 v43, v46, v44
	v_mov_b32_e32 v40, 0
	v_fmac_f32_e32 v43, v47, v45
	s_mov_b32 s1, 0
	v_cmp_eq_u32_e32 vcc, 0, v39
	s_and_saveexec_b64 s[2:3], vcc
	s_cbranch_execz .LBB1348_19
; %bb.18:
	s_lshl_b64 s[8:9], s[0:1], 2
	s_add_u32 s12, s16, s8
	s_mov_b32 s25, s1
	s_addc_u32 s13, s17, s9
	s_lshl_b64 s[10:11], s[24:25], 2
	s_add_u32 s12, s12, s10
	s_addc_u32 s13, s13, s11
	s_add_u32 s8, s18, s8
	s_addc_u32 s9, s19, s9
	;; [unrolled: 2-line block ×3, first 2 shown]
	s_mul_i32 s8, s5, s4
	s_mov_b32 s9, s1
	s_lshl_b64 s[8:9], s[8:9], 2
	s_add_u32 s10, s12, s8
	s_addc_u32 s11, s13, s9
	s_add_u32 s8, s16, s8
	s_addc_u32 s9, s17, s9
	global_store_dword v40, v42, s[8:9]
	global_store_dword v40, v43, s[10:11]
.LBB1348_19:
	s_or_b64 exec, exec, s[2:3]
	v_lshlrev_b32_e32 v40, 3, v38
                                        ; implicit-def: $sgpr1
	s_and_saveexec_b64 s[2:3], s[6:7]
	s_xor_b64 s[2:3], exec, s[2:3]
	s_cbranch_execz .LBB1348_21
; %bb.20:
	s_waitcnt vmcnt(5)
	v_mov_b32_e32 v2, 0
	v_mad_u32_u24 v4, v1, 40, v40
	s_mov_b32 s1, 0
	v_mov_b32_e32 v3, v2
	ds_write_b64 v4, v[2:3]
                                        ; implicit-def: $vgpr37
                                        ; implicit-def: $vgpr35
                                        ; implicit-def: $vgpr41
                                        ; implicit-def: $vgpr30_vgpr31
                                        ; implicit-def: $vgpr18_vgpr19
                                        ; implicit-def: $vgpr26_vgpr27
                                        ; implicit-def: $vgpr14_vgpr15
                                        ; implicit-def: $vgpr6_vgpr7
                                        ; implicit-def: $vgpr2_vgpr3
                                        ; implicit-def: $vgpr22_vgpr23
                                        ; implicit-def: $vgpr10_vgpr11
                                        ; implicit-def: $vgpr42
                                        ; implicit-def: $vgpr43
.LBB1348_21:
	s_or_saveexec_b64 s[2:3], s[2:3]
	v_mov_b32_e32 v38, s1
	v_mov_b32_e32 v39, s1
	s_xor_b64 exec, exec, s[2:3]
	s_cbranch_execz .LBB1348_23
; %bb.22:
	v_add_f32_e32 v38, 0x358637bd, v43
	v_div_scale_f32 v39, s[6:7], v38, v38, 1.0
	v_rcp_f32_e32 v43, v39
	v_sub_f32_e32 v41, v41, v42
	v_mul_f32_e32 v41, 0x3fb8aa3b, v41
	v_exp_f32_e32 v41, v41
	v_fma_f32 v42, -v39, v43, 1.0
	v_fmac_f32_e32 v43, v42, v43
	v_div_scale_f32 v42, vcc, 1.0, v38, 1.0
	v_mul_f32_e32 v44, v42, v43
	v_fma_f32 v45, -v39, v44, v42
	v_fmac_f32_e32 v44, v45, v43
	v_fma_f32 v39, -v39, v44, v42
	v_div_fmas_f32 v39, v39, v43, v44
	v_div_fixup_f32 v38, v39, v38, 1.0
	v_mul_f32_e32 v38, v41, v38
	v_pk_mul_f32 v[34:35], v[34:35], v[38:39] op_sel_hi:[1,0]
	v_pk_mul_f32 v[36:37], v[36:37], v[38:39] op_sel_hi:[1,0]
	v_bfe_u32 v38, v35, 16, 1
	v_bfe_u32 v39, v34, 16, 1
	s_movk_i32 s1, 0x7fff
	v_add3_u32 v34, v34, v39, s1
	v_add3_u32 v35, v35, v38, s1
	s_mov_b32 s7, 0x7060302
	v_perm_b32 v34, v35, v34, s7
	v_bfe_u32 v35, v37, 16, 1
	v_bfe_u32 v38, v36, 16, 1
	v_add3_u32 v36, v36, v38, s1
	v_add3_u32 v35, v37, v35, s1
	v_perm_b32 v35, v35, v36, s7
	s_waitcnt vmcnt(6)
	v_cvt_pk_f32_fp8_e32 v[36:37], v30
	v_cvt_pk_f32_fp8_sdwa v[38:39], v30 src0_sel:WORD_1
	v_cvt_pk_f32_fp8_e32 v[42:43], v31
	v_cvt_pk_f32_fp8_sdwa v[30:31], v31 src0_sel:WORD_1
	v_perm_b32 v36, v37, v36, s7
	v_perm_b32 v37, v39, v38, s7
	;; [unrolled: 1-line block ×4, first 2 shown]
	v_mfma_f32_4x4x4_16b_bf16 a[0:3], v[34:35], v[36:37], 0 cbsz:4
	v_cvt_pk_f32_fp8_e32 v[30:31], v32
	v_cvt_pk_f32_fp8_sdwa v[36:37], v32 src0_sel:WORD_1
	v_mfma_f32_4x4x4_16b_bf16 a[0:3], v[34:35], v[38:39], a[0:3] cbsz:4 abid:1
	v_cvt_pk_f32_fp8_e32 v[38:39], v33
	v_cvt_pk_f32_fp8_sdwa v[32:33], v33 src0_sel:WORD_1
	v_perm_b32 v30, v31, v30, s7
	v_perm_b32 v31, v37, v36, s7
	v_perm_b32 v36, v39, v38, s7
	v_perm_b32 v37, v33, v32, s7
	v_mfma_f32_4x4x4_16b_bf16 a[0:3], v[34:35], v[30:31], a[0:3] cbsz:4 abid:2
	v_cvt_pk_f32_fp8_e32 v[30:31], v18
	v_cvt_pk_f32_fp8_sdwa v[32:33], v18 src0_sel:WORD_1
	v_mfma_f32_4x4x4_16b_bf16 a[0:3], v[34:35], v[36:37], a[0:3] cbsz:4 abid:3
	v_cvt_pk_f32_fp8_e32 v[36:37], v19
	v_cvt_pk_f32_fp8_sdwa v[18:19], v19 src0_sel:WORD_1
	v_perm_b32 v30, v31, v30, s7
	v_perm_b32 v31, v33, v32, s7
	v_perm_b32 v32, v37, v36, s7
	v_perm_b32 v33, v19, v18, s7
	v_mfma_f32_4x4x4_16b_bf16 a[0:3], v[34:35], v[30:31], a[0:3] cbsz:4 abid:4
	;; [unrolled: 10-line block ×3, first 2 shown]
	s_waitcnt vmcnt(2)
	v_cvt_pk_f32_fp8_e32 v[18:19], v26
	v_cvt_pk_f32_fp8_sdwa v[20:21], v26 src0_sel:WORD_1
	v_mfma_f32_4x4x4_16b_bf16 a[0:3], v[34:35], v[30:31], a[0:3] cbsz:4 abid:7
	v_cvt_pk_f32_fp8_e32 v[30:31], v27
	v_cvt_pk_f32_fp8_sdwa v[26:27], v27 src0_sel:WORD_1
	v_perm_b32 v18, v19, v18, s7
	v_perm_b32 v19, v21, v20, s7
	;; [unrolled: 1-line block ×4, first 2 shown]
	v_mfma_f32_4x4x4_16b_bf16 a[0:3], v[34:35], v[18:19], a[0:3] cbsz:4 abid:8
	v_cvt_pk_f32_fp8_e32 v[18:19], v28
	v_cvt_pk_f32_fp8_e32 v[26:27], v29
	v_mfma_f32_4x4x4_16b_bf16 a[0:3], v[34:35], v[20:21], a[0:3] cbsz:4 abid:9
	v_cvt_pk_f32_fp8_sdwa v[20:21], v28 src0_sel:WORD_1
	v_cvt_pk_f32_fp8_sdwa v[28:29], v29 src0_sel:WORD_1
	v_perm_b32 v18, v19, v18, s7
	s_load_dword s6, s[14:15], 0x0
	v_perm_b32 v19, v21, v20, s7
	v_perm_b32 v20, v27, v26, s7
	;; [unrolled: 1-line block ×3, first 2 shown]
	v_mfma_f32_4x4x4_16b_bf16 a[0:3], v[34:35], v[18:19], a[0:3] cbsz:4 abid:10
	v_cvt_pk_f32_fp8_e32 v[18:19], v14
	v_cvt_pk_f32_fp8_e32 v[26:27], v15
	v_mfma_f32_4x4x4_16b_bf16 a[0:3], v[34:35], v[20:21], a[0:3] cbsz:4 abid:11
	v_cvt_pk_f32_fp8_sdwa v[20:21], v14 src0_sel:WORD_1
	v_cvt_pk_f32_fp8_sdwa v[14:15], v15 src0_sel:WORD_1
	v_perm_b32 v18, v19, v18, s7
	v_perm_b32 v19, v21, v20, s7
	;; [unrolled: 1-line block ×3, first 2 shown]
	s_nop 0
	v_mfma_f32_4x4x4_16b_bf16 a[0:3], v[34:35], v[18:19], a[0:3] cbsz:4 abid:12
	v_cvt_pk_f32_fp8_e32 v[14:15], v16
	v_cvt_pk_f32_fp8_sdwa v[18:19], v16 src0_sel:WORD_1
	v_perm_b32 v20, v27, v26, s7
	v_perm_b32 v14, v15, v14, s7
	s_nop 0
	v_mfma_f32_4x4x4_16b_bf16 a[0:3], v[34:35], v[20:21], a[0:3] cbsz:4 abid:13
	v_cvt_pk_f32_fp8_e32 v[20:21], v17
	v_cvt_pk_f32_fp8_sdwa v[16:17], v17 src0_sel:WORD_1
	v_perm_b32 v15, v19, v18, s7
	v_perm_b32 v18, v21, v20, s7
	s_nop 0
	v_mfma_f32_4x4x4_16b_bf16 a[0:3], v[34:35], v[14:15], a[0:3] cbsz:4 abid:14
	v_perm_b32 v19, v17, v16, s7
	s_nop 1
	v_mfma_f32_4x4x4_16b_bf16 a[0:3], v[34:35], v[18:19], a[0:3] cbsz:4 abid:15
	s_nop 4
	v_accvgpr_read_b32 v17, a1
	v_accvgpr_read_b32 v16, a0
	s_waitcnt lgkmcnt(0)
	v_pk_mul_f32 v[16:17], v[16:17], s[6:7] op_sel_hi:[1,0]
	v_accvgpr_read_b32 v15, a3
	v_accvgpr_read_b32 v14, a2
	v_bfe_u32 v18, v17, 16, 1
	v_bfe_u32 v19, v16, 16, 1
	v_pk_mul_f32 v[14:15], v[14:15], s[6:7] op_sel_hi:[1,0]
	v_add3_u32 v16, v16, v19, s1
	v_add3_u32 v17, v17, v18, s1
	v_perm_b32 v16, v17, v16, s7
	v_bfe_u32 v17, v15, 16, 1
	v_bfe_u32 v18, v14, 16, 1
	v_add3_u32 v14, v14, v18, s1
	v_add3_u32 v15, v15, v17, s1
	v_perm_b32 v17, v15, v14, s7
	v_mad_u32_u24 v14, v1, 40, v40
	ds_write_b64 v14, v[16:17]
	v_cvt_pk_f32_fp8_e32 v[14:15], v6
	v_cvt_pk_f32_fp8_sdwa v[16:17], v6 src0_sel:WORD_1
	v_cvt_pk_f32_fp8_e32 v[18:19], v7
	v_cvt_pk_f32_fp8_sdwa v[6:7], v7 src0_sel:WORD_1
	v_perm_b32 v14, v15, v14, s7
	v_perm_b32 v15, v17, v16, s7
	;; [unrolled: 1-line block ×4, first 2 shown]
	v_mfma_f32_4x4x4_16b_bf16 a[0:3], v[34:35], v[14:15], 0 cbsz:4
	v_cvt_pk_f32_fp8_e32 v[6:7], v8
	v_cvt_pk_f32_fp8_sdwa v[14:15], v8 src0_sel:WORD_1
	v_mfma_f32_4x4x4_16b_bf16 a[0:3], v[34:35], v[16:17], a[0:3] cbsz:4 abid:1
	v_cvt_pk_f32_fp8_e32 v[16:17], v9
	v_cvt_pk_f32_fp8_sdwa v[8:9], v9 src0_sel:WORD_1
	v_perm_b32 v6, v7, v6, s7
	v_perm_b32 v7, v15, v14, s7
	v_perm_b32 v14, v17, v16, s7
	v_perm_b32 v15, v9, v8, s7
	v_mfma_f32_4x4x4_16b_bf16 a[0:3], v[34:35], v[6:7], a[0:3] cbsz:4 abid:2
	v_cvt_pk_f32_fp8_e32 v[6:7], v2
	v_cvt_pk_f32_fp8_sdwa v[8:9], v2 src0_sel:WORD_1
	v_mfma_f32_4x4x4_16b_bf16 a[0:3], v[34:35], v[14:15], a[0:3] cbsz:4 abid:3
	v_cvt_pk_f32_fp8_e32 v[14:15], v3
	v_cvt_pk_f32_fp8_sdwa v[2:3], v3 src0_sel:WORD_1
	v_perm_b32 v6, v7, v6, s7
	v_perm_b32 v7, v9, v8, s7
	v_perm_b32 v8, v15, v14, s7
	v_perm_b32 v9, v3, v2, s7
	v_mfma_f32_4x4x4_16b_bf16 a[0:3], v[34:35], v[6:7], a[0:3] cbsz:4 abid:4
	;; [unrolled: 10-line block ×3, first 2 shown]
	s_waitcnt vmcnt(0)
	v_cvt_pk_f32_fp8_e32 v[2:3], v22
	v_cvt_pk_f32_fp8_sdwa v[4:5], v22 src0_sel:WORD_1
	v_mfma_f32_4x4x4_16b_bf16 a[0:3], v[34:35], v[6:7], a[0:3] cbsz:4 abid:7
	v_cvt_pk_f32_fp8_e32 v[6:7], v23
	v_cvt_pk_f32_fp8_sdwa v[8:9], v23 src0_sel:WORD_1
	v_perm_b32 v2, v3, v2, s7
	v_perm_b32 v3, v5, v4, s7
	;; [unrolled: 1-line block ×4, first 2 shown]
	v_mfma_f32_4x4x4_16b_bf16 a[0:3], v[34:35], v[2:3], a[0:3] cbsz:4 abid:8
	v_cvt_pk_f32_fp8_e32 v[2:3], v24
	v_cvt_pk_f32_fp8_e32 v[6:7], v25
	v_mfma_f32_4x4x4_16b_bf16 a[0:3], v[34:35], v[4:5], a[0:3] cbsz:4 abid:9
	v_cvt_pk_f32_fp8_sdwa v[4:5], v24 src0_sel:WORD_1
	v_cvt_pk_f32_fp8_sdwa v[8:9], v25 src0_sel:WORD_1
	v_perm_b32 v2, v3, v2, s7
	v_perm_b32 v3, v5, v4, s7
	v_perm_b32 v4, v7, v6, s7
	s_nop 0
	v_mfma_f32_4x4x4_16b_bf16 a[0:3], v[34:35], v[2:3], a[0:3] cbsz:4 abid:10
	v_perm_b32 v5, v9, v8, s7
	v_cvt_pk_f32_fp8_e32 v[2:3], v10
	v_cvt_pk_f32_fp8_e32 v[6:7], v11
	v_mfma_f32_4x4x4_16b_bf16 a[0:3], v[34:35], v[4:5], a[0:3] cbsz:4 abid:11
	v_cvt_pk_f32_fp8_sdwa v[4:5], v10 src0_sel:WORD_1
	v_cvt_pk_f32_fp8_sdwa v[8:9], v11 src0_sel:WORD_1
	v_perm_b32 v2, v3, v2, s7
	v_perm_b32 v3, v5, v4, s7
	v_perm_b32 v4, v7, v6, s7
	s_nop 0
	v_mfma_f32_4x4x4_16b_bf16 a[0:3], v[34:35], v[2:3], a[0:3] cbsz:4 abid:12
	v_perm_b32 v5, v9, v8, s7
	;; [unrolled: 11-line block ×3, first 2 shown]
	s_nop 1
	v_mfma_f32_4x4x4_16b_bf16 a[0:3], v[34:35], v[4:5], a[0:3] cbsz:4 abid:15
	s_nop 4
	v_accvgpr_read_b32 v5, a1
	v_accvgpr_read_b32 v4, a0
	;; [unrolled: 1-line block ×4, first 2 shown]
	v_pk_mul_f32 v[4:5], v[4:5], s[6:7] op_sel_hi:[1,0]
	v_pk_mul_f32 v[2:3], v[2:3], s[6:7] op_sel_hi:[1,0]
	v_bfe_u32 v6, v5, 16, 1
	v_bfe_u32 v7, v4, 16, 1
	v_add3_u32 v4, v4, v7, s1
	v_add3_u32 v5, v5, v6, s1
	v_bfe_u32 v6, v3, 16, 1
	v_bfe_u32 v7, v2, 16, 1
	v_add3_u32 v2, v2, v7, s1
	v_add3_u32 v3, v3, v6, s1
	v_perm_b32 v39, v3, v2, s7
	v_perm_b32 v38, v5, v4, s7
.LBB1348_23:
	s_or_b64 exec, exec, s[2:3]
	s_waitcnt vmcnt(5)
	v_mad_u32_u24 v2, v1, 40, v40
	v_cmp_gt_u32_e32 vcc, 64, v0
	ds_write_b64 v2, v[38:39] offset:2560
	s_waitcnt lgkmcnt(0)
	s_barrier
	s_and_saveexec_b64 s[2:3], vcc
	s_cbranch_execz .LBB1348_25
; %bb.24:
	v_mov_b32_e32 v2, 0xa00
	v_mad_u32_u24 v2, v1, 40, v2
	ds_read2_b64 v[2:5], v2 offset1:1
	s_waitcnt lgkmcnt(0)
	v_mov_b32_e32 v3, 0xa10
	s_waitcnt vmcnt(1)
	v_mul_u32_u24_e32 v10, 40, v1
	v_mad_u32_u24 v1, v1, 40, v3
	ds_read2_b64 v[6:9], v1 offset1:1
	v_lshlrev_b32_e32 v1, 16, v2
	v_add_f32_e32 v1, 0, v1
	v_and_b32_e32 v1, 0xffff0000, v1
	v_lshlrev_b32_e32 v2, 16, v4
	v_add_f32_e32 v1, v1, v2
	v_and_b32_e32 v1, 0xffff0000, v1
	s_waitcnt lgkmcnt(0)
	v_lshlrev_b32_e32 v2, 16, v6
	v_add_f32_e32 v1, v1, v2
	v_and_b32_e32 v1, 0xffff0000, v1
	v_lshlrev_b32_e32 v2, 16, v8
	v_add_f32_e32 v11, v1, v2
	ds_read2_b64 v[2:5], v10 offset1:1
	ds_read2_b64 v[6:9], v10 offset0:2 offset1:3
	s_mov_b32 s1, 0
	s_lshl_b32 s0, s0, 7
	s_lshl_b64 s[2:3], s[0:1], 1
	s_waitcnt lgkmcnt(1)
	v_lshlrev_b32_e32 v2, 16, v2
	v_add_f32_e32 v2, 0, v2
	s_add_u32 s2, s26, s2
	v_and_b32_e32 v2, 0xffff0000, v2
	v_lshlrev_b32_e32 v3, 16, v4
	s_addc_u32 s3, s27, s3
	s_lshl_b32 s0, s24, 7
	v_add_f32_e32 v2, v2, v3
	s_lshl_b64 s[0:1], s[0:1], 1
	v_and_b32_e32 v2, 0xffff0000, v2
	s_waitcnt lgkmcnt(0)
	v_lshlrev_b32_e32 v3, 16, v6
	s_add_u32 s0, s2, s0
	s_mul_i32 s4, s4, s5
	v_add_f32_e32 v2, v2, v3
	s_addc_u32 s1, s3, s1
	v_lshl_or_b32 v0, s4, 7, v0
	v_mov_b32_e32 v1, 0
	v_and_b32_e32 v2, 0xffff0000, v2
	v_lshlrev_b32_e32 v3, 16, v8
	v_lshl_add_u64 v[0:1], v[0:1], 1, s[0:1]
	v_add_f32_e32 v2, v2, v3
	global_store_short_d16_hi v[0:1], v2, off
	global_store_short_d16_hi v[0:1], v11, off offset:128
.LBB1348_25:
	s_endpgm
	.section	.rodata,"a",@progbits
	.p2align	6, 0x0
	.amdhsa_kernel _Z38paged_attention_ll4mi_QKV_mfma4_kernelI14__hip_bfloat16hLN4vllm18Fp8KVCacheDataTypeE1EhLi32ELi128ELi256ELb0ELi1EEvPKT_PKT0_S8_ifPKiSA_SA_iPKfiiiPfSD_PS3_PT2_iSC_SC_
		.amdhsa_group_segment_fixed_size 5280
		.amdhsa_private_segment_fixed_size 0
		.amdhsa_kernarg_size 400
		.amdhsa_user_sgpr_count 2
		.amdhsa_user_sgpr_dispatch_ptr 0
		.amdhsa_user_sgpr_queue_ptr 0
		.amdhsa_user_sgpr_kernarg_segment_ptr 1
		.amdhsa_user_sgpr_dispatch_id 0
		.amdhsa_user_sgpr_kernarg_preload_length 0
		.amdhsa_user_sgpr_kernarg_preload_offset 0
		.amdhsa_user_sgpr_private_segment_size 0
		.amdhsa_uses_dynamic_stack 0
		.amdhsa_enable_private_segment 0
		.amdhsa_system_sgpr_workgroup_id_x 1
		.amdhsa_system_sgpr_workgroup_id_y 1
		.amdhsa_system_sgpr_workgroup_id_z 1
		.amdhsa_system_sgpr_workgroup_info 0
		.amdhsa_system_vgpr_workitem_id 0
		.amdhsa_next_free_vgpr 108
		.amdhsa_next_free_sgpr 42
		.amdhsa_accum_offset 104
		.amdhsa_reserve_vcc 1
		.amdhsa_float_round_mode_32 0
		.amdhsa_float_round_mode_16_64 0
		.amdhsa_float_denorm_mode_32 3
		.amdhsa_float_denorm_mode_16_64 3
		.amdhsa_dx10_clamp 1
		.amdhsa_ieee_mode 1
		.amdhsa_fp16_overflow 0
		.amdhsa_tg_split 0
		.amdhsa_exception_fp_ieee_invalid_op 0
		.amdhsa_exception_fp_denorm_src 0
		.amdhsa_exception_fp_ieee_div_zero 0
		.amdhsa_exception_fp_ieee_overflow 0
		.amdhsa_exception_fp_ieee_underflow 0
		.amdhsa_exception_fp_ieee_inexact 0
		.amdhsa_exception_int_div_zero 0
	.end_amdhsa_kernel
	.section	.text._Z38paged_attention_ll4mi_QKV_mfma4_kernelI14__hip_bfloat16hLN4vllm18Fp8KVCacheDataTypeE1EhLi32ELi128ELi256ELb0ELi1EEvPKT_PKT0_S8_ifPKiSA_SA_iPKfiiiPfSD_PS3_PT2_iSC_SC_,"axG",@progbits,_Z38paged_attention_ll4mi_QKV_mfma4_kernelI14__hip_bfloat16hLN4vllm18Fp8KVCacheDataTypeE1EhLi32ELi128ELi256ELb0ELi1EEvPKT_PKT0_S8_ifPKiSA_SA_iPKfiiiPfSD_PS3_PT2_iSC_SC_,comdat
.Lfunc_end1348:
	.size	_Z38paged_attention_ll4mi_QKV_mfma4_kernelI14__hip_bfloat16hLN4vllm18Fp8KVCacheDataTypeE1EhLi32ELi128ELi256ELb0ELi1EEvPKT_PKT0_S8_ifPKiSA_SA_iPKfiiiPfSD_PS3_PT2_iSC_SC_, .Lfunc_end1348-_Z38paged_attention_ll4mi_QKV_mfma4_kernelI14__hip_bfloat16hLN4vllm18Fp8KVCacheDataTypeE1EhLi32ELi128ELi256ELb0ELi1EEvPKT_PKT0_S8_ifPKiSA_SA_iPKfiiiPfSD_PS3_PT2_iSC_SC_
                                        ; -- End function
	.section	.AMDGPU.csdata,"",@progbits
; Kernel info:
; codeLenInByte = 5380
; NumSgprs: 48
; NumVgprs: 104
; NumAgprs: 4
; TotalNumVgprs: 108
; ScratchSize: 0
; MemoryBound: 0
; FloatMode: 240
; IeeeMode: 1
; LDSByteSize: 5280 bytes/workgroup (compile time only)
; SGPRBlocks: 5
; VGPRBlocks: 13
; NumSGPRsForWavesPerEU: 48
; NumVGPRsForWavesPerEU: 108
; AccumOffset: 104
; Occupancy: 4
; WaveLimiterHint : 1
; COMPUTE_PGM_RSRC2:SCRATCH_EN: 0
; COMPUTE_PGM_RSRC2:USER_SGPR: 2
; COMPUTE_PGM_RSRC2:TRAP_HANDLER: 0
; COMPUTE_PGM_RSRC2:TGID_X_EN: 1
; COMPUTE_PGM_RSRC2:TGID_Y_EN: 1
; COMPUTE_PGM_RSRC2:TGID_Z_EN: 1
; COMPUTE_PGM_RSRC2:TIDIG_COMP_CNT: 0
; COMPUTE_PGM_RSRC3_GFX90A:ACCUM_OFFSET: 25
; COMPUTE_PGM_RSRC3_GFX90A:TG_SPLIT: 0
	.section	.text._Z38paged_attention_ll4mi_QKV_mfma4_kernelI14__hip_bfloat16hLN4vllm18Fp8KVCacheDataTypeE1EhLi32ELi128ELi256ELb0ELi2EEvPKT_PKT0_S8_ifPKiSA_SA_iPKfiiiPfSD_PS3_PT2_iSC_SC_,"axG",@progbits,_Z38paged_attention_ll4mi_QKV_mfma4_kernelI14__hip_bfloat16hLN4vllm18Fp8KVCacheDataTypeE1EhLi32ELi128ELi256ELb0ELi2EEvPKT_PKT0_S8_ifPKiSA_SA_iPKfiiiPfSD_PS3_PT2_iSC_SC_,comdat
	.protected	_Z38paged_attention_ll4mi_QKV_mfma4_kernelI14__hip_bfloat16hLN4vllm18Fp8KVCacheDataTypeE1EhLi32ELi128ELi256ELb0ELi2EEvPKT_PKT0_S8_ifPKiSA_SA_iPKfiiiPfSD_PS3_PT2_iSC_SC_ ; -- Begin function _Z38paged_attention_ll4mi_QKV_mfma4_kernelI14__hip_bfloat16hLN4vllm18Fp8KVCacheDataTypeE1EhLi32ELi128ELi256ELb0ELi2EEvPKT_PKT0_S8_ifPKiSA_SA_iPKfiiiPfSD_PS3_PT2_iSC_SC_
	.globl	_Z38paged_attention_ll4mi_QKV_mfma4_kernelI14__hip_bfloat16hLN4vllm18Fp8KVCacheDataTypeE1EhLi32ELi128ELi256ELb0ELi2EEvPKT_PKT0_S8_ifPKiSA_SA_iPKfiiiPfSD_PS3_PT2_iSC_SC_
	.p2align	8
	.type	_Z38paged_attention_ll4mi_QKV_mfma4_kernelI14__hip_bfloat16hLN4vllm18Fp8KVCacheDataTypeE1EhLi32ELi128ELi256ELb0ELi2EEvPKT_PKT0_S8_ifPKiSA_SA_iPKfiiiPfSD_PS3_PT2_iSC_SC_,@function
_Z38paged_attention_ll4mi_QKV_mfma4_kernelI14__hip_bfloat16hLN4vllm18Fp8KVCacheDataTypeE1EhLi32ELi128ELi256ELb0ELi2EEvPKT_PKT0_S8_ifPKiSA_SA_iPKfiiiPfSD_PS3_PT2_iSC_SC_: ; @_Z38paged_attention_ll4mi_QKV_mfma4_kernelI14__hip_bfloat16hLN4vllm18Fp8KVCacheDataTypeE1EhLi32ELi128ELi256ELb0ELi2EEvPKT_PKT0_S8_ifPKiSA_SA_iPKfiiiPfSD_PS3_PT2_iSC_SC_
; %bb.0:
	s_load_dwordx2 s[20:21], s[0:1], 0x30
	s_mov_b32 s24, s3
	s_mov_b64 s[6:7], 0
	s_waitcnt lgkmcnt(0)
	s_cmp_lg_u64 s[20:21], 0
	s_cselect_b64 s[22:23], -1, 0
	s_and_b64 vcc, exec, s[22:23]
	s_cbranch_vccz .LBB1349_10
; %bb.1:
	s_add_i32 s8, s2, 1
	s_mov_b32 s9, 0
	s_lshl_b64 s[10:11], s[8:9], 2
	s_add_u32 s10, s20, s10
	s_mov_b32 s3, s9
	s_addc_u32 s11, s21, s11
	s_lshl_b64 s[8:9], s[2:3], 2
	s_add_u32 s8, s20, s8
	s_addc_u32 s9, s21, s9
	s_load_dword s5, s[10:11], 0x0
	s_load_dword s12, s[8:9], 0x0
	s_waitcnt lgkmcnt(0)
	s_sub_i32 s5, s5, s12
	s_cmp_eq_u32 s5, 1
	s_cselect_b64 s[8:9], -1, 0
	s_andn2_b64 vcc, exec, s[6:7]
	s_cbranch_vccnz .LBB1349_3
.LBB1349_2:
	s_mov_b32 s3, 0
	s_mov_b64 s[8:9], -1
.LBB1349_3:
	s_andn2_b64 vcc, exec, s[8:9]
	s_cbranch_vccnz .LBB1349_25
; %bb.4:
	s_load_dword s5, s[0:1], 0x9c
	s_load_dwordx2 s[6:7], s[0:1], 0x28
	s_add_u32 s28, s0, 0x90
	s_addc_u32 s29, s1, 0
	s_lshl_b64 s[34:35], s[2:3], 2
	s_waitcnt lgkmcnt(0)
	s_and_b32 s5, s5, 0xffff
	s_add_u32 s6, s6, s34
	s_addc_u32 s7, s7, s35
	s_load_dword s3, s[6:7], 0x0
	s_mul_i32 s10, s24, s5
	s_waitcnt lgkmcnt(0)
	s_cmp_ge_i32 s10, s3
	s_cbranch_scc1 .LBB1349_25
; %bb.5:
	v_and_b32_e32 v1, 0xc0, v0
	v_add_u32_e32 v4, s10, v1
	v_lshrrev_b32_e32 v38, 6, v0
	v_cmp_le_i32_e64 s[6:7], s3, v4
                                        ; implicit-def: $sgpr25
                                        ; implicit-def: $sgpr11
	s_and_saveexec_b64 s[8:9], s[6:7]
	s_xor_b64 s[8:9], exec, s[8:9]
	s_cbranch_execz .LBB1349_7
; %bb.6:
	v_mul_u32_u24_e32 v1, 20, v38
	v_or_b32_e32 v1, 0x1400, v1
	v_mov_b32_e32 v2, 0x1450
	v_mov_b32_e32 v3, 0xff7fffff
	v_mad_u32_u24 v2, v38, 20, v2
	ds_write2_b32 v1, v3, v3 offset1:1
	v_mov_b32_e32 v1, 0
	ds_write2_b32 v2, v1, v1 offset1:1
	v_mov_b32_e32 v2, 0x1408
	v_mov_b32_e32 v4, 0x1458
	s_mov_b32 s11, 0xff7fffff
	s_mov_b32 s25, 0
	v_mad_u32_u24 v2, v38, 20, v2
	v_mad_u32_u24 v4, v38, 20, v4
	ds_write2_b32 v2, v3, v3 offset1:1
	ds_write2_b32 v4, v1, v1 offset1:1
                                        ; implicit-def: $vgpr4
.LBB1349_7:
	s_or_saveexec_b64 s[30:31], s[8:9]
	s_load_dwordx2 s[26:27], s[0:1], 0x68
	s_load_dwordx4 s[16:19], s[0:1], 0x58
	s_load_dword s5, s[28:29], 0x4
	s_load_dwordx4 s[12:15], s[0:1], 0x80
	v_and_b32_e32 v1, 63, v0
	v_and_b32_e32 v39, 3, v0
	v_mov_b32_e32 v37, s25
	v_mov_b32_e32 v41, s11
	;; [unrolled: 1-line block ×5, first 2 shown]
                                        ; implicit-def: $vgpr30_vgpr31
                                        ; implicit-def: $vgpr26_vgpr27
                                        ; implicit-def: $vgpr22_vgpr23
                                        ; implicit-def: $vgpr14_vgpr15
                                        ; implicit-def: $vgpr18_vgpr19
                                        ; implicit-def: $vgpr6_vgpr7
                                        ; implicit-def: $vgpr10_vgpr11
                                        ; implicit-def: $vgpr2_vgpr3
	s_xor_b64 exec, exec, s[30:31]
	s_cbranch_execz .LBB1349_17
; %bb.8:
	s_load_dwordx2 s[8:9], s[0:1], 0x20
	s_load_dword s11, s[0:1], 0x38
	s_add_i32 s25, s3, 31
	s_ashr_i32 s33, s25, 31
	s_lshr_b32 s33, s33, 27
	v_add_u32_e32 v40, s10, v0
	s_add_i32 s25, s25, s33
	v_ashrrev_i32_e32 v2, 31, v40
	s_ashr_i32 s25, s25, 5
	v_lshrrev_b32_e32 v2, 27, v2
	s_add_i32 s25, s25, -1
	s_waitcnt lgkmcnt(0)
	s_mul_i32 s36, s2, s11
	s_mov_b32 s37, 0
	v_add_u32_e32 v2, v40, v2
	s_lshl_b64 s[36:37], s[36:37], 2
	v_ashrrev_i32_e32 v2, 5, v2
	v_mov_b32_e32 v3, s25
	v_cmp_gt_i32_e32 vcc, s3, v40
	s_add_u32 s8, s8, s36
	s_addc_u32 s9, s9, s37
	v_cndmask_b32_e32 v2, v3, v2, vcc
	v_ashrrev_i32_e32 v3, 31, v2
	v_lshl_add_u64 v[8:9], v[2:3], 2, s[8:9]
	v_ashrrev_i32_e32 v2, 31, v4
	v_lshrrev_b32_e32 v2, 27, v2
	v_add_u32_e32 v2, v4, v2
	v_ashrrev_i32_e32 v6, 5, v2
	v_min_i32_e32 v2, s25, v6
	v_ashrrev_i32_e32 v3, 31, v2
	v_lshl_add_u64 v[4:5], v[2:3], 2, s[8:9]
	v_add_u32_e32 v2, 1, v6
	v_min_i32_e32 v2, s25, v2
	v_ashrrev_i32_e32 v3, 31, v2
	v_lshl_add_u64 v[10:11], v[2:3], 2, s[8:9]
	global_load_dword v2, v[8:9], off
	global_load_dword v6, v[4:5], off
	;; [unrolled: 1-line block ×3, first 2 shown]
	s_load_dwordx4 s[8:11], s[0:1], 0x8
	s_andn2_b64 vcc, exec, s[22:23]
	s_cbranch_vccnz .LBB1349_11
; %bb.9:
	s_add_u32 s20, s20, s34
	s_addc_u32 s21, s21, s35
	s_load_dword s25, s[20:21], 0x0
	s_branch .LBB1349_12
.LBB1349_10:
	s_mov_b64 s[8:9], 0
	s_branch .LBB1349_2
.LBB1349_11:
	s_mov_b32 s25, s2
.LBB1349_12:
	s_load_dwordx4 s[20:23], s[0:1], 0x48
	v_cmp_gt_u32_e32 vcc, 2, v39
	s_mov_b32 s37, 0
	v_mov_b32_e32 v3, 0
	v_mov_b32_e32 v34, 0
	v_mov_b32_e32 v35, 0
	v_mov_b32_e32 v36, 0
	v_mov_b32_e32 v37, 0
	s_and_saveexec_b64 s[34:35], vcc
	s_cbranch_execz .LBB1349_14
; %bb.13:
	s_load_dwordx2 s[38:39], s[0:1], 0x0
	s_waitcnt lgkmcnt(0)
	s_ashr_i32 s23, s20, 31
	s_mul_hi_u32 s33, s25, s20
	s_mul_i32 s23, s25, s23
	s_add_i32 s41, s33, s23
	s_mul_i32 s40, s25, s20
	s_lshl_b64 s[40:41], s[40:41], 1
	s_add_u32 s20, s38, s40
	s_addc_u32 s23, s39, s41
	s_lshl_b32 s36, s4, 8
	s_lshl_b64 s[36:37], s[36:37], 1
	v_lshlrev_b32_e32 v4, 2, v1
	s_add_u32 s36, s20, s36
	v_and_b32_e32 v4, 0xf0, v4
	s_addc_u32 s37, s23, s37
	v_lshl_or_b32 v4, v39, 8, v4
	global_load_dwordx4 v[34:37], v4, s[36:37]
.LBB1349_14:
	s_or_b64 exec, exec, s[34:35]
	s_waitcnt lgkmcnt(0)
	s_mul_i32 s20, s4, s22
	s_add_u32 s8, s20, s8
	s_addc_u32 s9, 0, s9
	v_mov_b64_e32 v[4:5], s[8:9]
	s_waitcnt vmcnt(2)
	v_mad_i64_i32 v[4:5], s[8:9], v2, s21, v[4:5]
	v_lshlrev_b32_e32 v2, 4, v0
	v_and_b32_e32 v2, 0x1f0, v2
	v_lshl_add_u64 v[4:5], v[4:5], 0, v[2:3]
	global_load_dwordx4 v[8:11], v[4:5], off
	global_load_dwordx4 v[12:15], v[4:5], off offset:512
	global_load_dwordx4 v[16:19], v[4:5], off offset:1024
	;; [unrolled: 1-line block ×4, first 2 shown]
	s_mov_b32 s8, 0x7060302
	s_waitcnt vmcnt(6)
	v_mul_hi_i32 v2, v6, s21
	s_waitcnt vmcnt(5)
	v_mul_hi_i32 v20, v7, s21
	v_ashrrev_i32_e32 v2, 31, v2
	v_ashrrev_i32_e32 v20, 31, v20
	v_mov_b32_e32 v21, v3
	v_lshrrev_b32_e32 v20, 29, v20
	v_lshrrev_b32_e32 v2, 29, v2
	s_add_u32 s10, s10, s20
	v_mad_i64_i32 v[20:21], s[22:23], v7, s21, v[20:21]
	v_mad_i64_i32 v[6:7], s[20:21], v6, s21, v[2:3]
	s_addc_u32 s11, s11, 0
	v_and_b32_e32 v20, -8, v20
	v_and_b32_e32 v6, -8, v6
	v_lshl_add_u64 v[20:21], s[10:11], 0, v[20:21]
	v_lshlrev_b32_e32 v2, 5, v1
	v_lshl_add_u64 v[6:7], s[10:11], 0, v[6:7]
	v_lshl_add_u64 v[58:59], v[20:21], 0, v[2:3]
	;; [unrolled: 1-line block ×3, first 2 shown]
	s_load_dword s0, s[0:1], 0x1c
	v_cmp_eq_u32_e32 vcc, 0, v39
	v_mov_b32_e32 v41, 0xff7fffff
	s_waitcnt vmcnt(4)
	v_cvt_pk_f32_fp8_e32 v[24:25], v10
	v_cvt_pk_f32_fp8_sdwa v[26:27], v10 src0_sel:WORD_1
	v_cvt_pk_f32_fp8_e32 v[28:29], v11
	v_cvt_pk_f32_fp8_sdwa v[30:31], v11 src0_sel:WORD_1
	s_waitcnt vmcnt(3)
	v_cvt_pk_f32_fp8_e32 v[32:33], v12
	v_cvt_pk_f32_fp8_sdwa v[50:51], v12 src0_sel:WORD_1
	v_cvt_pk_f32_fp8_e32 v[52:53], v13
	v_cvt_pk_f32_fp8_sdwa v[54:55], v13 src0_sel:WORD_1
	global_load_dwordx4 v[10:13], v[4:5], off offset:2048
	v_perm_b32 v79, v51, v50, s8
	v_perm_b32 v80, v53, v52, s8
	;; [unrolled: 1-line block ×3, first 2 shown]
	global_load_dwordx4 v[50:53], v[4:5], off offset:3072
	global_load_dwordx4 v[54:57], v[4:5], off offset:3584
	v_cvt_pk_f32_fp8_e32 v[6:7], v8
	v_cvt_pk_f32_fp8_sdwa v[20:21], v8 src0_sel:WORD_1
	v_cvt_pk_f32_fp8_e32 v[22:23], v9
	v_cvt_pk_f32_fp8_sdwa v[8:9], v9 src0_sel:WORD_1
	v_perm_b32 v6, v7, v6, s8
	v_perm_b32 v7, v21, v20, s8
	v_perm_b32 v20, v23, v22, s8
	v_perm_b32 v21, v9, v8, s8
	v_mfma_f32_4x4x4_16b_bf16 a[0:3], v[34:35], v[6:7], 0 cbsz:4
	v_perm_b32 v8, v25, v24, s8
	v_perm_b32 v9, v27, v26, s8
	v_mfma_f32_4x4x4_16b_bf16 a[0:3], v[36:37], v[20:21], a[0:3] cbsz:4
	v_perm_b32 v26, v29, v28, s8
	v_perm_b32 v27, v31, v30, s8
	v_mfma_f32_4x4x4_16b_bf16 a[0:3], v[34:35], v[8:9], a[0:3] cbsz:4 abid:1
	v_cvt_pk_f32_fp8_e32 v[60:61], v14
	v_cvt_pk_f32_fp8_sdwa v[62:63], v14 src0_sel:WORD_1
	v_mfma_f32_4x4x4_16b_bf16 a[0:3], v[36:37], v[26:27], a[0:3] cbsz:4 abid:1
	v_perm_b32 v78, v33, v32, s8
	v_cvt_pk_f32_fp8_e32 v[64:65], v15
	v_cvt_pk_f32_fp8_sdwa v[14:15], v15 src0_sel:WORD_1
	v_mfma_f32_4x4x4_16b_bf16 a[0:3], v[34:35], v[78:79], a[0:3] cbsz:4 abid:2
	s_waitcnt vmcnt(5)
	v_cvt_pk_f32_fp8_e32 v[66:67], v16
	v_cvt_pk_f32_fp8_sdwa v[68:69], v16 src0_sel:WORD_1
	v_mfma_f32_4x4x4_16b_bf16 a[0:3], v[36:37], v[80:81], a[0:3] cbsz:4 abid:2
	v_perm_b32 v4, v61, v60, s8
	v_perm_b32 v5, v63, v62, s8
	v_cvt_pk_f32_fp8_e32 v[70:71], v17
	v_cvt_pk_f32_fp8_sdwa v[16:17], v17 src0_sel:WORD_1
	v_mfma_f32_4x4x4_16b_bf16 a[0:3], v[34:35], v[4:5], a[0:3] cbsz:4 abid:3
	v_perm_b32 v60, v65, v64, s8
	v_perm_b32 v61, v15, v14, s8
	;; [unrolled: 5-line block ×4, first 2 shown]
	s_waitcnt vmcnt(4)
	v_cvt_pk_f32_fp8_e32 v[68:69], v42
	v_cvt_pk_f32_fp8_sdwa v[6:7], v42 src0_sel:WORD_1
	v_mfma_f32_4x4x4_16b_bf16 a[0:3], v[36:37], v[64:65], a[0:3] cbsz:4 abid:4
	v_perm_b32 v66, v73, v72, s8
	v_perm_b32 v67, v75, v74, s8
	global_load_dwordx4 v[14:17], v[58:59], off offset:16
	global_load_dwordx4 v[22:25], v[58:59], off
	v_mfma_f32_4x4x4_16b_bf16 a[0:3], v[34:35], v[66:67], a[0:3] cbsz:4 abid:5
	v_perm_b32 v70, v77, v76, s8
	v_perm_b32 v71, v19, v18, s8
	global_load_dwordx4 v[26:29], v[2:3], off offset:16
	global_load_dwordx4 v[30:33], v[2:3], off
	v_perm_b32 v68, v69, v68, s8
	v_perm_b32 v69, v7, v6, s8
	global_load_dwordx4 v[6:9], v[2:3], off offset:2064
	global_load_dwordx4 v[18:21], v[2:3], off offset:2048
	v_cvt_pk_f32_fp8_e32 v[2:3], v43
	v_cvt_pk_f32_fp8_sdwa v[4:5], v43 src0_sel:WORD_1
	v_mfma_f32_4x4x4_16b_bf16 a[0:3], v[36:37], v[70:71], a[0:3] cbsz:4 abid:5
	v_cvt_pk_f32_fp8_e32 v[42:43], v44
	v_cvt_pk_f32_fp8_sdwa v[60:61], v44 src0_sel:WORD_1
	v_mfma_f32_4x4x4_16b_bf16 a[0:3], v[34:35], v[68:69], a[0:3] cbsz:4 abid:6
	v_perm_b32 v2, v3, v2, s8
	v_perm_b32 v3, v5, v4, s8
	v_cvt_pk_f32_fp8_e32 v[62:63], v45
	v_perm_b32 v4, v43, v42, s8
	v_mfma_f32_4x4x4_16b_bf16 a[0:3], v[36:37], v[2:3], a[0:3] cbsz:4 abid:6
	v_cvt_pk_f32_fp8_sdwa v[2:3], v45 src0_sel:WORD_1
	v_perm_b32 v5, v61, v60, s8
	v_perm_b32 v42, v63, v62, s8
	;; [unrolled: 1-line block ×3, first 2 shown]
	v_mfma_f32_4x4x4_16b_bf16 a[0:3], v[34:35], v[4:5], a[0:3] cbsz:4 abid:7
	s_waitcnt vmcnt(8)
	v_cvt_pk_f32_fp8_e32 v[2:3], v10
	v_mfma_f32_4x4x4_16b_bf16 a[0:3], v[36:37], v[42:43], a[0:3] cbsz:4 abid:7
	v_cvt_pk_f32_fp8_sdwa v[4:5], v10 src0_sel:WORD_1
	v_cvt_pk_f32_fp8_e32 v[42:43], v11
	v_cvt_pk_f32_fp8_sdwa v[10:11], v11 src0_sel:WORD_1
	v_perm_b32 v2, v3, v2, s8
	v_perm_b32 v3, v5, v4, s8
	;; [unrolled: 1-line block ×3, first 2 shown]
	v_cvt_pk_f32_fp8_e32 v[42:43], v12
	v_cvt_pk_f32_fp8_sdwa v[44:45], v12 src0_sel:WORD_1
	v_mfma_f32_4x4x4_16b_bf16 a[0:3], v[34:35], v[2:3], a[0:3] cbsz:4 abid:8
	v_perm_b32 v5, v11, v10, s8
	v_cvt_pk_f32_fp8_e32 v[60:61], v13
	v_cvt_pk_f32_fp8_sdwa v[62:63], v13 src0_sel:WORD_1
	v_mfma_f32_4x4x4_16b_bf16 a[0:3], v[36:37], v[4:5], a[0:3] cbsz:4 abid:8
	v_perm_b32 v42, v43, v42, s8
	v_perm_b32 v43, v45, v44, s8
	;; [unrolled: 1-line block ×4, first 2 shown]
	v_mfma_f32_4x4x4_16b_bf16 a[0:3], v[34:35], v[42:43], a[0:3] cbsz:4 abid:9
	v_cvt_pk_f32_fp8_e32 v[42:43], v46
	global_load_dwordx4 v[2:5], v[58:59], off offset:2064
	global_load_dwordx4 v[10:13], v[58:59], off offset:2048
	v_mfma_f32_4x4x4_16b_bf16 a[0:3], v[36:37], v[44:45], a[0:3] cbsz:4 abid:9
	v_cvt_pk_f32_fp8_sdwa v[44:45], v46 src0_sel:WORD_1
	v_cvt_pk_f32_fp8_e32 v[58:59], v47
	v_cvt_pk_f32_fp8_sdwa v[46:47], v47 src0_sel:WORD_1
	v_perm_b32 v42, v43, v42, s8
	v_perm_b32 v43, v45, v44, s8
	v_perm_b32 v44, v59, v58, s8
	v_perm_b32 v45, v47, v46, s8
	v_mfma_f32_4x4x4_16b_bf16 a[0:3], v[34:35], v[42:43], a[0:3] cbsz:4 abid:10
	v_cvt_pk_f32_fp8_e32 v[42:43], v48
	v_cvt_pk_f32_fp8_e32 v[46:47], v49
	v_mfma_f32_4x4x4_16b_bf16 a[0:3], v[36:37], v[44:45], a[0:3] cbsz:4 abid:10
	v_cvt_pk_f32_fp8_sdwa v[44:45], v48 src0_sel:WORD_1
	v_cvt_pk_f32_fp8_sdwa v[48:49], v49 src0_sel:WORD_1
	v_perm_b32 v42, v43, v42, s8
	s_load_dword s1, s[12:13], 0x0
	v_perm_b32 v43, v45, v44, s8
	v_perm_b32 v44, v47, v46, s8
	;; [unrolled: 1-line block ×3, first 2 shown]
	v_mfma_f32_4x4x4_16b_bf16 a[0:3], v[34:35], v[42:43], a[0:3] cbsz:4 abid:11
	s_waitcnt vmcnt(9)
	v_cvt_pk_f32_fp8_e32 v[42:43], v50
	v_cvt_pk_f32_fp8_e32 v[46:47], v51
	v_mfma_f32_4x4x4_16b_bf16 a[0:3], v[36:37], v[44:45], a[0:3] cbsz:4 abid:11
	v_cvt_pk_f32_fp8_sdwa v[44:45], v50 src0_sel:WORD_1
	v_cvt_pk_f32_fp8_sdwa v[48:49], v51 src0_sel:WORD_1
	v_perm_b32 v42, v43, v42, s8
	v_perm_b32 v43, v45, v44, s8
	;; [unrolled: 1-line block ×3, first 2 shown]
	s_nop 0
	v_mfma_f32_4x4x4_16b_bf16 a[0:3], v[34:35], v[42:43], a[0:3] cbsz:4 abid:12
	v_perm_b32 v45, v49, v48, s8
	v_cvt_pk_f32_fp8_e32 v[42:43], v52
	v_cvt_pk_f32_fp8_e32 v[46:47], v53
	v_mfma_f32_4x4x4_16b_bf16 a[0:3], v[36:37], v[44:45], a[0:3] cbsz:4 abid:12
	v_cvt_pk_f32_fp8_sdwa v[44:45], v52 src0_sel:WORD_1
	v_cvt_pk_f32_fp8_sdwa v[48:49], v53 src0_sel:WORD_1
	v_perm_b32 v42, v43, v42, s8
	v_perm_b32 v43, v45, v44, s8
	;; [unrolled: 1-line block ×3, first 2 shown]
	s_nop 0
	v_mfma_f32_4x4x4_16b_bf16 a[0:3], v[34:35], v[42:43], a[0:3] cbsz:4 abid:13
	v_perm_b32 v45, v49, v48, s8
	s_waitcnt vmcnt(8)
	v_cvt_pk_f32_fp8_e32 v[42:43], v54
	v_cvt_pk_f32_fp8_e32 v[46:47], v55
	v_mfma_f32_4x4x4_16b_bf16 a[0:3], v[36:37], v[44:45], a[0:3] cbsz:4 abid:13
	v_cvt_pk_f32_fp8_sdwa v[44:45], v54 src0_sel:WORD_1
	v_cvt_pk_f32_fp8_sdwa v[48:49], v55 src0_sel:WORD_1
	v_perm_b32 v42, v43, v42, s8
	v_perm_b32 v43, v45, v44, s8
	;; [unrolled: 1-line block ×3, first 2 shown]
	s_nop 0
	v_mfma_f32_4x4x4_16b_bf16 a[0:3], v[34:35], v[42:43], a[0:3] cbsz:4 abid:14
	v_perm_b32 v45, v49, v48, s8
	v_cvt_pk_f32_fp8_e32 v[42:43], v56
	v_cvt_pk_f32_fp8_e32 v[46:47], v57
	v_mfma_f32_4x4x4_16b_bf16 a[0:3], v[36:37], v[44:45], a[0:3] cbsz:4 abid:14
	v_cvt_pk_f32_fp8_sdwa v[44:45], v56 src0_sel:WORD_1
	v_cvt_pk_f32_fp8_sdwa v[48:49], v57 src0_sel:WORD_1
	v_perm_b32 v42, v43, v42, s8
	v_perm_b32 v43, v45, v44, s8
	;; [unrolled: 1-line block ×3, first 2 shown]
	s_nop 0
	v_mfma_f32_4x4x4_16b_bf16 a[0:3], v[34:35], v[42:43], a[0:3] cbsz:4 abid:15
	v_perm_b32 v45, v49, v48, s8
	s_waitcnt lgkmcnt(0)
	v_mov_b32_e32 v34, s0
	v_mfma_f32_4x4x4_16b_bf16 a[0:3], v[36:37], v[44:45], a[0:3] cbsz:4 abid:15
	v_mul_f32_e32 v36, s1, v34
	s_nop 3
	v_accvgpr_read_b32 v43, a1
	v_accvgpr_read_b32 v42, a0
	v_pk_mul_f32 v[42:43], v[42:43], v[36:37] op_sel_hi:[1,0]
	v_accvgpr_read_b32 v35, a3
	v_accvgpr_read_b32 v34, a2
	v_pk_mul_f32 v[34:35], v[34:35], v[36:37] op_sel_hi:[1,0]
	v_cndmask_b32_e64 v36, 0, 1.0, vcc
	v_cmp_eq_u32_e32 vcc, 1, v39
	s_nop 0
	v_mfma_f32_4x4x1_16b_f32 a[0:3], v42, v36, 0
	v_cndmask_b32_e64 v36, 0, 1.0, vcc
	v_cmp_eq_u32_e32 vcc, 2, v39
	s_nop 0
	v_mfma_f32_4x4x1_16b_f32 a[0:3], v43, v36, a[0:3]
	;; [unrolled: 4-line block ×3, first 2 shown]
	v_cndmask_b32_e64 v34, 0, 1.0, vcc
	s_nop 1
	v_mfma_f32_4x4x1_16b_f32 a[0:3], v35, v34, a[0:3]
	v_and_b32_e32 v34, -4, v40
	v_cmp_gt_i32_e32 vcc, s3, v34
	v_lshlrev_b32_e32 v35, 2, v0
	v_and_or_b32 v35, v35, 48, v39
	v_accvgpr_read_b32 v36, a0
	v_max_f32_e32 v37, v36, v36
	v_max_f32_e32 v37, 0xff7fffff, v37
	v_accvgpr_read_b32 v42, a1
	v_cndmask_b32_e32 v37, v41, v37, vcc
	v_or_b32_e32 v41, 1, v34
	v_max_f32_e32 v43, v42, v42
	v_max_f32_e32 v43, v37, v43
	v_cmp_gt_i32_e64 s[0:1], s3, v41
	v_or_b32_e32 v34, 2, v34
	v_cmp_gt_i32_e64 s[8:9], s3, v34
	v_cndmask_b32_e64 v37, v37, v43, s[0:1]
	v_accvgpr_read_b32 v43, a2
	v_max_f32_e32 v41, v43, v43
	v_max_f32_e32 v41, v37, v41
	v_cndmask_b32_e64 v34, v37, v41, s[8:9]
	v_or_b32_e32 v37, 3, v40
	v_accvgpr_read_b32 v40, a3
	v_max_f32_e32 v41, v40, v40
	v_max_f32_e32 v41, v34, v41
	v_cmp_gt_i32_e64 s[10:11], s3, v37
	v_lshlrev_b32_e32 v44, 2, v35
	s_nop 0
	v_cndmask_b32_e64 v34, v34, v41, s[10:11]
	;;#ASMSTART
	v_nop
 v_nop
 v_max_f32_dpp v34, v34, v34 row_ror:4
	;;#ASMEND
	s_nop 0
	;;#ASMSTART
	v_nop
 v_nop
 v_max_f32_dpp v34, v34, v34 row_ror:8
	;;#ASMEND
	ds_bpermute_b32 v34, v44, v34
	s_waitcnt lgkmcnt(0)
	;;#ASMSTART
	v_nop
 v_nop
 v_max_f32_dpp v34, v34, v34 row_ror:4
	;;#ASMEND
	s_nop 0
	;;#ASMSTART
	v_nop
 v_nop
 v_max_f32_dpp v41, v34, v34 row_ror:8
	;;#ASMEND
	s_nop 0
	v_sub_f32_e32 v34, v36, v41
	v_mul_f32_e32 v34, 0x3fb8aa3b, v34
	v_sub_f32_e32 v35, v42, v41
	v_exp_f32_e32 v34, v34
	v_mul_f32_e32 v35, 0x3fb8aa3b, v35
	v_sub_f32_e32 v37, v43, v41
	v_exp_f32_e32 v35, v35
	;; [unrolled: 3-line block ×3, first 2 shown]
	v_mul_f32_e32 v40, 0x3fb8aa3b, v40
	v_exp_f32_e32 v40, v40
	v_cndmask_b32_e32 v34, 0, v34, vcc
	v_add_f32_e32 v36, 0, v34
	v_cndmask_b32_e64 v35, 0, v35, s[0:1]
	v_add_f32_e32 v42, v36, v35
	v_cndmask_b32_e64 v36, 0, v37, s[8:9]
	;; [unrolled: 2-line block ×3, first 2 shown]
	v_add_f32_e32 v40, v42, v37
	;;#ASMSTART
	v_nop
 v_nop
 v_add_f32_dpp v40, v40, v40 row_ror:4
	;;#ASMEND
	v_cmp_gt_u32_e32 vcc, 4, v1
	;;#ASMSTART
	v_nop
 v_nop
 v_add_f32_dpp v40, v40, v40 row_ror:8
	;;#ASMEND
	ds_bpermute_b32 v40, v44, v40
	s_waitcnt lgkmcnt(0)
	;;#ASMSTART
	v_nop
 v_nop
 v_add_f32_dpp v40, v40, v40 row_ror:4
	;;#ASMEND
	s_nop 0
	;;#ASMSTART
	v_nop
 v_nop
 v_add_f32_dpp v40, v40, v40 row_ror:8
	;;#ASMEND
	s_and_saveexec_b64 s[0:1], vcc
	s_cbranch_execz .LBB1349_16
; %bb.15:
	v_mul_u32_u24_e32 v42, 20, v38
	v_lshl_add_u32 v42, v39, 2, v42
	v_add_u32_e32 v42, 0x1400, v42
	ds_write2_b32 v42, v41, v40 offset1:20
.LBB1349_16:
	s_or_b64 exec, exec, s[0:1]
.LBB1349_17:
	s_or_b64 exec, exec, s[30:31]
	s_waitcnt lgkmcnt(0)
	s_barrier
	s_load_dword s0, s[28:29], 0x8
	v_lshlrev_b32_e32 v40, 2, v39
	v_add_u32_e32 v40, 0x1400, v40
	ds_read2_b32 v[44:45], v40 offset1:5
	ds_read2_b32 v[46:47], v40 offset0:10 offset1:15
	s_mul_i32 s1, s2, s5
	s_waitcnt lgkmcnt(0)
	s_mul_i32 s1, s1, s0
	s_lshl_b32 s0, s1, 1
	s_mov_b32 s1, 0xff7fffff
	v_max3_f32 v42, v44, s1, v45
	v_max3_f32 v42, v42, v46, v47
	v_sub_f32_e32 v43, v44, v42
	v_sub_f32_e32 v44, v45, v42
	ds_read2_b32 v[48:49], v40 offset0:20 offset1:25
	v_mul_f32_e32 v43, 0x3fb8aa3b, v43
	v_mul_f32_e32 v44, 0x3fb8aa3b, v44
	v_exp_f32_e32 v43, v43
	v_exp_f32_e32 v50, v44
	ds_read2_b32 v[44:45], v40 offset0:30 offset1:35
	v_sub_f32_e32 v40, v46, v42
	v_mul_f32_e32 v40, 0x3fb8aa3b, v40
	v_sub_f32_e32 v46, v47, v42
	v_exp_f32_e32 v40, v40
	v_mul_f32_e32 v46, 0x3fb8aa3b, v46
	v_exp_f32_e32 v46, v46
	s_waitcnt lgkmcnt(1)
	v_fma_f32 v43, v43, v48, 0
	v_fmac_f32_e32 v43, v50, v49
	s_waitcnt lgkmcnt(0)
	v_fmac_f32_e32 v43, v40, v44
	s_lshl_b32 s8, s4, 1
	v_fmac_f32_e32 v43, v46, v45
	v_cmp_gt_u32_e32 vcc, 2, v39
	s_and_saveexec_b64 s[2:3], vcc
	s_cbranch_execz .LBB1349_19
; %bb.18:
	s_mov_b32 s1, 0
	s_lshl_b64 s[10:11], s[0:1], 2
	s_add_u32 s4, s16, s10
	s_mov_b32 s25, s1
	s_addc_u32 s9, s17, s11
	s_lshl_b64 s[12:13], s[24:25], 2
	s_add_u32 s16, s4, s12
	s_addc_u32 s17, s9, s13
	s_add_u32 s1, s18, s10
	s_addc_u32 s4, s19, s11
	v_or_b32_e32 v39, s8, v39
	s_add_u32 s10, s1, s12
	v_mul_lo_u32 v44, s5, v39
	v_mov_b32_e32 v45, 0
	s_addc_u32 s11, s4, s13
	v_lshlrev_b64 v[44:45], 2, v[44:45]
	v_lshl_add_u64 v[46:47], s[16:17], 0, v[44:45]
	v_lshl_add_u64 v[44:45], s[10:11], 0, v[44:45]
	global_store_dword v[44:45], v42, off
	global_store_dword v[46:47], v43, off
.LBB1349_19:
	s_or_b64 exec, exec, s[2:3]
	v_lshlrev_b32_e32 v40, 3, v38
                                        ; implicit-def: $sgpr1
	s_and_saveexec_b64 s[2:3], s[6:7]
	s_xor_b64 s[2:3], exec, s[2:3]
	s_cbranch_execz .LBB1349_21
; %bb.20:
	s_waitcnt vmcnt(1)
	v_mov_b32_e32 v2, 0
	v_mad_u32_u24 v4, v1, 40, v40
	s_mov_b32 s1, 0
	v_mov_b32_e32 v3, v2
	ds_write_b64 v4, v[2:3]
                                        ; implicit-def: $vgpr37
                                        ; implicit-def: $vgpr35
                                        ; implicit-def: $vgpr41
                                        ; implicit-def: $vgpr30_vgpr31
                                        ; implicit-def: $vgpr26_vgpr27
                                        ; implicit-def: $vgpr22_vgpr23
                                        ; implicit-def: $vgpr14_vgpr15
                                        ; implicit-def: $vgpr18_vgpr19
                                        ; implicit-def: $vgpr6_vgpr7
                                        ; implicit-def: $vgpr10_vgpr11
                                        ; implicit-def: $vgpr2_vgpr3
                                        ; implicit-def: $vgpr42
                                        ; implicit-def: $vgpr43
.LBB1349_21:
	s_or_saveexec_b64 s[2:3], s[2:3]
	v_mov_b32_e32 v38, s1
	v_mov_b32_e32 v39, s1
	s_xor_b64 exec, exec, s[2:3]
	s_cbranch_execz .LBB1349_23
; %bb.22:
	v_add_f32_e32 v38, 0x358637bd, v43
	v_div_scale_f32 v39, s[6:7], v38, v38, 1.0
	v_rcp_f32_e32 v43, v39
	v_sub_f32_e32 v41, v41, v42
	v_mul_f32_e32 v41, 0x3fb8aa3b, v41
	v_exp_f32_e32 v41, v41
	v_fma_f32 v42, -v39, v43, 1.0
	v_fmac_f32_e32 v43, v42, v43
	v_div_scale_f32 v42, vcc, 1.0, v38, 1.0
	v_mul_f32_e32 v44, v42, v43
	v_fma_f32 v45, -v39, v44, v42
	v_fmac_f32_e32 v44, v45, v43
	v_fma_f32 v39, -v39, v44, v42
	v_div_fmas_f32 v39, v39, v43, v44
	v_div_fixup_f32 v38, v39, v38, 1.0
	v_mul_f32_e32 v38, v41, v38
	v_pk_mul_f32 v[34:35], v[34:35], v[38:39] op_sel_hi:[1,0]
	v_pk_mul_f32 v[36:37], v[36:37], v[38:39] op_sel_hi:[1,0]
	v_bfe_u32 v38, v35, 16, 1
	v_bfe_u32 v39, v34, 16, 1
	s_movk_i32 s1, 0x7fff
	v_add3_u32 v34, v34, v39, s1
	v_add3_u32 v35, v35, v38, s1
	s_mov_b32 s6, 0x7060302
	v_perm_b32 v34, v35, v34, s6
	v_bfe_u32 v35, v37, 16, 1
	v_bfe_u32 v38, v36, 16, 1
	v_add3_u32 v36, v36, v38, s1
	v_add3_u32 v35, v37, v35, s1
	v_perm_b32 v35, v35, v36, s6
	s_waitcnt vmcnt(4)
	v_cvt_pk_f32_fp8_e32 v[36:37], v30
	v_cvt_pk_f32_fp8_sdwa v[38:39], v30 src0_sel:WORD_1
	v_cvt_pk_f32_fp8_e32 v[42:43], v31
	v_cvt_pk_f32_fp8_sdwa v[30:31], v31 src0_sel:WORD_1
	v_perm_b32 v36, v37, v36, s6
	v_perm_b32 v37, v39, v38, s6
	;; [unrolled: 1-line block ×4, first 2 shown]
	v_mfma_f32_4x4x4_16b_bf16 a[0:3], v[34:35], v[36:37], 0 cbsz:4
	v_cvt_pk_f32_fp8_e32 v[30:31], v32
	v_cvt_pk_f32_fp8_sdwa v[36:37], v32 src0_sel:WORD_1
	v_mfma_f32_4x4x4_16b_bf16 a[0:3], v[34:35], v[38:39], a[0:3] cbsz:4 abid:1
	v_cvt_pk_f32_fp8_e32 v[38:39], v33
	v_cvt_pk_f32_fp8_sdwa v[32:33], v33 src0_sel:WORD_1
	v_perm_b32 v30, v31, v30, s6
	v_perm_b32 v31, v37, v36, s6
	v_perm_b32 v36, v39, v38, s6
	v_perm_b32 v37, v33, v32, s6
	v_mfma_f32_4x4x4_16b_bf16 a[0:3], v[34:35], v[30:31], a[0:3] cbsz:4 abid:2
	v_cvt_pk_f32_fp8_e32 v[30:31], v26
	v_cvt_pk_f32_fp8_sdwa v[32:33], v26 src0_sel:WORD_1
	v_mfma_f32_4x4x4_16b_bf16 a[0:3], v[34:35], v[36:37], a[0:3] cbsz:4 abid:3
	v_cvt_pk_f32_fp8_e32 v[36:37], v27
	v_cvt_pk_f32_fp8_sdwa v[26:27], v27 src0_sel:WORD_1
	v_perm_b32 v30, v31, v30, s6
	v_perm_b32 v31, v33, v32, s6
	v_perm_b32 v32, v37, v36, s6
	v_perm_b32 v33, v27, v26, s6
	v_mfma_f32_4x4x4_16b_bf16 a[0:3], v[34:35], v[30:31], a[0:3] cbsz:4 abid:4
	;; [unrolled: 10-line block ×6, first 2 shown]
	v_cvt_pk_f32_fp8_e32 v[14:15], v16
	v_cvt_pk_f32_fp8_sdwa v[22:23], v16 src0_sel:WORD_1
	v_mfma_f32_4x4x4_16b_bf16 a[0:3], v[34:35], v[24:25], a[0:3] cbsz:4 abid:13
	v_cvt_pk_f32_fp8_e32 v[24:25], v17
	v_cvt_pk_f32_fp8_sdwa v[16:17], v17 src0_sel:WORD_1
	v_perm_b32 v14, v15, v14, s6
	v_perm_b32 v15, v23, v22, s6
	s_load_dword s4, s[14:15], 0x0
	v_perm_b32 v22, v25, v24, s6
	v_mfma_f32_4x4x4_16b_bf16 a[0:3], v[34:35], v[14:15], a[0:3] cbsz:4 abid:14
	v_perm_b32 v23, v17, v16, s6
	s_nop 1
	v_mfma_f32_4x4x4_16b_bf16 a[0:3], v[34:35], v[22:23], a[0:3] cbsz:4 abid:15
	s_nop 4
	v_accvgpr_read_b32 v17, a1
	v_accvgpr_read_b32 v16, a0
	s_waitcnt lgkmcnt(0)
	v_pk_mul_f32 v[16:17], v[16:17], s[4:5] op_sel_hi:[1,0]
	v_accvgpr_read_b32 v15, a3
	v_accvgpr_read_b32 v14, a2
	v_bfe_u32 v22, v17, 16, 1
	v_bfe_u32 v23, v16, 16, 1
	v_pk_mul_f32 v[14:15], v[14:15], s[4:5] op_sel_hi:[1,0]
	v_add3_u32 v16, v16, v23, s1
	v_add3_u32 v17, v17, v22, s1
	v_perm_b32 v16, v17, v16, s6
	v_bfe_u32 v17, v15, 16, 1
	v_bfe_u32 v22, v14, 16, 1
	v_add3_u32 v14, v14, v22, s1
	v_add3_u32 v15, v15, v17, s1
	v_perm_b32 v17, v15, v14, s6
	v_mad_u32_u24 v14, v1, 40, v40
	ds_write_b64 v14, v[16:17]
	s_waitcnt vmcnt(2)
	v_cvt_pk_f32_fp8_e32 v[14:15], v18
	v_cvt_pk_f32_fp8_sdwa v[16:17], v18 src0_sel:WORD_1
	v_cvt_pk_f32_fp8_e32 v[22:23], v19
	v_cvt_pk_f32_fp8_sdwa v[18:19], v19 src0_sel:WORD_1
	v_perm_b32 v14, v15, v14, s6
	v_perm_b32 v15, v17, v16, s6
	;; [unrolled: 1-line block ×4, first 2 shown]
	v_mfma_f32_4x4x4_16b_bf16 a[0:3], v[34:35], v[14:15], 0 cbsz:4
	v_cvt_pk_f32_fp8_e32 v[14:15], v20
	v_cvt_pk_f32_fp8_e32 v[18:19], v21
	v_mfma_f32_4x4x4_16b_bf16 a[0:3], v[34:35], v[16:17], a[0:3] cbsz:4 abid:1
	v_cvt_pk_f32_fp8_sdwa v[16:17], v20 src0_sel:WORD_1
	v_cvt_pk_f32_fp8_sdwa v[20:21], v21 src0_sel:WORD_1
	v_perm_b32 v14, v15, v14, s6
	v_perm_b32 v15, v17, v16, s6
	;; [unrolled: 1-line block ×3, first 2 shown]
	s_nop 0
	v_mfma_f32_4x4x4_16b_bf16 a[0:3], v[34:35], v[14:15], a[0:3] cbsz:4 abid:2
	v_perm_b32 v17, v21, v20, s6
	v_cvt_pk_f32_fp8_e32 v[14:15], v6
	v_cvt_pk_f32_fp8_e32 v[18:19], v7
	v_mfma_f32_4x4x4_16b_bf16 a[0:3], v[34:35], v[16:17], a[0:3] cbsz:4 abid:3
	v_cvt_pk_f32_fp8_sdwa v[16:17], v6 src0_sel:WORD_1
	v_cvt_pk_f32_fp8_sdwa v[6:7], v7 src0_sel:WORD_1
	v_perm_b32 v14, v15, v14, s6
	v_perm_b32 v15, v17, v16, s6
	;; [unrolled: 1-line block ×3, first 2 shown]
	s_nop 0
	v_mfma_f32_4x4x4_16b_bf16 a[0:3], v[34:35], v[14:15], a[0:3] cbsz:4 abid:4
	v_perm_b32 v17, v7, v6, s6
	v_cvt_pk_f32_fp8_e32 v[6:7], v8
	v_cvt_pk_f32_fp8_sdwa v[14:15], v8 src0_sel:WORD_1
	v_mfma_f32_4x4x4_16b_bf16 a[0:3], v[34:35], v[16:17], a[0:3] cbsz:4 abid:5
	v_cvt_pk_f32_fp8_e32 v[16:17], v9
	v_cvt_pk_f32_fp8_sdwa v[8:9], v9 src0_sel:WORD_1
	v_perm_b32 v6, v7, v6, s6
	v_perm_b32 v7, v15, v14, s6
	v_perm_b32 v14, v17, v16, s6
	v_perm_b32 v15, v9, v8, s6
	v_mfma_f32_4x4x4_16b_bf16 a[0:3], v[34:35], v[6:7], a[0:3] cbsz:4 abid:6
	s_waitcnt vmcnt(0)
	v_cvt_pk_f32_fp8_e32 v[6:7], v10
	v_cvt_pk_f32_fp8_sdwa v[8:9], v10 src0_sel:WORD_1
	v_mfma_f32_4x4x4_16b_bf16 a[0:3], v[34:35], v[14:15], a[0:3] cbsz:4 abid:7
	v_cvt_pk_f32_fp8_e32 v[14:15], v11
	v_cvt_pk_f32_fp8_sdwa v[10:11], v11 src0_sel:WORD_1
	v_perm_b32 v6, v7, v6, s6
	v_perm_b32 v7, v9, v8, s6
	;; [unrolled: 1-line block ×4, first 2 shown]
	v_mfma_f32_4x4x4_16b_bf16 a[0:3], v[34:35], v[6:7], a[0:3] cbsz:4 abid:8
	v_cvt_pk_f32_fp8_e32 v[6:7], v12
	v_cvt_pk_f32_fp8_e32 v[10:11], v13
	v_mfma_f32_4x4x4_16b_bf16 a[0:3], v[34:35], v[8:9], a[0:3] cbsz:4 abid:9
	v_cvt_pk_f32_fp8_sdwa v[8:9], v12 src0_sel:WORD_1
	v_cvt_pk_f32_fp8_sdwa v[12:13], v13 src0_sel:WORD_1
	v_perm_b32 v6, v7, v6, s6
	v_perm_b32 v7, v9, v8, s6
	v_perm_b32 v8, v11, v10, s6
	s_nop 0
	v_mfma_f32_4x4x4_16b_bf16 a[0:3], v[34:35], v[6:7], a[0:3] cbsz:4 abid:10
	v_perm_b32 v9, v13, v12, s6
	v_cvt_pk_f32_fp8_e32 v[6:7], v2
	v_cvt_pk_f32_fp8_e32 v[10:11], v3
	v_mfma_f32_4x4x4_16b_bf16 a[0:3], v[34:35], v[8:9], a[0:3] cbsz:4 abid:11
	v_cvt_pk_f32_fp8_sdwa v[8:9], v2 src0_sel:WORD_1
	v_cvt_pk_f32_fp8_sdwa v[2:3], v3 src0_sel:WORD_1
	v_perm_b32 v6, v7, v6, s6
	v_perm_b32 v7, v9, v8, s6
	;; [unrolled: 1-line block ×3, first 2 shown]
	s_nop 0
	v_mfma_f32_4x4x4_16b_bf16 a[0:3], v[34:35], v[6:7], a[0:3] cbsz:4 abid:12
	v_cvt_pk_f32_fp8_e32 v[2:3], v4
	v_cvt_pk_f32_fp8_sdwa v[6:7], v4 src0_sel:WORD_1
	v_perm_b32 v8, v11, v10, s6
	v_perm_b32 v2, v3, v2, s6
	s_nop 0
	v_mfma_f32_4x4x4_16b_bf16 a[0:3], v[34:35], v[8:9], a[0:3] cbsz:4 abid:13
	v_cvt_pk_f32_fp8_e32 v[8:9], v5
	v_cvt_pk_f32_fp8_sdwa v[4:5], v5 src0_sel:WORD_1
	v_perm_b32 v3, v7, v6, s6
	v_perm_b32 v6, v9, v8, s6
	s_nop 0
	v_mfma_f32_4x4x4_16b_bf16 a[0:3], v[34:35], v[2:3], a[0:3] cbsz:4 abid:14
	v_perm_b32 v7, v5, v4, s6
	s_nop 1
	v_mfma_f32_4x4x4_16b_bf16 a[0:3], v[34:35], v[6:7], a[0:3] cbsz:4 abid:15
	s_nop 4
	v_accvgpr_read_b32 v5, a1
	v_accvgpr_read_b32 v4, a0
	;; [unrolled: 1-line block ×4, first 2 shown]
	v_pk_mul_f32 v[4:5], v[4:5], s[4:5] op_sel_hi:[1,0]
	v_pk_mul_f32 v[2:3], v[2:3], s[4:5] op_sel_hi:[1,0]
	v_bfe_u32 v6, v5, 16, 1
	v_bfe_u32 v7, v4, 16, 1
	v_add3_u32 v4, v4, v7, s1
	v_add3_u32 v5, v5, v6, s1
	v_bfe_u32 v6, v3, 16, 1
	v_bfe_u32 v7, v2, 16, 1
	v_add3_u32 v2, v2, v7, s1
	v_add3_u32 v3, v3, v6, s1
	v_perm_b32 v39, v3, v2, s6
	v_perm_b32 v38, v5, v4, s6
.LBB1349_23:
	s_or_b64 exec, exec, s[2:3]
	s_waitcnt vmcnt(1)
	v_mad_u32_u24 v2, v1, 40, v40
	v_cmp_gt_u32_e32 vcc, 64, v0
	ds_write_b64 v2, v[38:39] offset:2560
	s_waitcnt lgkmcnt(0)
	s_barrier
	s_and_saveexec_b64 s[2:3], vcc
	s_cbranch_execz .LBB1349_25
; %bb.24:
	v_mul_u32_u24_e32 v6, 40, v1
	ds_read2_b64 v[2:5], v6 offset1:1
	ds_read2_b64 v[6:9], v6 offset0:2 offset1:3
	s_mov_b32 s1, 0
	s_lshl_b32 s0, s0, 7
	s_lshl_b64 s[2:3], s[0:1], 1
	s_waitcnt lgkmcnt(1)
	v_and_b32_e32 v3, 0xffff0000, v2
	v_add_f32_e32 v3, 0, v3
	v_and_b32_e32 v5, 0xffff0000, v4
	v_and_b32_e32 v3, 0xffff0000, v3
	v_add_f32_e32 v3, v3, v5
	s_waitcnt lgkmcnt(0)
	v_and_b32_e32 v7, 0xffff0000, v6
	v_and_b32_e32 v3, 0xffff0000, v3
	v_add_f32_e32 v3, v3, v7
	v_mov_b32_e32 v7, 0xa00
	v_mad_u32_u24 v7, v1, 40, v7
	s_waitcnt vmcnt(0)
	ds_read2_b64 v[10:13], v7 offset1:1
	v_and_b32_e32 v3, 0xffff0000, v3
	v_and_b32_e32 v5, 0xffff0000, v8
	v_add_f32_e32 v7, v3, v5
	v_mov_b32_e32 v3, 0xa10
	v_mad_u32_u24 v1, v1, 40, v3
	ds_read2_b64 v[14:17], v1 offset1:1
	s_waitcnt lgkmcnt(1)
	v_lshlrev_b32_e32 v1, 16, v10
	v_add_f32_e32 v1, 0, v1
	v_and_b32_e32 v3, 0xffff0000, v10
	v_and_b32_e32 v1, 0xffff0000, v1
	v_add_f32_e32 v3, 0, v3
	v_lshlrev_b32_e32 v5, 16, v12
	v_and_b32_e32 v3, 0xffff0000, v3
	v_add_f32_e32 v1, v1, v5
	v_and_b32_e32 v5, 0xffff0000, v12
	v_and_b32_e32 v1, 0xffff0000, v1
	v_add_f32_e32 v3, v3, v5
	s_waitcnt lgkmcnt(0)
	v_lshlrev_b32_e32 v5, 16, v14
	v_and_b32_e32 v3, 0xffff0000, v3
	v_add_f32_e32 v1, v1, v5
	v_and_b32_e32 v5, 0xffff0000, v14
	v_and_b32_e32 v1, 0xffff0000, v1
	v_add_f32_e32 v3, v3, v5
	v_lshlrev_b32_e32 v5, 16, v16
	v_and_b32_e32 v3, 0xffff0000, v3
	v_add_f32_e32 v9, v1, v5
	v_and_b32_e32 v1, 0xffff0000, v16
	v_add_f32_e32 v10, v3, v1
	v_lshlrev_b32_e32 v1, 16, v2
	s_add_u32 s2, s26, s2
	v_add_f32_e32 v1, 0, v1
	s_addc_u32 s3, s27, s3
	s_lshl_b32 s0, s24, 7
	v_and_b32_e32 v1, 0xffff0000, v1
	v_lshlrev_b32_e32 v2, 16, v4
	s_lshl_b64 s[0:1], s[0:1], 1
	v_add_f32_e32 v1, v1, v2
	s_add_u32 s0, s2, s0
	v_and_b32_e32 v1, 0xffff0000, v1
	v_lshlrev_b32_e32 v2, 16, v6
	s_addc_u32 s1, s3, s1
	s_lshl_b32 s2, s5, 7
	v_add_f32_e32 v1, v1, v2
	v_and_b32_e32 v1, 0xffff0000, v1
	v_lshlrev_b32_e32 v2, 16, v8
	s_mul_i32 s3, s2, s8
	v_add_f32_e32 v1, v1, v2
	v_or_b32_e32 v2, s3, v0
	v_mov_b32_e32 v3, 0
	s_add_i32 s3, s3, s2
	v_lshl_add_u64 v[4:5], v[2:3], 1, s[0:1]
	v_or_b32_e32 v2, s3, v0
	global_store_short_d16_hi v[4:5], v1, off
	v_lshl_add_u64 v[0:1], v[2:3], 1, s[0:1]
	global_store_short_d16_hi v[0:1], v7, off
	global_store_short_d16_hi v[4:5], v9, off offset:128
	global_store_short_d16_hi v[0:1], v10, off offset:128
.LBB1349_25:
	s_endpgm
	.section	.rodata,"a",@progbits
	.p2align	6, 0x0
	.amdhsa_kernel _Z38paged_attention_ll4mi_QKV_mfma4_kernelI14__hip_bfloat16hLN4vllm18Fp8KVCacheDataTypeE1EhLi32ELi128ELi256ELb0ELi2EEvPKT_PKT0_S8_ifPKiSA_SA_iPKfiiiPfSD_PS3_PT2_iSC_SC_
		.amdhsa_group_segment_fixed_size 5280
		.amdhsa_private_segment_fixed_size 0
		.amdhsa_kernarg_size 400
		.amdhsa_user_sgpr_count 2
		.amdhsa_user_sgpr_dispatch_ptr 0
		.amdhsa_user_sgpr_queue_ptr 0
		.amdhsa_user_sgpr_kernarg_segment_ptr 1
		.amdhsa_user_sgpr_dispatch_id 0
		.amdhsa_user_sgpr_kernarg_preload_length 0
		.amdhsa_user_sgpr_kernarg_preload_offset 0
		.amdhsa_user_sgpr_private_segment_size 0
		.amdhsa_uses_dynamic_stack 0
		.amdhsa_enable_private_segment 0
		.amdhsa_system_sgpr_workgroup_id_x 1
		.amdhsa_system_sgpr_workgroup_id_y 1
		.amdhsa_system_sgpr_workgroup_id_z 1
		.amdhsa_system_sgpr_workgroup_info 0
		.amdhsa_system_vgpr_workitem_id 0
		.amdhsa_next_free_vgpr 88
		.amdhsa_next_free_sgpr 42
		.amdhsa_accum_offset 84
		.amdhsa_reserve_vcc 1
		.amdhsa_float_round_mode_32 0
		.amdhsa_float_round_mode_16_64 0
		.amdhsa_float_denorm_mode_32 3
		.amdhsa_float_denorm_mode_16_64 3
		.amdhsa_dx10_clamp 1
		.amdhsa_ieee_mode 1
		.amdhsa_fp16_overflow 0
		.amdhsa_tg_split 0
		.amdhsa_exception_fp_ieee_invalid_op 0
		.amdhsa_exception_fp_denorm_src 0
		.amdhsa_exception_fp_ieee_div_zero 0
		.amdhsa_exception_fp_ieee_overflow 0
		.amdhsa_exception_fp_ieee_underflow 0
		.amdhsa_exception_fp_ieee_inexact 0
		.amdhsa_exception_int_div_zero 0
	.end_amdhsa_kernel
	.section	.text._Z38paged_attention_ll4mi_QKV_mfma4_kernelI14__hip_bfloat16hLN4vllm18Fp8KVCacheDataTypeE1EhLi32ELi128ELi256ELb0ELi2EEvPKT_PKT0_S8_ifPKiSA_SA_iPKfiiiPfSD_PS3_PT2_iSC_SC_,"axG",@progbits,_Z38paged_attention_ll4mi_QKV_mfma4_kernelI14__hip_bfloat16hLN4vllm18Fp8KVCacheDataTypeE1EhLi32ELi128ELi256ELb0ELi2EEvPKT_PKT0_S8_ifPKiSA_SA_iPKfiiiPfSD_PS3_PT2_iSC_SC_,comdat
.Lfunc_end1349:
	.size	_Z38paged_attention_ll4mi_QKV_mfma4_kernelI14__hip_bfloat16hLN4vllm18Fp8KVCacheDataTypeE1EhLi32ELi128ELi256ELb0ELi2EEvPKT_PKT0_S8_ifPKiSA_SA_iPKfiiiPfSD_PS3_PT2_iSC_SC_, .Lfunc_end1349-_Z38paged_attention_ll4mi_QKV_mfma4_kernelI14__hip_bfloat16hLN4vllm18Fp8KVCacheDataTypeE1EhLi32ELi128ELi256ELb0ELi2EEvPKT_PKT0_S8_ifPKiSA_SA_iPKfiiiPfSD_PS3_PT2_iSC_SC_
                                        ; -- End function
	.section	.AMDGPU.csdata,"",@progbits
; Kernel info:
; codeLenInByte = 5604
; NumSgprs: 48
; NumVgprs: 82
; NumAgprs: 4
; TotalNumVgprs: 88
; ScratchSize: 0
; MemoryBound: 0
; FloatMode: 240
; IeeeMode: 1
; LDSByteSize: 5280 bytes/workgroup (compile time only)
; SGPRBlocks: 5
; VGPRBlocks: 10
; NumSGPRsForWavesPerEU: 48
; NumVGPRsForWavesPerEU: 88
; AccumOffset: 84
; Occupancy: 5
; WaveLimiterHint : 1
; COMPUTE_PGM_RSRC2:SCRATCH_EN: 0
; COMPUTE_PGM_RSRC2:USER_SGPR: 2
; COMPUTE_PGM_RSRC2:TRAP_HANDLER: 0
; COMPUTE_PGM_RSRC2:TGID_X_EN: 1
; COMPUTE_PGM_RSRC2:TGID_Y_EN: 1
; COMPUTE_PGM_RSRC2:TGID_Z_EN: 1
; COMPUTE_PGM_RSRC2:TIDIG_COMP_CNT: 0
; COMPUTE_PGM_RSRC3_GFX90A:ACCUM_OFFSET: 20
; COMPUTE_PGM_RSRC3_GFX90A:TG_SPLIT: 0
	.section	.text._Z38paged_attention_ll4mi_QKV_mfma4_kernelI14__hip_bfloat16hLN4vllm18Fp8KVCacheDataTypeE1EhLi32ELi128ELi256ELb0ELi3EEvPKT_PKT0_S8_ifPKiSA_SA_iPKfiiiPfSD_PS3_PT2_iSC_SC_,"axG",@progbits,_Z38paged_attention_ll4mi_QKV_mfma4_kernelI14__hip_bfloat16hLN4vllm18Fp8KVCacheDataTypeE1EhLi32ELi128ELi256ELb0ELi3EEvPKT_PKT0_S8_ifPKiSA_SA_iPKfiiiPfSD_PS3_PT2_iSC_SC_,comdat
	.protected	_Z38paged_attention_ll4mi_QKV_mfma4_kernelI14__hip_bfloat16hLN4vllm18Fp8KVCacheDataTypeE1EhLi32ELi128ELi256ELb0ELi3EEvPKT_PKT0_S8_ifPKiSA_SA_iPKfiiiPfSD_PS3_PT2_iSC_SC_ ; -- Begin function _Z38paged_attention_ll4mi_QKV_mfma4_kernelI14__hip_bfloat16hLN4vllm18Fp8KVCacheDataTypeE1EhLi32ELi128ELi256ELb0ELi3EEvPKT_PKT0_S8_ifPKiSA_SA_iPKfiiiPfSD_PS3_PT2_iSC_SC_
	.globl	_Z38paged_attention_ll4mi_QKV_mfma4_kernelI14__hip_bfloat16hLN4vllm18Fp8KVCacheDataTypeE1EhLi32ELi128ELi256ELb0ELi3EEvPKT_PKT0_S8_ifPKiSA_SA_iPKfiiiPfSD_PS3_PT2_iSC_SC_
	.p2align	8
	.type	_Z38paged_attention_ll4mi_QKV_mfma4_kernelI14__hip_bfloat16hLN4vllm18Fp8KVCacheDataTypeE1EhLi32ELi128ELi256ELb0ELi3EEvPKT_PKT0_S8_ifPKiSA_SA_iPKfiiiPfSD_PS3_PT2_iSC_SC_,@function
_Z38paged_attention_ll4mi_QKV_mfma4_kernelI14__hip_bfloat16hLN4vllm18Fp8KVCacheDataTypeE1EhLi32ELi128ELi256ELb0ELi3EEvPKT_PKT0_S8_ifPKiSA_SA_iPKfiiiPfSD_PS3_PT2_iSC_SC_: ; @_Z38paged_attention_ll4mi_QKV_mfma4_kernelI14__hip_bfloat16hLN4vllm18Fp8KVCacheDataTypeE1EhLi32ELi128ELi256ELb0ELi3EEvPKT_PKT0_S8_ifPKiSA_SA_iPKfiiiPfSD_PS3_PT2_iSC_SC_
; %bb.0:
	s_load_dwordx2 s[20:21], s[0:1], 0x30
	s_mov_b32 s24, s3
	s_mov_b64 s[6:7], 0
	s_waitcnt lgkmcnt(0)
	s_cmp_lg_u64 s[20:21], 0
	s_cselect_b64 s[22:23], -1, 0
	s_and_b64 vcc, exec, s[22:23]
	s_cbranch_vccz .LBB1350_10
; %bb.1:
	s_add_i32 s8, s2, 1
	s_mov_b32 s9, 0
	s_lshl_b64 s[10:11], s[8:9], 2
	s_add_u32 s10, s20, s10
	s_mov_b32 s3, s9
	s_addc_u32 s11, s21, s11
	s_lshl_b64 s[8:9], s[2:3], 2
	s_add_u32 s8, s20, s8
	s_addc_u32 s9, s21, s9
	s_load_dword s5, s[10:11], 0x0
	s_load_dword s12, s[8:9], 0x0
	s_waitcnt lgkmcnt(0)
	s_sub_i32 s5, s5, s12
	s_cmp_eq_u32 s5, 1
	s_cselect_b64 s[8:9], -1, 0
	s_andn2_b64 vcc, exec, s[6:7]
	s_cbranch_vccnz .LBB1350_3
.LBB1350_2:
	s_mov_b32 s3, 0
	s_mov_b64 s[8:9], -1
.LBB1350_3:
	s_andn2_b64 vcc, exec, s[8:9]
	s_cbranch_vccnz .LBB1350_25
; %bb.4:
	s_load_dword s5, s[0:1], 0x9c
	s_load_dwordx2 s[6:7], s[0:1], 0x28
	s_add_u32 s28, s0, 0x90
	s_addc_u32 s29, s1, 0
	s_lshl_b64 s[34:35], s[2:3], 2
	s_waitcnt lgkmcnt(0)
	s_and_b32 s5, s5, 0xffff
	s_add_u32 s6, s6, s34
	s_addc_u32 s7, s7, s35
	s_load_dword s3, s[6:7], 0x0
	s_mul_i32 s10, s24, s5
	s_waitcnt lgkmcnt(0)
	s_cmp_ge_i32 s10, s3
	s_cbranch_scc1 .LBB1350_25
; %bb.5:
	v_and_b32_e32 v1, 0xc0, v0
	v_add_u32_e32 v4, s10, v1
	v_lshrrev_b32_e32 v38, 6, v0
	v_cmp_le_i32_e64 s[6:7], s3, v4
                                        ; implicit-def: $sgpr25
                                        ; implicit-def: $sgpr11
	s_and_saveexec_b64 s[8:9], s[6:7]
	s_xor_b64 s[8:9], exec, s[8:9]
	s_cbranch_execz .LBB1350_7
; %bb.6:
	v_mul_u32_u24_e32 v1, 20, v38
	v_or_b32_e32 v1, 0x1400, v1
	v_mov_b32_e32 v2, 0x1450
	v_mov_b32_e32 v3, 0xff7fffff
	v_mad_u32_u24 v2, v38, 20, v2
	ds_write2_b32 v1, v3, v3 offset1:1
	v_mov_b32_e32 v1, 0
	ds_write2_b32 v2, v1, v1 offset1:1
	v_mov_b32_e32 v2, 0x1408
	v_mov_b32_e32 v4, 0x1458
	s_mov_b32 s11, 0xff7fffff
	s_mov_b32 s25, 0
	v_mad_u32_u24 v2, v38, 20, v2
	v_mad_u32_u24 v4, v38, 20, v4
	ds_write2_b32 v2, v3, v3 offset1:1
	ds_write2_b32 v4, v1, v1 offset1:1
                                        ; implicit-def: $vgpr4
.LBB1350_7:
	s_or_saveexec_b64 s[30:31], s[8:9]
	s_load_dwordx2 s[26:27], s[0:1], 0x68
	s_load_dwordx4 s[16:19], s[0:1], 0x58
	s_load_dword s5, s[28:29], 0x4
	s_load_dwordx4 s[12:15], s[0:1], 0x80
	v_and_b32_e32 v1, 63, v0
	v_and_b32_e32 v39, 3, v0
	v_mov_b32_e32 v37, s25
	v_mov_b32_e32 v41, s11
	;; [unrolled: 1-line block ×5, first 2 shown]
                                        ; implicit-def: $vgpr30_vgpr31
                                        ; implicit-def: $vgpr18_vgpr19
                                        ; implicit-def: $vgpr22_vgpr23
                                        ; implicit-def: $vgpr10_vgpr11
                                        ; implicit-def: $vgpr6_vgpr7
                                        ; implicit-def: $vgpr2_vgpr3
                                        ; implicit-def: $vgpr26_vgpr27
                                        ; implicit-def: $vgpr14_vgpr15
	s_xor_b64 exec, exec, s[30:31]
	s_cbranch_execz .LBB1350_17
; %bb.8:
	s_load_dwordx2 s[8:9], s[0:1], 0x20
	s_load_dword s11, s[0:1], 0x38
	s_add_i32 s25, s3, 31
	s_ashr_i32 s33, s25, 31
	s_lshr_b32 s33, s33, 27
	v_add_u32_e32 v36, s10, v0
	s_add_i32 s25, s25, s33
	v_ashrrev_i32_e32 v2, 31, v36
	s_ashr_i32 s25, s25, 5
	v_lshrrev_b32_e32 v2, 27, v2
	s_add_i32 s25, s25, -1
	s_waitcnt lgkmcnt(0)
	s_mul_i32 s36, s2, s11
	s_mov_b32 s37, 0
	v_add_u32_e32 v2, v36, v2
	s_lshl_b64 s[36:37], s[36:37], 2
	v_ashrrev_i32_e32 v2, 5, v2
	v_mov_b32_e32 v3, s25
	v_cmp_gt_i32_e32 vcc, s3, v36
	s_add_u32 s8, s8, s36
	s_addc_u32 s9, s9, s37
	v_cndmask_b32_e32 v2, v3, v2, vcc
	v_ashrrev_i32_e32 v3, 31, v2
	v_lshl_add_u64 v[6:7], v[2:3], 2, s[8:9]
	v_ashrrev_i32_e32 v2, 31, v4
	v_lshrrev_b32_e32 v2, 27, v2
	v_add_u32_e32 v2, v4, v2
	v_ashrrev_i32_e32 v8, 5, v2
	v_min_i32_e32 v2, s25, v8
	v_ashrrev_i32_e32 v3, 31, v2
	v_lshl_add_u64 v[4:5], v[2:3], 2, s[8:9]
	v_add_u32_e32 v2, 1, v8
	v_min_i32_e32 v2, s25, v2
	v_ashrrev_i32_e32 v3, 31, v2
	v_lshl_add_u64 v[8:9], v[2:3], 2, s[8:9]
	global_load_dword v2, v[6:7], off
	global_load_dword v26, v[4:5], off
	;; [unrolled: 1-line block ×3, first 2 shown]
	s_load_dwordx4 s[8:11], s[0:1], 0x8
	s_andn2_b64 vcc, exec, s[22:23]
	s_cbranch_vccnz .LBB1350_11
; %bb.9:
	s_add_u32 s20, s20, s34
	s_addc_u32 s21, s21, s35
	s_load_dword s25, s[20:21], 0x0
	s_branch .LBB1350_12
.LBB1350_10:
	s_mov_b64 s[8:9], 0
	s_branch .LBB1350_2
.LBB1350_11:
	s_mov_b32 s25, s2
.LBB1350_12:
	s_load_dwordx4 s[20:23], s[0:1], 0x48
	v_cmp_ne_u32_e32 vcc, 3, v39
	s_mov_b32 s37, 0
	v_mov_b32_e32 v37, 1.0
	v_mov_b32_e32 v23, 0
	v_mov_b32_e32 v14, 0
	;; [unrolled: 1-line block ×5, first 2 shown]
	s_and_saveexec_b64 s[34:35], vcc
	s_cbranch_execz .LBB1350_14
; %bb.13:
	s_load_dwordx2 s[38:39], s[0:1], 0x0
	s_waitcnt lgkmcnt(0)
	s_ashr_i32 s23, s20, 31
	s_mul_hi_u32 s33, s25, s20
	s_mul_i32 s23, s25, s23
	s_add_i32 s41, s33, s23
	s_mul_i32 s40, s25, s20
	s_lshl_b64 s[40:41], s[40:41], 1
	s_add_u32 s20, s38, s40
	s_mul_i32 s36, s4, 0x180
	s_addc_u32 s23, s39, s41
	s_lshl_b64 s[36:37], s[36:37], 1
	v_lshlrev_b32_e32 v3, 2, v1
	s_add_u32 s36, s20, s36
	v_and_b32_e32 v3, 0xf0, v3
	s_addc_u32 s37, s23, s37
	v_lshl_or_b32 v3, v39, 8, v3
	global_load_dwordx4 v[14:17], v3, s[36:37]
	v_mov_b32_e32 v37, 0
.LBB1350_14:
	s_or_b64 exec, exec, s[34:35]
	s_waitcnt lgkmcnt(0)
	s_mul_i32 s20, s4, s22
	s_add_u32 s8, s20, s8
	s_addc_u32 s9, 0, s9
	v_mov_b64_e32 v[4:5], s[8:9]
	s_waitcnt vmcnt(2)
	v_mad_i64_i32 v[2:3], s[8:9], v2, s21, v[4:5]
	v_lshlrev_b32_e32 v4, 4, v0
	v_and_b32_e32 v22, 0x1f0, v4
	v_lshl_add_u64 v[24:25], v[2:3], 0, v[22:23]
	global_load_dwordx4 v[18:21], v[24:25], off
	global_load_dwordx4 v[10:13], v[24:25], off offset:512
	global_load_dwordx4 v[6:9], v[24:25], off offset:1024
	;; [unrolled: 1-line block ×3, first 2 shown]
	s_waitcnt vmcnt(4)
	v_mul_hi_i32 v28, v27, s21
	v_ashrrev_i32_e32 v28, 31, v28
	v_mul_hi_i32 v22, v26, s21
	v_mov_b32_e32 v29, v23
	v_lshrrev_b32_e32 v28, 29, v28
	v_ashrrev_i32_e32 v22, 31, v22
	s_add_u32 s10, s10, s20
	v_mad_i64_i32 v[28:29], s[22:23], v27, s21, v[28:29]
	s_addc_u32 s11, s11, 0
	v_and_b32_e32 v28, -8, v28
	v_lshrrev_b32_e32 v22, 29, v22
	v_lshl_add_u64 v[30:31], s[10:11], 0, v[28:29]
	v_mad_i64_i32 v[32:33], s[20:21], v26, s21, v[22:23]
	global_load_dwordx4 v[26:29], v[24:25], off offset:2048
	global_load_dwordx4 v[40:43], v[24:25], off offset:2560
	;; [unrolled: 1-line block ×4, first 2 shown]
	v_lshlrev_b32_e32 v22, 5, v1
	v_and_b32_e32 v32, -8, v32
	v_lshl_add_u64 v[34:35], v[30:31], 0, v[22:23]
	v_lshl_add_u64 v[30:31], s[10:11], 0, v[32:33]
	;; [unrolled: 1-line block ×3, first 2 shown]
	s_mov_b32 s8, 0x7060302
	s_load_dword s0, s[0:1], 0x1c
	v_cmp_eq_u32_e32 vcc, 0, v39
	s_waitcnt vmcnt(7)
	v_cvt_pk_f32_fp8_e32 v[30:31], v18
	v_cvt_pk_f32_fp8_sdwa v[32:33], v18 src0_sel:WORD_1
	v_cvt_pk_f32_fp8_e32 v[52:53], v19
	v_cvt_pk_f32_fp8_sdwa v[18:19], v19 src0_sel:WORD_1
	;; [unrolled: 2-line block ×3, first 2 shown]
	s_waitcnt vmcnt(4)
	v_cvt_pk_f32_fp8_e32 v[88:89], v2
	v_cvt_pk_f32_fp8_sdwa v[90:91], v2 src0_sel:WORD_1
	v_cvt_pk_f32_fp8_e32 v[92:93], v3
	v_cvt_pk_f32_fp8_sdwa v[94:95], v3 src0_sel:WORD_1
	v_perm_b32 v2, v31, v30, s8
	v_perm_b32 v3, v33, v32, s8
	v_cvt_pk_f32_fp8_e32 v[58:59], v21
	v_cvt_pk_f32_fp8_sdwa v[20:21], v21 src0_sel:WORD_1
	v_mfma_f32_4x4x4_16b_bf16 a[0:3], v[14:15], v[2:3], 0 cbsz:4
	v_perm_b32 v24, v53, v52, s8
	v_perm_b32 v25, v19, v18, s8
	v_cvt_pk_f32_fp8_e32 v[60:61], v10
	v_cvt_pk_f32_fp8_sdwa v[62:63], v10 src0_sel:WORD_1
	v_mfma_f32_4x4x4_16b_bf16 a[0:3], v[16:17], v[24:25], a[0:3] cbsz:4
	v_perm_b32 v52, v55, v54, s8
	v_perm_b32 v53, v57, v56, s8
	v_cvt_pk_f32_fp8_e32 v[64:65], v11
	v_cvt_pk_f32_fp8_sdwa v[10:11], v11 src0_sel:WORD_1
	v_mfma_f32_4x4x4_16b_bf16 a[0:3], v[14:15], v[52:53], a[0:3] cbsz:4 abid:1
	v_perm_b32 v54, v59, v58, s8
	v_perm_b32 v55, v21, v20, s8
	v_cvt_pk_f32_fp8_e32 v[66:67], v12
	v_cvt_pk_f32_fp8_sdwa v[68:69], v12 src0_sel:WORD_1
	v_mfma_f32_4x4x4_16b_bf16 a[0:3], v[16:17], v[54:55], a[0:3] cbsz:4 abid:1
	;; [unrolled: 5-line block ×5, first 2 shown]
	v_cvt_pk_f32_fp8_e32 v[80:81], v8
	v_cvt_pk_f32_fp8_sdwa v[82:83], v8 src0_sel:WORD_1
	v_cvt_pk_f32_fp8_e32 v[84:85], v9
	v_cvt_pk_f32_fp8_sdwa v[86:87], v9 src0_sel:WORD_1
	;; [unrolled: 2-line block ×4, first 2 shown]
	global_load_dwordx4 v[18:21], v[22:23], off offset:16
	global_load_dwordx4 v[30:33], v[22:23], off
	global_load_dwordx4 v[2:5], v[22:23], off offset:2064
	global_load_dwordx4 v[6:9], v[22:23], off offset:2048
	v_perm_b32 v22, v71, v70, s8
	v_perm_b32 v23, v13, v12, s8
	v_perm_b32 v12, v73, v72, s8
	v_perm_b32 v13, v75, v74, s8
	v_mfma_f32_4x4x4_16b_bf16 a[0:3], v[16:17], v[22:23], a[0:3] cbsz:4 abid:3
	v_perm_b32 v24, v77, v76, s8
	v_perm_b32 v25, v79, v78, s8
	v_mfma_f32_4x4x4_16b_bf16 a[0:3], v[14:15], v[12:13], a[0:3] cbsz:4 abid:4
	v_perm_b32 v52, v81, v80, s8
	v_perm_b32 v53, v83, v82, s8
	;; [unrolled: 3-line block ×7, first 2 shown]
	v_mfma_f32_4x4x4_16b_bf16 a[0:3], v[14:15], v[52:53], a[0:3] cbsz:4 abid:7
	s_waitcnt vmcnt(7)
	v_cvt_pk_f32_fp8_e32 v[52:53], v26
	v_cvt_pk_f32_fp8_e32 v[56:57], v27
	v_mfma_f32_4x4x4_16b_bf16 a[0:3], v[16:17], v[54:55], a[0:3] cbsz:4 abid:7
	v_cvt_pk_f32_fp8_sdwa v[54:55], v26 src0_sel:WORD_1
	v_perm_b32 v26, v53, v52, s8
	v_cvt_pk_f32_fp8_sdwa v[52:53], v27 src0_sel:WORD_1
	global_load_dwordx4 v[10:13], v[34:35], off offset:16
	global_load_dwordx4 v[22:25], v[34:35], off
	v_perm_b32 v27, v55, v54, s8
	v_perm_b32 v54, v57, v56, s8
	;; [unrolled: 1-line block ×3, first 2 shown]
	v_mfma_f32_4x4x4_16b_bf16 a[0:3], v[14:15], v[26:27], a[0:3] cbsz:4 abid:8
	v_cvt_pk_f32_fp8_e32 v[26:27], v28
	v_cvt_pk_f32_fp8_sdwa v[52:53], v28 src0_sel:WORD_1
	v_mfma_f32_4x4x4_16b_bf16 a[0:3], v[16:17], v[54:55], a[0:3] cbsz:4 abid:8
	v_cvt_pk_f32_fp8_e32 v[54:55], v29
	v_cvt_pk_f32_fp8_sdwa v[28:29], v29 src0_sel:WORD_1
	v_perm_b32 v26, v27, v26, s8
	v_perm_b32 v27, v53, v52, s8
	;; [unrolled: 1-line block ×4, first 2 shown]
	v_mfma_f32_4x4x4_16b_bf16 a[0:3], v[14:15], v[26:27], a[0:3] cbsz:4 abid:9
	s_waitcnt vmcnt(8)
	v_cvt_pk_f32_fp8_e32 v[26:27], v40
	v_cvt_pk_f32_fp8_sdwa v[28:29], v40 src0_sel:WORD_1
	v_mfma_f32_4x4x4_16b_bf16 a[0:3], v[16:17], v[52:53], a[0:3] cbsz:4 abid:9
	v_cvt_pk_f32_fp8_e32 v[52:53], v41
	v_cvt_pk_f32_fp8_sdwa v[40:41], v41 src0_sel:WORD_1
	v_perm_b32 v26, v27, v26, s8
	v_perm_b32 v27, v29, v28, s8
	;; [unrolled: 1-line block ×4, first 2 shown]
	v_mfma_f32_4x4x4_16b_bf16 a[0:3], v[14:15], v[26:27], a[0:3] cbsz:4 abid:10
	v_cvt_pk_f32_fp8_e32 v[26:27], v42
	v_cvt_pk_f32_fp8_e32 v[40:41], v43
	v_mfma_f32_4x4x4_16b_bf16 a[0:3], v[16:17], v[28:29], a[0:3] cbsz:4 abid:10
	v_cvt_pk_f32_fp8_sdwa v[28:29], v42 src0_sel:WORD_1
	v_cvt_pk_f32_fp8_sdwa v[42:43], v43 src0_sel:WORD_1
	v_perm_b32 v26, v27, v26, s8
	s_load_dword s1, s[12:13], 0x0
	v_perm_b32 v27, v29, v28, s8
	v_perm_b32 v28, v41, v40, s8
	;; [unrolled: 1-line block ×3, first 2 shown]
	v_mfma_f32_4x4x4_16b_bf16 a[0:3], v[14:15], v[26:27], a[0:3] cbsz:4 abid:11
	s_waitcnt vmcnt(7)
	v_cvt_pk_f32_fp8_e32 v[26:27], v44
	v_cvt_pk_f32_fp8_e32 v[40:41], v45
	v_mfma_f32_4x4x4_16b_bf16 a[0:3], v[16:17], v[28:29], a[0:3] cbsz:4 abid:11
	v_cvt_pk_f32_fp8_sdwa v[28:29], v44 src0_sel:WORD_1
	v_cvt_pk_f32_fp8_sdwa v[42:43], v45 src0_sel:WORD_1
	v_perm_b32 v26, v27, v26, s8
	v_perm_b32 v27, v29, v28, s8
	;; [unrolled: 1-line block ×3, first 2 shown]
	s_nop 0
	v_mfma_f32_4x4x4_16b_bf16 a[0:3], v[14:15], v[26:27], a[0:3] cbsz:4 abid:12
	v_perm_b32 v29, v43, v42, s8
	v_cvt_pk_f32_fp8_e32 v[26:27], v46
	v_cvt_pk_f32_fp8_e32 v[40:41], v47
	v_mfma_f32_4x4x4_16b_bf16 a[0:3], v[16:17], v[28:29], a[0:3] cbsz:4 abid:12
	v_cvt_pk_f32_fp8_sdwa v[28:29], v46 src0_sel:WORD_1
	v_cvt_pk_f32_fp8_sdwa v[42:43], v47 src0_sel:WORD_1
	v_perm_b32 v26, v27, v26, s8
	v_perm_b32 v27, v29, v28, s8
	;; [unrolled: 1-line block ×3, first 2 shown]
	s_nop 0
	v_mfma_f32_4x4x4_16b_bf16 a[0:3], v[14:15], v[26:27], a[0:3] cbsz:4 abid:13
	v_perm_b32 v29, v43, v42, s8
	s_waitcnt vmcnt(6)
	v_cvt_pk_f32_fp8_e32 v[26:27], v48
	v_cvt_pk_f32_fp8_e32 v[40:41], v49
	v_mfma_f32_4x4x4_16b_bf16 a[0:3], v[16:17], v[28:29], a[0:3] cbsz:4 abid:13
	v_cvt_pk_f32_fp8_sdwa v[28:29], v48 src0_sel:WORD_1
	v_cvt_pk_f32_fp8_sdwa v[42:43], v49 src0_sel:WORD_1
	v_perm_b32 v26, v27, v26, s8
	v_perm_b32 v27, v29, v28, s8
	;; [unrolled: 1-line block ×3, first 2 shown]
	s_nop 0
	v_mfma_f32_4x4x4_16b_bf16 a[0:3], v[14:15], v[26:27], a[0:3] cbsz:4 abid:14
	v_perm_b32 v29, v43, v42, s8
	v_cvt_pk_f32_fp8_e32 v[26:27], v50
	v_cvt_pk_f32_fp8_e32 v[40:41], v51
	v_mfma_f32_4x4x4_16b_bf16 a[0:3], v[16:17], v[28:29], a[0:3] cbsz:4 abid:14
	v_cvt_pk_f32_fp8_sdwa v[28:29], v50 src0_sel:WORD_1
	v_cvt_pk_f32_fp8_sdwa v[42:43], v51 src0_sel:WORD_1
	v_perm_b32 v26, v27, v26, s8
	v_perm_b32 v27, v29, v28, s8
	;; [unrolled: 1-line block ×3, first 2 shown]
	s_nop 0
	v_mfma_f32_4x4x4_16b_bf16 a[0:3], v[14:15], v[26:27], a[0:3] cbsz:4 abid:15
	v_perm_b32 v29, v43, v42, s8
	s_waitcnt lgkmcnt(0)
	v_mov_b32_e32 v14, s0
	v_mfma_f32_4x4x4_16b_bf16 a[0:3], v[16:17], v[28:29], a[0:3] cbsz:4 abid:15
	v_mul_f32_e32 v16, s1, v14
	s_nop 3
	v_accvgpr_read_b32 v27, a1
	v_accvgpr_read_b32 v26, a0
	v_pk_mul_f32 v[26:27], v[26:27], v[16:17] op_sel_hi:[1,0]
	v_accvgpr_read_b32 v15, a3
	v_accvgpr_read_b32 v14, a2
	v_pk_mul_f32 v[40:41], v[14:15], v[16:17] op_sel_hi:[1,0]
	v_cndmask_b32_e64 v14, 0, 1.0, vcc
	v_cmp_eq_u32_e32 vcc, 1, v39
	s_nop 0
	v_mfma_f32_4x4x1_16b_f32 a[0:3], v26, v14, 0
	v_cndmask_b32_e64 v14, 0, 1.0, vcc
	v_cmp_eq_u32_e32 vcc, 2, v39
	s_nop 0
	v_mfma_f32_4x4x1_16b_f32 a[0:3], v27, v14, a[0:3]
	v_cndmask_b32_e64 v14, 0, 1.0, vcc
	s_nop 1
	v_mfma_f32_4x4x1_16b_f32 a[0:3], v40, v14, a[0:3]
	global_load_dwordx4 v[14:17], v[34:35], off offset:2064
	global_load_dwordx4 v[26:29], v[34:35], off offset:2048
	v_mfma_f32_4x4x1_16b_f32 a[0:3], v41, v37, a[0:3]
	v_and_b32_e32 v34, -4, v36
	v_mov_b32_e32 v41, 0xff7fffff
	v_cmp_gt_i32_e32 vcc, s3, v34
	v_or_b32_e32 v36, 3, v36
	v_accvgpr_read_b32 v37, a0
	v_max_f32_e32 v40, v37, v37
	v_max_f32_e32 v40, 0xff7fffff, v40
	v_accvgpr_read_b32 v42, a1
	v_cndmask_b32_e32 v40, v41, v40, vcc
	v_or_b32_e32 v41, 1, v34
	v_max_f32_e32 v43, v42, v42
	v_max_f32_e32 v43, v40, v43
	v_cmp_gt_i32_e64 s[0:1], s3, v41
	v_or_b32_e32 v34, 2, v34
	v_cmp_gt_i32_e64 s[8:9], s3, v34
	v_cndmask_b32_e64 v40, v40, v43, s[0:1]
	v_accvgpr_read_b32 v43, a2
	v_max_f32_e32 v41, v43, v43
	v_max_f32_e32 v41, v40, v41
	v_cndmask_b32_e64 v34, v40, v41, s[8:9]
	v_accvgpr_read_b32 v40, a3
	v_max_f32_e32 v41, v40, v40
	v_max_f32_e32 v41, v34, v41
	v_cmp_gt_i32_e64 s[10:11], s3, v36
	v_lshlrev_b32_e32 v35, 2, v0
	v_and_or_b32 v35, v35, 48, v39
	v_cndmask_b32_e64 v34, v34, v41, s[10:11]
	;;#ASMSTART
	v_nop
 v_nop
 v_max_f32_dpp v34, v34, v34 row_ror:4
	;;#ASMEND
	v_lshlrev_b32_e32 v44, 2, v35
	;;#ASMSTART
	v_nop
 v_nop
 v_max_f32_dpp v34, v34, v34 row_ror:8
	;;#ASMEND
	ds_bpermute_b32 v34, v44, v34
	s_waitcnt lgkmcnt(0)
	;;#ASMSTART
	v_nop
 v_nop
 v_max_f32_dpp v34, v34, v34 row_ror:4
	;;#ASMEND
	s_nop 0
	;;#ASMSTART
	v_nop
 v_nop
 v_max_f32_dpp v41, v34, v34 row_ror:8
	;;#ASMEND
	s_nop 0
	v_sub_f32_e32 v34, v37, v41
	v_mul_f32_e32 v34, 0x3fb8aa3b, v34
	v_sub_f32_e32 v35, v42, v41
	v_exp_f32_e32 v34, v34
	v_mul_f32_e32 v35, 0x3fb8aa3b, v35
	v_sub_f32_e32 v37, v43, v41
	v_exp_f32_e32 v35, v35
	;; [unrolled: 3-line block ×3, first 2 shown]
	v_mul_f32_e32 v40, 0x3fb8aa3b, v40
	v_exp_f32_e32 v40, v40
	v_cndmask_b32_e32 v34, 0, v34, vcc
	v_add_f32_e32 v36, 0, v34
	v_cndmask_b32_e64 v35, 0, v35, s[0:1]
	v_add_f32_e32 v42, v36, v35
	v_cndmask_b32_e64 v36, 0, v37, s[8:9]
	;; [unrolled: 2-line block ×3, first 2 shown]
	v_add_f32_e32 v40, v42, v37
	;;#ASMSTART
	v_nop
 v_nop
 v_add_f32_dpp v40, v40, v40 row_ror:4
	;;#ASMEND
	v_cmp_gt_u32_e32 vcc, 4, v1
	;;#ASMSTART
	v_nop
 v_nop
 v_add_f32_dpp v40, v40, v40 row_ror:8
	;;#ASMEND
	ds_bpermute_b32 v40, v44, v40
	s_waitcnt lgkmcnt(0)
	;;#ASMSTART
	v_nop
 v_nop
 v_add_f32_dpp v40, v40, v40 row_ror:4
	;;#ASMEND
	s_nop 0
	;;#ASMSTART
	v_nop
 v_nop
 v_add_f32_dpp v40, v40, v40 row_ror:8
	;;#ASMEND
	s_and_saveexec_b64 s[0:1], vcc
	s_cbranch_execz .LBB1350_16
; %bb.15:
	v_mul_u32_u24_e32 v42, 20, v38
	v_lshl_add_u32 v42, v39, 2, v42
	v_add_u32_e32 v42, 0x1400, v42
	ds_write2_b32 v42, v41, v40 offset1:20
.LBB1350_16:
	s_or_b64 exec, exec, s[0:1]
.LBB1350_17:
	s_or_b64 exec, exec, s[30:31]
	s_waitcnt lgkmcnt(0)
	s_barrier
	s_load_dword s0, s[28:29], 0x8
	v_lshlrev_b32_e32 v40, 2, v39
	v_add_u32_e32 v40, 0x1400, v40
	ds_read2_b32 v[44:45], v40 offset1:5
	ds_read2_b32 v[46:47], v40 offset0:10 offset1:15
	s_mul_i32 s1, s2, s5
	s_waitcnt lgkmcnt(0)
	s_mul_i32 s0, s1, s0
	s_mov_b32 s1, 0xff7fffff
	v_max3_f32 v42, v44, s1, v45
	v_max3_f32 v42, v42, v46, v47
	v_sub_f32_e32 v43, v44, v42
	v_sub_f32_e32 v44, v45, v42
	ds_read2_b32 v[48:49], v40 offset0:20 offset1:25
	v_mul_f32_e32 v43, 0x3fb8aa3b, v43
	v_mul_f32_e32 v44, 0x3fb8aa3b, v44
	v_exp_f32_e32 v43, v43
	v_exp_f32_e32 v50, v44
	ds_read2_b32 v[44:45], v40 offset0:30 offset1:35
	v_sub_f32_e32 v40, v46, v42
	v_mul_f32_e32 v40, 0x3fb8aa3b, v40
	v_sub_f32_e32 v46, v47, v42
	v_exp_f32_e32 v40, v40
	v_mul_f32_e32 v46, 0x3fb8aa3b, v46
	v_exp_f32_e32 v46, v46
	s_waitcnt lgkmcnt(1)
	v_fma_f32 v43, v43, v48, 0
	v_fmac_f32_e32 v43, v50, v49
	s_waitcnt lgkmcnt(0)
	v_fmac_f32_e32 v43, v40, v44
	s_mul_i32 s8, s4, 3
	s_mul_i32 s0, s0, 3
	v_fmac_f32_e32 v43, v46, v45
	v_cmp_ne_u32_e32 vcc, 3, v39
	s_and_saveexec_b64 s[2:3], vcc
	s_cbranch_execz .LBB1350_19
; %bb.18:
	s_mov_b32 s1, 0
	s_lshl_b64 s[10:11], s[0:1], 2
	s_add_u32 s4, s16, s10
	s_mov_b32 s25, s1
	s_addc_u32 s9, s17, s11
	s_lshl_b64 s[12:13], s[24:25], 2
	s_add_u32 s16, s4, s12
	s_addc_u32 s17, s9, s13
	s_add_u32 s1, s18, s10
	s_addc_u32 s4, s19, s11
	v_add_u32_e32 v39, s8, v39
	s_add_u32 s10, s1, s12
	v_mul_lo_u32 v44, s5, v39
	v_mov_b32_e32 v45, 0
	s_addc_u32 s11, s4, s13
	v_lshlrev_b64 v[44:45], 2, v[44:45]
	v_lshl_add_u64 v[46:47], s[16:17], 0, v[44:45]
	v_lshl_add_u64 v[44:45], s[10:11], 0, v[44:45]
	global_store_dword v[44:45], v42, off
	global_store_dword v[46:47], v43, off
.LBB1350_19:
	s_or_b64 exec, exec, s[2:3]
	v_lshlrev_b32_e32 v40, 3, v38
                                        ; implicit-def: $sgpr1
	s_and_saveexec_b64 s[2:3], s[6:7]
	s_xor_b64 s[2:3], exec, s[2:3]
	s_cbranch_execz .LBB1350_21
; %bb.20:
	s_waitcnt vmcnt(5)
	v_mov_b32_e32 v2, 0
	v_mad_u32_u24 v4, v1, 40, v40
	s_mov_b32 s1, 0
	v_mov_b32_e32 v3, v2
	ds_write_b64 v4, v[2:3]
                                        ; implicit-def: $vgpr37
                                        ; implicit-def: $vgpr35
                                        ; implicit-def: $vgpr41
                                        ; implicit-def: $vgpr30_vgpr31
                                        ; implicit-def: $vgpr18_vgpr19
                                        ; implicit-def: $vgpr22_vgpr23
                                        ; implicit-def: $vgpr10_vgpr11
                                        ; implicit-def: $vgpr6_vgpr7
                                        ; implicit-def: $vgpr2_vgpr3
                                        ; implicit-def: $vgpr26_vgpr27
                                        ; implicit-def: $vgpr14_vgpr15
                                        ; implicit-def: $vgpr42
                                        ; implicit-def: $vgpr43
.LBB1350_21:
	s_or_saveexec_b64 s[2:3], s[2:3]
	v_mov_b32_e32 v38, s1
	v_mov_b32_e32 v39, s1
	s_xor_b64 exec, exec, s[2:3]
	s_cbranch_execz .LBB1350_23
; %bb.22:
	v_add_f32_e32 v38, 0x358637bd, v43
	v_div_scale_f32 v39, s[6:7], v38, v38, 1.0
	v_rcp_f32_e32 v43, v39
	v_sub_f32_e32 v41, v41, v42
	v_mul_f32_e32 v41, 0x3fb8aa3b, v41
	v_exp_f32_e32 v41, v41
	v_fma_f32 v42, -v39, v43, 1.0
	v_fmac_f32_e32 v43, v42, v43
	v_div_scale_f32 v42, vcc, 1.0, v38, 1.0
	v_mul_f32_e32 v44, v42, v43
	v_fma_f32 v45, -v39, v44, v42
	v_fmac_f32_e32 v44, v45, v43
	v_fma_f32 v39, -v39, v44, v42
	v_div_fmas_f32 v39, v39, v43, v44
	v_div_fixup_f32 v38, v39, v38, 1.0
	v_mul_f32_e32 v38, v41, v38
	v_pk_mul_f32 v[34:35], v[34:35], v[38:39] op_sel_hi:[1,0]
	v_pk_mul_f32 v[36:37], v[36:37], v[38:39] op_sel_hi:[1,0]
	v_bfe_u32 v38, v35, 16, 1
	v_bfe_u32 v39, v34, 16, 1
	s_movk_i32 s1, 0x7fff
	v_add3_u32 v34, v34, v39, s1
	v_add3_u32 v35, v35, v38, s1
	s_mov_b32 s6, 0x7060302
	v_perm_b32 v34, v35, v34, s6
	v_bfe_u32 v35, v37, 16, 1
	v_bfe_u32 v38, v36, 16, 1
	v_add3_u32 v36, v36, v38, s1
	v_add3_u32 v35, v37, v35, s1
	v_perm_b32 v35, v35, v36, s6
	s_waitcnt vmcnt(6)
	v_cvt_pk_f32_fp8_e32 v[36:37], v30
	v_cvt_pk_f32_fp8_sdwa v[38:39], v30 src0_sel:WORD_1
	v_cvt_pk_f32_fp8_e32 v[42:43], v31
	v_cvt_pk_f32_fp8_sdwa v[30:31], v31 src0_sel:WORD_1
	v_perm_b32 v36, v37, v36, s6
	v_perm_b32 v37, v39, v38, s6
	;; [unrolled: 1-line block ×4, first 2 shown]
	v_mfma_f32_4x4x4_16b_bf16 a[0:3], v[34:35], v[36:37], 0 cbsz:4
	v_cvt_pk_f32_fp8_e32 v[30:31], v32
	v_cvt_pk_f32_fp8_sdwa v[36:37], v32 src0_sel:WORD_1
	v_mfma_f32_4x4x4_16b_bf16 a[0:3], v[34:35], v[38:39], a[0:3] cbsz:4 abid:1
	v_cvt_pk_f32_fp8_e32 v[38:39], v33
	v_cvt_pk_f32_fp8_sdwa v[32:33], v33 src0_sel:WORD_1
	v_perm_b32 v30, v31, v30, s6
	v_perm_b32 v31, v37, v36, s6
	v_perm_b32 v36, v39, v38, s6
	v_perm_b32 v37, v33, v32, s6
	v_mfma_f32_4x4x4_16b_bf16 a[0:3], v[34:35], v[30:31], a[0:3] cbsz:4 abid:2
	v_cvt_pk_f32_fp8_e32 v[30:31], v18
	v_cvt_pk_f32_fp8_sdwa v[32:33], v18 src0_sel:WORD_1
	v_mfma_f32_4x4x4_16b_bf16 a[0:3], v[34:35], v[36:37], a[0:3] cbsz:4 abid:3
	v_cvt_pk_f32_fp8_e32 v[36:37], v19
	v_cvt_pk_f32_fp8_sdwa v[18:19], v19 src0_sel:WORD_1
	v_perm_b32 v30, v31, v30, s6
	v_perm_b32 v31, v33, v32, s6
	v_perm_b32 v32, v37, v36, s6
	v_perm_b32 v33, v19, v18, s6
	v_mfma_f32_4x4x4_16b_bf16 a[0:3], v[34:35], v[30:31], a[0:3] cbsz:4 abid:4
	;; [unrolled: 10-line block ×3, first 2 shown]
	s_waitcnt vmcnt(2)
	v_cvt_pk_f32_fp8_e32 v[18:19], v22
	v_cvt_pk_f32_fp8_sdwa v[20:21], v22 src0_sel:WORD_1
	v_mfma_f32_4x4x4_16b_bf16 a[0:3], v[34:35], v[30:31], a[0:3] cbsz:4 abid:7
	v_cvt_pk_f32_fp8_e32 v[30:31], v23
	v_cvt_pk_f32_fp8_sdwa v[22:23], v23 src0_sel:WORD_1
	v_perm_b32 v18, v19, v18, s6
	v_perm_b32 v19, v21, v20, s6
	;; [unrolled: 1-line block ×4, first 2 shown]
	v_mfma_f32_4x4x4_16b_bf16 a[0:3], v[34:35], v[18:19], a[0:3] cbsz:4 abid:8
	v_cvt_pk_f32_fp8_e32 v[18:19], v24
	v_cvt_pk_f32_fp8_e32 v[22:23], v25
	v_mfma_f32_4x4x4_16b_bf16 a[0:3], v[34:35], v[20:21], a[0:3] cbsz:4 abid:9
	v_cvt_pk_f32_fp8_sdwa v[20:21], v24 src0_sel:WORD_1
	v_cvt_pk_f32_fp8_sdwa v[24:25], v25 src0_sel:WORD_1
	v_perm_b32 v18, v19, v18, s6
	s_load_dword s4, s[14:15], 0x0
	v_perm_b32 v19, v21, v20, s6
	v_perm_b32 v20, v23, v22, s6
	;; [unrolled: 1-line block ×3, first 2 shown]
	v_mfma_f32_4x4x4_16b_bf16 a[0:3], v[34:35], v[18:19], a[0:3] cbsz:4 abid:10
	v_cvt_pk_f32_fp8_e32 v[18:19], v10
	v_cvt_pk_f32_fp8_e32 v[22:23], v11
	v_mfma_f32_4x4x4_16b_bf16 a[0:3], v[34:35], v[20:21], a[0:3] cbsz:4 abid:11
	v_cvt_pk_f32_fp8_sdwa v[20:21], v10 src0_sel:WORD_1
	v_cvt_pk_f32_fp8_sdwa v[10:11], v11 src0_sel:WORD_1
	v_perm_b32 v18, v19, v18, s6
	v_perm_b32 v19, v21, v20, s6
	;; [unrolled: 1-line block ×3, first 2 shown]
	s_nop 0
	v_mfma_f32_4x4x4_16b_bf16 a[0:3], v[34:35], v[18:19], a[0:3] cbsz:4 abid:12
	v_cvt_pk_f32_fp8_e32 v[10:11], v12
	v_cvt_pk_f32_fp8_sdwa v[18:19], v12 src0_sel:WORD_1
	v_perm_b32 v20, v23, v22, s6
	v_perm_b32 v10, v11, v10, s6
	s_nop 0
	v_mfma_f32_4x4x4_16b_bf16 a[0:3], v[34:35], v[20:21], a[0:3] cbsz:4 abid:13
	v_cvt_pk_f32_fp8_e32 v[20:21], v13
	v_cvt_pk_f32_fp8_sdwa v[12:13], v13 src0_sel:WORD_1
	v_perm_b32 v11, v19, v18, s6
	v_perm_b32 v18, v21, v20, s6
	s_nop 0
	v_mfma_f32_4x4x4_16b_bf16 a[0:3], v[34:35], v[10:11], a[0:3] cbsz:4 abid:14
	v_perm_b32 v19, v13, v12, s6
	s_nop 1
	v_mfma_f32_4x4x4_16b_bf16 a[0:3], v[34:35], v[18:19], a[0:3] cbsz:4 abid:15
	s_nop 4
	v_accvgpr_read_b32 v13, a1
	v_accvgpr_read_b32 v12, a0
	s_waitcnt lgkmcnt(0)
	v_pk_mul_f32 v[12:13], v[12:13], s[4:5] op_sel_hi:[1,0]
	v_accvgpr_read_b32 v11, a3
	v_accvgpr_read_b32 v10, a2
	v_bfe_u32 v18, v13, 16, 1
	v_bfe_u32 v19, v12, 16, 1
	v_pk_mul_f32 v[10:11], v[10:11], s[4:5] op_sel_hi:[1,0]
	v_add3_u32 v12, v12, v19, s1
	v_add3_u32 v13, v13, v18, s1
	v_perm_b32 v12, v13, v12, s6
	v_bfe_u32 v13, v11, 16, 1
	v_bfe_u32 v18, v10, 16, 1
	v_add3_u32 v10, v10, v18, s1
	v_add3_u32 v11, v11, v13, s1
	v_perm_b32 v13, v11, v10, s6
	v_mad_u32_u24 v10, v1, 40, v40
	ds_write_b64 v10, v[12:13]
	v_cvt_pk_f32_fp8_e32 v[10:11], v6
	v_cvt_pk_f32_fp8_sdwa v[12:13], v6 src0_sel:WORD_1
	v_cvt_pk_f32_fp8_e32 v[18:19], v7
	v_cvt_pk_f32_fp8_sdwa v[6:7], v7 src0_sel:WORD_1
	v_perm_b32 v10, v11, v10, s6
	v_perm_b32 v11, v13, v12, s6
	;; [unrolled: 1-line block ×4, first 2 shown]
	v_mfma_f32_4x4x4_16b_bf16 a[0:3], v[34:35], v[10:11], 0 cbsz:4
	v_cvt_pk_f32_fp8_e32 v[6:7], v8
	v_cvt_pk_f32_fp8_sdwa v[10:11], v8 src0_sel:WORD_1
	v_mfma_f32_4x4x4_16b_bf16 a[0:3], v[34:35], v[12:13], a[0:3] cbsz:4 abid:1
	v_cvt_pk_f32_fp8_e32 v[12:13], v9
	v_cvt_pk_f32_fp8_sdwa v[8:9], v9 src0_sel:WORD_1
	v_perm_b32 v6, v7, v6, s6
	v_perm_b32 v7, v11, v10, s6
	v_perm_b32 v10, v13, v12, s6
	v_perm_b32 v11, v9, v8, s6
	v_mfma_f32_4x4x4_16b_bf16 a[0:3], v[34:35], v[6:7], a[0:3] cbsz:4 abid:2
	v_cvt_pk_f32_fp8_e32 v[6:7], v2
	v_cvt_pk_f32_fp8_sdwa v[8:9], v2 src0_sel:WORD_1
	v_mfma_f32_4x4x4_16b_bf16 a[0:3], v[34:35], v[10:11], a[0:3] cbsz:4 abid:3
	v_cvt_pk_f32_fp8_e32 v[10:11], v3
	v_cvt_pk_f32_fp8_sdwa v[2:3], v3 src0_sel:WORD_1
	v_perm_b32 v6, v7, v6, s6
	v_perm_b32 v7, v9, v8, s6
	v_perm_b32 v8, v11, v10, s6
	v_perm_b32 v9, v3, v2, s6
	v_mfma_f32_4x4x4_16b_bf16 a[0:3], v[34:35], v[6:7], a[0:3] cbsz:4 abid:4
	;; [unrolled: 10-line block ×3, first 2 shown]
	s_waitcnt vmcnt(0)
	v_cvt_pk_f32_fp8_e32 v[2:3], v26
	v_cvt_pk_f32_fp8_sdwa v[4:5], v26 src0_sel:WORD_1
	v_mfma_f32_4x4x4_16b_bf16 a[0:3], v[34:35], v[6:7], a[0:3] cbsz:4 abid:7
	v_cvt_pk_f32_fp8_e32 v[6:7], v27
	v_cvt_pk_f32_fp8_sdwa v[8:9], v27 src0_sel:WORD_1
	v_perm_b32 v2, v3, v2, s6
	v_perm_b32 v3, v5, v4, s6
	;; [unrolled: 1-line block ×4, first 2 shown]
	v_mfma_f32_4x4x4_16b_bf16 a[0:3], v[34:35], v[2:3], a[0:3] cbsz:4 abid:8
	v_cvt_pk_f32_fp8_e32 v[2:3], v28
	v_cvt_pk_f32_fp8_e32 v[6:7], v29
	v_mfma_f32_4x4x4_16b_bf16 a[0:3], v[34:35], v[4:5], a[0:3] cbsz:4 abid:9
	v_cvt_pk_f32_fp8_sdwa v[4:5], v28 src0_sel:WORD_1
	v_cvt_pk_f32_fp8_sdwa v[8:9], v29 src0_sel:WORD_1
	v_perm_b32 v2, v3, v2, s6
	v_perm_b32 v3, v5, v4, s6
	v_perm_b32 v4, v7, v6, s6
	s_nop 0
	v_mfma_f32_4x4x4_16b_bf16 a[0:3], v[34:35], v[2:3], a[0:3] cbsz:4 abid:10
	v_perm_b32 v5, v9, v8, s6
	v_cvt_pk_f32_fp8_e32 v[2:3], v14
	v_cvt_pk_f32_fp8_e32 v[6:7], v15
	v_mfma_f32_4x4x4_16b_bf16 a[0:3], v[34:35], v[4:5], a[0:3] cbsz:4 abid:11
	v_cvt_pk_f32_fp8_sdwa v[4:5], v14 src0_sel:WORD_1
	v_cvt_pk_f32_fp8_sdwa v[8:9], v15 src0_sel:WORD_1
	v_perm_b32 v2, v3, v2, s6
	v_perm_b32 v3, v5, v4, s6
	v_perm_b32 v4, v7, v6, s6
	s_nop 0
	v_mfma_f32_4x4x4_16b_bf16 a[0:3], v[34:35], v[2:3], a[0:3] cbsz:4 abid:12
	v_perm_b32 v5, v9, v8, s6
	;; [unrolled: 11-line block ×3, first 2 shown]
	s_nop 1
	v_mfma_f32_4x4x4_16b_bf16 a[0:3], v[34:35], v[4:5], a[0:3] cbsz:4 abid:15
	s_nop 4
	v_accvgpr_read_b32 v5, a1
	v_accvgpr_read_b32 v4, a0
	;; [unrolled: 1-line block ×4, first 2 shown]
	v_pk_mul_f32 v[4:5], v[4:5], s[4:5] op_sel_hi:[1,0]
	v_pk_mul_f32 v[2:3], v[2:3], s[4:5] op_sel_hi:[1,0]
	v_bfe_u32 v6, v5, 16, 1
	v_bfe_u32 v7, v4, 16, 1
	v_add3_u32 v4, v4, v7, s1
	v_add3_u32 v5, v5, v6, s1
	v_bfe_u32 v6, v3, 16, 1
	v_bfe_u32 v7, v2, 16, 1
	v_add3_u32 v2, v2, v7, s1
	v_add3_u32 v3, v3, v6, s1
	v_perm_b32 v39, v3, v2, s6
	v_perm_b32 v38, v5, v4, s6
.LBB1350_23:
	s_or_b64 exec, exec, s[2:3]
	s_waitcnt vmcnt(5)
	v_mad_u32_u24 v2, v1, 40, v40
	v_cmp_gt_u32_e32 vcc, 64, v0
	ds_write_b64 v2, v[38:39] offset:2560
	s_waitcnt lgkmcnt(0)
	s_barrier
	s_and_saveexec_b64 s[2:3], vcc
	s_cbranch_execz .LBB1350_25
; %bb.24:
	s_waitcnt vmcnt(4)
	v_mul_u32_u24_e32 v6, 40, v1
	ds_read2_b64 v[2:5], v6 offset1:1
	ds_read2_b64 v[6:9], v6 offset0:2 offset1:3
	s_mov_b32 s1, 0
	s_lshl_b32 s0, s0, 7
	s_lshl_b64 s[2:3], s[0:1], 1
	s_waitcnt vmcnt(3) lgkmcnt(1)
	v_and_b32_e32 v10, 0xffff0000, v2
	v_lshlrev_b32_e32 v3, 16, v3
	v_add_f32_e32 v10, 0, v10
	v_add_f32_e32 v3, 0, v3
	v_and_b32_e32 v10, 0xffff0000, v10
	v_and_b32_e32 v11, 0xffff0000, v4
	;; [unrolled: 1-line block ×3, first 2 shown]
	v_add_f32_e32 v10, v10, v11
	v_lshlrev_b32_e32 v5, 16, v5
	v_and_b32_e32 v10, 0xffff0000, v10
	v_add_f32_e32 v3, v3, v5
	s_waitcnt lgkmcnt(0)
	v_and_b32_e32 v5, 0xffff0000, v6
	v_and_b32_e32 v3, 0xffff0000, v3
	v_add_f32_e32 v5, v10, v5
	v_lshlrev_b32_e32 v7, 16, v7
	v_and_b32_e32 v5, 0xffff0000, v5
	v_add_f32_e32 v3, v3, v7
	v_and_b32_e32 v7, 0xffff0000, v8
	v_add_f32_e32 v18, v5, v7
	v_mov_b32_e32 v7, 0xa00
	v_mad_u32_u24 v7, v1, 40, v7
	ds_read2_b64 v[10:13], v7 offset1:1
	v_and_b32_e32 v3, 0xffff0000, v3
	v_lshlrev_b32_e32 v5, 16, v9
	v_add_f32_e32 v9, v3, v5
	v_mov_b32_e32 v3, 0xa10
	v_mad_u32_u24 v1, v1, 40, v3
	s_waitcnt vmcnt(1)
	ds_read2_b64 v[14:17], v1 offset1:1
	s_waitcnt lgkmcnt(1)
	v_lshlrev_b32_e32 v1, 16, v10
	v_add_f32_e32 v1, 0, v1
	v_and_b32_e32 v3, 0xffff0000, v10
	v_and_b32_e32 v1, 0xffff0000, v1
	v_add_f32_e32 v3, 0, v3
	v_lshlrev_b32_e32 v5, 16, v11
	v_lshlrev_b32_e32 v7, 16, v12
	v_and_b32_e32 v3, 0xffff0000, v3
	v_add_f32_e32 v5, 0, v5
	v_add_f32_e32 v1, v1, v7
	v_and_b32_e32 v7, 0xffff0000, v12
	v_and_b32_e32 v5, 0xffff0000, v5
	v_add_f32_e32 v3, v3, v7
	v_lshlrev_b32_e32 v7, 16, v13
	v_and_b32_e32 v1, 0xffff0000, v1
	v_add_f32_e32 v5, v5, v7
	s_waitcnt lgkmcnt(0)
	v_lshlrev_b32_e32 v7, 16, v14
	v_and_b32_e32 v3, 0xffff0000, v3
	v_add_f32_e32 v1, v1, v7
	v_and_b32_e32 v7, 0xffff0000, v14
	v_and_b32_e32 v5, 0xffff0000, v5
	v_add_f32_e32 v3, v3, v7
	v_lshlrev_b32_e32 v7, 16, v15
	v_and_b32_e32 v1, 0xffff0000, v1
	v_add_f32_e32 v5, v5, v7
	v_lshlrev_b32_e32 v7, 16, v16
	v_and_b32_e32 v3, 0xffff0000, v3
	v_add_f32_e32 v10, v1, v7
	v_and_b32_e32 v1, 0xffff0000, v16
	v_and_b32_e32 v5, 0xffff0000, v5
	v_add_f32_e32 v11, v3, v1
	v_lshlrev_b32_e32 v1, 16, v17
	v_add_f32_e32 v12, v5, v1
	v_lshlrev_b32_e32 v1, 16, v2
	s_add_u32 s2, s26, s2
	v_add_f32_e32 v1, 0, v1
	s_addc_u32 s3, s27, s3
	s_lshl_b32 s0, s24, 7
	v_and_b32_e32 v1, 0xffff0000, v1
	v_lshlrev_b32_e32 v2, 16, v4
	s_lshl_b64 s[0:1], s[0:1], 1
	v_add_f32_e32 v1, v1, v2
	s_add_u32 s0, s2, s0
	v_and_b32_e32 v1, 0xffff0000, v1
	v_lshlrev_b32_e32 v2, 16, v6
	s_addc_u32 s1, s3, s1
	s_lshl_b32 s2, s5, 7
	v_add_f32_e32 v1, v1, v2
	v_and_b32_e32 v1, 0xffff0000, v1
	v_lshlrev_b32_e32 v2, 16, v8
	s_mul_i32 s3, s2, s8
	v_add_f32_e32 v1, v1, v2
	v_or_b32_e32 v2, s3, v0
	v_mov_b32_e32 v3, 0
	s_add_i32 s3, s3, s2
	v_lshl_add_u64 v[4:5], v[2:3], 1, s[0:1]
	v_or_b32_e32 v2, s3, v0
	s_add_i32 s3, s3, s2
	v_lshl_add_u64 v[6:7], v[2:3], 1, s[0:1]
	v_or_b32_e32 v2, s3, v0
	global_store_short_d16_hi v[4:5], v1, off
	v_lshl_add_u64 v[0:1], v[2:3], 1, s[0:1]
	global_store_short_d16_hi v[6:7], v18, off
	global_store_short_d16_hi v[0:1], v9, off
	global_store_short_d16_hi v[4:5], v10, off offset:128
	global_store_short_d16_hi v[6:7], v11, off offset:128
	;; [unrolled: 1-line block ×3, first 2 shown]
.LBB1350_25:
	s_endpgm
	.section	.rodata,"a",@progbits
	.p2align	6, 0x0
	.amdhsa_kernel _Z38paged_attention_ll4mi_QKV_mfma4_kernelI14__hip_bfloat16hLN4vllm18Fp8KVCacheDataTypeE1EhLi32ELi128ELi256ELb0ELi3EEvPKT_PKT0_S8_ifPKiSA_SA_iPKfiiiPfSD_PS3_PT2_iSC_SC_
		.amdhsa_group_segment_fixed_size 5280
		.amdhsa_private_segment_fixed_size 0
		.amdhsa_kernarg_size 400
		.amdhsa_user_sgpr_count 2
		.amdhsa_user_sgpr_dispatch_ptr 0
		.amdhsa_user_sgpr_queue_ptr 0
		.amdhsa_user_sgpr_kernarg_segment_ptr 1
		.amdhsa_user_sgpr_dispatch_id 0
		.amdhsa_user_sgpr_kernarg_preload_length 0
		.amdhsa_user_sgpr_kernarg_preload_offset 0
		.amdhsa_user_sgpr_private_segment_size 0
		.amdhsa_uses_dynamic_stack 0
		.amdhsa_enable_private_segment 0
		.amdhsa_system_sgpr_workgroup_id_x 1
		.amdhsa_system_sgpr_workgroup_id_y 1
		.amdhsa_system_sgpr_workgroup_id_z 1
		.amdhsa_system_sgpr_workgroup_info 0
		.amdhsa_system_vgpr_workitem_id 0
		.amdhsa_next_free_vgpr 108
		.amdhsa_next_free_sgpr 42
		.amdhsa_accum_offset 104
		.amdhsa_reserve_vcc 1
		.amdhsa_float_round_mode_32 0
		.amdhsa_float_round_mode_16_64 0
		.amdhsa_float_denorm_mode_32 3
		.amdhsa_float_denorm_mode_16_64 3
		.amdhsa_dx10_clamp 1
		.amdhsa_ieee_mode 1
		.amdhsa_fp16_overflow 0
		.amdhsa_tg_split 0
		.amdhsa_exception_fp_ieee_invalid_op 0
		.amdhsa_exception_fp_denorm_src 0
		.amdhsa_exception_fp_ieee_div_zero 0
		.amdhsa_exception_fp_ieee_overflow 0
		.amdhsa_exception_fp_ieee_underflow 0
		.amdhsa_exception_fp_ieee_inexact 0
		.amdhsa_exception_int_div_zero 0
	.end_amdhsa_kernel
	.section	.text._Z38paged_attention_ll4mi_QKV_mfma4_kernelI14__hip_bfloat16hLN4vllm18Fp8KVCacheDataTypeE1EhLi32ELi128ELi256ELb0ELi3EEvPKT_PKT0_S8_ifPKiSA_SA_iPKfiiiPfSD_PS3_PT2_iSC_SC_,"axG",@progbits,_Z38paged_attention_ll4mi_QKV_mfma4_kernelI14__hip_bfloat16hLN4vllm18Fp8KVCacheDataTypeE1EhLi32ELi128ELi256ELb0ELi3EEvPKT_PKT0_S8_ifPKiSA_SA_iPKfiiiPfSD_PS3_PT2_iSC_SC_,comdat
.Lfunc_end1350:
	.size	_Z38paged_attention_ll4mi_QKV_mfma4_kernelI14__hip_bfloat16hLN4vllm18Fp8KVCacheDataTypeE1EhLi32ELi128ELi256ELb0ELi3EEvPKT_PKT0_S8_ifPKiSA_SA_iPKfiiiPfSD_PS3_PT2_iSC_SC_, .Lfunc_end1350-_Z38paged_attention_ll4mi_QKV_mfma4_kernelI14__hip_bfloat16hLN4vllm18Fp8KVCacheDataTypeE1EhLi32ELi128ELi256ELb0ELi3EEvPKT_PKT0_S8_ifPKiSA_SA_iPKfiiiPfSD_PS3_PT2_iSC_SC_
                                        ; -- End function
	.section	.AMDGPU.csdata,"",@progbits
; Kernel info:
; codeLenInByte = 5732
; NumSgprs: 48
; NumVgprs: 104
; NumAgprs: 4
; TotalNumVgprs: 108
; ScratchSize: 0
; MemoryBound: 0
; FloatMode: 240
; IeeeMode: 1
; LDSByteSize: 5280 bytes/workgroup (compile time only)
; SGPRBlocks: 5
; VGPRBlocks: 13
; NumSGPRsForWavesPerEU: 48
; NumVGPRsForWavesPerEU: 108
; AccumOffset: 104
; Occupancy: 4
; WaveLimiterHint : 1
; COMPUTE_PGM_RSRC2:SCRATCH_EN: 0
; COMPUTE_PGM_RSRC2:USER_SGPR: 2
; COMPUTE_PGM_RSRC2:TRAP_HANDLER: 0
; COMPUTE_PGM_RSRC2:TGID_X_EN: 1
; COMPUTE_PGM_RSRC2:TGID_Y_EN: 1
; COMPUTE_PGM_RSRC2:TGID_Z_EN: 1
; COMPUTE_PGM_RSRC2:TIDIG_COMP_CNT: 0
; COMPUTE_PGM_RSRC3_GFX90A:ACCUM_OFFSET: 25
; COMPUTE_PGM_RSRC3_GFX90A:TG_SPLIT: 0
	.section	.text._Z38paged_attention_ll4mi_QKV_mfma4_kernelI14__hip_bfloat16hLN4vllm18Fp8KVCacheDataTypeE1EhLi32ELi128ELi256ELb0ELi4EEvPKT_PKT0_S8_ifPKiSA_SA_iPKfiiiPfSD_PS3_PT2_iSC_SC_,"axG",@progbits,_Z38paged_attention_ll4mi_QKV_mfma4_kernelI14__hip_bfloat16hLN4vllm18Fp8KVCacheDataTypeE1EhLi32ELi128ELi256ELb0ELi4EEvPKT_PKT0_S8_ifPKiSA_SA_iPKfiiiPfSD_PS3_PT2_iSC_SC_,comdat
	.protected	_Z38paged_attention_ll4mi_QKV_mfma4_kernelI14__hip_bfloat16hLN4vllm18Fp8KVCacheDataTypeE1EhLi32ELi128ELi256ELb0ELi4EEvPKT_PKT0_S8_ifPKiSA_SA_iPKfiiiPfSD_PS3_PT2_iSC_SC_ ; -- Begin function _Z38paged_attention_ll4mi_QKV_mfma4_kernelI14__hip_bfloat16hLN4vllm18Fp8KVCacheDataTypeE1EhLi32ELi128ELi256ELb0ELi4EEvPKT_PKT0_S8_ifPKiSA_SA_iPKfiiiPfSD_PS3_PT2_iSC_SC_
	.globl	_Z38paged_attention_ll4mi_QKV_mfma4_kernelI14__hip_bfloat16hLN4vllm18Fp8KVCacheDataTypeE1EhLi32ELi128ELi256ELb0ELi4EEvPKT_PKT0_S8_ifPKiSA_SA_iPKfiiiPfSD_PS3_PT2_iSC_SC_
	.p2align	8
	.type	_Z38paged_attention_ll4mi_QKV_mfma4_kernelI14__hip_bfloat16hLN4vllm18Fp8KVCacheDataTypeE1EhLi32ELi128ELi256ELb0ELi4EEvPKT_PKT0_S8_ifPKiSA_SA_iPKfiiiPfSD_PS3_PT2_iSC_SC_,@function
_Z38paged_attention_ll4mi_QKV_mfma4_kernelI14__hip_bfloat16hLN4vllm18Fp8KVCacheDataTypeE1EhLi32ELi128ELi256ELb0ELi4EEvPKT_PKT0_S8_ifPKiSA_SA_iPKfiiiPfSD_PS3_PT2_iSC_SC_: ; @_Z38paged_attention_ll4mi_QKV_mfma4_kernelI14__hip_bfloat16hLN4vllm18Fp8KVCacheDataTypeE1EhLi32ELi128ELi256ELb0ELi4EEvPKT_PKT0_S8_ifPKiSA_SA_iPKfiiiPfSD_PS3_PT2_iSC_SC_
; %bb.0:
	s_load_dwordx2 s[8:9], s[0:1], 0x30
	s_mov_b32 s24, s3
	s_mov_b64 s[6:7], 0
	s_waitcnt lgkmcnt(0)
	s_cmp_lg_u64 s[8:9], 0
	s_cselect_b64 s[10:11], -1, 0
	s_and_b64 vcc, exec, s[10:11]
	s_cbranch_vccz .LBB1351_20
; %bb.1:
	s_add_i32 s12, s2, 1
	s_mov_b32 s13, 0
	s_lshl_b64 s[14:15], s[12:13], 2
	s_add_u32 s14, s8, s14
	s_mov_b32 s3, s13
	s_addc_u32 s15, s9, s15
	s_lshl_b64 s[12:13], s[2:3], 2
	s_add_u32 s12, s8, s12
	s_addc_u32 s13, s9, s13
	s_load_dword s5, s[14:15], 0x0
	s_load_dword s16, s[12:13], 0x0
	s_mov_b64 s[34:35], s[2:3]
	s_waitcnt lgkmcnt(0)
	s_sub_i32 s5, s5, s16
	s_cmp_eq_u32 s5, 1
	s_cselect_b64 s[12:13], -1, 0
	s_andn2_b64 vcc, exec, s[6:7]
	s_cbranch_vccnz .LBB1351_3
.LBB1351_2:
	s_mov_b32 s3, 0
	s_mov_b64 s[12:13], -1
	s_mov_b64 s[34:35], s[2:3]
.LBB1351_3:
	s_andn2_b64 vcc, exec, s[12:13]
	s_cbranch_vccnz .LBB1351_19
; %bb.4:
	s_load_dword s3, s[0:1], 0x9c
	s_load_dwordx2 s[6:7], s[0:1], 0x28
	s_add_u32 s28, s0, 0x90
	s_addc_u32 s29, s1, 0
	s_lshl_b64 s[40:41], s[34:35], 2
	s_waitcnt lgkmcnt(0)
	s_and_b32 s5, s3, 0xffff
	s_add_u32 s6, s6, s40
	s_addc_u32 s7, s7, s41
	s_load_dword s3, s[6:7], 0x0
	s_mul_i32 s20, s24, s5
	s_waitcnt lgkmcnt(0)
	s_cmp_ge_i32 s20, s3
	s_cbranch_scc1 .LBB1351_19
; %bb.5:
	v_and_b32_e32 v1, 0xc0, v0
	v_add_u32_e32 v4, s20, v1
	v_lshrrev_b32_e32 v40, 6, v0
	v_cmp_le_i32_e64 s[6:7], s3, v4
                                        ; implicit-def: $sgpr22
                                        ; implicit-def: $sgpr21
	s_and_saveexec_b64 s[12:13], s[6:7]
	s_xor_b64 s[12:13], exec, s[12:13]
	s_cbranch_execz .LBB1351_7
; %bb.6:
	v_mul_u32_u24_e32 v1, 20, v40
	v_or_b32_e32 v1, 0x1400, v1
	v_mov_b32_e32 v2, 0x1450
	v_mov_b32_e32 v3, 0xff7fffff
	v_mad_u32_u24 v2, v40, 20, v2
	ds_write2_b32 v1, v3, v3 offset1:1
	v_mov_b32_e32 v1, 0
	ds_write2_b32 v2, v1, v1 offset1:1
	v_mov_b32_e32 v2, 0x1408
	v_mov_b32_e32 v4, 0x1458
	s_mov_b32 s21, 0xff7fffff
	s_mov_b32 s22, 0
	v_mad_u32_u24 v2, v40, 20, v2
	v_mad_u32_u24 v4, v40, 20, v4
	ds_write2_b32 v2, v3, v3 offset1:1
	ds_write2_b32 v4, v1, v1 offset1:1
                                        ; implicit-def: $vgpr4
.LBB1351_7:
	s_or_saveexec_b64 s[30:31], s[12:13]
	s_load_dwordx2 s[26:27], s[0:1], 0x68
	s_load_dwordx4 s[16:19], s[0:1], 0x58
	s_load_dword s5, s[28:29], 0x4
	s_load_dwordx4 s[12:15], s[0:1], 0x80
	v_and_b32_e32 v1, 63, v0
	v_and_b32_e32 v38, 3, v0
	v_mov_b32_e32 v37, s22
	v_mov_b32_e32 v41, s21
	;; [unrolled: 1-line block ×5, first 2 shown]
                                        ; implicit-def: $vgpr30_vgpr31
                                        ; implicit-def: $vgpr26_vgpr27
                                        ; implicit-def: $vgpr22_vgpr23
                                        ; implicit-def: $vgpr18_vgpr19
                                        ; implicit-def: $vgpr14_vgpr15
                                        ; implicit-def: $vgpr6_vgpr7
                                        ; implicit-def: $vgpr10_vgpr11
                                        ; implicit-def: $vgpr2_vgpr3
	s_xor_b64 exec, exec, s[30:31]
	s_cbranch_execz .LBB1351_13
; %bb.8:
	s_load_dwordx2 s[22:23], s[0:1], 0x20
	s_load_dword s21, s[0:1], 0x38
	s_add_i32 s25, s3, 31
	s_ashr_i32 s33, s25, 31
	s_lshr_b32 s33, s33, 27
	v_add_u32_e32 v34, s20, v0
	s_add_i32 s25, s25, s33
	v_ashrrev_i32_e32 v2, 31, v34
	s_ashr_i32 s25, s25, 5
	v_lshrrev_b32_e32 v2, 27, v2
	s_add_i32 s25, s25, -1
	s_waitcnt lgkmcnt(0)
	s_mul_i32 s36, s2, s21
	s_mov_b32 s37, 0
	v_add_u32_e32 v2, v34, v2
	s_lshl_b64 s[38:39], s[36:37], 2
	v_ashrrev_i32_e32 v2, 5, v2
	v_mov_b32_e32 v3, s25
	v_cmp_gt_i32_e32 vcc, s3, v34
	s_add_u32 s22, s22, s38
	s_addc_u32 s23, s23, s39
	v_cndmask_b32_e32 v2, v3, v2, vcc
	v_ashrrev_i32_e32 v3, 31, v2
	v_lshl_add_u64 v[6:7], v[2:3], 2, s[22:23]
	v_ashrrev_i32_e32 v2, 31, v4
	v_lshrrev_b32_e32 v2, 27, v2
	v_add_u32_e32 v2, v4, v2
	v_ashrrev_i32_e32 v4, 5, v2
	v_min_i32_e32 v2, s25, v4
	v_ashrrev_i32_e32 v3, 31, v2
	v_lshl_add_u64 v[8:9], v[2:3], 2, s[22:23]
	v_add_u32_e32 v2, 1, v4
	v_min_i32_e32 v2, s25, v2
	v_ashrrev_i32_e32 v3, 31, v2
	v_lshl_add_u64 v[10:11], v[2:3], 2, s[22:23]
	global_load_dword v4, v[6:7], off
	global_load_dword v2, v[8:9], off
	;; [unrolled: 1-line block ×3, first 2 shown]
	s_load_dwordx4 s[20:23], s[0:1], 0x0
	s_load_dwordx2 s[38:39], s[0:1], 0x10
	s_andn2_b64 vcc, exec, s[10:11]
	s_cbranch_vccnz .LBB1351_10
; %bb.9:
	s_add_u32 s8, s8, s40
	s_addc_u32 s9, s9, s41
	s_load_dword s36, s[8:9], 0x0
	s_waitcnt lgkmcnt(0)
	s_mov_b64 s[34:35], s[36:37]
.LBB1351_10:
	s_load_dwordx4 s[8:11], s[0:1], 0x48
	s_waitcnt lgkmcnt(0)
	s_load_dword s11, s[0:1], 0x1c
                                        ; kill: killed $sgpr0 killed $sgpr1
	v_mov_b32_e32 v17, 0
	v_mov_b32_e32 v21, v17
	v_cmp_eq_u32_e32 vcc, 0, v38
	s_ashr_i32 s1, s8, 31
	s_mul_hi_u32 s25, s34, s8
	s_mul_i32 s1, s34, s1
	s_mul_i32 s33, s35, s8
	s_add_i32 s1, s25, s1
	s_mul_i32 s0, s34, s8
	s_add_i32 s1, s1, s33
	s_lshl_b64 s[0:1], s[0:1], 1
	s_add_u32 s8, s20, s0
	s_addc_u32 s20, s21, s1
	s_lshl_b32 s36, s4, 9
	s_lshl_b64 s[0:1], s[36:37], 1
	s_add_u32 s0, s8, s0
	s_addc_u32 s1, s20, s1
	s_mul_i32 s8, s4, s10
	s_add_u32 s20, s8, s22
	s_addc_u32 s21, 0, s23
	v_mov_b64_e32 v[6:7], s[20:21]
	s_waitcnt vmcnt(2)
	v_mad_i64_i32 v[4:5], s[20:21], v4, s9, v[6:7]
	v_lshlrev_b32_e32 v6, 4, v0
	v_and_b32_e32 v16, 0x1f0, v6
	v_lshl_add_u64 v[18:19], v[4:5], 0, v[16:17]
	global_load_dwordx4 v[4:7], v[18:19], off
	global_load_dwordx4 v[8:11], v[18:19], off offset:512
	global_load_dwordx4 v[12:15], v[18:19], off offset:1024
	v_lshlrev_b32_e32 v16, 2, v1
	v_and_b32_e32 v16, 0xf0, v16
	v_lshl_or_b32 v16, v38, 8, v16
	global_load_dwordx4 v[42:45], v16, s[0:1]
	global_load_dwordx4 v[46:49], v[18:19], off offset:1536
	global_load_dwordx4 v[50:53], v[18:19], off offset:2048
	global_load_dwordx4 v[54:57], v[18:19], off offset:2560
	global_load_dwordx4 v[58:61], v[18:19], off offset:3072
	global_load_dwordx4 v[62:65], v[18:19], off offset:3584
	s_waitcnt vmcnt(9)
	v_mul_hi_i32 v20, v3, s9
	v_mul_hi_i32 v16, v2, s9
	v_ashrrev_i32_e32 v20, 31, v20
	v_ashrrev_i32_e32 v16, 31, v16
	v_lshrrev_b32_e32 v20, 29, v20
	v_mad_i64_i32 v[20:21], s[20:21], v3, s9, v[20:21]
	v_lshrrev_b32_e32 v16, 29, v16
	s_add_u32 s20, s38, s8
	v_mad_i64_i32 v[2:3], s[8:9], v2, s9, v[16:17]
	v_and_b32_e32 v20, -8, v20
	s_addc_u32 s21, s39, 0
	v_and_b32_e32 v2, -8, v2
	v_lshl_add_u64 v[20:21], s[20:21], 0, v[20:21]
	v_lshlrev_b32_e32 v16, 5, v1
	v_lshl_add_u64 v[2:3], s[20:21], 0, v[2:3]
	v_lshl_add_u64 v[36:37], v[20:21], 0, v[16:17]
	;; [unrolled: 1-line block ×3, first 2 shown]
	s_mov_b32 s0, 0x7060302
	s_waitcnt lgkmcnt(0)
	v_mov_b32_e32 v35, s11
	v_mov_b32_e32 v41, 0xff7fffff
	s_waitcnt vmcnt(8)
	v_cvt_pk_f32_fp8_e32 v[16:17], v4
	v_cvt_pk_f32_fp8_sdwa v[20:21], v4 src0_sel:WORD_1
	v_cvt_pk_f32_fp8_e32 v[22:23], v5
	v_cvt_pk_f32_fp8_sdwa v[4:5], v5 src0_sel:WORD_1
	;; [unrolled: 2-line block ×3, first 2 shown]
	s_waitcnt vmcnt(6)
	v_cvt_pk_f32_fp8_e32 v[80:81], v14
	v_cvt_pk_f32_fp8_sdwa v[82:83], v14 src0_sel:WORD_1
	v_cvt_pk_f32_fp8_e32 v[84:85], v15
	v_cvt_pk_f32_fp8_sdwa v[86:87], v15 src0_sel:WORD_1
	v_perm_b32 v14, v17, v16, s0
	v_perm_b32 v15, v21, v20, s0
	v_cvt_pk_f32_fp8_e32 v[28:29], v7
	v_cvt_pk_f32_fp8_sdwa v[6:7], v7 src0_sel:WORD_1
	s_waitcnt vmcnt(5)
	v_mfma_f32_4x4x4_16b_bf16 a[0:3], v[42:43], v[14:15], 0 cbsz:4
	v_perm_b32 v16, v23, v22, s0
	v_perm_b32 v17, v5, v4, s0
	v_cvt_pk_f32_fp8_e32 v[30:31], v8
	v_cvt_pk_f32_fp8_sdwa v[32:33], v8 src0_sel:WORD_1
	v_mfma_f32_4x4x4_16b_bf16 a[0:3], v[44:45], v[16:17], a[0:3] cbsz:4
	v_perm_b32 v4, v25, v24, s0
	v_perm_b32 v5, v27, v26, s0
	v_cvt_pk_f32_fp8_e32 v[66:67], v9
	v_cvt_pk_f32_fp8_sdwa v[8:9], v9 src0_sel:WORD_1
	v_mfma_f32_4x4x4_16b_bf16 a[0:3], v[42:43], v[4:5], a[0:3] cbsz:4 abid:1
	v_perm_b32 v88, v29, v28, s0
	v_perm_b32 v89, v7, v6, s0
	v_cvt_pk_f32_fp8_e32 v[68:69], v10
	v_cvt_pk_f32_fp8_sdwa v[70:71], v10 src0_sel:WORD_1
	v_mfma_f32_4x4x4_16b_bf16 a[0:3], v[44:45], v[88:89], a[0:3] cbsz:4 abid:1
	;; [unrolled: 5-line block ×5, first 2 shown]
	v_perm_b32 v70, v73, v72, s0
	v_perm_b32 v71, v11, v10, s0
	;; [unrolled: 1-line block ×4, first 2 shown]
	v_mfma_f32_4x4x4_16b_bf16 a[0:3], v[44:45], v[70:71], a[0:3] cbsz:4 abid:3
	v_perm_b32 v66, v79, v78, s0
	v_perm_b32 v67, v13, v12, s0
	v_mfma_f32_4x4x4_16b_bf16 a[0:3], v[42:43], v[10:11], a[0:3] cbsz:4 abid:4
	v_perm_b32 v12, v81, v80, s0
	v_perm_b32 v13, v83, v82, s0
	v_mfma_f32_4x4x4_16b_bf16 a[0:3], v[44:45], v[66:67], a[0:3] cbsz:4 abid:4
	global_load_dwordx4 v[18:21], v[36:37], off offset:16
	global_load_dwordx4 v[22:25], v[36:37], off
	global_load_dwordx4 v[26:29], v[2:3], off offset:16
	global_load_dwordx4 v[30:33], v[2:3], off
	global_load_dwordx4 v[6:9], v[2:3], off offset:2064
	global_load_dwordx4 v[14:17], v[2:3], off offset:2048
	s_waitcnt vmcnt(10)
	v_cvt_pk_f32_fp8_e32 v[2:3], v46
	v_cvt_pk_f32_fp8_sdwa v[4:5], v46 src0_sel:WORD_1
	v_mfma_f32_4x4x4_16b_bf16 a[0:3], v[42:43], v[12:13], a[0:3] cbsz:4 abid:5
	v_perm_b32 v10, v85, v84, s0
	v_perm_b32 v11, v87, v86, s0
	v_cvt_pk_f32_fp8_e32 v[72:73], v47
	v_perm_b32 v2, v3, v2, s0
	v_mfma_f32_4x4x4_16b_bf16 a[0:3], v[44:45], v[10:11], a[0:3] cbsz:4 abid:5
	v_cvt_pk_f32_fp8_sdwa v[10:11], v47 src0_sel:WORD_1
	v_perm_b32 v3, v5, v4, s0
	v_cvt_pk_f32_fp8_e32 v[46:47], v48
	v_cvt_pk_f32_fp8_sdwa v[66:67], v48 src0_sel:WORD_1
	v_mfma_f32_4x4x4_16b_bf16 a[0:3], v[42:43], v[2:3], a[0:3] cbsz:4 abid:6
	v_perm_b32 v4, v73, v72, s0
	v_perm_b32 v5, v11, v10, s0
	v_cvt_pk_f32_fp8_e32 v[68:69], v49
	v_cvt_pk_f32_fp8_sdwa v[48:49], v49 src0_sel:WORD_1
	v_mfma_f32_4x4x4_16b_bf16 a[0:3], v[44:45], v[4:5], a[0:3] cbsz:4 abid:6
	global_load_dwordx4 v[2:5], v[36:37], off offset:2064
	global_load_dwordx4 v[10:13], v[36:37], off offset:2048
	v_perm_b32 v36, v47, v46, s0
	v_perm_b32 v37, v67, v66, s0
	;; [unrolled: 1-line block ×4, first 2 shown]
	v_mfma_f32_4x4x4_16b_bf16 a[0:3], v[42:43], v[36:37], a[0:3] cbsz:4 abid:7
	s_waitcnt vmcnt(11)
	v_cvt_pk_f32_fp8_e32 v[36:37], v50
	v_cvt_pk_f32_fp8_e32 v[48:49], v51
	v_mfma_f32_4x4x4_16b_bf16 a[0:3], v[44:45], v[46:47], a[0:3] cbsz:4 abid:7
	v_cvt_pk_f32_fp8_sdwa v[46:47], v50 src0_sel:WORD_1
	v_cvt_pk_f32_fp8_sdwa v[50:51], v51 src0_sel:WORD_1
	v_perm_b32 v36, v37, v36, s0
	v_perm_b32 v37, v47, v46, s0
	v_perm_b32 v46, v49, v48, s0
	s_nop 0
	v_mfma_f32_4x4x4_16b_bf16 a[0:3], v[42:43], v[36:37], a[0:3] cbsz:4 abid:8
	v_perm_b32 v47, v51, v50, s0
	v_cvt_pk_f32_fp8_e32 v[36:37], v52
	v_cvt_pk_f32_fp8_e32 v[48:49], v53
	v_mfma_f32_4x4x4_16b_bf16 a[0:3], v[44:45], v[46:47], a[0:3] cbsz:4 abid:8
	v_cvt_pk_f32_fp8_sdwa v[46:47], v52 src0_sel:WORD_1
	v_cvt_pk_f32_fp8_sdwa v[50:51], v53 src0_sel:WORD_1
	v_perm_b32 v36, v37, v36, s0
	v_perm_b32 v37, v47, v46, s0
	v_perm_b32 v46, v49, v48, s0
	s_nop 0
	v_mfma_f32_4x4x4_16b_bf16 a[0:3], v[42:43], v[36:37], a[0:3] cbsz:4 abid:9
	v_perm_b32 v47, v51, v50, s0
	s_waitcnt vmcnt(10)
	v_cvt_pk_f32_fp8_e32 v[36:37], v54
	v_cvt_pk_f32_fp8_e32 v[48:49], v55
	v_mfma_f32_4x4x4_16b_bf16 a[0:3], v[44:45], v[46:47], a[0:3] cbsz:4 abid:9
	v_cvt_pk_f32_fp8_sdwa v[46:47], v54 src0_sel:WORD_1
	v_cvt_pk_f32_fp8_sdwa v[50:51], v55 src0_sel:WORD_1
	v_perm_b32 v36, v37, v36, s0
	v_perm_b32 v37, v47, v46, s0
	v_perm_b32 v46, v49, v48, s0
	s_nop 0
	v_mfma_f32_4x4x4_16b_bf16 a[0:3], v[42:43], v[36:37], a[0:3] cbsz:4 abid:10
	v_perm_b32 v47, v51, v50, s0
	v_cvt_pk_f32_fp8_e32 v[36:37], v56
	v_cvt_pk_f32_fp8_e32 v[48:49], v57
	v_mfma_f32_4x4x4_16b_bf16 a[0:3], v[44:45], v[46:47], a[0:3] cbsz:4 abid:10
	v_cvt_pk_f32_fp8_sdwa v[46:47], v56 src0_sel:WORD_1
	v_cvt_pk_f32_fp8_sdwa v[50:51], v57 src0_sel:WORD_1
	v_perm_b32 v36, v37, v36, s0
	v_perm_b32 v37, v47, v46, s0
	v_perm_b32 v46, v49, v48, s0
	s_nop 0
	v_mfma_f32_4x4x4_16b_bf16 a[0:3], v[42:43], v[36:37], a[0:3] cbsz:4 abid:11
	v_perm_b32 v47, v51, v50, s0
	;; [unrolled: 23-line block ×3, first 2 shown]
	s_waitcnt vmcnt(8)
	v_cvt_pk_f32_fp8_e32 v[36:37], v62
	v_cvt_pk_f32_fp8_e32 v[48:49], v63
	v_mfma_f32_4x4x4_16b_bf16 a[0:3], v[44:45], v[46:47], a[0:3] cbsz:4 abid:13
	v_cvt_pk_f32_fp8_sdwa v[46:47], v62 src0_sel:WORD_1
	v_cvt_pk_f32_fp8_sdwa v[50:51], v63 src0_sel:WORD_1
	v_perm_b32 v36, v37, v36, s0
	v_perm_b32 v37, v47, v46, s0
	;; [unrolled: 1-line block ×3, first 2 shown]
	s_nop 0
	v_mfma_f32_4x4x4_16b_bf16 a[0:3], v[42:43], v[36:37], a[0:3] cbsz:4 abid:14
	v_perm_b32 v47, v51, v50, s0
	v_cvt_pk_f32_fp8_e32 v[36:37], v64
	v_cvt_pk_f32_fp8_e32 v[48:49], v65
	v_mfma_f32_4x4x4_16b_bf16 a[0:3], v[44:45], v[46:47], a[0:3] cbsz:4 abid:14
	v_cvt_pk_f32_fp8_sdwa v[46:47], v64 src0_sel:WORD_1
	v_cvt_pk_f32_fp8_sdwa v[50:51], v65 src0_sel:WORD_1
	v_perm_b32 v36, v37, v36, s0
	v_perm_b32 v37, v47, v46, s0
	v_perm_b32 v46, v49, v48, s0
	v_perm_b32 v47, v51, v50, s0
	v_mfma_f32_4x4x4_16b_bf16 a[0:3], v[42:43], v[36:37], a[0:3] cbsz:4 abid:15
	s_load_dword s0, s[12:13], 0x0
	s_waitcnt lgkmcnt(0)
	v_mul_f32_e32 v42, s0, v35
	v_mfma_f32_4x4x4_16b_bf16 a[0:3], v[44:45], v[46:47], a[0:3] cbsz:4 abid:15
	v_cndmask_b32_e64 v35, 0, 1.0, vcc
	v_cmp_eq_u32_e32 vcc, 1, v38
	s_nop 2
	v_accvgpr_read_b32 v45, a1
	v_accvgpr_read_b32 v44, a0
	v_pk_mul_f32 v[44:45], v[44:45], v[42:43] op_sel_hi:[1,0]
	v_accvgpr_read_b32 v37, a3
	v_accvgpr_read_b32 v36, a2
	v_pk_mul_f32 v[36:37], v[36:37], v[42:43] op_sel_hi:[1,0]
	v_mfma_f32_4x4x1_16b_f32 a[0:3], v44, v35, 0
	v_cndmask_b32_e64 v35, 0, 1.0, vcc
	v_cmp_eq_u32_e32 vcc, 2, v38
	s_nop 0
	v_mfma_f32_4x4x1_16b_f32 a[0:3], v45, v35, a[0:3]
	v_cndmask_b32_e64 v35, 0, 1.0, vcc
	v_cmp_eq_u32_e32 vcc, 3, v38
	s_nop 0
	v_mfma_f32_4x4x1_16b_f32 a[0:3], v36, v35, a[0:3]
	v_cndmask_b32_e64 v35, 0, 1.0, vcc
	v_lshlrev_b32_e32 v36, 2, v0
	v_and_or_b32 v36, v36, 48, v38
	v_mfma_f32_4x4x1_16b_f32 a[0:3], v37, v35, a[0:3]
	v_and_b32_e32 v35, -4, v34
	v_cmp_gt_i32_e32 vcc, s3, v35
	v_or_b32_e32 v34, 3, v34
	v_cmp_gt_i32_e64 s[10:11], s3, v34
	v_accvgpr_read_b32 v37, a0
	v_max_f32_e32 v39, v37, v37
	v_max_f32_e32 v39, 0xff7fffff, v39
	v_accvgpr_read_b32 v42, a1
	v_cndmask_b32_e32 v39, v41, v39, vcc
	v_or_b32_e32 v41, 1, v35
	v_max_f32_e32 v43, v42, v42
	v_max_f32_e32 v43, v39, v43
	v_cmp_gt_i32_e64 s[0:1], s3, v41
	v_or_b32_e32 v35, 2, v35
	v_cmp_gt_i32_e64 s[8:9], s3, v35
	v_cndmask_b32_e64 v39, v39, v43, s[0:1]
	v_accvgpr_read_b32 v43, a2
	v_max_f32_e32 v41, v43, v43
	v_max_f32_e32 v41, v39, v41
	v_cndmask_b32_e64 v35, v39, v41, s[8:9]
	v_accvgpr_read_b32 v39, a3
	v_max_f32_e32 v41, v39, v39
	v_max_f32_e32 v41, v35, v41
	v_cndmask_b32_e64 v34, v35, v41, s[10:11]
	;;#ASMSTART
	v_nop
 v_nop
 v_max_f32_dpp v34, v34, v34 row_ror:4
	;;#ASMEND
	v_lshlrev_b32_e32 v44, 2, v36
	;;#ASMSTART
	v_nop
 v_nop
 v_max_f32_dpp v34, v34, v34 row_ror:8
	;;#ASMEND
	ds_bpermute_b32 v34, v44, v34
	s_waitcnt lgkmcnt(0)
	;;#ASMSTART
	v_nop
 v_nop
 v_max_f32_dpp v34, v34, v34 row_ror:4
	;;#ASMEND
	s_nop 0
	;;#ASMSTART
	v_nop
 v_nop
 v_max_f32_dpp v41, v34, v34 row_ror:8
	;;#ASMEND
	s_nop 0
	v_sub_f32_e32 v34, v37, v41
	v_mul_f32_e32 v34, 0x3fb8aa3b, v34
	v_sub_f32_e32 v35, v42, v41
	v_exp_f32_e32 v34, v34
	v_mul_f32_e32 v35, 0x3fb8aa3b, v35
	v_sub_f32_e32 v37, v43, v41
	v_exp_f32_e32 v35, v35
	;; [unrolled: 3-line block ×3, first 2 shown]
	v_mul_f32_e32 v39, 0x3fb8aa3b, v39
	v_exp_f32_e32 v39, v39
	v_cndmask_b32_e32 v34, 0, v34, vcc
	v_add_f32_e32 v36, 0, v34
	v_cndmask_b32_e64 v35, 0, v35, s[0:1]
	v_add_f32_e32 v42, v36, v35
	v_cndmask_b32_e64 v36, 0, v37, s[8:9]
	;; [unrolled: 2-line block ×3, first 2 shown]
	v_add_f32_e32 v39, v42, v37
	;;#ASMSTART
	v_nop
 v_nop
 v_add_f32_dpp v39, v39, v39 row_ror:4
	;;#ASMEND
	v_cmp_gt_u32_e32 vcc, 4, v1
	;;#ASMSTART
	v_nop
 v_nop
 v_add_f32_dpp v39, v39, v39 row_ror:8
	;;#ASMEND
	ds_bpermute_b32 v39, v44, v39
	s_waitcnt lgkmcnt(0)
	;;#ASMSTART
	v_nop
 v_nop
 v_add_f32_dpp v39, v39, v39 row_ror:4
	;;#ASMEND
	s_nop 0
	;;#ASMSTART
	v_nop
 v_nop
 v_add_f32_dpp v39, v39, v39 row_ror:8
	;;#ASMEND
	s_and_saveexec_b64 s[0:1], vcc
	s_cbranch_execz .LBB1351_12
; %bb.11:
	v_mul_u32_u24_e32 v42, 20, v40
	v_lshl_add_u32 v42, v38, 2, v42
	v_add_u32_e32 v42, 0x1400, v42
	ds_write2_b32 v42, v41, v39 offset1:20
.LBB1351_12:
	s_or_b64 exec, exec, s[0:1]
.LBB1351_13:
	s_or_b64 exec, exec, s[30:31]
	v_lshlrev_b32_e32 v39, 2, v38
	v_add_u32_e32 v39, 0x1400, v39
	s_waitcnt lgkmcnt(0)
	s_barrier
	s_load_dword s0, s[28:29], 0x8
	ds_read2_b32 v[44:45], v39 offset1:5
	ds_read2_b32 v[46:47], v39 offset0:10 offset1:15
	s_mov_b32 s10, 0xff7fffff
	s_mul_i32 s1, s2, s5
	s_lshl_b32 s8, s4, 2
	s_waitcnt lgkmcnt(0)
	v_max3_f32 v42, v44, s10, v45
	s_mul_i32 s1, s1, s0
	v_max3_f32 v42, v42, v46, v47
	s_lshl_b32 s0, s1, 2
	s_mov_b32 s1, 0
	v_sub_f32_e32 v43, v44, v42
	v_sub_f32_e32 v44, v45, v42
	s_lshl_b64 s[2:3], s[0:1], 2
	ds_read2_b32 v[48:49], v39 offset0:20 offset1:25
	v_mul_f32_e32 v43, 0x3fb8aa3b, v43
	v_mul_f32_e32 v44, 0x3fb8aa3b, v44
	s_add_u32 s4, s16, s2
	v_exp_f32_e32 v43, v43
	v_exp_f32_e32 v50, v44
	ds_read2_b32 v[44:45], v39 offset0:30 offset1:35
	v_sub_f32_e32 v39, v46, v42
	s_addc_u32 s9, s17, s3
	v_mul_f32_e32 v39, 0x3fb8aa3b, v39
	v_sub_f32_e32 v46, v47, v42
	s_mov_b32 s25, s1
	s_add_u32 s10, s18, s2
	v_exp_f32_e32 v39, v39
	v_mul_f32_e32 v46, 0x3fb8aa3b, v46
	s_addc_u32 s11, s19, s3
	s_lshl_b64 s[2:3], s[24:25], 2
	v_exp_f32_e32 v46, v46
	s_add_u32 s10, s10, s2
	s_waitcnt lgkmcnt(1)
	v_fma_f32 v43, v43, v48, 0
	s_addc_u32 s11, s11, s3
	v_fmac_f32_e32 v43, v50, v49
	v_or_b32_e32 v38, s8, v38
	s_waitcnt lgkmcnt(0)
	v_fmac_f32_e32 v43, v39, v44
	s_add_u32 s2, s4, s2
	v_mul_lo_u32 v38, s5, v38
	v_mov_b32_e32 v39, 0
	v_fmac_f32_e32 v43, v46, v45
	s_addc_u32 s3, s9, s3
	v_lshlrev_b64 v[44:45], 2, v[38:39]
	v_lshl_add_u64 v[46:47], s[10:11], 0, v[44:45]
	v_lshl_add_u64 v[44:45], s[2:3], 0, v[44:45]
	v_lshlrev_b32_e32 v40, 3, v40
	global_store_dword v[46:47], v42, off
	global_store_dword v[44:45], v43, off
	s_and_saveexec_b64 s[2:3], s[6:7]
	s_xor_b64 s[2:3], exec, s[2:3]
	s_cbranch_execz .LBB1351_15
; %bb.14:
	s_waitcnt vmcnt(3)
	v_mad_u32_u24 v2, v1, 40, v40
	v_mov_b32_e32 v38, v39
	ds_write_b64 v2, v[38:39]
                                        ; implicit-def: $vgpr37
                                        ; implicit-def: $vgpr35
                                        ; implicit-def: $vgpr41
                                        ; implicit-def: $vgpr30_vgpr31
                                        ; implicit-def: $vgpr26_vgpr27
                                        ; implicit-def: $vgpr22_vgpr23
                                        ; implicit-def: $vgpr18_vgpr19
                                        ; implicit-def: $vgpr14_vgpr15
                                        ; implicit-def: $vgpr6_vgpr7
                                        ; implicit-def: $vgpr10_vgpr11
                                        ; implicit-def: $vgpr2_vgpr3
                                        ; implicit-def: $vgpr42
                                        ; implicit-def: $vgpr43
.LBB1351_15:
	s_or_saveexec_b64 s[2:3], s[2:3]
	v_mov_b32_e32 v38, s1
	v_mov_b32_e32 v39, s1
	s_xor_b64 exec, exec, s[2:3]
	s_cbranch_execz .LBB1351_17
; %bb.16:
	v_add_f32_e32 v38, 0x358637bd, v43
	v_div_scale_f32 v39, s[6:7], v38, v38, 1.0
	v_rcp_f32_e32 v43, v39
	v_sub_f32_e32 v41, v41, v42
	v_mul_f32_e32 v41, 0x3fb8aa3b, v41
	v_exp_f32_e32 v41, v41
	v_fma_f32 v42, -v39, v43, 1.0
	v_fmac_f32_e32 v43, v42, v43
	v_div_scale_f32 v42, vcc, 1.0, v38, 1.0
	v_mul_f32_e32 v44, v42, v43
	v_fma_f32 v45, -v39, v44, v42
	v_fmac_f32_e32 v44, v45, v43
	v_fma_f32 v39, -v39, v44, v42
	v_div_fmas_f32 v39, v39, v43, v44
	v_div_fixup_f32 v38, v39, v38, 1.0
	v_mul_f32_e32 v38, v41, v38
	v_pk_mul_f32 v[34:35], v[34:35], v[38:39] op_sel_hi:[1,0]
	v_pk_mul_f32 v[36:37], v[36:37], v[38:39] op_sel_hi:[1,0]
	v_bfe_u32 v38, v35, 16, 1
	v_bfe_u32 v39, v34, 16, 1
	s_movk_i32 s1, 0x7fff
	v_add3_u32 v34, v34, v39, s1
	v_add3_u32 v35, v35, v38, s1
	s_mov_b32 s6, 0x7060302
	v_perm_b32 v34, v35, v34, s6
	v_bfe_u32 v35, v37, 16, 1
	v_bfe_u32 v38, v36, 16, 1
	v_add3_u32 v36, v36, v38, s1
	v_add3_u32 v35, v37, v35, s1
	v_perm_b32 v35, v35, v36, s6
	s_waitcnt vmcnt(6)
	v_cvt_pk_f32_fp8_e32 v[36:37], v30
	v_cvt_pk_f32_fp8_sdwa v[38:39], v30 src0_sel:WORD_1
	v_cvt_pk_f32_fp8_e32 v[42:43], v31
	v_cvt_pk_f32_fp8_sdwa v[30:31], v31 src0_sel:WORD_1
	v_perm_b32 v36, v37, v36, s6
	v_perm_b32 v37, v39, v38, s6
	;; [unrolled: 1-line block ×4, first 2 shown]
	v_mfma_f32_4x4x4_16b_bf16 a[0:3], v[34:35], v[36:37], 0 cbsz:4
	v_cvt_pk_f32_fp8_e32 v[30:31], v32
	v_cvt_pk_f32_fp8_sdwa v[36:37], v32 src0_sel:WORD_1
	v_mfma_f32_4x4x4_16b_bf16 a[0:3], v[34:35], v[38:39], a[0:3] cbsz:4 abid:1
	v_cvt_pk_f32_fp8_e32 v[38:39], v33
	v_cvt_pk_f32_fp8_sdwa v[32:33], v33 src0_sel:WORD_1
	v_perm_b32 v30, v31, v30, s6
	v_perm_b32 v31, v37, v36, s6
	v_perm_b32 v36, v39, v38, s6
	v_perm_b32 v37, v33, v32, s6
	v_mfma_f32_4x4x4_16b_bf16 a[0:3], v[34:35], v[30:31], a[0:3] cbsz:4 abid:2
	v_cvt_pk_f32_fp8_e32 v[30:31], v26
	v_cvt_pk_f32_fp8_sdwa v[32:33], v26 src0_sel:WORD_1
	v_mfma_f32_4x4x4_16b_bf16 a[0:3], v[34:35], v[36:37], a[0:3] cbsz:4 abid:3
	v_cvt_pk_f32_fp8_e32 v[36:37], v27
	v_cvt_pk_f32_fp8_sdwa v[26:27], v27 src0_sel:WORD_1
	v_perm_b32 v30, v31, v30, s6
	v_perm_b32 v31, v33, v32, s6
	v_perm_b32 v32, v37, v36, s6
	v_perm_b32 v33, v27, v26, s6
	v_mfma_f32_4x4x4_16b_bf16 a[0:3], v[34:35], v[30:31], a[0:3] cbsz:4 abid:4
	;; [unrolled: 10-line block ×6, first 2 shown]
	v_cvt_pk_f32_fp8_e32 v[18:19], v20
	v_cvt_pk_f32_fp8_sdwa v[22:23], v20 src0_sel:WORD_1
	v_mfma_f32_4x4x4_16b_bf16 a[0:3], v[34:35], v[24:25], a[0:3] cbsz:4 abid:13
	v_cvt_pk_f32_fp8_e32 v[24:25], v21
	v_cvt_pk_f32_fp8_sdwa v[20:21], v21 src0_sel:WORD_1
	v_perm_b32 v18, v19, v18, s6
	v_perm_b32 v19, v23, v22, s6
	s_load_dword s4, s[14:15], 0x0
	v_perm_b32 v22, v25, v24, s6
	v_mfma_f32_4x4x4_16b_bf16 a[0:3], v[34:35], v[18:19], a[0:3] cbsz:4 abid:14
	v_perm_b32 v23, v21, v20, s6
	s_nop 1
	v_mfma_f32_4x4x4_16b_bf16 a[0:3], v[34:35], v[22:23], a[0:3] cbsz:4 abid:15
	s_nop 4
	v_accvgpr_read_b32 v21, a1
	v_accvgpr_read_b32 v20, a0
	s_waitcnt lgkmcnt(0)
	v_pk_mul_f32 v[20:21], v[20:21], s[4:5] op_sel_hi:[1,0]
	v_accvgpr_read_b32 v19, a3
	v_accvgpr_read_b32 v18, a2
	v_bfe_u32 v22, v21, 16, 1
	v_bfe_u32 v23, v20, 16, 1
	v_pk_mul_f32 v[18:19], v[18:19], s[4:5] op_sel_hi:[1,0]
	v_add3_u32 v20, v20, v23, s1
	v_add3_u32 v21, v21, v22, s1
	v_perm_b32 v20, v21, v20, s6
	v_bfe_u32 v21, v19, 16, 1
	v_bfe_u32 v22, v18, 16, 1
	v_add3_u32 v18, v18, v22, s1
	v_add3_u32 v19, v19, v21, s1
	v_perm_b32 v21, v19, v18, s6
	v_mad_u32_u24 v18, v1, 40, v40
	ds_write_b64 v18, v[20:21]
	s_waitcnt vmcnt(4)
	v_cvt_pk_f32_fp8_e32 v[18:19], v14
	v_cvt_pk_f32_fp8_sdwa v[20:21], v14 src0_sel:WORD_1
	v_cvt_pk_f32_fp8_e32 v[22:23], v15
	v_cvt_pk_f32_fp8_sdwa v[14:15], v15 src0_sel:WORD_1
	v_perm_b32 v18, v19, v18, s6
	v_perm_b32 v19, v21, v20, s6
	;; [unrolled: 1-line block ×4, first 2 shown]
	v_mfma_f32_4x4x4_16b_bf16 a[0:3], v[34:35], v[18:19], 0 cbsz:4
	v_cvt_pk_f32_fp8_e32 v[14:15], v16
	v_cvt_pk_f32_fp8_sdwa v[18:19], v16 src0_sel:WORD_1
	v_mfma_f32_4x4x4_16b_bf16 a[0:3], v[34:35], v[20:21], a[0:3] cbsz:4 abid:1
	v_cvt_pk_f32_fp8_e32 v[20:21], v17
	v_cvt_pk_f32_fp8_sdwa v[16:17], v17 src0_sel:WORD_1
	v_perm_b32 v14, v15, v14, s6
	v_perm_b32 v15, v19, v18, s6
	v_perm_b32 v18, v21, v20, s6
	v_perm_b32 v19, v17, v16, s6
	v_mfma_f32_4x4x4_16b_bf16 a[0:3], v[34:35], v[14:15], a[0:3] cbsz:4 abid:2
	v_cvt_pk_f32_fp8_e32 v[14:15], v6
	v_cvt_pk_f32_fp8_sdwa v[16:17], v6 src0_sel:WORD_1
	v_mfma_f32_4x4x4_16b_bf16 a[0:3], v[34:35], v[18:19], a[0:3] cbsz:4 abid:3
	v_cvt_pk_f32_fp8_e32 v[18:19], v7
	v_cvt_pk_f32_fp8_sdwa v[6:7], v7 src0_sel:WORD_1
	v_perm_b32 v14, v15, v14, s6
	v_perm_b32 v15, v17, v16, s6
	v_perm_b32 v16, v19, v18, s6
	v_perm_b32 v17, v7, v6, s6
	v_mfma_f32_4x4x4_16b_bf16 a[0:3], v[34:35], v[14:15], a[0:3] cbsz:4 abid:4
	v_cvt_pk_f32_fp8_e32 v[6:7], v8
	v_cvt_pk_f32_fp8_sdwa v[14:15], v8 src0_sel:WORD_1
	v_mfma_f32_4x4x4_16b_bf16 a[0:3], v[34:35], v[16:17], a[0:3] cbsz:4 abid:5
	v_cvt_pk_f32_fp8_e32 v[16:17], v9
	v_cvt_pk_f32_fp8_sdwa v[8:9], v9 src0_sel:WORD_1
	v_perm_b32 v6, v7, v6, s6
	v_perm_b32 v7, v15, v14, s6
	v_perm_b32 v14, v17, v16, s6
	v_perm_b32 v15, v9, v8, s6
	v_mfma_f32_4x4x4_16b_bf16 a[0:3], v[34:35], v[6:7], a[0:3] cbsz:4 abid:6
	s_waitcnt vmcnt(2)
	v_cvt_pk_f32_fp8_e32 v[6:7], v10
	v_cvt_pk_f32_fp8_sdwa v[8:9], v10 src0_sel:WORD_1
	v_mfma_f32_4x4x4_16b_bf16 a[0:3], v[34:35], v[14:15], a[0:3] cbsz:4 abid:7
	v_cvt_pk_f32_fp8_e32 v[14:15], v11
	v_cvt_pk_f32_fp8_sdwa v[10:11], v11 src0_sel:WORD_1
	v_perm_b32 v6, v7, v6, s6
	v_perm_b32 v7, v9, v8, s6
	;; [unrolled: 1-line block ×4, first 2 shown]
	v_mfma_f32_4x4x4_16b_bf16 a[0:3], v[34:35], v[6:7], a[0:3] cbsz:4 abid:8
	v_cvt_pk_f32_fp8_e32 v[6:7], v12
	v_cvt_pk_f32_fp8_e32 v[10:11], v13
	v_mfma_f32_4x4x4_16b_bf16 a[0:3], v[34:35], v[8:9], a[0:3] cbsz:4 abid:9
	v_cvt_pk_f32_fp8_sdwa v[8:9], v12 src0_sel:WORD_1
	v_cvt_pk_f32_fp8_sdwa v[12:13], v13 src0_sel:WORD_1
	v_perm_b32 v6, v7, v6, s6
	v_perm_b32 v7, v9, v8, s6
	;; [unrolled: 1-line block ×3, first 2 shown]
	s_nop 0
	v_mfma_f32_4x4x4_16b_bf16 a[0:3], v[34:35], v[6:7], a[0:3] cbsz:4 abid:10
	v_perm_b32 v9, v13, v12, s6
	v_cvt_pk_f32_fp8_e32 v[6:7], v2
	v_cvt_pk_f32_fp8_e32 v[10:11], v3
	v_mfma_f32_4x4x4_16b_bf16 a[0:3], v[34:35], v[8:9], a[0:3] cbsz:4 abid:11
	v_cvt_pk_f32_fp8_sdwa v[8:9], v2 src0_sel:WORD_1
	v_cvt_pk_f32_fp8_sdwa v[2:3], v3 src0_sel:WORD_1
	v_perm_b32 v6, v7, v6, s6
	v_perm_b32 v7, v9, v8, s6
	;; [unrolled: 1-line block ×3, first 2 shown]
	s_nop 0
	v_mfma_f32_4x4x4_16b_bf16 a[0:3], v[34:35], v[6:7], a[0:3] cbsz:4 abid:12
	v_cvt_pk_f32_fp8_e32 v[2:3], v4
	v_cvt_pk_f32_fp8_sdwa v[6:7], v4 src0_sel:WORD_1
	v_perm_b32 v8, v11, v10, s6
	v_perm_b32 v2, v3, v2, s6
	s_nop 0
	v_mfma_f32_4x4x4_16b_bf16 a[0:3], v[34:35], v[8:9], a[0:3] cbsz:4 abid:13
	v_cvt_pk_f32_fp8_e32 v[8:9], v5
	v_cvt_pk_f32_fp8_sdwa v[4:5], v5 src0_sel:WORD_1
	v_perm_b32 v3, v7, v6, s6
	v_perm_b32 v6, v9, v8, s6
	s_nop 0
	v_mfma_f32_4x4x4_16b_bf16 a[0:3], v[34:35], v[2:3], a[0:3] cbsz:4 abid:14
	v_perm_b32 v7, v5, v4, s6
	s_nop 1
	v_mfma_f32_4x4x4_16b_bf16 a[0:3], v[34:35], v[6:7], a[0:3] cbsz:4 abid:15
	s_nop 4
	v_accvgpr_read_b32 v5, a1
	v_accvgpr_read_b32 v4, a0
	;; [unrolled: 1-line block ×4, first 2 shown]
	v_pk_mul_f32 v[4:5], v[4:5], s[4:5] op_sel_hi:[1,0]
	v_pk_mul_f32 v[2:3], v[2:3], s[4:5] op_sel_hi:[1,0]
	v_bfe_u32 v6, v5, 16, 1
	v_bfe_u32 v7, v4, 16, 1
	v_add3_u32 v4, v4, v7, s1
	v_add3_u32 v5, v5, v6, s1
	v_bfe_u32 v6, v3, 16, 1
	v_bfe_u32 v7, v2, 16, 1
	v_add3_u32 v2, v2, v7, s1
	v_add3_u32 v3, v3, v6, s1
	v_perm_b32 v39, v3, v2, s6
	v_perm_b32 v38, v5, v4, s6
.LBB1351_17:
	s_or_b64 exec, exec, s[2:3]
	s_waitcnt vmcnt(3)
	v_mad_u32_u24 v2, v1, 40, v40
	v_cmp_gt_u32_e32 vcc, 64, v0
	ds_write_b64 v2, v[38:39] offset:2560
	s_waitcnt lgkmcnt(0)
	s_barrier
	s_and_saveexec_b64 s[2:3], vcc
	s_cbranch_execz .LBB1351_19
; %bb.18:
	v_mul_u32_u24_e32 v6, 40, v1
	ds_read2_b64 v[2:5], v6 offset1:1
	ds_read2_b64 v[6:9], v6 offset0:2 offset1:3
	s_mov_b32 s1, 0
	s_lshl_b32 s0, s0, 7
	s_lshl_b64 s[2:3], s[0:1], 1
	s_waitcnt vmcnt(2) lgkmcnt(1)
	v_lshlrev_b32_e32 v10, 16, v2
	v_and_b32_e32 v2, 0xffff0000, v2
	v_add_f32_e32 v2, 0, v2
	v_lshlrev_b32_e32 v11, 16, v3
	v_and_b32_e32 v3, 0xffff0000, v3
	v_and_b32_e32 v2, 0xffff0000, v2
	v_add_f32_e32 v11, 0, v11
	v_add_f32_e32 v3, 0, v3
	v_lshlrev_b32_e32 v12, 16, v4
	v_and_b32_e32 v4, 0xffff0000, v4
	v_add_f32_e32 v10, 0, v10
	v_and_b32_e32 v11, 0xffff0000, v11
	v_and_b32_e32 v3, 0xffff0000, v3
	v_add_f32_e32 v2, v2, v4
	v_lshlrev_b32_e32 v4, 16, v5
	v_and_b32_e32 v5, 0xffff0000, v5
	v_and_b32_e32 v10, 0xffff0000, v10
	;; [unrolled: 1-line block ×3, first 2 shown]
	v_add_f32_e32 v4, v11, v4
	v_add_f32_e32 v3, v3, v5
	s_waitcnt lgkmcnt(0)
	v_lshlrev_b32_e32 v5, 16, v6
	v_and_b32_e32 v6, 0xffff0000, v6
	v_add_f32_e32 v10, v10, v12
	v_and_b32_e32 v4, 0xffff0000, v4
	v_add_f32_e32 v2, v2, v6
	v_lshlrev_b32_e32 v6, 16, v7
	v_and_b32_e32 v10, 0xffff0000, v10
	v_and_b32_e32 v3, 0xffff0000, v3
	v_add_f32_e32 v4, v4, v6
	v_and_b32_e32 v6, 0xffff0000, v7
	v_add_f32_e32 v5, v10, v5
	v_add_f32_e32 v3, v3, v6
	v_and_b32_e32 v5, 0xffff0000, v5
	v_and_b32_e32 v6, 0xffff0000, v3
	v_lshlrev_b32_e32 v3, 16, v8
	v_and_b32_e32 v2, 0xffff0000, v2
	v_add_f32_e32 v10, v5, v3
	v_and_b32_e32 v3, 0xffff0000, v8
	v_and_b32_e32 v4, 0xffff0000, v4
	v_add_f32_e32 v11, v2, v3
	v_lshlrev_b32_e32 v2, 16, v9
	v_add_f32_e32 v12, v4, v2
	v_mov_b32_e32 v2, 0xa00
	v_mad_u32_u24 v2, v1, 40, v2
	ds_read2_b64 v[2:5], v2 offset1:1
	v_and_b32_e32 v7, 0xffff0000, v9
	v_add_f32_e32 v13, v6, v7
	v_mov_b32_e32 v6, 0xa10
	v_mad_u32_u24 v1, v1, 40, v6
	ds_read2_b64 v[6:9], v1 offset1:1
	s_waitcnt lgkmcnt(1)
	v_lshlrev_b32_e32 v1, 16, v2
	v_and_b32_e32 v2, 0xffff0000, v2
	v_add_f32_e32 v1, 0, v1
	v_add_f32_e32 v2, 0, v2
	v_lshlrev_b32_e32 v14, 16, v3
	v_and_b32_e32 v3, 0xffff0000, v3
	v_and_b32_e32 v1, 0xffff0000, v1
	;; [unrolled: 1-line block ×3, first 2 shown]
	v_add_f32_e32 v3, 0, v3
	v_lshlrev_b32_e32 v15, 16, v4
	v_and_b32_e32 v4, 0xffff0000, v4
	v_add_f32_e32 v14, 0, v14
	v_and_b32_e32 v3, 0xffff0000, v3
	v_add_f32_e32 v1, v1, v15
	v_add_f32_e32 v2, v2, v4
	v_lshlrev_b32_e32 v4, 16, v5
	v_and_b32_e32 v5, 0xffff0000, v5
	v_and_b32_e32 v14, 0xffff0000, v14
	;; [unrolled: 1-line block ×3, first 2 shown]
	v_add_f32_e32 v3, v3, v5
	s_waitcnt lgkmcnt(0)
	v_lshlrev_b32_e32 v5, 16, v6
	v_and_b32_e32 v2, 0xffff0000, v2
	v_add_f32_e32 v4, v14, v4
	v_add_f32_e32 v1, v1, v5
	v_and_b32_e32 v5, 0xffff0000, v6
	v_and_b32_e32 v4, 0xffff0000, v4
	v_add_f32_e32 v2, v2, v5
	v_lshlrev_b32_e32 v5, 16, v7
	s_add_u32 s2, s26, s2
	v_and_b32_e32 v3, 0xffff0000, v3
	v_add_f32_e32 v4, v4, v5
	v_and_b32_e32 v5, 0xffff0000, v7
	s_addc_u32 s3, s27, s3
	s_lshl_b32 s0, s24, 7
	v_and_b32_e32 v1, 0xffff0000, v1
	v_add_f32_e32 v3, v3, v5
	v_lshlrev_b32_e32 v5, 16, v8
	s_lshl_b64 s[0:1], s[0:1], 1
	v_and_b32_e32 v2, 0xffff0000, v2
	v_add_f32_e32 v14, v1, v5
	v_and_b32_e32 v1, 0xffff0000, v8
	s_add_u32 s0, s2, s0
	v_and_b32_e32 v4, 0xffff0000, v4
	v_add_f32_e32 v15, v2, v1
	v_lshlrev_b32_e32 v1, 16, v9
	s_addc_u32 s1, s3, s1
	s_lshl_b32 s2, s5, 7
	v_and_b32_e32 v3, 0xffff0000, v3
	v_add_f32_e32 v16, v4, v1
	v_and_b32_e32 v1, 0xffff0000, v9
	s_mul_i32 s3, s2, s8
	v_add_f32_e32 v17, v3, v1
	v_or_b32_e32 v2, s3, v0
	v_mov_b32_e32 v3, 0
	s_add_i32 s3, s3, s2
	v_lshl_add_u64 v[4:5], v[2:3], 1, s[0:1]
	v_or_b32_e32 v2, s3, v0
	s_add_i32 s3, s3, s2
	v_lshl_add_u64 v[6:7], v[2:3], 1, s[0:1]
	v_or_b32_e32 v2, s3, v0
	;; [unrolled: 3-line block ×3, first 2 shown]
	v_lshl_add_u64 v[0:1], v[2:3], 1, s[0:1]
	global_store_short_d16_hi v[4:5], v10, off
	global_store_short_d16_hi v[6:7], v11, off
	;; [unrolled: 1-line block ×4, first 2 shown]
	global_store_short_d16_hi v[4:5], v14, off offset:128
	global_store_short_d16_hi v[6:7], v15, off offset:128
	;; [unrolled: 1-line block ×4, first 2 shown]
.LBB1351_19:
	s_endpgm
.LBB1351_20:
	s_mov_b64 s[12:13], 0
                                        ; implicit-def: $sgpr34_sgpr35
	s_branch .LBB1351_2
	.section	.rodata,"a",@progbits
	.p2align	6, 0x0
	.amdhsa_kernel _Z38paged_attention_ll4mi_QKV_mfma4_kernelI14__hip_bfloat16hLN4vllm18Fp8KVCacheDataTypeE1EhLi32ELi128ELi256ELb0ELi4EEvPKT_PKT0_S8_ifPKiSA_SA_iPKfiiiPfSD_PS3_PT2_iSC_SC_
		.amdhsa_group_segment_fixed_size 5280
		.amdhsa_private_segment_fixed_size 0
		.amdhsa_kernarg_size 400
		.amdhsa_user_sgpr_count 2
		.amdhsa_user_sgpr_dispatch_ptr 0
		.amdhsa_user_sgpr_queue_ptr 0
		.amdhsa_user_sgpr_kernarg_segment_ptr 1
		.amdhsa_user_sgpr_dispatch_id 0
		.amdhsa_user_sgpr_kernarg_preload_length 0
		.amdhsa_user_sgpr_kernarg_preload_offset 0
		.amdhsa_user_sgpr_private_segment_size 0
		.amdhsa_uses_dynamic_stack 0
		.amdhsa_enable_private_segment 0
		.amdhsa_system_sgpr_workgroup_id_x 1
		.amdhsa_system_sgpr_workgroup_id_y 1
		.amdhsa_system_sgpr_workgroup_id_z 1
		.amdhsa_system_sgpr_workgroup_info 0
		.amdhsa_system_vgpr_workitem_id 0
		.amdhsa_next_free_vgpr 96
		.amdhsa_next_free_sgpr 42
		.amdhsa_accum_offset 92
		.amdhsa_reserve_vcc 1
		.amdhsa_float_round_mode_32 0
		.amdhsa_float_round_mode_16_64 0
		.amdhsa_float_denorm_mode_32 3
		.amdhsa_float_denorm_mode_16_64 3
		.amdhsa_dx10_clamp 1
		.amdhsa_ieee_mode 1
		.amdhsa_fp16_overflow 0
		.amdhsa_tg_split 0
		.amdhsa_exception_fp_ieee_invalid_op 0
		.amdhsa_exception_fp_denorm_src 0
		.amdhsa_exception_fp_ieee_div_zero 0
		.amdhsa_exception_fp_ieee_overflow 0
		.amdhsa_exception_fp_ieee_underflow 0
		.amdhsa_exception_fp_ieee_inexact 0
		.amdhsa_exception_int_div_zero 0
	.end_amdhsa_kernel
	.section	.text._Z38paged_attention_ll4mi_QKV_mfma4_kernelI14__hip_bfloat16hLN4vllm18Fp8KVCacheDataTypeE1EhLi32ELi128ELi256ELb0ELi4EEvPKT_PKT0_S8_ifPKiSA_SA_iPKfiiiPfSD_PS3_PT2_iSC_SC_,"axG",@progbits,_Z38paged_attention_ll4mi_QKV_mfma4_kernelI14__hip_bfloat16hLN4vllm18Fp8KVCacheDataTypeE1EhLi32ELi128ELi256ELb0ELi4EEvPKT_PKT0_S8_ifPKiSA_SA_iPKfiiiPfSD_PS3_PT2_iSC_SC_,comdat
.Lfunc_end1351:
	.size	_Z38paged_attention_ll4mi_QKV_mfma4_kernelI14__hip_bfloat16hLN4vllm18Fp8KVCacheDataTypeE1EhLi32ELi128ELi256ELb0ELi4EEvPKT_PKT0_S8_ifPKiSA_SA_iPKfiiiPfSD_PS3_PT2_iSC_SC_, .Lfunc_end1351-_Z38paged_attention_ll4mi_QKV_mfma4_kernelI14__hip_bfloat16hLN4vllm18Fp8KVCacheDataTypeE1EhLi32ELi128ELi256ELb0ELi4EEvPKT_PKT0_S8_ifPKiSA_SA_iPKfiiiPfSD_PS3_PT2_iSC_SC_
                                        ; -- End function
	.section	.AMDGPU.csdata,"",@progbits
; Kernel info:
; codeLenInByte = 5864
; NumSgprs: 48
; NumVgprs: 92
; NumAgprs: 4
; TotalNumVgprs: 96
; ScratchSize: 0
; MemoryBound: 0
; FloatMode: 240
; IeeeMode: 1
; LDSByteSize: 5280 bytes/workgroup (compile time only)
; SGPRBlocks: 5
; VGPRBlocks: 11
; NumSGPRsForWavesPerEU: 48
; NumVGPRsForWavesPerEU: 96
; AccumOffset: 92
; Occupancy: 5
; WaveLimiterHint : 1
; COMPUTE_PGM_RSRC2:SCRATCH_EN: 0
; COMPUTE_PGM_RSRC2:USER_SGPR: 2
; COMPUTE_PGM_RSRC2:TRAP_HANDLER: 0
; COMPUTE_PGM_RSRC2:TGID_X_EN: 1
; COMPUTE_PGM_RSRC2:TGID_Y_EN: 1
; COMPUTE_PGM_RSRC2:TGID_Z_EN: 1
; COMPUTE_PGM_RSRC2:TIDIG_COMP_CNT: 0
; COMPUTE_PGM_RSRC3_GFX90A:ACCUM_OFFSET: 22
; COMPUTE_PGM_RSRC3_GFX90A:TG_SPLIT: 0
	.section	.text._Z39paged_attention_ll4mi_QKV_mfma16_kernelI14__hip_bfloat16hLN4vllm18Fp8KVCacheDataTypeE1EhLi32ELi128ELi256ELb0ELi5EEvPKT_PKT0_S8_ifPKiSA_SA_iPKfiiiPfSD_PS3_PT2_iSC_SC_,"axG",@progbits,_Z39paged_attention_ll4mi_QKV_mfma16_kernelI14__hip_bfloat16hLN4vllm18Fp8KVCacheDataTypeE1EhLi32ELi128ELi256ELb0ELi5EEvPKT_PKT0_S8_ifPKiSA_SA_iPKfiiiPfSD_PS3_PT2_iSC_SC_,comdat
	.protected	_Z39paged_attention_ll4mi_QKV_mfma16_kernelI14__hip_bfloat16hLN4vllm18Fp8KVCacheDataTypeE1EhLi32ELi128ELi256ELb0ELi5EEvPKT_PKT0_S8_ifPKiSA_SA_iPKfiiiPfSD_PS3_PT2_iSC_SC_ ; -- Begin function _Z39paged_attention_ll4mi_QKV_mfma16_kernelI14__hip_bfloat16hLN4vllm18Fp8KVCacheDataTypeE1EhLi32ELi128ELi256ELb0ELi5EEvPKT_PKT0_S8_ifPKiSA_SA_iPKfiiiPfSD_PS3_PT2_iSC_SC_
	.globl	_Z39paged_attention_ll4mi_QKV_mfma16_kernelI14__hip_bfloat16hLN4vllm18Fp8KVCacheDataTypeE1EhLi32ELi128ELi256ELb0ELi5EEvPKT_PKT0_S8_ifPKiSA_SA_iPKfiiiPfSD_PS3_PT2_iSC_SC_
	.p2align	8
	.type	_Z39paged_attention_ll4mi_QKV_mfma16_kernelI14__hip_bfloat16hLN4vllm18Fp8KVCacheDataTypeE1EhLi32ELi128ELi256ELb0ELi5EEvPKT_PKT0_S8_ifPKiSA_SA_iPKfiiiPfSD_PS3_PT2_iSC_SC_,@function
_Z39paged_attention_ll4mi_QKV_mfma16_kernelI14__hip_bfloat16hLN4vllm18Fp8KVCacheDataTypeE1EhLi32ELi128ELi256ELb0ELi5EEvPKT_PKT0_S8_ifPKiSA_SA_iPKfiiiPfSD_PS3_PT2_iSC_SC_: ; @_Z39paged_attention_ll4mi_QKV_mfma16_kernelI14__hip_bfloat16hLN4vllm18Fp8KVCacheDataTypeE1EhLi32ELi128ELi256ELb0ELi5EEvPKT_PKT0_S8_ifPKiSA_SA_iPKfiiiPfSD_PS3_PT2_iSC_SC_
; %bb.0:
	s_load_dwordx2 s[12:13], s[0:1], 0x30
	s_mov_b32 s22, s3
	s_mov_b64 s[6:7], 0
	s_waitcnt lgkmcnt(0)
	s_cmp_lg_u64 s[12:13], 0
	s_cselect_b64 s[14:15], -1, 0
	s_and_b64 vcc, exec, s[14:15]
	s_cbranch_vccz .LBB1352_7
; %bb.1:
	s_add_i32 s8, s2, 1
	s_mov_b32 s9, 0
	s_lshl_b64 s[10:11], s[8:9], 2
	s_add_u32 s10, s12, s10
	s_mov_b32 s3, s9
	s_addc_u32 s11, s13, s11
	s_lshl_b64 s[8:9], s[2:3], 2
	s_add_u32 s8, s12, s8
	s_addc_u32 s9, s13, s9
	s_load_dword s5, s[10:11], 0x0
	s_load_dword s16, s[8:9], 0x0
	s_waitcnt lgkmcnt(0)
	s_sub_i32 s5, s5, s16
	s_cmp_eq_u32 s5, 1
	s_cselect_b64 s[8:9], -1, 0
	s_andn2_b64 vcc, exec, s[6:7]
	s_cbranch_vccnz .LBB1352_3
.LBB1352_2:
	s_mov_b32 s3, 0
	s_mov_b64 s[8:9], -1
.LBB1352_3:
	s_andn2_b64 vcc, exec, s[8:9]
	s_cbranch_vccnz .LBB1352_18
; %bb.4:
	s_load_dwordx2 s[6:7], s[0:1], 0x28
	s_lshl_b64 s[16:17], s[2:3], 2
	s_waitcnt lgkmcnt(0)
	s_add_u32 s6, s6, s16
	s_addc_u32 s7, s7, s17
	s_load_dword s5, s[6:7], 0x0
	s_lshl_b32 s18, s22, 8
	s_waitcnt lgkmcnt(0)
	s_cmp_ge_i32 s18, s5
	s_cbranch_scc1 .LBB1352_18
; %bb.5:
	s_load_dwordx2 s[6:7], s[0:1], 0x20
	s_load_dword s8, s[0:1], 0x38
	s_add_i32 s9, s5, 31
	s_ashr_i32 s10, s9, 31
	v_and_b32_e32 v1, 0xcf, v0
	s_lshr_b32 s10, s10, 27
	v_add_u32_e32 v1, s18, v1
	s_add_i32 s9, s9, s10
	v_ashrrev_i32_e32 v2, 31, v1
	s_ashr_i32 s19, s9, 5
	v_lshrrev_b32_e32 v10, 27, v2
	s_add_i32 s19, s19, -1
	s_waitcnt lgkmcnt(0)
	s_mul_i32 s8, s2, s8
	s_mov_b32 s9, 0
	v_add_u32_e32 v2, v1, v10
	s_lshl_b64 s[8:9], s[8:9], 2
	v_ashrrev_i32_e32 v2, 5, v2
	v_mov_b32_e32 v11, s19
	v_cmp_gt_i32_e32 vcc, s5, v1
	s_add_u32 s6, s6, s8
	s_addc_u32 s7, s7, s9
	v_cndmask_b32_e32 v2, v11, v2, vcc
	v_ashrrev_i32_e32 v3, 31, v2
	v_lshl_add_u64 v[4:5], v[2:3], 2, s[6:7]
	v_or_b32_e32 v2, 16, v1
	v_add_u32_e32 v3, v2, v10
	v_ashrrev_i32_e32 v3, 5, v3
	v_cmp_gt_i32_e32 vcc, s5, v2
	s_load_dwordx4 s[8:11], s[0:1], 0x8
	s_nop 0
	v_cndmask_b32_e32 v2, v11, v3, vcc
	v_ashrrev_i32_e32 v3, 31, v2
	v_lshl_add_u64 v[6:7], v[2:3], 2, s[6:7]
	v_or_b32_e32 v2, 32, v1
	v_add_u32_e32 v3, v2, v10
	v_ashrrev_i32_e32 v3, 5, v3
	v_cmp_gt_i32_e32 vcc, s5, v2
	v_or_b32_e32 v1, 48, v1
	s_nop 0
	v_cndmask_b32_e32 v2, v11, v3, vcc
	v_ashrrev_i32_e32 v3, 31, v2
	v_lshl_add_u64 v[8:9], v[2:3], 2, s[6:7]
	v_add_u32_e32 v2, v1, v10
	v_ashrrev_i32_e32 v2, 5, v2
	v_cmp_gt_i32_e32 vcc, s5, v1
	s_nop 1
	v_cndmask_b32_e32 v2, v11, v2, vcc
	v_ashrrev_i32_e32 v3, 31, v2
	v_lshl_add_u64 v[10:11], v[2:3], 2, s[6:7]
	global_load_dword v2, v[4:5], off
	global_load_dword v14, v[6:7], off
	;; [unrolled: 1-line block ×4, first 2 shown]
	s_andn2_b64 vcc, exec, s[14:15]
	s_cbranch_vccnz .LBB1352_8
; %bb.6:
	s_add_u32 s12, s12, s16
	s_addc_u32 s13, s13, s17
	s_load_dword s14, s[12:13], 0x0
	s_branch .LBB1352_9
.LBB1352_7:
	s_mov_b64 s[8:9], 0
	s_branch .LBB1352_2
.LBB1352_8:
	s_mov_b32 s14, s2
.LBB1352_9:
	s_load_dwordx4 s[44:47], s[0:1], 0x48
	v_lshrrev_b32_e32 v57, 6, v0
	v_bfe_u32 v58, v0, 4, 2
	v_and_b32_e32 v56, 15, v0
	v_lshl_or_b32 v3, v57, 2, v58
	v_lshlrev_b32_e32 v1, 3, v56
	v_and_b32_e32 v59, 63, v0
	s_mul_i32 s48, s4, 5
	v_cmp_gt_u32_e32 vcc, 5, v3
	v_lshlrev_b32_e32 v54, 1, v1
	v_lshlrev_b32_e32 v1, 4, v0
	s_and_saveexec_b64 s[12:13], vcc
	s_cbranch_execz .LBB1352_11
; %bb.10:
	s_load_dwordx2 s[16:17], s[0:1], 0x0
	s_waitcnt lgkmcnt(0)
	s_ashr_i32 s15, s44, 31
	s_mul_hi_u32 s20, s14, s44
	s_mul_i32 s15, s14, s15
	s_add_i32 s15, s20, s15
	s_mul_i32 s14, s14, s44
	s_lshl_b64 s[14:15], s[14:15], 1
	s_add_u32 s14, s16, s14
	v_add_lshl_u32 v4, v3, s48, 7
	s_addc_u32 s15, s17, s15
	v_ashrrev_i32_e32 v5, 31, v4
	v_lshl_add_u64 v[4:5], v[4:5], 1, s[14:15]
	v_mov_b32_e32 v55, 0
	v_lshl_add_u64 v[4:5], v[4:5], 0, v[54:55]
	global_load_dwordx4 v[4:7], v[4:5], off
	v_lshlrev_b32_e32 v9, 8, v0
	v_lshlrev_b32_e32 v8, 8, v56
	v_and_b32_e32 v9, 0x600, v9
	s_movk_i32 s14, 0x800
	v_and_or_b32 v8, v8, s14, v9
	v_lshlrev_b32_e32 v3, 5, v3
	v_and_b32_e32 v9, 16, v1
	v_or3_b32 v3, v8, v3, v9
	s_waitcnt vmcnt(0)
	ds_write_b128 v3, v[4:7]
.LBB1352_11:
	s_or_b64 exec, exec, s[12:13]
	s_waitcnt lgkmcnt(0)
	s_mul_i32 s12, s4, s46
	s_add_u32 s8, s8, s12
	s_addc_u32 s9, s9, 0
	v_mov_b32_e32 v51, 0
	v_mov_b64_e32 v[6:7], s[8:9]
	v_and_b32_e32 v15, 48, v0
	s_waitcnt vmcnt(3)
	v_mad_i64_i32 v[2:3], s[8:9], v2, s45, v[6:7]
	v_lshlrev_b32_e32 v10, 4, v56
	v_mov_b32_e32 v11, v51
	v_lshlrev_b32_e32 v50, 5, v15
	v_lshl_add_u64 v[2:3], v[2:3], 0, v[10:11]
	v_lshl_add_u64 v[8:9], v[2:3], 0, v[50:51]
	s_load_dword s23, s[0:1], 0x98
	s_load_dwordx4 s[40:43], s[0:1], 0x80
	s_waitcnt lgkmcnt(0)
	s_barrier
	global_load_dwordx4 v[2:5], v[8:9], off
	global_load_dwordx4 v[42:45], v[8:9], off offset:2048
	v_mul_lo_u16_e32 v16, 52, v56
	v_mov_b32_e32 v17, 5
	v_mul_lo_u16_sdwa v8, v16, v17 dst_sel:DWORD dst_unused:UNUSED_PAD src0_sel:BYTE_1 src1_sel:DWORD
	v_sub_u16_e32 v8, v56, v8
	s_ashr_i32 s8, s18, 31
	v_lshlrev_b32_sdwa v8, v17, v8 dst_sel:DWORD dst_unused:UNUSED_PAD src0_sel:DWORD src1_sel:BYTE_0
	v_or_b32_e32 v18, 0x100, v10
	v_mov_b32_e32 v19, v51
	s_lshr_b32 s13, s8, 27
	v_lshl_add_u32 v32, v58, 9, v8
	s_waitcnt vmcnt(4)
	v_mad_i64_i32 v[8:9], s[8:9], v14, s45, v[6:7]
	s_waitcnt vmcnt(3)
	v_mad_i64_i32 v[20:21], s[8:9], v12, s45, v[6:7]
	;; [unrolled: 2-line block ×3, first 2 shown]
	v_lshl_add_u64 v[6:7], v[8:9], 0, v[18:19]
	v_lshl_add_u64 v[22:23], v[6:7], 0, v[50:51]
	global_load_dwordx4 v[46:49], v[22:23], off
	v_or_b32_e32 v25, s18, v15
	v_or_b32_e32 v30, 64, v25
	v_add_u32_e32 v33, s13, v25
	v_mov_b32_e32 v24, s19
	v_or_b32_e32 v31, 0x80, v25
	v_add_u32_e32 v39, s13, v30
	v_lshl_add_u64 v[10:11], v[20:21], 0, v[10:11]
	v_ashrrev_i32_e32 v20, 5, v33
	v_cmp_gt_i32_e32 vcc, s5, v25
	v_add_u32_e32 v40, s13, v31
	v_ashrrev_i32_e32 v21, 5, v39
	v_cndmask_b32_e32 v52, v24, v20, vcc
	v_cmp_gt_i32_e32 vcc, s5, v30
	ds_read_b128 v[34:37], v32
	ds_read_b128 v[26:29], v32 offset:16
	ds_read_b128 v[14:17], v32 offset:2048
	;; [unrolled: 1-line block ×3, first 2 shown]
	v_ashrrev_i32_e32 v32, 5, v40
	v_cndmask_b32_e32 v60, v24, v21, vcc
	v_cmp_gt_i32_e32 vcc, s5, v31
	v_or_b32_e32 v38, 0xc0, v25
	v_add_u32_e32 v41, s13, v38
	v_cndmask_b32_e32 v62, v24, v32, vcc
	global_load_dwordx4 v[30:33], v[22:23], off offset:2048
	v_lshl_add_u64 v[12:13], v[12:13], 0, v[18:19]
	v_ashrrev_i32_e32 v39, 5, v41
	v_lshl_add_u64 v[10:11], v[10:11], 0, v[50:51]
	v_lshl_add_u64 v[18:19], v[12:13], 0, v[50:51]
	v_cmp_gt_i32_e32 vcc, s5, v38
	v_ashrrev_i32_e32 v63, 31, v62
	v_lshl_add_u64 v[66:67], v[62:63], 2, s[6:7]
	v_cndmask_b32_e32 v64, v24, v39, vcc
	global_load_dwordx4 v[22:25], v[10:11], off
	s_nop 0
	global_load_dwordx4 v[10:13], v[10:11], off offset:2048
	s_nop 0
	global_load_dwordx4 v[38:41], v[18:19], off
	s_nop 0
	global_load_dwordx4 v[18:21], v[18:19], off offset:2048
	s_mov_b32 s33, 0x7060302
	v_ashrrev_i32_e32 v53, 31, v52
	v_ashrrev_i32_e32 v61, 31, v60
	;; [unrolled: 1-line block ×3, first 2 shown]
	v_lshl_add_u64 v[52:53], v[52:53], 2, s[6:7]
	v_lshl_add_u64 v[60:61], v[60:61], 2, s[6:7]
	;; [unrolled: 1-line block ×3, first 2 shown]
	s_add_u32 s6, s10, s12
	s_addc_u32 s7, s11, 0
	v_and_b32_e32 v50, 16, v0
	v_lshl_or_b32 v55, v57, 4, v56
	s_load_dword s4, s[0:1], 0x1c
	s_waitcnt vmcnt(7)
	v_cvt_pk_f32_fp8_e32 v[62:63], v2
	v_cvt_pk_f32_fp8_sdwa v[68:69], v2 src0_sel:WORD_1
	v_cvt_pk_f32_fp8_e32 v[70:71], v3
	v_cvt_pk_f32_fp8_sdwa v[2:3], v3 src0_sel:WORD_1
	v_perm_b32 v72, v63, v62, s33
	v_perm_b32 v73, v69, v68, s33
	global_load_dword v63, v[52:53], off
	global_load_dword v62, v[60:61], off
	s_nop 0
	global_load_dword v60, v[66:67], off
	global_load_dword v61, v[64:65], off
	v_cvt_pk_f32_fp8_e32 v[52:53], v4
	v_perm_b32 v68, v71, v70, s33
	v_perm_b32 v69, v3, v2, s33
	v_cvt_pk_f32_fp8_sdwa v[2:3], v4 src0_sel:WORD_1
	s_waitcnt lgkmcnt(0)
	v_mfma_f32_16x16x16_bf16 v[64:67], v[72:73], v[34:35], 0
	v_cvt_pk_f32_fp8_e32 v[70:71], v5
	v_perm_b32 v52, v53, v52, s33
	v_perm_b32 v53, v3, v2, s33
	v_cvt_pk_f32_fp8_sdwa v[2:3], v5 src0_sel:WORD_1
	v_mfma_f32_16x16x16_bf16 v[64:67], v[68:69], v[36:37], v[64:67]
	v_perm_b32 v68, v71, v70, s33
	s_waitcnt vmcnt(10)
	v_cvt_pk_f32_fp8_e32 v[70:71], v42
	v_cvt_pk_f32_fp8_sdwa v[72:73], v42 src0_sel:WORD_1
	v_perm_b32 v69, v3, v2, s33
	v_mfma_f32_16x16x16_bf16 v[2:5], v[52:53], v[26:27], v[64:67]
	v_perm_b32 v52, v71, v70, s33
	v_perm_b32 v53, v73, v72, s33
	s_waitcnt vmcnt(6)
	v_cvt_pk_f32_fp8_e32 v[72:73], v11
	v_cvt_pk_f32_fp8_e32 v[64:65], v43
	v_cvt_pk_f32_fp8_sdwa v[42:43], v43 src0_sel:WORD_1
	v_mfma_f32_16x16x16_bf16 v[2:5], v[68:69], v[28:29], v[2:5]
	v_cvt_pk_f32_fp8_sdwa v[66:67], v46 src0_sel:WORD_1
	v_perm_b32 v64, v65, v64, s33
	v_perm_b32 v65, v43, v42, s33
	v_mfma_f32_16x16x16_bf16 v[2:5], v[52:53], v[14:15], v[2:5]
	v_cvt_pk_f32_fp8_e32 v[42:43], v44
	v_cvt_pk_f32_fp8_sdwa v[52:53], v44 src0_sel:WORD_1
	v_cvt_pk_f32_fp8_sdwa v[68:69], v30 src0_sel:WORD_1
	v_mfma_f32_16x16x16_bf16 v[2:5], v[64:65], v[16:17], v[2:5]
	v_cvt_pk_f32_fp8_e32 v[64:65], v45
	v_perm_b32 v42, v43, v42, s33
	v_perm_b32 v43, v53, v52, s33
	v_cvt_pk_f32_fp8_sdwa v[44:45], v45 src0_sel:WORD_1
	v_perm_b32 v52, v65, v64, s33
	v_cvt_pk_f32_fp8_e32 v[64:65], v46
	v_mfma_f32_16x16x16_bf16 v[2:5], v[42:43], v[6:7], v[2:5]
	v_perm_b32 v53, v45, v44, s33
	v_perm_b32 v64, v65, v64, s33
	;; [unrolled: 1-line block ×3, first 2 shown]
	v_cvt_pk_f32_fp8_e32 v[66:67], v47
	v_cvt_pk_f32_fp8_sdwa v[46:47], v47 src0_sel:WORD_1
	v_mfma_f32_16x16x16_bf16 v[42:45], v[52:53], v[8:9], v[2:5]
	v_lshl_add_u64 v[52:53], s[6:7], 0, v[50:51]
	v_perm_b32 v66, v67, v66, s33
	v_perm_b32 v67, v47, v46, s33
	v_mfma_f32_16x16x16_bf16 v[2:5], v[64:65], v[34:35], 0
	v_cvt_pk_f32_fp8_e32 v[46:47], v48
	v_cvt_pk_f32_fp8_sdwa v[64:65], v48 src0_sel:WORD_1
	v_lshlrev_b32_e32 v50, 5, v55
	v_mfma_f32_16x16x16_bf16 v[2:5], v[66:67], v[36:37], v[2:5]
	v_cvt_pk_f32_fp8_e32 v[66:67], v49
	v_perm_b32 v46, v47, v46, s33
	v_perm_b32 v47, v65, v64, s33
	v_cvt_pk_f32_fp8_sdwa v[48:49], v49 src0_sel:WORD_1
	v_perm_b32 v64, v67, v66, s33
	v_cvt_pk_f32_fp8_e32 v[66:67], v30
	v_mfma_f32_16x16x16_bf16 v[2:5], v[46:47], v[26:27], v[2:5]
	v_perm_b32 v65, v49, v48, s33
	v_perm_b32 v46, v67, v66, s33
	;; [unrolled: 1-line block ×3, first 2 shown]
	v_cvt_pk_f32_fp8_e32 v[48:49], v31
	v_cvt_pk_f32_fp8_sdwa v[30:31], v31 src0_sel:WORD_1
	v_mfma_f32_16x16x16_bf16 v[2:5], v[64:65], v[28:29], v[2:5]
	v_cvt_pk_f32_fp8_sdwa v[64:65], v22 src0_sel:WORD_1
	v_perm_b32 v48, v49, v48, s33
	v_perm_b32 v49, v31, v30, s33
	v_mfma_f32_16x16x16_bf16 v[2:5], v[46:47], v[14:15], v[2:5]
	v_cvt_pk_f32_fp8_e32 v[30:31], v32
	v_cvt_pk_f32_fp8_sdwa v[46:47], v32 src0_sel:WORD_1
	v_cvt_pk_f32_fp8_sdwa v[78:79], v13 src0_sel:WORD_1
	v_mfma_f32_16x16x16_bf16 v[2:5], v[48:49], v[16:17], v[2:5]
	v_cvt_pk_f32_fp8_e32 v[48:49], v33
	v_perm_b32 v30, v31, v30, s33
	v_perm_b32 v31, v47, v46, s33
	v_cvt_pk_f32_fp8_sdwa v[32:33], v33 src0_sel:WORD_1
	v_perm_b32 v46, v49, v48, s33
	v_cvt_pk_f32_fp8_e32 v[48:49], v22
	v_mfma_f32_16x16x16_bf16 v[2:5], v[30:31], v[6:7], v[2:5]
	v_perm_b32 v47, v33, v32, s33
	v_perm_b32 v30, v49, v48, s33
	;; [unrolled: 1-line block ×3, first 2 shown]
	v_cvt_pk_f32_fp8_e32 v[32:33], v23
	v_cvt_pk_f32_fp8_sdwa v[22:23], v23 src0_sel:WORD_1
	v_mfma_f32_16x16x16_bf16 v[46:49], v[46:47], v[8:9], v[2:5]
	v_lshl_add_u64 v[64:65], v[52:53], 0, v[50:51]
	v_perm_b32 v32, v33, v32, s33
	v_perm_b32 v33, v23, v22, s33
	v_mfma_f32_16x16x16_bf16 v[2:5], v[30:31], v[34:35], 0
	v_cvt_pk_f32_fp8_e32 v[22:23], v24
	v_cvt_pk_f32_fp8_sdwa v[30:31], v24 src0_sel:WORD_1
	s_waitcnt vmcnt(3)
	v_mad_i64_i32 v[66:67], s[6:7], v63, s45, v[64:65]
	v_perm_b32 v22, v23, v22, s33
	v_perm_b32 v23, v31, v30, s33
	v_cvt_pk_f32_fp8_e32 v[30:31], v25
	v_cvt_pk_f32_fp8_sdwa v[24:25], v25 src0_sel:WORD_1
	v_mfma_f32_16x16x16_bf16 v[2:5], v[32:33], v[36:37], v[2:5]
	s_waitcnt vmcnt(2)
	v_mad_i64_i32 v[68:69], s[6:7], v62, s45, v[64:65]
	v_perm_b32 v70, v31, v30, s33
	v_perm_b32 v71, v25, v24, s33
	v_mfma_f32_16x16x16_bf16 v[2:5], v[22:23], v[26:27], v[2:5]
	global_load_dwordx4 v[30:33], v[66:67], off
	global_load_dwordx4 v[22:25], v[68:69], off
	v_cvt_pk_f32_fp8_e32 v[66:67], v10
	s_waitcnt vmcnt(3)
	v_mad_i64_i32 v[68:69], s[6:7], v60, s45, v[64:65]
	v_mfma_f32_16x16x16_bf16 v[2:5], v[70:71], v[28:29], v[2:5]
	v_cvt_pk_f32_fp8_sdwa v[70:71], v10 src0_sel:WORD_1
	v_cvt_pk_f32_fp8_sdwa v[10:11], v11 src0_sel:WORD_1
	v_perm_b32 v66, v67, v66, s33
	s_waitcnt vmcnt(2)
	v_mad_i64_i32 v[74:75], s[6:7], v61, s45, v[64:65]
	v_perm_b32 v67, v71, v70, s33
	v_perm_b32 v70, v73, v72, s33
	;; [unrolled: 1-line block ×3, first 2 shown]
	v_cvt_pk_f32_fp8_e32 v[10:11], v12
	v_cvt_pk_f32_fp8_sdwa v[72:73], v12 src0_sel:WORD_1
	v_mfma_f32_16x16x16_bf16 v[64:67], v[66:67], v[14:15], v[2:5]
	v_or_b32_e32 v50, 0x800, v50
	v_perm_b32 v76, v11, v10, s33
	v_perm_b32 v77, v73, v72, s33
	v_cvt_pk_f32_fp8_e32 v[72:73], v13
	v_mfma_f32_16x16x16_bf16 v[64:67], v[70:71], v[16:17], v[64:67]
	v_lshl_add_u64 v[50:51], v[52:53], 0, v[50:51]
	v_perm_b32 v53, v79, v78, s33
	v_perm_b32 v52, v73, v72, s33
	global_load_dwordx4 v[10:13], v[68:69], off
	global_load_dwordx4 v[2:5], v[74:75], off
	v_mfma_f32_16x16x16_bf16 v[64:67], v[76:77], v[6:7], v[64:67]
	v_cvt_pk_f32_fp8_e32 v[68:69], v38
	v_cvt_pk_f32_fp8_sdwa v[70:71], v38 src0_sel:WORD_1
	v_cvt_pk_f32_fp8_e32 v[72:73], v40
	v_mfma_f32_16x16x16_bf16 v[64:67], v[52:53], v[8:9], v[64:67]
	v_cvt_pk_f32_fp8_e32 v[52:53], v39
	v_perm_b32 v68, v69, v68, s33
	v_perm_b32 v69, v71, v70, s33
	v_cvt_pk_f32_fp8_sdwa v[38:39], v39 src0_sel:WORD_1
	v_perm_b32 v52, v53, v52, s33
	v_cvt_pk_f32_fp8_sdwa v[74:75], v40 src0_sel:WORD_1
	v_mfma_f32_16x16x16_bf16 v[68:71], v[68:69], v[34:35], 0
	v_perm_b32 v53, v39, v38, s33
	v_perm_b32 v38, v73, v72, s33
	;; [unrolled: 1-line block ×3, first 2 shown]
	v_cvt_pk_f32_fp8_e32 v[72:73], v41
	v_cvt_pk_f32_fp8_sdwa v[40:41], v41 src0_sel:WORD_1
	v_mfma_f32_16x16x16_bf16 v[34:37], v[52:53], v[36:37], v[68:71]
	s_load_dword s6, s[40:41], 0x0
	v_perm_b32 v52, v73, v72, s33
	v_perm_b32 v53, v41, v40, s33
	v_mfma_f32_16x16x16_bf16 v[68:71], v[38:39], v[26:27], v[34:37]
	v_cvt_pk_f32_fp8_sdwa v[40:41], v18 src0_sel:WORD_1
	v_mov_b32_e32 v74, s4
	s_waitcnt lgkmcnt(0)
	v_mul_f32_e32 v72, s6, v74
	v_cvt_pk_f32_fp8_e32 v[34:35], v18
	v_pk_mul_f32 v[36:37], v[72:73], v[42:43] op_sel_hi:[0,1]
	v_cvt_pk_f32_fp8_e32 v[42:43], v19
	v_cvt_pk_f32_fp8_sdwa v[18:19], v19 src0_sel:WORD_1
	v_perm_b32 v34, v35, v34, s33
	v_perm_b32 v35, v41, v40, s33
	v_mfma_f32_16x16x16_bf16 v[26:29], v[52:53], v[28:29], v[68:71]
	v_perm_b32 v40, v43, v42, s33
	v_perm_b32 v41, v19, v18, s33
	v_cvt_pk_f32_fp8_e32 v[18:19], v20
	v_cvt_pk_f32_fp8_sdwa v[42:43], v20 src0_sel:WORD_1
	v_mfma_f32_16x16x16_bf16 v[26:29], v[34:35], v[14:15], v[26:29]
	v_cvt_pk_f32_fp8_e32 v[34:35], v21
	v_perm_b32 v18, v19, v18, s33
	v_perm_b32 v19, v43, v42, s33
	v_cvt_pk_f32_fp8_sdwa v[20:21], v21 src0_sel:WORD_1
	v_mfma_f32_16x16x16_bf16 v[14:17], v[40:41], v[16:17], v[26:29]
	s_mov_b32 s40, 0xff7fffff
	v_pk_mul_f32 v[38:39], v[72:73], v[44:45] op_sel_hi:[0,1]
	v_pk_mul_f32 v[52:53], v[72:73], v[46:47] op_sel_hi:[0,1]
	v_perm_b32 v26, v35, v34, s33
	v_perm_b32 v27, v21, v20, s33
	v_mfma_f32_16x16x16_bf16 v[14:17], v[18:19], v[6:7], v[14:17]
	v_pk_mul_f32 v[48:49], v[72:73], v[48:49] op_sel_hi:[0,1]
	v_pk_mul_f32 v[40:41], v[72:73], v[64:65] op_sel_hi:[0,1]
	;; [unrolled: 1-line block ×3, first 2 shown]
	v_mfma_f32_16x16x16_bf16 v[6:9], v[26:27], v[8:9], v[14:17]
	v_mad_i64_i32 v[68:69], s[6:7], v63, s45, v[50:51]
	s_nop 5
	v_pk_mul_f32 v[42:43], v[72:73], v[6:7] op_sel_hi:[0,1]
	v_and_b32_e32 v6, 0xc0, v0
	v_add_u32_e32 v6, s18, v6
	v_lshl_or_b32 v6, v58, 2, v6
	v_pk_mul_f32 v[34:35], v[72:73], v[8:9] op_sel_hi:[0,1]
	v_or_b32_e32 v9, 1, v6
	v_mov_b32_e32 v7, 0xff7fffff
	v_cmp_gt_i32_e64 s[24:25], s5, v6
	v_cmp_gt_i32_e64 s[26:27], s5, v9
	v_or_b32_e32 v14, 3, v6
	v_cndmask_b32_e64 v8, v7, v36, s[24:25]
	v_cndmask_b32_e64 v9, v7, v37, s[26:27]
	v_max3_f32 v8, v8, s40, v9
	v_or_b32_e32 v9, 2, v6
	v_cmp_gt_i32_e64 s[28:29], s5, v9
	v_cmp_gt_i32_e64 s[30:31], s5, v14
	s_nop 0
	v_cndmask_b32_e64 v9, v7, v38, s[28:29]
	v_cndmask_b32_e64 v14, v7, v39, s[30:31]
	v_max3_f32 v8, v8, v9, v14
	v_or_b32_e32 v9, 16, v6
	v_or_b32_e32 v14, 17, v6
	v_cmp_gt_i32_e64 s[34:35], s5, v9
	v_cmp_gt_i32_e64 s[36:37], s5, v14
	s_nop 0
	v_cndmask_b32_e64 v9, v7, v52, s[34:35]
	v_cndmask_b32_e64 v14, v7, v53, s[36:37]
	v_max3_f32 v8, v8, v9, v14
	v_or_b32_e32 v9, 18, v6
	;; [unrolled: 8-line block ×6, first 2 shown]
	v_or_b32_e32 v6, 51, v6
	v_cmp_gt_i32_e32 vcc, s5, v9
	v_cmp_gt_i32_e64 s[4:5], s5, v6
	s_nop 0
	v_cndmask_b32_e32 v9, v7, v34, vcc
	v_cndmask_b32_e64 v6, v7, v35, s[4:5]
	v_max3_f32 v8, v8, v9, v6
	v_mbcnt_lo_u32_b32 v6, -1, 0
	v_mbcnt_hi_u32_b32 v9, -1, v6
	v_and_b32_e32 v6, 64, v9
	v_add_u32_e32 v14, 64, v6
	v_xor_b32_e32 v6, 32, v9
	v_cmp_lt_i32_e64 s[38:39], v6, v14
	s_nop 1
	v_cndmask_b32_e64 v6, v9, v6, s[38:39]
	v_lshlrev_b32_e32 v63, 2, v6
	ds_bpermute_b32 v15, v63, v8
	v_mad_i64_i32 v[6:7], s[38:39], v62, s45, v[50:51]
	global_load_dwordx4 v[26:29], v[68:69], off
	global_load_dwordx4 v[18:21], v[6:7], off
	s_waitcnt lgkmcnt(0)
	v_max_f32_e32 v6, v15, v15
	v_max_f32_e32 v15, v8, v6
	v_xor_b32_e32 v6, 16, v9
	v_cmp_lt_i32_e64 s[38:39], v6, v14
	s_nop 1
	v_cndmask_b32_e64 v6, v9, v6, s[38:39]
	v_lshlrev_b32_e32 v62, 2, v6
	ds_bpermute_b32 v14, v62, v15
	v_mad_i64_i32 v[6:7], s[38:39], v60, s45, v[50:51]
	v_mad_i64_i32 v[8:9], s[38:39], v61, s45, v[50:51]
	s_waitcnt lgkmcnt(0)
	v_max_f32_e32 v14, v14, v14
	v_max_f32_e32 v50, v15, v14
	v_sub_f32_e32 v14, v36, v50
	v_mul_f32_e32 v14, 0x3fb8aa3b, v14
	v_exp_f32_e32 v36, v14
	v_sub_f32_e32 v14, v37, v50
	v_mul_f32_e32 v14, 0x3fb8aa3b, v14
	v_exp_f32_e32 v37, v14
	global_load_dwordx4 v[14:17], v[6:7], off
	s_nop 0
	global_load_dwordx4 v[6:9], v[8:9], off
	v_sub_f32_e32 v38, v38, v50
	v_mul_f32_e32 v38, 0x3fb8aa3b, v38
	v_sub_f32_e32 v39, v39, v50
	v_exp_f32_e32 v38, v38
	v_mul_f32_e32 v39, 0x3fb8aa3b, v39
	v_exp_f32_e32 v39, v39
	v_cndmask_b32_e64 v36, 0, v36, s[24:25]
	v_add_f32_e32 v46, 0, v36
	v_cndmask_b32_e64 v37, 0, v37, s[26:27]
	v_add_f32_e32 v47, v46, v37
	;; [unrolled: 2-line block ×3, first 2 shown]
	v_cndmask_b32_e64 v47, 0, v39, s[30:31]
	v_sub_f32_e32 v39, v52, v50
	v_mul_f32_e32 v39, 0x3fb8aa3b, v39
	v_sub_f32_e32 v51, v53, v50
	v_exp_f32_e32 v39, v39
	v_mul_f32_e32 v51, 0x3fb8aa3b, v51
	v_sub_f32_e32 v48, v48, v50
	v_exp_f32_e32 v51, v51
	v_mul_f32_e32 v48, 0x3fb8aa3b, v48
	v_sub_f32_e32 v49, v49, v50
	v_exp_f32_e32 v48, v48
	v_mul_f32_e32 v49, 0x3fb8aa3b, v49
	v_sub_f32_e32 v40, v40, v50
	v_exp_f32_e32 v49, v49
	v_mul_f32_e32 v40, 0x3fb8aa3b, v40
	v_sub_f32_e32 v41, v41, v50
	v_add_f32_e32 v52, v38, v47
	v_cndmask_b32_e64 v38, 0, v39, s[34:35]
	v_exp_f32_e32 v40, v40
	v_mul_f32_e32 v41, 0x3fb8aa3b, v41
	v_sub_f32_e32 v44, v44, v50
	v_add_f32_e32 v52, v52, v38
	v_cndmask_b32_e64 v39, 0, v51, s[36:37]
	v_exp_f32_e32 v41, v41
	;; [unrolled: 5-line block ×7, first 2 shown]
	v_mul_f32_e32 v35, 0x3fb8aa3b, v35
	v_add_f32_e32 v51, v51, v44
	v_cndmask_b32_e64 v45, 0, v45, s[12:13]
	v_exp_f32_e32 v35, v35
	v_add_f32_e32 v51, v51, v45
	v_cndmask_b32_e64 v42, 0, v42, s[6:7]
	v_add_f32_e32 v51, v51, v42
	v_cndmask_b32_e64 v43, 0, v43, s[8:9]
	v_add_f32_e32 v51, v51, v43
	v_cndmask_b32_e32 v34, 0, v34, vcc
	v_add_f32_e32 v51, v51, v34
	v_cndmask_b32_e64 v35, 0, v35, s[4:5]
	v_add_f32_e32 v51, v51, v35
	ds_bpermute_b32 v52, v63, v51
	v_cmp_gt_u32_e64 s[4:5], 16, v59
	s_waitcnt lgkmcnt(0)
	s_barrier
	v_add_f32_e32 v51, v51, v52
	ds_bpermute_b32 v52, v62, v51
	s_and_saveexec_b64 s[6:7], s[4:5]
	s_cbranch_execz .LBB1352_13
; %bb.12:
	s_waitcnt lgkmcnt(0)
	v_add_f32_e32 v51, v51, v52
	v_lshlrev_b32_e32 v52, 2, v55
	ds_write2st64_b32 v52, v50, v51 offset1:1
.LBB1352_13:
	s_or_b64 exec, exec, s[6:7]
	v_lshlrev_b32_e32 v51, 2, v56
	s_load_dword s8, s[0:1], 0x94
	s_waitcnt lgkmcnt(0)
	s_barrier
	ds_read2_b32 v[52:53], v51 offset1:16
	ds_read2_b32 v[60:61], v51 offset0:32 offset1:48
	ds_read2_b32 v[62:63], v51 offset0:64 offset1:80
	s_movk_i32 s10, 0x7fff
	s_mul_i32 s9, s23, 5
	s_waitcnt lgkmcnt(2)
	v_max3_f32 v50, v52, s40, v53
	s_waitcnt lgkmcnt(1)
	v_max3_f32 v50, v50, v60, v61
	v_sub_f32_e32 v52, v52, v50
	v_mul_f32_e32 v52, 0x3fb8aa3b, v52
	v_exp_f32_e32 v55, v52
	v_sub_f32_e32 v52, v53, v50
	v_mul_f32_e32 v52, 0x3fb8aa3b, v52
	v_exp_f32_e32 v59, v52
	;; [unrolled: 3-line block ×3, first 2 shown]
	ds_read2_b32 v[52:53], v51 offset0:96 offset1:112
	v_sub_f32_e32 v51, v61, v50
	v_mul_f32_e32 v51, 0x3fb8aa3b, v51
	v_exp_f32_e32 v61, v51
	s_waitcnt lgkmcnt(1)
	v_fma_f32 v51, v55, v62, 0
	v_fmac_f32_e32 v51, v59, v63
	s_waitcnt lgkmcnt(0)
	v_fmac_f32_e32 v51, v60, v52
	v_fmac_f32_e32 v51, v61, v53
	v_add_f32_e32 v52, 0x358637bd, v51
	v_div_scale_f32 v53, s[6:7], v52, v52, 1.0
	v_rcp_f32_e32 v62, v53
	s_barrier
	v_fma_f32 v63, -v53, v62, 1.0
	v_fmac_f32_e32 v62, v63, v62
	v_div_scale_f32 v63, vcc, 1.0, v52, 1.0
	v_mul_f32_e32 v64, v63, v62
	v_fma_f32 v65, -v53, v64, v63
	v_fmac_f32_e32 v64, v65, v62
	v_fma_f32 v53, -v53, v64, v63
	v_div_fmas_f32 v53, v53, v62, v64
	v_cmp_eq_u32_e32 vcc, 1, v57
	v_div_fixup_f32 v52, v53, v52, 1.0
	s_nop 0
	v_cndmask_b32_e32 v53, v55, v59, vcc
	v_cmp_eq_u32_e32 vcc, 2, v57
	s_nop 1
	v_cndmask_b32_e32 v53, v53, v60, vcc
	v_cmp_eq_u32_e32 vcc, 3, v57
	s_nop 1
	v_cndmask_b32_e32 v53, v53, v61, vcc
	v_mul_f32_e32 v52, v53, v52
	v_pk_mul_f32 v[36:37], v[52:53], v[36:37] op_sel_hi:[0,1]
	v_pk_mul_f32 v[46:47], v[52:53], v[46:47] op_sel_hi:[0,1]
	v_bfe_u32 v53, v37, 16, 1
	v_bfe_u32 v55, v36, 16, 1
	v_add3_u32 v36, v36, v55, s10
	v_add3_u32 v37, v37, v53, s10
	v_perm_b32 v60, v37, v36, s33
	v_bfe_u32 v36, v47, 16, 1
	v_bfe_u32 v37, v46, 16, 1
	v_add3_u32 v37, v46, v37, s10
	v_add3_u32 v36, v47, v36, s10
	v_perm_b32 v61, v36, v37, s33
	v_lshlrev_b32_e32 v37, 3, v58
	v_lshlrev_b32_e32 v36, 5, v56
	;; [unrolled: 1-line block ×3, first 2 shown]
	v_pk_mul_f32 v[38:39], v[52:53], v[38:39] op_sel_hi:[0,1]
	v_or3_b32 v55, v46, v36, v37
	v_pk_mul_f32 v[46:47], v[52:53], v[48:49] op_sel_hi:[0,1]
	v_bfe_u32 v37, v39, 16, 1
	v_bfe_u32 v48, v38, 16, 1
	v_add3_u32 v38, v38, v48, s10
	v_add3_u32 v37, v39, v37, s10
	v_perm_b32 v38, v37, v38, s33
	v_bfe_u32 v37, v47, 16, 1
	v_bfe_u32 v39, v46, 16, 1
	v_add3_u32 v39, v46, v39, s10
	v_add3_u32 v37, v47, v37, s10
	v_perm_b32 v39, v37, v39, s33
	v_pk_mul_f32 v[40:41], v[52:53], v[40:41] op_sel_hi:[0,1]
	ds_write2st64_b64 v55, v[60:61], v[38:39] offset1:1
	v_pk_mul_f32 v[38:39], v[52:53], v[44:45] op_sel_hi:[0,1]
	v_bfe_u32 v37, v41, 16, 1
	v_bfe_u32 v44, v40, 16, 1
	v_add3_u32 v40, v40, v44, s10
	v_add3_u32 v37, v41, v37, s10
	v_perm_b32 v40, v37, v40, s33
	v_bfe_u32 v37, v39, 16, 1
	v_bfe_u32 v41, v38, 16, 1
	v_add3_u32 v38, v38, v41, s10
	v_add3_u32 v37, v39, v37, s10
	v_perm_b32 v41, v37, v38, s33
	v_pk_mul_f32 v[38:39], v[52:53], v[42:43] op_sel_hi:[0,1]
	v_bfe_u32 v37, v39, 16, 1
	v_bfe_u32 v42, v38, 16, 1
	v_pk_mul_f32 v[34:35], v[52:53], v[34:35] op_sel_hi:[0,1]
	v_add3_u32 v38, v38, v42, s10
	v_add3_u32 v37, v39, v37, s10
	v_perm_b32 v38, v37, v38, s33
	v_bfe_u32 v37, v35, 16, 1
	v_bfe_u32 v39, v34, 16, 1
	v_add3_u32 v34, v34, v39, s10
	v_add3_u32 v35, v35, v37, s10
	v_perm_b32 v39, v35, v34, s33
	v_cmp_gt_u32_e32 vcc, 5, v0
	ds_write2st64_b64 v55, v[40:41], v[38:39] offset0:2 offset1:3
	s_and_saveexec_b64 s[6:7], vcc
	s_cbranch_execz .LBB1352_15
; %bb.14:
	s_mov_b32 s49, 0
	v_mov_b32_e32 v57, 0
	v_lshl_add_u64 v[34:35], s[48:49], 0, v[56:57]
	v_mov_b32_e32 v37, s9
	v_mad_u64_u32 v[34:35], s[16:17], s2, v37, v[34:35]
	s_mul_i32 s3, s3, s9
	v_mov_b32_e32 v38, s22
	v_mov_b32_e32 v39, v57
	s_load_dwordx4 s[12:15], s[0:1], 0x58
	v_add_u32_e32 v37, s3, v35
	v_mad_u64_u32 v[34:35], s[16:17], v34, s8, v[38:39]
	v_mov_b32_e32 v38, v35
	v_mad_u64_u32 v[38:39], s[16:17], v37, s8, v[38:39]
	v_mov_b32_e32 v35, v38
	v_lshlrev_b64 v[34:35], 2, v[34:35]
	s_waitcnt lgkmcnt(0)
	v_lshl_add_u64 v[38:39], s[14:15], 0, v[34:35]
	v_lshl_add_u64 v[34:35], s[12:13], 0, v[34:35]
	global_store_dword v[38:39], v50, off
	global_store_dword v[34:35], v51, off
.LBB1352_15:
	s_or_b64 exec, exec, s[6:7]
	v_lshl_or_b32 v50, v58, 9, v36
	s_waitcnt vmcnt(7)
	v_cvt_pk_f32_fp8_e32 v[34:35], v30
	v_cvt_pk_f32_fp8_sdwa v[36:37], v30 src0_sel:WORD_1
	s_mov_b32 s7, 0x7060302
	s_waitcnt lgkmcnt(0)
	s_barrier
	v_cvt_pk_f32_fp8_e32 v[38:39], v31
	v_perm_b32 v30, v35, v34, s7
	v_cvt_pk_f32_fp8_sdwa v[40:41], v31 src0_sel:WORD_1
	v_perm_b32 v31, v37, v36, s7
	ds_read_b128 v[34:37], v50
	v_perm_b32 v46, v39, v38, s7
	v_perm_b32 v47, v41, v40, s7
	ds_read_b128 v[38:41], v50 offset:16
	v_cvt_pk_f32_fp8_e32 v[48:49], v32
	v_cvt_pk_f32_fp8_sdwa v[52:53], v32 src0_sel:WORD_1
	s_waitcnt lgkmcnt(1)
	v_mfma_f32_16x16x16_bf16 v[42:45], v[30:31], v[34:35], 0
	s_waitcnt vmcnt(6)
	v_cvt_pk_f32_fp8_e32 v[60:61], v24
	v_perm_b32 v30, v49, v48, s7
	v_perm_b32 v31, v53, v52, s7
	v_cvt_pk_f32_fp8_e32 v[48:49], v33
	v_mfma_f32_16x16x16_bf16 v[42:45], v[46:47], v[36:37], v[42:45]
	v_cvt_pk_f32_fp8_sdwa v[46:47], v33 src0_sel:WORD_1
	v_cvt_pk_f32_fp8_sdwa v[62:63], v24 src0_sel:WORD_1
	v_perm_b32 v48, v49, v48, s7
	s_waitcnt lgkmcnt(0)
	v_mfma_f32_16x16x16_bf16 v[30:33], v[30:31], v[38:39], v[42:45]
	v_perm_b32 v49, v47, v46, s7
	s_waitcnt vmcnt(5)
	v_cvt_pk_f32_fp8_e32 v[64:65], v12
	v_cvt_pk_f32_fp8_sdwa v[66:67], v12 src0_sel:WORD_1
	v_cvt_pk_f32_fp8_e32 v[42:43], v22
	v_mfma_f32_16x16x16_bf16 v[46:49], v[48:49], v[40:41], v[30:33]
	s_waitcnt vmcnt(4)
	v_cvt_pk_f32_fp8_sdwa v[68:69], v4 src0_sel:WORD_1
	s_load_dword s6, s[42:43], 0x0
	v_cvt_pk_f32_fp8_sdwa v[30:31], v22 src0_sel:WORD_1
	v_cvt_pk_f32_fp8_e32 v[32:33], v23
	v_perm_b32 v22, v43, v42, s7
	v_cvt_pk_f32_fp8_sdwa v[42:43], v23 src0_sel:WORD_1
	v_perm_b32 v23, v31, v30, s7
	v_perm_b32 v52, v33, v32, s7
	ds_read_b128 v[30:33], v50 offset:2048
	v_perm_b32 v53, v43, v42, s7
	ds_read_b128 v[42:45], v50 offset:2064
	s_waitcnt lgkmcnt(0)
	v_mfma_f32_16x16x16_bf16 v[46:49], v[22:23], v[30:31], v[46:49]
	v_perm_b32 v22, v61, v60, s7
	v_perm_b32 v23, v63, v62, s7
	v_cvt_pk_f32_fp8_e32 v[60:61], v25
	v_mfma_f32_16x16x16_bf16 v[46:49], v[52:53], v[32:33], v[46:49]
	v_cvt_pk_f32_fp8_sdwa v[52:53], v25 src0_sel:WORD_1
	s_waitcnt vmcnt(3)
	v_cvt_pk_f32_fp8_sdwa v[70:71], v28 src0_sel:WORD_1
	v_perm_b32 v60, v61, v60, s7
	v_mfma_f32_16x16x16_bf16 v[22:25], v[22:23], v[42:43], v[46:49]
	v_perm_b32 v61, v53, v52, s7
	s_mov_b32 s3, 0
	v_cmp_gt_u32_e32 vcc, 64, v0
	v_cvt_pk_f32_fp8_e32 v[46:47], v10
	v_mfma_f32_16x16x16_bf16 v[60:63], v[60:61], v[44:45], v[22:25]
	s_nop 2
	v_cvt_pk_f32_fp8_sdwa v[22:23], v10 src0_sel:WORD_1
	v_cvt_pk_f32_fp8_e32 v[24:25], v11
	v_perm_b32 v10, v47, v46, s7
	v_cvt_pk_f32_fp8_sdwa v[46:47], v11 src0_sel:WORD_1
	v_perm_b32 v11, v23, v22, s7
	v_perm_b32 v52, v25, v24, s7
	ds_read_b128 v[22:25], v50 offset:4096
	v_perm_b32 v53, v47, v46, s7
	ds_read_b128 v[46:49], v50 offset:4112
	s_waitcnt lgkmcnt(1)
	v_mfma_f32_16x16x16_bf16 v[60:63], v[10:11], v[22:23], v[60:63]
	v_perm_b32 v10, v65, v64, s7
	v_perm_b32 v11, v67, v66, s7
	v_cvt_pk_f32_fp8_e32 v[64:65], v13
	v_mfma_f32_16x16x16_bf16 v[60:63], v[52:53], v[24:25], v[60:63]
	v_cvt_pk_f32_fp8_sdwa v[52:53], v13 src0_sel:WORD_1
	v_cvt_pk_f32_fp8_e32 v[66:67], v4
	v_perm_b32 v64, v65, v64, s7
	s_waitcnt lgkmcnt(0)
	v_mfma_f32_16x16x16_bf16 v[10:13], v[10:11], v[46:47], v[60:63]
	v_perm_b32 v65, v53, v52, s7
	v_cvt_pk_f32_fp8_e32 v[52:53], v2
	s_nop 0
	v_mfma_f32_16x16x16_bf16 v[60:63], v[64:65], v[48:49], v[10:13]
	s_nop 2
	v_cvt_pk_f32_fp8_sdwa v[10:11], v2 src0_sel:WORD_1
	v_cvt_pk_f32_fp8_e32 v[12:13], v3
	v_perm_b32 v2, v53, v52, s7
	v_cvt_pk_f32_fp8_sdwa v[52:53], v3 src0_sel:WORD_1
	v_perm_b32 v3, v11, v10, s7
	v_perm_b32 v64, v13, v12, s7
	ds_read_b128 v[10:13], v50 offset:6144
	v_perm_b32 v65, v53, v52, s7
	s_waitcnt lgkmcnt(0)
	v_mfma_f32_16x16x16_bf16 v[60:63], v[2:3], v[10:11], v[60:63]
	ds_read_b128 v[50:53], v50 offset:6160
	v_perm_b32 v2, v67, v66, s7
	v_perm_b32 v3, v69, v68, s7
	v_cvt_pk_f32_fp8_e32 v[66:67], v5
	v_mfma_f32_16x16x16_bf16 v[60:63], v[64:65], v[12:13], v[60:63]
	v_cvt_pk_f32_fp8_sdwa v[64:65], v5 src0_sel:WORD_1
	v_cvt_pk_f32_fp8_e32 v[68:69], v28
	v_perm_b32 v66, v67, v66, s7
	s_waitcnt lgkmcnt(0)
	v_mfma_f32_16x16x16_bf16 v[2:5], v[2:3], v[50:51], v[60:63]
	v_perm_b32 v67, v65, v64, s7
	s_barrier
	s_nop 0
	v_mfma_f32_16x16x16_bf16 v[60:63], v[66:67], v[52:53], v[2:5]
	s_nop 2
	v_cvt_pk_f32_fp8_e32 v[4:5], v26
	v_perm_b32 v4, v5, v4, s7
	s_nop 1
	v_pk_mul_f32 v[2:3], v[62:63], s[6:7] op_sel_hi:[1,0]
	v_cvt_pk_f32_fp8_sdwa v[62:63], v26 src0_sel:WORD_1
	v_pk_mul_f32 v[64:65], v[60:61], s[6:7] op_sel_hi:[1,0]
	v_cvt_pk_f32_fp8_e32 v[60:61], v27
	v_cvt_pk_f32_fp8_sdwa v[26:27], v27 src0_sel:WORD_1
	v_perm_b32 v5, v63, v62, s7
	v_bfe_u32 v57, v65, 16, 1
	v_perm_b32 v66, v61, v60, s7
	v_perm_b32 v67, v27, v26, s7
	v_mfma_f32_16x16x16_bf16 v[60:63], v[4:5], v[34:35], 0
	v_perm_b32 v4, v69, v68, s7
	v_perm_b32 v5, v71, v70, s7
	v_cvt_pk_f32_fp8_e32 v[34:35], v29
	v_cvt_pk_f32_fp8_sdwa v[68:69], v29 src0_sel:WORD_1
	v_mfma_f32_16x16x16_bf16 v[26:29], v[66:67], v[36:37], v[60:63]
	s_waitcnt vmcnt(2)
	v_cvt_pk_f32_fp8_sdwa v[36:37], v18 src0_sel:WORD_1
	v_perm_b32 v34, v35, v34, s7
	v_perm_b32 v35, v69, v68, s7
	v_mfma_f32_16x16x16_bf16 v[26:29], v[4:5], v[38:39], v[26:29]
	v_cvt_pk_f32_fp8_e32 v[4:5], v18
	v_cvt_pk_f32_fp8_sdwa v[38:39], v20 src0_sel:WORD_1
	v_bfe_u32 v59, v64, 16, 1
	v_mfma_f32_16x16x16_bf16 v[26:29], v[34:35], v[40:41], v[26:29]
	v_cvt_pk_f32_fp8_e32 v[34:35], v19
	v_perm_b32 v4, v5, v4, s7
	v_perm_b32 v5, v37, v36, s7
	v_cvt_pk_f32_fp8_sdwa v[18:19], v19 src0_sel:WORD_1
	v_perm_b32 v34, v35, v34, s7
	v_cvt_pk_f32_fp8_e32 v[36:37], v20
	v_mfma_f32_16x16x16_bf16 v[26:29], v[4:5], v[30:31], v[26:29]
	v_perm_b32 v35, v19, v18, s7
	v_perm_b32 v4, v37, v36, s7
	;; [unrolled: 1-line block ×3, first 2 shown]
	v_cvt_pk_f32_fp8_e32 v[30:31], v21
	v_cvt_pk_f32_fp8_sdwa v[36:37], v21 src0_sel:WORD_1
	v_mfma_f32_16x16x16_bf16 v[18:21], v[34:35], v[32:33], v[26:29]
	v_add3_u32 v32, v64, v59, s10
	v_add3_u32 v33, v65, v57, s10
	s_nop 0
	v_perm_b32 v26, v31, v30, s7
	v_perm_b32 v27, v37, v36, s7
	v_mfma_f32_16x16x16_bf16 v[18:21], v[4:5], v[42:43], v[18:21]
	s_waitcnt vmcnt(1)
	v_cvt_pk_f32_fp8_e32 v[4:5], v14
	v_cvt_pk_f32_fp8_sdwa v[28:29], v14 src0_sel:WORD_1
	v_cvt_pk_f32_fp8_sdwa v[30:31], v16 src0_sel:WORD_1
	v_mfma_f32_16x16x16_bf16 v[18:21], v[26:27], v[44:45], v[18:21]
	v_cvt_pk_f32_fp8_e32 v[26:27], v15
	v_perm_b32 v4, v5, v4, s7
	v_perm_b32 v5, v29, v28, s7
	v_cvt_pk_f32_fp8_sdwa v[14:15], v15 src0_sel:WORD_1
	v_perm_b32 v26, v27, v26, s7
	v_cvt_pk_f32_fp8_e32 v[28:29], v16
	v_mfma_f32_16x16x16_bf16 v[18:21], v[4:5], v[22:23], v[18:21]
	v_perm_b32 v27, v15, v14, s7
	v_perm_b32 v4, v29, v28, s7
	;; [unrolled: 1-line block ×3, first 2 shown]
	v_cvt_pk_f32_fp8_e32 v[22:23], v17
	v_cvt_pk_f32_fp8_sdwa v[28:29], v17 src0_sel:WORD_1
	v_mfma_f32_16x16x16_bf16 v[14:17], v[26:27], v[24:25], v[18:21]
	s_waitcnt vmcnt(0)
	v_cvt_pk_f32_fp8_sdwa v[24:25], v8 src0_sel:WORD_1
	s_nop 0
	v_perm_b32 v20, v23, v22, s7
	v_perm_b32 v21, v29, v28, s7
	v_mfma_f32_16x16x16_bf16 v[14:17], v[4:5], v[46:47], v[14:17]
	v_cvt_pk_f32_fp8_e32 v[4:5], v6
	v_cvt_pk_f32_fp8_sdwa v[22:23], v6 src0_sel:WORD_1
	v_bfe_u32 v19, v3, 16, 1
	v_mfma_f32_16x16x16_bf16 v[14:17], v[20:21], v[48:49], v[14:17]
	v_cvt_pk_f32_fp8_e32 v[20:21], v7
	v_perm_b32 v4, v5, v4, s7
	v_perm_b32 v5, v23, v22, s7
	v_cvt_pk_f32_fp8_sdwa v[6:7], v7 src0_sel:WORD_1
	v_perm_b32 v20, v21, v20, s7
	v_cvt_pk_f32_fp8_e32 v[22:23], v8
	v_add3_u32 v3, v3, v19, s10
	v_perm_b32 v21, v7, v6, s7
	v_mfma_f32_16x16x16_bf16 v[4:7], v[4:5], v[10:11], v[14:17]
	v_perm_b32 v10, v23, v22, s7
	v_perm_b32 v11, v25, v24, s7
	;; [unrolled: 1-line block ×3, first 2 shown]
	v_cvt_pk_f32_fp8_e32 v[14:15], v9
	v_cvt_pk_f32_fp8_sdwa v[8:9], v9 src0_sel:WORD_1
	v_mfma_f32_16x16x16_bf16 v[4:7], v[20:21], v[12:13], v[4:7]
	v_bfe_u32 v16, v2, 16, 1
	v_perm_b32 v12, v15, v14, s7
	v_perm_b32 v13, v9, v8, s7
	v_mfma_f32_16x16x16_bf16 v[4:7], v[10:11], v[50:51], v[4:7]
	v_add3_u32 v2, v2, v16, s10
	v_perm_b32 v19, v3, v2, s7
	v_mfma_f32_16x16x16_bf16 v[2:5], v[12:13], v[52:53], v[4:7]
	s_nop 6
	v_pk_mul_f32 v[2:3], v[2:3], s[6:7] op_sel_hi:[1,0]
	v_pk_mul_f32 v[4:5], v[4:5], s[6:7] op_sel_hi:[1,0]
	v_bfe_u32 v6, v3, 16, 1
	v_bfe_u32 v7, v2, 16, 1
	v_add3_u32 v2, v2, v7, s10
	v_add3_u32 v3, v3, v6, s10
	v_perm_b32 v2, v3, v2, s7
	v_bfe_u32 v3, v5, 16, 1
	v_bfe_u32 v6, v4, 16, 1
	v_add3_u32 v4, v4, v6, s10
	v_add3_u32 v3, v5, v3, s10
	v_perm_b32 v3, v3, v4, s7
	ds_write2st64_b64 v55, v[18:19], v[2:3] offset1:1
	s_waitcnt lgkmcnt(0)
	s_barrier
	s_and_saveexec_b64 s[6:7], vcc
	s_cbranch_execz .LBB1352_18
; %bb.16:
	s_load_dwordx2 s[6:7], s[0:1], 0x68
	s_lshl_b32 s0, s8, 7
	s_mul_i32 s1, s9, s2
	v_lshlrev_b32_e32 v3, 6, v56
	s_mul_hi_u32 s9, s1, s0
	s_mul_i32 s8, s1, s0
	v_lshl_or_b32 v0, v0, 10, v3
	s_lshl_b64 s[8:9], s[8:9], 1
	v_lshlrev_b32_e32 v2, 5, v58
	v_and_b32_e32 v1, 16, v1
	v_and_b32_e32 v0, 0x1a00, v0
	s_waitcnt lgkmcnt(0)
	s_add_u32 s1, s6, s8
	v_or3_b32 v2, v0, v2, v1
	s_addc_u32 s6, s7, s9
	s_lshl_b32 s2, s22, 7
	s_lshl_b64 s[2:3], s[2:3], 1
	ds_read_b128 v[4:7], v2
	s_add_u32 s2, s1, s2
	s_addc_u32 s3, s6, s3
	v_mov_b32_e32 v55, 0
	v_add_u32_e32 v3, s48, v58
	v_lshl_add_u64 v[0:1], s[2:3], 0, v[54:55]
	v_mad_u64_u32 v[8:9], s[2:3], v3, s0, 0
	v_lshl_add_u64 v[8:9], v[8:9], 1, v[0:1]
	s_waitcnt lgkmcnt(0)
	global_store_dwordx4 v[8:9], v[4:7], off
	s_and_b64 exec, exec, s[4:5]
	s_cbranch_execz .LBB1352_18
; %bb.17:
	ds_read_b128 v[2:5], v2 offset:128
	v_add3_u32 v6, s48, v58, 4
	v_mad_u64_u32 v[6:7], s[0:1], v6, s0, 0
	v_lshl_add_u64 v[0:1], v[6:7], 1, v[0:1]
	s_waitcnt lgkmcnt(0)
	global_store_dwordx4 v[0:1], v[2:5], off
.LBB1352_18:
	s_endpgm
	.section	.rodata,"a",@progbits
	.p2align	6, 0x0
	.amdhsa_kernel _Z39paged_attention_ll4mi_QKV_mfma16_kernelI14__hip_bfloat16hLN4vllm18Fp8KVCacheDataTypeE1EhLi32ELi128ELi256ELb0ELi5EEvPKT_PKT0_S8_ifPKiSA_SA_iPKfiiiPfSD_PS3_PT2_iSC_SC_
		.amdhsa_group_segment_fixed_size 8192
		.amdhsa_private_segment_fixed_size 0
		.amdhsa_kernarg_size 400
		.amdhsa_user_sgpr_count 2
		.amdhsa_user_sgpr_dispatch_ptr 0
		.amdhsa_user_sgpr_queue_ptr 0
		.amdhsa_user_sgpr_kernarg_segment_ptr 1
		.amdhsa_user_sgpr_dispatch_id 0
		.amdhsa_user_sgpr_kernarg_preload_length 0
		.amdhsa_user_sgpr_kernarg_preload_offset 0
		.amdhsa_user_sgpr_private_segment_size 0
		.amdhsa_uses_dynamic_stack 0
		.amdhsa_enable_private_segment 0
		.amdhsa_system_sgpr_workgroup_id_x 1
		.amdhsa_system_sgpr_workgroup_id_y 1
		.amdhsa_system_sgpr_workgroup_id_z 1
		.amdhsa_system_sgpr_workgroup_info 0
		.amdhsa_system_vgpr_workitem_id 0
		.amdhsa_next_free_vgpr 80
		.amdhsa_next_free_sgpr 50
		.amdhsa_accum_offset 80
		.amdhsa_reserve_vcc 1
		.amdhsa_float_round_mode_32 0
		.amdhsa_float_round_mode_16_64 0
		.amdhsa_float_denorm_mode_32 3
		.amdhsa_float_denorm_mode_16_64 3
		.amdhsa_dx10_clamp 1
		.amdhsa_ieee_mode 1
		.amdhsa_fp16_overflow 0
		.amdhsa_tg_split 0
		.amdhsa_exception_fp_ieee_invalid_op 0
		.amdhsa_exception_fp_denorm_src 0
		.amdhsa_exception_fp_ieee_div_zero 0
		.amdhsa_exception_fp_ieee_overflow 0
		.amdhsa_exception_fp_ieee_underflow 0
		.amdhsa_exception_fp_ieee_inexact 0
		.amdhsa_exception_int_div_zero 0
	.end_amdhsa_kernel
	.section	.text._Z39paged_attention_ll4mi_QKV_mfma16_kernelI14__hip_bfloat16hLN4vllm18Fp8KVCacheDataTypeE1EhLi32ELi128ELi256ELb0ELi5EEvPKT_PKT0_S8_ifPKiSA_SA_iPKfiiiPfSD_PS3_PT2_iSC_SC_,"axG",@progbits,_Z39paged_attention_ll4mi_QKV_mfma16_kernelI14__hip_bfloat16hLN4vllm18Fp8KVCacheDataTypeE1EhLi32ELi128ELi256ELb0ELi5EEvPKT_PKT0_S8_ifPKiSA_SA_iPKfiiiPfSD_PS3_PT2_iSC_SC_,comdat
.Lfunc_end1352:
	.size	_Z39paged_attention_ll4mi_QKV_mfma16_kernelI14__hip_bfloat16hLN4vllm18Fp8KVCacheDataTypeE1EhLi32ELi128ELi256ELb0ELi5EEvPKT_PKT0_S8_ifPKiSA_SA_iPKfiiiPfSD_PS3_PT2_iSC_SC_, .Lfunc_end1352-_Z39paged_attention_ll4mi_QKV_mfma16_kernelI14__hip_bfloat16hLN4vllm18Fp8KVCacheDataTypeE1EhLi32ELi128ELi256ELb0ELi5EEvPKT_PKT0_S8_ifPKiSA_SA_iPKfiiiPfSD_PS3_PT2_iSC_SC_
                                        ; -- End function
	.section	.AMDGPU.csdata,"",@progbits
; Kernel info:
; codeLenInByte = 6376
; NumSgprs: 56
; NumVgprs: 80
; NumAgprs: 0
; TotalNumVgprs: 80
; ScratchSize: 0
; MemoryBound: 0
; FloatMode: 240
; IeeeMode: 1
; LDSByteSize: 8192 bytes/workgroup (compile time only)
; SGPRBlocks: 6
; VGPRBlocks: 9
; NumSGPRsForWavesPerEU: 56
; NumVGPRsForWavesPerEU: 80
; AccumOffset: 80
; Occupancy: 6
; WaveLimiterHint : 1
; COMPUTE_PGM_RSRC2:SCRATCH_EN: 0
; COMPUTE_PGM_RSRC2:USER_SGPR: 2
; COMPUTE_PGM_RSRC2:TRAP_HANDLER: 0
; COMPUTE_PGM_RSRC2:TGID_X_EN: 1
; COMPUTE_PGM_RSRC2:TGID_Y_EN: 1
; COMPUTE_PGM_RSRC2:TGID_Z_EN: 1
; COMPUTE_PGM_RSRC2:TIDIG_COMP_CNT: 0
; COMPUTE_PGM_RSRC3_GFX90A:ACCUM_OFFSET: 19
; COMPUTE_PGM_RSRC3_GFX90A:TG_SPLIT: 0
	.section	.text._Z39paged_attention_ll4mi_QKV_mfma16_kernelI14__hip_bfloat16hLN4vllm18Fp8KVCacheDataTypeE1EhLi32ELi128ELi256ELb0ELi6EEvPKT_PKT0_S8_ifPKiSA_SA_iPKfiiiPfSD_PS3_PT2_iSC_SC_,"axG",@progbits,_Z39paged_attention_ll4mi_QKV_mfma16_kernelI14__hip_bfloat16hLN4vllm18Fp8KVCacheDataTypeE1EhLi32ELi128ELi256ELb0ELi6EEvPKT_PKT0_S8_ifPKiSA_SA_iPKfiiiPfSD_PS3_PT2_iSC_SC_,comdat
	.protected	_Z39paged_attention_ll4mi_QKV_mfma16_kernelI14__hip_bfloat16hLN4vllm18Fp8KVCacheDataTypeE1EhLi32ELi128ELi256ELb0ELi6EEvPKT_PKT0_S8_ifPKiSA_SA_iPKfiiiPfSD_PS3_PT2_iSC_SC_ ; -- Begin function _Z39paged_attention_ll4mi_QKV_mfma16_kernelI14__hip_bfloat16hLN4vllm18Fp8KVCacheDataTypeE1EhLi32ELi128ELi256ELb0ELi6EEvPKT_PKT0_S8_ifPKiSA_SA_iPKfiiiPfSD_PS3_PT2_iSC_SC_
	.globl	_Z39paged_attention_ll4mi_QKV_mfma16_kernelI14__hip_bfloat16hLN4vllm18Fp8KVCacheDataTypeE1EhLi32ELi128ELi256ELb0ELi6EEvPKT_PKT0_S8_ifPKiSA_SA_iPKfiiiPfSD_PS3_PT2_iSC_SC_
	.p2align	8
	.type	_Z39paged_attention_ll4mi_QKV_mfma16_kernelI14__hip_bfloat16hLN4vllm18Fp8KVCacheDataTypeE1EhLi32ELi128ELi256ELb0ELi6EEvPKT_PKT0_S8_ifPKiSA_SA_iPKfiiiPfSD_PS3_PT2_iSC_SC_,@function
_Z39paged_attention_ll4mi_QKV_mfma16_kernelI14__hip_bfloat16hLN4vllm18Fp8KVCacheDataTypeE1EhLi32ELi128ELi256ELb0ELi6EEvPKT_PKT0_S8_ifPKiSA_SA_iPKfiiiPfSD_PS3_PT2_iSC_SC_: ; @_Z39paged_attention_ll4mi_QKV_mfma16_kernelI14__hip_bfloat16hLN4vllm18Fp8KVCacheDataTypeE1EhLi32ELi128ELi256ELb0ELi6EEvPKT_PKT0_S8_ifPKiSA_SA_iPKfiiiPfSD_PS3_PT2_iSC_SC_
; %bb.0:
	s_load_dwordx2 s[12:13], s[0:1], 0x30
	s_mov_b32 s22, s3
	s_mov_b64 s[6:7], 0
	s_waitcnt lgkmcnt(0)
	s_cmp_lg_u64 s[12:13], 0
	s_cselect_b64 s[14:15], -1, 0
	s_and_b64 vcc, exec, s[14:15]
	s_cbranch_vccz .LBB1353_7
; %bb.1:
	s_add_i32 s8, s2, 1
	s_mov_b32 s9, 0
	s_lshl_b64 s[10:11], s[8:9], 2
	s_add_u32 s10, s12, s10
	s_mov_b32 s3, s9
	s_addc_u32 s11, s13, s11
	s_lshl_b64 s[8:9], s[2:3], 2
	s_add_u32 s8, s12, s8
	s_addc_u32 s9, s13, s9
	s_load_dword s5, s[10:11], 0x0
	s_load_dword s16, s[8:9], 0x0
	s_waitcnt lgkmcnt(0)
	s_sub_i32 s5, s5, s16
	s_cmp_eq_u32 s5, 1
	s_cselect_b64 s[8:9], -1, 0
	s_andn2_b64 vcc, exec, s[6:7]
	s_cbranch_vccnz .LBB1353_3
.LBB1353_2:
	s_mov_b32 s3, 0
	s_mov_b64 s[8:9], -1
.LBB1353_3:
	s_andn2_b64 vcc, exec, s[8:9]
	s_cbranch_vccnz .LBB1353_18
; %bb.4:
	s_load_dwordx2 s[6:7], s[0:1], 0x28
	s_lshl_b64 s[16:17], s[2:3], 2
	s_waitcnt lgkmcnt(0)
	s_add_u32 s6, s6, s16
	s_addc_u32 s7, s7, s17
	s_load_dword s5, s[6:7], 0x0
	s_lshl_b32 s18, s22, 8
	s_waitcnt lgkmcnt(0)
	s_cmp_ge_i32 s18, s5
	s_cbranch_scc1 .LBB1353_18
; %bb.5:
	s_load_dwordx2 s[6:7], s[0:1], 0x20
	s_load_dword s8, s[0:1], 0x38
	s_add_i32 s9, s5, 31
	s_ashr_i32 s10, s9, 31
	v_and_b32_e32 v1, 0xcf, v0
	s_lshr_b32 s10, s10, 27
	v_add_u32_e32 v1, s18, v1
	s_add_i32 s9, s9, s10
	v_ashrrev_i32_e32 v2, 31, v1
	s_ashr_i32 s19, s9, 5
	v_lshrrev_b32_e32 v10, 27, v2
	s_add_i32 s19, s19, -1
	s_waitcnt lgkmcnt(0)
	s_mul_i32 s8, s2, s8
	s_mov_b32 s9, 0
	v_add_u32_e32 v2, v1, v10
	s_lshl_b64 s[8:9], s[8:9], 2
	v_ashrrev_i32_e32 v2, 5, v2
	v_mov_b32_e32 v11, s19
	v_cmp_gt_i32_e32 vcc, s5, v1
	s_add_u32 s6, s6, s8
	s_addc_u32 s7, s7, s9
	v_cndmask_b32_e32 v2, v11, v2, vcc
	v_ashrrev_i32_e32 v3, 31, v2
	v_lshl_add_u64 v[4:5], v[2:3], 2, s[6:7]
	v_or_b32_e32 v2, 16, v1
	v_add_u32_e32 v3, v2, v10
	v_ashrrev_i32_e32 v3, 5, v3
	v_cmp_gt_i32_e32 vcc, s5, v2
	s_load_dwordx4 s[8:11], s[0:1], 0x8
	s_nop 0
	v_cndmask_b32_e32 v2, v11, v3, vcc
	v_ashrrev_i32_e32 v3, 31, v2
	v_lshl_add_u64 v[6:7], v[2:3], 2, s[6:7]
	v_or_b32_e32 v2, 32, v1
	v_add_u32_e32 v3, v2, v10
	v_ashrrev_i32_e32 v3, 5, v3
	v_cmp_gt_i32_e32 vcc, s5, v2
	v_or_b32_e32 v1, 48, v1
	s_nop 0
	v_cndmask_b32_e32 v2, v11, v3, vcc
	v_ashrrev_i32_e32 v3, 31, v2
	v_lshl_add_u64 v[8:9], v[2:3], 2, s[6:7]
	v_add_u32_e32 v2, v1, v10
	v_ashrrev_i32_e32 v2, 5, v2
	v_cmp_gt_i32_e32 vcc, s5, v1
	s_nop 1
	v_cndmask_b32_e32 v2, v11, v2, vcc
	v_ashrrev_i32_e32 v3, 31, v2
	v_lshl_add_u64 v[10:11], v[2:3], 2, s[6:7]
	global_load_dword v2, v[4:5], off
	global_load_dword v14, v[6:7], off
	;; [unrolled: 1-line block ×4, first 2 shown]
	s_andn2_b64 vcc, exec, s[14:15]
	s_cbranch_vccnz .LBB1353_8
; %bb.6:
	s_add_u32 s12, s12, s16
	s_addc_u32 s13, s13, s17
	s_load_dword s14, s[12:13], 0x0
	s_branch .LBB1353_9
.LBB1353_7:
	s_mov_b64 s[8:9], 0
	s_branch .LBB1353_2
.LBB1353_8:
	s_mov_b32 s14, s2
.LBB1353_9:
	s_load_dwordx4 s[44:47], s[0:1], 0x48
	v_lshrrev_b32_e32 v57, 6, v0
	v_bfe_u32 v58, v0, 4, 2
	v_and_b32_e32 v56, 15, v0
	v_lshl_or_b32 v3, v57, 2, v58
	v_lshlrev_b32_e32 v1, 3, v56
	v_and_b32_e32 v59, 63, v0
	s_mul_i32 s48, s4, 6
	v_cmp_gt_u32_e32 vcc, 6, v3
	v_lshlrev_b32_e32 v54, 1, v1
	v_lshlrev_b32_e32 v1, 4, v0
	s_and_saveexec_b64 s[12:13], vcc
	s_cbranch_execz .LBB1353_11
; %bb.10:
	s_load_dwordx2 s[16:17], s[0:1], 0x0
	s_waitcnt lgkmcnt(0)
	s_ashr_i32 s15, s44, 31
	s_mul_hi_u32 s20, s14, s44
	s_mul_i32 s15, s14, s15
	s_add_i32 s15, s20, s15
	s_mul_i32 s14, s14, s44
	s_lshl_b64 s[14:15], s[14:15], 1
	s_add_u32 s14, s16, s14
	v_add_lshl_u32 v4, v3, s48, 7
	s_addc_u32 s15, s17, s15
	v_ashrrev_i32_e32 v5, 31, v4
	v_lshl_add_u64 v[4:5], v[4:5], 1, s[14:15]
	v_mov_b32_e32 v55, 0
	v_lshl_add_u64 v[4:5], v[4:5], 0, v[54:55]
	global_load_dwordx4 v[4:7], v[4:5], off
	v_lshlrev_b32_e32 v9, 8, v0
	v_lshlrev_b32_e32 v8, 8, v56
	v_and_b32_e32 v9, 0x600, v9
	s_movk_i32 s14, 0x800
	v_and_or_b32 v8, v8, s14, v9
	v_lshlrev_b32_e32 v3, 5, v3
	v_and_b32_e32 v9, 16, v1
	v_or3_b32 v3, v8, v3, v9
	s_waitcnt vmcnt(0)
	ds_write_b128 v3, v[4:7]
.LBB1353_11:
	s_or_b64 exec, exec, s[12:13]
	s_waitcnt lgkmcnt(0)
	s_mul_i32 s12, s4, s46
	s_add_u32 s8, s8, s12
	s_addc_u32 s9, s9, 0
	v_mov_b32_e32 v51, 0
	v_mov_b64_e32 v[6:7], s[8:9]
	v_and_b32_e32 v15, 48, v0
	s_waitcnt vmcnt(3)
	v_mad_i64_i32 v[2:3], s[8:9], v2, s45, v[6:7]
	v_lshlrev_b32_e32 v10, 4, v56
	v_mov_b32_e32 v11, v51
	v_lshlrev_b32_e32 v50, 5, v15
	v_lshl_add_u64 v[2:3], v[2:3], 0, v[10:11]
	v_lshl_add_u64 v[8:9], v[2:3], 0, v[50:51]
	s_load_dword s23, s[0:1], 0x98
	s_load_dwordx4 s[40:43], s[0:1], 0x80
	s_waitcnt lgkmcnt(0)
	s_barrier
	global_load_dwordx4 v[2:5], v[8:9], off
	global_load_dwordx4 v[42:45], v[8:9], off offset:2048
	v_mul_lo_u16_e32 v16, 43, v56
	v_mov_b32_e32 v17, 6
	v_mul_lo_u16_sdwa v8, v16, v17 dst_sel:DWORD dst_unused:UNUSED_PAD src0_sel:BYTE_1 src1_sel:DWORD
	v_mov_b32_e32 v20, 5
	v_sub_u16_e32 v8, v56, v8
	s_ashr_i32 s8, s18, 31
	v_lshlrev_b32_sdwa v8, v20, v8 dst_sel:DWORD dst_unused:UNUSED_PAD src0_sel:DWORD src1_sel:BYTE_0
	v_or_b32_e32 v18, 0x100, v10
	v_mov_b32_e32 v19, v51
	s_lshr_b32 s13, s8, 27
	v_lshl_add_u32 v32, v58, 9, v8
	s_waitcnt vmcnt(4)
	v_mad_i64_i32 v[8:9], s[8:9], v14, s45, v[6:7]
	s_waitcnt vmcnt(3)
	v_mad_i64_i32 v[20:21], s[8:9], v12, s45, v[6:7]
	;; [unrolled: 2-line block ×3, first 2 shown]
	v_lshl_add_u64 v[6:7], v[8:9], 0, v[18:19]
	v_lshl_add_u64 v[22:23], v[6:7], 0, v[50:51]
	global_load_dwordx4 v[46:49], v[22:23], off
	v_or_b32_e32 v25, s18, v15
	v_or_b32_e32 v30, 64, v25
	v_add_u32_e32 v33, s13, v25
	v_mov_b32_e32 v24, s19
	v_or_b32_e32 v31, 0x80, v25
	v_add_u32_e32 v39, s13, v30
	v_lshl_add_u64 v[10:11], v[20:21], 0, v[10:11]
	v_ashrrev_i32_e32 v20, 5, v33
	v_cmp_gt_i32_e32 vcc, s5, v25
	v_add_u32_e32 v40, s13, v31
	v_ashrrev_i32_e32 v21, 5, v39
	v_cndmask_b32_e32 v52, v24, v20, vcc
	v_cmp_gt_i32_e32 vcc, s5, v30
	ds_read_b128 v[34:37], v32
	ds_read_b128 v[26:29], v32 offset:16
	ds_read_b128 v[14:17], v32 offset:2048
	;; [unrolled: 1-line block ×3, first 2 shown]
	v_ashrrev_i32_e32 v32, 5, v40
	v_cndmask_b32_e32 v60, v24, v21, vcc
	v_cmp_gt_i32_e32 vcc, s5, v31
	v_or_b32_e32 v38, 0xc0, v25
	v_add_u32_e32 v41, s13, v38
	v_cndmask_b32_e32 v62, v24, v32, vcc
	global_load_dwordx4 v[30:33], v[22:23], off offset:2048
	v_lshl_add_u64 v[12:13], v[12:13], 0, v[18:19]
	v_ashrrev_i32_e32 v39, 5, v41
	v_lshl_add_u64 v[10:11], v[10:11], 0, v[50:51]
	v_lshl_add_u64 v[18:19], v[12:13], 0, v[50:51]
	v_cmp_gt_i32_e32 vcc, s5, v38
	v_ashrrev_i32_e32 v63, 31, v62
	v_lshl_add_u64 v[66:67], v[62:63], 2, s[6:7]
	v_cndmask_b32_e32 v64, v24, v39, vcc
	global_load_dwordx4 v[22:25], v[10:11], off
	s_nop 0
	global_load_dwordx4 v[10:13], v[10:11], off offset:2048
	s_nop 0
	global_load_dwordx4 v[38:41], v[18:19], off
	s_nop 0
	global_load_dwordx4 v[18:21], v[18:19], off offset:2048
	s_mov_b32 s33, 0x7060302
	v_ashrrev_i32_e32 v53, 31, v52
	v_ashrrev_i32_e32 v61, 31, v60
	;; [unrolled: 1-line block ×3, first 2 shown]
	v_lshl_add_u64 v[52:53], v[52:53], 2, s[6:7]
	v_lshl_add_u64 v[60:61], v[60:61], 2, s[6:7]
	v_lshl_add_u64 v[64:65], v[64:65], 2, s[6:7]
	s_add_u32 s6, s10, s12
	s_addc_u32 s7, s11, 0
	v_and_b32_e32 v50, 16, v0
	v_lshl_or_b32 v55, v57, 4, v56
	s_load_dword s4, s[0:1], 0x1c
	s_waitcnt vmcnt(7)
	v_cvt_pk_f32_fp8_e32 v[62:63], v2
	v_cvt_pk_f32_fp8_sdwa v[68:69], v2 src0_sel:WORD_1
	v_cvt_pk_f32_fp8_e32 v[70:71], v3
	v_cvt_pk_f32_fp8_sdwa v[2:3], v3 src0_sel:WORD_1
	v_perm_b32 v72, v63, v62, s33
	v_perm_b32 v73, v69, v68, s33
	global_load_dword v63, v[52:53], off
	global_load_dword v62, v[60:61], off
	s_nop 0
	global_load_dword v60, v[66:67], off
	global_load_dword v61, v[64:65], off
	v_perm_b32 v52, v71, v70, s33
	v_perm_b32 v53, v3, v2, s33
	v_cvt_pk_f32_fp8_e32 v[2:3], v4
	v_cvt_pk_f32_fp8_sdwa v[68:69], v4 src0_sel:WORD_1
	s_waitcnt lgkmcnt(0)
	v_mfma_f32_16x16x16_bf16 v[64:67], v[72:73], v[34:35], 0
	v_cvt_pk_f32_fp8_e32 v[70:71], v5
	v_perm_b32 v2, v3, v2, s33
	v_perm_b32 v3, v69, v68, s33
	v_cvt_pk_f32_fp8_sdwa v[4:5], v5 src0_sel:WORD_1
	v_mfma_f32_16x16x16_bf16 v[64:67], v[52:53], v[36:37], v[64:67]
	v_perm_b32 v52, v71, v70, s33
	s_waitcnt vmcnt(10)
	v_cvt_pk_f32_fp8_e32 v[68:69], v42
	v_cvt_pk_f32_fp8_sdwa v[70:71], v42 src0_sel:WORD_1
	v_perm_b32 v53, v5, v4, s33
	v_mfma_f32_16x16x16_bf16 v[2:5], v[2:3], v[26:27], v[64:67]
	s_waitcnt vmcnt(6)
	v_cvt_pk_f32_fp8_e32 v[72:73], v11
	s_nop 0
	v_perm_b32 v64, v69, v68, s33
	v_perm_b32 v65, v71, v70, s33
	v_cvt_pk_f32_fp8_e32 v[66:67], v43
	v_cvt_pk_f32_fp8_sdwa v[42:43], v43 src0_sel:WORD_1
	v_mfma_f32_16x16x16_bf16 v[2:5], v[52:53], v[28:29], v[2:5]
	v_cvt_pk_f32_fp8_sdwa v[68:69], v30 src0_sel:WORD_1
	v_perm_b32 v52, v67, v66, s33
	v_perm_b32 v53, v43, v42, s33
	v_mfma_f32_16x16x16_bf16 v[2:5], v[64:65], v[14:15], v[2:5]
	v_cvt_pk_f32_fp8_e32 v[42:43], v44
	v_cvt_pk_f32_fp8_sdwa v[64:65], v44 src0_sel:WORD_1
	v_cvt_pk_f32_fp8_sdwa v[66:67], v46 src0_sel:WORD_1
	v_mfma_f32_16x16x16_bf16 v[2:5], v[52:53], v[16:17], v[2:5]
	v_cvt_pk_f32_fp8_e32 v[52:53], v45
	v_perm_b32 v42, v43, v42, s33
	v_perm_b32 v43, v65, v64, s33
	v_cvt_pk_f32_fp8_sdwa v[44:45], v45 src0_sel:WORD_1
	v_cvt_pk_f32_fp8_e32 v[64:65], v46
	v_perm_b32 v52, v53, v52, s33
	v_mfma_f32_16x16x16_bf16 v[2:5], v[42:43], v[6:7], v[2:5]
	v_perm_b32 v53, v45, v44, s33
	v_perm_b32 v64, v65, v64, s33
	;; [unrolled: 1-line block ×3, first 2 shown]
	v_cvt_pk_f32_fp8_e32 v[66:67], v47
	v_cvt_pk_f32_fp8_sdwa v[46:47], v47 src0_sel:WORD_1
	v_mfma_f32_16x16x16_bf16 v[42:45], v[52:53], v[8:9], v[2:5]
	v_lshl_add_u64 v[52:53], s[6:7], 0, v[50:51]
	v_perm_b32 v66, v67, v66, s33
	v_perm_b32 v67, v47, v46, s33
	v_mfma_f32_16x16x16_bf16 v[2:5], v[64:65], v[34:35], 0
	v_cvt_pk_f32_fp8_e32 v[46:47], v48
	v_cvt_pk_f32_fp8_sdwa v[64:65], v48 src0_sel:WORD_1
	v_lshlrev_b32_e32 v50, 5, v55
	v_mfma_f32_16x16x16_bf16 v[2:5], v[66:67], v[36:37], v[2:5]
	v_cvt_pk_f32_fp8_e32 v[66:67], v49
	v_perm_b32 v46, v47, v46, s33
	v_perm_b32 v47, v65, v64, s33
	v_cvt_pk_f32_fp8_sdwa v[48:49], v49 src0_sel:WORD_1
	v_perm_b32 v64, v67, v66, s33
	v_cvt_pk_f32_fp8_e32 v[66:67], v30
	v_mfma_f32_16x16x16_bf16 v[2:5], v[46:47], v[26:27], v[2:5]
	v_perm_b32 v65, v49, v48, s33
	v_perm_b32 v46, v67, v66, s33
	;; [unrolled: 1-line block ×3, first 2 shown]
	v_cvt_pk_f32_fp8_e32 v[48:49], v31
	v_cvt_pk_f32_fp8_sdwa v[30:31], v31 src0_sel:WORD_1
	v_mfma_f32_16x16x16_bf16 v[2:5], v[64:65], v[28:29], v[2:5]
	v_cvt_pk_f32_fp8_sdwa v[64:65], v22 src0_sel:WORD_1
	v_perm_b32 v48, v49, v48, s33
	v_perm_b32 v49, v31, v30, s33
	v_mfma_f32_16x16x16_bf16 v[2:5], v[46:47], v[14:15], v[2:5]
	v_cvt_pk_f32_fp8_e32 v[30:31], v32
	v_cvt_pk_f32_fp8_sdwa v[46:47], v32 src0_sel:WORD_1
	v_cvt_pk_f32_fp8_sdwa v[78:79], v13 src0_sel:WORD_1
	v_mfma_f32_16x16x16_bf16 v[2:5], v[48:49], v[16:17], v[2:5]
	v_cvt_pk_f32_fp8_e32 v[48:49], v33
	v_perm_b32 v30, v31, v30, s33
	v_perm_b32 v31, v47, v46, s33
	v_cvt_pk_f32_fp8_sdwa v[32:33], v33 src0_sel:WORD_1
	v_perm_b32 v46, v49, v48, s33
	v_cvt_pk_f32_fp8_e32 v[48:49], v22
	v_mfma_f32_16x16x16_bf16 v[2:5], v[30:31], v[6:7], v[2:5]
	v_perm_b32 v47, v33, v32, s33
	v_perm_b32 v30, v49, v48, s33
	;; [unrolled: 1-line block ×3, first 2 shown]
	v_cvt_pk_f32_fp8_e32 v[32:33], v23
	v_cvt_pk_f32_fp8_sdwa v[22:23], v23 src0_sel:WORD_1
	v_mfma_f32_16x16x16_bf16 v[46:49], v[46:47], v[8:9], v[2:5]
	v_lshl_add_u64 v[64:65], v[52:53], 0, v[50:51]
	v_perm_b32 v32, v33, v32, s33
	v_perm_b32 v33, v23, v22, s33
	v_mfma_f32_16x16x16_bf16 v[2:5], v[30:31], v[34:35], 0
	v_cvt_pk_f32_fp8_e32 v[22:23], v24
	v_cvt_pk_f32_fp8_sdwa v[30:31], v24 src0_sel:WORD_1
	s_waitcnt vmcnt(3)
	v_mad_i64_i32 v[66:67], s[6:7], v63, s45, v[64:65]
	v_perm_b32 v22, v23, v22, s33
	v_perm_b32 v23, v31, v30, s33
	v_cvt_pk_f32_fp8_e32 v[30:31], v25
	v_cvt_pk_f32_fp8_sdwa v[24:25], v25 src0_sel:WORD_1
	v_mfma_f32_16x16x16_bf16 v[2:5], v[32:33], v[36:37], v[2:5]
	s_waitcnt vmcnt(2)
	v_mad_i64_i32 v[68:69], s[6:7], v62, s45, v[64:65]
	v_perm_b32 v70, v31, v30, s33
	v_perm_b32 v71, v25, v24, s33
	v_mfma_f32_16x16x16_bf16 v[2:5], v[22:23], v[26:27], v[2:5]
	global_load_dwordx4 v[30:33], v[66:67], off
	global_load_dwordx4 v[22:25], v[68:69], off
	v_cvt_pk_f32_fp8_e32 v[66:67], v10
	s_waitcnt vmcnt(3)
	v_mad_i64_i32 v[68:69], s[6:7], v60, s45, v[64:65]
	v_mfma_f32_16x16x16_bf16 v[2:5], v[70:71], v[28:29], v[2:5]
	v_cvt_pk_f32_fp8_sdwa v[70:71], v10 src0_sel:WORD_1
	v_cvt_pk_f32_fp8_sdwa v[10:11], v11 src0_sel:WORD_1
	v_perm_b32 v66, v67, v66, s33
	s_waitcnt vmcnt(2)
	v_mad_i64_i32 v[74:75], s[6:7], v61, s45, v[64:65]
	v_perm_b32 v67, v71, v70, s33
	v_perm_b32 v70, v73, v72, s33
	;; [unrolled: 1-line block ×3, first 2 shown]
	v_cvt_pk_f32_fp8_e32 v[10:11], v12
	v_cvt_pk_f32_fp8_sdwa v[72:73], v12 src0_sel:WORD_1
	v_mfma_f32_16x16x16_bf16 v[64:67], v[66:67], v[14:15], v[2:5]
	v_or_b32_e32 v50, 0x800, v50
	v_perm_b32 v76, v11, v10, s33
	v_perm_b32 v77, v73, v72, s33
	v_cvt_pk_f32_fp8_e32 v[72:73], v13
	v_mfma_f32_16x16x16_bf16 v[64:67], v[70:71], v[16:17], v[64:67]
	v_lshl_add_u64 v[50:51], v[52:53], 0, v[50:51]
	v_perm_b32 v53, v79, v78, s33
	v_perm_b32 v52, v73, v72, s33
	global_load_dwordx4 v[10:13], v[68:69], off
	global_load_dwordx4 v[2:5], v[74:75], off
	v_mfma_f32_16x16x16_bf16 v[64:67], v[76:77], v[6:7], v[64:67]
	v_cvt_pk_f32_fp8_e32 v[68:69], v38
	v_cvt_pk_f32_fp8_sdwa v[70:71], v38 src0_sel:WORD_1
	v_cvt_pk_f32_fp8_e32 v[72:73], v40
	v_mfma_f32_16x16x16_bf16 v[64:67], v[52:53], v[8:9], v[64:67]
	v_cvt_pk_f32_fp8_e32 v[52:53], v39
	v_perm_b32 v68, v69, v68, s33
	v_perm_b32 v69, v71, v70, s33
	v_cvt_pk_f32_fp8_sdwa v[38:39], v39 src0_sel:WORD_1
	v_perm_b32 v52, v53, v52, s33
	v_cvt_pk_f32_fp8_sdwa v[74:75], v40 src0_sel:WORD_1
	v_mfma_f32_16x16x16_bf16 v[68:71], v[68:69], v[34:35], 0
	v_perm_b32 v53, v39, v38, s33
	v_perm_b32 v38, v73, v72, s33
	;; [unrolled: 1-line block ×3, first 2 shown]
	v_cvt_pk_f32_fp8_e32 v[72:73], v41
	v_cvt_pk_f32_fp8_sdwa v[40:41], v41 src0_sel:WORD_1
	v_mfma_f32_16x16x16_bf16 v[34:37], v[52:53], v[36:37], v[68:71]
	s_load_dword s6, s[40:41], 0x0
	v_perm_b32 v52, v73, v72, s33
	v_perm_b32 v53, v41, v40, s33
	v_mfma_f32_16x16x16_bf16 v[68:71], v[38:39], v[26:27], v[34:37]
	v_cvt_pk_f32_fp8_sdwa v[40:41], v18 src0_sel:WORD_1
	v_mov_b32_e32 v74, s4
	s_waitcnt lgkmcnt(0)
	v_mul_f32_e32 v72, s6, v74
	v_cvt_pk_f32_fp8_e32 v[34:35], v18
	v_pk_mul_f32 v[36:37], v[72:73], v[42:43] op_sel_hi:[0,1]
	v_cvt_pk_f32_fp8_e32 v[42:43], v19
	v_cvt_pk_f32_fp8_sdwa v[18:19], v19 src0_sel:WORD_1
	v_perm_b32 v34, v35, v34, s33
	v_perm_b32 v35, v41, v40, s33
	v_mfma_f32_16x16x16_bf16 v[26:29], v[52:53], v[28:29], v[68:71]
	v_perm_b32 v40, v43, v42, s33
	v_perm_b32 v41, v19, v18, s33
	v_cvt_pk_f32_fp8_e32 v[18:19], v20
	v_cvt_pk_f32_fp8_sdwa v[42:43], v20 src0_sel:WORD_1
	v_mfma_f32_16x16x16_bf16 v[26:29], v[34:35], v[14:15], v[26:29]
	v_cvt_pk_f32_fp8_e32 v[34:35], v21
	v_perm_b32 v18, v19, v18, s33
	v_perm_b32 v19, v43, v42, s33
	v_cvt_pk_f32_fp8_sdwa v[20:21], v21 src0_sel:WORD_1
	v_mfma_f32_16x16x16_bf16 v[14:17], v[40:41], v[16:17], v[26:29]
	s_mov_b32 s40, 0xff7fffff
	v_pk_mul_f32 v[38:39], v[72:73], v[44:45] op_sel_hi:[0,1]
	v_pk_mul_f32 v[52:53], v[72:73], v[46:47] op_sel_hi:[0,1]
	v_perm_b32 v26, v35, v34, s33
	v_perm_b32 v27, v21, v20, s33
	v_mfma_f32_16x16x16_bf16 v[14:17], v[18:19], v[6:7], v[14:17]
	v_pk_mul_f32 v[48:49], v[72:73], v[48:49] op_sel_hi:[0,1]
	v_pk_mul_f32 v[40:41], v[72:73], v[64:65] op_sel_hi:[0,1]
	;; [unrolled: 1-line block ×3, first 2 shown]
	v_mfma_f32_16x16x16_bf16 v[6:9], v[26:27], v[8:9], v[14:17]
	v_mad_i64_i32 v[68:69], s[6:7], v63, s45, v[50:51]
	s_nop 5
	v_pk_mul_f32 v[42:43], v[72:73], v[6:7] op_sel_hi:[0,1]
	v_and_b32_e32 v6, 0xc0, v0
	v_add_u32_e32 v6, s18, v6
	v_lshl_or_b32 v6, v58, 2, v6
	v_pk_mul_f32 v[34:35], v[72:73], v[8:9] op_sel_hi:[0,1]
	v_or_b32_e32 v9, 1, v6
	v_mov_b32_e32 v7, 0xff7fffff
	v_cmp_gt_i32_e64 s[24:25], s5, v6
	v_cmp_gt_i32_e64 s[26:27], s5, v9
	v_or_b32_e32 v14, 3, v6
	v_cndmask_b32_e64 v8, v7, v36, s[24:25]
	v_cndmask_b32_e64 v9, v7, v37, s[26:27]
	v_max3_f32 v8, v8, s40, v9
	v_or_b32_e32 v9, 2, v6
	v_cmp_gt_i32_e64 s[28:29], s5, v9
	v_cmp_gt_i32_e64 s[30:31], s5, v14
	s_nop 0
	v_cndmask_b32_e64 v9, v7, v38, s[28:29]
	v_cndmask_b32_e64 v14, v7, v39, s[30:31]
	v_max3_f32 v8, v8, v9, v14
	v_or_b32_e32 v9, 16, v6
	v_or_b32_e32 v14, 17, v6
	v_cmp_gt_i32_e64 s[34:35], s5, v9
	v_cmp_gt_i32_e64 s[36:37], s5, v14
	s_nop 0
	v_cndmask_b32_e64 v9, v7, v52, s[34:35]
	v_cndmask_b32_e64 v14, v7, v53, s[36:37]
	v_max3_f32 v8, v8, v9, v14
	v_or_b32_e32 v9, 18, v6
	;; [unrolled: 8-line block ×6, first 2 shown]
	v_or_b32_e32 v6, 51, v6
	v_cmp_gt_i32_e32 vcc, s5, v9
	v_cmp_gt_i32_e64 s[4:5], s5, v6
	s_nop 0
	v_cndmask_b32_e32 v9, v7, v34, vcc
	v_cndmask_b32_e64 v6, v7, v35, s[4:5]
	v_max3_f32 v8, v8, v9, v6
	v_mbcnt_lo_u32_b32 v6, -1, 0
	v_mbcnt_hi_u32_b32 v9, -1, v6
	v_and_b32_e32 v6, 64, v9
	v_add_u32_e32 v14, 64, v6
	v_xor_b32_e32 v6, 32, v9
	v_cmp_lt_i32_e64 s[38:39], v6, v14
	s_nop 1
	v_cndmask_b32_e64 v6, v9, v6, s[38:39]
	v_lshlrev_b32_e32 v63, 2, v6
	ds_bpermute_b32 v15, v63, v8
	v_mad_i64_i32 v[6:7], s[38:39], v62, s45, v[50:51]
	global_load_dwordx4 v[26:29], v[68:69], off
	global_load_dwordx4 v[18:21], v[6:7], off
	s_waitcnt lgkmcnt(0)
	v_max_f32_e32 v6, v15, v15
	v_max_f32_e32 v15, v8, v6
	v_xor_b32_e32 v6, 16, v9
	v_cmp_lt_i32_e64 s[38:39], v6, v14
	s_nop 1
	v_cndmask_b32_e64 v6, v9, v6, s[38:39]
	v_lshlrev_b32_e32 v62, 2, v6
	ds_bpermute_b32 v14, v62, v15
	v_mad_i64_i32 v[6:7], s[38:39], v60, s45, v[50:51]
	v_mad_i64_i32 v[8:9], s[38:39], v61, s45, v[50:51]
	s_waitcnt lgkmcnt(0)
	v_max_f32_e32 v14, v14, v14
	v_max_f32_e32 v50, v15, v14
	v_sub_f32_e32 v14, v36, v50
	v_mul_f32_e32 v14, 0x3fb8aa3b, v14
	v_exp_f32_e32 v36, v14
	v_sub_f32_e32 v14, v37, v50
	v_mul_f32_e32 v14, 0x3fb8aa3b, v14
	v_exp_f32_e32 v37, v14
	global_load_dwordx4 v[14:17], v[6:7], off
	s_nop 0
	global_load_dwordx4 v[6:9], v[8:9], off
	v_sub_f32_e32 v38, v38, v50
	v_mul_f32_e32 v38, 0x3fb8aa3b, v38
	v_sub_f32_e32 v39, v39, v50
	v_exp_f32_e32 v38, v38
	v_mul_f32_e32 v39, 0x3fb8aa3b, v39
	v_exp_f32_e32 v39, v39
	v_cndmask_b32_e64 v36, 0, v36, s[24:25]
	v_add_f32_e32 v46, 0, v36
	v_cndmask_b32_e64 v37, 0, v37, s[26:27]
	v_add_f32_e32 v47, v46, v37
	;; [unrolled: 2-line block ×3, first 2 shown]
	v_cndmask_b32_e64 v47, 0, v39, s[30:31]
	v_sub_f32_e32 v39, v52, v50
	v_mul_f32_e32 v39, 0x3fb8aa3b, v39
	v_sub_f32_e32 v51, v53, v50
	v_exp_f32_e32 v39, v39
	v_mul_f32_e32 v51, 0x3fb8aa3b, v51
	v_sub_f32_e32 v48, v48, v50
	v_exp_f32_e32 v51, v51
	;; [unrolled: 3-line block ×4, first 2 shown]
	v_mul_f32_e32 v40, 0x3fb8aa3b, v40
	v_sub_f32_e32 v41, v41, v50
	v_add_f32_e32 v52, v38, v47
	v_cndmask_b32_e64 v38, 0, v39, s[34:35]
	v_exp_f32_e32 v40, v40
	v_mul_f32_e32 v41, 0x3fb8aa3b, v41
	v_sub_f32_e32 v44, v44, v50
	v_add_f32_e32 v52, v52, v38
	v_cndmask_b32_e64 v39, 0, v51, s[36:37]
	v_exp_f32_e32 v41, v41
	;; [unrolled: 5-line block ×7, first 2 shown]
	v_mul_f32_e32 v35, 0x3fb8aa3b, v35
	v_add_f32_e32 v51, v51, v44
	v_cndmask_b32_e64 v45, 0, v45, s[12:13]
	v_exp_f32_e32 v35, v35
	v_add_f32_e32 v51, v51, v45
	v_cndmask_b32_e64 v42, 0, v42, s[6:7]
	v_add_f32_e32 v51, v51, v42
	v_cndmask_b32_e64 v43, 0, v43, s[8:9]
	v_add_f32_e32 v51, v51, v43
	v_cndmask_b32_e32 v34, 0, v34, vcc
	v_add_f32_e32 v51, v51, v34
	v_cndmask_b32_e64 v35, 0, v35, s[4:5]
	v_add_f32_e32 v51, v51, v35
	ds_bpermute_b32 v52, v63, v51
	v_cmp_gt_u32_e32 vcc, 16, v59
	s_waitcnt lgkmcnt(0)
	s_barrier
	v_add_f32_e32 v51, v51, v52
	ds_bpermute_b32 v52, v62, v51
	s_and_saveexec_b64 s[4:5], vcc
	s_cbranch_execz .LBB1353_13
; %bb.12:
	s_waitcnt lgkmcnt(0)
	v_add_f32_e32 v51, v51, v52
	v_lshlrev_b32_e32 v52, 2, v55
	ds_write2st64_b32 v52, v50, v51 offset1:1
.LBB1353_13:
	s_or_b64 exec, exec, s[4:5]
	v_lshlrev_b32_e32 v51, 2, v56
	s_load_dword s6, s[0:1], 0x94
	s_waitcnt lgkmcnt(0)
	s_barrier
	ds_read2_b32 v[52:53], v51 offset1:16
	ds_read2_b32 v[60:61], v51 offset0:32 offset1:48
	ds_read2_b32 v[62:63], v51 offset0:64 offset1:80
	s_movk_i32 s8, 0x7fff
	s_mul_i32 s7, s23, 6
	s_waitcnt lgkmcnt(2)
	v_max3_f32 v50, v52, s40, v53
	s_waitcnt lgkmcnt(1)
	v_max3_f32 v50, v50, v60, v61
	v_sub_f32_e32 v52, v52, v50
	v_mul_f32_e32 v52, 0x3fb8aa3b, v52
	v_exp_f32_e32 v55, v52
	v_sub_f32_e32 v52, v53, v50
	v_mul_f32_e32 v52, 0x3fb8aa3b, v52
	v_exp_f32_e32 v59, v52
	;; [unrolled: 3-line block ×3, first 2 shown]
	ds_read2_b32 v[52:53], v51 offset0:96 offset1:112
	v_sub_f32_e32 v51, v61, v50
	v_mul_f32_e32 v51, 0x3fb8aa3b, v51
	v_exp_f32_e32 v61, v51
	s_waitcnt lgkmcnt(1)
	v_fma_f32 v51, v55, v62, 0
	v_fmac_f32_e32 v51, v59, v63
	s_waitcnt lgkmcnt(0)
	v_fmac_f32_e32 v51, v60, v52
	v_fmac_f32_e32 v51, v61, v53
	v_add_f32_e32 v52, 0x358637bd, v51
	v_div_scale_f32 v53, s[4:5], v52, v52, 1.0
	v_rcp_f32_e32 v62, v53
	s_barrier
	v_fma_f32 v63, -v53, v62, 1.0
	v_fmac_f32_e32 v62, v63, v62
	v_div_scale_f32 v63, vcc, 1.0, v52, 1.0
	v_mul_f32_e32 v64, v63, v62
	v_fma_f32 v65, -v53, v64, v63
	v_fmac_f32_e32 v64, v65, v62
	v_fma_f32 v53, -v53, v64, v63
	v_div_fmas_f32 v53, v53, v62, v64
	v_cmp_eq_u32_e32 vcc, 1, v57
	v_div_fixup_f32 v52, v53, v52, 1.0
	s_nop 0
	v_cndmask_b32_e32 v53, v55, v59, vcc
	v_cmp_eq_u32_e32 vcc, 2, v57
	s_nop 1
	v_cndmask_b32_e32 v53, v53, v60, vcc
	v_cmp_eq_u32_e32 vcc, 3, v57
	s_nop 1
	v_cndmask_b32_e32 v53, v53, v61, vcc
	v_mul_f32_e32 v52, v53, v52
	v_pk_mul_f32 v[36:37], v[52:53], v[36:37] op_sel_hi:[0,1]
	v_pk_mul_f32 v[46:47], v[52:53], v[46:47] op_sel_hi:[0,1]
	v_bfe_u32 v53, v37, 16, 1
	v_bfe_u32 v55, v36, 16, 1
	v_add3_u32 v36, v36, v55, s8
	v_add3_u32 v37, v37, v53, s8
	v_perm_b32 v60, v37, v36, s33
	v_bfe_u32 v36, v47, 16, 1
	v_bfe_u32 v37, v46, 16, 1
	v_add3_u32 v37, v46, v37, s8
	v_add3_u32 v36, v47, v36, s8
	v_perm_b32 v61, v36, v37, s33
	v_lshlrev_b32_e32 v37, 3, v58
	v_lshlrev_b32_e32 v36, 5, v56
	;; [unrolled: 1-line block ×3, first 2 shown]
	v_pk_mul_f32 v[38:39], v[52:53], v[38:39] op_sel_hi:[0,1]
	v_or3_b32 v55, v46, v36, v37
	v_pk_mul_f32 v[46:47], v[52:53], v[48:49] op_sel_hi:[0,1]
	v_bfe_u32 v37, v39, 16, 1
	v_bfe_u32 v48, v38, 16, 1
	v_add3_u32 v38, v38, v48, s8
	v_add3_u32 v37, v39, v37, s8
	v_perm_b32 v38, v37, v38, s33
	v_bfe_u32 v37, v47, 16, 1
	v_bfe_u32 v39, v46, 16, 1
	v_add3_u32 v39, v46, v39, s8
	v_add3_u32 v37, v47, v37, s8
	v_perm_b32 v39, v37, v39, s33
	v_pk_mul_f32 v[40:41], v[52:53], v[40:41] op_sel_hi:[0,1]
	ds_write2st64_b64 v55, v[60:61], v[38:39] offset1:1
	v_pk_mul_f32 v[38:39], v[52:53], v[44:45] op_sel_hi:[0,1]
	v_bfe_u32 v37, v41, 16, 1
	v_bfe_u32 v44, v40, 16, 1
	v_add3_u32 v40, v40, v44, s8
	v_add3_u32 v37, v41, v37, s8
	v_perm_b32 v40, v37, v40, s33
	v_bfe_u32 v37, v39, 16, 1
	v_bfe_u32 v41, v38, 16, 1
	v_add3_u32 v38, v38, v41, s8
	v_add3_u32 v37, v39, v37, s8
	v_perm_b32 v41, v37, v38, s33
	v_pk_mul_f32 v[38:39], v[52:53], v[42:43] op_sel_hi:[0,1]
	v_bfe_u32 v37, v39, 16, 1
	v_bfe_u32 v42, v38, 16, 1
	v_pk_mul_f32 v[34:35], v[52:53], v[34:35] op_sel_hi:[0,1]
	v_add3_u32 v38, v38, v42, s8
	v_add3_u32 v37, v39, v37, s8
	v_perm_b32 v38, v37, v38, s33
	v_bfe_u32 v37, v35, 16, 1
	v_bfe_u32 v39, v34, 16, 1
	v_add3_u32 v34, v34, v39, s8
	v_add3_u32 v35, v35, v37, s8
	v_perm_b32 v39, v35, v34, s33
	v_cmp_gt_u32_e32 vcc, 6, v0
	ds_write2st64_b64 v55, v[40:41], v[38:39] offset0:2 offset1:3
	s_and_saveexec_b64 s[4:5], vcc
	s_cbranch_execz .LBB1353_15
; %bb.14:
	s_mov_b32 s49, 0
	v_mov_b32_e32 v57, 0
	v_lshl_add_u64 v[34:35], s[48:49], 0, v[56:57]
	v_mov_b32_e32 v37, s7
	v_mad_u64_u32 v[34:35], s[10:11], s2, v37, v[34:35]
	s_mul_i32 s3, s3, s7
	v_mov_b32_e32 v38, s22
	v_mov_b32_e32 v39, v57
	s_load_dwordx4 s[12:15], s[0:1], 0x58
	v_add_u32_e32 v37, s3, v35
	v_mad_u64_u32 v[34:35], s[10:11], v34, s6, v[38:39]
	v_mov_b32_e32 v38, v35
	v_mad_u64_u32 v[38:39], s[10:11], v37, s6, v[38:39]
	v_mov_b32_e32 v35, v38
	v_lshlrev_b64 v[34:35], 2, v[34:35]
	s_waitcnt lgkmcnt(0)
	v_lshl_add_u64 v[38:39], s[14:15], 0, v[34:35]
	v_lshl_add_u64 v[34:35], s[12:13], 0, v[34:35]
	global_store_dword v[38:39], v50, off
	global_store_dword v[34:35], v51, off
.LBB1353_15:
	s_or_b64 exec, exec, s[4:5]
	v_lshl_or_b32 v50, v58, 9, v36
	s_waitcnt vmcnt(7)
	v_cvt_pk_f32_fp8_e32 v[34:35], v30
	v_cvt_pk_f32_fp8_sdwa v[36:37], v30 src0_sel:WORD_1
	s_mov_b32 s5, 0x7060302
	s_waitcnt lgkmcnt(0)
	s_barrier
	v_cvt_pk_f32_fp8_e32 v[38:39], v31
	v_perm_b32 v30, v35, v34, s5
	v_cvt_pk_f32_fp8_sdwa v[40:41], v31 src0_sel:WORD_1
	v_perm_b32 v31, v37, v36, s5
	ds_read_b128 v[34:37], v50
	v_perm_b32 v46, v39, v38, s5
	v_perm_b32 v47, v41, v40, s5
	ds_read_b128 v[38:41], v50 offset:16
	v_cvt_pk_f32_fp8_e32 v[48:49], v32
	v_cvt_pk_f32_fp8_sdwa v[52:53], v32 src0_sel:WORD_1
	s_waitcnt lgkmcnt(1)
	v_mfma_f32_16x16x16_bf16 v[42:45], v[30:31], v[34:35], 0
	s_waitcnt vmcnt(6)
	v_cvt_pk_f32_fp8_e32 v[60:61], v24
	v_perm_b32 v30, v49, v48, s5
	v_perm_b32 v31, v53, v52, s5
	v_cvt_pk_f32_fp8_e32 v[48:49], v33
	v_mfma_f32_16x16x16_bf16 v[42:45], v[46:47], v[36:37], v[42:45]
	v_cvt_pk_f32_fp8_sdwa v[46:47], v33 src0_sel:WORD_1
	v_cvt_pk_f32_fp8_sdwa v[62:63], v24 src0_sel:WORD_1
	v_perm_b32 v48, v49, v48, s5
	s_waitcnt lgkmcnt(0)
	v_mfma_f32_16x16x16_bf16 v[30:33], v[30:31], v[38:39], v[42:45]
	v_perm_b32 v49, v47, v46, s5
	s_waitcnt vmcnt(5)
	v_cvt_pk_f32_fp8_e32 v[64:65], v12
	v_cvt_pk_f32_fp8_sdwa v[66:67], v12 src0_sel:WORD_1
	v_cvt_pk_f32_fp8_e32 v[42:43], v22
	v_mfma_f32_16x16x16_bf16 v[46:49], v[48:49], v[40:41], v[30:33]
	s_waitcnt vmcnt(4)
	v_cvt_pk_f32_fp8_sdwa v[68:69], v4 src0_sel:WORD_1
	s_load_dword s4, s[42:43], 0x0
	v_cvt_pk_f32_fp8_sdwa v[30:31], v22 src0_sel:WORD_1
	v_cvt_pk_f32_fp8_e32 v[32:33], v23
	v_perm_b32 v22, v43, v42, s5
	v_cvt_pk_f32_fp8_sdwa v[42:43], v23 src0_sel:WORD_1
	v_perm_b32 v23, v31, v30, s5
	v_perm_b32 v52, v33, v32, s5
	ds_read_b128 v[30:33], v50 offset:2048
	v_perm_b32 v53, v43, v42, s5
	ds_read_b128 v[42:45], v50 offset:2064
	s_waitcnt lgkmcnt(0)
	v_mfma_f32_16x16x16_bf16 v[46:49], v[22:23], v[30:31], v[46:49]
	v_perm_b32 v22, v61, v60, s5
	v_perm_b32 v23, v63, v62, s5
	v_cvt_pk_f32_fp8_e32 v[60:61], v25
	v_mfma_f32_16x16x16_bf16 v[46:49], v[52:53], v[32:33], v[46:49]
	v_cvt_pk_f32_fp8_sdwa v[52:53], v25 src0_sel:WORD_1
	s_waitcnt vmcnt(3)
	v_cvt_pk_f32_fp8_sdwa v[70:71], v28 src0_sel:WORD_1
	v_perm_b32 v60, v61, v60, s5
	v_mfma_f32_16x16x16_bf16 v[22:25], v[22:23], v[42:43], v[46:49]
	v_perm_b32 v61, v53, v52, s5
	s_mov_b32 s3, 0
	v_cmp_gt_u32_e32 vcc, 64, v0
	v_cvt_pk_f32_fp8_e32 v[46:47], v10
	v_mfma_f32_16x16x16_bf16 v[60:63], v[60:61], v[44:45], v[22:25]
	s_nop 2
	v_cvt_pk_f32_fp8_sdwa v[22:23], v10 src0_sel:WORD_1
	v_cvt_pk_f32_fp8_e32 v[24:25], v11
	v_perm_b32 v10, v47, v46, s5
	v_cvt_pk_f32_fp8_sdwa v[46:47], v11 src0_sel:WORD_1
	v_perm_b32 v11, v23, v22, s5
	v_perm_b32 v52, v25, v24, s5
	ds_read_b128 v[22:25], v50 offset:4096
	v_perm_b32 v53, v47, v46, s5
	ds_read_b128 v[46:49], v50 offset:4112
	s_waitcnt lgkmcnt(1)
	v_mfma_f32_16x16x16_bf16 v[60:63], v[10:11], v[22:23], v[60:63]
	v_perm_b32 v10, v65, v64, s5
	v_perm_b32 v11, v67, v66, s5
	v_cvt_pk_f32_fp8_e32 v[64:65], v13
	v_mfma_f32_16x16x16_bf16 v[60:63], v[52:53], v[24:25], v[60:63]
	v_cvt_pk_f32_fp8_sdwa v[52:53], v13 src0_sel:WORD_1
	v_cvt_pk_f32_fp8_e32 v[66:67], v4
	v_perm_b32 v64, v65, v64, s5
	s_waitcnt lgkmcnt(0)
	v_mfma_f32_16x16x16_bf16 v[10:13], v[10:11], v[46:47], v[60:63]
	v_perm_b32 v65, v53, v52, s5
	v_cvt_pk_f32_fp8_e32 v[52:53], v2
	s_nop 0
	v_mfma_f32_16x16x16_bf16 v[60:63], v[64:65], v[48:49], v[10:13]
	s_nop 2
	v_cvt_pk_f32_fp8_sdwa v[10:11], v2 src0_sel:WORD_1
	v_cvt_pk_f32_fp8_e32 v[12:13], v3
	v_perm_b32 v2, v53, v52, s5
	v_cvt_pk_f32_fp8_sdwa v[52:53], v3 src0_sel:WORD_1
	v_perm_b32 v3, v11, v10, s5
	v_perm_b32 v64, v13, v12, s5
	ds_read_b128 v[10:13], v50 offset:6144
	v_perm_b32 v65, v53, v52, s5
	s_waitcnt lgkmcnt(0)
	v_mfma_f32_16x16x16_bf16 v[60:63], v[2:3], v[10:11], v[60:63]
	ds_read_b128 v[50:53], v50 offset:6160
	v_perm_b32 v2, v67, v66, s5
	v_perm_b32 v3, v69, v68, s5
	v_cvt_pk_f32_fp8_e32 v[66:67], v5
	v_mfma_f32_16x16x16_bf16 v[60:63], v[64:65], v[12:13], v[60:63]
	v_cvt_pk_f32_fp8_sdwa v[64:65], v5 src0_sel:WORD_1
	v_cvt_pk_f32_fp8_e32 v[68:69], v28
	v_perm_b32 v66, v67, v66, s5
	s_waitcnt lgkmcnt(0)
	v_mfma_f32_16x16x16_bf16 v[2:5], v[2:3], v[50:51], v[60:63]
	v_perm_b32 v67, v65, v64, s5
	s_barrier
	s_nop 0
	v_mfma_f32_16x16x16_bf16 v[60:63], v[66:67], v[52:53], v[2:5]
	s_nop 2
	v_cvt_pk_f32_fp8_e32 v[4:5], v26
	v_perm_b32 v4, v5, v4, s5
	s_nop 1
	v_pk_mul_f32 v[2:3], v[62:63], s[4:5] op_sel_hi:[1,0]
	v_cvt_pk_f32_fp8_sdwa v[62:63], v26 src0_sel:WORD_1
	v_pk_mul_f32 v[64:65], v[60:61], s[4:5] op_sel_hi:[1,0]
	v_cvt_pk_f32_fp8_e32 v[60:61], v27
	v_cvt_pk_f32_fp8_sdwa v[26:27], v27 src0_sel:WORD_1
	v_perm_b32 v5, v63, v62, s5
	v_bfe_u32 v57, v65, 16, 1
	v_perm_b32 v66, v61, v60, s5
	v_perm_b32 v67, v27, v26, s5
	v_mfma_f32_16x16x16_bf16 v[60:63], v[4:5], v[34:35], 0
	v_perm_b32 v4, v69, v68, s5
	v_perm_b32 v5, v71, v70, s5
	v_cvt_pk_f32_fp8_e32 v[34:35], v29
	v_cvt_pk_f32_fp8_sdwa v[68:69], v29 src0_sel:WORD_1
	v_mfma_f32_16x16x16_bf16 v[26:29], v[66:67], v[36:37], v[60:63]
	s_waitcnt vmcnt(2)
	v_cvt_pk_f32_fp8_sdwa v[36:37], v18 src0_sel:WORD_1
	v_perm_b32 v34, v35, v34, s5
	v_perm_b32 v35, v69, v68, s5
	v_mfma_f32_16x16x16_bf16 v[26:29], v[4:5], v[38:39], v[26:29]
	v_cvt_pk_f32_fp8_e32 v[4:5], v18
	v_cvt_pk_f32_fp8_sdwa v[38:39], v20 src0_sel:WORD_1
	v_bfe_u32 v59, v64, 16, 1
	v_mfma_f32_16x16x16_bf16 v[26:29], v[34:35], v[40:41], v[26:29]
	v_cvt_pk_f32_fp8_e32 v[34:35], v19
	v_perm_b32 v4, v5, v4, s5
	v_perm_b32 v5, v37, v36, s5
	v_cvt_pk_f32_fp8_sdwa v[18:19], v19 src0_sel:WORD_1
	v_perm_b32 v34, v35, v34, s5
	v_cvt_pk_f32_fp8_e32 v[36:37], v20
	v_mfma_f32_16x16x16_bf16 v[26:29], v[4:5], v[30:31], v[26:29]
	v_perm_b32 v35, v19, v18, s5
	v_perm_b32 v4, v37, v36, s5
	;; [unrolled: 1-line block ×3, first 2 shown]
	v_cvt_pk_f32_fp8_e32 v[30:31], v21
	v_cvt_pk_f32_fp8_sdwa v[36:37], v21 src0_sel:WORD_1
	v_mfma_f32_16x16x16_bf16 v[18:21], v[34:35], v[32:33], v[26:29]
	v_add3_u32 v32, v64, v59, s8
	v_add3_u32 v33, v65, v57, s8
	s_nop 0
	v_perm_b32 v26, v31, v30, s5
	v_perm_b32 v27, v37, v36, s5
	v_mfma_f32_16x16x16_bf16 v[18:21], v[4:5], v[42:43], v[18:21]
	s_waitcnt vmcnt(1)
	v_cvt_pk_f32_fp8_e32 v[4:5], v14
	v_cvt_pk_f32_fp8_sdwa v[28:29], v14 src0_sel:WORD_1
	v_cvt_pk_f32_fp8_sdwa v[30:31], v16 src0_sel:WORD_1
	v_mfma_f32_16x16x16_bf16 v[18:21], v[26:27], v[44:45], v[18:21]
	v_cvt_pk_f32_fp8_e32 v[26:27], v15
	v_perm_b32 v4, v5, v4, s5
	v_perm_b32 v5, v29, v28, s5
	v_cvt_pk_f32_fp8_sdwa v[14:15], v15 src0_sel:WORD_1
	v_perm_b32 v26, v27, v26, s5
	v_cvt_pk_f32_fp8_e32 v[28:29], v16
	v_mfma_f32_16x16x16_bf16 v[18:21], v[4:5], v[22:23], v[18:21]
	v_perm_b32 v27, v15, v14, s5
	v_perm_b32 v4, v29, v28, s5
	;; [unrolled: 1-line block ×3, first 2 shown]
	v_cvt_pk_f32_fp8_e32 v[22:23], v17
	v_cvt_pk_f32_fp8_sdwa v[28:29], v17 src0_sel:WORD_1
	v_mfma_f32_16x16x16_bf16 v[14:17], v[26:27], v[24:25], v[18:21]
	s_waitcnt vmcnt(0)
	v_cvt_pk_f32_fp8_sdwa v[24:25], v8 src0_sel:WORD_1
	s_nop 0
	v_perm_b32 v20, v23, v22, s5
	v_perm_b32 v21, v29, v28, s5
	v_mfma_f32_16x16x16_bf16 v[14:17], v[4:5], v[46:47], v[14:17]
	v_cvt_pk_f32_fp8_e32 v[4:5], v6
	v_cvt_pk_f32_fp8_sdwa v[22:23], v6 src0_sel:WORD_1
	v_bfe_u32 v19, v3, 16, 1
	v_mfma_f32_16x16x16_bf16 v[14:17], v[20:21], v[48:49], v[14:17]
	v_cvt_pk_f32_fp8_e32 v[20:21], v7
	v_perm_b32 v4, v5, v4, s5
	v_perm_b32 v5, v23, v22, s5
	v_cvt_pk_f32_fp8_sdwa v[6:7], v7 src0_sel:WORD_1
	v_perm_b32 v20, v21, v20, s5
	v_cvt_pk_f32_fp8_e32 v[22:23], v8
	v_add3_u32 v3, v3, v19, s8
	v_perm_b32 v21, v7, v6, s5
	v_mfma_f32_16x16x16_bf16 v[4:7], v[4:5], v[10:11], v[14:17]
	v_perm_b32 v10, v23, v22, s5
	v_perm_b32 v11, v25, v24, s5
	;; [unrolled: 1-line block ×3, first 2 shown]
	v_cvt_pk_f32_fp8_e32 v[14:15], v9
	v_cvt_pk_f32_fp8_sdwa v[8:9], v9 src0_sel:WORD_1
	v_mfma_f32_16x16x16_bf16 v[4:7], v[20:21], v[12:13], v[4:7]
	v_bfe_u32 v16, v2, 16, 1
	v_perm_b32 v12, v15, v14, s5
	v_perm_b32 v13, v9, v8, s5
	v_mfma_f32_16x16x16_bf16 v[4:7], v[10:11], v[50:51], v[4:7]
	v_add3_u32 v2, v2, v16, s8
	v_perm_b32 v19, v3, v2, s5
	v_mfma_f32_16x16x16_bf16 v[2:5], v[12:13], v[52:53], v[4:7]
	s_nop 6
	v_pk_mul_f32 v[2:3], v[2:3], s[4:5] op_sel_hi:[1,0]
	v_pk_mul_f32 v[4:5], v[4:5], s[4:5] op_sel_hi:[1,0]
	v_bfe_u32 v6, v3, 16, 1
	v_bfe_u32 v7, v2, 16, 1
	v_add3_u32 v2, v2, v7, s8
	v_add3_u32 v3, v3, v6, s8
	v_perm_b32 v2, v3, v2, s5
	v_bfe_u32 v3, v5, 16, 1
	v_bfe_u32 v6, v4, 16, 1
	v_add3_u32 v4, v4, v6, s8
	v_add3_u32 v3, v5, v3, s8
	v_perm_b32 v3, v3, v4, s5
	ds_write2st64_b64 v55, v[18:19], v[2:3] offset1:1
	s_waitcnt lgkmcnt(0)
	s_barrier
	s_and_saveexec_b64 s[4:5], vcc
	s_cbranch_execz .LBB1353_18
; %bb.16:
	s_load_dwordx2 s[4:5], s[0:1], 0x68
	s_lshl_b32 s0, s6, 7
	s_mul_i32 s1, s7, s2
	v_lshlrev_b32_e32 v4, 6, v56
	s_mul_hi_u32 s7, s1, s0
	s_mul_i32 s6, s1, s0
	v_lshl_or_b32 v0, v0, 10, v4
	s_lshl_b64 s[6:7], s[6:7], 1
	v_lshlrev_b32_e32 v3, 5, v58
	v_and_b32_e32 v1, 16, v1
	v_and_b32_e32 v0, 0x1a00, v0
	s_waitcnt lgkmcnt(0)
	s_add_u32 s1, s4, s6
	v_or3_b32 v3, v0, v3, v1
	s_addc_u32 s4, s5, s7
	s_lshl_b32 s2, s22, 7
	s_lshl_b64 s[2:3], s[2:3], 1
	ds_read_b128 v[4:7], v3
	s_add_u32 s2, s1, s2
	s_addc_u32 s3, s4, s3
	v_mov_b32_e32 v55, 0
	v_add_u32_e32 v8, s48, v58
	v_or_b32_e32 v2, 4, v58
	v_lshl_add_u64 v[0:1], s[2:3], 0, v[54:55]
	v_mad_u64_u32 v[8:9], s[2:3], v8, s0, 0
	v_lshl_add_u64 v[8:9], v[8:9], 1, v[0:1]
	v_cmp_gt_u32_e32 vcc, 6, v2
	s_waitcnt lgkmcnt(0)
	global_store_dwordx4 v[8:9], v[4:7], off
	s_and_b64 exec, exec, vcc
	s_cbranch_execz .LBB1353_18
; %bb.17:
	ds_read_b128 v[4:7], v3 offset:128
	v_add_u32_e32 v2, s48, v2
	v_mad_u64_u32 v[2:3], s[0:1], v2, s0, 0
	v_lshl_add_u64 v[0:1], v[2:3], 1, v[0:1]
	s_waitcnt lgkmcnt(0)
	global_store_dwordx4 v[0:1], v[4:7], off
.LBB1353_18:
	s_endpgm
	.section	.rodata,"a",@progbits
	.p2align	6, 0x0
	.amdhsa_kernel _Z39paged_attention_ll4mi_QKV_mfma16_kernelI14__hip_bfloat16hLN4vllm18Fp8KVCacheDataTypeE1EhLi32ELi128ELi256ELb0ELi6EEvPKT_PKT0_S8_ifPKiSA_SA_iPKfiiiPfSD_PS3_PT2_iSC_SC_
		.amdhsa_group_segment_fixed_size 8192
		.amdhsa_private_segment_fixed_size 0
		.amdhsa_kernarg_size 400
		.amdhsa_user_sgpr_count 2
		.amdhsa_user_sgpr_dispatch_ptr 0
		.amdhsa_user_sgpr_queue_ptr 0
		.amdhsa_user_sgpr_kernarg_segment_ptr 1
		.amdhsa_user_sgpr_dispatch_id 0
		.amdhsa_user_sgpr_kernarg_preload_length 0
		.amdhsa_user_sgpr_kernarg_preload_offset 0
		.amdhsa_user_sgpr_private_segment_size 0
		.amdhsa_uses_dynamic_stack 0
		.amdhsa_enable_private_segment 0
		.amdhsa_system_sgpr_workgroup_id_x 1
		.amdhsa_system_sgpr_workgroup_id_y 1
		.amdhsa_system_sgpr_workgroup_id_z 1
		.amdhsa_system_sgpr_workgroup_info 0
		.amdhsa_system_vgpr_workitem_id 0
		.amdhsa_next_free_vgpr 80
		.amdhsa_next_free_sgpr 50
		.amdhsa_accum_offset 80
		.amdhsa_reserve_vcc 1
		.amdhsa_float_round_mode_32 0
		.amdhsa_float_round_mode_16_64 0
		.amdhsa_float_denorm_mode_32 3
		.amdhsa_float_denorm_mode_16_64 3
		.amdhsa_dx10_clamp 1
		.amdhsa_ieee_mode 1
		.amdhsa_fp16_overflow 0
		.amdhsa_tg_split 0
		.amdhsa_exception_fp_ieee_invalid_op 0
		.amdhsa_exception_fp_denorm_src 0
		.amdhsa_exception_fp_ieee_div_zero 0
		.amdhsa_exception_fp_ieee_overflow 0
		.amdhsa_exception_fp_ieee_underflow 0
		.amdhsa_exception_fp_ieee_inexact 0
		.amdhsa_exception_int_div_zero 0
	.end_amdhsa_kernel
	.section	.text._Z39paged_attention_ll4mi_QKV_mfma16_kernelI14__hip_bfloat16hLN4vllm18Fp8KVCacheDataTypeE1EhLi32ELi128ELi256ELb0ELi6EEvPKT_PKT0_S8_ifPKiSA_SA_iPKfiiiPfSD_PS3_PT2_iSC_SC_,"axG",@progbits,_Z39paged_attention_ll4mi_QKV_mfma16_kernelI14__hip_bfloat16hLN4vllm18Fp8KVCacheDataTypeE1EhLi32ELi128ELi256ELb0ELi6EEvPKT_PKT0_S8_ifPKiSA_SA_iPKfiiiPfSD_PS3_PT2_iSC_SC_,comdat
.Lfunc_end1353:
	.size	_Z39paged_attention_ll4mi_QKV_mfma16_kernelI14__hip_bfloat16hLN4vllm18Fp8KVCacheDataTypeE1EhLi32ELi128ELi256ELb0ELi6EEvPKT_PKT0_S8_ifPKiSA_SA_iPKfiiiPfSD_PS3_PT2_iSC_SC_, .Lfunc_end1353-_Z39paged_attention_ll4mi_QKV_mfma16_kernelI14__hip_bfloat16hLN4vllm18Fp8KVCacheDataTypeE1EhLi32ELi128ELi256ELb0ELi6EEvPKT_PKT0_S8_ifPKiSA_SA_iPKfiiiPfSD_PS3_PT2_iSC_SC_
                                        ; -- End function
	.section	.AMDGPU.csdata,"",@progbits
; Kernel info:
; codeLenInByte = 6384
; NumSgprs: 56
; NumVgprs: 80
; NumAgprs: 0
; TotalNumVgprs: 80
; ScratchSize: 0
; MemoryBound: 0
; FloatMode: 240
; IeeeMode: 1
; LDSByteSize: 8192 bytes/workgroup (compile time only)
; SGPRBlocks: 6
; VGPRBlocks: 9
; NumSGPRsForWavesPerEU: 56
; NumVGPRsForWavesPerEU: 80
; AccumOffset: 80
; Occupancy: 6
; WaveLimiterHint : 1
; COMPUTE_PGM_RSRC2:SCRATCH_EN: 0
; COMPUTE_PGM_RSRC2:USER_SGPR: 2
; COMPUTE_PGM_RSRC2:TRAP_HANDLER: 0
; COMPUTE_PGM_RSRC2:TGID_X_EN: 1
; COMPUTE_PGM_RSRC2:TGID_Y_EN: 1
; COMPUTE_PGM_RSRC2:TGID_Z_EN: 1
; COMPUTE_PGM_RSRC2:TIDIG_COMP_CNT: 0
; COMPUTE_PGM_RSRC3_GFX90A:ACCUM_OFFSET: 19
; COMPUTE_PGM_RSRC3_GFX90A:TG_SPLIT: 0
	.section	.text._Z39paged_attention_ll4mi_QKV_mfma16_kernelI14__hip_bfloat16hLN4vllm18Fp8KVCacheDataTypeE1EhLi32ELi128ELi256ELb0ELi7EEvPKT_PKT0_S8_ifPKiSA_SA_iPKfiiiPfSD_PS3_PT2_iSC_SC_,"axG",@progbits,_Z39paged_attention_ll4mi_QKV_mfma16_kernelI14__hip_bfloat16hLN4vllm18Fp8KVCacheDataTypeE1EhLi32ELi128ELi256ELb0ELi7EEvPKT_PKT0_S8_ifPKiSA_SA_iPKfiiiPfSD_PS3_PT2_iSC_SC_,comdat
	.protected	_Z39paged_attention_ll4mi_QKV_mfma16_kernelI14__hip_bfloat16hLN4vllm18Fp8KVCacheDataTypeE1EhLi32ELi128ELi256ELb0ELi7EEvPKT_PKT0_S8_ifPKiSA_SA_iPKfiiiPfSD_PS3_PT2_iSC_SC_ ; -- Begin function _Z39paged_attention_ll4mi_QKV_mfma16_kernelI14__hip_bfloat16hLN4vllm18Fp8KVCacheDataTypeE1EhLi32ELi128ELi256ELb0ELi7EEvPKT_PKT0_S8_ifPKiSA_SA_iPKfiiiPfSD_PS3_PT2_iSC_SC_
	.globl	_Z39paged_attention_ll4mi_QKV_mfma16_kernelI14__hip_bfloat16hLN4vllm18Fp8KVCacheDataTypeE1EhLi32ELi128ELi256ELb0ELi7EEvPKT_PKT0_S8_ifPKiSA_SA_iPKfiiiPfSD_PS3_PT2_iSC_SC_
	.p2align	8
	.type	_Z39paged_attention_ll4mi_QKV_mfma16_kernelI14__hip_bfloat16hLN4vllm18Fp8KVCacheDataTypeE1EhLi32ELi128ELi256ELb0ELi7EEvPKT_PKT0_S8_ifPKiSA_SA_iPKfiiiPfSD_PS3_PT2_iSC_SC_,@function
_Z39paged_attention_ll4mi_QKV_mfma16_kernelI14__hip_bfloat16hLN4vllm18Fp8KVCacheDataTypeE1EhLi32ELi128ELi256ELb0ELi7EEvPKT_PKT0_S8_ifPKiSA_SA_iPKfiiiPfSD_PS3_PT2_iSC_SC_: ; @_Z39paged_attention_ll4mi_QKV_mfma16_kernelI14__hip_bfloat16hLN4vllm18Fp8KVCacheDataTypeE1EhLi32ELi128ELi256ELb0ELi7EEvPKT_PKT0_S8_ifPKiSA_SA_iPKfiiiPfSD_PS3_PT2_iSC_SC_
; %bb.0:
	s_load_dwordx2 s[12:13], s[0:1], 0x30
	s_mov_b32 s22, s3
	s_mov_b64 s[6:7], 0
	s_waitcnt lgkmcnt(0)
	s_cmp_lg_u64 s[12:13], 0
	s_cselect_b64 s[14:15], -1, 0
	s_and_b64 vcc, exec, s[14:15]
	s_cbranch_vccz .LBB1354_7
; %bb.1:
	s_add_i32 s8, s2, 1
	s_mov_b32 s9, 0
	s_lshl_b64 s[10:11], s[8:9], 2
	s_add_u32 s10, s12, s10
	s_mov_b32 s3, s9
	s_addc_u32 s11, s13, s11
	s_lshl_b64 s[8:9], s[2:3], 2
	s_add_u32 s8, s12, s8
	s_addc_u32 s9, s13, s9
	s_load_dword s5, s[10:11], 0x0
	s_load_dword s16, s[8:9], 0x0
	s_waitcnt lgkmcnt(0)
	s_sub_i32 s5, s5, s16
	s_cmp_eq_u32 s5, 1
	s_cselect_b64 s[8:9], -1, 0
	s_andn2_b64 vcc, exec, s[6:7]
	s_cbranch_vccnz .LBB1354_3
.LBB1354_2:
	s_mov_b32 s3, 0
	s_mov_b64 s[8:9], -1
.LBB1354_3:
	s_andn2_b64 vcc, exec, s[8:9]
	s_cbranch_vccnz .LBB1354_18
; %bb.4:
	s_load_dwordx2 s[6:7], s[0:1], 0x28
	s_lshl_b64 s[16:17], s[2:3], 2
	s_waitcnt lgkmcnt(0)
	s_add_u32 s6, s6, s16
	s_addc_u32 s7, s7, s17
	s_load_dword s5, s[6:7], 0x0
	s_lshl_b32 s18, s22, 8
	s_waitcnt lgkmcnt(0)
	s_cmp_ge_i32 s18, s5
	s_cbranch_scc1 .LBB1354_18
; %bb.5:
	s_load_dwordx2 s[6:7], s[0:1], 0x20
	s_load_dword s8, s[0:1], 0x38
	s_add_i32 s9, s5, 31
	s_ashr_i32 s10, s9, 31
	v_and_b32_e32 v1, 0xcf, v0
	s_lshr_b32 s10, s10, 27
	v_add_u32_e32 v1, s18, v1
	s_add_i32 s9, s9, s10
	v_ashrrev_i32_e32 v2, 31, v1
	s_ashr_i32 s19, s9, 5
	v_lshrrev_b32_e32 v10, 27, v2
	s_add_i32 s19, s19, -1
	s_waitcnt lgkmcnt(0)
	s_mul_i32 s8, s2, s8
	s_mov_b32 s9, 0
	v_add_u32_e32 v2, v1, v10
	s_lshl_b64 s[8:9], s[8:9], 2
	v_ashrrev_i32_e32 v2, 5, v2
	v_mov_b32_e32 v11, s19
	v_cmp_gt_i32_e32 vcc, s5, v1
	s_add_u32 s6, s6, s8
	s_addc_u32 s7, s7, s9
	v_cndmask_b32_e32 v2, v11, v2, vcc
	v_ashrrev_i32_e32 v3, 31, v2
	v_lshl_add_u64 v[4:5], v[2:3], 2, s[6:7]
	v_or_b32_e32 v2, 16, v1
	v_add_u32_e32 v3, v2, v10
	v_ashrrev_i32_e32 v3, 5, v3
	v_cmp_gt_i32_e32 vcc, s5, v2
	s_load_dwordx4 s[8:11], s[0:1], 0x8
	s_nop 0
	v_cndmask_b32_e32 v2, v11, v3, vcc
	v_ashrrev_i32_e32 v3, 31, v2
	v_lshl_add_u64 v[6:7], v[2:3], 2, s[6:7]
	v_or_b32_e32 v2, 32, v1
	v_add_u32_e32 v3, v2, v10
	v_ashrrev_i32_e32 v3, 5, v3
	v_cmp_gt_i32_e32 vcc, s5, v2
	v_or_b32_e32 v1, 48, v1
	s_nop 0
	v_cndmask_b32_e32 v2, v11, v3, vcc
	v_ashrrev_i32_e32 v3, 31, v2
	v_lshl_add_u64 v[8:9], v[2:3], 2, s[6:7]
	v_add_u32_e32 v2, v1, v10
	v_ashrrev_i32_e32 v2, 5, v2
	v_cmp_gt_i32_e32 vcc, s5, v1
	s_nop 1
	v_cndmask_b32_e32 v2, v11, v2, vcc
	v_ashrrev_i32_e32 v3, 31, v2
	v_lshl_add_u64 v[10:11], v[2:3], 2, s[6:7]
	global_load_dword v2, v[4:5], off
	global_load_dword v14, v[6:7], off
	;; [unrolled: 1-line block ×4, first 2 shown]
	s_andn2_b64 vcc, exec, s[14:15]
	s_cbranch_vccnz .LBB1354_8
; %bb.6:
	s_add_u32 s12, s12, s16
	s_addc_u32 s13, s13, s17
	s_load_dword s14, s[12:13], 0x0
	s_branch .LBB1354_9
.LBB1354_7:
	s_mov_b64 s[8:9], 0
	s_branch .LBB1354_2
.LBB1354_8:
	s_mov_b32 s14, s2
.LBB1354_9:
	s_load_dwordx4 s[44:47], s[0:1], 0x48
	v_lshrrev_b32_e32 v57, 6, v0
	v_bfe_u32 v58, v0, 4, 2
	v_and_b32_e32 v56, 15, v0
	v_lshl_or_b32 v3, v57, 2, v58
	v_lshlrev_b32_e32 v1, 3, v56
	v_and_b32_e32 v59, 63, v0
	s_mul_i32 s48, s4, 7
	v_cmp_gt_u32_e32 vcc, 7, v3
	v_lshlrev_b32_e32 v54, 1, v1
	v_lshlrev_b32_e32 v1, 4, v0
	s_and_saveexec_b64 s[12:13], vcc
	s_cbranch_execz .LBB1354_11
; %bb.10:
	s_load_dwordx2 s[16:17], s[0:1], 0x0
	s_waitcnt lgkmcnt(0)
	s_ashr_i32 s15, s44, 31
	s_mul_hi_u32 s20, s14, s44
	s_mul_i32 s15, s14, s15
	s_add_i32 s15, s20, s15
	s_mul_i32 s14, s14, s44
	s_lshl_b64 s[14:15], s[14:15], 1
	s_add_u32 s14, s16, s14
	v_add_lshl_u32 v4, v3, s48, 7
	s_addc_u32 s15, s17, s15
	v_ashrrev_i32_e32 v5, 31, v4
	v_lshl_add_u64 v[4:5], v[4:5], 1, s[14:15]
	v_mov_b32_e32 v55, 0
	v_lshl_add_u64 v[4:5], v[4:5], 0, v[54:55]
	global_load_dwordx4 v[4:7], v[4:5], off
	v_lshlrev_b32_e32 v9, 8, v0
	v_lshlrev_b32_e32 v8, 8, v56
	v_and_b32_e32 v9, 0x600, v9
	s_movk_i32 s14, 0x800
	v_and_or_b32 v8, v8, s14, v9
	v_lshlrev_b32_e32 v3, 5, v3
	v_and_b32_e32 v9, 16, v1
	v_or3_b32 v3, v8, v3, v9
	s_waitcnt vmcnt(0)
	ds_write_b128 v3, v[4:7]
.LBB1354_11:
	s_or_b64 exec, exec, s[12:13]
	s_waitcnt lgkmcnt(0)
	s_mul_i32 s12, s4, s46
	s_add_u32 s8, s8, s12
	s_addc_u32 s9, s9, 0
	v_mov_b32_e32 v51, 0
	v_mov_b64_e32 v[6:7], s[8:9]
	v_and_b32_e32 v15, 48, v0
	s_waitcnt vmcnt(3)
	v_mad_i64_i32 v[2:3], s[8:9], v2, s45, v[6:7]
	v_lshlrev_b32_e32 v10, 4, v56
	v_mov_b32_e32 v11, v51
	v_lshlrev_b32_e32 v50, 5, v15
	v_lshl_add_u64 v[2:3], v[2:3], 0, v[10:11]
	v_lshl_add_u64 v[8:9], v[2:3], 0, v[50:51]
	s_load_dword s23, s[0:1], 0x98
	s_load_dwordx4 s[40:43], s[0:1], 0x80
	s_waitcnt lgkmcnt(0)
	s_barrier
	global_load_dwordx4 v[2:5], v[8:9], off
	global_load_dwordx4 v[42:45], v[8:9], off offset:2048
	v_mul_lo_u16_e32 v16, 37, v56
	v_mov_b32_e32 v17, 7
	v_mul_lo_u16_sdwa v8, v16, v17 dst_sel:DWORD dst_unused:UNUSED_PAD src0_sel:BYTE_1 src1_sel:DWORD
	v_mov_b32_e32 v20, 5
	v_sub_u16_e32 v8, v56, v8
	s_ashr_i32 s8, s18, 31
	v_lshlrev_b32_sdwa v8, v20, v8 dst_sel:DWORD dst_unused:UNUSED_PAD src0_sel:DWORD src1_sel:BYTE_0
	v_or_b32_e32 v18, 0x100, v10
	v_mov_b32_e32 v19, v51
	s_lshr_b32 s13, s8, 27
	v_lshl_add_u32 v32, v58, 9, v8
	s_waitcnt vmcnt(4)
	v_mad_i64_i32 v[8:9], s[8:9], v14, s45, v[6:7]
	s_waitcnt vmcnt(3)
	v_mad_i64_i32 v[20:21], s[8:9], v12, s45, v[6:7]
	s_waitcnt vmcnt(2)
	v_mad_i64_i32 v[12:13], s[8:9], v13, s45, v[6:7]
	v_lshl_add_u64 v[6:7], v[8:9], 0, v[18:19]
	v_lshl_add_u64 v[22:23], v[6:7], 0, v[50:51]
	global_load_dwordx4 v[46:49], v[22:23], off
	v_or_b32_e32 v25, s18, v15
	v_or_b32_e32 v30, 64, v25
	v_add_u32_e32 v33, s13, v25
	v_mov_b32_e32 v24, s19
	v_or_b32_e32 v31, 0x80, v25
	v_add_u32_e32 v39, s13, v30
	v_lshl_add_u64 v[10:11], v[20:21], 0, v[10:11]
	v_ashrrev_i32_e32 v20, 5, v33
	v_cmp_gt_i32_e32 vcc, s5, v25
	v_add_u32_e32 v40, s13, v31
	v_ashrrev_i32_e32 v21, 5, v39
	v_cndmask_b32_e32 v52, v24, v20, vcc
	v_cmp_gt_i32_e32 vcc, s5, v30
	ds_read_b128 v[34:37], v32
	ds_read_b128 v[26:29], v32 offset:16
	ds_read_b128 v[14:17], v32 offset:2048
	;; [unrolled: 1-line block ×3, first 2 shown]
	v_ashrrev_i32_e32 v32, 5, v40
	v_cndmask_b32_e32 v60, v24, v21, vcc
	v_cmp_gt_i32_e32 vcc, s5, v31
	v_or_b32_e32 v38, 0xc0, v25
	v_add_u32_e32 v41, s13, v38
	v_cndmask_b32_e32 v62, v24, v32, vcc
	global_load_dwordx4 v[30:33], v[22:23], off offset:2048
	v_lshl_add_u64 v[12:13], v[12:13], 0, v[18:19]
	v_ashrrev_i32_e32 v39, 5, v41
	v_lshl_add_u64 v[10:11], v[10:11], 0, v[50:51]
	v_lshl_add_u64 v[18:19], v[12:13], 0, v[50:51]
	v_cmp_gt_i32_e32 vcc, s5, v38
	v_ashrrev_i32_e32 v63, 31, v62
	v_lshl_add_u64 v[66:67], v[62:63], 2, s[6:7]
	v_cndmask_b32_e32 v64, v24, v39, vcc
	global_load_dwordx4 v[22:25], v[10:11], off
	s_nop 0
	global_load_dwordx4 v[10:13], v[10:11], off offset:2048
	s_nop 0
	global_load_dwordx4 v[38:41], v[18:19], off
	s_nop 0
	global_load_dwordx4 v[18:21], v[18:19], off offset:2048
	s_mov_b32 s33, 0x7060302
	v_ashrrev_i32_e32 v53, 31, v52
	v_ashrrev_i32_e32 v61, 31, v60
	;; [unrolled: 1-line block ×3, first 2 shown]
	v_lshl_add_u64 v[52:53], v[52:53], 2, s[6:7]
	v_lshl_add_u64 v[60:61], v[60:61], 2, s[6:7]
	;; [unrolled: 1-line block ×3, first 2 shown]
	s_add_u32 s6, s10, s12
	s_addc_u32 s7, s11, 0
	v_and_b32_e32 v50, 16, v0
	v_lshl_or_b32 v55, v57, 4, v56
	s_load_dword s4, s[0:1], 0x1c
	s_waitcnt vmcnt(7)
	v_cvt_pk_f32_fp8_e32 v[62:63], v2
	v_cvt_pk_f32_fp8_sdwa v[68:69], v2 src0_sel:WORD_1
	v_cvt_pk_f32_fp8_e32 v[70:71], v3
	v_cvt_pk_f32_fp8_sdwa v[2:3], v3 src0_sel:WORD_1
	v_perm_b32 v72, v63, v62, s33
	v_perm_b32 v73, v69, v68, s33
	global_load_dword v63, v[52:53], off
	global_load_dword v62, v[60:61], off
	s_nop 0
	global_load_dword v60, v[66:67], off
	global_load_dword v61, v[64:65], off
	v_perm_b32 v52, v71, v70, s33
	v_perm_b32 v53, v3, v2, s33
	v_cvt_pk_f32_fp8_e32 v[2:3], v4
	v_cvt_pk_f32_fp8_sdwa v[68:69], v4 src0_sel:WORD_1
	s_waitcnt lgkmcnt(0)
	v_mfma_f32_16x16x16_bf16 v[64:67], v[72:73], v[34:35], 0
	v_cvt_pk_f32_fp8_e32 v[70:71], v5
	v_perm_b32 v2, v3, v2, s33
	v_perm_b32 v3, v69, v68, s33
	v_cvt_pk_f32_fp8_sdwa v[4:5], v5 src0_sel:WORD_1
	v_mfma_f32_16x16x16_bf16 v[64:67], v[52:53], v[36:37], v[64:67]
	v_perm_b32 v52, v71, v70, s33
	s_waitcnt vmcnt(10)
	v_cvt_pk_f32_fp8_e32 v[68:69], v42
	v_cvt_pk_f32_fp8_sdwa v[70:71], v42 src0_sel:WORD_1
	v_perm_b32 v53, v5, v4, s33
	v_mfma_f32_16x16x16_bf16 v[2:5], v[2:3], v[26:27], v[64:67]
	s_waitcnt vmcnt(6)
	v_cvt_pk_f32_fp8_e32 v[72:73], v11
	s_nop 0
	v_perm_b32 v64, v69, v68, s33
	v_perm_b32 v65, v71, v70, s33
	v_cvt_pk_f32_fp8_e32 v[66:67], v43
	v_cvt_pk_f32_fp8_sdwa v[42:43], v43 src0_sel:WORD_1
	v_mfma_f32_16x16x16_bf16 v[2:5], v[52:53], v[28:29], v[2:5]
	v_cvt_pk_f32_fp8_sdwa v[68:69], v30 src0_sel:WORD_1
	v_perm_b32 v52, v67, v66, s33
	v_perm_b32 v53, v43, v42, s33
	v_mfma_f32_16x16x16_bf16 v[2:5], v[64:65], v[14:15], v[2:5]
	v_cvt_pk_f32_fp8_e32 v[42:43], v44
	v_cvt_pk_f32_fp8_sdwa v[64:65], v44 src0_sel:WORD_1
	v_cvt_pk_f32_fp8_sdwa v[66:67], v46 src0_sel:WORD_1
	v_mfma_f32_16x16x16_bf16 v[2:5], v[52:53], v[16:17], v[2:5]
	v_cvt_pk_f32_fp8_e32 v[52:53], v45
	v_perm_b32 v42, v43, v42, s33
	v_perm_b32 v43, v65, v64, s33
	v_cvt_pk_f32_fp8_sdwa v[44:45], v45 src0_sel:WORD_1
	v_cvt_pk_f32_fp8_e32 v[64:65], v46
	v_perm_b32 v52, v53, v52, s33
	v_mfma_f32_16x16x16_bf16 v[2:5], v[42:43], v[6:7], v[2:5]
	v_perm_b32 v53, v45, v44, s33
	v_perm_b32 v64, v65, v64, s33
	v_perm_b32 v65, v67, v66, s33
	v_cvt_pk_f32_fp8_e32 v[66:67], v47
	v_cvt_pk_f32_fp8_sdwa v[46:47], v47 src0_sel:WORD_1
	v_mfma_f32_16x16x16_bf16 v[42:45], v[52:53], v[8:9], v[2:5]
	v_lshl_add_u64 v[52:53], s[6:7], 0, v[50:51]
	v_perm_b32 v66, v67, v66, s33
	v_perm_b32 v67, v47, v46, s33
	v_mfma_f32_16x16x16_bf16 v[2:5], v[64:65], v[34:35], 0
	v_cvt_pk_f32_fp8_e32 v[46:47], v48
	v_cvt_pk_f32_fp8_sdwa v[64:65], v48 src0_sel:WORD_1
	v_lshlrev_b32_e32 v50, 5, v55
	v_mfma_f32_16x16x16_bf16 v[2:5], v[66:67], v[36:37], v[2:5]
	v_cvt_pk_f32_fp8_e32 v[66:67], v49
	v_perm_b32 v46, v47, v46, s33
	v_perm_b32 v47, v65, v64, s33
	v_cvt_pk_f32_fp8_sdwa v[48:49], v49 src0_sel:WORD_1
	v_perm_b32 v64, v67, v66, s33
	v_cvt_pk_f32_fp8_e32 v[66:67], v30
	v_mfma_f32_16x16x16_bf16 v[2:5], v[46:47], v[26:27], v[2:5]
	v_perm_b32 v65, v49, v48, s33
	v_perm_b32 v46, v67, v66, s33
	;; [unrolled: 1-line block ×3, first 2 shown]
	v_cvt_pk_f32_fp8_e32 v[48:49], v31
	v_cvt_pk_f32_fp8_sdwa v[30:31], v31 src0_sel:WORD_1
	v_mfma_f32_16x16x16_bf16 v[2:5], v[64:65], v[28:29], v[2:5]
	v_cvt_pk_f32_fp8_sdwa v[64:65], v22 src0_sel:WORD_1
	v_perm_b32 v48, v49, v48, s33
	v_perm_b32 v49, v31, v30, s33
	v_mfma_f32_16x16x16_bf16 v[2:5], v[46:47], v[14:15], v[2:5]
	v_cvt_pk_f32_fp8_e32 v[30:31], v32
	v_cvt_pk_f32_fp8_sdwa v[46:47], v32 src0_sel:WORD_1
	v_cvt_pk_f32_fp8_sdwa v[78:79], v13 src0_sel:WORD_1
	v_mfma_f32_16x16x16_bf16 v[2:5], v[48:49], v[16:17], v[2:5]
	v_cvt_pk_f32_fp8_e32 v[48:49], v33
	v_perm_b32 v30, v31, v30, s33
	v_perm_b32 v31, v47, v46, s33
	v_cvt_pk_f32_fp8_sdwa v[32:33], v33 src0_sel:WORD_1
	v_perm_b32 v46, v49, v48, s33
	v_cvt_pk_f32_fp8_e32 v[48:49], v22
	v_mfma_f32_16x16x16_bf16 v[2:5], v[30:31], v[6:7], v[2:5]
	v_perm_b32 v47, v33, v32, s33
	v_perm_b32 v30, v49, v48, s33
	;; [unrolled: 1-line block ×3, first 2 shown]
	v_cvt_pk_f32_fp8_e32 v[32:33], v23
	v_cvt_pk_f32_fp8_sdwa v[22:23], v23 src0_sel:WORD_1
	v_mfma_f32_16x16x16_bf16 v[46:49], v[46:47], v[8:9], v[2:5]
	v_lshl_add_u64 v[64:65], v[52:53], 0, v[50:51]
	v_perm_b32 v32, v33, v32, s33
	v_perm_b32 v33, v23, v22, s33
	v_mfma_f32_16x16x16_bf16 v[2:5], v[30:31], v[34:35], 0
	v_cvt_pk_f32_fp8_e32 v[22:23], v24
	v_cvt_pk_f32_fp8_sdwa v[30:31], v24 src0_sel:WORD_1
	s_waitcnt vmcnt(3)
	v_mad_i64_i32 v[66:67], s[6:7], v63, s45, v[64:65]
	v_perm_b32 v22, v23, v22, s33
	v_perm_b32 v23, v31, v30, s33
	v_cvt_pk_f32_fp8_e32 v[30:31], v25
	v_cvt_pk_f32_fp8_sdwa v[24:25], v25 src0_sel:WORD_1
	v_mfma_f32_16x16x16_bf16 v[2:5], v[32:33], v[36:37], v[2:5]
	s_waitcnt vmcnt(2)
	v_mad_i64_i32 v[68:69], s[6:7], v62, s45, v[64:65]
	v_perm_b32 v70, v31, v30, s33
	v_perm_b32 v71, v25, v24, s33
	v_mfma_f32_16x16x16_bf16 v[2:5], v[22:23], v[26:27], v[2:5]
	global_load_dwordx4 v[30:33], v[66:67], off
	global_load_dwordx4 v[22:25], v[68:69], off
	v_cvt_pk_f32_fp8_e32 v[66:67], v10
	s_waitcnt vmcnt(3)
	v_mad_i64_i32 v[68:69], s[6:7], v60, s45, v[64:65]
	v_mfma_f32_16x16x16_bf16 v[2:5], v[70:71], v[28:29], v[2:5]
	v_cvt_pk_f32_fp8_sdwa v[70:71], v10 src0_sel:WORD_1
	v_cvt_pk_f32_fp8_sdwa v[10:11], v11 src0_sel:WORD_1
	v_perm_b32 v66, v67, v66, s33
	s_waitcnt vmcnt(2)
	v_mad_i64_i32 v[74:75], s[6:7], v61, s45, v[64:65]
	v_perm_b32 v67, v71, v70, s33
	v_perm_b32 v70, v73, v72, s33
	;; [unrolled: 1-line block ×3, first 2 shown]
	v_cvt_pk_f32_fp8_e32 v[10:11], v12
	v_cvt_pk_f32_fp8_sdwa v[72:73], v12 src0_sel:WORD_1
	v_mfma_f32_16x16x16_bf16 v[64:67], v[66:67], v[14:15], v[2:5]
	v_or_b32_e32 v50, 0x800, v50
	v_perm_b32 v76, v11, v10, s33
	v_perm_b32 v77, v73, v72, s33
	v_cvt_pk_f32_fp8_e32 v[72:73], v13
	v_mfma_f32_16x16x16_bf16 v[64:67], v[70:71], v[16:17], v[64:67]
	v_lshl_add_u64 v[50:51], v[52:53], 0, v[50:51]
	v_perm_b32 v53, v79, v78, s33
	v_perm_b32 v52, v73, v72, s33
	global_load_dwordx4 v[10:13], v[68:69], off
	global_load_dwordx4 v[2:5], v[74:75], off
	v_mfma_f32_16x16x16_bf16 v[64:67], v[76:77], v[6:7], v[64:67]
	v_cvt_pk_f32_fp8_e32 v[68:69], v38
	v_cvt_pk_f32_fp8_sdwa v[70:71], v38 src0_sel:WORD_1
	v_cvt_pk_f32_fp8_e32 v[72:73], v40
	v_mfma_f32_16x16x16_bf16 v[64:67], v[52:53], v[8:9], v[64:67]
	v_cvt_pk_f32_fp8_e32 v[52:53], v39
	v_perm_b32 v68, v69, v68, s33
	v_perm_b32 v69, v71, v70, s33
	v_cvt_pk_f32_fp8_sdwa v[38:39], v39 src0_sel:WORD_1
	v_perm_b32 v52, v53, v52, s33
	v_cvt_pk_f32_fp8_sdwa v[74:75], v40 src0_sel:WORD_1
	v_mfma_f32_16x16x16_bf16 v[68:71], v[68:69], v[34:35], 0
	v_perm_b32 v53, v39, v38, s33
	v_perm_b32 v38, v73, v72, s33
	;; [unrolled: 1-line block ×3, first 2 shown]
	v_cvt_pk_f32_fp8_e32 v[72:73], v41
	v_cvt_pk_f32_fp8_sdwa v[40:41], v41 src0_sel:WORD_1
	v_mfma_f32_16x16x16_bf16 v[34:37], v[52:53], v[36:37], v[68:71]
	s_load_dword s6, s[40:41], 0x0
	v_perm_b32 v52, v73, v72, s33
	v_perm_b32 v53, v41, v40, s33
	v_mfma_f32_16x16x16_bf16 v[68:71], v[38:39], v[26:27], v[34:37]
	v_cvt_pk_f32_fp8_sdwa v[40:41], v18 src0_sel:WORD_1
	v_mov_b32_e32 v74, s4
	s_waitcnt lgkmcnt(0)
	v_mul_f32_e32 v72, s6, v74
	v_cvt_pk_f32_fp8_e32 v[34:35], v18
	v_pk_mul_f32 v[36:37], v[72:73], v[42:43] op_sel_hi:[0,1]
	v_cvt_pk_f32_fp8_e32 v[42:43], v19
	v_cvt_pk_f32_fp8_sdwa v[18:19], v19 src0_sel:WORD_1
	v_perm_b32 v34, v35, v34, s33
	v_perm_b32 v35, v41, v40, s33
	v_mfma_f32_16x16x16_bf16 v[26:29], v[52:53], v[28:29], v[68:71]
	v_perm_b32 v40, v43, v42, s33
	v_perm_b32 v41, v19, v18, s33
	v_cvt_pk_f32_fp8_e32 v[18:19], v20
	v_cvt_pk_f32_fp8_sdwa v[42:43], v20 src0_sel:WORD_1
	v_mfma_f32_16x16x16_bf16 v[26:29], v[34:35], v[14:15], v[26:29]
	v_cvt_pk_f32_fp8_e32 v[34:35], v21
	v_perm_b32 v18, v19, v18, s33
	v_perm_b32 v19, v43, v42, s33
	v_cvt_pk_f32_fp8_sdwa v[20:21], v21 src0_sel:WORD_1
	v_mfma_f32_16x16x16_bf16 v[14:17], v[40:41], v[16:17], v[26:29]
	s_mov_b32 s40, 0xff7fffff
	v_pk_mul_f32 v[38:39], v[72:73], v[44:45] op_sel_hi:[0,1]
	v_pk_mul_f32 v[52:53], v[72:73], v[46:47] op_sel_hi:[0,1]
	v_perm_b32 v26, v35, v34, s33
	v_perm_b32 v27, v21, v20, s33
	v_mfma_f32_16x16x16_bf16 v[14:17], v[18:19], v[6:7], v[14:17]
	v_pk_mul_f32 v[48:49], v[72:73], v[48:49] op_sel_hi:[0,1]
	v_pk_mul_f32 v[40:41], v[72:73], v[64:65] op_sel_hi:[0,1]
	;; [unrolled: 1-line block ×3, first 2 shown]
	v_mfma_f32_16x16x16_bf16 v[6:9], v[26:27], v[8:9], v[14:17]
	v_mad_i64_i32 v[68:69], s[6:7], v63, s45, v[50:51]
	s_nop 5
	v_pk_mul_f32 v[42:43], v[72:73], v[6:7] op_sel_hi:[0,1]
	v_and_b32_e32 v6, 0xc0, v0
	v_add_u32_e32 v6, s18, v6
	v_lshl_or_b32 v6, v58, 2, v6
	v_pk_mul_f32 v[34:35], v[72:73], v[8:9] op_sel_hi:[0,1]
	v_or_b32_e32 v9, 1, v6
	v_mov_b32_e32 v7, 0xff7fffff
	v_cmp_gt_i32_e64 s[24:25], s5, v6
	v_cmp_gt_i32_e64 s[26:27], s5, v9
	v_or_b32_e32 v14, 3, v6
	v_cndmask_b32_e64 v8, v7, v36, s[24:25]
	v_cndmask_b32_e64 v9, v7, v37, s[26:27]
	v_max3_f32 v8, v8, s40, v9
	v_or_b32_e32 v9, 2, v6
	v_cmp_gt_i32_e64 s[28:29], s5, v9
	v_cmp_gt_i32_e64 s[30:31], s5, v14
	s_nop 0
	v_cndmask_b32_e64 v9, v7, v38, s[28:29]
	v_cndmask_b32_e64 v14, v7, v39, s[30:31]
	v_max3_f32 v8, v8, v9, v14
	v_or_b32_e32 v9, 16, v6
	v_or_b32_e32 v14, 17, v6
	v_cmp_gt_i32_e64 s[34:35], s5, v9
	v_cmp_gt_i32_e64 s[36:37], s5, v14
	s_nop 0
	v_cndmask_b32_e64 v9, v7, v52, s[34:35]
	v_cndmask_b32_e64 v14, v7, v53, s[36:37]
	v_max3_f32 v8, v8, v9, v14
	v_or_b32_e32 v9, 18, v6
	;; [unrolled: 8-line block ×6, first 2 shown]
	v_or_b32_e32 v6, 51, v6
	v_cmp_gt_i32_e32 vcc, s5, v9
	v_cmp_gt_i32_e64 s[4:5], s5, v6
	s_nop 0
	v_cndmask_b32_e32 v9, v7, v34, vcc
	v_cndmask_b32_e64 v6, v7, v35, s[4:5]
	v_max3_f32 v8, v8, v9, v6
	v_mbcnt_lo_u32_b32 v6, -1, 0
	v_mbcnt_hi_u32_b32 v9, -1, v6
	v_and_b32_e32 v6, 64, v9
	v_add_u32_e32 v14, 64, v6
	v_xor_b32_e32 v6, 32, v9
	v_cmp_lt_i32_e64 s[38:39], v6, v14
	s_nop 1
	v_cndmask_b32_e64 v6, v9, v6, s[38:39]
	v_lshlrev_b32_e32 v63, 2, v6
	ds_bpermute_b32 v15, v63, v8
	v_mad_i64_i32 v[6:7], s[38:39], v62, s45, v[50:51]
	global_load_dwordx4 v[26:29], v[68:69], off
	global_load_dwordx4 v[18:21], v[6:7], off
	s_waitcnt lgkmcnt(0)
	v_max_f32_e32 v6, v15, v15
	v_max_f32_e32 v15, v8, v6
	v_xor_b32_e32 v6, 16, v9
	v_cmp_lt_i32_e64 s[38:39], v6, v14
	s_nop 1
	v_cndmask_b32_e64 v6, v9, v6, s[38:39]
	v_lshlrev_b32_e32 v62, 2, v6
	ds_bpermute_b32 v14, v62, v15
	v_mad_i64_i32 v[6:7], s[38:39], v60, s45, v[50:51]
	v_mad_i64_i32 v[8:9], s[38:39], v61, s45, v[50:51]
	s_waitcnt lgkmcnt(0)
	v_max_f32_e32 v14, v14, v14
	v_max_f32_e32 v50, v15, v14
	v_sub_f32_e32 v14, v36, v50
	v_mul_f32_e32 v14, 0x3fb8aa3b, v14
	v_exp_f32_e32 v36, v14
	v_sub_f32_e32 v14, v37, v50
	v_mul_f32_e32 v14, 0x3fb8aa3b, v14
	v_exp_f32_e32 v37, v14
	global_load_dwordx4 v[14:17], v[6:7], off
	s_nop 0
	global_load_dwordx4 v[6:9], v[8:9], off
	v_sub_f32_e32 v38, v38, v50
	v_mul_f32_e32 v38, 0x3fb8aa3b, v38
	v_sub_f32_e32 v39, v39, v50
	v_exp_f32_e32 v38, v38
	v_mul_f32_e32 v39, 0x3fb8aa3b, v39
	v_exp_f32_e32 v39, v39
	v_cndmask_b32_e64 v36, 0, v36, s[24:25]
	v_add_f32_e32 v46, 0, v36
	v_cndmask_b32_e64 v37, 0, v37, s[26:27]
	v_add_f32_e32 v47, v46, v37
	;; [unrolled: 2-line block ×3, first 2 shown]
	v_cndmask_b32_e64 v47, 0, v39, s[30:31]
	v_sub_f32_e32 v39, v52, v50
	v_mul_f32_e32 v39, 0x3fb8aa3b, v39
	v_sub_f32_e32 v51, v53, v50
	v_exp_f32_e32 v39, v39
	v_mul_f32_e32 v51, 0x3fb8aa3b, v51
	v_sub_f32_e32 v48, v48, v50
	v_exp_f32_e32 v51, v51
	;; [unrolled: 3-line block ×4, first 2 shown]
	v_mul_f32_e32 v40, 0x3fb8aa3b, v40
	v_sub_f32_e32 v41, v41, v50
	v_add_f32_e32 v52, v38, v47
	v_cndmask_b32_e64 v38, 0, v39, s[34:35]
	v_exp_f32_e32 v40, v40
	v_mul_f32_e32 v41, 0x3fb8aa3b, v41
	v_sub_f32_e32 v44, v44, v50
	v_add_f32_e32 v52, v52, v38
	v_cndmask_b32_e64 v39, 0, v51, s[36:37]
	v_exp_f32_e32 v41, v41
	;; [unrolled: 5-line block ×7, first 2 shown]
	v_mul_f32_e32 v35, 0x3fb8aa3b, v35
	v_add_f32_e32 v51, v51, v44
	v_cndmask_b32_e64 v45, 0, v45, s[12:13]
	v_exp_f32_e32 v35, v35
	v_add_f32_e32 v51, v51, v45
	v_cndmask_b32_e64 v42, 0, v42, s[6:7]
	v_add_f32_e32 v51, v51, v42
	v_cndmask_b32_e64 v43, 0, v43, s[8:9]
	v_add_f32_e32 v51, v51, v43
	v_cndmask_b32_e32 v34, 0, v34, vcc
	v_add_f32_e32 v51, v51, v34
	v_cndmask_b32_e64 v35, 0, v35, s[4:5]
	v_add_f32_e32 v51, v51, v35
	ds_bpermute_b32 v52, v63, v51
	v_cmp_gt_u32_e32 vcc, 16, v59
	s_waitcnt lgkmcnt(0)
	s_barrier
	v_add_f32_e32 v51, v51, v52
	ds_bpermute_b32 v52, v62, v51
	s_and_saveexec_b64 s[4:5], vcc
	s_cbranch_execz .LBB1354_13
; %bb.12:
	s_waitcnt lgkmcnt(0)
	v_add_f32_e32 v51, v51, v52
	v_lshlrev_b32_e32 v52, 2, v55
	ds_write2st64_b32 v52, v50, v51 offset1:1
.LBB1354_13:
	s_or_b64 exec, exec, s[4:5]
	v_lshlrev_b32_e32 v51, 2, v56
	s_load_dword s6, s[0:1], 0x94
	s_waitcnt lgkmcnt(0)
	s_barrier
	ds_read2_b32 v[52:53], v51 offset1:16
	ds_read2_b32 v[60:61], v51 offset0:32 offset1:48
	ds_read2_b32 v[62:63], v51 offset0:64 offset1:80
	s_movk_i32 s8, 0x7fff
	s_mul_i32 s7, s23, 7
	s_waitcnt lgkmcnt(2)
	v_max3_f32 v50, v52, s40, v53
	s_waitcnt lgkmcnt(1)
	v_max3_f32 v50, v50, v60, v61
	v_sub_f32_e32 v52, v52, v50
	v_mul_f32_e32 v52, 0x3fb8aa3b, v52
	v_exp_f32_e32 v55, v52
	v_sub_f32_e32 v52, v53, v50
	v_mul_f32_e32 v52, 0x3fb8aa3b, v52
	v_exp_f32_e32 v59, v52
	;; [unrolled: 3-line block ×3, first 2 shown]
	ds_read2_b32 v[52:53], v51 offset0:96 offset1:112
	v_sub_f32_e32 v51, v61, v50
	v_mul_f32_e32 v51, 0x3fb8aa3b, v51
	v_exp_f32_e32 v61, v51
	s_waitcnt lgkmcnt(1)
	v_fma_f32 v51, v55, v62, 0
	v_fmac_f32_e32 v51, v59, v63
	s_waitcnt lgkmcnt(0)
	v_fmac_f32_e32 v51, v60, v52
	v_fmac_f32_e32 v51, v61, v53
	v_add_f32_e32 v52, 0x358637bd, v51
	v_div_scale_f32 v53, s[4:5], v52, v52, 1.0
	v_rcp_f32_e32 v62, v53
	s_barrier
	v_fma_f32 v63, -v53, v62, 1.0
	v_fmac_f32_e32 v62, v63, v62
	v_div_scale_f32 v63, vcc, 1.0, v52, 1.0
	v_mul_f32_e32 v64, v63, v62
	v_fma_f32 v65, -v53, v64, v63
	v_fmac_f32_e32 v64, v65, v62
	v_fma_f32 v53, -v53, v64, v63
	v_div_fmas_f32 v53, v53, v62, v64
	v_cmp_eq_u32_e32 vcc, 1, v57
	v_div_fixup_f32 v52, v53, v52, 1.0
	s_nop 0
	v_cndmask_b32_e32 v53, v55, v59, vcc
	v_cmp_eq_u32_e32 vcc, 2, v57
	s_nop 1
	v_cndmask_b32_e32 v53, v53, v60, vcc
	v_cmp_eq_u32_e32 vcc, 3, v57
	s_nop 1
	v_cndmask_b32_e32 v53, v53, v61, vcc
	v_mul_f32_e32 v52, v53, v52
	v_pk_mul_f32 v[36:37], v[52:53], v[36:37] op_sel_hi:[0,1]
	v_pk_mul_f32 v[46:47], v[52:53], v[46:47] op_sel_hi:[0,1]
	v_bfe_u32 v53, v37, 16, 1
	v_bfe_u32 v55, v36, 16, 1
	v_add3_u32 v36, v36, v55, s8
	v_add3_u32 v37, v37, v53, s8
	v_perm_b32 v60, v37, v36, s33
	v_bfe_u32 v36, v47, 16, 1
	v_bfe_u32 v37, v46, 16, 1
	v_add3_u32 v37, v46, v37, s8
	v_add3_u32 v36, v47, v36, s8
	v_perm_b32 v61, v36, v37, s33
	v_lshlrev_b32_e32 v37, 3, v58
	v_lshlrev_b32_e32 v36, 5, v56
	;; [unrolled: 1-line block ×3, first 2 shown]
	v_pk_mul_f32 v[38:39], v[52:53], v[38:39] op_sel_hi:[0,1]
	v_or3_b32 v55, v46, v36, v37
	v_pk_mul_f32 v[46:47], v[52:53], v[48:49] op_sel_hi:[0,1]
	v_bfe_u32 v37, v39, 16, 1
	v_bfe_u32 v48, v38, 16, 1
	v_add3_u32 v38, v38, v48, s8
	v_add3_u32 v37, v39, v37, s8
	v_perm_b32 v38, v37, v38, s33
	v_bfe_u32 v37, v47, 16, 1
	v_bfe_u32 v39, v46, 16, 1
	v_add3_u32 v39, v46, v39, s8
	v_add3_u32 v37, v47, v37, s8
	v_perm_b32 v39, v37, v39, s33
	v_pk_mul_f32 v[40:41], v[52:53], v[40:41] op_sel_hi:[0,1]
	ds_write2st64_b64 v55, v[60:61], v[38:39] offset1:1
	v_pk_mul_f32 v[38:39], v[52:53], v[44:45] op_sel_hi:[0,1]
	v_bfe_u32 v37, v41, 16, 1
	v_bfe_u32 v44, v40, 16, 1
	v_add3_u32 v40, v40, v44, s8
	v_add3_u32 v37, v41, v37, s8
	v_perm_b32 v40, v37, v40, s33
	v_bfe_u32 v37, v39, 16, 1
	v_bfe_u32 v41, v38, 16, 1
	v_add3_u32 v38, v38, v41, s8
	v_add3_u32 v37, v39, v37, s8
	v_perm_b32 v41, v37, v38, s33
	v_pk_mul_f32 v[38:39], v[52:53], v[42:43] op_sel_hi:[0,1]
	v_bfe_u32 v37, v39, 16, 1
	v_bfe_u32 v42, v38, 16, 1
	v_pk_mul_f32 v[34:35], v[52:53], v[34:35] op_sel_hi:[0,1]
	v_add3_u32 v38, v38, v42, s8
	v_add3_u32 v37, v39, v37, s8
	v_perm_b32 v38, v37, v38, s33
	v_bfe_u32 v37, v35, 16, 1
	v_bfe_u32 v39, v34, 16, 1
	v_add3_u32 v34, v34, v39, s8
	v_add3_u32 v35, v35, v37, s8
	v_perm_b32 v39, v35, v34, s33
	v_cmp_gt_u32_e32 vcc, 7, v0
	ds_write2st64_b64 v55, v[40:41], v[38:39] offset0:2 offset1:3
	s_and_saveexec_b64 s[4:5], vcc
	s_cbranch_execz .LBB1354_15
; %bb.14:
	s_mov_b32 s49, 0
	v_mov_b32_e32 v57, 0
	v_lshl_add_u64 v[34:35], s[48:49], 0, v[56:57]
	v_mov_b32_e32 v37, s7
	v_mad_u64_u32 v[34:35], s[10:11], s2, v37, v[34:35]
	s_mul_i32 s3, s3, s7
	v_mov_b32_e32 v38, s22
	v_mov_b32_e32 v39, v57
	s_load_dwordx4 s[12:15], s[0:1], 0x58
	v_add_u32_e32 v37, s3, v35
	v_mad_u64_u32 v[34:35], s[10:11], v34, s6, v[38:39]
	v_mov_b32_e32 v38, v35
	v_mad_u64_u32 v[38:39], s[10:11], v37, s6, v[38:39]
	v_mov_b32_e32 v35, v38
	v_lshlrev_b64 v[34:35], 2, v[34:35]
	s_waitcnt lgkmcnt(0)
	v_lshl_add_u64 v[38:39], s[14:15], 0, v[34:35]
	v_lshl_add_u64 v[34:35], s[12:13], 0, v[34:35]
	global_store_dword v[38:39], v50, off
	global_store_dword v[34:35], v51, off
.LBB1354_15:
	s_or_b64 exec, exec, s[4:5]
	v_lshl_or_b32 v50, v58, 9, v36
	s_waitcnt vmcnt(7)
	v_cvt_pk_f32_fp8_e32 v[34:35], v30
	v_cvt_pk_f32_fp8_sdwa v[36:37], v30 src0_sel:WORD_1
	s_mov_b32 s5, 0x7060302
	s_waitcnt lgkmcnt(0)
	s_barrier
	v_cvt_pk_f32_fp8_e32 v[38:39], v31
	v_perm_b32 v30, v35, v34, s5
	v_cvt_pk_f32_fp8_sdwa v[40:41], v31 src0_sel:WORD_1
	v_perm_b32 v31, v37, v36, s5
	ds_read_b128 v[34:37], v50
	v_perm_b32 v46, v39, v38, s5
	v_perm_b32 v47, v41, v40, s5
	ds_read_b128 v[38:41], v50 offset:16
	v_cvt_pk_f32_fp8_e32 v[48:49], v32
	v_cvt_pk_f32_fp8_sdwa v[52:53], v32 src0_sel:WORD_1
	s_waitcnt lgkmcnt(1)
	v_mfma_f32_16x16x16_bf16 v[42:45], v[30:31], v[34:35], 0
	s_waitcnt vmcnt(6)
	v_cvt_pk_f32_fp8_e32 v[60:61], v24
	v_perm_b32 v30, v49, v48, s5
	v_perm_b32 v31, v53, v52, s5
	v_cvt_pk_f32_fp8_e32 v[48:49], v33
	v_mfma_f32_16x16x16_bf16 v[42:45], v[46:47], v[36:37], v[42:45]
	v_cvt_pk_f32_fp8_sdwa v[46:47], v33 src0_sel:WORD_1
	v_cvt_pk_f32_fp8_sdwa v[62:63], v24 src0_sel:WORD_1
	v_perm_b32 v48, v49, v48, s5
	s_waitcnt lgkmcnt(0)
	v_mfma_f32_16x16x16_bf16 v[30:33], v[30:31], v[38:39], v[42:45]
	v_perm_b32 v49, v47, v46, s5
	s_waitcnt vmcnt(5)
	v_cvt_pk_f32_fp8_e32 v[64:65], v12
	v_cvt_pk_f32_fp8_sdwa v[66:67], v12 src0_sel:WORD_1
	v_cvt_pk_f32_fp8_e32 v[42:43], v22
	v_mfma_f32_16x16x16_bf16 v[46:49], v[48:49], v[40:41], v[30:33]
	s_waitcnt vmcnt(4)
	v_cvt_pk_f32_fp8_sdwa v[68:69], v4 src0_sel:WORD_1
	s_load_dword s4, s[42:43], 0x0
	v_cvt_pk_f32_fp8_sdwa v[30:31], v22 src0_sel:WORD_1
	v_cvt_pk_f32_fp8_e32 v[32:33], v23
	v_perm_b32 v22, v43, v42, s5
	v_cvt_pk_f32_fp8_sdwa v[42:43], v23 src0_sel:WORD_1
	v_perm_b32 v23, v31, v30, s5
	v_perm_b32 v52, v33, v32, s5
	ds_read_b128 v[30:33], v50 offset:2048
	v_perm_b32 v53, v43, v42, s5
	ds_read_b128 v[42:45], v50 offset:2064
	s_waitcnt lgkmcnt(0)
	v_mfma_f32_16x16x16_bf16 v[46:49], v[22:23], v[30:31], v[46:49]
	v_perm_b32 v22, v61, v60, s5
	v_perm_b32 v23, v63, v62, s5
	v_cvt_pk_f32_fp8_e32 v[60:61], v25
	v_mfma_f32_16x16x16_bf16 v[46:49], v[52:53], v[32:33], v[46:49]
	v_cvt_pk_f32_fp8_sdwa v[52:53], v25 src0_sel:WORD_1
	s_waitcnt vmcnt(3)
	v_cvt_pk_f32_fp8_sdwa v[70:71], v28 src0_sel:WORD_1
	v_perm_b32 v60, v61, v60, s5
	v_mfma_f32_16x16x16_bf16 v[22:25], v[22:23], v[42:43], v[46:49]
	v_perm_b32 v61, v53, v52, s5
	s_mov_b32 s3, 0
	v_cmp_gt_u32_e32 vcc, 64, v0
	v_cvt_pk_f32_fp8_e32 v[46:47], v10
	v_mfma_f32_16x16x16_bf16 v[60:63], v[60:61], v[44:45], v[22:25]
	s_nop 2
	v_cvt_pk_f32_fp8_sdwa v[22:23], v10 src0_sel:WORD_1
	v_cvt_pk_f32_fp8_e32 v[24:25], v11
	v_perm_b32 v10, v47, v46, s5
	v_cvt_pk_f32_fp8_sdwa v[46:47], v11 src0_sel:WORD_1
	v_perm_b32 v11, v23, v22, s5
	v_perm_b32 v52, v25, v24, s5
	ds_read_b128 v[22:25], v50 offset:4096
	v_perm_b32 v53, v47, v46, s5
	ds_read_b128 v[46:49], v50 offset:4112
	s_waitcnt lgkmcnt(1)
	v_mfma_f32_16x16x16_bf16 v[60:63], v[10:11], v[22:23], v[60:63]
	v_perm_b32 v10, v65, v64, s5
	v_perm_b32 v11, v67, v66, s5
	v_cvt_pk_f32_fp8_e32 v[64:65], v13
	v_mfma_f32_16x16x16_bf16 v[60:63], v[52:53], v[24:25], v[60:63]
	v_cvt_pk_f32_fp8_sdwa v[52:53], v13 src0_sel:WORD_1
	v_cvt_pk_f32_fp8_e32 v[66:67], v4
	v_perm_b32 v64, v65, v64, s5
	s_waitcnt lgkmcnt(0)
	v_mfma_f32_16x16x16_bf16 v[10:13], v[10:11], v[46:47], v[60:63]
	v_perm_b32 v65, v53, v52, s5
	v_cvt_pk_f32_fp8_e32 v[52:53], v2
	s_nop 0
	v_mfma_f32_16x16x16_bf16 v[60:63], v[64:65], v[48:49], v[10:13]
	s_nop 2
	v_cvt_pk_f32_fp8_sdwa v[10:11], v2 src0_sel:WORD_1
	v_cvt_pk_f32_fp8_e32 v[12:13], v3
	v_perm_b32 v2, v53, v52, s5
	v_cvt_pk_f32_fp8_sdwa v[52:53], v3 src0_sel:WORD_1
	v_perm_b32 v3, v11, v10, s5
	v_perm_b32 v64, v13, v12, s5
	ds_read_b128 v[10:13], v50 offset:6144
	v_perm_b32 v65, v53, v52, s5
	s_waitcnt lgkmcnt(0)
	v_mfma_f32_16x16x16_bf16 v[60:63], v[2:3], v[10:11], v[60:63]
	ds_read_b128 v[50:53], v50 offset:6160
	v_perm_b32 v2, v67, v66, s5
	v_perm_b32 v3, v69, v68, s5
	v_cvt_pk_f32_fp8_e32 v[66:67], v5
	v_mfma_f32_16x16x16_bf16 v[60:63], v[64:65], v[12:13], v[60:63]
	v_cvt_pk_f32_fp8_sdwa v[64:65], v5 src0_sel:WORD_1
	v_cvt_pk_f32_fp8_e32 v[68:69], v28
	v_perm_b32 v66, v67, v66, s5
	s_waitcnt lgkmcnt(0)
	v_mfma_f32_16x16x16_bf16 v[2:5], v[2:3], v[50:51], v[60:63]
	v_perm_b32 v67, v65, v64, s5
	s_barrier
	s_nop 0
	v_mfma_f32_16x16x16_bf16 v[60:63], v[66:67], v[52:53], v[2:5]
	s_nop 2
	v_cvt_pk_f32_fp8_e32 v[4:5], v26
	v_perm_b32 v4, v5, v4, s5
	s_nop 1
	v_pk_mul_f32 v[2:3], v[62:63], s[4:5] op_sel_hi:[1,0]
	v_cvt_pk_f32_fp8_sdwa v[62:63], v26 src0_sel:WORD_1
	v_pk_mul_f32 v[64:65], v[60:61], s[4:5] op_sel_hi:[1,0]
	v_cvt_pk_f32_fp8_e32 v[60:61], v27
	v_cvt_pk_f32_fp8_sdwa v[26:27], v27 src0_sel:WORD_1
	v_perm_b32 v5, v63, v62, s5
	v_bfe_u32 v57, v65, 16, 1
	v_perm_b32 v66, v61, v60, s5
	v_perm_b32 v67, v27, v26, s5
	v_mfma_f32_16x16x16_bf16 v[60:63], v[4:5], v[34:35], 0
	v_perm_b32 v4, v69, v68, s5
	v_perm_b32 v5, v71, v70, s5
	v_cvt_pk_f32_fp8_e32 v[34:35], v29
	v_cvt_pk_f32_fp8_sdwa v[68:69], v29 src0_sel:WORD_1
	v_mfma_f32_16x16x16_bf16 v[26:29], v[66:67], v[36:37], v[60:63]
	s_waitcnt vmcnt(2)
	v_cvt_pk_f32_fp8_sdwa v[36:37], v18 src0_sel:WORD_1
	v_perm_b32 v34, v35, v34, s5
	v_perm_b32 v35, v69, v68, s5
	v_mfma_f32_16x16x16_bf16 v[26:29], v[4:5], v[38:39], v[26:29]
	v_cvt_pk_f32_fp8_e32 v[4:5], v18
	v_cvt_pk_f32_fp8_sdwa v[38:39], v20 src0_sel:WORD_1
	v_bfe_u32 v59, v64, 16, 1
	v_mfma_f32_16x16x16_bf16 v[26:29], v[34:35], v[40:41], v[26:29]
	v_cvt_pk_f32_fp8_e32 v[34:35], v19
	v_perm_b32 v4, v5, v4, s5
	v_perm_b32 v5, v37, v36, s5
	v_cvt_pk_f32_fp8_sdwa v[18:19], v19 src0_sel:WORD_1
	v_perm_b32 v34, v35, v34, s5
	v_cvt_pk_f32_fp8_e32 v[36:37], v20
	v_mfma_f32_16x16x16_bf16 v[26:29], v[4:5], v[30:31], v[26:29]
	v_perm_b32 v35, v19, v18, s5
	v_perm_b32 v4, v37, v36, s5
	;; [unrolled: 1-line block ×3, first 2 shown]
	v_cvt_pk_f32_fp8_e32 v[30:31], v21
	v_cvt_pk_f32_fp8_sdwa v[36:37], v21 src0_sel:WORD_1
	v_mfma_f32_16x16x16_bf16 v[18:21], v[34:35], v[32:33], v[26:29]
	v_add3_u32 v32, v64, v59, s8
	v_add3_u32 v33, v65, v57, s8
	s_nop 0
	v_perm_b32 v26, v31, v30, s5
	v_perm_b32 v27, v37, v36, s5
	v_mfma_f32_16x16x16_bf16 v[18:21], v[4:5], v[42:43], v[18:21]
	s_waitcnt vmcnt(1)
	v_cvt_pk_f32_fp8_e32 v[4:5], v14
	v_cvt_pk_f32_fp8_sdwa v[28:29], v14 src0_sel:WORD_1
	v_cvt_pk_f32_fp8_sdwa v[30:31], v16 src0_sel:WORD_1
	v_mfma_f32_16x16x16_bf16 v[18:21], v[26:27], v[44:45], v[18:21]
	v_cvt_pk_f32_fp8_e32 v[26:27], v15
	v_perm_b32 v4, v5, v4, s5
	v_perm_b32 v5, v29, v28, s5
	v_cvt_pk_f32_fp8_sdwa v[14:15], v15 src0_sel:WORD_1
	v_perm_b32 v26, v27, v26, s5
	v_cvt_pk_f32_fp8_e32 v[28:29], v16
	v_mfma_f32_16x16x16_bf16 v[18:21], v[4:5], v[22:23], v[18:21]
	v_perm_b32 v27, v15, v14, s5
	v_perm_b32 v4, v29, v28, s5
	;; [unrolled: 1-line block ×3, first 2 shown]
	v_cvt_pk_f32_fp8_e32 v[22:23], v17
	v_cvt_pk_f32_fp8_sdwa v[28:29], v17 src0_sel:WORD_1
	v_mfma_f32_16x16x16_bf16 v[14:17], v[26:27], v[24:25], v[18:21]
	s_waitcnt vmcnt(0)
	v_cvt_pk_f32_fp8_sdwa v[24:25], v8 src0_sel:WORD_1
	s_nop 0
	v_perm_b32 v20, v23, v22, s5
	v_perm_b32 v21, v29, v28, s5
	v_mfma_f32_16x16x16_bf16 v[14:17], v[4:5], v[46:47], v[14:17]
	v_cvt_pk_f32_fp8_e32 v[4:5], v6
	v_cvt_pk_f32_fp8_sdwa v[22:23], v6 src0_sel:WORD_1
	v_bfe_u32 v19, v3, 16, 1
	v_mfma_f32_16x16x16_bf16 v[14:17], v[20:21], v[48:49], v[14:17]
	v_cvt_pk_f32_fp8_e32 v[20:21], v7
	v_perm_b32 v4, v5, v4, s5
	v_perm_b32 v5, v23, v22, s5
	v_cvt_pk_f32_fp8_sdwa v[6:7], v7 src0_sel:WORD_1
	v_perm_b32 v20, v21, v20, s5
	v_cvt_pk_f32_fp8_e32 v[22:23], v8
	v_add3_u32 v3, v3, v19, s8
	v_perm_b32 v21, v7, v6, s5
	v_mfma_f32_16x16x16_bf16 v[4:7], v[4:5], v[10:11], v[14:17]
	v_perm_b32 v10, v23, v22, s5
	v_perm_b32 v11, v25, v24, s5
	;; [unrolled: 1-line block ×3, first 2 shown]
	v_cvt_pk_f32_fp8_e32 v[14:15], v9
	v_cvt_pk_f32_fp8_sdwa v[8:9], v9 src0_sel:WORD_1
	v_mfma_f32_16x16x16_bf16 v[4:7], v[20:21], v[12:13], v[4:7]
	v_bfe_u32 v16, v2, 16, 1
	v_perm_b32 v12, v15, v14, s5
	v_perm_b32 v13, v9, v8, s5
	v_mfma_f32_16x16x16_bf16 v[4:7], v[10:11], v[50:51], v[4:7]
	v_add3_u32 v2, v2, v16, s8
	v_perm_b32 v19, v3, v2, s5
	v_mfma_f32_16x16x16_bf16 v[2:5], v[12:13], v[52:53], v[4:7]
	s_nop 6
	v_pk_mul_f32 v[2:3], v[2:3], s[4:5] op_sel_hi:[1,0]
	v_pk_mul_f32 v[4:5], v[4:5], s[4:5] op_sel_hi:[1,0]
	v_bfe_u32 v6, v3, 16, 1
	v_bfe_u32 v7, v2, 16, 1
	v_add3_u32 v2, v2, v7, s8
	v_add3_u32 v3, v3, v6, s8
	v_perm_b32 v2, v3, v2, s5
	v_bfe_u32 v3, v5, 16, 1
	v_bfe_u32 v6, v4, 16, 1
	v_add3_u32 v4, v4, v6, s8
	v_add3_u32 v3, v5, v3, s8
	v_perm_b32 v3, v3, v4, s5
	ds_write2st64_b64 v55, v[18:19], v[2:3] offset1:1
	s_waitcnt lgkmcnt(0)
	s_barrier
	s_and_saveexec_b64 s[4:5], vcc
	s_cbranch_execz .LBB1354_18
; %bb.16:
	s_load_dwordx2 s[4:5], s[0:1], 0x68
	s_lshl_b32 s0, s6, 7
	s_mul_i32 s1, s7, s2
	v_lshlrev_b32_e32 v3, 6, v56
	s_mul_hi_u32 s7, s1, s0
	s_mul_i32 s6, s1, s0
	v_lshl_or_b32 v0, v0, 10, v3
	s_lshl_b64 s[6:7], s[6:7], 1
	v_lshlrev_b32_e32 v2, 5, v58
	v_and_b32_e32 v1, 16, v1
	v_and_b32_e32 v0, 0x1a00, v0
	s_waitcnt lgkmcnt(0)
	s_add_u32 s1, s4, s6
	v_or3_b32 v2, v0, v2, v1
	s_addc_u32 s4, s5, s7
	s_lshl_b32 s2, s22, 7
	s_lshl_b64 s[2:3], s[2:3], 1
	ds_read_b128 v[4:7], v2
	s_add_u32 s2, s1, s2
	s_addc_u32 s3, s4, s3
	v_mov_b32_e32 v55, 0
	v_add_u32_e32 v3, s48, v58
	v_lshl_add_u64 v[0:1], s[2:3], 0, v[54:55]
	v_mad_u64_u32 v[8:9], s[2:3], v3, s0, 0
	v_lshl_add_u64 v[8:9], v[8:9], 1, v[0:1]
	v_cmp_ne_u32_e32 vcc, 3, v58
	s_waitcnt lgkmcnt(0)
	global_store_dwordx4 v[8:9], v[4:7], off
	s_and_b64 exec, exec, vcc
	s_cbranch_execz .LBB1354_18
; %bb.17:
	ds_read_b128 v[2:5], v2 offset:128
	v_add3_u32 v6, s48, v58, 4
	v_mad_u64_u32 v[6:7], s[0:1], v6, s0, 0
	v_lshl_add_u64 v[0:1], v[6:7], 1, v[0:1]
	s_waitcnt lgkmcnt(0)
	global_store_dwordx4 v[0:1], v[2:5], off
.LBB1354_18:
	s_endpgm
	.section	.rodata,"a",@progbits
	.p2align	6, 0x0
	.amdhsa_kernel _Z39paged_attention_ll4mi_QKV_mfma16_kernelI14__hip_bfloat16hLN4vllm18Fp8KVCacheDataTypeE1EhLi32ELi128ELi256ELb0ELi7EEvPKT_PKT0_S8_ifPKiSA_SA_iPKfiiiPfSD_PS3_PT2_iSC_SC_
		.amdhsa_group_segment_fixed_size 8192
		.amdhsa_private_segment_fixed_size 0
		.amdhsa_kernarg_size 400
		.amdhsa_user_sgpr_count 2
		.amdhsa_user_sgpr_dispatch_ptr 0
		.amdhsa_user_sgpr_queue_ptr 0
		.amdhsa_user_sgpr_kernarg_segment_ptr 1
		.amdhsa_user_sgpr_dispatch_id 0
		.amdhsa_user_sgpr_kernarg_preload_length 0
		.amdhsa_user_sgpr_kernarg_preload_offset 0
		.amdhsa_user_sgpr_private_segment_size 0
		.amdhsa_uses_dynamic_stack 0
		.amdhsa_enable_private_segment 0
		.amdhsa_system_sgpr_workgroup_id_x 1
		.amdhsa_system_sgpr_workgroup_id_y 1
		.amdhsa_system_sgpr_workgroup_id_z 1
		.amdhsa_system_sgpr_workgroup_info 0
		.amdhsa_system_vgpr_workitem_id 0
		.amdhsa_next_free_vgpr 80
		.amdhsa_next_free_sgpr 50
		.amdhsa_accum_offset 80
		.amdhsa_reserve_vcc 1
		.amdhsa_float_round_mode_32 0
		.amdhsa_float_round_mode_16_64 0
		.amdhsa_float_denorm_mode_32 3
		.amdhsa_float_denorm_mode_16_64 3
		.amdhsa_dx10_clamp 1
		.amdhsa_ieee_mode 1
		.amdhsa_fp16_overflow 0
		.amdhsa_tg_split 0
		.amdhsa_exception_fp_ieee_invalid_op 0
		.amdhsa_exception_fp_denorm_src 0
		.amdhsa_exception_fp_ieee_div_zero 0
		.amdhsa_exception_fp_ieee_overflow 0
		.amdhsa_exception_fp_ieee_underflow 0
		.amdhsa_exception_fp_ieee_inexact 0
		.amdhsa_exception_int_div_zero 0
	.end_amdhsa_kernel
	.section	.text._Z39paged_attention_ll4mi_QKV_mfma16_kernelI14__hip_bfloat16hLN4vllm18Fp8KVCacheDataTypeE1EhLi32ELi128ELi256ELb0ELi7EEvPKT_PKT0_S8_ifPKiSA_SA_iPKfiiiPfSD_PS3_PT2_iSC_SC_,"axG",@progbits,_Z39paged_attention_ll4mi_QKV_mfma16_kernelI14__hip_bfloat16hLN4vllm18Fp8KVCacheDataTypeE1EhLi32ELi128ELi256ELb0ELi7EEvPKT_PKT0_S8_ifPKiSA_SA_iPKfiiiPfSD_PS3_PT2_iSC_SC_,comdat
.Lfunc_end1354:
	.size	_Z39paged_attention_ll4mi_QKV_mfma16_kernelI14__hip_bfloat16hLN4vllm18Fp8KVCacheDataTypeE1EhLi32ELi128ELi256ELb0ELi7EEvPKT_PKT0_S8_ifPKiSA_SA_iPKfiiiPfSD_PS3_PT2_iSC_SC_, .Lfunc_end1354-_Z39paged_attention_ll4mi_QKV_mfma16_kernelI14__hip_bfloat16hLN4vllm18Fp8KVCacheDataTypeE1EhLi32ELi128ELi256ELb0ELi7EEvPKT_PKT0_S8_ifPKiSA_SA_iPKfiiiPfSD_PS3_PT2_iSC_SC_
                                        ; -- End function
	.section	.AMDGPU.csdata,"",@progbits
; Kernel info:
; codeLenInByte = 6384
; NumSgprs: 56
; NumVgprs: 80
; NumAgprs: 0
; TotalNumVgprs: 80
; ScratchSize: 0
; MemoryBound: 0
; FloatMode: 240
; IeeeMode: 1
; LDSByteSize: 8192 bytes/workgroup (compile time only)
; SGPRBlocks: 6
; VGPRBlocks: 9
; NumSGPRsForWavesPerEU: 56
; NumVGPRsForWavesPerEU: 80
; AccumOffset: 80
; Occupancy: 6
; WaveLimiterHint : 1
; COMPUTE_PGM_RSRC2:SCRATCH_EN: 0
; COMPUTE_PGM_RSRC2:USER_SGPR: 2
; COMPUTE_PGM_RSRC2:TRAP_HANDLER: 0
; COMPUTE_PGM_RSRC2:TGID_X_EN: 1
; COMPUTE_PGM_RSRC2:TGID_Y_EN: 1
; COMPUTE_PGM_RSRC2:TGID_Z_EN: 1
; COMPUTE_PGM_RSRC2:TIDIG_COMP_CNT: 0
; COMPUTE_PGM_RSRC3_GFX90A:ACCUM_OFFSET: 19
; COMPUTE_PGM_RSRC3_GFX90A:TG_SPLIT: 0
	.section	.text._Z39paged_attention_ll4mi_QKV_mfma16_kernelI14__hip_bfloat16hLN4vllm18Fp8KVCacheDataTypeE1EhLi32ELi128ELi256ELb0ELi8EEvPKT_PKT0_S8_ifPKiSA_SA_iPKfiiiPfSD_PS3_PT2_iSC_SC_,"axG",@progbits,_Z39paged_attention_ll4mi_QKV_mfma16_kernelI14__hip_bfloat16hLN4vllm18Fp8KVCacheDataTypeE1EhLi32ELi128ELi256ELb0ELi8EEvPKT_PKT0_S8_ifPKiSA_SA_iPKfiiiPfSD_PS3_PT2_iSC_SC_,comdat
	.protected	_Z39paged_attention_ll4mi_QKV_mfma16_kernelI14__hip_bfloat16hLN4vllm18Fp8KVCacheDataTypeE1EhLi32ELi128ELi256ELb0ELi8EEvPKT_PKT0_S8_ifPKiSA_SA_iPKfiiiPfSD_PS3_PT2_iSC_SC_ ; -- Begin function _Z39paged_attention_ll4mi_QKV_mfma16_kernelI14__hip_bfloat16hLN4vllm18Fp8KVCacheDataTypeE1EhLi32ELi128ELi256ELb0ELi8EEvPKT_PKT0_S8_ifPKiSA_SA_iPKfiiiPfSD_PS3_PT2_iSC_SC_
	.globl	_Z39paged_attention_ll4mi_QKV_mfma16_kernelI14__hip_bfloat16hLN4vllm18Fp8KVCacheDataTypeE1EhLi32ELi128ELi256ELb0ELi8EEvPKT_PKT0_S8_ifPKiSA_SA_iPKfiiiPfSD_PS3_PT2_iSC_SC_
	.p2align	8
	.type	_Z39paged_attention_ll4mi_QKV_mfma16_kernelI14__hip_bfloat16hLN4vllm18Fp8KVCacheDataTypeE1EhLi32ELi128ELi256ELb0ELi8EEvPKT_PKT0_S8_ifPKiSA_SA_iPKfiiiPfSD_PS3_PT2_iSC_SC_,@function
_Z39paged_attention_ll4mi_QKV_mfma16_kernelI14__hip_bfloat16hLN4vllm18Fp8KVCacheDataTypeE1EhLi32ELi128ELi256ELb0ELi8EEvPKT_PKT0_S8_ifPKiSA_SA_iPKfiiiPfSD_PS3_PT2_iSC_SC_: ; @_Z39paged_attention_ll4mi_QKV_mfma16_kernelI14__hip_bfloat16hLN4vllm18Fp8KVCacheDataTypeE1EhLi32ELi128ELi256ELb0ELi8EEvPKT_PKT0_S8_ifPKiSA_SA_iPKfiiiPfSD_PS3_PT2_iSC_SC_
; %bb.0:
	s_load_dwordx2 s[12:13], s[0:1], 0x30
	s_mov_b32 s22, s3
	s_mov_b64 s[6:7], 0
	s_waitcnt lgkmcnt(0)
	s_cmp_lg_u64 s[12:13], 0
	s_cselect_b64 s[14:15], -1, 0
	s_and_b64 vcc, exec, s[14:15]
	s_cbranch_vccz .LBB1355_7
; %bb.1:
	s_add_i32 s8, s2, 1
	s_mov_b32 s9, 0
	s_lshl_b64 s[10:11], s[8:9], 2
	s_add_u32 s10, s12, s10
	s_mov_b32 s3, s9
	s_addc_u32 s11, s13, s11
	s_lshl_b64 s[8:9], s[2:3], 2
	s_add_u32 s8, s12, s8
	s_addc_u32 s9, s13, s9
	s_load_dword s5, s[10:11], 0x0
	s_load_dword s16, s[8:9], 0x0
	s_waitcnt lgkmcnt(0)
	s_sub_i32 s5, s5, s16
	s_cmp_eq_u32 s5, 1
	s_cselect_b64 s[8:9], -1, 0
	s_andn2_b64 vcc, exec, s[6:7]
	s_cbranch_vccnz .LBB1355_3
.LBB1355_2:
	s_mov_b32 s3, 0
	s_mov_b64 s[8:9], -1
.LBB1355_3:
	s_andn2_b64 vcc, exec, s[8:9]
	s_cbranch_vccnz .LBB1355_17
; %bb.4:
	s_load_dwordx2 s[6:7], s[0:1], 0x28
	s_lshl_b64 s[16:17], s[2:3], 2
	s_waitcnt lgkmcnt(0)
	s_add_u32 s6, s6, s16
	s_addc_u32 s7, s7, s17
	s_load_dword s38, s[6:7], 0x0
	s_lshl_b32 s18, s22, 8
	s_waitcnt lgkmcnt(0)
	s_cmp_ge_i32 s18, s38
	s_cbranch_scc1 .LBB1355_17
; %bb.5:
	s_load_dwordx2 s[6:7], s[0:1], 0x20
	s_load_dword s8, s[0:1], 0x38
	s_add_i32 s5, s38, 31
	s_ashr_i32 s9, s5, 31
	v_and_b32_e32 v1, 0xcf, v0
	s_lshr_b32 s9, s9, 27
	v_add_u32_e32 v1, s18, v1
	s_add_i32 s5, s5, s9
	v_ashrrev_i32_e32 v2, 31, v1
	s_ashr_i32 s5, s5, 5
	v_lshrrev_b32_e32 v10, 27, v2
	s_add_i32 s5, s5, -1
	s_waitcnt lgkmcnt(0)
	s_mul_i32 s8, s2, s8
	s_mov_b32 s9, 0
	v_add_u32_e32 v2, v1, v10
	s_lshl_b64 s[8:9], s[8:9], 2
	v_ashrrev_i32_e32 v2, 5, v2
	v_mov_b32_e32 v11, s5
	v_cmp_gt_i32_e32 vcc, s38, v1
	s_add_u32 s6, s6, s8
	s_addc_u32 s7, s7, s9
	v_cndmask_b32_e32 v2, v11, v2, vcc
	v_ashrrev_i32_e32 v3, 31, v2
	v_lshl_add_u64 v[4:5], v[2:3], 2, s[6:7]
	v_or_b32_e32 v2, 16, v1
	v_add_u32_e32 v3, v2, v10
	v_ashrrev_i32_e32 v3, 5, v3
	v_cmp_gt_i32_e32 vcc, s38, v2
	s_load_dwordx4 s[8:11], s[0:1], 0x8
	s_nop 0
	v_cndmask_b32_e32 v2, v11, v3, vcc
	v_ashrrev_i32_e32 v3, 31, v2
	v_lshl_add_u64 v[6:7], v[2:3], 2, s[6:7]
	v_or_b32_e32 v2, 32, v1
	v_add_u32_e32 v3, v2, v10
	v_ashrrev_i32_e32 v3, 5, v3
	v_cmp_gt_i32_e32 vcc, s38, v2
	v_or_b32_e32 v1, 48, v1
	s_nop 0
	v_cndmask_b32_e32 v2, v11, v3, vcc
	v_ashrrev_i32_e32 v3, 31, v2
	v_lshl_add_u64 v[8:9], v[2:3], 2, s[6:7]
	v_add_u32_e32 v2, v1, v10
	v_ashrrev_i32_e32 v2, 5, v2
	v_cmp_gt_i32_e32 vcc, s38, v1
	s_nop 1
	v_cndmask_b32_e32 v2, v11, v2, vcc
	v_ashrrev_i32_e32 v3, 31, v2
	v_lshl_add_u64 v[10:11], v[2:3], 2, s[6:7]
	global_load_dword v2, v[4:5], off
	global_load_dword v32, v[6:7], off
	;; [unrolled: 1-line block ×4, first 2 shown]
	s_andn2_b64 vcc, exec, s[14:15]
	s_cbranch_vccnz .LBB1355_8
; %bb.6:
	s_add_u32 s12, s12, s16
	s_addc_u32 s13, s13, s17
	s_load_dword s14, s[12:13], 0x0
	s_branch .LBB1355_9
.LBB1355_7:
	s_mov_b64 s[8:9], 0
	s_branch .LBB1355_2
.LBB1355_8:
	s_mov_b32 s14, s2
.LBB1355_9:
	s_load_dwordx4 s[44:47], s[0:1], 0x48
	v_and_b32_e32 v60, 15, v0
	v_lshlrev_b32_e32 v3, 3, v60
	s_movk_i32 s12, 0x80
	v_lshrrev_b32_e32 v62, 6, v0
	v_and_b32_e32 v63, 63, v0
	v_bfe_u32 v1, v0, 4, 2
	s_lshl_b32 s23, s4, 3
	v_cmp_gt_u32_e32 vcc, s12, v0
	v_lshlrev_b32_e32 v54, 1, v3
	v_lshlrev_b32_e32 v61, 4, v0
	s_and_saveexec_b64 s[12:13], vcc
	s_cbranch_execz .LBB1355_11
; %bb.10:
	s_load_dwordx2 s[16:17], s[0:1], 0x0
	s_waitcnt lgkmcnt(0)
	s_ashr_i32 s15, s44, 31
	s_mul_hi_u32 s19, s14, s44
	s_mul_i32 s15, s14, s15
	s_add_i32 s15, s19, s15
	s_mul_i32 s14, s14, s44
	v_lshl_or_b32 v3, v62, 2, v1
	s_lshl_b64 s[14:15], s[14:15], 1
	s_add_u32 s14, s16, s14
	v_add_lshl_u32 v4, v3, s23, 7
	s_addc_u32 s15, s17, s15
	v_ashrrev_i32_e32 v5, 31, v4
	v_lshl_add_u64 v[4:5], v[4:5], 1, s[14:15]
	v_mov_b32_e32 v55, 0
	v_lshl_add_u64 v[4:5], v[4:5], 0, v[54:55]
	global_load_dwordx4 v[4:7], v[4:5], off
	v_lshlrev_b32_e32 v9, 8, v0
	v_lshlrev_b32_e32 v8, 8, v60
	v_and_b32_e32 v9, 0x600, v9
	s_movk_i32 s14, 0x800
	v_and_or_b32 v8, v8, s14, v9
	v_lshlrev_b32_e32 v3, 5, v3
	v_and_b32_e32 v9, 16, v61
	v_or3_b32 v3, v8, v3, v9
	s_waitcnt vmcnt(0)
	ds_write_b128 v3, v[4:7]
.LBB1355_11:
	s_or_b64 exec, exec, s[12:13]
	s_waitcnt lgkmcnt(0)
	s_mul_i32 s4, s4, s46
	s_add_u32 s8, s8, s4
	s_addc_u32 s9, s9, 0
	v_mov_b32_e32 v57, 0
	v_mov_b64_e32 v[24:25], s[8:9]
	v_and_b32_e32 v6, 48, v0
	s_waitcnt vmcnt(3)
	v_mad_i64_i32 v[2:3], s[8:9], v2, s45, v[24:25]
	v_lshlrev_b32_e32 v22, 4, v60
	v_mov_b32_e32 v23, v57
	v_lshlrev_b32_e32 v56, 5, v6
	v_lshl_add_u64 v[2:3], v[2:3], 0, v[22:23]
	v_lshl_add_u64 v[2:3], v[2:3], 0, v[56:57]
	s_load_dword s33, s[0:1], 0x98
	s_load_dwordx4 s[40:43], s[0:1], 0x80
	s_waitcnt lgkmcnt(0)
	s_barrier
	global_load_dwordx4 v[10:13], v[2:3], off
	v_and_b32_e32 v7, 7, v0
	global_load_dwordx4 v[2:5], v[2:3], off offset:2048
	v_or_b32_e32 v34, 0x100, v22
	v_mov_b32_e32 v35, v57
	s_waitcnt vmcnt(4)
	v_mad_i64_i32 v[32:33], s[12:13], v32, s45, v[24:25]
	v_lshlrev_b32_e32 v7, 5, v7
	s_waitcnt vmcnt(3)
	v_mad_i64_i32 v[36:37], s[12:13], v30, s45, v[24:25]
	s_waitcnt vmcnt(2)
	v_mad_i64_i32 v[24:25], s[12:13], v31, s45, v[24:25]
	v_lshl_add_u64 v[30:31], v[32:33], 0, v[34:35]
	v_or_b32_e32 v39, s18, v6
	v_lshl_or_b32 v6, v1, 9, v7
	v_lshl_add_u64 v[30:31], v[30:31], 0, v[56:57]
	ds_read_b128 v[26:29], v6
	ds_read_b128 v[18:21], v6 offset:16
	ds_read_b128 v[14:17], v6 offset:2048
	;; [unrolled: 1-line block ×3, first 2 shown]
	global_load_dwordx4 v[50:53], v[30:31], off
	v_mov_b32_e32 v38, s5
	s_ashr_i32 s5, s18, 31
	s_lshr_b32 s5, s5, 27
	v_or_b32_e32 v40, 64, v39
	v_add_u32_e32 v32, s5, v39
	v_or_b32_e32 v41, 0x80, v39
	v_add_u32_e32 v33, s5, v40
	v_ashrrev_i32_e32 v32, 5, v32
	v_cmp_gt_i32_e32 vcc, s38, v39
	v_or_b32_e32 v42, 0xc0, v39
	v_add_u32_e32 v43, s5, v41
	v_ashrrev_i32_e32 v33, 5, v33
	v_cndmask_b32_e32 v46, v38, v32, vcc
	v_cmp_gt_i32_e32 vcc, s38, v40
	v_add_u32_e32 v44, s5, v42
	v_lshl_add_u64 v[22:23], v[36:37], 0, v[22:23]
	v_lshl_add_u64 v[24:25], v[24:25], 0, v[34:35]
	v_ashrrev_i32_e32 v43, 5, v43
	v_cndmask_b32_e32 v48, v38, v33, vcc
	v_cmp_gt_i32_e32 vcc, s38, v41
	v_ashrrev_i32_e32 v44, 5, v44
	v_lshl_add_u64 v[34:35], v[22:23], 0, v[56:57]
	v_lshl_add_u64 v[36:37], v[24:25], 0, v[56:57]
	v_cndmask_b32_e32 v58, v38, v43, vcc
	v_cmp_gt_i32_e32 vcc, s38, v42
	v_ashrrev_i32_e32 v47, 31, v46
	v_ashrrev_i32_e32 v49, 31, v48
	v_cndmask_b32_e32 v64, v38, v44, vcc
	global_load_dwordx4 v[30:33], v[30:31], off offset:2048
	s_nop 0
	global_load_dwordx4 v[22:25], v[34:35], off
	global_load_dwordx4 v[42:45], v[34:35], off offset:2048
	global_load_dwordx4 v[38:41], v[36:37], off
	s_nop 0
	global_load_dwordx4 v[34:37], v[36:37], off offset:2048
	v_ashrrev_i32_e32 v59, 31, v58
	v_ashrrev_i32_e32 v65, 31, v64
	v_lshl_add_u64 v[46:47], v[46:47], 2, s[6:7]
	v_lshl_add_u64 v[48:49], v[48:49], 2, s[6:7]
	;; [unrolled: 1-line block ×4, first 2 shown]
	global_load_dword v67, v[46:47], off
	global_load_dword v66, v[48:49], off
	;; [unrolled: 1-line block ×4, first 2 shown]
	s_mov_b32 s44, 0x7060302
	s_add_u32 s4, s10, s4
	s_addc_u32 s5, s11, 0
	v_and_b32_e32 v56, 16, v0
	v_lshl_or_b32 v55, v62, 4, v60
	s_load_dword s8, s[0:1], 0x1c
	s_waitcnt vmcnt(11)
	v_cvt_pk_f32_fp8_e32 v[46:47], v10
	v_cvt_pk_f32_fp8_sdwa v[48:49], v10 src0_sel:WORD_1
	v_cvt_pk_f32_fp8_e32 v[58:59], v11
	v_cvt_pk_f32_fp8_sdwa v[10:11], v11 src0_sel:WORD_1
	v_perm_b32 v46, v47, v46, s44
	v_perm_b32 v47, v49, v48, s44
	v_cvt_pk_f32_fp8_e32 v[68:69], v12
	v_cvt_pk_f32_fp8_sdwa v[70:71], v12 src0_sel:WORD_1
	v_perm_b32 v58, v59, v58, s44
	v_perm_b32 v59, v11, v10, s44
	s_waitcnt lgkmcnt(0)
	v_mfma_f32_16x16x16_bf16 v[46:49], v[46:47], v[26:27], 0
	v_cvt_pk_f32_fp8_e32 v[72:73], v13
	v_cvt_pk_f32_fp8_sdwa v[74:75], v13 src0_sel:WORD_1
	v_perm_b32 v68, v69, v68, s44
	v_perm_b32 v69, v71, v70, s44
	v_mfma_f32_16x16x16_bf16 v[10:13], v[58:59], v[28:29], v[46:49]
	s_waitcnt vmcnt(10)
	v_cvt_pk_f32_fp8_sdwa v[58:59], v2 src0_sel:WORD_1
	s_waitcnt vmcnt(6)
	v_cvt_pk_f32_fp8_sdwa v[78:79], v44 src0_sel:WORD_1
	v_cvt_pk_f32_fp8_e32 v[46:47], v2
	v_perm_b32 v48, v73, v72, s44
	v_perm_b32 v49, v75, v74, s44
	v_mfma_f32_16x16x16_bf16 v[10:13], v[68:69], v[18:19], v[10:13]
	v_cvt_pk_f32_fp8_e32 v[68:69], v3
	v_perm_b32 v46, v47, v46, s44
	v_perm_b32 v47, v59, v58, s44
	v_cvt_pk_f32_fp8_sdwa v[2:3], v3 src0_sel:WORD_1
	v_mfma_f32_16x16x16_bf16 v[10:13], v[48:49], v[20:21], v[10:13]
	v_perm_b32 v48, v69, v68, s44
	v_cvt_pk_f32_fp8_e32 v[58:59], v4
	v_cvt_pk_f32_fp8_sdwa v[68:69], v4 src0_sel:WORD_1
	v_perm_b32 v49, v3, v2, s44
	v_mfma_f32_16x16x16_bf16 v[10:13], v[46:47], v[14:15], v[10:13]
	v_perm_b32 v46, v59, v58, s44
	v_perm_b32 v47, v69, v68, s44
	v_cvt_pk_f32_fp8_e32 v[58:59], v5
	v_cvt_pk_f32_fp8_sdwa v[68:69], v5 src0_sel:WORD_1
	v_mfma_f32_16x16x16_bf16 v[2:5], v[48:49], v[16:17], v[10:13]
	v_cvt_pk_f32_fp8_e32 v[72:73], v25
	v_cvt_pk_f32_fp8_sdwa v[74:75], v25 src0_sel:WORD_1
	s_nop 0
	v_perm_b32 v10, v59, v58, s44
	v_perm_b32 v11, v69, v68, s44
	v_mfma_f32_16x16x16_bf16 v[2:5], v[46:47], v[6:7], v[2:5]
	v_cvt_pk_f32_fp8_e32 v[12:13], v50
	v_cvt_pk_f32_fp8_sdwa v[58:59], v50 src0_sel:WORD_1
	v_mfma_f32_16x16x16_bf16 v[46:49], v[10:11], v[8:9], v[2:5]
	v_cvt_pk_f32_fp8_sdwa v[10:11], v51 src0_sel:WORD_1
	s_nop 2
	v_cvt_pk_f32_fp8_e32 v[2:3], v51
	v_perm_b32 v4, v13, v12, s44
	v_perm_b32 v5, v59, v58, s44
	v_cvt_pk_f32_fp8_e32 v[50:51], v52
	v_perm_b32 v12, v3, v2, s44
	v_cvt_pk_f32_fp8_sdwa v[58:59], v52 src0_sel:WORD_1
	v_perm_b32 v13, v11, v10, s44
	v_mfma_f32_16x16x16_bf16 v[2:5], v[4:5], v[26:27], 0
	v_perm_b32 v10, v51, v50, s44
	v_perm_b32 v11, v59, v58, s44
	v_cvt_pk_f32_fp8_e32 v[50:51], v53
	v_cvt_pk_f32_fp8_sdwa v[52:53], v53 src0_sel:WORD_1
	v_mfma_f32_16x16x16_bf16 v[2:5], v[12:13], v[28:29], v[2:5]
	v_lshl_add_u64 v[58:59], s[4:5], 0, v[56:57]
	v_perm_b32 v12, v51, v50, s44
	v_perm_b32 v13, v53, v52, s44
	v_mfma_f32_16x16x16_bf16 v[2:5], v[10:11], v[18:19], v[2:5]
	v_cvt_pk_f32_fp8_e32 v[10:11], v30
	v_cvt_pk_f32_fp8_sdwa v[50:51], v30 src0_sel:WORD_1
	v_cvt_pk_f32_fp8_sdwa v[52:53], v32 src0_sel:WORD_1
	v_mfma_f32_16x16x16_bf16 v[2:5], v[12:13], v[20:21], v[2:5]
	v_cvt_pk_f32_fp8_e32 v[12:13], v31
	v_perm_b32 v10, v11, v10, s44
	v_perm_b32 v11, v51, v50, s44
	v_cvt_pk_f32_fp8_sdwa v[30:31], v31 src0_sel:WORD_1
	v_perm_b32 v12, v13, v12, s44
	v_cvt_pk_f32_fp8_e32 v[50:51], v32
	v_mfma_f32_16x16x16_bf16 v[2:5], v[10:11], v[14:15], v[2:5]
	v_perm_b32 v13, v31, v30, s44
	v_perm_b32 v10, v51, v50, s44
	;; [unrolled: 1-line block ×3, first 2 shown]
	v_cvt_pk_f32_fp8_e32 v[30:31], v33
	v_cvt_pk_f32_fp8_sdwa v[32:33], v33 src0_sel:WORD_1
	v_mfma_f32_16x16x16_bf16 v[2:5], v[12:13], v[16:17], v[2:5]
	v_lshlrev_b32_e32 v56, 5, v55
	v_perm_b32 v12, v31, v30, s44
	v_perm_b32 v13, v33, v32, s44
	v_mfma_f32_16x16x16_bf16 v[2:5], v[10:11], v[6:7], v[2:5]
	v_cvt_pk_f32_fp8_e32 v[10:11], v22
	v_cvt_pk_f32_fp8_sdwa v[30:31], v22 src0_sel:WORD_1
	v_lshl_add_u64 v[68:69], v[58:59], 0, v[56:57]
	v_mfma_f32_16x16x16_bf16 v[50:53], v[12:13], v[8:9], v[2:5]
	s_waitcnt vmcnt(3)
	v_mad_i64_i32 v[12:13], s[4:5], v67, s45, v[68:69]
	s_waitcnt vmcnt(2)
	v_mad_i64_i32 v[70:71], s[4:5], v66, s45, v[68:69]
	v_perm_b32 v2, v11, v10, s44
	v_perm_b32 v3, v31, v30, s44
	v_cvt_pk_f32_fp8_e32 v[4:5], v23
	v_cvt_pk_f32_fp8_sdwa v[10:11], v23 src0_sel:WORD_1
	v_cvt_pk_f32_fp8_sdwa v[30:31], v24 src0_sel:WORD_1
	v_or_b32_e32 v56, 0x800, v56
	v_perm_b32 v22, v5, v4, s44
	v_perm_b32 v23, v11, v10, s44
	v_cvt_pk_f32_fp8_e32 v[10:11], v24
	v_mfma_f32_16x16x16_bf16 v[2:5], v[2:3], v[26:27], 0
	v_perm_b32 v10, v11, v10, s44
	v_perm_b32 v11, v31, v30, s44
	v_mfma_f32_16x16x16_bf16 v[2:5], v[22:23], v[28:29], v[2:5]
	global_load_dwordx4 v[30:33], v[12:13], off
	global_load_dwordx4 v[22:25], v[70:71], off
	v_perm_b32 v12, v73, v72, s44
	v_perm_b32 v13, v75, v74, s44
	v_mfma_f32_16x16x16_bf16 v[2:5], v[10:11], v[18:19], v[2:5]
	v_cvt_pk_f32_fp8_e32 v[10:11], v42
	v_cvt_pk_f32_fp8_sdwa v[70:71], v42 src0_sel:WORD_1
	s_waitcnt vmcnt(3)
	v_mad_i64_i32 v[72:73], s[4:5], v64, s45, v[68:69]
	v_mfma_f32_16x16x16_bf16 v[2:5], v[12:13], v[20:21], v[2:5]
	v_perm_b32 v10, v11, v10, s44
	v_perm_b32 v11, v71, v70, s44
	v_cvt_pk_f32_fp8_e32 v[12:13], v43
	v_cvt_pk_f32_fp8_sdwa v[42:43], v43 src0_sel:WORD_1
	s_waitcnt vmcnt(2)
	v_mad_i64_i32 v[74:75], s[4:5], v65, s45, v[68:69]
	v_perm_b32 v76, v13, v12, s44
	v_perm_b32 v77, v43, v42, s44
	v_cvt_pk_f32_fp8_e32 v[42:43], v44
	v_mfma_f32_16x16x16_bf16 v[68:71], v[10:11], v[14:15], v[2:5]
	global_load_dwordx4 v[10:13], v[72:73], off
	s_nop 1
	global_load_dwordx4 v[2:5], v[74:75], off
	v_perm_b32 v73, v79, v78, s44
	v_perm_b32 v72, v43, v42, s44
	v_cvt_pk_f32_fp8_e32 v[74:75], v45
	v_cvt_pk_f32_fp8_sdwa v[44:45], v45 src0_sel:WORD_1
	v_mfma_f32_16x16x16_bf16 v[68:71], v[76:77], v[16:17], v[68:71]
	v_lshl_add_u64 v[42:43], v[58:59], 0, v[56:57]
	v_perm_b32 v74, v75, v74, s44
	v_perm_b32 v75, v45, v44, s44
	v_mfma_f32_16x16x16_bf16 v[56:59], v[72:73], v[6:7], v[68:71]
	v_cvt_pk_f32_fp8_e32 v[44:45], v38
	v_cvt_pk_f32_fp8_sdwa v[72:73], v38 src0_sel:WORD_1
	v_cvt_pk_f32_fp8_sdwa v[76:77], v40 src0_sel:WORD_1
	v_mfma_f32_16x16x16_bf16 v[68:71], v[74:75], v[8:9], v[56:59]
	v_perm_b32 v44, v45, v44, s44
	v_perm_b32 v45, v73, v72, s44
	v_cvt_pk_f32_fp8_e32 v[74:75], v40
	v_cvt_pk_f32_fp8_e32 v[56:57], v39
	v_cvt_pk_f32_fp8_sdwa v[38:39], v39 src0_sel:WORD_1
	s_load_dword s4, s[40:41], 0x0
	s_mov_b32 s40, 0xff7fffff
	v_perm_b32 v72, v57, v56, s44
	v_perm_b32 v73, v39, v38, s44
	v_mfma_f32_16x16x16_bf16 v[56:59], v[44:45], v[26:27], 0
	v_perm_b32 v38, v75, v74, s44
	v_perm_b32 v39, v77, v76, s44
	v_cvt_pk_f32_fp8_e32 v[44:45], v41
	v_cvt_pk_f32_fp8_sdwa v[40:41], v41 src0_sel:WORD_1
	v_mfma_f32_16x16x16_bf16 v[26:29], v[72:73], v[28:29], v[56:59]
	v_perm_b32 v44, v45, v44, s44
	v_perm_b32 v45, v41, v40, s44
	v_mfma_f32_16x16x16_bf16 v[26:29], v[38:39], v[18:19], v[26:29]
	v_cvt_pk_f32_fp8_e32 v[40:41], v35
	v_mov_b32_e32 v56, s8
	s_waitcnt lgkmcnt(0)
	v_mul_f32_e32 v58, s4, v56
	v_mfma_f32_16x16x16_bf16 v[18:21], v[44:45], v[20:21], v[26:29]
	v_pk_mul_f32 v[56:57], v[58:59], v[46:47] op_sel_hi:[0,1]
	v_pk_mul_f32 v[38:39], v[58:59], v[48:49] op_sel_hi:[0,1]
	;; [unrolled: 1-line block ×3, first 2 shown]
	v_cvt_pk_f32_fp8_e32 v[26:27], v34
	v_cvt_pk_f32_fp8_sdwa v[28:29], v34 src0_sel:WORD_1
	v_cvt_pk_f32_fp8_sdwa v[34:35], v35 src0_sel:WORD_1
	v_pk_mul_f32 v[48:49], v[58:59], v[52:53] op_sel_hi:[0,1]
	v_perm_b32 v26, v27, v26, s44
	v_perm_b32 v27, v29, v28, s44
	;; [unrolled: 1-line block ×4, first 2 shown]
	v_cvt_pk_f32_fp8_e32 v[34:35], v36
	v_cvt_pk_f32_fp8_sdwa v[40:41], v36 src0_sel:WORD_1
	v_mfma_f32_16x16x16_bf16 v[18:21], v[26:27], v[14:15], v[18:21]
	v_pk_mul_f32 v[46:47], v[58:59], v[70:71] op_sel_hi:[0,1]
	v_perm_b32 v26, v35, v34, s44
	v_perm_b32 v27, v41, v40, s44
	v_cvt_pk_f32_fp8_e32 v[34:35], v37
	v_cvt_pk_f32_fp8_sdwa v[36:37], v37 src0_sel:WORD_1
	v_mfma_f32_16x16x16_bf16 v[14:17], v[28:29], v[16:17], v[18:21]
	v_pk_mul_f32 v[40:41], v[58:59], v[68:69] op_sel_hi:[0,1]
	v_mad_i64_i32 v[72:73], s[4:5], v67, s45, v[42:43]
	s_nop 0
	v_perm_b32 v18, v35, v34, s44
	v_perm_b32 v19, v37, v36, s44
	v_mfma_f32_16x16x16_bf16 v[14:17], v[26:27], v[6:7], v[14:17]
	s_nop 0
	v_mfma_f32_16x16x16_bf16 v[6:9], v[18:19], v[8:9], v[14:17]
	s_nop 6
	v_pk_mul_f32 v[44:45], v[58:59], v[6:7] op_sel_hi:[0,1]
	v_and_b32_e32 v6, 0xc0, v0
	v_add_u32_e32 v6, s18, v6
	v_lshl_or_b32 v6, v1, 2, v6
	v_pk_mul_f32 v[34:35], v[58:59], v[8:9] op_sel_hi:[0,1]
	v_or_b32_e32 v9, 1, v6
	v_mov_b32_e32 v7, 0xff7fffff
	v_cmp_gt_i32_e64 s[24:25], s38, v6
	v_cmp_gt_i32_e64 s[26:27], s38, v9
	v_or_b32_e32 v14, 3, v6
	v_cndmask_b32_e64 v8, v7, v56, s[24:25]
	v_cndmask_b32_e64 v9, v7, v57, s[26:27]
	v_max3_f32 v8, v8, s40, v9
	v_or_b32_e32 v9, 2, v6
	v_cmp_gt_i32_e64 s[28:29], s38, v9
	v_cmp_gt_i32_e64 s[30:31], s38, v14
	s_nop 0
	v_cndmask_b32_e64 v9, v7, v38, s[28:29]
	v_cndmask_b32_e64 v14, v7, v39, s[30:31]
	v_max3_f32 v8, v8, v9, v14
	v_or_b32_e32 v9, 16, v6
	v_or_b32_e32 v14, 17, v6
	v_cmp_gt_i32_e64 s[34:35], s38, v9
	v_cmp_gt_i32_e64 s[36:37], s38, v14
	s_nop 0
	v_cndmask_b32_e64 v9, v7, v50, s[34:35]
	v_cndmask_b32_e64 v14, v7, v51, s[36:37]
	v_max3_f32 v8, v8, v9, v14
	v_or_b32_e32 v9, 18, v6
	;; [unrolled: 8-line block ×6, first 2 shown]
	v_or_b32_e32 v6, 51, v6
	v_cmp_gt_i32_e32 vcc, s38, v9
	v_cmp_gt_i32_e64 s[4:5], s38, v6
	s_nop 0
	v_cndmask_b32_e32 v9, v7, v34, vcc
	v_cndmask_b32_e64 v6, v7, v35, s[4:5]
	v_max3_f32 v8, v8, v9, v6
	v_mbcnt_lo_u32_b32 v6, -1, 0
	v_mbcnt_hi_u32_b32 v9, -1, v6
	v_and_b32_e32 v6, 64, v9
	v_add_u32_e32 v14, 64, v6
	v_xor_b32_e32 v6, 32, v9
	v_cmp_lt_i32_e64 s[38:39], v6, v14
	s_nop 1
	v_cndmask_b32_e64 v6, v9, v6, s[38:39]
	v_lshlrev_b32_e32 v53, 2, v6
	ds_bpermute_b32 v15, v53, v8
	v_mad_i64_i32 v[6:7], s[38:39], v66, s45, v[42:43]
	global_load_dwordx4 v[26:29], v[72:73], off
	global_load_dwordx4 v[18:21], v[6:7], off
	s_waitcnt lgkmcnt(0)
	v_max_f32_e32 v6, v15, v15
	v_max_f32_e32 v15, v8, v6
	v_xor_b32_e32 v6, 16, v9
	v_cmp_lt_i32_e64 s[38:39], v6, v14
	s_nop 1
	v_cndmask_b32_e64 v6, v9, v6, s[38:39]
	v_lshlrev_b32_e32 v58, 2, v6
	ds_bpermute_b32 v14, v58, v15
	v_mad_i64_i32 v[6:7], s[38:39], v64, s45, v[42:43]
	v_mad_i64_i32 v[8:9], s[38:39], v65, s45, v[42:43]
	s_waitcnt lgkmcnt(0)
	v_max_f32_e32 v14, v14, v14
	v_max_f32_e32 v52, v15, v14
	v_sub_f32_e32 v14, v56, v52
	v_mul_f32_e32 v14, 0x3fb8aa3b, v14
	v_exp_f32_e32 v36, v14
	v_sub_f32_e32 v14, v57, v52
	v_mul_f32_e32 v14, 0x3fb8aa3b, v14
	v_exp_f32_e32 v37, v14
	global_load_dwordx4 v[14:17], v[6:7], off
	s_nop 0
	global_load_dwordx4 v[6:9], v[8:9], off
	v_sub_f32_e32 v38, v38, v52
	v_mul_f32_e32 v38, 0x3fb8aa3b, v38
	v_sub_f32_e32 v39, v39, v52
	v_exp_f32_e32 v38, v38
	v_mul_f32_e32 v39, 0x3fb8aa3b, v39
	v_exp_f32_e32 v39, v39
	v_cndmask_b32_e64 v36, 0, v36, s[24:25]
	v_add_f32_e32 v42, 0, v36
	v_cndmask_b32_e64 v37, 0, v37, s[26:27]
	v_add_f32_e32 v43, v42, v37
	;; [unrolled: 2-line block ×3, first 2 shown]
	v_cndmask_b32_e64 v43, 0, v39, s[30:31]
	v_sub_f32_e32 v39, v50, v52
	v_mul_f32_e32 v39, 0x3fb8aa3b, v39
	v_sub_f32_e32 v50, v51, v52
	v_exp_f32_e32 v39, v39
	v_mul_f32_e32 v50, 0x3fb8aa3b, v50
	v_sub_f32_e32 v48, v48, v52
	v_exp_f32_e32 v50, v50
	;; [unrolled: 3-line block ×4, first 2 shown]
	v_mul_f32_e32 v40, 0x3fb8aa3b, v40
	v_sub_f32_e32 v41, v41, v52
	v_add_f32_e32 v51, v38, v43
	v_cndmask_b32_e64 v38, 0, v39, s[34:35]
	v_exp_f32_e32 v40, v40
	v_mul_f32_e32 v41, 0x3fb8aa3b, v41
	v_sub_f32_e32 v46, v46, v52
	v_add_f32_e32 v51, v51, v38
	v_cndmask_b32_e64 v39, 0, v50, s[36:37]
	v_exp_f32_e32 v41, v41
	;; [unrolled: 5-line block ×7, first 2 shown]
	v_mul_f32_e32 v35, 0x3fb8aa3b, v35
	v_add_f32_e32 v50, v50, v46
	v_cndmask_b32_e64 v47, 0, v47, s[12:13]
	v_exp_f32_e32 v35, v35
	v_add_f32_e32 v50, v50, v47
	v_cndmask_b32_e64 v44, 0, v44, s[6:7]
	v_add_f32_e32 v50, v50, v44
	v_cndmask_b32_e64 v45, 0, v45, s[8:9]
	v_add_f32_e32 v50, v50, v45
	v_cndmask_b32_e32 v34, 0, v34, vcc
	v_add_f32_e32 v50, v50, v34
	v_cndmask_b32_e64 v35, 0, v35, s[4:5]
	v_add_f32_e32 v50, v50, v35
	ds_bpermute_b32 v51, v53, v50
	v_cmp_gt_u32_e32 vcc, 16, v63
	s_waitcnt lgkmcnt(0)
	s_barrier
	v_add_f32_e32 v50, v50, v51
	ds_bpermute_b32 v51, v58, v50
	s_and_saveexec_b64 s[4:5], vcc
	s_cbranch_execz .LBB1355_13
; %bb.12:
	s_waitcnt lgkmcnt(0)
	v_add_f32_e32 v50, v50, v51
	v_lshlrev_b32_e32 v51, 2, v55
	ds_write2st64_b32 v51, v52, v50 offset1:1
.LBB1355_13:
	s_or_b64 exec, exec, s[4:5]
	s_waitcnt lgkmcnt(0)
	v_lshlrev_b32_e32 v51, 2, v60
	s_load_dword s6, s[0:1], 0x94
	s_waitcnt lgkmcnt(0)
	s_barrier
	ds_read2_b32 v[52:53], v51 offset1:16
	ds_read2_b32 v[56:57], v51 offset0:32 offset1:48
	ds_read2_b32 v[58:59], v51 offset0:64 offset1:80
	s_movk_i32 s8, 0x7fff
	s_lshl_b32 s7, s33, 3
	s_waitcnt lgkmcnt(2)
	v_max3_f32 v50, v52, s40, v53
	s_waitcnt lgkmcnt(1)
	v_max3_f32 v50, v50, v56, v57
	v_sub_f32_e32 v52, v52, v50
	v_mul_f32_e32 v52, 0x3fb8aa3b, v52
	v_exp_f32_e32 v55, v52
	v_sub_f32_e32 v52, v53, v50
	v_mul_f32_e32 v52, 0x3fb8aa3b, v52
	v_exp_f32_e32 v63, v52
	;; [unrolled: 3-line block ×3, first 2 shown]
	ds_read2_b32 v[52:53], v51 offset0:96 offset1:112
	v_sub_f32_e32 v51, v57, v50
	v_mul_f32_e32 v51, 0x3fb8aa3b, v51
	v_exp_f32_e32 v57, v51
	s_waitcnt lgkmcnt(1)
	v_fma_f32 v51, v55, v58, 0
	v_fmac_f32_e32 v51, v63, v59
	s_waitcnt lgkmcnt(0)
	v_fmac_f32_e32 v51, v56, v52
	v_fmac_f32_e32 v51, v57, v53
	v_add_f32_e32 v52, 0x358637bd, v51
	v_div_scale_f32 v53, s[4:5], v52, v52, 1.0
	v_rcp_f32_e32 v58, v53
	s_barrier
	v_fma_f32 v59, -v53, v58, 1.0
	v_fmac_f32_e32 v58, v59, v58
	v_div_scale_f32 v59, vcc, 1.0, v52, 1.0
	v_mul_f32_e32 v64, v59, v58
	v_fma_f32 v65, -v53, v64, v59
	v_fmac_f32_e32 v64, v65, v58
	v_fma_f32 v53, -v53, v64, v59
	v_div_fmas_f32 v53, v53, v58, v64
	v_cmp_eq_u32_e32 vcc, 1, v62
	v_div_fixup_f32 v52, v53, v52, 1.0
	s_nop 0
	v_cndmask_b32_e32 v53, v55, v63, vcc
	v_cmp_eq_u32_e32 vcc, 2, v62
	s_nop 1
	v_cndmask_b32_e32 v53, v53, v56, vcc
	v_cmp_eq_u32_e32 vcc, 3, v62
	s_nop 1
	v_cndmask_b32_e32 v53, v53, v57, vcc
	v_mul_f32_e32 v52, v53, v52
	v_pk_mul_f32 v[36:37], v[52:53], v[36:37] op_sel_hi:[0,1]
	v_pk_mul_f32 v[42:43], v[52:53], v[42:43] op_sel_hi:[0,1]
	v_bfe_u32 v53, v37, 16, 1
	v_bfe_u32 v55, v36, 16, 1
	v_add3_u32 v36, v36, v55, s8
	v_add3_u32 v37, v37, v53, s8
	v_perm_b32 v56, v37, v36, s44
	v_bfe_u32 v36, v43, 16, 1
	v_bfe_u32 v37, v42, 16, 1
	v_add3_u32 v37, v42, v37, s8
	v_add3_u32 v36, v43, v36, s8
	v_perm_b32 v57, v36, v37, s44
	v_lshlrev_b32_e32 v37, 3, v1
	v_lshlrev_b32_e32 v36, 5, v60
	;; [unrolled: 1-line block ×3, first 2 shown]
	v_pk_mul_f32 v[38:39], v[52:53], v[38:39] op_sel_hi:[0,1]
	v_or3_b32 v55, v42, v36, v37
	v_pk_mul_f32 v[42:43], v[52:53], v[48:49] op_sel_hi:[0,1]
	v_bfe_u32 v37, v39, 16, 1
	v_bfe_u32 v48, v38, 16, 1
	v_add3_u32 v38, v38, v48, s8
	v_add3_u32 v37, v39, v37, s8
	v_perm_b32 v38, v37, v38, s44
	v_bfe_u32 v37, v43, 16, 1
	v_bfe_u32 v39, v42, 16, 1
	v_add3_u32 v39, v42, v39, s8
	v_add3_u32 v37, v43, v37, s8
	v_pk_mul_f32 v[40:41], v[52:53], v[40:41] op_sel_hi:[0,1]
	v_perm_b32 v39, v37, v39, s44
	v_bfe_u32 v37, v41, 16, 1
	v_bfe_u32 v42, v40, 16, 1
	ds_write2st64_b64 v55, v[56:57], v[38:39] offset1:1
	v_pk_mul_f32 v[38:39], v[52:53], v[46:47] op_sel_hi:[0,1]
	v_add3_u32 v40, v40, v42, s8
	v_add3_u32 v37, v41, v37, s8
	v_perm_b32 v40, v37, v40, s44
	v_bfe_u32 v37, v39, 16, 1
	v_bfe_u32 v41, v38, 16, 1
	v_add3_u32 v38, v38, v41, s8
	v_add3_u32 v37, v39, v37, s8
	v_perm_b32 v41, v37, v38, s44
	v_pk_mul_f32 v[38:39], v[52:53], v[44:45] op_sel_hi:[0,1]
	v_bfe_u32 v37, v39, 16, 1
	v_bfe_u32 v42, v38, 16, 1
	v_pk_mul_f32 v[34:35], v[52:53], v[34:35] op_sel_hi:[0,1]
	v_add3_u32 v38, v38, v42, s8
	v_add3_u32 v37, v39, v37, s8
	v_perm_b32 v38, v37, v38, s44
	v_bfe_u32 v37, v35, 16, 1
	v_bfe_u32 v39, v34, 16, 1
	v_add3_u32 v34, v34, v39, s8
	v_add3_u32 v35, v35, v37, s8
	v_perm_b32 v39, v35, v34, s44
	v_cmp_gt_u32_e32 vcc, 8, v0
	ds_write2st64_b64 v55, v[40:41], v[38:39] offset0:2 offset1:3
	s_and_saveexec_b64 s[4:5], vcc
	s_cbranch_execz .LBB1355_15
; %bb.14:
	v_or_b32_e32 v34, s23, v0
	v_mov_b32_e32 v35, 0
	v_mov_b32_e32 v37, s7
	v_mad_u64_u32 v[38:39], s[10:11], s2, v37, v[34:35]
	v_mov_b32_e32 v34, s22
	s_load_dwordx4 s[12:15], s[0:1], 0x58
	s_mul_i32 s3, s3, s7
	v_mad_u64_u32 v[34:35], s[10:11], v38, s6, v[34:35]
	v_add_u32_e32 v37, s3, v39
	v_mov_b32_e32 v38, v35
	v_mad_u64_u32 v[38:39], s[10:11], v37, s6, v[38:39]
	v_mov_b32_e32 v35, v38
	v_lshlrev_b64 v[34:35], 2, v[34:35]
	s_waitcnt lgkmcnt(0)
	v_lshl_add_u64 v[38:39], s[14:15], 0, v[34:35]
	v_lshl_add_u64 v[34:35], s[12:13], 0, v[34:35]
	global_store_dword v[38:39], v50, off
	global_store_dword v[34:35], v51, off
.LBB1355_15:
	s_or_b64 exec, exec, s[4:5]
	v_lshl_or_b32 v50, v1, 9, v36
	s_waitcnt vmcnt(7)
	v_cvt_pk_f32_fp8_e32 v[34:35], v30
	v_cvt_pk_f32_fp8_sdwa v[36:37], v30 src0_sel:WORD_1
	s_mov_b32 s5, 0x7060302
	s_waitcnt lgkmcnt(0)
	s_barrier
	v_cvt_pk_f32_fp8_e32 v[38:39], v31
	v_perm_b32 v30, v35, v34, s5
	v_cvt_pk_f32_fp8_sdwa v[40:41], v31 src0_sel:WORD_1
	v_perm_b32 v31, v37, v36, s5
	ds_read_b128 v[34:37], v50
	v_perm_b32 v46, v39, v38, s5
	v_perm_b32 v47, v41, v40, s5
	ds_read_b128 v[38:41], v50 offset:16
	v_cvt_pk_f32_fp8_e32 v[48:49], v32
	v_cvt_pk_f32_fp8_sdwa v[52:53], v32 src0_sel:WORD_1
	s_waitcnt lgkmcnt(1)
	v_mfma_f32_16x16x16_bf16 v[42:45], v[30:31], v[34:35], 0
	s_waitcnt vmcnt(6)
	v_cvt_pk_f32_fp8_e32 v[56:57], v24
	v_perm_b32 v30, v49, v48, s5
	v_perm_b32 v31, v53, v52, s5
	v_cvt_pk_f32_fp8_e32 v[48:49], v33
	v_mfma_f32_16x16x16_bf16 v[42:45], v[46:47], v[36:37], v[42:45]
	v_cvt_pk_f32_fp8_sdwa v[46:47], v33 src0_sel:WORD_1
	v_cvt_pk_f32_fp8_sdwa v[58:59], v24 src0_sel:WORD_1
	v_perm_b32 v48, v49, v48, s5
	s_waitcnt lgkmcnt(0)
	v_mfma_f32_16x16x16_bf16 v[30:33], v[30:31], v[38:39], v[42:45]
	v_perm_b32 v49, v47, v46, s5
	s_waitcnt vmcnt(5)
	v_cvt_pk_f32_fp8_e32 v[62:63], v12
	v_cvt_pk_f32_fp8_sdwa v[64:65], v12 src0_sel:WORD_1
	v_cvt_pk_f32_fp8_e32 v[42:43], v22
	v_mfma_f32_16x16x16_bf16 v[46:49], v[48:49], v[40:41], v[30:33]
	s_waitcnt vmcnt(4)
	v_cvt_pk_f32_fp8_sdwa v[66:67], v4 src0_sel:WORD_1
	s_load_dword s4, s[42:43], 0x0
	v_cvt_pk_f32_fp8_sdwa v[30:31], v22 src0_sel:WORD_1
	v_cvt_pk_f32_fp8_e32 v[32:33], v23
	v_perm_b32 v22, v43, v42, s5
	v_cvt_pk_f32_fp8_sdwa v[42:43], v23 src0_sel:WORD_1
	v_perm_b32 v23, v31, v30, s5
	v_perm_b32 v52, v33, v32, s5
	ds_read_b128 v[30:33], v50 offset:2048
	v_perm_b32 v53, v43, v42, s5
	ds_read_b128 v[42:45], v50 offset:2064
	s_waitcnt lgkmcnt(0)
	v_mfma_f32_16x16x16_bf16 v[46:49], v[22:23], v[30:31], v[46:49]
	v_perm_b32 v22, v57, v56, s5
	v_perm_b32 v23, v59, v58, s5
	v_cvt_pk_f32_fp8_e32 v[56:57], v25
	v_mfma_f32_16x16x16_bf16 v[46:49], v[52:53], v[32:33], v[46:49]
	v_cvt_pk_f32_fp8_sdwa v[52:53], v25 src0_sel:WORD_1
	s_waitcnt vmcnt(3)
	v_cvt_pk_f32_fp8_sdwa v[68:69], v28 src0_sel:WORD_1
	v_perm_b32 v56, v57, v56, s5
	v_mfma_f32_16x16x16_bf16 v[22:25], v[22:23], v[42:43], v[46:49]
	v_perm_b32 v57, v53, v52, s5
	s_mov_b32 s3, 0
	v_cmp_gt_u32_e32 vcc, 64, v0
	v_cvt_pk_f32_fp8_e32 v[46:47], v10
	v_mfma_f32_16x16x16_bf16 v[56:59], v[56:57], v[44:45], v[22:25]
	s_nop 2
	v_cvt_pk_f32_fp8_sdwa v[22:23], v10 src0_sel:WORD_1
	v_cvt_pk_f32_fp8_e32 v[24:25], v11
	v_perm_b32 v10, v47, v46, s5
	v_cvt_pk_f32_fp8_sdwa v[46:47], v11 src0_sel:WORD_1
	v_perm_b32 v11, v23, v22, s5
	v_perm_b32 v52, v25, v24, s5
	ds_read_b128 v[22:25], v50 offset:4096
	v_perm_b32 v53, v47, v46, s5
	ds_read_b128 v[46:49], v50 offset:4112
	s_waitcnt lgkmcnt(1)
	v_mfma_f32_16x16x16_bf16 v[56:59], v[10:11], v[22:23], v[56:59]
	v_perm_b32 v10, v63, v62, s5
	v_perm_b32 v11, v65, v64, s5
	v_cvt_pk_f32_fp8_e32 v[62:63], v13
	v_mfma_f32_16x16x16_bf16 v[56:59], v[52:53], v[24:25], v[56:59]
	v_cvt_pk_f32_fp8_sdwa v[52:53], v13 src0_sel:WORD_1
	v_cvt_pk_f32_fp8_e32 v[64:65], v4
	v_perm_b32 v62, v63, v62, s5
	s_waitcnt lgkmcnt(0)
	v_mfma_f32_16x16x16_bf16 v[10:13], v[10:11], v[46:47], v[56:59]
	v_perm_b32 v63, v53, v52, s5
	v_cvt_pk_f32_fp8_e32 v[52:53], v2
	s_nop 0
	v_mfma_f32_16x16x16_bf16 v[56:59], v[62:63], v[48:49], v[10:13]
	s_nop 2
	v_cvt_pk_f32_fp8_sdwa v[10:11], v2 src0_sel:WORD_1
	v_cvt_pk_f32_fp8_e32 v[12:13], v3
	v_perm_b32 v2, v53, v52, s5
	v_cvt_pk_f32_fp8_sdwa v[52:53], v3 src0_sel:WORD_1
	v_perm_b32 v3, v11, v10, s5
	v_perm_b32 v62, v13, v12, s5
	ds_read_b128 v[10:13], v50 offset:6144
	v_perm_b32 v63, v53, v52, s5
	s_waitcnt lgkmcnt(0)
	v_mfma_f32_16x16x16_bf16 v[56:59], v[2:3], v[10:11], v[56:59]
	ds_read_b128 v[50:53], v50 offset:6160
	v_perm_b32 v2, v65, v64, s5
	v_perm_b32 v3, v67, v66, s5
	v_cvt_pk_f32_fp8_e32 v[64:65], v5
	v_mfma_f32_16x16x16_bf16 v[56:59], v[62:63], v[12:13], v[56:59]
	v_cvt_pk_f32_fp8_sdwa v[62:63], v5 src0_sel:WORD_1
	v_cvt_pk_f32_fp8_e32 v[66:67], v28
	v_perm_b32 v64, v65, v64, s5
	s_waitcnt lgkmcnt(0)
	v_mfma_f32_16x16x16_bf16 v[2:5], v[2:3], v[50:51], v[56:59]
	v_perm_b32 v65, v63, v62, s5
	s_barrier
	s_nop 0
	v_mfma_f32_16x16x16_bf16 v[56:59], v[64:65], v[52:53], v[2:5]
	s_nop 2
	v_cvt_pk_f32_fp8_e32 v[4:5], v26
	v_perm_b32 v4, v5, v4, s5
	s_nop 1
	v_pk_mul_f32 v[2:3], v[58:59], s[4:5] op_sel_hi:[1,0]
	v_cvt_pk_f32_fp8_sdwa v[58:59], v26 src0_sel:WORD_1
	v_pk_mul_f32 v[62:63], v[56:57], s[4:5] op_sel_hi:[1,0]
	v_cvt_pk_f32_fp8_e32 v[56:57], v27
	v_cvt_pk_f32_fp8_sdwa v[26:27], v27 src0_sel:WORD_1
	v_perm_b32 v5, v59, v58, s5
	v_perm_b32 v64, v57, v56, s5
	;; [unrolled: 1-line block ×3, first 2 shown]
	v_mfma_f32_16x16x16_bf16 v[56:59], v[4:5], v[34:35], 0
	v_perm_b32 v4, v67, v66, s5
	v_perm_b32 v5, v69, v68, s5
	v_cvt_pk_f32_fp8_e32 v[34:35], v29
	v_cvt_pk_f32_fp8_sdwa v[66:67], v29 src0_sel:WORD_1
	v_mfma_f32_16x16x16_bf16 v[26:29], v[64:65], v[36:37], v[56:59]
	s_waitcnt vmcnt(2)
	v_cvt_pk_f32_fp8_sdwa v[36:37], v18 src0_sel:WORD_1
	v_perm_b32 v34, v35, v34, s5
	v_perm_b32 v35, v67, v66, s5
	v_mfma_f32_16x16x16_bf16 v[26:29], v[4:5], v[38:39], v[26:29]
	v_cvt_pk_f32_fp8_e32 v[4:5], v18
	v_cvt_pk_f32_fp8_sdwa v[38:39], v20 src0_sel:WORD_1
	v_bfe_u32 v56, v63, 16, 1
	v_mfma_f32_16x16x16_bf16 v[26:29], v[34:35], v[40:41], v[26:29]
	v_cvt_pk_f32_fp8_e32 v[34:35], v19
	v_perm_b32 v4, v5, v4, s5
	v_perm_b32 v5, v37, v36, s5
	v_cvt_pk_f32_fp8_sdwa v[18:19], v19 src0_sel:WORD_1
	v_perm_b32 v34, v35, v34, s5
	v_cvt_pk_f32_fp8_e32 v[36:37], v20
	v_mfma_f32_16x16x16_bf16 v[26:29], v[4:5], v[30:31], v[26:29]
	v_perm_b32 v35, v19, v18, s5
	v_perm_b32 v4, v37, v36, s5
	;; [unrolled: 1-line block ×3, first 2 shown]
	v_cvt_pk_f32_fp8_e32 v[30:31], v21
	v_cvt_pk_f32_fp8_sdwa v[36:37], v21 src0_sel:WORD_1
	v_mfma_f32_16x16x16_bf16 v[18:21], v[34:35], v[32:33], v[26:29]
	v_bfe_u32 v57, v62, 16, 1
	v_add3_u32 v32, v62, v57, s8
	v_add3_u32 v33, v63, v56, s8
	v_perm_b32 v26, v31, v30, s5
	v_perm_b32 v27, v37, v36, s5
	v_mfma_f32_16x16x16_bf16 v[18:21], v[4:5], v[42:43], v[18:21]
	s_waitcnt vmcnt(1)
	v_cvt_pk_f32_fp8_e32 v[4:5], v14
	v_cvt_pk_f32_fp8_sdwa v[28:29], v14 src0_sel:WORD_1
	v_cvt_pk_f32_fp8_sdwa v[30:31], v16 src0_sel:WORD_1
	v_mfma_f32_16x16x16_bf16 v[18:21], v[26:27], v[44:45], v[18:21]
	v_cvt_pk_f32_fp8_e32 v[26:27], v15
	v_perm_b32 v4, v5, v4, s5
	v_perm_b32 v5, v29, v28, s5
	v_cvt_pk_f32_fp8_sdwa v[14:15], v15 src0_sel:WORD_1
	v_perm_b32 v26, v27, v26, s5
	v_cvt_pk_f32_fp8_e32 v[28:29], v16
	v_mfma_f32_16x16x16_bf16 v[18:21], v[4:5], v[22:23], v[18:21]
	v_perm_b32 v27, v15, v14, s5
	v_perm_b32 v4, v29, v28, s5
	;; [unrolled: 1-line block ×3, first 2 shown]
	v_cvt_pk_f32_fp8_e32 v[22:23], v17
	v_cvt_pk_f32_fp8_sdwa v[28:29], v17 src0_sel:WORD_1
	v_mfma_f32_16x16x16_bf16 v[14:17], v[26:27], v[24:25], v[18:21]
	s_waitcnt vmcnt(0)
	v_cvt_pk_f32_fp8_sdwa v[24:25], v8 src0_sel:WORD_1
	s_nop 0
	v_perm_b32 v20, v23, v22, s5
	v_perm_b32 v21, v29, v28, s5
	v_mfma_f32_16x16x16_bf16 v[14:17], v[4:5], v[46:47], v[14:17]
	v_cvt_pk_f32_fp8_e32 v[4:5], v6
	v_cvt_pk_f32_fp8_sdwa v[22:23], v6 src0_sel:WORD_1
	v_bfe_u32 v19, v3, 16, 1
	v_mfma_f32_16x16x16_bf16 v[14:17], v[20:21], v[48:49], v[14:17]
	v_cvt_pk_f32_fp8_e32 v[20:21], v7
	v_perm_b32 v4, v5, v4, s5
	v_perm_b32 v5, v23, v22, s5
	v_cvt_pk_f32_fp8_sdwa v[6:7], v7 src0_sel:WORD_1
	v_perm_b32 v20, v21, v20, s5
	v_cvt_pk_f32_fp8_e32 v[22:23], v8
	v_add3_u32 v3, v3, v19, s8
	v_perm_b32 v21, v7, v6, s5
	v_mfma_f32_16x16x16_bf16 v[4:7], v[4:5], v[10:11], v[14:17]
	v_perm_b32 v10, v23, v22, s5
	v_perm_b32 v11, v25, v24, s5
	;; [unrolled: 1-line block ×3, first 2 shown]
	v_cvt_pk_f32_fp8_e32 v[14:15], v9
	v_cvt_pk_f32_fp8_sdwa v[8:9], v9 src0_sel:WORD_1
	v_mfma_f32_16x16x16_bf16 v[4:7], v[20:21], v[12:13], v[4:7]
	v_bfe_u32 v16, v2, 16, 1
	v_perm_b32 v12, v15, v14, s5
	v_perm_b32 v13, v9, v8, s5
	v_mfma_f32_16x16x16_bf16 v[4:7], v[10:11], v[50:51], v[4:7]
	v_add3_u32 v2, v2, v16, s8
	v_perm_b32 v19, v3, v2, s5
	v_mfma_f32_16x16x16_bf16 v[2:5], v[12:13], v[52:53], v[4:7]
	s_nop 6
	v_pk_mul_f32 v[2:3], v[2:3], s[4:5] op_sel_hi:[1,0]
	v_pk_mul_f32 v[4:5], v[4:5], s[4:5] op_sel_hi:[1,0]
	v_bfe_u32 v6, v3, 16, 1
	v_bfe_u32 v7, v2, 16, 1
	v_add3_u32 v2, v2, v7, s8
	v_add3_u32 v3, v3, v6, s8
	v_perm_b32 v2, v3, v2, s5
	v_bfe_u32 v3, v5, 16, 1
	v_bfe_u32 v6, v4, 16, 1
	v_add3_u32 v4, v4, v6, s8
	v_add3_u32 v3, v5, v3, s8
	v_perm_b32 v3, v3, v4, s5
	ds_write2st64_b64 v55, v[18:19], v[2:3] offset1:1
	s_waitcnt lgkmcnt(0)
	s_barrier
	s_and_saveexec_b64 s[4:5], vcc
	s_cbranch_execz .LBB1355_17
; %bb.16:
	s_load_dwordx2 s[0:1], s[0:1], 0x68
	s_lshl_b32 s6, s6, 7
	s_mul_i32 s2, s7, s2
	s_mul_hi_u32 s5, s2, s6
	s_mul_i32 s4, s2, s6
	v_lshlrev_b32_e32 v4, 6, v60
	s_lshl_b64 s[4:5], s[4:5], 1
	v_lshl_or_b32 v0, v0, 10, v4
	s_waitcnt lgkmcnt(0)
	s_add_u32 s4, s0, s4
	v_lshlrev_b32_e32 v2, 5, v1
	v_and_b32_e32 v3, 16, v61
	v_and_b32_e32 v0, 0x1a00, v0
	s_addc_u32 s5, s1, s5
	s_lshl_b32 s2, s22, 7
	v_or3_b32 v0, v0, v2, v3
	s_lshl_b64 s[0:1], s[2:3], 1
	ds_read_b128 v[2:5], v0
	ds_read_b128 v[6:9], v0 offset:128
	s_add_u32 s0, s4, s0
	s_addc_u32 s1, s5, s1
	v_mov_b32_e32 v55, 0
	v_or_b32_e32 v12, s23, v1
	v_lshl_add_u64 v[10:11], s[0:1], 0, v[54:55]
	v_mad_u64_u32 v[0:1], s[0:1], v12, s6, 0
	v_lshl_add_u64 v[0:1], v[0:1], 1, v[10:11]
	s_waitcnt lgkmcnt(1)
	global_store_dwordx4 v[0:1], v[2:5], off
	v_or_b32_e32 v0, 4, v12
	v_mad_u64_u32 v[0:1], s[0:1], v0, s6, 0
	v_lshl_add_u64 v[0:1], v[0:1], 1, v[10:11]
	s_waitcnt lgkmcnt(0)
	global_store_dwordx4 v[0:1], v[6:9], off
.LBB1355_17:
	s_endpgm
	.section	.rodata,"a",@progbits
	.p2align	6, 0x0
	.amdhsa_kernel _Z39paged_attention_ll4mi_QKV_mfma16_kernelI14__hip_bfloat16hLN4vllm18Fp8KVCacheDataTypeE1EhLi32ELi128ELi256ELb0ELi8EEvPKT_PKT0_S8_ifPKiSA_SA_iPKfiiiPfSD_PS3_PT2_iSC_SC_
		.amdhsa_group_segment_fixed_size 8192
		.amdhsa_private_segment_fixed_size 0
		.amdhsa_kernarg_size 400
		.amdhsa_user_sgpr_count 2
		.amdhsa_user_sgpr_dispatch_ptr 0
		.amdhsa_user_sgpr_queue_ptr 0
		.amdhsa_user_sgpr_kernarg_segment_ptr 1
		.amdhsa_user_sgpr_dispatch_id 0
		.amdhsa_user_sgpr_kernarg_preload_length 0
		.amdhsa_user_sgpr_kernarg_preload_offset 0
		.amdhsa_user_sgpr_private_segment_size 0
		.amdhsa_uses_dynamic_stack 0
		.amdhsa_enable_private_segment 0
		.amdhsa_system_sgpr_workgroup_id_x 1
		.amdhsa_system_sgpr_workgroup_id_y 1
		.amdhsa_system_sgpr_workgroup_id_z 1
		.amdhsa_system_sgpr_workgroup_info 0
		.amdhsa_system_vgpr_workitem_id 0
		.amdhsa_next_free_vgpr 80
		.amdhsa_next_free_sgpr 48
		.amdhsa_accum_offset 80
		.amdhsa_reserve_vcc 1
		.amdhsa_float_round_mode_32 0
		.amdhsa_float_round_mode_16_64 0
		.amdhsa_float_denorm_mode_32 3
		.amdhsa_float_denorm_mode_16_64 3
		.amdhsa_dx10_clamp 1
		.amdhsa_ieee_mode 1
		.amdhsa_fp16_overflow 0
		.amdhsa_tg_split 0
		.amdhsa_exception_fp_ieee_invalid_op 0
		.amdhsa_exception_fp_denorm_src 0
		.amdhsa_exception_fp_ieee_div_zero 0
		.amdhsa_exception_fp_ieee_overflow 0
		.amdhsa_exception_fp_ieee_underflow 0
		.amdhsa_exception_fp_ieee_inexact 0
		.amdhsa_exception_int_div_zero 0
	.end_amdhsa_kernel
	.section	.text._Z39paged_attention_ll4mi_QKV_mfma16_kernelI14__hip_bfloat16hLN4vllm18Fp8KVCacheDataTypeE1EhLi32ELi128ELi256ELb0ELi8EEvPKT_PKT0_S8_ifPKiSA_SA_iPKfiiiPfSD_PS3_PT2_iSC_SC_,"axG",@progbits,_Z39paged_attention_ll4mi_QKV_mfma16_kernelI14__hip_bfloat16hLN4vllm18Fp8KVCacheDataTypeE1EhLi32ELi128ELi256ELb0ELi8EEvPKT_PKT0_S8_ifPKiSA_SA_iPKfiiiPfSD_PS3_PT2_iSC_SC_,comdat
.Lfunc_end1355:
	.size	_Z39paged_attention_ll4mi_QKV_mfma16_kernelI14__hip_bfloat16hLN4vllm18Fp8KVCacheDataTypeE1EhLi32ELi128ELi256ELb0ELi8EEvPKT_PKT0_S8_ifPKiSA_SA_iPKfiiiPfSD_PS3_PT2_iSC_SC_, .Lfunc_end1355-_Z39paged_attention_ll4mi_QKV_mfma16_kernelI14__hip_bfloat16hLN4vllm18Fp8KVCacheDataTypeE1EhLi32ELi128ELi256ELb0ELi8EEvPKT_PKT0_S8_ifPKiSA_SA_iPKfiiiPfSD_PS3_PT2_iSC_SC_
                                        ; -- End function
	.section	.AMDGPU.csdata,"",@progbits
; Kernel info:
; codeLenInByte = 6344
; NumSgprs: 54
; NumVgprs: 80
; NumAgprs: 0
; TotalNumVgprs: 80
; ScratchSize: 0
; MemoryBound: 0
; FloatMode: 240
; IeeeMode: 1
; LDSByteSize: 8192 bytes/workgroup (compile time only)
; SGPRBlocks: 6
; VGPRBlocks: 9
; NumSGPRsForWavesPerEU: 54
; NumVGPRsForWavesPerEU: 80
; AccumOffset: 80
; Occupancy: 6
; WaveLimiterHint : 1
; COMPUTE_PGM_RSRC2:SCRATCH_EN: 0
; COMPUTE_PGM_RSRC2:USER_SGPR: 2
; COMPUTE_PGM_RSRC2:TRAP_HANDLER: 0
; COMPUTE_PGM_RSRC2:TGID_X_EN: 1
; COMPUTE_PGM_RSRC2:TGID_Y_EN: 1
; COMPUTE_PGM_RSRC2:TGID_Z_EN: 1
; COMPUTE_PGM_RSRC2:TIDIG_COMP_CNT: 0
; COMPUTE_PGM_RSRC3_GFX90A:ACCUM_OFFSET: 19
; COMPUTE_PGM_RSRC3_GFX90A:TG_SPLIT: 0
	.section	.text._Z39paged_attention_ll4mi_QKV_mfma16_kernelI14__hip_bfloat16hLN4vllm18Fp8KVCacheDataTypeE1EhLi32ELi128ELi256ELb0ELi9EEvPKT_PKT0_S8_ifPKiSA_SA_iPKfiiiPfSD_PS3_PT2_iSC_SC_,"axG",@progbits,_Z39paged_attention_ll4mi_QKV_mfma16_kernelI14__hip_bfloat16hLN4vllm18Fp8KVCacheDataTypeE1EhLi32ELi128ELi256ELb0ELi9EEvPKT_PKT0_S8_ifPKiSA_SA_iPKfiiiPfSD_PS3_PT2_iSC_SC_,comdat
	.protected	_Z39paged_attention_ll4mi_QKV_mfma16_kernelI14__hip_bfloat16hLN4vllm18Fp8KVCacheDataTypeE1EhLi32ELi128ELi256ELb0ELi9EEvPKT_PKT0_S8_ifPKiSA_SA_iPKfiiiPfSD_PS3_PT2_iSC_SC_ ; -- Begin function _Z39paged_attention_ll4mi_QKV_mfma16_kernelI14__hip_bfloat16hLN4vllm18Fp8KVCacheDataTypeE1EhLi32ELi128ELi256ELb0ELi9EEvPKT_PKT0_S8_ifPKiSA_SA_iPKfiiiPfSD_PS3_PT2_iSC_SC_
	.globl	_Z39paged_attention_ll4mi_QKV_mfma16_kernelI14__hip_bfloat16hLN4vllm18Fp8KVCacheDataTypeE1EhLi32ELi128ELi256ELb0ELi9EEvPKT_PKT0_S8_ifPKiSA_SA_iPKfiiiPfSD_PS3_PT2_iSC_SC_
	.p2align	8
	.type	_Z39paged_attention_ll4mi_QKV_mfma16_kernelI14__hip_bfloat16hLN4vllm18Fp8KVCacheDataTypeE1EhLi32ELi128ELi256ELb0ELi9EEvPKT_PKT0_S8_ifPKiSA_SA_iPKfiiiPfSD_PS3_PT2_iSC_SC_,@function
_Z39paged_attention_ll4mi_QKV_mfma16_kernelI14__hip_bfloat16hLN4vllm18Fp8KVCacheDataTypeE1EhLi32ELi128ELi256ELb0ELi9EEvPKT_PKT0_S8_ifPKiSA_SA_iPKfiiiPfSD_PS3_PT2_iSC_SC_: ; @_Z39paged_attention_ll4mi_QKV_mfma16_kernelI14__hip_bfloat16hLN4vllm18Fp8KVCacheDataTypeE1EhLi32ELi128ELi256ELb0ELi9EEvPKT_PKT0_S8_ifPKiSA_SA_iPKfiiiPfSD_PS3_PT2_iSC_SC_
; %bb.0:
	s_load_dwordx2 s[12:13], s[0:1], 0x30
	s_mov_b32 s22, s3
	s_mov_b64 s[6:7], 0
	s_waitcnt lgkmcnt(0)
	s_cmp_lg_u64 s[12:13], 0
	s_cselect_b64 s[14:15], -1, 0
	s_and_b64 vcc, exec, s[14:15]
	s_cbranch_vccz .LBB1356_7
; %bb.1:
	s_add_i32 s8, s2, 1
	s_mov_b32 s9, 0
	s_lshl_b64 s[10:11], s[8:9], 2
	s_add_u32 s10, s12, s10
	s_mov_b32 s3, s9
	s_addc_u32 s11, s13, s11
	s_lshl_b64 s[8:9], s[2:3], 2
	s_add_u32 s8, s12, s8
	s_addc_u32 s9, s13, s9
	s_load_dword s5, s[10:11], 0x0
	s_load_dword s16, s[8:9], 0x0
	s_waitcnt lgkmcnt(0)
	s_sub_i32 s5, s5, s16
	s_cmp_eq_u32 s5, 1
	s_cselect_b64 s[8:9], -1, 0
	s_andn2_b64 vcc, exec, s[6:7]
	s_cbranch_vccnz .LBB1356_3
.LBB1356_2:
	s_mov_b32 s3, 0
	s_mov_b64 s[8:9], -1
.LBB1356_3:
	s_andn2_b64 vcc, exec, s[8:9]
	s_cbranch_vccnz .LBB1356_18
; %bb.4:
	s_load_dwordx2 s[6:7], s[0:1], 0x28
	s_lshl_b64 s[16:17], s[2:3], 2
	s_waitcnt lgkmcnt(0)
	s_add_u32 s6, s6, s16
	s_addc_u32 s7, s7, s17
	s_load_dword s5, s[6:7], 0x0
	s_lshl_b32 s18, s22, 8
	s_waitcnt lgkmcnt(0)
	s_cmp_ge_i32 s18, s5
	s_cbranch_scc1 .LBB1356_18
; %bb.5:
	s_load_dwordx2 s[6:7], s[0:1], 0x20
	s_load_dword s8, s[0:1], 0x38
	s_add_i32 s9, s5, 31
	s_ashr_i32 s10, s9, 31
	v_and_b32_e32 v1, 0xcf, v0
	s_lshr_b32 s10, s10, 27
	v_add_u32_e32 v1, s18, v1
	s_add_i32 s9, s9, s10
	v_ashrrev_i32_e32 v2, 31, v1
	s_ashr_i32 s19, s9, 5
	v_lshrrev_b32_e32 v8, 27, v2
	s_add_i32 s19, s19, -1
	s_waitcnt lgkmcnt(0)
	s_mul_i32 s8, s2, s8
	s_mov_b32 s9, 0
	v_add_u32_e32 v2, v1, v8
	s_lshl_b64 s[8:9], s[8:9], 2
	v_ashrrev_i32_e32 v2, 5, v2
	v_mov_b32_e32 v9, s19
	v_cmp_gt_i32_e32 vcc, s5, v1
	s_add_u32 s6, s6, s8
	s_addc_u32 s7, s7, s9
	v_cndmask_b32_e32 v2, v9, v2, vcc
	v_ashrrev_i32_e32 v3, 31, v2
	v_lshl_add_u64 v[4:5], v[2:3], 2, s[6:7]
	v_or_b32_e32 v2, 16, v1
	v_add_u32_e32 v3, v2, v8
	v_ashrrev_i32_e32 v3, 5, v3
	v_cmp_gt_i32_e32 vcc, s5, v2
	s_load_dwordx4 s[8:11], s[0:1], 0x8
	s_nop 0
	v_cndmask_b32_e32 v2, v9, v3, vcc
	v_ashrrev_i32_e32 v3, 31, v2
	v_lshl_add_u64 v[6:7], v[2:3], 2, s[6:7]
	v_or_b32_e32 v2, 32, v1
	v_add_u32_e32 v3, v2, v8
	v_ashrrev_i32_e32 v3, 5, v3
	v_cmp_gt_i32_e32 vcc, s5, v2
	v_or_b32_e32 v1, 48, v1
	s_nop 0
	v_cndmask_b32_e32 v2, v9, v3, vcc
	v_ashrrev_i32_e32 v3, 31, v2
	v_lshl_add_u64 v[10:11], v[2:3], 2, s[6:7]
	v_add_u32_e32 v2, v1, v8
	v_ashrrev_i32_e32 v2, 5, v2
	v_cmp_gt_i32_e32 vcc, s5, v1
	s_nop 1
	v_cndmask_b32_e32 v2, v9, v2, vcc
	v_ashrrev_i32_e32 v3, 31, v2
	v_lshl_add_u64 v[12:13], v[2:3], 2, s[6:7]
	global_load_dword v2, v[4:5], off
	global_load_dword v8, v[6:7], off
	;; [unrolled: 1-line block ×4, first 2 shown]
	s_andn2_b64 vcc, exec, s[14:15]
	s_cbranch_vccnz .LBB1356_8
; %bb.6:
	s_add_u32 s12, s12, s16
	s_addc_u32 s13, s13, s17
	s_load_dword s14, s[12:13], 0x0
	s_branch .LBB1356_9
.LBB1356_7:
	s_mov_b64 s[8:9], 0
	s_branch .LBB1356_2
.LBB1356_8:
	s_mov_b32 s14, s2
.LBB1356_9:
	s_load_dwordx4 s[44:47], s[0:1], 0x48
	v_lshrrev_b32_e32 v57, 6, v0
	v_bfe_u32 v60, v0, 4, 2
	v_and_b32_e32 v56, 15, v0
	v_lshl_or_b32 v3, v57, 2, v60
	v_lshlrev_b32_e32 v1, 3, v56
	v_and_b32_e32 v61, 63, v0
	s_mul_i32 s48, s4, 9
	v_cmp_gt_u32_e32 vcc, 9, v3
	v_lshlrev_b32_e32 v54, 1, v1
	v_lshlrev_b32_e32 v1, 4, v0
	s_and_saveexec_b64 s[12:13], vcc
	s_cbranch_execz .LBB1356_11
; %bb.10:
	s_load_dwordx2 s[16:17], s[0:1], 0x0
	s_waitcnt lgkmcnt(0)
	s_ashr_i32 s15, s44, 31
	s_mul_hi_u32 s20, s14, s44
	s_mul_i32 s15, s14, s15
	s_add_i32 s15, s20, s15
	s_mul_i32 s14, s14, s44
	s_lshl_b64 s[14:15], s[14:15], 1
	s_add_u32 s14, s16, s14
	v_add_lshl_u32 v4, v3, s48, 7
	s_addc_u32 s15, s17, s15
	v_ashrrev_i32_e32 v5, 31, v4
	v_lshl_add_u64 v[4:5], v[4:5], 1, s[14:15]
	v_mov_b32_e32 v55, 0
	v_lshl_add_u64 v[4:5], v[4:5], 0, v[54:55]
	global_load_dwordx4 v[4:7], v[4:5], off
	v_lshlrev_b32_e32 v10, 8, v0
	v_lshlrev_b32_e32 v9, 8, v56
	v_and_b32_e32 v10, 0x600, v10
	s_movk_i32 s14, 0x800
	v_and_or_b32 v9, v9, s14, v10
	v_lshlrev_b32_e32 v3, 5, v3
	v_and_b32_e32 v10, 16, v1
	v_or3_b32 v3, v9, v3, v10
	s_waitcnt vmcnt(0)
	ds_write_b128 v3, v[4:7]
.LBB1356_11:
	s_or_b64 exec, exec, s[12:13]
	s_waitcnt lgkmcnt(0)
	s_mul_i32 s12, s4, s46
	s_add_u32 s8, s8, s12
	s_addc_u32 s9, s9, 0
	v_mov_b32_e32 v51, 0
	v_mov_b64_e32 v[12:13], s[8:9]
	v_and_b32_e32 v9, 48, v0
	s_waitcnt vmcnt(3)
	v_mad_i64_i32 v[2:3], s[8:9], v2, s45, v[12:13]
	v_lshlrev_b32_e32 v10, 4, v56
	v_mov_b32_e32 v11, v51
	v_lshlrev_b32_e32 v50, 5, v9
	v_lshl_add_u64 v[2:3], v[2:3], 0, v[10:11]
	v_lshl_add_u64 v[6:7], v[2:3], 0, v[50:51]
	s_load_dword s23, s[0:1], 0x98
	s_load_dwordx4 s[40:43], s[0:1], 0x80
	s_waitcnt lgkmcnt(0)
	s_barrier
	global_load_dwordx4 v[2:5], v[6:7], off
	global_load_dwordx4 v[42:45], v[6:7], off offset:2048
	v_add_u32_e32 v14, -9, v56
	v_cmp_gt_u32_e32 vcc, 9, v56
	s_ashr_i32 s8, s18, 31
	v_or_b32_e32 v24, 0x100, v10
	v_cndmask_b32_e32 v6, v14, v56, vcc
	v_mov_b32_e32 v25, v51
	s_lshr_b32 s13, s8, 27
	s_waitcnt vmcnt(4)
	v_mad_i64_i32 v[30:31], s[8:9], v8, s45, v[12:13]
	v_lshlrev_b32_e32 v6, 5, v6
	v_lshl_add_u64 v[30:31], v[30:31], 0, v[24:25]
	v_lshl_add_u32 v6, v60, 9, v6
	v_lshl_add_u64 v[30:31], v[30:31], 0, v[50:51]
	v_or_b32_e32 v37, s18, v9
	ds_read_b128 v[26:29], v6
	ds_read_b128 v[18:21], v6 offset:16
	ds_read_b128 v[14:17], v6 offset:2048
	;; [unrolled: 1-line block ×3, first 2 shown]
	global_load_dwordx4 v[46:49], v[30:31], off
	s_waitcnt vmcnt(4)
	v_mad_i64_i32 v[32:33], s[8:9], v22, s45, v[12:13]
	v_lshl_add_u64 v[10:11], v[32:33], 0, v[10:11]
	global_load_dwordx4 v[30:33], v[30:31], off offset:2048
	v_or_b32_e32 v38, 64, v37
	v_add_u32_e32 v22, s13, v37
	v_mov_b32_e32 v36, s19
	v_or_b32_e32 v39, 0x80, v37
	s_waitcnt vmcnt(4)
	v_mad_i64_i32 v[12:13], s[8:9], v23, s45, v[12:13]
	v_add_u32_e32 v23, s13, v38
	v_ashrrev_i32_e32 v22, 5, v22
	v_cmp_gt_i32_e32 vcc, s5, v37
	v_or_b32_e32 v40, 0xc0, v37
	v_add_u32_e32 v34, s13, v39
	v_ashrrev_i32_e32 v23, 5, v23
	v_cndmask_b32_e32 v52, v36, v22, vcc
	v_cmp_gt_i32_e32 vcc, s5, v38
	v_add_u32_e32 v35, s13, v40
	v_lshl_add_u64 v[12:13], v[12:13], 0, v[24:25]
	v_ashrrev_i32_e32 v24, 5, v34
	v_cndmask_b32_e32 v58, v36, v23, vcc
	v_cmp_gt_i32_e32 vcc, s5, v39
	v_ashrrev_i32_e32 v25, 5, v35
	v_lshl_add_u64 v[10:11], v[10:11], 0, v[50:51]
	v_lshl_add_u64 v[34:35], v[12:13], 0, v[50:51]
	v_cndmask_b32_e32 v62, v36, v24, vcc
	v_cmp_gt_i32_e32 vcc, s5, v40
	v_ashrrev_i32_e32 v53, 31, v52
	v_ashrrev_i32_e32 v59, 31, v58
	v_cndmask_b32_e32 v64, v36, v25, vcc
	global_load_dwordx4 v[22:25], v[10:11], off
	s_nop 0
	global_load_dwordx4 v[10:13], v[10:11], off offset:2048
	s_nop 0
	global_load_dwordx4 v[38:41], v[34:35], off
	s_nop 0
	global_load_dwordx4 v[34:37], v[34:35], off offset:2048
	v_ashrrev_i32_e32 v63, 31, v62
	v_ashrrev_i32_e32 v65, 31, v64
	v_lshl_add_u64 v[52:53], v[52:53], 2, s[6:7]
	v_lshl_add_u64 v[66:67], v[58:59], 2, s[6:7]
	;; [unrolled: 1-line block ×4, first 2 shown]
	global_load_dword v58, v[52:53], off
	global_load_dword v64, v[66:67], off
	;; [unrolled: 1-line block ×3, first 2 shown]
	s_nop 0
	global_load_dword v62, v[68:69], off
	s_mov_b32 s33, 0x7060302
	s_add_u32 s6, s10, s12
	s_addc_u32 s7, s11, 0
	v_and_b32_e32 v50, 16, v0
	v_lshl_or_b32 v63, v57, 4, v56
	s_load_dword s4, s[0:1], 0x1c
	s_waitcnt vmcnt(11)
	v_cvt_pk_f32_fp8_e32 v[52:53], v2
	v_cvt_pk_f32_fp8_sdwa v[66:67], v2 src0_sel:WORD_1
	v_cvt_pk_f32_fp8_e32 v[68:69], v3
	v_cvt_pk_f32_fp8_sdwa v[2:3], v3 src0_sel:WORD_1
	v_perm_b32 v52, v53, v52, s33
	v_perm_b32 v53, v67, v66, s33
	v_cvt_pk_f32_fp8_e32 v[70:71], v4
	v_cvt_pk_f32_fp8_sdwa v[72:73], v4 src0_sel:WORD_1
	v_perm_b32 v74, v69, v68, s33
	v_perm_b32 v75, v3, v2, s33
	s_waitcnt lgkmcnt(0)
	v_mfma_f32_16x16x16_bf16 v[66:69], v[52:53], v[26:27], 0
	v_cvt_pk_f32_fp8_e32 v[2:3], v5
	v_perm_b32 v52, v71, v70, s33
	v_perm_b32 v53, v73, v72, s33
	v_cvt_pk_f32_fp8_sdwa v[4:5], v5 src0_sel:WORD_1
	v_mfma_f32_16x16x16_bf16 v[66:69], v[74:75], v[28:29], v[66:69]
	v_perm_b32 v70, v3, v2, s33
	s_waitcnt vmcnt(10)
	v_cvt_pk_f32_fp8_e32 v[72:73], v42
	v_cvt_pk_f32_fp8_sdwa v[74:75], v42 src0_sel:WORD_1
	v_perm_b32 v71, v5, v4, s33
	v_mfma_f32_16x16x16_bf16 v[2:5], v[52:53], v[18:19], v[66:69]
	v_perm_b32 v52, v73, v72, s33
	v_perm_b32 v53, v75, v74, s33
	s_waitcnt vmcnt(6)
	v_cvt_pk_f32_fp8_e32 v[74:75], v11
	v_cvt_pk_f32_fp8_e32 v[66:67], v43
	v_cvt_pk_f32_fp8_sdwa v[42:43], v43 src0_sel:WORD_1
	v_mfma_f32_16x16x16_bf16 v[2:5], v[70:71], v[20:21], v[2:5]
	v_cvt_pk_f32_fp8_sdwa v[68:69], v46 src0_sel:WORD_1
	v_perm_b32 v66, v67, v66, s33
	v_perm_b32 v67, v43, v42, s33
	v_mfma_f32_16x16x16_bf16 v[2:5], v[52:53], v[14:15], v[2:5]
	v_cvt_pk_f32_fp8_e32 v[42:43], v44
	v_cvt_pk_f32_fp8_sdwa v[52:53], v44 src0_sel:WORD_1
	v_cvt_pk_f32_fp8_sdwa v[70:71], v30 src0_sel:WORD_1
	v_mfma_f32_16x16x16_bf16 v[2:5], v[66:67], v[16:17], v[2:5]
	v_cvt_pk_f32_fp8_e32 v[66:67], v45
	v_perm_b32 v42, v43, v42, s33
	v_perm_b32 v43, v53, v52, s33
	v_cvt_pk_f32_fp8_sdwa v[44:45], v45 src0_sel:WORD_1
	v_perm_b32 v52, v67, v66, s33
	v_cvt_pk_f32_fp8_e32 v[66:67], v46
	v_mfma_f32_16x16x16_bf16 v[2:5], v[42:43], v[6:7], v[2:5]
	v_perm_b32 v53, v45, v44, s33
	v_perm_b32 v66, v67, v66, s33
	;; [unrolled: 1-line block ×3, first 2 shown]
	v_cvt_pk_f32_fp8_e32 v[68:69], v47
	v_cvt_pk_f32_fp8_sdwa v[46:47], v47 src0_sel:WORD_1
	v_mfma_f32_16x16x16_bf16 v[42:45], v[52:53], v[8:9], v[2:5]
	v_lshl_add_u64 v[52:53], s[6:7], 0, v[50:51]
	v_perm_b32 v68, v69, v68, s33
	v_perm_b32 v69, v47, v46, s33
	v_mfma_f32_16x16x16_bf16 v[2:5], v[66:67], v[26:27], 0
	v_cvt_pk_f32_fp8_e32 v[46:47], v48
	v_cvt_pk_f32_fp8_sdwa v[66:67], v48 src0_sel:WORD_1
	v_lshlrev_b32_e32 v50, 5, v63
	v_mfma_f32_16x16x16_bf16 v[2:5], v[68:69], v[28:29], v[2:5]
	v_cvt_pk_f32_fp8_e32 v[68:69], v49
	v_perm_b32 v46, v47, v46, s33
	v_perm_b32 v47, v67, v66, s33
	v_cvt_pk_f32_fp8_sdwa v[48:49], v49 src0_sel:WORD_1
	v_perm_b32 v66, v69, v68, s33
	v_cvt_pk_f32_fp8_e32 v[68:69], v30
	v_mfma_f32_16x16x16_bf16 v[2:5], v[46:47], v[18:19], v[2:5]
	v_perm_b32 v67, v49, v48, s33
	v_perm_b32 v46, v69, v68, s33
	;; [unrolled: 1-line block ×3, first 2 shown]
	v_cvt_pk_f32_fp8_e32 v[48:49], v31
	v_cvt_pk_f32_fp8_sdwa v[30:31], v31 src0_sel:WORD_1
	v_mfma_f32_16x16x16_bf16 v[2:5], v[66:67], v[20:21], v[2:5]
	v_cvt_pk_f32_fp8_sdwa v[66:67], v22 src0_sel:WORD_1
	v_perm_b32 v48, v49, v48, s33
	v_perm_b32 v49, v31, v30, s33
	v_mfma_f32_16x16x16_bf16 v[2:5], v[46:47], v[14:15], v[2:5]
	v_cvt_pk_f32_fp8_e32 v[30:31], v32
	v_cvt_pk_f32_fp8_sdwa v[46:47], v32 src0_sel:WORD_1
	v_cvt_pk_f32_fp8_sdwa v[80:81], v13 src0_sel:WORD_1
	v_mfma_f32_16x16x16_bf16 v[2:5], v[48:49], v[16:17], v[2:5]
	v_cvt_pk_f32_fp8_e32 v[48:49], v33
	v_perm_b32 v30, v31, v30, s33
	v_perm_b32 v31, v47, v46, s33
	v_cvt_pk_f32_fp8_sdwa v[32:33], v33 src0_sel:WORD_1
	v_perm_b32 v46, v49, v48, s33
	v_cvt_pk_f32_fp8_e32 v[48:49], v22
	v_mfma_f32_16x16x16_bf16 v[2:5], v[30:31], v[6:7], v[2:5]
	v_perm_b32 v47, v33, v32, s33
	v_perm_b32 v30, v49, v48, s33
	;; [unrolled: 1-line block ×3, first 2 shown]
	v_cvt_pk_f32_fp8_e32 v[32:33], v23
	v_cvt_pk_f32_fp8_sdwa v[22:23], v23 src0_sel:WORD_1
	v_mfma_f32_16x16x16_bf16 v[46:49], v[46:47], v[8:9], v[2:5]
	v_lshl_add_u64 v[66:67], v[52:53], 0, v[50:51]
	v_perm_b32 v32, v33, v32, s33
	v_perm_b32 v33, v23, v22, s33
	v_mfma_f32_16x16x16_bf16 v[2:5], v[30:31], v[26:27], 0
	v_cvt_pk_f32_fp8_e32 v[22:23], v24
	v_cvt_pk_f32_fp8_sdwa v[30:31], v24 src0_sel:WORD_1
	s_waitcnt vmcnt(3)
	v_mad_i64_i32 v[68:69], s[6:7], v58, s45, v[66:67]
	v_perm_b32 v22, v23, v22, s33
	v_perm_b32 v23, v31, v30, s33
	v_cvt_pk_f32_fp8_e32 v[30:31], v25
	v_cvt_pk_f32_fp8_sdwa v[24:25], v25 src0_sel:WORD_1
	v_mfma_f32_16x16x16_bf16 v[2:5], v[32:33], v[28:29], v[2:5]
	s_waitcnt vmcnt(2)
	v_mad_i64_i32 v[70:71], s[6:7], v64, s45, v[66:67]
	v_perm_b32 v72, v31, v30, s33
	v_perm_b32 v73, v25, v24, s33
	v_mfma_f32_16x16x16_bf16 v[2:5], v[22:23], v[18:19], v[2:5]
	global_load_dwordx4 v[30:33], v[68:69], off
	global_load_dwordx4 v[22:25], v[70:71], off
	v_cvt_pk_f32_fp8_e32 v[68:69], v10
	s_waitcnt vmcnt(3)
	v_mad_i64_i32 v[70:71], s[6:7], v55, s45, v[66:67]
	v_mfma_f32_16x16x16_bf16 v[2:5], v[72:73], v[20:21], v[2:5]
	v_cvt_pk_f32_fp8_sdwa v[72:73], v10 src0_sel:WORD_1
	v_cvt_pk_f32_fp8_sdwa v[10:11], v11 src0_sel:WORD_1
	v_perm_b32 v68, v69, v68, s33
	s_waitcnt vmcnt(2)
	v_mad_i64_i32 v[76:77], s[6:7], v62, s45, v[66:67]
	v_perm_b32 v69, v73, v72, s33
	v_perm_b32 v72, v75, v74, s33
	v_perm_b32 v73, v11, v10, s33
	v_cvt_pk_f32_fp8_e32 v[10:11], v12
	v_cvt_pk_f32_fp8_sdwa v[74:75], v12 src0_sel:WORD_1
	v_mfma_f32_16x16x16_bf16 v[66:69], v[68:69], v[14:15], v[2:5]
	v_or_b32_e32 v50, 0x800, v50
	v_perm_b32 v78, v11, v10, s33
	v_perm_b32 v79, v75, v74, s33
	v_cvt_pk_f32_fp8_e32 v[74:75], v13
	v_mfma_f32_16x16x16_bf16 v[66:69], v[72:73], v[16:17], v[66:69]
	v_lshl_add_u64 v[50:51], v[52:53], 0, v[50:51]
	v_perm_b32 v53, v81, v80, s33
	v_perm_b32 v52, v75, v74, s33
	global_load_dwordx4 v[10:13], v[70:71], off
	global_load_dwordx4 v[2:5], v[76:77], off
	v_mfma_f32_16x16x16_bf16 v[66:69], v[78:79], v[6:7], v[66:69]
	v_cvt_pk_f32_fp8_e32 v[70:71], v38
	v_cvt_pk_f32_fp8_sdwa v[72:73], v38 src0_sel:WORD_1
	v_cvt_pk_f32_fp8_e32 v[74:75], v40
	v_mfma_f32_16x16x16_bf16 v[66:69], v[52:53], v[8:9], v[66:69]
	v_cvt_pk_f32_fp8_e32 v[52:53], v39
	v_perm_b32 v70, v71, v70, s33
	v_perm_b32 v71, v73, v72, s33
	v_cvt_pk_f32_fp8_sdwa v[38:39], v39 src0_sel:WORD_1
	v_perm_b32 v52, v53, v52, s33
	v_cvt_pk_f32_fp8_sdwa v[76:77], v40 src0_sel:WORD_1
	v_mfma_f32_16x16x16_bf16 v[70:73], v[70:71], v[26:27], 0
	v_perm_b32 v53, v39, v38, s33
	v_perm_b32 v38, v75, v74, s33
	;; [unrolled: 1-line block ×3, first 2 shown]
	v_cvt_pk_f32_fp8_e32 v[74:75], v41
	v_cvt_pk_f32_fp8_sdwa v[40:41], v41 src0_sel:WORD_1
	v_mfma_f32_16x16x16_bf16 v[26:29], v[52:53], v[28:29], v[70:73]
	s_load_dword s6, s[40:41], 0x0
	v_mov_b32_e32 v52, s4
	s_mov_b32 s40, 0xff7fffff
	v_perm_b32 v70, v75, v74, s33
	v_perm_b32 v71, v41, v40, s33
	v_mfma_f32_16x16x16_bf16 v[26:29], v[38:39], v[18:19], v[26:29]
	v_cvt_pk_f32_fp8_e32 v[40:41], v35
	s_waitcnt lgkmcnt(0)
	v_mul_f32_e32 v72, s6, v52
	v_pk_mul_f32 v[52:53], v[72:73], v[42:43] op_sel_hi:[0,1]
	v_mfma_f32_16x16x16_bf16 v[18:21], v[70:71], v[20:21], v[26:29]
	v_pk_mul_f32 v[38:39], v[72:73], v[44:45] op_sel_hi:[0,1]
	v_mad_i64_i32 v[70:71], s[6:7], v58, s45, v[50:51]
	s_nop 0
	v_cvt_pk_f32_fp8_e32 v[26:27], v34
	v_cvt_pk_f32_fp8_sdwa v[28:29], v34 src0_sel:WORD_1
	v_cvt_pk_f32_fp8_sdwa v[34:35], v35 src0_sel:WORD_1
	v_pk_mul_f32 v[58:59], v[72:73], v[46:47] op_sel_hi:[0,1]
	v_perm_b32 v26, v27, v26, s33
	v_perm_b32 v27, v29, v28, s33
	;; [unrolled: 1-line block ×4, first 2 shown]
	v_cvt_pk_f32_fp8_e32 v[34:35], v36
	v_cvt_pk_f32_fp8_sdwa v[40:41], v36 src0_sel:WORD_1
	v_mfma_f32_16x16x16_bf16 v[18:21], v[26:27], v[14:15], v[18:21]
	v_pk_mul_f32 v[48:49], v[72:73], v[48:49] op_sel_hi:[0,1]
	v_perm_b32 v26, v35, v34, s33
	v_perm_b32 v27, v41, v40, s33
	v_cvt_pk_f32_fp8_e32 v[34:35], v37
	v_cvt_pk_f32_fp8_sdwa v[36:37], v37 src0_sel:WORD_1
	v_mfma_f32_16x16x16_bf16 v[14:17], v[28:29], v[16:17], v[18:21]
	v_pk_mul_f32 v[40:41], v[72:73], v[66:67] op_sel_hi:[0,1]
	v_pk_mul_f32 v[44:45], v[72:73], v[68:69] op_sel_hi:[0,1]
	s_nop 0
	v_perm_b32 v18, v35, v34, s33
	v_perm_b32 v19, v37, v36, s33
	v_mfma_f32_16x16x16_bf16 v[14:17], v[26:27], v[6:7], v[14:17]
	s_nop 0
	v_mfma_f32_16x16x16_bf16 v[6:9], v[18:19], v[8:9], v[14:17]
	s_nop 6
	v_pk_mul_f32 v[42:43], v[72:73], v[6:7] op_sel_hi:[0,1]
	v_and_b32_e32 v6, 0xc0, v0
	v_add_u32_e32 v6, s18, v6
	v_lshl_or_b32 v6, v60, 2, v6
	v_pk_mul_f32 v[34:35], v[72:73], v[8:9] op_sel_hi:[0,1]
	v_or_b32_e32 v9, 1, v6
	v_mov_b32_e32 v7, 0xff7fffff
	v_cmp_gt_i32_e64 s[24:25], s5, v6
	v_cmp_gt_i32_e64 s[26:27], s5, v9
	v_or_b32_e32 v14, 3, v6
	v_cndmask_b32_e64 v8, v7, v52, s[24:25]
	v_cndmask_b32_e64 v9, v7, v53, s[26:27]
	v_max3_f32 v8, v8, s40, v9
	v_or_b32_e32 v9, 2, v6
	v_cmp_gt_i32_e64 s[28:29], s5, v9
	v_cmp_gt_i32_e64 s[30:31], s5, v14
	s_nop 0
	v_cndmask_b32_e64 v9, v7, v38, s[28:29]
	v_cndmask_b32_e64 v14, v7, v39, s[30:31]
	v_max3_f32 v8, v8, v9, v14
	v_or_b32_e32 v9, 16, v6
	v_or_b32_e32 v14, 17, v6
	v_cmp_gt_i32_e64 s[34:35], s5, v9
	v_cmp_gt_i32_e64 s[36:37], s5, v14
	s_nop 0
	v_cndmask_b32_e64 v9, v7, v58, s[34:35]
	v_cndmask_b32_e64 v14, v7, v59, s[36:37]
	v_max3_f32 v8, v8, v9, v14
	v_or_b32_e32 v9, 18, v6
	;; [unrolled: 8-line block ×6, first 2 shown]
	v_or_b32_e32 v6, 51, v6
	v_cmp_gt_i32_e32 vcc, s5, v9
	v_cmp_gt_i32_e64 s[4:5], s5, v6
	s_nop 0
	v_cndmask_b32_e32 v9, v7, v34, vcc
	v_cndmask_b32_e64 v6, v7, v35, s[4:5]
	v_max3_f32 v8, v8, v9, v6
	v_mbcnt_lo_u32_b32 v6, -1, 0
	v_mbcnt_hi_u32_b32 v9, -1, v6
	v_and_b32_e32 v6, 64, v9
	v_add_u32_e32 v14, 64, v6
	v_xor_b32_e32 v6, 32, v9
	v_cmp_lt_i32_e64 s[38:39], v6, v14
	s_nop 1
	v_cndmask_b32_e64 v6, v9, v6, s[38:39]
	v_lshlrev_b32_e32 v65, 2, v6
	ds_bpermute_b32 v15, v65, v8
	v_mad_i64_i32 v[6:7], s[38:39], v64, s45, v[50:51]
	global_load_dwordx4 v[26:29], v[70:71], off
	global_load_dwordx4 v[18:21], v[6:7], off
	s_waitcnt lgkmcnt(0)
	v_max_f32_e32 v6, v15, v15
	v_max_f32_e32 v15, v8, v6
	v_xor_b32_e32 v6, 16, v9
	v_cmp_lt_i32_e64 s[38:39], v6, v14
	s_nop 1
	v_cndmask_b32_e64 v6, v9, v6, s[38:39]
	v_lshlrev_b32_e32 v64, 2, v6
	ds_bpermute_b32 v14, v64, v15
	v_mad_i64_i32 v[6:7], s[38:39], v55, s45, v[50:51]
	v_mad_i64_i32 v[8:9], s[38:39], v62, s45, v[50:51]
	s_waitcnt lgkmcnt(0)
	v_max_f32_e32 v14, v14, v14
	v_max_f32_e32 v50, v15, v14
	v_sub_f32_e32 v14, v52, v50
	v_mul_f32_e32 v14, 0x3fb8aa3b, v14
	v_exp_f32_e32 v36, v14
	v_sub_f32_e32 v14, v53, v50
	v_mul_f32_e32 v14, 0x3fb8aa3b, v14
	v_exp_f32_e32 v37, v14
	global_load_dwordx4 v[14:17], v[6:7], off
	s_nop 0
	global_load_dwordx4 v[6:9], v[8:9], off
	v_sub_f32_e32 v38, v38, v50
	v_mul_f32_e32 v38, 0x3fb8aa3b, v38
	v_sub_f32_e32 v39, v39, v50
	v_exp_f32_e32 v38, v38
	v_mul_f32_e32 v39, 0x3fb8aa3b, v39
	v_exp_f32_e32 v39, v39
	v_cndmask_b32_e64 v36, 0, v36, s[24:25]
	v_add_f32_e32 v46, 0, v36
	v_cndmask_b32_e64 v37, 0, v37, s[26:27]
	v_add_f32_e32 v47, v46, v37
	;; [unrolled: 2-line block ×3, first 2 shown]
	v_cndmask_b32_e64 v47, 0, v39, s[30:31]
	v_sub_f32_e32 v39, v58, v50
	v_mul_f32_e32 v39, 0x3fb8aa3b, v39
	v_sub_f32_e32 v51, v59, v50
	v_exp_f32_e32 v39, v39
	v_mul_f32_e32 v51, 0x3fb8aa3b, v51
	v_sub_f32_e32 v48, v48, v50
	v_exp_f32_e32 v51, v51
	v_mul_f32_e32 v48, 0x3fb8aa3b, v48
	v_sub_f32_e32 v49, v49, v50
	v_exp_f32_e32 v48, v48
	v_mul_f32_e32 v49, 0x3fb8aa3b, v49
	v_sub_f32_e32 v40, v40, v50
	v_exp_f32_e32 v49, v49
	v_mul_f32_e32 v40, 0x3fb8aa3b, v40
	v_sub_f32_e32 v41, v41, v50
	v_add_f32_e32 v52, v38, v47
	v_cndmask_b32_e64 v38, 0, v39, s[34:35]
	v_exp_f32_e32 v40, v40
	v_mul_f32_e32 v41, 0x3fb8aa3b, v41
	v_sub_f32_e32 v44, v44, v50
	v_add_f32_e32 v52, v52, v38
	v_cndmask_b32_e64 v39, 0, v51, s[36:37]
	v_exp_f32_e32 v41, v41
	;; [unrolled: 5-line block ×7, first 2 shown]
	v_mul_f32_e32 v35, 0x3fb8aa3b, v35
	v_add_f32_e32 v51, v51, v44
	v_cndmask_b32_e64 v45, 0, v45, s[12:13]
	v_exp_f32_e32 v35, v35
	v_add_f32_e32 v51, v51, v45
	v_cndmask_b32_e64 v42, 0, v42, s[6:7]
	v_add_f32_e32 v51, v51, v42
	v_cndmask_b32_e64 v43, 0, v43, s[8:9]
	v_add_f32_e32 v51, v51, v43
	v_cndmask_b32_e32 v34, 0, v34, vcc
	v_add_f32_e32 v51, v51, v34
	v_cndmask_b32_e64 v35, 0, v35, s[4:5]
	v_add_f32_e32 v51, v51, v35
	ds_bpermute_b32 v52, v65, v51
	v_cmp_gt_u32_e64 s[4:5], 16, v61
	s_waitcnt lgkmcnt(0)
	s_barrier
	v_add_f32_e32 v51, v51, v52
	ds_bpermute_b32 v52, v64, v51
	s_and_saveexec_b64 s[6:7], s[4:5]
	s_cbranch_execz .LBB1356_13
; %bb.12:
	s_waitcnt lgkmcnt(0)
	v_add_f32_e32 v51, v51, v52
	v_lshlrev_b32_e32 v52, 2, v63
	ds_write2st64_b32 v52, v50, v51 offset1:1
.LBB1356_13:
	s_or_b64 exec, exec, s[6:7]
	v_lshlrev_b32_e32 v51, 2, v56
	s_load_dword s8, s[0:1], 0x94
	s_waitcnt lgkmcnt(0)
	s_barrier
	ds_read2_b32 v[52:53], v51 offset1:16
	ds_read2_b32 v[58:59], v51 offset0:32 offset1:48
	ds_read2_b32 v[62:63], v51 offset0:64 offset1:80
	s_movk_i32 s10, 0x7fff
	s_mul_i32 s9, s23, 9
	s_waitcnt lgkmcnt(2)
	v_max3_f32 v50, v52, s40, v53
	s_waitcnt lgkmcnt(1)
	v_max3_f32 v50, v50, v58, v59
	v_sub_f32_e32 v52, v52, v50
	v_mul_f32_e32 v52, 0x3fb8aa3b, v52
	v_exp_f32_e32 v55, v52
	v_sub_f32_e32 v52, v53, v50
	v_mul_f32_e32 v52, 0x3fb8aa3b, v52
	v_exp_f32_e32 v61, v52
	;; [unrolled: 3-line block ×3, first 2 shown]
	ds_read2_b32 v[52:53], v51 offset0:96 offset1:112
	v_sub_f32_e32 v51, v59, v50
	v_mul_f32_e32 v51, 0x3fb8aa3b, v51
	v_exp_f32_e32 v59, v51
	s_waitcnt lgkmcnt(1)
	v_fma_f32 v51, v55, v62, 0
	v_fmac_f32_e32 v51, v61, v63
	s_waitcnt lgkmcnt(0)
	v_fmac_f32_e32 v51, v58, v52
	v_fmac_f32_e32 v51, v59, v53
	v_add_f32_e32 v52, 0x358637bd, v51
	v_div_scale_f32 v53, s[6:7], v52, v52, 1.0
	v_rcp_f32_e32 v62, v53
	s_barrier
	v_fma_f32 v63, -v53, v62, 1.0
	v_fmac_f32_e32 v62, v63, v62
	v_div_scale_f32 v63, vcc, 1.0, v52, 1.0
	v_mul_f32_e32 v64, v63, v62
	v_fma_f32 v65, -v53, v64, v63
	v_fmac_f32_e32 v64, v65, v62
	v_fma_f32 v53, -v53, v64, v63
	v_div_fmas_f32 v53, v53, v62, v64
	v_cmp_eq_u32_e32 vcc, 1, v57
	v_div_fixup_f32 v52, v53, v52, 1.0
	s_nop 0
	v_cndmask_b32_e32 v53, v55, v61, vcc
	v_cmp_eq_u32_e32 vcc, 2, v57
	s_nop 1
	v_cndmask_b32_e32 v53, v53, v58, vcc
	v_cmp_eq_u32_e32 vcc, 3, v57
	s_nop 1
	v_cndmask_b32_e32 v53, v53, v59, vcc
	v_mul_f32_e32 v52, v53, v52
	v_pk_mul_f32 v[36:37], v[52:53], v[36:37] op_sel_hi:[0,1]
	v_pk_mul_f32 v[46:47], v[52:53], v[46:47] op_sel_hi:[0,1]
	v_bfe_u32 v53, v37, 16, 1
	v_bfe_u32 v55, v36, 16, 1
	v_add3_u32 v36, v36, v55, s10
	v_add3_u32 v37, v37, v53, s10
	v_perm_b32 v58, v37, v36, s33
	v_bfe_u32 v36, v47, 16, 1
	v_bfe_u32 v37, v46, 16, 1
	v_add3_u32 v37, v46, v37, s10
	v_add3_u32 v36, v47, v36, s10
	v_perm_b32 v59, v36, v37, s33
	v_lshlrev_b32_e32 v37, 3, v60
	v_lshlrev_b32_e32 v36, 5, v56
	;; [unrolled: 1-line block ×3, first 2 shown]
	v_pk_mul_f32 v[38:39], v[52:53], v[38:39] op_sel_hi:[0,1]
	v_or3_b32 v55, v46, v36, v37
	v_pk_mul_f32 v[46:47], v[52:53], v[48:49] op_sel_hi:[0,1]
	v_bfe_u32 v37, v39, 16, 1
	v_bfe_u32 v48, v38, 16, 1
	v_add3_u32 v38, v38, v48, s10
	v_add3_u32 v37, v39, v37, s10
	v_perm_b32 v38, v37, v38, s33
	v_bfe_u32 v37, v47, 16, 1
	v_bfe_u32 v39, v46, 16, 1
	v_add3_u32 v39, v46, v39, s10
	v_add3_u32 v37, v47, v37, s10
	v_perm_b32 v39, v37, v39, s33
	v_pk_mul_f32 v[40:41], v[52:53], v[40:41] op_sel_hi:[0,1]
	ds_write2st64_b64 v55, v[58:59], v[38:39] offset1:1
	v_pk_mul_f32 v[38:39], v[52:53], v[44:45] op_sel_hi:[0,1]
	v_bfe_u32 v37, v41, 16, 1
	v_bfe_u32 v44, v40, 16, 1
	v_add3_u32 v40, v40, v44, s10
	v_add3_u32 v37, v41, v37, s10
	v_perm_b32 v40, v37, v40, s33
	v_bfe_u32 v37, v39, 16, 1
	v_bfe_u32 v41, v38, 16, 1
	v_add3_u32 v38, v38, v41, s10
	v_add3_u32 v37, v39, v37, s10
	v_perm_b32 v41, v37, v38, s33
	v_pk_mul_f32 v[38:39], v[52:53], v[42:43] op_sel_hi:[0,1]
	v_bfe_u32 v37, v39, 16, 1
	v_bfe_u32 v42, v38, 16, 1
	v_pk_mul_f32 v[34:35], v[52:53], v[34:35] op_sel_hi:[0,1]
	v_add3_u32 v38, v38, v42, s10
	v_add3_u32 v37, v39, v37, s10
	v_perm_b32 v38, v37, v38, s33
	v_bfe_u32 v37, v35, 16, 1
	v_bfe_u32 v39, v34, 16, 1
	v_add3_u32 v34, v34, v39, s10
	v_add3_u32 v35, v35, v37, s10
	v_perm_b32 v39, v35, v34, s33
	v_cmp_gt_u32_e32 vcc, 9, v0
	ds_write2st64_b64 v55, v[40:41], v[38:39] offset0:2 offset1:3
	s_and_saveexec_b64 s[6:7], vcc
	s_cbranch_execz .LBB1356_15
; %bb.14:
	s_mov_b32 s49, 0
	v_mov_b32_e32 v57, 0
	v_lshl_add_u64 v[34:35], s[48:49], 0, v[56:57]
	v_mov_b32_e32 v37, s9
	v_mad_u64_u32 v[34:35], s[16:17], s2, v37, v[34:35]
	s_mul_i32 s3, s3, s9
	v_mov_b32_e32 v38, s22
	v_mov_b32_e32 v39, v57
	s_load_dwordx4 s[12:15], s[0:1], 0x58
	v_add_u32_e32 v37, s3, v35
	v_mad_u64_u32 v[34:35], s[16:17], v34, s8, v[38:39]
	v_mov_b32_e32 v38, v35
	v_mad_u64_u32 v[38:39], s[16:17], v37, s8, v[38:39]
	v_mov_b32_e32 v35, v38
	v_lshlrev_b64 v[34:35], 2, v[34:35]
	s_waitcnt lgkmcnt(0)
	v_lshl_add_u64 v[38:39], s[14:15], 0, v[34:35]
	v_lshl_add_u64 v[34:35], s[12:13], 0, v[34:35]
	global_store_dword v[38:39], v50, off
	global_store_dword v[34:35], v51, off
.LBB1356_15:
	s_or_b64 exec, exec, s[6:7]
	v_lshl_or_b32 v50, v60, 9, v36
	s_waitcnt vmcnt(7)
	v_cvt_pk_f32_fp8_e32 v[34:35], v30
	v_cvt_pk_f32_fp8_sdwa v[36:37], v30 src0_sel:WORD_1
	s_mov_b32 s7, 0x7060302
	s_waitcnt lgkmcnt(0)
	s_barrier
	v_cvt_pk_f32_fp8_e32 v[38:39], v31
	v_perm_b32 v30, v35, v34, s7
	v_cvt_pk_f32_fp8_sdwa v[40:41], v31 src0_sel:WORD_1
	v_perm_b32 v31, v37, v36, s7
	ds_read_b128 v[34:37], v50
	v_perm_b32 v46, v39, v38, s7
	v_perm_b32 v47, v41, v40, s7
	ds_read_b128 v[38:41], v50 offset:16
	v_cvt_pk_f32_fp8_e32 v[48:49], v32
	v_cvt_pk_f32_fp8_sdwa v[52:53], v32 src0_sel:WORD_1
	s_waitcnt lgkmcnt(1)
	v_mfma_f32_16x16x16_bf16 v[42:45], v[30:31], v[34:35], 0
	s_waitcnt vmcnt(6)
	v_cvt_pk_f32_fp8_e32 v[58:59], v24
	v_perm_b32 v30, v49, v48, s7
	v_perm_b32 v31, v53, v52, s7
	v_cvt_pk_f32_fp8_e32 v[48:49], v33
	v_mfma_f32_16x16x16_bf16 v[42:45], v[46:47], v[36:37], v[42:45]
	v_cvt_pk_f32_fp8_sdwa v[46:47], v33 src0_sel:WORD_1
	v_cvt_pk_f32_fp8_sdwa v[62:63], v24 src0_sel:WORD_1
	v_perm_b32 v48, v49, v48, s7
	s_waitcnt lgkmcnt(0)
	v_mfma_f32_16x16x16_bf16 v[30:33], v[30:31], v[38:39], v[42:45]
	v_perm_b32 v49, v47, v46, s7
	s_waitcnt vmcnt(5)
	v_cvt_pk_f32_fp8_sdwa v[66:67], v12 src0_sel:WORD_1
	s_waitcnt vmcnt(4)
	v_cvt_pk_f32_fp8_sdwa v[68:69], v4 src0_sel:WORD_1
	v_cvt_pk_f32_fp8_e32 v[42:43], v22
	v_mfma_f32_16x16x16_bf16 v[46:49], v[48:49], v[40:41], v[30:33]
	s_load_dword s6, s[42:43], 0x0
	s_waitcnt vmcnt(3)
	v_cvt_pk_f32_fp8_sdwa v[70:71], v28 src0_sel:WORD_1
	v_cvt_pk_f32_fp8_sdwa v[30:31], v22 src0_sel:WORD_1
	v_cvt_pk_f32_fp8_e32 v[32:33], v23
	v_perm_b32 v22, v43, v42, s7
	v_cvt_pk_f32_fp8_sdwa v[42:43], v23 src0_sel:WORD_1
	v_perm_b32 v23, v31, v30, s7
	v_perm_b32 v52, v33, v32, s7
	ds_read_b128 v[30:33], v50 offset:2048
	v_perm_b32 v53, v43, v42, s7
	ds_read_b128 v[42:45], v50 offset:2064
	s_waitcnt lgkmcnt(0)
	v_mfma_f32_16x16x16_bf16 v[46:49], v[22:23], v[30:31], v[46:49]
	v_perm_b32 v22, v59, v58, s7
	v_perm_b32 v23, v63, v62, s7
	v_cvt_pk_f32_fp8_e32 v[58:59], v25
	v_mfma_f32_16x16x16_bf16 v[46:49], v[52:53], v[32:33], v[46:49]
	v_cvt_pk_f32_fp8_sdwa v[52:53], v25 src0_sel:WORD_1
	s_mov_b32 s3, 0
	v_perm_b32 v58, v59, v58, s7
	v_mfma_f32_16x16x16_bf16 v[22:25], v[22:23], v[42:43], v[46:49]
	v_perm_b32 v59, v53, v52, s7
	v_cmp_gt_u32_e32 vcc, 64, v0
	s_nop 0
	v_cvt_pk_f32_fp8_e32 v[46:47], v10
	v_mfma_f32_16x16x16_bf16 v[62:65], v[58:59], v[44:45], v[22:25]
	v_cvt_pk_f32_fp8_e32 v[58:59], v12
	s_nop 1
	v_cvt_pk_f32_fp8_sdwa v[22:23], v10 src0_sel:WORD_1
	v_cvt_pk_f32_fp8_e32 v[24:25], v11
	v_perm_b32 v10, v47, v46, s7
	v_cvt_pk_f32_fp8_sdwa v[46:47], v11 src0_sel:WORD_1
	v_perm_b32 v11, v23, v22, s7
	v_perm_b32 v52, v25, v24, s7
	ds_read_b128 v[22:25], v50 offset:4096
	v_perm_b32 v53, v47, v46, s7
	ds_read_b128 v[46:49], v50 offset:4112
	s_waitcnt lgkmcnt(1)
	v_mfma_f32_16x16x16_bf16 v[62:65], v[10:11], v[22:23], v[62:65]
	v_perm_b32 v10, v59, v58, s7
	v_perm_b32 v11, v67, v66, s7
	v_cvt_pk_f32_fp8_e32 v[58:59], v13
	v_mfma_f32_16x16x16_bf16 v[62:65], v[52:53], v[24:25], v[62:65]
	v_cvt_pk_f32_fp8_sdwa v[52:53], v13 src0_sel:WORD_1
	v_cvt_pk_f32_fp8_e32 v[66:67], v4
	v_perm_b32 v58, v59, v58, s7
	s_waitcnt lgkmcnt(0)
	v_mfma_f32_16x16x16_bf16 v[10:13], v[10:11], v[46:47], v[62:65]
	v_perm_b32 v59, v53, v52, s7
	v_cvt_pk_f32_fp8_e32 v[52:53], v2
	s_nop 0
	v_mfma_f32_16x16x16_bf16 v[62:65], v[58:59], v[48:49], v[10:13]
	s_nop 2
	v_cvt_pk_f32_fp8_sdwa v[10:11], v2 src0_sel:WORD_1
	v_cvt_pk_f32_fp8_e32 v[12:13], v3
	v_perm_b32 v2, v53, v52, s7
	v_cvt_pk_f32_fp8_sdwa v[52:53], v3 src0_sel:WORD_1
	v_perm_b32 v3, v11, v10, s7
	v_perm_b32 v58, v13, v12, s7
	ds_read_b128 v[10:13], v50 offset:6144
	v_perm_b32 v59, v53, v52, s7
	s_waitcnt lgkmcnt(0)
	v_mfma_f32_16x16x16_bf16 v[62:65], v[2:3], v[10:11], v[62:65]
	ds_read_b128 v[50:53], v50 offset:6160
	v_perm_b32 v2, v67, v66, s7
	v_perm_b32 v3, v69, v68, s7
	v_cvt_pk_f32_fp8_e32 v[66:67], v5
	v_mfma_f32_16x16x16_bf16 v[62:65], v[58:59], v[12:13], v[62:65]
	v_cvt_pk_f32_fp8_sdwa v[58:59], v5 src0_sel:WORD_1
	v_cvt_pk_f32_fp8_e32 v[68:69], v28
	v_perm_b32 v66, v67, v66, s7
	s_waitcnt lgkmcnt(0)
	v_mfma_f32_16x16x16_bf16 v[2:5], v[2:3], v[50:51], v[62:65]
	v_perm_b32 v67, v59, v58, s7
	v_cvt_pk_f32_fp8_sdwa v[58:59], v26 src0_sel:WORD_1
	s_nop 0
	v_mfma_f32_16x16x16_bf16 v[62:65], v[66:67], v[52:53], v[2:5]
	s_barrier
	s_nop 1
	v_cvt_pk_f32_fp8_e32 v[4:5], v26
	s_nop 2
	v_pk_mul_f32 v[66:67], v[62:63], s[6:7] op_sel_hi:[1,0]
	v_cvt_pk_f32_fp8_e32 v[62:63], v27
	v_perm_b32 v4, v5, v4, s7
	v_perm_b32 v5, v59, v58, s7
	v_cvt_pk_f32_fp8_sdwa v[26:27], v27 src0_sel:WORD_1
	v_perm_b32 v58, v63, v62, s7
	v_pk_mul_f32 v[2:3], v[64:65], s[6:7] op_sel_hi:[1,0]
	v_mfma_f32_16x16x16_bf16 v[62:65], v[4:5], v[34:35], 0
	v_perm_b32 v59, v27, v26, s7
	v_perm_b32 v4, v69, v68, s7
	;; [unrolled: 1-line block ×3, first 2 shown]
	v_cvt_pk_f32_fp8_e32 v[34:35], v29
	v_cvt_pk_f32_fp8_sdwa v[68:69], v29 src0_sel:WORD_1
	v_mfma_f32_16x16x16_bf16 v[26:29], v[58:59], v[36:37], v[62:65]
	s_waitcnt vmcnt(2)
	v_cvt_pk_f32_fp8_sdwa v[36:37], v18 src0_sel:WORD_1
	v_perm_b32 v34, v35, v34, s7
	v_perm_b32 v35, v69, v68, s7
	v_mfma_f32_16x16x16_bf16 v[26:29], v[4:5], v[38:39], v[26:29]
	v_cvt_pk_f32_fp8_e32 v[4:5], v18
	v_cvt_pk_f32_fp8_sdwa v[38:39], v20 src0_sel:WORD_1
	v_bfe_u32 v57, v67, 16, 1
	v_mfma_f32_16x16x16_bf16 v[26:29], v[34:35], v[40:41], v[26:29]
	v_cvt_pk_f32_fp8_e32 v[34:35], v19
	v_perm_b32 v4, v5, v4, s7
	v_perm_b32 v5, v37, v36, s7
	v_cvt_pk_f32_fp8_sdwa v[18:19], v19 src0_sel:WORD_1
	v_perm_b32 v34, v35, v34, s7
	v_cvt_pk_f32_fp8_e32 v[36:37], v20
	v_mfma_f32_16x16x16_bf16 v[26:29], v[4:5], v[30:31], v[26:29]
	v_perm_b32 v35, v19, v18, s7
	v_perm_b32 v4, v37, v36, s7
	;; [unrolled: 1-line block ×3, first 2 shown]
	v_cvt_pk_f32_fp8_e32 v[30:31], v21
	v_cvt_pk_f32_fp8_sdwa v[36:37], v21 src0_sel:WORD_1
	v_mfma_f32_16x16x16_bf16 v[18:21], v[34:35], v[32:33], v[26:29]
	v_bfe_u32 v58, v66, 16, 1
	v_add3_u32 v32, v66, v58, s10
	v_add3_u32 v33, v67, v57, s10
	v_perm_b32 v26, v31, v30, s7
	v_perm_b32 v27, v37, v36, s7
	v_mfma_f32_16x16x16_bf16 v[18:21], v[4:5], v[42:43], v[18:21]
	s_waitcnt vmcnt(1)
	v_cvt_pk_f32_fp8_e32 v[4:5], v14
	v_cvt_pk_f32_fp8_sdwa v[28:29], v14 src0_sel:WORD_1
	v_cvt_pk_f32_fp8_sdwa v[30:31], v16 src0_sel:WORD_1
	v_mfma_f32_16x16x16_bf16 v[18:21], v[26:27], v[44:45], v[18:21]
	v_cvt_pk_f32_fp8_e32 v[26:27], v15
	v_perm_b32 v4, v5, v4, s7
	v_perm_b32 v5, v29, v28, s7
	v_cvt_pk_f32_fp8_sdwa v[14:15], v15 src0_sel:WORD_1
	v_perm_b32 v26, v27, v26, s7
	v_cvt_pk_f32_fp8_e32 v[28:29], v16
	v_mfma_f32_16x16x16_bf16 v[18:21], v[4:5], v[22:23], v[18:21]
	v_perm_b32 v27, v15, v14, s7
	v_perm_b32 v4, v29, v28, s7
	v_perm_b32 v5, v31, v30, s7
	v_cvt_pk_f32_fp8_e32 v[22:23], v17
	v_cvt_pk_f32_fp8_sdwa v[28:29], v17 src0_sel:WORD_1
	v_mfma_f32_16x16x16_bf16 v[14:17], v[26:27], v[24:25], v[18:21]
	s_waitcnt vmcnt(0)
	v_cvt_pk_f32_fp8_sdwa v[24:25], v8 src0_sel:WORD_1
	s_nop 0
	v_perm_b32 v20, v23, v22, s7
	v_perm_b32 v21, v29, v28, s7
	v_mfma_f32_16x16x16_bf16 v[14:17], v[4:5], v[46:47], v[14:17]
	v_cvt_pk_f32_fp8_e32 v[4:5], v6
	v_cvt_pk_f32_fp8_sdwa v[22:23], v6 src0_sel:WORD_1
	v_bfe_u32 v19, v3, 16, 1
	v_mfma_f32_16x16x16_bf16 v[14:17], v[20:21], v[48:49], v[14:17]
	v_cvt_pk_f32_fp8_e32 v[20:21], v7
	v_perm_b32 v4, v5, v4, s7
	v_perm_b32 v5, v23, v22, s7
	v_cvt_pk_f32_fp8_sdwa v[6:7], v7 src0_sel:WORD_1
	v_perm_b32 v20, v21, v20, s7
	v_cvt_pk_f32_fp8_e32 v[22:23], v8
	v_add3_u32 v3, v3, v19, s10
	v_perm_b32 v21, v7, v6, s7
	v_mfma_f32_16x16x16_bf16 v[4:7], v[4:5], v[10:11], v[14:17]
	v_perm_b32 v10, v23, v22, s7
	v_perm_b32 v11, v25, v24, s7
	;; [unrolled: 1-line block ×3, first 2 shown]
	v_cvt_pk_f32_fp8_e32 v[14:15], v9
	v_cvt_pk_f32_fp8_sdwa v[8:9], v9 src0_sel:WORD_1
	v_mfma_f32_16x16x16_bf16 v[4:7], v[20:21], v[12:13], v[4:7]
	v_bfe_u32 v16, v2, 16, 1
	v_perm_b32 v12, v15, v14, s7
	v_perm_b32 v13, v9, v8, s7
	v_mfma_f32_16x16x16_bf16 v[4:7], v[10:11], v[50:51], v[4:7]
	v_add3_u32 v2, v2, v16, s10
	v_perm_b32 v19, v3, v2, s7
	v_mfma_f32_16x16x16_bf16 v[2:5], v[12:13], v[52:53], v[4:7]
	s_nop 6
	v_pk_mul_f32 v[2:3], v[2:3], s[6:7] op_sel_hi:[1,0]
	v_pk_mul_f32 v[4:5], v[4:5], s[6:7] op_sel_hi:[1,0]
	v_bfe_u32 v6, v3, 16, 1
	v_bfe_u32 v7, v2, 16, 1
	v_add3_u32 v2, v2, v7, s10
	v_add3_u32 v3, v3, v6, s10
	v_perm_b32 v2, v3, v2, s7
	v_bfe_u32 v3, v5, 16, 1
	v_bfe_u32 v6, v4, 16, 1
	v_add3_u32 v4, v4, v6, s10
	v_add3_u32 v3, v5, v3, s10
	v_perm_b32 v3, v3, v4, s7
	ds_write2st64_b64 v55, v[18:19], v[2:3] offset1:1
	s_waitcnt lgkmcnt(0)
	s_barrier
	s_and_saveexec_b64 s[6:7], vcc
	s_cbranch_execz .LBB1356_18
; %bb.16:
	s_load_dwordx2 s[6:7], s[0:1], 0x68
	s_lshl_b32 s0, s8, 7
	s_mul_i32 s1, s9, s2
	v_lshlrev_b32_e32 v3, 6, v56
	s_mul_hi_u32 s9, s1, s0
	s_mul_i32 s8, s1, s0
	v_lshl_or_b32 v0, v0, 10, v3
	s_lshl_b64 s[8:9], s[8:9], 1
	v_lshlrev_b32_e32 v2, 5, v60
	v_and_b32_e32 v1, 16, v1
	v_and_b32_e32 v0, 0x1a00, v0
	s_waitcnt lgkmcnt(0)
	s_add_u32 s1, s6, s8
	v_or3_b32 v2, v0, v2, v1
	s_addc_u32 s6, s7, s9
	s_lshl_b32 s2, s22, 7
	s_lshl_b64 s[2:3], s[2:3], 1
	ds_read_b128 v[4:7], v2 offset:128
	ds_read_b128 v[8:11], v2
	s_add_u32 s2, s1, s2
	s_addc_u32 s3, s6, s3
	v_mov_b32_e32 v55, 0
	v_add_u32_e32 v3, s48, v60
	v_lshl_add_u64 v[0:1], s[2:3], 0, v[54:55]
	v_mad_u64_u32 v[12:13], s[2:3], v3, s0, 0
	v_lshl_add_u64 v[12:13], v[12:13], 1, v[0:1]
	v_add_u32_e32 v3, 4, v3
	s_waitcnt lgkmcnt(0)
	global_store_dwordx4 v[12:13], v[8:11], off
	s_nop 1
	v_mad_u64_u32 v[8:9], s[2:3], v3, s0, 0
	v_lshl_add_u64 v[8:9], v[8:9], 1, v[0:1]
	global_store_dwordx4 v[8:9], v[4:7], off
	s_and_b64 exec, exec, s[4:5]
	s_cbranch_execz .LBB1356_18
; %bb.17:
	ds_read_b128 v[2:5], v2 offset:256
	v_add3_u32 v6, s48, v60, 8
	v_mad_u64_u32 v[6:7], s[0:1], v6, s0, 0
	v_lshl_add_u64 v[0:1], v[6:7], 1, v[0:1]
	s_waitcnt lgkmcnt(0)
	global_store_dwordx4 v[0:1], v[2:5], off
.LBB1356_18:
	s_endpgm
	.section	.rodata,"a",@progbits
	.p2align	6, 0x0
	.amdhsa_kernel _Z39paged_attention_ll4mi_QKV_mfma16_kernelI14__hip_bfloat16hLN4vllm18Fp8KVCacheDataTypeE1EhLi32ELi128ELi256ELb0ELi9EEvPKT_PKT0_S8_ifPKiSA_SA_iPKfiiiPfSD_PS3_PT2_iSC_SC_
		.amdhsa_group_segment_fixed_size 8192
		.amdhsa_private_segment_fixed_size 0
		.amdhsa_kernarg_size 400
		.amdhsa_user_sgpr_count 2
		.amdhsa_user_sgpr_dispatch_ptr 0
		.amdhsa_user_sgpr_queue_ptr 0
		.amdhsa_user_sgpr_kernarg_segment_ptr 1
		.amdhsa_user_sgpr_dispatch_id 0
		.amdhsa_user_sgpr_kernarg_preload_length 0
		.amdhsa_user_sgpr_kernarg_preload_offset 0
		.amdhsa_user_sgpr_private_segment_size 0
		.amdhsa_uses_dynamic_stack 0
		.amdhsa_enable_private_segment 0
		.amdhsa_system_sgpr_workgroup_id_x 1
		.amdhsa_system_sgpr_workgroup_id_y 1
		.amdhsa_system_sgpr_workgroup_id_z 1
		.amdhsa_system_sgpr_workgroup_info 0
		.amdhsa_system_vgpr_workitem_id 0
		.amdhsa_next_free_vgpr 82
		.amdhsa_next_free_sgpr 50
		.amdhsa_accum_offset 84
		.amdhsa_reserve_vcc 1
		.amdhsa_float_round_mode_32 0
		.amdhsa_float_round_mode_16_64 0
		.amdhsa_float_denorm_mode_32 3
		.amdhsa_float_denorm_mode_16_64 3
		.amdhsa_dx10_clamp 1
		.amdhsa_ieee_mode 1
		.amdhsa_fp16_overflow 0
		.amdhsa_tg_split 0
		.amdhsa_exception_fp_ieee_invalid_op 0
		.amdhsa_exception_fp_denorm_src 0
		.amdhsa_exception_fp_ieee_div_zero 0
		.amdhsa_exception_fp_ieee_overflow 0
		.amdhsa_exception_fp_ieee_underflow 0
		.amdhsa_exception_fp_ieee_inexact 0
		.amdhsa_exception_int_div_zero 0
	.end_amdhsa_kernel
	.section	.text._Z39paged_attention_ll4mi_QKV_mfma16_kernelI14__hip_bfloat16hLN4vllm18Fp8KVCacheDataTypeE1EhLi32ELi128ELi256ELb0ELi9EEvPKT_PKT0_S8_ifPKiSA_SA_iPKfiiiPfSD_PS3_PT2_iSC_SC_,"axG",@progbits,_Z39paged_attention_ll4mi_QKV_mfma16_kernelI14__hip_bfloat16hLN4vllm18Fp8KVCacheDataTypeE1EhLi32ELi128ELi256ELb0ELi9EEvPKT_PKT0_S8_ifPKiSA_SA_iPKfiiiPfSD_PS3_PT2_iSC_SC_,comdat
.Lfunc_end1356:
	.size	_Z39paged_attention_ll4mi_QKV_mfma16_kernelI14__hip_bfloat16hLN4vllm18Fp8KVCacheDataTypeE1EhLi32ELi128ELi256ELb0ELi9EEvPKT_PKT0_S8_ifPKiSA_SA_iPKfiiiPfSD_PS3_PT2_iSC_SC_, .Lfunc_end1356-_Z39paged_attention_ll4mi_QKV_mfma16_kernelI14__hip_bfloat16hLN4vllm18Fp8KVCacheDataTypeE1EhLi32ELi128ELi256ELb0ELi9EEvPKT_PKT0_S8_ifPKiSA_SA_iPKfiiiPfSD_PS3_PT2_iSC_SC_
                                        ; -- End function
	.section	.AMDGPU.csdata,"",@progbits
; Kernel info:
; codeLenInByte = 6416
; NumSgprs: 56
; NumVgprs: 82
; NumAgprs: 0
; TotalNumVgprs: 82
; ScratchSize: 0
; MemoryBound: 0
; FloatMode: 240
; IeeeMode: 1
; LDSByteSize: 8192 bytes/workgroup (compile time only)
; SGPRBlocks: 6
; VGPRBlocks: 10
; NumSGPRsForWavesPerEU: 56
; NumVGPRsForWavesPerEU: 82
; AccumOffset: 84
; Occupancy: 5
; WaveLimiterHint : 1
; COMPUTE_PGM_RSRC2:SCRATCH_EN: 0
; COMPUTE_PGM_RSRC2:USER_SGPR: 2
; COMPUTE_PGM_RSRC2:TRAP_HANDLER: 0
; COMPUTE_PGM_RSRC2:TGID_X_EN: 1
; COMPUTE_PGM_RSRC2:TGID_Y_EN: 1
; COMPUTE_PGM_RSRC2:TGID_Z_EN: 1
; COMPUTE_PGM_RSRC2:TIDIG_COMP_CNT: 0
; COMPUTE_PGM_RSRC3_GFX90A:ACCUM_OFFSET: 20
; COMPUTE_PGM_RSRC3_GFX90A:TG_SPLIT: 0
	.section	.text._Z39paged_attention_ll4mi_QKV_mfma16_kernelI14__hip_bfloat16hLN4vllm18Fp8KVCacheDataTypeE1EhLi32ELi128ELi256ELb0ELi10EEvPKT_PKT0_S8_ifPKiSA_SA_iPKfiiiPfSD_PS3_PT2_iSC_SC_,"axG",@progbits,_Z39paged_attention_ll4mi_QKV_mfma16_kernelI14__hip_bfloat16hLN4vllm18Fp8KVCacheDataTypeE1EhLi32ELi128ELi256ELb0ELi10EEvPKT_PKT0_S8_ifPKiSA_SA_iPKfiiiPfSD_PS3_PT2_iSC_SC_,comdat
	.protected	_Z39paged_attention_ll4mi_QKV_mfma16_kernelI14__hip_bfloat16hLN4vllm18Fp8KVCacheDataTypeE1EhLi32ELi128ELi256ELb0ELi10EEvPKT_PKT0_S8_ifPKiSA_SA_iPKfiiiPfSD_PS3_PT2_iSC_SC_ ; -- Begin function _Z39paged_attention_ll4mi_QKV_mfma16_kernelI14__hip_bfloat16hLN4vllm18Fp8KVCacheDataTypeE1EhLi32ELi128ELi256ELb0ELi10EEvPKT_PKT0_S8_ifPKiSA_SA_iPKfiiiPfSD_PS3_PT2_iSC_SC_
	.globl	_Z39paged_attention_ll4mi_QKV_mfma16_kernelI14__hip_bfloat16hLN4vllm18Fp8KVCacheDataTypeE1EhLi32ELi128ELi256ELb0ELi10EEvPKT_PKT0_S8_ifPKiSA_SA_iPKfiiiPfSD_PS3_PT2_iSC_SC_
	.p2align	8
	.type	_Z39paged_attention_ll4mi_QKV_mfma16_kernelI14__hip_bfloat16hLN4vllm18Fp8KVCacheDataTypeE1EhLi32ELi128ELi256ELb0ELi10EEvPKT_PKT0_S8_ifPKiSA_SA_iPKfiiiPfSD_PS3_PT2_iSC_SC_,@function
_Z39paged_attention_ll4mi_QKV_mfma16_kernelI14__hip_bfloat16hLN4vllm18Fp8KVCacheDataTypeE1EhLi32ELi128ELi256ELb0ELi10EEvPKT_PKT0_S8_ifPKiSA_SA_iPKfiiiPfSD_PS3_PT2_iSC_SC_: ; @_Z39paged_attention_ll4mi_QKV_mfma16_kernelI14__hip_bfloat16hLN4vllm18Fp8KVCacheDataTypeE1EhLi32ELi128ELi256ELb0ELi10EEvPKT_PKT0_S8_ifPKiSA_SA_iPKfiiiPfSD_PS3_PT2_iSC_SC_
; %bb.0:
	s_load_dwordx2 s[12:13], s[0:1], 0x30
	s_mov_b32 s22, s3
	s_mov_b64 s[6:7], 0
	s_waitcnt lgkmcnt(0)
	s_cmp_lg_u64 s[12:13], 0
	s_cselect_b64 s[14:15], -1, 0
	s_and_b64 vcc, exec, s[14:15]
	s_cbranch_vccz .LBB1357_7
; %bb.1:
	s_add_i32 s8, s2, 1
	s_mov_b32 s9, 0
	s_lshl_b64 s[10:11], s[8:9], 2
	s_add_u32 s10, s12, s10
	s_mov_b32 s3, s9
	s_addc_u32 s11, s13, s11
	s_lshl_b64 s[8:9], s[2:3], 2
	s_add_u32 s8, s12, s8
	s_addc_u32 s9, s13, s9
	s_load_dword s5, s[10:11], 0x0
	s_load_dword s16, s[8:9], 0x0
	s_waitcnt lgkmcnt(0)
	s_sub_i32 s5, s5, s16
	s_cmp_eq_u32 s5, 1
	s_cselect_b64 s[8:9], -1, 0
	s_andn2_b64 vcc, exec, s[6:7]
	s_cbranch_vccnz .LBB1357_3
.LBB1357_2:
	s_mov_b32 s3, 0
	s_mov_b64 s[8:9], -1
.LBB1357_3:
	s_andn2_b64 vcc, exec, s[8:9]
	s_cbranch_vccnz .LBB1357_18
; %bb.4:
	s_load_dwordx2 s[6:7], s[0:1], 0x28
	s_lshl_b64 s[16:17], s[2:3], 2
	s_waitcnt lgkmcnt(0)
	s_add_u32 s6, s6, s16
	s_addc_u32 s7, s7, s17
	s_load_dword s5, s[6:7], 0x0
	s_lshl_b32 s18, s22, 8
	s_waitcnt lgkmcnt(0)
	s_cmp_ge_i32 s18, s5
	s_cbranch_scc1 .LBB1357_18
; %bb.5:
	s_load_dwordx2 s[6:7], s[0:1], 0x20
	s_load_dword s8, s[0:1], 0x38
	s_add_i32 s9, s5, 31
	s_ashr_i32 s10, s9, 31
	v_and_b32_e32 v1, 0xcf, v0
	s_lshr_b32 s10, s10, 27
	v_add_u32_e32 v1, s18, v1
	s_add_i32 s9, s9, s10
	v_ashrrev_i32_e32 v2, 31, v1
	s_ashr_i32 s19, s9, 5
	v_lshrrev_b32_e32 v8, 27, v2
	s_add_i32 s19, s19, -1
	s_waitcnt lgkmcnt(0)
	s_mul_i32 s8, s2, s8
	s_mov_b32 s9, 0
	v_add_u32_e32 v2, v1, v8
	s_lshl_b64 s[8:9], s[8:9], 2
	v_ashrrev_i32_e32 v2, 5, v2
	v_mov_b32_e32 v9, s19
	v_cmp_gt_i32_e32 vcc, s5, v1
	s_add_u32 s6, s6, s8
	s_addc_u32 s7, s7, s9
	v_cndmask_b32_e32 v2, v9, v2, vcc
	v_ashrrev_i32_e32 v3, 31, v2
	v_lshl_add_u64 v[4:5], v[2:3], 2, s[6:7]
	v_or_b32_e32 v2, 16, v1
	v_add_u32_e32 v3, v2, v8
	v_ashrrev_i32_e32 v3, 5, v3
	v_cmp_gt_i32_e32 vcc, s5, v2
	s_load_dwordx4 s[8:11], s[0:1], 0x8
	s_nop 0
	v_cndmask_b32_e32 v2, v9, v3, vcc
	v_ashrrev_i32_e32 v3, 31, v2
	v_lshl_add_u64 v[6:7], v[2:3], 2, s[6:7]
	v_or_b32_e32 v2, 32, v1
	v_add_u32_e32 v3, v2, v8
	v_ashrrev_i32_e32 v3, 5, v3
	v_cmp_gt_i32_e32 vcc, s5, v2
	v_or_b32_e32 v1, 48, v1
	s_nop 0
	v_cndmask_b32_e32 v2, v9, v3, vcc
	v_ashrrev_i32_e32 v3, 31, v2
	v_lshl_add_u64 v[10:11], v[2:3], 2, s[6:7]
	v_add_u32_e32 v2, v1, v8
	v_ashrrev_i32_e32 v2, 5, v2
	v_cmp_gt_i32_e32 vcc, s5, v1
	s_nop 1
	v_cndmask_b32_e32 v2, v9, v2, vcc
	v_ashrrev_i32_e32 v3, 31, v2
	v_lshl_add_u64 v[12:13], v[2:3], 2, s[6:7]
	global_load_dword v2, v[4:5], off
	global_load_dword v8, v[6:7], off
	;; [unrolled: 1-line block ×4, first 2 shown]
	s_andn2_b64 vcc, exec, s[14:15]
	s_cbranch_vccnz .LBB1357_8
; %bb.6:
	s_add_u32 s12, s12, s16
	s_addc_u32 s13, s13, s17
	s_load_dword s14, s[12:13], 0x0
	s_branch .LBB1357_9
.LBB1357_7:
	s_mov_b64 s[8:9], 0
	s_branch .LBB1357_2
.LBB1357_8:
	s_mov_b32 s14, s2
.LBB1357_9:
	s_load_dwordx4 s[44:47], s[0:1], 0x48
	v_lshrrev_b32_e32 v57, 6, v0
	v_bfe_u32 v60, v0, 4, 2
	v_and_b32_e32 v56, 15, v0
	v_lshl_or_b32 v3, v57, 2, v60
	v_lshlrev_b32_e32 v1, 3, v56
	v_and_b32_e32 v61, 63, v0
	s_mul_i32 s48, s4, 10
	v_cmp_gt_u32_e32 vcc, 10, v3
	v_lshlrev_b32_e32 v54, 1, v1
	v_lshlrev_b32_e32 v1, 4, v0
	s_and_saveexec_b64 s[12:13], vcc
	s_cbranch_execz .LBB1357_11
; %bb.10:
	s_load_dwordx2 s[16:17], s[0:1], 0x0
	s_waitcnt lgkmcnt(0)
	s_ashr_i32 s15, s44, 31
	s_mul_hi_u32 s20, s14, s44
	s_mul_i32 s15, s14, s15
	s_add_i32 s15, s20, s15
	s_mul_i32 s14, s14, s44
	s_lshl_b64 s[14:15], s[14:15], 1
	s_add_u32 s14, s16, s14
	v_add_lshl_u32 v4, v3, s48, 7
	s_addc_u32 s15, s17, s15
	v_ashrrev_i32_e32 v5, 31, v4
	v_lshl_add_u64 v[4:5], v[4:5], 1, s[14:15]
	v_mov_b32_e32 v55, 0
	v_lshl_add_u64 v[4:5], v[4:5], 0, v[54:55]
	global_load_dwordx4 v[4:7], v[4:5], off
	v_lshlrev_b32_e32 v10, 8, v0
	v_lshlrev_b32_e32 v9, 8, v56
	v_and_b32_e32 v10, 0x600, v10
	s_movk_i32 s14, 0x800
	v_and_or_b32 v9, v9, s14, v10
	v_lshlrev_b32_e32 v3, 5, v3
	v_and_b32_e32 v10, 16, v1
	v_or3_b32 v3, v9, v3, v10
	s_waitcnt vmcnt(0)
	ds_write_b128 v3, v[4:7]
.LBB1357_11:
	s_or_b64 exec, exec, s[12:13]
	s_waitcnt lgkmcnt(0)
	s_mul_i32 s12, s4, s46
	s_add_u32 s8, s8, s12
	s_addc_u32 s9, s9, 0
	v_mov_b32_e32 v51, 0
	v_mov_b64_e32 v[12:13], s[8:9]
	v_and_b32_e32 v9, 48, v0
	s_waitcnt vmcnt(3)
	v_mad_i64_i32 v[2:3], s[8:9], v2, s45, v[12:13]
	v_lshlrev_b32_e32 v10, 4, v56
	v_mov_b32_e32 v11, v51
	v_lshlrev_b32_e32 v50, 5, v9
	v_lshl_add_u64 v[2:3], v[2:3], 0, v[10:11]
	v_lshl_add_u64 v[6:7], v[2:3], 0, v[50:51]
	s_load_dword s23, s[0:1], 0x98
	s_load_dwordx4 s[40:43], s[0:1], 0x80
	s_waitcnt lgkmcnt(0)
	s_barrier
	global_load_dwordx4 v[2:5], v[6:7], off
	global_load_dwordx4 v[42:45], v[6:7], off offset:2048
	v_add_u32_e32 v14, -10, v56
	v_cmp_gt_u32_e32 vcc, 10, v56
	s_ashr_i32 s8, s18, 31
	v_or_b32_e32 v24, 0x100, v10
	v_cndmask_b32_e32 v6, v14, v56, vcc
	v_mov_b32_e32 v25, v51
	s_lshr_b32 s13, s8, 27
	s_waitcnt vmcnt(4)
	v_mad_i64_i32 v[30:31], s[8:9], v8, s45, v[12:13]
	v_lshlrev_b32_e32 v6, 5, v6
	v_lshl_add_u64 v[30:31], v[30:31], 0, v[24:25]
	v_lshl_add_u32 v6, v60, 9, v6
	v_lshl_add_u64 v[30:31], v[30:31], 0, v[50:51]
	v_or_b32_e32 v37, s18, v9
	ds_read_b128 v[26:29], v6
	ds_read_b128 v[18:21], v6 offset:16
	ds_read_b128 v[14:17], v6 offset:2048
	;; [unrolled: 1-line block ×3, first 2 shown]
	global_load_dwordx4 v[46:49], v[30:31], off
	s_waitcnt vmcnt(4)
	v_mad_i64_i32 v[32:33], s[8:9], v22, s45, v[12:13]
	v_lshl_add_u64 v[10:11], v[32:33], 0, v[10:11]
	global_load_dwordx4 v[30:33], v[30:31], off offset:2048
	v_or_b32_e32 v38, 64, v37
	v_add_u32_e32 v22, s13, v37
	v_mov_b32_e32 v36, s19
	v_or_b32_e32 v39, 0x80, v37
	s_waitcnt vmcnt(4)
	v_mad_i64_i32 v[12:13], s[8:9], v23, s45, v[12:13]
	v_add_u32_e32 v23, s13, v38
	v_ashrrev_i32_e32 v22, 5, v22
	v_cmp_gt_i32_e32 vcc, s5, v37
	v_or_b32_e32 v40, 0xc0, v37
	v_add_u32_e32 v34, s13, v39
	v_ashrrev_i32_e32 v23, 5, v23
	v_cndmask_b32_e32 v52, v36, v22, vcc
	v_cmp_gt_i32_e32 vcc, s5, v38
	v_add_u32_e32 v35, s13, v40
	v_lshl_add_u64 v[12:13], v[12:13], 0, v[24:25]
	v_ashrrev_i32_e32 v24, 5, v34
	v_cndmask_b32_e32 v58, v36, v23, vcc
	v_cmp_gt_i32_e32 vcc, s5, v39
	v_ashrrev_i32_e32 v25, 5, v35
	v_lshl_add_u64 v[10:11], v[10:11], 0, v[50:51]
	v_lshl_add_u64 v[34:35], v[12:13], 0, v[50:51]
	v_cndmask_b32_e32 v62, v36, v24, vcc
	v_cmp_gt_i32_e32 vcc, s5, v40
	v_ashrrev_i32_e32 v53, 31, v52
	v_ashrrev_i32_e32 v59, 31, v58
	v_cndmask_b32_e32 v64, v36, v25, vcc
	global_load_dwordx4 v[22:25], v[10:11], off
	s_nop 0
	global_load_dwordx4 v[10:13], v[10:11], off offset:2048
	s_nop 0
	global_load_dwordx4 v[38:41], v[34:35], off
	s_nop 0
	global_load_dwordx4 v[34:37], v[34:35], off offset:2048
	v_ashrrev_i32_e32 v63, 31, v62
	v_ashrrev_i32_e32 v65, 31, v64
	v_lshl_add_u64 v[52:53], v[52:53], 2, s[6:7]
	v_lshl_add_u64 v[66:67], v[58:59], 2, s[6:7]
	;; [unrolled: 1-line block ×4, first 2 shown]
	global_load_dword v58, v[52:53], off
	global_load_dword v64, v[66:67], off
	;; [unrolled: 1-line block ×3, first 2 shown]
	s_nop 0
	global_load_dword v62, v[68:69], off
	s_mov_b32 s33, 0x7060302
	s_add_u32 s6, s10, s12
	s_addc_u32 s7, s11, 0
	v_and_b32_e32 v50, 16, v0
	v_lshl_or_b32 v63, v57, 4, v56
	s_load_dword s4, s[0:1], 0x1c
	s_waitcnt vmcnt(11)
	v_cvt_pk_f32_fp8_e32 v[52:53], v2
	v_cvt_pk_f32_fp8_sdwa v[66:67], v2 src0_sel:WORD_1
	v_cvt_pk_f32_fp8_e32 v[68:69], v3
	v_cvt_pk_f32_fp8_sdwa v[2:3], v3 src0_sel:WORD_1
	v_perm_b32 v52, v53, v52, s33
	v_perm_b32 v53, v67, v66, s33
	v_cvt_pk_f32_fp8_e32 v[70:71], v4
	v_cvt_pk_f32_fp8_sdwa v[72:73], v4 src0_sel:WORD_1
	v_perm_b32 v74, v69, v68, s33
	v_perm_b32 v75, v3, v2, s33
	s_waitcnt lgkmcnt(0)
	v_mfma_f32_16x16x16_bf16 v[66:69], v[52:53], v[26:27], 0
	v_cvt_pk_f32_fp8_e32 v[2:3], v5
	v_perm_b32 v52, v71, v70, s33
	v_perm_b32 v53, v73, v72, s33
	v_cvt_pk_f32_fp8_sdwa v[4:5], v5 src0_sel:WORD_1
	v_mfma_f32_16x16x16_bf16 v[66:69], v[74:75], v[28:29], v[66:69]
	v_perm_b32 v70, v3, v2, s33
	s_waitcnt vmcnt(10)
	v_cvt_pk_f32_fp8_e32 v[72:73], v42
	v_cvt_pk_f32_fp8_sdwa v[74:75], v42 src0_sel:WORD_1
	v_perm_b32 v71, v5, v4, s33
	v_mfma_f32_16x16x16_bf16 v[2:5], v[52:53], v[18:19], v[66:69]
	v_perm_b32 v52, v73, v72, s33
	v_perm_b32 v53, v75, v74, s33
	s_waitcnt vmcnt(6)
	v_cvt_pk_f32_fp8_e32 v[74:75], v11
	v_cvt_pk_f32_fp8_e32 v[66:67], v43
	v_cvt_pk_f32_fp8_sdwa v[42:43], v43 src0_sel:WORD_1
	v_mfma_f32_16x16x16_bf16 v[2:5], v[70:71], v[20:21], v[2:5]
	v_cvt_pk_f32_fp8_sdwa v[68:69], v46 src0_sel:WORD_1
	v_perm_b32 v66, v67, v66, s33
	v_perm_b32 v67, v43, v42, s33
	v_mfma_f32_16x16x16_bf16 v[2:5], v[52:53], v[14:15], v[2:5]
	v_cvt_pk_f32_fp8_e32 v[42:43], v44
	v_cvt_pk_f32_fp8_sdwa v[52:53], v44 src0_sel:WORD_1
	v_cvt_pk_f32_fp8_sdwa v[70:71], v30 src0_sel:WORD_1
	v_mfma_f32_16x16x16_bf16 v[2:5], v[66:67], v[16:17], v[2:5]
	v_cvt_pk_f32_fp8_e32 v[66:67], v45
	v_perm_b32 v42, v43, v42, s33
	v_perm_b32 v43, v53, v52, s33
	v_cvt_pk_f32_fp8_sdwa v[44:45], v45 src0_sel:WORD_1
	v_perm_b32 v52, v67, v66, s33
	v_cvt_pk_f32_fp8_e32 v[66:67], v46
	v_mfma_f32_16x16x16_bf16 v[2:5], v[42:43], v[6:7], v[2:5]
	v_perm_b32 v53, v45, v44, s33
	v_perm_b32 v66, v67, v66, s33
	;; [unrolled: 1-line block ×3, first 2 shown]
	v_cvt_pk_f32_fp8_e32 v[68:69], v47
	v_cvt_pk_f32_fp8_sdwa v[46:47], v47 src0_sel:WORD_1
	v_mfma_f32_16x16x16_bf16 v[42:45], v[52:53], v[8:9], v[2:5]
	v_lshl_add_u64 v[52:53], s[6:7], 0, v[50:51]
	v_perm_b32 v68, v69, v68, s33
	v_perm_b32 v69, v47, v46, s33
	v_mfma_f32_16x16x16_bf16 v[2:5], v[66:67], v[26:27], 0
	v_cvt_pk_f32_fp8_e32 v[46:47], v48
	v_cvt_pk_f32_fp8_sdwa v[66:67], v48 src0_sel:WORD_1
	v_lshlrev_b32_e32 v50, 5, v63
	v_mfma_f32_16x16x16_bf16 v[2:5], v[68:69], v[28:29], v[2:5]
	v_cvt_pk_f32_fp8_e32 v[68:69], v49
	v_perm_b32 v46, v47, v46, s33
	v_perm_b32 v47, v67, v66, s33
	v_cvt_pk_f32_fp8_sdwa v[48:49], v49 src0_sel:WORD_1
	v_perm_b32 v66, v69, v68, s33
	v_cvt_pk_f32_fp8_e32 v[68:69], v30
	v_mfma_f32_16x16x16_bf16 v[2:5], v[46:47], v[18:19], v[2:5]
	v_perm_b32 v67, v49, v48, s33
	v_perm_b32 v46, v69, v68, s33
	;; [unrolled: 1-line block ×3, first 2 shown]
	v_cvt_pk_f32_fp8_e32 v[48:49], v31
	v_cvt_pk_f32_fp8_sdwa v[30:31], v31 src0_sel:WORD_1
	v_mfma_f32_16x16x16_bf16 v[2:5], v[66:67], v[20:21], v[2:5]
	v_cvt_pk_f32_fp8_sdwa v[66:67], v22 src0_sel:WORD_1
	v_perm_b32 v48, v49, v48, s33
	v_perm_b32 v49, v31, v30, s33
	v_mfma_f32_16x16x16_bf16 v[2:5], v[46:47], v[14:15], v[2:5]
	v_cvt_pk_f32_fp8_e32 v[30:31], v32
	v_cvt_pk_f32_fp8_sdwa v[46:47], v32 src0_sel:WORD_1
	v_cvt_pk_f32_fp8_sdwa v[80:81], v13 src0_sel:WORD_1
	v_mfma_f32_16x16x16_bf16 v[2:5], v[48:49], v[16:17], v[2:5]
	v_cvt_pk_f32_fp8_e32 v[48:49], v33
	v_perm_b32 v30, v31, v30, s33
	v_perm_b32 v31, v47, v46, s33
	v_cvt_pk_f32_fp8_sdwa v[32:33], v33 src0_sel:WORD_1
	v_perm_b32 v46, v49, v48, s33
	v_cvt_pk_f32_fp8_e32 v[48:49], v22
	v_mfma_f32_16x16x16_bf16 v[2:5], v[30:31], v[6:7], v[2:5]
	v_perm_b32 v47, v33, v32, s33
	v_perm_b32 v30, v49, v48, s33
	;; [unrolled: 1-line block ×3, first 2 shown]
	v_cvt_pk_f32_fp8_e32 v[32:33], v23
	v_cvt_pk_f32_fp8_sdwa v[22:23], v23 src0_sel:WORD_1
	v_mfma_f32_16x16x16_bf16 v[46:49], v[46:47], v[8:9], v[2:5]
	v_lshl_add_u64 v[66:67], v[52:53], 0, v[50:51]
	v_perm_b32 v32, v33, v32, s33
	v_perm_b32 v33, v23, v22, s33
	v_mfma_f32_16x16x16_bf16 v[2:5], v[30:31], v[26:27], 0
	v_cvt_pk_f32_fp8_e32 v[22:23], v24
	v_cvt_pk_f32_fp8_sdwa v[30:31], v24 src0_sel:WORD_1
	s_waitcnt vmcnt(3)
	v_mad_i64_i32 v[68:69], s[6:7], v58, s45, v[66:67]
	v_perm_b32 v22, v23, v22, s33
	v_perm_b32 v23, v31, v30, s33
	v_cvt_pk_f32_fp8_e32 v[30:31], v25
	v_cvt_pk_f32_fp8_sdwa v[24:25], v25 src0_sel:WORD_1
	v_mfma_f32_16x16x16_bf16 v[2:5], v[32:33], v[28:29], v[2:5]
	s_waitcnt vmcnt(2)
	v_mad_i64_i32 v[70:71], s[6:7], v64, s45, v[66:67]
	v_perm_b32 v72, v31, v30, s33
	v_perm_b32 v73, v25, v24, s33
	v_mfma_f32_16x16x16_bf16 v[2:5], v[22:23], v[18:19], v[2:5]
	global_load_dwordx4 v[30:33], v[68:69], off
	global_load_dwordx4 v[22:25], v[70:71], off
	v_cvt_pk_f32_fp8_e32 v[68:69], v10
	s_waitcnt vmcnt(3)
	v_mad_i64_i32 v[70:71], s[6:7], v55, s45, v[66:67]
	v_mfma_f32_16x16x16_bf16 v[2:5], v[72:73], v[20:21], v[2:5]
	v_cvt_pk_f32_fp8_sdwa v[72:73], v10 src0_sel:WORD_1
	v_cvt_pk_f32_fp8_sdwa v[10:11], v11 src0_sel:WORD_1
	v_perm_b32 v68, v69, v68, s33
	s_waitcnt vmcnt(2)
	v_mad_i64_i32 v[76:77], s[6:7], v62, s45, v[66:67]
	v_perm_b32 v69, v73, v72, s33
	v_perm_b32 v72, v75, v74, s33
	;; [unrolled: 1-line block ×3, first 2 shown]
	v_cvt_pk_f32_fp8_e32 v[10:11], v12
	v_cvt_pk_f32_fp8_sdwa v[74:75], v12 src0_sel:WORD_1
	v_mfma_f32_16x16x16_bf16 v[66:69], v[68:69], v[14:15], v[2:5]
	v_or_b32_e32 v50, 0x800, v50
	v_perm_b32 v78, v11, v10, s33
	v_perm_b32 v79, v75, v74, s33
	v_cvt_pk_f32_fp8_e32 v[74:75], v13
	v_mfma_f32_16x16x16_bf16 v[66:69], v[72:73], v[16:17], v[66:69]
	v_lshl_add_u64 v[50:51], v[52:53], 0, v[50:51]
	v_perm_b32 v53, v81, v80, s33
	v_perm_b32 v52, v75, v74, s33
	global_load_dwordx4 v[10:13], v[70:71], off
	global_load_dwordx4 v[2:5], v[76:77], off
	v_mfma_f32_16x16x16_bf16 v[66:69], v[78:79], v[6:7], v[66:69]
	v_cvt_pk_f32_fp8_e32 v[70:71], v38
	v_cvt_pk_f32_fp8_sdwa v[72:73], v38 src0_sel:WORD_1
	v_cvt_pk_f32_fp8_e32 v[74:75], v40
	v_mfma_f32_16x16x16_bf16 v[66:69], v[52:53], v[8:9], v[66:69]
	v_cvt_pk_f32_fp8_e32 v[52:53], v39
	v_perm_b32 v70, v71, v70, s33
	v_perm_b32 v71, v73, v72, s33
	v_cvt_pk_f32_fp8_sdwa v[38:39], v39 src0_sel:WORD_1
	v_perm_b32 v52, v53, v52, s33
	v_cvt_pk_f32_fp8_sdwa v[76:77], v40 src0_sel:WORD_1
	v_mfma_f32_16x16x16_bf16 v[70:73], v[70:71], v[26:27], 0
	v_perm_b32 v53, v39, v38, s33
	v_perm_b32 v38, v75, v74, s33
	;; [unrolled: 1-line block ×3, first 2 shown]
	v_cvt_pk_f32_fp8_e32 v[74:75], v41
	v_cvt_pk_f32_fp8_sdwa v[40:41], v41 src0_sel:WORD_1
	v_mfma_f32_16x16x16_bf16 v[26:29], v[52:53], v[28:29], v[70:73]
	s_load_dword s6, s[40:41], 0x0
	v_mov_b32_e32 v52, s4
	s_mov_b32 s40, 0xff7fffff
	v_perm_b32 v70, v75, v74, s33
	v_perm_b32 v71, v41, v40, s33
	v_mfma_f32_16x16x16_bf16 v[26:29], v[38:39], v[18:19], v[26:29]
	v_cvt_pk_f32_fp8_e32 v[40:41], v35
	s_waitcnt lgkmcnt(0)
	v_mul_f32_e32 v72, s6, v52
	v_pk_mul_f32 v[52:53], v[72:73], v[42:43] op_sel_hi:[0,1]
	v_mfma_f32_16x16x16_bf16 v[18:21], v[70:71], v[20:21], v[26:29]
	v_pk_mul_f32 v[38:39], v[72:73], v[44:45] op_sel_hi:[0,1]
	v_mad_i64_i32 v[70:71], s[6:7], v58, s45, v[50:51]
	s_nop 0
	v_cvt_pk_f32_fp8_e32 v[26:27], v34
	v_cvt_pk_f32_fp8_sdwa v[28:29], v34 src0_sel:WORD_1
	v_cvt_pk_f32_fp8_sdwa v[34:35], v35 src0_sel:WORD_1
	v_pk_mul_f32 v[58:59], v[72:73], v[46:47] op_sel_hi:[0,1]
	v_perm_b32 v26, v27, v26, s33
	v_perm_b32 v27, v29, v28, s33
	;; [unrolled: 1-line block ×4, first 2 shown]
	v_cvt_pk_f32_fp8_e32 v[34:35], v36
	v_cvt_pk_f32_fp8_sdwa v[40:41], v36 src0_sel:WORD_1
	v_mfma_f32_16x16x16_bf16 v[18:21], v[26:27], v[14:15], v[18:21]
	v_pk_mul_f32 v[48:49], v[72:73], v[48:49] op_sel_hi:[0,1]
	v_perm_b32 v26, v35, v34, s33
	v_perm_b32 v27, v41, v40, s33
	v_cvt_pk_f32_fp8_e32 v[34:35], v37
	v_cvt_pk_f32_fp8_sdwa v[36:37], v37 src0_sel:WORD_1
	v_mfma_f32_16x16x16_bf16 v[14:17], v[28:29], v[16:17], v[18:21]
	v_pk_mul_f32 v[40:41], v[72:73], v[66:67] op_sel_hi:[0,1]
	v_pk_mul_f32 v[44:45], v[72:73], v[68:69] op_sel_hi:[0,1]
	s_nop 0
	v_perm_b32 v18, v35, v34, s33
	v_perm_b32 v19, v37, v36, s33
	v_mfma_f32_16x16x16_bf16 v[14:17], v[26:27], v[6:7], v[14:17]
	s_nop 0
	v_mfma_f32_16x16x16_bf16 v[6:9], v[18:19], v[8:9], v[14:17]
	s_nop 6
	v_pk_mul_f32 v[42:43], v[72:73], v[6:7] op_sel_hi:[0,1]
	v_and_b32_e32 v6, 0xc0, v0
	v_add_u32_e32 v6, s18, v6
	v_lshl_or_b32 v6, v60, 2, v6
	v_pk_mul_f32 v[34:35], v[72:73], v[8:9] op_sel_hi:[0,1]
	v_or_b32_e32 v9, 1, v6
	v_mov_b32_e32 v7, 0xff7fffff
	v_cmp_gt_i32_e64 s[24:25], s5, v6
	v_cmp_gt_i32_e64 s[26:27], s5, v9
	v_or_b32_e32 v14, 3, v6
	v_cndmask_b32_e64 v8, v7, v52, s[24:25]
	v_cndmask_b32_e64 v9, v7, v53, s[26:27]
	v_max3_f32 v8, v8, s40, v9
	v_or_b32_e32 v9, 2, v6
	v_cmp_gt_i32_e64 s[28:29], s5, v9
	v_cmp_gt_i32_e64 s[30:31], s5, v14
	s_nop 0
	v_cndmask_b32_e64 v9, v7, v38, s[28:29]
	v_cndmask_b32_e64 v14, v7, v39, s[30:31]
	v_max3_f32 v8, v8, v9, v14
	v_or_b32_e32 v9, 16, v6
	v_or_b32_e32 v14, 17, v6
	v_cmp_gt_i32_e64 s[34:35], s5, v9
	v_cmp_gt_i32_e64 s[36:37], s5, v14
	s_nop 0
	v_cndmask_b32_e64 v9, v7, v58, s[34:35]
	v_cndmask_b32_e64 v14, v7, v59, s[36:37]
	v_max3_f32 v8, v8, v9, v14
	v_or_b32_e32 v9, 18, v6
	;; [unrolled: 8-line block ×6, first 2 shown]
	v_or_b32_e32 v6, 51, v6
	v_cmp_gt_i32_e32 vcc, s5, v9
	v_cmp_gt_i32_e64 s[4:5], s5, v6
	s_nop 0
	v_cndmask_b32_e32 v9, v7, v34, vcc
	v_cndmask_b32_e64 v6, v7, v35, s[4:5]
	v_max3_f32 v8, v8, v9, v6
	v_mbcnt_lo_u32_b32 v6, -1, 0
	v_mbcnt_hi_u32_b32 v9, -1, v6
	v_and_b32_e32 v6, 64, v9
	v_add_u32_e32 v14, 64, v6
	v_xor_b32_e32 v6, 32, v9
	v_cmp_lt_i32_e64 s[38:39], v6, v14
	s_nop 1
	v_cndmask_b32_e64 v6, v9, v6, s[38:39]
	v_lshlrev_b32_e32 v65, 2, v6
	ds_bpermute_b32 v15, v65, v8
	v_mad_i64_i32 v[6:7], s[38:39], v64, s45, v[50:51]
	global_load_dwordx4 v[26:29], v[70:71], off
	global_load_dwordx4 v[18:21], v[6:7], off
	s_waitcnt lgkmcnt(0)
	v_max_f32_e32 v6, v15, v15
	v_max_f32_e32 v15, v8, v6
	v_xor_b32_e32 v6, 16, v9
	v_cmp_lt_i32_e64 s[38:39], v6, v14
	s_nop 1
	v_cndmask_b32_e64 v6, v9, v6, s[38:39]
	v_lshlrev_b32_e32 v64, 2, v6
	ds_bpermute_b32 v14, v64, v15
	v_mad_i64_i32 v[6:7], s[38:39], v55, s45, v[50:51]
	v_mad_i64_i32 v[8:9], s[38:39], v62, s45, v[50:51]
	s_waitcnt lgkmcnt(0)
	v_max_f32_e32 v14, v14, v14
	v_max_f32_e32 v50, v15, v14
	v_sub_f32_e32 v14, v52, v50
	v_mul_f32_e32 v14, 0x3fb8aa3b, v14
	v_exp_f32_e32 v36, v14
	v_sub_f32_e32 v14, v53, v50
	v_mul_f32_e32 v14, 0x3fb8aa3b, v14
	v_exp_f32_e32 v37, v14
	global_load_dwordx4 v[14:17], v[6:7], off
	s_nop 0
	global_load_dwordx4 v[6:9], v[8:9], off
	v_sub_f32_e32 v38, v38, v50
	v_mul_f32_e32 v38, 0x3fb8aa3b, v38
	v_sub_f32_e32 v39, v39, v50
	v_exp_f32_e32 v38, v38
	v_mul_f32_e32 v39, 0x3fb8aa3b, v39
	v_exp_f32_e32 v39, v39
	v_cndmask_b32_e64 v36, 0, v36, s[24:25]
	v_add_f32_e32 v46, 0, v36
	v_cndmask_b32_e64 v37, 0, v37, s[26:27]
	v_add_f32_e32 v47, v46, v37
	;; [unrolled: 2-line block ×3, first 2 shown]
	v_cndmask_b32_e64 v47, 0, v39, s[30:31]
	v_sub_f32_e32 v39, v58, v50
	v_mul_f32_e32 v39, 0x3fb8aa3b, v39
	v_sub_f32_e32 v51, v59, v50
	v_exp_f32_e32 v39, v39
	v_mul_f32_e32 v51, 0x3fb8aa3b, v51
	v_sub_f32_e32 v48, v48, v50
	v_exp_f32_e32 v51, v51
	;; [unrolled: 3-line block ×4, first 2 shown]
	v_mul_f32_e32 v40, 0x3fb8aa3b, v40
	v_sub_f32_e32 v41, v41, v50
	v_add_f32_e32 v52, v38, v47
	v_cndmask_b32_e64 v38, 0, v39, s[34:35]
	v_exp_f32_e32 v40, v40
	v_mul_f32_e32 v41, 0x3fb8aa3b, v41
	v_sub_f32_e32 v44, v44, v50
	v_add_f32_e32 v52, v52, v38
	v_cndmask_b32_e64 v39, 0, v51, s[36:37]
	v_exp_f32_e32 v41, v41
	v_mul_f32_e32 v44, 0x3fb8aa3b, v44
	v_sub_f32_e32 v45, v45, v50
	v_add_f32_e32 v51, v52, v39
	v_cndmask_b32_e64 v48, 0, v48, s[18:19]
	v_exp_f32_e32 v44, v44
	v_mul_f32_e32 v45, 0x3fb8aa3b, v45
	v_sub_f32_e32 v42, v42, v50
	v_add_f32_e32 v51, v51, v48
	v_cndmask_b32_e64 v49, 0, v49, s[20:21]
	v_exp_f32_e32 v45, v45
	v_mul_f32_e32 v42, 0x3fb8aa3b, v42
	v_sub_f32_e32 v43, v43, v50
	v_add_f32_e32 v51, v51, v49
	v_cndmask_b32_e64 v40, 0, v40, s[14:15]
	v_exp_f32_e32 v42, v42
	v_mul_f32_e32 v43, 0x3fb8aa3b, v43
	v_sub_f32_e32 v34, v34, v50
	v_add_f32_e32 v51, v51, v40
	v_cndmask_b32_e64 v41, 0, v41, s[16:17]
	v_exp_f32_e32 v43, v43
	v_mul_f32_e32 v34, 0x3fb8aa3b, v34
	v_sub_f32_e32 v35, v35, v50
	v_add_f32_e32 v51, v51, v41
	v_cndmask_b32_e64 v44, 0, v44, s[10:11]
	v_exp_f32_e32 v34, v34
	v_mul_f32_e32 v35, 0x3fb8aa3b, v35
	v_add_f32_e32 v51, v51, v44
	v_cndmask_b32_e64 v45, 0, v45, s[12:13]
	v_exp_f32_e32 v35, v35
	v_add_f32_e32 v51, v51, v45
	v_cndmask_b32_e64 v42, 0, v42, s[6:7]
	v_add_f32_e32 v51, v51, v42
	v_cndmask_b32_e64 v43, 0, v43, s[8:9]
	v_add_f32_e32 v51, v51, v43
	v_cndmask_b32_e32 v34, 0, v34, vcc
	v_add_f32_e32 v51, v51, v34
	v_cndmask_b32_e64 v35, 0, v35, s[4:5]
	v_add_f32_e32 v51, v51, v35
	ds_bpermute_b32 v52, v65, v51
	v_cmp_gt_u32_e32 vcc, 16, v61
	s_waitcnt lgkmcnt(0)
	s_barrier
	v_add_f32_e32 v51, v51, v52
	ds_bpermute_b32 v52, v64, v51
	s_and_saveexec_b64 s[4:5], vcc
	s_cbranch_execz .LBB1357_13
; %bb.12:
	s_waitcnt lgkmcnt(0)
	v_add_f32_e32 v51, v51, v52
	v_lshlrev_b32_e32 v52, 2, v63
	ds_write2st64_b32 v52, v50, v51 offset1:1
.LBB1357_13:
	s_or_b64 exec, exec, s[4:5]
	v_lshlrev_b32_e32 v51, 2, v56
	s_load_dword s6, s[0:1], 0x94
	s_waitcnt lgkmcnt(0)
	s_barrier
	ds_read2_b32 v[52:53], v51 offset1:16
	ds_read2_b32 v[58:59], v51 offset0:32 offset1:48
	ds_read2_b32 v[62:63], v51 offset0:64 offset1:80
	s_movk_i32 s8, 0x7fff
	s_mul_i32 s7, s23, 10
	s_waitcnt lgkmcnt(2)
	v_max3_f32 v50, v52, s40, v53
	s_waitcnt lgkmcnt(1)
	v_max3_f32 v50, v50, v58, v59
	v_sub_f32_e32 v52, v52, v50
	v_mul_f32_e32 v52, 0x3fb8aa3b, v52
	v_exp_f32_e32 v55, v52
	v_sub_f32_e32 v52, v53, v50
	v_mul_f32_e32 v52, 0x3fb8aa3b, v52
	v_exp_f32_e32 v61, v52
	v_sub_f32_e32 v52, v58, v50
	v_mul_f32_e32 v52, 0x3fb8aa3b, v52
	v_exp_f32_e32 v58, v52
	ds_read2_b32 v[52:53], v51 offset0:96 offset1:112
	v_sub_f32_e32 v51, v59, v50
	v_mul_f32_e32 v51, 0x3fb8aa3b, v51
	v_exp_f32_e32 v59, v51
	s_waitcnt lgkmcnt(1)
	v_fma_f32 v51, v55, v62, 0
	v_fmac_f32_e32 v51, v61, v63
	s_waitcnt lgkmcnt(0)
	v_fmac_f32_e32 v51, v58, v52
	v_fmac_f32_e32 v51, v59, v53
	v_add_f32_e32 v52, 0x358637bd, v51
	v_div_scale_f32 v53, s[4:5], v52, v52, 1.0
	v_rcp_f32_e32 v62, v53
	s_barrier
	v_fma_f32 v63, -v53, v62, 1.0
	v_fmac_f32_e32 v62, v63, v62
	v_div_scale_f32 v63, vcc, 1.0, v52, 1.0
	v_mul_f32_e32 v64, v63, v62
	v_fma_f32 v65, -v53, v64, v63
	v_fmac_f32_e32 v64, v65, v62
	v_fma_f32 v53, -v53, v64, v63
	v_div_fmas_f32 v53, v53, v62, v64
	v_cmp_eq_u32_e32 vcc, 1, v57
	v_div_fixup_f32 v52, v53, v52, 1.0
	s_nop 0
	v_cndmask_b32_e32 v53, v55, v61, vcc
	v_cmp_eq_u32_e32 vcc, 2, v57
	s_nop 1
	v_cndmask_b32_e32 v53, v53, v58, vcc
	v_cmp_eq_u32_e32 vcc, 3, v57
	s_nop 1
	v_cndmask_b32_e32 v53, v53, v59, vcc
	v_mul_f32_e32 v52, v53, v52
	v_pk_mul_f32 v[36:37], v[52:53], v[36:37] op_sel_hi:[0,1]
	v_pk_mul_f32 v[46:47], v[52:53], v[46:47] op_sel_hi:[0,1]
	v_bfe_u32 v53, v37, 16, 1
	v_bfe_u32 v55, v36, 16, 1
	v_add3_u32 v36, v36, v55, s8
	v_add3_u32 v37, v37, v53, s8
	v_perm_b32 v58, v37, v36, s33
	v_bfe_u32 v36, v47, 16, 1
	v_bfe_u32 v37, v46, 16, 1
	v_add3_u32 v37, v46, v37, s8
	v_add3_u32 v36, v47, v36, s8
	v_perm_b32 v59, v36, v37, s33
	v_lshlrev_b32_e32 v37, 3, v60
	v_lshlrev_b32_e32 v36, 5, v56
	;; [unrolled: 1-line block ×3, first 2 shown]
	v_pk_mul_f32 v[38:39], v[52:53], v[38:39] op_sel_hi:[0,1]
	v_or3_b32 v55, v46, v36, v37
	v_pk_mul_f32 v[46:47], v[52:53], v[48:49] op_sel_hi:[0,1]
	v_bfe_u32 v37, v39, 16, 1
	v_bfe_u32 v48, v38, 16, 1
	v_add3_u32 v38, v38, v48, s8
	v_add3_u32 v37, v39, v37, s8
	v_perm_b32 v38, v37, v38, s33
	v_bfe_u32 v37, v47, 16, 1
	v_bfe_u32 v39, v46, 16, 1
	v_add3_u32 v39, v46, v39, s8
	v_add3_u32 v37, v47, v37, s8
	v_perm_b32 v39, v37, v39, s33
	v_pk_mul_f32 v[40:41], v[52:53], v[40:41] op_sel_hi:[0,1]
	ds_write2st64_b64 v55, v[58:59], v[38:39] offset1:1
	v_pk_mul_f32 v[38:39], v[52:53], v[44:45] op_sel_hi:[0,1]
	v_bfe_u32 v37, v41, 16, 1
	v_bfe_u32 v44, v40, 16, 1
	v_add3_u32 v40, v40, v44, s8
	v_add3_u32 v37, v41, v37, s8
	v_perm_b32 v40, v37, v40, s33
	v_bfe_u32 v37, v39, 16, 1
	v_bfe_u32 v41, v38, 16, 1
	v_add3_u32 v38, v38, v41, s8
	v_add3_u32 v37, v39, v37, s8
	v_perm_b32 v41, v37, v38, s33
	v_pk_mul_f32 v[38:39], v[52:53], v[42:43] op_sel_hi:[0,1]
	v_bfe_u32 v37, v39, 16, 1
	v_bfe_u32 v42, v38, 16, 1
	v_pk_mul_f32 v[34:35], v[52:53], v[34:35] op_sel_hi:[0,1]
	v_add3_u32 v38, v38, v42, s8
	v_add3_u32 v37, v39, v37, s8
	v_perm_b32 v38, v37, v38, s33
	v_bfe_u32 v37, v35, 16, 1
	v_bfe_u32 v39, v34, 16, 1
	v_add3_u32 v34, v34, v39, s8
	v_add3_u32 v35, v35, v37, s8
	v_perm_b32 v39, v35, v34, s33
	v_cmp_gt_u32_e32 vcc, 10, v0
	ds_write2st64_b64 v55, v[40:41], v[38:39] offset0:2 offset1:3
	s_and_saveexec_b64 s[4:5], vcc
	s_cbranch_execz .LBB1357_15
; %bb.14:
	s_mov_b32 s49, 0
	v_mov_b32_e32 v57, 0
	v_lshl_add_u64 v[34:35], s[48:49], 0, v[56:57]
	v_mov_b32_e32 v37, s7
	v_mad_u64_u32 v[34:35], s[10:11], s2, v37, v[34:35]
	s_mul_i32 s3, s3, s7
	v_mov_b32_e32 v38, s22
	v_mov_b32_e32 v39, v57
	s_load_dwordx4 s[12:15], s[0:1], 0x58
	v_add_u32_e32 v37, s3, v35
	v_mad_u64_u32 v[34:35], s[10:11], v34, s6, v[38:39]
	v_mov_b32_e32 v38, v35
	v_mad_u64_u32 v[38:39], s[10:11], v37, s6, v[38:39]
	v_mov_b32_e32 v35, v38
	v_lshlrev_b64 v[34:35], 2, v[34:35]
	s_waitcnt lgkmcnt(0)
	v_lshl_add_u64 v[38:39], s[14:15], 0, v[34:35]
	v_lshl_add_u64 v[34:35], s[12:13], 0, v[34:35]
	global_store_dword v[38:39], v50, off
	global_store_dword v[34:35], v51, off
.LBB1357_15:
	s_or_b64 exec, exec, s[4:5]
	v_lshl_or_b32 v50, v60, 9, v36
	s_waitcnt vmcnt(7)
	v_cvt_pk_f32_fp8_e32 v[34:35], v30
	v_cvt_pk_f32_fp8_sdwa v[36:37], v30 src0_sel:WORD_1
	s_mov_b32 s5, 0x7060302
	s_waitcnt lgkmcnt(0)
	s_barrier
	v_cvt_pk_f32_fp8_e32 v[38:39], v31
	v_perm_b32 v30, v35, v34, s5
	v_cvt_pk_f32_fp8_sdwa v[40:41], v31 src0_sel:WORD_1
	v_perm_b32 v31, v37, v36, s5
	ds_read_b128 v[34:37], v50
	v_perm_b32 v46, v39, v38, s5
	v_perm_b32 v47, v41, v40, s5
	ds_read_b128 v[38:41], v50 offset:16
	v_cvt_pk_f32_fp8_e32 v[48:49], v32
	v_cvt_pk_f32_fp8_sdwa v[52:53], v32 src0_sel:WORD_1
	s_waitcnt lgkmcnt(1)
	v_mfma_f32_16x16x16_bf16 v[42:45], v[30:31], v[34:35], 0
	s_waitcnt vmcnt(6)
	v_cvt_pk_f32_fp8_e32 v[58:59], v24
	v_perm_b32 v30, v49, v48, s5
	v_perm_b32 v31, v53, v52, s5
	v_cvt_pk_f32_fp8_e32 v[48:49], v33
	v_mfma_f32_16x16x16_bf16 v[42:45], v[46:47], v[36:37], v[42:45]
	v_cvt_pk_f32_fp8_sdwa v[46:47], v33 src0_sel:WORD_1
	v_cvt_pk_f32_fp8_sdwa v[62:63], v24 src0_sel:WORD_1
	v_perm_b32 v48, v49, v48, s5
	s_waitcnt lgkmcnt(0)
	v_mfma_f32_16x16x16_bf16 v[30:33], v[30:31], v[38:39], v[42:45]
	v_perm_b32 v49, v47, v46, s5
	s_waitcnt vmcnt(5)
	v_cvt_pk_f32_fp8_sdwa v[66:67], v12 src0_sel:WORD_1
	s_waitcnt vmcnt(4)
	v_cvt_pk_f32_fp8_sdwa v[68:69], v4 src0_sel:WORD_1
	v_cvt_pk_f32_fp8_e32 v[42:43], v22
	v_mfma_f32_16x16x16_bf16 v[46:49], v[48:49], v[40:41], v[30:33]
	s_load_dword s4, s[42:43], 0x0
	s_waitcnt vmcnt(3)
	v_cvt_pk_f32_fp8_sdwa v[70:71], v28 src0_sel:WORD_1
	v_cvt_pk_f32_fp8_sdwa v[30:31], v22 src0_sel:WORD_1
	v_cvt_pk_f32_fp8_e32 v[32:33], v23
	v_perm_b32 v22, v43, v42, s5
	v_cvt_pk_f32_fp8_sdwa v[42:43], v23 src0_sel:WORD_1
	v_perm_b32 v23, v31, v30, s5
	v_perm_b32 v52, v33, v32, s5
	ds_read_b128 v[30:33], v50 offset:2048
	v_perm_b32 v53, v43, v42, s5
	ds_read_b128 v[42:45], v50 offset:2064
	s_waitcnt lgkmcnt(0)
	v_mfma_f32_16x16x16_bf16 v[46:49], v[22:23], v[30:31], v[46:49]
	v_perm_b32 v22, v59, v58, s5
	v_perm_b32 v23, v63, v62, s5
	v_cvt_pk_f32_fp8_e32 v[58:59], v25
	v_mfma_f32_16x16x16_bf16 v[46:49], v[52:53], v[32:33], v[46:49]
	v_cvt_pk_f32_fp8_sdwa v[52:53], v25 src0_sel:WORD_1
	s_mov_b32 s3, 0
	v_perm_b32 v58, v59, v58, s5
	v_mfma_f32_16x16x16_bf16 v[22:25], v[22:23], v[42:43], v[46:49]
	v_perm_b32 v59, v53, v52, s5
	v_cmp_gt_u32_e32 vcc, 64, v0
	s_nop 0
	v_cvt_pk_f32_fp8_e32 v[46:47], v10
	v_mfma_f32_16x16x16_bf16 v[62:65], v[58:59], v[44:45], v[22:25]
	v_cvt_pk_f32_fp8_e32 v[58:59], v12
	s_nop 1
	v_cvt_pk_f32_fp8_sdwa v[22:23], v10 src0_sel:WORD_1
	v_cvt_pk_f32_fp8_e32 v[24:25], v11
	v_perm_b32 v10, v47, v46, s5
	v_cvt_pk_f32_fp8_sdwa v[46:47], v11 src0_sel:WORD_1
	v_perm_b32 v11, v23, v22, s5
	v_perm_b32 v52, v25, v24, s5
	ds_read_b128 v[22:25], v50 offset:4096
	v_perm_b32 v53, v47, v46, s5
	ds_read_b128 v[46:49], v50 offset:4112
	s_waitcnt lgkmcnt(1)
	v_mfma_f32_16x16x16_bf16 v[62:65], v[10:11], v[22:23], v[62:65]
	v_perm_b32 v10, v59, v58, s5
	v_perm_b32 v11, v67, v66, s5
	v_cvt_pk_f32_fp8_e32 v[58:59], v13
	v_mfma_f32_16x16x16_bf16 v[62:65], v[52:53], v[24:25], v[62:65]
	v_cvt_pk_f32_fp8_sdwa v[52:53], v13 src0_sel:WORD_1
	v_cvt_pk_f32_fp8_e32 v[66:67], v4
	v_perm_b32 v58, v59, v58, s5
	s_waitcnt lgkmcnt(0)
	v_mfma_f32_16x16x16_bf16 v[10:13], v[10:11], v[46:47], v[62:65]
	v_perm_b32 v59, v53, v52, s5
	v_cvt_pk_f32_fp8_e32 v[52:53], v2
	s_nop 0
	v_mfma_f32_16x16x16_bf16 v[62:65], v[58:59], v[48:49], v[10:13]
	s_nop 2
	v_cvt_pk_f32_fp8_sdwa v[10:11], v2 src0_sel:WORD_1
	v_cvt_pk_f32_fp8_e32 v[12:13], v3
	v_perm_b32 v2, v53, v52, s5
	v_cvt_pk_f32_fp8_sdwa v[52:53], v3 src0_sel:WORD_1
	v_perm_b32 v3, v11, v10, s5
	v_perm_b32 v58, v13, v12, s5
	ds_read_b128 v[10:13], v50 offset:6144
	v_perm_b32 v59, v53, v52, s5
	s_waitcnt lgkmcnt(0)
	v_mfma_f32_16x16x16_bf16 v[62:65], v[2:3], v[10:11], v[62:65]
	ds_read_b128 v[50:53], v50 offset:6160
	v_perm_b32 v2, v67, v66, s5
	v_perm_b32 v3, v69, v68, s5
	v_cvt_pk_f32_fp8_e32 v[66:67], v5
	v_mfma_f32_16x16x16_bf16 v[62:65], v[58:59], v[12:13], v[62:65]
	v_cvt_pk_f32_fp8_sdwa v[58:59], v5 src0_sel:WORD_1
	v_cvt_pk_f32_fp8_e32 v[68:69], v28
	v_perm_b32 v66, v67, v66, s5
	s_waitcnt lgkmcnt(0)
	v_mfma_f32_16x16x16_bf16 v[2:5], v[2:3], v[50:51], v[62:65]
	v_perm_b32 v67, v59, v58, s5
	v_cvt_pk_f32_fp8_sdwa v[58:59], v26 src0_sel:WORD_1
	s_nop 0
	v_mfma_f32_16x16x16_bf16 v[62:65], v[66:67], v[52:53], v[2:5]
	s_barrier
	s_nop 1
	v_cvt_pk_f32_fp8_e32 v[4:5], v26
	s_nop 2
	v_pk_mul_f32 v[66:67], v[62:63], s[4:5] op_sel_hi:[1,0]
	v_cvt_pk_f32_fp8_e32 v[62:63], v27
	v_perm_b32 v4, v5, v4, s5
	v_perm_b32 v5, v59, v58, s5
	v_cvt_pk_f32_fp8_sdwa v[26:27], v27 src0_sel:WORD_1
	v_perm_b32 v58, v63, v62, s5
	v_pk_mul_f32 v[2:3], v[64:65], s[4:5] op_sel_hi:[1,0]
	v_mfma_f32_16x16x16_bf16 v[62:65], v[4:5], v[34:35], 0
	v_perm_b32 v59, v27, v26, s5
	v_perm_b32 v4, v69, v68, s5
	v_perm_b32 v5, v71, v70, s5
	v_cvt_pk_f32_fp8_e32 v[34:35], v29
	v_cvt_pk_f32_fp8_sdwa v[68:69], v29 src0_sel:WORD_1
	v_mfma_f32_16x16x16_bf16 v[26:29], v[58:59], v[36:37], v[62:65]
	s_waitcnt vmcnt(2)
	v_cvt_pk_f32_fp8_sdwa v[36:37], v18 src0_sel:WORD_1
	v_perm_b32 v34, v35, v34, s5
	v_perm_b32 v35, v69, v68, s5
	v_mfma_f32_16x16x16_bf16 v[26:29], v[4:5], v[38:39], v[26:29]
	v_cvt_pk_f32_fp8_e32 v[4:5], v18
	v_cvt_pk_f32_fp8_sdwa v[38:39], v20 src0_sel:WORD_1
	v_bfe_u32 v57, v67, 16, 1
	v_mfma_f32_16x16x16_bf16 v[26:29], v[34:35], v[40:41], v[26:29]
	v_cvt_pk_f32_fp8_e32 v[34:35], v19
	v_perm_b32 v4, v5, v4, s5
	v_perm_b32 v5, v37, v36, s5
	v_cvt_pk_f32_fp8_sdwa v[18:19], v19 src0_sel:WORD_1
	v_perm_b32 v34, v35, v34, s5
	v_cvt_pk_f32_fp8_e32 v[36:37], v20
	v_mfma_f32_16x16x16_bf16 v[26:29], v[4:5], v[30:31], v[26:29]
	v_perm_b32 v35, v19, v18, s5
	v_perm_b32 v4, v37, v36, s5
	;; [unrolled: 1-line block ×3, first 2 shown]
	v_cvt_pk_f32_fp8_e32 v[30:31], v21
	v_cvt_pk_f32_fp8_sdwa v[36:37], v21 src0_sel:WORD_1
	v_mfma_f32_16x16x16_bf16 v[18:21], v[34:35], v[32:33], v[26:29]
	v_bfe_u32 v58, v66, 16, 1
	v_add3_u32 v32, v66, v58, s8
	v_add3_u32 v33, v67, v57, s8
	v_perm_b32 v26, v31, v30, s5
	v_perm_b32 v27, v37, v36, s5
	v_mfma_f32_16x16x16_bf16 v[18:21], v[4:5], v[42:43], v[18:21]
	s_waitcnt vmcnt(1)
	v_cvt_pk_f32_fp8_e32 v[4:5], v14
	v_cvt_pk_f32_fp8_sdwa v[28:29], v14 src0_sel:WORD_1
	v_cvt_pk_f32_fp8_sdwa v[30:31], v16 src0_sel:WORD_1
	v_mfma_f32_16x16x16_bf16 v[18:21], v[26:27], v[44:45], v[18:21]
	v_cvt_pk_f32_fp8_e32 v[26:27], v15
	v_perm_b32 v4, v5, v4, s5
	v_perm_b32 v5, v29, v28, s5
	v_cvt_pk_f32_fp8_sdwa v[14:15], v15 src0_sel:WORD_1
	v_perm_b32 v26, v27, v26, s5
	v_cvt_pk_f32_fp8_e32 v[28:29], v16
	v_mfma_f32_16x16x16_bf16 v[18:21], v[4:5], v[22:23], v[18:21]
	v_perm_b32 v27, v15, v14, s5
	v_perm_b32 v4, v29, v28, s5
	;; [unrolled: 1-line block ×3, first 2 shown]
	v_cvt_pk_f32_fp8_e32 v[22:23], v17
	v_cvt_pk_f32_fp8_sdwa v[28:29], v17 src0_sel:WORD_1
	v_mfma_f32_16x16x16_bf16 v[14:17], v[26:27], v[24:25], v[18:21]
	s_waitcnt vmcnt(0)
	v_cvt_pk_f32_fp8_sdwa v[24:25], v8 src0_sel:WORD_1
	s_nop 0
	v_perm_b32 v20, v23, v22, s5
	v_perm_b32 v21, v29, v28, s5
	v_mfma_f32_16x16x16_bf16 v[14:17], v[4:5], v[46:47], v[14:17]
	v_cvt_pk_f32_fp8_e32 v[4:5], v6
	v_cvt_pk_f32_fp8_sdwa v[22:23], v6 src0_sel:WORD_1
	v_bfe_u32 v19, v3, 16, 1
	v_mfma_f32_16x16x16_bf16 v[14:17], v[20:21], v[48:49], v[14:17]
	v_cvt_pk_f32_fp8_e32 v[20:21], v7
	v_perm_b32 v4, v5, v4, s5
	v_perm_b32 v5, v23, v22, s5
	v_cvt_pk_f32_fp8_sdwa v[6:7], v7 src0_sel:WORD_1
	v_perm_b32 v20, v21, v20, s5
	v_cvt_pk_f32_fp8_e32 v[22:23], v8
	v_add3_u32 v3, v3, v19, s8
	v_perm_b32 v21, v7, v6, s5
	v_mfma_f32_16x16x16_bf16 v[4:7], v[4:5], v[10:11], v[14:17]
	v_perm_b32 v10, v23, v22, s5
	v_perm_b32 v11, v25, v24, s5
	;; [unrolled: 1-line block ×3, first 2 shown]
	v_cvt_pk_f32_fp8_e32 v[14:15], v9
	v_cvt_pk_f32_fp8_sdwa v[8:9], v9 src0_sel:WORD_1
	v_mfma_f32_16x16x16_bf16 v[4:7], v[20:21], v[12:13], v[4:7]
	v_bfe_u32 v16, v2, 16, 1
	v_perm_b32 v12, v15, v14, s5
	v_perm_b32 v13, v9, v8, s5
	v_mfma_f32_16x16x16_bf16 v[4:7], v[10:11], v[50:51], v[4:7]
	v_add3_u32 v2, v2, v16, s8
	v_perm_b32 v19, v3, v2, s5
	v_mfma_f32_16x16x16_bf16 v[2:5], v[12:13], v[52:53], v[4:7]
	s_nop 6
	v_pk_mul_f32 v[2:3], v[2:3], s[4:5] op_sel_hi:[1,0]
	v_pk_mul_f32 v[4:5], v[4:5], s[4:5] op_sel_hi:[1,0]
	v_bfe_u32 v6, v3, 16, 1
	v_bfe_u32 v7, v2, 16, 1
	v_add3_u32 v2, v2, v7, s8
	v_add3_u32 v3, v3, v6, s8
	v_perm_b32 v2, v3, v2, s5
	v_bfe_u32 v3, v5, 16, 1
	v_bfe_u32 v6, v4, 16, 1
	v_add3_u32 v4, v4, v6, s8
	v_add3_u32 v3, v5, v3, s8
	v_perm_b32 v3, v3, v4, s5
	ds_write2st64_b64 v55, v[18:19], v[2:3] offset1:1
	s_waitcnt lgkmcnt(0)
	s_barrier
	s_and_saveexec_b64 s[4:5], vcc
	s_cbranch_execz .LBB1357_18
; %bb.16:
	s_load_dwordx2 s[4:5], s[0:1], 0x68
	s_lshl_b32 s0, s6, 7
	s_mul_i32 s1, s7, s2
	v_lshlrev_b32_e32 v3, 6, v56
	s_mul_hi_u32 s7, s1, s0
	s_mul_i32 s6, s1, s0
	v_lshl_or_b32 v0, v0, 10, v3
	s_lshl_b64 s[6:7], s[6:7], 1
	v_lshlrev_b32_e32 v2, 5, v60
	v_and_b32_e32 v1, 16, v1
	v_and_b32_e32 v0, 0x1a00, v0
	s_waitcnt lgkmcnt(0)
	s_add_u32 s1, s4, s6
	v_or3_b32 v2, v0, v2, v1
	s_addc_u32 s4, s5, s7
	s_lshl_b32 s2, s22, 7
	s_lshl_b64 s[2:3], s[2:3], 1
	ds_read_b128 v[4:7], v2 offset:128
	ds_read_b128 v[8:11], v2
	s_add_u32 s2, s1, s2
	s_addc_u32 s3, s4, s3
	v_mov_b32_e32 v55, 0
	v_add_u32_e32 v14, s48, v60
	v_lshl_add_u64 v[0:1], s[2:3], 0, v[54:55]
	v_mad_u64_u32 v[12:13], s[2:3], v14, s0, 0
	v_lshl_add_u64 v[12:13], v[12:13], 1, v[0:1]
	s_waitcnt lgkmcnt(0)
	global_store_dwordx4 v[12:13], v[8:11], off
	v_or_b32_e32 v3, 8, v60
	v_cmp_gt_u32_e32 vcc, 10, v3
	v_add_u32_e32 v8, 4, v14
	v_mad_u64_u32 v[8:9], s[2:3], v8, s0, 0
	v_lshl_add_u64 v[8:9], v[8:9], 1, v[0:1]
	global_store_dwordx4 v[8:9], v[4:7], off
	s_and_b64 exec, exec, vcc
	s_cbranch_execz .LBB1357_18
; %bb.17:
	ds_read_b128 v[4:7], v2 offset:256
	v_add_u32_e32 v2, s48, v3
	v_mad_u64_u32 v[2:3], s[0:1], v2, s0, 0
	v_lshl_add_u64 v[0:1], v[2:3], 1, v[0:1]
	s_waitcnt lgkmcnt(0)
	global_store_dwordx4 v[0:1], v[4:7], off
.LBB1357_18:
	s_endpgm
	.section	.rodata,"a",@progbits
	.p2align	6, 0x0
	.amdhsa_kernel _Z39paged_attention_ll4mi_QKV_mfma16_kernelI14__hip_bfloat16hLN4vllm18Fp8KVCacheDataTypeE1EhLi32ELi128ELi256ELb0ELi10EEvPKT_PKT0_S8_ifPKiSA_SA_iPKfiiiPfSD_PS3_PT2_iSC_SC_
		.amdhsa_group_segment_fixed_size 8192
		.amdhsa_private_segment_fixed_size 0
		.amdhsa_kernarg_size 400
		.amdhsa_user_sgpr_count 2
		.amdhsa_user_sgpr_dispatch_ptr 0
		.amdhsa_user_sgpr_queue_ptr 0
		.amdhsa_user_sgpr_kernarg_segment_ptr 1
		.amdhsa_user_sgpr_dispatch_id 0
		.amdhsa_user_sgpr_kernarg_preload_length 0
		.amdhsa_user_sgpr_kernarg_preload_offset 0
		.amdhsa_user_sgpr_private_segment_size 0
		.amdhsa_uses_dynamic_stack 0
		.amdhsa_enable_private_segment 0
		.amdhsa_system_sgpr_workgroup_id_x 1
		.amdhsa_system_sgpr_workgroup_id_y 1
		.amdhsa_system_sgpr_workgroup_id_z 1
		.amdhsa_system_sgpr_workgroup_info 0
		.amdhsa_system_vgpr_workitem_id 0
		.amdhsa_next_free_vgpr 82
		.amdhsa_next_free_sgpr 50
		.amdhsa_accum_offset 84
		.amdhsa_reserve_vcc 1
		.amdhsa_float_round_mode_32 0
		.amdhsa_float_round_mode_16_64 0
		.amdhsa_float_denorm_mode_32 3
		.amdhsa_float_denorm_mode_16_64 3
		.amdhsa_dx10_clamp 1
		.amdhsa_ieee_mode 1
		.amdhsa_fp16_overflow 0
		.amdhsa_tg_split 0
		.amdhsa_exception_fp_ieee_invalid_op 0
		.amdhsa_exception_fp_denorm_src 0
		.amdhsa_exception_fp_ieee_div_zero 0
		.amdhsa_exception_fp_ieee_overflow 0
		.amdhsa_exception_fp_ieee_underflow 0
		.amdhsa_exception_fp_ieee_inexact 0
		.amdhsa_exception_int_div_zero 0
	.end_amdhsa_kernel
	.section	.text._Z39paged_attention_ll4mi_QKV_mfma16_kernelI14__hip_bfloat16hLN4vllm18Fp8KVCacheDataTypeE1EhLi32ELi128ELi256ELb0ELi10EEvPKT_PKT0_S8_ifPKiSA_SA_iPKfiiiPfSD_PS3_PT2_iSC_SC_,"axG",@progbits,_Z39paged_attention_ll4mi_QKV_mfma16_kernelI14__hip_bfloat16hLN4vllm18Fp8KVCacheDataTypeE1EhLi32ELi128ELi256ELb0ELi10EEvPKT_PKT0_S8_ifPKiSA_SA_iPKfiiiPfSD_PS3_PT2_iSC_SC_,comdat
.Lfunc_end1357:
	.size	_Z39paged_attention_ll4mi_QKV_mfma16_kernelI14__hip_bfloat16hLN4vllm18Fp8KVCacheDataTypeE1EhLi32ELi128ELi256ELb0ELi10EEvPKT_PKT0_S8_ifPKiSA_SA_iPKfiiiPfSD_PS3_PT2_iSC_SC_, .Lfunc_end1357-_Z39paged_attention_ll4mi_QKV_mfma16_kernelI14__hip_bfloat16hLN4vllm18Fp8KVCacheDataTypeE1EhLi32ELi128ELi256ELb0ELi10EEvPKT_PKT0_S8_ifPKiSA_SA_iPKfiiiPfSD_PS3_PT2_iSC_SC_
                                        ; -- End function
	.section	.AMDGPU.csdata,"",@progbits
; Kernel info:
; codeLenInByte = 6412
; NumSgprs: 56
; NumVgprs: 82
; NumAgprs: 0
; TotalNumVgprs: 82
; ScratchSize: 0
; MemoryBound: 0
; FloatMode: 240
; IeeeMode: 1
; LDSByteSize: 8192 bytes/workgroup (compile time only)
; SGPRBlocks: 6
; VGPRBlocks: 10
; NumSGPRsForWavesPerEU: 56
; NumVGPRsForWavesPerEU: 82
; AccumOffset: 84
; Occupancy: 5
; WaveLimiterHint : 1
; COMPUTE_PGM_RSRC2:SCRATCH_EN: 0
; COMPUTE_PGM_RSRC2:USER_SGPR: 2
; COMPUTE_PGM_RSRC2:TRAP_HANDLER: 0
; COMPUTE_PGM_RSRC2:TGID_X_EN: 1
; COMPUTE_PGM_RSRC2:TGID_Y_EN: 1
; COMPUTE_PGM_RSRC2:TGID_Z_EN: 1
; COMPUTE_PGM_RSRC2:TIDIG_COMP_CNT: 0
; COMPUTE_PGM_RSRC3_GFX90A:ACCUM_OFFSET: 20
; COMPUTE_PGM_RSRC3_GFX90A:TG_SPLIT: 0
	.section	.text._Z39paged_attention_ll4mi_QKV_mfma16_kernelI14__hip_bfloat16hLN4vllm18Fp8KVCacheDataTypeE1EhLi32ELi128ELi256ELb0ELi11EEvPKT_PKT0_S8_ifPKiSA_SA_iPKfiiiPfSD_PS3_PT2_iSC_SC_,"axG",@progbits,_Z39paged_attention_ll4mi_QKV_mfma16_kernelI14__hip_bfloat16hLN4vllm18Fp8KVCacheDataTypeE1EhLi32ELi128ELi256ELb0ELi11EEvPKT_PKT0_S8_ifPKiSA_SA_iPKfiiiPfSD_PS3_PT2_iSC_SC_,comdat
	.protected	_Z39paged_attention_ll4mi_QKV_mfma16_kernelI14__hip_bfloat16hLN4vllm18Fp8KVCacheDataTypeE1EhLi32ELi128ELi256ELb0ELi11EEvPKT_PKT0_S8_ifPKiSA_SA_iPKfiiiPfSD_PS3_PT2_iSC_SC_ ; -- Begin function _Z39paged_attention_ll4mi_QKV_mfma16_kernelI14__hip_bfloat16hLN4vllm18Fp8KVCacheDataTypeE1EhLi32ELi128ELi256ELb0ELi11EEvPKT_PKT0_S8_ifPKiSA_SA_iPKfiiiPfSD_PS3_PT2_iSC_SC_
	.globl	_Z39paged_attention_ll4mi_QKV_mfma16_kernelI14__hip_bfloat16hLN4vllm18Fp8KVCacheDataTypeE1EhLi32ELi128ELi256ELb0ELi11EEvPKT_PKT0_S8_ifPKiSA_SA_iPKfiiiPfSD_PS3_PT2_iSC_SC_
	.p2align	8
	.type	_Z39paged_attention_ll4mi_QKV_mfma16_kernelI14__hip_bfloat16hLN4vllm18Fp8KVCacheDataTypeE1EhLi32ELi128ELi256ELb0ELi11EEvPKT_PKT0_S8_ifPKiSA_SA_iPKfiiiPfSD_PS3_PT2_iSC_SC_,@function
_Z39paged_attention_ll4mi_QKV_mfma16_kernelI14__hip_bfloat16hLN4vllm18Fp8KVCacheDataTypeE1EhLi32ELi128ELi256ELb0ELi11EEvPKT_PKT0_S8_ifPKiSA_SA_iPKfiiiPfSD_PS3_PT2_iSC_SC_: ; @_Z39paged_attention_ll4mi_QKV_mfma16_kernelI14__hip_bfloat16hLN4vllm18Fp8KVCacheDataTypeE1EhLi32ELi128ELi256ELb0ELi11EEvPKT_PKT0_S8_ifPKiSA_SA_iPKfiiiPfSD_PS3_PT2_iSC_SC_
; %bb.0:
	s_load_dwordx2 s[12:13], s[0:1], 0x30
	s_mov_b32 s22, s3
	s_mov_b64 s[6:7], 0
	s_waitcnt lgkmcnt(0)
	s_cmp_lg_u64 s[12:13], 0
	s_cselect_b64 s[14:15], -1, 0
	s_and_b64 vcc, exec, s[14:15]
	s_cbranch_vccz .LBB1358_7
; %bb.1:
	s_add_i32 s8, s2, 1
	s_mov_b32 s9, 0
	s_lshl_b64 s[10:11], s[8:9], 2
	s_add_u32 s10, s12, s10
	s_mov_b32 s3, s9
	s_addc_u32 s11, s13, s11
	s_lshl_b64 s[8:9], s[2:3], 2
	s_add_u32 s8, s12, s8
	s_addc_u32 s9, s13, s9
	s_load_dword s5, s[10:11], 0x0
	s_load_dword s16, s[8:9], 0x0
	s_waitcnt lgkmcnt(0)
	s_sub_i32 s5, s5, s16
	s_cmp_eq_u32 s5, 1
	s_cselect_b64 s[8:9], -1, 0
	s_andn2_b64 vcc, exec, s[6:7]
	s_cbranch_vccnz .LBB1358_3
.LBB1358_2:
	s_mov_b32 s3, 0
	s_mov_b64 s[8:9], -1
.LBB1358_3:
	s_andn2_b64 vcc, exec, s[8:9]
	s_cbranch_vccnz .LBB1358_18
; %bb.4:
	s_load_dwordx2 s[6:7], s[0:1], 0x28
	s_lshl_b64 s[16:17], s[2:3], 2
	s_waitcnt lgkmcnt(0)
	s_add_u32 s6, s6, s16
	s_addc_u32 s7, s7, s17
	s_load_dword s5, s[6:7], 0x0
	s_lshl_b32 s18, s22, 8
	s_waitcnt lgkmcnt(0)
	s_cmp_ge_i32 s18, s5
	s_cbranch_scc1 .LBB1358_18
; %bb.5:
	s_load_dwordx2 s[6:7], s[0:1], 0x20
	s_load_dword s8, s[0:1], 0x38
	s_add_i32 s9, s5, 31
	s_ashr_i32 s10, s9, 31
	v_and_b32_e32 v1, 0xcf, v0
	s_lshr_b32 s10, s10, 27
	v_add_u32_e32 v1, s18, v1
	s_add_i32 s9, s9, s10
	v_ashrrev_i32_e32 v2, 31, v1
	s_ashr_i32 s19, s9, 5
	v_lshrrev_b32_e32 v8, 27, v2
	s_add_i32 s19, s19, -1
	s_waitcnt lgkmcnt(0)
	s_mul_i32 s8, s2, s8
	s_mov_b32 s9, 0
	v_add_u32_e32 v2, v1, v8
	s_lshl_b64 s[8:9], s[8:9], 2
	v_ashrrev_i32_e32 v2, 5, v2
	v_mov_b32_e32 v9, s19
	v_cmp_gt_i32_e32 vcc, s5, v1
	s_add_u32 s6, s6, s8
	s_addc_u32 s7, s7, s9
	v_cndmask_b32_e32 v2, v9, v2, vcc
	v_ashrrev_i32_e32 v3, 31, v2
	v_lshl_add_u64 v[4:5], v[2:3], 2, s[6:7]
	v_or_b32_e32 v2, 16, v1
	v_add_u32_e32 v3, v2, v8
	v_ashrrev_i32_e32 v3, 5, v3
	v_cmp_gt_i32_e32 vcc, s5, v2
	s_load_dwordx4 s[8:11], s[0:1], 0x8
	s_nop 0
	v_cndmask_b32_e32 v2, v9, v3, vcc
	v_ashrrev_i32_e32 v3, 31, v2
	v_lshl_add_u64 v[6:7], v[2:3], 2, s[6:7]
	v_or_b32_e32 v2, 32, v1
	v_add_u32_e32 v3, v2, v8
	v_ashrrev_i32_e32 v3, 5, v3
	v_cmp_gt_i32_e32 vcc, s5, v2
	v_or_b32_e32 v1, 48, v1
	s_nop 0
	v_cndmask_b32_e32 v2, v9, v3, vcc
	v_ashrrev_i32_e32 v3, 31, v2
	v_lshl_add_u64 v[10:11], v[2:3], 2, s[6:7]
	v_add_u32_e32 v2, v1, v8
	v_ashrrev_i32_e32 v2, 5, v2
	v_cmp_gt_i32_e32 vcc, s5, v1
	s_nop 1
	v_cndmask_b32_e32 v2, v9, v2, vcc
	v_ashrrev_i32_e32 v3, 31, v2
	v_lshl_add_u64 v[12:13], v[2:3], 2, s[6:7]
	global_load_dword v2, v[4:5], off
	global_load_dword v8, v[6:7], off
	global_load_dword v22, v[10:11], off
	global_load_dword v23, v[12:13], off
	s_andn2_b64 vcc, exec, s[14:15]
	s_cbranch_vccnz .LBB1358_8
; %bb.6:
	s_add_u32 s12, s12, s16
	s_addc_u32 s13, s13, s17
	s_load_dword s14, s[12:13], 0x0
	s_branch .LBB1358_9
.LBB1358_7:
	s_mov_b64 s[8:9], 0
	s_branch .LBB1358_2
.LBB1358_8:
	s_mov_b32 s14, s2
.LBB1358_9:
	s_load_dwordx4 s[44:47], s[0:1], 0x48
	v_lshrrev_b32_e32 v57, 6, v0
	v_bfe_u32 v60, v0, 4, 2
	v_and_b32_e32 v56, 15, v0
	v_lshl_or_b32 v3, v57, 2, v60
	v_lshlrev_b32_e32 v1, 3, v56
	v_and_b32_e32 v61, 63, v0
	s_mul_i32 s48, s4, 11
	v_cmp_gt_u32_e32 vcc, 11, v3
	v_lshlrev_b32_e32 v54, 1, v1
	v_lshlrev_b32_e32 v1, 4, v0
	s_and_saveexec_b64 s[12:13], vcc
	s_cbranch_execz .LBB1358_11
; %bb.10:
	s_load_dwordx2 s[16:17], s[0:1], 0x0
	s_waitcnt lgkmcnt(0)
	s_ashr_i32 s15, s44, 31
	s_mul_hi_u32 s20, s14, s44
	s_mul_i32 s15, s14, s15
	s_add_i32 s15, s20, s15
	s_mul_i32 s14, s14, s44
	s_lshl_b64 s[14:15], s[14:15], 1
	s_add_u32 s14, s16, s14
	v_add_lshl_u32 v4, v3, s48, 7
	s_addc_u32 s15, s17, s15
	v_ashrrev_i32_e32 v5, 31, v4
	v_lshl_add_u64 v[4:5], v[4:5], 1, s[14:15]
	v_mov_b32_e32 v55, 0
	v_lshl_add_u64 v[4:5], v[4:5], 0, v[54:55]
	global_load_dwordx4 v[4:7], v[4:5], off
	v_lshlrev_b32_e32 v10, 8, v0
	v_lshlrev_b32_e32 v9, 8, v56
	v_and_b32_e32 v10, 0x600, v10
	s_movk_i32 s14, 0x800
	v_and_or_b32 v9, v9, s14, v10
	v_lshlrev_b32_e32 v3, 5, v3
	v_and_b32_e32 v10, 16, v1
	v_or3_b32 v3, v9, v3, v10
	s_waitcnt vmcnt(0)
	ds_write_b128 v3, v[4:7]
.LBB1358_11:
	s_or_b64 exec, exec, s[12:13]
	s_waitcnt lgkmcnt(0)
	s_mul_i32 s12, s4, s46
	s_add_u32 s8, s8, s12
	s_addc_u32 s9, s9, 0
	v_mov_b32_e32 v51, 0
	v_mov_b64_e32 v[12:13], s[8:9]
	v_and_b32_e32 v9, 48, v0
	s_waitcnt vmcnt(3)
	v_mad_i64_i32 v[2:3], s[8:9], v2, s45, v[12:13]
	v_lshlrev_b32_e32 v10, 4, v56
	v_mov_b32_e32 v11, v51
	v_lshlrev_b32_e32 v50, 5, v9
	v_lshl_add_u64 v[2:3], v[2:3], 0, v[10:11]
	v_lshl_add_u64 v[6:7], v[2:3], 0, v[50:51]
	s_load_dword s23, s[0:1], 0x98
	s_load_dwordx4 s[40:43], s[0:1], 0x80
	s_waitcnt lgkmcnt(0)
	s_barrier
	global_load_dwordx4 v[2:5], v[6:7], off
	global_load_dwordx4 v[42:45], v[6:7], off offset:2048
	v_add_u32_e32 v14, -11, v56
	v_cmp_gt_u32_e32 vcc, 11, v56
	s_ashr_i32 s8, s18, 31
	v_or_b32_e32 v24, 0x100, v10
	v_cndmask_b32_e32 v6, v14, v56, vcc
	v_mov_b32_e32 v25, v51
	s_lshr_b32 s13, s8, 27
	s_waitcnt vmcnt(4)
	v_mad_i64_i32 v[30:31], s[8:9], v8, s45, v[12:13]
	v_lshlrev_b32_e32 v6, 5, v6
	v_lshl_add_u64 v[30:31], v[30:31], 0, v[24:25]
	v_lshl_add_u32 v6, v60, 9, v6
	v_lshl_add_u64 v[30:31], v[30:31], 0, v[50:51]
	v_or_b32_e32 v37, s18, v9
	ds_read_b128 v[26:29], v6
	ds_read_b128 v[18:21], v6 offset:16
	ds_read_b128 v[14:17], v6 offset:2048
	ds_read_b128 v[6:9], v6 offset:2064
	global_load_dwordx4 v[46:49], v[30:31], off
	s_waitcnt vmcnt(4)
	v_mad_i64_i32 v[32:33], s[8:9], v22, s45, v[12:13]
	v_lshl_add_u64 v[10:11], v[32:33], 0, v[10:11]
	global_load_dwordx4 v[30:33], v[30:31], off offset:2048
	v_or_b32_e32 v38, 64, v37
	v_add_u32_e32 v22, s13, v37
	v_mov_b32_e32 v36, s19
	v_or_b32_e32 v39, 0x80, v37
	s_waitcnt vmcnt(4)
	v_mad_i64_i32 v[12:13], s[8:9], v23, s45, v[12:13]
	v_add_u32_e32 v23, s13, v38
	v_ashrrev_i32_e32 v22, 5, v22
	v_cmp_gt_i32_e32 vcc, s5, v37
	v_or_b32_e32 v40, 0xc0, v37
	v_add_u32_e32 v34, s13, v39
	v_ashrrev_i32_e32 v23, 5, v23
	v_cndmask_b32_e32 v52, v36, v22, vcc
	v_cmp_gt_i32_e32 vcc, s5, v38
	v_add_u32_e32 v35, s13, v40
	v_lshl_add_u64 v[12:13], v[12:13], 0, v[24:25]
	v_ashrrev_i32_e32 v24, 5, v34
	v_cndmask_b32_e32 v58, v36, v23, vcc
	v_cmp_gt_i32_e32 vcc, s5, v39
	v_ashrrev_i32_e32 v25, 5, v35
	v_lshl_add_u64 v[10:11], v[10:11], 0, v[50:51]
	v_lshl_add_u64 v[34:35], v[12:13], 0, v[50:51]
	v_cndmask_b32_e32 v62, v36, v24, vcc
	v_cmp_gt_i32_e32 vcc, s5, v40
	v_ashrrev_i32_e32 v53, 31, v52
	v_ashrrev_i32_e32 v59, 31, v58
	v_cndmask_b32_e32 v64, v36, v25, vcc
	global_load_dwordx4 v[22:25], v[10:11], off
	s_nop 0
	global_load_dwordx4 v[10:13], v[10:11], off offset:2048
	s_nop 0
	global_load_dwordx4 v[38:41], v[34:35], off
	s_nop 0
	global_load_dwordx4 v[34:37], v[34:35], off offset:2048
	v_ashrrev_i32_e32 v63, 31, v62
	v_ashrrev_i32_e32 v65, 31, v64
	v_lshl_add_u64 v[52:53], v[52:53], 2, s[6:7]
	v_lshl_add_u64 v[66:67], v[58:59], 2, s[6:7]
	;; [unrolled: 1-line block ×4, first 2 shown]
	global_load_dword v58, v[52:53], off
	global_load_dword v64, v[66:67], off
	;; [unrolled: 1-line block ×3, first 2 shown]
	s_nop 0
	global_load_dword v62, v[68:69], off
	s_mov_b32 s33, 0x7060302
	s_add_u32 s6, s10, s12
	s_addc_u32 s7, s11, 0
	v_and_b32_e32 v50, 16, v0
	v_lshl_or_b32 v63, v57, 4, v56
	s_load_dword s4, s[0:1], 0x1c
	s_waitcnt vmcnt(11)
	v_cvt_pk_f32_fp8_e32 v[52:53], v2
	v_cvt_pk_f32_fp8_sdwa v[66:67], v2 src0_sel:WORD_1
	v_cvt_pk_f32_fp8_e32 v[68:69], v3
	v_cvt_pk_f32_fp8_sdwa v[2:3], v3 src0_sel:WORD_1
	v_perm_b32 v52, v53, v52, s33
	v_perm_b32 v53, v67, v66, s33
	v_cvt_pk_f32_fp8_e32 v[70:71], v4
	v_cvt_pk_f32_fp8_sdwa v[72:73], v4 src0_sel:WORD_1
	v_perm_b32 v74, v69, v68, s33
	v_perm_b32 v75, v3, v2, s33
	s_waitcnt lgkmcnt(0)
	v_mfma_f32_16x16x16_bf16 v[66:69], v[52:53], v[26:27], 0
	v_cvt_pk_f32_fp8_e32 v[2:3], v5
	v_perm_b32 v52, v71, v70, s33
	v_perm_b32 v53, v73, v72, s33
	v_cvt_pk_f32_fp8_sdwa v[4:5], v5 src0_sel:WORD_1
	v_mfma_f32_16x16x16_bf16 v[66:69], v[74:75], v[28:29], v[66:69]
	v_perm_b32 v70, v3, v2, s33
	s_waitcnt vmcnt(10)
	v_cvt_pk_f32_fp8_e32 v[72:73], v42
	v_cvt_pk_f32_fp8_sdwa v[74:75], v42 src0_sel:WORD_1
	v_perm_b32 v71, v5, v4, s33
	v_mfma_f32_16x16x16_bf16 v[2:5], v[52:53], v[18:19], v[66:69]
	v_perm_b32 v52, v73, v72, s33
	v_perm_b32 v53, v75, v74, s33
	s_waitcnt vmcnt(6)
	v_cvt_pk_f32_fp8_e32 v[74:75], v11
	v_cvt_pk_f32_fp8_e32 v[66:67], v43
	v_cvt_pk_f32_fp8_sdwa v[42:43], v43 src0_sel:WORD_1
	v_mfma_f32_16x16x16_bf16 v[2:5], v[70:71], v[20:21], v[2:5]
	v_cvt_pk_f32_fp8_sdwa v[68:69], v46 src0_sel:WORD_1
	v_perm_b32 v66, v67, v66, s33
	v_perm_b32 v67, v43, v42, s33
	v_mfma_f32_16x16x16_bf16 v[2:5], v[52:53], v[14:15], v[2:5]
	v_cvt_pk_f32_fp8_e32 v[42:43], v44
	v_cvt_pk_f32_fp8_sdwa v[52:53], v44 src0_sel:WORD_1
	v_cvt_pk_f32_fp8_sdwa v[70:71], v30 src0_sel:WORD_1
	v_mfma_f32_16x16x16_bf16 v[2:5], v[66:67], v[16:17], v[2:5]
	v_cvt_pk_f32_fp8_e32 v[66:67], v45
	v_perm_b32 v42, v43, v42, s33
	v_perm_b32 v43, v53, v52, s33
	v_cvt_pk_f32_fp8_sdwa v[44:45], v45 src0_sel:WORD_1
	v_perm_b32 v52, v67, v66, s33
	v_cvt_pk_f32_fp8_e32 v[66:67], v46
	v_mfma_f32_16x16x16_bf16 v[2:5], v[42:43], v[6:7], v[2:5]
	v_perm_b32 v53, v45, v44, s33
	v_perm_b32 v66, v67, v66, s33
	v_perm_b32 v67, v69, v68, s33
	v_cvt_pk_f32_fp8_e32 v[68:69], v47
	v_cvt_pk_f32_fp8_sdwa v[46:47], v47 src0_sel:WORD_1
	v_mfma_f32_16x16x16_bf16 v[42:45], v[52:53], v[8:9], v[2:5]
	v_lshl_add_u64 v[52:53], s[6:7], 0, v[50:51]
	v_perm_b32 v68, v69, v68, s33
	v_perm_b32 v69, v47, v46, s33
	v_mfma_f32_16x16x16_bf16 v[2:5], v[66:67], v[26:27], 0
	v_cvt_pk_f32_fp8_e32 v[46:47], v48
	v_cvt_pk_f32_fp8_sdwa v[66:67], v48 src0_sel:WORD_1
	v_lshlrev_b32_e32 v50, 5, v63
	v_mfma_f32_16x16x16_bf16 v[2:5], v[68:69], v[28:29], v[2:5]
	v_cvt_pk_f32_fp8_e32 v[68:69], v49
	v_perm_b32 v46, v47, v46, s33
	v_perm_b32 v47, v67, v66, s33
	v_cvt_pk_f32_fp8_sdwa v[48:49], v49 src0_sel:WORD_1
	v_perm_b32 v66, v69, v68, s33
	v_cvt_pk_f32_fp8_e32 v[68:69], v30
	v_mfma_f32_16x16x16_bf16 v[2:5], v[46:47], v[18:19], v[2:5]
	v_perm_b32 v67, v49, v48, s33
	v_perm_b32 v46, v69, v68, s33
	;; [unrolled: 1-line block ×3, first 2 shown]
	v_cvt_pk_f32_fp8_e32 v[48:49], v31
	v_cvt_pk_f32_fp8_sdwa v[30:31], v31 src0_sel:WORD_1
	v_mfma_f32_16x16x16_bf16 v[2:5], v[66:67], v[20:21], v[2:5]
	v_cvt_pk_f32_fp8_sdwa v[66:67], v22 src0_sel:WORD_1
	v_perm_b32 v48, v49, v48, s33
	v_perm_b32 v49, v31, v30, s33
	v_mfma_f32_16x16x16_bf16 v[2:5], v[46:47], v[14:15], v[2:5]
	v_cvt_pk_f32_fp8_e32 v[30:31], v32
	v_cvt_pk_f32_fp8_sdwa v[46:47], v32 src0_sel:WORD_1
	v_cvt_pk_f32_fp8_sdwa v[80:81], v13 src0_sel:WORD_1
	v_mfma_f32_16x16x16_bf16 v[2:5], v[48:49], v[16:17], v[2:5]
	v_cvt_pk_f32_fp8_e32 v[48:49], v33
	v_perm_b32 v30, v31, v30, s33
	v_perm_b32 v31, v47, v46, s33
	v_cvt_pk_f32_fp8_sdwa v[32:33], v33 src0_sel:WORD_1
	v_perm_b32 v46, v49, v48, s33
	v_cvt_pk_f32_fp8_e32 v[48:49], v22
	v_mfma_f32_16x16x16_bf16 v[2:5], v[30:31], v[6:7], v[2:5]
	v_perm_b32 v47, v33, v32, s33
	v_perm_b32 v30, v49, v48, s33
	v_perm_b32 v31, v67, v66, s33
	v_cvt_pk_f32_fp8_e32 v[32:33], v23
	v_cvt_pk_f32_fp8_sdwa v[22:23], v23 src0_sel:WORD_1
	v_mfma_f32_16x16x16_bf16 v[46:49], v[46:47], v[8:9], v[2:5]
	v_lshl_add_u64 v[66:67], v[52:53], 0, v[50:51]
	v_perm_b32 v32, v33, v32, s33
	v_perm_b32 v33, v23, v22, s33
	v_mfma_f32_16x16x16_bf16 v[2:5], v[30:31], v[26:27], 0
	v_cvt_pk_f32_fp8_e32 v[22:23], v24
	v_cvt_pk_f32_fp8_sdwa v[30:31], v24 src0_sel:WORD_1
	s_waitcnt vmcnt(3)
	v_mad_i64_i32 v[68:69], s[6:7], v58, s45, v[66:67]
	v_perm_b32 v22, v23, v22, s33
	v_perm_b32 v23, v31, v30, s33
	v_cvt_pk_f32_fp8_e32 v[30:31], v25
	v_cvt_pk_f32_fp8_sdwa v[24:25], v25 src0_sel:WORD_1
	v_mfma_f32_16x16x16_bf16 v[2:5], v[32:33], v[28:29], v[2:5]
	s_waitcnt vmcnt(2)
	v_mad_i64_i32 v[70:71], s[6:7], v64, s45, v[66:67]
	v_perm_b32 v72, v31, v30, s33
	v_perm_b32 v73, v25, v24, s33
	v_mfma_f32_16x16x16_bf16 v[2:5], v[22:23], v[18:19], v[2:5]
	global_load_dwordx4 v[30:33], v[68:69], off
	global_load_dwordx4 v[22:25], v[70:71], off
	v_cvt_pk_f32_fp8_e32 v[68:69], v10
	s_waitcnt vmcnt(3)
	v_mad_i64_i32 v[70:71], s[6:7], v55, s45, v[66:67]
	v_mfma_f32_16x16x16_bf16 v[2:5], v[72:73], v[20:21], v[2:5]
	v_cvt_pk_f32_fp8_sdwa v[72:73], v10 src0_sel:WORD_1
	v_cvt_pk_f32_fp8_sdwa v[10:11], v11 src0_sel:WORD_1
	v_perm_b32 v68, v69, v68, s33
	s_waitcnt vmcnt(2)
	v_mad_i64_i32 v[76:77], s[6:7], v62, s45, v[66:67]
	v_perm_b32 v69, v73, v72, s33
	v_perm_b32 v72, v75, v74, s33
	v_perm_b32 v73, v11, v10, s33
	v_cvt_pk_f32_fp8_e32 v[10:11], v12
	v_cvt_pk_f32_fp8_sdwa v[74:75], v12 src0_sel:WORD_1
	v_mfma_f32_16x16x16_bf16 v[66:69], v[68:69], v[14:15], v[2:5]
	v_or_b32_e32 v50, 0x800, v50
	v_perm_b32 v78, v11, v10, s33
	v_perm_b32 v79, v75, v74, s33
	v_cvt_pk_f32_fp8_e32 v[74:75], v13
	v_mfma_f32_16x16x16_bf16 v[66:69], v[72:73], v[16:17], v[66:69]
	v_lshl_add_u64 v[50:51], v[52:53], 0, v[50:51]
	v_perm_b32 v53, v81, v80, s33
	v_perm_b32 v52, v75, v74, s33
	global_load_dwordx4 v[10:13], v[70:71], off
	global_load_dwordx4 v[2:5], v[76:77], off
	v_mfma_f32_16x16x16_bf16 v[66:69], v[78:79], v[6:7], v[66:69]
	v_cvt_pk_f32_fp8_e32 v[70:71], v38
	v_cvt_pk_f32_fp8_sdwa v[72:73], v38 src0_sel:WORD_1
	v_cvt_pk_f32_fp8_e32 v[74:75], v40
	v_mfma_f32_16x16x16_bf16 v[66:69], v[52:53], v[8:9], v[66:69]
	v_cvt_pk_f32_fp8_e32 v[52:53], v39
	v_perm_b32 v70, v71, v70, s33
	v_perm_b32 v71, v73, v72, s33
	v_cvt_pk_f32_fp8_sdwa v[38:39], v39 src0_sel:WORD_1
	v_perm_b32 v52, v53, v52, s33
	v_cvt_pk_f32_fp8_sdwa v[76:77], v40 src0_sel:WORD_1
	v_mfma_f32_16x16x16_bf16 v[70:73], v[70:71], v[26:27], 0
	v_perm_b32 v53, v39, v38, s33
	v_perm_b32 v38, v75, v74, s33
	;; [unrolled: 1-line block ×3, first 2 shown]
	v_cvt_pk_f32_fp8_e32 v[74:75], v41
	v_cvt_pk_f32_fp8_sdwa v[40:41], v41 src0_sel:WORD_1
	v_mfma_f32_16x16x16_bf16 v[26:29], v[52:53], v[28:29], v[70:73]
	s_load_dword s6, s[40:41], 0x0
	v_mov_b32_e32 v52, s4
	s_mov_b32 s40, 0xff7fffff
	v_perm_b32 v70, v75, v74, s33
	v_perm_b32 v71, v41, v40, s33
	v_mfma_f32_16x16x16_bf16 v[26:29], v[38:39], v[18:19], v[26:29]
	v_cvt_pk_f32_fp8_e32 v[40:41], v35
	s_waitcnt lgkmcnt(0)
	v_mul_f32_e32 v72, s6, v52
	v_pk_mul_f32 v[52:53], v[72:73], v[42:43] op_sel_hi:[0,1]
	v_mfma_f32_16x16x16_bf16 v[18:21], v[70:71], v[20:21], v[26:29]
	v_pk_mul_f32 v[38:39], v[72:73], v[44:45] op_sel_hi:[0,1]
	v_mad_i64_i32 v[70:71], s[6:7], v58, s45, v[50:51]
	s_nop 0
	v_cvt_pk_f32_fp8_e32 v[26:27], v34
	v_cvt_pk_f32_fp8_sdwa v[28:29], v34 src0_sel:WORD_1
	v_cvt_pk_f32_fp8_sdwa v[34:35], v35 src0_sel:WORD_1
	v_pk_mul_f32 v[58:59], v[72:73], v[46:47] op_sel_hi:[0,1]
	v_perm_b32 v26, v27, v26, s33
	v_perm_b32 v27, v29, v28, s33
	;; [unrolled: 1-line block ×4, first 2 shown]
	v_cvt_pk_f32_fp8_e32 v[34:35], v36
	v_cvt_pk_f32_fp8_sdwa v[40:41], v36 src0_sel:WORD_1
	v_mfma_f32_16x16x16_bf16 v[18:21], v[26:27], v[14:15], v[18:21]
	v_pk_mul_f32 v[48:49], v[72:73], v[48:49] op_sel_hi:[0,1]
	v_perm_b32 v26, v35, v34, s33
	v_perm_b32 v27, v41, v40, s33
	v_cvt_pk_f32_fp8_e32 v[34:35], v37
	v_cvt_pk_f32_fp8_sdwa v[36:37], v37 src0_sel:WORD_1
	v_mfma_f32_16x16x16_bf16 v[14:17], v[28:29], v[16:17], v[18:21]
	v_pk_mul_f32 v[40:41], v[72:73], v[66:67] op_sel_hi:[0,1]
	v_pk_mul_f32 v[44:45], v[72:73], v[68:69] op_sel_hi:[0,1]
	s_nop 0
	v_perm_b32 v18, v35, v34, s33
	v_perm_b32 v19, v37, v36, s33
	v_mfma_f32_16x16x16_bf16 v[14:17], v[26:27], v[6:7], v[14:17]
	s_nop 0
	v_mfma_f32_16x16x16_bf16 v[6:9], v[18:19], v[8:9], v[14:17]
	s_nop 6
	v_pk_mul_f32 v[42:43], v[72:73], v[6:7] op_sel_hi:[0,1]
	v_and_b32_e32 v6, 0xc0, v0
	v_add_u32_e32 v6, s18, v6
	v_lshl_or_b32 v6, v60, 2, v6
	v_pk_mul_f32 v[34:35], v[72:73], v[8:9] op_sel_hi:[0,1]
	v_or_b32_e32 v9, 1, v6
	v_mov_b32_e32 v7, 0xff7fffff
	v_cmp_gt_i32_e64 s[24:25], s5, v6
	v_cmp_gt_i32_e64 s[26:27], s5, v9
	v_or_b32_e32 v14, 3, v6
	v_cndmask_b32_e64 v8, v7, v52, s[24:25]
	v_cndmask_b32_e64 v9, v7, v53, s[26:27]
	v_max3_f32 v8, v8, s40, v9
	v_or_b32_e32 v9, 2, v6
	v_cmp_gt_i32_e64 s[28:29], s5, v9
	v_cmp_gt_i32_e64 s[30:31], s5, v14
	s_nop 0
	v_cndmask_b32_e64 v9, v7, v38, s[28:29]
	v_cndmask_b32_e64 v14, v7, v39, s[30:31]
	v_max3_f32 v8, v8, v9, v14
	v_or_b32_e32 v9, 16, v6
	v_or_b32_e32 v14, 17, v6
	v_cmp_gt_i32_e64 s[34:35], s5, v9
	v_cmp_gt_i32_e64 s[36:37], s5, v14
	s_nop 0
	v_cndmask_b32_e64 v9, v7, v58, s[34:35]
	v_cndmask_b32_e64 v14, v7, v59, s[36:37]
	v_max3_f32 v8, v8, v9, v14
	v_or_b32_e32 v9, 18, v6
	;; [unrolled: 8-line block ×6, first 2 shown]
	v_or_b32_e32 v6, 51, v6
	v_cmp_gt_i32_e32 vcc, s5, v9
	v_cmp_gt_i32_e64 s[4:5], s5, v6
	s_nop 0
	v_cndmask_b32_e32 v9, v7, v34, vcc
	v_cndmask_b32_e64 v6, v7, v35, s[4:5]
	v_max3_f32 v8, v8, v9, v6
	v_mbcnt_lo_u32_b32 v6, -1, 0
	v_mbcnt_hi_u32_b32 v9, -1, v6
	v_and_b32_e32 v6, 64, v9
	v_add_u32_e32 v14, 64, v6
	v_xor_b32_e32 v6, 32, v9
	v_cmp_lt_i32_e64 s[38:39], v6, v14
	s_nop 1
	v_cndmask_b32_e64 v6, v9, v6, s[38:39]
	v_lshlrev_b32_e32 v65, 2, v6
	ds_bpermute_b32 v15, v65, v8
	v_mad_i64_i32 v[6:7], s[38:39], v64, s45, v[50:51]
	global_load_dwordx4 v[26:29], v[70:71], off
	global_load_dwordx4 v[18:21], v[6:7], off
	s_waitcnt lgkmcnt(0)
	v_max_f32_e32 v6, v15, v15
	v_max_f32_e32 v15, v8, v6
	v_xor_b32_e32 v6, 16, v9
	v_cmp_lt_i32_e64 s[38:39], v6, v14
	s_nop 1
	v_cndmask_b32_e64 v6, v9, v6, s[38:39]
	v_lshlrev_b32_e32 v64, 2, v6
	ds_bpermute_b32 v14, v64, v15
	v_mad_i64_i32 v[6:7], s[38:39], v55, s45, v[50:51]
	v_mad_i64_i32 v[8:9], s[38:39], v62, s45, v[50:51]
	s_waitcnt lgkmcnt(0)
	v_max_f32_e32 v14, v14, v14
	v_max_f32_e32 v50, v15, v14
	v_sub_f32_e32 v14, v52, v50
	v_mul_f32_e32 v14, 0x3fb8aa3b, v14
	v_exp_f32_e32 v36, v14
	v_sub_f32_e32 v14, v53, v50
	v_mul_f32_e32 v14, 0x3fb8aa3b, v14
	v_exp_f32_e32 v37, v14
	global_load_dwordx4 v[14:17], v[6:7], off
	s_nop 0
	global_load_dwordx4 v[6:9], v[8:9], off
	v_sub_f32_e32 v38, v38, v50
	v_mul_f32_e32 v38, 0x3fb8aa3b, v38
	v_sub_f32_e32 v39, v39, v50
	v_exp_f32_e32 v38, v38
	v_mul_f32_e32 v39, 0x3fb8aa3b, v39
	v_exp_f32_e32 v39, v39
	v_cndmask_b32_e64 v36, 0, v36, s[24:25]
	v_add_f32_e32 v46, 0, v36
	v_cndmask_b32_e64 v37, 0, v37, s[26:27]
	v_add_f32_e32 v47, v46, v37
	v_cndmask_b32_e64 v46, 0, v38, s[28:29]
	v_add_f32_e32 v38, v47, v46
	v_cndmask_b32_e64 v47, 0, v39, s[30:31]
	v_sub_f32_e32 v39, v58, v50
	v_mul_f32_e32 v39, 0x3fb8aa3b, v39
	v_sub_f32_e32 v51, v59, v50
	v_exp_f32_e32 v39, v39
	v_mul_f32_e32 v51, 0x3fb8aa3b, v51
	v_sub_f32_e32 v48, v48, v50
	v_exp_f32_e32 v51, v51
	;; [unrolled: 3-line block ×4, first 2 shown]
	v_mul_f32_e32 v40, 0x3fb8aa3b, v40
	v_sub_f32_e32 v41, v41, v50
	v_add_f32_e32 v52, v38, v47
	v_cndmask_b32_e64 v38, 0, v39, s[34:35]
	v_exp_f32_e32 v40, v40
	v_mul_f32_e32 v41, 0x3fb8aa3b, v41
	v_sub_f32_e32 v44, v44, v50
	v_add_f32_e32 v52, v52, v38
	v_cndmask_b32_e64 v39, 0, v51, s[36:37]
	v_exp_f32_e32 v41, v41
	;; [unrolled: 5-line block ×7, first 2 shown]
	v_mul_f32_e32 v35, 0x3fb8aa3b, v35
	v_add_f32_e32 v51, v51, v44
	v_cndmask_b32_e64 v45, 0, v45, s[12:13]
	v_exp_f32_e32 v35, v35
	v_add_f32_e32 v51, v51, v45
	v_cndmask_b32_e64 v42, 0, v42, s[6:7]
	v_add_f32_e32 v51, v51, v42
	v_cndmask_b32_e64 v43, 0, v43, s[8:9]
	v_add_f32_e32 v51, v51, v43
	v_cndmask_b32_e32 v34, 0, v34, vcc
	v_add_f32_e32 v51, v51, v34
	v_cndmask_b32_e64 v35, 0, v35, s[4:5]
	v_add_f32_e32 v51, v51, v35
	ds_bpermute_b32 v52, v65, v51
	v_cmp_gt_u32_e32 vcc, 16, v61
	s_waitcnt lgkmcnt(0)
	s_barrier
	v_add_f32_e32 v51, v51, v52
	ds_bpermute_b32 v52, v64, v51
	s_and_saveexec_b64 s[4:5], vcc
	s_cbranch_execz .LBB1358_13
; %bb.12:
	s_waitcnt lgkmcnt(0)
	v_add_f32_e32 v51, v51, v52
	v_lshlrev_b32_e32 v52, 2, v63
	ds_write2st64_b32 v52, v50, v51 offset1:1
.LBB1358_13:
	s_or_b64 exec, exec, s[4:5]
	v_lshlrev_b32_e32 v51, 2, v56
	s_load_dword s6, s[0:1], 0x94
	s_waitcnt lgkmcnt(0)
	s_barrier
	ds_read2_b32 v[52:53], v51 offset1:16
	ds_read2_b32 v[58:59], v51 offset0:32 offset1:48
	ds_read2_b32 v[62:63], v51 offset0:64 offset1:80
	s_movk_i32 s8, 0x7fff
	s_mul_i32 s7, s23, 11
	s_waitcnt lgkmcnt(2)
	v_max3_f32 v50, v52, s40, v53
	s_waitcnt lgkmcnt(1)
	v_max3_f32 v50, v50, v58, v59
	v_sub_f32_e32 v52, v52, v50
	v_mul_f32_e32 v52, 0x3fb8aa3b, v52
	v_exp_f32_e32 v55, v52
	v_sub_f32_e32 v52, v53, v50
	v_mul_f32_e32 v52, 0x3fb8aa3b, v52
	v_exp_f32_e32 v61, v52
	;; [unrolled: 3-line block ×3, first 2 shown]
	ds_read2_b32 v[52:53], v51 offset0:96 offset1:112
	v_sub_f32_e32 v51, v59, v50
	v_mul_f32_e32 v51, 0x3fb8aa3b, v51
	v_exp_f32_e32 v59, v51
	s_waitcnt lgkmcnt(1)
	v_fma_f32 v51, v55, v62, 0
	v_fmac_f32_e32 v51, v61, v63
	s_waitcnt lgkmcnt(0)
	v_fmac_f32_e32 v51, v58, v52
	v_fmac_f32_e32 v51, v59, v53
	v_add_f32_e32 v52, 0x358637bd, v51
	v_div_scale_f32 v53, s[4:5], v52, v52, 1.0
	v_rcp_f32_e32 v62, v53
	s_barrier
	v_fma_f32 v63, -v53, v62, 1.0
	v_fmac_f32_e32 v62, v63, v62
	v_div_scale_f32 v63, vcc, 1.0, v52, 1.0
	v_mul_f32_e32 v64, v63, v62
	v_fma_f32 v65, -v53, v64, v63
	v_fmac_f32_e32 v64, v65, v62
	v_fma_f32 v53, -v53, v64, v63
	v_div_fmas_f32 v53, v53, v62, v64
	v_cmp_eq_u32_e32 vcc, 1, v57
	v_div_fixup_f32 v52, v53, v52, 1.0
	s_nop 0
	v_cndmask_b32_e32 v53, v55, v61, vcc
	v_cmp_eq_u32_e32 vcc, 2, v57
	s_nop 1
	v_cndmask_b32_e32 v53, v53, v58, vcc
	v_cmp_eq_u32_e32 vcc, 3, v57
	s_nop 1
	v_cndmask_b32_e32 v53, v53, v59, vcc
	v_mul_f32_e32 v52, v53, v52
	v_pk_mul_f32 v[36:37], v[52:53], v[36:37] op_sel_hi:[0,1]
	v_pk_mul_f32 v[46:47], v[52:53], v[46:47] op_sel_hi:[0,1]
	v_bfe_u32 v53, v37, 16, 1
	v_bfe_u32 v55, v36, 16, 1
	v_add3_u32 v36, v36, v55, s8
	v_add3_u32 v37, v37, v53, s8
	v_perm_b32 v58, v37, v36, s33
	v_bfe_u32 v36, v47, 16, 1
	v_bfe_u32 v37, v46, 16, 1
	v_add3_u32 v37, v46, v37, s8
	v_add3_u32 v36, v47, v36, s8
	v_perm_b32 v59, v36, v37, s33
	v_lshlrev_b32_e32 v37, 3, v60
	v_lshlrev_b32_e32 v36, 5, v56
	;; [unrolled: 1-line block ×3, first 2 shown]
	v_pk_mul_f32 v[38:39], v[52:53], v[38:39] op_sel_hi:[0,1]
	v_or3_b32 v55, v46, v36, v37
	v_pk_mul_f32 v[46:47], v[52:53], v[48:49] op_sel_hi:[0,1]
	v_bfe_u32 v37, v39, 16, 1
	v_bfe_u32 v48, v38, 16, 1
	v_add3_u32 v38, v38, v48, s8
	v_add3_u32 v37, v39, v37, s8
	v_perm_b32 v38, v37, v38, s33
	v_bfe_u32 v37, v47, 16, 1
	v_bfe_u32 v39, v46, 16, 1
	v_add3_u32 v39, v46, v39, s8
	v_add3_u32 v37, v47, v37, s8
	v_perm_b32 v39, v37, v39, s33
	v_pk_mul_f32 v[40:41], v[52:53], v[40:41] op_sel_hi:[0,1]
	ds_write2st64_b64 v55, v[58:59], v[38:39] offset1:1
	v_pk_mul_f32 v[38:39], v[52:53], v[44:45] op_sel_hi:[0,1]
	v_bfe_u32 v37, v41, 16, 1
	v_bfe_u32 v44, v40, 16, 1
	v_add3_u32 v40, v40, v44, s8
	v_add3_u32 v37, v41, v37, s8
	v_perm_b32 v40, v37, v40, s33
	v_bfe_u32 v37, v39, 16, 1
	v_bfe_u32 v41, v38, 16, 1
	v_add3_u32 v38, v38, v41, s8
	v_add3_u32 v37, v39, v37, s8
	v_perm_b32 v41, v37, v38, s33
	v_pk_mul_f32 v[38:39], v[52:53], v[42:43] op_sel_hi:[0,1]
	v_bfe_u32 v37, v39, 16, 1
	v_bfe_u32 v42, v38, 16, 1
	v_pk_mul_f32 v[34:35], v[52:53], v[34:35] op_sel_hi:[0,1]
	v_add3_u32 v38, v38, v42, s8
	v_add3_u32 v37, v39, v37, s8
	v_perm_b32 v38, v37, v38, s33
	v_bfe_u32 v37, v35, 16, 1
	v_bfe_u32 v39, v34, 16, 1
	v_add3_u32 v34, v34, v39, s8
	v_add3_u32 v35, v35, v37, s8
	v_perm_b32 v39, v35, v34, s33
	v_cmp_gt_u32_e32 vcc, 11, v0
	ds_write2st64_b64 v55, v[40:41], v[38:39] offset0:2 offset1:3
	s_and_saveexec_b64 s[4:5], vcc
	s_cbranch_execz .LBB1358_15
; %bb.14:
	s_mov_b32 s49, 0
	v_mov_b32_e32 v57, 0
	v_lshl_add_u64 v[34:35], s[48:49], 0, v[56:57]
	v_mov_b32_e32 v37, s7
	v_mad_u64_u32 v[34:35], s[10:11], s2, v37, v[34:35]
	s_mul_i32 s3, s3, s7
	v_mov_b32_e32 v38, s22
	v_mov_b32_e32 v39, v57
	s_load_dwordx4 s[12:15], s[0:1], 0x58
	v_add_u32_e32 v37, s3, v35
	v_mad_u64_u32 v[34:35], s[10:11], v34, s6, v[38:39]
	v_mov_b32_e32 v38, v35
	v_mad_u64_u32 v[38:39], s[10:11], v37, s6, v[38:39]
	v_mov_b32_e32 v35, v38
	v_lshlrev_b64 v[34:35], 2, v[34:35]
	s_waitcnt lgkmcnt(0)
	v_lshl_add_u64 v[38:39], s[14:15], 0, v[34:35]
	v_lshl_add_u64 v[34:35], s[12:13], 0, v[34:35]
	global_store_dword v[38:39], v50, off
	global_store_dword v[34:35], v51, off
.LBB1358_15:
	s_or_b64 exec, exec, s[4:5]
	v_lshl_or_b32 v50, v60, 9, v36
	s_waitcnt vmcnt(7)
	v_cvt_pk_f32_fp8_e32 v[34:35], v30
	v_cvt_pk_f32_fp8_sdwa v[36:37], v30 src0_sel:WORD_1
	s_mov_b32 s5, 0x7060302
	s_waitcnt lgkmcnt(0)
	s_barrier
	v_cvt_pk_f32_fp8_e32 v[38:39], v31
	v_perm_b32 v30, v35, v34, s5
	v_cvt_pk_f32_fp8_sdwa v[40:41], v31 src0_sel:WORD_1
	v_perm_b32 v31, v37, v36, s5
	ds_read_b128 v[34:37], v50
	v_perm_b32 v46, v39, v38, s5
	v_perm_b32 v47, v41, v40, s5
	ds_read_b128 v[38:41], v50 offset:16
	v_cvt_pk_f32_fp8_e32 v[48:49], v32
	v_cvt_pk_f32_fp8_sdwa v[52:53], v32 src0_sel:WORD_1
	s_waitcnt lgkmcnt(1)
	v_mfma_f32_16x16x16_bf16 v[42:45], v[30:31], v[34:35], 0
	s_waitcnt vmcnt(6)
	v_cvt_pk_f32_fp8_e32 v[58:59], v24
	v_perm_b32 v30, v49, v48, s5
	v_perm_b32 v31, v53, v52, s5
	v_cvt_pk_f32_fp8_e32 v[48:49], v33
	v_mfma_f32_16x16x16_bf16 v[42:45], v[46:47], v[36:37], v[42:45]
	v_cvt_pk_f32_fp8_sdwa v[46:47], v33 src0_sel:WORD_1
	v_cvt_pk_f32_fp8_sdwa v[62:63], v24 src0_sel:WORD_1
	v_perm_b32 v48, v49, v48, s5
	s_waitcnt lgkmcnt(0)
	v_mfma_f32_16x16x16_bf16 v[30:33], v[30:31], v[38:39], v[42:45]
	v_perm_b32 v49, v47, v46, s5
	s_waitcnt vmcnt(5)
	v_cvt_pk_f32_fp8_sdwa v[66:67], v12 src0_sel:WORD_1
	s_waitcnt vmcnt(4)
	v_cvt_pk_f32_fp8_sdwa v[68:69], v4 src0_sel:WORD_1
	v_cvt_pk_f32_fp8_e32 v[42:43], v22
	v_mfma_f32_16x16x16_bf16 v[46:49], v[48:49], v[40:41], v[30:33]
	s_load_dword s4, s[42:43], 0x0
	s_waitcnt vmcnt(3)
	v_cvt_pk_f32_fp8_sdwa v[70:71], v28 src0_sel:WORD_1
	v_cvt_pk_f32_fp8_sdwa v[30:31], v22 src0_sel:WORD_1
	v_cvt_pk_f32_fp8_e32 v[32:33], v23
	v_perm_b32 v22, v43, v42, s5
	v_cvt_pk_f32_fp8_sdwa v[42:43], v23 src0_sel:WORD_1
	v_perm_b32 v23, v31, v30, s5
	v_perm_b32 v52, v33, v32, s5
	ds_read_b128 v[30:33], v50 offset:2048
	v_perm_b32 v53, v43, v42, s5
	ds_read_b128 v[42:45], v50 offset:2064
	s_waitcnt lgkmcnt(0)
	v_mfma_f32_16x16x16_bf16 v[46:49], v[22:23], v[30:31], v[46:49]
	v_perm_b32 v22, v59, v58, s5
	v_perm_b32 v23, v63, v62, s5
	v_cvt_pk_f32_fp8_e32 v[58:59], v25
	v_mfma_f32_16x16x16_bf16 v[46:49], v[52:53], v[32:33], v[46:49]
	v_cvt_pk_f32_fp8_sdwa v[52:53], v25 src0_sel:WORD_1
	s_mov_b32 s3, 0
	v_perm_b32 v58, v59, v58, s5
	v_mfma_f32_16x16x16_bf16 v[22:25], v[22:23], v[42:43], v[46:49]
	v_perm_b32 v59, v53, v52, s5
	v_cmp_gt_u32_e32 vcc, 64, v0
	s_nop 0
	v_cvt_pk_f32_fp8_e32 v[46:47], v10
	v_mfma_f32_16x16x16_bf16 v[62:65], v[58:59], v[44:45], v[22:25]
	v_cvt_pk_f32_fp8_e32 v[58:59], v12
	s_nop 1
	v_cvt_pk_f32_fp8_sdwa v[22:23], v10 src0_sel:WORD_1
	v_cvt_pk_f32_fp8_e32 v[24:25], v11
	v_perm_b32 v10, v47, v46, s5
	v_cvt_pk_f32_fp8_sdwa v[46:47], v11 src0_sel:WORD_1
	v_perm_b32 v11, v23, v22, s5
	v_perm_b32 v52, v25, v24, s5
	ds_read_b128 v[22:25], v50 offset:4096
	v_perm_b32 v53, v47, v46, s5
	ds_read_b128 v[46:49], v50 offset:4112
	s_waitcnt lgkmcnt(1)
	v_mfma_f32_16x16x16_bf16 v[62:65], v[10:11], v[22:23], v[62:65]
	v_perm_b32 v10, v59, v58, s5
	v_perm_b32 v11, v67, v66, s5
	v_cvt_pk_f32_fp8_e32 v[58:59], v13
	v_mfma_f32_16x16x16_bf16 v[62:65], v[52:53], v[24:25], v[62:65]
	v_cvt_pk_f32_fp8_sdwa v[52:53], v13 src0_sel:WORD_1
	v_cvt_pk_f32_fp8_e32 v[66:67], v4
	v_perm_b32 v58, v59, v58, s5
	s_waitcnt lgkmcnt(0)
	v_mfma_f32_16x16x16_bf16 v[10:13], v[10:11], v[46:47], v[62:65]
	v_perm_b32 v59, v53, v52, s5
	v_cvt_pk_f32_fp8_e32 v[52:53], v2
	s_nop 0
	v_mfma_f32_16x16x16_bf16 v[62:65], v[58:59], v[48:49], v[10:13]
	s_nop 2
	v_cvt_pk_f32_fp8_sdwa v[10:11], v2 src0_sel:WORD_1
	v_cvt_pk_f32_fp8_e32 v[12:13], v3
	v_perm_b32 v2, v53, v52, s5
	v_cvt_pk_f32_fp8_sdwa v[52:53], v3 src0_sel:WORD_1
	v_perm_b32 v3, v11, v10, s5
	v_perm_b32 v58, v13, v12, s5
	ds_read_b128 v[10:13], v50 offset:6144
	v_perm_b32 v59, v53, v52, s5
	s_waitcnt lgkmcnt(0)
	v_mfma_f32_16x16x16_bf16 v[62:65], v[2:3], v[10:11], v[62:65]
	ds_read_b128 v[50:53], v50 offset:6160
	v_perm_b32 v2, v67, v66, s5
	v_perm_b32 v3, v69, v68, s5
	v_cvt_pk_f32_fp8_e32 v[66:67], v5
	v_mfma_f32_16x16x16_bf16 v[62:65], v[58:59], v[12:13], v[62:65]
	v_cvt_pk_f32_fp8_sdwa v[58:59], v5 src0_sel:WORD_1
	v_cvt_pk_f32_fp8_e32 v[68:69], v28
	v_perm_b32 v66, v67, v66, s5
	s_waitcnt lgkmcnt(0)
	v_mfma_f32_16x16x16_bf16 v[2:5], v[2:3], v[50:51], v[62:65]
	v_perm_b32 v67, v59, v58, s5
	v_cvt_pk_f32_fp8_sdwa v[58:59], v26 src0_sel:WORD_1
	s_nop 0
	v_mfma_f32_16x16x16_bf16 v[62:65], v[66:67], v[52:53], v[2:5]
	s_barrier
	s_nop 1
	v_cvt_pk_f32_fp8_e32 v[4:5], v26
	s_nop 2
	v_pk_mul_f32 v[66:67], v[62:63], s[4:5] op_sel_hi:[1,0]
	v_cvt_pk_f32_fp8_e32 v[62:63], v27
	v_perm_b32 v4, v5, v4, s5
	v_perm_b32 v5, v59, v58, s5
	v_cvt_pk_f32_fp8_sdwa v[26:27], v27 src0_sel:WORD_1
	v_perm_b32 v58, v63, v62, s5
	v_pk_mul_f32 v[2:3], v[64:65], s[4:5] op_sel_hi:[1,0]
	v_mfma_f32_16x16x16_bf16 v[62:65], v[4:5], v[34:35], 0
	v_perm_b32 v59, v27, v26, s5
	v_perm_b32 v4, v69, v68, s5
	;; [unrolled: 1-line block ×3, first 2 shown]
	v_cvt_pk_f32_fp8_e32 v[34:35], v29
	v_cvt_pk_f32_fp8_sdwa v[68:69], v29 src0_sel:WORD_1
	v_mfma_f32_16x16x16_bf16 v[26:29], v[58:59], v[36:37], v[62:65]
	s_waitcnt vmcnt(2)
	v_cvt_pk_f32_fp8_sdwa v[36:37], v18 src0_sel:WORD_1
	v_perm_b32 v34, v35, v34, s5
	v_perm_b32 v35, v69, v68, s5
	v_mfma_f32_16x16x16_bf16 v[26:29], v[4:5], v[38:39], v[26:29]
	v_cvt_pk_f32_fp8_e32 v[4:5], v18
	v_cvt_pk_f32_fp8_sdwa v[38:39], v20 src0_sel:WORD_1
	v_bfe_u32 v57, v67, 16, 1
	v_mfma_f32_16x16x16_bf16 v[26:29], v[34:35], v[40:41], v[26:29]
	v_cvt_pk_f32_fp8_e32 v[34:35], v19
	v_perm_b32 v4, v5, v4, s5
	v_perm_b32 v5, v37, v36, s5
	v_cvt_pk_f32_fp8_sdwa v[18:19], v19 src0_sel:WORD_1
	v_perm_b32 v34, v35, v34, s5
	v_cvt_pk_f32_fp8_e32 v[36:37], v20
	v_mfma_f32_16x16x16_bf16 v[26:29], v[4:5], v[30:31], v[26:29]
	v_perm_b32 v35, v19, v18, s5
	v_perm_b32 v4, v37, v36, s5
	;; [unrolled: 1-line block ×3, first 2 shown]
	v_cvt_pk_f32_fp8_e32 v[30:31], v21
	v_cvt_pk_f32_fp8_sdwa v[36:37], v21 src0_sel:WORD_1
	v_mfma_f32_16x16x16_bf16 v[18:21], v[34:35], v[32:33], v[26:29]
	v_bfe_u32 v58, v66, 16, 1
	v_add3_u32 v32, v66, v58, s8
	v_add3_u32 v33, v67, v57, s8
	v_perm_b32 v26, v31, v30, s5
	v_perm_b32 v27, v37, v36, s5
	v_mfma_f32_16x16x16_bf16 v[18:21], v[4:5], v[42:43], v[18:21]
	s_waitcnt vmcnt(1)
	v_cvt_pk_f32_fp8_e32 v[4:5], v14
	v_cvt_pk_f32_fp8_sdwa v[28:29], v14 src0_sel:WORD_1
	v_cvt_pk_f32_fp8_sdwa v[30:31], v16 src0_sel:WORD_1
	v_mfma_f32_16x16x16_bf16 v[18:21], v[26:27], v[44:45], v[18:21]
	v_cvt_pk_f32_fp8_e32 v[26:27], v15
	v_perm_b32 v4, v5, v4, s5
	v_perm_b32 v5, v29, v28, s5
	v_cvt_pk_f32_fp8_sdwa v[14:15], v15 src0_sel:WORD_1
	v_perm_b32 v26, v27, v26, s5
	v_cvt_pk_f32_fp8_e32 v[28:29], v16
	v_mfma_f32_16x16x16_bf16 v[18:21], v[4:5], v[22:23], v[18:21]
	v_perm_b32 v27, v15, v14, s5
	v_perm_b32 v4, v29, v28, s5
	;; [unrolled: 1-line block ×3, first 2 shown]
	v_cvt_pk_f32_fp8_e32 v[22:23], v17
	v_cvt_pk_f32_fp8_sdwa v[28:29], v17 src0_sel:WORD_1
	v_mfma_f32_16x16x16_bf16 v[14:17], v[26:27], v[24:25], v[18:21]
	s_waitcnt vmcnt(0)
	v_cvt_pk_f32_fp8_sdwa v[24:25], v8 src0_sel:WORD_1
	s_nop 0
	v_perm_b32 v20, v23, v22, s5
	v_perm_b32 v21, v29, v28, s5
	v_mfma_f32_16x16x16_bf16 v[14:17], v[4:5], v[46:47], v[14:17]
	v_cvt_pk_f32_fp8_e32 v[4:5], v6
	v_cvt_pk_f32_fp8_sdwa v[22:23], v6 src0_sel:WORD_1
	v_bfe_u32 v19, v3, 16, 1
	v_mfma_f32_16x16x16_bf16 v[14:17], v[20:21], v[48:49], v[14:17]
	v_cvt_pk_f32_fp8_e32 v[20:21], v7
	v_perm_b32 v4, v5, v4, s5
	v_perm_b32 v5, v23, v22, s5
	v_cvt_pk_f32_fp8_sdwa v[6:7], v7 src0_sel:WORD_1
	v_perm_b32 v20, v21, v20, s5
	v_cvt_pk_f32_fp8_e32 v[22:23], v8
	v_add3_u32 v3, v3, v19, s8
	v_perm_b32 v21, v7, v6, s5
	v_mfma_f32_16x16x16_bf16 v[4:7], v[4:5], v[10:11], v[14:17]
	v_perm_b32 v10, v23, v22, s5
	v_perm_b32 v11, v25, v24, s5
	;; [unrolled: 1-line block ×3, first 2 shown]
	v_cvt_pk_f32_fp8_e32 v[14:15], v9
	v_cvt_pk_f32_fp8_sdwa v[8:9], v9 src0_sel:WORD_1
	v_mfma_f32_16x16x16_bf16 v[4:7], v[20:21], v[12:13], v[4:7]
	v_bfe_u32 v16, v2, 16, 1
	v_perm_b32 v12, v15, v14, s5
	v_perm_b32 v13, v9, v8, s5
	v_mfma_f32_16x16x16_bf16 v[4:7], v[10:11], v[50:51], v[4:7]
	v_add3_u32 v2, v2, v16, s8
	v_perm_b32 v19, v3, v2, s5
	v_mfma_f32_16x16x16_bf16 v[2:5], v[12:13], v[52:53], v[4:7]
	s_nop 6
	v_pk_mul_f32 v[2:3], v[2:3], s[4:5] op_sel_hi:[1,0]
	v_pk_mul_f32 v[4:5], v[4:5], s[4:5] op_sel_hi:[1,0]
	v_bfe_u32 v6, v3, 16, 1
	v_bfe_u32 v7, v2, 16, 1
	v_add3_u32 v2, v2, v7, s8
	v_add3_u32 v3, v3, v6, s8
	v_perm_b32 v2, v3, v2, s5
	v_bfe_u32 v3, v5, 16, 1
	v_bfe_u32 v6, v4, 16, 1
	v_add3_u32 v4, v4, v6, s8
	v_add3_u32 v3, v5, v3, s8
	v_perm_b32 v3, v3, v4, s5
	ds_write2st64_b64 v55, v[18:19], v[2:3] offset1:1
	s_waitcnt lgkmcnt(0)
	s_barrier
	s_and_saveexec_b64 s[4:5], vcc
	s_cbranch_execz .LBB1358_18
; %bb.16:
	s_load_dwordx2 s[4:5], s[0:1], 0x68
	s_lshl_b32 s0, s6, 7
	s_mul_i32 s1, s7, s2
	v_lshlrev_b32_e32 v3, 6, v56
	s_mul_hi_u32 s7, s1, s0
	s_mul_i32 s6, s1, s0
	v_lshl_or_b32 v0, v0, 10, v3
	s_lshl_b64 s[6:7], s[6:7], 1
	v_lshlrev_b32_e32 v2, 5, v60
	v_and_b32_e32 v1, 16, v1
	v_and_b32_e32 v0, 0x1a00, v0
	s_waitcnt lgkmcnt(0)
	s_add_u32 s1, s4, s6
	v_or3_b32 v2, v0, v2, v1
	s_addc_u32 s4, s5, s7
	s_lshl_b32 s2, s22, 7
	s_lshl_b64 s[2:3], s[2:3], 1
	ds_read_b128 v[4:7], v2 offset:128
	ds_read_b128 v[8:11], v2
	s_add_u32 s2, s1, s2
	s_addc_u32 s3, s4, s3
	v_mov_b32_e32 v55, 0
	v_add_u32_e32 v3, s48, v60
	v_lshl_add_u64 v[0:1], s[2:3], 0, v[54:55]
	v_mad_u64_u32 v[12:13], s[2:3], v3, s0, 0
	v_lshl_add_u64 v[12:13], v[12:13], 1, v[0:1]
	v_add_u32_e32 v3, 4, v3
	s_waitcnt lgkmcnt(0)
	global_store_dwordx4 v[12:13], v[8:11], off
	v_cmp_ne_u32_e32 vcc, 3, v60
	s_nop 0
	v_mad_u64_u32 v[8:9], s[2:3], v3, s0, 0
	v_lshl_add_u64 v[8:9], v[8:9], 1, v[0:1]
	global_store_dwordx4 v[8:9], v[4:7], off
	s_and_b64 exec, exec, vcc
	s_cbranch_execz .LBB1358_18
; %bb.17:
	ds_read_b128 v[2:5], v2 offset:256
	v_add3_u32 v6, s48, v60, 8
	v_mad_u64_u32 v[6:7], s[0:1], v6, s0, 0
	v_lshl_add_u64 v[0:1], v[6:7], 1, v[0:1]
	s_waitcnt lgkmcnt(0)
	global_store_dwordx4 v[0:1], v[2:5], off
.LBB1358_18:
	s_endpgm
	.section	.rodata,"a",@progbits
	.p2align	6, 0x0
	.amdhsa_kernel _Z39paged_attention_ll4mi_QKV_mfma16_kernelI14__hip_bfloat16hLN4vllm18Fp8KVCacheDataTypeE1EhLi32ELi128ELi256ELb0ELi11EEvPKT_PKT0_S8_ifPKiSA_SA_iPKfiiiPfSD_PS3_PT2_iSC_SC_
		.amdhsa_group_segment_fixed_size 8192
		.amdhsa_private_segment_fixed_size 0
		.amdhsa_kernarg_size 400
		.amdhsa_user_sgpr_count 2
		.amdhsa_user_sgpr_dispatch_ptr 0
		.amdhsa_user_sgpr_queue_ptr 0
		.amdhsa_user_sgpr_kernarg_segment_ptr 1
		.amdhsa_user_sgpr_dispatch_id 0
		.amdhsa_user_sgpr_kernarg_preload_length 0
		.amdhsa_user_sgpr_kernarg_preload_offset 0
		.amdhsa_user_sgpr_private_segment_size 0
		.amdhsa_uses_dynamic_stack 0
		.amdhsa_enable_private_segment 0
		.amdhsa_system_sgpr_workgroup_id_x 1
		.amdhsa_system_sgpr_workgroup_id_y 1
		.amdhsa_system_sgpr_workgroup_id_z 1
		.amdhsa_system_sgpr_workgroup_info 0
		.amdhsa_system_vgpr_workitem_id 0
		.amdhsa_next_free_vgpr 82
		.amdhsa_next_free_sgpr 50
		.amdhsa_accum_offset 84
		.amdhsa_reserve_vcc 1
		.amdhsa_float_round_mode_32 0
		.amdhsa_float_round_mode_16_64 0
		.amdhsa_float_denorm_mode_32 3
		.amdhsa_float_denorm_mode_16_64 3
		.amdhsa_dx10_clamp 1
		.amdhsa_ieee_mode 1
		.amdhsa_fp16_overflow 0
		.amdhsa_tg_split 0
		.amdhsa_exception_fp_ieee_invalid_op 0
		.amdhsa_exception_fp_denorm_src 0
		.amdhsa_exception_fp_ieee_div_zero 0
		.amdhsa_exception_fp_ieee_overflow 0
		.amdhsa_exception_fp_ieee_underflow 0
		.amdhsa_exception_fp_ieee_inexact 0
		.amdhsa_exception_int_div_zero 0
	.end_amdhsa_kernel
	.section	.text._Z39paged_attention_ll4mi_QKV_mfma16_kernelI14__hip_bfloat16hLN4vllm18Fp8KVCacheDataTypeE1EhLi32ELi128ELi256ELb0ELi11EEvPKT_PKT0_S8_ifPKiSA_SA_iPKfiiiPfSD_PS3_PT2_iSC_SC_,"axG",@progbits,_Z39paged_attention_ll4mi_QKV_mfma16_kernelI14__hip_bfloat16hLN4vllm18Fp8KVCacheDataTypeE1EhLi32ELi128ELi256ELb0ELi11EEvPKT_PKT0_S8_ifPKiSA_SA_iPKfiiiPfSD_PS3_PT2_iSC_SC_,comdat
.Lfunc_end1358:
	.size	_Z39paged_attention_ll4mi_QKV_mfma16_kernelI14__hip_bfloat16hLN4vllm18Fp8KVCacheDataTypeE1EhLi32ELi128ELi256ELb0ELi11EEvPKT_PKT0_S8_ifPKiSA_SA_iPKfiiiPfSD_PS3_PT2_iSC_SC_, .Lfunc_end1358-_Z39paged_attention_ll4mi_QKV_mfma16_kernelI14__hip_bfloat16hLN4vllm18Fp8KVCacheDataTypeE1EhLi32ELi128ELi256ELb0ELi11EEvPKT_PKT0_S8_ifPKiSA_SA_iPKfiiiPfSD_PS3_PT2_iSC_SC_
                                        ; -- End function
	.section	.AMDGPU.csdata,"",@progbits
; Kernel info:
; codeLenInByte = 6416
; NumSgprs: 56
; NumVgprs: 82
; NumAgprs: 0
; TotalNumVgprs: 82
; ScratchSize: 0
; MemoryBound: 0
; FloatMode: 240
; IeeeMode: 1
; LDSByteSize: 8192 bytes/workgroup (compile time only)
; SGPRBlocks: 6
; VGPRBlocks: 10
; NumSGPRsForWavesPerEU: 56
; NumVGPRsForWavesPerEU: 82
; AccumOffset: 84
; Occupancy: 5
; WaveLimiterHint : 1
; COMPUTE_PGM_RSRC2:SCRATCH_EN: 0
; COMPUTE_PGM_RSRC2:USER_SGPR: 2
; COMPUTE_PGM_RSRC2:TRAP_HANDLER: 0
; COMPUTE_PGM_RSRC2:TGID_X_EN: 1
; COMPUTE_PGM_RSRC2:TGID_Y_EN: 1
; COMPUTE_PGM_RSRC2:TGID_Z_EN: 1
; COMPUTE_PGM_RSRC2:TIDIG_COMP_CNT: 0
; COMPUTE_PGM_RSRC3_GFX90A:ACCUM_OFFSET: 20
; COMPUTE_PGM_RSRC3_GFX90A:TG_SPLIT: 0
	.section	.text._Z39paged_attention_ll4mi_QKV_mfma16_kernelI14__hip_bfloat16hLN4vllm18Fp8KVCacheDataTypeE1EhLi32ELi128ELi256ELb0ELi12EEvPKT_PKT0_S8_ifPKiSA_SA_iPKfiiiPfSD_PS3_PT2_iSC_SC_,"axG",@progbits,_Z39paged_attention_ll4mi_QKV_mfma16_kernelI14__hip_bfloat16hLN4vllm18Fp8KVCacheDataTypeE1EhLi32ELi128ELi256ELb0ELi12EEvPKT_PKT0_S8_ifPKiSA_SA_iPKfiiiPfSD_PS3_PT2_iSC_SC_,comdat
	.protected	_Z39paged_attention_ll4mi_QKV_mfma16_kernelI14__hip_bfloat16hLN4vllm18Fp8KVCacheDataTypeE1EhLi32ELi128ELi256ELb0ELi12EEvPKT_PKT0_S8_ifPKiSA_SA_iPKfiiiPfSD_PS3_PT2_iSC_SC_ ; -- Begin function _Z39paged_attention_ll4mi_QKV_mfma16_kernelI14__hip_bfloat16hLN4vllm18Fp8KVCacheDataTypeE1EhLi32ELi128ELi256ELb0ELi12EEvPKT_PKT0_S8_ifPKiSA_SA_iPKfiiiPfSD_PS3_PT2_iSC_SC_
	.globl	_Z39paged_attention_ll4mi_QKV_mfma16_kernelI14__hip_bfloat16hLN4vllm18Fp8KVCacheDataTypeE1EhLi32ELi128ELi256ELb0ELi12EEvPKT_PKT0_S8_ifPKiSA_SA_iPKfiiiPfSD_PS3_PT2_iSC_SC_
	.p2align	8
	.type	_Z39paged_attention_ll4mi_QKV_mfma16_kernelI14__hip_bfloat16hLN4vllm18Fp8KVCacheDataTypeE1EhLi32ELi128ELi256ELb0ELi12EEvPKT_PKT0_S8_ifPKiSA_SA_iPKfiiiPfSD_PS3_PT2_iSC_SC_,@function
_Z39paged_attention_ll4mi_QKV_mfma16_kernelI14__hip_bfloat16hLN4vllm18Fp8KVCacheDataTypeE1EhLi32ELi128ELi256ELb0ELi12EEvPKT_PKT0_S8_ifPKiSA_SA_iPKfiiiPfSD_PS3_PT2_iSC_SC_: ; @_Z39paged_attention_ll4mi_QKV_mfma16_kernelI14__hip_bfloat16hLN4vllm18Fp8KVCacheDataTypeE1EhLi32ELi128ELi256ELb0ELi12EEvPKT_PKT0_S8_ifPKiSA_SA_iPKfiiiPfSD_PS3_PT2_iSC_SC_
; %bb.0:
	s_load_dwordx2 s[12:13], s[0:1], 0x30
	s_mov_b32 s22, s3
	s_mov_b64 s[6:7], 0
	s_waitcnt lgkmcnt(0)
	s_cmp_lg_u64 s[12:13], 0
	s_cselect_b64 s[14:15], -1, 0
	s_and_b64 vcc, exec, s[14:15]
	s_cbranch_vccz .LBB1359_7
; %bb.1:
	s_add_i32 s8, s2, 1
	s_mov_b32 s9, 0
	s_lshl_b64 s[10:11], s[8:9], 2
	s_add_u32 s10, s12, s10
	s_mov_b32 s3, s9
	s_addc_u32 s11, s13, s11
	s_lshl_b64 s[8:9], s[2:3], 2
	s_add_u32 s8, s12, s8
	s_addc_u32 s9, s13, s9
	s_load_dword s5, s[10:11], 0x0
	s_load_dword s16, s[8:9], 0x0
	s_waitcnt lgkmcnt(0)
	s_sub_i32 s5, s5, s16
	s_cmp_eq_u32 s5, 1
	s_cselect_b64 s[8:9], -1, 0
	s_andn2_b64 vcc, exec, s[6:7]
	s_cbranch_vccnz .LBB1359_3
.LBB1359_2:
	s_mov_b32 s3, 0
	s_mov_b64 s[8:9], -1
.LBB1359_3:
	s_andn2_b64 vcc, exec, s[8:9]
	s_cbranch_vccnz .LBB1359_17
; %bb.4:
	s_load_dwordx2 s[6:7], s[0:1], 0x28
	s_lshl_b64 s[16:17], s[2:3], 2
	s_waitcnt lgkmcnt(0)
	s_add_u32 s6, s6, s16
	s_addc_u32 s7, s7, s17
	s_load_dword s5, s[6:7], 0x0
	s_lshl_b32 s18, s22, 8
	s_waitcnt lgkmcnt(0)
	s_cmp_ge_i32 s18, s5
	s_cbranch_scc1 .LBB1359_17
; %bb.5:
	s_load_dwordx2 s[6:7], s[0:1], 0x20
	s_load_dword s8, s[0:1], 0x38
	s_add_i32 s9, s5, 31
	s_ashr_i32 s10, s9, 31
	v_and_b32_e32 v1, 0xcf, v0
	s_lshr_b32 s10, s10, 27
	v_add_u32_e32 v1, s18, v1
	s_add_i32 s9, s9, s10
	v_ashrrev_i32_e32 v2, 31, v1
	s_ashr_i32 s19, s9, 5
	v_lshrrev_b32_e32 v8, 27, v2
	s_add_i32 s19, s19, -1
	s_waitcnt lgkmcnt(0)
	s_mul_i32 s8, s2, s8
	s_mov_b32 s9, 0
	v_add_u32_e32 v2, v1, v8
	s_lshl_b64 s[8:9], s[8:9], 2
	v_ashrrev_i32_e32 v2, 5, v2
	v_mov_b32_e32 v9, s19
	v_cmp_gt_i32_e32 vcc, s5, v1
	s_add_u32 s6, s6, s8
	s_addc_u32 s7, s7, s9
	v_cndmask_b32_e32 v2, v9, v2, vcc
	v_ashrrev_i32_e32 v3, 31, v2
	v_lshl_add_u64 v[4:5], v[2:3], 2, s[6:7]
	v_or_b32_e32 v2, 16, v1
	v_add_u32_e32 v3, v2, v8
	v_ashrrev_i32_e32 v3, 5, v3
	v_cmp_gt_i32_e32 vcc, s5, v2
	s_load_dwordx4 s[8:11], s[0:1], 0x8
	s_nop 0
	v_cndmask_b32_e32 v2, v9, v3, vcc
	v_ashrrev_i32_e32 v3, 31, v2
	v_lshl_add_u64 v[6:7], v[2:3], 2, s[6:7]
	v_or_b32_e32 v2, 32, v1
	v_add_u32_e32 v3, v2, v8
	v_ashrrev_i32_e32 v3, 5, v3
	v_cmp_gt_i32_e32 vcc, s5, v2
	v_or_b32_e32 v1, 48, v1
	s_nop 0
	v_cndmask_b32_e32 v2, v9, v3, vcc
	v_ashrrev_i32_e32 v3, 31, v2
	v_lshl_add_u64 v[10:11], v[2:3], 2, s[6:7]
	v_add_u32_e32 v2, v1, v8
	v_ashrrev_i32_e32 v2, 5, v2
	v_cmp_gt_i32_e32 vcc, s5, v1
	s_nop 1
	v_cndmask_b32_e32 v2, v9, v2, vcc
	v_ashrrev_i32_e32 v3, 31, v2
	v_lshl_add_u64 v[12:13], v[2:3], 2, s[6:7]
	global_load_dword v2, v[4:5], off
	global_load_dword v8, v[6:7], off
	;; [unrolled: 1-line block ×4, first 2 shown]
	s_andn2_b64 vcc, exec, s[14:15]
	s_cbranch_vccnz .LBB1359_8
; %bb.6:
	s_add_u32 s12, s12, s16
	s_addc_u32 s13, s13, s17
	s_load_dword s14, s[12:13], 0x0
	s_branch .LBB1359_9
.LBB1359_7:
	s_mov_b64 s[8:9], 0
	s_branch .LBB1359_2
.LBB1359_8:
	s_mov_b32 s14, s2
.LBB1359_9:
	s_load_dwordx4 s[44:47], s[0:1], 0x48
	v_and_b32_e32 v56, 15, v0
	v_lshlrev_b32_e32 v3, 3, v56
	s_movk_i32 s12, 0xc0
	v_lshrrev_b32_e32 v57, 6, v0
	v_and_b32_e32 v61, 63, v0
	v_bfe_u32 v1, v0, 4, 2
	s_mul_i32 s48, s4, 12
	v_cmp_gt_u32_e32 vcc, s12, v0
	v_lshlrev_b32_e32 v54, 1, v3
	v_lshlrev_b32_e32 v60, 4, v0
	s_and_saveexec_b64 s[12:13], vcc
	s_cbranch_execz .LBB1359_11
; %bb.10:
	s_load_dwordx2 s[16:17], s[0:1], 0x0
	s_waitcnt lgkmcnt(0)
	s_ashr_i32 s15, s44, 31
	s_mul_hi_u32 s20, s14, s44
	s_mul_i32 s15, s14, s15
	s_add_i32 s15, s20, s15
	s_mul_i32 s14, s14, s44
	v_lshl_or_b32 v3, v57, 2, v1
	s_lshl_b64 s[14:15], s[14:15], 1
	s_add_u32 s14, s16, s14
	v_add_lshl_u32 v4, v3, s48, 7
	s_addc_u32 s15, s17, s15
	v_ashrrev_i32_e32 v5, 31, v4
	v_lshl_add_u64 v[4:5], v[4:5], 1, s[14:15]
	v_mov_b32_e32 v55, 0
	v_lshl_add_u64 v[4:5], v[4:5], 0, v[54:55]
	global_load_dwordx4 v[4:7], v[4:5], off
	v_lshlrev_b32_e32 v10, 8, v0
	v_lshlrev_b32_e32 v9, 8, v56
	v_and_b32_e32 v10, 0x600, v10
	s_movk_i32 s14, 0x800
	v_and_or_b32 v9, v9, s14, v10
	v_lshlrev_b32_e32 v3, 5, v3
	v_and_b32_e32 v10, 16, v60
	v_or3_b32 v3, v9, v3, v10
	s_waitcnt vmcnt(0)
	ds_write_b128 v3, v[4:7]
.LBB1359_11:
	s_or_b64 exec, exec, s[12:13]
	s_waitcnt lgkmcnt(0)
	s_mul_i32 s12, s4, s46
	s_add_u32 s8, s8, s12
	s_addc_u32 s9, s9, 0
	v_mov_b32_e32 v51, 0
	v_mov_b64_e32 v[12:13], s[8:9]
	v_and_b32_e32 v9, 48, v0
	s_waitcnt vmcnt(3)
	v_mad_i64_i32 v[2:3], s[8:9], v2, s45, v[12:13]
	v_lshlrev_b32_e32 v10, 4, v56
	v_mov_b32_e32 v11, v51
	v_lshlrev_b32_e32 v50, 5, v9
	v_lshl_add_u64 v[2:3], v[2:3], 0, v[10:11]
	v_lshl_add_u64 v[6:7], v[2:3], 0, v[50:51]
	s_load_dword s23, s[0:1], 0x98
	s_load_dwordx4 s[40:43], s[0:1], 0x80
	s_waitcnt lgkmcnt(0)
	s_barrier
	global_load_dwordx4 v[2:5], v[6:7], off
	global_load_dwordx4 v[42:45], v[6:7], off offset:2048
	v_add_u32_e32 v14, -12, v56
	v_cmp_gt_u32_e32 vcc, 12, v56
	s_ashr_i32 s8, s18, 31
	v_or_b32_e32 v24, 0x100, v10
	v_cndmask_b32_e32 v6, v14, v56, vcc
	v_mov_b32_e32 v25, v51
	s_lshr_b32 s13, s8, 27
	s_waitcnt vmcnt(4)
	v_mad_i64_i32 v[30:31], s[8:9], v8, s45, v[12:13]
	v_lshlrev_b32_e32 v6, 5, v6
	v_lshl_add_u64 v[30:31], v[30:31], 0, v[24:25]
	v_lshl_add_u32 v6, v1, 9, v6
	v_lshl_add_u64 v[30:31], v[30:31], 0, v[50:51]
	v_or_b32_e32 v37, s18, v9
	ds_read_b128 v[26:29], v6
	ds_read_b128 v[18:21], v6 offset:16
	ds_read_b128 v[14:17], v6 offset:2048
	;; [unrolled: 1-line block ×3, first 2 shown]
	global_load_dwordx4 v[46:49], v[30:31], off
	s_waitcnt vmcnt(4)
	v_mad_i64_i32 v[32:33], s[8:9], v22, s45, v[12:13]
	v_lshl_add_u64 v[10:11], v[32:33], 0, v[10:11]
	global_load_dwordx4 v[30:33], v[30:31], off offset:2048
	v_or_b32_e32 v38, 64, v37
	v_add_u32_e32 v22, s13, v37
	v_mov_b32_e32 v36, s19
	v_or_b32_e32 v39, 0x80, v37
	s_waitcnt vmcnt(4)
	v_mad_i64_i32 v[12:13], s[8:9], v23, s45, v[12:13]
	v_add_u32_e32 v23, s13, v38
	v_ashrrev_i32_e32 v22, 5, v22
	v_cmp_gt_i32_e32 vcc, s5, v37
	v_or_b32_e32 v40, 0xc0, v37
	v_add_u32_e32 v34, s13, v39
	v_ashrrev_i32_e32 v23, 5, v23
	v_cndmask_b32_e32 v52, v36, v22, vcc
	v_cmp_gt_i32_e32 vcc, s5, v38
	v_add_u32_e32 v35, s13, v40
	v_lshl_add_u64 v[12:13], v[12:13], 0, v[24:25]
	v_ashrrev_i32_e32 v24, 5, v34
	v_cndmask_b32_e32 v58, v36, v23, vcc
	v_cmp_gt_i32_e32 vcc, s5, v39
	v_ashrrev_i32_e32 v25, 5, v35
	v_lshl_add_u64 v[10:11], v[10:11], 0, v[50:51]
	v_lshl_add_u64 v[34:35], v[12:13], 0, v[50:51]
	v_cndmask_b32_e32 v62, v36, v24, vcc
	v_cmp_gt_i32_e32 vcc, s5, v40
	v_ashrrev_i32_e32 v53, 31, v52
	v_ashrrev_i32_e32 v59, 31, v58
	v_cndmask_b32_e32 v64, v36, v25, vcc
	global_load_dwordx4 v[22:25], v[10:11], off
	s_nop 0
	global_load_dwordx4 v[10:13], v[10:11], off offset:2048
	s_nop 0
	global_load_dwordx4 v[38:41], v[34:35], off
	s_nop 0
	global_load_dwordx4 v[34:37], v[34:35], off offset:2048
	v_ashrrev_i32_e32 v63, 31, v62
	v_ashrrev_i32_e32 v65, 31, v64
	v_lshl_add_u64 v[52:53], v[52:53], 2, s[6:7]
	v_lshl_add_u64 v[66:67], v[58:59], 2, s[6:7]
	v_lshl_add_u64 v[62:63], v[62:63], 2, s[6:7]
	v_lshl_add_u64 v[68:69], v[64:65], 2, s[6:7]
	global_load_dword v58, v[52:53], off
	global_load_dword v64, v[66:67], off
	;; [unrolled: 1-line block ×3, first 2 shown]
	s_nop 0
	global_load_dword v62, v[68:69], off
	s_mov_b32 s33, 0x7060302
	s_add_u32 s6, s10, s12
	s_addc_u32 s7, s11, 0
	v_and_b32_e32 v50, 16, v0
	v_lshl_or_b32 v63, v57, 4, v56
	s_load_dword s4, s[0:1], 0x1c
	s_waitcnt vmcnt(11)
	v_cvt_pk_f32_fp8_e32 v[52:53], v2
	v_cvt_pk_f32_fp8_sdwa v[66:67], v2 src0_sel:WORD_1
	v_cvt_pk_f32_fp8_e32 v[68:69], v3
	v_cvt_pk_f32_fp8_sdwa v[2:3], v3 src0_sel:WORD_1
	v_perm_b32 v52, v53, v52, s33
	v_perm_b32 v53, v67, v66, s33
	v_cvt_pk_f32_fp8_e32 v[70:71], v4
	v_cvt_pk_f32_fp8_sdwa v[72:73], v4 src0_sel:WORD_1
	v_perm_b32 v74, v69, v68, s33
	v_perm_b32 v75, v3, v2, s33
	s_waitcnt lgkmcnt(0)
	v_mfma_f32_16x16x16_bf16 v[66:69], v[52:53], v[26:27], 0
	v_cvt_pk_f32_fp8_e32 v[2:3], v5
	v_perm_b32 v52, v71, v70, s33
	v_perm_b32 v53, v73, v72, s33
	v_cvt_pk_f32_fp8_sdwa v[4:5], v5 src0_sel:WORD_1
	v_mfma_f32_16x16x16_bf16 v[66:69], v[74:75], v[28:29], v[66:69]
	v_perm_b32 v70, v3, v2, s33
	s_waitcnt vmcnt(10)
	v_cvt_pk_f32_fp8_e32 v[72:73], v42
	v_cvt_pk_f32_fp8_sdwa v[74:75], v42 src0_sel:WORD_1
	v_perm_b32 v71, v5, v4, s33
	v_mfma_f32_16x16x16_bf16 v[2:5], v[52:53], v[18:19], v[66:69]
	v_perm_b32 v52, v73, v72, s33
	v_perm_b32 v53, v75, v74, s33
	s_waitcnt vmcnt(6)
	v_cvt_pk_f32_fp8_e32 v[74:75], v11
	v_cvt_pk_f32_fp8_e32 v[66:67], v43
	v_cvt_pk_f32_fp8_sdwa v[42:43], v43 src0_sel:WORD_1
	v_mfma_f32_16x16x16_bf16 v[2:5], v[70:71], v[20:21], v[2:5]
	v_cvt_pk_f32_fp8_sdwa v[68:69], v46 src0_sel:WORD_1
	v_perm_b32 v66, v67, v66, s33
	v_perm_b32 v67, v43, v42, s33
	v_mfma_f32_16x16x16_bf16 v[2:5], v[52:53], v[14:15], v[2:5]
	v_cvt_pk_f32_fp8_e32 v[42:43], v44
	v_cvt_pk_f32_fp8_sdwa v[52:53], v44 src0_sel:WORD_1
	v_cvt_pk_f32_fp8_sdwa v[70:71], v30 src0_sel:WORD_1
	v_mfma_f32_16x16x16_bf16 v[2:5], v[66:67], v[16:17], v[2:5]
	v_cvt_pk_f32_fp8_e32 v[66:67], v45
	v_perm_b32 v42, v43, v42, s33
	v_perm_b32 v43, v53, v52, s33
	v_cvt_pk_f32_fp8_sdwa v[44:45], v45 src0_sel:WORD_1
	v_perm_b32 v52, v67, v66, s33
	v_cvt_pk_f32_fp8_e32 v[66:67], v46
	v_mfma_f32_16x16x16_bf16 v[2:5], v[42:43], v[6:7], v[2:5]
	v_perm_b32 v53, v45, v44, s33
	v_perm_b32 v66, v67, v66, s33
	;; [unrolled: 1-line block ×3, first 2 shown]
	v_cvt_pk_f32_fp8_e32 v[68:69], v47
	v_cvt_pk_f32_fp8_sdwa v[46:47], v47 src0_sel:WORD_1
	v_mfma_f32_16x16x16_bf16 v[42:45], v[52:53], v[8:9], v[2:5]
	v_lshl_add_u64 v[52:53], s[6:7], 0, v[50:51]
	v_perm_b32 v68, v69, v68, s33
	v_perm_b32 v69, v47, v46, s33
	v_mfma_f32_16x16x16_bf16 v[2:5], v[66:67], v[26:27], 0
	v_cvt_pk_f32_fp8_e32 v[46:47], v48
	v_cvt_pk_f32_fp8_sdwa v[66:67], v48 src0_sel:WORD_1
	v_lshlrev_b32_e32 v50, 5, v63
	v_mfma_f32_16x16x16_bf16 v[2:5], v[68:69], v[28:29], v[2:5]
	v_cvt_pk_f32_fp8_e32 v[68:69], v49
	v_perm_b32 v46, v47, v46, s33
	v_perm_b32 v47, v67, v66, s33
	v_cvt_pk_f32_fp8_sdwa v[48:49], v49 src0_sel:WORD_1
	v_perm_b32 v66, v69, v68, s33
	v_cvt_pk_f32_fp8_e32 v[68:69], v30
	v_mfma_f32_16x16x16_bf16 v[2:5], v[46:47], v[18:19], v[2:5]
	v_perm_b32 v67, v49, v48, s33
	v_perm_b32 v46, v69, v68, s33
	v_perm_b32 v47, v71, v70, s33
	v_cvt_pk_f32_fp8_e32 v[48:49], v31
	v_cvt_pk_f32_fp8_sdwa v[30:31], v31 src0_sel:WORD_1
	v_mfma_f32_16x16x16_bf16 v[2:5], v[66:67], v[20:21], v[2:5]
	v_cvt_pk_f32_fp8_sdwa v[66:67], v22 src0_sel:WORD_1
	v_perm_b32 v48, v49, v48, s33
	v_perm_b32 v49, v31, v30, s33
	v_mfma_f32_16x16x16_bf16 v[2:5], v[46:47], v[14:15], v[2:5]
	v_cvt_pk_f32_fp8_e32 v[30:31], v32
	v_cvt_pk_f32_fp8_sdwa v[46:47], v32 src0_sel:WORD_1
	v_cvt_pk_f32_fp8_sdwa v[80:81], v13 src0_sel:WORD_1
	v_mfma_f32_16x16x16_bf16 v[2:5], v[48:49], v[16:17], v[2:5]
	v_cvt_pk_f32_fp8_e32 v[48:49], v33
	v_perm_b32 v30, v31, v30, s33
	v_perm_b32 v31, v47, v46, s33
	v_cvt_pk_f32_fp8_sdwa v[32:33], v33 src0_sel:WORD_1
	v_perm_b32 v46, v49, v48, s33
	v_cvt_pk_f32_fp8_e32 v[48:49], v22
	v_mfma_f32_16x16x16_bf16 v[2:5], v[30:31], v[6:7], v[2:5]
	v_perm_b32 v47, v33, v32, s33
	v_perm_b32 v30, v49, v48, s33
	;; [unrolled: 1-line block ×3, first 2 shown]
	v_cvt_pk_f32_fp8_e32 v[32:33], v23
	v_cvt_pk_f32_fp8_sdwa v[22:23], v23 src0_sel:WORD_1
	v_mfma_f32_16x16x16_bf16 v[46:49], v[46:47], v[8:9], v[2:5]
	v_lshl_add_u64 v[66:67], v[52:53], 0, v[50:51]
	v_perm_b32 v32, v33, v32, s33
	v_perm_b32 v33, v23, v22, s33
	v_mfma_f32_16x16x16_bf16 v[2:5], v[30:31], v[26:27], 0
	v_cvt_pk_f32_fp8_e32 v[22:23], v24
	v_cvt_pk_f32_fp8_sdwa v[30:31], v24 src0_sel:WORD_1
	s_waitcnt vmcnt(3)
	v_mad_i64_i32 v[68:69], s[6:7], v58, s45, v[66:67]
	v_perm_b32 v22, v23, v22, s33
	v_perm_b32 v23, v31, v30, s33
	v_cvt_pk_f32_fp8_e32 v[30:31], v25
	v_cvt_pk_f32_fp8_sdwa v[24:25], v25 src0_sel:WORD_1
	v_mfma_f32_16x16x16_bf16 v[2:5], v[32:33], v[28:29], v[2:5]
	s_waitcnt vmcnt(2)
	v_mad_i64_i32 v[70:71], s[6:7], v64, s45, v[66:67]
	v_perm_b32 v72, v31, v30, s33
	v_perm_b32 v73, v25, v24, s33
	v_mfma_f32_16x16x16_bf16 v[2:5], v[22:23], v[18:19], v[2:5]
	global_load_dwordx4 v[30:33], v[68:69], off
	global_load_dwordx4 v[22:25], v[70:71], off
	v_cvt_pk_f32_fp8_e32 v[68:69], v10
	s_waitcnt vmcnt(3)
	v_mad_i64_i32 v[70:71], s[6:7], v55, s45, v[66:67]
	v_mfma_f32_16x16x16_bf16 v[2:5], v[72:73], v[20:21], v[2:5]
	v_cvt_pk_f32_fp8_sdwa v[72:73], v10 src0_sel:WORD_1
	v_cvt_pk_f32_fp8_sdwa v[10:11], v11 src0_sel:WORD_1
	v_perm_b32 v68, v69, v68, s33
	s_waitcnt vmcnt(2)
	v_mad_i64_i32 v[76:77], s[6:7], v62, s45, v[66:67]
	v_perm_b32 v69, v73, v72, s33
	v_perm_b32 v72, v75, v74, s33
	;; [unrolled: 1-line block ×3, first 2 shown]
	v_cvt_pk_f32_fp8_e32 v[10:11], v12
	v_cvt_pk_f32_fp8_sdwa v[74:75], v12 src0_sel:WORD_1
	v_mfma_f32_16x16x16_bf16 v[66:69], v[68:69], v[14:15], v[2:5]
	v_or_b32_e32 v50, 0x800, v50
	v_perm_b32 v78, v11, v10, s33
	v_perm_b32 v79, v75, v74, s33
	v_cvt_pk_f32_fp8_e32 v[74:75], v13
	v_mfma_f32_16x16x16_bf16 v[66:69], v[72:73], v[16:17], v[66:69]
	v_lshl_add_u64 v[50:51], v[52:53], 0, v[50:51]
	v_perm_b32 v53, v81, v80, s33
	v_perm_b32 v52, v75, v74, s33
	global_load_dwordx4 v[10:13], v[70:71], off
	global_load_dwordx4 v[2:5], v[76:77], off
	v_mfma_f32_16x16x16_bf16 v[66:69], v[78:79], v[6:7], v[66:69]
	v_cvt_pk_f32_fp8_e32 v[70:71], v38
	v_cvt_pk_f32_fp8_sdwa v[72:73], v38 src0_sel:WORD_1
	v_cvt_pk_f32_fp8_e32 v[74:75], v40
	v_mfma_f32_16x16x16_bf16 v[66:69], v[52:53], v[8:9], v[66:69]
	v_cvt_pk_f32_fp8_e32 v[52:53], v39
	v_perm_b32 v70, v71, v70, s33
	v_perm_b32 v71, v73, v72, s33
	v_cvt_pk_f32_fp8_sdwa v[38:39], v39 src0_sel:WORD_1
	v_perm_b32 v52, v53, v52, s33
	v_cvt_pk_f32_fp8_sdwa v[76:77], v40 src0_sel:WORD_1
	v_mfma_f32_16x16x16_bf16 v[70:73], v[70:71], v[26:27], 0
	v_perm_b32 v53, v39, v38, s33
	v_perm_b32 v38, v75, v74, s33
	;; [unrolled: 1-line block ×3, first 2 shown]
	v_cvt_pk_f32_fp8_e32 v[74:75], v41
	v_cvt_pk_f32_fp8_sdwa v[40:41], v41 src0_sel:WORD_1
	v_mfma_f32_16x16x16_bf16 v[26:29], v[52:53], v[28:29], v[70:73]
	s_load_dword s6, s[40:41], 0x0
	v_mov_b32_e32 v52, s4
	s_mov_b32 s40, 0xff7fffff
	v_perm_b32 v70, v75, v74, s33
	v_perm_b32 v71, v41, v40, s33
	v_mfma_f32_16x16x16_bf16 v[26:29], v[38:39], v[18:19], v[26:29]
	v_cvt_pk_f32_fp8_e32 v[40:41], v35
	s_waitcnt lgkmcnt(0)
	v_mul_f32_e32 v72, s6, v52
	v_pk_mul_f32 v[52:53], v[72:73], v[42:43] op_sel_hi:[0,1]
	v_mfma_f32_16x16x16_bf16 v[18:21], v[70:71], v[20:21], v[26:29]
	v_pk_mul_f32 v[38:39], v[72:73], v[44:45] op_sel_hi:[0,1]
	v_mad_i64_i32 v[70:71], s[6:7], v58, s45, v[50:51]
	s_nop 0
	v_cvt_pk_f32_fp8_e32 v[26:27], v34
	v_cvt_pk_f32_fp8_sdwa v[28:29], v34 src0_sel:WORD_1
	v_cvt_pk_f32_fp8_sdwa v[34:35], v35 src0_sel:WORD_1
	v_pk_mul_f32 v[58:59], v[72:73], v[46:47] op_sel_hi:[0,1]
	v_perm_b32 v26, v27, v26, s33
	v_perm_b32 v27, v29, v28, s33
	;; [unrolled: 1-line block ×4, first 2 shown]
	v_cvt_pk_f32_fp8_e32 v[34:35], v36
	v_cvt_pk_f32_fp8_sdwa v[40:41], v36 src0_sel:WORD_1
	v_mfma_f32_16x16x16_bf16 v[18:21], v[26:27], v[14:15], v[18:21]
	v_pk_mul_f32 v[48:49], v[72:73], v[48:49] op_sel_hi:[0,1]
	v_perm_b32 v26, v35, v34, s33
	v_perm_b32 v27, v41, v40, s33
	v_cvt_pk_f32_fp8_e32 v[34:35], v37
	v_cvt_pk_f32_fp8_sdwa v[36:37], v37 src0_sel:WORD_1
	v_mfma_f32_16x16x16_bf16 v[14:17], v[28:29], v[16:17], v[18:21]
	v_pk_mul_f32 v[40:41], v[72:73], v[66:67] op_sel_hi:[0,1]
	v_pk_mul_f32 v[44:45], v[72:73], v[68:69] op_sel_hi:[0,1]
	s_nop 0
	v_perm_b32 v18, v35, v34, s33
	v_perm_b32 v19, v37, v36, s33
	v_mfma_f32_16x16x16_bf16 v[14:17], v[26:27], v[6:7], v[14:17]
	s_nop 0
	v_mfma_f32_16x16x16_bf16 v[6:9], v[18:19], v[8:9], v[14:17]
	s_nop 6
	v_pk_mul_f32 v[42:43], v[72:73], v[6:7] op_sel_hi:[0,1]
	v_and_b32_e32 v6, 0xc0, v0
	v_add_u32_e32 v6, s18, v6
	v_lshl_or_b32 v6, v1, 2, v6
	v_pk_mul_f32 v[34:35], v[72:73], v[8:9] op_sel_hi:[0,1]
	v_or_b32_e32 v9, 1, v6
	v_mov_b32_e32 v7, 0xff7fffff
	v_cmp_gt_i32_e64 s[24:25], s5, v6
	v_cmp_gt_i32_e64 s[26:27], s5, v9
	v_or_b32_e32 v14, 3, v6
	v_cndmask_b32_e64 v8, v7, v52, s[24:25]
	v_cndmask_b32_e64 v9, v7, v53, s[26:27]
	v_max3_f32 v8, v8, s40, v9
	v_or_b32_e32 v9, 2, v6
	v_cmp_gt_i32_e64 s[28:29], s5, v9
	v_cmp_gt_i32_e64 s[30:31], s5, v14
	s_nop 0
	v_cndmask_b32_e64 v9, v7, v38, s[28:29]
	v_cndmask_b32_e64 v14, v7, v39, s[30:31]
	v_max3_f32 v8, v8, v9, v14
	v_or_b32_e32 v9, 16, v6
	v_or_b32_e32 v14, 17, v6
	v_cmp_gt_i32_e64 s[34:35], s5, v9
	v_cmp_gt_i32_e64 s[36:37], s5, v14
	s_nop 0
	v_cndmask_b32_e64 v9, v7, v58, s[34:35]
	v_cndmask_b32_e64 v14, v7, v59, s[36:37]
	v_max3_f32 v8, v8, v9, v14
	v_or_b32_e32 v9, 18, v6
	;; [unrolled: 8-line block ×6, first 2 shown]
	v_or_b32_e32 v6, 51, v6
	v_cmp_gt_i32_e32 vcc, s5, v9
	v_cmp_gt_i32_e64 s[4:5], s5, v6
	s_nop 0
	v_cndmask_b32_e32 v9, v7, v34, vcc
	v_cndmask_b32_e64 v6, v7, v35, s[4:5]
	v_max3_f32 v8, v8, v9, v6
	v_mbcnt_lo_u32_b32 v6, -1, 0
	v_mbcnt_hi_u32_b32 v9, -1, v6
	v_and_b32_e32 v6, 64, v9
	v_add_u32_e32 v14, 64, v6
	v_xor_b32_e32 v6, 32, v9
	v_cmp_lt_i32_e64 s[38:39], v6, v14
	s_nop 1
	v_cndmask_b32_e64 v6, v9, v6, s[38:39]
	v_lshlrev_b32_e32 v65, 2, v6
	ds_bpermute_b32 v15, v65, v8
	v_mad_i64_i32 v[6:7], s[38:39], v64, s45, v[50:51]
	global_load_dwordx4 v[26:29], v[70:71], off
	global_load_dwordx4 v[18:21], v[6:7], off
	s_waitcnt lgkmcnt(0)
	v_max_f32_e32 v6, v15, v15
	v_max_f32_e32 v15, v8, v6
	v_xor_b32_e32 v6, 16, v9
	v_cmp_lt_i32_e64 s[38:39], v6, v14
	s_nop 1
	v_cndmask_b32_e64 v6, v9, v6, s[38:39]
	v_lshlrev_b32_e32 v64, 2, v6
	ds_bpermute_b32 v14, v64, v15
	v_mad_i64_i32 v[6:7], s[38:39], v55, s45, v[50:51]
	v_mad_i64_i32 v[8:9], s[38:39], v62, s45, v[50:51]
	s_waitcnt lgkmcnt(0)
	v_max_f32_e32 v14, v14, v14
	v_max_f32_e32 v50, v15, v14
	v_sub_f32_e32 v14, v52, v50
	v_mul_f32_e32 v14, 0x3fb8aa3b, v14
	v_exp_f32_e32 v36, v14
	v_sub_f32_e32 v14, v53, v50
	v_mul_f32_e32 v14, 0x3fb8aa3b, v14
	v_exp_f32_e32 v37, v14
	global_load_dwordx4 v[14:17], v[6:7], off
	s_nop 0
	global_load_dwordx4 v[6:9], v[8:9], off
	v_sub_f32_e32 v38, v38, v50
	v_mul_f32_e32 v38, 0x3fb8aa3b, v38
	v_sub_f32_e32 v39, v39, v50
	v_exp_f32_e32 v38, v38
	v_mul_f32_e32 v39, 0x3fb8aa3b, v39
	v_exp_f32_e32 v39, v39
	v_cndmask_b32_e64 v36, 0, v36, s[24:25]
	v_add_f32_e32 v46, 0, v36
	v_cndmask_b32_e64 v37, 0, v37, s[26:27]
	v_add_f32_e32 v47, v46, v37
	;; [unrolled: 2-line block ×3, first 2 shown]
	v_cndmask_b32_e64 v47, 0, v39, s[30:31]
	v_sub_f32_e32 v39, v58, v50
	v_mul_f32_e32 v39, 0x3fb8aa3b, v39
	v_sub_f32_e32 v51, v59, v50
	v_exp_f32_e32 v39, v39
	v_mul_f32_e32 v51, 0x3fb8aa3b, v51
	v_sub_f32_e32 v48, v48, v50
	v_exp_f32_e32 v51, v51
	;; [unrolled: 3-line block ×4, first 2 shown]
	v_mul_f32_e32 v40, 0x3fb8aa3b, v40
	v_sub_f32_e32 v41, v41, v50
	v_add_f32_e32 v52, v38, v47
	v_cndmask_b32_e64 v38, 0, v39, s[34:35]
	v_exp_f32_e32 v40, v40
	v_mul_f32_e32 v41, 0x3fb8aa3b, v41
	v_sub_f32_e32 v44, v44, v50
	v_add_f32_e32 v52, v52, v38
	v_cndmask_b32_e64 v39, 0, v51, s[36:37]
	v_exp_f32_e32 v41, v41
	;; [unrolled: 5-line block ×7, first 2 shown]
	v_mul_f32_e32 v35, 0x3fb8aa3b, v35
	v_add_f32_e32 v51, v51, v44
	v_cndmask_b32_e64 v45, 0, v45, s[12:13]
	v_exp_f32_e32 v35, v35
	v_add_f32_e32 v51, v51, v45
	v_cndmask_b32_e64 v42, 0, v42, s[6:7]
	v_add_f32_e32 v51, v51, v42
	v_cndmask_b32_e64 v43, 0, v43, s[8:9]
	v_add_f32_e32 v51, v51, v43
	v_cndmask_b32_e32 v34, 0, v34, vcc
	v_add_f32_e32 v51, v51, v34
	v_cndmask_b32_e64 v35, 0, v35, s[4:5]
	v_add_f32_e32 v51, v51, v35
	ds_bpermute_b32 v52, v65, v51
	v_cmp_gt_u32_e32 vcc, 16, v61
	s_waitcnt lgkmcnt(0)
	s_barrier
	v_add_f32_e32 v51, v51, v52
	ds_bpermute_b32 v52, v64, v51
	s_and_saveexec_b64 s[4:5], vcc
	s_cbranch_execz .LBB1359_13
; %bb.12:
	s_waitcnt lgkmcnt(0)
	v_add_f32_e32 v51, v51, v52
	v_lshlrev_b32_e32 v52, 2, v63
	ds_write2st64_b32 v52, v50, v51 offset1:1
.LBB1359_13:
	s_or_b64 exec, exec, s[4:5]
	v_lshlrev_b32_e32 v51, 2, v56
	s_load_dword s6, s[0:1], 0x94
	s_waitcnt lgkmcnt(0)
	s_barrier
	ds_read2_b32 v[52:53], v51 offset1:16
	ds_read2_b32 v[58:59], v51 offset0:32 offset1:48
	ds_read2_b32 v[62:63], v51 offset0:64 offset1:80
	s_movk_i32 s8, 0x7fff
	s_mul_i32 s7, s23, 12
	s_waitcnt lgkmcnt(2)
	v_max3_f32 v50, v52, s40, v53
	s_waitcnt lgkmcnt(1)
	v_max3_f32 v50, v50, v58, v59
	v_sub_f32_e32 v52, v52, v50
	v_mul_f32_e32 v52, 0x3fb8aa3b, v52
	v_exp_f32_e32 v55, v52
	v_sub_f32_e32 v52, v53, v50
	v_mul_f32_e32 v52, 0x3fb8aa3b, v52
	v_exp_f32_e32 v61, v52
	;; [unrolled: 3-line block ×3, first 2 shown]
	ds_read2_b32 v[52:53], v51 offset0:96 offset1:112
	v_sub_f32_e32 v51, v59, v50
	v_mul_f32_e32 v51, 0x3fb8aa3b, v51
	v_exp_f32_e32 v59, v51
	s_waitcnt lgkmcnt(1)
	v_fma_f32 v51, v55, v62, 0
	v_fmac_f32_e32 v51, v61, v63
	s_waitcnt lgkmcnt(0)
	v_fmac_f32_e32 v51, v58, v52
	v_fmac_f32_e32 v51, v59, v53
	v_add_f32_e32 v52, 0x358637bd, v51
	v_div_scale_f32 v53, s[4:5], v52, v52, 1.0
	v_rcp_f32_e32 v62, v53
	s_barrier
	v_fma_f32 v63, -v53, v62, 1.0
	v_fmac_f32_e32 v62, v63, v62
	v_div_scale_f32 v63, vcc, 1.0, v52, 1.0
	v_mul_f32_e32 v64, v63, v62
	v_fma_f32 v65, -v53, v64, v63
	v_fmac_f32_e32 v64, v65, v62
	v_fma_f32 v53, -v53, v64, v63
	v_div_fmas_f32 v53, v53, v62, v64
	v_cmp_eq_u32_e32 vcc, 1, v57
	v_div_fixup_f32 v52, v53, v52, 1.0
	s_nop 0
	v_cndmask_b32_e32 v53, v55, v61, vcc
	v_cmp_eq_u32_e32 vcc, 2, v57
	s_nop 1
	v_cndmask_b32_e32 v53, v53, v58, vcc
	v_cmp_eq_u32_e32 vcc, 3, v57
	s_nop 1
	v_cndmask_b32_e32 v53, v53, v59, vcc
	v_mul_f32_e32 v52, v53, v52
	v_pk_mul_f32 v[36:37], v[52:53], v[36:37] op_sel_hi:[0,1]
	v_pk_mul_f32 v[46:47], v[52:53], v[46:47] op_sel_hi:[0,1]
	v_bfe_u32 v53, v37, 16, 1
	v_bfe_u32 v55, v36, 16, 1
	v_add3_u32 v36, v36, v55, s8
	v_add3_u32 v37, v37, v53, s8
	v_perm_b32 v58, v37, v36, s33
	v_bfe_u32 v36, v47, 16, 1
	v_bfe_u32 v37, v46, 16, 1
	v_add3_u32 v37, v46, v37, s8
	v_add3_u32 v36, v47, v36, s8
	v_perm_b32 v59, v36, v37, s33
	v_lshlrev_b32_e32 v37, 3, v1
	v_lshlrev_b32_e32 v36, 5, v56
	;; [unrolled: 1-line block ×3, first 2 shown]
	v_pk_mul_f32 v[38:39], v[52:53], v[38:39] op_sel_hi:[0,1]
	v_or3_b32 v55, v46, v36, v37
	v_pk_mul_f32 v[46:47], v[52:53], v[48:49] op_sel_hi:[0,1]
	v_bfe_u32 v37, v39, 16, 1
	v_bfe_u32 v48, v38, 16, 1
	v_add3_u32 v38, v38, v48, s8
	v_add3_u32 v37, v39, v37, s8
	v_perm_b32 v38, v37, v38, s33
	v_bfe_u32 v37, v47, 16, 1
	v_bfe_u32 v39, v46, 16, 1
	v_add3_u32 v39, v46, v39, s8
	v_add3_u32 v37, v47, v37, s8
	v_perm_b32 v39, v37, v39, s33
	v_pk_mul_f32 v[40:41], v[52:53], v[40:41] op_sel_hi:[0,1]
	ds_write2st64_b64 v55, v[58:59], v[38:39] offset1:1
	v_pk_mul_f32 v[38:39], v[52:53], v[44:45] op_sel_hi:[0,1]
	v_bfe_u32 v37, v41, 16, 1
	v_bfe_u32 v44, v40, 16, 1
	v_add3_u32 v40, v40, v44, s8
	v_add3_u32 v37, v41, v37, s8
	v_perm_b32 v40, v37, v40, s33
	v_bfe_u32 v37, v39, 16, 1
	v_bfe_u32 v41, v38, 16, 1
	v_add3_u32 v38, v38, v41, s8
	v_add3_u32 v37, v39, v37, s8
	v_perm_b32 v41, v37, v38, s33
	v_pk_mul_f32 v[38:39], v[52:53], v[42:43] op_sel_hi:[0,1]
	v_bfe_u32 v37, v39, 16, 1
	v_bfe_u32 v42, v38, 16, 1
	v_pk_mul_f32 v[34:35], v[52:53], v[34:35] op_sel_hi:[0,1]
	v_add3_u32 v38, v38, v42, s8
	v_add3_u32 v37, v39, v37, s8
	v_perm_b32 v38, v37, v38, s33
	v_bfe_u32 v37, v35, 16, 1
	v_bfe_u32 v39, v34, 16, 1
	v_add3_u32 v34, v34, v39, s8
	v_add3_u32 v35, v35, v37, s8
	v_perm_b32 v39, v35, v34, s33
	v_cmp_gt_u32_e32 vcc, 12, v0
	ds_write2st64_b64 v55, v[40:41], v[38:39] offset0:2 offset1:3
	s_and_saveexec_b64 s[4:5], vcc
	s_cbranch_execz .LBB1359_15
; %bb.14:
	s_mov_b32 s49, 0
	v_mov_b32_e32 v57, 0
	v_lshl_add_u64 v[34:35], s[48:49], 0, v[56:57]
	v_mov_b32_e32 v37, s7
	v_mad_u64_u32 v[34:35], s[10:11], s2, v37, v[34:35]
	s_mul_i32 s3, s3, s7
	v_mov_b32_e32 v38, s22
	v_mov_b32_e32 v39, v57
	s_load_dwordx4 s[12:15], s[0:1], 0x58
	v_add_u32_e32 v37, s3, v35
	v_mad_u64_u32 v[34:35], s[10:11], v34, s6, v[38:39]
	v_mov_b32_e32 v38, v35
	v_mad_u64_u32 v[38:39], s[10:11], v37, s6, v[38:39]
	v_mov_b32_e32 v35, v38
	v_lshlrev_b64 v[34:35], 2, v[34:35]
	s_waitcnt lgkmcnt(0)
	v_lshl_add_u64 v[38:39], s[14:15], 0, v[34:35]
	v_lshl_add_u64 v[34:35], s[12:13], 0, v[34:35]
	global_store_dword v[38:39], v50, off
	global_store_dword v[34:35], v51, off
.LBB1359_15:
	s_or_b64 exec, exec, s[4:5]
	v_lshl_or_b32 v50, v1, 9, v36
	s_waitcnt vmcnt(7)
	v_cvt_pk_f32_fp8_e32 v[34:35], v30
	v_cvt_pk_f32_fp8_sdwa v[36:37], v30 src0_sel:WORD_1
	s_mov_b32 s5, 0x7060302
	s_waitcnt lgkmcnt(0)
	s_barrier
	v_cvt_pk_f32_fp8_e32 v[38:39], v31
	v_perm_b32 v30, v35, v34, s5
	v_cvt_pk_f32_fp8_sdwa v[40:41], v31 src0_sel:WORD_1
	v_perm_b32 v31, v37, v36, s5
	ds_read_b128 v[34:37], v50
	v_perm_b32 v46, v39, v38, s5
	v_perm_b32 v47, v41, v40, s5
	ds_read_b128 v[38:41], v50 offset:16
	v_cvt_pk_f32_fp8_e32 v[48:49], v32
	v_cvt_pk_f32_fp8_sdwa v[52:53], v32 src0_sel:WORD_1
	s_waitcnt lgkmcnt(1)
	v_mfma_f32_16x16x16_bf16 v[42:45], v[30:31], v[34:35], 0
	s_waitcnt vmcnt(6)
	v_cvt_pk_f32_fp8_e32 v[58:59], v24
	v_perm_b32 v30, v49, v48, s5
	v_perm_b32 v31, v53, v52, s5
	v_cvt_pk_f32_fp8_e32 v[48:49], v33
	v_mfma_f32_16x16x16_bf16 v[42:45], v[46:47], v[36:37], v[42:45]
	v_cvt_pk_f32_fp8_sdwa v[46:47], v33 src0_sel:WORD_1
	v_cvt_pk_f32_fp8_sdwa v[62:63], v24 src0_sel:WORD_1
	v_perm_b32 v48, v49, v48, s5
	s_waitcnt lgkmcnt(0)
	v_mfma_f32_16x16x16_bf16 v[30:33], v[30:31], v[38:39], v[42:45]
	v_perm_b32 v49, v47, v46, s5
	s_waitcnt vmcnt(5)
	v_cvt_pk_f32_fp8_sdwa v[66:67], v12 src0_sel:WORD_1
	s_waitcnt vmcnt(4)
	v_cvt_pk_f32_fp8_sdwa v[68:69], v4 src0_sel:WORD_1
	v_cvt_pk_f32_fp8_e32 v[42:43], v22
	v_mfma_f32_16x16x16_bf16 v[46:49], v[48:49], v[40:41], v[30:33]
	s_load_dword s4, s[42:43], 0x0
	s_waitcnt vmcnt(3)
	v_cvt_pk_f32_fp8_sdwa v[70:71], v28 src0_sel:WORD_1
	v_cvt_pk_f32_fp8_sdwa v[30:31], v22 src0_sel:WORD_1
	v_cvt_pk_f32_fp8_e32 v[32:33], v23
	v_perm_b32 v22, v43, v42, s5
	v_cvt_pk_f32_fp8_sdwa v[42:43], v23 src0_sel:WORD_1
	v_perm_b32 v23, v31, v30, s5
	v_perm_b32 v52, v33, v32, s5
	ds_read_b128 v[30:33], v50 offset:2048
	v_perm_b32 v53, v43, v42, s5
	ds_read_b128 v[42:45], v50 offset:2064
	s_waitcnt lgkmcnt(0)
	v_mfma_f32_16x16x16_bf16 v[46:49], v[22:23], v[30:31], v[46:49]
	v_perm_b32 v22, v59, v58, s5
	v_perm_b32 v23, v63, v62, s5
	v_cvt_pk_f32_fp8_e32 v[58:59], v25
	v_mfma_f32_16x16x16_bf16 v[46:49], v[52:53], v[32:33], v[46:49]
	v_cvt_pk_f32_fp8_sdwa v[52:53], v25 src0_sel:WORD_1
	s_mov_b32 s3, 0
	v_perm_b32 v58, v59, v58, s5
	v_mfma_f32_16x16x16_bf16 v[22:25], v[22:23], v[42:43], v[46:49]
	v_perm_b32 v59, v53, v52, s5
	v_cmp_gt_u32_e32 vcc, 64, v0
	s_nop 0
	v_cvt_pk_f32_fp8_e32 v[46:47], v10
	v_mfma_f32_16x16x16_bf16 v[62:65], v[58:59], v[44:45], v[22:25]
	v_cvt_pk_f32_fp8_e32 v[58:59], v12
	s_nop 1
	v_cvt_pk_f32_fp8_sdwa v[22:23], v10 src0_sel:WORD_1
	v_cvt_pk_f32_fp8_e32 v[24:25], v11
	v_perm_b32 v10, v47, v46, s5
	v_cvt_pk_f32_fp8_sdwa v[46:47], v11 src0_sel:WORD_1
	v_perm_b32 v11, v23, v22, s5
	v_perm_b32 v52, v25, v24, s5
	ds_read_b128 v[22:25], v50 offset:4096
	v_perm_b32 v53, v47, v46, s5
	ds_read_b128 v[46:49], v50 offset:4112
	s_waitcnt lgkmcnt(1)
	v_mfma_f32_16x16x16_bf16 v[62:65], v[10:11], v[22:23], v[62:65]
	v_perm_b32 v10, v59, v58, s5
	v_perm_b32 v11, v67, v66, s5
	v_cvt_pk_f32_fp8_e32 v[58:59], v13
	v_mfma_f32_16x16x16_bf16 v[62:65], v[52:53], v[24:25], v[62:65]
	v_cvt_pk_f32_fp8_sdwa v[52:53], v13 src0_sel:WORD_1
	v_cvt_pk_f32_fp8_e32 v[66:67], v4
	v_perm_b32 v58, v59, v58, s5
	s_waitcnt lgkmcnt(0)
	v_mfma_f32_16x16x16_bf16 v[10:13], v[10:11], v[46:47], v[62:65]
	v_perm_b32 v59, v53, v52, s5
	v_cvt_pk_f32_fp8_e32 v[52:53], v2
	s_nop 0
	v_mfma_f32_16x16x16_bf16 v[62:65], v[58:59], v[48:49], v[10:13]
	s_nop 2
	v_cvt_pk_f32_fp8_sdwa v[10:11], v2 src0_sel:WORD_1
	v_cvt_pk_f32_fp8_e32 v[12:13], v3
	v_perm_b32 v2, v53, v52, s5
	v_cvt_pk_f32_fp8_sdwa v[52:53], v3 src0_sel:WORD_1
	v_perm_b32 v3, v11, v10, s5
	v_perm_b32 v58, v13, v12, s5
	ds_read_b128 v[10:13], v50 offset:6144
	v_perm_b32 v59, v53, v52, s5
	s_waitcnt lgkmcnt(0)
	v_mfma_f32_16x16x16_bf16 v[62:65], v[2:3], v[10:11], v[62:65]
	ds_read_b128 v[50:53], v50 offset:6160
	v_perm_b32 v2, v67, v66, s5
	v_perm_b32 v3, v69, v68, s5
	v_cvt_pk_f32_fp8_e32 v[66:67], v5
	v_mfma_f32_16x16x16_bf16 v[62:65], v[58:59], v[12:13], v[62:65]
	v_cvt_pk_f32_fp8_sdwa v[58:59], v5 src0_sel:WORD_1
	v_cvt_pk_f32_fp8_e32 v[68:69], v28
	v_perm_b32 v66, v67, v66, s5
	s_waitcnt lgkmcnt(0)
	v_mfma_f32_16x16x16_bf16 v[2:5], v[2:3], v[50:51], v[62:65]
	v_perm_b32 v67, v59, v58, s5
	v_cvt_pk_f32_fp8_sdwa v[58:59], v26 src0_sel:WORD_1
	s_nop 0
	v_mfma_f32_16x16x16_bf16 v[62:65], v[66:67], v[52:53], v[2:5]
	s_barrier
	s_nop 1
	v_cvt_pk_f32_fp8_e32 v[4:5], v26
	s_nop 2
	v_pk_mul_f32 v[66:67], v[62:63], s[4:5] op_sel_hi:[1,0]
	v_cvt_pk_f32_fp8_e32 v[62:63], v27
	v_perm_b32 v4, v5, v4, s5
	v_perm_b32 v5, v59, v58, s5
	v_cvt_pk_f32_fp8_sdwa v[26:27], v27 src0_sel:WORD_1
	v_perm_b32 v58, v63, v62, s5
	v_pk_mul_f32 v[2:3], v[64:65], s[4:5] op_sel_hi:[1,0]
	v_mfma_f32_16x16x16_bf16 v[62:65], v[4:5], v[34:35], 0
	v_perm_b32 v59, v27, v26, s5
	v_perm_b32 v4, v69, v68, s5
	;; [unrolled: 1-line block ×3, first 2 shown]
	v_cvt_pk_f32_fp8_e32 v[34:35], v29
	v_cvt_pk_f32_fp8_sdwa v[68:69], v29 src0_sel:WORD_1
	v_mfma_f32_16x16x16_bf16 v[26:29], v[58:59], v[36:37], v[62:65]
	s_waitcnt vmcnt(2)
	v_cvt_pk_f32_fp8_sdwa v[36:37], v18 src0_sel:WORD_1
	v_perm_b32 v34, v35, v34, s5
	v_perm_b32 v35, v69, v68, s5
	v_mfma_f32_16x16x16_bf16 v[26:29], v[4:5], v[38:39], v[26:29]
	v_cvt_pk_f32_fp8_e32 v[4:5], v18
	v_cvt_pk_f32_fp8_sdwa v[38:39], v20 src0_sel:WORD_1
	v_bfe_u32 v57, v67, 16, 1
	v_mfma_f32_16x16x16_bf16 v[26:29], v[34:35], v[40:41], v[26:29]
	v_cvt_pk_f32_fp8_e32 v[34:35], v19
	v_perm_b32 v4, v5, v4, s5
	v_perm_b32 v5, v37, v36, s5
	v_cvt_pk_f32_fp8_sdwa v[18:19], v19 src0_sel:WORD_1
	v_perm_b32 v34, v35, v34, s5
	v_cvt_pk_f32_fp8_e32 v[36:37], v20
	v_mfma_f32_16x16x16_bf16 v[26:29], v[4:5], v[30:31], v[26:29]
	v_perm_b32 v35, v19, v18, s5
	v_perm_b32 v4, v37, v36, s5
	v_perm_b32 v5, v39, v38, s5
	v_cvt_pk_f32_fp8_e32 v[30:31], v21
	v_cvt_pk_f32_fp8_sdwa v[36:37], v21 src0_sel:WORD_1
	v_mfma_f32_16x16x16_bf16 v[18:21], v[34:35], v[32:33], v[26:29]
	v_bfe_u32 v58, v66, 16, 1
	v_add3_u32 v32, v66, v58, s8
	v_add3_u32 v33, v67, v57, s8
	v_perm_b32 v26, v31, v30, s5
	v_perm_b32 v27, v37, v36, s5
	v_mfma_f32_16x16x16_bf16 v[18:21], v[4:5], v[42:43], v[18:21]
	s_waitcnt vmcnt(1)
	v_cvt_pk_f32_fp8_e32 v[4:5], v14
	v_cvt_pk_f32_fp8_sdwa v[28:29], v14 src0_sel:WORD_1
	v_cvt_pk_f32_fp8_sdwa v[30:31], v16 src0_sel:WORD_1
	v_mfma_f32_16x16x16_bf16 v[18:21], v[26:27], v[44:45], v[18:21]
	v_cvt_pk_f32_fp8_e32 v[26:27], v15
	v_perm_b32 v4, v5, v4, s5
	v_perm_b32 v5, v29, v28, s5
	v_cvt_pk_f32_fp8_sdwa v[14:15], v15 src0_sel:WORD_1
	v_perm_b32 v26, v27, v26, s5
	v_cvt_pk_f32_fp8_e32 v[28:29], v16
	v_mfma_f32_16x16x16_bf16 v[18:21], v[4:5], v[22:23], v[18:21]
	v_perm_b32 v27, v15, v14, s5
	v_perm_b32 v4, v29, v28, s5
	;; [unrolled: 1-line block ×3, first 2 shown]
	v_cvt_pk_f32_fp8_e32 v[22:23], v17
	v_cvt_pk_f32_fp8_sdwa v[28:29], v17 src0_sel:WORD_1
	v_mfma_f32_16x16x16_bf16 v[14:17], v[26:27], v[24:25], v[18:21]
	s_waitcnt vmcnt(0)
	v_cvt_pk_f32_fp8_sdwa v[24:25], v8 src0_sel:WORD_1
	s_nop 0
	v_perm_b32 v20, v23, v22, s5
	v_perm_b32 v21, v29, v28, s5
	v_mfma_f32_16x16x16_bf16 v[14:17], v[4:5], v[46:47], v[14:17]
	v_cvt_pk_f32_fp8_e32 v[4:5], v6
	v_cvt_pk_f32_fp8_sdwa v[22:23], v6 src0_sel:WORD_1
	v_bfe_u32 v19, v3, 16, 1
	v_mfma_f32_16x16x16_bf16 v[14:17], v[20:21], v[48:49], v[14:17]
	v_cvt_pk_f32_fp8_e32 v[20:21], v7
	v_perm_b32 v4, v5, v4, s5
	v_perm_b32 v5, v23, v22, s5
	v_cvt_pk_f32_fp8_sdwa v[6:7], v7 src0_sel:WORD_1
	v_perm_b32 v20, v21, v20, s5
	v_cvt_pk_f32_fp8_e32 v[22:23], v8
	v_add3_u32 v3, v3, v19, s8
	v_perm_b32 v21, v7, v6, s5
	v_mfma_f32_16x16x16_bf16 v[4:7], v[4:5], v[10:11], v[14:17]
	v_perm_b32 v10, v23, v22, s5
	v_perm_b32 v11, v25, v24, s5
	;; [unrolled: 1-line block ×3, first 2 shown]
	v_cvt_pk_f32_fp8_e32 v[14:15], v9
	v_cvt_pk_f32_fp8_sdwa v[8:9], v9 src0_sel:WORD_1
	v_mfma_f32_16x16x16_bf16 v[4:7], v[20:21], v[12:13], v[4:7]
	v_bfe_u32 v16, v2, 16, 1
	v_perm_b32 v12, v15, v14, s5
	v_perm_b32 v13, v9, v8, s5
	v_mfma_f32_16x16x16_bf16 v[4:7], v[10:11], v[50:51], v[4:7]
	v_add3_u32 v2, v2, v16, s8
	v_perm_b32 v19, v3, v2, s5
	v_mfma_f32_16x16x16_bf16 v[2:5], v[12:13], v[52:53], v[4:7]
	s_nop 6
	v_pk_mul_f32 v[2:3], v[2:3], s[4:5] op_sel_hi:[1,0]
	v_pk_mul_f32 v[4:5], v[4:5], s[4:5] op_sel_hi:[1,0]
	v_bfe_u32 v6, v3, 16, 1
	v_bfe_u32 v7, v2, 16, 1
	v_add3_u32 v2, v2, v7, s8
	v_add3_u32 v3, v3, v6, s8
	v_perm_b32 v2, v3, v2, s5
	v_bfe_u32 v3, v5, 16, 1
	v_bfe_u32 v6, v4, 16, 1
	v_add3_u32 v4, v4, v6, s8
	v_add3_u32 v3, v5, v3, s8
	v_perm_b32 v3, v3, v4, s5
	ds_write2st64_b64 v55, v[18:19], v[2:3] offset1:1
	s_waitcnt lgkmcnt(0)
	s_barrier
	s_and_saveexec_b64 s[4:5], vcc
	s_cbranch_execz .LBB1359_17
; %bb.16:
	s_load_dwordx2 s[0:1], s[0:1], 0x68
	s_lshl_b32 s6, s6, 7
	s_mul_i32 s2, s7, s2
	s_mul_hi_u32 s5, s2, s6
	s_mul_i32 s4, s2, s6
	s_lshl_b64 s[4:5], s[4:5], 1
	v_lshlrev_b32_e32 v4, 6, v56
	s_waitcnt lgkmcnt(0)
	s_add_u32 s4, s0, s4
	v_lshl_or_b32 v0, v0, 10, v4
	s_addc_u32 s5, s1, s5
	s_lshl_b32 s2, s22, 7
	v_lshlrev_b32_e32 v2, 5, v1
	v_and_b32_e32 v3, 16, v60
	v_and_b32_e32 v0, 0x1a00, v0
	s_lshl_b64 s[0:1], s[2:3], 1
	v_or3_b32 v0, v0, v2, v3
	s_add_u32 s0, s4, s0
	ds_read_b128 v[2:5], v0
	ds_read_b128 v[6:9], v0 offset:128
	ds_read_b128 v[10:13], v0 offset:256
	s_addc_u32 s1, s5, s1
	v_or_b32_e32 v16, s48, v1
	v_mov_b32_e32 v55, 0
	v_lshl_add_u64 v[0:1], s[0:1], 0, v[54:55]
	v_mad_u64_u32 v[14:15], s[0:1], v16, s6, 0
	v_lshl_add_u64 v[14:15], v[14:15], 1, v[0:1]
	s_waitcnt lgkmcnt(2)
	global_store_dwordx4 v[14:15], v[2:5], off
	s_nop 1
	v_add_u32_e32 v2, 4, v16
	v_mad_u64_u32 v[2:3], s[0:1], v2, s6, 0
	v_lshl_add_u64 v[2:3], v[2:3], 1, v[0:1]
	s_waitcnt lgkmcnt(1)
	global_store_dwordx4 v[2:3], v[6:9], off
	v_add_u32_e32 v2, 8, v16
	v_mad_u64_u32 v[2:3], s[0:1], v2, s6, 0
	v_lshl_add_u64 v[0:1], v[2:3], 1, v[0:1]
	s_waitcnt lgkmcnt(0)
	global_store_dwordx4 v[0:1], v[10:13], off
.LBB1359_17:
	s_endpgm
	.section	.rodata,"a",@progbits
	.p2align	6, 0x0
	.amdhsa_kernel _Z39paged_attention_ll4mi_QKV_mfma16_kernelI14__hip_bfloat16hLN4vllm18Fp8KVCacheDataTypeE1EhLi32ELi128ELi256ELb0ELi12EEvPKT_PKT0_S8_ifPKiSA_SA_iPKfiiiPfSD_PS3_PT2_iSC_SC_
		.amdhsa_group_segment_fixed_size 8192
		.amdhsa_private_segment_fixed_size 0
		.amdhsa_kernarg_size 400
		.amdhsa_user_sgpr_count 2
		.amdhsa_user_sgpr_dispatch_ptr 0
		.amdhsa_user_sgpr_queue_ptr 0
		.amdhsa_user_sgpr_kernarg_segment_ptr 1
		.amdhsa_user_sgpr_dispatch_id 0
		.amdhsa_user_sgpr_kernarg_preload_length 0
		.amdhsa_user_sgpr_kernarg_preload_offset 0
		.amdhsa_user_sgpr_private_segment_size 0
		.amdhsa_uses_dynamic_stack 0
		.amdhsa_enable_private_segment 0
		.amdhsa_system_sgpr_workgroup_id_x 1
		.amdhsa_system_sgpr_workgroup_id_y 1
		.amdhsa_system_sgpr_workgroup_id_z 1
		.amdhsa_system_sgpr_workgroup_info 0
		.amdhsa_system_vgpr_workitem_id 0
		.amdhsa_next_free_vgpr 82
		.amdhsa_next_free_sgpr 50
		.amdhsa_accum_offset 84
		.amdhsa_reserve_vcc 1
		.amdhsa_float_round_mode_32 0
		.amdhsa_float_round_mode_16_64 0
		.amdhsa_float_denorm_mode_32 3
		.amdhsa_float_denorm_mode_16_64 3
		.amdhsa_dx10_clamp 1
		.amdhsa_ieee_mode 1
		.amdhsa_fp16_overflow 0
		.amdhsa_tg_split 0
		.amdhsa_exception_fp_ieee_invalid_op 0
		.amdhsa_exception_fp_denorm_src 0
		.amdhsa_exception_fp_ieee_div_zero 0
		.amdhsa_exception_fp_ieee_overflow 0
		.amdhsa_exception_fp_ieee_underflow 0
		.amdhsa_exception_fp_ieee_inexact 0
		.amdhsa_exception_int_div_zero 0
	.end_amdhsa_kernel
	.section	.text._Z39paged_attention_ll4mi_QKV_mfma16_kernelI14__hip_bfloat16hLN4vllm18Fp8KVCacheDataTypeE1EhLi32ELi128ELi256ELb0ELi12EEvPKT_PKT0_S8_ifPKiSA_SA_iPKfiiiPfSD_PS3_PT2_iSC_SC_,"axG",@progbits,_Z39paged_attention_ll4mi_QKV_mfma16_kernelI14__hip_bfloat16hLN4vllm18Fp8KVCacheDataTypeE1EhLi32ELi128ELi256ELb0ELi12EEvPKT_PKT0_S8_ifPKiSA_SA_iPKfiiiPfSD_PS3_PT2_iSC_SC_,comdat
.Lfunc_end1359:
	.size	_Z39paged_attention_ll4mi_QKV_mfma16_kernelI14__hip_bfloat16hLN4vllm18Fp8KVCacheDataTypeE1EhLi32ELi128ELi256ELb0ELi12EEvPKT_PKT0_S8_ifPKiSA_SA_iPKfiiiPfSD_PS3_PT2_iSC_SC_, .Lfunc_end1359-_Z39paged_attention_ll4mi_QKV_mfma16_kernelI14__hip_bfloat16hLN4vllm18Fp8KVCacheDataTypeE1EhLi32ELi128ELi256ELb0ELi12EEvPKT_PKT0_S8_ifPKiSA_SA_iPKfiiiPfSD_PS3_PT2_iSC_SC_
                                        ; -- End function
	.section	.AMDGPU.csdata,"",@progbits
; Kernel info:
; codeLenInByte = 6408
; NumSgprs: 56
; NumVgprs: 82
; NumAgprs: 0
; TotalNumVgprs: 82
; ScratchSize: 0
; MemoryBound: 0
; FloatMode: 240
; IeeeMode: 1
; LDSByteSize: 8192 bytes/workgroup (compile time only)
; SGPRBlocks: 6
; VGPRBlocks: 10
; NumSGPRsForWavesPerEU: 56
; NumVGPRsForWavesPerEU: 82
; AccumOffset: 84
; Occupancy: 5
; WaveLimiterHint : 1
; COMPUTE_PGM_RSRC2:SCRATCH_EN: 0
; COMPUTE_PGM_RSRC2:USER_SGPR: 2
; COMPUTE_PGM_RSRC2:TRAP_HANDLER: 0
; COMPUTE_PGM_RSRC2:TGID_X_EN: 1
; COMPUTE_PGM_RSRC2:TGID_Y_EN: 1
; COMPUTE_PGM_RSRC2:TGID_Z_EN: 1
; COMPUTE_PGM_RSRC2:TIDIG_COMP_CNT: 0
; COMPUTE_PGM_RSRC3_GFX90A:ACCUM_OFFSET: 20
; COMPUTE_PGM_RSRC3_GFX90A:TG_SPLIT: 0
	.section	.text._Z39paged_attention_ll4mi_QKV_mfma16_kernelI14__hip_bfloat16hLN4vllm18Fp8KVCacheDataTypeE1EhLi32ELi128ELi256ELb0ELi13EEvPKT_PKT0_S8_ifPKiSA_SA_iPKfiiiPfSD_PS3_PT2_iSC_SC_,"axG",@progbits,_Z39paged_attention_ll4mi_QKV_mfma16_kernelI14__hip_bfloat16hLN4vllm18Fp8KVCacheDataTypeE1EhLi32ELi128ELi256ELb0ELi13EEvPKT_PKT0_S8_ifPKiSA_SA_iPKfiiiPfSD_PS3_PT2_iSC_SC_,comdat
	.protected	_Z39paged_attention_ll4mi_QKV_mfma16_kernelI14__hip_bfloat16hLN4vllm18Fp8KVCacheDataTypeE1EhLi32ELi128ELi256ELb0ELi13EEvPKT_PKT0_S8_ifPKiSA_SA_iPKfiiiPfSD_PS3_PT2_iSC_SC_ ; -- Begin function _Z39paged_attention_ll4mi_QKV_mfma16_kernelI14__hip_bfloat16hLN4vllm18Fp8KVCacheDataTypeE1EhLi32ELi128ELi256ELb0ELi13EEvPKT_PKT0_S8_ifPKiSA_SA_iPKfiiiPfSD_PS3_PT2_iSC_SC_
	.globl	_Z39paged_attention_ll4mi_QKV_mfma16_kernelI14__hip_bfloat16hLN4vllm18Fp8KVCacheDataTypeE1EhLi32ELi128ELi256ELb0ELi13EEvPKT_PKT0_S8_ifPKiSA_SA_iPKfiiiPfSD_PS3_PT2_iSC_SC_
	.p2align	8
	.type	_Z39paged_attention_ll4mi_QKV_mfma16_kernelI14__hip_bfloat16hLN4vllm18Fp8KVCacheDataTypeE1EhLi32ELi128ELi256ELb0ELi13EEvPKT_PKT0_S8_ifPKiSA_SA_iPKfiiiPfSD_PS3_PT2_iSC_SC_,@function
_Z39paged_attention_ll4mi_QKV_mfma16_kernelI14__hip_bfloat16hLN4vllm18Fp8KVCacheDataTypeE1EhLi32ELi128ELi256ELb0ELi13EEvPKT_PKT0_S8_ifPKiSA_SA_iPKfiiiPfSD_PS3_PT2_iSC_SC_: ; @_Z39paged_attention_ll4mi_QKV_mfma16_kernelI14__hip_bfloat16hLN4vllm18Fp8KVCacheDataTypeE1EhLi32ELi128ELi256ELb0ELi13EEvPKT_PKT0_S8_ifPKiSA_SA_iPKfiiiPfSD_PS3_PT2_iSC_SC_
; %bb.0:
	s_load_dwordx2 s[12:13], s[0:1], 0x30
	s_mov_b32 s22, s3
	s_mov_b64 s[6:7], 0
	s_waitcnt lgkmcnt(0)
	s_cmp_lg_u64 s[12:13], 0
	s_cselect_b64 s[14:15], -1, 0
	s_and_b64 vcc, exec, s[14:15]
	s_cbranch_vccz .LBB1360_7
; %bb.1:
	s_add_i32 s8, s2, 1
	s_mov_b32 s9, 0
	s_lshl_b64 s[10:11], s[8:9], 2
	s_add_u32 s10, s12, s10
	s_mov_b32 s3, s9
	s_addc_u32 s11, s13, s11
	s_lshl_b64 s[8:9], s[2:3], 2
	s_add_u32 s8, s12, s8
	s_addc_u32 s9, s13, s9
	s_load_dword s5, s[10:11], 0x0
	s_load_dword s16, s[8:9], 0x0
	s_waitcnt lgkmcnt(0)
	s_sub_i32 s5, s5, s16
	s_cmp_eq_u32 s5, 1
	s_cselect_b64 s[8:9], -1, 0
	s_andn2_b64 vcc, exec, s[6:7]
	s_cbranch_vccnz .LBB1360_3
.LBB1360_2:
	s_mov_b32 s3, 0
	s_mov_b64 s[8:9], -1
.LBB1360_3:
	s_andn2_b64 vcc, exec, s[8:9]
	s_cbranch_vccnz .LBB1360_18
; %bb.4:
	s_load_dwordx2 s[6:7], s[0:1], 0x28
	s_lshl_b64 s[16:17], s[2:3], 2
	s_waitcnt lgkmcnt(0)
	s_add_u32 s6, s6, s16
	s_addc_u32 s7, s7, s17
	s_load_dword s5, s[6:7], 0x0
	s_lshl_b32 s18, s22, 8
	s_waitcnt lgkmcnt(0)
	s_cmp_ge_i32 s18, s5
	s_cbranch_scc1 .LBB1360_18
; %bb.5:
	s_load_dwordx2 s[6:7], s[0:1], 0x20
	s_load_dword s8, s[0:1], 0x38
	s_add_i32 s9, s5, 31
	s_ashr_i32 s10, s9, 31
	v_and_b32_e32 v1, 0xcf, v0
	s_lshr_b32 s10, s10, 27
	v_add_u32_e32 v1, s18, v1
	s_add_i32 s9, s9, s10
	v_ashrrev_i32_e32 v2, 31, v1
	s_ashr_i32 s19, s9, 5
	v_lshrrev_b32_e32 v8, 27, v2
	s_add_i32 s19, s19, -1
	s_waitcnt lgkmcnt(0)
	s_mul_i32 s8, s2, s8
	s_mov_b32 s9, 0
	v_add_u32_e32 v2, v1, v8
	s_lshl_b64 s[8:9], s[8:9], 2
	v_ashrrev_i32_e32 v2, 5, v2
	v_mov_b32_e32 v9, s19
	v_cmp_gt_i32_e32 vcc, s5, v1
	s_add_u32 s6, s6, s8
	s_addc_u32 s7, s7, s9
	v_cndmask_b32_e32 v2, v9, v2, vcc
	v_ashrrev_i32_e32 v3, 31, v2
	v_lshl_add_u64 v[4:5], v[2:3], 2, s[6:7]
	v_or_b32_e32 v2, 16, v1
	v_add_u32_e32 v3, v2, v8
	v_ashrrev_i32_e32 v3, 5, v3
	v_cmp_gt_i32_e32 vcc, s5, v2
	s_load_dwordx4 s[8:11], s[0:1], 0x8
	s_nop 0
	v_cndmask_b32_e32 v2, v9, v3, vcc
	v_ashrrev_i32_e32 v3, 31, v2
	v_lshl_add_u64 v[6:7], v[2:3], 2, s[6:7]
	v_or_b32_e32 v2, 32, v1
	v_add_u32_e32 v3, v2, v8
	v_ashrrev_i32_e32 v3, 5, v3
	v_cmp_gt_i32_e32 vcc, s5, v2
	v_or_b32_e32 v1, 48, v1
	s_nop 0
	v_cndmask_b32_e32 v2, v9, v3, vcc
	v_ashrrev_i32_e32 v3, 31, v2
	v_lshl_add_u64 v[10:11], v[2:3], 2, s[6:7]
	v_add_u32_e32 v2, v1, v8
	v_ashrrev_i32_e32 v2, 5, v2
	v_cmp_gt_i32_e32 vcc, s5, v1
	s_nop 1
	v_cndmask_b32_e32 v2, v9, v2, vcc
	v_ashrrev_i32_e32 v3, 31, v2
	v_lshl_add_u64 v[12:13], v[2:3], 2, s[6:7]
	global_load_dword v2, v[4:5], off
	global_load_dword v8, v[6:7], off
	;; [unrolled: 1-line block ×4, first 2 shown]
	s_andn2_b64 vcc, exec, s[14:15]
	s_cbranch_vccnz .LBB1360_8
; %bb.6:
	s_add_u32 s12, s12, s16
	s_addc_u32 s13, s13, s17
	s_load_dword s14, s[12:13], 0x0
	s_branch .LBB1360_9
.LBB1360_7:
	s_mov_b64 s[8:9], 0
	s_branch .LBB1360_2
.LBB1360_8:
	s_mov_b32 s14, s2
.LBB1360_9:
	s_load_dwordx4 s[44:47], s[0:1], 0x48
	v_lshrrev_b32_e32 v57, 6, v0
	v_bfe_u32 v60, v0, 4, 2
	v_and_b32_e32 v56, 15, v0
	v_lshl_or_b32 v3, v57, 2, v60
	v_lshlrev_b32_e32 v1, 3, v56
	v_and_b32_e32 v61, 63, v0
	s_mul_i32 s48, s4, 13
	v_cmp_gt_u32_e32 vcc, 13, v3
	v_lshlrev_b32_e32 v54, 1, v1
	v_lshlrev_b32_e32 v1, 4, v0
	s_and_saveexec_b64 s[12:13], vcc
	s_cbranch_execz .LBB1360_11
; %bb.10:
	s_load_dwordx2 s[16:17], s[0:1], 0x0
	s_waitcnt lgkmcnt(0)
	s_ashr_i32 s15, s44, 31
	s_mul_hi_u32 s20, s14, s44
	s_mul_i32 s15, s14, s15
	s_add_i32 s15, s20, s15
	s_mul_i32 s14, s14, s44
	s_lshl_b64 s[14:15], s[14:15], 1
	s_add_u32 s14, s16, s14
	v_add_lshl_u32 v4, v3, s48, 7
	s_addc_u32 s15, s17, s15
	v_ashrrev_i32_e32 v5, 31, v4
	v_lshl_add_u64 v[4:5], v[4:5], 1, s[14:15]
	v_mov_b32_e32 v55, 0
	v_lshl_add_u64 v[4:5], v[4:5], 0, v[54:55]
	global_load_dwordx4 v[4:7], v[4:5], off
	v_lshlrev_b32_e32 v10, 8, v0
	v_lshlrev_b32_e32 v9, 8, v56
	v_and_b32_e32 v10, 0x600, v10
	s_movk_i32 s14, 0x800
	v_and_or_b32 v9, v9, s14, v10
	v_lshlrev_b32_e32 v3, 5, v3
	v_and_b32_e32 v10, 16, v1
	v_or3_b32 v3, v9, v3, v10
	s_waitcnt vmcnt(0)
	ds_write_b128 v3, v[4:7]
.LBB1360_11:
	s_or_b64 exec, exec, s[12:13]
	s_waitcnt lgkmcnt(0)
	s_mul_i32 s12, s4, s46
	s_add_u32 s8, s8, s12
	s_addc_u32 s9, s9, 0
	v_mov_b32_e32 v51, 0
	v_mov_b64_e32 v[12:13], s[8:9]
	v_and_b32_e32 v9, 48, v0
	s_waitcnt vmcnt(3)
	v_mad_i64_i32 v[2:3], s[8:9], v2, s45, v[12:13]
	v_lshlrev_b32_e32 v10, 4, v56
	v_mov_b32_e32 v11, v51
	v_lshlrev_b32_e32 v50, 5, v9
	v_lshl_add_u64 v[2:3], v[2:3], 0, v[10:11]
	v_lshl_add_u64 v[6:7], v[2:3], 0, v[50:51]
	s_load_dword s23, s[0:1], 0x98
	s_load_dwordx4 s[40:43], s[0:1], 0x80
	s_waitcnt lgkmcnt(0)
	s_barrier
	global_load_dwordx4 v[2:5], v[6:7], off
	global_load_dwordx4 v[42:45], v[6:7], off offset:2048
	v_add_u32_e32 v14, -13, v56
	v_cmp_gt_u32_e32 vcc, 13, v56
	s_ashr_i32 s8, s18, 31
	v_or_b32_e32 v24, 0x100, v10
	v_cndmask_b32_e32 v6, v14, v56, vcc
	v_mov_b32_e32 v25, v51
	s_lshr_b32 s13, s8, 27
	s_waitcnt vmcnt(4)
	v_mad_i64_i32 v[30:31], s[8:9], v8, s45, v[12:13]
	v_lshlrev_b32_e32 v6, 5, v6
	v_lshl_add_u64 v[30:31], v[30:31], 0, v[24:25]
	v_lshl_add_u32 v6, v60, 9, v6
	v_lshl_add_u64 v[30:31], v[30:31], 0, v[50:51]
	v_or_b32_e32 v37, s18, v9
	ds_read_b128 v[26:29], v6
	ds_read_b128 v[18:21], v6 offset:16
	ds_read_b128 v[14:17], v6 offset:2048
	;; [unrolled: 1-line block ×3, first 2 shown]
	global_load_dwordx4 v[46:49], v[30:31], off
	s_waitcnt vmcnt(4)
	v_mad_i64_i32 v[32:33], s[8:9], v22, s45, v[12:13]
	v_lshl_add_u64 v[10:11], v[32:33], 0, v[10:11]
	global_load_dwordx4 v[30:33], v[30:31], off offset:2048
	v_or_b32_e32 v38, 64, v37
	v_add_u32_e32 v22, s13, v37
	v_mov_b32_e32 v36, s19
	v_or_b32_e32 v39, 0x80, v37
	s_waitcnt vmcnt(4)
	v_mad_i64_i32 v[12:13], s[8:9], v23, s45, v[12:13]
	v_add_u32_e32 v23, s13, v38
	v_ashrrev_i32_e32 v22, 5, v22
	v_cmp_gt_i32_e32 vcc, s5, v37
	v_or_b32_e32 v40, 0xc0, v37
	v_add_u32_e32 v34, s13, v39
	v_ashrrev_i32_e32 v23, 5, v23
	v_cndmask_b32_e32 v52, v36, v22, vcc
	v_cmp_gt_i32_e32 vcc, s5, v38
	v_add_u32_e32 v35, s13, v40
	v_lshl_add_u64 v[12:13], v[12:13], 0, v[24:25]
	v_ashrrev_i32_e32 v24, 5, v34
	v_cndmask_b32_e32 v58, v36, v23, vcc
	v_cmp_gt_i32_e32 vcc, s5, v39
	v_ashrrev_i32_e32 v25, 5, v35
	v_lshl_add_u64 v[10:11], v[10:11], 0, v[50:51]
	v_lshl_add_u64 v[34:35], v[12:13], 0, v[50:51]
	v_cndmask_b32_e32 v62, v36, v24, vcc
	v_cmp_gt_i32_e32 vcc, s5, v40
	v_ashrrev_i32_e32 v53, 31, v52
	v_ashrrev_i32_e32 v59, 31, v58
	v_cndmask_b32_e32 v64, v36, v25, vcc
	global_load_dwordx4 v[22:25], v[10:11], off
	s_nop 0
	global_load_dwordx4 v[10:13], v[10:11], off offset:2048
	s_nop 0
	global_load_dwordx4 v[38:41], v[34:35], off
	s_nop 0
	global_load_dwordx4 v[34:37], v[34:35], off offset:2048
	v_ashrrev_i32_e32 v63, 31, v62
	v_ashrrev_i32_e32 v65, 31, v64
	v_lshl_add_u64 v[52:53], v[52:53], 2, s[6:7]
	v_lshl_add_u64 v[66:67], v[58:59], 2, s[6:7]
	v_lshl_add_u64 v[62:63], v[62:63], 2, s[6:7]
	v_lshl_add_u64 v[68:69], v[64:65], 2, s[6:7]
	global_load_dword v58, v[52:53], off
	global_load_dword v64, v[66:67], off
	;; [unrolled: 1-line block ×3, first 2 shown]
	s_nop 0
	global_load_dword v62, v[68:69], off
	s_mov_b32 s33, 0x7060302
	s_add_u32 s6, s10, s12
	s_addc_u32 s7, s11, 0
	v_and_b32_e32 v50, 16, v0
	v_lshl_or_b32 v63, v57, 4, v56
	s_load_dword s4, s[0:1], 0x1c
	s_waitcnt vmcnt(11)
	v_cvt_pk_f32_fp8_e32 v[52:53], v2
	v_cvt_pk_f32_fp8_sdwa v[66:67], v2 src0_sel:WORD_1
	v_cvt_pk_f32_fp8_e32 v[68:69], v3
	v_cvt_pk_f32_fp8_sdwa v[2:3], v3 src0_sel:WORD_1
	v_perm_b32 v52, v53, v52, s33
	v_perm_b32 v53, v67, v66, s33
	v_cvt_pk_f32_fp8_e32 v[70:71], v4
	v_cvt_pk_f32_fp8_sdwa v[72:73], v4 src0_sel:WORD_1
	v_perm_b32 v74, v69, v68, s33
	v_perm_b32 v75, v3, v2, s33
	s_waitcnt lgkmcnt(0)
	v_mfma_f32_16x16x16_bf16 v[66:69], v[52:53], v[26:27], 0
	v_cvt_pk_f32_fp8_e32 v[2:3], v5
	v_perm_b32 v52, v71, v70, s33
	v_perm_b32 v53, v73, v72, s33
	v_cvt_pk_f32_fp8_sdwa v[4:5], v5 src0_sel:WORD_1
	v_mfma_f32_16x16x16_bf16 v[66:69], v[74:75], v[28:29], v[66:69]
	v_perm_b32 v70, v3, v2, s33
	s_waitcnt vmcnt(10)
	v_cvt_pk_f32_fp8_e32 v[72:73], v42
	v_cvt_pk_f32_fp8_sdwa v[74:75], v42 src0_sel:WORD_1
	v_perm_b32 v71, v5, v4, s33
	v_mfma_f32_16x16x16_bf16 v[2:5], v[52:53], v[18:19], v[66:69]
	v_perm_b32 v52, v73, v72, s33
	v_perm_b32 v53, v75, v74, s33
	s_waitcnt vmcnt(6)
	v_cvt_pk_f32_fp8_e32 v[74:75], v11
	v_cvt_pk_f32_fp8_e32 v[66:67], v43
	v_cvt_pk_f32_fp8_sdwa v[42:43], v43 src0_sel:WORD_1
	v_mfma_f32_16x16x16_bf16 v[2:5], v[70:71], v[20:21], v[2:5]
	v_cvt_pk_f32_fp8_sdwa v[68:69], v46 src0_sel:WORD_1
	v_perm_b32 v66, v67, v66, s33
	v_perm_b32 v67, v43, v42, s33
	v_mfma_f32_16x16x16_bf16 v[2:5], v[52:53], v[14:15], v[2:5]
	v_cvt_pk_f32_fp8_e32 v[42:43], v44
	v_cvt_pk_f32_fp8_sdwa v[52:53], v44 src0_sel:WORD_1
	v_cvt_pk_f32_fp8_sdwa v[70:71], v30 src0_sel:WORD_1
	v_mfma_f32_16x16x16_bf16 v[2:5], v[66:67], v[16:17], v[2:5]
	v_cvt_pk_f32_fp8_e32 v[66:67], v45
	v_perm_b32 v42, v43, v42, s33
	v_perm_b32 v43, v53, v52, s33
	v_cvt_pk_f32_fp8_sdwa v[44:45], v45 src0_sel:WORD_1
	v_perm_b32 v52, v67, v66, s33
	v_cvt_pk_f32_fp8_e32 v[66:67], v46
	v_mfma_f32_16x16x16_bf16 v[2:5], v[42:43], v[6:7], v[2:5]
	v_perm_b32 v53, v45, v44, s33
	v_perm_b32 v66, v67, v66, s33
	;; [unrolled: 1-line block ×3, first 2 shown]
	v_cvt_pk_f32_fp8_e32 v[68:69], v47
	v_cvt_pk_f32_fp8_sdwa v[46:47], v47 src0_sel:WORD_1
	v_mfma_f32_16x16x16_bf16 v[42:45], v[52:53], v[8:9], v[2:5]
	v_lshl_add_u64 v[52:53], s[6:7], 0, v[50:51]
	v_perm_b32 v68, v69, v68, s33
	v_perm_b32 v69, v47, v46, s33
	v_mfma_f32_16x16x16_bf16 v[2:5], v[66:67], v[26:27], 0
	v_cvt_pk_f32_fp8_e32 v[46:47], v48
	v_cvt_pk_f32_fp8_sdwa v[66:67], v48 src0_sel:WORD_1
	v_lshlrev_b32_e32 v50, 5, v63
	v_mfma_f32_16x16x16_bf16 v[2:5], v[68:69], v[28:29], v[2:5]
	v_cvt_pk_f32_fp8_e32 v[68:69], v49
	v_perm_b32 v46, v47, v46, s33
	v_perm_b32 v47, v67, v66, s33
	v_cvt_pk_f32_fp8_sdwa v[48:49], v49 src0_sel:WORD_1
	v_perm_b32 v66, v69, v68, s33
	v_cvt_pk_f32_fp8_e32 v[68:69], v30
	v_mfma_f32_16x16x16_bf16 v[2:5], v[46:47], v[18:19], v[2:5]
	v_perm_b32 v67, v49, v48, s33
	v_perm_b32 v46, v69, v68, s33
	;; [unrolled: 1-line block ×3, first 2 shown]
	v_cvt_pk_f32_fp8_e32 v[48:49], v31
	v_cvt_pk_f32_fp8_sdwa v[30:31], v31 src0_sel:WORD_1
	v_mfma_f32_16x16x16_bf16 v[2:5], v[66:67], v[20:21], v[2:5]
	v_cvt_pk_f32_fp8_sdwa v[66:67], v22 src0_sel:WORD_1
	v_perm_b32 v48, v49, v48, s33
	v_perm_b32 v49, v31, v30, s33
	v_mfma_f32_16x16x16_bf16 v[2:5], v[46:47], v[14:15], v[2:5]
	v_cvt_pk_f32_fp8_e32 v[30:31], v32
	v_cvt_pk_f32_fp8_sdwa v[46:47], v32 src0_sel:WORD_1
	v_cvt_pk_f32_fp8_sdwa v[80:81], v13 src0_sel:WORD_1
	v_mfma_f32_16x16x16_bf16 v[2:5], v[48:49], v[16:17], v[2:5]
	v_cvt_pk_f32_fp8_e32 v[48:49], v33
	v_perm_b32 v30, v31, v30, s33
	v_perm_b32 v31, v47, v46, s33
	v_cvt_pk_f32_fp8_sdwa v[32:33], v33 src0_sel:WORD_1
	v_perm_b32 v46, v49, v48, s33
	v_cvt_pk_f32_fp8_e32 v[48:49], v22
	v_mfma_f32_16x16x16_bf16 v[2:5], v[30:31], v[6:7], v[2:5]
	v_perm_b32 v47, v33, v32, s33
	v_perm_b32 v30, v49, v48, s33
	;; [unrolled: 1-line block ×3, first 2 shown]
	v_cvt_pk_f32_fp8_e32 v[32:33], v23
	v_cvt_pk_f32_fp8_sdwa v[22:23], v23 src0_sel:WORD_1
	v_mfma_f32_16x16x16_bf16 v[46:49], v[46:47], v[8:9], v[2:5]
	v_lshl_add_u64 v[66:67], v[52:53], 0, v[50:51]
	v_perm_b32 v32, v33, v32, s33
	v_perm_b32 v33, v23, v22, s33
	v_mfma_f32_16x16x16_bf16 v[2:5], v[30:31], v[26:27], 0
	v_cvt_pk_f32_fp8_e32 v[22:23], v24
	v_cvt_pk_f32_fp8_sdwa v[30:31], v24 src0_sel:WORD_1
	s_waitcnt vmcnt(3)
	v_mad_i64_i32 v[68:69], s[6:7], v58, s45, v[66:67]
	v_perm_b32 v22, v23, v22, s33
	v_perm_b32 v23, v31, v30, s33
	v_cvt_pk_f32_fp8_e32 v[30:31], v25
	v_cvt_pk_f32_fp8_sdwa v[24:25], v25 src0_sel:WORD_1
	v_mfma_f32_16x16x16_bf16 v[2:5], v[32:33], v[28:29], v[2:5]
	s_waitcnt vmcnt(2)
	v_mad_i64_i32 v[70:71], s[6:7], v64, s45, v[66:67]
	v_perm_b32 v72, v31, v30, s33
	v_perm_b32 v73, v25, v24, s33
	v_mfma_f32_16x16x16_bf16 v[2:5], v[22:23], v[18:19], v[2:5]
	global_load_dwordx4 v[30:33], v[68:69], off
	global_load_dwordx4 v[22:25], v[70:71], off
	v_cvt_pk_f32_fp8_e32 v[68:69], v10
	s_waitcnt vmcnt(3)
	v_mad_i64_i32 v[70:71], s[6:7], v55, s45, v[66:67]
	v_mfma_f32_16x16x16_bf16 v[2:5], v[72:73], v[20:21], v[2:5]
	v_cvt_pk_f32_fp8_sdwa v[72:73], v10 src0_sel:WORD_1
	v_cvt_pk_f32_fp8_sdwa v[10:11], v11 src0_sel:WORD_1
	v_perm_b32 v68, v69, v68, s33
	s_waitcnt vmcnt(2)
	v_mad_i64_i32 v[76:77], s[6:7], v62, s45, v[66:67]
	v_perm_b32 v69, v73, v72, s33
	v_perm_b32 v72, v75, v74, s33
	;; [unrolled: 1-line block ×3, first 2 shown]
	v_cvt_pk_f32_fp8_e32 v[10:11], v12
	v_cvt_pk_f32_fp8_sdwa v[74:75], v12 src0_sel:WORD_1
	v_mfma_f32_16x16x16_bf16 v[66:69], v[68:69], v[14:15], v[2:5]
	v_or_b32_e32 v50, 0x800, v50
	v_perm_b32 v78, v11, v10, s33
	v_perm_b32 v79, v75, v74, s33
	v_cvt_pk_f32_fp8_e32 v[74:75], v13
	v_mfma_f32_16x16x16_bf16 v[66:69], v[72:73], v[16:17], v[66:69]
	v_lshl_add_u64 v[50:51], v[52:53], 0, v[50:51]
	v_perm_b32 v53, v81, v80, s33
	v_perm_b32 v52, v75, v74, s33
	global_load_dwordx4 v[10:13], v[70:71], off
	global_load_dwordx4 v[2:5], v[76:77], off
	v_mfma_f32_16x16x16_bf16 v[66:69], v[78:79], v[6:7], v[66:69]
	v_cvt_pk_f32_fp8_e32 v[70:71], v38
	v_cvt_pk_f32_fp8_sdwa v[72:73], v38 src0_sel:WORD_1
	v_cvt_pk_f32_fp8_e32 v[74:75], v40
	v_mfma_f32_16x16x16_bf16 v[66:69], v[52:53], v[8:9], v[66:69]
	v_cvt_pk_f32_fp8_e32 v[52:53], v39
	v_perm_b32 v70, v71, v70, s33
	v_perm_b32 v71, v73, v72, s33
	v_cvt_pk_f32_fp8_sdwa v[38:39], v39 src0_sel:WORD_1
	v_perm_b32 v52, v53, v52, s33
	v_cvt_pk_f32_fp8_sdwa v[76:77], v40 src0_sel:WORD_1
	v_mfma_f32_16x16x16_bf16 v[70:73], v[70:71], v[26:27], 0
	v_perm_b32 v53, v39, v38, s33
	v_perm_b32 v38, v75, v74, s33
	v_perm_b32 v39, v77, v76, s33
	v_cvt_pk_f32_fp8_e32 v[74:75], v41
	v_cvt_pk_f32_fp8_sdwa v[40:41], v41 src0_sel:WORD_1
	v_mfma_f32_16x16x16_bf16 v[26:29], v[52:53], v[28:29], v[70:73]
	s_load_dword s6, s[40:41], 0x0
	v_mov_b32_e32 v52, s4
	s_mov_b32 s40, 0xff7fffff
	v_perm_b32 v70, v75, v74, s33
	v_perm_b32 v71, v41, v40, s33
	v_mfma_f32_16x16x16_bf16 v[26:29], v[38:39], v[18:19], v[26:29]
	v_cvt_pk_f32_fp8_e32 v[40:41], v35
	s_waitcnt lgkmcnt(0)
	v_mul_f32_e32 v72, s6, v52
	v_pk_mul_f32 v[52:53], v[72:73], v[42:43] op_sel_hi:[0,1]
	v_mfma_f32_16x16x16_bf16 v[18:21], v[70:71], v[20:21], v[26:29]
	v_pk_mul_f32 v[38:39], v[72:73], v[44:45] op_sel_hi:[0,1]
	v_mad_i64_i32 v[70:71], s[6:7], v58, s45, v[50:51]
	s_nop 0
	v_cvt_pk_f32_fp8_e32 v[26:27], v34
	v_cvt_pk_f32_fp8_sdwa v[28:29], v34 src0_sel:WORD_1
	v_cvt_pk_f32_fp8_sdwa v[34:35], v35 src0_sel:WORD_1
	v_pk_mul_f32 v[58:59], v[72:73], v[46:47] op_sel_hi:[0,1]
	v_perm_b32 v26, v27, v26, s33
	v_perm_b32 v27, v29, v28, s33
	;; [unrolled: 1-line block ×4, first 2 shown]
	v_cvt_pk_f32_fp8_e32 v[34:35], v36
	v_cvt_pk_f32_fp8_sdwa v[40:41], v36 src0_sel:WORD_1
	v_mfma_f32_16x16x16_bf16 v[18:21], v[26:27], v[14:15], v[18:21]
	v_pk_mul_f32 v[48:49], v[72:73], v[48:49] op_sel_hi:[0,1]
	v_perm_b32 v26, v35, v34, s33
	v_perm_b32 v27, v41, v40, s33
	v_cvt_pk_f32_fp8_e32 v[34:35], v37
	v_cvt_pk_f32_fp8_sdwa v[36:37], v37 src0_sel:WORD_1
	v_mfma_f32_16x16x16_bf16 v[14:17], v[28:29], v[16:17], v[18:21]
	v_pk_mul_f32 v[40:41], v[72:73], v[66:67] op_sel_hi:[0,1]
	v_pk_mul_f32 v[44:45], v[72:73], v[68:69] op_sel_hi:[0,1]
	s_nop 0
	v_perm_b32 v18, v35, v34, s33
	v_perm_b32 v19, v37, v36, s33
	v_mfma_f32_16x16x16_bf16 v[14:17], v[26:27], v[6:7], v[14:17]
	s_nop 0
	v_mfma_f32_16x16x16_bf16 v[6:9], v[18:19], v[8:9], v[14:17]
	s_nop 6
	v_pk_mul_f32 v[42:43], v[72:73], v[6:7] op_sel_hi:[0,1]
	v_and_b32_e32 v6, 0xc0, v0
	v_add_u32_e32 v6, s18, v6
	v_lshl_or_b32 v6, v60, 2, v6
	v_pk_mul_f32 v[34:35], v[72:73], v[8:9] op_sel_hi:[0,1]
	v_or_b32_e32 v9, 1, v6
	v_mov_b32_e32 v7, 0xff7fffff
	v_cmp_gt_i32_e64 s[24:25], s5, v6
	v_cmp_gt_i32_e64 s[26:27], s5, v9
	v_or_b32_e32 v14, 3, v6
	v_cndmask_b32_e64 v8, v7, v52, s[24:25]
	v_cndmask_b32_e64 v9, v7, v53, s[26:27]
	v_max3_f32 v8, v8, s40, v9
	v_or_b32_e32 v9, 2, v6
	v_cmp_gt_i32_e64 s[28:29], s5, v9
	v_cmp_gt_i32_e64 s[30:31], s5, v14
	s_nop 0
	v_cndmask_b32_e64 v9, v7, v38, s[28:29]
	v_cndmask_b32_e64 v14, v7, v39, s[30:31]
	v_max3_f32 v8, v8, v9, v14
	v_or_b32_e32 v9, 16, v6
	v_or_b32_e32 v14, 17, v6
	v_cmp_gt_i32_e64 s[34:35], s5, v9
	v_cmp_gt_i32_e64 s[36:37], s5, v14
	s_nop 0
	v_cndmask_b32_e64 v9, v7, v58, s[34:35]
	v_cndmask_b32_e64 v14, v7, v59, s[36:37]
	v_max3_f32 v8, v8, v9, v14
	v_or_b32_e32 v9, 18, v6
	;; [unrolled: 8-line block ×6, first 2 shown]
	v_or_b32_e32 v6, 51, v6
	v_cmp_gt_i32_e32 vcc, s5, v9
	v_cmp_gt_i32_e64 s[4:5], s5, v6
	s_nop 0
	v_cndmask_b32_e32 v9, v7, v34, vcc
	v_cndmask_b32_e64 v6, v7, v35, s[4:5]
	v_max3_f32 v8, v8, v9, v6
	v_mbcnt_lo_u32_b32 v6, -1, 0
	v_mbcnt_hi_u32_b32 v9, -1, v6
	v_and_b32_e32 v6, 64, v9
	v_add_u32_e32 v14, 64, v6
	v_xor_b32_e32 v6, 32, v9
	v_cmp_lt_i32_e64 s[38:39], v6, v14
	s_nop 1
	v_cndmask_b32_e64 v6, v9, v6, s[38:39]
	v_lshlrev_b32_e32 v65, 2, v6
	ds_bpermute_b32 v15, v65, v8
	v_mad_i64_i32 v[6:7], s[38:39], v64, s45, v[50:51]
	global_load_dwordx4 v[26:29], v[70:71], off
	global_load_dwordx4 v[18:21], v[6:7], off
	s_waitcnt lgkmcnt(0)
	v_max_f32_e32 v6, v15, v15
	v_max_f32_e32 v15, v8, v6
	v_xor_b32_e32 v6, 16, v9
	v_cmp_lt_i32_e64 s[38:39], v6, v14
	s_nop 1
	v_cndmask_b32_e64 v6, v9, v6, s[38:39]
	v_lshlrev_b32_e32 v64, 2, v6
	ds_bpermute_b32 v14, v64, v15
	v_mad_i64_i32 v[6:7], s[38:39], v55, s45, v[50:51]
	v_mad_i64_i32 v[8:9], s[38:39], v62, s45, v[50:51]
	s_waitcnt lgkmcnt(0)
	v_max_f32_e32 v14, v14, v14
	v_max_f32_e32 v50, v15, v14
	v_sub_f32_e32 v14, v52, v50
	v_mul_f32_e32 v14, 0x3fb8aa3b, v14
	v_exp_f32_e32 v36, v14
	v_sub_f32_e32 v14, v53, v50
	v_mul_f32_e32 v14, 0x3fb8aa3b, v14
	v_exp_f32_e32 v37, v14
	global_load_dwordx4 v[14:17], v[6:7], off
	s_nop 0
	global_load_dwordx4 v[6:9], v[8:9], off
	v_sub_f32_e32 v38, v38, v50
	v_mul_f32_e32 v38, 0x3fb8aa3b, v38
	v_sub_f32_e32 v39, v39, v50
	v_exp_f32_e32 v38, v38
	v_mul_f32_e32 v39, 0x3fb8aa3b, v39
	v_exp_f32_e32 v39, v39
	v_cndmask_b32_e64 v36, 0, v36, s[24:25]
	v_add_f32_e32 v46, 0, v36
	v_cndmask_b32_e64 v37, 0, v37, s[26:27]
	v_add_f32_e32 v47, v46, v37
	;; [unrolled: 2-line block ×3, first 2 shown]
	v_cndmask_b32_e64 v47, 0, v39, s[30:31]
	v_sub_f32_e32 v39, v58, v50
	v_mul_f32_e32 v39, 0x3fb8aa3b, v39
	v_sub_f32_e32 v51, v59, v50
	v_exp_f32_e32 v39, v39
	v_mul_f32_e32 v51, 0x3fb8aa3b, v51
	v_sub_f32_e32 v48, v48, v50
	v_exp_f32_e32 v51, v51
	;; [unrolled: 3-line block ×4, first 2 shown]
	v_mul_f32_e32 v40, 0x3fb8aa3b, v40
	v_sub_f32_e32 v41, v41, v50
	v_add_f32_e32 v52, v38, v47
	v_cndmask_b32_e64 v38, 0, v39, s[34:35]
	v_exp_f32_e32 v40, v40
	v_mul_f32_e32 v41, 0x3fb8aa3b, v41
	v_sub_f32_e32 v44, v44, v50
	v_add_f32_e32 v52, v52, v38
	v_cndmask_b32_e64 v39, 0, v51, s[36:37]
	v_exp_f32_e32 v41, v41
	;; [unrolled: 5-line block ×7, first 2 shown]
	v_mul_f32_e32 v35, 0x3fb8aa3b, v35
	v_add_f32_e32 v51, v51, v44
	v_cndmask_b32_e64 v45, 0, v45, s[12:13]
	v_exp_f32_e32 v35, v35
	v_add_f32_e32 v51, v51, v45
	v_cndmask_b32_e64 v42, 0, v42, s[6:7]
	v_add_f32_e32 v51, v51, v42
	v_cndmask_b32_e64 v43, 0, v43, s[8:9]
	v_add_f32_e32 v51, v51, v43
	v_cndmask_b32_e32 v34, 0, v34, vcc
	v_add_f32_e32 v51, v51, v34
	v_cndmask_b32_e64 v35, 0, v35, s[4:5]
	v_add_f32_e32 v51, v51, v35
	ds_bpermute_b32 v52, v65, v51
	v_cmp_gt_u32_e64 s[4:5], 16, v61
	s_waitcnt lgkmcnt(0)
	s_barrier
	v_add_f32_e32 v51, v51, v52
	ds_bpermute_b32 v52, v64, v51
	s_and_saveexec_b64 s[6:7], s[4:5]
	s_cbranch_execz .LBB1360_13
; %bb.12:
	s_waitcnt lgkmcnt(0)
	v_add_f32_e32 v51, v51, v52
	v_lshlrev_b32_e32 v52, 2, v63
	ds_write2st64_b32 v52, v50, v51 offset1:1
.LBB1360_13:
	s_or_b64 exec, exec, s[6:7]
	v_lshlrev_b32_e32 v51, 2, v56
	s_load_dword s8, s[0:1], 0x94
	s_waitcnt lgkmcnt(0)
	s_barrier
	ds_read2_b32 v[52:53], v51 offset1:16
	ds_read2_b32 v[58:59], v51 offset0:32 offset1:48
	ds_read2_b32 v[62:63], v51 offset0:64 offset1:80
	s_movk_i32 s10, 0x7fff
	s_mul_i32 s9, s23, 13
	s_waitcnt lgkmcnt(2)
	v_max3_f32 v50, v52, s40, v53
	s_waitcnt lgkmcnt(1)
	v_max3_f32 v50, v50, v58, v59
	v_sub_f32_e32 v52, v52, v50
	v_mul_f32_e32 v52, 0x3fb8aa3b, v52
	v_exp_f32_e32 v55, v52
	v_sub_f32_e32 v52, v53, v50
	v_mul_f32_e32 v52, 0x3fb8aa3b, v52
	v_exp_f32_e32 v61, v52
	;; [unrolled: 3-line block ×3, first 2 shown]
	ds_read2_b32 v[52:53], v51 offset0:96 offset1:112
	v_sub_f32_e32 v51, v59, v50
	v_mul_f32_e32 v51, 0x3fb8aa3b, v51
	v_exp_f32_e32 v59, v51
	s_waitcnt lgkmcnt(1)
	v_fma_f32 v51, v55, v62, 0
	v_fmac_f32_e32 v51, v61, v63
	s_waitcnt lgkmcnt(0)
	v_fmac_f32_e32 v51, v58, v52
	v_fmac_f32_e32 v51, v59, v53
	v_add_f32_e32 v52, 0x358637bd, v51
	v_div_scale_f32 v53, s[6:7], v52, v52, 1.0
	v_rcp_f32_e32 v62, v53
	s_barrier
	v_fma_f32 v63, -v53, v62, 1.0
	v_fmac_f32_e32 v62, v63, v62
	v_div_scale_f32 v63, vcc, 1.0, v52, 1.0
	v_mul_f32_e32 v64, v63, v62
	v_fma_f32 v65, -v53, v64, v63
	v_fmac_f32_e32 v64, v65, v62
	v_fma_f32 v53, -v53, v64, v63
	v_div_fmas_f32 v53, v53, v62, v64
	v_cmp_eq_u32_e32 vcc, 1, v57
	v_div_fixup_f32 v52, v53, v52, 1.0
	s_nop 0
	v_cndmask_b32_e32 v53, v55, v61, vcc
	v_cmp_eq_u32_e32 vcc, 2, v57
	s_nop 1
	v_cndmask_b32_e32 v53, v53, v58, vcc
	v_cmp_eq_u32_e32 vcc, 3, v57
	s_nop 1
	v_cndmask_b32_e32 v53, v53, v59, vcc
	v_mul_f32_e32 v52, v53, v52
	v_pk_mul_f32 v[36:37], v[52:53], v[36:37] op_sel_hi:[0,1]
	v_pk_mul_f32 v[46:47], v[52:53], v[46:47] op_sel_hi:[0,1]
	v_bfe_u32 v53, v37, 16, 1
	v_bfe_u32 v55, v36, 16, 1
	v_add3_u32 v36, v36, v55, s10
	v_add3_u32 v37, v37, v53, s10
	v_perm_b32 v58, v37, v36, s33
	v_bfe_u32 v36, v47, 16, 1
	v_bfe_u32 v37, v46, 16, 1
	v_add3_u32 v37, v46, v37, s10
	v_add3_u32 v36, v47, v36, s10
	v_perm_b32 v59, v36, v37, s33
	v_lshlrev_b32_e32 v37, 3, v60
	v_lshlrev_b32_e32 v36, 5, v56
	;; [unrolled: 1-line block ×3, first 2 shown]
	v_pk_mul_f32 v[38:39], v[52:53], v[38:39] op_sel_hi:[0,1]
	v_or3_b32 v55, v46, v36, v37
	v_pk_mul_f32 v[46:47], v[52:53], v[48:49] op_sel_hi:[0,1]
	v_bfe_u32 v37, v39, 16, 1
	v_bfe_u32 v48, v38, 16, 1
	v_add3_u32 v38, v38, v48, s10
	v_add3_u32 v37, v39, v37, s10
	v_perm_b32 v38, v37, v38, s33
	v_bfe_u32 v37, v47, 16, 1
	v_bfe_u32 v39, v46, 16, 1
	v_add3_u32 v39, v46, v39, s10
	v_add3_u32 v37, v47, v37, s10
	v_perm_b32 v39, v37, v39, s33
	v_pk_mul_f32 v[40:41], v[52:53], v[40:41] op_sel_hi:[0,1]
	ds_write2st64_b64 v55, v[58:59], v[38:39] offset1:1
	v_pk_mul_f32 v[38:39], v[52:53], v[44:45] op_sel_hi:[0,1]
	v_bfe_u32 v37, v41, 16, 1
	v_bfe_u32 v44, v40, 16, 1
	v_add3_u32 v40, v40, v44, s10
	v_add3_u32 v37, v41, v37, s10
	v_perm_b32 v40, v37, v40, s33
	v_bfe_u32 v37, v39, 16, 1
	v_bfe_u32 v41, v38, 16, 1
	v_add3_u32 v38, v38, v41, s10
	v_add3_u32 v37, v39, v37, s10
	v_perm_b32 v41, v37, v38, s33
	v_pk_mul_f32 v[38:39], v[52:53], v[42:43] op_sel_hi:[0,1]
	v_bfe_u32 v37, v39, 16, 1
	v_bfe_u32 v42, v38, 16, 1
	v_pk_mul_f32 v[34:35], v[52:53], v[34:35] op_sel_hi:[0,1]
	v_add3_u32 v38, v38, v42, s10
	v_add3_u32 v37, v39, v37, s10
	v_perm_b32 v38, v37, v38, s33
	v_bfe_u32 v37, v35, 16, 1
	v_bfe_u32 v39, v34, 16, 1
	v_add3_u32 v34, v34, v39, s10
	v_add3_u32 v35, v35, v37, s10
	v_perm_b32 v39, v35, v34, s33
	v_cmp_gt_u32_e32 vcc, 13, v0
	ds_write2st64_b64 v55, v[40:41], v[38:39] offset0:2 offset1:3
	s_and_saveexec_b64 s[6:7], vcc
	s_cbranch_execz .LBB1360_15
; %bb.14:
	s_mov_b32 s49, 0
	v_mov_b32_e32 v57, 0
	v_lshl_add_u64 v[34:35], s[48:49], 0, v[56:57]
	v_mov_b32_e32 v37, s9
	v_mad_u64_u32 v[34:35], s[16:17], s2, v37, v[34:35]
	s_mul_i32 s3, s3, s9
	v_mov_b32_e32 v38, s22
	v_mov_b32_e32 v39, v57
	s_load_dwordx4 s[12:15], s[0:1], 0x58
	v_add_u32_e32 v37, s3, v35
	v_mad_u64_u32 v[34:35], s[16:17], v34, s8, v[38:39]
	v_mov_b32_e32 v38, v35
	v_mad_u64_u32 v[38:39], s[16:17], v37, s8, v[38:39]
	v_mov_b32_e32 v35, v38
	v_lshlrev_b64 v[34:35], 2, v[34:35]
	s_waitcnt lgkmcnt(0)
	v_lshl_add_u64 v[38:39], s[14:15], 0, v[34:35]
	v_lshl_add_u64 v[34:35], s[12:13], 0, v[34:35]
	global_store_dword v[38:39], v50, off
	global_store_dword v[34:35], v51, off
.LBB1360_15:
	s_or_b64 exec, exec, s[6:7]
	v_lshl_or_b32 v50, v60, 9, v36
	s_waitcnt vmcnt(7)
	v_cvt_pk_f32_fp8_e32 v[34:35], v30
	v_cvt_pk_f32_fp8_sdwa v[36:37], v30 src0_sel:WORD_1
	s_mov_b32 s7, 0x7060302
	s_waitcnt lgkmcnt(0)
	s_barrier
	v_cvt_pk_f32_fp8_e32 v[38:39], v31
	v_perm_b32 v30, v35, v34, s7
	v_cvt_pk_f32_fp8_sdwa v[40:41], v31 src0_sel:WORD_1
	v_perm_b32 v31, v37, v36, s7
	ds_read_b128 v[34:37], v50
	v_perm_b32 v46, v39, v38, s7
	v_perm_b32 v47, v41, v40, s7
	ds_read_b128 v[38:41], v50 offset:16
	v_cvt_pk_f32_fp8_e32 v[48:49], v32
	v_cvt_pk_f32_fp8_sdwa v[52:53], v32 src0_sel:WORD_1
	s_waitcnt lgkmcnt(1)
	v_mfma_f32_16x16x16_bf16 v[42:45], v[30:31], v[34:35], 0
	s_waitcnt vmcnt(6)
	v_cvt_pk_f32_fp8_e32 v[58:59], v24
	v_perm_b32 v30, v49, v48, s7
	v_perm_b32 v31, v53, v52, s7
	v_cvt_pk_f32_fp8_e32 v[48:49], v33
	v_mfma_f32_16x16x16_bf16 v[42:45], v[46:47], v[36:37], v[42:45]
	v_cvt_pk_f32_fp8_sdwa v[46:47], v33 src0_sel:WORD_1
	v_cvt_pk_f32_fp8_sdwa v[62:63], v24 src0_sel:WORD_1
	v_perm_b32 v48, v49, v48, s7
	s_waitcnt lgkmcnt(0)
	v_mfma_f32_16x16x16_bf16 v[30:33], v[30:31], v[38:39], v[42:45]
	v_perm_b32 v49, v47, v46, s7
	s_waitcnt vmcnt(5)
	v_cvt_pk_f32_fp8_sdwa v[66:67], v12 src0_sel:WORD_1
	s_waitcnt vmcnt(4)
	v_cvt_pk_f32_fp8_sdwa v[68:69], v4 src0_sel:WORD_1
	v_cvt_pk_f32_fp8_e32 v[42:43], v22
	v_mfma_f32_16x16x16_bf16 v[46:49], v[48:49], v[40:41], v[30:33]
	s_load_dword s6, s[42:43], 0x0
	s_waitcnt vmcnt(3)
	v_cvt_pk_f32_fp8_sdwa v[70:71], v28 src0_sel:WORD_1
	v_cvt_pk_f32_fp8_sdwa v[30:31], v22 src0_sel:WORD_1
	v_cvt_pk_f32_fp8_e32 v[32:33], v23
	v_perm_b32 v22, v43, v42, s7
	v_cvt_pk_f32_fp8_sdwa v[42:43], v23 src0_sel:WORD_1
	v_perm_b32 v23, v31, v30, s7
	v_perm_b32 v52, v33, v32, s7
	ds_read_b128 v[30:33], v50 offset:2048
	v_perm_b32 v53, v43, v42, s7
	ds_read_b128 v[42:45], v50 offset:2064
	s_waitcnt lgkmcnt(0)
	v_mfma_f32_16x16x16_bf16 v[46:49], v[22:23], v[30:31], v[46:49]
	v_perm_b32 v22, v59, v58, s7
	v_perm_b32 v23, v63, v62, s7
	v_cvt_pk_f32_fp8_e32 v[58:59], v25
	v_mfma_f32_16x16x16_bf16 v[46:49], v[52:53], v[32:33], v[46:49]
	v_cvt_pk_f32_fp8_sdwa v[52:53], v25 src0_sel:WORD_1
	s_mov_b32 s3, 0
	v_perm_b32 v58, v59, v58, s7
	v_mfma_f32_16x16x16_bf16 v[22:25], v[22:23], v[42:43], v[46:49]
	v_perm_b32 v59, v53, v52, s7
	v_cmp_gt_u32_e32 vcc, 64, v0
	s_nop 0
	v_cvt_pk_f32_fp8_e32 v[46:47], v10
	v_mfma_f32_16x16x16_bf16 v[62:65], v[58:59], v[44:45], v[22:25]
	v_cvt_pk_f32_fp8_e32 v[58:59], v12
	s_nop 1
	v_cvt_pk_f32_fp8_sdwa v[22:23], v10 src0_sel:WORD_1
	v_cvt_pk_f32_fp8_e32 v[24:25], v11
	v_perm_b32 v10, v47, v46, s7
	v_cvt_pk_f32_fp8_sdwa v[46:47], v11 src0_sel:WORD_1
	v_perm_b32 v11, v23, v22, s7
	v_perm_b32 v52, v25, v24, s7
	ds_read_b128 v[22:25], v50 offset:4096
	v_perm_b32 v53, v47, v46, s7
	ds_read_b128 v[46:49], v50 offset:4112
	s_waitcnt lgkmcnt(1)
	v_mfma_f32_16x16x16_bf16 v[62:65], v[10:11], v[22:23], v[62:65]
	v_perm_b32 v10, v59, v58, s7
	v_perm_b32 v11, v67, v66, s7
	v_cvt_pk_f32_fp8_e32 v[58:59], v13
	v_mfma_f32_16x16x16_bf16 v[62:65], v[52:53], v[24:25], v[62:65]
	v_cvt_pk_f32_fp8_sdwa v[52:53], v13 src0_sel:WORD_1
	v_cvt_pk_f32_fp8_e32 v[66:67], v4
	v_perm_b32 v58, v59, v58, s7
	s_waitcnt lgkmcnt(0)
	v_mfma_f32_16x16x16_bf16 v[10:13], v[10:11], v[46:47], v[62:65]
	v_perm_b32 v59, v53, v52, s7
	v_cvt_pk_f32_fp8_e32 v[52:53], v2
	s_nop 0
	v_mfma_f32_16x16x16_bf16 v[62:65], v[58:59], v[48:49], v[10:13]
	s_nop 2
	v_cvt_pk_f32_fp8_sdwa v[10:11], v2 src0_sel:WORD_1
	v_cvt_pk_f32_fp8_e32 v[12:13], v3
	v_perm_b32 v2, v53, v52, s7
	v_cvt_pk_f32_fp8_sdwa v[52:53], v3 src0_sel:WORD_1
	v_perm_b32 v3, v11, v10, s7
	v_perm_b32 v58, v13, v12, s7
	ds_read_b128 v[10:13], v50 offset:6144
	v_perm_b32 v59, v53, v52, s7
	s_waitcnt lgkmcnt(0)
	v_mfma_f32_16x16x16_bf16 v[62:65], v[2:3], v[10:11], v[62:65]
	ds_read_b128 v[50:53], v50 offset:6160
	v_perm_b32 v2, v67, v66, s7
	v_perm_b32 v3, v69, v68, s7
	v_cvt_pk_f32_fp8_e32 v[66:67], v5
	v_mfma_f32_16x16x16_bf16 v[62:65], v[58:59], v[12:13], v[62:65]
	v_cvt_pk_f32_fp8_sdwa v[58:59], v5 src0_sel:WORD_1
	v_cvt_pk_f32_fp8_e32 v[68:69], v28
	v_perm_b32 v66, v67, v66, s7
	s_waitcnt lgkmcnt(0)
	v_mfma_f32_16x16x16_bf16 v[2:5], v[2:3], v[50:51], v[62:65]
	v_perm_b32 v67, v59, v58, s7
	v_cvt_pk_f32_fp8_sdwa v[58:59], v26 src0_sel:WORD_1
	s_nop 0
	v_mfma_f32_16x16x16_bf16 v[62:65], v[66:67], v[52:53], v[2:5]
	s_barrier
	s_nop 1
	v_cvt_pk_f32_fp8_e32 v[4:5], v26
	s_nop 2
	v_pk_mul_f32 v[66:67], v[62:63], s[6:7] op_sel_hi:[1,0]
	v_cvt_pk_f32_fp8_e32 v[62:63], v27
	v_perm_b32 v4, v5, v4, s7
	v_perm_b32 v5, v59, v58, s7
	v_cvt_pk_f32_fp8_sdwa v[26:27], v27 src0_sel:WORD_1
	v_perm_b32 v58, v63, v62, s7
	v_pk_mul_f32 v[2:3], v[64:65], s[6:7] op_sel_hi:[1,0]
	v_mfma_f32_16x16x16_bf16 v[62:65], v[4:5], v[34:35], 0
	v_perm_b32 v59, v27, v26, s7
	v_perm_b32 v4, v69, v68, s7
	;; [unrolled: 1-line block ×3, first 2 shown]
	v_cvt_pk_f32_fp8_e32 v[34:35], v29
	v_cvt_pk_f32_fp8_sdwa v[68:69], v29 src0_sel:WORD_1
	v_mfma_f32_16x16x16_bf16 v[26:29], v[58:59], v[36:37], v[62:65]
	s_waitcnt vmcnt(2)
	v_cvt_pk_f32_fp8_sdwa v[36:37], v18 src0_sel:WORD_1
	v_perm_b32 v34, v35, v34, s7
	v_perm_b32 v35, v69, v68, s7
	v_mfma_f32_16x16x16_bf16 v[26:29], v[4:5], v[38:39], v[26:29]
	v_cvt_pk_f32_fp8_e32 v[4:5], v18
	v_cvt_pk_f32_fp8_sdwa v[38:39], v20 src0_sel:WORD_1
	v_bfe_u32 v57, v67, 16, 1
	v_mfma_f32_16x16x16_bf16 v[26:29], v[34:35], v[40:41], v[26:29]
	v_cvt_pk_f32_fp8_e32 v[34:35], v19
	v_perm_b32 v4, v5, v4, s7
	v_perm_b32 v5, v37, v36, s7
	v_cvt_pk_f32_fp8_sdwa v[18:19], v19 src0_sel:WORD_1
	v_perm_b32 v34, v35, v34, s7
	v_cvt_pk_f32_fp8_e32 v[36:37], v20
	v_mfma_f32_16x16x16_bf16 v[26:29], v[4:5], v[30:31], v[26:29]
	v_perm_b32 v35, v19, v18, s7
	v_perm_b32 v4, v37, v36, s7
	;; [unrolled: 1-line block ×3, first 2 shown]
	v_cvt_pk_f32_fp8_e32 v[30:31], v21
	v_cvt_pk_f32_fp8_sdwa v[36:37], v21 src0_sel:WORD_1
	v_mfma_f32_16x16x16_bf16 v[18:21], v[34:35], v[32:33], v[26:29]
	v_bfe_u32 v58, v66, 16, 1
	v_add3_u32 v32, v66, v58, s10
	v_add3_u32 v33, v67, v57, s10
	v_perm_b32 v26, v31, v30, s7
	v_perm_b32 v27, v37, v36, s7
	v_mfma_f32_16x16x16_bf16 v[18:21], v[4:5], v[42:43], v[18:21]
	s_waitcnt vmcnt(1)
	v_cvt_pk_f32_fp8_e32 v[4:5], v14
	v_cvt_pk_f32_fp8_sdwa v[28:29], v14 src0_sel:WORD_1
	v_cvt_pk_f32_fp8_sdwa v[30:31], v16 src0_sel:WORD_1
	v_mfma_f32_16x16x16_bf16 v[18:21], v[26:27], v[44:45], v[18:21]
	v_cvt_pk_f32_fp8_e32 v[26:27], v15
	v_perm_b32 v4, v5, v4, s7
	v_perm_b32 v5, v29, v28, s7
	v_cvt_pk_f32_fp8_sdwa v[14:15], v15 src0_sel:WORD_1
	v_perm_b32 v26, v27, v26, s7
	v_cvt_pk_f32_fp8_e32 v[28:29], v16
	v_mfma_f32_16x16x16_bf16 v[18:21], v[4:5], v[22:23], v[18:21]
	v_perm_b32 v27, v15, v14, s7
	v_perm_b32 v4, v29, v28, s7
	;; [unrolled: 1-line block ×3, first 2 shown]
	v_cvt_pk_f32_fp8_e32 v[22:23], v17
	v_cvt_pk_f32_fp8_sdwa v[28:29], v17 src0_sel:WORD_1
	v_mfma_f32_16x16x16_bf16 v[14:17], v[26:27], v[24:25], v[18:21]
	s_waitcnt vmcnt(0)
	v_cvt_pk_f32_fp8_sdwa v[24:25], v8 src0_sel:WORD_1
	s_nop 0
	v_perm_b32 v20, v23, v22, s7
	v_perm_b32 v21, v29, v28, s7
	v_mfma_f32_16x16x16_bf16 v[14:17], v[4:5], v[46:47], v[14:17]
	v_cvt_pk_f32_fp8_e32 v[4:5], v6
	v_cvt_pk_f32_fp8_sdwa v[22:23], v6 src0_sel:WORD_1
	v_bfe_u32 v19, v3, 16, 1
	v_mfma_f32_16x16x16_bf16 v[14:17], v[20:21], v[48:49], v[14:17]
	v_cvt_pk_f32_fp8_e32 v[20:21], v7
	v_perm_b32 v4, v5, v4, s7
	v_perm_b32 v5, v23, v22, s7
	v_cvt_pk_f32_fp8_sdwa v[6:7], v7 src0_sel:WORD_1
	v_perm_b32 v20, v21, v20, s7
	v_cvt_pk_f32_fp8_e32 v[22:23], v8
	v_add3_u32 v3, v3, v19, s10
	v_perm_b32 v21, v7, v6, s7
	v_mfma_f32_16x16x16_bf16 v[4:7], v[4:5], v[10:11], v[14:17]
	v_perm_b32 v10, v23, v22, s7
	v_perm_b32 v11, v25, v24, s7
	;; [unrolled: 1-line block ×3, first 2 shown]
	v_cvt_pk_f32_fp8_e32 v[14:15], v9
	v_cvt_pk_f32_fp8_sdwa v[8:9], v9 src0_sel:WORD_1
	v_mfma_f32_16x16x16_bf16 v[4:7], v[20:21], v[12:13], v[4:7]
	v_bfe_u32 v16, v2, 16, 1
	v_perm_b32 v12, v15, v14, s7
	v_perm_b32 v13, v9, v8, s7
	v_mfma_f32_16x16x16_bf16 v[4:7], v[10:11], v[50:51], v[4:7]
	v_add3_u32 v2, v2, v16, s10
	v_perm_b32 v19, v3, v2, s7
	v_mfma_f32_16x16x16_bf16 v[2:5], v[12:13], v[52:53], v[4:7]
	s_nop 6
	v_pk_mul_f32 v[2:3], v[2:3], s[6:7] op_sel_hi:[1,0]
	v_pk_mul_f32 v[4:5], v[4:5], s[6:7] op_sel_hi:[1,0]
	v_bfe_u32 v6, v3, 16, 1
	v_bfe_u32 v7, v2, 16, 1
	v_add3_u32 v2, v2, v7, s10
	v_add3_u32 v3, v3, v6, s10
	v_perm_b32 v2, v3, v2, s7
	v_bfe_u32 v3, v5, 16, 1
	v_bfe_u32 v6, v4, 16, 1
	v_add3_u32 v4, v4, v6, s10
	v_add3_u32 v3, v5, v3, s10
	v_perm_b32 v3, v3, v4, s7
	ds_write2st64_b64 v55, v[18:19], v[2:3] offset1:1
	s_waitcnt lgkmcnt(0)
	s_barrier
	s_and_saveexec_b64 s[6:7], vcc
	s_cbranch_execz .LBB1360_18
; %bb.16:
	s_load_dwordx2 s[6:7], s[0:1], 0x68
	s_lshl_b32 s0, s8, 7
	s_mul_i32 s1, s9, s2
	v_lshlrev_b32_e32 v3, 6, v56
	s_mul_hi_u32 s9, s1, s0
	s_mul_i32 s8, s1, s0
	v_lshl_or_b32 v0, v0, 10, v3
	s_lshl_b64 s[8:9], s[8:9], 1
	v_lshlrev_b32_e32 v2, 5, v60
	v_and_b32_e32 v1, 16, v1
	v_and_b32_e32 v0, 0x1a00, v0
	s_waitcnt lgkmcnt(0)
	s_add_u32 s1, s6, s8
	v_or3_b32 v2, v0, v2, v1
	s_addc_u32 s6, s7, s9
	s_lshl_b32 s2, s22, 7
	ds_read_b128 v[4:7], v2 offset:256
	s_lshl_b64 s[2:3], s[2:3], 1
	ds_read_b128 v[8:11], v2 offset:128
	ds_read_b128 v[12:15], v2
	s_add_u32 s2, s1, s2
	s_addc_u32 s3, s6, s3
	v_mov_b32_e32 v55, 0
	v_add_u32_e32 v3, s48, v60
	v_lshl_add_u64 v[0:1], s[2:3], 0, v[54:55]
	v_mad_u64_u32 v[16:17], s[2:3], v3, s0, 0
	v_lshl_add_u64 v[16:17], v[16:17], 1, v[0:1]
	s_waitcnt lgkmcnt(0)
	global_store_dwordx4 v[16:17], v[12:15], off
	s_nop 1
	v_add_u32_e32 v12, 4, v3
	v_mad_u64_u32 v[12:13], s[2:3], v12, s0, 0
	v_lshl_add_u64 v[12:13], v[12:13], 1, v[0:1]
	v_add_u32_e32 v3, 8, v3
	global_store_dwordx4 v[12:13], v[8:11], off
	s_nop 1
	v_mad_u64_u32 v[8:9], s[2:3], v3, s0, 0
	v_lshl_add_u64 v[8:9], v[8:9], 1, v[0:1]
	global_store_dwordx4 v[8:9], v[4:7], off
	s_and_b64 exec, exec, s[4:5]
	s_cbranch_execz .LBB1360_18
; %bb.17:
	ds_read_b128 v[2:5], v2 offset:384
	v_add3_u32 v6, s48, v60, 12
	v_mad_u64_u32 v[6:7], s[0:1], v6, s0, 0
	v_lshl_add_u64 v[0:1], v[6:7], 1, v[0:1]
	s_waitcnt lgkmcnt(0)
	global_store_dwordx4 v[0:1], v[2:5], off
.LBB1360_18:
	s_endpgm
	.section	.rodata,"a",@progbits
	.p2align	6, 0x0
	.amdhsa_kernel _Z39paged_attention_ll4mi_QKV_mfma16_kernelI14__hip_bfloat16hLN4vllm18Fp8KVCacheDataTypeE1EhLi32ELi128ELi256ELb0ELi13EEvPKT_PKT0_S8_ifPKiSA_SA_iPKfiiiPfSD_PS3_PT2_iSC_SC_
		.amdhsa_group_segment_fixed_size 8192
		.amdhsa_private_segment_fixed_size 0
		.amdhsa_kernarg_size 400
		.amdhsa_user_sgpr_count 2
		.amdhsa_user_sgpr_dispatch_ptr 0
		.amdhsa_user_sgpr_queue_ptr 0
		.amdhsa_user_sgpr_kernarg_segment_ptr 1
		.amdhsa_user_sgpr_dispatch_id 0
		.amdhsa_user_sgpr_kernarg_preload_length 0
		.amdhsa_user_sgpr_kernarg_preload_offset 0
		.amdhsa_user_sgpr_private_segment_size 0
		.amdhsa_uses_dynamic_stack 0
		.amdhsa_enable_private_segment 0
		.amdhsa_system_sgpr_workgroup_id_x 1
		.amdhsa_system_sgpr_workgroup_id_y 1
		.amdhsa_system_sgpr_workgroup_id_z 1
		.amdhsa_system_sgpr_workgroup_info 0
		.amdhsa_system_vgpr_workitem_id 0
		.amdhsa_next_free_vgpr 82
		.amdhsa_next_free_sgpr 50
		.amdhsa_accum_offset 84
		.amdhsa_reserve_vcc 1
		.amdhsa_float_round_mode_32 0
		.amdhsa_float_round_mode_16_64 0
		.amdhsa_float_denorm_mode_32 3
		.amdhsa_float_denorm_mode_16_64 3
		.amdhsa_dx10_clamp 1
		.amdhsa_ieee_mode 1
		.amdhsa_fp16_overflow 0
		.amdhsa_tg_split 0
		.amdhsa_exception_fp_ieee_invalid_op 0
		.amdhsa_exception_fp_denorm_src 0
		.amdhsa_exception_fp_ieee_div_zero 0
		.amdhsa_exception_fp_ieee_overflow 0
		.amdhsa_exception_fp_ieee_underflow 0
		.amdhsa_exception_fp_ieee_inexact 0
		.amdhsa_exception_int_div_zero 0
	.end_amdhsa_kernel
	.section	.text._Z39paged_attention_ll4mi_QKV_mfma16_kernelI14__hip_bfloat16hLN4vllm18Fp8KVCacheDataTypeE1EhLi32ELi128ELi256ELb0ELi13EEvPKT_PKT0_S8_ifPKiSA_SA_iPKfiiiPfSD_PS3_PT2_iSC_SC_,"axG",@progbits,_Z39paged_attention_ll4mi_QKV_mfma16_kernelI14__hip_bfloat16hLN4vllm18Fp8KVCacheDataTypeE1EhLi32ELi128ELi256ELb0ELi13EEvPKT_PKT0_S8_ifPKiSA_SA_iPKfiiiPfSD_PS3_PT2_iSC_SC_,comdat
.Lfunc_end1360:
	.size	_Z39paged_attention_ll4mi_QKV_mfma16_kernelI14__hip_bfloat16hLN4vllm18Fp8KVCacheDataTypeE1EhLi32ELi128ELi256ELb0ELi13EEvPKT_PKT0_S8_ifPKiSA_SA_iPKfiiiPfSD_PS3_PT2_iSC_SC_, .Lfunc_end1360-_Z39paged_attention_ll4mi_QKV_mfma16_kernelI14__hip_bfloat16hLN4vllm18Fp8KVCacheDataTypeE1EhLi32ELi128ELi256ELb0ELi13EEvPKT_PKT0_S8_ifPKiSA_SA_iPKfiiiPfSD_PS3_PT2_iSC_SC_
                                        ; -- End function
	.section	.AMDGPU.csdata,"",@progbits
; Kernel info:
; codeLenInByte = 6456
; NumSgprs: 56
; NumVgprs: 82
; NumAgprs: 0
; TotalNumVgprs: 82
; ScratchSize: 0
; MemoryBound: 0
; FloatMode: 240
; IeeeMode: 1
; LDSByteSize: 8192 bytes/workgroup (compile time only)
; SGPRBlocks: 6
; VGPRBlocks: 10
; NumSGPRsForWavesPerEU: 56
; NumVGPRsForWavesPerEU: 82
; AccumOffset: 84
; Occupancy: 5
; WaveLimiterHint : 1
; COMPUTE_PGM_RSRC2:SCRATCH_EN: 0
; COMPUTE_PGM_RSRC2:USER_SGPR: 2
; COMPUTE_PGM_RSRC2:TRAP_HANDLER: 0
; COMPUTE_PGM_RSRC2:TGID_X_EN: 1
; COMPUTE_PGM_RSRC2:TGID_Y_EN: 1
; COMPUTE_PGM_RSRC2:TGID_Z_EN: 1
; COMPUTE_PGM_RSRC2:TIDIG_COMP_CNT: 0
; COMPUTE_PGM_RSRC3_GFX90A:ACCUM_OFFSET: 20
; COMPUTE_PGM_RSRC3_GFX90A:TG_SPLIT: 0
	.section	.text._Z39paged_attention_ll4mi_QKV_mfma16_kernelI14__hip_bfloat16hLN4vllm18Fp8KVCacheDataTypeE1EhLi32ELi128ELi256ELb0ELi14EEvPKT_PKT0_S8_ifPKiSA_SA_iPKfiiiPfSD_PS3_PT2_iSC_SC_,"axG",@progbits,_Z39paged_attention_ll4mi_QKV_mfma16_kernelI14__hip_bfloat16hLN4vllm18Fp8KVCacheDataTypeE1EhLi32ELi128ELi256ELb0ELi14EEvPKT_PKT0_S8_ifPKiSA_SA_iPKfiiiPfSD_PS3_PT2_iSC_SC_,comdat
	.protected	_Z39paged_attention_ll4mi_QKV_mfma16_kernelI14__hip_bfloat16hLN4vllm18Fp8KVCacheDataTypeE1EhLi32ELi128ELi256ELb0ELi14EEvPKT_PKT0_S8_ifPKiSA_SA_iPKfiiiPfSD_PS3_PT2_iSC_SC_ ; -- Begin function _Z39paged_attention_ll4mi_QKV_mfma16_kernelI14__hip_bfloat16hLN4vllm18Fp8KVCacheDataTypeE1EhLi32ELi128ELi256ELb0ELi14EEvPKT_PKT0_S8_ifPKiSA_SA_iPKfiiiPfSD_PS3_PT2_iSC_SC_
	.globl	_Z39paged_attention_ll4mi_QKV_mfma16_kernelI14__hip_bfloat16hLN4vllm18Fp8KVCacheDataTypeE1EhLi32ELi128ELi256ELb0ELi14EEvPKT_PKT0_S8_ifPKiSA_SA_iPKfiiiPfSD_PS3_PT2_iSC_SC_
	.p2align	8
	.type	_Z39paged_attention_ll4mi_QKV_mfma16_kernelI14__hip_bfloat16hLN4vllm18Fp8KVCacheDataTypeE1EhLi32ELi128ELi256ELb0ELi14EEvPKT_PKT0_S8_ifPKiSA_SA_iPKfiiiPfSD_PS3_PT2_iSC_SC_,@function
_Z39paged_attention_ll4mi_QKV_mfma16_kernelI14__hip_bfloat16hLN4vllm18Fp8KVCacheDataTypeE1EhLi32ELi128ELi256ELb0ELi14EEvPKT_PKT0_S8_ifPKiSA_SA_iPKfiiiPfSD_PS3_PT2_iSC_SC_: ; @_Z39paged_attention_ll4mi_QKV_mfma16_kernelI14__hip_bfloat16hLN4vllm18Fp8KVCacheDataTypeE1EhLi32ELi128ELi256ELb0ELi14EEvPKT_PKT0_S8_ifPKiSA_SA_iPKfiiiPfSD_PS3_PT2_iSC_SC_
; %bb.0:
	s_load_dwordx2 s[12:13], s[0:1], 0x30
	s_mov_b32 s22, s3
	s_mov_b64 s[6:7], 0
	s_waitcnt lgkmcnt(0)
	s_cmp_lg_u64 s[12:13], 0
	s_cselect_b64 s[14:15], -1, 0
	s_and_b64 vcc, exec, s[14:15]
	s_cbranch_vccz .LBB1361_7
; %bb.1:
	s_add_i32 s8, s2, 1
	s_mov_b32 s9, 0
	s_lshl_b64 s[10:11], s[8:9], 2
	s_add_u32 s10, s12, s10
	s_mov_b32 s3, s9
	s_addc_u32 s11, s13, s11
	s_lshl_b64 s[8:9], s[2:3], 2
	s_add_u32 s8, s12, s8
	s_addc_u32 s9, s13, s9
	s_load_dword s5, s[10:11], 0x0
	s_load_dword s16, s[8:9], 0x0
	s_waitcnt lgkmcnt(0)
	s_sub_i32 s5, s5, s16
	s_cmp_eq_u32 s5, 1
	s_cselect_b64 s[8:9], -1, 0
	s_andn2_b64 vcc, exec, s[6:7]
	s_cbranch_vccnz .LBB1361_3
.LBB1361_2:
	s_mov_b32 s3, 0
	s_mov_b64 s[8:9], -1
.LBB1361_3:
	s_andn2_b64 vcc, exec, s[8:9]
	s_cbranch_vccnz .LBB1361_18
; %bb.4:
	s_load_dwordx2 s[6:7], s[0:1], 0x28
	s_lshl_b64 s[16:17], s[2:3], 2
	s_waitcnt lgkmcnt(0)
	s_add_u32 s6, s6, s16
	s_addc_u32 s7, s7, s17
	s_load_dword s5, s[6:7], 0x0
	s_lshl_b32 s18, s22, 8
	s_waitcnt lgkmcnt(0)
	s_cmp_ge_i32 s18, s5
	s_cbranch_scc1 .LBB1361_18
; %bb.5:
	s_load_dwordx2 s[6:7], s[0:1], 0x20
	s_load_dword s8, s[0:1], 0x38
	s_add_i32 s9, s5, 31
	s_ashr_i32 s10, s9, 31
	v_and_b32_e32 v1, 0xcf, v0
	s_lshr_b32 s10, s10, 27
	v_add_u32_e32 v1, s18, v1
	s_add_i32 s9, s9, s10
	v_ashrrev_i32_e32 v2, 31, v1
	s_ashr_i32 s19, s9, 5
	v_lshrrev_b32_e32 v8, 27, v2
	s_add_i32 s19, s19, -1
	s_waitcnt lgkmcnt(0)
	s_mul_i32 s8, s2, s8
	s_mov_b32 s9, 0
	v_add_u32_e32 v2, v1, v8
	s_lshl_b64 s[8:9], s[8:9], 2
	v_ashrrev_i32_e32 v2, 5, v2
	v_mov_b32_e32 v9, s19
	v_cmp_gt_i32_e32 vcc, s5, v1
	s_add_u32 s6, s6, s8
	s_addc_u32 s7, s7, s9
	v_cndmask_b32_e32 v2, v9, v2, vcc
	v_ashrrev_i32_e32 v3, 31, v2
	v_lshl_add_u64 v[4:5], v[2:3], 2, s[6:7]
	v_or_b32_e32 v2, 16, v1
	v_add_u32_e32 v3, v2, v8
	v_ashrrev_i32_e32 v3, 5, v3
	v_cmp_gt_i32_e32 vcc, s5, v2
	s_load_dwordx4 s[8:11], s[0:1], 0x8
	s_nop 0
	v_cndmask_b32_e32 v2, v9, v3, vcc
	v_ashrrev_i32_e32 v3, 31, v2
	v_lshl_add_u64 v[6:7], v[2:3], 2, s[6:7]
	v_or_b32_e32 v2, 32, v1
	v_add_u32_e32 v3, v2, v8
	v_ashrrev_i32_e32 v3, 5, v3
	v_cmp_gt_i32_e32 vcc, s5, v2
	v_or_b32_e32 v1, 48, v1
	s_nop 0
	v_cndmask_b32_e32 v2, v9, v3, vcc
	v_ashrrev_i32_e32 v3, 31, v2
	v_lshl_add_u64 v[10:11], v[2:3], 2, s[6:7]
	v_add_u32_e32 v2, v1, v8
	v_ashrrev_i32_e32 v2, 5, v2
	v_cmp_gt_i32_e32 vcc, s5, v1
	s_nop 1
	v_cndmask_b32_e32 v2, v9, v2, vcc
	v_ashrrev_i32_e32 v3, 31, v2
	v_lshl_add_u64 v[12:13], v[2:3], 2, s[6:7]
	global_load_dword v2, v[4:5], off
	global_load_dword v8, v[6:7], off
	;; [unrolled: 1-line block ×4, first 2 shown]
	s_andn2_b64 vcc, exec, s[14:15]
	s_cbranch_vccnz .LBB1361_8
; %bb.6:
	s_add_u32 s12, s12, s16
	s_addc_u32 s13, s13, s17
	s_load_dword s14, s[12:13], 0x0
	s_branch .LBB1361_9
.LBB1361_7:
	s_mov_b64 s[8:9], 0
	s_branch .LBB1361_2
.LBB1361_8:
	s_mov_b32 s14, s2
.LBB1361_9:
	s_load_dwordx4 s[44:47], s[0:1], 0x48
	v_lshrrev_b32_e32 v57, 6, v0
	v_bfe_u32 v60, v0, 4, 2
	v_and_b32_e32 v56, 15, v0
	v_lshl_or_b32 v3, v57, 2, v60
	v_lshlrev_b32_e32 v1, 3, v56
	v_and_b32_e32 v61, 63, v0
	s_mul_i32 s48, s4, 14
	v_cmp_gt_u32_e32 vcc, 14, v3
	v_lshlrev_b32_e32 v54, 1, v1
	v_lshlrev_b32_e32 v1, 4, v0
	s_and_saveexec_b64 s[12:13], vcc
	s_cbranch_execz .LBB1361_11
; %bb.10:
	s_load_dwordx2 s[16:17], s[0:1], 0x0
	s_waitcnt lgkmcnt(0)
	s_ashr_i32 s15, s44, 31
	s_mul_hi_u32 s20, s14, s44
	s_mul_i32 s15, s14, s15
	s_add_i32 s15, s20, s15
	s_mul_i32 s14, s14, s44
	s_lshl_b64 s[14:15], s[14:15], 1
	s_add_u32 s14, s16, s14
	v_add_lshl_u32 v4, v3, s48, 7
	s_addc_u32 s15, s17, s15
	v_ashrrev_i32_e32 v5, 31, v4
	v_lshl_add_u64 v[4:5], v[4:5], 1, s[14:15]
	v_mov_b32_e32 v55, 0
	v_lshl_add_u64 v[4:5], v[4:5], 0, v[54:55]
	global_load_dwordx4 v[4:7], v[4:5], off
	v_lshlrev_b32_e32 v10, 8, v0
	v_lshlrev_b32_e32 v9, 8, v56
	v_and_b32_e32 v10, 0x600, v10
	s_movk_i32 s14, 0x800
	v_and_or_b32 v9, v9, s14, v10
	v_lshlrev_b32_e32 v3, 5, v3
	v_and_b32_e32 v10, 16, v1
	v_or3_b32 v3, v9, v3, v10
	s_waitcnt vmcnt(0)
	ds_write_b128 v3, v[4:7]
.LBB1361_11:
	s_or_b64 exec, exec, s[12:13]
	s_waitcnt lgkmcnt(0)
	s_mul_i32 s12, s4, s46
	s_add_u32 s8, s8, s12
	s_addc_u32 s9, s9, 0
	v_mov_b32_e32 v51, 0
	v_mov_b64_e32 v[12:13], s[8:9]
	v_and_b32_e32 v9, 48, v0
	s_waitcnt vmcnt(3)
	v_mad_i64_i32 v[2:3], s[8:9], v2, s45, v[12:13]
	v_lshlrev_b32_e32 v10, 4, v56
	v_mov_b32_e32 v11, v51
	v_lshlrev_b32_e32 v50, 5, v9
	v_lshl_add_u64 v[2:3], v[2:3], 0, v[10:11]
	v_lshl_add_u64 v[6:7], v[2:3], 0, v[50:51]
	s_load_dword s23, s[0:1], 0x98
	s_load_dwordx4 s[40:43], s[0:1], 0x80
	s_waitcnt lgkmcnt(0)
	s_barrier
	global_load_dwordx4 v[2:5], v[6:7], off
	global_load_dwordx4 v[42:45], v[6:7], off offset:2048
	v_add_u32_e32 v14, -14, v56
	v_cmp_gt_u32_e32 vcc, 14, v56
	s_ashr_i32 s8, s18, 31
	v_or_b32_e32 v24, 0x100, v10
	v_cndmask_b32_e32 v6, v14, v56, vcc
	v_mov_b32_e32 v25, v51
	s_lshr_b32 s13, s8, 27
	s_waitcnt vmcnt(4)
	v_mad_i64_i32 v[30:31], s[8:9], v8, s45, v[12:13]
	v_lshlrev_b32_e32 v6, 5, v6
	v_lshl_add_u64 v[30:31], v[30:31], 0, v[24:25]
	v_lshl_add_u32 v6, v60, 9, v6
	v_lshl_add_u64 v[30:31], v[30:31], 0, v[50:51]
	v_or_b32_e32 v37, s18, v9
	ds_read_b128 v[26:29], v6
	ds_read_b128 v[18:21], v6 offset:16
	ds_read_b128 v[14:17], v6 offset:2048
	;; [unrolled: 1-line block ×3, first 2 shown]
	global_load_dwordx4 v[46:49], v[30:31], off
	s_waitcnt vmcnt(4)
	v_mad_i64_i32 v[32:33], s[8:9], v22, s45, v[12:13]
	v_lshl_add_u64 v[10:11], v[32:33], 0, v[10:11]
	global_load_dwordx4 v[30:33], v[30:31], off offset:2048
	v_or_b32_e32 v38, 64, v37
	v_add_u32_e32 v22, s13, v37
	v_mov_b32_e32 v36, s19
	v_or_b32_e32 v39, 0x80, v37
	s_waitcnt vmcnt(4)
	v_mad_i64_i32 v[12:13], s[8:9], v23, s45, v[12:13]
	v_add_u32_e32 v23, s13, v38
	v_ashrrev_i32_e32 v22, 5, v22
	v_cmp_gt_i32_e32 vcc, s5, v37
	v_or_b32_e32 v40, 0xc0, v37
	v_add_u32_e32 v34, s13, v39
	v_ashrrev_i32_e32 v23, 5, v23
	v_cndmask_b32_e32 v52, v36, v22, vcc
	v_cmp_gt_i32_e32 vcc, s5, v38
	v_add_u32_e32 v35, s13, v40
	v_lshl_add_u64 v[12:13], v[12:13], 0, v[24:25]
	v_ashrrev_i32_e32 v24, 5, v34
	v_cndmask_b32_e32 v58, v36, v23, vcc
	v_cmp_gt_i32_e32 vcc, s5, v39
	v_ashrrev_i32_e32 v25, 5, v35
	v_lshl_add_u64 v[10:11], v[10:11], 0, v[50:51]
	v_lshl_add_u64 v[34:35], v[12:13], 0, v[50:51]
	v_cndmask_b32_e32 v62, v36, v24, vcc
	v_cmp_gt_i32_e32 vcc, s5, v40
	v_ashrrev_i32_e32 v53, 31, v52
	v_ashrrev_i32_e32 v59, 31, v58
	v_cndmask_b32_e32 v64, v36, v25, vcc
	global_load_dwordx4 v[22:25], v[10:11], off
	s_nop 0
	global_load_dwordx4 v[10:13], v[10:11], off offset:2048
	s_nop 0
	global_load_dwordx4 v[38:41], v[34:35], off
	s_nop 0
	global_load_dwordx4 v[34:37], v[34:35], off offset:2048
	v_ashrrev_i32_e32 v63, 31, v62
	v_ashrrev_i32_e32 v65, 31, v64
	v_lshl_add_u64 v[52:53], v[52:53], 2, s[6:7]
	v_lshl_add_u64 v[66:67], v[58:59], 2, s[6:7]
	;; [unrolled: 1-line block ×4, first 2 shown]
	global_load_dword v58, v[52:53], off
	global_load_dword v64, v[66:67], off
	;; [unrolled: 1-line block ×3, first 2 shown]
	s_nop 0
	global_load_dword v62, v[68:69], off
	s_mov_b32 s33, 0x7060302
	s_add_u32 s6, s10, s12
	s_addc_u32 s7, s11, 0
	v_and_b32_e32 v50, 16, v0
	v_lshl_or_b32 v63, v57, 4, v56
	s_load_dword s4, s[0:1], 0x1c
	s_waitcnt vmcnt(11)
	v_cvt_pk_f32_fp8_e32 v[52:53], v2
	v_cvt_pk_f32_fp8_sdwa v[66:67], v2 src0_sel:WORD_1
	v_cvt_pk_f32_fp8_e32 v[68:69], v3
	v_cvt_pk_f32_fp8_sdwa v[2:3], v3 src0_sel:WORD_1
	v_perm_b32 v52, v53, v52, s33
	v_perm_b32 v53, v67, v66, s33
	v_cvt_pk_f32_fp8_e32 v[70:71], v4
	v_cvt_pk_f32_fp8_sdwa v[72:73], v4 src0_sel:WORD_1
	v_perm_b32 v74, v69, v68, s33
	v_perm_b32 v75, v3, v2, s33
	s_waitcnt lgkmcnt(0)
	v_mfma_f32_16x16x16_bf16 v[66:69], v[52:53], v[26:27], 0
	v_cvt_pk_f32_fp8_e32 v[2:3], v5
	v_perm_b32 v52, v71, v70, s33
	v_perm_b32 v53, v73, v72, s33
	v_cvt_pk_f32_fp8_sdwa v[4:5], v5 src0_sel:WORD_1
	v_mfma_f32_16x16x16_bf16 v[66:69], v[74:75], v[28:29], v[66:69]
	v_perm_b32 v70, v3, v2, s33
	s_waitcnt vmcnt(10)
	v_cvt_pk_f32_fp8_e32 v[72:73], v42
	v_cvt_pk_f32_fp8_sdwa v[74:75], v42 src0_sel:WORD_1
	v_perm_b32 v71, v5, v4, s33
	v_mfma_f32_16x16x16_bf16 v[2:5], v[52:53], v[18:19], v[66:69]
	v_perm_b32 v52, v73, v72, s33
	v_perm_b32 v53, v75, v74, s33
	s_waitcnt vmcnt(6)
	v_cvt_pk_f32_fp8_e32 v[74:75], v11
	v_cvt_pk_f32_fp8_e32 v[66:67], v43
	v_cvt_pk_f32_fp8_sdwa v[42:43], v43 src0_sel:WORD_1
	v_mfma_f32_16x16x16_bf16 v[2:5], v[70:71], v[20:21], v[2:5]
	v_cvt_pk_f32_fp8_sdwa v[68:69], v46 src0_sel:WORD_1
	v_perm_b32 v66, v67, v66, s33
	v_perm_b32 v67, v43, v42, s33
	v_mfma_f32_16x16x16_bf16 v[2:5], v[52:53], v[14:15], v[2:5]
	v_cvt_pk_f32_fp8_e32 v[42:43], v44
	v_cvt_pk_f32_fp8_sdwa v[52:53], v44 src0_sel:WORD_1
	v_cvt_pk_f32_fp8_sdwa v[70:71], v30 src0_sel:WORD_1
	v_mfma_f32_16x16x16_bf16 v[2:5], v[66:67], v[16:17], v[2:5]
	v_cvt_pk_f32_fp8_e32 v[66:67], v45
	v_perm_b32 v42, v43, v42, s33
	v_perm_b32 v43, v53, v52, s33
	v_cvt_pk_f32_fp8_sdwa v[44:45], v45 src0_sel:WORD_1
	v_perm_b32 v52, v67, v66, s33
	v_cvt_pk_f32_fp8_e32 v[66:67], v46
	v_mfma_f32_16x16x16_bf16 v[2:5], v[42:43], v[6:7], v[2:5]
	v_perm_b32 v53, v45, v44, s33
	v_perm_b32 v66, v67, v66, s33
	;; [unrolled: 1-line block ×3, first 2 shown]
	v_cvt_pk_f32_fp8_e32 v[68:69], v47
	v_cvt_pk_f32_fp8_sdwa v[46:47], v47 src0_sel:WORD_1
	v_mfma_f32_16x16x16_bf16 v[42:45], v[52:53], v[8:9], v[2:5]
	v_lshl_add_u64 v[52:53], s[6:7], 0, v[50:51]
	v_perm_b32 v68, v69, v68, s33
	v_perm_b32 v69, v47, v46, s33
	v_mfma_f32_16x16x16_bf16 v[2:5], v[66:67], v[26:27], 0
	v_cvt_pk_f32_fp8_e32 v[46:47], v48
	v_cvt_pk_f32_fp8_sdwa v[66:67], v48 src0_sel:WORD_1
	v_lshlrev_b32_e32 v50, 5, v63
	v_mfma_f32_16x16x16_bf16 v[2:5], v[68:69], v[28:29], v[2:5]
	v_cvt_pk_f32_fp8_e32 v[68:69], v49
	v_perm_b32 v46, v47, v46, s33
	v_perm_b32 v47, v67, v66, s33
	v_cvt_pk_f32_fp8_sdwa v[48:49], v49 src0_sel:WORD_1
	v_perm_b32 v66, v69, v68, s33
	v_cvt_pk_f32_fp8_e32 v[68:69], v30
	v_mfma_f32_16x16x16_bf16 v[2:5], v[46:47], v[18:19], v[2:5]
	v_perm_b32 v67, v49, v48, s33
	v_perm_b32 v46, v69, v68, s33
	;; [unrolled: 1-line block ×3, first 2 shown]
	v_cvt_pk_f32_fp8_e32 v[48:49], v31
	v_cvt_pk_f32_fp8_sdwa v[30:31], v31 src0_sel:WORD_1
	v_mfma_f32_16x16x16_bf16 v[2:5], v[66:67], v[20:21], v[2:5]
	v_cvt_pk_f32_fp8_sdwa v[66:67], v22 src0_sel:WORD_1
	v_perm_b32 v48, v49, v48, s33
	v_perm_b32 v49, v31, v30, s33
	v_mfma_f32_16x16x16_bf16 v[2:5], v[46:47], v[14:15], v[2:5]
	v_cvt_pk_f32_fp8_e32 v[30:31], v32
	v_cvt_pk_f32_fp8_sdwa v[46:47], v32 src0_sel:WORD_1
	v_cvt_pk_f32_fp8_sdwa v[80:81], v13 src0_sel:WORD_1
	v_mfma_f32_16x16x16_bf16 v[2:5], v[48:49], v[16:17], v[2:5]
	v_cvt_pk_f32_fp8_e32 v[48:49], v33
	v_perm_b32 v30, v31, v30, s33
	v_perm_b32 v31, v47, v46, s33
	v_cvt_pk_f32_fp8_sdwa v[32:33], v33 src0_sel:WORD_1
	v_perm_b32 v46, v49, v48, s33
	v_cvt_pk_f32_fp8_e32 v[48:49], v22
	v_mfma_f32_16x16x16_bf16 v[2:5], v[30:31], v[6:7], v[2:5]
	v_perm_b32 v47, v33, v32, s33
	v_perm_b32 v30, v49, v48, s33
	;; [unrolled: 1-line block ×3, first 2 shown]
	v_cvt_pk_f32_fp8_e32 v[32:33], v23
	v_cvt_pk_f32_fp8_sdwa v[22:23], v23 src0_sel:WORD_1
	v_mfma_f32_16x16x16_bf16 v[46:49], v[46:47], v[8:9], v[2:5]
	v_lshl_add_u64 v[66:67], v[52:53], 0, v[50:51]
	v_perm_b32 v32, v33, v32, s33
	v_perm_b32 v33, v23, v22, s33
	v_mfma_f32_16x16x16_bf16 v[2:5], v[30:31], v[26:27], 0
	v_cvt_pk_f32_fp8_e32 v[22:23], v24
	v_cvt_pk_f32_fp8_sdwa v[30:31], v24 src0_sel:WORD_1
	s_waitcnt vmcnt(3)
	v_mad_i64_i32 v[68:69], s[6:7], v58, s45, v[66:67]
	v_perm_b32 v22, v23, v22, s33
	v_perm_b32 v23, v31, v30, s33
	v_cvt_pk_f32_fp8_e32 v[30:31], v25
	v_cvt_pk_f32_fp8_sdwa v[24:25], v25 src0_sel:WORD_1
	v_mfma_f32_16x16x16_bf16 v[2:5], v[32:33], v[28:29], v[2:5]
	s_waitcnt vmcnt(2)
	v_mad_i64_i32 v[70:71], s[6:7], v64, s45, v[66:67]
	v_perm_b32 v72, v31, v30, s33
	v_perm_b32 v73, v25, v24, s33
	v_mfma_f32_16x16x16_bf16 v[2:5], v[22:23], v[18:19], v[2:5]
	global_load_dwordx4 v[30:33], v[68:69], off
	global_load_dwordx4 v[22:25], v[70:71], off
	v_cvt_pk_f32_fp8_e32 v[68:69], v10
	s_waitcnt vmcnt(3)
	v_mad_i64_i32 v[70:71], s[6:7], v55, s45, v[66:67]
	v_mfma_f32_16x16x16_bf16 v[2:5], v[72:73], v[20:21], v[2:5]
	v_cvt_pk_f32_fp8_sdwa v[72:73], v10 src0_sel:WORD_1
	v_cvt_pk_f32_fp8_sdwa v[10:11], v11 src0_sel:WORD_1
	v_perm_b32 v68, v69, v68, s33
	s_waitcnt vmcnt(2)
	v_mad_i64_i32 v[76:77], s[6:7], v62, s45, v[66:67]
	v_perm_b32 v69, v73, v72, s33
	v_perm_b32 v72, v75, v74, s33
	;; [unrolled: 1-line block ×3, first 2 shown]
	v_cvt_pk_f32_fp8_e32 v[10:11], v12
	v_cvt_pk_f32_fp8_sdwa v[74:75], v12 src0_sel:WORD_1
	v_mfma_f32_16x16x16_bf16 v[66:69], v[68:69], v[14:15], v[2:5]
	v_or_b32_e32 v50, 0x800, v50
	v_perm_b32 v78, v11, v10, s33
	v_perm_b32 v79, v75, v74, s33
	v_cvt_pk_f32_fp8_e32 v[74:75], v13
	v_mfma_f32_16x16x16_bf16 v[66:69], v[72:73], v[16:17], v[66:69]
	v_lshl_add_u64 v[50:51], v[52:53], 0, v[50:51]
	v_perm_b32 v53, v81, v80, s33
	v_perm_b32 v52, v75, v74, s33
	global_load_dwordx4 v[10:13], v[70:71], off
	global_load_dwordx4 v[2:5], v[76:77], off
	v_mfma_f32_16x16x16_bf16 v[66:69], v[78:79], v[6:7], v[66:69]
	v_cvt_pk_f32_fp8_e32 v[70:71], v38
	v_cvt_pk_f32_fp8_sdwa v[72:73], v38 src0_sel:WORD_1
	v_cvt_pk_f32_fp8_e32 v[74:75], v40
	v_mfma_f32_16x16x16_bf16 v[66:69], v[52:53], v[8:9], v[66:69]
	v_cvt_pk_f32_fp8_e32 v[52:53], v39
	v_perm_b32 v70, v71, v70, s33
	v_perm_b32 v71, v73, v72, s33
	v_cvt_pk_f32_fp8_sdwa v[38:39], v39 src0_sel:WORD_1
	v_perm_b32 v52, v53, v52, s33
	v_cvt_pk_f32_fp8_sdwa v[76:77], v40 src0_sel:WORD_1
	v_mfma_f32_16x16x16_bf16 v[70:73], v[70:71], v[26:27], 0
	v_perm_b32 v53, v39, v38, s33
	v_perm_b32 v38, v75, v74, s33
	;; [unrolled: 1-line block ×3, first 2 shown]
	v_cvt_pk_f32_fp8_e32 v[74:75], v41
	v_cvt_pk_f32_fp8_sdwa v[40:41], v41 src0_sel:WORD_1
	v_mfma_f32_16x16x16_bf16 v[26:29], v[52:53], v[28:29], v[70:73]
	s_load_dword s6, s[40:41], 0x0
	v_mov_b32_e32 v52, s4
	s_mov_b32 s40, 0xff7fffff
	v_perm_b32 v70, v75, v74, s33
	v_perm_b32 v71, v41, v40, s33
	v_mfma_f32_16x16x16_bf16 v[26:29], v[38:39], v[18:19], v[26:29]
	v_cvt_pk_f32_fp8_e32 v[40:41], v35
	s_waitcnt lgkmcnt(0)
	v_mul_f32_e32 v72, s6, v52
	v_pk_mul_f32 v[52:53], v[72:73], v[42:43] op_sel_hi:[0,1]
	v_mfma_f32_16x16x16_bf16 v[18:21], v[70:71], v[20:21], v[26:29]
	v_pk_mul_f32 v[38:39], v[72:73], v[44:45] op_sel_hi:[0,1]
	v_mad_i64_i32 v[70:71], s[6:7], v58, s45, v[50:51]
	s_nop 0
	v_cvt_pk_f32_fp8_e32 v[26:27], v34
	v_cvt_pk_f32_fp8_sdwa v[28:29], v34 src0_sel:WORD_1
	v_cvt_pk_f32_fp8_sdwa v[34:35], v35 src0_sel:WORD_1
	v_pk_mul_f32 v[58:59], v[72:73], v[46:47] op_sel_hi:[0,1]
	v_perm_b32 v26, v27, v26, s33
	v_perm_b32 v27, v29, v28, s33
	;; [unrolled: 1-line block ×4, first 2 shown]
	v_cvt_pk_f32_fp8_e32 v[34:35], v36
	v_cvt_pk_f32_fp8_sdwa v[40:41], v36 src0_sel:WORD_1
	v_mfma_f32_16x16x16_bf16 v[18:21], v[26:27], v[14:15], v[18:21]
	v_pk_mul_f32 v[48:49], v[72:73], v[48:49] op_sel_hi:[0,1]
	v_perm_b32 v26, v35, v34, s33
	v_perm_b32 v27, v41, v40, s33
	v_cvt_pk_f32_fp8_e32 v[34:35], v37
	v_cvt_pk_f32_fp8_sdwa v[36:37], v37 src0_sel:WORD_1
	v_mfma_f32_16x16x16_bf16 v[14:17], v[28:29], v[16:17], v[18:21]
	v_pk_mul_f32 v[40:41], v[72:73], v[66:67] op_sel_hi:[0,1]
	v_pk_mul_f32 v[44:45], v[72:73], v[68:69] op_sel_hi:[0,1]
	s_nop 0
	v_perm_b32 v18, v35, v34, s33
	v_perm_b32 v19, v37, v36, s33
	v_mfma_f32_16x16x16_bf16 v[14:17], v[26:27], v[6:7], v[14:17]
	s_nop 0
	v_mfma_f32_16x16x16_bf16 v[6:9], v[18:19], v[8:9], v[14:17]
	s_nop 6
	v_pk_mul_f32 v[42:43], v[72:73], v[6:7] op_sel_hi:[0,1]
	v_and_b32_e32 v6, 0xc0, v0
	v_add_u32_e32 v6, s18, v6
	v_lshl_or_b32 v6, v60, 2, v6
	v_pk_mul_f32 v[34:35], v[72:73], v[8:9] op_sel_hi:[0,1]
	v_or_b32_e32 v9, 1, v6
	v_mov_b32_e32 v7, 0xff7fffff
	v_cmp_gt_i32_e64 s[24:25], s5, v6
	v_cmp_gt_i32_e64 s[26:27], s5, v9
	v_or_b32_e32 v14, 3, v6
	v_cndmask_b32_e64 v8, v7, v52, s[24:25]
	v_cndmask_b32_e64 v9, v7, v53, s[26:27]
	v_max3_f32 v8, v8, s40, v9
	v_or_b32_e32 v9, 2, v6
	v_cmp_gt_i32_e64 s[28:29], s5, v9
	v_cmp_gt_i32_e64 s[30:31], s5, v14
	s_nop 0
	v_cndmask_b32_e64 v9, v7, v38, s[28:29]
	v_cndmask_b32_e64 v14, v7, v39, s[30:31]
	v_max3_f32 v8, v8, v9, v14
	v_or_b32_e32 v9, 16, v6
	v_or_b32_e32 v14, 17, v6
	v_cmp_gt_i32_e64 s[34:35], s5, v9
	v_cmp_gt_i32_e64 s[36:37], s5, v14
	s_nop 0
	v_cndmask_b32_e64 v9, v7, v58, s[34:35]
	v_cndmask_b32_e64 v14, v7, v59, s[36:37]
	v_max3_f32 v8, v8, v9, v14
	v_or_b32_e32 v9, 18, v6
	;; [unrolled: 8-line block ×6, first 2 shown]
	v_or_b32_e32 v6, 51, v6
	v_cmp_gt_i32_e32 vcc, s5, v9
	v_cmp_gt_i32_e64 s[4:5], s5, v6
	s_nop 0
	v_cndmask_b32_e32 v9, v7, v34, vcc
	v_cndmask_b32_e64 v6, v7, v35, s[4:5]
	v_max3_f32 v8, v8, v9, v6
	v_mbcnt_lo_u32_b32 v6, -1, 0
	v_mbcnt_hi_u32_b32 v9, -1, v6
	v_and_b32_e32 v6, 64, v9
	v_add_u32_e32 v14, 64, v6
	v_xor_b32_e32 v6, 32, v9
	v_cmp_lt_i32_e64 s[38:39], v6, v14
	s_nop 1
	v_cndmask_b32_e64 v6, v9, v6, s[38:39]
	v_lshlrev_b32_e32 v65, 2, v6
	ds_bpermute_b32 v15, v65, v8
	v_mad_i64_i32 v[6:7], s[38:39], v64, s45, v[50:51]
	global_load_dwordx4 v[26:29], v[70:71], off
	global_load_dwordx4 v[18:21], v[6:7], off
	s_waitcnt lgkmcnt(0)
	v_max_f32_e32 v6, v15, v15
	v_max_f32_e32 v15, v8, v6
	v_xor_b32_e32 v6, 16, v9
	v_cmp_lt_i32_e64 s[38:39], v6, v14
	s_nop 1
	v_cndmask_b32_e64 v6, v9, v6, s[38:39]
	v_lshlrev_b32_e32 v64, 2, v6
	ds_bpermute_b32 v14, v64, v15
	v_mad_i64_i32 v[6:7], s[38:39], v55, s45, v[50:51]
	v_mad_i64_i32 v[8:9], s[38:39], v62, s45, v[50:51]
	s_waitcnt lgkmcnt(0)
	v_max_f32_e32 v14, v14, v14
	v_max_f32_e32 v50, v15, v14
	v_sub_f32_e32 v14, v52, v50
	v_mul_f32_e32 v14, 0x3fb8aa3b, v14
	v_exp_f32_e32 v36, v14
	v_sub_f32_e32 v14, v53, v50
	v_mul_f32_e32 v14, 0x3fb8aa3b, v14
	v_exp_f32_e32 v37, v14
	global_load_dwordx4 v[14:17], v[6:7], off
	s_nop 0
	global_load_dwordx4 v[6:9], v[8:9], off
	v_sub_f32_e32 v38, v38, v50
	v_mul_f32_e32 v38, 0x3fb8aa3b, v38
	v_sub_f32_e32 v39, v39, v50
	v_exp_f32_e32 v38, v38
	v_mul_f32_e32 v39, 0x3fb8aa3b, v39
	v_exp_f32_e32 v39, v39
	v_cndmask_b32_e64 v36, 0, v36, s[24:25]
	v_add_f32_e32 v46, 0, v36
	v_cndmask_b32_e64 v37, 0, v37, s[26:27]
	v_add_f32_e32 v47, v46, v37
	;; [unrolled: 2-line block ×3, first 2 shown]
	v_cndmask_b32_e64 v47, 0, v39, s[30:31]
	v_sub_f32_e32 v39, v58, v50
	v_mul_f32_e32 v39, 0x3fb8aa3b, v39
	v_sub_f32_e32 v51, v59, v50
	v_exp_f32_e32 v39, v39
	v_mul_f32_e32 v51, 0x3fb8aa3b, v51
	v_sub_f32_e32 v48, v48, v50
	v_exp_f32_e32 v51, v51
	;; [unrolled: 3-line block ×4, first 2 shown]
	v_mul_f32_e32 v40, 0x3fb8aa3b, v40
	v_sub_f32_e32 v41, v41, v50
	v_add_f32_e32 v52, v38, v47
	v_cndmask_b32_e64 v38, 0, v39, s[34:35]
	v_exp_f32_e32 v40, v40
	v_mul_f32_e32 v41, 0x3fb8aa3b, v41
	v_sub_f32_e32 v44, v44, v50
	v_add_f32_e32 v52, v52, v38
	v_cndmask_b32_e64 v39, 0, v51, s[36:37]
	v_exp_f32_e32 v41, v41
	v_mul_f32_e32 v44, 0x3fb8aa3b, v44
	v_sub_f32_e32 v45, v45, v50
	v_add_f32_e32 v51, v52, v39
	v_cndmask_b32_e64 v48, 0, v48, s[18:19]
	v_exp_f32_e32 v44, v44
	v_mul_f32_e32 v45, 0x3fb8aa3b, v45
	v_sub_f32_e32 v42, v42, v50
	v_add_f32_e32 v51, v51, v48
	v_cndmask_b32_e64 v49, 0, v49, s[20:21]
	v_exp_f32_e32 v45, v45
	v_mul_f32_e32 v42, 0x3fb8aa3b, v42
	v_sub_f32_e32 v43, v43, v50
	v_add_f32_e32 v51, v51, v49
	v_cndmask_b32_e64 v40, 0, v40, s[14:15]
	v_exp_f32_e32 v42, v42
	v_mul_f32_e32 v43, 0x3fb8aa3b, v43
	v_sub_f32_e32 v34, v34, v50
	v_add_f32_e32 v51, v51, v40
	v_cndmask_b32_e64 v41, 0, v41, s[16:17]
	v_exp_f32_e32 v43, v43
	v_mul_f32_e32 v34, 0x3fb8aa3b, v34
	v_sub_f32_e32 v35, v35, v50
	v_add_f32_e32 v51, v51, v41
	v_cndmask_b32_e64 v44, 0, v44, s[10:11]
	v_exp_f32_e32 v34, v34
	v_mul_f32_e32 v35, 0x3fb8aa3b, v35
	v_add_f32_e32 v51, v51, v44
	v_cndmask_b32_e64 v45, 0, v45, s[12:13]
	v_exp_f32_e32 v35, v35
	v_add_f32_e32 v51, v51, v45
	v_cndmask_b32_e64 v42, 0, v42, s[6:7]
	v_add_f32_e32 v51, v51, v42
	v_cndmask_b32_e64 v43, 0, v43, s[8:9]
	v_add_f32_e32 v51, v51, v43
	v_cndmask_b32_e32 v34, 0, v34, vcc
	v_add_f32_e32 v51, v51, v34
	v_cndmask_b32_e64 v35, 0, v35, s[4:5]
	v_add_f32_e32 v51, v51, v35
	ds_bpermute_b32 v52, v65, v51
	v_cmp_gt_u32_e32 vcc, 16, v61
	s_waitcnt lgkmcnt(0)
	s_barrier
	v_add_f32_e32 v51, v51, v52
	ds_bpermute_b32 v52, v64, v51
	s_and_saveexec_b64 s[4:5], vcc
	s_cbranch_execz .LBB1361_13
; %bb.12:
	s_waitcnt lgkmcnt(0)
	v_add_f32_e32 v51, v51, v52
	v_lshlrev_b32_e32 v52, 2, v63
	ds_write2st64_b32 v52, v50, v51 offset1:1
.LBB1361_13:
	s_or_b64 exec, exec, s[4:5]
	v_lshlrev_b32_e32 v51, 2, v56
	s_load_dword s6, s[0:1], 0x94
	s_waitcnt lgkmcnt(0)
	s_barrier
	ds_read2_b32 v[52:53], v51 offset1:16
	ds_read2_b32 v[58:59], v51 offset0:32 offset1:48
	ds_read2_b32 v[62:63], v51 offset0:64 offset1:80
	s_movk_i32 s8, 0x7fff
	s_mul_i32 s7, s23, 14
	s_waitcnt lgkmcnt(2)
	v_max3_f32 v50, v52, s40, v53
	s_waitcnt lgkmcnt(1)
	v_max3_f32 v50, v50, v58, v59
	v_sub_f32_e32 v52, v52, v50
	v_mul_f32_e32 v52, 0x3fb8aa3b, v52
	v_exp_f32_e32 v55, v52
	v_sub_f32_e32 v52, v53, v50
	v_mul_f32_e32 v52, 0x3fb8aa3b, v52
	v_exp_f32_e32 v61, v52
	;; [unrolled: 3-line block ×3, first 2 shown]
	ds_read2_b32 v[52:53], v51 offset0:96 offset1:112
	v_sub_f32_e32 v51, v59, v50
	v_mul_f32_e32 v51, 0x3fb8aa3b, v51
	v_exp_f32_e32 v59, v51
	s_waitcnt lgkmcnt(1)
	v_fma_f32 v51, v55, v62, 0
	v_fmac_f32_e32 v51, v61, v63
	s_waitcnt lgkmcnt(0)
	v_fmac_f32_e32 v51, v58, v52
	v_fmac_f32_e32 v51, v59, v53
	v_add_f32_e32 v52, 0x358637bd, v51
	v_div_scale_f32 v53, s[4:5], v52, v52, 1.0
	v_rcp_f32_e32 v62, v53
	s_barrier
	v_fma_f32 v63, -v53, v62, 1.0
	v_fmac_f32_e32 v62, v63, v62
	v_div_scale_f32 v63, vcc, 1.0, v52, 1.0
	v_mul_f32_e32 v64, v63, v62
	v_fma_f32 v65, -v53, v64, v63
	v_fmac_f32_e32 v64, v65, v62
	v_fma_f32 v53, -v53, v64, v63
	v_div_fmas_f32 v53, v53, v62, v64
	v_cmp_eq_u32_e32 vcc, 1, v57
	v_div_fixup_f32 v52, v53, v52, 1.0
	s_nop 0
	v_cndmask_b32_e32 v53, v55, v61, vcc
	v_cmp_eq_u32_e32 vcc, 2, v57
	s_nop 1
	v_cndmask_b32_e32 v53, v53, v58, vcc
	v_cmp_eq_u32_e32 vcc, 3, v57
	s_nop 1
	v_cndmask_b32_e32 v53, v53, v59, vcc
	v_mul_f32_e32 v52, v53, v52
	v_pk_mul_f32 v[36:37], v[52:53], v[36:37] op_sel_hi:[0,1]
	v_pk_mul_f32 v[46:47], v[52:53], v[46:47] op_sel_hi:[0,1]
	v_bfe_u32 v53, v37, 16, 1
	v_bfe_u32 v55, v36, 16, 1
	v_add3_u32 v36, v36, v55, s8
	v_add3_u32 v37, v37, v53, s8
	v_perm_b32 v58, v37, v36, s33
	v_bfe_u32 v36, v47, 16, 1
	v_bfe_u32 v37, v46, 16, 1
	v_add3_u32 v37, v46, v37, s8
	v_add3_u32 v36, v47, v36, s8
	v_perm_b32 v59, v36, v37, s33
	v_lshlrev_b32_e32 v37, 3, v60
	v_lshlrev_b32_e32 v36, 5, v56
	;; [unrolled: 1-line block ×3, first 2 shown]
	v_pk_mul_f32 v[38:39], v[52:53], v[38:39] op_sel_hi:[0,1]
	v_or3_b32 v55, v46, v36, v37
	v_pk_mul_f32 v[46:47], v[52:53], v[48:49] op_sel_hi:[0,1]
	v_bfe_u32 v37, v39, 16, 1
	v_bfe_u32 v48, v38, 16, 1
	v_add3_u32 v38, v38, v48, s8
	v_add3_u32 v37, v39, v37, s8
	v_perm_b32 v38, v37, v38, s33
	v_bfe_u32 v37, v47, 16, 1
	v_bfe_u32 v39, v46, 16, 1
	v_add3_u32 v39, v46, v39, s8
	v_add3_u32 v37, v47, v37, s8
	v_perm_b32 v39, v37, v39, s33
	v_pk_mul_f32 v[40:41], v[52:53], v[40:41] op_sel_hi:[0,1]
	ds_write2st64_b64 v55, v[58:59], v[38:39] offset1:1
	v_pk_mul_f32 v[38:39], v[52:53], v[44:45] op_sel_hi:[0,1]
	v_bfe_u32 v37, v41, 16, 1
	v_bfe_u32 v44, v40, 16, 1
	v_add3_u32 v40, v40, v44, s8
	v_add3_u32 v37, v41, v37, s8
	v_perm_b32 v40, v37, v40, s33
	v_bfe_u32 v37, v39, 16, 1
	v_bfe_u32 v41, v38, 16, 1
	v_add3_u32 v38, v38, v41, s8
	v_add3_u32 v37, v39, v37, s8
	v_perm_b32 v41, v37, v38, s33
	v_pk_mul_f32 v[38:39], v[52:53], v[42:43] op_sel_hi:[0,1]
	v_bfe_u32 v37, v39, 16, 1
	v_bfe_u32 v42, v38, 16, 1
	v_pk_mul_f32 v[34:35], v[52:53], v[34:35] op_sel_hi:[0,1]
	v_add3_u32 v38, v38, v42, s8
	v_add3_u32 v37, v39, v37, s8
	v_perm_b32 v38, v37, v38, s33
	v_bfe_u32 v37, v35, 16, 1
	v_bfe_u32 v39, v34, 16, 1
	v_add3_u32 v34, v34, v39, s8
	v_add3_u32 v35, v35, v37, s8
	v_perm_b32 v39, v35, v34, s33
	v_cmp_gt_u32_e32 vcc, 14, v0
	ds_write2st64_b64 v55, v[40:41], v[38:39] offset0:2 offset1:3
	s_and_saveexec_b64 s[4:5], vcc
	s_cbranch_execz .LBB1361_15
; %bb.14:
	s_mov_b32 s49, 0
	v_mov_b32_e32 v57, 0
	v_lshl_add_u64 v[34:35], s[48:49], 0, v[56:57]
	v_mov_b32_e32 v37, s7
	v_mad_u64_u32 v[34:35], s[10:11], s2, v37, v[34:35]
	s_mul_i32 s3, s3, s7
	v_mov_b32_e32 v38, s22
	v_mov_b32_e32 v39, v57
	s_load_dwordx4 s[12:15], s[0:1], 0x58
	v_add_u32_e32 v37, s3, v35
	v_mad_u64_u32 v[34:35], s[10:11], v34, s6, v[38:39]
	v_mov_b32_e32 v38, v35
	v_mad_u64_u32 v[38:39], s[10:11], v37, s6, v[38:39]
	v_mov_b32_e32 v35, v38
	v_lshlrev_b64 v[34:35], 2, v[34:35]
	s_waitcnt lgkmcnt(0)
	v_lshl_add_u64 v[38:39], s[14:15], 0, v[34:35]
	v_lshl_add_u64 v[34:35], s[12:13], 0, v[34:35]
	global_store_dword v[38:39], v50, off
	global_store_dword v[34:35], v51, off
.LBB1361_15:
	s_or_b64 exec, exec, s[4:5]
	v_lshl_or_b32 v50, v60, 9, v36
	s_waitcnt vmcnt(7)
	v_cvt_pk_f32_fp8_e32 v[34:35], v30
	v_cvt_pk_f32_fp8_sdwa v[36:37], v30 src0_sel:WORD_1
	s_mov_b32 s5, 0x7060302
	s_waitcnt lgkmcnt(0)
	s_barrier
	v_cvt_pk_f32_fp8_e32 v[38:39], v31
	v_perm_b32 v30, v35, v34, s5
	v_cvt_pk_f32_fp8_sdwa v[40:41], v31 src0_sel:WORD_1
	v_perm_b32 v31, v37, v36, s5
	ds_read_b128 v[34:37], v50
	v_perm_b32 v46, v39, v38, s5
	v_perm_b32 v47, v41, v40, s5
	ds_read_b128 v[38:41], v50 offset:16
	v_cvt_pk_f32_fp8_e32 v[48:49], v32
	v_cvt_pk_f32_fp8_sdwa v[52:53], v32 src0_sel:WORD_1
	s_waitcnt lgkmcnt(1)
	v_mfma_f32_16x16x16_bf16 v[42:45], v[30:31], v[34:35], 0
	s_waitcnt vmcnt(6)
	v_cvt_pk_f32_fp8_e32 v[58:59], v24
	v_perm_b32 v30, v49, v48, s5
	v_perm_b32 v31, v53, v52, s5
	v_cvt_pk_f32_fp8_e32 v[48:49], v33
	v_mfma_f32_16x16x16_bf16 v[42:45], v[46:47], v[36:37], v[42:45]
	v_cvt_pk_f32_fp8_sdwa v[46:47], v33 src0_sel:WORD_1
	v_cvt_pk_f32_fp8_sdwa v[62:63], v24 src0_sel:WORD_1
	v_perm_b32 v48, v49, v48, s5
	s_waitcnt lgkmcnt(0)
	v_mfma_f32_16x16x16_bf16 v[30:33], v[30:31], v[38:39], v[42:45]
	v_perm_b32 v49, v47, v46, s5
	s_waitcnt vmcnt(5)
	v_cvt_pk_f32_fp8_sdwa v[66:67], v12 src0_sel:WORD_1
	s_waitcnt vmcnt(4)
	v_cvt_pk_f32_fp8_sdwa v[68:69], v4 src0_sel:WORD_1
	v_cvt_pk_f32_fp8_e32 v[42:43], v22
	v_mfma_f32_16x16x16_bf16 v[46:49], v[48:49], v[40:41], v[30:33]
	s_load_dword s4, s[42:43], 0x0
	s_waitcnt vmcnt(3)
	v_cvt_pk_f32_fp8_sdwa v[70:71], v28 src0_sel:WORD_1
	v_cvt_pk_f32_fp8_sdwa v[30:31], v22 src0_sel:WORD_1
	v_cvt_pk_f32_fp8_e32 v[32:33], v23
	v_perm_b32 v22, v43, v42, s5
	v_cvt_pk_f32_fp8_sdwa v[42:43], v23 src0_sel:WORD_1
	v_perm_b32 v23, v31, v30, s5
	v_perm_b32 v52, v33, v32, s5
	ds_read_b128 v[30:33], v50 offset:2048
	v_perm_b32 v53, v43, v42, s5
	ds_read_b128 v[42:45], v50 offset:2064
	s_waitcnt lgkmcnt(0)
	v_mfma_f32_16x16x16_bf16 v[46:49], v[22:23], v[30:31], v[46:49]
	v_perm_b32 v22, v59, v58, s5
	v_perm_b32 v23, v63, v62, s5
	v_cvt_pk_f32_fp8_e32 v[58:59], v25
	v_mfma_f32_16x16x16_bf16 v[46:49], v[52:53], v[32:33], v[46:49]
	v_cvt_pk_f32_fp8_sdwa v[52:53], v25 src0_sel:WORD_1
	s_mov_b32 s3, 0
	v_perm_b32 v58, v59, v58, s5
	v_mfma_f32_16x16x16_bf16 v[22:25], v[22:23], v[42:43], v[46:49]
	v_perm_b32 v59, v53, v52, s5
	v_cmp_gt_u32_e32 vcc, 64, v0
	s_nop 0
	v_cvt_pk_f32_fp8_e32 v[46:47], v10
	v_mfma_f32_16x16x16_bf16 v[62:65], v[58:59], v[44:45], v[22:25]
	v_cvt_pk_f32_fp8_e32 v[58:59], v12
	s_nop 1
	v_cvt_pk_f32_fp8_sdwa v[22:23], v10 src0_sel:WORD_1
	v_cvt_pk_f32_fp8_e32 v[24:25], v11
	v_perm_b32 v10, v47, v46, s5
	v_cvt_pk_f32_fp8_sdwa v[46:47], v11 src0_sel:WORD_1
	v_perm_b32 v11, v23, v22, s5
	v_perm_b32 v52, v25, v24, s5
	ds_read_b128 v[22:25], v50 offset:4096
	v_perm_b32 v53, v47, v46, s5
	ds_read_b128 v[46:49], v50 offset:4112
	s_waitcnt lgkmcnt(1)
	v_mfma_f32_16x16x16_bf16 v[62:65], v[10:11], v[22:23], v[62:65]
	v_perm_b32 v10, v59, v58, s5
	v_perm_b32 v11, v67, v66, s5
	v_cvt_pk_f32_fp8_e32 v[58:59], v13
	v_mfma_f32_16x16x16_bf16 v[62:65], v[52:53], v[24:25], v[62:65]
	v_cvt_pk_f32_fp8_sdwa v[52:53], v13 src0_sel:WORD_1
	v_cvt_pk_f32_fp8_e32 v[66:67], v4
	v_perm_b32 v58, v59, v58, s5
	s_waitcnt lgkmcnt(0)
	v_mfma_f32_16x16x16_bf16 v[10:13], v[10:11], v[46:47], v[62:65]
	v_perm_b32 v59, v53, v52, s5
	v_cvt_pk_f32_fp8_e32 v[52:53], v2
	s_nop 0
	v_mfma_f32_16x16x16_bf16 v[62:65], v[58:59], v[48:49], v[10:13]
	s_nop 2
	v_cvt_pk_f32_fp8_sdwa v[10:11], v2 src0_sel:WORD_1
	v_cvt_pk_f32_fp8_e32 v[12:13], v3
	v_perm_b32 v2, v53, v52, s5
	v_cvt_pk_f32_fp8_sdwa v[52:53], v3 src0_sel:WORD_1
	v_perm_b32 v3, v11, v10, s5
	v_perm_b32 v58, v13, v12, s5
	ds_read_b128 v[10:13], v50 offset:6144
	v_perm_b32 v59, v53, v52, s5
	s_waitcnt lgkmcnt(0)
	v_mfma_f32_16x16x16_bf16 v[62:65], v[2:3], v[10:11], v[62:65]
	ds_read_b128 v[50:53], v50 offset:6160
	v_perm_b32 v2, v67, v66, s5
	v_perm_b32 v3, v69, v68, s5
	v_cvt_pk_f32_fp8_e32 v[66:67], v5
	v_mfma_f32_16x16x16_bf16 v[62:65], v[58:59], v[12:13], v[62:65]
	v_cvt_pk_f32_fp8_sdwa v[58:59], v5 src0_sel:WORD_1
	v_cvt_pk_f32_fp8_e32 v[68:69], v28
	v_perm_b32 v66, v67, v66, s5
	s_waitcnt lgkmcnt(0)
	v_mfma_f32_16x16x16_bf16 v[2:5], v[2:3], v[50:51], v[62:65]
	v_perm_b32 v67, v59, v58, s5
	v_cvt_pk_f32_fp8_sdwa v[58:59], v26 src0_sel:WORD_1
	s_nop 0
	v_mfma_f32_16x16x16_bf16 v[62:65], v[66:67], v[52:53], v[2:5]
	s_barrier
	s_nop 1
	v_cvt_pk_f32_fp8_e32 v[4:5], v26
	s_nop 2
	v_pk_mul_f32 v[66:67], v[62:63], s[4:5] op_sel_hi:[1,0]
	v_cvt_pk_f32_fp8_e32 v[62:63], v27
	v_perm_b32 v4, v5, v4, s5
	v_perm_b32 v5, v59, v58, s5
	v_cvt_pk_f32_fp8_sdwa v[26:27], v27 src0_sel:WORD_1
	v_perm_b32 v58, v63, v62, s5
	v_pk_mul_f32 v[2:3], v[64:65], s[4:5] op_sel_hi:[1,0]
	v_mfma_f32_16x16x16_bf16 v[62:65], v[4:5], v[34:35], 0
	v_perm_b32 v59, v27, v26, s5
	v_perm_b32 v4, v69, v68, s5
	;; [unrolled: 1-line block ×3, first 2 shown]
	v_cvt_pk_f32_fp8_e32 v[34:35], v29
	v_cvt_pk_f32_fp8_sdwa v[68:69], v29 src0_sel:WORD_1
	v_mfma_f32_16x16x16_bf16 v[26:29], v[58:59], v[36:37], v[62:65]
	s_waitcnt vmcnt(2)
	v_cvt_pk_f32_fp8_sdwa v[36:37], v18 src0_sel:WORD_1
	v_perm_b32 v34, v35, v34, s5
	v_perm_b32 v35, v69, v68, s5
	v_mfma_f32_16x16x16_bf16 v[26:29], v[4:5], v[38:39], v[26:29]
	v_cvt_pk_f32_fp8_e32 v[4:5], v18
	v_cvt_pk_f32_fp8_sdwa v[38:39], v20 src0_sel:WORD_1
	v_bfe_u32 v57, v67, 16, 1
	v_mfma_f32_16x16x16_bf16 v[26:29], v[34:35], v[40:41], v[26:29]
	v_cvt_pk_f32_fp8_e32 v[34:35], v19
	v_perm_b32 v4, v5, v4, s5
	v_perm_b32 v5, v37, v36, s5
	v_cvt_pk_f32_fp8_sdwa v[18:19], v19 src0_sel:WORD_1
	v_perm_b32 v34, v35, v34, s5
	v_cvt_pk_f32_fp8_e32 v[36:37], v20
	v_mfma_f32_16x16x16_bf16 v[26:29], v[4:5], v[30:31], v[26:29]
	v_perm_b32 v35, v19, v18, s5
	v_perm_b32 v4, v37, v36, s5
	;; [unrolled: 1-line block ×3, first 2 shown]
	v_cvt_pk_f32_fp8_e32 v[30:31], v21
	v_cvt_pk_f32_fp8_sdwa v[36:37], v21 src0_sel:WORD_1
	v_mfma_f32_16x16x16_bf16 v[18:21], v[34:35], v[32:33], v[26:29]
	v_bfe_u32 v58, v66, 16, 1
	v_add3_u32 v32, v66, v58, s8
	v_add3_u32 v33, v67, v57, s8
	v_perm_b32 v26, v31, v30, s5
	v_perm_b32 v27, v37, v36, s5
	v_mfma_f32_16x16x16_bf16 v[18:21], v[4:5], v[42:43], v[18:21]
	s_waitcnt vmcnt(1)
	v_cvt_pk_f32_fp8_e32 v[4:5], v14
	v_cvt_pk_f32_fp8_sdwa v[28:29], v14 src0_sel:WORD_1
	v_cvt_pk_f32_fp8_sdwa v[30:31], v16 src0_sel:WORD_1
	v_mfma_f32_16x16x16_bf16 v[18:21], v[26:27], v[44:45], v[18:21]
	v_cvt_pk_f32_fp8_e32 v[26:27], v15
	v_perm_b32 v4, v5, v4, s5
	v_perm_b32 v5, v29, v28, s5
	v_cvt_pk_f32_fp8_sdwa v[14:15], v15 src0_sel:WORD_1
	v_perm_b32 v26, v27, v26, s5
	v_cvt_pk_f32_fp8_e32 v[28:29], v16
	v_mfma_f32_16x16x16_bf16 v[18:21], v[4:5], v[22:23], v[18:21]
	v_perm_b32 v27, v15, v14, s5
	v_perm_b32 v4, v29, v28, s5
	;; [unrolled: 1-line block ×3, first 2 shown]
	v_cvt_pk_f32_fp8_e32 v[22:23], v17
	v_cvt_pk_f32_fp8_sdwa v[28:29], v17 src0_sel:WORD_1
	v_mfma_f32_16x16x16_bf16 v[14:17], v[26:27], v[24:25], v[18:21]
	s_waitcnt vmcnt(0)
	v_cvt_pk_f32_fp8_sdwa v[24:25], v8 src0_sel:WORD_1
	s_nop 0
	v_perm_b32 v20, v23, v22, s5
	v_perm_b32 v21, v29, v28, s5
	v_mfma_f32_16x16x16_bf16 v[14:17], v[4:5], v[46:47], v[14:17]
	v_cvt_pk_f32_fp8_e32 v[4:5], v6
	v_cvt_pk_f32_fp8_sdwa v[22:23], v6 src0_sel:WORD_1
	v_bfe_u32 v19, v3, 16, 1
	v_mfma_f32_16x16x16_bf16 v[14:17], v[20:21], v[48:49], v[14:17]
	v_cvt_pk_f32_fp8_e32 v[20:21], v7
	v_perm_b32 v4, v5, v4, s5
	v_perm_b32 v5, v23, v22, s5
	v_cvt_pk_f32_fp8_sdwa v[6:7], v7 src0_sel:WORD_1
	v_perm_b32 v20, v21, v20, s5
	v_cvt_pk_f32_fp8_e32 v[22:23], v8
	v_add3_u32 v3, v3, v19, s8
	v_perm_b32 v21, v7, v6, s5
	v_mfma_f32_16x16x16_bf16 v[4:7], v[4:5], v[10:11], v[14:17]
	v_perm_b32 v10, v23, v22, s5
	v_perm_b32 v11, v25, v24, s5
	;; [unrolled: 1-line block ×3, first 2 shown]
	v_cvt_pk_f32_fp8_e32 v[14:15], v9
	v_cvt_pk_f32_fp8_sdwa v[8:9], v9 src0_sel:WORD_1
	v_mfma_f32_16x16x16_bf16 v[4:7], v[20:21], v[12:13], v[4:7]
	v_bfe_u32 v16, v2, 16, 1
	v_perm_b32 v12, v15, v14, s5
	v_perm_b32 v13, v9, v8, s5
	v_mfma_f32_16x16x16_bf16 v[4:7], v[10:11], v[50:51], v[4:7]
	v_add3_u32 v2, v2, v16, s8
	v_perm_b32 v19, v3, v2, s5
	v_mfma_f32_16x16x16_bf16 v[2:5], v[12:13], v[52:53], v[4:7]
	s_nop 6
	v_pk_mul_f32 v[2:3], v[2:3], s[4:5] op_sel_hi:[1,0]
	v_pk_mul_f32 v[4:5], v[4:5], s[4:5] op_sel_hi:[1,0]
	v_bfe_u32 v6, v3, 16, 1
	v_bfe_u32 v7, v2, 16, 1
	v_add3_u32 v2, v2, v7, s8
	v_add3_u32 v3, v3, v6, s8
	v_perm_b32 v2, v3, v2, s5
	v_bfe_u32 v3, v5, 16, 1
	v_bfe_u32 v6, v4, 16, 1
	v_add3_u32 v4, v4, v6, s8
	v_add3_u32 v3, v5, v3, s8
	v_perm_b32 v3, v3, v4, s5
	ds_write2st64_b64 v55, v[18:19], v[2:3] offset1:1
	s_waitcnt lgkmcnt(0)
	s_barrier
	s_and_saveexec_b64 s[4:5], vcc
	s_cbranch_execz .LBB1361_18
; %bb.16:
	s_load_dwordx2 s[4:5], s[0:1], 0x68
	s_lshl_b32 s0, s6, 7
	s_mul_i32 s1, s7, s2
	v_lshlrev_b32_e32 v3, 6, v56
	s_mul_hi_u32 s7, s1, s0
	s_mul_i32 s6, s1, s0
	v_lshl_or_b32 v0, v0, 10, v3
	s_lshl_b64 s[6:7], s[6:7], 1
	v_lshlrev_b32_e32 v2, 5, v60
	v_and_b32_e32 v1, 16, v1
	v_and_b32_e32 v0, 0x1a00, v0
	s_waitcnt lgkmcnt(0)
	s_add_u32 s1, s4, s6
	v_or3_b32 v2, v0, v2, v1
	s_addc_u32 s4, s5, s7
	s_lshl_b32 s2, s22, 7
	ds_read_b128 v[4:7], v2 offset:256
	s_lshl_b64 s[2:3], s[2:3], 1
	ds_read_b128 v[8:11], v2 offset:128
	ds_read_b128 v[12:15], v2
	s_add_u32 s2, s1, s2
	s_addc_u32 s3, s4, s3
	v_mov_b32_e32 v55, 0
	v_add_u32_e32 v18, s48, v60
	v_lshl_add_u64 v[0:1], s[2:3], 0, v[54:55]
	v_mad_u64_u32 v[16:17], s[2:3], v18, s0, 0
	v_lshl_add_u64 v[16:17], v[16:17], 1, v[0:1]
	s_waitcnt lgkmcnt(0)
	global_store_dwordx4 v[16:17], v[12:15], off
	v_or_b32_e32 v3, 12, v60
	v_cmp_gt_u32_e32 vcc, 14, v3
	v_add_u32_e32 v12, 4, v18
	v_mad_u64_u32 v[12:13], s[2:3], v12, s0, 0
	v_lshl_add_u64 v[12:13], v[12:13], 1, v[0:1]
	global_store_dwordx4 v[12:13], v[8:11], off
	s_nop 1
	v_add_u32_e32 v8, 8, v18
	v_mad_u64_u32 v[8:9], s[2:3], v8, s0, 0
	v_lshl_add_u64 v[8:9], v[8:9], 1, v[0:1]
	global_store_dwordx4 v[8:9], v[4:7], off
	s_and_b64 exec, exec, vcc
	s_cbranch_execz .LBB1361_18
; %bb.17:
	ds_read_b128 v[4:7], v2 offset:384
	v_add_u32_e32 v2, s48, v3
	v_mad_u64_u32 v[2:3], s[0:1], v2, s0, 0
	v_lshl_add_u64 v[0:1], v[2:3], 1, v[0:1]
	s_waitcnt lgkmcnt(0)
	global_store_dwordx4 v[0:1], v[4:7], off
.LBB1361_18:
	s_endpgm
	.section	.rodata,"a",@progbits
	.p2align	6, 0x0
	.amdhsa_kernel _Z39paged_attention_ll4mi_QKV_mfma16_kernelI14__hip_bfloat16hLN4vllm18Fp8KVCacheDataTypeE1EhLi32ELi128ELi256ELb0ELi14EEvPKT_PKT0_S8_ifPKiSA_SA_iPKfiiiPfSD_PS3_PT2_iSC_SC_
		.amdhsa_group_segment_fixed_size 8192
		.amdhsa_private_segment_fixed_size 0
		.amdhsa_kernarg_size 400
		.amdhsa_user_sgpr_count 2
		.amdhsa_user_sgpr_dispatch_ptr 0
		.amdhsa_user_sgpr_queue_ptr 0
		.amdhsa_user_sgpr_kernarg_segment_ptr 1
		.amdhsa_user_sgpr_dispatch_id 0
		.amdhsa_user_sgpr_kernarg_preload_length 0
		.amdhsa_user_sgpr_kernarg_preload_offset 0
		.amdhsa_user_sgpr_private_segment_size 0
		.amdhsa_uses_dynamic_stack 0
		.amdhsa_enable_private_segment 0
		.amdhsa_system_sgpr_workgroup_id_x 1
		.amdhsa_system_sgpr_workgroup_id_y 1
		.amdhsa_system_sgpr_workgroup_id_z 1
		.amdhsa_system_sgpr_workgroup_info 0
		.amdhsa_system_vgpr_workitem_id 0
		.amdhsa_next_free_vgpr 82
		.amdhsa_next_free_sgpr 50
		.amdhsa_accum_offset 84
		.amdhsa_reserve_vcc 1
		.amdhsa_float_round_mode_32 0
		.amdhsa_float_round_mode_16_64 0
		.amdhsa_float_denorm_mode_32 3
		.amdhsa_float_denorm_mode_16_64 3
		.amdhsa_dx10_clamp 1
		.amdhsa_ieee_mode 1
		.amdhsa_fp16_overflow 0
		.amdhsa_tg_split 0
		.amdhsa_exception_fp_ieee_invalid_op 0
		.amdhsa_exception_fp_denorm_src 0
		.amdhsa_exception_fp_ieee_div_zero 0
		.amdhsa_exception_fp_ieee_overflow 0
		.amdhsa_exception_fp_ieee_underflow 0
		.amdhsa_exception_fp_ieee_inexact 0
		.amdhsa_exception_int_div_zero 0
	.end_amdhsa_kernel
	.section	.text._Z39paged_attention_ll4mi_QKV_mfma16_kernelI14__hip_bfloat16hLN4vllm18Fp8KVCacheDataTypeE1EhLi32ELi128ELi256ELb0ELi14EEvPKT_PKT0_S8_ifPKiSA_SA_iPKfiiiPfSD_PS3_PT2_iSC_SC_,"axG",@progbits,_Z39paged_attention_ll4mi_QKV_mfma16_kernelI14__hip_bfloat16hLN4vllm18Fp8KVCacheDataTypeE1EhLi32ELi128ELi256ELb0ELi14EEvPKT_PKT0_S8_ifPKiSA_SA_iPKfiiiPfSD_PS3_PT2_iSC_SC_,comdat
.Lfunc_end1361:
	.size	_Z39paged_attention_ll4mi_QKV_mfma16_kernelI14__hip_bfloat16hLN4vllm18Fp8KVCacheDataTypeE1EhLi32ELi128ELi256ELb0ELi14EEvPKT_PKT0_S8_ifPKiSA_SA_iPKfiiiPfSD_PS3_PT2_iSC_SC_, .Lfunc_end1361-_Z39paged_attention_ll4mi_QKV_mfma16_kernelI14__hip_bfloat16hLN4vllm18Fp8KVCacheDataTypeE1EhLi32ELi128ELi256ELb0ELi14EEvPKT_PKT0_S8_ifPKiSA_SA_iPKfiiiPfSD_PS3_PT2_iSC_SC_
                                        ; -- End function
	.section	.AMDGPU.csdata,"",@progbits
; Kernel info:
; codeLenInByte = 6452
; NumSgprs: 56
; NumVgprs: 82
; NumAgprs: 0
; TotalNumVgprs: 82
; ScratchSize: 0
; MemoryBound: 0
; FloatMode: 240
; IeeeMode: 1
; LDSByteSize: 8192 bytes/workgroup (compile time only)
; SGPRBlocks: 6
; VGPRBlocks: 10
; NumSGPRsForWavesPerEU: 56
; NumVGPRsForWavesPerEU: 82
; AccumOffset: 84
; Occupancy: 5
; WaveLimiterHint : 1
; COMPUTE_PGM_RSRC2:SCRATCH_EN: 0
; COMPUTE_PGM_RSRC2:USER_SGPR: 2
; COMPUTE_PGM_RSRC2:TRAP_HANDLER: 0
; COMPUTE_PGM_RSRC2:TGID_X_EN: 1
; COMPUTE_PGM_RSRC2:TGID_Y_EN: 1
; COMPUTE_PGM_RSRC2:TGID_Z_EN: 1
; COMPUTE_PGM_RSRC2:TIDIG_COMP_CNT: 0
; COMPUTE_PGM_RSRC3_GFX90A:ACCUM_OFFSET: 20
; COMPUTE_PGM_RSRC3_GFX90A:TG_SPLIT: 0
	.section	.text._Z39paged_attention_ll4mi_QKV_mfma16_kernelI14__hip_bfloat16hLN4vllm18Fp8KVCacheDataTypeE1EhLi32ELi128ELi256ELb0ELi15EEvPKT_PKT0_S8_ifPKiSA_SA_iPKfiiiPfSD_PS3_PT2_iSC_SC_,"axG",@progbits,_Z39paged_attention_ll4mi_QKV_mfma16_kernelI14__hip_bfloat16hLN4vllm18Fp8KVCacheDataTypeE1EhLi32ELi128ELi256ELb0ELi15EEvPKT_PKT0_S8_ifPKiSA_SA_iPKfiiiPfSD_PS3_PT2_iSC_SC_,comdat
	.protected	_Z39paged_attention_ll4mi_QKV_mfma16_kernelI14__hip_bfloat16hLN4vllm18Fp8KVCacheDataTypeE1EhLi32ELi128ELi256ELb0ELi15EEvPKT_PKT0_S8_ifPKiSA_SA_iPKfiiiPfSD_PS3_PT2_iSC_SC_ ; -- Begin function _Z39paged_attention_ll4mi_QKV_mfma16_kernelI14__hip_bfloat16hLN4vllm18Fp8KVCacheDataTypeE1EhLi32ELi128ELi256ELb0ELi15EEvPKT_PKT0_S8_ifPKiSA_SA_iPKfiiiPfSD_PS3_PT2_iSC_SC_
	.globl	_Z39paged_attention_ll4mi_QKV_mfma16_kernelI14__hip_bfloat16hLN4vllm18Fp8KVCacheDataTypeE1EhLi32ELi128ELi256ELb0ELi15EEvPKT_PKT0_S8_ifPKiSA_SA_iPKfiiiPfSD_PS3_PT2_iSC_SC_
	.p2align	8
	.type	_Z39paged_attention_ll4mi_QKV_mfma16_kernelI14__hip_bfloat16hLN4vllm18Fp8KVCacheDataTypeE1EhLi32ELi128ELi256ELb0ELi15EEvPKT_PKT0_S8_ifPKiSA_SA_iPKfiiiPfSD_PS3_PT2_iSC_SC_,@function
_Z39paged_attention_ll4mi_QKV_mfma16_kernelI14__hip_bfloat16hLN4vllm18Fp8KVCacheDataTypeE1EhLi32ELi128ELi256ELb0ELi15EEvPKT_PKT0_S8_ifPKiSA_SA_iPKfiiiPfSD_PS3_PT2_iSC_SC_: ; @_Z39paged_attention_ll4mi_QKV_mfma16_kernelI14__hip_bfloat16hLN4vllm18Fp8KVCacheDataTypeE1EhLi32ELi128ELi256ELb0ELi15EEvPKT_PKT0_S8_ifPKiSA_SA_iPKfiiiPfSD_PS3_PT2_iSC_SC_
; %bb.0:
	s_load_dwordx2 s[12:13], s[0:1], 0x30
	s_mov_b32 s22, s3
	s_mov_b64 s[6:7], 0
	s_waitcnt lgkmcnt(0)
	s_cmp_lg_u64 s[12:13], 0
	s_cselect_b64 s[14:15], -1, 0
	s_and_b64 vcc, exec, s[14:15]
	s_cbranch_vccz .LBB1362_7
; %bb.1:
	s_add_i32 s8, s2, 1
	s_mov_b32 s9, 0
	s_lshl_b64 s[10:11], s[8:9], 2
	s_add_u32 s10, s12, s10
	s_mov_b32 s3, s9
	s_addc_u32 s11, s13, s11
	s_lshl_b64 s[8:9], s[2:3], 2
	s_add_u32 s8, s12, s8
	s_addc_u32 s9, s13, s9
	s_load_dword s5, s[10:11], 0x0
	s_load_dword s16, s[8:9], 0x0
	s_waitcnt lgkmcnt(0)
	s_sub_i32 s5, s5, s16
	s_cmp_eq_u32 s5, 1
	s_cselect_b64 s[8:9], -1, 0
	s_andn2_b64 vcc, exec, s[6:7]
	s_cbranch_vccnz .LBB1362_3
.LBB1362_2:
	s_mov_b32 s3, 0
	s_mov_b64 s[8:9], -1
.LBB1362_3:
	s_andn2_b64 vcc, exec, s[8:9]
	s_cbranch_vccnz .LBB1362_18
; %bb.4:
	s_load_dwordx2 s[6:7], s[0:1], 0x28
	s_lshl_b64 s[16:17], s[2:3], 2
	s_waitcnt lgkmcnt(0)
	s_add_u32 s6, s6, s16
	s_addc_u32 s7, s7, s17
	s_load_dword s5, s[6:7], 0x0
	s_lshl_b32 s18, s22, 8
	s_waitcnt lgkmcnt(0)
	s_cmp_ge_i32 s18, s5
	s_cbranch_scc1 .LBB1362_18
; %bb.5:
	s_load_dwordx2 s[6:7], s[0:1], 0x20
	s_load_dword s8, s[0:1], 0x38
	s_add_i32 s9, s5, 31
	s_ashr_i32 s10, s9, 31
	v_and_b32_e32 v1, 0xcf, v0
	s_lshr_b32 s10, s10, 27
	v_add_u32_e32 v1, s18, v1
	s_add_i32 s9, s9, s10
	v_ashrrev_i32_e32 v2, 31, v1
	s_ashr_i32 s19, s9, 5
	v_lshrrev_b32_e32 v10, 27, v2
	s_add_i32 s19, s19, -1
	s_waitcnt lgkmcnt(0)
	s_mul_i32 s8, s2, s8
	s_mov_b32 s9, 0
	v_add_u32_e32 v2, v1, v10
	s_lshl_b64 s[8:9], s[8:9], 2
	v_ashrrev_i32_e32 v2, 5, v2
	v_mov_b32_e32 v11, s19
	v_cmp_gt_i32_e32 vcc, s5, v1
	s_add_u32 s6, s6, s8
	s_addc_u32 s7, s7, s9
	v_cndmask_b32_e32 v2, v11, v2, vcc
	v_ashrrev_i32_e32 v3, 31, v2
	v_lshl_add_u64 v[4:5], v[2:3], 2, s[6:7]
	v_or_b32_e32 v2, 16, v1
	v_add_u32_e32 v3, v2, v10
	v_ashrrev_i32_e32 v3, 5, v3
	v_cmp_gt_i32_e32 vcc, s5, v2
	s_load_dwordx4 s[8:11], s[0:1], 0x8
	s_nop 0
	v_cndmask_b32_e32 v2, v11, v3, vcc
	v_ashrrev_i32_e32 v3, 31, v2
	v_lshl_add_u64 v[6:7], v[2:3], 2, s[6:7]
	v_or_b32_e32 v2, 32, v1
	v_add_u32_e32 v3, v2, v10
	v_ashrrev_i32_e32 v3, 5, v3
	v_cmp_gt_i32_e32 vcc, s5, v2
	v_or_b32_e32 v1, 48, v1
	s_nop 0
	v_cndmask_b32_e32 v2, v11, v3, vcc
	v_ashrrev_i32_e32 v3, 31, v2
	v_lshl_add_u64 v[8:9], v[2:3], 2, s[6:7]
	v_add_u32_e32 v2, v1, v10
	v_ashrrev_i32_e32 v2, 5, v2
	v_cmp_gt_i32_e32 vcc, s5, v1
	s_nop 1
	v_cndmask_b32_e32 v2, v11, v2, vcc
	v_ashrrev_i32_e32 v3, 31, v2
	v_lshl_add_u64 v[10:11], v[2:3], 2, s[6:7]
	global_load_dword v2, v[4:5], off
	global_load_dword v24, v[6:7], off
	;; [unrolled: 1-line block ×4, first 2 shown]
	s_andn2_b64 vcc, exec, s[14:15]
	s_cbranch_vccnz .LBB1362_8
; %bb.6:
	s_add_u32 s12, s12, s16
	s_addc_u32 s13, s13, s17
	s_load_dword s14, s[12:13], 0x0
	s_branch .LBB1362_9
.LBB1362_7:
	s_mov_b64 s[8:9], 0
	s_branch .LBB1362_2
.LBB1362_8:
	s_mov_b32 s14, s2
.LBB1362_9:
	s_load_dwordx4 s[44:47], s[0:1], 0x48
	v_lshrrev_b32_e32 v57, 6, v0
	v_bfe_u32 v60, v0, 4, 2
	v_and_b32_e32 v56, 15, v0
	v_lshl_or_b32 v3, v57, 2, v60
	v_lshlrev_b32_e32 v1, 3, v56
	v_and_b32_e32 v61, 63, v0
	s_mul_i32 s48, s4, 15
	v_cmp_gt_u32_e32 vcc, 15, v3
	v_lshlrev_b32_e32 v54, 1, v1
	v_lshlrev_b32_e32 v1, 4, v0
	s_and_saveexec_b64 s[12:13], vcc
	s_cbranch_execz .LBB1362_11
; %bb.10:
	s_load_dwordx2 s[16:17], s[0:1], 0x0
	s_waitcnt lgkmcnt(0)
	s_ashr_i32 s15, s44, 31
	s_mul_hi_u32 s20, s14, s44
	s_mul_i32 s15, s14, s15
	s_add_i32 s15, s20, s15
	s_mul_i32 s14, s14, s44
	s_lshl_b64 s[14:15], s[14:15], 1
	s_add_u32 s14, s16, s14
	v_add_lshl_u32 v4, v3, s48, 7
	s_addc_u32 s15, s17, s15
	v_ashrrev_i32_e32 v5, 31, v4
	v_lshl_add_u64 v[4:5], v[4:5], 1, s[14:15]
	v_mov_b32_e32 v55, 0
	v_lshl_add_u64 v[4:5], v[4:5], 0, v[54:55]
	global_load_dwordx4 v[4:7], v[4:5], off
	v_lshlrev_b32_e32 v9, 8, v0
	v_lshlrev_b32_e32 v8, 8, v56
	v_and_b32_e32 v9, 0x600, v9
	s_movk_i32 s14, 0x800
	v_and_or_b32 v8, v8, s14, v9
	v_lshlrev_b32_e32 v3, 5, v3
	v_and_b32_e32 v9, 16, v1
	v_or3_b32 v3, v8, v3, v9
	s_waitcnt vmcnt(0)
	ds_write_b128 v3, v[4:7]
.LBB1362_11:
	s_or_b64 exec, exec, s[12:13]
	s_waitcnt lgkmcnt(0)
	s_mul_i32 s12, s4, s46
	s_add_u32 s8, s8, s12
	s_addc_u32 s9, s9, 0
	v_mov_b32_e32 v59, 0
	v_mov_b64_e32 v[12:13], s[8:9]
	v_and_b32_e32 v8, 48, v0
	s_waitcnt vmcnt(3)
	v_mad_i64_i32 v[2:3], s[8:9], v2, s45, v[12:13]
	v_lshlrev_b32_e32 v10, 4, v56
	v_mov_b32_e32 v11, v59
	v_lshlrev_b32_e32 v58, 5, v8
	v_lshl_add_u64 v[2:3], v[2:3], 0, v[10:11]
	v_lshl_add_u64 v[6:7], v[2:3], 0, v[58:59]
	s_load_dword s23, s[0:1], 0x98
	s_load_dwordx4 s[40:43], s[0:1], 0x80
	s_waitcnt lgkmcnt(0)
	s_barrier
	global_load_dwordx4 v[2:5], v[6:7], off
	global_load_dwordx4 v[30:33], v[6:7], off offset:2048
	v_cmp_ne_u32_e32 vcc, 15, v56
	s_ashr_i32 s8, s18, 31
	v_or_b32_e32 v34, 0x100, v10
	v_cndmask_b32_e32 v6, 0, v56, vcc
	v_mov_b32_e32 v35, v59
	s_lshr_b32 s13, s8, 27
	s_waitcnt vmcnt(4)
	v_mad_i64_i32 v[24:25], s[8:9], v24, s45, v[12:13]
	v_lshlrev_b32_e32 v6, 5, v6
	v_lshl_add_u64 v[24:25], v[24:25], 0, v[34:35]
	v_lshl_or_b32 v6, v60, 9, v6
	v_lshl_add_u64 v[24:25], v[24:25], 0, v[58:59]
	v_or_b32_e32 v39, s18, v8
	ds_read_b128 v[26:29], v6
	ds_read_b128 v[18:21], v6 offset:16
	ds_read_b128 v[14:17], v6 offset:2048
	;; [unrolled: 1-line block ×3, first 2 shown]
	global_load_dwordx4 v[50:53], v[24:25], off
	global_load_dwordx4 v[46:49], v[24:25], off offset:2048
	v_or_b32_e32 v40, 64, v39
	v_or_b32_e32 v41, 0x80, v39
	s_waitcnt vmcnt(5)
	v_mad_i64_i32 v[36:37], s[8:9], v22, s45, v[12:13]
	v_add_u32_e32 v22, s13, v39
	v_mov_b32_e32 v38, s19
	v_or_b32_e32 v43, 0xc0, v39
	s_waitcnt vmcnt(4)
	v_mad_i64_i32 v[12:13], s[8:9], v23, s45, v[12:13]
	v_add_u32_e32 v23, s13, v40
	v_add_u32_e32 v42, s13, v41
	v_ashrrev_i32_e32 v22, 5, v22
	v_cmp_gt_i32_e32 vcc, s5, v39
	v_add_u32_e32 v44, s13, v43
	v_lshl_add_u64 v[10:11], v[36:37], 0, v[10:11]
	v_ashrrev_i32_e32 v23, 5, v23
	v_ashrrev_i32_e32 v36, 5, v42
	v_cndmask_b32_e32 v42, v38, v22, vcc
	v_cmp_gt_i32_e32 vcc, s5, v40
	v_lshl_add_u64 v[12:13], v[12:13], 0, v[34:35]
	v_ashrrev_i32_e32 v37, 5, v44
	v_cndmask_b32_e32 v44, v38, v23, vcc
	v_cmp_gt_i32_e32 vcc, s5, v41
	v_lshl_add_u64 v[10:11], v[10:11], 0, v[58:59]
	v_lshl_add_u64 v[34:35], v[12:13], 0, v[58:59]
	v_cndmask_b32_e32 v62, v38, v36, vcc
	v_cmp_gt_i32_e32 vcc, s5, v43
	v_ashrrev_i32_e32 v43, 31, v42
	v_ashrrev_i32_e32 v45, 31, v44
	v_cndmask_b32_e32 v64, v38, v37, vcc
	global_load_dwordx4 v[22:25], v[10:11], off
	s_nop 0
	global_load_dwordx4 v[10:13], v[10:11], off offset:2048
	s_nop 0
	global_load_dwordx4 v[38:41], v[34:35], off
	s_nop 0
	global_load_dwordx4 v[34:37], v[34:35], off offset:2048
	v_ashrrev_i32_e32 v63, 31, v62
	v_ashrrev_i32_e32 v65, 31, v64
	v_lshl_add_u64 v[42:43], v[42:43], 2, s[6:7]
	v_lshl_add_u64 v[44:45], v[44:45], 2, s[6:7]
	;; [unrolled: 1-line block ×4, first 2 shown]
	global_load_dword v65, v[42:43], off
	global_load_dword v64, v[44:45], off
	;; [unrolled: 1-line block ×3, first 2 shown]
	s_nop 0
	global_load_dword v62, v[66:67], off
	s_mov_b32 s33, 0x7060302
	s_add_u32 s6, s10, s12
	s_addc_u32 s7, s11, 0
	v_and_b32_e32 v58, 16, v0
	v_lshl_or_b32 v63, v57, 4, v56
	s_load_dword s4, s[0:1], 0x1c
	s_waitcnt vmcnt(11)
	v_cvt_pk_f32_fp8_e32 v[42:43], v2
	v_cvt_pk_f32_fp8_sdwa v[44:45], v2 src0_sel:WORD_1
	v_cvt_pk_f32_fp8_e32 v[66:67], v3
	v_cvt_pk_f32_fp8_sdwa v[2:3], v3 src0_sel:WORD_1
	v_perm_b32 v42, v43, v42, s33
	v_perm_b32 v43, v45, v44, s33
	v_cvt_pk_f32_fp8_e32 v[68:69], v4
	v_cvt_pk_f32_fp8_sdwa v[70:71], v4 src0_sel:WORD_1
	v_perm_b32 v66, v67, v66, s33
	v_perm_b32 v67, v3, v2, s33
	s_waitcnt lgkmcnt(0)
	v_mfma_f32_16x16x16_bf16 v[42:45], v[42:43], v[26:27], 0
	v_cvt_pk_f32_fp8_e32 v[72:73], v5
	v_cvt_pk_f32_fp8_sdwa v[74:75], v5 src0_sel:WORD_1
	v_perm_b32 v68, v69, v68, s33
	v_perm_b32 v69, v71, v70, s33
	v_mfma_f32_16x16x16_bf16 v[2:5], v[66:67], v[28:29], v[42:45]
	s_waitcnt vmcnt(10)
	v_cvt_pk_f32_fp8_sdwa v[66:67], v30 src0_sel:WORD_1
	s_waitcnt vmcnt(6)
	v_cvt_pk_f32_fp8_sdwa v[78:79], v13 src0_sel:WORD_1
	v_perm_b32 v42, v73, v72, s33
	v_cvt_pk_f32_fp8_e32 v[44:45], v30
	v_perm_b32 v43, v75, v74, s33
	v_mfma_f32_16x16x16_bf16 v[2:5], v[68:69], v[18:19], v[2:5]
	v_cvt_pk_f32_fp8_sdwa v[68:69], v46 src0_sel:WORD_1
	v_perm_b32 v44, v45, v44, s33
	v_perm_b32 v45, v67, v66, s33
	v_cvt_pk_f32_fp8_e32 v[66:67], v31
	v_cvt_pk_f32_fp8_sdwa v[30:31], v31 src0_sel:WORD_1
	v_mfma_f32_16x16x16_bf16 v[2:5], v[42:43], v[20:21], v[2:5]
	v_cvt_pk_f32_fp8_e32 v[72:73], v11
	v_perm_b32 v42, v67, v66, s33
	v_perm_b32 v43, v31, v30, s33
	v_mfma_f32_16x16x16_bf16 v[2:5], v[44:45], v[14:15], v[2:5]
	v_cvt_pk_f32_fp8_e32 v[30:31], v32
	v_cvt_pk_f32_fp8_sdwa v[44:45], v32 src0_sel:WORD_1
	v_cvt_pk_f32_fp8_sdwa v[66:67], v50 src0_sel:WORD_1
	v_mfma_f32_16x16x16_bf16 v[2:5], v[42:43], v[16:17], v[2:5]
	v_perm_b32 v30, v31, v30, s33
	v_perm_b32 v31, v45, v44, s33
	v_cvt_pk_f32_fp8_e32 v[42:43], v33
	v_cvt_pk_f32_fp8_sdwa v[32:33], v33 src0_sel:WORD_1
	v_cvt_pk_f32_fp8_e32 v[44:45], v50
	v_mfma_f32_16x16x16_bf16 v[2:5], v[30:31], v[6:7], v[2:5]
	v_perm_b32 v42, v43, v42, s33
	v_perm_b32 v43, v33, v32, s33
	;; [unrolled: 1-line block ×4, first 2 shown]
	v_cvt_pk_f32_fp8_e32 v[32:33], v51
	v_cvt_pk_f32_fp8_sdwa v[50:51], v51 src0_sel:WORD_1
	v_mfma_f32_16x16x16_bf16 v[42:45], v[42:43], v[8:9], v[2:5]
	v_cvt_pk_f32_fp8_sdwa v[66:67], v52 src0_sel:WORD_1
	v_perm_b32 v32, v33, v32, s33
	v_perm_b32 v33, v51, v50, s33
	v_mfma_f32_16x16x16_bf16 v[2:5], v[30:31], v[26:27], 0
	v_cvt_pk_f32_fp8_e32 v[30:31], v52
	v_lshl_add_u64 v[50:51], s[6:7], 0, v[58:59]
	v_lshlrev_b32_e32 v58, 5, v63
	v_mfma_f32_16x16x16_bf16 v[2:5], v[32:33], v[28:29], v[2:5]
	v_cvt_pk_f32_fp8_e32 v[32:33], v53
	v_perm_b32 v30, v31, v30, s33
	v_perm_b32 v31, v67, v66, s33
	v_cvt_pk_f32_fp8_sdwa v[52:53], v53 src0_sel:WORD_1
	v_perm_b32 v32, v33, v32, s33
	v_cvt_pk_f32_fp8_e32 v[66:67], v46
	v_mfma_f32_16x16x16_bf16 v[2:5], v[30:31], v[18:19], v[2:5]
	v_perm_b32 v33, v53, v52, s33
	v_perm_b32 v30, v67, v66, s33
	;; [unrolled: 1-line block ×3, first 2 shown]
	v_cvt_pk_f32_fp8_e32 v[52:53], v47
	v_cvt_pk_f32_fp8_sdwa v[46:47], v47 src0_sel:WORD_1
	v_mfma_f32_16x16x16_bf16 v[2:5], v[32:33], v[20:21], v[2:5]
	v_lshl_add_u64 v[66:67], v[50:51], 0, v[58:59]
	v_perm_b32 v32, v53, v52, s33
	v_perm_b32 v33, v47, v46, s33
	v_mfma_f32_16x16x16_bf16 v[2:5], v[30:31], v[14:15], v[2:5]
	v_cvt_pk_f32_fp8_e32 v[30:31], v48
	v_cvt_pk_f32_fp8_sdwa v[46:47], v48 src0_sel:WORD_1
	v_cvt_pk_f32_fp8_sdwa v[52:53], v22 src0_sel:WORD_1
	v_mfma_f32_16x16x16_bf16 v[2:5], v[32:33], v[16:17], v[2:5]
	v_perm_b32 v30, v31, v30, s33
	v_perm_b32 v31, v47, v46, s33
	v_cvt_pk_f32_fp8_e32 v[32:33], v49
	v_cvt_pk_f32_fp8_sdwa v[46:47], v49 src0_sel:WORD_1
	v_cvt_pk_f32_fp8_e32 v[48:49], v22
	v_mfma_f32_16x16x16_bf16 v[2:5], v[30:31], v[6:7], v[2:5]
	v_perm_b32 v32, v33, v32, s33
	v_perm_b32 v33, v47, v46, s33
	;; [unrolled: 1-line block ×4, first 2 shown]
	v_cvt_pk_f32_fp8_e32 v[52:53], v23
	v_cvt_pk_f32_fp8_sdwa v[22:23], v23 src0_sel:WORD_1
	v_mfma_f32_16x16x16_bf16 v[46:49], v[32:33], v[8:9], v[2:5]
	s_waitcnt vmcnt(2)
	v_mad_i64_i32 v[68:69], s[6:7], v64, s45, v[66:67]
	v_perm_b32 v32, v53, v52, s33
	v_perm_b32 v33, v23, v22, s33
	v_mfma_f32_16x16x16_bf16 v[2:5], v[30:31], v[26:27], 0
	v_cvt_pk_f32_fp8_e32 v[22:23], v24
	v_cvt_pk_f32_fp8_sdwa v[30:31], v24 src0_sel:WORD_1
	v_mad_i64_i32 v[52:53], s[6:7], v65, s45, v[66:67]
	v_perm_b32 v22, v23, v22, s33
	v_perm_b32 v23, v31, v30, s33
	v_cvt_pk_f32_fp8_e32 v[30:31], v25
	v_cvt_pk_f32_fp8_sdwa v[24:25], v25 src0_sel:WORD_1
	v_mfma_f32_16x16x16_bf16 v[2:5], v[32:33], v[28:29], v[2:5]
	s_waitcnt vmcnt(0)
	v_mad_i64_i32 v[74:75], s[6:7], v62, s45, v[66:67]
	v_perm_b32 v70, v31, v30, s33
	v_perm_b32 v71, v25, v24, s33
	v_mfma_f32_16x16x16_bf16 v[2:5], v[22:23], v[18:19], v[2:5]
	global_load_dwordx4 v[30:33], v[52:53], off
	global_load_dwordx4 v[22:25], v[68:69], off
	v_cvt_pk_f32_fp8_e32 v[68:69], v10
	v_mad_i64_i32 v[52:53], s[6:7], v55, s45, v[66:67]
	v_mfma_f32_16x16x16_bf16 v[2:5], v[70:71], v[20:21], v[2:5]
	v_cvt_pk_f32_fp8_sdwa v[70:71], v10 src0_sel:WORD_1
	v_cvt_pk_f32_fp8_sdwa v[10:11], v11 src0_sel:WORD_1
	v_perm_b32 v68, v69, v68, s33
	v_or_b32_e32 v58, 0x800, v58
	v_perm_b32 v69, v71, v70, s33
	v_perm_b32 v70, v73, v72, s33
	;; [unrolled: 1-line block ×3, first 2 shown]
	v_cvt_pk_f32_fp8_e32 v[10:11], v12
	v_cvt_pk_f32_fp8_sdwa v[72:73], v12 src0_sel:WORD_1
	v_mfma_f32_16x16x16_bf16 v[66:69], v[68:69], v[14:15], v[2:5]
	v_lshl_add_u64 v[50:51], v[50:51], 0, v[58:59]
	v_perm_b32 v76, v11, v10, s33
	v_perm_b32 v77, v73, v72, s33
	v_cvt_pk_f32_fp8_e32 v[72:73], v13
	v_mfma_f32_16x16x16_bf16 v[66:69], v[70:71], v[16:17], v[66:69]
	global_load_dwordx4 v[10:13], v[52:53], off
	global_load_dwordx4 v[2:5], v[74:75], off
	v_perm_b32 v53, v79, v78, s33
	v_perm_b32 v52, v73, v72, s33
	v_mfma_f32_16x16x16_bf16 v[66:69], v[76:77], v[6:7], v[66:69]
	v_cvt_pk_f32_fp8_e32 v[58:59], v38
	v_cvt_pk_f32_fp8_sdwa v[70:71], v38 src0_sel:WORD_1
	v_cvt_pk_f32_fp8_e32 v[74:75], v40
	v_mfma_f32_16x16x16_bf16 v[66:69], v[52:53], v[8:9], v[66:69]
	v_cvt_pk_f32_fp8_e32 v[52:53], v39
	v_perm_b32 v58, v59, v58, s33
	v_perm_b32 v59, v71, v70, s33
	v_cvt_pk_f32_fp8_sdwa v[38:39], v39 src0_sel:WORD_1
	v_perm_b32 v52, v53, v52, s33
	v_cvt_pk_f32_fp8_sdwa v[76:77], v40 src0_sel:WORD_1
	v_mfma_f32_16x16x16_bf16 v[70:73], v[58:59], v[26:27], 0
	v_perm_b32 v53, v39, v38, s33
	v_perm_b32 v38, v75, v74, s33
	;; [unrolled: 1-line block ×3, first 2 shown]
	v_cvt_pk_f32_fp8_e32 v[58:59], v41
	v_cvt_pk_f32_fp8_sdwa v[40:41], v41 src0_sel:WORD_1
	v_mfma_f32_16x16x16_bf16 v[26:29], v[52:53], v[28:29], v[70:73]
	s_load_dword s6, s[40:41], 0x0
	v_perm_b32 v58, v59, v58, s33
	v_perm_b32 v59, v41, v40, s33
	v_mfma_f32_16x16x16_bf16 v[26:29], v[38:39], v[18:19], v[26:29]
	v_cvt_pk_f32_fp8_e32 v[40:41], v35
	v_mov_b32_e32 v52, s4
	s_waitcnt lgkmcnt(0)
	v_mul_f32_e32 v70, s6, v52
	v_mfma_f32_16x16x16_bf16 v[18:21], v[58:59], v[20:21], v[26:29]
	v_pk_mul_f32 v[52:53], v[70:71], v[42:43] op_sel_hi:[0,1]
	s_mov_b32 s40, 0xff7fffff
	v_pk_mul_f32 v[38:39], v[70:71], v[44:45] op_sel_hi:[0,1]
	v_cvt_pk_f32_fp8_e32 v[26:27], v34
	v_cvt_pk_f32_fp8_sdwa v[28:29], v34 src0_sel:WORD_1
	v_cvt_pk_f32_fp8_sdwa v[34:35], v35 src0_sel:WORD_1
	v_pk_mul_f32 v[58:59], v[70:71], v[46:47] op_sel_hi:[0,1]
	v_perm_b32 v26, v27, v26, s33
	v_perm_b32 v27, v29, v28, s33
	;; [unrolled: 1-line block ×4, first 2 shown]
	v_cvt_pk_f32_fp8_e32 v[34:35], v36
	v_cvt_pk_f32_fp8_sdwa v[40:41], v36 src0_sel:WORD_1
	v_mfma_f32_16x16x16_bf16 v[18:21], v[26:27], v[14:15], v[18:21]
	v_pk_mul_f32 v[48:49], v[70:71], v[48:49] op_sel_hi:[0,1]
	v_perm_b32 v26, v35, v34, s33
	v_perm_b32 v27, v41, v40, s33
	v_cvt_pk_f32_fp8_e32 v[34:35], v37
	v_cvt_pk_f32_fp8_sdwa v[36:37], v37 src0_sel:WORD_1
	v_mfma_f32_16x16x16_bf16 v[14:17], v[28:29], v[16:17], v[18:21]
	v_pk_mul_f32 v[40:41], v[70:71], v[66:67] op_sel_hi:[0,1]
	v_pk_mul_f32 v[44:45], v[70:71], v[68:69] op_sel_hi:[0,1]
	v_mad_i64_i32 v[72:73], s[6:7], v65, s45, v[50:51]
	v_perm_b32 v18, v35, v34, s33
	v_perm_b32 v19, v37, v36, s33
	v_mfma_f32_16x16x16_bf16 v[14:17], v[26:27], v[6:7], v[14:17]
	s_nop 0
	v_mfma_f32_16x16x16_bf16 v[6:9], v[18:19], v[8:9], v[14:17]
	s_nop 6
	v_pk_mul_f32 v[42:43], v[70:71], v[6:7] op_sel_hi:[0,1]
	v_and_b32_e32 v6, 0xc0, v0
	v_add_u32_e32 v6, s18, v6
	v_lshl_or_b32 v6, v60, 2, v6
	v_pk_mul_f32 v[34:35], v[70:71], v[8:9] op_sel_hi:[0,1]
	v_or_b32_e32 v9, 1, v6
	v_mov_b32_e32 v7, 0xff7fffff
	v_cmp_gt_i32_e64 s[24:25], s5, v6
	v_cmp_gt_i32_e64 s[26:27], s5, v9
	v_or_b32_e32 v14, 3, v6
	v_cndmask_b32_e64 v8, v7, v52, s[24:25]
	v_cndmask_b32_e64 v9, v7, v53, s[26:27]
	v_max3_f32 v8, v8, s40, v9
	v_or_b32_e32 v9, 2, v6
	v_cmp_gt_i32_e64 s[28:29], s5, v9
	v_cmp_gt_i32_e64 s[30:31], s5, v14
	s_nop 0
	v_cndmask_b32_e64 v9, v7, v38, s[28:29]
	v_cndmask_b32_e64 v14, v7, v39, s[30:31]
	v_max3_f32 v8, v8, v9, v14
	v_or_b32_e32 v9, 16, v6
	v_or_b32_e32 v14, 17, v6
	v_cmp_gt_i32_e64 s[34:35], s5, v9
	v_cmp_gt_i32_e64 s[36:37], s5, v14
	s_nop 0
	v_cndmask_b32_e64 v9, v7, v58, s[34:35]
	v_cndmask_b32_e64 v14, v7, v59, s[36:37]
	v_max3_f32 v8, v8, v9, v14
	v_or_b32_e32 v9, 18, v6
	;; [unrolled: 8-line block ×6, first 2 shown]
	v_or_b32_e32 v6, 51, v6
	v_cmp_gt_i32_e32 vcc, s5, v9
	v_cmp_gt_i32_e64 s[4:5], s5, v6
	s_nop 0
	v_cndmask_b32_e32 v9, v7, v34, vcc
	v_cndmask_b32_e64 v6, v7, v35, s[4:5]
	v_max3_f32 v8, v8, v9, v6
	v_mbcnt_lo_u32_b32 v6, -1, 0
	v_mbcnt_hi_u32_b32 v9, -1, v6
	v_and_b32_e32 v6, 64, v9
	v_add_u32_e32 v14, 64, v6
	v_xor_b32_e32 v6, 32, v9
	v_cmp_lt_i32_e64 s[38:39], v6, v14
	s_nop 1
	v_cndmask_b32_e64 v6, v9, v6, s[38:39]
	v_lshlrev_b32_e32 v65, 2, v6
	ds_bpermute_b32 v15, v65, v8
	v_mad_i64_i32 v[6:7], s[38:39], v64, s45, v[50:51]
	global_load_dwordx4 v[26:29], v[72:73], off
	global_load_dwordx4 v[18:21], v[6:7], off
	s_waitcnt lgkmcnt(0)
	v_max_f32_e32 v6, v15, v15
	v_max_f32_e32 v15, v8, v6
	v_xor_b32_e32 v6, 16, v9
	v_cmp_lt_i32_e64 s[38:39], v6, v14
	s_nop 1
	v_cndmask_b32_e64 v6, v9, v6, s[38:39]
	v_lshlrev_b32_e32 v64, 2, v6
	ds_bpermute_b32 v14, v64, v15
	v_mad_i64_i32 v[6:7], s[38:39], v55, s45, v[50:51]
	v_mad_i64_i32 v[8:9], s[38:39], v62, s45, v[50:51]
	s_waitcnt lgkmcnt(0)
	v_max_f32_e32 v14, v14, v14
	v_max_f32_e32 v50, v15, v14
	v_sub_f32_e32 v14, v52, v50
	v_mul_f32_e32 v14, 0x3fb8aa3b, v14
	v_exp_f32_e32 v36, v14
	v_sub_f32_e32 v14, v53, v50
	v_mul_f32_e32 v14, 0x3fb8aa3b, v14
	v_exp_f32_e32 v37, v14
	global_load_dwordx4 v[14:17], v[6:7], off
	s_nop 0
	global_load_dwordx4 v[6:9], v[8:9], off
	v_sub_f32_e32 v38, v38, v50
	v_mul_f32_e32 v38, 0x3fb8aa3b, v38
	v_sub_f32_e32 v39, v39, v50
	v_exp_f32_e32 v38, v38
	v_mul_f32_e32 v39, 0x3fb8aa3b, v39
	v_exp_f32_e32 v39, v39
	v_cndmask_b32_e64 v36, 0, v36, s[24:25]
	v_add_f32_e32 v46, 0, v36
	v_cndmask_b32_e64 v37, 0, v37, s[26:27]
	v_add_f32_e32 v47, v46, v37
	;; [unrolled: 2-line block ×3, first 2 shown]
	v_cndmask_b32_e64 v47, 0, v39, s[30:31]
	v_sub_f32_e32 v39, v58, v50
	v_mul_f32_e32 v39, 0x3fb8aa3b, v39
	v_sub_f32_e32 v51, v59, v50
	v_exp_f32_e32 v39, v39
	v_mul_f32_e32 v51, 0x3fb8aa3b, v51
	v_sub_f32_e32 v48, v48, v50
	v_exp_f32_e32 v51, v51
	;; [unrolled: 3-line block ×4, first 2 shown]
	v_mul_f32_e32 v40, 0x3fb8aa3b, v40
	v_sub_f32_e32 v41, v41, v50
	v_add_f32_e32 v52, v38, v47
	v_cndmask_b32_e64 v38, 0, v39, s[34:35]
	v_exp_f32_e32 v40, v40
	v_mul_f32_e32 v41, 0x3fb8aa3b, v41
	v_sub_f32_e32 v44, v44, v50
	v_add_f32_e32 v52, v52, v38
	v_cndmask_b32_e64 v39, 0, v51, s[36:37]
	v_exp_f32_e32 v41, v41
	;; [unrolled: 5-line block ×7, first 2 shown]
	v_mul_f32_e32 v35, 0x3fb8aa3b, v35
	v_add_f32_e32 v51, v51, v44
	v_cndmask_b32_e64 v45, 0, v45, s[12:13]
	v_exp_f32_e32 v35, v35
	v_add_f32_e32 v51, v51, v45
	v_cndmask_b32_e64 v42, 0, v42, s[6:7]
	v_add_f32_e32 v51, v51, v42
	v_cndmask_b32_e64 v43, 0, v43, s[8:9]
	v_add_f32_e32 v51, v51, v43
	v_cndmask_b32_e32 v34, 0, v34, vcc
	v_add_f32_e32 v51, v51, v34
	v_cndmask_b32_e64 v35, 0, v35, s[4:5]
	v_add_f32_e32 v51, v51, v35
	ds_bpermute_b32 v52, v65, v51
	v_cmp_gt_u32_e32 vcc, 16, v61
	s_waitcnt lgkmcnt(0)
	s_barrier
	v_add_f32_e32 v51, v51, v52
	ds_bpermute_b32 v52, v64, v51
	s_and_saveexec_b64 s[4:5], vcc
	s_cbranch_execz .LBB1362_13
; %bb.12:
	s_waitcnt lgkmcnt(0)
	v_add_f32_e32 v51, v51, v52
	v_lshlrev_b32_e32 v52, 2, v63
	ds_write2st64_b32 v52, v50, v51 offset1:1
.LBB1362_13:
	s_or_b64 exec, exec, s[4:5]
	v_lshlrev_b32_e32 v51, 2, v56
	s_load_dword s6, s[0:1], 0x94
	s_waitcnt lgkmcnt(0)
	s_barrier
	ds_read2_b32 v[52:53], v51 offset1:16
	ds_read2_b32 v[58:59], v51 offset0:32 offset1:48
	ds_read2_b32 v[62:63], v51 offset0:64 offset1:80
	s_movk_i32 s8, 0x7fff
	s_mul_i32 s7, s23, 15
	s_waitcnt lgkmcnt(2)
	v_max3_f32 v50, v52, s40, v53
	s_waitcnt lgkmcnt(1)
	v_max3_f32 v50, v50, v58, v59
	v_sub_f32_e32 v52, v52, v50
	v_mul_f32_e32 v52, 0x3fb8aa3b, v52
	v_exp_f32_e32 v55, v52
	v_sub_f32_e32 v52, v53, v50
	v_mul_f32_e32 v52, 0x3fb8aa3b, v52
	v_exp_f32_e32 v61, v52
	;; [unrolled: 3-line block ×3, first 2 shown]
	ds_read2_b32 v[52:53], v51 offset0:96 offset1:112
	v_sub_f32_e32 v51, v59, v50
	v_mul_f32_e32 v51, 0x3fb8aa3b, v51
	v_exp_f32_e32 v59, v51
	s_waitcnt lgkmcnt(1)
	v_fma_f32 v51, v55, v62, 0
	v_fmac_f32_e32 v51, v61, v63
	s_waitcnt lgkmcnt(0)
	v_fmac_f32_e32 v51, v58, v52
	v_fmac_f32_e32 v51, v59, v53
	v_add_f32_e32 v52, 0x358637bd, v51
	v_div_scale_f32 v53, s[4:5], v52, v52, 1.0
	v_rcp_f32_e32 v62, v53
	s_barrier
	v_fma_f32 v63, -v53, v62, 1.0
	v_fmac_f32_e32 v62, v63, v62
	v_div_scale_f32 v63, vcc, 1.0, v52, 1.0
	v_mul_f32_e32 v64, v63, v62
	v_fma_f32 v65, -v53, v64, v63
	v_fmac_f32_e32 v64, v65, v62
	v_fma_f32 v53, -v53, v64, v63
	v_div_fmas_f32 v53, v53, v62, v64
	v_cmp_eq_u32_e32 vcc, 1, v57
	v_div_fixup_f32 v52, v53, v52, 1.0
	s_nop 0
	v_cndmask_b32_e32 v53, v55, v61, vcc
	v_cmp_eq_u32_e32 vcc, 2, v57
	s_nop 1
	v_cndmask_b32_e32 v53, v53, v58, vcc
	v_cmp_eq_u32_e32 vcc, 3, v57
	s_nop 1
	v_cndmask_b32_e32 v53, v53, v59, vcc
	v_mul_f32_e32 v52, v53, v52
	v_pk_mul_f32 v[36:37], v[52:53], v[36:37] op_sel_hi:[0,1]
	v_pk_mul_f32 v[46:47], v[52:53], v[46:47] op_sel_hi:[0,1]
	v_bfe_u32 v53, v37, 16, 1
	v_bfe_u32 v55, v36, 16, 1
	v_add3_u32 v36, v36, v55, s8
	v_add3_u32 v37, v37, v53, s8
	v_perm_b32 v58, v37, v36, s33
	v_bfe_u32 v36, v47, 16, 1
	v_bfe_u32 v37, v46, 16, 1
	v_add3_u32 v37, v46, v37, s8
	v_add3_u32 v36, v47, v36, s8
	v_perm_b32 v59, v36, v37, s33
	v_lshlrev_b32_e32 v37, 3, v60
	v_lshlrev_b32_e32 v36, 5, v56
	;; [unrolled: 1-line block ×3, first 2 shown]
	v_pk_mul_f32 v[38:39], v[52:53], v[38:39] op_sel_hi:[0,1]
	v_or3_b32 v55, v46, v36, v37
	v_pk_mul_f32 v[46:47], v[52:53], v[48:49] op_sel_hi:[0,1]
	v_bfe_u32 v37, v39, 16, 1
	v_bfe_u32 v48, v38, 16, 1
	v_add3_u32 v38, v38, v48, s8
	v_add3_u32 v37, v39, v37, s8
	v_perm_b32 v38, v37, v38, s33
	v_bfe_u32 v37, v47, 16, 1
	v_bfe_u32 v39, v46, 16, 1
	v_add3_u32 v39, v46, v39, s8
	v_add3_u32 v37, v47, v37, s8
	v_perm_b32 v39, v37, v39, s33
	v_pk_mul_f32 v[40:41], v[52:53], v[40:41] op_sel_hi:[0,1]
	ds_write2st64_b64 v55, v[58:59], v[38:39] offset1:1
	v_pk_mul_f32 v[38:39], v[52:53], v[44:45] op_sel_hi:[0,1]
	v_bfe_u32 v37, v41, 16, 1
	v_bfe_u32 v44, v40, 16, 1
	v_add3_u32 v40, v40, v44, s8
	v_add3_u32 v37, v41, v37, s8
	v_perm_b32 v40, v37, v40, s33
	v_bfe_u32 v37, v39, 16, 1
	v_bfe_u32 v41, v38, 16, 1
	v_add3_u32 v38, v38, v41, s8
	v_add3_u32 v37, v39, v37, s8
	v_perm_b32 v41, v37, v38, s33
	v_pk_mul_f32 v[38:39], v[52:53], v[42:43] op_sel_hi:[0,1]
	v_bfe_u32 v37, v39, 16, 1
	v_bfe_u32 v42, v38, 16, 1
	v_pk_mul_f32 v[34:35], v[52:53], v[34:35] op_sel_hi:[0,1]
	v_add3_u32 v38, v38, v42, s8
	v_add3_u32 v37, v39, v37, s8
	v_perm_b32 v38, v37, v38, s33
	v_bfe_u32 v37, v35, 16, 1
	v_bfe_u32 v39, v34, 16, 1
	v_add3_u32 v34, v34, v39, s8
	v_add3_u32 v35, v35, v37, s8
	v_perm_b32 v39, v35, v34, s33
	v_cmp_gt_u32_e32 vcc, 15, v0
	ds_write2st64_b64 v55, v[40:41], v[38:39] offset0:2 offset1:3
	s_and_saveexec_b64 s[4:5], vcc
	s_cbranch_execz .LBB1362_15
; %bb.14:
	s_mov_b32 s49, 0
	v_mov_b32_e32 v57, 0
	v_lshl_add_u64 v[34:35], s[48:49], 0, v[56:57]
	v_mov_b32_e32 v37, s7
	v_mad_u64_u32 v[34:35], s[10:11], s2, v37, v[34:35]
	s_mul_i32 s3, s3, s7
	v_mov_b32_e32 v38, s22
	v_mov_b32_e32 v39, v57
	s_load_dwordx4 s[12:15], s[0:1], 0x58
	v_add_u32_e32 v37, s3, v35
	v_mad_u64_u32 v[34:35], s[10:11], v34, s6, v[38:39]
	v_mov_b32_e32 v38, v35
	v_mad_u64_u32 v[38:39], s[10:11], v37, s6, v[38:39]
	v_mov_b32_e32 v35, v38
	v_lshlrev_b64 v[34:35], 2, v[34:35]
	s_waitcnt lgkmcnt(0)
	v_lshl_add_u64 v[38:39], s[14:15], 0, v[34:35]
	v_lshl_add_u64 v[34:35], s[12:13], 0, v[34:35]
	global_store_dword v[38:39], v50, off
	global_store_dword v[34:35], v51, off
.LBB1362_15:
	s_or_b64 exec, exec, s[4:5]
	v_lshl_or_b32 v50, v60, 9, v36
	s_waitcnt vmcnt(7)
	v_cvt_pk_f32_fp8_e32 v[34:35], v30
	v_cvt_pk_f32_fp8_sdwa v[36:37], v30 src0_sel:WORD_1
	s_mov_b32 s5, 0x7060302
	s_waitcnt lgkmcnt(0)
	s_barrier
	v_cvt_pk_f32_fp8_e32 v[38:39], v31
	v_perm_b32 v30, v35, v34, s5
	v_cvt_pk_f32_fp8_sdwa v[40:41], v31 src0_sel:WORD_1
	v_perm_b32 v31, v37, v36, s5
	ds_read_b128 v[34:37], v50
	v_perm_b32 v46, v39, v38, s5
	v_perm_b32 v47, v41, v40, s5
	ds_read_b128 v[38:41], v50 offset:16
	v_cvt_pk_f32_fp8_e32 v[48:49], v32
	v_cvt_pk_f32_fp8_sdwa v[52:53], v32 src0_sel:WORD_1
	s_waitcnt lgkmcnt(1)
	v_mfma_f32_16x16x16_bf16 v[42:45], v[30:31], v[34:35], 0
	s_waitcnt vmcnt(6)
	v_cvt_pk_f32_fp8_e32 v[58:59], v24
	v_perm_b32 v30, v49, v48, s5
	v_perm_b32 v31, v53, v52, s5
	v_cvt_pk_f32_fp8_e32 v[48:49], v33
	v_mfma_f32_16x16x16_bf16 v[42:45], v[46:47], v[36:37], v[42:45]
	v_cvt_pk_f32_fp8_sdwa v[46:47], v33 src0_sel:WORD_1
	v_cvt_pk_f32_fp8_sdwa v[62:63], v24 src0_sel:WORD_1
	v_perm_b32 v48, v49, v48, s5
	s_waitcnt lgkmcnt(0)
	v_mfma_f32_16x16x16_bf16 v[30:33], v[30:31], v[38:39], v[42:45]
	v_perm_b32 v49, v47, v46, s5
	s_waitcnt vmcnt(5)
	v_cvt_pk_f32_fp8_sdwa v[66:67], v12 src0_sel:WORD_1
	s_waitcnt vmcnt(4)
	v_cvt_pk_f32_fp8_sdwa v[68:69], v4 src0_sel:WORD_1
	v_cvt_pk_f32_fp8_e32 v[42:43], v22
	v_mfma_f32_16x16x16_bf16 v[46:49], v[48:49], v[40:41], v[30:33]
	s_load_dword s4, s[42:43], 0x0
	s_waitcnt vmcnt(3)
	v_cvt_pk_f32_fp8_sdwa v[70:71], v28 src0_sel:WORD_1
	v_cvt_pk_f32_fp8_sdwa v[30:31], v22 src0_sel:WORD_1
	v_cvt_pk_f32_fp8_e32 v[32:33], v23
	v_perm_b32 v22, v43, v42, s5
	v_cvt_pk_f32_fp8_sdwa v[42:43], v23 src0_sel:WORD_1
	v_perm_b32 v23, v31, v30, s5
	v_perm_b32 v52, v33, v32, s5
	ds_read_b128 v[30:33], v50 offset:2048
	v_perm_b32 v53, v43, v42, s5
	ds_read_b128 v[42:45], v50 offset:2064
	s_waitcnt lgkmcnt(0)
	v_mfma_f32_16x16x16_bf16 v[46:49], v[22:23], v[30:31], v[46:49]
	v_perm_b32 v22, v59, v58, s5
	v_perm_b32 v23, v63, v62, s5
	v_cvt_pk_f32_fp8_e32 v[58:59], v25
	v_mfma_f32_16x16x16_bf16 v[46:49], v[52:53], v[32:33], v[46:49]
	v_cvt_pk_f32_fp8_sdwa v[52:53], v25 src0_sel:WORD_1
	s_mov_b32 s3, 0
	v_perm_b32 v58, v59, v58, s5
	v_mfma_f32_16x16x16_bf16 v[22:25], v[22:23], v[42:43], v[46:49]
	v_perm_b32 v59, v53, v52, s5
	v_cmp_gt_u32_e32 vcc, 64, v0
	s_nop 0
	v_cvt_pk_f32_fp8_e32 v[46:47], v10
	v_mfma_f32_16x16x16_bf16 v[62:65], v[58:59], v[44:45], v[22:25]
	v_cvt_pk_f32_fp8_e32 v[58:59], v12
	s_nop 1
	v_cvt_pk_f32_fp8_sdwa v[22:23], v10 src0_sel:WORD_1
	v_cvt_pk_f32_fp8_e32 v[24:25], v11
	v_perm_b32 v10, v47, v46, s5
	v_cvt_pk_f32_fp8_sdwa v[46:47], v11 src0_sel:WORD_1
	v_perm_b32 v11, v23, v22, s5
	v_perm_b32 v52, v25, v24, s5
	ds_read_b128 v[22:25], v50 offset:4096
	v_perm_b32 v53, v47, v46, s5
	ds_read_b128 v[46:49], v50 offset:4112
	s_waitcnt lgkmcnt(1)
	v_mfma_f32_16x16x16_bf16 v[62:65], v[10:11], v[22:23], v[62:65]
	v_perm_b32 v10, v59, v58, s5
	v_perm_b32 v11, v67, v66, s5
	v_cvt_pk_f32_fp8_e32 v[58:59], v13
	v_mfma_f32_16x16x16_bf16 v[62:65], v[52:53], v[24:25], v[62:65]
	v_cvt_pk_f32_fp8_sdwa v[52:53], v13 src0_sel:WORD_1
	v_cvt_pk_f32_fp8_e32 v[66:67], v4
	v_perm_b32 v58, v59, v58, s5
	s_waitcnt lgkmcnt(0)
	v_mfma_f32_16x16x16_bf16 v[10:13], v[10:11], v[46:47], v[62:65]
	v_perm_b32 v59, v53, v52, s5
	v_cvt_pk_f32_fp8_e32 v[52:53], v2
	s_nop 0
	v_mfma_f32_16x16x16_bf16 v[62:65], v[58:59], v[48:49], v[10:13]
	s_nop 2
	v_cvt_pk_f32_fp8_sdwa v[10:11], v2 src0_sel:WORD_1
	v_cvt_pk_f32_fp8_e32 v[12:13], v3
	v_perm_b32 v2, v53, v52, s5
	v_cvt_pk_f32_fp8_sdwa v[52:53], v3 src0_sel:WORD_1
	v_perm_b32 v3, v11, v10, s5
	v_perm_b32 v58, v13, v12, s5
	ds_read_b128 v[10:13], v50 offset:6144
	v_perm_b32 v59, v53, v52, s5
	s_waitcnt lgkmcnt(0)
	v_mfma_f32_16x16x16_bf16 v[62:65], v[2:3], v[10:11], v[62:65]
	ds_read_b128 v[50:53], v50 offset:6160
	v_perm_b32 v2, v67, v66, s5
	v_perm_b32 v3, v69, v68, s5
	v_cvt_pk_f32_fp8_e32 v[66:67], v5
	v_mfma_f32_16x16x16_bf16 v[62:65], v[58:59], v[12:13], v[62:65]
	v_cvt_pk_f32_fp8_sdwa v[58:59], v5 src0_sel:WORD_1
	v_cvt_pk_f32_fp8_e32 v[68:69], v28
	v_perm_b32 v66, v67, v66, s5
	s_waitcnt lgkmcnt(0)
	v_mfma_f32_16x16x16_bf16 v[2:5], v[2:3], v[50:51], v[62:65]
	v_perm_b32 v67, v59, v58, s5
	v_cvt_pk_f32_fp8_sdwa v[58:59], v26 src0_sel:WORD_1
	s_nop 0
	v_mfma_f32_16x16x16_bf16 v[62:65], v[66:67], v[52:53], v[2:5]
	s_barrier
	s_nop 1
	v_cvt_pk_f32_fp8_e32 v[4:5], v26
	s_nop 2
	v_pk_mul_f32 v[66:67], v[62:63], s[4:5] op_sel_hi:[1,0]
	v_cvt_pk_f32_fp8_e32 v[62:63], v27
	v_perm_b32 v4, v5, v4, s5
	v_perm_b32 v5, v59, v58, s5
	v_cvt_pk_f32_fp8_sdwa v[26:27], v27 src0_sel:WORD_1
	v_perm_b32 v58, v63, v62, s5
	v_pk_mul_f32 v[2:3], v[64:65], s[4:5] op_sel_hi:[1,0]
	v_mfma_f32_16x16x16_bf16 v[62:65], v[4:5], v[34:35], 0
	v_perm_b32 v59, v27, v26, s5
	v_perm_b32 v4, v69, v68, s5
	;; [unrolled: 1-line block ×3, first 2 shown]
	v_cvt_pk_f32_fp8_e32 v[34:35], v29
	v_cvt_pk_f32_fp8_sdwa v[68:69], v29 src0_sel:WORD_1
	v_mfma_f32_16x16x16_bf16 v[26:29], v[58:59], v[36:37], v[62:65]
	s_waitcnt vmcnt(2)
	v_cvt_pk_f32_fp8_sdwa v[36:37], v18 src0_sel:WORD_1
	v_perm_b32 v34, v35, v34, s5
	v_perm_b32 v35, v69, v68, s5
	v_mfma_f32_16x16x16_bf16 v[26:29], v[4:5], v[38:39], v[26:29]
	v_cvt_pk_f32_fp8_e32 v[4:5], v18
	v_cvt_pk_f32_fp8_sdwa v[38:39], v20 src0_sel:WORD_1
	v_bfe_u32 v57, v67, 16, 1
	v_mfma_f32_16x16x16_bf16 v[26:29], v[34:35], v[40:41], v[26:29]
	v_cvt_pk_f32_fp8_e32 v[34:35], v19
	v_perm_b32 v4, v5, v4, s5
	v_perm_b32 v5, v37, v36, s5
	v_cvt_pk_f32_fp8_sdwa v[18:19], v19 src0_sel:WORD_1
	v_perm_b32 v34, v35, v34, s5
	v_cvt_pk_f32_fp8_e32 v[36:37], v20
	v_mfma_f32_16x16x16_bf16 v[26:29], v[4:5], v[30:31], v[26:29]
	v_perm_b32 v35, v19, v18, s5
	v_perm_b32 v4, v37, v36, s5
	;; [unrolled: 1-line block ×3, first 2 shown]
	v_cvt_pk_f32_fp8_e32 v[30:31], v21
	v_cvt_pk_f32_fp8_sdwa v[36:37], v21 src0_sel:WORD_1
	v_mfma_f32_16x16x16_bf16 v[18:21], v[34:35], v[32:33], v[26:29]
	v_bfe_u32 v58, v66, 16, 1
	v_add3_u32 v32, v66, v58, s8
	v_add3_u32 v33, v67, v57, s8
	v_perm_b32 v26, v31, v30, s5
	v_perm_b32 v27, v37, v36, s5
	v_mfma_f32_16x16x16_bf16 v[18:21], v[4:5], v[42:43], v[18:21]
	s_waitcnt vmcnt(1)
	v_cvt_pk_f32_fp8_e32 v[4:5], v14
	v_cvt_pk_f32_fp8_sdwa v[28:29], v14 src0_sel:WORD_1
	v_cvt_pk_f32_fp8_sdwa v[30:31], v16 src0_sel:WORD_1
	v_mfma_f32_16x16x16_bf16 v[18:21], v[26:27], v[44:45], v[18:21]
	v_cvt_pk_f32_fp8_e32 v[26:27], v15
	v_perm_b32 v4, v5, v4, s5
	v_perm_b32 v5, v29, v28, s5
	v_cvt_pk_f32_fp8_sdwa v[14:15], v15 src0_sel:WORD_1
	v_perm_b32 v26, v27, v26, s5
	v_cvt_pk_f32_fp8_e32 v[28:29], v16
	v_mfma_f32_16x16x16_bf16 v[18:21], v[4:5], v[22:23], v[18:21]
	v_perm_b32 v27, v15, v14, s5
	v_perm_b32 v4, v29, v28, s5
	;; [unrolled: 1-line block ×3, first 2 shown]
	v_cvt_pk_f32_fp8_e32 v[22:23], v17
	v_cvt_pk_f32_fp8_sdwa v[28:29], v17 src0_sel:WORD_1
	v_mfma_f32_16x16x16_bf16 v[14:17], v[26:27], v[24:25], v[18:21]
	s_waitcnt vmcnt(0)
	v_cvt_pk_f32_fp8_sdwa v[24:25], v8 src0_sel:WORD_1
	s_nop 0
	v_perm_b32 v20, v23, v22, s5
	v_perm_b32 v21, v29, v28, s5
	v_mfma_f32_16x16x16_bf16 v[14:17], v[4:5], v[46:47], v[14:17]
	v_cvt_pk_f32_fp8_e32 v[4:5], v6
	v_cvt_pk_f32_fp8_sdwa v[22:23], v6 src0_sel:WORD_1
	v_bfe_u32 v19, v3, 16, 1
	v_mfma_f32_16x16x16_bf16 v[14:17], v[20:21], v[48:49], v[14:17]
	v_cvt_pk_f32_fp8_e32 v[20:21], v7
	v_perm_b32 v4, v5, v4, s5
	v_perm_b32 v5, v23, v22, s5
	v_cvt_pk_f32_fp8_sdwa v[6:7], v7 src0_sel:WORD_1
	v_perm_b32 v20, v21, v20, s5
	v_cvt_pk_f32_fp8_e32 v[22:23], v8
	v_add3_u32 v3, v3, v19, s8
	v_perm_b32 v21, v7, v6, s5
	v_mfma_f32_16x16x16_bf16 v[4:7], v[4:5], v[10:11], v[14:17]
	v_perm_b32 v10, v23, v22, s5
	v_perm_b32 v11, v25, v24, s5
	;; [unrolled: 1-line block ×3, first 2 shown]
	v_cvt_pk_f32_fp8_e32 v[14:15], v9
	v_cvt_pk_f32_fp8_sdwa v[8:9], v9 src0_sel:WORD_1
	v_mfma_f32_16x16x16_bf16 v[4:7], v[20:21], v[12:13], v[4:7]
	v_bfe_u32 v16, v2, 16, 1
	v_perm_b32 v12, v15, v14, s5
	v_perm_b32 v13, v9, v8, s5
	v_mfma_f32_16x16x16_bf16 v[4:7], v[10:11], v[50:51], v[4:7]
	v_add3_u32 v2, v2, v16, s8
	v_perm_b32 v19, v3, v2, s5
	v_mfma_f32_16x16x16_bf16 v[2:5], v[12:13], v[52:53], v[4:7]
	s_nop 6
	v_pk_mul_f32 v[2:3], v[2:3], s[4:5] op_sel_hi:[1,0]
	v_pk_mul_f32 v[4:5], v[4:5], s[4:5] op_sel_hi:[1,0]
	v_bfe_u32 v6, v3, 16, 1
	v_bfe_u32 v7, v2, 16, 1
	v_add3_u32 v2, v2, v7, s8
	v_add3_u32 v3, v3, v6, s8
	v_perm_b32 v2, v3, v2, s5
	v_bfe_u32 v3, v5, 16, 1
	v_bfe_u32 v6, v4, 16, 1
	v_add3_u32 v4, v4, v6, s8
	v_add3_u32 v3, v5, v3, s8
	v_perm_b32 v3, v3, v4, s5
	ds_write2st64_b64 v55, v[18:19], v[2:3] offset1:1
	s_waitcnt lgkmcnt(0)
	s_barrier
	s_and_saveexec_b64 s[4:5], vcc
	s_cbranch_execz .LBB1362_18
; %bb.16:
	s_load_dwordx2 s[4:5], s[0:1], 0x68
	s_lshl_b32 s0, s6, 7
	s_mul_i32 s1, s7, s2
	v_lshlrev_b32_e32 v3, 6, v56
	s_mul_hi_u32 s7, s1, s0
	s_mul_i32 s6, s1, s0
	v_lshl_or_b32 v0, v0, 10, v3
	s_lshl_b64 s[6:7], s[6:7], 1
	v_lshlrev_b32_e32 v2, 5, v60
	v_and_b32_e32 v1, 16, v1
	v_and_b32_e32 v0, 0x1a00, v0
	s_waitcnt lgkmcnt(0)
	s_add_u32 s1, s4, s6
	v_or3_b32 v2, v0, v2, v1
	s_addc_u32 s4, s5, s7
	s_lshl_b32 s2, s22, 7
	ds_read_b128 v[4:7], v2 offset:256
	s_lshl_b64 s[2:3], s[2:3], 1
	ds_read_b128 v[8:11], v2 offset:128
	ds_read_b128 v[12:15], v2
	s_add_u32 s2, s1, s2
	s_addc_u32 s3, s4, s3
	v_mov_b32_e32 v55, 0
	v_add_u32_e32 v3, s48, v60
	v_lshl_add_u64 v[0:1], s[2:3], 0, v[54:55]
	v_mad_u64_u32 v[16:17], s[2:3], v3, s0, 0
	v_lshl_add_u64 v[16:17], v[16:17], 1, v[0:1]
	s_waitcnt lgkmcnt(0)
	global_store_dwordx4 v[16:17], v[12:15], off
	v_cmp_ne_u32_e32 vcc, 3, v60
	s_nop 0
	v_add_u32_e32 v12, 4, v3
	v_mad_u64_u32 v[12:13], s[2:3], v12, s0, 0
	v_lshl_add_u64 v[12:13], v[12:13], 1, v[0:1]
	v_add_u32_e32 v3, 8, v3
	global_store_dwordx4 v[12:13], v[8:11], off
	s_nop 1
	v_mad_u64_u32 v[8:9], s[2:3], v3, s0, 0
	v_lshl_add_u64 v[8:9], v[8:9], 1, v[0:1]
	global_store_dwordx4 v[8:9], v[4:7], off
	s_and_b64 exec, exec, vcc
	s_cbranch_execz .LBB1362_18
; %bb.17:
	ds_read_b128 v[2:5], v2 offset:384
	v_add3_u32 v6, s48, v60, 12
	v_mad_u64_u32 v[6:7], s[0:1], v6, s0, 0
	v_lshl_add_u64 v[0:1], v[6:7], 1, v[0:1]
	s_waitcnt lgkmcnt(0)
	global_store_dwordx4 v[0:1], v[2:5], off
.LBB1362_18:
	s_endpgm
	.section	.rodata,"a",@progbits
	.p2align	6, 0x0
	.amdhsa_kernel _Z39paged_attention_ll4mi_QKV_mfma16_kernelI14__hip_bfloat16hLN4vllm18Fp8KVCacheDataTypeE1EhLi32ELi128ELi256ELb0ELi15EEvPKT_PKT0_S8_ifPKiSA_SA_iPKfiiiPfSD_PS3_PT2_iSC_SC_
		.amdhsa_group_segment_fixed_size 8192
		.amdhsa_private_segment_fixed_size 0
		.amdhsa_kernarg_size 400
		.amdhsa_user_sgpr_count 2
		.amdhsa_user_sgpr_dispatch_ptr 0
		.amdhsa_user_sgpr_queue_ptr 0
		.amdhsa_user_sgpr_kernarg_segment_ptr 1
		.amdhsa_user_sgpr_dispatch_id 0
		.amdhsa_user_sgpr_kernarg_preload_length 0
		.amdhsa_user_sgpr_kernarg_preload_offset 0
		.amdhsa_user_sgpr_private_segment_size 0
		.amdhsa_uses_dynamic_stack 0
		.amdhsa_enable_private_segment 0
		.amdhsa_system_sgpr_workgroup_id_x 1
		.amdhsa_system_sgpr_workgroup_id_y 1
		.amdhsa_system_sgpr_workgroup_id_z 1
		.amdhsa_system_sgpr_workgroup_info 0
		.amdhsa_system_vgpr_workitem_id 0
		.amdhsa_next_free_vgpr 80
		.amdhsa_next_free_sgpr 50
		.amdhsa_accum_offset 80
		.amdhsa_reserve_vcc 1
		.amdhsa_float_round_mode_32 0
		.amdhsa_float_round_mode_16_64 0
		.amdhsa_float_denorm_mode_32 3
		.amdhsa_float_denorm_mode_16_64 3
		.amdhsa_dx10_clamp 1
		.amdhsa_ieee_mode 1
		.amdhsa_fp16_overflow 0
		.amdhsa_tg_split 0
		.amdhsa_exception_fp_ieee_invalid_op 0
		.amdhsa_exception_fp_denorm_src 0
		.amdhsa_exception_fp_ieee_div_zero 0
		.amdhsa_exception_fp_ieee_overflow 0
		.amdhsa_exception_fp_ieee_underflow 0
		.amdhsa_exception_fp_ieee_inexact 0
		.amdhsa_exception_int_div_zero 0
	.end_amdhsa_kernel
	.section	.text._Z39paged_attention_ll4mi_QKV_mfma16_kernelI14__hip_bfloat16hLN4vllm18Fp8KVCacheDataTypeE1EhLi32ELi128ELi256ELb0ELi15EEvPKT_PKT0_S8_ifPKiSA_SA_iPKfiiiPfSD_PS3_PT2_iSC_SC_,"axG",@progbits,_Z39paged_attention_ll4mi_QKV_mfma16_kernelI14__hip_bfloat16hLN4vllm18Fp8KVCacheDataTypeE1EhLi32ELi128ELi256ELb0ELi15EEvPKT_PKT0_S8_ifPKiSA_SA_iPKfiiiPfSD_PS3_PT2_iSC_SC_,comdat
.Lfunc_end1362:
	.size	_Z39paged_attention_ll4mi_QKV_mfma16_kernelI14__hip_bfloat16hLN4vllm18Fp8KVCacheDataTypeE1EhLi32ELi128ELi256ELb0ELi15EEvPKT_PKT0_S8_ifPKiSA_SA_iPKfiiiPfSD_PS3_PT2_iSC_SC_, .Lfunc_end1362-_Z39paged_attention_ll4mi_QKV_mfma16_kernelI14__hip_bfloat16hLN4vllm18Fp8KVCacheDataTypeE1EhLi32ELi128ELi256ELb0ELi15EEvPKT_PKT0_S8_ifPKiSA_SA_iPKfiiiPfSD_PS3_PT2_iSC_SC_
                                        ; -- End function
	.section	.AMDGPU.csdata,"",@progbits
; Kernel info:
; codeLenInByte = 6436
; NumSgprs: 56
; NumVgprs: 80
; NumAgprs: 0
; TotalNumVgprs: 80
; ScratchSize: 0
; MemoryBound: 0
; FloatMode: 240
; IeeeMode: 1
; LDSByteSize: 8192 bytes/workgroup (compile time only)
; SGPRBlocks: 6
; VGPRBlocks: 9
; NumSGPRsForWavesPerEU: 56
; NumVGPRsForWavesPerEU: 80
; AccumOffset: 80
; Occupancy: 6
; WaveLimiterHint : 1
; COMPUTE_PGM_RSRC2:SCRATCH_EN: 0
; COMPUTE_PGM_RSRC2:USER_SGPR: 2
; COMPUTE_PGM_RSRC2:TRAP_HANDLER: 0
; COMPUTE_PGM_RSRC2:TGID_X_EN: 1
; COMPUTE_PGM_RSRC2:TGID_Y_EN: 1
; COMPUTE_PGM_RSRC2:TGID_Z_EN: 1
; COMPUTE_PGM_RSRC2:TIDIG_COMP_CNT: 0
; COMPUTE_PGM_RSRC3_GFX90A:ACCUM_OFFSET: 19
; COMPUTE_PGM_RSRC3_GFX90A:TG_SPLIT: 0
	.section	.text._Z39paged_attention_ll4mi_QKV_mfma16_kernelI14__hip_bfloat16hLN4vllm18Fp8KVCacheDataTypeE1EhLi32ELi128ELi256ELb0ELi16EEvPKT_PKT0_S8_ifPKiSA_SA_iPKfiiiPfSD_PS3_PT2_iSC_SC_,"axG",@progbits,_Z39paged_attention_ll4mi_QKV_mfma16_kernelI14__hip_bfloat16hLN4vllm18Fp8KVCacheDataTypeE1EhLi32ELi128ELi256ELb0ELi16EEvPKT_PKT0_S8_ifPKiSA_SA_iPKfiiiPfSD_PS3_PT2_iSC_SC_,comdat
	.protected	_Z39paged_attention_ll4mi_QKV_mfma16_kernelI14__hip_bfloat16hLN4vllm18Fp8KVCacheDataTypeE1EhLi32ELi128ELi256ELb0ELi16EEvPKT_PKT0_S8_ifPKiSA_SA_iPKfiiiPfSD_PS3_PT2_iSC_SC_ ; -- Begin function _Z39paged_attention_ll4mi_QKV_mfma16_kernelI14__hip_bfloat16hLN4vllm18Fp8KVCacheDataTypeE1EhLi32ELi128ELi256ELb0ELi16EEvPKT_PKT0_S8_ifPKiSA_SA_iPKfiiiPfSD_PS3_PT2_iSC_SC_
	.globl	_Z39paged_attention_ll4mi_QKV_mfma16_kernelI14__hip_bfloat16hLN4vllm18Fp8KVCacheDataTypeE1EhLi32ELi128ELi256ELb0ELi16EEvPKT_PKT0_S8_ifPKiSA_SA_iPKfiiiPfSD_PS3_PT2_iSC_SC_
	.p2align	8
	.type	_Z39paged_attention_ll4mi_QKV_mfma16_kernelI14__hip_bfloat16hLN4vllm18Fp8KVCacheDataTypeE1EhLi32ELi128ELi256ELb0ELi16EEvPKT_PKT0_S8_ifPKiSA_SA_iPKfiiiPfSD_PS3_PT2_iSC_SC_,@function
_Z39paged_attention_ll4mi_QKV_mfma16_kernelI14__hip_bfloat16hLN4vllm18Fp8KVCacheDataTypeE1EhLi32ELi128ELi256ELb0ELi16EEvPKT_PKT0_S8_ifPKiSA_SA_iPKfiiiPfSD_PS3_PT2_iSC_SC_: ; @_Z39paged_attention_ll4mi_QKV_mfma16_kernelI14__hip_bfloat16hLN4vllm18Fp8KVCacheDataTypeE1EhLi32ELi128ELi256ELb0ELi16EEvPKT_PKT0_S8_ifPKiSA_SA_iPKfiiiPfSD_PS3_PT2_iSC_SC_
; %bb.0:
	s_load_dwordx2 s[12:13], s[0:1], 0x30
	s_mov_b32 s24, s3
	s_mov_b64 s[6:7], 0
	s_waitcnt lgkmcnt(0)
	s_cmp_lg_u64 s[12:13], 0
	s_cselect_b64 s[14:15], -1, 0
	s_and_b64 vcc, exec, s[14:15]
	s_cbranch_vccz .LBB1363_7
; %bb.1:
	s_add_i32 s8, s2, 1
	s_mov_b32 s9, 0
	s_lshl_b64 s[10:11], s[8:9], 2
	s_add_u32 s10, s12, s10
	s_mov_b32 s3, s9
	s_addc_u32 s11, s13, s11
	s_lshl_b64 s[8:9], s[2:3], 2
	s_add_u32 s8, s12, s8
	s_addc_u32 s9, s13, s9
	s_load_dword s5, s[10:11], 0x0
	s_load_dword s16, s[8:9], 0x0
	s_waitcnt lgkmcnt(0)
	s_sub_i32 s5, s5, s16
	s_cmp_eq_u32 s5, 1
	s_cselect_b64 s[8:9], -1, 0
	s_andn2_b64 vcc, exec, s[6:7]
	s_cbranch_vccnz .LBB1363_3
.LBB1363_2:
	s_mov_b32 s3, 0
	s_mov_b64 s[8:9], -1
.LBB1363_3:
	s_andn2_b64 vcc, exec, s[8:9]
	s_cbranch_vccnz .LBB1363_17
; %bb.4:
	s_load_dwordx2 s[6:7], s[0:1], 0x28
	s_lshl_b64 s[16:17], s[2:3], 2
	s_waitcnt lgkmcnt(0)
	s_add_u32 s6, s6, s16
	s_addc_u32 s7, s7, s17
	s_load_dword s38, s[6:7], 0x0
	s_lshl_b32 s18, s24, 8
	s_waitcnt lgkmcnt(0)
	s_cmp_ge_i32 s18, s38
	s_cbranch_scc1 .LBB1363_17
; %bb.5:
	s_load_dwordx2 s[6:7], s[0:1], 0x20
	s_load_dword s8, s[0:1], 0x38
	s_add_i32 s5, s38, 31
	s_ashr_i32 s9, s5, 31
	v_and_b32_e32 v1, 0xcf, v0
	s_lshr_b32 s9, s9, 27
	v_add_u32_e32 v1, s18, v1
	s_add_i32 s5, s5, s9
	v_ashrrev_i32_e32 v2, 31, v1
	s_ashr_i32 s5, s5, 5
	v_lshrrev_b32_e32 v10, 27, v2
	s_add_i32 s5, s5, -1
	s_waitcnt lgkmcnt(0)
	s_mul_i32 s8, s2, s8
	s_mov_b32 s9, 0
	v_add_u32_e32 v2, v1, v10
	s_lshl_b64 s[8:9], s[8:9], 2
	v_ashrrev_i32_e32 v2, 5, v2
	v_mov_b32_e32 v11, s5
	v_cmp_gt_i32_e32 vcc, s38, v1
	s_add_u32 s6, s6, s8
	s_addc_u32 s7, s7, s9
	v_cndmask_b32_e32 v2, v11, v2, vcc
	v_ashrrev_i32_e32 v3, 31, v2
	v_lshl_add_u64 v[4:5], v[2:3], 2, s[6:7]
	v_or_b32_e32 v2, 16, v1
	v_add_u32_e32 v3, v2, v10
	v_ashrrev_i32_e32 v3, 5, v3
	v_cmp_gt_i32_e32 vcc, s38, v2
	s_load_dwordx4 s[8:11], s[0:1], 0x8
	s_nop 0
	v_cndmask_b32_e32 v2, v11, v3, vcc
	v_ashrrev_i32_e32 v3, 31, v2
	v_lshl_add_u64 v[6:7], v[2:3], 2, s[6:7]
	v_or_b32_e32 v2, 32, v1
	v_add_u32_e32 v3, v2, v10
	v_ashrrev_i32_e32 v3, 5, v3
	v_cmp_gt_i32_e32 vcc, s38, v2
	v_or_b32_e32 v1, 48, v1
	s_nop 0
	v_cndmask_b32_e32 v2, v11, v3, vcc
	v_ashrrev_i32_e32 v3, 31, v2
	v_lshl_add_u64 v[8:9], v[2:3], 2, s[6:7]
	v_add_u32_e32 v2, v1, v10
	v_ashrrev_i32_e32 v2, 5, v2
	v_cmp_gt_i32_e32 vcc, s38, v1
	s_nop 1
	v_cndmask_b32_e32 v2, v11, v2, vcc
	v_ashrrev_i32_e32 v3, 31, v2
	v_lshl_add_u64 v[10:11], v[2:3], 2, s[6:7]
	global_load_dword v2, v[4:5], off
	global_load_dword v32, v[6:7], off
	global_load_dword v30, v[8:9], off
	global_load_dword v31, v[10:11], off
	s_andn2_b64 vcc, exec, s[14:15]
	s_cbranch_vccnz .LBB1363_8
; %bb.6:
	s_add_u32 s12, s12, s16
	s_addc_u32 s13, s13, s17
	s_load_dword s14, s[12:13], 0x0
	s_branch .LBB1363_9
.LBB1363_7:
	s_mov_b64 s[8:9], 0
	s_branch .LBB1363_2
.LBB1363_8:
	s_mov_b32 s14, s2
.LBB1363_9:
	s_load_dwordx4 s[44:47], s[0:1], 0x48
	v_and_b32_e32 v60, 15, v0
	v_lshlrev_b32_e32 v3, 3, v60
	s_movk_i32 s12, 0x100
	v_lshrrev_b32_e32 v62, 6, v0
	v_and_b32_e32 v63, 63, v0
	v_bfe_u32 v1, v0, 4, 2
	s_lshl_b32 s25, s4, 4
	v_cmp_gt_u32_e32 vcc, s12, v0
	v_lshlrev_b32_e32 v54, 1, v3
	v_lshlrev_b32_e32 v61, 4, v0
	s_and_saveexec_b64 s[12:13], vcc
	s_cbranch_execz .LBB1363_11
; %bb.10:
	s_load_dwordx2 s[16:17], s[0:1], 0x0
	s_waitcnt lgkmcnt(0)
	s_ashr_i32 s15, s44, 31
	s_mul_hi_u32 s19, s14, s44
	s_mul_i32 s15, s14, s15
	s_add_i32 s15, s19, s15
	s_mul_i32 s14, s14, s44
	v_lshl_or_b32 v3, v62, 2, v1
	s_lshl_b64 s[14:15], s[14:15], 1
	s_add_u32 s14, s16, s14
	v_add_lshl_u32 v4, v3, s25, 7
	s_addc_u32 s15, s17, s15
	v_ashrrev_i32_e32 v5, 31, v4
	v_lshl_add_u64 v[4:5], v[4:5], 1, s[14:15]
	v_mov_b32_e32 v55, 0
	v_lshl_add_u64 v[4:5], v[4:5], 0, v[54:55]
	global_load_dwordx4 v[4:7], v[4:5], off
	v_lshlrev_b32_e32 v9, 8, v0
	v_lshlrev_b32_e32 v8, 8, v60
	v_and_b32_e32 v9, 0x600, v9
	s_movk_i32 s14, 0x800
	v_and_or_b32 v8, v8, s14, v9
	v_lshlrev_b32_e32 v3, 5, v3
	v_and_b32_e32 v9, 16, v61
	v_or3_b32 v3, v8, v3, v9
	s_waitcnt vmcnt(0)
	ds_write_b128 v3, v[4:7]
.LBB1363_11:
	s_or_b64 exec, exec, s[12:13]
	s_waitcnt lgkmcnt(0)
	s_mul_i32 s12, s4, s46
	s_add_u32 s8, s8, s12
	s_addc_u32 s9, s9, 0
	v_mov_b32_e32 v57, 0
	v_mov_b64_e32 v[24:25], s[8:9]
	v_and_b32_e32 v8, 48, v0
	s_waitcnt vmcnt(3)
	v_mad_i64_i32 v[2:3], s[8:9], v2, s45, v[24:25]
	v_lshlrev_b32_e32 v22, 4, v60
	v_mov_b32_e32 v23, v57
	v_lshlrev_b32_e32 v56, 5, v8
	v_lshl_add_u64 v[2:3], v[2:3], 0, v[22:23]
	v_lshl_add_u64 v[6:7], v[2:3], 0, v[56:57]
	s_load_dword s33, s[0:1], 0x98
	s_load_dwordx4 s[40:43], s[0:1], 0x80
	s_waitcnt lgkmcnt(0)
	s_barrier
	global_load_dwordx4 v[14:17], v[6:7], off
	global_load_dwordx4 v[2:5], v[6:7], off offset:2048
	s_ashr_i32 s4, s18, 31
	v_mov_b32_e32 v38, s5
	v_or_b32_e32 v34, 0x100, v22
	v_mov_b32_e32 v35, v57
	s_lshr_b32 s9, s4, 27
	s_waitcnt vmcnt(4)
	v_mad_i64_i32 v[32:33], s[4:5], v32, s45, v[24:25]
	v_lshlrev_b32_e32 v64, 5, v60
	v_lshl_add_u64 v[32:33], v[32:33], 0, v[34:35]
	v_lshl_or_b32 v55, v1, 9, v64
	v_lshl_add_u64 v[32:33], v[32:33], 0, v[56:57]
	v_or_b32_e32 v39, s18, v8
	ds_read_b128 v[26:29], v55
	ds_read_b128 v[18:21], v55 offset:16
	ds_read_b128 v[10:13], v55 offset:2048
	;; [unrolled: 1-line block ×3, first 2 shown]
	global_load_dwordx4 v[46:49], v[32:33], off
	v_or_b32_e32 v40, 64, v39
	s_waitcnt vmcnt(4)
	v_mad_i64_i32 v[36:37], s[4:5], v30, s45, v[24:25]
	v_add_u32_e32 v30, s9, v39
	s_waitcnt vmcnt(3)
	v_mad_i64_i32 v[24:25], s[4:5], v31, s45, v[24:25]
	v_add_u32_e32 v31, s9, v40
	v_ashrrev_i32_e32 v30, 5, v30
	v_cmp_gt_i32_e32 vcc, s38, v39
	v_ashrrev_i32_e32 v31, 5, v31
	v_or_b32_e32 v41, 0x80, v39
	v_cndmask_b32_e32 v50, v38, v30, vcc
	v_cmp_gt_i32_e32 vcc, s38, v40
	v_or_b32_e32 v42, 0xc0, v39
	v_add_u32_e32 v43, s9, v41
	v_cndmask_b32_e32 v52, v38, v31, vcc
	global_load_dwordx4 v[30:33], v[32:33], off offset:2048
	v_add_u32_e32 v44, s9, v42
	v_lshl_add_u64 v[22:23], v[36:37], 0, v[22:23]
	v_lshl_add_u64 v[24:25], v[24:25], 0, v[34:35]
	v_ashrrev_i32_e32 v43, 5, v43
	v_cmp_gt_i32_e32 vcc, s38, v41
	v_ashrrev_i32_e32 v44, 5, v44
	v_lshl_add_u64 v[34:35], v[22:23], 0, v[56:57]
	v_lshl_add_u64 v[36:37], v[24:25], 0, v[56:57]
	v_cndmask_b32_e32 v58, v38, v43, vcc
	v_cmp_gt_i32_e32 vcc, s38, v42
	s_mov_b32 s44, 0x7060302
	v_ashrrev_i32_e32 v51, 31, v50
	v_cndmask_b32_e32 v66, v38, v44, vcc
	global_load_dwordx4 v[22:25], v[34:35], off
	global_load_dwordx4 v[42:45], v[34:35], off offset:2048
	global_load_dwordx4 v[38:41], v[36:37], off
	s_nop 0
	global_load_dwordx4 v[34:37], v[36:37], off offset:2048
	v_ashrrev_i32_e32 v67, 31, v66
	v_lshl_add_u64 v[70:71], v[66:67], 2, s[6:7]
	v_ashrrev_i32_e32 v53, 31, v52
	v_lshl_add_u64 v[50:51], v[50:51], 2, s[6:7]
	v_lshl_add_u64 v[52:53], v[52:53], 2, s[6:7]
	v_ashrrev_i32_e32 v59, 31, v58
	v_lshl_add_u64 v[58:59], v[58:59], 2, s[6:7]
	s_add_u32 s4, s10, s12
	s_addc_u32 s5, s11, 0
	v_and_b32_e32 v56, 16, v0
	v_lshl_or_b32 v65, v62, 4, v60
	s_load_dword s8, s[0:1], 0x1c
	s_waitcnt vmcnt(7)
	v_cvt_pk_f32_fp8_e32 v[66:67], v14
	v_cvt_pk_f32_fp8_sdwa v[68:69], v14 src0_sel:WORD_1
	v_cvt_pk_f32_fp8_e32 v[72:73], v15
	v_cvt_pk_f32_fp8_sdwa v[14:15], v15 src0_sel:WORD_1
	;; [unrolled: 2-line block ×4, first 2 shown]
	v_perm_b32 v16, v67, v66, s44
	v_perm_b32 v17, v69, v68, s44
	;; [unrolled: 1-line block ×4, first 2 shown]
	s_waitcnt lgkmcnt(0)
	v_mfma_f32_16x16x16_bf16 v[14:17], v[16:17], v[26:27], 0
	v_perm_b32 v74, v75, v74, s44
	v_perm_b32 v75, v77, v76, s44
	s_waitcnt vmcnt(6)
	v_cvt_pk_f32_fp8_e32 v[66:67], v2
	v_mfma_f32_16x16x16_bf16 v[14:17], v[68:69], v[28:29], v[14:17]
	global_load_dword v68, v[50:51], off
	global_load_dword v69, v[52:53], off
	v_cvt_pk_f32_fp8_sdwa v[82:83], v2 src0_sel:WORD_1
	v_perm_b32 v76, v79, v78, s44
	v_perm_b32 v77, v81, v80, s44
	v_mfma_f32_16x16x16_bf16 v[14:17], v[74:75], v[18:19], v[14:17]
	v_perm_b32 v50, v67, v66, s44
	v_perm_b32 v51, v83, v82, s44
	v_cvt_pk_f32_fp8_e32 v[72:73], v3
	v_cvt_pk_f32_fp8_sdwa v[2:3], v3 src0_sel:WORD_1
	v_mfma_f32_16x16x16_bf16 v[14:17], v[76:77], v[20:21], v[14:17]
	v_cvt_pk_f32_fp8_e32 v[52:53], v5
	v_perm_b32 v72, v73, v72, s44
	v_perm_b32 v73, v3, v2, s44
	v_mfma_f32_16x16x16_bf16 v[14:17], v[50:51], v[10:11], v[14:17]
	v_cvt_pk_f32_fp8_e32 v[2:3], v4
	v_cvt_pk_f32_fp8_sdwa v[50:51], v4 src0_sel:WORD_1
	global_load_dword v67, v[58:59], off
	global_load_dword v66, v[70:71], off
	v_mfma_f32_16x16x16_bf16 v[14:17], v[72:73], v[12:13], v[14:17]
	v_perm_b32 v2, v3, v2, s44
	v_perm_b32 v3, v51, v50, s44
	v_cvt_pk_f32_fp8_sdwa v[4:5], v5 src0_sel:WORD_1
	v_perm_b32 v50, v53, v52, s44
	s_waitcnt vmcnt(9)
	v_cvt_pk_f32_fp8_e32 v[52:53], v46
	v_cvt_pk_f32_fp8_sdwa v[58:59], v46 src0_sel:WORD_1
	v_perm_b32 v51, v5, v4, s44
	v_mfma_f32_16x16x16_bf16 v[2:5], v[2:3], v[6:7], v[14:17]
	s_waitcnt vmcnt(8)
	v_cvt_pk_f32_fp8_sdwa v[70:71], v30 src0_sel:WORD_1
	s_waitcnt vmcnt(6)
	v_cvt_pk_f32_fp8_e32 v[74:75], v43
	v_cvt_pk_f32_fp8_sdwa v[76:77], v44 src0_sel:WORD_1
	v_perm_b32 v14, v53, v52, s44
	v_perm_b32 v15, v59, v58, s44
	v_cvt_pk_f32_fp8_e32 v[16:17], v47
	v_cvt_pk_f32_fp8_sdwa v[46:47], v47 src0_sel:WORD_1
	v_mfma_f32_16x16x16_bf16 v[50:53], v[50:51], v[8:9], v[2:5]
	v_lshl_add_u64 v[58:59], s[4:5], 0, v[56:57]
	v_perm_b32 v16, v17, v16, s44
	v_perm_b32 v17, v47, v46, s44
	v_mfma_f32_16x16x16_bf16 v[2:5], v[14:15], v[26:27], 0
	v_cvt_pk_f32_fp8_e32 v[14:15], v48
	v_cvt_pk_f32_fp8_sdwa v[46:47], v48 src0_sel:WORD_1
	v_lshlrev_b32_e32 v56, 5, v65
	v_mfma_f32_16x16x16_bf16 v[2:5], v[16:17], v[28:29], v[2:5]
	v_cvt_pk_f32_fp8_e32 v[16:17], v49
	v_perm_b32 v14, v15, v14, s44
	v_perm_b32 v15, v47, v46, s44
	v_cvt_pk_f32_fp8_sdwa v[46:47], v49 src0_sel:WORD_1
	v_perm_b32 v16, v17, v16, s44
	v_cvt_pk_f32_fp8_e32 v[48:49], v30
	v_mfma_f32_16x16x16_bf16 v[2:5], v[14:15], v[18:19], v[2:5]
	v_perm_b32 v17, v47, v46, s44
	v_perm_b32 v14, v49, v48, s44
	;; [unrolled: 1-line block ×3, first 2 shown]
	v_cvt_pk_f32_fp8_e32 v[46:47], v31
	v_cvt_pk_f32_fp8_sdwa v[30:31], v31 src0_sel:WORD_1
	v_mfma_f32_16x16x16_bf16 v[2:5], v[16:17], v[20:21], v[2:5]
	v_perm_b32 v74, v75, v74, s44
	v_perm_b32 v16, v47, v46, s44
	;; [unrolled: 1-line block ×3, first 2 shown]
	v_mfma_f32_16x16x16_bf16 v[2:5], v[14:15], v[10:11], v[2:5]
	v_cvt_pk_f32_fp8_e32 v[14:15], v32
	v_cvt_pk_f32_fp8_sdwa v[30:31], v32 src0_sel:WORD_1
	v_cvt_pk_f32_fp8_sdwa v[46:47], v22 src0_sel:WORD_1
	v_mfma_f32_16x16x16_bf16 v[2:5], v[16:17], v[12:13], v[2:5]
	v_perm_b32 v14, v15, v14, s44
	v_perm_b32 v15, v31, v30, s44
	v_cvt_pk_f32_fp8_e32 v[16:17], v33
	v_cvt_pk_f32_fp8_sdwa v[30:31], v33 src0_sel:WORD_1
	v_cvt_pk_f32_fp8_e32 v[32:33], v22
	v_mfma_f32_16x16x16_bf16 v[2:5], v[14:15], v[6:7], v[2:5]
	v_perm_b32 v16, v17, v16, s44
	v_perm_b32 v17, v31, v30, s44
	;; [unrolled: 1-line block ×4, first 2 shown]
	v_cvt_pk_f32_fp8_e32 v[30:31], v23
	v_cvt_pk_f32_fp8_sdwa v[22:23], v23 src0_sel:WORD_1
	v_mfma_f32_16x16x16_bf16 v[46:49], v[16:17], v[8:9], v[2:5]
	v_lshl_add_u64 v[16:17], v[58:59], 0, v[56:57]
	v_perm_b32 v30, v31, v30, s44
	v_perm_b32 v31, v23, v22, s44
	v_mfma_f32_16x16x16_bf16 v[2:5], v[14:15], v[26:27], 0
	v_cvt_pk_f32_fp8_e32 v[14:15], v24
	v_cvt_pk_f32_fp8_sdwa v[22:23], v24 src0_sel:WORD_1
	s_waitcnt vmcnt(3)
	v_mad_i64_i32 v[32:33], s[4:5], v68, s45, v[16:17]
	v_perm_b32 v14, v15, v14, s44
	v_perm_b32 v15, v23, v22, s44
	v_cvt_pk_f32_fp8_e32 v[22:23], v25
	v_cvt_pk_f32_fp8_sdwa v[24:25], v25 src0_sel:WORD_1
	v_mfma_f32_16x16x16_bf16 v[2:5], v[30:31], v[28:29], v[2:5]
	s_waitcnt vmcnt(2)
	v_mad_i64_i32 v[70:71], s[4:5], v69, s45, v[16:17]
	v_perm_b32 v72, v23, v22, s44
	v_perm_b32 v73, v25, v24, s44
	v_mfma_f32_16x16x16_bf16 v[2:5], v[14:15], v[18:19], v[2:5]
	global_load_dwordx4 v[30:33], v[32:33], off
	s_nop 0
	global_load_dwordx4 v[22:25], v[70:71], off
	v_cvt_pk_f32_fp8_e32 v[70:71], v42
	v_perm_b32 v81, v77, v76, s44
	v_mfma_f32_16x16x16_bf16 v[2:5], v[72:73], v[20:21], v[2:5]
	v_cvt_pk_f32_fp8_sdwa v[72:73], v42 src0_sel:WORD_1
	v_cvt_pk_f32_fp8_sdwa v[42:43], v43 src0_sel:WORD_1
	v_perm_b32 v70, v71, v70, s44
	v_cvt_pk_f32_fp8_e32 v[76:77], v45
	v_perm_b32 v71, v73, v72, s44
	v_perm_b32 v75, v43, v42, s44
	v_cvt_pk_f32_fp8_e32 v[42:43], v44
	v_mfma_f32_16x16x16_bf16 v[70:73], v[70:71], v[10:11], v[2:5]
	v_perm_b32 v80, v43, v42, s44
	v_cvt_pk_f32_fp8_sdwa v[44:45], v45 src0_sel:WORD_1
	v_or_b32_e32 v56, 0x800, v56
	v_mfma_f32_16x16x16_bf16 v[70:73], v[74:75], v[12:13], v[70:73]
	v_lshl_add_u64 v[42:43], v[58:59], 0, v[56:57]
	v_perm_b32 v75, v45, v44, s44
	v_cvt_pk_f32_fp8_e32 v[44:45], v38
	v_mfma_f32_16x16x16_bf16 v[56:59], v[80:81], v[6:7], v[70:73]
	v_perm_b32 v74, v77, v76, s44
	s_waitcnt vmcnt(3)
	v_mad_i64_i32 v[14:15], s[4:5], v67, s45, v[16:17]
	v_cvt_pk_f32_fp8_sdwa v[70:71], v38 src0_sel:WORD_1
	v_cvt_pk_f32_fp8_e32 v[72:73], v39
	v_perm_b32 v44, v45, v44, s44
	v_cvt_pk_f32_fp8_sdwa v[38:39], v39 src0_sel:WORD_1
	v_perm_b32 v45, v71, v70, s44
	s_waitcnt vmcnt(2)
	v_mad_i64_i32 v[78:79], s[4:5], v66, s45, v[16:17]
	global_load_dwordx4 v[14:17], v[14:15], off
	s_nop 0
	global_load_dwordx4 v[2:5], v[78:79], off
	s_load_dword s4, s[40:41], 0x0
	v_mfma_f32_16x16x16_bf16 v[56:59], v[74:75], v[8:9], v[56:59]
	v_perm_b32 v74, v73, v72, s44
	v_cvt_pk_f32_fp8_e32 v[76:77], v40
	v_cvt_pk_f32_fp8_sdwa v[78:79], v40 src0_sel:WORD_1
	v_perm_b32 v75, v39, v38, s44
	v_mfma_f32_16x16x16_bf16 v[70:73], v[44:45], v[26:27], 0
	v_perm_b32 v38, v77, v76, s44
	v_perm_b32 v39, v79, v78, s44
	v_cvt_pk_f32_fp8_e32 v[76:77], v41
	v_cvt_pk_f32_fp8_sdwa v[40:41], v41 src0_sel:WORD_1
	v_mov_b32_e32 v26, s8
	s_waitcnt lgkmcnt(0)
	v_mul_f32_e32 v78, s4, v26
	v_mfma_f32_16x16x16_bf16 v[26:29], v[74:75], v[28:29], v[70:73]
	v_pk_mul_f32 v[44:45], v[78:79], v[52:53] op_sel_hi:[0,1]
	v_perm_b32 v52, v77, v76, s44
	v_perm_b32 v53, v41, v40, s44
	v_mfma_f32_16x16x16_bf16 v[26:29], v[38:39], v[18:19], v[26:29]
	v_cvt_pk_f32_fp8_e32 v[18:19], v34
	v_cvt_pk_f32_fp8_sdwa v[38:39], v34 src0_sel:WORD_1
	v_pk_mul_f32 v[50:51], v[78:79], v[50:51] op_sel_hi:[0,1]
	v_mfma_f32_16x16x16_bf16 v[26:29], v[52:53], v[20:21], v[26:29]
	v_perm_b32 v20, v19, v18, s44
	v_perm_b32 v21, v39, v38, s44
	v_cvt_pk_f32_fp8_e32 v[38:39], v35
	v_cvt_pk_f32_fp8_sdwa v[34:35], v35 src0_sel:WORD_1
	v_mfma_f32_16x16x16_bf16 v[26:29], v[20:21], v[10:11], v[26:29]
	v_perm_b32 v38, v39, v38, s44
	v_perm_b32 v39, v35, v34, s44
	v_cvt_pk_f32_fp8_e32 v[10:11], v36
	v_cvt_pk_f32_fp8_sdwa v[20:21], v36 src0_sel:WORD_1
	v_cvt_pk_f32_fp8_sdwa v[52:53], v37 src0_sel:WORD_1
	s_mov_b32 s40, 0xff7fffff
	v_perm_b32 v40, v11, v10, s44
	v_perm_b32 v41, v21, v20, s44
	v_cvt_pk_f32_fp8_e32 v[20:21], v37
	v_mfma_f32_16x16x16_bf16 v[10:13], v[38:39], v[12:13], v[26:29]
	v_pk_mul_f32 v[36:37], v[78:79], v[48:49] op_sel_hi:[0,1]
	v_mad_i64_i32 v[18:19], s[4:5], v68, s45, v[42:43]
	v_perm_b32 v20, v21, v20, s44
	v_perm_b32 v21, v53, v52, s44
	v_mfma_f32_16x16x16_bf16 v[10:13], v[40:41], v[6:7], v[10:13]
	v_pk_mul_f32 v[52:53], v[78:79], v[46:47] op_sel_hi:[0,1]
	v_pk_mul_f32 v[46:47], v[78:79], v[56:57] op_sel_hi:[0,1]
	;; [unrolled: 1-line block ×3, first 2 shown]
	v_mfma_f32_16x16x16_bf16 v[6:9], v[20:21], v[8:9], v[10:13]
	v_mad_i64_i32 v[34:35], s[4:5], v69, s45, v[42:43]
	global_load_dwordx4 v[26:29], v[18:19], off
	s_nop 0
	global_load_dwordx4 v[18:21], v[34:35], off
	s_nop 2
	v_pk_mul_f32 v[48:49], v[78:79], v[6:7] op_sel_hi:[0,1]
	v_and_b32_e32 v6, 0xc0, v0
	v_add_u32_e32 v6, s18, v6
	v_lshl_or_b32 v6, v1, 2, v6
	v_pk_mul_f32 v[38:39], v[78:79], v[8:9] op_sel_hi:[0,1]
	v_or_b32_e32 v9, 1, v6
	v_mov_b32_e32 v7, 0xff7fffff
	v_cmp_gt_i32_e64 s[26:27], s38, v6
	v_cmp_gt_i32_e64 s[28:29], s38, v9
	v_or_b32_e32 v10, 3, v6
	v_cndmask_b32_e64 v8, v7, v50, s[26:27]
	v_cndmask_b32_e64 v9, v7, v51, s[28:29]
	v_max3_f32 v8, v8, s40, v9
	v_or_b32_e32 v9, 2, v6
	v_cmp_gt_i32_e64 s[30:31], s38, v9
	v_cmp_gt_i32_e64 s[34:35], s38, v10
	s_nop 0
	v_cndmask_b32_e64 v9, v7, v44, s[30:31]
	v_cndmask_b32_e64 v10, v7, v45, s[34:35]
	v_max3_f32 v8, v8, v9, v10
	v_or_b32_e32 v9, 16, v6
	v_or_b32_e32 v10, 17, v6
	v_cmp_gt_i32_e64 s[18:19], s38, v9
	v_cmp_gt_i32_e64 s[20:21], s38, v10
	s_nop 0
	v_cndmask_b32_e64 v9, v7, v52, s[18:19]
	v_cndmask_b32_e64 v10, v7, v53, s[20:21]
	v_max3_f32 v8, v8, v9, v10
	v_or_b32_e32 v9, 18, v6
	;; [unrolled: 8-line block ×5, first 2 shown]
	v_or_b32_e32 v10, 49, v6
	v_cmp_gt_i32_e32 vcc, s38, v9
	v_cmp_gt_i32_e64 s[4:5], s38, v10
	s_nop 0
	v_cndmask_b32_e32 v9, v7, v48, vcc
	v_cndmask_b32_e64 v10, v7, v49, s[4:5]
	v_max3_f32 v8, v8, v9, v10
	v_or_b32_e32 v9, 50, v6
	v_or_b32_e32 v6, 51, v6
	v_cmp_gt_i32_e64 s[6:7], s38, v9
	v_cmp_gt_i32_e64 s[8:9], s38, v6
	s_nop 0
	v_cndmask_b32_e64 v9, v7, v38, s[6:7]
	v_cndmask_b32_e64 v6, v7, v39, s[8:9]
	v_max3_f32 v8, v8, v9, v6
	v_mbcnt_lo_u32_b32 v6, -1, 0
	v_mbcnt_hi_u32_b32 v9, -1, v6
	v_and_b32_e32 v6, 64, v9
	v_add_u32_e32 v10, 64, v6
	v_xor_b32_e32 v6, 32, v9
	v_cmp_lt_i32_e64 s[38:39], v6, v10
	s_nop 1
	v_cndmask_b32_e64 v6, v9, v6, s[38:39]
	v_lshlrev_b32_e32 v57, 2, v6
	ds_bpermute_b32 v11, v57, v8
	v_mad_i64_i32 v[6:7], s[38:39], v67, s45, v[42:43]
	s_waitcnt lgkmcnt(0)
	v_max_f32_e32 v11, v11, v11
	v_max_f32_e32 v34, v8, v11
	v_xor_b32_e32 v8, 16, v9
	v_cmp_lt_i32_e64 s[38:39], v8, v10
	s_nop 1
	v_cndmask_b32_e64 v8, v9, v8, s[38:39]
	v_lshlrev_b32_e32 v58, 2, v8
	v_mad_i64_i32 v[8:9], s[38:39], v66, s45, v[42:43]
	global_load_dwordx4 v[10:13], v[6:7], off
	s_nop 0
	global_load_dwordx4 v[6:9], v[8:9], off
	ds_bpermute_b32 v35, v58, v34
	s_waitcnt lgkmcnt(0)
	s_barrier
	v_max_f32_e32 v35, v35, v35
	v_max_f32_e32 v56, v34, v35
	v_sub_f32_e32 v42, v44, v56
	v_sub_f32_e32 v44, v52, v56
	;; [unrolled: 1-line block ×3, first 2 shown]
	v_mul_f32_e32 v44, 0x3fb8aa3b, v44
	v_mul_f32_e32 v36, 0x3fb8aa3b, v36
	v_sub_f32_e32 v34, v50, v56
	v_exp_f32_e32 v44, v44
	v_exp_f32_e32 v50, v36
	v_sub_f32_e32 v43, v45, v56
	v_sub_f32_e32 v45, v53, v56
	;; [unrolled: 1-line block ×5, first 2 shown]
	v_mul_f32_e32 v45, 0x3fb8aa3b, v45
	v_mul_f32_e32 v36, 0x3fb8aa3b, v36
	;; [unrolled: 1-line block ×4, first 2 shown]
	v_sub_f32_e32 v35, v51, v56
	v_exp_f32_e32 v45, v45
	v_exp_f32_e32 v51, v36
	v_cndmask_b32_e64 v36, 0, v44, s[18:19]
	v_cndmask_b32_e64 v44, 0, v50, s[22:23]
	v_exp_f32_e32 v46, v46
	v_exp_f32_e32 v50, v40
	v_mul_f32_e32 v34, 0x3fb8aa3b, v34
	v_sub_f32_e32 v47, v47, v56
	v_sub_f32_e32 v40, v41, v56
	;; [unrolled: 1-line block ×4, first 2 shown]
	v_exp_f32_e32 v34, v34
	v_mul_f32_e32 v35, 0x3fb8aa3b, v35
	v_mul_f32_e32 v47, 0x3fb8aa3b, v47
	;; [unrolled: 1-line block ×5, first 2 shown]
	v_exp_f32_e32 v35, v35
	v_mul_f32_e32 v42, 0x3fb8aa3b, v42
	v_cndmask_b32_e64 v37, 0, v45, s[20:21]
	v_cndmask_b32_e64 v45, 0, v51, s[36:37]
	v_exp_f32_e32 v47, v47
	v_exp_f32_e32 v51, v40
	v_cndmask_b32_e64 v40, 0, v46, s[10:11]
	v_cndmask_b32_e64 v46, 0, v50, s[14:15]
	v_exp_f32_e32 v48, v48
	v_exp_f32_e32 v50, v38
	;; [unrolled: 1-line block ×3, first 2 shown]
	v_mul_f32_e32 v43, 0x3fb8aa3b, v43
	v_exp_f32_e32 v43, v43
	v_sub_f32_e32 v38, v39, v56
	v_cndmask_b32_e64 v34, 0, v34, s[26:27]
	v_mul_f32_e32 v38, 0x3fb8aa3b, v38
	v_cndmask_b32_e64 v35, 0, v35, s[28:29]
	v_cndmask_b32_e64 v41, 0, v47, s[12:13]
	;; [unrolled: 1-line block ×3, first 2 shown]
	v_exp_f32_e32 v51, v38
	v_cndmask_b32_e32 v38, 0, v48, vcc
	v_cndmask_b32_e64 v48, 0, v50, s[6:7]
	v_add_f32_e32 v50, 0, v34
	v_cndmask_b32_e64 v42, 0, v42, s[30:31]
	v_add_f32_e32 v50, v50, v35
	;; [unrolled: 2-line block ×3, first 2 shown]
	v_add_f32_e32 v50, v50, v43
	v_add_f32_e32 v50, v50, v36
	;; [unrolled: 1-line block ×3, first 2 shown]
	v_sub_f32_e32 v49, v49, v56
	v_add_f32_e32 v50, v50, v44
	v_mul_f32_e32 v49, 0x3fb8aa3b, v49
	v_add_f32_e32 v50, v50, v45
	v_exp_f32_e32 v49, v49
	v_add_f32_e32 v50, v50, v40
	v_add_f32_e32 v50, v50, v41
	;; [unrolled: 1-line block ×4, first 2 shown]
	v_cndmask_b32_e64 v39, 0, v49, s[4:5]
	v_add_f32_e32 v50, v50, v38
	v_add_f32_e32 v50, v50, v39
	v_cndmask_b32_e64 v49, 0, v51, s[8:9]
	v_add_f32_e32 v50, v50, v48
	v_add_f32_e32 v50, v50, v49
	ds_bpermute_b32 v51, v57, v50
	v_cmp_gt_u32_e32 vcc, 16, v63
	s_waitcnt lgkmcnt(0)
	v_add_f32_e32 v50, v50, v51
	ds_bpermute_b32 v51, v58, v50
	s_and_saveexec_b64 s[4:5], vcc
	s_cbranch_execz .LBB1363_13
; %bb.12:
	s_waitcnt lgkmcnt(0)
	v_add_f32_e32 v50, v50, v51
	v_lshlrev_b32_e32 v51, 2, v65
	ds_write2st64_b32 v51, v56, v50 offset1:1
.LBB1363_13:
	s_or_b64 exec, exec, s[4:5]
	s_waitcnt lgkmcnt(0)
	v_lshlrev_b32_e32 v51, 2, v60
	s_load_dword s6, s[0:1], 0x94
	s_waitcnt lgkmcnt(0)
	s_barrier
	ds_read2_b32 v[52:53], v51 offset1:16
	ds_read2_b32 v[56:57], v51 offset0:32 offset1:48
	ds_read2_b32 v[58:59], v51 offset0:64 offset1:80
	s_movk_i32 s8, 0x7fff
	s_lshl_b32 s7, s33, 4
	s_waitcnt lgkmcnt(2)
	v_max3_f32 v50, v52, s40, v53
	s_waitcnt lgkmcnt(1)
	v_max3_f32 v50, v50, v56, v57
	v_sub_f32_e32 v52, v52, v50
	v_mul_f32_e32 v52, 0x3fb8aa3b, v52
	v_exp_f32_e32 v63, v52
	v_sub_f32_e32 v52, v53, v50
	v_mul_f32_e32 v52, 0x3fb8aa3b, v52
	v_exp_f32_e32 v65, v52
	;; [unrolled: 3-line block ×3, first 2 shown]
	ds_read2_b32 v[52:53], v51 offset0:96 offset1:112
	v_sub_f32_e32 v51, v57, v50
	v_mul_f32_e32 v51, 0x3fb8aa3b, v51
	v_exp_f32_e32 v57, v51
	s_waitcnt lgkmcnt(1)
	v_fma_f32 v51, v63, v58, 0
	v_fmac_f32_e32 v51, v65, v59
	s_waitcnt lgkmcnt(0)
	v_fmac_f32_e32 v51, v56, v52
	v_fmac_f32_e32 v51, v57, v53
	v_add_f32_e32 v52, 0x358637bd, v51
	v_div_scale_f32 v53, s[4:5], v52, v52, 1.0
	v_rcp_f32_e32 v58, v53
	s_barrier
	v_fma_f32 v59, -v53, v58, 1.0
	v_fmac_f32_e32 v58, v59, v58
	v_div_scale_f32 v59, vcc, 1.0, v52, 1.0
	v_mul_f32_e32 v66, v59, v58
	v_fma_f32 v67, -v53, v66, v59
	v_fmac_f32_e32 v66, v67, v58
	v_fma_f32 v53, -v53, v66, v59
	v_div_fmas_f32 v53, v53, v58, v66
	v_cmp_eq_u32_e32 vcc, 1, v62
	v_div_fixup_f32 v52, v53, v52, 1.0
	s_nop 0
	v_cndmask_b32_e32 v53, v63, v65, vcc
	v_cmp_eq_u32_e32 vcc, 2, v62
	s_nop 1
	v_cndmask_b32_e32 v53, v53, v56, vcc
	v_cmp_eq_u32_e32 vcc, 3, v62
	s_nop 1
	v_cndmask_b32_e32 v53, v53, v57, vcc
	v_mul_f32_e32 v52, v53, v52
	v_pk_mul_f32 v[34:35], v[52:53], v[34:35] op_sel_hi:[0,1]
	v_pk_mul_f32 v[42:43], v[52:53], v[42:43] op_sel_hi:[0,1]
	v_bfe_u32 v53, v35, 16, 1
	v_bfe_u32 v56, v34, 16, 1
	v_add3_u32 v34, v34, v56, s8
	v_add3_u32 v35, v35, v53, s8
	v_perm_b32 v34, v35, v34, s44
	v_bfe_u32 v35, v43, 16, 1
	v_bfe_u32 v53, v42, 16, 1
	v_add3_u32 v42, v42, v53, s8
	v_add3_u32 v35, v43, v35, s8
	v_perm_b32 v35, v35, v42, s44
	v_lshlrev_b32_e32 v42, 3, v1
	v_lshlrev_b32_e32 v43, 11, v62
	v_pk_mul_f32 v[36:37], v[52:53], v[36:37] op_sel_hi:[0,1]
	v_or3_b32 v56, v43, v64, v42
	v_pk_mul_f32 v[42:43], v[52:53], v[44:45] op_sel_hi:[0,1]
	v_bfe_u32 v44, v37, 16, 1
	v_bfe_u32 v45, v36, 16, 1
	v_add3_u32 v36, v36, v45, s8
	v_add3_u32 v37, v37, v44, s8
	v_perm_b32 v36, v37, v36, s44
	v_bfe_u32 v37, v43, 16, 1
	v_bfe_u32 v44, v42, 16, 1
	v_add3_u32 v42, v42, v44, s8
	v_add3_u32 v37, v43, v37, s8
	v_perm_b32 v37, v37, v42, s44
	ds_write2st64_b64 v56, v[34:35], v[36:37] offset1:1
	v_pk_mul_f32 v[36:37], v[52:53], v[40:41] op_sel_hi:[0,1]
	v_bfe_u32 v40, v37, 16, 1
	v_bfe_u32 v41, v36, 16, 1
	v_pk_mul_f32 v[34:35], v[52:53], v[46:47] op_sel_hi:[0,1]
	v_add3_u32 v36, v36, v41, s8
	v_add3_u32 v37, v37, v40, s8
	v_perm_b32 v36, v37, v36, s44
	v_bfe_u32 v37, v35, 16, 1
	v_bfe_u32 v40, v34, 16, 1
	v_pk_mul_f32 v[38:39], v[52:53], v[38:39] op_sel_hi:[0,1]
	v_add3_u32 v34, v34, v40, s8
	v_add3_u32 v35, v35, v37, s8
	v_bfe_u32 v40, v39, 16, 1
	v_bfe_u32 v41, v38, 16, 1
	v_perm_b32 v37, v35, v34, s44
	v_pk_mul_f32 v[34:35], v[52:53], v[48:49] op_sel_hi:[0,1]
	v_add3_u32 v38, v38, v41, s8
	v_add3_u32 v39, v39, v40, s8
	v_perm_b32 v38, v39, v38, s44
	v_bfe_u32 v39, v35, 16, 1
	v_bfe_u32 v40, v34, 16, 1
	v_add3_u32 v34, v34, v40, s8
	v_add3_u32 v35, v35, v39, s8
	v_perm_b32 v39, v35, v34, s44
	v_cmp_gt_u32_e32 vcc, 16, v0
	ds_write2st64_b64 v56, v[36:37], v[38:39] offset0:2 offset1:3
	s_and_saveexec_b64 s[4:5], vcc
	s_cbranch_execz .LBB1363_15
; %bb.14:
	v_or_b32_e32 v34, s25, v0
	v_mov_b32_e32 v35, 0
	v_mov_b32_e32 v36, s7
	v_mad_u64_u32 v[36:37], s[10:11], s2, v36, v[34:35]
	v_mov_b32_e32 v34, s24
	s_load_dwordx4 s[12:15], s[0:1], 0x58
	s_mul_i32 s3, s3, s7
	v_mad_u64_u32 v[34:35], s[10:11], v36, s6, v[34:35]
	v_add_u32_e32 v37, s3, v37
	v_mov_b32_e32 v36, v35
	v_mad_u64_u32 v[36:37], s[10:11], v37, s6, v[36:37]
	v_mov_b32_e32 v35, v36
	v_lshlrev_b64 v[34:35], 2, v[34:35]
	s_waitcnt lgkmcnt(0)
	v_lshl_add_u64 v[36:37], s[14:15], 0, v[34:35]
	v_lshl_add_u64 v[34:35], s[12:13], 0, v[34:35]
	global_store_dword v[36:37], v50, off
	global_store_dword v[34:35], v51, off
.LBB1363_15:
	s_or_b64 exec, exec, s[4:5]
	s_waitcnt vmcnt(7)
	v_cvt_pk_f32_fp8_e32 v[34:35], v30
	v_cvt_pk_f32_fp8_sdwa v[36:37], v30 src0_sel:WORD_1
	s_mov_b32 s5, 0x7060302
	s_waitcnt lgkmcnt(0)
	s_barrier
	v_cvt_pk_f32_fp8_e32 v[38:39], v31
	v_perm_b32 v30, v35, v34, s5
	v_cvt_pk_f32_fp8_sdwa v[40:41], v31 src0_sel:WORD_1
	v_perm_b32 v31, v37, v36, s5
	ds_read_b128 v[34:37], v55
	v_perm_b32 v46, v39, v38, s5
	v_perm_b32 v47, v41, v40, s5
	ds_read_b128 v[38:41], v55 offset:16
	v_cvt_pk_f32_fp8_e32 v[48:49], v32
	v_cvt_pk_f32_fp8_sdwa v[50:51], v32 src0_sel:WORD_1
	s_waitcnt lgkmcnt(1)
	v_mfma_f32_16x16x16_bf16 v[42:45], v[30:31], v[34:35], 0
	s_waitcnt vmcnt(6)
	v_cvt_pk_f32_fp8_e32 v[52:53], v24
	v_perm_b32 v30, v49, v48, s5
	v_perm_b32 v31, v51, v50, s5
	v_cvt_pk_f32_fp8_e32 v[48:49], v33
	v_mfma_f32_16x16x16_bf16 v[42:45], v[46:47], v[36:37], v[42:45]
	v_cvt_pk_f32_fp8_sdwa v[46:47], v33 src0_sel:WORD_1
	v_cvt_pk_f32_fp8_sdwa v[58:59], v24 src0_sel:WORD_1
	v_perm_b32 v48, v49, v48, s5
	s_waitcnt lgkmcnt(0)
	v_mfma_f32_16x16x16_bf16 v[30:33], v[30:31], v[38:39], v[42:45]
	v_perm_b32 v49, v47, v46, s5
	s_waitcnt vmcnt(5)
	v_cvt_pk_f32_fp8_e32 v[62:63], v16
	v_cvt_pk_f32_fp8_sdwa v[64:65], v16 src0_sel:WORD_1
	v_cvt_pk_f32_fp8_e32 v[42:43], v22
	v_mfma_f32_16x16x16_bf16 v[46:49], v[48:49], v[40:41], v[30:33]
	s_waitcnt vmcnt(4)
	v_cvt_pk_f32_fp8_e32 v[66:67], v4
	v_cvt_pk_f32_fp8_sdwa v[68:69], v4 src0_sel:WORD_1
	v_cvt_pk_f32_fp8_sdwa v[30:31], v22 src0_sel:WORD_1
	v_cvt_pk_f32_fp8_e32 v[32:33], v23
	v_perm_b32 v22, v43, v42, s5
	v_cvt_pk_f32_fp8_sdwa v[42:43], v23 src0_sel:WORD_1
	v_perm_b32 v23, v31, v30, s5
	v_perm_b32 v50, v33, v32, s5
	ds_read_b128 v[30:33], v55 offset:2048
	v_perm_b32 v51, v43, v42, s5
	ds_read_b128 v[42:45], v55 offset:2064
	s_waitcnt lgkmcnt(1)
	v_mfma_f32_16x16x16_bf16 v[46:49], v[22:23], v[30:31], v[46:49]
	v_perm_b32 v22, v53, v52, s5
	v_perm_b32 v23, v59, v58, s5
	v_cvt_pk_f32_fp8_e32 v[52:53], v25
	v_mfma_f32_16x16x16_bf16 v[46:49], v[50:51], v[32:33], v[46:49]
	v_cvt_pk_f32_fp8_sdwa v[50:51], v25 src0_sel:WORD_1
	s_load_dword s4, s[42:43], 0x0
	v_perm_b32 v52, v53, v52, s5
	s_waitcnt lgkmcnt(0)
	v_mfma_f32_16x16x16_bf16 v[22:25], v[22:23], v[42:43], v[46:49]
	v_perm_b32 v53, v51, v50, s5
	s_waitcnt vmcnt(3)
	v_cvt_pk_f32_fp8_sdwa v[70:71], v28 src0_sel:WORD_1
	s_mov_b32 s3, 0
	v_cvt_pk_f32_fp8_e32 v[46:47], v14
	v_mfma_f32_16x16x16_bf16 v[50:53], v[52:53], v[44:45], v[22:25]
	v_cmp_gt_u32_e32 vcc, 64, v0
	s_nop 1
	v_cvt_pk_f32_fp8_sdwa v[22:23], v14 src0_sel:WORD_1
	v_cvt_pk_f32_fp8_e32 v[24:25], v15
	v_perm_b32 v14, v47, v46, s5
	v_cvt_pk_f32_fp8_sdwa v[46:47], v15 src0_sel:WORD_1
	v_perm_b32 v15, v23, v22, s5
	v_perm_b32 v58, v25, v24, s5
	ds_read_b128 v[22:25], v55 offset:4096
	v_perm_b32 v59, v47, v46, s5
	ds_read_b128 v[46:49], v55 offset:4112
	s_waitcnt lgkmcnt(1)
	v_mfma_f32_16x16x16_bf16 v[50:53], v[14:15], v[22:23], v[50:53]
	v_perm_b32 v14, v63, v62, s5
	v_perm_b32 v15, v65, v64, s5
	v_cvt_pk_f32_fp8_e32 v[62:63], v17
	v_mfma_f32_16x16x16_bf16 v[50:53], v[58:59], v[24:25], v[50:53]
	v_cvt_pk_f32_fp8_sdwa v[58:59], v17 src0_sel:WORD_1
	v_perm_b32 v62, v63, v62, s5
	s_waitcnt lgkmcnt(0)
	v_mfma_f32_16x16x16_bf16 v[14:17], v[14:15], v[46:47], v[50:53]
	v_perm_b32 v63, v59, v58, s5
	s_nop 1
	v_cvt_pk_f32_fp8_e32 v[50:51], v2
	v_mfma_f32_16x16x16_bf16 v[62:65], v[62:63], v[48:49], v[14:17]
	s_nop 2
	v_cvt_pk_f32_fp8_sdwa v[14:15], v2 src0_sel:WORD_1
	v_cvt_pk_f32_fp8_e32 v[16:17], v3
	v_perm_b32 v2, v51, v50, s5
	v_cvt_pk_f32_fp8_sdwa v[50:51], v3 src0_sel:WORD_1
	v_perm_b32 v3, v15, v14, s5
	v_perm_b32 v58, v17, v16, s5
	ds_read_b128 v[14:17], v55 offset:6144
	v_perm_b32 v59, v51, v50, s5
	ds_read_b128 v[50:53], v55 offset:6160
	s_waitcnt lgkmcnt(1)
	v_mfma_f32_16x16x16_bf16 v[62:65], v[2:3], v[14:15], v[62:65]
	v_perm_b32 v2, v67, v66, s5
	v_perm_b32 v3, v69, v68, s5
	v_cvt_pk_f32_fp8_e32 v[66:67], v5
	v_mfma_f32_16x16x16_bf16 v[62:65], v[58:59], v[16:17], v[62:65]
	v_cvt_pk_f32_fp8_sdwa v[58:59], v5 src0_sel:WORD_1
	v_cvt_pk_f32_fp8_e32 v[68:69], v28
	v_perm_b32 v66, v67, v66, s5
	s_waitcnt lgkmcnt(0)
	v_mfma_f32_16x16x16_bf16 v[2:5], v[2:3], v[50:51], v[62:65]
	v_perm_b32 v67, v59, v58, s5
	v_cvt_pk_f32_fp8_sdwa v[58:59], v26 src0_sel:WORD_1
	s_nop 0
	v_mfma_f32_16x16x16_bf16 v[62:65], v[66:67], v[52:53], v[2:5]
	s_barrier
	s_nop 1
	v_cvt_pk_f32_fp8_e32 v[4:5], v26
	s_nop 2
	v_pk_mul_f32 v[66:67], v[62:63], s[4:5] op_sel_hi:[1,0]
	v_cvt_pk_f32_fp8_e32 v[62:63], v27
	v_perm_b32 v4, v5, v4, s5
	v_perm_b32 v5, v59, v58, s5
	v_cvt_pk_f32_fp8_sdwa v[26:27], v27 src0_sel:WORD_1
	v_perm_b32 v58, v63, v62, s5
	v_pk_mul_f32 v[2:3], v[64:65], s[4:5] op_sel_hi:[1,0]
	v_mfma_f32_16x16x16_bf16 v[62:65], v[4:5], v[34:35], 0
	v_perm_b32 v59, v27, v26, s5
	v_perm_b32 v4, v69, v68, s5
	;; [unrolled: 1-line block ×3, first 2 shown]
	v_cvt_pk_f32_fp8_e32 v[34:35], v29
	v_cvt_pk_f32_fp8_sdwa v[68:69], v29 src0_sel:WORD_1
	v_mfma_f32_16x16x16_bf16 v[26:29], v[58:59], v[36:37], v[62:65]
	s_waitcnt vmcnt(2)
	v_cvt_pk_f32_fp8_sdwa v[36:37], v18 src0_sel:WORD_1
	v_perm_b32 v34, v35, v34, s5
	v_perm_b32 v35, v69, v68, s5
	v_mfma_f32_16x16x16_bf16 v[26:29], v[4:5], v[38:39], v[26:29]
	v_cvt_pk_f32_fp8_e32 v[4:5], v18
	v_cvt_pk_f32_fp8_sdwa v[38:39], v20 src0_sel:WORD_1
	v_bfe_u32 v55, v67, 16, 1
	v_mfma_f32_16x16x16_bf16 v[26:29], v[34:35], v[40:41], v[26:29]
	v_cvt_pk_f32_fp8_e32 v[34:35], v19
	v_perm_b32 v4, v5, v4, s5
	v_perm_b32 v5, v37, v36, s5
	v_cvt_pk_f32_fp8_sdwa v[18:19], v19 src0_sel:WORD_1
	v_perm_b32 v34, v35, v34, s5
	v_cvt_pk_f32_fp8_e32 v[36:37], v20
	v_mfma_f32_16x16x16_bf16 v[26:29], v[4:5], v[30:31], v[26:29]
	v_perm_b32 v35, v19, v18, s5
	v_perm_b32 v4, v37, v36, s5
	;; [unrolled: 1-line block ×3, first 2 shown]
	v_cvt_pk_f32_fp8_e32 v[30:31], v21
	v_cvt_pk_f32_fp8_sdwa v[36:37], v21 src0_sel:WORD_1
	v_mfma_f32_16x16x16_bf16 v[18:21], v[34:35], v[32:33], v[26:29]
	v_bfe_u32 v57, v66, 16, 1
	v_add3_u32 v32, v66, v57, s8
	v_add3_u32 v33, v67, v55, s8
	v_perm_b32 v26, v31, v30, s5
	v_perm_b32 v27, v37, v36, s5
	v_mfma_f32_16x16x16_bf16 v[18:21], v[4:5], v[42:43], v[18:21]
	s_waitcnt vmcnt(1)
	v_cvt_pk_f32_fp8_e32 v[4:5], v10
	v_cvt_pk_f32_fp8_sdwa v[28:29], v10 src0_sel:WORD_1
	v_cvt_pk_f32_fp8_sdwa v[30:31], v12 src0_sel:WORD_1
	v_mfma_f32_16x16x16_bf16 v[18:21], v[26:27], v[44:45], v[18:21]
	v_cvt_pk_f32_fp8_e32 v[26:27], v11
	v_perm_b32 v4, v5, v4, s5
	v_perm_b32 v5, v29, v28, s5
	v_cvt_pk_f32_fp8_sdwa v[10:11], v11 src0_sel:WORD_1
	v_perm_b32 v26, v27, v26, s5
	v_cvt_pk_f32_fp8_e32 v[28:29], v12
	v_mfma_f32_16x16x16_bf16 v[18:21], v[4:5], v[22:23], v[18:21]
	v_perm_b32 v27, v11, v10, s5
	v_perm_b32 v4, v29, v28, s5
	v_perm_b32 v5, v31, v30, s5
	v_cvt_pk_f32_fp8_e32 v[22:23], v13
	v_cvt_pk_f32_fp8_sdwa v[28:29], v13 src0_sel:WORD_1
	v_mfma_f32_16x16x16_bf16 v[10:13], v[26:27], v[24:25], v[18:21]
	s_waitcnt vmcnt(0)
	v_cvt_pk_f32_fp8_sdwa v[24:25], v8 src0_sel:WORD_1
	s_nop 0
	v_perm_b32 v20, v23, v22, s5
	v_perm_b32 v21, v29, v28, s5
	v_mfma_f32_16x16x16_bf16 v[10:13], v[4:5], v[46:47], v[10:13]
	v_cvt_pk_f32_fp8_e32 v[4:5], v6
	v_cvt_pk_f32_fp8_sdwa v[22:23], v6 src0_sel:WORD_1
	v_bfe_u32 v19, v3, 16, 1
	v_mfma_f32_16x16x16_bf16 v[10:13], v[20:21], v[48:49], v[10:13]
	v_cvt_pk_f32_fp8_e32 v[20:21], v7
	v_perm_b32 v4, v5, v4, s5
	v_perm_b32 v5, v23, v22, s5
	v_cvt_pk_f32_fp8_sdwa v[6:7], v7 src0_sel:WORD_1
	v_perm_b32 v20, v21, v20, s5
	v_cvt_pk_f32_fp8_e32 v[22:23], v8
	v_add3_u32 v3, v3, v19, s8
	v_perm_b32 v21, v7, v6, s5
	v_mfma_f32_16x16x16_bf16 v[4:7], v[4:5], v[14:15], v[10:13]
	v_bfe_u32 v14, v2, 16, 1
	v_add3_u32 v2, v2, v14, s8
	v_perm_b32 v19, v3, v2, s5
	v_perm_b32 v10, v23, v22, s5
	;; [unrolled: 1-line block ×3, first 2 shown]
	v_cvt_pk_f32_fp8_e32 v[12:13], v9
	v_cvt_pk_f32_fp8_sdwa v[8:9], v9 src0_sel:WORD_1
	v_mfma_f32_16x16x16_bf16 v[4:7], v[20:21], v[16:17], v[4:7]
	v_perm_b32 v18, v33, v32, s5
	v_perm_b32 v12, v13, v12, s5
	;; [unrolled: 1-line block ×3, first 2 shown]
	v_mfma_f32_16x16x16_bf16 v[4:7], v[10:11], v[50:51], v[4:7]
	s_nop 0
	v_mfma_f32_16x16x16_bf16 v[2:5], v[12:13], v[52:53], v[4:7]
	s_nop 6
	v_pk_mul_f32 v[2:3], v[2:3], s[4:5] op_sel_hi:[1,0]
	v_pk_mul_f32 v[4:5], v[4:5], s[4:5] op_sel_hi:[1,0]
	v_bfe_u32 v6, v3, 16, 1
	v_bfe_u32 v7, v2, 16, 1
	v_add3_u32 v2, v2, v7, s8
	v_add3_u32 v3, v3, v6, s8
	v_perm_b32 v2, v3, v2, s5
	v_bfe_u32 v3, v5, 16, 1
	v_bfe_u32 v6, v4, 16, 1
	v_add3_u32 v4, v4, v6, s8
	v_add3_u32 v3, v5, v3, s8
	v_perm_b32 v3, v3, v4, s5
	ds_write2st64_b64 v56, v[18:19], v[2:3] offset1:1
	s_waitcnt lgkmcnt(0)
	s_barrier
	s_and_saveexec_b64 s[4:5], vcc
	s_cbranch_execz .LBB1363_17
; %bb.16:
	s_load_dwordx2 s[0:1], s[0:1], 0x68
	s_lshl_b32 s6, s6, 7
	s_mul_i32 s2, s7, s2
	s_mul_hi_u32 s5, s2, s6
	s_mul_i32 s4, s2, s6
	s_lshl_b64 s[4:5], s[4:5], 1
	s_waitcnt lgkmcnt(0)
	s_add_u32 s4, s0, s4
	v_lshlrev_b32_e32 v4, 6, v60
	s_addc_u32 s5, s1, s5
	s_lshl_b32 s2, s24, 7
	v_lshl_or_b32 v0, v0, 10, v4
	s_lshl_b64 s[0:1], s[2:3], 1
	v_lshlrev_b32_e32 v2, 5, v1
	v_and_b32_e32 v3, 16, v61
	v_and_b32_e32 v0, 0x1a00, v0
	s_add_u32 s0, s4, s0
	v_or3_b32 v0, v0, v2, v3
	s_addc_u32 s1, s5, s1
	v_mov_b32_e32 v55, 0
	v_or_b32_e32 v20, s25, v1
	ds_read_b128 v[2:5], v0
	ds_read_b128 v[6:9], v0 offset:128
	ds_read_b128 v[10:13], v0 offset:256
	;; [unrolled: 1-line block ×3, first 2 shown]
	v_lshl_add_u64 v[18:19], s[0:1], 0, v[54:55]
	v_mad_u64_u32 v[0:1], s[0:1], v20, s6, 0
	v_lshl_add_u64 v[0:1], v[0:1], 1, v[18:19]
	s_waitcnt lgkmcnt(3)
	global_store_dwordx4 v[0:1], v[2:5], off
	v_or_b32_e32 v0, 4, v20
	v_mad_u64_u32 v[0:1], s[0:1], v0, s6, 0
	v_lshl_add_u64 v[0:1], v[0:1], 1, v[18:19]
	s_waitcnt lgkmcnt(2)
	global_store_dwordx4 v[0:1], v[6:9], off
	v_or_b32_e32 v0, 8, v20
	;; [unrolled: 5-line block ×3, first 2 shown]
	v_mad_u64_u32 v[0:1], s[0:1], v0, s6, 0
	v_lshl_add_u64 v[0:1], v[0:1], 1, v[18:19]
	s_waitcnt lgkmcnt(0)
	global_store_dwordx4 v[0:1], v[14:17], off
.LBB1363_17:
	s_endpgm
	.section	.rodata,"a",@progbits
	.p2align	6, 0x0
	.amdhsa_kernel _Z39paged_attention_ll4mi_QKV_mfma16_kernelI14__hip_bfloat16hLN4vllm18Fp8KVCacheDataTypeE1EhLi32ELi128ELi256ELb0ELi16EEvPKT_PKT0_S8_ifPKiSA_SA_iPKfiiiPfSD_PS3_PT2_iSC_SC_
		.amdhsa_group_segment_fixed_size 8192
		.amdhsa_private_segment_fixed_size 0
		.amdhsa_kernarg_size 400
		.amdhsa_user_sgpr_count 2
		.amdhsa_user_sgpr_dispatch_ptr 0
		.amdhsa_user_sgpr_queue_ptr 0
		.amdhsa_user_sgpr_kernarg_segment_ptr 1
		.amdhsa_user_sgpr_dispatch_id 0
		.amdhsa_user_sgpr_kernarg_preload_length 0
		.amdhsa_user_sgpr_kernarg_preload_offset 0
		.amdhsa_user_sgpr_private_segment_size 0
		.amdhsa_uses_dynamic_stack 0
		.amdhsa_enable_private_segment 0
		.amdhsa_system_sgpr_workgroup_id_x 1
		.amdhsa_system_sgpr_workgroup_id_y 1
		.amdhsa_system_sgpr_workgroup_id_z 1
		.amdhsa_system_sgpr_workgroup_info 0
		.amdhsa_system_vgpr_workitem_id 0
		.amdhsa_next_free_vgpr 84
		.amdhsa_next_free_sgpr 48
		.amdhsa_accum_offset 84
		.amdhsa_reserve_vcc 1
		.amdhsa_float_round_mode_32 0
		.amdhsa_float_round_mode_16_64 0
		.amdhsa_float_denorm_mode_32 3
		.amdhsa_float_denorm_mode_16_64 3
		.amdhsa_dx10_clamp 1
		.amdhsa_ieee_mode 1
		.amdhsa_fp16_overflow 0
		.amdhsa_tg_split 0
		.amdhsa_exception_fp_ieee_invalid_op 0
		.amdhsa_exception_fp_denorm_src 0
		.amdhsa_exception_fp_ieee_div_zero 0
		.amdhsa_exception_fp_ieee_overflow 0
		.amdhsa_exception_fp_ieee_underflow 0
		.amdhsa_exception_fp_ieee_inexact 0
		.amdhsa_exception_int_div_zero 0
	.end_amdhsa_kernel
	.section	.text._Z39paged_attention_ll4mi_QKV_mfma16_kernelI14__hip_bfloat16hLN4vllm18Fp8KVCacheDataTypeE1EhLi32ELi128ELi256ELb0ELi16EEvPKT_PKT0_S8_ifPKiSA_SA_iPKfiiiPfSD_PS3_PT2_iSC_SC_,"axG",@progbits,_Z39paged_attention_ll4mi_QKV_mfma16_kernelI14__hip_bfloat16hLN4vllm18Fp8KVCacheDataTypeE1EhLi32ELi128ELi256ELb0ELi16EEvPKT_PKT0_S8_ifPKiSA_SA_iPKfiiiPfSD_PS3_PT2_iSC_SC_,comdat
.Lfunc_end1363:
	.size	_Z39paged_attention_ll4mi_QKV_mfma16_kernelI14__hip_bfloat16hLN4vllm18Fp8KVCacheDataTypeE1EhLi32ELi128ELi256ELb0ELi16EEvPKT_PKT0_S8_ifPKiSA_SA_iPKfiiiPfSD_PS3_PT2_iSC_SC_, .Lfunc_end1363-_Z39paged_attention_ll4mi_QKV_mfma16_kernelI14__hip_bfloat16hLN4vllm18Fp8KVCacheDataTypeE1EhLi32ELi128ELi256ELb0ELi16EEvPKT_PKT0_S8_ifPKiSA_SA_iPKfiiiPfSD_PS3_PT2_iSC_SC_
                                        ; -- End function
	.section	.AMDGPU.csdata,"",@progbits
; Kernel info:
; codeLenInByte = 6412
; NumSgprs: 54
; NumVgprs: 84
; NumAgprs: 0
; TotalNumVgprs: 84
; ScratchSize: 0
; MemoryBound: 0
; FloatMode: 240
; IeeeMode: 1
; LDSByteSize: 8192 bytes/workgroup (compile time only)
; SGPRBlocks: 6
; VGPRBlocks: 10
; NumSGPRsForWavesPerEU: 54
; NumVGPRsForWavesPerEU: 84
; AccumOffset: 84
; Occupancy: 5
; WaveLimiterHint : 1
; COMPUTE_PGM_RSRC2:SCRATCH_EN: 0
; COMPUTE_PGM_RSRC2:USER_SGPR: 2
; COMPUTE_PGM_RSRC2:TRAP_HANDLER: 0
; COMPUTE_PGM_RSRC2:TGID_X_EN: 1
; COMPUTE_PGM_RSRC2:TGID_Y_EN: 1
; COMPUTE_PGM_RSRC2:TGID_Z_EN: 1
; COMPUTE_PGM_RSRC2:TIDIG_COMP_CNT: 0
; COMPUTE_PGM_RSRC3_GFX90A:ACCUM_OFFSET: 20
; COMPUTE_PGM_RSRC3_GFX90A:TG_SPLIT: 0
	.section	.text._Z39paged_attention_ll4mi_QKV_mfma16_kernelI14__hip_bfloat16hLN4vllm18Fp8KVCacheDataTypeE1EhLi32ELi128ELi256ELb0ELi1EEvPKT_PKT0_S8_ifPKiSA_SA_iPKfiiiPfSD_PS3_PT2_iSC_SC_,"axG",@progbits,_Z39paged_attention_ll4mi_QKV_mfma16_kernelI14__hip_bfloat16hLN4vllm18Fp8KVCacheDataTypeE1EhLi32ELi128ELi256ELb0ELi1EEvPKT_PKT0_S8_ifPKiSA_SA_iPKfiiiPfSD_PS3_PT2_iSC_SC_,comdat
	.protected	_Z39paged_attention_ll4mi_QKV_mfma16_kernelI14__hip_bfloat16hLN4vllm18Fp8KVCacheDataTypeE1EhLi32ELi128ELi256ELb0ELi1EEvPKT_PKT0_S8_ifPKiSA_SA_iPKfiiiPfSD_PS3_PT2_iSC_SC_ ; -- Begin function _Z39paged_attention_ll4mi_QKV_mfma16_kernelI14__hip_bfloat16hLN4vllm18Fp8KVCacheDataTypeE1EhLi32ELi128ELi256ELb0ELi1EEvPKT_PKT0_S8_ifPKiSA_SA_iPKfiiiPfSD_PS3_PT2_iSC_SC_
	.globl	_Z39paged_attention_ll4mi_QKV_mfma16_kernelI14__hip_bfloat16hLN4vllm18Fp8KVCacheDataTypeE1EhLi32ELi128ELi256ELb0ELi1EEvPKT_PKT0_S8_ifPKiSA_SA_iPKfiiiPfSD_PS3_PT2_iSC_SC_
	.p2align	8
	.type	_Z39paged_attention_ll4mi_QKV_mfma16_kernelI14__hip_bfloat16hLN4vllm18Fp8KVCacheDataTypeE1EhLi32ELi128ELi256ELb0ELi1EEvPKT_PKT0_S8_ifPKiSA_SA_iPKfiiiPfSD_PS3_PT2_iSC_SC_,@function
_Z39paged_attention_ll4mi_QKV_mfma16_kernelI14__hip_bfloat16hLN4vllm18Fp8KVCacheDataTypeE1EhLi32ELi128ELi256ELb0ELi1EEvPKT_PKT0_S8_ifPKiSA_SA_iPKfiiiPfSD_PS3_PT2_iSC_SC_: ; @_Z39paged_attention_ll4mi_QKV_mfma16_kernelI14__hip_bfloat16hLN4vllm18Fp8KVCacheDataTypeE1EhLi32ELi128ELi256ELb0ELi1EEvPKT_PKT0_S8_ifPKiSA_SA_iPKfiiiPfSD_PS3_PT2_iSC_SC_
; %bb.0:
	s_load_dwordx2 s[12:13], s[0:1], 0x30
	s_mov_b32 s5, s3
	s_mov_b64 s[6:7], 0
	s_waitcnt lgkmcnt(0)
	s_cmp_lg_u64 s[12:13], 0
	s_cselect_b64 s[14:15], -1, 0
	s_and_b64 vcc, exec, s[14:15]
	s_cbranch_vccz .LBB1364_7
; %bb.1:
	s_add_i32 s8, s2, 1
	s_mov_b32 s9, 0
	s_lshl_b64 s[10:11], s[8:9], 2
	s_add_u32 s10, s12, s10
	s_mov_b32 s3, s9
	s_addc_u32 s11, s13, s11
	s_lshl_b64 s[8:9], s[2:3], 2
	s_add_u32 s8, s12, s8
	s_addc_u32 s9, s13, s9
	s_load_dword s16, s[10:11], 0x0
	s_load_dword s17, s[8:9], 0x0
	s_waitcnt lgkmcnt(0)
	s_sub_i32 s8, s16, s17
	s_cmp_eq_u32 s8, 1
	s_cselect_b64 s[8:9], -1, 0
	s_andn2_b64 vcc, exec, s[6:7]
	s_cbranch_vccnz .LBB1364_3
.LBB1364_2:
	s_mov_b32 s3, 0
	s_mov_b64 s[8:9], -1
.LBB1364_3:
	s_andn2_b64 vcc, exec, s[8:9]
	s_cbranch_vccnz .LBB1364_17
; %bb.4:
	s_load_dwordx2 s[6:7], s[0:1], 0x28
	s_lshl_b64 s[16:17], s[2:3], 2
	s_waitcnt lgkmcnt(0)
	s_add_u32 s6, s6, s16
	s_addc_u32 s7, s7, s17
	s_load_dword s33, s[6:7], 0x0
	s_lshl_b32 s18, s5, 8
	s_waitcnt lgkmcnt(0)
	s_cmp_ge_i32 s18, s33
	s_cbranch_scc1 .LBB1364_17
; %bb.5:
	s_load_dwordx2 s[6:7], s[0:1], 0x20
	s_load_dword s8, s[0:1], 0x38
	s_add_i32 s9, s33, 31
	s_ashr_i32 s10, s9, 31
	v_and_b32_e32 v1, 0xcf, v0
	s_lshr_b32 s10, s10, 27
	v_add_u32_e32 v1, s18, v1
	s_add_i32 s9, s9, s10
	v_ashrrev_i32_e32 v2, 31, v1
	s_ashr_i32 s19, s9, 5
	v_lshrrev_b32_e32 v10, 27, v2
	s_add_i32 s19, s19, -1
	s_waitcnt lgkmcnt(0)
	s_mul_i32 s8, s2, s8
	s_mov_b32 s9, 0
	v_add_u32_e32 v2, v1, v10
	s_lshl_b64 s[8:9], s[8:9], 2
	v_ashrrev_i32_e32 v2, 5, v2
	v_mov_b32_e32 v11, s19
	v_cmp_gt_i32_e32 vcc, s33, v1
	s_add_u32 s6, s6, s8
	s_addc_u32 s7, s7, s9
	v_cndmask_b32_e32 v2, v11, v2, vcc
	v_ashrrev_i32_e32 v3, 31, v2
	v_lshl_add_u64 v[4:5], v[2:3], 2, s[6:7]
	v_or_b32_e32 v2, 16, v1
	v_add_u32_e32 v3, v2, v10
	v_ashrrev_i32_e32 v3, 5, v3
	v_cmp_gt_i32_e32 vcc, s33, v2
	s_load_dwordx4 s[8:11], s[0:1], 0x8
	s_nop 0
	v_cndmask_b32_e32 v2, v11, v3, vcc
	v_ashrrev_i32_e32 v3, 31, v2
	v_lshl_add_u64 v[6:7], v[2:3], 2, s[6:7]
	v_or_b32_e32 v2, 32, v1
	v_add_u32_e32 v3, v2, v10
	v_ashrrev_i32_e32 v3, 5, v3
	v_cmp_gt_i32_e32 vcc, s33, v2
	v_or_b32_e32 v1, 48, v1
	s_nop 0
	v_cndmask_b32_e32 v2, v11, v3, vcc
	v_ashrrev_i32_e32 v3, 31, v2
	v_lshl_add_u64 v[8:9], v[2:3], 2, s[6:7]
	v_add_u32_e32 v2, v1, v10
	v_ashrrev_i32_e32 v2, 5, v2
	v_cmp_gt_i32_e32 vcc, s33, v1
	s_nop 1
	v_cndmask_b32_e32 v2, v11, v2, vcc
	v_ashrrev_i32_e32 v3, 31, v2
	v_lshl_add_u64 v[10:11], v[2:3], 2, s[6:7]
	global_load_dword v2, v[4:5], off
	global_load_dword v32, v[6:7], off
	;; [unrolled: 1-line block ×4, first 2 shown]
	s_andn2_b64 vcc, exec, s[14:15]
	s_cbranch_vccnz .LBB1364_8
; %bb.6:
	s_add_u32 s12, s12, s16
	s_addc_u32 s13, s13, s17
	s_load_dword s14, s[12:13], 0x0
	s_branch .LBB1364_9
.LBB1364_7:
	s_mov_b64 s[8:9], 0
	s_branch .LBB1364_2
.LBB1364_8:
	s_mov_b32 s14, s2
.LBB1364_9:
	s_load_dwordx4 s[44:47], s[0:1], 0x48
	v_lshrrev_b32_e32 v61, 6, v0
	v_bfe_u32 v58, v0, 4, 2
	v_and_b32_e32 v59, 15, v0
	v_lshl_or_b32 v1, v61, 2, v58
	v_lshlrev_b32_e32 v3, 3, v59
	v_and_b32_e32 v62, 63, v0
	v_cmp_eq_u32_e32 vcc, 0, v1
	v_lshlrev_b32_e32 v1, 1, v3
	v_lshlrev_b32_e32 v60, 4, v0
	s_and_saveexec_b64 s[12:13], vcc
	s_cbranch_execz .LBB1364_11
; %bb.10:
	s_load_dwordx2 s[16:17], s[0:1], 0x0
	s_waitcnt lgkmcnt(0)
	s_ashr_i32 s15, s44, 31
	s_mul_hi_u32 s20, s14, s44
	s_mul_i32 s15, s14, s15
	s_add_i32 s15, s20, s15
	s_mul_i32 s14, s14, s44
	s_lshl_b64 s[14:15], s[14:15], 1
	s_add_u32 s16, s16, s14
	s_addc_u32 s17, s17, s15
	s_lshl_b32 s14, s4, 7
	s_ashr_i32 s15, s14, 31
	s_lshl_b64 s[14:15], s[14:15], 1
	s_add_u32 s14, s16, s14
	s_addc_u32 s15, s17, s15
	global_load_dwordx4 v[4:7], v1, s[14:15]
	v_lshlrev_b32_e32 v3, 8, v0
	v_lshlrev_b32_e32 v8, 8, v59
	v_and_b32_e32 v3, 0x600, v3
	v_and_b32_e32 v8, 0x800, v8
	;; [unrolled: 1-line block ×3, first 2 shown]
	v_or3_b32 v3, v8, v3, v9
	s_waitcnt vmcnt(0)
	ds_write_b128 v3, v[4:7]
.LBB1364_11:
	s_or_b64 exec, exec, s[12:13]
	s_waitcnt lgkmcnt(0)
	s_mul_i32 s13, s4, s46
	s_add_u32 s8, s8, s13
	s_addc_u32 s9, s9, 0
	v_mov_b32_e32 v55, 0
	v_mov_b64_e32 v[24:25], s[8:9]
	v_and_b32_e32 v33, 48, v0
	s_waitcnt vmcnt(3)
	v_mad_i64_i32 v[2:3], s[8:9], v2, s45, v[24:25]
	v_lshlrev_b32_e32 v22, 4, v59
	v_mov_b32_e32 v23, v55
	v_lshlrev_b32_e32 v54, 5, v33
	v_lshl_add_u64 v[2:3], v[2:3], 0, v[22:23]
	v_lshl_add_u64 v[6:7], v[2:3], 0, v[54:55]
	s_barrier
	global_load_dwordx4 v[14:17], v[6:7], off
	global_load_dwordx4 v[2:5], v[6:7], off offset:2048
	s_ashr_i32 s8, s18, 31
	v_or_b32_e32 v34, 0x100, v22
	v_mov_b32_e32 v35, v55
	v_or_b32_e32 v39, s18, v33
	s_lshr_b32 s14, s8, 27
	s_waitcnt vmcnt(4)
	v_mad_i64_i32 v[32:33], s[8:9], v32, s45, v[24:25]
	s_waitcnt vmcnt(3)
	v_mad_i64_i32 v[36:37], s[8:9], v30, s45, v[24:25]
	;; [unrolled: 2-line block ×3, first 2 shown]
	v_lshl_add_u64 v[30:31], v[32:33], 0, v[34:35]
	v_lshlrev_b32_e32 v6, 9, v58
	v_lshl_add_u64 v[30:31], v[30:31], 0, v[54:55]
	s_load_dword s12, s[0:1], 0x1c
	s_load_dwordx4 s[40:43], s[0:1], 0x80
	ds_read_b128 v[26:29], v6
	ds_read_b128 v[18:21], v6 offset:16
	ds_read_b128 v[10:13], v6 offset:2048
	;; [unrolled: 1-line block ×3, first 2 shown]
	global_load_dwordx4 v[50:53], v[30:31], off
	v_or_b32_e32 v40, 64, v39
	v_add_u32_e32 v32, s14, v39
	v_mov_b32_e32 v38, s19
	v_or_b32_e32 v41, 0x80, v39
	v_add_u32_e32 v33, s14, v40
	v_ashrrev_i32_e32 v32, 5, v32
	v_cmp_gt_i32_e32 vcc, s33, v39
	v_or_b32_e32 v42, 0xc0, v39
	v_add_u32_e32 v43, s14, v41
	v_ashrrev_i32_e32 v33, 5, v33
	v_cndmask_b32_e32 v46, v38, v32, vcc
	v_cmp_gt_i32_e32 vcc, s33, v40
	v_add_u32_e32 v44, s14, v42
	v_lshl_add_u64 v[22:23], v[36:37], 0, v[22:23]
	v_lshl_add_u64 v[24:25], v[24:25], 0, v[34:35]
	v_ashrrev_i32_e32 v43, 5, v43
	v_cndmask_b32_e32 v48, v38, v33, vcc
	v_cmp_gt_i32_e32 vcc, s33, v41
	v_ashrrev_i32_e32 v44, 5, v44
	v_lshl_add_u64 v[34:35], v[22:23], 0, v[54:55]
	v_lshl_add_u64 v[36:37], v[24:25], 0, v[54:55]
	v_cndmask_b32_e32 v56, v38, v43, vcc
	v_cmp_gt_i32_e32 vcc, s33, v42
	v_ashrrev_i32_e32 v47, 31, v46
	v_ashrrev_i32_e32 v49, 31, v48
	v_cndmask_b32_e32 v64, v38, v44, vcc
	global_load_dwordx4 v[30:33], v[30:31], off offset:2048
	s_nop 0
	global_load_dwordx4 v[22:25], v[34:35], off
	global_load_dwordx4 v[42:45], v[34:35], off offset:2048
	global_load_dwordx4 v[38:41], v[36:37], off
	s_nop 0
	global_load_dwordx4 v[34:37], v[36:37], off offset:2048
	v_ashrrev_i32_e32 v57, 31, v56
	v_ashrrev_i32_e32 v65, 31, v64
	v_lshl_add_u64 v[46:47], v[46:47], 2, s[6:7]
	v_lshl_add_u64 v[48:49], v[48:49], 2, s[6:7]
	;; [unrolled: 1-line block ×4, first 2 shown]
	global_load_dword v67, v[46:47], off
	global_load_dword v66, v[48:49], off
	;; [unrolled: 1-line block ×4, first 2 shown]
	s_mov_b32 s44, 0x7060302
	s_add_u32 s8, s10, s13
	s_addc_u32 s9, s11, 0
	v_and_b32_e32 v54, 16, v0
	v_lshl_or_b32 v63, v61, 4, v59
	s_waitcnt vmcnt(11)
	v_cvt_pk_f32_fp8_e32 v[46:47], v14
	v_cvt_pk_f32_fp8_sdwa v[48:49], v14 src0_sel:WORD_1
	v_cvt_pk_f32_fp8_e32 v[56:57], v15
	v_cvt_pk_f32_fp8_sdwa v[14:15], v15 src0_sel:WORD_1
	v_cvt_pk_f32_fp8_e32 v[68:69], v16
	v_cvt_pk_f32_fp8_sdwa v[70:71], v16 src0_sel:WORD_1
	v_cvt_pk_f32_fp8_e32 v[72:73], v17
	v_cvt_pk_f32_fp8_sdwa v[74:75], v17 src0_sel:WORD_1
	v_perm_b32 v16, v47, v46, s44
	v_perm_b32 v17, v49, v48, s44
	v_perm_b32 v56, v57, v56, s44
	v_perm_b32 v57, v15, v14, s44
	s_waitcnt lgkmcnt(0)
	v_mfma_f32_16x16x16_bf16 v[14:17], v[16:17], v[26:27], 0
	v_perm_b32 v68, v69, v68, s44
	v_perm_b32 v69, v71, v70, s44
	s_waitcnt vmcnt(10)
	v_cvt_pk_f32_fp8_e32 v[46:47], v2
	v_mfma_f32_16x16x16_bf16 v[14:17], v[56:57], v[28:29], v[14:17]
	v_cvt_pk_f32_fp8_sdwa v[48:49], v2 src0_sel:WORD_1
	v_perm_b32 v56, v73, v72, s44
	v_perm_b32 v57, v75, v74, s44
	v_mfma_f32_16x16x16_bf16 v[14:17], v[68:69], v[18:19], v[14:17]
	v_cvt_pk_f32_fp8_e32 v[76:77], v3
	v_cvt_pk_f32_fp8_sdwa v[2:3], v3 src0_sel:WORD_1
	v_perm_b32 v46, v47, v46, s44
	v_perm_b32 v47, v49, v48, s44
	v_mfma_f32_16x16x16_bf16 v[14:17], v[56:57], v[20:21], v[14:17]
	v_cvt_pk_f32_fp8_e32 v[68:69], v4
	v_cvt_pk_f32_fp8_sdwa v[48:49], v4 src0_sel:WORD_1
	v_perm_b32 v56, v77, v76, s44
	v_perm_b32 v57, v3, v2, s44
	v_mfma_f32_16x16x16_bf16 v[14:17], v[46:47], v[10:11], v[14:17]
	v_perm_b32 v46, v69, v68, s44
	v_perm_b32 v47, v49, v48, s44
	v_cvt_pk_f32_fp8_e32 v[48:49], v5
	v_cvt_pk_f32_fp8_sdwa v[68:69], v5 src0_sel:WORD_1
	v_mfma_f32_16x16x16_bf16 v[2:5], v[56:57], v[12:13], v[14:17]
	s_waitcnt vmcnt(9)
	v_cvt_pk_f32_fp8_sdwa v[56:57], v50 src0_sel:WORD_1
	s_waitcnt vmcnt(7)
	v_cvt_pk_f32_fp8_e32 v[72:73], v25
	v_perm_b32 v14, v49, v48, s44
	v_perm_b32 v15, v69, v68, s44
	v_mfma_f32_16x16x16_bf16 v[2:5], v[46:47], v[6:7], v[2:5]
	v_cvt_pk_f32_fp8_e32 v[16:17], v50
	v_cvt_pk_f32_fp8_sdwa v[74:75], v25 src0_sel:WORD_1
	s_waitcnt vmcnt(6)
	v_cvt_pk_f32_fp8_sdwa v[78:79], v44 src0_sel:WORD_1
	v_mfma_f32_16x16x16_bf16 v[46:49], v[14:15], v[8:9], v[2:5]
	v_cvt_pk_f32_fp8_sdwa v[14:15], v51 src0_sel:WORD_1
	s_nop 1
	v_cvt_pk_f32_fp8_e32 v[2:3], v51
	v_perm_b32 v4, v17, v16, s44
	v_perm_b32 v5, v57, v56, s44
	v_cvt_pk_f32_fp8_e32 v[50:51], v52
	v_perm_b32 v16, v3, v2, s44
	v_cvt_pk_f32_fp8_sdwa v[56:57], v52 src0_sel:WORD_1
	v_perm_b32 v17, v15, v14, s44
	v_mfma_f32_16x16x16_bf16 v[2:5], v[4:5], v[26:27], 0
	v_perm_b32 v14, v51, v50, s44
	v_perm_b32 v15, v57, v56, s44
	v_cvt_pk_f32_fp8_e32 v[50:51], v53
	v_cvt_pk_f32_fp8_sdwa v[52:53], v53 src0_sel:WORD_1
	v_mfma_f32_16x16x16_bf16 v[2:5], v[16:17], v[28:29], v[2:5]
	v_lshl_add_u64 v[56:57], s[8:9], 0, v[54:55]
	v_perm_b32 v16, v51, v50, s44
	v_perm_b32 v17, v53, v52, s44
	v_mfma_f32_16x16x16_bf16 v[2:5], v[14:15], v[18:19], v[2:5]
	v_cvt_pk_f32_fp8_e32 v[14:15], v30
	v_cvt_pk_f32_fp8_sdwa v[50:51], v30 src0_sel:WORD_1
	v_cvt_pk_f32_fp8_sdwa v[52:53], v32 src0_sel:WORD_1
	v_mfma_f32_16x16x16_bf16 v[2:5], v[16:17], v[20:21], v[2:5]
	v_cvt_pk_f32_fp8_e32 v[16:17], v31
	v_perm_b32 v14, v15, v14, s44
	v_perm_b32 v15, v51, v50, s44
	v_cvt_pk_f32_fp8_sdwa v[30:31], v31 src0_sel:WORD_1
	v_perm_b32 v16, v17, v16, s44
	v_cvt_pk_f32_fp8_e32 v[50:51], v32
	v_mfma_f32_16x16x16_bf16 v[2:5], v[14:15], v[10:11], v[2:5]
	v_perm_b32 v17, v31, v30, s44
	v_perm_b32 v14, v51, v50, s44
	;; [unrolled: 1-line block ×3, first 2 shown]
	v_cvt_pk_f32_fp8_e32 v[30:31], v33
	v_cvt_pk_f32_fp8_sdwa v[32:33], v33 src0_sel:WORD_1
	v_mfma_f32_16x16x16_bf16 v[2:5], v[16:17], v[12:13], v[2:5]
	v_lshlrev_b32_e32 v54, 5, v63
	v_perm_b32 v16, v31, v30, s44
	v_perm_b32 v17, v33, v32, s44
	v_mfma_f32_16x16x16_bf16 v[2:5], v[14:15], v[6:7], v[2:5]
	v_cvt_pk_f32_fp8_e32 v[14:15], v22
	v_cvt_pk_f32_fp8_sdwa v[30:31], v22 src0_sel:WORD_1
	v_lshl_add_u64 v[68:69], v[56:57], 0, v[54:55]
	v_mfma_f32_16x16x16_bf16 v[50:53], v[16:17], v[8:9], v[2:5]
	s_waitcnt vmcnt(3)
	v_mad_i64_i32 v[16:17], s[6:7], v67, s45, v[68:69]
	s_waitcnt vmcnt(2)
	v_mad_i64_i32 v[70:71], s[6:7], v66, s45, v[68:69]
	v_perm_b32 v2, v15, v14, s44
	v_perm_b32 v3, v31, v30, s44
	v_cvt_pk_f32_fp8_e32 v[4:5], v23
	v_cvt_pk_f32_fp8_sdwa v[14:15], v23 src0_sel:WORD_1
	v_cvt_pk_f32_fp8_sdwa v[30:31], v24 src0_sel:WORD_1
	v_or_b32_e32 v54, 0x800, v54
	v_perm_b32 v22, v5, v4, s44
	v_perm_b32 v23, v15, v14, s44
	v_cvt_pk_f32_fp8_e32 v[14:15], v24
	v_mfma_f32_16x16x16_bf16 v[2:5], v[2:3], v[26:27], 0
	v_perm_b32 v14, v15, v14, s44
	v_perm_b32 v15, v31, v30, s44
	v_mfma_f32_16x16x16_bf16 v[2:5], v[22:23], v[28:29], v[2:5]
	global_load_dwordx4 v[30:33], v[16:17], off
	global_load_dwordx4 v[22:25], v[70:71], off
	v_perm_b32 v16, v73, v72, s44
	v_perm_b32 v17, v75, v74, s44
	v_mfma_f32_16x16x16_bf16 v[2:5], v[14:15], v[18:19], v[2:5]
	v_cvt_pk_f32_fp8_e32 v[14:15], v42
	v_cvt_pk_f32_fp8_sdwa v[70:71], v42 src0_sel:WORD_1
	s_waitcnt vmcnt(3)
	v_mad_i64_i32 v[72:73], s[6:7], v65, s45, v[68:69]
	v_mfma_f32_16x16x16_bf16 v[2:5], v[16:17], v[20:21], v[2:5]
	v_perm_b32 v14, v15, v14, s44
	v_perm_b32 v15, v71, v70, s44
	v_cvt_pk_f32_fp8_e32 v[16:17], v43
	v_cvt_pk_f32_fp8_sdwa v[42:43], v43 src0_sel:WORD_1
	s_waitcnt vmcnt(2)
	v_mad_i64_i32 v[74:75], s[6:7], v64, s45, v[68:69]
	v_perm_b32 v76, v17, v16, s44
	v_perm_b32 v77, v43, v42, s44
	v_cvt_pk_f32_fp8_e32 v[42:43], v44
	v_mfma_f32_16x16x16_bf16 v[68:71], v[14:15], v[10:11], v[2:5]
	global_load_dwordx4 v[14:17], v[72:73], off
	s_nop 1
	global_load_dwordx4 v[2:5], v[74:75], off
	v_perm_b32 v73, v79, v78, s44
	v_perm_b32 v72, v43, v42, s44
	v_cvt_pk_f32_fp8_e32 v[74:75], v45
	v_cvt_pk_f32_fp8_sdwa v[44:45], v45 src0_sel:WORD_1
	v_mfma_f32_16x16x16_bf16 v[68:71], v[76:77], v[12:13], v[68:71]
	v_lshl_add_u64 v[42:43], v[56:57], 0, v[54:55]
	v_perm_b32 v56, v75, v74, s44
	v_perm_b32 v57, v45, v44, s44
	v_mfma_f32_16x16x16_bf16 v[68:71], v[72:73], v[6:7], v[68:71]
	v_cvt_pk_f32_fp8_e32 v[44:45], v38
	v_cvt_pk_f32_fp8_sdwa v[72:73], v38 src0_sel:WORD_1
	s_load_dword s6, s[40:41], 0x0
	v_mfma_f32_16x16x16_bf16 v[68:71], v[56:57], v[8:9], v[68:71]
	v_cvt_pk_f32_fp8_e32 v[56:57], v39
	v_perm_b32 v44, v45, v44, s44
	v_perm_b32 v45, v73, v72, s44
	v_cvt_pk_f32_fp8_sdwa v[38:39], v39 src0_sel:WORD_1
	v_perm_b32 v56, v57, v56, s44
	v_cvt_pk_f32_fp8_e32 v[76:77], v40
	v_cvt_pk_f32_fp8_sdwa v[78:79], v40 src0_sel:WORD_1
	v_perm_b32 v57, v39, v38, s44
	v_mfma_f32_16x16x16_bf16 v[72:75], v[44:45], v[26:27], 0
	v_perm_b32 v38, v77, v76, s44
	v_perm_b32 v39, v79, v78, s44
	v_cvt_pk_f32_fp8_e32 v[76:77], v41
	v_cvt_pk_f32_fp8_sdwa v[40:41], v41 src0_sel:WORD_1
	v_mov_b32_e32 v26, s12
	s_waitcnt lgkmcnt(0)
	v_mul_f32_e32 v54, s6, v26
	v_mfma_f32_16x16x16_bf16 v[26:29], v[56:57], v[28:29], v[72:75]
	v_pk_mul_f32 v[44:45], v[54:55], v[48:49] op_sel_hi:[0,1]
	v_perm_b32 v48, v77, v76, s44
	v_perm_b32 v49, v41, v40, s44
	v_mfma_f32_16x16x16_bf16 v[26:29], v[38:39], v[18:19], v[26:29]
	v_cvt_pk_f32_fp8_e32 v[18:19], v34
	v_cvt_pk_f32_fp8_sdwa v[38:39], v34 src0_sel:WORD_1
	v_pk_mul_f32 v[56:57], v[54:55], v[46:47] op_sel_hi:[0,1]
	v_mfma_f32_16x16x16_bf16 v[26:29], v[48:49], v[20:21], v[26:29]
	v_perm_b32 v20, v19, v18, s44
	v_perm_b32 v21, v39, v38, s44
	v_cvt_pk_f32_fp8_e32 v[38:39], v35
	v_cvt_pk_f32_fp8_sdwa v[34:35], v35 src0_sel:WORD_1
	v_mfma_f32_16x16x16_bf16 v[26:29], v[20:21], v[10:11], v[26:29]
	v_perm_b32 v38, v39, v38, s44
	v_perm_b32 v39, v35, v34, s44
	v_cvt_pk_f32_fp8_e32 v[10:11], v36
	v_cvt_pk_f32_fp8_sdwa v[20:21], v36 src0_sel:WORD_1
	s_mov_b32 s40, 0xff7fffff
	v_pk_mul_f32 v[50:51], v[54:55], v[50:51] op_sel_hi:[0,1]
	v_perm_b32 v40, v11, v10, s44
	v_perm_b32 v41, v21, v20, s44
	v_cvt_pk_f32_fp8_e32 v[20:21], v37
	v_cvt_pk_f32_fp8_sdwa v[36:37], v37 src0_sel:WORD_1
	v_mfma_f32_16x16x16_bf16 v[10:13], v[38:39], v[12:13], v[26:29]
	v_pk_mul_f32 v[34:35], v[54:55], v[52:53] op_sel_hi:[0,1]
	v_perm_b32 v20, v21, v20, s44
	v_perm_b32 v21, v37, v36, s44
	v_mfma_f32_16x16x16_bf16 v[10:13], v[40:41], v[6:7], v[10:13]
	v_pk_mul_f32 v[46:47], v[54:55], v[68:69] op_sel_hi:[0,1]
	v_pk_mul_f32 v[40:41], v[54:55], v[70:71] op_sel_hi:[0,1]
	v_mad_i64_i32 v[18:19], s[6:7], v67, s45, v[42:43]
	v_mfma_f32_16x16x16_bf16 v[6:9], v[20:21], v[8:9], v[10:13]
	v_mad_i64_i32 v[66:67], s[6:7], v66, s45, v[42:43]
	global_load_dwordx4 v[26:29], v[18:19], off
	s_nop 0
	global_load_dwordx4 v[18:21], v[66:67], off
	s_nop 2
	v_pk_mul_f32 v[48:49], v[54:55], v[6:7] op_sel_hi:[0,1]
	v_and_b32_e32 v6, 0xc0, v0
	v_add_u32_e32 v6, s18, v6
	v_lshl_or_b32 v6, v58, 2, v6
	v_pk_mul_f32 v[38:39], v[54:55], v[8:9] op_sel_hi:[0,1]
	v_or_b32_e32 v9, 1, v6
	v_mov_b32_e32 v7, 0xff7fffff
	v_cmp_gt_i32_e64 s[26:27], s33, v6
	v_cmp_gt_i32_e64 s[28:29], s33, v9
	v_or_b32_e32 v10, 3, v6
	v_cndmask_b32_e64 v8, v7, v56, s[26:27]
	v_cndmask_b32_e64 v9, v7, v57, s[28:29]
	v_max3_f32 v8, v8, s40, v9
	v_or_b32_e32 v9, 2, v6
	v_cmp_gt_i32_e64 s[30:31], s33, v9
	v_cmp_gt_i32_e64 s[34:35], s33, v10
	s_nop 0
	v_cndmask_b32_e64 v9, v7, v44, s[30:31]
	v_cndmask_b32_e64 v10, v7, v45, s[34:35]
	v_max3_f32 v8, v8, v9, v10
	v_or_b32_e32 v9, 16, v6
	v_or_b32_e32 v10, 17, v6
	v_cmp_gt_i32_e64 s[18:19], s33, v9
	v_cmp_gt_i32_e64 s[20:21], s33, v10
	s_nop 0
	v_cndmask_b32_e64 v9, v7, v50, s[18:19]
	v_cndmask_b32_e64 v10, v7, v51, s[20:21]
	v_max3_f32 v8, v8, v9, v10
	v_or_b32_e32 v9, 18, v6
	;; [unrolled: 8-line block ×5, first 2 shown]
	v_or_b32_e32 v10, 49, v6
	v_cmp_gt_i32_e32 vcc, s33, v9
	v_cmp_gt_i32_e64 s[24:25], s33, v10
	s_nop 0
	v_cndmask_b32_e32 v9, v7, v48, vcc
	v_cndmask_b32_e64 v10, v7, v49, s[24:25]
	v_max3_f32 v8, v8, v9, v10
	v_or_b32_e32 v9, 50, v6
	v_or_b32_e32 v6, 51, v6
	v_cmp_gt_i32_e64 s[6:7], s33, v9
	v_cmp_gt_i32_e64 s[8:9], s33, v6
	s_nop 0
	v_cndmask_b32_e64 v9, v7, v38, s[6:7]
	v_cndmask_b32_e64 v6, v7, v39, s[8:9]
	v_max3_f32 v8, v8, v9, v6
	v_mbcnt_lo_u32_b32 v6, -1, 0
	v_mbcnt_hi_u32_b32 v9, -1, v6
	v_and_b32_e32 v6, 64, v9
	v_add_u32_e32 v10, 64, v6
	v_xor_b32_e32 v6, 32, v9
	v_cmp_lt_i32_e64 s[38:39], v6, v10
	s_nop 1
	v_cndmask_b32_e64 v6, v9, v6, s[38:39]
	v_lshlrev_b32_e32 v53, 2, v6
	ds_bpermute_b32 v11, v53, v8
	v_mad_i64_i32 v[6:7], s[38:39], v65, s45, v[42:43]
	s_waitcnt lgkmcnt(0)
	v_max_f32_e32 v11, v11, v11
	v_max_f32_e32 v36, v8, v11
	v_xor_b32_e32 v8, 16, v9
	v_cmp_lt_i32_e64 s[38:39], v8, v10
	s_nop 1
	v_cndmask_b32_e64 v8, v9, v8, s[38:39]
	v_lshlrev_b32_e32 v54, 2, v8
	v_mad_i64_i32 v[8:9], s[38:39], v64, s45, v[42:43]
	global_load_dwordx4 v[10:13], v[6:7], off
	s_nop 0
	global_load_dwordx4 v[6:9], v[8:9], off
	ds_bpermute_b32 v37, v54, v36
	s_waitcnt lgkmcnt(0)
	s_barrier
	v_max_f32_e32 v37, v37, v37
	v_max_f32_e32 v52, v36, v37
	v_sub_f32_e32 v42, v44, v52
	v_mul_f32_e32 v42, 0x3fb8aa3b, v42
	v_exp_f32_e32 v42, v42
	v_sub_f32_e32 v43, v45, v52
	v_mul_f32_e32 v43, 0x3fb8aa3b, v43
	v_exp_f32_e32 v43, v43
	v_cndmask_b32_e64 v44, 0, v42, s[30:31]
	v_sub_f32_e32 v42, v50, v52
	v_sub_f32_e32 v34, v34, v52
	v_mul_f32_e32 v42, 0x3fb8aa3b, v42
	v_mul_f32_e32 v34, 0x3fb8aa3b, v34
	v_exp_f32_e32 v42, v42
	v_exp_f32_e32 v50, v34
	v_cndmask_b32_e64 v45, 0, v43, s[34:35]
	v_sub_f32_e32 v43, v51, v52
	v_sub_f32_e32 v34, v35, v52
	;; [unrolled: 1-line block ×4, first 2 shown]
	v_mul_f32_e32 v43, 0x3fb8aa3b, v43
	v_mul_f32_e32 v34, 0x3fb8aa3b, v34
	;; [unrolled: 1-line block ×4, first 2 shown]
	v_exp_f32_e32 v43, v43
	v_exp_f32_e32 v51, v34
	v_cndmask_b32_e64 v34, 0, v42, s[18:19]
	v_cndmask_b32_e64 v42, 0, v50, s[22:23]
	v_exp_f32_e32 v46, v46
	v_exp_f32_e32 v50, v40
	v_sub_f32_e32 v36, v56, v52
	v_mul_f32_e32 v36, 0x3fb8aa3b, v36
	v_sub_f32_e32 v37, v57, v52
	v_sub_f32_e32 v47, v47, v52
	;; [unrolled: 1-line block ×5, first 2 shown]
	v_exp_f32_e32 v36, v36
	v_mul_f32_e32 v37, 0x3fb8aa3b, v37
	v_mul_f32_e32 v47, 0x3fb8aa3b, v47
	v_mul_f32_e32 v40, 0x3fb8aa3b, v40
	v_mul_f32_e32 v48, 0x3fb8aa3b, v48
	v_mul_f32_e32 v38, 0x3fb8aa3b, v38
	v_exp_f32_e32 v37, v37
	v_cndmask_b32_e64 v35, 0, v43, s[20:21]
	v_cndmask_b32_e64 v43, 0, v51, s[36:37]
	v_exp_f32_e32 v47, v47
	v_exp_f32_e32 v51, v40
	v_cndmask_b32_e64 v40, 0, v46, s[10:11]
	v_cndmask_b32_e64 v46, 0, v50, s[14:15]
	v_exp_f32_e32 v48, v48
	v_exp_f32_e32 v50, v38
	v_sub_f32_e32 v38, v39, v52
	v_cndmask_b32_e64 v36, 0, v36, s[26:27]
	v_mul_f32_e32 v38, 0x3fb8aa3b, v38
	v_cndmask_b32_e64 v37, 0, v37, s[28:29]
	v_cndmask_b32_e64 v41, 0, v47, s[12:13]
	v_cndmask_b32_e64 v47, 0, v51, s[16:17]
	v_exp_f32_e32 v51, v38
	v_cndmask_b32_e32 v38, 0, v48, vcc
	v_cndmask_b32_e64 v48, 0, v50, s[6:7]
	v_add_f32_e32 v50, 0, v36
	v_add_f32_e32 v50, v50, v37
	;; [unrolled: 1-line block ×6, first 2 shown]
	v_sub_f32_e32 v49, v49, v52
	v_add_f32_e32 v50, v50, v42
	v_mul_f32_e32 v49, 0x3fb8aa3b, v49
	v_add_f32_e32 v50, v50, v43
	v_exp_f32_e32 v49, v49
	v_add_f32_e32 v50, v50, v40
	v_add_f32_e32 v50, v50, v41
	;; [unrolled: 1-line block ×4, first 2 shown]
	v_cndmask_b32_e64 v39, 0, v49, s[24:25]
	v_add_f32_e32 v50, v50, v38
	v_add_f32_e32 v50, v50, v39
	v_cndmask_b32_e64 v49, 0, v51, s[8:9]
	v_add_f32_e32 v50, v50, v48
	v_add_f32_e32 v50, v50, v49
	ds_bpermute_b32 v51, v53, v50
	v_cmp_lt_u32_e64 s[6:7], 15, v62
	v_cmp_gt_u32_e32 vcc, 16, v62
	s_waitcnt lgkmcnt(0)
	v_add_f32_e32 v50, v50, v51
	ds_bpermute_b32 v51, v54, v50
	s_and_saveexec_b64 s[8:9], vcc
	s_cbranch_execz .LBB1364_13
; %bb.12:
	s_waitcnt lgkmcnt(0)
	v_add_f32_e32 v50, v50, v51
	v_lshlrev_b32_e32 v51, 2, v63
	ds_write2st64_b32 v51, v52, v50 offset1:1
.LBB1364_13:
	s_or_b64 exec, exec, s[8:9]
	s_waitcnt lgkmcnt(0)
	v_lshlrev_b32_e32 v51, 2, v59
	s_load_dwordx2 s[8:9], s[0:1], 0x94
	s_waitcnt lgkmcnt(0)
	s_barrier
	ds_read2_b32 v[52:53], v51 offset1:16
	ds_read2_b32 v[56:57], v51 offset0:32 offset1:48
	ds_read2_b32 v[62:63], v51 offset0:64 offset1:80
	s_movk_i32 s12, 0x7fff
	s_waitcnt lgkmcnt(2)
	v_max3_f32 v50, v52, s40, v53
	s_waitcnt lgkmcnt(1)
	v_max3_f32 v50, v50, v56, v57
	v_sub_f32_e32 v52, v52, v50
	v_mul_f32_e32 v52, 0x3fb8aa3b, v52
	v_exp_f32_e32 v54, v52
	v_sub_f32_e32 v52, v53, v50
	v_mul_f32_e32 v52, 0x3fb8aa3b, v52
	v_exp_f32_e32 v64, v52
	;; [unrolled: 3-line block ×3, first 2 shown]
	ds_read2_b32 v[52:53], v51 offset0:96 offset1:112
	v_sub_f32_e32 v51, v57, v50
	v_mul_f32_e32 v51, 0x3fb8aa3b, v51
	v_exp_f32_e32 v57, v51
	s_waitcnt lgkmcnt(1)
	v_fma_f32 v51, v54, v62, 0
	v_fmac_f32_e32 v51, v64, v63
	s_waitcnt lgkmcnt(0)
	v_fmac_f32_e32 v51, v56, v52
	v_fmac_f32_e32 v51, v57, v53
	v_add_f32_e32 v52, 0x358637bd, v51
	v_div_scale_f32 v53, s[10:11], v52, v52, 1.0
	v_rcp_f32_e32 v62, v53
	s_barrier
	v_fma_f32 v63, -v53, v62, 1.0
	v_fmac_f32_e32 v62, v63, v62
	v_div_scale_f32 v63, vcc, 1.0, v52, 1.0
	v_mul_f32_e32 v65, v63, v62
	v_fma_f32 v66, -v53, v65, v63
	v_fmac_f32_e32 v65, v66, v62
	v_fma_f32 v53, -v53, v65, v63
	v_div_fmas_f32 v53, v53, v62, v65
	v_cmp_eq_u32_e32 vcc, 1, v61
	v_div_fixup_f32 v52, v53, v52, 1.0
	s_nop 0
	v_cndmask_b32_e32 v53, v54, v64, vcc
	v_cmp_eq_u32_e32 vcc, 2, v61
	s_nop 1
	v_cndmask_b32_e32 v53, v53, v56, vcc
	v_cmp_eq_u32_e32 vcc, 3, v61
	s_nop 1
	v_cndmask_b32_e32 v53, v53, v57, vcc
	v_mul_f32_e32 v52, v53, v52
	v_pk_mul_f32 v[36:37], v[52:53], v[36:37] op_sel_hi:[0,1]
	v_pk_mul_f32 v[44:45], v[52:53], v[44:45] op_sel_hi:[0,1]
	v_bfe_u32 v53, v37, 16, 1
	v_bfe_u32 v54, v36, 16, 1
	v_add3_u32 v36, v36, v54, s12
	v_add3_u32 v37, v37, v53, s12
	v_perm_b32 v56, v37, v36, s44
	v_bfe_u32 v36, v45, 16, 1
	v_bfe_u32 v37, v44, 16, 1
	v_add3_u32 v37, v44, v37, s12
	v_add3_u32 v36, v45, v36, s12
	v_perm_b32 v57, v36, v37, s44
	v_lshlrev_b32_e32 v37, 3, v58
	v_lshlrev_b32_e32 v36, 5, v59
	v_lshlrev_b32_e32 v44, 11, v61
	v_pk_mul_f32 v[34:35], v[52:53], v[34:35] op_sel_hi:[0,1]
	v_or3_b32 v54, v44, v36, v37
	v_bfe_u32 v37, v35, 16, 1
	v_bfe_u32 v44, v34, 16, 1
	v_pk_mul_f32 v[42:43], v[52:53], v[42:43] op_sel_hi:[0,1]
	v_add3_u32 v34, v34, v44, s12
	v_add3_u32 v35, v35, v37, s12
	v_perm_b32 v34, v35, v34, s44
	v_bfe_u32 v35, v43, 16, 1
	v_bfe_u32 v37, v42, 16, 1
	v_add3_u32 v37, v42, v37, s12
	v_add3_u32 v35, v43, v35, s12
	v_pk_mul_f32 v[40:41], v[52:53], v[40:41] op_sel_hi:[0,1]
	v_perm_b32 v35, v35, v37, s44
	v_bfe_u32 v37, v41, 16, 1
	v_bfe_u32 v42, v40, 16, 1
	ds_write2st64_b64 v54, v[56:57], v[34:35] offset1:1
	v_pk_mul_f32 v[34:35], v[52:53], v[46:47] op_sel_hi:[0,1]
	v_add3_u32 v40, v40, v42, s12
	v_add3_u32 v37, v41, v37, s12
	v_perm_b32 v40, v37, v40, s44
	v_bfe_u32 v37, v35, 16, 1
	v_bfe_u32 v41, v34, 16, 1
	v_pk_mul_f32 v[38:39], v[52:53], v[38:39] op_sel_hi:[0,1]
	v_add3_u32 v34, v34, v41, s12
	v_add3_u32 v35, v35, v37, s12
	v_bfe_u32 v37, v39, 16, 1
	v_bfe_u32 v42, v38, 16, 1
	v_perm_b32 v41, v35, v34, s44
	v_pk_mul_f32 v[34:35], v[52:53], v[48:49] op_sel_hi:[0,1]
	v_add3_u32 v38, v38, v42, s12
	v_add3_u32 v37, v39, v37, s12
	v_perm_b32 v38, v37, v38, s44
	v_bfe_u32 v37, v35, 16, 1
	v_bfe_u32 v39, v34, 16, 1
	v_add3_u32 v34, v34, v39, s12
	v_add3_u32 v35, v35, v37, s12
	v_perm_b32 v39, v35, v34, s44
	v_cmp_eq_u32_e32 vcc, 0, v0
	ds_write2st64_b64 v54, v[40:41], v[38:39] offset0:2 offset1:3
	s_and_saveexec_b64 s[10:11], vcc
	s_cbranch_execz .LBB1364_15
; %bb.14:
	s_mul_i32 s3, s3, s9
	s_mul_hi_u32 s13, s2, s9
	s_add_i32 s13, s13, s3
	s_mul_i32 s3, s2, s9
	s_add_u32 s3, s3, s4
	s_addc_u32 s13, s13, 0
	s_load_dwordx4 s[16:19], s[0:1], 0x58
	s_mul_i32 s13, s13, s8
	s_mul_hi_u32 s14, s3, s8
	s_add_i32 s13, s14, s13
	s_mul_i32 s3, s3, s8
	s_add_u32 s14, s3, s5
	s_addc_u32 s15, s13, 0
	s_lshl_b64 s[14:15], s[14:15], 2
	s_waitcnt lgkmcnt(0)
	s_add_u32 s18, s18, s14
	s_addc_u32 s19, s19, s15
	s_add_u32 s14, s16, s14
	s_addc_u32 s15, s17, s15
	global_store_dword v55, v50, s[18:19]
	global_store_dword v55, v51, s[14:15]
.LBB1364_15:
	s_or_b64 exec, exec, s[10:11]
	v_lshl_or_b32 v50, v58, 9, v36
	s_waitcnt vmcnt(7)
	v_cvt_pk_f32_fp8_e32 v[34:35], v30
	v_cvt_pk_f32_fp8_sdwa v[36:37], v30 src0_sel:WORD_1
	s_mov_b32 s11, 0x7060302
	s_waitcnt lgkmcnt(0)
	s_barrier
	v_cvt_pk_f32_fp8_e32 v[38:39], v31
	v_perm_b32 v30, v35, v34, s11
	v_cvt_pk_f32_fp8_sdwa v[40:41], v31 src0_sel:WORD_1
	v_perm_b32 v31, v37, v36, s11
	ds_read_b128 v[34:37], v50
	v_perm_b32 v46, v39, v38, s11
	v_perm_b32 v47, v41, v40, s11
	ds_read_b128 v[38:41], v50 offset:16
	v_cvt_pk_f32_fp8_e32 v[48:49], v32
	v_cvt_pk_f32_fp8_sdwa v[52:53], v32 src0_sel:WORD_1
	s_waitcnt lgkmcnt(1)
	v_mfma_f32_16x16x16_bf16 v[42:45], v[30:31], v[34:35], 0
	s_waitcnt vmcnt(6)
	v_cvt_pk_f32_fp8_e32 v[56:57], v24
	v_perm_b32 v30, v49, v48, s11
	v_perm_b32 v31, v53, v52, s11
	v_cvt_pk_f32_fp8_e32 v[48:49], v33
	v_mfma_f32_16x16x16_bf16 v[42:45], v[46:47], v[36:37], v[42:45]
	v_cvt_pk_f32_fp8_sdwa v[46:47], v33 src0_sel:WORD_1
	v_cvt_pk_f32_fp8_sdwa v[62:63], v24 src0_sel:WORD_1
	v_perm_b32 v48, v49, v48, s11
	s_waitcnt lgkmcnt(0)
	v_mfma_f32_16x16x16_bf16 v[30:33], v[30:31], v[38:39], v[42:45]
	v_perm_b32 v49, v47, v46, s11
	s_waitcnt vmcnt(5)
	v_cvt_pk_f32_fp8_sdwa v[66:67], v16 src0_sel:WORD_1
	s_waitcnt vmcnt(4)
	v_cvt_pk_f32_fp8_sdwa v[68:69], v4 src0_sel:WORD_1
	v_cvt_pk_f32_fp8_e32 v[42:43], v22
	v_mfma_f32_16x16x16_bf16 v[46:49], v[48:49], v[40:41], v[30:33]
	s_load_dword s10, s[42:43], 0x0
	s_waitcnt vmcnt(3)
	v_cvt_pk_f32_fp8_sdwa v[70:71], v28 src0_sel:WORD_1
	v_cvt_pk_f32_fp8_sdwa v[30:31], v22 src0_sel:WORD_1
	v_cvt_pk_f32_fp8_e32 v[32:33], v23
	v_perm_b32 v22, v43, v42, s11
	v_cvt_pk_f32_fp8_sdwa v[42:43], v23 src0_sel:WORD_1
	v_perm_b32 v23, v31, v30, s11
	v_perm_b32 v52, v33, v32, s11
	ds_read_b128 v[30:33], v50 offset:2048
	v_perm_b32 v53, v43, v42, s11
	ds_read_b128 v[42:45], v50 offset:2064
	s_waitcnt lgkmcnt(0)
	v_mfma_f32_16x16x16_bf16 v[46:49], v[22:23], v[30:31], v[46:49]
	v_perm_b32 v22, v57, v56, s11
	v_perm_b32 v23, v63, v62, s11
	v_cvt_pk_f32_fp8_e32 v[56:57], v25
	v_mfma_f32_16x16x16_bf16 v[46:49], v[52:53], v[32:33], v[46:49]
	v_cvt_pk_f32_fp8_sdwa v[52:53], v25 src0_sel:WORD_1
	v_cmp_gt_u32_e32 vcc, 64, v0
	v_perm_b32 v56, v57, v56, s11
	v_mfma_f32_16x16x16_bf16 v[22:25], v[22:23], v[42:43], v[46:49]
	v_perm_b32 v57, v53, v52, s11
	s_xor_b64 s[6:7], s[6:7], -1
	s_mov_b32 s3, 0
	v_cvt_pk_f32_fp8_e32 v[46:47], v14
	v_mfma_f32_16x16x16_bf16 v[62:65], v[56:57], v[44:45], v[22:25]
	v_cvt_pk_f32_fp8_e32 v[56:57], v16
	s_and_b64 s[6:7], vcc, s[6:7]
	s_nop 0
	v_cvt_pk_f32_fp8_sdwa v[22:23], v14 src0_sel:WORD_1
	v_cvt_pk_f32_fp8_e32 v[24:25], v15
	v_perm_b32 v14, v47, v46, s11
	v_cvt_pk_f32_fp8_sdwa v[46:47], v15 src0_sel:WORD_1
	v_perm_b32 v15, v23, v22, s11
	v_perm_b32 v52, v25, v24, s11
	ds_read_b128 v[22:25], v50 offset:4096
	v_perm_b32 v53, v47, v46, s11
	ds_read_b128 v[46:49], v50 offset:4112
	s_waitcnt lgkmcnt(1)
	v_mfma_f32_16x16x16_bf16 v[62:65], v[14:15], v[22:23], v[62:65]
	v_perm_b32 v14, v57, v56, s11
	v_perm_b32 v15, v67, v66, s11
	v_cvt_pk_f32_fp8_e32 v[56:57], v17
	v_mfma_f32_16x16x16_bf16 v[62:65], v[52:53], v[24:25], v[62:65]
	v_cvt_pk_f32_fp8_sdwa v[52:53], v17 src0_sel:WORD_1
	v_cvt_pk_f32_fp8_e32 v[66:67], v4
	v_perm_b32 v56, v57, v56, s11
	s_waitcnt lgkmcnt(0)
	v_mfma_f32_16x16x16_bf16 v[14:17], v[14:15], v[46:47], v[62:65]
	v_perm_b32 v57, v53, v52, s11
	v_cvt_pk_f32_fp8_e32 v[52:53], v2
	s_nop 0
	v_mfma_f32_16x16x16_bf16 v[62:65], v[56:57], v[48:49], v[14:17]
	s_nop 2
	v_cvt_pk_f32_fp8_sdwa v[14:15], v2 src0_sel:WORD_1
	v_cvt_pk_f32_fp8_e32 v[16:17], v3
	v_perm_b32 v2, v53, v52, s11
	v_cvt_pk_f32_fp8_sdwa v[52:53], v3 src0_sel:WORD_1
	v_perm_b32 v3, v15, v14, s11
	v_perm_b32 v56, v17, v16, s11
	ds_read_b128 v[14:17], v50 offset:6144
	v_perm_b32 v57, v53, v52, s11
	s_waitcnt lgkmcnt(0)
	v_mfma_f32_16x16x16_bf16 v[62:65], v[2:3], v[14:15], v[62:65]
	ds_read_b128 v[50:53], v50 offset:6160
	v_perm_b32 v2, v67, v66, s11
	v_perm_b32 v3, v69, v68, s11
	v_cvt_pk_f32_fp8_e32 v[66:67], v5
	v_mfma_f32_16x16x16_bf16 v[62:65], v[56:57], v[16:17], v[62:65]
	v_cvt_pk_f32_fp8_sdwa v[56:57], v5 src0_sel:WORD_1
	v_cvt_pk_f32_fp8_e32 v[68:69], v28
	v_perm_b32 v66, v67, v66, s11
	s_waitcnt lgkmcnt(0)
	v_mfma_f32_16x16x16_bf16 v[2:5], v[2:3], v[50:51], v[62:65]
	v_perm_b32 v67, v57, v56, s11
	v_cvt_pk_f32_fp8_sdwa v[56:57], v26 src0_sel:WORD_1
	s_nop 0
	v_mfma_f32_16x16x16_bf16 v[62:65], v[66:67], v[52:53], v[2:5]
	s_barrier
	s_nop 1
	v_cvt_pk_f32_fp8_e32 v[4:5], v26
	s_nop 2
	v_pk_mul_f32 v[66:67], v[62:63], s[10:11] op_sel_hi:[1,0]
	v_cvt_pk_f32_fp8_e32 v[62:63], v27
	v_perm_b32 v4, v5, v4, s11
	v_perm_b32 v5, v57, v56, s11
	v_cvt_pk_f32_fp8_sdwa v[26:27], v27 src0_sel:WORD_1
	v_perm_b32 v56, v63, v62, s11
	v_pk_mul_f32 v[2:3], v[64:65], s[10:11] op_sel_hi:[1,0]
	v_mfma_f32_16x16x16_bf16 v[62:65], v[4:5], v[34:35], 0
	v_perm_b32 v57, v27, v26, s11
	v_perm_b32 v4, v69, v68, s11
	v_perm_b32 v5, v71, v70, s11
	v_cvt_pk_f32_fp8_e32 v[34:35], v29
	v_cvt_pk_f32_fp8_sdwa v[68:69], v29 src0_sel:WORD_1
	v_mfma_f32_16x16x16_bf16 v[26:29], v[56:57], v[36:37], v[62:65]
	s_waitcnt vmcnt(2)
	v_cvt_pk_f32_fp8_sdwa v[36:37], v18 src0_sel:WORD_1
	v_perm_b32 v34, v35, v34, s11
	v_perm_b32 v35, v69, v68, s11
	v_mfma_f32_16x16x16_bf16 v[26:29], v[4:5], v[38:39], v[26:29]
	v_cvt_pk_f32_fp8_e32 v[4:5], v18
	v_cvt_pk_f32_fp8_sdwa v[38:39], v20 src0_sel:WORD_1
	v_bfe_u32 v55, v67, 16, 1
	v_mfma_f32_16x16x16_bf16 v[26:29], v[34:35], v[40:41], v[26:29]
	v_cvt_pk_f32_fp8_e32 v[34:35], v19
	v_perm_b32 v4, v5, v4, s11
	v_perm_b32 v5, v37, v36, s11
	v_cvt_pk_f32_fp8_sdwa v[18:19], v19 src0_sel:WORD_1
	v_perm_b32 v34, v35, v34, s11
	v_cvt_pk_f32_fp8_e32 v[36:37], v20
	v_mfma_f32_16x16x16_bf16 v[26:29], v[4:5], v[30:31], v[26:29]
	v_perm_b32 v35, v19, v18, s11
	v_perm_b32 v4, v37, v36, s11
	;; [unrolled: 1-line block ×3, first 2 shown]
	v_cvt_pk_f32_fp8_e32 v[30:31], v21
	v_cvt_pk_f32_fp8_sdwa v[36:37], v21 src0_sel:WORD_1
	v_mfma_f32_16x16x16_bf16 v[18:21], v[34:35], v[32:33], v[26:29]
	v_bfe_u32 v56, v66, 16, 1
	v_add3_u32 v32, v66, v56, s12
	v_add3_u32 v33, v67, v55, s12
	v_perm_b32 v26, v31, v30, s11
	v_perm_b32 v27, v37, v36, s11
	v_mfma_f32_16x16x16_bf16 v[18:21], v[4:5], v[42:43], v[18:21]
	s_waitcnt vmcnt(1)
	v_cvt_pk_f32_fp8_e32 v[4:5], v10
	v_cvt_pk_f32_fp8_sdwa v[28:29], v10 src0_sel:WORD_1
	v_cvt_pk_f32_fp8_sdwa v[30:31], v12 src0_sel:WORD_1
	v_mfma_f32_16x16x16_bf16 v[18:21], v[26:27], v[44:45], v[18:21]
	v_cvt_pk_f32_fp8_e32 v[26:27], v11
	v_perm_b32 v4, v5, v4, s11
	v_perm_b32 v5, v29, v28, s11
	v_cvt_pk_f32_fp8_sdwa v[10:11], v11 src0_sel:WORD_1
	v_perm_b32 v26, v27, v26, s11
	v_cvt_pk_f32_fp8_e32 v[28:29], v12
	v_mfma_f32_16x16x16_bf16 v[18:21], v[4:5], v[22:23], v[18:21]
	v_perm_b32 v27, v11, v10, s11
	v_perm_b32 v4, v29, v28, s11
	;; [unrolled: 1-line block ×3, first 2 shown]
	v_cvt_pk_f32_fp8_e32 v[22:23], v13
	v_cvt_pk_f32_fp8_sdwa v[28:29], v13 src0_sel:WORD_1
	v_mfma_f32_16x16x16_bf16 v[10:13], v[26:27], v[24:25], v[18:21]
	s_waitcnt vmcnt(0)
	v_cvt_pk_f32_fp8_sdwa v[24:25], v8 src0_sel:WORD_1
	s_nop 0
	v_perm_b32 v20, v23, v22, s11
	v_perm_b32 v21, v29, v28, s11
	v_mfma_f32_16x16x16_bf16 v[10:13], v[4:5], v[46:47], v[10:13]
	v_cvt_pk_f32_fp8_e32 v[4:5], v6
	v_cvt_pk_f32_fp8_sdwa v[22:23], v6 src0_sel:WORD_1
	v_bfe_u32 v19, v3, 16, 1
	v_mfma_f32_16x16x16_bf16 v[10:13], v[20:21], v[48:49], v[10:13]
	v_cvt_pk_f32_fp8_e32 v[20:21], v7
	v_perm_b32 v4, v5, v4, s11
	v_perm_b32 v5, v23, v22, s11
	v_cvt_pk_f32_fp8_sdwa v[6:7], v7 src0_sel:WORD_1
	v_perm_b32 v20, v21, v20, s11
	v_cvt_pk_f32_fp8_e32 v[22:23], v8
	v_add3_u32 v3, v3, v19, s12
	v_perm_b32 v21, v7, v6, s11
	v_mfma_f32_16x16x16_bf16 v[4:7], v[4:5], v[14:15], v[10:13]
	v_bfe_u32 v14, v2, 16, 1
	v_add3_u32 v2, v2, v14, s12
	v_perm_b32 v19, v3, v2, s11
	v_perm_b32 v10, v23, v22, s11
	;; [unrolled: 1-line block ×3, first 2 shown]
	v_cvt_pk_f32_fp8_e32 v[12:13], v9
	v_cvt_pk_f32_fp8_sdwa v[8:9], v9 src0_sel:WORD_1
	v_mfma_f32_16x16x16_bf16 v[4:7], v[20:21], v[16:17], v[4:7]
	v_perm_b32 v18, v33, v32, s11
	v_perm_b32 v12, v13, v12, s11
	;; [unrolled: 1-line block ×3, first 2 shown]
	v_mfma_f32_16x16x16_bf16 v[4:7], v[10:11], v[50:51], v[4:7]
	s_nop 0
	v_mfma_f32_16x16x16_bf16 v[2:5], v[12:13], v[52:53], v[4:7]
	s_nop 6
	v_pk_mul_f32 v[2:3], v[2:3], s[10:11] op_sel_hi:[1,0]
	v_pk_mul_f32 v[4:5], v[4:5], s[10:11] op_sel_hi:[1,0]
	v_bfe_u32 v6, v3, 16, 1
	v_bfe_u32 v7, v2, 16, 1
	v_add3_u32 v2, v2, v7, s12
	v_add3_u32 v3, v3, v6, s12
	v_perm_b32 v2, v3, v2, s11
	v_bfe_u32 v3, v5, 16, 1
	v_bfe_u32 v6, v4, 16, 1
	v_add3_u32 v4, v4, v6, s12
	v_add3_u32 v3, v5, v3, s12
	v_perm_b32 v3, v3, v4, s11
	ds_write2st64_b64 v54, v[18:19], v[2:3] offset1:1
	s_waitcnt lgkmcnt(0)
	s_barrier
	s_and_saveexec_b64 s[10:11], s[6:7]
	s_cbranch_execz .LBB1364_17
; %bb.16:
	s_load_dwordx2 s[0:1], s[0:1], 0x68
	s_mul_i32 s2, s9, s2
	s_lshl_b32 s8, s8, 7
	s_mul_hi_u32 s7, s2, s8
	s_mul_i32 s6, s2, s8
	v_lshlrev_b32_e32 v4, 6, v59
	s_lshl_b64 s[6:7], s[6:7], 1
	v_lshl_or_b32 v0, v0, 10, v4
	s_waitcnt lgkmcnt(0)
	s_add_u32 s6, s0, s6
	v_lshlrev_b32_e32 v2, 5, v58
	v_and_b32_e32 v3, 16, v60
	v_and_b32_e32 v0, 0x1a00, v0
	s_addc_u32 s7, s1, s7
	s_lshl_b32 s2, s5, 7
	v_or3_b32 v0, v0, v2, v3
	s_lshl_b64 s[0:1], s[2:3], 1
	ds_read_b128 v[2:5], v0
	s_add_u32 s2, s6, s0
	s_addc_u32 s3, s7, s1
	s_mul_hi_u32 s1, s8, s4
	s_mul_i32 s0, s8, s4
	s_lshl_b64 s[0:1], s[0:1], 1
	s_add_u32 s0, s2, s0
	s_addc_u32 s1, s3, s1
	s_waitcnt lgkmcnt(0)
	global_store_dwordx4 v1, v[2:5], s[0:1]
.LBB1364_17:
	s_endpgm
	.section	.rodata,"a",@progbits
	.p2align	6, 0x0
	.amdhsa_kernel _Z39paged_attention_ll4mi_QKV_mfma16_kernelI14__hip_bfloat16hLN4vllm18Fp8KVCacheDataTypeE1EhLi32ELi128ELi256ELb0ELi1EEvPKT_PKT0_S8_ifPKiSA_SA_iPKfiiiPfSD_PS3_PT2_iSC_SC_
		.amdhsa_group_segment_fixed_size 8192
		.amdhsa_private_segment_fixed_size 0
		.amdhsa_kernarg_size 400
		.amdhsa_user_sgpr_count 2
		.amdhsa_user_sgpr_dispatch_ptr 0
		.amdhsa_user_sgpr_queue_ptr 0
		.amdhsa_user_sgpr_kernarg_segment_ptr 1
		.amdhsa_user_sgpr_dispatch_id 0
		.amdhsa_user_sgpr_kernarg_preload_length 0
		.amdhsa_user_sgpr_kernarg_preload_offset 0
		.amdhsa_user_sgpr_private_segment_size 0
		.amdhsa_uses_dynamic_stack 0
		.amdhsa_enable_private_segment 0
		.amdhsa_system_sgpr_workgroup_id_x 1
		.amdhsa_system_sgpr_workgroup_id_y 1
		.amdhsa_system_sgpr_workgroup_id_z 1
		.amdhsa_system_sgpr_workgroup_info 0
		.amdhsa_system_vgpr_workitem_id 0
		.amdhsa_next_free_vgpr 80
		.amdhsa_next_free_sgpr 48
		.amdhsa_accum_offset 80
		.amdhsa_reserve_vcc 1
		.amdhsa_float_round_mode_32 0
		.amdhsa_float_round_mode_16_64 0
		.amdhsa_float_denorm_mode_32 3
		.amdhsa_float_denorm_mode_16_64 3
		.amdhsa_dx10_clamp 1
		.amdhsa_ieee_mode 1
		.amdhsa_fp16_overflow 0
		.amdhsa_tg_split 0
		.amdhsa_exception_fp_ieee_invalid_op 0
		.amdhsa_exception_fp_denorm_src 0
		.amdhsa_exception_fp_ieee_div_zero 0
		.amdhsa_exception_fp_ieee_overflow 0
		.amdhsa_exception_fp_ieee_underflow 0
		.amdhsa_exception_fp_ieee_inexact 0
		.amdhsa_exception_int_div_zero 0
	.end_amdhsa_kernel
	.section	.text._Z39paged_attention_ll4mi_QKV_mfma16_kernelI14__hip_bfloat16hLN4vllm18Fp8KVCacheDataTypeE1EhLi32ELi128ELi256ELb0ELi1EEvPKT_PKT0_S8_ifPKiSA_SA_iPKfiiiPfSD_PS3_PT2_iSC_SC_,"axG",@progbits,_Z39paged_attention_ll4mi_QKV_mfma16_kernelI14__hip_bfloat16hLN4vllm18Fp8KVCacheDataTypeE1EhLi32ELi128ELi256ELb0ELi1EEvPKT_PKT0_S8_ifPKiSA_SA_iPKfiiiPfSD_PS3_PT2_iSC_SC_,comdat
.Lfunc_end1364:
	.size	_Z39paged_attention_ll4mi_QKV_mfma16_kernelI14__hip_bfloat16hLN4vllm18Fp8KVCacheDataTypeE1EhLi32ELi128ELi256ELb0ELi1EEvPKT_PKT0_S8_ifPKiSA_SA_iPKfiiiPfSD_PS3_PT2_iSC_SC_, .Lfunc_end1364-_Z39paged_attention_ll4mi_QKV_mfma16_kernelI14__hip_bfloat16hLN4vllm18Fp8KVCacheDataTypeE1EhLi32ELi128ELi256ELb0ELi1EEvPKT_PKT0_S8_ifPKiSA_SA_iPKfiiiPfSD_PS3_PT2_iSC_SC_
                                        ; -- End function
	.section	.AMDGPU.csdata,"",@progbits
; Kernel info:
; codeLenInByte = 6244
; NumSgprs: 54
; NumVgprs: 80
; NumAgprs: 0
; TotalNumVgprs: 80
; ScratchSize: 0
; MemoryBound: 0
; FloatMode: 240
; IeeeMode: 1
; LDSByteSize: 8192 bytes/workgroup (compile time only)
; SGPRBlocks: 6
; VGPRBlocks: 9
; NumSGPRsForWavesPerEU: 54
; NumVGPRsForWavesPerEU: 80
; AccumOffset: 80
; Occupancy: 6
; WaveLimiterHint : 1
; COMPUTE_PGM_RSRC2:SCRATCH_EN: 0
; COMPUTE_PGM_RSRC2:USER_SGPR: 2
; COMPUTE_PGM_RSRC2:TRAP_HANDLER: 0
; COMPUTE_PGM_RSRC2:TGID_X_EN: 1
; COMPUTE_PGM_RSRC2:TGID_Y_EN: 1
; COMPUTE_PGM_RSRC2:TGID_Z_EN: 1
; COMPUTE_PGM_RSRC2:TIDIG_COMP_CNT: 0
; COMPUTE_PGM_RSRC3_GFX90A:ACCUM_OFFSET: 19
; COMPUTE_PGM_RSRC3_GFX90A:TG_SPLIT: 0
	.section	.text._Z39paged_attention_ll4mi_QKV_mfma16_kernelI14__hip_bfloat16hLN4vllm18Fp8KVCacheDataTypeE1EhLi32ELi128ELi256ELb0ELi2EEvPKT_PKT0_S8_ifPKiSA_SA_iPKfiiiPfSD_PS3_PT2_iSC_SC_,"axG",@progbits,_Z39paged_attention_ll4mi_QKV_mfma16_kernelI14__hip_bfloat16hLN4vllm18Fp8KVCacheDataTypeE1EhLi32ELi128ELi256ELb0ELi2EEvPKT_PKT0_S8_ifPKiSA_SA_iPKfiiiPfSD_PS3_PT2_iSC_SC_,comdat
	.protected	_Z39paged_attention_ll4mi_QKV_mfma16_kernelI14__hip_bfloat16hLN4vllm18Fp8KVCacheDataTypeE1EhLi32ELi128ELi256ELb0ELi2EEvPKT_PKT0_S8_ifPKiSA_SA_iPKfiiiPfSD_PS3_PT2_iSC_SC_ ; -- Begin function _Z39paged_attention_ll4mi_QKV_mfma16_kernelI14__hip_bfloat16hLN4vllm18Fp8KVCacheDataTypeE1EhLi32ELi128ELi256ELb0ELi2EEvPKT_PKT0_S8_ifPKiSA_SA_iPKfiiiPfSD_PS3_PT2_iSC_SC_
	.globl	_Z39paged_attention_ll4mi_QKV_mfma16_kernelI14__hip_bfloat16hLN4vllm18Fp8KVCacheDataTypeE1EhLi32ELi128ELi256ELb0ELi2EEvPKT_PKT0_S8_ifPKiSA_SA_iPKfiiiPfSD_PS3_PT2_iSC_SC_
	.p2align	8
	.type	_Z39paged_attention_ll4mi_QKV_mfma16_kernelI14__hip_bfloat16hLN4vllm18Fp8KVCacheDataTypeE1EhLi32ELi128ELi256ELb0ELi2EEvPKT_PKT0_S8_ifPKiSA_SA_iPKfiiiPfSD_PS3_PT2_iSC_SC_,@function
_Z39paged_attention_ll4mi_QKV_mfma16_kernelI14__hip_bfloat16hLN4vllm18Fp8KVCacheDataTypeE1EhLi32ELi128ELi256ELb0ELi2EEvPKT_PKT0_S8_ifPKiSA_SA_iPKfiiiPfSD_PS3_PT2_iSC_SC_: ; @_Z39paged_attention_ll4mi_QKV_mfma16_kernelI14__hip_bfloat16hLN4vllm18Fp8KVCacheDataTypeE1EhLi32ELi128ELi256ELb0ELi2EEvPKT_PKT0_S8_ifPKiSA_SA_iPKfiiiPfSD_PS3_PT2_iSC_SC_
; %bb.0:
	s_load_dwordx2 s[12:13], s[0:1], 0x30
	s_mov_b32 s22, s3
	s_mov_b64 s[6:7], 0
	s_waitcnt lgkmcnt(0)
	s_cmp_lg_u64 s[12:13], 0
	s_cselect_b64 s[14:15], -1, 0
	s_and_b64 vcc, exec, s[14:15]
	s_cbranch_vccz .LBB1365_7
; %bb.1:
	s_add_i32 s8, s2, 1
	s_mov_b32 s9, 0
	s_lshl_b64 s[10:11], s[8:9], 2
	s_add_u32 s10, s12, s10
	s_mov_b32 s3, s9
	s_addc_u32 s11, s13, s11
	s_lshl_b64 s[8:9], s[2:3], 2
	s_add_u32 s8, s12, s8
	s_addc_u32 s9, s13, s9
	s_load_dword s5, s[10:11], 0x0
	s_load_dword s16, s[8:9], 0x0
	s_waitcnt lgkmcnt(0)
	s_sub_i32 s5, s5, s16
	s_cmp_eq_u32 s5, 1
	s_cselect_b64 s[8:9], -1, 0
	s_andn2_b64 vcc, exec, s[6:7]
	s_cbranch_vccnz .LBB1365_3
.LBB1365_2:
	s_mov_b32 s3, 0
	s_mov_b64 s[8:9], -1
.LBB1365_3:
	s_andn2_b64 vcc, exec, s[8:9]
	s_cbranch_vccnz .LBB1365_17
; %bb.4:
	s_load_dwordx2 s[6:7], s[0:1], 0x28
	s_lshl_b64 s[16:17], s[2:3], 2
	s_waitcnt lgkmcnt(0)
	s_add_u32 s6, s6, s16
	s_addc_u32 s7, s7, s17
	s_load_dword s38, s[6:7], 0x0
	s_lshl_b32 s18, s22, 8
	s_waitcnt lgkmcnt(0)
	s_cmp_ge_i32 s18, s38
	s_cbranch_scc1 .LBB1365_17
; %bb.5:
	s_load_dwordx2 s[6:7], s[0:1], 0x20
	s_load_dword s8, s[0:1], 0x38
	s_add_i32 s5, s38, 31
	s_ashr_i32 s9, s5, 31
	v_and_b32_e32 v1, 0xcf, v0
	s_lshr_b32 s9, s9, 27
	v_add_u32_e32 v1, s18, v1
	s_add_i32 s5, s5, s9
	v_ashrrev_i32_e32 v2, 31, v1
	s_ashr_i32 s5, s5, 5
	v_lshrrev_b32_e32 v10, 27, v2
	s_add_i32 s5, s5, -1
	s_waitcnt lgkmcnt(0)
	s_mul_i32 s8, s2, s8
	s_mov_b32 s9, 0
	v_add_u32_e32 v2, v1, v10
	s_lshl_b64 s[8:9], s[8:9], 2
	v_ashrrev_i32_e32 v2, 5, v2
	v_mov_b32_e32 v11, s5
	v_cmp_gt_i32_e32 vcc, s38, v1
	s_add_u32 s6, s6, s8
	s_addc_u32 s7, s7, s9
	v_cndmask_b32_e32 v2, v11, v2, vcc
	v_ashrrev_i32_e32 v3, 31, v2
	v_lshl_add_u64 v[4:5], v[2:3], 2, s[6:7]
	v_or_b32_e32 v2, 16, v1
	v_add_u32_e32 v3, v2, v10
	v_ashrrev_i32_e32 v3, 5, v3
	v_cmp_gt_i32_e32 vcc, s38, v2
	s_load_dwordx4 s[8:11], s[0:1], 0x8
	s_nop 0
	v_cndmask_b32_e32 v2, v11, v3, vcc
	v_ashrrev_i32_e32 v3, 31, v2
	v_lshl_add_u64 v[6:7], v[2:3], 2, s[6:7]
	v_or_b32_e32 v2, 32, v1
	v_add_u32_e32 v3, v2, v10
	v_ashrrev_i32_e32 v3, 5, v3
	v_cmp_gt_i32_e32 vcc, s38, v2
	v_or_b32_e32 v1, 48, v1
	s_nop 0
	v_cndmask_b32_e32 v2, v11, v3, vcc
	v_ashrrev_i32_e32 v3, 31, v2
	v_lshl_add_u64 v[8:9], v[2:3], 2, s[6:7]
	v_add_u32_e32 v2, v1, v10
	v_ashrrev_i32_e32 v2, 5, v2
	v_cmp_gt_i32_e32 vcc, s38, v1
	s_nop 1
	v_cndmask_b32_e32 v2, v11, v2, vcc
	v_ashrrev_i32_e32 v3, 31, v2
	v_lshl_add_u64 v[10:11], v[2:3], 2, s[6:7]
	global_load_dword v2, v[4:5], off
	global_load_dword v32, v[6:7], off
	;; [unrolled: 1-line block ×4, first 2 shown]
	s_andn2_b64 vcc, exec, s[14:15]
	s_cbranch_vccnz .LBB1365_8
; %bb.6:
	s_add_u32 s12, s12, s16
	s_addc_u32 s13, s13, s17
	s_load_dword s14, s[12:13], 0x0
	s_branch .LBB1365_9
.LBB1365_7:
	s_mov_b64 s[8:9], 0
	s_branch .LBB1365_2
.LBB1365_8:
	s_mov_b32 s14, s2
.LBB1365_9:
	s_load_dwordx4 s[44:47], s[0:1], 0x48
	v_lshrrev_b32_e32 v63, 6, v0
	v_bfe_u32 v1, v0, 4, 2
	v_and_b32_e32 v60, 15, v0
	v_lshl_or_b32 v3, v63, 2, v1
	v_lshlrev_b32_e32 v4, 3, v60
	v_and_b32_e32 v62, 63, v0
	s_lshl_b32 s23, s4, 1
	v_cmp_gt_u32_e32 vcc, 2, v3
	v_lshlrev_b32_e32 v54, 1, v4
	v_lshlrev_b32_e32 v61, 4, v0
	s_and_saveexec_b64 s[12:13], vcc
	s_cbranch_execz .LBB1365_11
; %bb.10:
	s_load_dwordx2 s[16:17], s[0:1], 0x0
	s_waitcnt lgkmcnt(0)
	s_ashr_i32 s15, s44, 31
	s_mul_hi_u32 s19, s14, s44
	s_mul_i32 s15, s14, s15
	s_add_i32 s15, s19, s15
	s_mul_i32 s14, s14, s44
	s_lshl_b64 s[14:15], s[14:15], 1
	s_add_u32 s14, s16, s14
	v_add_lshl_u32 v4, v1, s23, 7
	s_addc_u32 s15, s17, s15
	v_ashrrev_i32_e32 v5, 31, v4
	v_lshl_add_u64 v[4:5], v[4:5], 1, s[14:15]
	v_mov_b32_e32 v55, 0
	v_lshl_add_u64 v[4:5], v[4:5], 0, v[54:55]
	global_load_dwordx4 v[4:7], v[4:5], off
	v_lshlrev_b32_e32 v9, 8, v0
	v_lshlrev_b32_e32 v8, 8, v60
	v_and_b32_e32 v9, 0x600, v9
	s_movk_i32 s14, 0x800
	v_and_or_b32 v8, v8, s14, v9
	v_lshlrev_b32_e32 v3, 5, v3
	v_and_b32_e32 v9, 16, v61
	v_or3_b32 v3, v8, v3, v9
	s_waitcnt vmcnt(0)
	ds_write_b128 v3, v[4:7]
.LBB1365_11:
	s_or_b64 exec, exec, s[12:13]
	s_waitcnt lgkmcnt(0)
	s_mul_i32 s4, s4, s46
	s_add_u32 s8, s8, s4
	s_addc_u32 s9, s9, 0
	v_mov_b32_e32 v57, 0
	v_mov_b64_e32 v[24:25], s[8:9]
	v_and_b32_e32 v6, 48, v0
	s_waitcnt vmcnt(3)
	v_mad_i64_i32 v[2:3], s[8:9], v2, s45, v[24:25]
	v_lshlrev_b32_e32 v22, 4, v60
	v_mov_b32_e32 v23, v57
	v_lshlrev_b32_e32 v56, 5, v6
	v_lshl_add_u64 v[2:3], v[2:3], 0, v[22:23]
	v_lshl_add_u64 v[2:3], v[2:3], 0, v[56:57]
	s_load_dword s33, s[0:1], 0x98
	s_load_dwordx4 s[40:43], s[0:1], 0x80
	s_waitcnt lgkmcnt(0)
	s_barrier
	global_load_dwordx4 v[10:13], v[2:3], off
	v_and_b32_e32 v7, 1, v0
	global_load_dwordx4 v[2:5], v[2:3], off offset:2048
	v_or_b32_e32 v34, 0x100, v22
	v_mov_b32_e32 v35, v57
	s_waitcnt vmcnt(4)
	v_mad_i64_i32 v[32:33], s[12:13], v32, s45, v[24:25]
	v_lshlrev_b32_e32 v7, 5, v7
	s_waitcnt vmcnt(3)
	v_mad_i64_i32 v[36:37], s[12:13], v30, s45, v[24:25]
	s_waitcnt vmcnt(2)
	v_mad_i64_i32 v[24:25], s[12:13], v31, s45, v[24:25]
	v_lshl_add_u64 v[30:31], v[32:33], 0, v[34:35]
	v_or_b32_e32 v39, s18, v6
	v_lshl_or_b32 v6, v1, 9, v7
	v_lshl_add_u64 v[30:31], v[30:31], 0, v[56:57]
	ds_read_b128 v[26:29], v6
	ds_read_b128 v[18:21], v6 offset:16
	ds_read_b128 v[14:17], v6 offset:2048
	ds_read_b128 v[6:9], v6 offset:2064
	global_load_dwordx4 v[50:53], v[30:31], off
	v_mov_b32_e32 v38, s5
	s_ashr_i32 s5, s18, 31
	s_lshr_b32 s5, s5, 27
	v_or_b32_e32 v40, 64, v39
	v_add_u32_e32 v32, s5, v39
	v_or_b32_e32 v41, 0x80, v39
	v_add_u32_e32 v33, s5, v40
	v_ashrrev_i32_e32 v32, 5, v32
	v_cmp_gt_i32_e32 vcc, s38, v39
	v_or_b32_e32 v42, 0xc0, v39
	v_add_u32_e32 v43, s5, v41
	v_ashrrev_i32_e32 v33, 5, v33
	v_cndmask_b32_e32 v46, v38, v32, vcc
	v_cmp_gt_i32_e32 vcc, s38, v40
	v_add_u32_e32 v44, s5, v42
	v_lshl_add_u64 v[22:23], v[36:37], 0, v[22:23]
	v_lshl_add_u64 v[24:25], v[24:25], 0, v[34:35]
	v_ashrrev_i32_e32 v43, 5, v43
	v_cndmask_b32_e32 v48, v38, v33, vcc
	v_cmp_gt_i32_e32 vcc, s38, v41
	v_ashrrev_i32_e32 v44, 5, v44
	v_lshl_add_u64 v[34:35], v[22:23], 0, v[56:57]
	v_lshl_add_u64 v[36:37], v[24:25], 0, v[56:57]
	v_cndmask_b32_e32 v58, v38, v43, vcc
	v_cmp_gt_i32_e32 vcc, s38, v42
	v_ashrrev_i32_e32 v47, 31, v46
	v_ashrrev_i32_e32 v49, 31, v48
	v_cndmask_b32_e32 v64, v38, v44, vcc
	global_load_dwordx4 v[30:33], v[30:31], off offset:2048
	s_nop 0
	global_load_dwordx4 v[22:25], v[34:35], off
	global_load_dwordx4 v[42:45], v[34:35], off offset:2048
	global_load_dwordx4 v[38:41], v[36:37], off
	s_nop 0
	global_load_dwordx4 v[34:37], v[36:37], off offset:2048
	v_ashrrev_i32_e32 v59, 31, v58
	v_ashrrev_i32_e32 v65, 31, v64
	v_lshl_add_u64 v[46:47], v[46:47], 2, s[6:7]
	v_lshl_add_u64 v[48:49], v[48:49], 2, s[6:7]
	;; [unrolled: 1-line block ×4, first 2 shown]
	global_load_dword v67, v[46:47], off
	global_load_dword v66, v[48:49], off
	;; [unrolled: 1-line block ×4, first 2 shown]
	s_mov_b32 s44, 0x7060302
	s_add_u32 s4, s10, s4
	s_addc_u32 s5, s11, 0
	v_and_b32_e32 v56, 16, v0
	v_lshl_or_b32 v55, v63, 4, v60
	s_load_dword s8, s[0:1], 0x1c
	s_waitcnt vmcnt(11)
	v_cvt_pk_f32_fp8_e32 v[46:47], v10
	v_cvt_pk_f32_fp8_sdwa v[48:49], v10 src0_sel:WORD_1
	v_cvt_pk_f32_fp8_e32 v[58:59], v11
	v_cvt_pk_f32_fp8_sdwa v[10:11], v11 src0_sel:WORD_1
	v_perm_b32 v46, v47, v46, s44
	v_perm_b32 v47, v49, v48, s44
	v_cvt_pk_f32_fp8_e32 v[68:69], v12
	v_cvt_pk_f32_fp8_sdwa v[70:71], v12 src0_sel:WORD_1
	v_perm_b32 v58, v59, v58, s44
	v_perm_b32 v59, v11, v10, s44
	s_waitcnt lgkmcnt(0)
	v_mfma_f32_16x16x16_bf16 v[46:49], v[46:47], v[26:27], 0
	v_cvt_pk_f32_fp8_e32 v[72:73], v13
	v_cvt_pk_f32_fp8_sdwa v[74:75], v13 src0_sel:WORD_1
	v_perm_b32 v68, v69, v68, s44
	v_perm_b32 v69, v71, v70, s44
	v_mfma_f32_16x16x16_bf16 v[10:13], v[58:59], v[28:29], v[46:49]
	s_waitcnt vmcnt(10)
	v_cvt_pk_f32_fp8_sdwa v[58:59], v2 src0_sel:WORD_1
	s_waitcnt vmcnt(6)
	v_cvt_pk_f32_fp8_sdwa v[78:79], v44 src0_sel:WORD_1
	v_cvt_pk_f32_fp8_e32 v[46:47], v2
	v_perm_b32 v48, v73, v72, s44
	v_perm_b32 v49, v75, v74, s44
	v_mfma_f32_16x16x16_bf16 v[10:13], v[68:69], v[18:19], v[10:13]
	v_cvt_pk_f32_fp8_e32 v[68:69], v3
	v_perm_b32 v46, v47, v46, s44
	v_perm_b32 v47, v59, v58, s44
	v_cvt_pk_f32_fp8_sdwa v[2:3], v3 src0_sel:WORD_1
	v_mfma_f32_16x16x16_bf16 v[10:13], v[48:49], v[20:21], v[10:13]
	v_perm_b32 v48, v69, v68, s44
	v_cvt_pk_f32_fp8_e32 v[58:59], v4
	v_cvt_pk_f32_fp8_sdwa v[68:69], v4 src0_sel:WORD_1
	v_perm_b32 v49, v3, v2, s44
	v_mfma_f32_16x16x16_bf16 v[10:13], v[46:47], v[14:15], v[10:13]
	v_perm_b32 v46, v59, v58, s44
	v_perm_b32 v47, v69, v68, s44
	v_cvt_pk_f32_fp8_e32 v[58:59], v5
	v_cvt_pk_f32_fp8_sdwa v[68:69], v5 src0_sel:WORD_1
	v_mfma_f32_16x16x16_bf16 v[2:5], v[48:49], v[16:17], v[10:13]
	v_cvt_pk_f32_fp8_e32 v[72:73], v25
	v_cvt_pk_f32_fp8_sdwa v[74:75], v25 src0_sel:WORD_1
	s_nop 0
	v_perm_b32 v10, v59, v58, s44
	v_perm_b32 v11, v69, v68, s44
	v_mfma_f32_16x16x16_bf16 v[2:5], v[46:47], v[6:7], v[2:5]
	v_cvt_pk_f32_fp8_e32 v[12:13], v50
	v_cvt_pk_f32_fp8_sdwa v[58:59], v50 src0_sel:WORD_1
	v_mfma_f32_16x16x16_bf16 v[46:49], v[10:11], v[8:9], v[2:5]
	v_cvt_pk_f32_fp8_sdwa v[10:11], v51 src0_sel:WORD_1
	s_nop 2
	v_cvt_pk_f32_fp8_e32 v[2:3], v51
	v_perm_b32 v4, v13, v12, s44
	v_perm_b32 v5, v59, v58, s44
	v_cvt_pk_f32_fp8_e32 v[50:51], v52
	v_perm_b32 v12, v3, v2, s44
	v_cvt_pk_f32_fp8_sdwa v[58:59], v52 src0_sel:WORD_1
	v_perm_b32 v13, v11, v10, s44
	v_mfma_f32_16x16x16_bf16 v[2:5], v[4:5], v[26:27], 0
	v_perm_b32 v10, v51, v50, s44
	v_perm_b32 v11, v59, v58, s44
	v_cvt_pk_f32_fp8_e32 v[50:51], v53
	v_cvt_pk_f32_fp8_sdwa v[52:53], v53 src0_sel:WORD_1
	v_mfma_f32_16x16x16_bf16 v[2:5], v[12:13], v[28:29], v[2:5]
	v_lshl_add_u64 v[58:59], s[4:5], 0, v[56:57]
	v_perm_b32 v12, v51, v50, s44
	v_perm_b32 v13, v53, v52, s44
	v_mfma_f32_16x16x16_bf16 v[2:5], v[10:11], v[18:19], v[2:5]
	v_cvt_pk_f32_fp8_e32 v[10:11], v30
	v_cvt_pk_f32_fp8_sdwa v[50:51], v30 src0_sel:WORD_1
	v_cvt_pk_f32_fp8_sdwa v[52:53], v32 src0_sel:WORD_1
	v_mfma_f32_16x16x16_bf16 v[2:5], v[12:13], v[20:21], v[2:5]
	v_cvt_pk_f32_fp8_e32 v[12:13], v31
	v_perm_b32 v10, v11, v10, s44
	v_perm_b32 v11, v51, v50, s44
	v_cvt_pk_f32_fp8_sdwa v[30:31], v31 src0_sel:WORD_1
	v_perm_b32 v12, v13, v12, s44
	v_cvt_pk_f32_fp8_e32 v[50:51], v32
	v_mfma_f32_16x16x16_bf16 v[2:5], v[10:11], v[14:15], v[2:5]
	v_perm_b32 v13, v31, v30, s44
	v_perm_b32 v10, v51, v50, s44
	;; [unrolled: 1-line block ×3, first 2 shown]
	v_cvt_pk_f32_fp8_e32 v[30:31], v33
	v_cvt_pk_f32_fp8_sdwa v[32:33], v33 src0_sel:WORD_1
	v_mfma_f32_16x16x16_bf16 v[2:5], v[12:13], v[16:17], v[2:5]
	v_lshlrev_b32_e32 v56, 5, v55
	v_perm_b32 v12, v31, v30, s44
	v_perm_b32 v13, v33, v32, s44
	v_mfma_f32_16x16x16_bf16 v[2:5], v[10:11], v[6:7], v[2:5]
	v_cvt_pk_f32_fp8_e32 v[10:11], v22
	v_cvt_pk_f32_fp8_sdwa v[30:31], v22 src0_sel:WORD_1
	v_lshl_add_u64 v[68:69], v[58:59], 0, v[56:57]
	v_mfma_f32_16x16x16_bf16 v[50:53], v[12:13], v[8:9], v[2:5]
	s_waitcnt vmcnt(3)
	v_mad_i64_i32 v[12:13], s[4:5], v67, s45, v[68:69]
	s_waitcnt vmcnt(2)
	v_mad_i64_i32 v[70:71], s[4:5], v66, s45, v[68:69]
	v_perm_b32 v2, v11, v10, s44
	v_perm_b32 v3, v31, v30, s44
	v_cvt_pk_f32_fp8_e32 v[4:5], v23
	v_cvt_pk_f32_fp8_sdwa v[10:11], v23 src0_sel:WORD_1
	v_cvt_pk_f32_fp8_sdwa v[30:31], v24 src0_sel:WORD_1
	v_or_b32_e32 v56, 0x800, v56
	v_perm_b32 v22, v5, v4, s44
	v_perm_b32 v23, v11, v10, s44
	v_cvt_pk_f32_fp8_e32 v[10:11], v24
	v_mfma_f32_16x16x16_bf16 v[2:5], v[2:3], v[26:27], 0
	v_perm_b32 v10, v11, v10, s44
	v_perm_b32 v11, v31, v30, s44
	v_mfma_f32_16x16x16_bf16 v[2:5], v[22:23], v[28:29], v[2:5]
	global_load_dwordx4 v[30:33], v[12:13], off
	global_load_dwordx4 v[22:25], v[70:71], off
	v_perm_b32 v12, v73, v72, s44
	v_perm_b32 v13, v75, v74, s44
	v_mfma_f32_16x16x16_bf16 v[2:5], v[10:11], v[18:19], v[2:5]
	v_cvt_pk_f32_fp8_e32 v[10:11], v42
	v_cvt_pk_f32_fp8_sdwa v[70:71], v42 src0_sel:WORD_1
	s_waitcnt vmcnt(3)
	v_mad_i64_i32 v[72:73], s[4:5], v64, s45, v[68:69]
	v_mfma_f32_16x16x16_bf16 v[2:5], v[12:13], v[20:21], v[2:5]
	v_perm_b32 v10, v11, v10, s44
	v_perm_b32 v11, v71, v70, s44
	v_cvt_pk_f32_fp8_e32 v[12:13], v43
	v_cvt_pk_f32_fp8_sdwa v[42:43], v43 src0_sel:WORD_1
	s_waitcnt vmcnt(2)
	v_mad_i64_i32 v[74:75], s[4:5], v65, s45, v[68:69]
	v_perm_b32 v76, v13, v12, s44
	v_perm_b32 v77, v43, v42, s44
	v_cvt_pk_f32_fp8_e32 v[42:43], v44
	v_mfma_f32_16x16x16_bf16 v[68:71], v[10:11], v[14:15], v[2:5]
	global_load_dwordx4 v[10:13], v[72:73], off
	s_nop 1
	global_load_dwordx4 v[2:5], v[74:75], off
	v_perm_b32 v73, v79, v78, s44
	v_perm_b32 v72, v43, v42, s44
	v_cvt_pk_f32_fp8_e32 v[74:75], v45
	v_cvt_pk_f32_fp8_sdwa v[44:45], v45 src0_sel:WORD_1
	v_mfma_f32_16x16x16_bf16 v[68:71], v[76:77], v[16:17], v[68:71]
	v_lshl_add_u64 v[42:43], v[58:59], 0, v[56:57]
	v_perm_b32 v74, v75, v74, s44
	v_perm_b32 v75, v45, v44, s44
	v_mfma_f32_16x16x16_bf16 v[56:59], v[72:73], v[6:7], v[68:71]
	v_cvt_pk_f32_fp8_e32 v[44:45], v38
	v_cvt_pk_f32_fp8_sdwa v[72:73], v38 src0_sel:WORD_1
	v_cvt_pk_f32_fp8_sdwa v[76:77], v40 src0_sel:WORD_1
	v_mfma_f32_16x16x16_bf16 v[68:71], v[74:75], v[8:9], v[56:59]
	v_perm_b32 v44, v45, v44, s44
	v_perm_b32 v45, v73, v72, s44
	v_cvt_pk_f32_fp8_e32 v[74:75], v40
	v_cvt_pk_f32_fp8_e32 v[56:57], v39
	v_cvt_pk_f32_fp8_sdwa v[38:39], v39 src0_sel:WORD_1
	s_load_dword s4, s[40:41], 0x0
	s_mov_b32 s40, 0xff7fffff
	v_perm_b32 v72, v57, v56, s44
	v_perm_b32 v73, v39, v38, s44
	v_mfma_f32_16x16x16_bf16 v[56:59], v[44:45], v[26:27], 0
	v_perm_b32 v38, v75, v74, s44
	v_perm_b32 v39, v77, v76, s44
	v_cvt_pk_f32_fp8_e32 v[44:45], v41
	v_cvt_pk_f32_fp8_sdwa v[40:41], v41 src0_sel:WORD_1
	v_mfma_f32_16x16x16_bf16 v[26:29], v[72:73], v[28:29], v[56:59]
	v_perm_b32 v44, v45, v44, s44
	v_perm_b32 v45, v41, v40, s44
	v_mfma_f32_16x16x16_bf16 v[26:29], v[38:39], v[18:19], v[26:29]
	v_cvt_pk_f32_fp8_e32 v[40:41], v35
	v_mov_b32_e32 v56, s8
	s_waitcnt lgkmcnt(0)
	v_mul_f32_e32 v58, s4, v56
	v_mfma_f32_16x16x16_bf16 v[18:21], v[44:45], v[20:21], v[26:29]
	v_pk_mul_f32 v[56:57], v[58:59], v[46:47] op_sel_hi:[0,1]
	v_pk_mul_f32 v[38:39], v[58:59], v[48:49] op_sel_hi:[0,1]
	;; [unrolled: 1-line block ×3, first 2 shown]
	v_cvt_pk_f32_fp8_e32 v[26:27], v34
	v_cvt_pk_f32_fp8_sdwa v[28:29], v34 src0_sel:WORD_1
	v_cvt_pk_f32_fp8_sdwa v[34:35], v35 src0_sel:WORD_1
	v_pk_mul_f32 v[48:49], v[58:59], v[52:53] op_sel_hi:[0,1]
	v_perm_b32 v26, v27, v26, s44
	v_perm_b32 v27, v29, v28, s44
	;; [unrolled: 1-line block ×4, first 2 shown]
	v_cvt_pk_f32_fp8_e32 v[34:35], v36
	v_cvt_pk_f32_fp8_sdwa v[40:41], v36 src0_sel:WORD_1
	v_mfma_f32_16x16x16_bf16 v[18:21], v[26:27], v[14:15], v[18:21]
	v_pk_mul_f32 v[46:47], v[58:59], v[70:71] op_sel_hi:[0,1]
	v_perm_b32 v26, v35, v34, s44
	v_perm_b32 v27, v41, v40, s44
	v_cvt_pk_f32_fp8_e32 v[34:35], v37
	v_cvt_pk_f32_fp8_sdwa v[36:37], v37 src0_sel:WORD_1
	v_mfma_f32_16x16x16_bf16 v[14:17], v[28:29], v[16:17], v[18:21]
	v_pk_mul_f32 v[40:41], v[58:59], v[68:69] op_sel_hi:[0,1]
	v_mad_i64_i32 v[72:73], s[4:5], v67, s45, v[42:43]
	s_nop 0
	v_perm_b32 v18, v35, v34, s44
	v_perm_b32 v19, v37, v36, s44
	v_mfma_f32_16x16x16_bf16 v[14:17], v[26:27], v[6:7], v[14:17]
	s_nop 0
	v_mfma_f32_16x16x16_bf16 v[6:9], v[18:19], v[8:9], v[14:17]
	s_nop 6
	v_pk_mul_f32 v[44:45], v[58:59], v[6:7] op_sel_hi:[0,1]
	v_and_b32_e32 v6, 0xc0, v0
	v_add_u32_e32 v6, s18, v6
	v_lshl_or_b32 v6, v1, 2, v6
	v_pk_mul_f32 v[34:35], v[58:59], v[8:9] op_sel_hi:[0,1]
	v_or_b32_e32 v9, 1, v6
	v_mov_b32_e32 v7, 0xff7fffff
	v_cmp_gt_i32_e64 s[24:25], s38, v6
	v_cmp_gt_i32_e64 s[26:27], s38, v9
	v_or_b32_e32 v14, 3, v6
	v_cndmask_b32_e64 v8, v7, v56, s[24:25]
	v_cndmask_b32_e64 v9, v7, v57, s[26:27]
	v_max3_f32 v8, v8, s40, v9
	v_or_b32_e32 v9, 2, v6
	v_cmp_gt_i32_e64 s[28:29], s38, v9
	v_cmp_gt_i32_e64 s[30:31], s38, v14
	s_nop 0
	v_cndmask_b32_e64 v9, v7, v38, s[28:29]
	v_cndmask_b32_e64 v14, v7, v39, s[30:31]
	v_max3_f32 v8, v8, v9, v14
	v_or_b32_e32 v9, 16, v6
	v_or_b32_e32 v14, 17, v6
	v_cmp_gt_i32_e64 s[34:35], s38, v9
	v_cmp_gt_i32_e64 s[36:37], s38, v14
	s_nop 0
	v_cndmask_b32_e64 v9, v7, v50, s[34:35]
	v_cndmask_b32_e64 v14, v7, v51, s[36:37]
	v_max3_f32 v8, v8, v9, v14
	v_or_b32_e32 v9, 18, v6
	;; [unrolled: 8-line block ×6, first 2 shown]
	v_or_b32_e32 v6, 51, v6
	v_cmp_gt_i32_e32 vcc, s38, v9
	v_cmp_gt_i32_e64 s[4:5], s38, v6
	s_nop 0
	v_cndmask_b32_e32 v9, v7, v34, vcc
	v_cndmask_b32_e64 v6, v7, v35, s[4:5]
	v_max3_f32 v8, v8, v9, v6
	v_mbcnt_lo_u32_b32 v6, -1, 0
	v_mbcnt_hi_u32_b32 v9, -1, v6
	v_and_b32_e32 v6, 64, v9
	v_add_u32_e32 v14, 64, v6
	v_xor_b32_e32 v6, 32, v9
	v_cmp_lt_i32_e64 s[38:39], v6, v14
	s_nop 1
	v_cndmask_b32_e64 v6, v9, v6, s[38:39]
	v_lshlrev_b32_e32 v53, 2, v6
	ds_bpermute_b32 v15, v53, v8
	v_mad_i64_i32 v[6:7], s[38:39], v66, s45, v[42:43]
	global_load_dwordx4 v[26:29], v[72:73], off
	global_load_dwordx4 v[18:21], v[6:7], off
	s_waitcnt lgkmcnt(0)
	v_max_f32_e32 v6, v15, v15
	v_max_f32_e32 v15, v8, v6
	v_xor_b32_e32 v6, 16, v9
	v_cmp_lt_i32_e64 s[38:39], v6, v14
	s_nop 1
	v_cndmask_b32_e64 v6, v9, v6, s[38:39]
	v_lshlrev_b32_e32 v58, 2, v6
	ds_bpermute_b32 v14, v58, v15
	v_mad_i64_i32 v[6:7], s[38:39], v64, s45, v[42:43]
	v_mad_i64_i32 v[8:9], s[38:39], v65, s45, v[42:43]
	s_waitcnt lgkmcnt(0)
	v_max_f32_e32 v14, v14, v14
	v_max_f32_e32 v52, v15, v14
	v_sub_f32_e32 v14, v56, v52
	v_mul_f32_e32 v14, 0x3fb8aa3b, v14
	v_exp_f32_e32 v36, v14
	v_sub_f32_e32 v14, v57, v52
	v_mul_f32_e32 v14, 0x3fb8aa3b, v14
	v_exp_f32_e32 v37, v14
	global_load_dwordx4 v[14:17], v[6:7], off
	s_nop 0
	global_load_dwordx4 v[6:9], v[8:9], off
	v_sub_f32_e32 v38, v38, v52
	v_mul_f32_e32 v38, 0x3fb8aa3b, v38
	v_sub_f32_e32 v39, v39, v52
	v_exp_f32_e32 v38, v38
	v_mul_f32_e32 v39, 0x3fb8aa3b, v39
	v_exp_f32_e32 v39, v39
	v_cndmask_b32_e64 v36, 0, v36, s[24:25]
	v_add_f32_e32 v42, 0, v36
	v_cndmask_b32_e64 v37, 0, v37, s[26:27]
	v_add_f32_e32 v43, v42, v37
	v_cndmask_b32_e64 v42, 0, v38, s[28:29]
	v_add_f32_e32 v38, v43, v42
	v_cndmask_b32_e64 v43, 0, v39, s[30:31]
	v_sub_f32_e32 v39, v50, v52
	v_mul_f32_e32 v39, 0x3fb8aa3b, v39
	v_sub_f32_e32 v50, v51, v52
	v_exp_f32_e32 v39, v39
	v_mul_f32_e32 v50, 0x3fb8aa3b, v50
	v_sub_f32_e32 v48, v48, v52
	v_exp_f32_e32 v50, v50
	;; [unrolled: 3-line block ×4, first 2 shown]
	v_mul_f32_e32 v40, 0x3fb8aa3b, v40
	v_sub_f32_e32 v41, v41, v52
	v_add_f32_e32 v51, v38, v43
	v_cndmask_b32_e64 v38, 0, v39, s[34:35]
	v_exp_f32_e32 v40, v40
	v_mul_f32_e32 v41, 0x3fb8aa3b, v41
	v_sub_f32_e32 v46, v46, v52
	v_add_f32_e32 v51, v51, v38
	v_cndmask_b32_e64 v39, 0, v50, s[36:37]
	v_exp_f32_e32 v41, v41
	;; [unrolled: 5-line block ×7, first 2 shown]
	v_mul_f32_e32 v35, 0x3fb8aa3b, v35
	v_add_f32_e32 v50, v50, v46
	v_cndmask_b32_e64 v47, 0, v47, s[12:13]
	v_exp_f32_e32 v35, v35
	v_add_f32_e32 v50, v50, v47
	v_cndmask_b32_e64 v44, 0, v44, s[6:7]
	v_add_f32_e32 v50, v50, v44
	v_cndmask_b32_e64 v45, 0, v45, s[8:9]
	v_add_f32_e32 v50, v50, v45
	v_cndmask_b32_e32 v34, 0, v34, vcc
	v_add_f32_e32 v50, v50, v34
	v_cndmask_b32_e64 v35, 0, v35, s[4:5]
	v_add_f32_e32 v50, v50, v35
	ds_bpermute_b32 v51, v53, v50
	v_cmp_gt_u32_e32 vcc, 16, v62
	s_waitcnt lgkmcnt(0)
	s_barrier
	v_add_f32_e32 v50, v50, v51
	ds_bpermute_b32 v51, v58, v50
	s_and_saveexec_b64 s[4:5], vcc
	s_cbranch_execz .LBB1365_13
; %bb.12:
	s_waitcnt lgkmcnt(0)
	v_add_f32_e32 v50, v50, v51
	v_lshlrev_b32_e32 v51, 2, v55
	ds_write2st64_b32 v51, v52, v50 offset1:1
.LBB1365_13:
	s_or_b64 exec, exec, s[4:5]
	s_waitcnt lgkmcnt(0)
	v_lshlrev_b32_e32 v51, 2, v60
	s_load_dword s6, s[0:1], 0x94
	s_waitcnt lgkmcnt(0)
	s_barrier
	ds_read2_b32 v[52:53], v51 offset1:16
	ds_read2_b32 v[56:57], v51 offset0:32 offset1:48
	ds_read2_b32 v[58:59], v51 offset0:64 offset1:80
	s_movk_i32 s8, 0x7fff
	s_lshl_b32 s7, s33, 1
	s_waitcnt lgkmcnt(2)
	v_max3_f32 v50, v52, s40, v53
	s_waitcnt lgkmcnt(1)
	v_max3_f32 v50, v50, v56, v57
	v_sub_f32_e32 v52, v52, v50
	v_mul_f32_e32 v52, 0x3fb8aa3b, v52
	v_exp_f32_e32 v55, v52
	v_sub_f32_e32 v52, v53, v50
	v_mul_f32_e32 v52, 0x3fb8aa3b, v52
	v_exp_f32_e32 v64, v52
	v_sub_f32_e32 v52, v56, v50
	v_mul_f32_e32 v52, 0x3fb8aa3b, v52
	v_exp_f32_e32 v56, v52
	ds_read2_b32 v[52:53], v51 offset0:96 offset1:112
	v_sub_f32_e32 v51, v57, v50
	v_mul_f32_e32 v51, 0x3fb8aa3b, v51
	v_exp_f32_e32 v57, v51
	s_waitcnt lgkmcnt(1)
	v_fma_f32 v51, v55, v58, 0
	v_fmac_f32_e32 v51, v64, v59
	s_waitcnt lgkmcnt(0)
	v_fmac_f32_e32 v51, v56, v52
	v_fmac_f32_e32 v51, v57, v53
	v_add_f32_e32 v52, 0x358637bd, v51
	v_div_scale_f32 v53, s[4:5], v52, v52, 1.0
	v_rcp_f32_e32 v58, v53
	s_barrier
	v_fma_f32 v59, -v53, v58, 1.0
	v_fmac_f32_e32 v58, v59, v58
	v_div_scale_f32 v59, vcc, 1.0, v52, 1.0
	v_mul_f32_e32 v65, v59, v58
	v_fma_f32 v66, -v53, v65, v59
	v_fmac_f32_e32 v65, v66, v58
	v_fma_f32 v53, -v53, v65, v59
	v_div_fmas_f32 v53, v53, v58, v65
	v_cmp_eq_u32_e32 vcc, 1, v63
	v_div_fixup_f32 v52, v53, v52, 1.0
	s_nop 0
	v_cndmask_b32_e32 v53, v55, v64, vcc
	v_cmp_eq_u32_e32 vcc, 2, v63
	s_nop 1
	v_cndmask_b32_e32 v53, v53, v56, vcc
	v_cmp_eq_u32_e32 vcc, 3, v63
	s_nop 1
	v_cndmask_b32_e32 v53, v53, v57, vcc
	v_mul_f32_e32 v52, v53, v52
	v_pk_mul_f32 v[36:37], v[52:53], v[36:37] op_sel_hi:[0,1]
	v_pk_mul_f32 v[42:43], v[52:53], v[42:43] op_sel_hi:[0,1]
	v_bfe_u32 v53, v37, 16, 1
	v_bfe_u32 v55, v36, 16, 1
	v_add3_u32 v36, v36, v55, s8
	v_add3_u32 v37, v37, v53, s8
	v_perm_b32 v56, v37, v36, s44
	v_bfe_u32 v36, v43, 16, 1
	v_bfe_u32 v37, v42, 16, 1
	v_add3_u32 v37, v42, v37, s8
	v_add3_u32 v36, v43, v36, s8
	v_perm_b32 v57, v36, v37, s44
	v_lshlrev_b32_e32 v37, 3, v1
	v_lshlrev_b32_e32 v36, 5, v60
	;; [unrolled: 1-line block ×3, first 2 shown]
	v_pk_mul_f32 v[38:39], v[52:53], v[38:39] op_sel_hi:[0,1]
	v_or3_b32 v55, v42, v36, v37
	v_pk_mul_f32 v[42:43], v[52:53], v[48:49] op_sel_hi:[0,1]
	v_bfe_u32 v37, v39, 16, 1
	v_bfe_u32 v48, v38, 16, 1
	v_add3_u32 v38, v38, v48, s8
	v_add3_u32 v37, v39, v37, s8
	v_perm_b32 v38, v37, v38, s44
	v_bfe_u32 v37, v43, 16, 1
	v_bfe_u32 v39, v42, 16, 1
	v_add3_u32 v39, v42, v39, s8
	v_add3_u32 v37, v43, v37, s8
	v_pk_mul_f32 v[40:41], v[52:53], v[40:41] op_sel_hi:[0,1]
	v_perm_b32 v39, v37, v39, s44
	v_bfe_u32 v37, v41, 16, 1
	v_bfe_u32 v42, v40, 16, 1
	ds_write2st64_b64 v55, v[56:57], v[38:39] offset1:1
	v_pk_mul_f32 v[38:39], v[52:53], v[46:47] op_sel_hi:[0,1]
	v_add3_u32 v40, v40, v42, s8
	v_add3_u32 v37, v41, v37, s8
	v_perm_b32 v40, v37, v40, s44
	v_bfe_u32 v37, v39, 16, 1
	v_bfe_u32 v41, v38, 16, 1
	v_add3_u32 v38, v38, v41, s8
	v_add3_u32 v37, v39, v37, s8
	v_perm_b32 v41, v37, v38, s44
	v_pk_mul_f32 v[38:39], v[52:53], v[44:45] op_sel_hi:[0,1]
	v_bfe_u32 v37, v39, 16, 1
	v_bfe_u32 v42, v38, 16, 1
	v_pk_mul_f32 v[34:35], v[52:53], v[34:35] op_sel_hi:[0,1]
	v_add3_u32 v38, v38, v42, s8
	v_add3_u32 v37, v39, v37, s8
	v_perm_b32 v38, v37, v38, s44
	v_bfe_u32 v37, v35, 16, 1
	v_bfe_u32 v39, v34, 16, 1
	v_add3_u32 v34, v34, v39, s8
	v_add3_u32 v35, v35, v37, s8
	v_perm_b32 v39, v35, v34, s44
	v_cmp_gt_u32_e32 vcc, 2, v0
	ds_write2st64_b64 v55, v[40:41], v[38:39] offset0:2 offset1:3
	s_and_saveexec_b64 s[4:5], vcc
	s_cbranch_execz .LBB1365_15
; %bb.14:
	v_or_b32_e32 v34, s23, v0
	v_mov_b32_e32 v35, 0
	v_mov_b32_e32 v37, s7
	v_mad_u64_u32 v[38:39], s[10:11], s2, v37, v[34:35]
	v_mov_b32_e32 v34, s22
	s_load_dwordx4 s[12:15], s[0:1], 0x58
	s_mul_i32 s3, s3, s7
	v_mad_u64_u32 v[34:35], s[10:11], v38, s6, v[34:35]
	v_add_u32_e32 v37, s3, v39
	v_mov_b32_e32 v38, v35
	v_mad_u64_u32 v[38:39], s[10:11], v37, s6, v[38:39]
	v_mov_b32_e32 v35, v38
	v_lshlrev_b64 v[34:35], 2, v[34:35]
	s_waitcnt lgkmcnt(0)
	v_lshl_add_u64 v[38:39], s[14:15], 0, v[34:35]
	v_lshl_add_u64 v[34:35], s[12:13], 0, v[34:35]
	global_store_dword v[38:39], v50, off
	global_store_dword v[34:35], v51, off
.LBB1365_15:
	s_or_b64 exec, exec, s[4:5]
	v_lshl_or_b32 v50, v1, 9, v36
	s_waitcnt vmcnt(7)
	v_cvt_pk_f32_fp8_e32 v[34:35], v30
	v_cvt_pk_f32_fp8_sdwa v[36:37], v30 src0_sel:WORD_1
	s_mov_b32 s5, 0x7060302
	s_waitcnt lgkmcnt(0)
	s_barrier
	v_cvt_pk_f32_fp8_e32 v[38:39], v31
	v_perm_b32 v30, v35, v34, s5
	v_cvt_pk_f32_fp8_sdwa v[40:41], v31 src0_sel:WORD_1
	v_perm_b32 v31, v37, v36, s5
	ds_read_b128 v[34:37], v50
	v_perm_b32 v46, v39, v38, s5
	v_perm_b32 v47, v41, v40, s5
	ds_read_b128 v[38:41], v50 offset:16
	v_cvt_pk_f32_fp8_e32 v[48:49], v32
	v_cvt_pk_f32_fp8_sdwa v[52:53], v32 src0_sel:WORD_1
	s_waitcnt lgkmcnt(1)
	v_mfma_f32_16x16x16_bf16 v[42:45], v[30:31], v[34:35], 0
	s_waitcnt vmcnt(6)
	v_cvt_pk_f32_fp8_e32 v[56:57], v24
	v_perm_b32 v30, v49, v48, s5
	v_perm_b32 v31, v53, v52, s5
	v_cvt_pk_f32_fp8_e32 v[48:49], v33
	v_mfma_f32_16x16x16_bf16 v[42:45], v[46:47], v[36:37], v[42:45]
	v_cvt_pk_f32_fp8_sdwa v[46:47], v33 src0_sel:WORD_1
	v_cvt_pk_f32_fp8_sdwa v[58:59], v24 src0_sel:WORD_1
	v_perm_b32 v48, v49, v48, s5
	s_waitcnt lgkmcnt(0)
	v_mfma_f32_16x16x16_bf16 v[30:33], v[30:31], v[38:39], v[42:45]
	v_perm_b32 v49, v47, v46, s5
	s_waitcnt vmcnt(5)
	v_cvt_pk_f32_fp8_e32 v[64:65], v12
	v_cvt_pk_f32_fp8_sdwa v[66:67], v12 src0_sel:WORD_1
	v_cvt_pk_f32_fp8_e32 v[42:43], v22
	v_mfma_f32_16x16x16_bf16 v[46:49], v[48:49], v[40:41], v[30:33]
	s_waitcnt vmcnt(4)
	v_cvt_pk_f32_fp8_sdwa v[68:69], v4 src0_sel:WORD_1
	s_load_dword s4, s[42:43], 0x0
	v_cvt_pk_f32_fp8_sdwa v[30:31], v22 src0_sel:WORD_1
	v_cvt_pk_f32_fp8_e32 v[32:33], v23
	v_perm_b32 v22, v43, v42, s5
	v_cvt_pk_f32_fp8_sdwa v[42:43], v23 src0_sel:WORD_1
	v_perm_b32 v23, v31, v30, s5
	v_perm_b32 v52, v33, v32, s5
	ds_read_b128 v[30:33], v50 offset:2048
	v_perm_b32 v53, v43, v42, s5
	ds_read_b128 v[42:45], v50 offset:2064
	s_waitcnt lgkmcnt(0)
	v_mfma_f32_16x16x16_bf16 v[46:49], v[22:23], v[30:31], v[46:49]
	v_perm_b32 v22, v57, v56, s5
	v_perm_b32 v23, v59, v58, s5
	v_cvt_pk_f32_fp8_e32 v[56:57], v25
	v_mfma_f32_16x16x16_bf16 v[46:49], v[52:53], v[32:33], v[46:49]
	v_cvt_pk_f32_fp8_sdwa v[52:53], v25 src0_sel:WORD_1
	s_waitcnt vmcnt(3)
	v_cvt_pk_f32_fp8_sdwa v[70:71], v28 src0_sel:WORD_1
	v_perm_b32 v56, v57, v56, s5
	v_mfma_f32_16x16x16_bf16 v[22:25], v[22:23], v[42:43], v[46:49]
	v_perm_b32 v57, v53, v52, s5
	v_cmp_gt_u32_e32 vcc, 64, v0
	s_mov_b32 s3, 0
	v_cvt_pk_f32_fp8_e32 v[46:47], v10
	v_mfma_f32_16x16x16_bf16 v[56:59], v[56:57], v[44:45], v[22:25]
	s_nop 2
	v_cvt_pk_f32_fp8_sdwa v[22:23], v10 src0_sel:WORD_1
	v_cvt_pk_f32_fp8_e32 v[24:25], v11
	v_perm_b32 v10, v47, v46, s5
	v_cvt_pk_f32_fp8_sdwa v[46:47], v11 src0_sel:WORD_1
	v_perm_b32 v11, v23, v22, s5
	v_perm_b32 v52, v25, v24, s5
	ds_read_b128 v[22:25], v50 offset:4096
	v_perm_b32 v53, v47, v46, s5
	ds_read_b128 v[46:49], v50 offset:4112
	s_waitcnt lgkmcnt(1)
	v_mfma_f32_16x16x16_bf16 v[56:59], v[10:11], v[22:23], v[56:59]
	v_perm_b32 v10, v65, v64, s5
	v_perm_b32 v11, v67, v66, s5
	v_cvt_pk_f32_fp8_e32 v[64:65], v13
	v_mfma_f32_16x16x16_bf16 v[56:59], v[52:53], v[24:25], v[56:59]
	v_cvt_pk_f32_fp8_sdwa v[52:53], v13 src0_sel:WORD_1
	v_cvt_pk_f32_fp8_e32 v[66:67], v4
	v_perm_b32 v64, v65, v64, s5
	s_waitcnt lgkmcnt(0)
	v_mfma_f32_16x16x16_bf16 v[10:13], v[10:11], v[46:47], v[56:59]
	v_perm_b32 v65, v53, v52, s5
	v_cvt_pk_f32_fp8_e32 v[52:53], v2
	s_nop 0
	v_mfma_f32_16x16x16_bf16 v[56:59], v[64:65], v[48:49], v[10:13]
	s_nop 2
	v_cvt_pk_f32_fp8_sdwa v[10:11], v2 src0_sel:WORD_1
	v_cvt_pk_f32_fp8_e32 v[12:13], v3
	v_perm_b32 v2, v53, v52, s5
	v_cvt_pk_f32_fp8_sdwa v[52:53], v3 src0_sel:WORD_1
	v_perm_b32 v3, v11, v10, s5
	v_perm_b32 v64, v13, v12, s5
	ds_read_b128 v[10:13], v50 offset:6144
	v_perm_b32 v65, v53, v52, s5
	s_waitcnt lgkmcnt(0)
	v_mfma_f32_16x16x16_bf16 v[56:59], v[2:3], v[10:11], v[56:59]
	ds_read_b128 v[50:53], v50 offset:6160
	v_perm_b32 v2, v67, v66, s5
	v_perm_b32 v3, v69, v68, s5
	v_cvt_pk_f32_fp8_e32 v[66:67], v5
	v_mfma_f32_16x16x16_bf16 v[56:59], v[64:65], v[12:13], v[56:59]
	v_cvt_pk_f32_fp8_sdwa v[64:65], v5 src0_sel:WORD_1
	v_cvt_pk_f32_fp8_e32 v[68:69], v28
	v_perm_b32 v66, v67, v66, s5
	s_waitcnt lgkmcnt(0)
	v_mfma_f32_16x16x16_bf16 v[2:5], v[2:3], v[50:51], v[56:59]
	v_perm_b32 v67, v65, v64, s5
	s_barrier
	s_nop 0
	v_mfma_f32_16x16x16_bf16 v[56:59], v[66:67], v[52:53], v[2:5]
	s_nop 2
	v_cvt_pk_f32_fp8_e32 v[4:5], v26
	v_perm_b32 v4, v5, v4, s5
	s_nop 1
	v_pk_mul_f32 v[2:3], v[58:59], s[4:5] op_sel_hi:[1,0]
	v_cvt_pk_f32_fp8_sdwa v[58:59], v26 src0_sel:WORD_1
	v_pk_mul_f32 v[64:65], v[56:57], s[4:5] op_sel_hi:[1,0]
	v_cvt_pk_f32_fp8_e32 v[56:57], v27
	v_cvt_pk_f32_fp8_sdwa v[26:27], v27 src0_sel:WORD_1
	v_perm_b32 v5, v59, v58, s5
	v_perm_b32 v66, v57, v56, s5
	;; [unrolled: 1-line block ×3, first 2 shown]
	v_mfma_f32_16x16x16_bf16 v[56:59], v[4:5], v[34:35], 0
	v_perm_b32 v4, v69, v68, s5
	v_perm_b32 v5, v71, v70, s5
	v_cvt_pk_f32_fp8_e32 v[34:35], v29
	v_cvt_pk_f32_fp8_sdwa v[68:69], v29 src0_sel:WORD_1
	v_mfma_f32_16x16x16_bf16 v[26:29], v[66:67], v[36:37], v[56:59]
	s_waitcnt vmcnt(2)
	v_cvt_pk_f32_fp8_sdwa v[36:37], v18 src0_sel:WORD_1
	v_perm_b32 v34, v35, v34, s5
	v_perm_b32 v35, v69, v68, s5
	v_mfma_f32_16x16x16_bf16 v[26:29], v[4:5], v[38:39], v[26:29]
	v_cvt_pk_f32_fp8_e32 v[4:5], v18
	v_cvt_pk_f32_fp8_sdwa v[38:39], v20 src0_sel:WORD_1
	v_bfe_u32 v56, v65, 16, 1
	v_mfma_f32_16x16x16_bf16 v[26:29], v[34:35], v[40:41], v[26:29]
	v_cvt_pk_f32_fp8_e32 v[34:35], v19
	v_perm_b32 v4, v5, v4, s5
	v_perm_b32 v5, v37, v36, s5
	v_cvt_pk_f32_fp8_sdwa v[18:19], v19 src0_sel:WORD_1
	v_perm_b32 v34, v35, v34, s5
	v_cvt_pk_f32_fp8_e32 v[36:37], v20
	v_mfma_f32_16x16x16_bf16 v[26:29], v[4:5], v[30:31], v[26:29]
	v_perm_b32 v35, v19, v18, s5
	v_perm_b32 v4, v37, v36, s5
	;; [unrolled: 1-line block ×3, first 2 shown]
	v_cvt_pk_f32_fp8_e32 v[30:31], v21
	v_cvt_pk_f32_fp8_sdwa v[36:37], v21 src0_sel:WORD_1
	v_mfma_f32_16x16x16_bf16 v[18:21], v[34:35], v[32:33], v[26:29]
	v_bfe_u32 v57, v64, 16, 1
	v_add3_u32 v32, v64, v57, s8
	v_add3_u32 v33, v65, v56, s8
	v_perm_b32 v26, v31, v30, s5
	v_perm_b32 v27, v37, v36, s5
	v_mfma_f32_16x16x16_bf16 v[18:21], v[4:5], v[42:43], v[18:21]
	s_waitcnt vmcnt(1)
	v_cvt_pk_f32_fp8_e32 v[4:5], v14
	v_cvt_pk_f32_fp8_sdwa v[28:29], v14 src0_sel:WORD_1
	v_cvt_pk_f32_fp8_sdwa v[30:31], v16 src0_sel:WORD_1
	v_mfma_f32_16x16x16_bf16 v[18:21], v[26:27], v[44:45], v[18:21]
	v_cvt_pk_f32_fp8_e32 v[26:27], v15
	v_perm_b32 v4, v5, v4, s5
	v_perm_b32 v5, v29, v28, s5
	v_cvt_pk_f32_fp8_sdwa v[14:15], v15 src0_sel:WORD_1
	v_perm_b32 v26, v27, v26, s5
	v_cvt_pk_f32_fp8_e32 v[28:29], v16
	v_mfma_f32_16x16x16_bf16 v[18:21], v[4:5], v[22:23], v[18:21]
	v_perm_b32 v27, v15, v14, s5
	v_perm_b32 v4, v29, v28, s5
	;; [unrolled: 1-line block ×3, first 2 shown]
	v_cvt_pk_f32_fp8_e32 v[22:23], v17
	v_cvt_pk_f32_fp8_sdwa v[28:29], v17 src0_sel:WORD_1
	v_mfma_f32_16x16x16_bf16 v[14:17], v[26:27], v[24:25], v[18:21]
	s_waitcnt vmcnt(0)
	v_cvt_pk_f32_fp8_sdwa v[24:25], v8 src0_sel:WORD_1
	s_nop 0
	v_perm_b32 v20, v23, v22, s5
	v_perm_b32 v21, v29, v28, s5
	v_mfma_f32_16x16x16_bf16 v[14:17], v[4:5], v[46:47], v[14:17]
	v_cvt_pk_f32_fp8_e32 v[4:5], v6
	v_cvt_pk_f32_fp8_sdwa v[22:23], v6 src0_sel:WORD_1
	v_bfe_u32 v19, v3, 16, 1
	v_mfma_f32_16x16x16_bf16 v[14:17], v[20:21], v[48:49], v[14:17]
	v_cvt_pk_f32_fp8_e32 v[20:21], v7
	v_perm_b32 v4, v5, v4, s5
	v_perm_b32 v5, v23, v22, s5
	v_cvt_pk_f32_fp8_sdwa v[6:7], v7 src0_sel:WORD_1
	v_perm_b32 v20, v21, v20, s5
	v_cvt_pk_f32_fp8_e32 v[22:23], v8
	v_add3_u32 v3, v3, v19, s8
	v_perm_b32 v21, v7, v6, s5
	v_mfma_f32_16x16x16_bf16 v[4:7], v[4:5], v[10:11], v[14:17]
	v_perm_b32 v10, v23, v22, s5
	v_perm_b32 v11, v25, v24, s5
	;; [unrolled: 1-line block ×3, first 2 shown]
	v_cvt_pk_f32_fp8_e32 v[14:15], v9
	v_cvt_pk_f32_fp8_sdwa v[8:9], v9 src0_sel:WORD_1
	v_mfma_f32_16x16x16_bf16 v[4:7], v[20:21], v[12:13], v[4:7]
	v_bfe_u32 v16, v2, 16, 1
	v_perm_b32 v12, v15, v14, s5
	v_perm_b32 v13, v9, v8, s5
	v_mfma_f32_16x16x16_bf16 v[4:7], v[10:11], v[50:51], v[4:7]
	v_add3_u32 v2, v2, v16, s8
	v_perm_b32 v19, v3, v2, s5
	v_mfma_f32_16x16x16_bf16 v[2:5], v[12:13], v[52:53], v[4:7]
	s_nop 6
	v_pk_mul_f32 v[2:3], v[2:3], s[4:5] op_sel_hi:[1,0]
	v_pk_mul_f32 v[4:5], v[4:5], s[4:5] op_sel_hi:[1,0]
	v_bfe_u32 v6, v3, 16, 1
	v_bfe_u32 v7, v2, 16, 1
	v_add3_u32 v2, v2, v7, s8
	v_add3_u32 v3, v3, v6, s8
	v_perm_b32 v2, v3, v2, s5
	v_bfe_u32 v3, v5, 16, 1
	v_bfe_u32 v6, v4, 16, 1
	v_add3_u32 v4, v4, v6, s8
	v_add3_u32 v3, v5, v3, s8
	v_perm_b32 v3, v3, v4, s5
	v_cmp_gt_u32_e64 s[4:5], 32, v62
	s_and_b64 s[4:5], vcc, s[4:5]
	ds_write2st64_b64 v55, v[18:19], v[2:3] offset1:1
	s_waitcnt lgkmcnt(0)
	s_barrier
	s_and_saveexec_b64 s[8:9], s[4:5]
	s_cbranch_execz .LBB1365_17
; %bb.16:
	s_load_dwordx2 s[0:1], s[0:1], 0x68
	s_mul_i32 s2, s7, s2
	s_lshl_b32 s6, s6, 7
	v_lshlrev_b32_e32 v4, 6, v60
	s_mul_hi_u32 s5, s2, s6
	s_mul_i32 s4, s2, s6
	v_lshl_or_b32 v0, v0, 10, v4
	s_lshl_b64 s[4:5], s[4:5], 1
	v_lshlrev_b32_e32 v2, 5, v1
	v_and_b32_e32 v3, 16, v61
	v_and_b32_e32 v0, 0x1a00, v0
	s_waitcnt lgkmcnt(0)
	s_add_u32 s4, s0, s4
	v_or3_b32 v0, v0, v2, v3
	s_addc_u32 s5, s1, s5
	s_lshl_b32 s2, s22, 7
	ds_read_b128 v[2:5], v0
	s_lshl_b64 s[0:1], s[2:3], 1
	s_add_u32 s0, s4, s0
	v_or_b32_e32 v0, s23, v1
	s_addc_u32 s1, s5, s1
	v_mad_u64_u32 v[0:1], s[2:3], s6, v0, 0
	v_lshl_add_u64 v[0:1], v[0:1], 1, s[0:1]
	v_mov_b32_e32 v55, 0
	v_lshl_add_u64 v[0:1], v[0:1], 0, v[54:55]
	s_waitcnt lgkmcnt(0)
	global_store_dwordx4 v[0:1], v[2:5], off
.LBB1365_17:
	s_endpgm
	.section	.rodata,"a",@progbits
	.p2align	6, 0x0
	.amdhsa_kernel _Z39paged_attention_ll4mi_QKV_mfma16_kernelI14__hip_bfloat16hLN4vllm18Fp8KVCacheDataTypeE1EhLi32ELi128ELi256ELb0ELi2EEvPKT_PKT0_S8_ifPKiSA_SA_iPKfiiiPfSD_PS3_PT2_iSC_SC_
		.amdhsa_group_segment_fixed_size 8192
		.amdhsa_private_segment_fixed_size 0
		.amdhsa_kernarg_size 400
		.amdhsa_user_sgpr_count 2
		.amdhsa_user_sgpr_dispatch_ptr 0
		.amdhsa_user_sgpr_queue_ptr 0
		.amdhsa_user_sgpr_kernarg_segment_ptr 1
		.amdhsa_user_sgpr_dispatch_id 0
		.amdhsa_user_sgpr_kernarg_preload_length 0
		.amdhsa_user_sgpr_kernarg_preload_offset 0
		.amdhsa_user_sgpr_private_segment_size 0
		.amdhsa_uses_dynamic_stack 0
		.amdhsa_enable_private_segment 0
		.amdhsa_system_sgpr_workgroup_id_x 1
		.amdhsa_system_sgpr_workgroup_id_y 1
		.amdhsa_system_sgpr_workgroup_id_z 1
		.amdhsa_system_sgpr_workgroup_info 0
		.amdhsa_system_vgpr_workitem_id 0
		.amdhsa_next_free_vgpr 80
		.amdhsa_next_free_sgpr 48
		.amdhsa_accum_offset 80
		.amdhsa_reserve_vcc 1
		.amdhsa_float_round_mode_32 0
		.amdhsa_float_round_mode_16_64 0
		.amdhsa_float_denorm_mode_32 3
		.amdhsa_float_denorm_mode_16_64 3
		.amdhsa_dx10_clamp 1
		.amdhsa_ieee_mode 1
		.amdhsa_fp16_overflow 0
		.amdhsa_tg_split 0
		.amdhsa_exception_fp_ieee_invalid_op 0
		.amdhsa_exception_fp_denorm_src 0
		.amdhsa_exception_fp_ieee_div_zero 0
		.amdhsa_exception_fp_ieee_overflow 0
		.amdhsa_exception_fp_ieee_underflow 0
		.amdhsa_exception_fp_ieee_inexact 0
		.amdhsa_exception_int_div_zero 0
	.end_amdhsa_kernel
	.section	.text._Z39paged_attention_ll4mi_QKV_mfma16_kernelI14__hip_bfloat16hLN4vllm18Fp8KVCacheDataTypeE1EhLi32ELi128ELi256ELb0ELi2EEvPKT_PKT0_S8_ifPKiSA_SA_iPKfiiiPfSD_PS3_PT2_iSC_SC_,"axG",@progbits,_Z39paged_attention_ll4mi_QKV_mfma16_kernelI14__hip_bfloat16hLN4vllm18Fp8KVCacheDataTypeE1EhLi32ELi128ELi256ELb0ELi2EEvPKT_PKT0_S8_ifPKiSA_SA_iPKfiiiPfSD_PS3_PT2_iSC_SC_,comdat
.Lfunc_end1365:
	.size	_Z39paged_attention_ll4mi_QKV_mfma16_kernelI14__hip_bfloat16hLN4vllm18Fp8KVCacheDataTypeE1EhLi32ELi128ELi256ELb0ELi2EEvPKT_PKT0_S8_ifPKiSA_SA_iPKfiiiPfSD_PS3_PT2_iSC_SC_, .Lfunc_end1365-_Z39paged_attention_ll4mi_QKV_mfma16_kernelI14__hip_bfloat16hLN4vllm18Fp8KVCacheDataTypeE1EhLi32ELi128ELi256ELb0ELi2EEvPKT_PKT0_S8_ifPKiSA_SA_iPKfiiiPfSD_PS3_PT2_iSC_SC_
                                        ; -- End function
	.section	.AMDGPU.csdata,"",@progbits
; Kernel info:
; codeLenInByte = 6312
; NumSgprs: 54
; NumVgprs: 80
; NumAgprs: 0
; TotalNumVgprs: 80
; ScratchSize: 0
; MemoryBound: 0
; FloatMode: 240
; IeeeMode: 1
; LDSByteSize: 8192 bytes/workgroup (compile time only)
; SGPRBlocks: 6
; VGPRBlocks: 9
; NumSGPRsForWavesPerEU: 54
; NumVGPRsForWavesPerEU: 80
; AccumOffset: 80
; Occupancy: 6
; WaveLimiterHint : 1
; COMPUTE_PGM_RSRC2:SCRATCH_EN: 0
; COMPUTE_PGM_RSRC2:USER_SGPR: 2
; COMPUTE_PGM_RSRC2:TRAP_HANDLER: 0
; COMPUTE_PGM_RSRC2:TGID_X_EN: 1
; COMPUTE_PGM_RSRC2:TGID_Y_EN: 1
; COMPUTE_PGM_RSRC2:TGID_Z_EN: 1
; COMPUTE_PGM_RSRC2:TIDIG_COMP_CNT: 0
; COMPUTE_PGM_RSRC3_GFX90A:ACCUM_OFFSET: 19
; COMPUTE_PGM_RSRC3_GFX90A:TG_SPLIT: 0
	.section	.text._Z39paged_attention_ll4mi_QKV_mfma16_kernelI14__hip_bfloat16hLN4vllm18Fp8KVCacheDataTypeE1EhLi32ELi128ELi256ELb0ELi3EEvPKT_PKT0_S8_ifPKiSA_SA_iPKfiiiPfSD_PS3_PT2_iSC_SC_,"axG",@progbits,_Z39paged_attention_ll4mi_QKV_mfma16_kernelI14__hip_bfloat16hLN4vllm18Fp8KVCacheDataTypeE1EhLi32ELi128ELi256ELb0ELi3EEvPKT_PKT0_S8_ifPKiSA_SA_iPKfiiiPfSD_PS3_PT2_iSC_SC_,comdat
	.protected	_Z39paged_attention_ll4mi_QKV_mfma16_kernelI14__hip_bfloat16hLN4vllm18Fp8KVCacheDataTypeE1EhLi32ELi128ELi256ELb0ELi3EEvPKT_PKT0_S8_ifPKiSA_SA_iPKfiiiPfSD_PS3_PT2_iSC_SC_ ; -- Begin function _Z39paged_attention_ll4mi_QKV_mfma16_kernelI14__hip_bfloat16hLN4vllm18Fp8KVCacheDataTypeE1EhLi32ELi128ELi256ELb0ELi3EEvPKT_PKT0_S8_ifPKiSA_SA_iPKfiiiPfSD_PS3_PT2_iSC_SC_
	.globl	_Z39paged_attention_ll4mi_QKV_mfma16_kernelI14__hip_bfloat16hLN4vllm18Fp8KVCacheDataTypeE1EhLi32ELi128ELi256ELb0ELi3EEvPKT_PKT0_S8_ifPKiSA_SA_iPKfiiiPfSD_PS3_PT2_iSC_SC_
	.p2align	8
	.type	_Z39paged_attention_ll4mi_QKV_mfma16_kernelI14__hip_bfloat16hLN4vllm18Fp8KVCacheDataTypeE1EhLi32ELi128ELi256ELb0ELi3EEvPKT_PKT0_S8_ifPKiSA_SA_iPKfiiiPfSD_PS3_PT2_iSC_SC_,@function
_Z39paged_attention_ll4mi_QKV_mfma16_kernelI14__hip_bfloat16hLN4vllm18Fp8KVCacheDataTypeE1EhLi32ELi128ELi256ELb0ELi3EEvPKT_PKT0_S8_ifPKiSA_SA_iPKfiiiPfSD_PS3_PT2_iSC_SC_: ; @_Z39paged_attention_ll4mi_QKV_mfma16_kernelI14__hip_bfloat16hLN4vllm18Fp8KVCacheDataTypeE1EhLi32ELi128ELi256ELb0ELi3EEvPKT_PKT0_S8_ifPKiSA_SA_iPKfiiiPfSD_PS3_PT2_iSC_SC_
; %bb.0:
	s_load_dwordx2 s[12:13], s[0:1], 0x30
	s_mov_b32 s22, s3
	s_mov_b64 s[6:7], 0
	s_waitcnt lgkmcnt(0)
	s_cmp_lg_u64 s[12:13], 0
	s_cselect_b64 s[14:15], -1, 0
	s_and_b64 vcc, exec, s[14:15]
	s_cbranch_vccz .LBB1366_7
; %bb.1:
	s_add_i32 s8, s2, 1
	s_mov_b32 s9, 0
	s_lshl_b64 s[10:11], s[8:9], 2
	s_add_u32 s10, s12, s10
	s_mov_b32 s3, s9
	s_addc_u32 s11, s13, s11
	s_lshl_b64 s[8:9], s[2:3], 2
	s_add_u32 s8, s12, s8
	s_addc_u32 s9, s13, s9
	s_load_dword s5, s[10:11], 0x0
	s_load_dword s16, s[8:9], 0x0
	s_waitcnt lgkmcnt(0)
	s_sub_i32 s5, s5, s16
	s_cmp_eq_u32 s5, 1
	s_cselect_b64 s[8:9], -1, 0
	s_andn2_b64 vcc, exec, s[6:7]
	s_cbranch_vccnz .LBB1366_3
.LBB1366_2:
	s_mov_b32 s3, 0
	s_mov_b64 s[8:9], -1
.LBB1366_3:
	s_andn2_b64 vcc, exec, s[8:9]
	s_cbranch_vccnz .LBB1366_17
; %bb.4:
	s_load_dwordx2 s[6:7], s[0:1], 0x28
	s_lshl_b64 s[16:17], s[2:3], 2
	s_waitcnt lgkmcnt(0)
	s_add_u32 s6, s6, s16
	s_addc_u32 s7, s7, s17
	s_load_dword s5, s[6:7], 0x0
	s_lshl_b32 s18, s22, 8
	s_waitcnt lgkmcnt(0)
	s_cmp_ge_i32 s18, s5
	s_cbranch_scc1 .LBB1366_17
; %bb.5:
	s_load_dwordx2 s[6:7], s[0:1], 0x20
	s_load_dword s8, s[0:1], 0x38
	s_add_i32 s9, s5, 31
	s_ashr_i32 s10, s9, 31
	v_and_b32_e32 v1, 0xcf, v0
	s_lshr_b32 s10, s10, 27
	v_add_u32_e32 v1, s18, v1
	s_add_i32 s9, s9, s10
	v_ashrrev_i32_e32 v2, 31, v1
	s_ashr_i32 s19, s9, 5
	v_lshrrev_b32_e32 v10, 27, v2
	s_add_i32 s19, s19, -1
	s_waitcnt lgkmcnt(0)
	s_mul_i32 s8, s2, s8
	s_mov_b32 s9, 0
	v_add_u32_e32 v2, v1, v10
	s_lshl_b64 s[8:9], s[8:9], 2
	v_ashrrev_i32_e32 v2, 5, v2
	v_mov_b32_e32 v11, s19
	v_cmp_gt_i32_e32 vcc, s5, v1
	s_add_u32 s6, s6, s8
	s_addc_u32 s7, s7, s9
	v_cndmask_b32_e32 v2, v11, v2, vcc
	v_ashrrev_i32_e32 v3, 31, v2
	v_lshl_add_u64 v[4:5], v[2:3], 2, s[6:7]
	v_or_b32_e32 v2, 16, v1
	v_add_u32_e32 v3, v2, v10
	v_ashrrev_i32_e32 v3, 5, v3
	v_cmp_gt_i32_e32 vcc, s5, v2
	s_load_dwordx4 s[8:11], s[0:1], 0x8
	s_nop 0
	v_cndmask_b32_e32 v2, v11, v3, vcc
	v_ashrrev_i32_e32 v3, 31, v2
	v_lshl_add_u64 v[6:7], v[2:3], 2, s[6:7]
	v_or_b32_e32 v2, 32, v1
	v_add_u32_e32 v3, v2, v10
	v_ashrrev_i32_e32 v3, 5, v3
	v_cmp_gt_i32_e32 vcc, s5, v2
	v_or_b32_e32 v1, 48, v1
	s_nop 0
	v_cndmask_b32_e32 v2, v11, v3, vcc
	v_ashrrev_i32_e32 v3, 31, v2
	v_lshl_add_u64 v[8:9], v[2:3], 2, s[6:7]
	v_add_u32_e32 v2, v1, v10
	v_ashrrev_i32_e32 v2, 5, v2
	v_cmp_gt_i32_e32 vcc, s5, v1
	s_nop 1
	v_cndmask_b32_e32 v2, v11, v2, vcc
	v_ashrrev_i32_e32 v3, 31, v2
	v_lshl_add_u64 v[10:11], v[2:3], 2, s[6:7]
	global_load_dword v2, v[4:5], off
	global_load_dword v14, v[6:7], off
	;; [unrolled: 1-line block ×4, first 2 shown]
	s_andn2_b64 vcc, exec, s[14:15]
	s_cbranch_vccnz .LBB1366_8
; %bb.6:
	s_add_u32 s12, s12, s16
	s_addc_u32 s13, s13, s17
	s_load_dword s14, s[12:13], 0x0
	s_branch .LBB1366_9
.LBB1366_7:
	s_mov_b64 s[8:9], 0
	s_branch .LBB1366_2
.LBB1366_8:
	s_mov_b32 s14, s2
.LBB1366_9:
	s_load_dwordx4 s[44:47], s[0:1], 0x48
	v_lshrrev_b32_e32 v57, 6, v0
	v_bfe_u32 v58, v0, 4, 2
	v_and_b32_e32 v56, 15, v0
	s_mul_i32 s48, s4, 3
	v_lshl_or_b32 v3, v57, 2, v58
	v_lshlrev_b32_e32 v4, 3, v56
	v_and_b32_e32 v60, 63, v0
	v_add_u32_e32 v1, s48, v58
	v_cmp_gt_u32_e32 vcc, 3, v3
	v_lshlrev_b32_e32 v54, 1, v4
	v_lshlrev_b32_e32 v59, 4, v0
	s_and_saveexec_b64 s[12:13], vcc
	s_cbranch_execz .LBB1366_11
; %bb.10:
	s_load_dwordx2 s[16:17], s[0:1], 0x0
	s_waitcnt lgkmcnt(0)
	s_ashr_i32 s15, s44, 31
	s_mul_hi_u32 s20, s14, s44
	s_mul_i32 s15, s14, s15
	s_add_i32 s15, s20, s15
	s_mul_i32 s14, s14, s44
	s_lshl_b64 s[14:15], s[14:15], 1
	s_add_u32 s14, s16, s14
	v_lshlrev_b32_e32 v4, 7, v1
	s_addc_u32 s15, s17, s15
	v_ashrrev_i32_e32 v5, 31, v4
	v_lshl_add_u64 v[4:5], v[4:5], 1, s[14:15]
	v_mov_b32_e32 v55, 0
	v_lshl_add_u64 v[4:5], v[4:5], 0, v[54:55]
	global_load_dwordx4 v[4:7], v[4:5], off
	v_lshlrev_b32_e32 v9, 8, v0
	v_lshlrev_b32_e32 v8, 8, v56
	v_and_b32_e32 v9, 0x600, v9
	s_movk_i32 s14, 0x800
	v_and_or_b32 v8, v8, s14, v9
	v_lshlrev_b32_e32 v3, 5, v3
	v_and_b32_e32 v9, 16, v59
	v_or3_b32 v3, v8, v3, v9
	s_waitcnt vmcnt(0)
	ds_write_b128 v3, v[4:7]
.LBB1366_11:
	s_or_b64 exec, exec, s[12:13]
	s_waitcnt lgkmcnt(0)
	s_mul_i32 s12, s4, s46
	s_add_u32 s8, s8, s12
	s_addc_u32 s9, s9, 0
	v_mov_b32_e32 v51, 0
	v_mov_b64_e32 v[6:7], s[8:9]
	v_and_b32_e32 v15, 48, v0
	s_waitcnt vmcnt(3)
	v_mad_i64_i32 v[2:3], s[8:9], v2, s45, v[6:7]
	v_lshlrev_b32_e32 v10, 4, v56
	v_mov_b32_e32 v11, v51
	v_lshlrev_b32_e32 v50, 5, v15
	v_lshl_add_u64 v[2:3], v[2:3], 0, v[10:11]
	v_lshl_add_u64 v[8:9], v[2:3], 0, v[50:51]
	s_load_dword s23, s[0:1], 0x98
	s_load_dwordx4 s[40:43], s[0:1], 0x80
	s_waitcnt lgkmcnt(0)
	s_barrier
	global_load_dwordx4 v[2:5], v[8:9], off
	global_load_dwordx4 v[42:45], v[8:9], off offset:2048
	v_mul_lo_u16_e32 v16, 0x56, v56
	v_mov_b32_e32 v17, 3
	v_mul_lo_u16_sdwa v8, v16, v17 dst_sel:DWORD dst_unused:UNUSED_PAD src0_sel:BYTE_1 src1_sel:DWORD
	v_mov_b32_e32 v20, 5
	v_sub_u16_e32 v8, v56, v8
	s_ashr_i32 s8, s18, 31
	v_lshlrev_b32_sdwa v8, v20, v8 dst_sel:DWORD dst_unused:UNUSED_PAD src0_sel:DWORD src1_sel:BYTE_0
	v_or_b32_e32 v18, 0x100, v10
	v_mov_b32_e32 v19, v51
	s_lshr_b32 s13, s8, 27
	v_lshl_add_u32 v32, v58, 9, v8
	s_waitcnt vmcnt(4)
	v_mad_i64_i32 v[8:9], s[8:9], v14, s45, v[6:7]
	s_waitcnt vmcnt(3)
	v_mad_i64_i32 v[20:21], s[8:9], v12, s45, v[6:7]
	;; [unrolled: 2-line block ×3, first 2 shown]
	v_lshl_add_u64 v[6:7], v[8:9], 0, v[18:19]
	v_lshl_add_u64 v[22:23], v[6:7], 0, v[50:51]
	global_load_dwordx4 v[46:49], v[22:23], off
	v_or_b32_e32 v25, s18, v15
	v_or_b32_e32 v30, 64, v25
	v_add_u32_e32 v33, s13, v25
	v_mov_b32_e32 v24, s19
	v_or_b32_e32 v31, 0x80, v25
	v_add_u32_e32 v39, s13, v30
	v_lshl_add_u64 v[10:11], v[20:21], 0, v[10:11]
	v_ashrrev_i32_e32 v20, 5, v33
	v_cmp_gt_i32_e32 vcc, s5, v25
	v_add_u32_e32 v40, s13, v31
	v_ashrrev_i32_e32 v21, 5, v39
	v_cndmask_b32_e32 v52, v24, v20, vcc
	v_cmp_gt_i32_e32 vcc, s5, v30
	ds_read_b128 v[34:37], v32
	ds_read_b128 v[26:29], v32 offset:16
	ds_read_b128 v[14:17], v32 offset:2048
	;; [unrolled: 1-line block ×3, first 2 shown]
	v_ashrrev_i32_e32 v32, 5, v40
	v_cndmask_b32_e32 v62, v24, v21, vcc
	v_cmp_gt_i32_e32 vcc, s5, v31
	v_or_b32_e32 v38, 0xc0, v25
	v_add_u32_e32 v41, s13, v38
	v_cndmask_b32_e32 v64, v24, v32, vcc
	global_load_dwordx4 v[30:33], v[22:23], off offset:2048
	v_lshl_add_u64 v[12:13], v[12:13], 0, v[18:19]
	v_ashrrev_i32_e32 v39, 5, v41
	v_lshl_add_u64 v[10:11], v[10:11], 0, v[50:51]
	v_lshl_add_u64 v[18:19], v[12:13], 0, v[50:51]
	v_cmp_gt_i32_e32 vcc, s5, v38
	v_ashrrev_i32_e32 v65, 31, v64
	v_lshl_add_u64 v[68:69], v[64:65], 2, s[6:7]
	v_cndmask_b32_e32 v66, v24, v39, vcc
	global_load_dwordx4 v[22:25], v[10:11], off
	s_nop 0
	global_load_dwordx4 v[10:13], v[10:11], off offset:2048
	s_nop 0
	global_load_dwordx4 v[38:41], v[18:19], off
	s_nop 0
	global_load_dwordx4 v[18:21], v[18:19], off offset:2048
	s_mov_b32 s33, 0x7060302
	v_ashrrev_i32_e32 v53, 31, v52
	v_ashrrev_i32_e32 v63, 31, v62
	;; [unrolled: 1-line block ×3, first 2 shown]
	v_lshl_add_u64 v[52:53], v[52:53], 2, s[6:7]
	v_lshl_add_u64 v[62:63], v[62:63], 2, s[6:7]
	;; [unrolled: 1-line block ×3, first 2 shown]
	s_add_u32 s6, s10, s12
	s_addc_u32 s7, s11, 0
	v_and_b32_e32 v50, 16, v0
	v_lshl_or_b32 v55, v57, 4, v56
	s_load_dword s4, s[0:1], 0x1c
	s_waitcnt vmcnt(7)
	v_cvt_pk_f32_fp8_e32 v[64:65], v2
	v_cvt_pk_f32_fp8_sdwa v[70:71], v2 src0_sel:WORD_1
	v_cvt_pk_f32_fp8_e32 v[72:73], v3
	v_cvt_pk_f32_fp8_sdwa v[2:3], v3 src0_sel:WORD_1
	v_perm_b32 v74, v65, v64, s33
	v_perm_b32 v75, v71, v70, s33
	global_load_dword v64, v[52:53], off
	s_nop 0
	global_load_dword v63, v[62:63], off
	s_nop 0
	global_load_dword v61, v[68:69], off
	global_load_dword v62, v[66:67], off
	v_perm_b32 v52, v73, v72, s33
	v_perm_b32 v53, v3, v2, s33
	v_cvt_pk_f32_fp8_e32 v[2:3], v4
	v_cvt_pk_f32_fp8_sdwa v[70:71], v4 src0_sel:WORD_1
	s_waitcnt lgkmcnt(0)
	v_mfma_f32_16x16x16_bf16 v[66:69], v[74:75], v[34:35], 0
	v_cvt_pk_f32_fp8_e32 v[72:73], v5
	v_perm_b32 v2, v3, v2, s33
	v_perm_b32 v3, v71, v70, s33
	v_cvt_pk_f32_fp8_sdwa v[4:5], v5 src0_sel:WORD_1
	v_mfma_f32_16x16x16_bf16 v[66:69], v[52:53], v[36:37], v[66:69]
	v_perm_b32 v52, v73, v72, s33
	s_waitcnt vmcnt(10)
	v_cvt_pk_f32_fp8_e32 v[70:71], v42
	v_cvt_pk_f32_fp8_sdwa v[72:73], v42 src0_sel:WORD_1
	v_perm_b32 v53, v5, v4, s33
	v_mfma_f32_16x16x16_bf16 v[2:5], v[2:3], v[26:27], v[66:69]
	v_mov_b32_e32 v65, s4
	s_waitcnt vmcnt(6)
	v_cvt_pk_f32_fp8_e32 v[74:75], v11
	v_perm_b32 v66, v71, v70, s33
	v_perm_b32 v67, v73, v72, s33
	v_cvt_pk_f32_fp8_e32 v[68:69], v43
	v_cvt_pk_f32_fp8_sdwa v[42:43], v43 src0_sel:WORD_1
	v_mfma_f32_16x16x16_bf16 v[2:5], v[52:53], v[28:29], v[2:5]
	v_cvt_pk_f32_fp8_sdwa v[70:71], v30 src0_sel:WORD_1
	v_perm_b32 v52, v69, v68, s33
	v_perm_b32 v53, v43, v42, s33
	v_mfma_f32_16x16x16_bf16 v[2:5], v[66:67], v[14:15], v[2:5]
	v_cvt_pk_f32_fp8_e32 v[42:43], v44
	v_cvt_pk_f32_fp8_sdwa v[66:67], v44 src0_sel:WORD_1
	v_cvt_pk_f32_fp8_sdwa v[68:69], v46 src0_sel:WORD_1
	v_mfma_f32_16x16x16_bf16 v[2:5], v[52:53], v[16:17], v[2:5]
	v_cvt_pk_f32_fp8_e32 v[52:53], v45
	v_perm_b32 v42, v43, v42, s33
	v_perm_b32 v43, v67, v66, s33
	v_cvt_pk_f32_fp8_sdwa v[44:45], v45 src0_sel:WORD_1
	v_cvt_pk_f32_fp8_e32 v[66:67], v46
	v_perm_b32 v52, v53, v52, s33
	v_mfma_f32_16x16x16_bf16 v[2:5], v[42:43], v[6:7], v[2:5]
	v_perm_b32 v53, v45, v44, s33
	v_perm_b32 v66, v67, v66, s33
	;; [unrolled: 1-line block ×3, first 2 shown]
	v_cvt_pk_f32_fp8_e32 v[68:69], v47
	v_cvt_pk_f32_fp8_sdwa v[46:47], v47 src0_sel:WORD_1
	v_mfma_f32_16x16x16_bf16 v[42:45], v[52:53], v[8:9], v[2:5]
	v_lshl_add_u64 v[52:53], s[6:7], 0, v[50:51]
	v_perm_b32 v68, v69, v68, s33
	v_perm_b32 v69, v47, v46, s33
	v_mfma_f32_16x16x16_bf16 v[2:5], v[66:67], v[34:35], 0
	v_cvt_pk_f32_fp8_e32 v[46:47], v48
	v_cvt_pk_f32_fp8_sdwa v[66:67], v48 src0_sel:WORD_1
	v_lshlrev_b32_e32 v50, 5, v55
	v_mfma_f32_16x16x16_bf16 v[2:5], v[68:69], v[36:37], v[2:5]
	v_cvt_pk_f32_fp8_e32 v[68:69], v49
	v_perm_b32 v46, v47, v46, s33
	v_perm_b32 v47, v67, v66, s33
	v_cvt_pk_f32_fp8_sdwa v[48:49], v49 src0_sel:WORD_1
	v_perm_b32 v66, v69, v68, s33
	v_cvt_pk_f32_fp8_e32 v[68:69], v30
	v_mfma_f32_16x16x16_bf16 v[2:5], v[46:47], v[26:27], v[2:5]
	v_perm_b32 v67, v49, v48, s33
	v_perm_b32 v46, v69, v68, s33
	v_perm_b32 v47, v71, v70, s33
	v_cvt_pk_f32_fp8_e32 v[48:49], v31
	v_cvt_pk_f32_fp8_sdwa v[30:31], v31 src0_sel:WORD_1
	v_mfma_f32_16x16x16_bf16 v[2:5], v[66:67], v[28:29], v[2:5]
	v_cvt_pk_f32_fp8_sdwa v[66:67], v22 src0_sel:WORD_1
	v_perm_b32 v48, v49, v48, s33
	v_perm_b32 v49, v31, v30, s33
	v_mfma_f32_16x16x16_bf16 v[2:5], v[46:47], v[14:15], v[2:5]
	v_cvt_pk_f32_fp8_e32 v[30:31], v32
	v_cvt_pk_f32_fp8_sdwa v[46:47], v32 src0_sel:WORD_1
	v_cvt_pk_f32_fp8_sdwa v[80:81], v13 src0_sel:WORD_1
	v_mfma_f32_16x16x16_bf16 v[2:5], v[48:49], v[16:17], v[2:5]
	v_cvt_pk_f32_fp8_e32 v[48:49], v33
	v_perm_b32 v30, v31, v30, s33
	v_perm_b32 v31, v47, v46, s33
	v_cvt_pk_f32_fp8_sdwa v[32:33], v33 src0_sel:WORD_1
	v_perm_b32 v46, v49, v48, s33
	v_cvt_pk_f32_fp8_e32 v[48:49], v22
	v_mfma_f32_16x16x16_bf16 v[2:5], v[30:31], v[6:7], v[2:5]
	v_perm_b32 v47, v33, v32, s33
	v_perm_b32 v30, v49, v48, s33
	;; [unrolled: 1-line block ×3, first 2 shown]
	v_cvt_pk_f32_fp8_e32 v[32:33], v23
	v_cvt_pk_f32_fp8_sdwa v[22:23], v23 src0_sel:WORD_1
	v_mfma_f32_16x16x16_bf16 v[46:49], v[46:47], v[8:9], v[2:5]
	v_lshl_add_u64 v[66:67], v[52:53], 0, v[50:51]
	v_perm_b32 v32, v33, v32, s33
	v_perm_b32 v33, v23, v22, s33
	v_mfma_f32_16x16x16_bf16 v[2:5], v[30:31], v[34:35], 0
	v_cvt_pk_f32_fp8_e32 v[22:23], v24
	v_cvt_pk_f32_fp8_sdwa v[30:31], v24 src0_sel:WORD_1
	s_waitcnt vmcnt(3)
	v_mad_i64_i32 v[68:69], s[6:7], v64, s45, v[66:67]
	v_perm_b32 v22, v23, v22, s33
	v_perm_b32 v23, v31, v30, s33
	v_cvt_pk_f32_fp8_e32 v[30:31], v25
	v_cvt_pk_f32_fp8_sdwa v[24:25], v25 src0_sel:WORD_1
	v_mfma_f32_16x16x16_bf16 v[2:5], v[32:33], v[36:37], v[2:5]
	s_waitcnt vmcnt(2)
	v_mad_i64_i32 v[70:71], s[6:7], v63, s45, v[66:67]
	v_perm_b32 v72, v31, v30, s33
	v_perm_b32 v73, v25, v24, s33
	v_mfma_f32_16x16x16_bf16 v[2:5], v[22:23], v[26:27], v[2:5]
	global_load_dwordx4 v[30:33], v[68:69], off
	global_load_dwordx4 v[22:25], v[70:71], off
	v_cvt_pk_f32_fp8_e32 v[68:69], v10
	s_waitcnt vmcnt(3)
	v_mad_i64_i32 v[70:71], s[6:7], v61, s45, v[66:67]
	v_mfma_f32_16x16x16_bf16 v[2:5], v[72:73], v[28:29], v[2:5]
	v_cvt_pk_f32_fp8_sdwa v[72:73], v10 src0_sel:WORD_1
	v_cvt_pk_f32_fp8_sdwa v[10:11], v11 src0_sel:WORD_1
	v_perm_b32 v68, v69, v68, s33
	s_waitcnt vmcnt(2)
	v_mad_i64_i32 v[76:77], s[6:7], v62, s45, v[66:67]
	v_perm_b32 v69, v73, v72, s33
	v_perm_b32 v72, v75, v74, s33
	;; [unrolled: 1-line block ×3, first 2 shown]
	v_cvt_pk_f32_fp8_e32 v[10:11], v12
	v_cvt_pk_f32_fp8_sdwa v[74:75], v12 src0_sel:WORD_1
	v_mfma_f32_16x16x16_bf16 v[66:69], v[68:69], v[14:15], v[2:5]
	v_or_b32_e32 v50, 0x800, v50
	v_perm_b32 v78, v11, v10, s33
	v_perm_b32 v79, v75, v74, s33
	v_cvt_pk_f32_fp8_e32 v[74:75], v13
	v_mfma_f32_16x16x16_bf16 v[66:69], v[72:73], v[16:17], v[66:69]
	v_lshl_add_u64 v[50:51], v[52:53], 0, v[50:51]
	v_perm_b32 v53, v81, v80, s33
	v_perm_b32 v52, v75, v74, s33
	global_load_dwordx4 v[10:13], v[70:71], off
	global_load_dwordx4 v[2:5], v[76:77], off
	v_mfma_f32_16x16x16_bf16 v[66:69], v[78:79], v[6:7], v[66:69]
	v_cvt_pk_f32_fp8_e32 v[70:71], v38
	v_cvt_pk_f32_fp8_sdwa v[72:73], v38 src0_sel:WORD_1
	v_cvt_pk_f32_fp8_e32 v[74:75], v40
	v_mfma_f32_16x16x16_bf16 v[66:69], v[52:53], v[8:9], v[66:69]
	v_cvt_pk_f32_fp8_e32 v[52:53], v39
	v_perm_b32 v70, v71, v70, s33
	v_perm_b32 v71, v73, v72, s33
	v_cvt_pk_f32_fp8_sdwa v[38:39], v39 src0_sel:WORD_1
	v_perm_b32 v52, v53, v52, s33
	v_cvt_pk_f32_fp8_sdwa v[76:77], v40 src0_sel:WORD_1
	v_mfma_f32_16x16x16_bf16 v[70:73], v[70:71], v[34:35], 0
	v_perm_b32 v53, v39, v38, s33
	v_perm_b32 v38, v75, v74, s33
	;; [unrolled: 1-line block ×3, first 2 shown]
	v_cvt_pk_f32_fp8_e32 v[74:75], v41
	v_cvt_pk_f32_fp8_sdwa v[40:41], v41 src0_sel:WORD_1
	v_mfma_f32_16x16x16_bf16 v[34:37], v[52:53], v[36:37], v[70:73]
	s_load_dword s6, s[40:41], 0x0
	v_perm_b32 v52, v75, v74, s33
	v_perm_b32 v53, v41, v40, s33
	v_mfma_f32_16x16x16_bf16 v[70:73], v[38:39], v[26:27], v[34:37]
	v_cvt_pk_f32_fp8_sdwa v[40:41], v18 src0_sel:WORD_1
	s_waitcnt lgkmcnt(0)
	v_mul_f32_e32 v74, s6, v65
	s_mov_b32 s40, 0xff7fffff
	v_cvt_pk_f32_fp8_e32 v[34:35], v18
	v_pk_mul_f32 v[36:37], v[74:75], v[42:43] op_sel_hi:[0,1]
	v_cvt_pk_f32_fp8_e32 v[42:43], v19
	v_cvt_pk_f32_fp8_sdwa v[18:19], v19 src0_sel:WORD_1
	v_perm_b32 v34, v35, v34, s33
	v_perm_b32 v35, v41, v40, s33
	v_mfma_f32_16x16x16_bf16 v[26:29], v[52:53], v[28:29], v[70:73]
	v_perm_b32 v40, v43, v42, s33
	v_perm_b32 v41, v19, v18, s33
	v_cvt_pk_f32_fp8_e32 v[18:19], v20
	v_cvt_pk_f32_fp8_sdwa v[42:43], v20 src0_sel:WORD_1
	v_mfma_f32_16x16x16_bf16 v[26:29], v[34:35], v[14:15], v[26:29]
	v_cvt_pk_f32_fp8_e32 v[34:35], v21
	v_perm_b32 v18, v19, v18, s33
	v_perm_b32 v19, v43, v42, s33
	v_cvt_pk_f32_fp8_sdwa v[20:21], v21 src0_sel:WORD_1
	v_mfma_f32_16x16x16_bf16 v[14:17], v[40:41], v[16:17], v[26:29]
	v_pk_mul_f32 v[38:39], v[74:75], v[44:45] op_sel_hi:[0,1]
	v_pk_mul_f32 v[52:53], v[74:75], v[46:47] op_sel_hi:[0,1]
	;; [unrolled: 1-line block ×3, first 2 shown]
	v_perm_b32 v26, v35, v34, s33
	v_perm_b32 v27, v21, v20, s33
	v_mfma_f32_16x16x16_bf16 v[14:17], v[18:19], v[6:7], v[14:17]
	v_pk_mul_f32 v[40:41], v[74:75], v[66:67] op_sel_hi:[0,1]
	v_pk_mul_f32 v[44:45], v[74:75], v[68:69] op_sel_hi:[0,1]
	v_mad_i64_i32 v[64:65], s[6:7], v64, s45, v[50:51]
	v_mfma_f32_16x16x16_bf16 v[6:9], v[26:27], v[8:9], v[14:17]
	s_nop 6
	v_pk_mul_f32 v[42:43], v[74:75], v[6:7] op_sel_hi:[0,1]
	v_and_b32_e32 v6, 0xc0, v0
	v_add_u32_e32 v6, s18, v6
	v_lshl_or_b32 v6, v58, 2, v6
	v_pk_mul_f32 v[34:35], v[74:75], v[8:9] op_sel_hi:[0,1]
	v_or_b32_e32 v9, 1, v6
	v_mov_b32_e32 v7, 0xff7fffff
	v_cmp_gt_i32_e64 s[24:25], s5, v6
	v_cmp_gt_i32_e64 s[26:27], s5, v9
	v_or_b32_e32 v14, 3, v6
	v_cndmask_b32_e64 v8, v7, v36, s[24:25]
	v_cndmask_b32_e64 v9, v7, v37, s[26:27]
	v_max3_f32 v8, v8, s40, v9
	v_or_b32_e32 v9, 2, v6
	v_cmp_gt_i32_e64 s[28:29], s5, v9
	v_cmp_gt_i32_e64 s[30:31], s5, v14
	s_nop 0
	v_cndmask_b32_e64 v9, v7, v38, s[28:29]
	v_cndmask_b32_e64 v14, v7, v39, s[30:31]
	v_max3_f32 v8, v8, v9, v14
	v_or_b32_e32 v9, 16, v6
	v_or_b32_e32 v14, 17, v6
	v_cmp_gt_i32_e64 s[34:35], s5, v9
	v_cmp_gt_i32_e64 s[36:37], s5, v14
	s_nop 0
	v_cndmask_b32_e64 v9, v7, v52, s[34:35]
	v_cndmask_b32_e64 v14, v7, v53, s[36:37]
	v_max3_f32 v8, v8, v9, v14
	v_or_b32_e32 v9, 18, v6
	;; [unrolled: 8-line block ×6, first 2 shown]
	v_or_b32_e32 v6, 51, v6
	v_cmp_gt_i32_e32 vcc, s5, v9
	v_cmp_gt_i32_e64 s[4:5], s5, v6
	s_nop 0
	v_cndmask_b32_e32 v9, v7, v34, vcc
	v_cndmask_b32_e64 v6, v7, v35, s[4:5]
	v_max3_f32 v8, v8, v9, v6
	v_mbcnt_lo_u32_b32 v6, -1, 0
	v_mbcnt_hi_u32_b32 v9, -1, v6
	v_and_b32_e32 v6, 64, v9
	v_add_u32_e32 v14, 64, v6
	v_xor_b32_e32 v6, 32, v9
	v_cmp_lt_i32_e64 s[38:39], v6, v14
	s_nop 1
	v_cndmask_b32_e64 v6, v9, v6, s[38:39]
	v_lshlrev_b32_e32 v66, 2, v6
	ds_bpermute_b32 v15, v66, v8
	v_mad_i64_i32 v[6:7], s[38:39], v63, s45, v[50:51]
	global_load_dwordx4 v[26:29], v[64:65], off
	global_load_dwordx4 v[18:21], v[6:7], off
	s_waitcnt lgkmcnt(0)
	v_max_f32_e32 v6, v15, v15
	v_max_f32_e32 v15, v8, v6
	v_xor_b32_e32 v6, 16, v9
	v_cmp_lt_i32_e64 s[38:39], v6, v14
	s_nop 1
	v_cndmask_b32_e64 v6, v9, v6, s[38:39]
	v_lshlrev_b32_e32 v63, 2, v6
	ds_bpermute_b32 v14, v63, v15
	v_mad_i64_i32 v[6:7], s[38:39], v61, s45, v[50:51]
	v_mad_i64_i32 v[8:9], s[38:39], v62, s45, v[50:51]
	s_waitcnt lgkmcnt(0)
	v_max_f32_e32 v14, v14, v14
	v_max_f32_e32 v50, v15, v14
	v_sub_f32_e32 v14, v36, v50
	v_mul_f32_e32 v14, 0x3fb8aa3b, v14
	v_exp_f32_e32 v36, v14
	v_sub_f32_e32 v14, v37, v50
	v_mul_f32_e32 v14, 0x3fb8aa3b, v14
	v_exp_f32_e32 v37, v14
	global_load_dwordx4 v[14:17], v[6:7], off
	s_nop 0
	global_load_dwordx4 v[6:9], v[8:9], off
	v_sub_f32_e32 v38, v38, v50
	v_mul_f32_e32 v38, 0x3fb8aa3b, v38
	v_sub_f32_e32 v39, v39, v50
	v_exp_f32_e32 v38, v38
	v_mul_f32_e32 v39, 0x3fb8aa3b, v39
	v_exp_f32_e32 v39, v39
	v_cndmask_b32_e64 v36, 0, v36, s[24:25]
	v_add_f32_e32 v46, 0, v36
	v_cndmask_b32_e64 v37, 0, v37, s[26:27]
	v_add_f32_e32 v47, v46, v37
	;; [unrolled: 2-line block ×3, first 2 shown]
	v_cndmask_b32_e64 v47, 0, v39, s[30:31]
	v_sub_f32_e32 v39, v52, v50
	v_mul_f32_e32 v39, 0x3fb8aa3b, v39
	v_sub_f32_e32 v51, v53, v50
	v_exp_f32_e32 v39, v39
	v_mul_f32_e32 v51, 0x3fb8aa3b, v51
	v_sub_f32_e32 v48, v48, v50
	v_exp_f32_e32 v51, v51
	v_mul_f32_e32 v48, 0x3fb8aa3b, v48
	v_sub_f32_e32 v49, v49, v50
	v_exp_f32_e32 v48, v48
	v_mul_f32_e32 v49, 0x3fb8aa3b, v49
	v_sub_f32_e32 v40, v40, v50
	v_exp_f32_e32 v49, v49
	v_mul_f32_e32 v40, 0x3fb8aa3b, v40
	v_sub_f32_e32 v41, v41, v50
	v_add_f32_e32 v52, v38, v47
	v_cndmask_b32_e64 v38, 0, v39, s[34:35]
	v_exp_f32_e32 v40, v40
	v_mul_f32_e32 v41, 0x3fb8aa3b, v41
	v_sub_f32_e32 v44, v44, v50
	v_add_f32_e32 v52, v52, v38
	v_cndmask_b32_e64 v39, 0, v51, s[36:37]
	v_exp_f32_e32 v41, v41
	;; [unrolled: 5-line block ×7, first 2 shown]
	v_mul_f32_e32 v35, 0x3fb8aa3b, v35
	v_add_f32_e32 v51, v51, v44
	v_cndmask_b32_e64 v45, 0, v45, s[12:13]
	v_exp_f32_e32 v35, v35
	v_add_f32_e32 v51, v51, v45
	v_cndmask_b32_e64 v42, 0, v42, s[6:7]
	v_add_f32_e32 v51, v51, v42
	v_cndmask_b32_e64 v43, 0, v43, s[8:9]
	v_add_f32_e32 v51, v51, v43
	v_cndmask_b32_e32 v34, 0, v34, vcc
	v_add_f32_e32 v51, v51, v34
	v_cndmask_b32_e64 v35, 0, v35, s[4:5]
	v_add_f32_e32 v51, v51, v35
	ds_bpermute_b32 v52, v66, v51
	v_cmp_gt_u32_e32 vcc, 16, v60
	s_waitcnt lgkmcnt(0)
	s_barrier
	v_add_f32_e32 v51, v51, v52
	ds_bpermute_b32 v52, v63, v51
	s_and_saveexec_b64 s[4:5], vcc
	s_cbranch_execz .LBB1366_13
; %bb.12:
	s_waitcnt lgkmcnt(0)
	v_add_f32_e32 v51, v51, v52
	v_lshlrev_b32_e32 v52, 2, v55
	ds_write2st64_b32 v52, v50, v51 offset1:1
.LBB1366_13:
	s_or_b64 exec, exec, s[4:5]
	v_lshlrev_b32_e32 v51, 2, v56
	s_load_dword s6, s[0:1], 0x94
	s_waitcnt lgkmcnt(0)
	s_barrier
	ds_read2_b32 v[52:53], v51 offset1:16
	ds_read2_b32 v[60:61], v51 offset0:32 offset1:48
	ds_read2_b32 v[62:63], v51 offset0:64 offset1:80
	s_movk_i32 s8, 0x7fff
	s_mul_i32 s7, s23, 3
	s_waitcnt lgkmcnt(2)
	v_max3_f32 v50, v52, s40, v53
	s_waitcnt lgkmcnt(1)
	v_max3_f32 v50, v50, v60, v61
	v_sub_f32_e32 v52, v52, v50
	v_mul_f32_e32 v52, 0x3fb8aa3b, v52
	v_exp_f32_e32 v55, v52
	v_sub_f32_e32 v52, v53, v50
	v_mul_f32_e32 v52, 0x3fb8aa3b, v52
	v_exp_f32_e32 v64, v52
	;; [unrolled: 3-line block ×3, first 2 shown]
	ds_read2_b32 v[52:53], v51 offset0:96 offset1:112
	v_sub_f32_e32 v51, v61, v50
	v_mul_f32_e32 v51, 0x3fb8aa3b, v51
	v_exp_f32_e32 v61, v51
	s_waitcnt lgkmcnt(1)
	v_fma_f32 v51, v55, v62, 0
	v_fmac_f32_e32 v51, v64, v63
	s_waitcnt lgkmcnt(0)
	v_fmac_f32_e32 v51, v60, v52
	v_fmac_f32_e32 v51, v61, v53
	v_add_f32_e32 v52, 0x358637bd, v51
	v_div_scale_f32 v53, s[4:5], v52, v52, 1.0
	v_rcp_f32_e32 v62, v53
	s_barrier
	v_fma_f32 v63, -v53, v62, 1.0
	v_fmac_f32_e32 v62, v63, v62
	v_div_scale_f32 v63, vcc, 1.0, v52, 1.0
	v_mul_f32_e32 v65, v63, v62
	v_fma_f32 v66, -v53, v65, v63
	v_fmac_f32_e32 v65, v66, v62
	v_fma_f32 v53, -v53, v65, v63
	v_div_fmas_f32 v53, v53, v62, v65
	v_cmp_eq_u32_e32 vcc, 1, v57
	v_div_fixup_f32 v52, v53, v52, 1.0
	s_nop 0
	v_cndmask_b32_e32 v53, v55, v64, vcc
	v_cmp_eq_u32_e32 vcc, 2, v57
	s_nop 1
	v_cndmask_b32_e32 v53, v53, v60, vcc
	v_cmp_eq_u32_e32 vcc, 3, v57
	s_nop 1
	v_cndmask_b32_e32 v53, v53, v61, vcc
	v_mul_f32_e32 v52, v53, v52
	v_pk_mul_f32 v[36:37], v[52:53], v[36:37] op_sel_hi:[0,1]
	v_pk_mul_f32 v[46:47], v[52:53], v[46:47] op_sel_hi:[0,1]
	v_bfe_u32 v53, v37, 16, 1
	v_bfe_u32 v55, v36, 16, 1
	v_add3_u32 v36, v36, v55, s8
	v_add3_u32 v37, v37, v53, s8
	v_perm_b32 v60, v37, v36, s33
	v_bfe_u32 v36, v47, 16, 1
	v_bfe_u32 v37, v46, 16, 1
	v_add3_u32 v37, v46, v37, s8
	v_add3_u32 v36, v47, v36, s8
	v_perm_b32 v61, v36, v37, s33
	v_lshlrev_b32_e32 v37, 3, v58
	v_lshlrev_b32_e32 v36, 5, v56
	v_lshlrev_b32_e32 v46, 11, v57
	v_pk_mul_f32 v[38:39], v[52:53], v[38:39] op_sel_hi:[0,1]
	v_or3_b32 v55, v46, v36, v37
	v_pk_mul_f32 v[46:47], v[52:53], v[48:49] op_sel_hi:[0,1]
	v_bfe_u32 v37, v39, 16, 1
	v_bfe_u32 v48, v38, 16, 1
	v_add3_u32 v38, v38, v48, s8
	v_add3_u32 v37, v39, v37, s8
	v_perm_b32 v38, v37, v38, s33
	v_bfe_u32 v37, v47, 16, 1
	v_bfe_u32 v39, v46, 16, 1
	v_add3_u32 v39, v46, v39, s8
	v_add3_u32 v37, v47, v37, s8
	v_perm_b32 v39, v37, v39, s33
	v_pk_mul_f32 v[40:41], v[52:53], v[40:41] op_sel_hi:[0,1]
	ds_write2st64_b64 v55, v[60:61], v[38:39] offset1:1
	v_pk_mul_f32 v[38:39], v[52:53], v[44:45] op_sel_hi:[0,1]
	v_bfe_u32 v37, v41, 16, 1
	v_bfe_u32 v44, v40, 16, 1
	v_add3_u32 v40, v40, v44, s8
	v_add3_u32 v37, v41, v37, s8
	v_perm_b32 v40, v37, v40, s33
	v_bfe_u32 v37, v39, 16, 1
	v_bfe_u32 v41, v38, 16, 1
	v_add3_u32 v38, v38, v41, s8
	v_add3_u32 v37, v39, v37, s8
	v_perm_b32 v41, v37, v38, s33
	v_pk_mul_f32 v[38:39], v[52:53], v[42:43] op_sel_hi:[0,1]
	v_bfe_u32 v37, v39, 16, 1
	v_bfe_u32 v42, v38, 16, 1
	v_pk_mul_f32 v[34:35], v[52:53], v[34:35] op_sel_hi:[0,1]
	v_add3_u32 v38, v38, v42, s8
	v_add3_u32 v37, v39, v37, s8
	v_perm_b32 v38, v37, v38, s33
	v_bfe_u32 v37, v35, 16, 1
	v_bfe_u32 v39, v34, 16, 1
	v_add3_u32 v34, v34, v39, s8
	v_add3_u32 v35, v35, v37, s8
	v_perm_b32 v39, v35, v34, s33
	v_cmp_gt_u32_e32 vcc, 3, v0
	ds_write2st64_b64 v55, v[40:41], v[38:39] offset0:2 offset1:3
	s_and_saveexec_b64 s[4:5], vcc
	s_cbranch_execz .LBB1366_15
; %bb.14:
	s_mov_b32 s49, 0
	v_mov_b32_e32 v57, 0
	v_lshl_add_u64 v[34:35], s[48:49], 0, v[56:57]
	v_mov_b32_e32 v37, s7
	v_mad_u64_u32 v[34:35], s[10:11], s2, v37, v[34:35]
	s_mul_i32 s3, s3, s7
	v_mov_b32_e32 v38, s22
	v_mov_b32_e32 v39, v57
	s_load_dwordx4 s[12:15], s[0:1], 0x58
	v_add_u32_e32 v37, s3, v35
	v_mad_u64_u32 v[34:35], s[10:11], v34, s6, v[38:39]
	v_mov_b32_e32 v38, v35
	v_mad_u64_u32 v[38:39], s[10:11], v37, s6, v[38:39]
	v_mov_b32_e32 v35, v38
	v_lshlrev_b64 v[34:35], 2, v[34:35]
	s_waitcnt lgkmcnt(0)
	v_lshl_add_u64 v[38:39], s[14:15], 0, v[34:35]
	v_lshl_add_u64 v[34:35], s[12:13], 0, v[34:35]
	global_store_dword v[38:39], v50, off
	global_store_dword v[34:35], v51, off
.LBB1366_15:
	s_or_b64 exec, exec, s[4:5]
	v_lshl_or_b32 v50, v58, 9, v36
	s_waitcnt vmcnt(7)
	v_cvt_pk_f32_fp8_e32 v[34:35], v30
	v_cvt_pk_f32_fp8_sdwa v[36:37], v30 src0_sel:WORD_1
	s_mov_b32 s5, 0x7060302
	s_waitcnt lgkmcnt(0)
	s_barrier
	v_cvt_pk_f32_fp8_e32 v[38:39], v31
	v_perm_b32 v30, v35, v34, s5
	v_cvt_pk_f32_fp8_sdwa v[40:41], v31 src0_sel:WORD_1
	v_perm_b32 v31, v37, v36, s5
	ds_read_b128 v[34:37], v50
	v_perm_b32 v46, v39, v38, s5
	v_perm_b32 v47, v41, v40, s5
	ds_read_b128 v[38:41], v50 offset:16
	v_cvt_pk_f32_fp8_e32 v[48:49], v32
	v_cvt_pk_f32_fp8_sdwa v[52:53], v32 src0_sel:WORD_1
	s_waitcnt lgkmcnt(1)
	v_mfma_f32_16x16x16_bf16 v[42:45], v[30:31], v[34:35], 0
	s_waitcnt vmcnt(6)
	v_cvt_pk_f32_fp8_e32 v[60:61], v24
	v_perm_b32 v30, v49, v48, s5
	v_perm_b32 v31, v53, v52, s5
	v_cvt_pk_f32_fp8_e32 v[48:49], v33
	v_mfma_f32_16x16x16_bf16 v[42:45], v[46:47], v[36:37], v[42:45]
	v_cvt_pk_f32_fp8_sdwa v[46:47], v33 src0_sel:WORD_1
	v_cvt_pk_f32_fp8_sdwa v[62:63], v24 src0_sel:WORD_1
	v_perm_b32 v48, v49, v48, s5
	s_waitcnt lgkmcnt(0)
	v_mfma_f32_16x16x16_bf16 v[30:33], v[30:31], v[38:39], v[42:45]
	v_perm_b32 v49, v47, v46, s5
	s_waitcnt vmcnt(5)
	v_cvt_pk_f32_fp8_e32 v[64:65], v12
	v_cvt_pk_f32_fp8_sdwa v[66:67], v12 src0_sel:WORD_1
	v_cvt_pk_f32_fp8_e32 v[42:43], v22
	v_mfma_f32_16x16x16_bf16 v[46:49], v[48:49], v[40:41], v[30:33]
	s_waitcnt vmcnt(4)
	v_cvt_pk_f32_fp8_sdwa v[68:69], v4 src0_sel:WORD_1
	s_load_dword s4, s[42:43], 0x0
	v_cvt_pk_f32_fp8_sdwa v[30:31], v22 src0_sel:WORD_1
	v_cvt_pk_f32_fp8_e32 v[32:33], v23
	v_perm_b32 v22, v43, v42, s5
	v_cvt_pk_f32_fp8_sdwa v[42:43], v23 src0_sel:WORD_1
	v_perm_b32 v23, v31, v30, s5
	v_perm_b32 v52, v33, v32, s5
	ds_read_b128 v[30:33], v50 offset:2048
	v_perm_b32 v53, v43, v42, s5
	ds_read_b128 v[42:45], v50 offset:2064
	s_waitcnt lgkmcnt(0)
	v_mfma_f32_16x16x16_bf16 v[46:49], v[22:23], v[30:31], v[46:49]
	v_perm_b32 v22, v61, v60, s5
	v_perm_b32 v23, v63, v62, s5
	v_cvt_pk_f32_fp8_e32 v[60:61], v25
	v_mfma_f32_16x16x16_bf16 v[46:49], v[52:53], v[32:33], v[46:49]
	v_cvt_pk_f32_fp8_sdwa v[52:53], v25 src0_sel:WORD_1
	s_waitcnt vmcnt(3)
	v_cvt_pk_f32_fp8_sdwa v[70:71], v28 src0_sel:WORD_1
	v_perm_b32 v60, v61, v60, s5
	v_mfma_f32_16x16x16_bf16 v[22:25], v[22:23], v[42:43], v[46:49]
	v_perm_b32 v61, v53, v52, s5
	v_cmp_gt_u32_e32 vcc, 64, v0
	s_mov_b32 s3, 0
	v_cvt_pk_f32_fp8_e32 v[46:47], v10
	v_mfma_f32_16x16x16_bf16 v[60:63], v[60:61], v[44:45], v[22:25]
	s_nop 2
	v_cvt_pk_f32_fp8_sdwa v[22:23], v10 src0_sel:WORD_1
	v_cvt_pk_f32_fp8_e32 v[24:25], v11
	v_perm_b32 v10, v47, v46, s5
	v_cvt_pk_f32_fp8_sdwa v[46:47], v11 src0_sel:WORD_1
	v_perm_b32 v11, v23, v22, s5
	v_perm_b32 v52, v25, v24, s5
	ds_read_b128 v[22:25], v50 offset:4096
	v_perm_b32 v53, v47, v46, s5
	ds_read_b128 v[46:49], v50 offset:4112
	s_waitcnt lgkmcnt(1)
	v_mfma_f32_16x16x16_bf16 v[60:63], v[10:11], v[22:23], v[60:63]
	v_perm_b32 v10, v65, v64, s5
	v_perm_b32 v11, v67, v66, s5
	v_cvt_pk_f32_fp8_e32 v[64:65], v13
	v_mfma_f32_16x16x16_bf16 v[60:63], v[52:53], v[24:25], v[60:63]
	v_cvt_pk_f32_fp8_sdwa v[52:53], v13 src0_sel:WORD_1
	v_cvt_pk_f32_fp8_e32 v[66:67], v4
	v_perm_b32 v64, v65, v64, s5
	s_waitcnt lgkmcnt(0)
	v_mfma_f32_16x16x16_bf16 v[10:13], v[10:11], v[46:47], v[60:63]
	v_perm_b32 v65, v53, v52, s5
	v_cvt_pk_f32_fp8_e32 v[52:53], v2
	s_nop 0
	v_mfma_f32_16x16x16_bf16 v[60:63], v[64:65], v[48:49], v[10:13]
	s_nop 2
	v_cvt_pk_f32_fp8_sdwa v[10:11], v2 src0_sel:WORD_1
	v_cvt_pk_f32_fp8_e32 v[12:13], v3
	v_perm_b32 v2, v53, v52, s5
	v_cvt_pk_f32_fp8_sdwa v[52:53], v3 src0_sel:WORD_1
	v_perm_b32 v3, v11, v10, s5
	v_perm_b32 v64, v13, v12, s5
	ds_read_b128 v[10:13], v50 offset:6144
	v_perm_b32 v65, v53, v52, s5
	s_waitcnt lgkmcnt(0)
	v_mfma_f32_16x16x16_bf16 v[60:63], v[2:3], v[10:11], v[60:63]
	ds_read_b128 v[50:53], v50 offset:6160
	v_perm_b32 v2, v67, v66, s5
	v_perm_b32 v3, v69, v68, s5
	v_cvt_pk_f32_fp8_e32 v[66:67], v5
	v_mfma_f32_16x16x16_bf16 v[60:63], v[64:65], v[12:13], v[60:63]
	v_cvt_pk_f32_fp8_sdwa v[64:65], v5 src0_sel:WORD_1
	v_cvt_pk_f32_fp8_e32 v[68:69], v28
	v_perm_b32 v66, v67, v66, s5
	s_waitcnt lgkmcnt(0)
	v_mfma_f32_16x16x16_bf16 v[2:5], v[2:3], v[50:51], v[60:63]
	v_perm_b32 v67, v65, v64, s5
	s_barrier
	s_nop 0
	v_mfma_f32_16x16x16_bf16 v[60:63], v[66:67], v[52:53], v[2:5]
	s_nop 2
	v_cvt_pk_f32_fp8_e32 v[4:5], v26
	v_perm_b32 v4, v5, v4, s5
	s_nop 1
	v_pk_mul_f32 v[2:3], v[62:63], s[4:5] op_sel_hi:[1,0]
	v_cvt_pk_f32_fp8_sdwa v[62:63], v26 src0_sel:WORD_1
	v_pk_mul_f32 v[64:65], v[60:61], s[4:5] op_sel_hi:[1,0]
	v_cvt_pk_f32_fp8_e32 v[60:61], v27
	v_cvt_pk_f32_fp8_sdwa v[26:27], v27 src0_sel:WORD_1
	v_perm_b32 v5, v63, v62, s5
	v_bfe_u32 v57, v65, 16, 1
	v_perm_b32 v66, v61, v60, s5
	v_perm_b32 v67, v27, v26, s5
	v_mfma_f32_16x16x16_bf16 v[60:63], v[4:5], v[34:35], 0
	v_perm_b32 v4, v69, v68, s5
	v_perm_b32 v5, v71, v70, s5
	v_cvt_pk_f32_fp8_e32 v[34:35], v29
	v_cvt_pk_f32_fp8_sdwa v[68:69], v29 src0_sel:WORD_1
	v_mfma_f32_16x16x16_bf16 v[26:29], v[66:67], v[36:37], v[60:63]
	s_waitcnt vmcnt(2)
	v_cvt_pk_f32_fp8_sdwa v[36:37], v18 src0_sel:WORD_1
	v_perm_b32 v34, v35, v34, s5
	v_perm_b32 v35, v69, v68, s5
	v_mfma_f32_16x16x16_bf16 v[26:29], v[4:5], v[38:39], v[26:29]
	v_cvt_pk_f32_fp8_e32 v[4:5], v18
	v_cvt_pk_f32_fp8_sdwa v[38:39], v20 src0_sel:WORD_1
	v_bfe_u32 v60, v64, 16, 1
	v_mfma_f32_16x16x16_bf16 v[26:29], v[34:35], v[40:41], v[26:29]
	v_cvt_pk_f32_fp8_e32 v[34:35], v19
	v_perm_b32 v4, v5, v4, s5
	v_perm_b32 v5, v37, v36, s5
	v_cvt_pk_f32_fp8_sdwa v[18:19], v19 src0_sel:WORD_1
	v_perm_b32 v34, v35, v34, s5
	v_cvt_pk_f32_fp8_e32 v[36:37], v20
	v_mfma_f32_16x16x16_bf16 v[26:29], v[4:5], v[30:31], v[26:29]
	v_perm_b32 v35, v19, v18, s5
	v_perm_b32 v4, v37, v36, s5
	;; [unrolled: 1-line block ×3, first 2 shown]
	v_cvt_pk_f32_fp8_e32 v[30:31], v21
	v_cvt_pk_f32_fp8_sdwa v[36:37], v21 src0_sel:WORD_1
	v_mfma_f32_16x16x16_bf16 v[18:21], v[34:35], v[32:33], v[26:29]
	v_add3_u32 v32, v64, v60, s8
	v_add3_u32 v33, v65, v57, s8
	s_nop 0
	v_perm_b32 v26, v31, v30, s5
	v_perm_b32 v27, v37, v36, s5
	v_mfma_f32_16x16x16_bf16 v[18:21], v[4:5], v[42:43], v[18:21]
	s_waitcnt vmcnt(1)
	v_cvt_pk_f32_fp8_e32 v[4:5], v14
	v_cvt_pk_f32_fp8_sdwa v[28:29], v14 src0_sel:WORD_1
	v_cvt_pk_f32_fp8_sdwa v[30:31], v16 src0_sel:WORD_1
	v_mfma_f32_16x16x16_bf16 v[18:21], v[26:27], v[44:45], v[18:21]
	v_cvt_pk_f32_fp8_e32 v[26:27], v15
	v_perm_b32 v4, v5, v4, s5
	v_perm_b32 v5, v29, v28, s5
	v_cvt_pk_f32_fp8_sdwa v[14:15], v15 src0_sel:WORD_1
	v_perm_b32 v26, v27, v26, s5
	v_cvt_pk_f32_fp8_e32 v[28:29], v16
	v_mfma_f32_16x16x16_bf16 v[18:21], v[4:5], v[22:23], v[18:21]
	v_perm_b32 v27, v15, v14, s5
	v_perm_b32 v4, v29, v28, s5
	;; [unrolled: 1-line block ×3, first 2 shown]
	v_cvt_pk_f32_fp8_e32 v[22:23], v17
	v_cvt_pk_f32_fp8_sdwa v[28:29], v17 src0_sel:WORD_1
	v_mfma_f32_16x16x16_bf16 v[14:17], v[26:27], v[24:25], v[18:21]
	s_waitcnt vmcnt(0)
	v_cvt_pk_f32_fp8_sdwa v[24:25], v8 src0_sel:WORD_1
	s_nop 0
	v_perm_b32 v20, v23, v22, s5
	v_perm_b32 v21, v29, v28, s5
	v_mfma_f32_16x16x16_bf16 v[14:17], v[4:5], v[46:47], v[14:17]
	v_cvt_pk_f32_fp8_e32 v[4:5], v6
	v_cvt_pk_f32_fp8_sdwa v[22:23], v6 src0_sel:WORD_1
	v_bfe_u32 v19, v3, 16, 1
	v_mfma_f32_16x16x16_bf16 v[14:17], v[20:21], v[48:49], v[14:17]
	v_cvt_pk_f32_fp8_e32 v[20:21], v7
	v_perm_b32 v4, v5, v4, s5
	v_perm_b32 v5, v23, v22, s5
	v_cvt_pk_f32_fp8_sdwa v[6:7], v7 src0_sel:WORD_1
	v_perm_b32 v20, v21, v20, s5
	v_cvt_pk_f32_fp8_e32 v[22:23], v8
	v_add3_u32 v3, v3, v19, s8
	v_perm_b32 v21, v7, v6, s5
	v_mfma_f32_16x16x16_bf16 v[4:7], v[4:5], v[10:11], v[14:17]
	v_perm_b32 v10, v23, v22, s5
	v_perm_b32 v11, v25, v24, s5
	;; [unrolled: 1-line block ×3, first 2 shown]
	v_cvt_pk_f32_fp8_e32 v[14:15], v9
	v_cvt_pk_f32_fp8_sdwa v[8:9], v9 src0_sel:WORD_1
	v_mfma_f32_16x16x16_bf16 v[4:7], v[20:21], v[12:13], v[4:7]
	v_bfe_u32 v16, v2, 16, 1
	v_perm_b32 v12, v15, v14, s5
	v_perm_b32 v13, v9, v8, s5
	v_mfma_f32_16x16x16_bf16 v[4:7], v[10:11], v[50:51], v[4:7]
	v_add3_u32 v2, v2, v16, s8
	v_perm_b32 v19, v3, v2, s5
	v_mfma_f32_16x16x16_bf16 v[2:5], v[12:13], v[52:53], v[4:7]
	s_nop 6
	v_pk_mul_f32 v[2:3], v[2:3], s[4:5] op_sel_hi:[1,0]
	v_pk_mul_f32 v[4:5], v[4:5], s[4:5] op_sel_hi:[1,0]
	v_bfe_u32 v6, v3, 16, 1
	v_bfe_u32 v7, v2, 16, 1
	v_add3_u32 v2, v2, v7, s8
	v_add3_u32 v3, v3, v6, s8
	v_perm_b32 v2, v3, v2, s5
	v_bfe_u32 v3, v5, 16, 1
	v_bfe_u32 v6, v4, 16, 1
	v_add3_u32 v4, v4, v6, s8
	v_add3_u32 v3, v5, v3, s8
	v_perm_b32 v3, v3, v4, s5
	v_cmp_ne_u32_e64 s[4:5], 3, v58
	s_and_b64 s[4:5], vcc, s[4:5]
	ds_write2st64_b64 v55, v[18:19], v[2:3] offset1:1
	s_waitcnt lgkmcnt(0)
	s_barrier
	s_and_saveexec_b64 s[8:9], s[4:5]
	s_cbranch_execz .LBB1366_17
; %bb.16:
	s_load_dwordx2 s[0:1], s[0:1], 0x68
	s_mul_i32 s2, s7, s2
	s_lshl_b32 s6, s6, 7
	v_lshlrev_b32_e32 v4, 6, v56
	s_mul_hi_u32 s5, s2, s6
	s_mul_i32 s4, s2, s6
	v_lshl_or_b32 v0, v0, 10, v4
	s_lshl_b64 s[4:5], s[4:5], 1
	v_lshlrev_b32_e32 v2, 5, v58
	v_and_b32_e32 v3, 16, v59
	v_and_b32_e32 v0, 0x1a00, v0
	s_waitcnt lgkmcnt(0)
	s_add_u32 s4, s0, s4
	v_or3_b32 v0, v0, v2, v3
	s_addc_u32 s5, s1, s5
	s_lshl_b32 s2, s22, 7
	ds_read_b128 v[2:5], v0
	s_lshl_b64 s[0:1], s[2:3], 1
	s_add_u32 s0, s4, s0
	s_addc_u32 s1, s5, s1
	v_mad_u64_u32 v[0:1], s[2:3], s6, v1, 0
	v_lshl_add_u64 v[0:1], v[0:1], 1, s[0:1]
	v_mov_b32_e32 v55, 0
	v_lshl_add_u64 v[0:1], v[0:1], 0, v[54:55]
	s_waitcnt lgkmcnt(0)
	global_store_dwordx4 v[0:1], v[2:5], off
.LBB1366_17:
	s_endpgm
	.section	.rodata,"a",@progbits
	.p2align	6, 0x0
	.amdhsa_kernel _Z39paged_attention_ll4mi_QKV_mfma16_kernelI14__hip_bfloat16hLN4vllm18Fp8KVCacheDataTypeE1EhLi32ELi128ELi256ELb0ELi3EEvPKT_PKT0_S8_ifPKiSA_SA_iPKfiiiPfSD_PS3_PT2_iSC_SC_
		.amdhsa_group_segment_fixed_size 8192
		.amdhsa_private_segment_fixed_size 0
		.amdhsa_kernarg_size 400
		.amdhsa_user_sgpr_count 2
		.amdhsa_user_sgpr_dispatch_ptr 0
		.amdhsa_user_sgpr_queue_ptr 0
		.amdhsa_user_sgpr_kernarg_segment_ptr 1
		.amdhsa_user_sgpr_dispatch_id 0
		.amdhsa_user_sgpr_kernarg_preload_length 0
		.amdhsa_user_sgpr_kernarg_preload_offset 0
		.amdhsa_user_sgpr_private_segment_size 0
		.amdhsa_uses_dynamic_stack 0
		.amdhsa_enable_private_segment 0
		.amdhsa_system_sgpr_workgroup_id_x 1
		.amdhsa_system_sgpr_workgroup_id_y 1
		.amdhsa_system_sgpr_workgroup_id_z 1
		.amdhsa_system_sgpr_workgroup_info 0
		.amdhsa_system_vgpr_workitem_id 0
		.amdhsa_next_free_vgpr 82
		.amdhsa_next_free_sgpr 50
		.amdhsa_accum_offset 84
		.amdhsa_reserve_vcc 1
		.amdhsa_float_round_mode_32 0
		.amdhsa_float_round_mode_16_64 0
		.amdhsa_float_denorm_mode_32 3
		.amdhsa_float_denorm_mode_16_64 3
		.amdhsa_dx10_clamp 1
		.amdhsa_ieee_mode 1
		.amdhsa_fp16_overflow 0
		.amdhsa_tg_split 0
		.amdhsa_exception_fp_ieee_invalid_op 0
		.amdhsa_exception_fp_denorm_src 0
		.amdhsa_exception_fp_ieee_div_zero 0
		.amdhsa_exception_fp_ieee_overflow 0
		.amdhsa_exception_fp_ieee_underflow 0
		.amdhsa_exception_fp_ieee_inexact 0
		.amdhsa_exception_int_div_zero 0
	.end_amdhsa_kernel
	.section	.text._Z39paged_attention_ll4mi_QKV_mfma16_kernelI14__hip_bfloat16hLN4vllm18Fp8KVCacheDataTypeE1EhLi32ELi128ELi256ELb0ELi3EEvPKT_PKT0_S8_ifPKiSA_SA_iPKfiiiPfSD_PS3_PT2_iSC_SC_,"axG",@progbits,_Z39paged_attention_ll4mi_QKV_mfma16_kernelI14__hip_bfloat16hLN4vllm18Fp8KVCacheDataTypeE1EhLi32ELi128ELi256ELb0ELi3EEvPKT_PKT0_S8_ifPKiSA_SA_iPKfiiiPfSD_PS3_PT2_iSC_SC_,comdat
.Lfunc_end1366:
	.size	_Z39paged_attention_ll4mi_QKV_mfma16_kernelI14__hip_bfloat16hLN4vllm18Fp8KVCacheDataTypeE1EhLi32ELi128ELi256ELb0ELi3EEvPKT_PKT0_S8_ifPKiSA_SA_iPKfiiiPfSD_PS3_PT2_iSC_SC_, .Lfunc_end1366-_Z39paged_attention_ll4mi_QKV_mfma16_kernelI14__hip_bfloat16hLN4vllm18Fp8KVCacheDataTypeE1EhLi32ELi128ELi256ELb0ELi3EEvPKT_PKT0_S8_ifPKiSA_SA_iPKfiiiPfSD_PS3_PT2_iSC_SC_
                                        ; -- End function
	.section	.AMDGPU.csdata,"",@progbits
; Kernel info:
; codeLenInByte = 6340
; NumSgprs: 56
; NumVgprs: 82
; NumAgprs: 0
; TotalNumVgprs: 82
; ScratchSize: 0
; MemoryBound: 0
; FloatMode: 240
; IeeeMode: 1
; LDSByteSize: 8192 bytes/workgroup (compile time only)
; SGPRBlocks: 6
; VGPRBlocks: 10
; NumSGPRsForWavesPerEU: 56
; NumVGPRsForWavesPerEU: 82
; AccumOffset: 84
; Occupancy: 5
; WaveLimiterHint : 1
; COMPUTE_PGM_RSRC2:SCRATCH_EN: 0
; COMPUTE_PGM_RSRC2:USER_SGPR: 2
; COMPUTE_PGM_RSRC2:TRAP_HANDLER: 0
; COMPUTE_PGM_RSRC2:TGID_X_EN: 1
; COMPUTE_PGM_RSRC2:TGID_Y_EN: 1
; COMPUTE_PGM_RSRC2:TGID_Z_EN: 1
; COMPUTE_PGM_RSRC2:TIDIG_COMP_CNT: 0
; COMPUTE_PGM_RSRC3_GFX90A:ACCUM_OFFSET: 20
; COMPUTE_PGM_RSRC3_GFX90A:TG_SPLIT: 0
	.section	.text._Z39paged_attention_ll4mi_QKV_mfma16_kernelI14__hip_bfloat16hLN4vllm18Fp8KVCacheDataTypeE1EhLi32ELi128ELi256ELb0ELi4EEvPKT_PKT0_S8_ifPKiSA_SA_iPKfiiiPfSD_PS3_PT2_iSC_SC_,"axG",@progbits,_Z39paged_attention_ll4mi_QKV_mfma16_kernelI14__hip_bfloat16hLN4vllm18Fp8KVCacheDataTypeE1EhLi32ELi128ELi256ELb0ELi4EEvPKT_PKT0_S8_ifPKiSA_SA_iPKfiiiPfSD_PS3_PT2_iSC_SC_,comdat
	.protected	_Z39paged_attention_ll4mi_QKV_mfma16_kernelI14__hip_bfloat16hLN4vllm18Fp8KVCacheDataTypeE1EhLi32ELi128ELi256ELb0ELi4EEvPKT_PKT0_S8_ifPKiSA_SA_iPKfiiiPfSD_PS3_PT2_iSC_SC_ ; -- Begin function _Z39paged_attention_ll4mi_QKV_mfma16_kernelI14__hip_bfloat16hLN4vllm18Fp8KVCacheDataTypeE1EhLi32ELi128ELi256ELb0ELi4EEvPKT_PKT0_S8_ifPKiSA_SA_iPKfiiiPfSD_PS3_PT2_iSC_SC_
	.globl	_Z39paged_attention_ll4mi_QKV_mfma16_kernelI14__hip_bfloat16hLN4vllm18Fp8KVCacheDataTypeE1EhLi32ELi128ELi256ELb0ELi4EEvPKT_PKT0_S8_ifPKiSA_SA_iPKfiiiPfSD_PS3_PT2_iSC_SC_
	.p2align	8
	.type	_Z39paged_attention_ll4mi_QKV_mfma16_kernelI14__hip_bfloat16hLN4vllm18Fp8KVCacheDataTypeE1EhLi32ELi128ELi256ELb0ELi4EEvPKT_PKT0_S8_ifPKiSA_SA_iPKfiiiPfSD_PS3_PT2_iSC_SC_,@function
_Z39paged_attention_ll4mi_QKV_mfma16_kernelI14__hip_bfloat16hLN4vllm18Fp8KVCacheDataTypeE1EhLi32ELi128ELi256ELb0ELi4EEvPKT_PKT0_S8_ifPKiSA_SA_iPKfiiiPfSD_PS3_PT2_iSC_SC_: ; @_Z39paged_attention_ll4mi_QKV_mfma16_kernelI14__hip_bfloat16hLN4vllm18Fp8KVCacheDataTypeE1EhLi32ELi128ELi256ELb0ELi4EEvPKT_PKT0_S8_ifPKiSA_SA_iPKfiiiPfSD_PS3_PT2_iSC_SC_
; %bb.0:
	s_load_dwordx2 s[12:13], s[0:1], 0x30
	s_mov_b32 s24, s3
	s_mov_b64 s[6:7], 0
	s_waitcnt lgkmcnt(0)
	s_cmp_lg_u64 s[12:13], 0
	s_cselect_b64 s[14:15], -1, 0
	s_and_b64 vcc, exec, s[14:15]
	s_cbranch_vccz .LBB1367_7
; %bb.1:
	s_add_i32 s8, s2, 1
	s_mov_b32 s9, 0
	s_lshl_b64 s[10:11], s[8:9], 2
	s_add_u32 s10, s12, s10
	s_mov_b32 s3, s9
	s_addc_u32 s11, s13, s11
	s_lshl_b64 s[8:9], s[2:3], 2
	s_add_u32 s8, s12, s8
	s_addc_u32 s9, s13, s9
	s_load_dword s5, s[10:11], 0x0
	s_load_dword s16, s[8:9], 0x0
	s_waitcnt lgkmcnt(0)
	s_sub_i32 s5, s5, s16
	s_cmp_eq_u32 s5, 1
	s_cselect_b64 s[8:9], -1, 0
	s_andn2_b64 vcc, exec, s[6:7]
	s_cbranch_vccnz .LBB1367_3
.LBB1367_2:
	s_mov_b32 s3, 0
	s_mov_b64 s[8:9], -1
.LBB1367_3:
	s_andn2_b64 vcc, exec, s[8:9]
	s_cbranch_vccnz .LBB1367_17
; %bb.4:
	s_load_dwordx2 s[6:7], s[0:1], 0x28
	s_lshl_b64 s[16:17], s[2:3], 2
	s_waitcnt lgkmcnt(0)
	s_add_u32 s6, s6, s16
	s_addc_u32 s7, s7, s17
	s_load_dword s48, s[6:7], 0x0
	s_lshl_b32 s18, s24, 8
	s_waitcnt lgkmcnt(0)
	s_cmp_ge_i32 s18, s48
	s_cbranch_scc1 .LBB1367_17
; %bb.5:
	s_load_dwordx2 s[6:7], s[0:1], 0x20
	s_load_dword s8, s[0:1], 0x38
	s_add_i32 s5, s48, 31
	s_ashr_i32 s9, s5, 31
	v_and_b32_e32 v1, 0xcf, v0
	s_lshr_b32 s9, s9, 27
	v_add_u32_e32 v1, s18, v1
	s_add_i32 s5, s5, s9
	v_ashrrev_i32_e32 v2, 31, v1
	s_ashr_i32 s5, s5, 5
	v_lshrrev_b32_e32 v10, 27, v2
	s_add_i32 s5, s5, -1
	s_waitcnt lgkmcnt(0)
	s_mul_i32 s8, s2, s8
	s_mov_b32 s9, 0
	v_add_u32_e32 v2, v1, v10
	s_lshl_b64 s[8:9], s[8:9], 2
	v_ashrrev_i32_e32 v2, 5, v2
	v_mov_b32_e32 v11, s5
	v_cmp_gt_i32_e32 vcc, s48, v1
	s_add_u32 s6, s6, s8
	s_addc_u32 s7, s7, s9
	v_cndmask_b32_e32 v2, v11, v2, vcc
	v_ashrrev_i32_e32 v3, 31, v2
	v_lshl_add_u64 v[4:5], v[2:3], 2, s[6:7]
	v_or_b32_e32 v2, 16, v1
	v_add_u32_e32 v3, v2, v10
	v_ashrrev_i32_e32 v3, 5, v3
	v_cmp_gt_i32_e32 vcc, s48, v2
	s_load_dwordx4 s[8:11], s[0:1], 0x8
	s_nop 0
	v_cndmask_b32_e32 v2, v11, v3, vcc
	v_ashrrev_i32_e32 v3, 31, v2
	v_lshl_add_u64 v[6:7], v[2:3], 2, s[6:7]
	v_or_b32_e32 v2, 32, v1
	v_add_u32_e32 v3, v2, v10
	v_ashrrev_i32_e32 v3, 5, v3
	v_cmp_gt_i32_e32 vcc, s48, v2
	v_or_b32_e32 v1, 48, v1
	s_nop 0
	v_cndmask_b32_e32 v2, v11, v3, vcc
	v_ashrrev_i32_e32 v3, 31, v2
	v_lshl_add_u64 v[8:9], v[2:3], 2, s[6:7]
	v_add_u32_e32 v2, v1, v10
	v_ashrrev_i32_e32 v2, 5, v2
	v_cmp_gt_i32_e32 vcc, s48, v1
	s_nop 1
	v_cndmask_b32_e32 v2, v11, v2, vcc
	v_ashrrev_i32_e32 v3, 31, v2
	v_lshl_add_u64 v[10:11], v[2:3], 2, s[6:7]
	global_load_dword v2, v[4:5], off
	global_load_dword v32, v[6:7], off
	;; [unrolled: 1-line block ×4, first 2 shown]
	s_andn2_b64 vcc, exec, s[14:15]
	s_cbranch_vccnz .LBB1367_8
; %bb.6:
	s_add_u32 s12, s12, s16
	s_addc_u32 s13, s13, s17
	s_load_dword s14, s[12:13], 0x0
	s_branch .LBB1367_9
.LBB1367_7:
	s_mov_b64 s[8:9], 0
	s_branch .LBB1367_2
.LBB1367_8:
	s_mov_b32 s14, s2
.LBB1367_9:
	s_load_dwordx4 s[44:47], s[0:1], 0x48
	v_and_b32_e32 v60, 15, v0
	v_bfe_u32 v63, v0, 4, 2
	s_lshl_b32 s25, s4, 2
	v_lshlrev_b32_e32 v3, 3, v60
	v_lshrrev_b32_e32 v64, 6, v0
	v_and_b32_e32 v65, 63, v0
	v_or_b32_e32 v1, s25, v63
	v_cmp_gt_u32_e64 s[26:27], 64, v0
	v_lshlrev_b32_e32 v54, 1, v3
	v_lshlrev_b32_e32 v61, 5, v63
	;; [unrolled: 1-line block ×3, first 2 shown]
	s_and_saveexec_b64 s[12:13], s[26:27]
	s_cbranch_execz .LBB1367_11
; %bb.10:
	s_load_dwordx2 s[16:17], s[0:1], 0x0
	s_waitcnt lgkmcnt(0)
	s_ashr_i32 s15, s44, 31
	s_mul_hi_u32 s19, s14, s44
	s_mul_i32 s15, s14, s15
	s_add_i32 s15, s19, s15
	s_mul_i32 s14, s14, s44
	s_lshl_b64 s[14:15], s[14:15], 1
	s_add_u32 s14, s16, s14
	v_lshlrev_b32_e32 v4, 7, v1
	s_addc_u32 s15, s17, s15
	v_ashrrev_i32_e32 v5, 31, v4
	v_lshl_add_u64 v[4:5], v[4:5], 1, s[14:15]
	v_mov_b32_e32 v55, 0
	v_lshl_add_u64 v[4:5], v[4:5], 0, v[54:55]
	global_load_dwordx4 v[4:7], v[4:5], off
	v_lshlrev_b32_e32 v8, 8, v0
	v_lshlrev_b32_e32 v3, 8, v60
	v_and_b32_e32 v8, 0x600, v8
	s_movk_i32 s14, 0x800
	v_and_or_b32 v3, v3, s14, v8
	v_lshl_or_b32 v8, v64, 7, v61
	v_and_b32_e32 v9, 16, v62
	v_or3_b32 v3, v3, v8, v9
	s_waitcnt vmcnt(0)
	ds_write_b128 v3, v[4:7]
.LBB1367_11:
	s_or_b64 exec, exec, s[12:13]
	s_waitcnt lgkmcnt(0)
	s_mul_i32 s4, s4, s46
	s_add_u32 s8, s8, s4
	s_addc_u32 s9, s9, 0
	v_mov_b32_e32 v57, 0
	v_mov_b64_e32 v[24:25], s[8:9]
	v_and_b32_e32 v6, 48, v0
	s_waitcnt vmcnt(3)
	v_mad_i64_i32 v[2:3], s[8:9], v2, s45, v[24:25]
	v_lshlrev_b32_e32 v22, 4, v60
	v_mov_b32_e32 v23, v57
	v_lshlrev_b32_e32 v56, 5, v6
	v_lshl_add_u64 v[2:3], v[2:3], 0, v[22:23]
	v_lshl_add_u64 v[2:3], v[2:3], 0, v[56:57]
	s_load_dword s33, s[0:1], 0x98
	s_load_dwordx4 s[40:43], s[0:1], 0x80
	s_waitcnt lgkmcnt(0)
	s_barrier
	global_load_dwordx4 v[10:13], v[2:3], off
	v_and_b32_e32 v7, 3, v0
	global_load_dwordx4 v[2:5], v[2:3], off offset:2048
	v_or_b32_e32 v34, 0x100, v22
	v_mov_b32_e32 v35, v57
	s_waitcnt vmcnt(4)
	v_mad_i64_i32 v[32:33], s[12:13], v32, s45, v[24:25]
	v_lshlrev_b32_e32 v7, 5, v7
	s_waitcnt vmcnt(3)
	v_mad_i64_i32 v[36:37], s[12:13], v30, s45, v[24:25]
	s_waitcnt vmcnt(2)
	v_mad_i64_i32 v[24:25], s[12:13], v31, s45, v[24:25]
	v_lshl_add_u64 v[30:31], v[32:33], 0, v[34:35]
	v_or_b32_e32 v39, s18, v6
	v_lshl_or_b32 v6, v63, 9, v7
	v_lshl_add_u64 v[30:31], v[30:31], 0, v[56:57]
	ds_read_b128 v[26:29], v6
	ds_read_b128 v[18:21], v6 offset:16
	ds_read_b128 v[14:17], v6 offset:2048
	;; [unrolled: 1-line block ×3, first 2 shown]
	global_load_dwordx4 v[50:53], v[30:31], off
	v_mov_b32_e32 v38, s5
	s_ashr_i32 s5, s18, 31
	s_lshr_b32 s5, s5, 27
	v_or_b32_e32 v40, 64, v39
	v_add_u32_e32 v32, s5, v39
	v_or_b32_e32 v41, 0x80, v39
	v_add_u32_e32 v33, s5, v40
	v_ashrrev_i32_e32 v32, 5, v32
	v_cmp_gt_i32_e32 vcc, s48, v39
	v_or_b32_e32 v42, 0xc0, v39
	v_add_u32_e32 v43, s5, v41
	v_ashrrev_i32_e32 v33, 5, v33
	v_cndmask_b32_e32 v46, v38, v32, vcc
	v_cmp_gt_i32_e32 vcc, s48, v40
	v_add_u32_e32 v44, s5, v42
	v_lshl_add_u64 v[22:23], v[36:37], 0, v[22:23]
	v_lshl_add_u64 v[24:25], v[24:25], 0, v[34:35]
	v_ashrrev_i32_e32 v43, 5, v43
	v_cndmask_b32_e32 v48, v38, v33, vcc
	v_cmp_gt_i32_e32 vcc, s48, v41
	v_ashrrev_i32_e32 v44, 5, v44
	v_lshl_add_u64 v[34:35], v[22:23], 0, v[56:57]
	v_lshl_add_u64 v[36:37], v[24:25], 0, v[56:57]
	v_cndmask_b32_e32 v58, v38, v43, vcc
	v_cmp_gt_i32_e32 vcc, s48, v42
	v_ashrrev_i32_e32 v47, 31, v46
	v_ashrrev_i32_e32 v49, 31, v48
	v_cndmask_b32_e32 v66, v38, v44, vcc
	global_load_dwordx4 v[30:33], v[30:31], off offset:2048
	s_nop 0
	global_load_dwordx4 v[22:25], v[34:35], off
	global_load_dwordx4 v[42:45], v[34:35], off offset:2048
	global_load_dwordx4 v[38:41], v[36:37], off
	s_nop 0
	global_load_dwordx4 v[34:37], v[36:37], off offset:2048
	v_ashrrev_i32_e32 v59, 31, v58
	v_ashrrev_i32_e32 v67, 31, v66
	v_lshl_add_u64 v[46:47], v[46:47], 2, s[6:7]
	v_lshl_add_u64 v[48:49], v[48:49], 2, s[6:7]
	;; [unrolled: 1-line block ×4, first 2 shown]
	global_load_dword v69, v[46:47], off
	global_load_dword v68, v[48:49], off
	;; [unrolled: 1-line block ×4, first 2 shown]
	s_mov_b32 s44, 0x7060302
	s_add_u32 s4, s10, s4
	s_addc_u32 s5, s11, 0
	v_and_b32_e32 v56, 16, v0
	v_lshl_or_b32 v55, v64, 4, v60
	s_load_dword s8, s[0:1], 0x1c
	s_mov_b32 s46, 0xff7fffff
	s_waitcnt vmcnt(11)
	v_cvt_pk_f32_fp8_e32 v[46:47], v10
	v_cvt_pk_f32_fp8_sdwa v[48:49], v10 src0_sel:WORD_1
	v_cvt_pk_f32_fp8_e32 v[58:59], v11
	v_cvt_pk_f32_fp8_sdwa v[10:11], v11 src0_sel:WORD_1
	v_perm_b32 v46, v47, v46, s44
	v_perm_b32 v47, v49, v48, s44
	v_cvt_pk_f32_fp8_e32 v[70:71], v12
	v_cvt_pk_f32_fp8_sdwa v[72:73], v12 src0_sel:WORD_1
	v_perm_b32 v58, v59, v58, s44
	v_perm_b32 v59, v11, v10, s44
	s_waitcnt lgkmcnt(0)
	v_mfma_f32_16x16x16_bf16 v[46:49], v[46:47], v[26:27], 0
	v_cvt_pk_f32_fp8_e32 v[74:75], v13
	v_cvt_pk_f32_fp8_sdwa v[76:77], v13 src0_sel:WORD_1
	v_perm_b32 v70, v71, v70, s44
	v_perm_b32 v71, v73, v72, s44
	v_mfma_f32_16x16x16_bf16 v[10:13], v[58:59], v[28:29], v[46:49]
	s_waitcnt vmcnt(10)
	v_cvt_pk_f32_fp8_sdwa v[58:59], v2 src0_sel:WORD_1
	s_waitcnt vmcnt(6)
	v_cvt_pk_f32_fp8_sdwa v[80:81], v44 src0_sel:WORD_1
	v_cvt_pk_f32_fp8_e32 v[46:47], v2
	v_perm_b32 v48, v75, v74, s44
	v_perm_b32 v49, v77, v76, s44
	v_mfma_f32_16x16x16_bf16 v[10:13], v[70:71], v[18:19], v[10:13]
	v_cvt_pk_f32_fp8_e32 v[70:71], v3
	v_perm_b32 v46, v47, v46, s44
	v_perm_b32 v47, v59, v58, s44
	v_cvt_pk_f32_fp8_sdwa v[2:3], v3 src0_sel:WORD_1
	v_mfma_f32_16x16x16_bf16 v[10:13], v[48:49], v[20:21], v[10:13]
	v_perm_b32 v48, v71, v70, s44
	v_cvt_pk_f32_fp8_e32 v[58:59], v4
	v_cvt_pk_f32_fp8_sdwa v[70:71], v4 src0_sel:WORD_1
	v_perm_b32 v49, v3, v2, s44
	v_mfma_f32_16x16x16_bf16 v[10:13], v[46:47], v[14:15], v[10:13]
	v_perm_b32 v46, v59, v58, s44
	v_perm_b32 v47, v71, v70, s44
	v_cvt_pk_f32_fp8_e32 v[58:59], v5
	v_cvt_pk_f32_fp8_sdwa v[70:71], v5 src0_sel:WORD_1
	v_mfma_f32_16x16x16_bf16 v[2:5], v[48:49], v[16:17], v[10:13]
	v_cvt_pk_f32_fp8_e32 v[74:75], v25
	v_cvt_pk_f32_fp8_sdwa v[76:77], v25 src0_sel:WORD_1
	s_nop 0
	v_perm_b32 v10, v59, v58, s44
	v_perm_b32 v11, v71, v70, s44
	v_mfma_f32_16x16x16_bf16 v[2:5], v[46:47], v[6:7], v[2:5]
	v_cvt_pk_f32_fp8_e32 v[12:13], v50
	v_cvt_pk_f32_fp8_sdwa v[58:59], v50 src0_sel:WORD_1
	v_mfma_f32_16x16x16_bf16 v[46:49], v[10:11], v[8:9], v[2:5]
	v_cvt_pk_f32_fp8_sdwa v[10:11], v51 src0_sel:WORD_1
	s_nop 2
	v_cvt_pk_f32_fp8_e32 v[2:3], v51
	v_perm_b32 v4, v13, v12, s44
	v_perm_b32 v5, v59, v58, s44
	v_cvt_pk_f32_fp8_e32 v[50:51], v52
	v_perm_b32 v12, v3, v2, s44
	v_cvt_pk_f32_fp8_sdwa v[58:59], v52 src0_sel:WORD_1
	v_perm_b32 v13, v11, v10, s44
	v_mfma_f32_16x16x16_bf16 v[2:5], v[4:5], v[26:27], 0
	v_perm_b32 v10, v51, v50, s44
	v_perm_b32 v11, v59, v58, s44
	v_cvt_pk_f32_fp8_e32 v[50:51], v53
	v_cvt_pk_f32_fp8_sdwa v[52:53], v53 src0_sel:WORD_1
	v_mfma_f32_16x16x16_bf16 v[2:5], v[12:13], v[28:29], v[2:5]
	v_lshl_add_u64 v[58:59], s[4:5], 0, v[56:57]
	v_perm_b32 v12, v51, v50, s44
	v_perm_b32 v13, v53, v52, s44
	v_mfma_f32_16x16x16_bf16 v[2:5], v[10:11], v[18:19], v[2:5]
	v_cvt_pk_f32_fp8_e32 v[10:11], v30
	v_cvt_pk_f32_fp8_sdwa v[50:51], v30 src0_sel:WORD_1
	v_cvt_pk_f32_fp8_sdwa v[52:53], v32 src0_sel:WORD_1
	v_mfma_f32_16x16x16_bf16 v[2:5], v[12:13], v[20:21], v[2:5]
	v_cvt_pk_f32_fp8_e32 v[12:13], v31
	v_perm_b32 v10, v11, v10, s44
	v_perm_b32 v11, v51, v50, s44
	v_cvt_pk_f32_fp8_sdwa v[30:31], v31 src0_sel:WORD_1
	v_perm_b32 v12, v13, v12, s44
	v_cvt_pk_f32_fp8_e32 v[50:51], v32
	v_mfma_f32_16x16x16_bf16 v[2:5], v[10:11], v[14:15], v[2:5]
	v_perm_b32 v13, v31, v30, s44
	v_perm_b32 v10, v51, v50, s44
	v_perm_b32 v11, v53, v52, s44
	v_cvt_pk_f32_fp8_e32 v[30:31], v33
	v_cvt_pk_f32_fp8_sdwa v[32:33], v33 src0_sel:WORD_1
	v_mfma_f32_16x16x16_bf16 v[2:5], v[12:13], v[16:17], v[2:5]
	v_lshlrev_b32_e32 v56, 5, v55
	v_perm_b32 v12, v31, v30, s44
	v_perm_b32 v13, v33, v32, s44
	v_mfma_f32_16x16x16_bf16 v[2:5], v[10:11], v[6:7], v[2:5]
	v_cvt_pk_f32_fp8_e32 v[10:11], v22
	v_cvt_pk_f32_fp8_sdwa v[30:31], v22 src0_sel:WORD_1
	v_lshl_add_u64 v[70:71], v[58:59], 0, v[56:57]
	v_mfma_f32_16x16x16_bf16 v[50:53], v[12:13], v[8:9], v[2:5]
	s_waitcnt vmcnt(3)
	v_mad_i64_i32 v[12:13], s[4:5], v69, s45, v[70:71]
	s_waitcnt vmcnt(2)
	v_mad_i64_i32 v[72:73], s[4:5], v68, s45, v[70:71]
	v_perm_b32 v2, v11, v10, s44
	v_perm_b32 v3, v31, v30, s44
	v_cvt_pk_f32_fp8_e32 v[4:5], v23
	v_cvt_pk_f32_fp8_sdwa v[10:11], v23 src0_sel:WORD_1
	v_cvt_pk_f32_fp8_sdwa v[30:31], v24 src0_sel:WORD_1
	v_or_b32_e32 v56, 0x800, v56
	v_perm_b32 v22, v5, v4, s44
	v_perm_b32 v23, v11, v10, s44
	v_cvt_pk_f32_fp8_e32 v[10:11], v24
	v_mfma_f32_16x16x16_bf16 v[2:5], v[2:3], v[26:27], 0
	v_perm_b32 v10, v11, v10, s44
	v_perm_b32 v11, v31, v30, s44
	v_mfma_f32_16x16x16_bf16 v[2:5], v[22:23], v[28:29], v[2:5]
	global_load_dwordx4 v[30:33], v[12:13], off
	global_load_dwordx4 v[22:25], v[72:73], off
	v_perm_b32 v12, v75, v74, s44
	v_perm_b32 v13, v77, v76, s44
	v_mfma_f32_16x16x16_bf16 v[2:5], v[10:11], v[18:19], v[2:5]
	v_cvt_pk_f32_fp8_e32 v[10:11], v42
	v_cvt_pk_f32_fp8_sdwa v[72:73], v42 src0_sel:WORD_1
	s_waitcnt vmcnt(3)
	v_mad_i64_i32 v[74:75], s[4:5], v66, s45, v[70:71]
	v_mfma_f32_16x16x16_bf16 v[2:5], v[12:13], v[20:21], v[2:5]
	v_perm_b32 v10, v11, v10, s44
	v_perm_b32 v11, v73, v72, s44
	v_cvt_pk_f32_fp8_e32 v[12:13], v43
	v_cvt_pk_f32_fp8_sdwa v[42:43], v43 src0_sel:WORD_1
	s_waitcnt vmcnt(2)
	v_mad_i64_i32 v[76:77], s[4:5], v67, s45, v[70:71]
	v_perm_b32 v78, v13, v12, s44
	v_perm_b32 v79, v43, v42, s44
	v_cvt_pk_f32_fp8_e32 v[42:43], v44
	v_mfma_f32_16x16x16_bf16 v[70:73], v[10:11], v[14:15], v[2:5]
	global_load_dwordx4 v[10:13], v[74:75], off
	s_nop 1
	global_load_dwordx4 v[2:5], v[76:77], off
	v_perm_b32 v75, v81, v80, s44
	v_perm_b32 v74, v43, v42, s44
	v_cvt_pk_f32_fp8_e32 v[76:77], v45
	v_cvt_pk_f32_fp8_sdwa v[44:45], v45 src0_sel:WORD_1
	v_mfma_f32_16x16x16_bf16 v[70:73], v[78:79], v[16:17], v[70:73]
	v_lshl_add_u64 v[42:43], v[58:59], 0, v[56:57]
	v_perm_b32 v76, v77, v76, s44
	v_perm_b32 v77, v45, v44, s44
	v_mfma_f32_16x16x16_bf16 v[56:59], v[74:75], v[6:7], v[70:73]
	v_cvt_pk_f32_fp8_e32 v[44:45], v38
	v_cvt_pk_f32_fp8_sdwa v[74:75], v38 src0_sel:WORD_1
	v_cvt_pk_f32_fp8_sdwa v[78:79], v40 src0_sel:WORD_1
	v_mfma_f32_16x16x16_bf16 v[70:73], v[76:77], v[8:9], v[56:59]
	v_perm_b32 v44, v45, v44, s44
	v_perm_b32 v45, v75, v74, s44
	v_cvt_pk_f32_fp8_e32 v[76:77], v40
	v_cvt_pk_f32_fp8_e32 v[56:57], v39
	v_cvt_pk_f32_fp8_sdwa v[38:39], v39 src0_sel:WORD_1
	s_load_dword s4, s[40:41], 0x0
	v_perm_b32 v74, v57, v56, s44
	v_perm_b32 v75, v39, v38, s44
	v_mfma_f32_16x16x16_bf16 v[56:59], v[44:45], v[26:27], 0
	v_perm_b32 v38, v77, v76, s44
	v_perm_b32 v39, v79, v78, s44
	v_cvt_pk_f32_fp8_e32 v[44:45], v41
	v_cvt_pk_f32_fp8_sdwa v[40:41], v41 src0_sel:WORD_1
	v_mfma_f32_16x16x16_bf16 v[26:29], v[74:75], v[28:29], v[56:59]
	v_perm_b32 v44, v45, v44, s44
	v_perm_b32 v45, v41, v40, s44
	v_mfma_f32_16x16x16_bf16 v[26:29], v[38:39], v[18:19], v[26:29]
	v_cvt_pk_f32_fp8_e32 v[40:41], v35
	v_mov_b32_e32 v56, s8
	s_waitcnt lgkmcnt(0)
	v_mul_f32_e32 v58, s4, v56
	v_mfma_f32_16x16x16_bf16 v[18:21], v[44:45], v[20:21], v[26:29]
	v_mad_i64_i32 v[74:75], s[4:5], v69, s45, v[42:43]
	v_pk_mul_f32 v[56:57], v[58:59], v[46:47] op_sel_hi:[0,1]
	s_nop 0
	v_cvt_pk_f32_fp8_e32 v[26:27], v34
	v_cvt_pk_f32_fp8_sdwa v[28:29], v34 src0_sel:WORD_1
	v_cvt_pk_f32_fp8_sdwa v[34:35], v35 src0_sel:WORD_1
	v_pk_mul_f32 v[38:39], v[58:59], v[48:49] op_sel_hi:[0,1]
	v_perm_b32 v26, v27, v26, s44
	v_perm_b32 v27, v29, v28, s44
	v_perm_b32 v28, v41, v40, s44
	v_perm_b32 v29, v35, v34, s44
	v_cvt_pk_f32_fp8_e32 v[34:35], v36
	v_cvt_pk_f32_fp8_sdwa v[40:41], v36 src0_sel:WORD_1
	v_mfma_f32_16x16x16_bf16 v[18:21], v[26:27], v[14:15], v[18:21]
	v_pk_mul_f32 v[50:51], v[58:59], v[50:51] op_sel_hi:[0,1]
	v_perm_b32 v26, v35, v34, s44
	v_perm_b32 v27, v41, v40, s44
	v_cvt_pk_f32_fp8_e32 v[34:35], v37
	v_cvt_pk_f32_fp8_sdwa v[36:37], v37 src0_sel:WORD_1
	v_mfma_f32_16x16x16_bf16 v[14:17], v[28:29], v[16:17], v[18:21]
	v_pk_mul_f32 v[48:49], v[58:59], v[52:53] op_sel_hi:[0,1]
	v_pk_mul_f32 v[40:41], v[58:59], v[70:71] op_sel_hi:[0,1]
	;; [unrolled: 1-line block ×3, first 2 shown]
	v_perm_b32 v18, v35, v34, s44
	v_perm_b32 v19, v37, v36, s44
	v_mfma_f32_16x16x16_bf16 v[14:17], v[26:27], v[6:7], v[14:17]
	s_nop 0
	v_mfma_f32_16x16x16_bf16 v[6:9], v[18:19], v[8:9], v[14:17]
	s_nop 6
	v_pk_mul_f32 v[44:45], v[58:59], v[6:7] op_sel_hi:[0,1]
	v_and_b32_e32 v6, 0xc0, v0
	v_add_u32_e32 v6, s18, v6
	v_lshl_or_b32 v6, v63, 2, v6
	v_pk_mul_f32 v[34:35], v[58:59], v[8:9] op_sel_hi:[0,1]
	v_or_b32_e32 v9, 1, v6
	v_mov_b32_e32 v7, 0xff7fffff
	v_cmp_gt_i32_e64 s[4:5], s48, v6
	v_cmp_gt_i32_e64 s[28:29], s48, v9
	v_or_b32_e32 v14, 3, v6
	v_cndmask_b32_e64 v8, v7, v56, s[4:5]
	v_cndmask_b32_e64 v9, v7, v57, s[28:29]
	v_max3_f32 v8, v8, s46, v9
	v_or_b32_e32 v9, 2, v6
	v_cmp_gt_i32_e64 s[30:31], s48, v9
	v_cmp_gt_i32_e64 s[34:35], s48, v14
	s_nop 0
	v_cndmask_b32_e64 v9, v7, v38, s[30:31]
	v_cndmask_b32_e64 v14, v7, v39, s[34:35]
	v_max3_f32 v8, v8, v9, v14
	v_or_b32_e32 v9, 16, v6
	v_or_b32_e32 v14, 17, v6
	v_cmp_gt_i32_e64 s[36:37], s48, v9
	v_cmp_gt_i32_e64 s[38:39], s48, v14
	s_nop 0
	v_cndmask_b32_e64 v9, v7, v50, s[36:37]
	v_cndmask_b32_e64 v14, v7, v51, s[38:39]
	v_max3_f32 v8, v8, v9, v14
	v_or_b32_e32 v9, 18, v6
	;; [unrolled: 8-line block ×6, first 2 shown]
	v_or_b32_e32 v6, 51, v6
	v_cmp_gt_i32_e32 vcc, s48, v9
	v_cmp_gt_i32_e64 s[6:7], s48, v6
	s_nop 0
	v_cndmask_b32_e32 v9, v7, v34, vcc
	v_cndmask_b32_e64 v6, v7, v35, s[6:7]
	v_max3_f32 v8, v8, v9, v6
	v_mbcnt_lo_u32_b32 v6, -1, 0
	v_mbcnt_hi_u32_b32 v9, -1, v6
	v_and_b32_e32 v6, 64, v9
	v_add_u32_e32 v14, 64, v6
	v_xor_b32_e32 v6, 32, v9
	v_cmp_lt_i32_e64 s[40:41], v6, v14
	s_nop 1
	v_cndmask_b32_e64 v6, v9, v6, s[40:41]
	v_lshlrev_b32_e32 v53, 2, v6
	ds_bpermute_b32 v15, v53, v8
	v_mad_i64_i32 v[6:7], s[40:41], v68, s45, v[42:43]
	global_load_dwordx4 v[26:29], v[74:75], off
	global_load_dwordx4 v[18:21], v[6:7], off
	s_waitcnt lgkmcnt(0)
	v_max_f32_e32 v6, v15, v15
	v_max_f32_e32 v15, v8, v6
	v_xor_b32_e32 v6, 16, v9
	v_cmp_lt_i32_e64 s[40:41], v6, v14
	s_nop 1
	v_cndmask_b32_e64 v6, v9, v6, s[40:41]
	v_lshlrev_b32_e32 v58, 2, v6
	ds_bpermute_b32 v14, v58, v15
	v_mad_i64_i32 v[6:7], s[40:41], v66, s45, v[42:43]
	v_mad_i64_i32 v[8:9], s[40:41], v67, s45, v[42:43]
	s_waitcnt lgkmcnt(0)
	v_max_f32_e32 v14, v14, v14
	v_max_f32_e32 v52, v15, v14
	v_sub_f32_e32 v14, v56, v52
	v_mul_f32_e32 v14, 0x3fb8aa3b, v14
	v_exp_f32_e32 v36, v14
	v_sub_f32_e32 v14, v57, v52
	v_mul_f32_e32 v14, 0x3fb8aa3b, v14
	v_exp_f32_e32 v37, v14
	global_load_dwordx4 v[14:17], v[6:7], off
	s_nop 0
	global_load_dwordx4 v[6:9], v[8:9], off
	v_sub_f32_e32 v38, v38, v52
	v_mul_f32_e32 v38, 0x3fb8aa3b, v38
	v_sub_f32_e32 v39, v39, v52
	v_exp_f32_e32 v38, v38
	v_mul_f32_e32 v39, 0x3fb8aa3b, v39
	v_exp_f32_e32 v39, v39
	v_cndmask_b32_e64 v36, 0, v36, s[4:5]
	v_add_f32_e32 v42, 0, v36
	v_cndmask_b32_e64 v37, 0, v37, s[28:29]
	v_add_f32_e32 v43, v42, v37
	;; [unrolled: 2-line block ×3, first 2 shown]
	v_cndmask_b32_e64 v43, 0, v39, s[34:35]
	v_sub_f32_e32 v39, v50, v52
	v_mul_f32_e32 v39, 0x3fb8aa3b, v39
	v_sub_f32_e32 v50, v51, v52
	v_exp_f32_e32 v39, v39
	v_mul_f32_e32 v50, 0x3fb8aa3b, v50
	v_sub_f32_e32 v48, v48, v52
	v_exp_f32_e32 v50, v50
	;; [unrolled: 3-line block ×4, first 2 shown]
	v_mul_f32_e32 v40, 0x3fb8aa3b, v40
	v_sub_f32_e32 v41, v41, v52
	v_add_f32_e32 v51, v38, v43
	v_cndmask_b32_e64 v38, 0, v39, s[36:37]
	v_exp_f32_e32 v40, v40
	v_mul_f32_e32 v41, 0x3fb8aa3b, v41
	v_sub_f32_e32 v46, v46, v52
	v_add_f32_e32 v51, v51, v38
	v_cndmask_b32_e64 v39, 0, v50, s[38:39]
	v_exp_f32_e32 v41, v41
	v_mul_f32_e32 v46, 0x3fb8aa3b, v46
	v_sub_f32_e32 v47, v47, v52
	v_add_f32_e32 v50, v51, v39
	v_cndmask_b32_e64 v48, 0, v48, s[20:21]
	v_exp_f32_e32 v46, v46
	v_mul_f32_e32 v47, 0x3fb8aa3b, v47
	v_sub_f32_e32 v44, v44, v52
	v_add_f32_e32 v50, v50, v48
	v_cndmask_b32_e64 v49, 0, v49, s[22:23]
	v_exp_f32_e32 v47, v47
	v_mul_f32_e32 v44, 0x3fb8aa3b, v44
	v_sub_f32_e32 v45, v45, v52
	v_add_f32_e32 v50, v50, v49
	v_cndmask_b32_e64 v40, 0, v40, s[16:17]
	v_exp_f32_e32 v44, v44
	v_mul_f32_e32 v45, 0x3fb8aa3b, v45
	v_sub_f32_e32 v34, v34, v52
	v_add_f32_e32 v50, v50, v40
	v_cndmask_b32_e64 v41, 0, v41, s[18:19]
	v_exp_f32_e32 v45, v45
	v_mul_f32_e32 v34, 0x3fb8aa3b, v34
	v_sub_f32_e32 v35, v35, v52
	v_add_f32_e32 v50, v50, v41
	v_cndmask_b32_e64 v46, 0, v46, s[12:13]
	v_exp_f32_e32 v34, v34
	v_mul_f32_e32 v35, 0x3fb8aa3b, v35
	v_add_f32_e32 v50, v50, v46
	v_cndmask_b32_e64 v47, 0, v47, s[14:15]
	v_exp_f32_e32 v35, v35
	v_add_f32_e32 v50, v50, v47
	v_cndmask_b32_e64 v44, 0, v44, s[8:9]
	v_add_f32_e32 v50, v50, v44
	v_cndmask_b32_e64 v45, 0, v45, s[10:11]
	v_add_f32_e32 v50, v50, v45
	v_cndmask_b32_e32 v34, 0, v34, vcc
	v_add_f32_e32 v50, v50, v34
	v_cndmask_b32_e64 v35, 0, v35, s[6:7]
	v_add_f32_e32 v50, v50, v35
	ds_bpermute_b32 v51, v53, v50
	v_cmp_gt_u32_e32 vcc, 16, v65
	s_waitcnt lgkmcnt(0)
	s_barrier
	v_add_f32_e32 v50, v50, v51
	ds_bpermute_b32 v51, v58, v50
	s_and_saveexec_b64 s[4:5], vcc
	s_cbranch_execz .LBB1367_13
; %bb.12:
	s_waitcnt lgkmcnt(0)
	v_add_f32_e32 v50, v50, v51
	v_lshlrev_b32_e32 v51, 2, v55
	ds_write2st64_b32 v51, v52, v50 offset1:1
.LBB1367_13:
	s_or_b64 exec, exec, s[4:5]
	s_waitcnt lgkmcnt(0)
	v_lshlrev_b32_e32 v51, 2, v60
	s_load_dword s6, s[0:1], 0x94
	s_waitcnt lgkmcnt(0)
	s_barrier
	ds_read2_b32 v[52:53], v51 offset1:16
	ds_read2_b32 v[56:57], v51 offset0:32 offset1:48
	ds_read2_b32 v[58:59], v51 offset0:64 offset1:80
	s_movk_i32 s8, 0x7fff
	s_lshl_b32 s7, s33, 2
	s_waitcnt lgkmcnt(2)
	v_max3_f32 v50, v52, s46, v53
	s_waitcnt lgkmcnt(1)
	v_max3_f32 v50, v50, v56, v57
	v_sub_f32_e32 v52, v52, v50
	v_mul_f32_e32 v52, 0x3fb8aa3b, v52
	v_exp_f32_e32 v55, v52
	v_sub_f32_e32 v52, v53, v50
	v_mul_f32_e32 v52, 0x3fb8aa3b, v52
	v_exp_f32_e32 v65, v52
	;; [unrolled: 3-line block ×3, first 2 shown]
	ds_read2_b32 v[52:53], v51 offset0:96 offset1:112
	v_sub_f32_e32 v51, v57, v50
	v_mul_f32_e32 v51, 0x3fb8aa3b, v51
	v_exp_f32_e32 v57, v51
	s_waitcnt lgkmcnt(1)
	v_fma_f32 v51, v55, v58, 0
	v_fmac_f32_e32 v51, v65, v59
	s_waitcnt lgkmcnt(0)
	v_fmac_f32_e32 v51, v56, v52
	v_fmac_f32_e32 v51, v57, v53
	v_add_f32_e32 v52, 0x358637bd, v51
	v_div_scale_f32 v53, s[4:5], v52, v52, 1.0
	v_rcp_f32_e32 v58, v53
	s_barrier
	v_fma_f32 v59, -v53, v58, 1.0
	v_fmac_f32_e32 v58, v59, v58
	v_div_scale_f32 v59, vcc, 1.0, v52, 1.0
	v_mul_f32_e32 v66, v59, v58
	v_fma_f32 v67, -v53, v66, v59
	v_fmac_f32_e32 v66, v67, v58
	v_fma_f32 v53, -v53, v66, v59
	v_div_fmas_f32 v53, v53, v58, v66
	v_cmp_eq_u32_e32 vcc, 1, v64
	v_div_fixup_f32 v52, v53, v52, 1.0
	s_nop 0
	v_cndmask_b32_e32 v53, v55, v65, vcc
	v_cmp_eq_u32_e32 vcc, 2, v64
	s_nop 1
	v_cndmask_b32_e32 v53, v53, v56, vcc
	v_cmp_eq_u32_e32 vcc, 3, v64
	s_nop 1
	v_cndmask_b32_e32 v53, v53, v57, vcc
	v_mul_f32_e32 v52, v53, v52
	v_pk_mul_f32 v[36:37], v[52:53], v[36:37] op_sel_hi:[0,1]
	v_pk_mul_f32 v[42:43], v[52:53], v[42:43] op_sel_hi:[0,1]
	v_bfe_u32 v53, v37, 16, 1
	v_bfe_u32 v55, v36, 16, 1
	v_add3_u32 v36, v36, v55, s8
	v_add3_u32 v37, v37, v53, s8
	v_perm_b32 v56, v37, v36, s44
	v_bfe_u32 v36, v43, 16, 1
	v_bfe_u32 v37, v42, 16, 1
	v_add3_u32 v37, v42, v37, s8
	v_add3_u32 v36, v43, v36, s8
	v_perm_b32 v57, v36, v37, s44
	v_lshlrev_b32_e32 v37, 3, v63
	v_lshlrev_b32_e32 v36, 5, v60
	;; [unrolled: 1-line block ×3, first 2 shown]
	v_pk_mul_f32 v[38:39], v[52:53], v[38:39] op_sel_hi:[0,1]
	v_or3_b32 v55, v42, v36, v37
	v_pk_mul_f32 v[42:43], v[52:53], v[48:49] op_sel_hi:[0,1]
	v_bfe_u32 v37, v39, 16, 1
	v_bfe_u32 v48, v38, 16, 1
	v_add3_u32 v38, v38, v48, s8
	v_add3_u32 v37, v39, v37, s8
	v_perm_b32 v38, v37, v38, s44
	v_bfe_u32 v37, v43, 16, 1
	v_bfe_u32 v39, v42, 16, 1
	v_add3_u32 v39, v42, v39, s8
	v_add3_u32 v37, v43, v37, s8
	v_pk_mul_f32 v[40:41], v[52:53], v[40:41] op_sel_hi:[0,1]
	v_perm_b32 v39, v37, v39, s44
	v_bfe_u32 v37, v41, 16, 1
	v_bfe_u32 v42, v40, 16, 1
	ds_write2st64_b64 v55, v[56:57], v[38:39] offset1:1
	v_pk_mul_f32 v[38:39], v[52:53], v[46:47] op_sel_hi:[0,1]
	v_add3_u32 v40, v40, v42, s8
	v_add3_u32 v37, v41, v37, s8
	v_perm_b32 v40, v37, v40, s44
	v_bfe_u32 v37, v39, 16, 1
	v_bfe_u32 v41, v38, 16, 1
	v_add3_u32 v38, v38, v41, s8
	v_add3_u32 v37, v39, v37, s8
	v_perm_b32 v41, v37, v38, s44
	v_pk_mul_f32 v[38:39], v[52:53], v[44:45] op_sel_hi:[0,1]
	v_bfe_u32 v37, v39, 16, 1
	v_bfe_u32 v42, v38, 16, 1
	v_pk_mul_f32 v[34:35], v[52:53], v[34:35] op_sel_hi:[0,1]
	v_add3_u32 v38, v38, v42, s8
	v_add3_u32 v37, v39, v37, s8
	v_perm_b32 v38, v37, v38, s44
	v_bfe_u32 v37, v35, 16, 1
	v_bfe_u32 v39, v34, 16, 1
	v_add3_u32 v34, v34, v39, s8
	v_add3_u32 v35, v35, v37, s8
	v_perm_b32 v39, v35, v34, s44
	v_cmp_gt_u32_e32 vcc, 4, v0
	ds_write2st64_b64 v55, v[40:41], v[38:39] offset0:2 offset1:3
	s_and_saveexec_b64 s[4:5], vcc
	s_cbranch_execz .LBB1367_15
; %bb.14:
	v_or_b32_e32 v34, s25, v0
	v_mov_b32_e32 v35, 0
	v_mov_b32_e32 v37, s7
	v_mad_u64_u32 v[38:39], s[10:11], s2, v37, v[34:35]
	v_mov_b32_e32 v34, s24
	s_load_dwordx4 s[12:15], s[0:1], 0x58
	s_mul_i32 s3, s3, s7
	v_mad_u64_u32 v[34:35], s[10:11], v38, s6, v[34:35]
	v_add_u32_e32 v37, s3, v39
	v_mov_b32_e32 v38, v35
	v_mad_u64_u32 v[38:39], s[10:11], v37, s6, v[38:39]
	v_mov_b32_e32 v35, v38
	v_lshlrev_b64 v[34:35], 2, v[34:35]
	s_waitcnt lgkmcnt(0)
	v_lshl_add_u64 v[38:39], s[14:15], 0, v[34:35]
	v_lshl_add_u64 v[34:35], s[12:13], 0, v[34:35]
	global_store_dword v[38:39], v50, off
	global_store_dword v[34:35], v51, off
.LBB1367_15:
	s_or_b64 exec, exec, s[4:5]
	v_lshl_or_b32 v50, v63, 9, v36
	s_waitcnt vmcnt(7)
	v_cvt_pk_f32_fp8_e32 v[34:35], v30
	v_cvt_pk_f32_fp8_sdwa v[36:37], v30 src0_sel:WORD_1
	s_mov_b32 s5, 0x7060302
	s_waitcnt lgkmcnt(0)
	s_barrier
	v_cvt_pk_f32_fp8_e32 v[38:39], v31
	v_perm_b32 v30, v35, v34, s5
	v_cvt_pk_f32_fp8_sdwa v[40:41], v31 src0_sel:WORD_1
	v_perm_b32 v31, v37, v36, s5
	ds_read_b128 v[34:37], v50
	v_perm_b32 v46, v39, v38, s5
	v_perm_b32 v47, v41, v40, s5
	ds_read_b128 v[38:41], v50 offset:16
	v_cvt_pk_f32_fp8_e32 v[48:49], v32
	v_cvt_pk_f32_fp8_sdwa v[52:53], v32 src0_sel:WORD_1
	s_waitcnt lgkmcnt(1)
	v_mfma_f32_16x16x16_bf16 v[42:45], v[30:31], v[34:35], 0
	s_waitcnt vmcnt(6)
	v_cvt_pk_f32_fp8_e32 v[56:57], v24
	v_perm_b32 v30, v49, v48, s5
	v_perm_b32 v31, v53, v52, s5
	v_cvt_pk_f32_fp8_e32 v[48:49], v33
	v_mfma_f32_16x16x16_bf16 v[42:45], v[46:47], v[36:37], v[42:45]
	v_cvt_pk_f32_fp8_sdwa v[46:47], v33 src0_sel:WORD_1
	v_cvt_pk_f32_fp8_sdwa v[58:59], v24 src0_sel:WORD_1
	v_perm_b32 v48, v49, v48, s5
	s_waitcnt lgkmcnt(0)
	v_mfma_f32_16x16x16_bf16 v[30:33], v[30:31], v[38:39], v[42:45]
	v_perm_b32 v49, v47, v46, s5
	s_waitcnt vmcnt(5)
	v_cvt_pk_f32_fp8_e32 v[64:65], v12
	v_cvt_pk_f32_fp8_sdwa v[66:67], v12 src0_sel:WORD_1
	v_cvt_pk_f32_fp8_e32 v[42:43], v22
	v_mfma_f32_16x16x16_bf16 v[46:49], v[48:49], v[40:41], v[30:33]
	s_waitcnt vmcnt(4)
	v_cvt_pk_f32_fp8_sdwa v[68:69], v4 src0_sel:WORD_1
	s_load_dword s4, s[42:43], 0x0
	v_cvt_pk_f32_fp8_sdwa v[30:31], v22 src0_sel:WORD_1
	v_cvt_pk_f32_fp8_e32 v[32:33], v23
	v_perm_b32 v22, v43, v42, s5
	v_cvt_pk_f32_fp8_sdwa v[42:43], v23 src0_sel:WORD_1
	v_perm_b32 v23, v31, v30, s5
	v_perm_b32 v52, v33, v32, s5
	ds_read_b128 v[30:33], v50 offset:2048
	v_perm_b32 v53, v43, v42, s5
	ds_read_b128 v[42:45], v50 offset:2064
	s_waitcnt lgkmcnt(0)
	v_mfma_f32_16x16x16_bf16 v[46:49], v[22:23], v[30:31], v[46:49]
	v_perm_b32 v22, v57, v56, s5
	v_perm_b32 v23, v59, v58, s5
	v_cvt_pk_f32_fp8_e32 v[56:57], v25
	v_mfma_f32_16x16x16_bf16 v[46:49], v[52:53], v[32:33], v[46:49]
	v_cvt_pk_f32_fp8_sdwa v[52:53], v25 src0_sel:WORD_1
	s_waitcnt vmcnt(3)
	v_cvt_pk_f32_fp8_sdwa v[70:71], v28 src0_sel:WORD_1
	v_perm_b32 v56, v57, v56, s5
	v_mfma_f32_16x16x16_bf16 v[22:25], v[22:23], v[42:43], v[46:49]
	v_perm_b32 v57, v53, v52, s5
	s_mov_b32 s3, 0
	s_nop 0
	v_cvt_pk_f32_fp8_e32 v[46:47], v10
	v_mfma_f32_16x16x16_bf16 v[56:59], v[56:57], v[44:45], v[22:25]
	s_nop 2
	v_cvt_pk_f32_fp8_sdwa v[22:23], v10 src0_sel:WORD_1
	v_cvt_pk_f32_fp8_e32 v[24:25], v11
	v_perm_b32 v10, v47, v46, s5
	v_cvt_pk_f32_fp8_sdwa v[46:47], v11 src0_sel:WORD_1
	v_perm_b32 v11, v23, v22, s5
	v_perm_b32 v52, v25, v24, s5
	ds_read_b128 v[22:25], v50 offset:4096
	v_perm_b32 v53, v47, v46, s5
	ds_read_b128 v[46:49], v50 offset:4112
	s_waitcnt lgkmcnt(1)
	v_mfma_f32_16x16x16_bf16 v[56:59], v[10:11], v[22:23], v[56:59]
	v_perm_b32 v10, v65, v64, s5
	v_perm_b32 v11, v67, v66, s5
	v_cvt_pk_f32_fp8_e32 v[64:65], v13
	v_mfma_f32_16x16x16_bf16 v[56:59], v[52:53], v[24:25], v[56:59]
	v_cvt_pk_f32_fp8_sdwa v[52:53], v13 src0_sel:WORD_1
	v_cvt_pk_f32_fp8_e32 v[66:67], v4
	v_perm_b32 v64, v65, v64, s5
	s_waitcnt lgkmcnt(0)
	v_mfma_f32_16x16x16_bf16 v[10:13], v[10:11], v[46:47], v[56:59]
	v_perm_b32 v65, v53, v52, s5
	v_cvt_pk_f32_fp8_e32 v[52:53], v2
	s_nop 0
	v_mfma_f32_16x16x16_bf16 v[56:59], v[64:65], v[48:49], v[10:13]
	s_nop 2
	v_cvt_pk_f32_fp8_sdwa v[10:11], v2 src0_sel:WORD_1
	v_cvt_pk_f32_fp8_e32 v[12:13], v3
	v_perm_b32 v2, v53, v52, s5
	v_cvt_pk_f32_fp8_sdwa v[52:53], v3 src0_sel:WORD_1
	v_perm_b32 v3, v11, v10, s5
	v_perm_b32 v64, v13, v12, s5
	ds_read_b128 v[10:13], v50 offset:6144
	v_perm_b32 v65, v53, v52, s5
	s_waitcnt lgkmcnt(0)
	v_mfma_f32_16x16x16_bf16 v[56:59], v[2:3], v[10:11], v[56:59]
	ds_read_b128 v[50:53], v50 offset:6160
	v_perm_b32 v2, v67, v66, s5
	v_perm_b32 v3, v69, v68, s5
	v_cvt_pk_f32_fp8_e32 v[66:67], v5
	v_mfma_f32_16x16x16_bf16 v[56:59], v[64:65], v[12:13], v[56:59]
	v_cvt_pk_f32_fp8_sdwa v[64:65], v5 src0_sel:WORD_1
	v_cvt_pk_f32_fp8_e32 v[68:69], v28
	v_perm_b32 v66, v67, v66, s5
	s_waitcnt lgkmcnt(0)
	v_mfma_f32_16x16x16_bf16 v[2:5], v[2:3], v[50:51], v[56:59]
	v_perm_b32 v67, v65, v64, s5
	s_barrier
	s_nop 0
	v_mfma_f32_16x16x16_bf16 v[56:59], v[66:67], v[52:53], v[2:5]
	s_nop 2
	v_cvt_pk_f32_fp8_e32 v[4:5], v26
	v_perm_b32 v4, v5, v4, s5
	s_nop 1
	v_pk_mul_f32 v[2:3], v[58:59], s[4:5] op_sel_hi:[1,0]
	v_cvt_pk_f32_fp8_sdwa v[58:59], v26 src0_sel:WORD_1
	v_pk_mul_f32 v[64:65], v[56:57], s[4:5] op_sel_hi:[1,0]
	v_cvt_pk_f32_fp8_e32 v[56:57], v27
	v_cvt_pk_f32_fp8_sdwa v[26:27], v27 src0_sel:WORD_1
	v_perm_b32 v5, v59, v58, s5
	v_perm_b32 v66, v57, v56, s5
	;; [unrolled: 1-line block ×3, first 2 shown]
	v_mfma_f32_16x16x16_bf16 v[56:59], v[4:5], v[34:35], 0
	v_perm_b32 v4, v69, v68, s5
	v_perm_b32 v5, v71, v70, s5
	v_cvt_pk_f32_fp8_e32 v[34:35], v29
	v_cvt_pk_f32_fp8_sdwa v[68:69], v29 src0_sel:WORD_1
	v_mfma_f32_16x16x16_bf16 v[26:29], v[66:67], v[36:37], v[56:59]
	s_waitcnt vmcnt(2)
	v_cvt_pk_f32_fp8_sdwa v[36:37], v18 src0_sel:WORD_1
	v_perm_b32 v34, v35, v34, s5
	v_perm_b32 v35, v69, v68, s5
	v_mfma_f32_16x16x16_bf16 v[26:29], v[4:5], v[38:39], v[26:29]
	v_cvt_pk_f32_fp8_e32 v[4:5], v18
	v_cvt_pk_f32_fp8_sdwa v[38:39], v20 src0_sel:WORD_1
	v_bfe_u32 v56, v65, 16, 1
	v_mfma_f32_16x16x16_bf16 v[26:29], v[34:35], v[40:41], v[26:29]
	v_cvt_pk_f32_fp8_e32 v[34:35], v19
	v_perm_b32 v4, v5, v4, s5
	v_perm_b32 v5, v37, v36, s5
	v_cvt_pk_f32_fp8_sdwa v[18:19], v19 src0_sel:WORD_1
	v_perm_b32 v34, v35, v34, s5
	v_cvt_pk_f32_fp8_e32 v[36:37], v20
	v_mfma_f32_16x16x16_bf16 v[26:29], v[4:5], v[30:31], v[26:29]
	v_perm_b32 v35, v19, v18, s5
	v_perm_b32 v4, v37, v36, s5
	;; [unrolled: 1-line block ×3, first 2 shown]
	v_cvt_pk_f32_fp8_e32 v[30:31], v21
	v_cvt_pk_f32_fp8_sdwa v[36:37], v21 src0_sel:WORD_1
	v_mfma_f32_16x16x16_bf16 v[18:21], v[34:35], v[32:33], v[26:29]
	v_bfe_u32 v57, v64, 16, 1
	v_add3_u32 v32, v64, v57, s8
	v_add3_u32 v33, v65, v56, s8
	v_perm_b32 v26, v31, v30, s5
	v_perm_b32 v27, v37, v36, s5
	v_mfma_f32_16x16x16_bf16 v[18:21], v[4:5], v[42:43], v[18:21]
	s_waitcnt vmcnt(1)
	v_cvt_pk_f32_fp8_e32 v[4:5], v14
	v_cvt_pk_f32_fp8_sdwa v[28:29], v14 src0_sel:WORD_1
	v_cvt_pk_f32_fp8_sdwa v[30:31], v16 src0_sel:WORD_1
	v_mfma_f32_16x16x16_bf16 v[18:21], v[26:27], v[44:45], v[18:21]
	v_cvt_pk_f32_fp8_e32 v[26:27], v15
	v_perm_b32 v4, v5, v4, s5
	v_perm_b32 v5, v29, v28, s5
	v_cvt_pk_f32_fp8_sdwa v[14:15], v15 src0_sel:WORD_1
	v_perm_b32 v26, v27, v26, s5
	v_cvt_pk_f32_fp8_e32 v[28:29], v16
	v_mfma_f32_16x16x16_bf16 v[18:21], v[4:5], v[22:23], v[18:21]
	v_perm_b32 v27, v15, v14, s5
	v_perm_b32 v4, v29, v28, s5
	;; [unrolled: 1-line block ×3, first 2 shown]
	v_cvt_pk_f32_fp8_e32 v[22:23], v17
	v_cvt_pk_f32_fp8_sdwa v[28:29], v17 src0_sel:WORD_1
	v_mfma_f32_16x16x16_bf16 v[14:17], v[26:27], v[24:25], v[18:21]
	s_waitcnt vmcnt(0)
	v_cvt_pk_f32_fp8_sdwa v[24:25], v8 src0_sel:WORD_1
	s_nop 0
	v_perm_b32 v20, v23, v22, s5
	v_perm_b32 v21, v29, v28, s5
	v_mfma_f32_16x16x16_bf16 v[14:17], v[4:5], v[46:47], v[14:17]
	v_cvt_pk_f32_fp8_e32 v[4:5], v6
	v_cvt_pk_f32_fp8_sdwa v[22:23], v6 src0_sel:WORD_1
	v_bfe_u32 v19, v3, 16, 1
	v_mfma_f32_16x16x16_bf16 v[14:17], v[20:21], v[48:49], v[14:17]
	v_cvt_pk_f32_fp8_e32 v[20:21], v7
	v_perm_b32 v4, v5, v4, s5
	v_perm_b32 v5, v23, v22, s5
	v_cvt_pk_f32_fp8_sdwa v[6:7], v7 src0_sel:WORD_1
	v_perm_b32 v20, v21, v20, s5
	v_cvt_pk_f32_fp8_e32 v[22:23], v8
	v_add3_u32 v3, v3, v19, s8
	v_perm_b32 v21, v7, v6, s5
	v_mfma_f32_16x16x16_bf16 v[4:7], v[4:5], v[10:11], v[14:17]
	v_perm_b32 v10, v23, v22, s5
	v_perm_b32 v11, v25, v24, s5
	;; [unrolled: 1-line block ×3, first 2 shown]
	v_cvt_pk_f32_fp8_e32 v[14:15], v9
	v_cvt_pk_f32_fp8_sdwa v[8:9], v9 src0_sel:WORD_1
	v_mfma_f32_16x16x16_bf16 v[4:7], v[20:21], v[12:13], v[4:7]
	v_bfe_u32 v16, v2, 16, 1
	v_perm_b32 v12, v15, v14, s5
	v_perm_b32 v13, v9, v8, s5
	v_mfma_f32_16x16x16_bf16 v[4:7], v[10:11], v[50:51], v[4:7]
	v_add3_u32 v2, v2, v16, s8
	v_perm_b32 v19, v3, v2, s5
	v_mfma_f32_16x16x16_bf16 v[2:5], v[12:13], v[52:53], v[4:7]
	s_nop 6
	v_pk_mul_f32 v[2:3], v[2:3], s[4:5] op_sel_hi:[1,0]
	v_pk_mul_f32 v[4:5], v[4:5], s[4:5] op_sel_hi:[1,0]
	v_bfe_u32 v6, v3, 16, 1
	v_bfe_u32 v7, v2, 16, 1
	v_add3_u32 v2, v2, v7, s8
	v_add3_u32 v3, v3, v6, s8
	v_perm_b32 v2, v3, v2, s5
	v_bfe_u32 v3, v5, 16, 1
	v_bfe_u32 v6, v4, 16, 1
	v_add3_u32 v4, v4, v6, s8
	v_add3_u32 v3, v5, v3, s8
	v_perm_b32 v3, v3, v4, s5
	ds_write2st64_b64 v55, v[18:19], v[2:3] offset1:1
	s_waitcnt lgkmcnt(0)
	s_barrier
	s_and_saveexec_b64 s[4:5], s[26:27]
	s_cbranch_execz .LBB1367_17
; %bb.16:
	s_load_dwordx2 s[0:1], s[0:1], 0x68
	s_lshl_b32 s6, s6, 7
	s_mul_i32 s2, s7, s2
	v_lshlrev_b32_e32 v3, 6, v60
	s_mul_hi_u32 s5, s2, s6
	s_mul_i32 s4, s2, s6
	v_lshl_or_b32 v0, v0, 10, v3
	s_lshl_b64 s[4:5], s[4:5], 1
	v_and_b32_e32 v2, 16, v62
	v_and_b32_e32 v0, 0x1a00, v0
	s_waitcnt lgkmcnt(0)
	s_add_u32 s4, s0, s4
	v_or3_b32 v0, v0, v61, v2
	s_addc_u32 s5, s1, s5
	s_lshl_b32 s2, s24, 7
	ds_read_b128 v[2:5], v0
	s_lshl_b64 s[0:1], s[2:3], 1
	s_add_u32 s0, s4, s0
	s_addc_u32 s1, s5, s1
	v_mad_u64_u32 v[0:1], s[2:3], s6, v1, 0
	v_lshl_add_u64 v[0:1], v[0:1], 1, s[0:1]
	v_mov_b32_e32 v55, 0
	v_lshl_add_u64 v[0:1], v[0:1], 0, v[54:55]
	s_waitcnt lgkmcnt(0)
	global_store_dwordx4 v[0:1], v[2:5], off
.LBB1367_17:
	s_endpgm
	.section	.rodata,"a",@progbits
	.p2align	6, 0x0
	.amdhsa_kernel _Z39paged_attention_ll4mi_QKV_mfma16_kernelI14__hip_bfloat16hLN4vllm18Fp8KVCacheDataTypeE1EhLi32ELi128ELi256ELb0ELi4EEvPKT_PKT0_S8_ifPKiSA_SA_iPKfiiiPfSD_PS3_PT2_iSC_SC_
		.amdhsa_group_segment_fixed_size 8192
		.amdhsa_private_segment_fixed_size 0
		.amdhsa_kernarg_size 400
		.amdhsa_user_sgpr_count 2
		.amdhsa_user_sgpr_dispatch_ptr 0
		.amdhsa_user_sgpr_queue_ptr 0
		.amdhsa_user_sgpr_kernarg_segment_ptr 1
		.amdhsa_user_sgpr_dispatch_id 0
		.amdhsa_user_sgpr_kernarg_preload_length 0
		.amdhsa_user_sgpr_kernarg_preload_offset 0
		.amdhsa_user_sgpr_private_segment_size 0
		.amdhsa_uses_dynamic_stack 0
		.amdhsa_enable_private_segment 0
		.amdhsa_system_sgpr_workgroup_id_x 1
		.amdhsa_system_sgpr_workgroup_id_y 1
		.amdhsa_system_sgpr_workgroup_id_z 1
		.amdhsa_system_sgpr_workgroup_info 0
		.amdhsa_system_vgpr_workitem_id 0
		.amdhsa_next_free_vgpr 82
		.amdhsa_next_free_sgpr 49
		.amdhsa_accum_offset 84
		.amdhsa_reserve_vcc 1
		.amdhsa_float_round_mode_32 0
		.amdhsa_float_round_mode_16_64 0
		.amdhsa_float_denorm_mode_32 3
		.amdhsa_float_denorm_mode_16_64 3
		.amdhsa_dx10_clamp 1
		.amdhsa_ieee_mode 1
		.amdhsa_fp16_overflow 0
		.amdhsa_tg_split 0
		.amdhsa_exception_fp_ieee_invalid_op 0
		.amdhsa_exception_fp_denorm_src 0
		.amdhsa_exception_fp_ieee_div_zero 0
		.amdhsa_exception_fp_ieee_overflow 0
		.amdhsa_exception_fp_ieee_underflow 0
		.amdhsa_exception_fp_ieee_inexact 0
		.amdhsa_exception_int_div_zero 0
	.end_amdhsa_kernel
	.section	.text._Z39paged_attention_ll4mi_QKV_mfma16_kernelI14__hip_bfloat16hLN4vllm18Fp8KVCacheDataTypeE1EhLi32ELi128ELi256ELb0ELi4EEvPKT_PKT0_S8_ifPKiSA_SA_iPKfiiiPfSD_PS3_PT2_iSC_SC_,"axG",@progbits,_Z39paged_attention_ll4mi_QKV_mfma16_kernelI14__hip_bfloat16hLN4vllm18Fp8KVCacheDataTypeE1EhLi32ELi128ELi256ELb0ELi4EEvPKT_PKT0_S8_ifPKiSA_SA_iPKfiiiPfSD_PS3_PT2_iSC_SC_,comdat
.Lfunc_end1367:
	.size	_Z39paged_attention_ll4mi_QKV_mfma16_kernelI14__hip_bfloat16hLN4vllm18Fp8KVCacheDataTypeE1EhLi32ELi128ELi256ELb0ELi4EEvPKT_PKT0_S8_ifPKiSA_SA_iPKfiiiPfSD_PS3_PT2_iSC_SC_, .Lfunc_end1367-_Z39paged_attention_ll4mi_QKV_mfma16_kernelI14__hip_bfloat16hLN4vllm18Fp8KVCacheDataTypeE1EhLi32ELi128ELi256ELb0ELi4EEvPKT_PKT0_S8_ifPKiSA_SA_iPKfiiiPfSD_PS3_PT2_iSC_SC_
                                        ; -- End function
	.section	.AMDGPU.csdata,"",@progbits
; Kernel info:
; codeLenInByte = 6296
; NumSgprs: 55
; NumVgprs: 82
; NumAgprs: 0
; TotalNumVgprs: 82
; ScratchSize: 0
; MemoryBound: 0
; FloatMode: 240
; IeeeMode: 1
; LDSByteSize: 8192 bytes/workgroup (compile time only)
; SGPRBlocks: 6
; VGPRBlocks: 10
; NumSGPRsForWavesPerEU: 55
; NumVGPRsForWavesPerEU: 82
; AccumOffset: 84
; Occupancy: 5
; WaveLimiterHint : 1
; COMPUTE_PGM_RSRC2:SCRATCH_EN: 0
; COMPUTE_PGM_RSRC2:USER_SGPR: 2
; COMPUTE_PGM_RSRC2:TRAP_HANDLER: 0
; COMPUTE_PGM_RSRC2:TGID_X_EN: 1
; COMPUTE_PGM_RSRC2:TGID_Y_EN: 1
; COMPUTE_PGM_RSRC2:TGID_Z_EN: 1
; COMPUTE_PGM_RSRC2:TIDIG_COMP_CNT: 0
; COMPUTE_PGM_RSRC3_GFX90A:ACCUM_OFFSET: 20
; COMPUTE_PGM_RSRC3_GFX90A:TG_SPLIT: 0
	.section	.text._Z38paged_attention_ll4mi_QKV_mfma4_kernelI14__hip_bfloat16hLN4vllm18Fp8KVCacheDataTypeE1ES0_Li32ELi128ELi256ELb1ELi1EEvPKT_PKT0_S8_ifPKiSA_SA_iPKfiiiPfSD_PS3_PT2_iSC_SC_,"axG",@progbits,_Z38paged_attention_ll4mi_QKV_mfma4_kernelI14__hip_bfloat16hLN4vllm18Fp8KVCacheDataTypeE1ES0_Li32ELi128ELi256ELb1ELi1EEvPKT_PKT0_S8_ifPKiSA_SA_iPKfiiiPfSD_PS3_PT2_iSC_SC_,comdat
	.protected	_Z38paged_attention_ll4mi_QKV_mfma4_kernelI14__hip_bfloat16hLN4vllm18Fp8KVCacheDataTypeE1ES0_Li32ELi128ELi256ELb1ELi1EEvPKT_PKT0_S8_ifPKiSA_SA_iPKfiiiPfSD_PS3_PT2_iSC_SC_ ; -- Begin function _Z38paged_attention_ll4mi_QKV_mfma4_kernelI14__hip_bfloat16hLN4vllm18Fp8KVCacheDataTypeE1ES0_Li32ELi128ELi256ELb1ELi1EEvPKT_PKT0_S8_ifPKiSA_SA_iPKfiiiPfSD_PS3_PT2_iSC_SC_
	.globl	_Z38paged_attention_ll4mi_QKV_mfma4_kernelI14__hip_bfloat16hLN4vllm18Fp8KVCacheDataTypeE1ES0_Li32ELi128ELi256ELb1ELi1EEvPKT_PKT0_S8_ifPKiSA_SA_iPKfiiiPfSD_PS3_PT2_iSC_SC_
	.p2align	8
	.type	_Z38paged_attention_ll4mi_QKV_mfma4_kernelI14__hip_bfloat16hLN4vllm18Fp8KVCacheDataTypeE1ES0_Li32ELi128ELi256ELb1ELi1EEvPKT_PKT0_S8_ifPKiSA_SA_iPKfiiiPfSD_PS3_PT2_iSC_SC_,@function
_Z38paged_attention_ll4mi_QKV_mfma4_kernelI14__hip_bfloat16hLN4vllm18Fp8KVCacheDataTypeE1ES0_Li32ELi128ELi256ELb1ELi1EEvPKT_PKT0_S8_ifPKiSA_SA_iPKfiiiPfSD_PS3_PT2_iSC_SC_: ; @_Z38paged_attention_ll4mi_QKV_mfma4_kernelI14__hip_bfloat16hLN4vllm18Fp8KVCacheDataTypeE1ES0_Li32ELi128ELi256ELb1ELi1EEvPKT_PKT0_S8_ifPKiSA_SA_iPKfiiiPfSD_PS3_PT2_iSC_SC_
; %bb.0:
	s_load_dwordx2 s[8:9], s[0:1], 0x30
	s_mov_b32 s20, s3
	s_mov_b64 s[6:7], 0
	s_waitcnt lgkmcnt(0)
	s_cmp_lg_u64 s[8:9], 0
	s_cselect_b64 s[10:11], -1, 0
	s_and_b64 vcc, exec, s[10:11]
	s_cbranch_vccz .LBB1368_10
; %bb.1:
	s_add_i32 s12, s2, 1
	s_mov_b32 s13, 0
	s_lshl_b64 s[14:15], s[12:13], 2
	s_add_u32 s14, s8, s14
	s_mov_b32 s3, s13
	s_addc_u32 s15, s9, s15
	s_lshl_b64 s[12:13], s[2:3], 2
	s_add_u32 s12, s8, s12
	s_addc_u32 s13, s9, s13
	s_load_dword s5, s[14:15], 0x0
	s_load_dword s16, s[12:13], 0x0
	s_waitcnt lgkmcnt(0)
	s_sub_i32 s5, s5, s16
	s_cmp_eq_u32 s5, 1
	s_cselect_b64 s[12:13], -1, 0
	s_andn2_b64 vcc, exec, s[6:7]
	s_cbranch_vccnz .LBB1368_3
.LBB1368_2:
	s_mov_b32 s3, 0
	s_mov_b64 s[12:13], -1
.LBB1368_3:
	s_andn2_b64 vcc, exec, s[12:13]
	s_cbranch_vccnz .LBB1368_27
; %bb.4:
	s_load_dword s5, s[0:1], 0x9c
	s_load_dwordx2 s[6:7], s[0:1], 0x28
	s_add_u32 s24, s0, 0x90
	s_addc_u32 s25, s1, 0
	s_lshl_b64 s[28:29], s[2:3], 2
	s_waitcnt lgkmcnt(0)
	s_and_b32 s5, s5, 0xffff
	s_add_u32 s6, s6, s28
	s_addc_u32 s7, s7, s29
	s_load_dword s3, s[6:7], 0x0
	s_mul_i32 s5, s20, s5
	s_waitcnt lgkmcnt(0)
	s_cmp_ge_i32 s5, s3
	s_cbranch_scc1 .LBB1368_27
; %bb.5:
	v_and_b32_e32 v1, 0xc0, v0
	v_add_u32_e32 v4, s5, v1
	v_lshrrev_b32_e32 v46, 6, v0
	v_cmp_le_i32_e64 s[6:7], s3, v4
                                        ; implicit-def: $sgpr30
                                        ; implicit-def: $sgpr21
	s_and_saveexec_b64 s[12:13], s[6:7]
	s_xor_b64 s[12:13], exec, s[12:13]
	s_cbranch_execz .LBB1368_7
; %bb.6:
	v_mul_u32_u24_e32 v1, 20, v46
	v_or_b32_e32 v1, 0x1400, v1
	v_mov_b32_e32 v2, 0x1450
	v_mov_b32_e32 v3, 0xff7fffff
	v_mad_u32_u24 v2, v46, 20, v2
	ds_write2_b32 v1, v3, v3 offset1:1
	v_mov_b32_e32 v1, 0
	ds_write2_b32 v2, v1, v1 offset1:1
	v_mov_b32_e32 v2, 0x1408
	v_mov_b32_e32 v4, 0x1458
	s_mov_b32 s21, 0xff7fffff
	s_mov_b32 s30, 0
	v_mad_u32_u24 v2, v46, 20, v2
	v_mad_u32_u24 v4, v46, 20, v4
	ds_write2_b32 v2, v3, v3 offset1:1
	ds_write2_b32 v4, v1, v1 offset1:1
                                        ; implicit-def: $vgpr4
.LBB1368_7:
	s_or_saveexec_b64 s[26:27], s[12:13]
	s_load_dwordx2 s[22:23], s[0:1], 0x68
	s_load_dwordx4 s[16:19], s[0:1], 0x58
	s_load_dword s33, s[24:25], 0x4
	s_load_dwordx4 s[12:15], s[0:1], 0x80
	v_and_b32_e32 v1, 63, v0
	v_and_b32_e32 v47, 3, v0
	v_mov_b32_e32 v37, s30
	v_mov_b32_e32 v41, s21
	;; [unrolled: 1-line block ×5, first 2 shown]
                                        ; implicit-def: $vgpr26_vgpr27
                                        ; implicit-def: $vgpr10_vgpr11
                                        ; implicit-def: $vgpr30_vgpr31
                                        ; implicit-def: $vgpr18_vgpr19
                                        ; implicit-def: $vgpr6_vgpr7
                                        ; implicit-def: $vgpr2_vgpr3
                                        ; implicit-def: $vgpr22_vgpr23
                                        ; implicit-def: $vgpr14_vgpr15
	s_xor_b64 exec, exec, s[26:27]
	s_cbranch_execz .LBB1368_19
; %bb.8:
	s_load_dwordx2 s[30:31], s[0:1], 0x20
	s_load_dword s21, s[0:1], 0x38
	s_add_i32 s34, s3, 31
	s_ashr_i32 s35, s34, 31
	s_lshr_b32 s35, s35, 27
	v_add_u32_e32 v48, s5, v0
	s_add_i32 s34, s34, s35
	v_ashrrev_i32_e32 v2, 31, v48
	s_ashr_i32 s34, s34, 5
	v_lshrrev_b32_e32 v2, 27, v2
	s_add_i32 s36, s34, -1
	s_waitcnt lgkmcnt(0)
	s_mul_i32 s34, s2, s21
	s_mov_b32 s35, 0
	v_add_u32_e32 v2, v48, v2
	s_lshl_b64 s[34:35], s[34:35], 2
	v_ashrrev_i32_e32 v2, 5, v2
	v_mov_b32_e32 v3, s36
	v_cmp_gt_i32_e32 vcc, s3, v48
	s_add_u32 s30, s30, s34
	s_addc_u32 s31, s31, s35
	v_cndmask_b32_e32 v2, v3, v2, vcc
	v_ashrrev_i32_e32 v3, 31, v2
	v_lshl_add_u64 v[6:7], v[2:3], 2, s[30:31]
	v_ashrrev_i32_e32 v2, 31, v4
	v_lshrrev_b32_e32 v2, 27, v2
	v_add_u32_e32 v2, v4, v2
	v_ashrrev_i32_e32 v8, 5, v2
	v_min_i32_e32 v2, s36, v8
	v_ashrrev_i32_e32 v3, 31, v2
	v_lshl_add_u64 v[4:5], v[2:3], 2, s[30:31]
	v_add_u32_e32 v2, 1, v8
	v_min_i32_e32 v2, s36, v2
	v_ashrrev_i32_e32 v3, 31, v2
	v_lshl_add_u64 v[8:9], v[2:3], 2, s[30:31]
	global_load_dword v2, v[6:7], off
	global_load_dword v27, v[4:5], off
	;; [unrolled: 1-line block ×3, first 2 shown]
	s_load_dwordx2 s[34:35], s[0:1], 0x8
	s_andn2_b64 vcc, exec, s[10:11]
	s_cbranch_vccnz .LBB1368_11
; %bb.9:
	s_add_u32 s8, s8, s28
	s_addc_u32 s9, s9, s29
	s_load_dword s5, s[8:9], 0x0
	s_branch .LBB1368_12
.LBB1368_10:
	s_mov_b64 s[12:13], 0
	s_branch .LBB1368_2
.LBB1368_11:
	s_mov_b32 s5, s2
.LBB1368_12:
	s_load_dwordx2 s[28:29], s[0:1], 0x10
	s_load_dwordx4 s[8:11], s[0:1], 0x48
	v_cmp_eq_u32_e32 vcc, 0, v47
	s_mov_b32 s31, 0
	v_mov_b32_e32 v43, 0
	v_mov_b32_e32 v14, 0
	;; [unrolled: 1-line block ×5, first 2 shown]
	s_and_saveexec_b64 s[36:37], vcc
	s_cbranch_execz .LBB1368_14
; %bb.13:
	s_load_dwordx2 s[38:39], s[0:1], 0x0
	s_waitcnt lgkmcnt(0)
	s_ashr_i32 s11, s8, 31
	s_mul_hi_u32 s21, s5, s8
	s_mul_i32 s11, s5, s11
	s_add_i32 s41, s21, s11
	s_mul_i32 s40, s5, s8
	s_lshl_b64 s[40:41], s[40:41], 1
	s_add_u32 s5, s38, s40
	s_addc_u32 s8, s39, s41
	s_lshl_b32 s30, s4, 7
	s_lshl_b64 s[38:39], s[30:31], 1
	s_add_u32 s38, s5, s38
	s_addc_u32 s39, s8, s39
	v_lshlrev_b32_e32 v3, 2, v1
	global_load_dwordx4 v[14:17], v3, s[38:39]
.LBB1368_14:
	s_or_b64 exec, exec, s[36:37]
	s_waitcnt lgkmcnt(0)
	s_mul_i32 s8, s4, s10
	s_add_u32 s10, s8, s34
	s_addc_u32 s11, 0, s35
	v_mov_b64_e32 v[4:5], s[10:11]
	s_waitcnt vmcnt(2)
	v_mad_i64_i32 v[2:3], s[10:11], v2, s9, v[4:5]
	v_lshlrev_b32_e32 v4, 4, v0
	v_and_b32_e32 v42, 0x1f0, v4
	v_lshl_add_u64 v[28:29], v[2:3], 0, v[42:43]
	global_load_dwordx4 v[10:13], v[28:29], off
	global_load_dwordx4 v[6:9], v[28:29], off offset:512
	global_load_dwordx4 v[2:5], v[28:29], off offset:1024
	;; [unrolled: 1-line block ×7, first 2 shown]
	v_mov_b32_e32 v42, 0
	s_and_saveexec_b64 s[10:11], vcc
	s_cbranch_execz .LBB1368_16
; %bb.15:
	s_load_dwordx2 s[34:35], s[0:1], 0x40
	s_mov_b32 s5, s31
	s_lshl_b64 s[30:31], s[4:5], 2
	v_mov_b32_e32 v43, 1.0
	s_waitcnt lgkmcnt(0)
	s_add_u32 s30, s34, s30
	s_addc_u32 s31, s35, s31
	s_load_dword s5, s[30:31], 0x0
	s_waitcnt lgkmcnt(0)
	v_mov_b32_e32 v42, s5
.LBB1368_16:
	s_or_b64 exec, exec, s[10:11]
	s_waitcnt vmcnt(9)
	v_mul_hi_i32 v28, v27, s9
	v_ashrrev_i32_e32 v28, 31, v28
	s_add_u32 s10, s28, s8
	v_lshrrev_b32_e32 v28, 29, v28
	v_mov_b32_e32 v29, 0
	s_addc_u32 s11, s29, 0
	v_mad_i64_i32 v[44:45], s[28:29], v27, s9, v[28:29]
	v_and_b32_e32 v44, -8, v44
	s_waitcnt vmcnt(8)
	v_mul_hi_i32 v27, v26, s9
	v_lshl_add_u64 v[44:45], s[10:11], 0, v[44:45]
	v_lshlrev_b32_e32 v28, 5, v1
	v_ashrrev_i32_e32 v27, 31, v27
	v_lshl_add_u64 v[50:51], v[44:45], 0, v[28:29]
	v_lshrrev_b32_e32 v44, 29, v27
	v_mov_b32_e32 v45, v29
	v_mad_i64_i32 v[26:27], s[8:9], v26, s9, v[44:45]
	v_and_b32_e32 v26, -8, v26
	v_lshl_add_u64 v[26:27], s[10:11], 0, v[26:27]
	v_lshl_add_u64 v[44:45], v[26:27], 0, v[28:29]
	s_waitcnt vmcnt(7)
	v_cvt_pk_f32_fp8_e32 v[26:27], v10
	v_cvt_pk_f32_fp8_sdwa v[28:29], v10 src0_sel:WORD_1
	v_cvt_pk_f32_fp8_e32 v[52:53], v11
	v_cvt_pk_f32_fp8_sdwa v[10:11], v11 src0_sel:WORD_1
	s_mov_b32 s5, 0x7060302
	v_perm_b32 v26, v27, v26, s5
	v_perm_b32 v27, v29, v28, s5
	;; [unrolled: 1-line block ×3, first 2 shown]
	v_cvt_pk_f32_fp8_e32 v[10:11], v12
	v_mfma_f32_4x4x4_16b_bf16 a[0:3], v[14:15], v[26:27], 0 cbsz:4
	v_cvt_pk_f32_fp8_sdwa v[26:27], v12 src0_sel:WORD_1
	v_perm_b32 v28, v53, v52, s5
	v_perm_b32 v10, v11, v10, s5
	s_waitcnt vmcnt(4)
	v_cvt_pk_f32_fp8_e32 v[52:53], v41
	v_mfma_f32_4x4x4_16b_bf16 a[0:3], v[16:17], v[28:29], a[0:3] cbsz:4
	v_cvt_pk_f32_fp8_e32 v[28:29], v13
	v_cvt_pk_f32_fp8_sdwa v[12:13], v13 src0_sel:WORD_1
	v_perm_b32 v11, v27, v26, s5
	s_load_dword s0, s[0:1], 0x1c
	v_perm_b32 v26, v29, v28, s5
	v_mfma_f32_4x4x4_16b_bf16 a[0:3], v[14:15], v[10:11], a[0:3] cbsz:4 abid:1
	v_perm_b32 v27, v13, v12, s5
	v_cvt_pk_f32_fp8_e32 v[10:11], v6
	v_cvt_pk_f32_fp8_sdwa v[12:13], v6 src0_sel:WORD_1
	v_mfma_f32_4x4x4_16b_bf16 a[0:3], v[16:17], v[26:27], a[0:3] cbsz:4 abid:1
	v_cvt_pk_f32_fp8_e32 v[26:27], v7
	v_cvt_pk_f32_fp8_sdwa v[6:7], v7 src0_sel:WORD_1
	v_perm_b32 v28, v11, v10, s5
	v_perm_b32 v29, v13, v12, s5
	;; [unrolled: 1-line block ×4, first 2 shown]
	v_mfma_f32_4x4x4_16b_bf16 a[0:3], v[14:15], v[28:29], a[0:3] cbsz:4 abid:2
	v_cvt_pk_f32_fp8_e32 v[6:7], v8
	v_cvt_pk_f32_fp8_sdwa v[28:29], v8 src0_sel:WORD_1
	v_mfma_f32_4x4x4_16b_bf16 a[0:3], v[16:17], v[26:27], a[0:3] cbsz:4 abid:2
	v_cvt_pk_f32_fp8_e32 v[26:27], v9
	v_perm_b32 v6, v7, v6, s5
	v_perm_b32 v7, v29, v28, s5
	v_cvt_pk_f32_fp8_sdwa v[8:9], v9 src0_sel:WORD_1
	v_cvt_pk_f32_fp8_sdwa v[28:29], v2 src0_sel:WORD_1
	v_mfma_f32_4x4x4_16b_bf16 a[0:3], v[14:15], v[6:7], a[0:3] cbsz:4 abid:3
	v_cvt_pk_f32_fp8_e32 v[6:7], v2
	v_perm_b32 v26, v27, v26, s5
	v_perm_b32 v27, v9, v8, s5
	v_cvt_pk_f32_fp8_sdwa v[8:9], v3 src0_sel:WORD_1
	v_perm_b32 v2, v7, v6, s5
	v_cvt_pk_f32_fp8_e32 v[6:7], v3
	v_mfma_f32_4x4x4_16b_bf16 a[0:3], v[16:17], v[26:27], a[0:3] cbsz:4 abid:3
	v_perm_b32 v3, v29, v28, s5
	global_load_dwordx4 v[10:13], v[50:51], off offset:16
	global_load_dwordx4 v[26:29], v[50:51], off
	v_mfma_f32_4x4x4_16b_bf16 a[0:3], v[14:15], v[2:3], a[0:3] cbsz:4 abid:4
	v_perm_b32 v6, v7, v6, s5
	v_perm_b32 v7, v9, v8, s5
	v_cvt_pk_f32_fp8_e32 v[2:3], v4
	v_cvt_pk_f32_fp8_e32 v[8:9], v5
	v_mfma_f32_4x4x4_16b_bf16 a[0:3], v[16:17], v[6:7], a[0:3] cbsz:4 abid:4
	v_cvt_pk_f32_fp8_sdwa v[6:7], v4 src0_sel:WORD_1
	v_cvt_pk_f32_fp8_sdwa v[4:5], v5 src0_sel:WORD_1
	v_perm_b32 v2, v3, v2, s5
	s_load_dword s1, s[12:13], 0x0
	v_perm_b32 v3, v7, v6, s5
	v_perm_b32 v7, v5, v4, s5
	v_cvt_pk_f32_fp8_sdwa v[4:5], v38 src0_sel:WORD_1
	v_mfma_f32_4x4x4_16b_bf16 a[0:3], v[14:15], v[2:3], a[0:3] cbsz:4 abid:5
	v_cvt_pk_f32_fp8_e32 v[2:3], v38
	v_perm_b32 v6, v9, v8, s5
	v_cvt_pk_f32_fp8_sdwa v[8:9], v39 src0_sel:WORD_1
	v_cmp_eq_u32_e32 vcc, 1, v47
	v_mfma_f32_4x4x4_16b_bf16 a[0:3], v[16:17], v[6:7], a[0:3] cbsz:4 abid:5
	v_cvt_pk_f32_fp8_e32 v[6:7], v39
	v_perm_b32 v38, v3, v2, s5
	v_perm_b32 v39, v5, v4, s5
	global_load_dwordx4 v[2:5], v[50:51], off offset:2064
	v_perm_b32 v6, v7, v6, s5
	v_mfma_f32_4x4x4_16b_bf16 a[0:3], v[14:15], v[38:39], a[0:3] cbsz:4 abid:6
	v_cvt_pk_f32_fp8_sdwa v[38:39], v40 src0_sel:WORD_1
	v_perm_b32 v7, v9, v8, s5
	v_cvt_pk_f32_fp8_e32 v[8:9], v40
	v_perm_b32 v40, v53, v52, s5
	v_perm_b32 v55, v39, v38, s5
	v_cvt_pk_f32_fp8_sdwa v[38:39], v41 src0_sel:WORD_1
	v_mfma_f32_4x4x4_16b_bf16 a[0:3], v[16:17], v[6:7], a[0:3] cbsz:4 abid:6
	v_perm_b32 v54, v9, v8, s5
	global_load_dwordx4 v[6:9], v[50:51], off offset:2048
	s_waitcnt vmcnt(7)
	v_cvt_pk_f32_fp8_e32 v[50:51], v18
	v_cvt_pk_f32_fp8_sdwa v[52:53], v18 src0_sel:WORD_1
	v_mfma_f32_4x4x4_16b_bf16 a[0:3], v[14:15], v[54:55], a[0:3] cbsz:4 abid:7
	v_perm_b32 v41, v39, v38, s5
	v_cvt_pk_f32_fp8_e32 v[38:39], v19
	v_cvt_pk_f32_fp8_sdwa v[18:19], v19 src0_sel:WORD_1
	v_mfma_f32_4x4x4_16b_bf16 a[0:3], v[16:17], v[40:41], a[0:3] cbsz:4 abid:7
	v_perm_b32 v40, v51, v50, s5
	v_perm_b32 v41, v53, v52, s5
	;; [unrolled: 1-line block ×4, first 2 shown]
	v_mfma_f32_4x4x4_16b_bf16 a[0:3], v[14:15], v[40:41], a[0:3] cbsz:4 abid:8
	v_cvt_pk_f32_fp8_e32 v[40:41], v20
	v_cvt_pk_f32_fp8_e32 v[50:51], v21
	v_mfma_f32_4x4x4_16b_bf16 a[0:3], v[16:17], v[38:39], a[0:3] cbsz:4 abid:8
	v_cvt_pk_f32_fp8_sdwa v[38:39], v20 src0_sel:WORD_1
	v_cvt_pk_f32_fp8_sdwa v[52:53], v21 src0_sel:WORD_1
	v_perm_b32 v40, v41, v40, s5
	global_load_dwordx4 v[18:21], v[44:45], off offset:16
	v_perm_b32 v41, v39, v38, s5
	v_perm_b32 v38, v51, v50, s5
	;; [unrolled: 1-line block ×3, first 2 shown]
	v_mfma_f32_4x4x4_16b_bf16 a[0:3], v[14:15], v[40:41], a[0:3] cbsz:4 abid:9
	s_waitcnt vmcnt(7)
	v_cvt_pk_f32_fp8_sdwa v[40:41], v30 src0_sel:WORD_1
	v_cvt_pk_f32_fp8_e32 v[50:51], v31
	v_mfma_f32_4x4x4_16b_bf16 a[0:3], v[16:17], v[38:39], a[0:3] cbsz:4 abid:9
	v_cvt_pk_f32_fp8_e32 v[38:39], v30
	v_cvt_pk_f32_fp8_sdwa v[30:31], v31 src0_sel:WORD_1
	v_cvt_pk_f32_fp8_sdwa v[52:53], v33 src0_sel:WORD_1
	v_perm_b32 v38, v39, v38, s5
	v_perm_b32 v39, v41, v40, s5
	;; [unrolled: 1-line block ×4, first 2 shown]
	v_mfma_f32_4x4x4_16b_bf16 a[0:3], v[14:15], v[38:39], a[0:3] cbsz:4 abid:10
	v_cvt_pk_f32_fp8_e32 v[38:39], v32
	v_cvt_pk_f32_fp8_e32 v[50:51], v33
	v_mfma_f32_4x4x4_16b_bf16 a[0:3], v[16:17], v[40:41], a[0:3] cbsz:4 abid:10
	v_cvt_pk_f32_fp8_sdwa v[40:41], v32 src0_sel:WORD_1
	global_load_dwordx4 v[30:33], v[44:45], off
	v_perm_b32 v38, v39, v38, s5
	v_perm_b32 v39, v41, v40, s5
	;; [unrolled: 1-line block ×3, first 2 shown]
	s_nop 0
	v_mfma_f32_4x4x4_16b_bf16 a[0:3], v[14:15], v[38:39], a[0:3] cbsz:4 abid:11
	v_perm_b32 v41, v53, v52, s5
	s_waitcnt vmcnt(7)
	v_cvt_pk_f32_fp8_e32 v[38:39], v34
	v_cvt_pk_f32_fp8_e32 v[50:51], v35
	v_mfma_f32_4x4x4_16b_bf16 a[0:3], v[16:17], v[40:41], a[0:3] cbsz:4 abid:11
	v_cvt_pk_f32_fp8_sdwa v[40:41], v34 src0_sel:WORD_1
	v_cvt_pk_f32_fp8_sdwa v[34:35], v35 src0_sel:WORD_1
	v_perm_b32 v38, v39, v38, s5
	v_perm_b32 v39, v41, v40, s5
	;; [unrolled: 1-line block ×3, first 2 shown]
	s_nop 0
	v_mfma_f32_4x4x4_16b_bf16 a[0:3], v[14:15], v[38:39], a[0:3] cbsz:4 abid:12
	v_cvt_pk_f32_fp8_e32 v[34:35], v36
	v_cvt_pk_f32_fp8_sdwa v[38:39], v36 src0_sel:WORD_1
	v_perm_b32 v40, v51, v50, s5
	v_perm_b32 v34, v35, v34, s5
	s_nop 0
	v_mfma_f32_4x4x4_16b_bf16 a[0:3], v[16:17], v[40:41], a[0:3] cbsz:4 abid:12
	v_cvt_pk_f32_fp8_e32 v[40:41], v37
	v_cvt_pk_f32_fp8_sdwa v[36:37], v37 src0_sel:WORD_1
	v_perm_b32 v35, v39, v38, s5
	v_perm_b32 v38, v41, v40, s5
	s_nop 0
	v_mfma_f32_4x4x4_16b_bf16 a[0:3], v[14:15], v[34:35], a[0:3] cbsz:4 abid:13
	v_perm_b32 v39, v37, v36, s5
	s_waitcnt vmcnt(6)
	v_cvt_pk_f32_fp8_e32 v[34:35], v22
	v_cvt_pk_f32_fp8_sdwa v[36:37], v22 src0_sel:WORD_1
	v_mfma_f32_4x4x4_16b_bf16 a[0:3], v[16:17], v[38:39], a[0:3] cbsz:4 abid:13
	v_cvt_pk_f32_fp8_e32 v[38:39], v23
	v_cvt_pk_f32_fp8_sdwa v[22:23], v23 src0_sel:WORD_1
	v_perm_b32 v34, v35, v34, s5
	v_perm_b32 v35, v37, v36, s5
	;; [unrolled: 1-line block ×4, first 2 shown]
	v_mfma_f32_4x4x4_16b_bf16 a[0:3], v[14:15], v[34:35], a[0:3] cbsz:4 abid:14
	v_cvt_pk_f32_fp8_e32 v[22:23], v24
	v_cvt_pk_f32_fp8_sdwa v[34:35], v24 src0_sel:WORD_1
	v_mfma_f32_4x4x4_16b_bf16 a[0:3], v[16:17], v[36:37], a[0:3] cbsz:4 abid:14
	v_cvt_pk_f32_fp8_e32 v[36:37], v25
	v_cvt_pk_f32_fp8_sdwa v[24:25], v25 src0_sel:WORD_1
	v_perm_b32 v22, v23, v22, s5
	v_perm_b32 v23, v35, v34, s5
	;; [unrolled: 1-line block ×4, first 2 shown]
	v_mfma_f32_4x4x4_16b_bf16 a[0:3], v[14:15], v[22:23], a[0:3] cbsz:4 abid:15
	s_waitcnt lgkmcnt(0)
	v_mov_b32_e32 v14, s0
	v_mov_b32_e32 v41, 0xff7fffff
	v_mfma_f32_4x4x4_16b_bf16 a[0:3], v[16:17], v[34:35], a[0:3] cbsz:4 abid:15
	v_mul_f32_e32 v34, s1, v14
	s_nop 3
	v_accvgpr_read_b32 v15, a1
	v_accvgpr_read_b32 v14, a0
	v_pk_mul_f32 v[36:37], v[14:15], v[34:35] op_sel_hi:[1,0]
	global_load_dwordx4 v[14:17], v[44:45], off offset:2064
	global_load_dwordx4 v[22:25], v[44:45], off offset:2048
	v_accvgpr_read_b32 v39, a3
	v_accvgpr_read_b32 v38, a2
	v_pk_mul_f32 v[34:35], v[38:39], v[34:35] op_sel_hi:[1,0]
	v_mfma_f32_4x4x1_16b_f32 a[0:3], v36, v43, 0
	v_cndmask_b32_e64 v36, 0, 1.0, vcc
	v_cmp_eq_u32_e32 vcc, 2, v47
	s_nop 0
	v_mfma_f32_4x4x1_16b_f32 a[0:3], v37, v36, a[0:3]
	v_cndmask_b32_e64 v36, 0, 1.0, vcc
	v_cmp_eq_u32_e32 vcc, 3, v47
	s_nop 0
	v_mfma_f32_4x4x1_16b_f32 a[0:3], v34, v36, a[0:3]
	v_cndmask_b32_e64 v34, 0, 1.0, vcc
	s_nop 1
	v_mfma_f32_4x4x1_16b_f32 a[0:3], v35, v34, a[0:3]
	v_and_b32_e32 v34, -4, v48
	v_subrev_u32_e32 v35, s3, v34
	v_add_u32_e32 v36, 1, v35
	v_cvt_f32_i32_e32 v36, v36
	v_add_u32_e32 v37, 2, v35
	v_cvt_f32_i32_e32 v37, v37
	v_accvgpr_read_b32 v38, a0
	v_fma_f32 v36, v42, v36, v38
	v_accvgpr_read_b32 v38, a1
	v_fma_f32 v37, v42, v37, v38
	v_add_u32_e32 v38, 3, v35
	v_cvt_f32_i32_e32 v38, v38
	v_add_u32_e32 v35, 4, v35
	v_cvt_f32_i32_e32 v35, v35
	v_accvgpr_read_b32 v39, a2
	v_max_f32_e32 v40, 0xff7fffff, v36
	v_cmp_gt_i32_e32 vcc, s3, v34
	v_fma_f32 v38, v42, v38, v39
	v_accvgpr_read_b32 v39, a3
	v_cndmask_b32_e32 v40, v41, v40, vcc
	v_or_b32_e32 v41, 1, v34
	v_fmac_f32_e32 v39, v42, v35
	v_max_f32_e32 v42, v40, v37
	v_cmp_gt_i32_e64 s[0:1], s3, v41
	v_or_b32_e32 v34, 2, v34
	v_cmp_gt_i32_e64 s[8:9], s3, v34
	v_cndmask_b32_e64 v40, v40, v42, s[0:1]
	v_max_f32_e32 v41, v40, v38
	v_cndmask_b32_e64 v34, v40, v41, s[8:9]
	v_or_b32_e32 v40, 3, v48
	v_max_f32_e32 v41, v34, v39
	v_cmp_gt_i32_e64 s[10:11], s3, v40
	v_lshlrev_b32_e32 v35, 2, v0
	v_and_or_b32 v35, v35, 48, v47
	v_cndmask_b32_e64 v34, v34, v41, s[10:11]
	;;#ASMSTART
	v_nop
 v_nop
 v_max_f32_dpp v34, v34, v34 row_ror:4
	;;#ASMEND
	v_lshlrev_b32_e32 v40, 2, v35
	;;#ASMSTART
	v_nop
 v_nop
 v_max_f32_dpp v34, v34, v34 row_ror:8
	;;#ASMEND
	ds_bpermute_b32 v34, v40, v34
	s_waitcnt lgkmcnt(0)
	;;#ASMSTART
	v_nop
 v_nop
 v_max_f32_dpp v34, v34, v34 row_ror:4
	;;#ASMEND
	s_nop 0
	;;#ASMSTART
	v_nop
 v_nop
 v_max_f32_dpp v41, v34, v34 row_ror:8
	;;#ASMEND
	s_nop 0
	v_sub_f32_e32 v34, v36, v41
	v_mul_f32_e32 v34, 0x3fb8aa3b, v34
	v_sub_f32_e32 v35, v37, v41
	v_exp_f32_e32 v34, v34
	v_mul_f32_e32 v35, 0x3fb8aa3b, v35
	v_sub_f32_e32 v37, v38, v41
	v_exp_f32_e32 v35, v35
	;; [unrolled: 3-line block ×3, first 2 shown]
	v_mul_f32_e32 v38, 0x3fb8aa3b, v38
	v_exp_f32_e32 v38, v38
	v_cndmask_b32_e32 v34, 0, v34, vcc
	v_add_f32_e32 v36, 0, v34
	v_cndmask_b32_e64 v35, 0, v35, s[0:1]
	v_add_f32_e32 v39, v36, v35
	v_cndmask_b32_e64 v36, 0, v37, s[8:9]
	;; [unrolled: 2-line block ×3, first 2 shown]
	v_add_f32_e32 v38, v39, v37
	;;#ASMSTART
	v_nop
 v_nop
 v_add_f32_dpp v38, v38, v38 row_ror:4
	;;#ASMEND
	v_cmp_gt_u32_e32 vcc, 4, v1
	;;#ASMSTART
	v_nop
 v_nop
 v_add_f32_dpp v38, v38, v38 row_ror:8
	;;#ASMEND
	ds_bpermute_b32 v38, v40, v38
	s_waitcnt lgkmcnt(0)
	;;#ASMSTART
	v_nop
 v_nop
 v_add_f32_dpp v38, v38, v38 row_ror:4
	;;#ASMEND
	s_nop 0
	;;#ASMSTART
	v_nop
 v_nop
 v_add_f32_dpp v38, v38, v38 row_ror:8
	;;#ASMEND
	s_and_saveexec_b64 s[0:1], vcc
	s_cbranch_execz .LBB1368_18
; %bb.17:
	v_mul_u32_u24_e32 v39, 20, v46
	v_lshl_add_u32 v39, v47, 2, v39
	v_add_u32_e32 v39, 0x1400, v39
	ds_write2_b32 v39, v41, v38 offset1:20
.LBB1368_18:
	s_or_b64 exec, exec, s[0:1]
.LBB1368_19:
	s_or_b64 exec, exec, s[26:27]
	s_waitcnt lgkmcnt(0)
	s_barrier
	s_load_dword s0, s[24:25], 0x8
	v_lshlrev_b32_e32 v38, 2, v47
	v_add_u32_e32 v40, 0x1400, v38
	ds_read2_b32 v[38:39], v40 offset1:5
	ds_read2_b32 v[44:45], v40 offset0:10 offset1:15
	s_mul_i32 s1, s33, s2
	s_waitcnt lgkmcnt(0)
	s_mul_i32 s0, s1, s0
	s_mov_b32 s1, 0xff7fffff
	v_max3_f32 v42, v38, s1, v39
	v_max3_f32 v42, v42, v44, v45
	v_sub_f32_e32 v38, v38, v42
	ds_read2_b32 v[48:49], v40 offset0:20 offset1:25
	v_mul_f32_e32 v38, 0x3fb8aa3b, v38
	v_sub_f32_e32 v39, v39, v42
	v_exp_f32_e32 v43, v38
	v_mul_f32_e32 v39, 0x3fb8aa3b, v39
	ds_read2_b32 v[50:51], v40 offset0:30 offset1:35
	v_sub_f32_e32 v40, v44, v42
	v_exp_f32_e32 v39, v39
	v_mul_f32_e32 v40, 0x3fb8aa3b, v40
	v_sub_f32_e32 v44, v45, v42
	v_exp_f32_e32 v40, v40
	v_mul_f32_e32 v44, 0x3fb8aa3b, v44
	v_exp_f32_e32 v44, v44
	s_waitcnt lgkmcnt(1)
	v_fma_f32 v43, v43, v48, 0
	v_fmac_f32_e32 v43, v39, v49
	s_waitcnt lgkmcnt(0)
	v_fmac_f32_e32 v43, v40, v50
	v_mov_b32_e32 v38, 0
	v_fmac_f32_e32 v43, v44, v51
	s_mov_b32 s1, 0
	v_cmp_eq_u32_e32 vcc, 0, v47
	s_and_saveexec_b64 s[2:3], vcc
	s_cbranch_execz .LBB1368_21
; %bb.20:
	s_lshl_b64 s[8:9], s[0:1], 2
	s_add_u32 s5, s16, s8
	s_mov_b32 s21, s1
	s_addc_u32 s12, s17, s9
	s_lshl_b64 s[10:11], s[20:21], 2
	s_add_u32 s5, s5, s10
	s_addc_u32 s12, s12, s11
	s_add_u32 s8, s18, s8
	s_addc_u32 s9, s19, s9
	;; [unrolled: 2-line block ×3, first 2 shown]
	s_mul_i32 s8, s33, s4
	s_mov_b32 s9, s1
	s_lshl_b64 s[8:9], s[8:9], 2
	s_add_u32 s10, s5, s8
	s_addc_u32 s11, s12, s9
	s_add_u32 s8, s13, s8
	s_addc_u32 s9, s16, s9
	global_store_dword v38, v42, s[8:9]
	global_store_dword v38, v43, s[10:11]
.LBB1368_21:
	s_or_b64 exec, exec, s[2:3]
	v_lshlrev_b32_e32 v40, 3, v46
                                        ; implicit-def: $sgpr1
	s_and_saveexec_b64 s[2:3], s[6:7]
	s_xor_b64 s[2:3], exec, s[2:3]
	s_cbranch_execz .LBB1368_23
; %bb.22:
	s_waitcnt vmcnt(5)
	v_mov_b32_e32 v2, 0
	v_mad_u32_u24 v4, v1, 40, v40
	s_mov_b32 s1, 0
	v_mov_b32_e32 v3, v2
	ds_write_b64 v4, v[2:3]
                                        ; implicit-def: $vgpr37
                                        ; implicit-def: $vgpr35
                                        ; implicit-def: $vgpr41
                                        ; implicit-def: $vgpr26_vgpr27
                                        ; implicit-def: $vgpr10_vgpr11
                                        ; implicit-def: $vgpr30_vgpr31
                                        ; implicit-def: $vgpr18_vgpr19
                                        ; implicit-def: $vgpr6_vgpr7
                                        ; implicit-def: $vgpr2_vgpr3
                                        ; implicit-def: $vgpr22_vgpr23
                                        ; implicit-def: $vgpr14_vgpr15
                                        ; implicit-def: $vgpr42
                                        ; implicit-def: $vgpr43
.LBB1368_23:
	s_or_saveexec_b64 s[2:3], s[2:3]
	v_mov_b32_e32 v38, s1
	v_mov_b32_e32 v39, s1
	s_xor_b64 exec, exec, s[2:3]
	s_cbranch_execz .LBB1368_25
; %bb.24:
	v_add_f32_e32 v38, 0x358637bd, v43
	v_div_scale_f32 v39, s[6:7], v38, v38, 1.0
	v_rcp_f32_e32 v43, v39
	v_sub_f32_e32 v41, v41, v42
	v_mul_f32_e32 v41, 0x3fb8aa3b, v41
	v_exp_f32_e32 v41, v41
	v_fma_f32 v42, -v39, v43, 1.0
	v_fmac_f32_e32 v43, v42, v43
	v_div_scale_f32 v42, vcc, 1.0, v38, 1.0
	v_mul_f32_e32 v44, v42, v43
	v_fma_f32 v45, -v39, v44, v42
	v_fmac_f32_e32 v44, v45, v43
	v_fma_f32 v39, -v39, v44, v42
	v_div_fmas_f32 v39, v39, v43, v44
	v_div_fixup_f32 v38, v39, v38, 1.0
	v_mul_f32_e32 v38, v41, v38
	v_pk_mul_f32 v[34:35], v[34:35], v[38:39] op_sel_hi:[1,0]
	v_pk_mul_f32 v[36:37], v[36:37], v[38:39] op_sel_hi:[1,0]
	v_bfe_u32 v38, v35, 16, 1
	v_bfe_u32 v39, v34, 16, 1
	s_movk_i32 s1, 0x7fff
	v_add3_u32 v34, v34, v39, s1
	v_add3_u32 v35, v35, v38, s1
	s_mov_b32 s5, 0x7060302
	v_perm_b32 v34, v35, v34, s5
	v_bfe_u32 v35, v37, 16, 1
	v_bfe_u32 v38, v36, 16, 1
	v_add3_u32 v36, v36, v38, s1
	v_add3_u32 v35, v37, v35, s1
	v_perm_b32 v35, v35, v36, s5
	s_waitcnt vmcnt(6)
	v_cvt_pk_f32_fp8_e32 v[36:37], v26
	v_cvt_pk_f32_fp8_sdwa v[38:39], v26 src0_sel:WORD_1
	v_cvt_pk_f32_fp8_e32 v[42:43], v27
	v_cvt_pk_f32_fp8_sdwa v[26:27], v27 src0_sel:WORD_1
	v_perm_b32 v36, v37, v36, s5
	v_perm_b32 v37, v39, v38, s5
	;; [unrolled: 1-line block ×4, first 2 shown]
	v_mfma_f32_4x4x4_16b_bf16 a[0:3], v[34:35], v[36:37], 0 cbsz:4
	v_cvt_pk_f32_fp8_e32 v[26:27], v28
	v_cvt_pk_f32_fp8_sdwa v[36:37], v28 src0_sel:WORD_1
	v_mfma_f32_4x4x4_16b_bf16 a[0:3], v[34:35], v[38:39], a[0:3] cbsz:4 abid:1
	v_cvt_pk_f32_fp8_e32 v[38:39], v29
	v_cvt_pk_f32_fp8_sdwa v[28:29], v29 src0_sel:WORD_1
	v_perm_b32 v26, v27, v26, s5
	v_perm_b32 v27, v37, v36, s5
	v_perm_b32 v36, v39, v38, s5
	v_perm_b32 v37, v29, v28, s5
	v_mfma_f32_4x4x4_16b_bf16 a[0:3], v[34:35], v[26:27], a[0:3] cbsz:4 abid:2
	v_cvt_pk_f32_fp8_e32 v[26:27], v10
	v_cvt_pk_f32_fp8_sdwa v[28:29], v10 src0_sel:WORD_1
	v_mfma_f32_4x4x4_16b_bf16 a[0:3], v[34:35], v[36:37], a[0:3] cbsz:4 abid:3
	v_cvt_pk_f32_fp8_e32 v[36:37], v11
	v_cvt_pk_f32_fp8_sdwa v[10:11], v11 src0_sel:WORD_1
	v_perm_b32 v26, v27, v26, s5
	v_perm_b32 v27, v29, v28, s5
	v_perm_b32 v28, v37, v36, s5
	v_perm_b32 v29, v11, v10, s5
	v_mfma_f32_4x4x4_16b_bf16 a[0:3], v[34:35], v[26:27], a[0:3] cbsz:4 abid:4
	;; [unrolled: 10-line block ×3, first 2 shown]
	s_waitcnt vmcnt(2)
	v_cvt_pk_f32_fp8_e32 v[10:11], v30
	v_cvt_pk_f32_fp8_sdwa v[12:13], v30 src0_sel:WORD_1
	v_mfma_f32_4x4x4_16b_bf16 a[0:3], v[34:35], v[26:27], a[0:3] cbsz:4 abid:7
	v_cvt_pk_f32_fp8_e32 v[26:27], v31
	v_cvt_pk_f32_fp8_sdwa v[28:29], v31 src0_sel:WORD_1
	v_perm_b32 v10, v11, v10, s5
	v_perm_b32 v11, v13, v12, s5
	;; [unrolled: 1-line block ×4, first 2 shown]
	v_mfma_f32_4x4x4_16b_bf16 a[0:3], v[34:35], v[10:11], a[0:3] cbsz:4 abid:8
	v_cvt_pk_f32_fp8_e32 v[10:11], v32
	v_cvt_pk_f32_fp8_e32 v[26:27], v33
	v_mfma_f32_4x4x4_16b_bf16 a[0:3], v[34:35], v[12:13], a[0:3] cbsz:4 abid:9
	v_cvt_pk_f32_fp8_sdwa v[12:13], v32 src0_sel:WORD_1
	v_cvt_pk_f32_fp8_sdwa v[28:29], v33 src0_sel:WORD_1
	v_perm_b32 v10, v11, v10, s5
	s_load_dword s6, s[14:15], 0x0
	v_perm_b32 v11, v13, v12, s5
	v_perm_b32 v12, v27, v26, s5
	;; [unrolled: 1-line block ×3, first 2 shown]
	v_mfma_f32_4x4x4_16b_bf16 a[0:3], v[34:35], v[10:11], a[0:3] cbsz:4 abid:10
	v_cvt_pk_f32_fp8_e32 v[10:11], v18
	v_cvt_pk_f32_fp8_e32 v[26:27], v19
	v_mfma_f32_4x4x4_16b_bf16 a[0:3], v[34:35], v[12:13], a[0:3] cbsz:4 abid:11
	v_cvt_pk_f32_fp8_sdwa v[12:13], v18 src0_sel:WORD_1
	v_cvt_pk_f32_fp8_sdwa v[18:19], v19 src0_sel:WORD_1
	v_perm_b32 v10, v11, v10, s5
	v_perm_b32 v11, v13, v12, s5
	v_perm_b32 v12, v27, v26, s5
	s_nop 0
	v_mfma_f32_4x4x4_16b_bf16 a[0:3], v[34:35], v[10:11], a[0:3] cbsz:4 abid:12
	v_perm_b32 v13, v19, v18, s5
	v_cvt_pk_f32_fp8_e32 v[10:11], v20
	v_cvt_pk_f32_fp8_e32 v[18:19], v21
	v_mfma_f32_4x4x4_16b_bf16 a[0:3], v[34:35], v[12:13], a[0:3] cbsz:4 abid:13
	v_cvt_pk_f32_fp8_sdwa v[12:13], v20 src0_sel:WORD_1
	v_cvt_pk_f32_fp8_sdwa v[20:21], v21 src0_sel:WORD_1
	v_perm_b32 v10, v11, v10, s5
	v_perm_b32 v11, v13, v12, s5
	;; [unrolled: 1-line block ×3, first 2 shown]
	s_nop 0
	v_mfma_f32_4x4x4_16b_bf16 a[0:3], v[34:35], v[10:11], a[0:3] cbsz:4 abid:14
	v_perm_b32 v13, v21, v20, s5
	s_nop 1
	v_mfma_f32_4x4x4_16b_bf16 a[0:3], v[34:35], v[12:13], a[0:3] cbsz:4 abid:15
	s_nop 4
	v_accvgpr_read_b32 v13, a1
	v_accvgpr_read_b32 v12, a0
	s_waitcnt lgkmcnt(0)
	v_pk_mul_f32 v[12:13], v[12:13], s[6:7] op_sel_hi:[1,0]
	v_accvgpr_read_b32 v11, a3
	v_accvgpr_read_b32 v10, a2
	v_bfe_u32 v18, v13, 16, 1
	v_bfe_u32 v19, v12, 16, 1
	v_pk_mul_f32 v[10:11], v[10:11], s[6:7] op_sel_hi:[1,0]
	v_add3_u32 v12, v12, v19, s1
	v_add3_u32 v13, v13, v18, s1
	v_perm_b32 v12, v13, v12, s5
	v_bfe_u32 v13, v11, 16, 1
	v_bfe_u32 v18, v10, 16, 1
	v_add3_u32 v10, v10, v18, s1
	v_add3_u32 v11, v11, v13, s1
	v_perm_b32 v13, v11, v10, s5
	v_mad_u32_u24 v10, v1, 40, v40
	ds_write_b64 v10, v[12:13]
	v_cvt_pk_f32_fp8_e32 v[10:11], v6
	v_cvt_pk_f32_fp8_sdwa v[12:13], v6 src0_sel:WORD_1
	v_cvt_pk_f32_fp8_e32 v[18:19], v7
	v_cvt_pk_f32_fp8_sdwa v[6:7], v7 src0_sel:WORD_1
	v_perm_b32 v10, v11, v10, s5
	v_perm_b32 v11, v13, v12, s5
	v_perm_b32 v12, v19, v18, s5
	v_perm_b32 v13, v7, v6, s5
	v_mfma_f32_4x4x4_16b_bf16 a[0:3], v[34:35], v[10:11], 0 cbsz:4
	v_cvt_pk_f32_fp8_e32 v[6:7], v8
	v_cvt_pk_f32_fp8_sdwa v[10:11], v8 src0_sel:WORD_1
	v_mfma_f32_4x4x4_16b_bf16 a[0:3], v[34:35], v[12:13], a[0:3] cbsz:4 abid:1
	v_cvt_pk_f32_fp8_e32 v[12:13], v9
	v_cvt_pk_f32_fp8_sdwa v[8:9], v9 src0_sel:WORD_1
	v_perm_b32 v6, v7, v6, s5
	v_perm_b32 v7, v11, v10, s5
	v_perm_b32 v10, v13, v12, s5
	v_perm_b32 v11, v9, v8, s5
	v_mfma_f32_4x4x4_16b_bf16 a[0:3], v[34:35], v[6:7], a[0:3] cbsz:4 abid:2
	v_cvt_pk_f32_fp8_e32 v[6:7], v2
	v_cvt_pk_f32_fp8_sdwa v[8:9], v2 src0_sel:WORD_1
	v_mfma_f32_4x4x4_16b_bf16 a[0:3], v[34:35], v[10:11], a[0:3] cbsz:4 abid:3
	v_cvt_pk_f32_fp8_e32 v[10:11], v3
	v_cvt_pk_f32_fp8_sdwa v[2:3], v3 src0_sel:WORD_1
	v_perm_b32 v6, v7, v6, s5
	v_perm_b32 v7, v9, v8, s5
	v_perm_b32 v8, v11, v10, s5
	v_perm_b32 v9, v3, v2, s5
	v_mfma_f32_4x4x4_16b_bf16 a[0:3], v[34:35], v[6:7], a[0:3] cbsz:4 abid:4
	;; [unrolled: 10-line block ×3, first 2 shown]
	s_waitcnt vmcnt(0)
	v_cvt_pk_f32_fp8_e32 v[2:3], v22
	v_cvt_pk_f32_fp8_sdwa v[4:5], v22 src0_sel:WORD_1
	v_mfma_f32_4x4x4_16b_bf16 a[0:3], v[34:35], v[6:7], a[0:3] cbsz:4 abid:7
	v_cvt_pk_f32_fp8_e32 v[6:7], v23
	v_cvt_pk_f32_fp8_sdwa v[8:9], v23 src0_sel:WORD_1
	v_perm_b32 v2, v3, v2, s5
	v_perm_b32 v3, v5, v4, s5
	;; [unrolled: 1-line block ×4, first 2 shown]
	v_mfma_f32_4x4x4_16b_bf16 a[0:3], v[34:35], v[2:3], a[0:3] cbsz:4 abid:8
	v_cvt_pk_f32_fp8_e32 v[2:3], v24
	v_cvt_pk_f32_fp8_e32 v[6:7], v25
	v_mfma_f32_4x4x4_16b_bf16 a[0:3], v[34:35], v[4:5], a[0:3] cbsz:4 abid:9
	v_cvt_pk_f32_fp8_sdwa v[4:5], v24 src0_sel:WORD_1
	v_cvt_pk_f32_fp8_sdwa v[8:9], v25 src0_sel:WORD_1
	v_perm_b32 v2, v3, v2, s5
	v_perm_b32 v3, v5, v4, s5
	v_perm_b32 v4, v7, v6, s5
	s_nop 0
	v_mfma_f32_4x4x4_16b_bf16 a[0:3], v[34:35], v[2:3], a[0:3] cbsz:4 abid:10
	v_perm_b32 v5, v9, v8, s5
	v_cvt_pk_f32_fp8_e32 v[2:3], v14
	v_cvt_pk_f32_fp8_e32 v[6:7], v15
	v_mfma_f32_4x4x4_16b_bf16 a[0:3], v[34:35], v[4:5], a[0:3] cbsz:4 abid:11
	v_cvt_pk_f32_fp8_sdwa v[4:5], v14 src0_sel:WORD_1
	v_cvt_pk_f32_fp8_sdwa v[8:9], v15 src0_sel:WORD_1
	v_perm_b32 v2, v3, v2, s5
	v_perm_b32 v3, v5, v4, s5
	v_perm_b32 v4, v7, v6, s5
	s_nop 0
	v_mfma_f32_4x4x4_16b_bf16 a[0:3], v[34:35], v[2:3], a[0:3] cbsz:4 abid:12
	v_perm_b32 v5, v9, v8, s5
	;; [unrolled: 11-line block ×3, first 2 shown]
	s_nop 1
	v_mfma_f32_4x4x4_16b_bf16 a[0:3], v[34:35], v[4:5], a[0:3] cbsz:4 abid:15
	s_nop 4
	v_accvgpr_read_b32 v5, a1
	v_accvgpr_read_b32 v4, a0
	;; [unrolled: 1-line block ×4, first 2 shown]
	v_pk_mul_f32 v[4:5], v[4:5], s[6:7] op_sel_hi:[1,0]
	v_pk_mul_f32 v[2:3], v[2:3], s[6:7] op_sel_hi:[1,0]
	v_bfe_u32 v6, v5, 16, 1
	v_bfe_u32 v7, v4, 16, 1
	v_add3_u32 v4, v4, v7, s1
	v_add3_u32 v5, v5, v6, s1
	v_bfe_u32 v6, v3, 16, 1
	v_bfe_u32 v7, v2, 16, 1
	v_add3_u32 v2, v2, v7, s1
	v_add3_u32 v3, v3, v6, s1
	v_perm_b32 v39, v3, v2, s5
	v_perm_b32 v38, v5, v4, s5
.LBB1368_25:
	s_or_b64 exec, exec, s[2:3]
	s_waitcnt vmcnt(5)
	v_mad_u32_u24 v2, v1, 40, v40
	v_cmp_gt_u32_e32 vcc, 64, v0
	ds_write_b64 v2, v[38:39] offset:2560
	s_waitcnt lgkmcnt(0)
	s_barrier
	s_and_saveexec_b64 s[2:3], vcc
	s_cbranch_execz .LBB1368_27
; %bb.26:
	v_mov_b32_e32 v2, 0xa00
	v_mad_u32_u24 v2, v1, 40, v2
	ds_read2_b64 v[2:5], v2 offset1:1
	s_waitcnt lgkmcnt(0)
	v_mov_b32_e32 v3, 0xa10
	v_mul_u32_u24_e32 v10, 40, v1
	v_mad_u32_u24 v1, v1, 40, v3
	s_waitcnt vmcnt(4)
	ds_read2_b64 v[6:9], v1 offset1:1
	v_lshlrev_b32_e32 v1, 16, v2
	v_add_f32_e32 v1, 0, v1
	v_and_b32_e32 v1, 0xffff0000, v1
	v_lshlrev_b32_e32 v2, 16, v4
	v_add_f32_e32 v1, v1, v2
	v_and_b32_e32 v1, 0xffff0000, v1
	s_waitcnt lgkmcnt(0)
	v_lshlrev_b32_e32 v2, 16, v6
	v_add_f32_e32 v1, v1, v2
	v_and_b32_e32 v1, 0xffff0000, v1
	v_lshlrev_b32_e32 v2, 16, v8
	v_add_f32_e32 v11, v1, v2
	ds_read2_b64 v[2:5], v10 offset1:1
	ds_read2_b64 v[6:9], v10 offset0:2 offset1:3
	s_mov_b32 s1, 0
	s_lshl_b32 s0, s0, 7
	s_lshl_b64 s[2:3], s[0:1], 1
	s_waitcnt lgkmcnt(1)
	v_lshlrev_b32_e32 v2, 16, v2
	v_add_f32_e32 v2, 0, v2
	s_add_u32 s2, s22, s2
	v_and_b32_e32 v2, 0xffff0000, v2
	v_lshlrev_b32_e32 v3, 16, v4
	s_addc_u32 s3, s23, s3
	s_lshl_b32 s0, s20, 7
	v_add_f32_e32 v2, v2, v3
	s_lshl_b64 s[0:1], s[0:1], 1
	v_and_b32_e32 v2, 0xffff0000, v2
	s_waitcnt lgkmcnt(0)
	v_lshlrev_b32_e32 v3, 16, v6
	s_add_u32 s0, s2, s0
	s_mul_i32 s2, s4, s33
	v_add_f32_e32 v2, v2, v3
	s_addc_u32 s1, s3, s1
	v_lshl_or_b32 v0, s2, 7, v0
	v_mov_b32_e32 v1, 0
	v_and_b32_e32 v2, 0xffff0000, v2
	v_lshlrev_b32_e32 v3, 16, v8
	v_lshl_add_u64 v[0:1], v[0:1], 1, s[0:1]
	v_add_f32_e32 v2, v2, v3
	global_store_short_d16_hi v[0:1], v2, off
	global_store_short_d16_hi v[0:1], v11, off offset:128
.LBB1368_27:
	s_endpgm
	.section	.rodata,"a",@progbits
	.p2align	6, 0x0
	.amdhsa_kernel _Z38paged_attention_ll4mi_QKV_mfma4_kernelI14__hip_bfloat16hLN4vllm18Fp8KVCacheDataTypeE1ES0_Li32ELi128ELi256ELb1ELi1EEvPKT_PKT0_S8_ifPKiSA_SA_iPKfiiiPfSD_PS3_PT2_iSC_SC_
		.amdhsa_group_segment_fixed_size 5280
		.amdhsa_private_segment_fixed_size 0
		.amdhsa_kernarg_size 400
		.amdhsa_user_sgpr_count 2
		.amdhsa_user_sgpr_dispatch_ptr 0
		.amdhsa_user_sgpr_queue_ptr 0
		.amdhsa_user_sgpr_kernarg_segment_ptr 1
		.amdhsa_user_sgpr_dispatch_id 0
		.amdhsa_user_sgpr_kernarg_preload_length 0
		.amdhsa_user_sgpr_kernarg_preload_offset 0
		.amdhsa_user_sgpr_private_segment_size 0
		.amdhsa_uses_dynamic_stack 0
		.amdhsa_enable_private_segment 0
		.amdhsa_system_sgpr_workgroup_id_x 1
		.amdhsa_system_sgpr_workgroup_id_y 1
		.amdhsa_system_sgpr_workgroup_id_z 1
		.amdhsa_system_sgpr_workgroup_info 0
		.amdhsa_system_vgpr_workitem_id 0
		.amdhsa_next_free_vgpr 60
		.amdhsa_next_free_sgpr 42
		.amdhsa_accum_offset 56
		.amdhsa_reserve_vcc 1
		.amdhsa_float_round_mode_32 0
		.amdhsa_float_round_mode_16_64 0
		.amdhsa_float_denorm_mode_32 3
		.amdhsa_float_denorm_mode_16_64 3
		.amdhsa_dx10_clamp 1
		.amdhsa_ieee_mode 1
		.amdhsa_fp16_overflow 0
		.amdhsa_tg_split 0
		.amdhsa_exception_fp_ieee_invalid_op 0
		.amdhsa_exception_fp_denorm_src 0
		.amdhsa_exception_fp_ieee_div_zero 0
		.amdhsa_exception_fp_ieee_overflow 0
		.amdhsa_exception_fp_ieee_underflow 0
		.amdhsa_exception_fp_ieee_inexact 0
		.amdhsa_exception_int_div_zero 0
	.end_amdhsa_kernel
	.section	.text._Z38paged_attention_ll4mi_QKV_mfma4_kernelI14__hip_bfloat16hLN4vllm18Fp8KVCacheDataTypeE1ES0_Li32ELi128ELi256ELb1ELi1EEvPKT_PKT0_S8_ifPKiSA_SA_iPKfiiiPfSD_PS3_PT2_iSC_SC_,"axG",@progbits,_Z38paged_attention_ll4mi_QKV_mfma4_kernelI14__hip_bfloat16hLN4vllm18Fp8KVCacheDataTypeE1ES0_Li32ELi128ELi256ELb1ELi1EEvPKT_PKT0_S8_ifPKiSA_SA_iPKfiiiPfSD_PS3_PT2_iSC_SC_,comdat
.Lfunc_end1368:
	.size	_Z38paged_attention_ll4mi_QKV_mfma4_kernelI14__hip_bfloat16hLN4vllm18Fp8KVCacheDataTypeE1ES0_Li32ELi128ELi256ELb1ELi1EEvPKT_PKT0_S8_ifPKiSA_SA_iPKfiiiPfSD_PS3_PT2_iSC_SC_, .Lfunc_end1368-_Z38paged_attention_ll4mi_QKV_mfma4_kernelI14__hip_bfloat16hLN4vllm18Fp8KVCacheDataTypeE1ES0_Li32ELi128ELi256ELb1ELi1EEvPKT_PKT0_S8_ifPKiSA_SA_iPKfiiiPfSD_PS3_PT2_iSC_SC_
                                        ; -- End function
	.section	.AMDGPU.csdata,"",@progbits
; Kernel info:
; codeLenInByte = 5488
; NumSgprs: 48
; NumVgprs: 56
; NumAgprs: 4
; TotalNumVgprs: 60
; ScratchSize: 0
; MemoryBound: 0
; FloatMode: 240
; IeeeMode: 1
; LDSByteSize: 5280 bytes/workgroup (compile time only)
; SGPRBlocks: 5
; VGPRBlocks: 7
; NumSGPRsForWavesPerEU: 48
; NumVGPRsForWavesPerEU: 60
; AccumOffset: 56
; Occupancy: 8
; WaveLimiterHint : 1
; COMPUTE_PGM_RSRC2:SCRATCH_EN: 0
; COMPUTE_PGM_RSRC2:USER_SGPR: 2
; COMPUTE_PGM_RSRC2:TRAP_HANDLER: 0
; COMPUTE_PGM_RSRC2:TGID_X_EN: 1
; COMPUTE_PGM_RSRC2:TGID_Y_EN: 1
; COMPUTE_PGM_RSRC2:TGID_Z_EN: 1
; COMPUTE_PGM_RSRC2:TIDIG_COMP_CNT: 0
; COMPUTE_PGM_RSRC3_GFX90A:ACCUM_OFFSET: 13
; COMPUTE_PGM_RSRC3_GFX90A:TG_SPLIT: 0
	.section	.text._Z38paged_attention_ll4mi_QKV_mfma4_kernelI14__hip_bfloat16hLN4vllm18Fp8KVCacheDataTypeE1ES0_Li32ELi128ELi256ELb1ELi2EEvPKT_PKT0_S8_ifPKiSA_SA_iPKfiiiPfSD_PS3_PT2_iSC_SC_,"axG",@progbits,_Z38paged_attention_ll4mi_QKV_mfma4_kernelI14__hip_bfloat16hLN4vllm18Fp8KVCacheDataTypeE1ES0_Li32ELi128ELi256ELb1ELi2EEvPKT_PKT0_S8_ifPKiSA_SA_iPKfiiiPfSD_PS3_PT2_iSC_SC_,comdat
	.protected	_Z38paged_attention_ll4mi_QKV_mfma4_kernelI14__hip_bfloat16hLN4vllm18Fp8KVCacheDataTypeE1ES0_Li32ELi128ELi256ELb1ELi2EEvPKT_PKT0_S8_ifPKiSA_SA_iPKfiiiPfSD_PS3_PT2_iSC_SC_ ; -- Begin function _Z38paged_attention_ll4mi_QKV_mfma4_kernelI14__hip_bfloat16hLN4vllm18Fp8KVCacheDataTypeE1ES0_Li32ELi128ELi256ELb1ELi2EEvPKT_PKT0_S8_ifPKiSA_SA_iPKfiiiPfSD_PS3_PT2_iSC_SC_
	.globl	_Z38paged_attention_ll4mi_QKV_mfma4_kernelI14__hip_bfloat16hLN4vllm18Fp8KVCacheDataTypeE1ES0_Li32ELi128ELi256ELb1ELi2EEvPKT_PKT0_S8_ifPKiSA_SA_iPKfiiiPfSD_PS3_PT2_iSC_SC_
	.p2align	8
	.type	_Z38paged_attention_ll4mi_QKV_mfma4_kernelI14__hip_bfloat16hLN4vllm18Fp8KVCacheDataTypeE1ES0_Li32ELi128ELi256ELb1ELi2EEvPKT_PKT0_S8_ifPKiSA_SA_iPKfiiiPfSD_PS3_PT2_iSC_SC_,@function
_Z38paged_attention_ll4mi_QKV_mfma4_kernelI14__hip_bfloat16hLN4vllm18Fp8KVCacheDataTypeE1ES0_Li32ELi128ELi256ELb1ELi2EEvPKT_PKT0_S8_ifPKiSA_SA_iPKfiiiPfSD_PS3_PT2_iSC_SC_: ; @_Z38paged_attention_ll4mi_QKV_mfma4_kernelI14__hip_bfloat16hLN4vllm18Fp8KVCacheDataTypeE1ES0_Li32ELi128ELi256ELb1ELi2EEvPKT_PKT0_S8_ifPKiSA_SA_iPKfiiiPfSD_PS3_PT2_iSC_SC_
; %bb.0:
	s_load_dwordx2 s[16:17], s[0:1], 0x30
	s_mov_b32 s20, s3
	s_mov_b64 s[6:7], 0
	s_waitcnt lgkmcnt(0)
	s_cmp_lg_u64 s[16:17], 0
	s_cselect_b64 s[18:19], -1, 0
	s_and_b64 vcc, exec, s[18:19]
	s_cbranch_vccz .LBB1369_10
; %bb.1:
	s_add_i32 s8, s2, 1
	s_mov_b32 s9, 0
	s_lshl_b64 s[10:11], s[8:9], 2
	s_add_u32 s10, s16, s10
	s_mov_b32 s3, s9
	s_addc_u32 s11, s17, s11
	s_lshl_b64 s[8:9], s[2:3], 2
	s_add_u32 s8, s16, s8
	s_addc_u32 s9, s17, s9
	s_load_dword s5, s[10:11], 0x0
	s_load_dword s12, s[8:9], 0x0
	s_waitcnt lgkmcnt(0)
	s_sub_i32 s5, s5, s12
	s_cmp_eq_u32 s5, 1
	s_cselect_b64 s[8:9], -1, 0
	s_andn2_b64 vcc, exec, s[6:7]
	s_cbranch_vccnz .LBB1369_3
.LBB1369_2:
	s_mov_b32 s3, 0
	s_mov_b64 s[8:9], -1
.LBB1369_3:
	s_andn2_b64 vcc, exec, s[8:9]
	s_cbranch_vccnz .LBB1369_27
; %bb.4:
	s_load_dword s5, s[0:1], 0x9c
	s_load_dwordx2 s[6:7], s[0:1], 0x28
	s_add_u32 s24, s0, 0x90
	s_addc_u32 s25, s1, 0
	s_lshl_b64 s[28:29], s[2:3], 2
	s_waitcnt lgkmcnt(0)
	s_and_b32 s5, s5, 0xffff
	s_add_u32 s6, s6, s28
	s_addc_u32 s7, s7, s29
	s_load_dword s3, s[6:7], 0x0
	s_mul_i32 s5, s20, s5
	s_waitcnt lgkmcnt(0)
	s_cmp_ge_i32 s5, s3
	s_cbranch_scc1 .LBB1369_27
; %bb.5:
	v_and_b32_e32 v1, 0xc0, v0
	v_add_u32_e32 v4, s5, v1
	v_lshrrev_b32_e32 v42, 6, v0
	v_cmp_le_i32_e64 s[6:7], s3, v4
                                        ; implicit-def: $sgpr30
                                        ; implicit-def: $sgpr21
	s_and_saveexec_b64 s[8:9], s[6:7]
	s_xor_b64 s[8:9], exec, s[8:9]
	s_cbranch_execz .LBB1369_7
; %bb.6:
	v_mul_u32_u24_e32 v1, 20, v42
	v_or_b32_e32 v1, 0x1400, v1
	v_mov_b32_e32 v2, 0x1450
	v_mov_b32_e32 v3, 0xff7fffff
	v_mad_u32_u24 v2, v42, 20, v2
	ds_write2_b32 v1, v3, v3 offset1:1
	v_mov_b32_e32 v1, 0
	ds_write2_b32 v2, v1, v1 offset1:1
	v_mov_b32_e32 v2, 0x1408
	v_mov_b32_e32 v4, 0x1458
	s_mov_b32 s21, 0xff7fffff
	s_mov_b32 s30, 0
	v_mad_u32_u24 v2, v42, 20, v2
	v_mad_u32_u24 v4, v42, 20, v4
	ds_write2_b32 v2, v3, v3 offset1:1
	ds_write2_b32 v4, v1, v1 offset1:1
                                        ; implicit-def: $vgpr4
.LBB1369_7:
	s_or_saveexec_b64 s[26:27], s[8:9]
	s_load_dwordx2 s[22:23], s[0:1], 0x68
	s_load_dwordx4 s[12:15], s[0:1], 0x58
	s_load_dword s38, s[24:25], 0x4
	s_load_dwordx4 s[8:11], s[0:1], 0x80
	v_and_b32_e32 v1, 63, v0
	v_and_b32_e32 v43, 3, v0
	s_lshl_b32 s33, s4, 1
	v_mov_b32_e32 v37, s30
	v_mov_b32_e32 v41, s21
	;; [unrolled: 1-line block ×5, first 2 shown]
                                        ; implicit-def: $vgpr26_vgpr27
                                        ; implicit-def: $vgpr14_vgpr15
                                        ; implicit-def: $vgpr30_vgpr31
                                        ; implicit-def: $vgpr22_vgpr23
                                        ; implicit-def: $vgpr6_vgpr7
                                        ; implicit-def: $vgpr2_vgpr3
                                        ; implicit-def: $vgpr18_vgpr19
                                        ; implicit-def: $vgpr10_vgpr11
	s_xor_b64 exec, exec, s[26:27]
	s_cbranch_execz .LBB1369_19
; %bb.8:
	s_load_dwordx2 s[30:31], s[0:1], 0x20
	s_load_dword s21, s[0:1], 0x38
	s_add_i32 s34, s3, 31
	s_ashr_i32 s35, s34, 31
	s_lshr_b32 s35, s35, 27
	v_add_u32_e32 v44, s5, v0
	s_add_i32 s34, s34, s35
	v_ashrrev_i32_e32 v2, 31, v44
	s_ashr_i32 s34, s34, 5
	v_lshrrev_b32_e32 v2, 27, v2
	s_add_i32 s36, s34, -1
	s_waitcnt lgkmcnt(0)
	s_mul_i32 s34, s2, s21
	s_mov_b32 s35, 0
	v_add_u32_e32 v2, v44, v2
	s_lshl_b64 s[34:35], s[34:35], 2
	v_ashrrev_i32_e32 v2, 5, v2
	v_mov_b32_e32 v3, s36
	v_cmp_gt_i32_e32 vcc, s3, v44
	s_add_u32 s30, s30, s34
	s_addc_u32 s31, s31, s35
	v_cndmask_b32_e32 v2, v3, v2, vcc
	v_ashrrev_i32_e32 v3, 31, v2
	v_lshl_add_u64 v[6:7], v[2:3], 2, s[30:31]
	v_ashrrev_i32_e32 v2, 31, v4
	v_lshrrev_b32_e32 v2, 27, v2
	v_add_u32_e32 v2, v4, v2
	v_ashrrev_i32_e32 v8, 5, v2
	v_min_i32_e32 v2, s36, v8
	v_ashrrev_i32_e32 v3, 31, v2
	v_lshl_add_u64 v[4:5], v[2:3], 2, s[30:31]
	v_add_u32_e32 v2, 1, v8
	v_min_i32_e32 v2, s36, v2
	v_ashrrev_i32_e32 v3, 31, v2
	v_lshl_add_u64 v[8:9], v[2:3], 2, s[30:31]
	global_load_dword v2, v[6:7], off
	global_load_dword v29, v[4:5], off
	global_load_dword v28, v[8:9], off
	s_load_dwordx2 s[30:31], s[0:1], 0x8
	s_andn2_b64 vcc, exec, s[18:19]
	s_cbranch_vccnz .LBB1369_11
; %bb.9:
	s_add_u32 s16, s16, s28
	s_addc_u32 s17, s17, s29
	s_load_dword s5, s[16:17], 0x0
	s_branch .LBB1369_12
.LBB1369_10:
	s_mov_b64 s[8:9], 0
	s_branch .LBB1369_2
.LBB1369_11:
	s_mov_b32 s5, s2
.LBB1369_12:
	s_load_dwordx2 s[28:29], s[0:1], 0x10
	s_load_dwordx4 s[16:19], s[0:1], 0x48
	v_cmp_gt_u32_e32 vcc, 2, v43
	s_mov_b32 s37, 0
	v_mov_b32_e32 v27, 0
	v_mov_b32_e32 v34, 0
	;; [unrolled: 1-line block ×5, first 2 shown]
	s_and_saveexec_b64 s[34:35], vcc
	s_cbranch_execz .LBB1369_14
; %bb.13:
	s_load_dwordx2 s[40:41], s[0:1], 0x0
	s_waitcnt lgkmcnt(0)
	s_ashr_i32 s19, s16, 31
	s_mul_hi_u32 s21, s5, s16
	s_mul_i32 s19, s5, s19
	s_add_i32 s43, s21, s19
	s_mul_i32 s42, s5, s16
	s_lshl_b64 s[42:43], s[42:43], 1
	s_add_u32 s5, s40, s42
	s_addc_u32 s16, s41, s43
	s_lshl_b32 s36, s4, 8
	s_lshl_b64 s[36:37], s[36:37], 1
	v_lshlrev_b32_e32 v3, 2, v1
	s_add_u32 s36, s5, s36
	v_and_b32_e32 v3, 0xf0, v3
	s_addc_u32 s37, s16, s37
	v_lshl_or_b32 v3, v43, 8, v3
	global_load_dwordx4 v[34:37], v3, s[36:37]
.LBB1369_14:
	s_or_b64 exec, exec, s[34:35]
	s_waitcnt lgkmcnt(0)
	s_mul_i32 s16, s4, s18
	s_add_u32 s4, s16, s30
	s_addc_u32 s5, 0, s31
	v_mov_b64_e32 v[4:5], s[4:5]
	s_waitcnt vmcnt(2)
	v_mad_i64_i32 v[2:3], s[4:5], v2, s17, v[4:5]
	v_lshlrev_b32_e32 v4, 4, v0
	v_and_b32_e32 v26, 0x1f0, v4
	v_lshl_add_u64 v[46:47], v[2:3], 0, v[26:27]
	global_load_dwordx4 v[14:17], v[46:47], off
	global_load_dwordx4 v[6:9], v[46:47], off offset:512
	global_load_dwordx4 v[2:5], v[46:47], off offset:1024
	global_load_dwordx4 v[22:25], v[46:47], off offset:1536
	global_load_dwordx4 v[30:33], v[46:47], off offset:2048
	global_load_dwordx4 v[10:13], v[46:47], off offset:2560
	global_load_dwordx4 v[18:21], v[46:47], off offset:3072
	global_load_dwordx4 v[38:41], v[46:47], off offset:3584
	v_mov_b32_e32 v45, 0
	s_and_saveexec_b64 s[4:5], vcc
	s_cbranch_execz .LBB1369_16
; %bb.15:
	s_load_dwordx2 s[18:19], s[0:1], 0x40
	v_or_b32_e32 v46, s33, v43
	v_mov_b32_e32 v47, 0
	s_waitcnt lgkmcnt(0)
	v_lshl_add_u64 v[46:47], v[46:47], 2, s[18:19]
	global_load_dword v45, v[46:47], off
.LBB1369_16:
	s_or_b64 exec, exec, s[4:5]
	s_waitcnt vmcnt(9)
	v_mul_hi_i32 v26, v29, s17
	v_ashrrev_i32_e32 v26, 31, v26
	v_lshrrev_b32_e32 v46, 29, v26
	v_mov_b32_e32 v47, 0
	v_mad_i64_i32 v[48:49], s[18:19], v29, s17, v[46:47]
	s_waitcnt vmcnt(8)
	v_mul_hi_i32 v29, v28, s17
	v_ashrrev_i32_e32 v29, 31, v29
	v_lshrrev_b32_e32 v46, 29, v29
	s_add_u32 s4, s28, s16
	v_mad_i64_i32 v[28:29], s[16:17], v28, s17, v[46:47]
	s_addc_u32 s5, s29, 0
	v_and_b32_e32 v48, -8, v48
	v_and_b32_e32 v28, -8, v28
	s_waitcnt vmcnt(7)
	v_cvt_pk_f32_fp8_e32 v[46:47], v14
	v_cvt_pk_f32_fp8_sdwa v[50:51], v14 src0_sel:WORD_1
	v_lshl_add_u64 v[48:49], s[4:5], 0, v[48:49]
	v_lshlrev_b32_e32 v26, 5, v1
	v_lshl_add_u64 v[28:29], s[4:5], 0, v[28:29]
	v_lshl_add_u64 v[48:49], v[48:49], 0, v[26:27]
	;; [unrolled: 1-line block ×3, first 2 shown]
	v_cvt_pk_f32_fp8_e32 v[26:27], v15
	v_cvt_pk_f32_fp8_sdwa v[28:29], v15 src0_sel:WORD_1
	s_load_dword s0, s[0:1], 0x1c
	s_mov_b32 s1, 0x7060302
	v_perm_b32 v14, v47, v46, s1
	v_perm_b32 v15, v51, v50, s1
	;; [unrolled: 1-line block ×4, first 2 shown]
	v_mfma_f32_4x4x4_16b_bf16 a[0:3], v[34:35], v[14:15], 0 cbsz:4
	v_cvt_pk_f32_fp8_sdwa v[28:29], v16 src0_sel:WORD_1
	v_cvt_pk_f32_fp8_e32 v[46:47], v17
	v_mfma_f32_4x4x4_16b_bf16 a[0:3], v[36:37], v[26:27], a[0:3] cbsz:4
	v_cvt_pk_f32_fp8_e32 v[26:27], v16
	v_cvt_pk_f32_fp8_sdwa v[50:51], v17 src0_sel:WORD_1
	global_load_dwordx4 v[14:17], v[48:49], off offset:16
	s_waitcnt vmcnt(2)
	v_cvt_pk_f32_fp8_sdwa v[54:55], v21 src0_sel:WORD_1
	v_perm_b32 v26, v27, v26, s1
	v_perm_b32 v27, v29, v28, s1
	;; [unrolled: 1-line block ×4, first 2 shown]
	v_mfma_f32_4x4x4_16b_bf16 a[0:3], v[34:35], v[26:27], a[0:3] cbsz:4 abid:1
	v_cvt_pk_f32_fp8_e32 v[26:27], v6
	v_cvt_pk_f32_fp8_e32 v[46:47], v7
	v_mfma_f32_4x4x4_16b_bf16 a[0:3], v[36:37], v[28:29], a[0:3] cbsz:4 abid:1
	v_cvt_pk_f32_fp8_sdwa v[28:29], v6 src0_sel:WORD_1
	v_perm_b32 v6, v27, v26, s1
	v_cvt_pk_f32_fp8_sdwa v[26:27], v7 src0_sel:WORD_1
	v_cvt_pk_f32_fp8_e32 v[50:51], v9
	v_perm_b32 v7, v29, v28, s1
	v_perm_b32 v28, v47, v46, s1
	v_cvt_pk_f32_fp8_sdwa v[46:47], v8 src0_sel:WORD_1
	v_mfma_f32_4x4x4_16b_bf16 a[0:3], v[34:35], v[6:7], a[0:3] cbsz:4 abid:2
	v_cvt_pk_f32_fp8_e32 v[6:7], v8
	v_perm_b32 v29, v27, v26, s1
	v_cvt_pk_f32_fp8_sdwa v[8:9], v9 src0_sel:WORD_1
	v_cmp_eq_u32_e32 vcc, 0, v43
	v_mfma_f32_4x4x4_16b_bf16 a[0:3], v[36:37], v[28:29], a[0:3] cbsz:4 abid:2
	global_load_dwordx4 v[26:29], v[48:49], off
	v_perm_b32 v6, v7, v6, s1
	v_perm_b32 v7, v47, v46, s1
	;; [unrolled: 1-line block ×3, first 2 shown]
	v_cvt_pk_f32_fp8_sdwa v[8:9], v2 src0_sel:WORD_1
	v_mfma_f32_4x4x4_16b_bf16 a[0:3], v[34:35], v[6:7], a[0:3] cbsz:4 abid:3
	v_cvt_pk_f32_fp8_e32 v[6:7], v2
	v_perm_b32 v46, v51, v50, s1
	v_cvt_pk_f32_fp8_sdwa v[50:51], v5 src0_sel:WORD_1
	v_perm_b32 v2, v7, v6, s1
	v_mfma_f32_4x4x4_16b_bf16 a[0:3], v[36:37], v[46:47], a[0:3] cbsz:4 abid:3
	v_cvt_pk_f32_fp8_e32 v[46:47], v3
	v_cvt_pk_f32_fp8_sdwa v[6:7], v3 src0_sel:WORD_1
	v_perm_b32 v3, v9, v8, s1
	v_perm_b32 v8, v47, v46, s1
	s_nop 0
	v_mfma_f32_4x4x4_16b_bf16 a[0:3], v[34:35], v[2:3], a[0:3] cbsz:4 abid:4
	v_perm_b32 v9, v7, v6, s1
	v_cvt_pk_f32_fp8_e32 v[6:7], v4
	v_cvt_pk_f32_fp8_e32 v[46:47], v5
	v_mfma_f32_4x4x4_16b_bf16 a[0:3], v[36:37], v[8:9], a[0:3] cbsz:4 abid:4
	v_cvt_pk_f32_fp8_sdwa v[8:9], v4 src0_sel:WORD_1
	v_perm_b32 v6, v7, v6, s1
	global_load_dwordx4 v[2:5], v[48:49], off offset:2064
	v_perm_b32 v7, v9, v8, s1
	v_perm_b32 v8, v47, v46, s1
	s_nop 0
	v_mfma_f32_4x4x4_16b_bf16 a[0:3], v[34:35], v[6:7], a[0:3] cbsz:4 abid:5
	v_perm_b32 v9, v51, v50, s1
	v_cvt_pk_f32_fp8_e32 v[6:7], v22
	v_cvt_pk_f32_fp8_e32 v[46:47], v23
	v_mfma_f32_4x4x4_16b_bf16 a[0:3], v[36:37], v[8:9], a[0:3] cbsz:4 abid:5
	v_cvt_pk_f32_fp8_sdwa v[8:9], v22 src0_sel:WORD_1
	v_cvt_pk_f32_fp8_sdwa v[50:51], v23 src0_sel:WORD_1
	v_perm_b32 v22, v7, v6, s1
	v_perm_b32 v46, v47, v46, s1
	;; [unrolled: 1-line block ×3, first 2 shown]
	global_load_dwordx4 v[6:9], v[48:49], off offset:2048
	v_perm_b32 v47, v51, v50, s1
	v_mfma_f32_4x4x4_16b_bf16 a[0:3], v[34:35], v[22:23], a[0:3] cbsz:4 abid:6
	v_cvt_pk_f32_fp8_e32 v[22:23], v24
	v_cvt_pk_f32_fp8_e32 v[48:49], v25
	v_mfma_f32_4x4x4_16b_bf16 a[0:3], v[36:37], v[46:47], a[0:3] cbsz:4 abid:6
	v_cvt_pk_f32_fp8_sdwa v[46:47], v24 src0_sel:WORD_1
	v_cvt_pk_f32_fp8_sdwa v[24:25], v25 src0_sel:WORD_1
	v_perm_b32 v22, v23, v22, s1
	v_cvt_pk_f32_fp8_e32 v[50:51], v11
	v_perm_b32 v23, v47, v46, s1
	v_perm_b32 v46, v49, v48, s1
	;; [unrolled: 1-line block ×3, first 2 shown]
	v_mfma_f32_4x4x4_16b_bf16 a[0:3], v[34:35], v[22:23], a[0:3] cbsz:4 abid:7
	v_cvt_pk_f32_fp8_e32 v[22:23], v30
	v_cvt_pk_f32_fp8_sdwa v[24:25], v30 src0_sel:WORD_1
	v_mfma_f32_4x4x4_16b_bf16 a[0:3], v[36:37], v[46:47], a[0:3] cbsz:4 abid:7
	v_cvt_pk_f32_fp8_e32 v[46:47], v31
	v_cvt_pk_f32_fp8_sdwa v[30:31], v31 src0_sel:WORD_1
	v_perm_b32 v48, v23, v22, s1
	v_perm_b32 v49, v25, v24, s1
	;; [unrolled: 1-line block ×4, first 2 shown]
	v_mfma_f32_4x4x4_16b_bf16 a[0:3], v[34:35], v[48:49], a[0:3] cbsz:4 abid:8
	v_cvt_pk_f32_fp8_e32 v[30:31], v32
	v_cvt_pk_f32_fp8_sdwa v[48:49], v32 src0_sel:WORD_1
	v_mfma_f32_4x4x4_16b_bf16 a[0:3], v[36:37], v[46:47], a[0:3] cbsz:4 abid:8
	v_cvt_pk_f32_fp8_e32 v[46:47], v33
	v_cvt_pk_f32_fp8_sdwa v[32:33], v33 src0_sel:WORD_1
	v_perm_b32 v30, v31, v30, s1
	v_perm_b32 v31, v49, v48, s1
	v_cvt_pk_f32_fp8_sdwa v[48:49], v10 src0_sel:WORD_1
	v_perm_b32 v46, v47, v46, s1
	v_mfma_f32_4x4x4_16b_bf16 a[0:3], v[34:35], v[30:31], a[0:3] cbsz:4 abid:9
	v_cvt_pk_f32_fp8_e32 v[30:31], v10
	v_perm_b32 v47, v33, v32, s1
	v_cvt_pk_f32_fp8_sdwa v[10:11], v11 src0_sel:WORD_1
	global_load_dwordx4 v[22:25], v[52:53], off offset:16
	v_mfma_f32_4x4x4_16b_bf16 a[0:3], v[36:37], v[46:47], a[0:3] cbsz:4 abid:9
	v_perm_b32 v46, v31, v30, s1
	global_load_dwordx4 v[30:33], v[52:53], off
	v_perm_b32 v47, v49, v48, s1
	v_perm_b32 v48, v51, v50, s1
	;; [unrolled: 1-line block ×3, first 2 shown]
	v_mfma_f32_4x4x4_16b_bf16 a[0:3], v[34:35], v[46:47], a[0:3] cbsz:4 abid:10
	v_cvt_pk_f32_fp8_e32 v[10:11], v12
	v_cvt_pk_f32_fp8_sdwa v[46:47], v12 src0_sel:WORD_1
	v_mfma_f32_4x4x4_16b_bf16 a[0:3], v[36:37], v[48:49], a[0:3] cbsz:4 abid:10
	v_cvt_pk_f32_fp8_e32 v[48:49], v13
	v_cvt_pk_f32_fp8_sdwa v[12:13], v13 src0_sel:WORD_1
	v_perm_b32 v10, v11, v10, s1
	v_perm_b32 v11, v47, v46, s1
	;; [unrolled: 1-line block ×4, first 2 shown]
	v_mfma_f32_4x4x4_16b_bf16 a[0:3], v[34:35], v[10:11], a[0:3] cbsz:4 abid:11
	v_cvt_pk_f32_fp8_e32 v[10:11], v18
	v_cvt_pk_f32_fp8_sdwa v[12:13], v18 src0_sel:WORD_1
	v_mfma_f32_4x4x4_16b_bf16 a[0:3], v[36:37], v[46:47], a[0:3] cbsz:4 abid:11
	v_cvt_pk_f32_fp8_e32 v[46:47], v19
	v_cvt_pk_f32_fp8_sdwa v[48:49], v19 src0_sel:WORD_1
	v_perm_b32 v18, v11, v10, s1
	v_perm_b32 v19, v13, v12, s1
	;; [unrolled: 1-line block ×4, first 2 shown]
	v_mfma_f32_4x4x4_16b_bf16 a[0:3], v[34:35], v[18:19], a[0:3] cbsz:4 abid:12
	global_load_dwordx4 v[10:13], v[52:53], off offset:2064
	v_cvt_pk_f32_fp8_sdwa v[48:49], v20 src0_sel:WORD_1
	v_mfma_f32_4x4x4_16b_bf16 a[0:3], v[36:37], v[46:47], a[0:3] cbsz:4 abid:12
	v_cvt_pk_f32_fp8_e32 v[46:47], v20
	v_cvt_pk_f32_fp8_e32 v[50:51], v21
	global_load_dwordx4 v[18:21], v[52:53], off offset:2048
	v_perm_b32 v46, v47, v46, s1
	v_perm_b32 v47, v49, v48, s1
	v_perm_b32 v48, v51, v50, s1
	v_perm_b32 v49, v55, v54, s1
	v_mfma_f32_4x4x4_16b_bf16 a[0:3], v[34:35], v[46:47], a[0:3] cbsz:4 abid:13
	s_waitcnt vmcnt(8)
	v_cvt_pk_f32_fp8_e32 v[46:47], v38
	v_cvt_pk_f32_fp8_e32 v[50:51], v39
	v_mfma_f32_4x4x4_16b_bf16 a[0:3], v[36:37], v[48:49], a[0:3] cbsz:4 abid:13
	v_cvt_pk_f32_fp8_sdwa v[48:49], v38 src0_sel:WORD_1
	v_perm_b32 v38, v47, v46, s1
	v_cvt_pk_f32_fp8_sdwa v[46:47], v39 src0_sel:WORD_1
	v_perm_b32 v39, v49, v48, s1
	v_perm_b32 v48, v51, v50, s1
	s_nop 0
	v_mfma_f32_4x4x4_16b_bf16 a[0:3], v[34:35], v[38:39], a[0:3] cbsz:4 abid:14
	v_perm_b32 v49, v47, v46, s1
	v_cvt_pk_f32_fp8_e32 v[38:39], v40
	v_cvt_pk_f32_fp8_sdwa v[46:47], v40 src0_sel:WORD_1
	v_mfma_f32_4x4x4_16b_bf16 a[0:3], v[36:37], v[48:49], a[0:3] cbsz:4 abid:14
	v_cvt_pk_f32_fp8_e32 v[48:49], v41
	v_cvt_pk_f32_fp8_sdwa v[40:41], v41 src0_sel:WORD_1
	v_perm_b32 v38, v39, v38, s1
	v_perm_b32 v39, v47, v46, s1
	;; [unrolled: 1-line block ×4, first 2 shown]
	v_mfma_f32_4x4x4_16b_bf16 a[0:3], v[34:35], v[38:39], a[0:3] cbsz:4 abid:15
	s_load_dword s1, s[8:9], 0x0
	s_waitcnt lgkmcnt(0)
	v_mov_b32_e32 v34, s0
	v_mfma_f32_4x4x4_16b_bf16 a[0:3], v[36:37], v[46:47], a[0:3] cbsz:4 abid:15
	v_mov_b32_e32 v41, 0xff7fffff
	v_mul_f32_e32 v36, s1, v34
	s_nop 2
	v_accvgpr_read_b32 v39, a1
	v_accvgpr_read_b32 v38, a0
	v_pk_mul_f32 v[38:39], v[38:39], v[36:37] op_sel_hi:[1,0]
	v_accvgpr_read_b32 v35, a3
	v_accvgpr_read_b32 v34, a2
	v_pk_mul_f32 v[34:35], v[34:35], v[36:37] op_sel_hi:[1,0]
	v_cndmask_b32_e64 v36, 0, 1.0, vcc
	v_cmp_eq_u32_e32 vcc, 1, v43
	s_nop 0
	v_mfma_f32_4x4x1_16b_f32 a[0:3], v38, v36, 0
	v_cndmask_b32_e64 v36, 0, 1.0, vcc
	v_cmp_eq_u32_e32 vcc, 2, v43
	s_nop 0
	v_mfma_f32_4x4x1_16b_f32 a[0:3], v39, v36, a[0:3]
	;; [unrolled: 4-line block ×3, first 2 shown]
	v_cndmask_b32_e64 v34, 0, 1.0, vcc
	s_nop 1
	v_mfma_f32_4x4x1_16b_f32 a[0:3], v35, v34, a[0:3]
	v_and_b32_e32 v34, -4, v44
	v_subrev_u32_e32 v35, s3, v34
	v_add_u32_e32 v36, 1, v35
	v_cvt_f32_i32_e32 v36, v36
	v_add_u32_e32 v37, 2, v35
	v_cvt_f32_i32_e32 v37, v37
	v_accvgpr_read_b32 v38, a0
	v_fma_f32 v36, v45, v36, v38
	v_accvgpr_read_b32 v38, a1
	v_fma_f32 v37, v45, v37, v38
	v_add_u32_e32 v38, 3, v35
	v_cvt_f32_i32_e32 v38, v38
	v_add_u32_e32 v35, 4, v35
	v_cvt_f32_i32_e32 v35, v35
	v_accvgpr_read_b32 v39, a2
	v_max_f32_e32 v40, 0xff7fffff, v36
	v_cmp_gt_i32_e32 vcc, s3, v34
	v_fma_f32 v38, v45, v38, v39
	v_accvgpr_read_b32 v39, a3
	v_cndmask_b32_e32 v40, v41, v40, vcc
	v_or_b32_e32 v41, 1, v34
	v_fmac_f32_e32 v39, v45, v35
	v_max_f32_e32 v45, v40, v37
	v_cmp_gt_i32_e64 s[0:1], s3, v41
	v_or_b32_e32 v34, 2, v34
	v_cmp_gt_i32_e64 s[4:5], s3, v34
	v_cndmask_b32_e64 v40, v40, v45, s[0:1]
	v_max_f32_e32 v41, v40, v38
	v_cndmask_b32_e64 v34, v40, v41, s[4:5]
	v_or_b32_e32 v40, 3, v44
	v_max_f32_e32 v41, v34, v39
	v_cmp_gt_i32_e64 s[8:9], s3, v40
	v_lshlrev_b32_e32 v35, 2, v0
	v_and_or_b32 v35, v35, 48, v43
	v_cndmask_b32_e64 v34, v34, v41, s[8:9]
	;;#ASMSTART
	v_nop
 v_nop
 v_max_f32_dpp v34, v34, v34 row_ror:4
	;;#ASMEND
	v_lshlrev_b32_e32 v40, 2, v35
	;;#ASMSTART
	v_nop
 v_nop
 v_max_f32_dpp v34, v34, v34 row_ror:8
	;;#ASMEND
	ds_bpermute_b32 v34, v40, v34
	s_waitcnt lgkmcnt(0)
	;;#ASMSTART
	v_nop
 v_nop
 v_max_f32_dpp v34, v34, v34 row_ror:4
	;;#ASMEND
	s_nop 0
	;;#ASMSTART
	v_nop
 v_nop
 v_max_f32_dpp v41, v34, v34 row_ror:8
	;;#ASMEND
	s_nop 0
	v_sub_f32_e32 v34, v36, v41
	v_mul_f32_e32 v34, 0x3fb8aa3b, v34
	v_sub_f32_e32 v35, v37, v41
	v_exp_f32_e32 v34, v34
	v_mul_f32_e32 v35, 0x3fb8aa3b, v35
	v_sub_f32_e32 v37, v38, v41
	v_exp_f32_e32 v35, v35
	;; [unrolled: 3-line block ×3, first 2 shown]
	v_mul_f32_e32 v38, 0x3fb8aa3b, v38
	v_exp_f32_e32 v38, v38
	v_cndmask_b32_e32 v34, 0, v34, vcc
	v_add_f32_e32 v36, 0, v34
	v_cndmask_b32_e64 v35, 0, v35, s[0:1]
	v_add_f32_e32 v39, v36, v35
	v_cndmask_b32_e64 v36, 0, v37, s[4:5]
	;; [unrolled: 2-line block ×3, first 2 shown]
	v_add_f32_e32 v38, v39, v37
	;;#ASMSTART
	v_nop
 v_nop
 v_add_f32_dpp v38, v38, v38 row_ror:4
	;;#ASMEND
	v_cmp_gt_u32_e32 vcc, 4, v1
	;;#ASMSTART
	v_nop
 v_nop
 v_add_f32_dpp v38, v38, v38 row_ror:8
	;;#ASMEND
	ds_bpermute_b32 v38, v40, v38
	s_waitcnt lgkmcnt(0)
	;;#ASMSTART
	v_nop
 v_nop
 v_add_f32_dpp v38, v38, v38 row_ror:4
	;;#ASMEND
	s_nop 0
	;;#ASMSTART
	v_nop
 v_nop
 v_add_f32_dpp v38, v38, v38 row_ror:8
	;;#ASMEND
	s_and_saveexec_b64 s[0:1], vcc
	s_cbranch_execz .LBB1369_18
; %bb.17:
	v_mul_u32_u24_e32 v39, 20, v42
	v_lshl_add_u32 v39, v43, 2, v39
	v_add_u32_e32 v39, 0x1400, v39
	ds_write2_b32 v39, v41, v38 offset1:20
.LBB1369_18:
	s_or_b64 exec, exec, s[0:1]
.LBB1369_19:
	s_or_b64 exec, exec, s[26:27]
	s_waitcnt lgkmcnt(0)
	s_barrier
	s_load_dword s0, s[24:25], 0x8
	v_lshlrev_b32_e32 v38, 2, v43
	v_add_u32_e32 v40, 0x1400, v38
	ds_read2_b32 v[38:39], v40 offset1:5
	ds_read2_b32 v[46:47], v40 offset0:10 offset1:15
	s_mul_i32 s1, s2, s38
	s_waitcnt lgkmcnt(0)
	s_mul_i32 s1, s1, s0
	s_lshl_b32 s0, s1, 1
	s_mov_b32 s1, 0xff7fffff
	v_max3_f32 v44, v38, s1, v39
	v_max3_f32 v44, v44, v46, v47
	v_sub_f32_e32 v38, v38, v44
	v_mul_f32_e32 v38, 0x3fb8aa3b, v38
	v_exp_f32_e32 v45, v38
	v_sub_f32_e32 v38, v39, v44
	ds_read2_b32 v[48:49], v40 offset0:20 offset1:25
	v_mul_f32_e32 v38, 0x3fb8aa3b, v38
	v_exp_f32_e32 v50, v38
	ds_read2_b32 v[38:39], v40 offset0:30 offset1:35
	v_sub_f32_e32 v40, v46, v44
	v_mul_f32_e32 v40, 0x3fb8aa3b, v40
	v_sub_f32_e32 v46, v47, v44
	v_exp_f32_e32 v40, v40
	v_mul_f32_e32 v46, 0x3fb8aa3b, v46
	v_exp_f32_e32 v46, v46
	s_waitcnt lgkmcnt(1)
	v_fma_f32 v45, v45, v48, 0
	v_fmac_f32_e32 v45, v50, v49
	s_waitcnt lgkmcnt(0)
	v_fmac_f32_e32 v45, v40, v38
	v_fmac_f32_e32 v45, v46, v39
	v_cmp_gt_u32_e32 vcc, 2, v43
	s_and_saveexec_b64 s[2:3], vcc
	s_cbranch_execz .LBB1369_21
; %bb.20:
	s_mov_b32 s1, 0
	s_lshl_b64 s[4:5], s[0:1], 2
	s_add_u32 s12, s12, s4
	s_mov_b32 s21, s1
	s_addc_u32 s13, s13, s5
	s_lshl_b64 s[8:9], s[20:21], 2
	s_add_u32 s12, s12, s8
	s_addc_u32 s13, s13, s9
	s_add_u32 s1, s14, s4
	s_addc_u32 s5, s15, s5
	v_or_b32_e32 v38, s33, v43
	s_add_u32 s4, s1, s8
	v_mul_lo_u32 v38, s38, v38
	v_mov_b32_e32 v39, 0
	s_addc_u32 s5, s5, s9
	v_lshlrev_b64 v[38:39], 2, v[38:39]
	v_lshl_add_u64 v[46:47], s[12:13], 0, v[38:39]
	v_lshl_add_u64 v[38:39], s[4:5], 0, v[38:39]
	global_store_dword v[38:39], v44, off
	global_store_dword v[46:47], v45, off
.LBB1369_21:
	s_or_b64 exec, exec, s[2:3]
	v_lshlrev_b32_e32 v40, 3, v42
                                        ; implicit-def: $sgpr1
	s_and_saveexec_b64 s[2:3], s[6:7]
	s_xor_b64 s[2:3], exec, s[2:3]
	s_cbranch_execz .LBB1369_23
; %bb.22:
	s_waitcnt vmcnt(5)
	v_mov_b32_e32 v2, 0
	v_mad_u32_u24 v4, v1, 40, v40
	s_mov_b32 s1, 0
	v_mov_b32_e32 v3, v2
	ds_write_b64 v4, v[2:3]
                                        ; implicit-def: $vgpr37
                                        ; implicit-def: $vgpr35
                                        ; implicit-def: $vgpr41
                                        ; implicit-def: $vgpr26_vgpr27
                                        ; implicit-def: $vgpr14_vgpr15
                                        ; implicit-def: $vgpr30_vgpr31
                                        ; implicit-def: $vgpr22_vgpr23
                                        ; implicit-def: $vgpr6_vgpr7
                                        ; implicit-def: $vgpr2_vgpr3
                                        ; implicit-def: $vgpr18_vgpr19
                                        ; implicit-def: $vgpr10_vgpr11
                                        ; implicit-def: $vgpr44
                                        ; implicit-def: $vgpr45
.LBB1369_23:
	s_or_saveexec_b64 s[2:3], s[2:3]
	v_mov_b32_e32 v38, s1
	v_mov_b32_e32 v39, s1
	s_xor_b64 exec, exec, s[2:3]
	s_cbranch_execz .LBB1369_25
; %bb.24:
	v_add_f32_e32 v38, 0x358637bd, v45
	v_div_scale_f32 v39, s[4:5], v38, v38, 1.0
	v_rcp_f32_e32 v42, v39
	v_sub_f32_e32 v41, v41, v44
	v_mul_f32_e32 v41, 0x3fb8aa3b, v41
	v_exp_f32_e32 v41, v41
	v_fma_f32 v43, -v39, v42, 1.0
	v_fmac_f32_e32 v42, v43, v42
	v_div_scale_f32 v43, vcc, 1.0, v38, 1.0
	v_mul_f32_e32 v44, v43, v42
	v_fma_f32 v45, -v39, v44, v43
	v_fmac_f32_e32 v44, v45, v42
	v_fma_f32 v39, -v39, v44, v43
	v_div_fmas_f32 v39, v39, v42, v44
	v_div_fixup_f32 v38, v39, v38, 1.0
	v_mul_f32_e32 v38, v41, v38
	v_pk_mul_f32 v[34:35], v[34:35], v[38:39] op_sel_hi:[1,0]
	v_pk_mul_f32 v[36:37], v[36:37], v[38:39] op_sel_hi:[1,0]
	v_bfe_u32 v38, v35, 16, 1
	v_bfe_u32 v39, v34, 16, 1
	s_movk_i32 s1, 0x7fff
	v_add3_u32 v34, v34, v39, s1
	v_add3_u32 v35, v35, v38, s1
	s_mov_b32 s5, 0x7060302
	v_perm_b32 v34, v35, v34, s5
	v_bfe_u32 v35, v37, 16, 1
	v_bfe_u32 v38, v36, 16, 1
	v_add3_u32 v36, v36, v38, s1
	v_add3_u32 v35, v37, v35, s1
	v_perm_b32 v35, v35, v36, s5
	s_waitcnt vmcnt(6)
	v_cvt_pk_f32_fp8_e32 v[36:37], v26
	v_cvt_pk_f32_fp8_sdwa v[38:39], v26 src0_sel:WORD_1
	v_cvt_pk_f32_fp8_e32 v[42:43], v27
	v_cvt_pk_f32_fp8_sdwa v[26:27], v27 src0_sel:WORD_1
	v_perm_b32 v36, v37, v36, s5
	v_perm_b32 v37, v39, v38, s5
	;; [unrolled: 1-line block ×4, first 2 shown]
	v_mfma_f32_4x4x4_16b_bf16 a[0:3], v[34:35], v[36:37], 0 cbsz:4
	v_cvt_pk_f32_fp8_e32 v[26:27], v28
	v_cvt_pk_f32_fp8_sdwa v[36:37], v28 src0_sel:WORD_1
	v_mfma_f32_4x4x4_16b_bf16 a[0:3], v[34:35], v[38:39], a[0:3] cbsz:4 abid:1
	v_cvt_pk_f32_fp8_e32 v[38:39], v29
	v_cvt_pk_f32_fp8_sdwa v[28:29], v29 src0_sel:WORD_1
	v_perm_b32 v26, v27, v26, s5
	v_perm_b32 v27, v37, v36, s5
	v_perm_b32 v36, v39, v38, s5
	v_perm_b32 v37, v29, v28, s5
	v_mfma_f32_4x4x4_16b_bf16 a[0:3], v[34:35], v[26:27], a[0:3] cbsz:4 abid:2
	v_cvt_pk_f32_fp8_e32 v[26:27], v14
	v_cvt_pk_f32_fp8_sdwa v[28:29], v14 src0_sel:WORD_1
	v_mfma_f32_4x4x4_16b_bf16 a[0:3], v[34:35], v[36:37], a[0:3] cbsz:4 abid:3
	v_cvt_pk_f32_fp8_e32 v[36:37], v15
	v_cvt_pk_f32_fp8_sdwa v[14:15], v15 src0_sel:WORD_1
	v_perm_b32 v26, v27, v26, s5
	v_perm_b32 v27, v29, v28, s5
	v_perm_b32 v28, v37, v36, s5
	v_perm_b32 v29, v15, v14, s5
	v_mfma_f32_4x4x4_16b_bf16 a[0:3], v[34:35], v[26:27], a[0:3] cbsz:4 abid:4
	;; [unrolled: 10-line block ×3, first 2 shown]
	s_waitcnt vmcnt(2)
	v_cvt_pk_f32_fp8_e32 v[14:15], v30
	v_cvt_pk_f32_fp8_sdwa v[16:17], v30 src0_sel:WORD_1
	v_mfma_f32_4x4x4_16b_bf16 a[0:3], v[34:35], v[26:27], a[0:3] cbsz:4 abid:7
	v_cvt_pk_f32_fp8_e32 v[26:27], v31
	v_cvt_pk_f32_fp8_sdwa v[28:29], v31 src0_sel:WORD_1
	v_perm_b32 v14, v15, v14, s5
	v_perm_b32 v15, v17, v16, s5
	;; [unrolled: 1-line block ×4, first 2 shown]
	v_mfma_f32_4x4x4_16b_bf16 a[0:3], v[34:35], v[14:15], a[0:3] cbsz:4 abid:8
	v_cvt_pk_f32_fp8_e32 v[14:15], v32
	v_cvt_pk_f32_fp8_e32 v[26:27], v33
	v_mfma_f32_4x4x4_16b_bf16 a[0:3], v[34:35], v[16:17], a[0:3] cbsz:4 abid:9
	v_cvt_pk_f32_fp8_sdwa v[16:17], v32 src0_sel:WORD_1
	v_cvt_pk_f32_fp8_sdwa v[28:29], v33 src0_sel:WORD_1
	v_perm_b32 v14, v15, v14, s5
	s_load_dword s4, s[10:11], 0x0
	v_perm_b32 v15, v17, v16, s5
	v_perm_b32 v16, v27, v26, s5
	;; [unrolled: 1-line block ×3, first 2 shown]
	v_mfma_f32_4x4x4_16b_bf16 a[0:3], v[34:35], v[14:15], a[0:3] cbsz:4 abid:10
	v_cvt_pk_f32_fp8_e32 v[14:15], v22
	v_cvt_pk_f32_fp8_e32 v[26:27], v23
	v_mfma_f32_4x4x4_16b_bf16 a[0:3], v[34:35], v[16:17], a[0:3] cbsz:4 abid:11
	v_cvt_pk_f32_fp8_sdwa v[16:17], v22 src0_sel:WORD_1
	v_cvt_pk_f32_fp8_sdwa v[22:23], v23 src0_sel:WORD_1
	v_perm_b32 v14, v15, v14, s5
	v_perm_b32 v15, v17, v16, s5
	v_perm_b32 v16, v27, v26, s5
	s_nop 0
	v_mfma_f32_4x4x4_16b_bf16 a[0:3], v[34:35], v[14:15], a[0:3] cbsz:4 abid:12
	v_perm_b32 v17, v23, v22, s5
	v_cvt_pk_f32_fp8_e32 v[14:15], v24
	v_cvt_pk_f32_fp8_e32 v[22:23], v25
	v_mfma_f32_4x4x4_16b_bf16 a[0:3], v[34:35], v[16:17], a[0:3] cbsz:4 abid:13
	v_cvt_pk_f32_fp8_sdwa v[16:17], v24 src0_sel:WORD_1
	v_cvt_pk_f32_fp8_sdwa v[24:25], v25 src0_sel:WORD_1
	v_perm_b32 v14, v15, v14, s5
	v_perm_b32 v15, v17, v16, s5
	;; [unrolled: 1-line block ×3, first 2 shown]
	s_nop 0
	v_mfma_f32_4x4x4_16b_bf16 a[0:3], v[34:35], v[14:15], a[0:3] cbsz:4 abid:14
	v_perm_b32 v17, v25, v24, s5
	s_nop 1
	v_mfma_f32_4x4x4_16b_bf16 a[0:3], v[34:35], v[16:17], a[0:3] cbsz:4 abid:15
	s_nop 4
	v_accvgpr_read_b32 v17, a1
	v_accvgpr_read_b32 v16, a0
	s_waitcnt lgkmcnt(0)
	v_pk_mul_f32 v[16:17], v[16:17], s[4:5] op_sel_hi:[1,0]
	v_accvgpr_read_b32 v15, a3
	v_accvgpr_read_b32 v14, a2
	v_bfe_u32 v22, v17, 16, 1
	v_bfe_u32 v23, v16, 16, 1
	v_pk_mul_f32 v[14:15], v[14:15], s[4:5] op_sel_hi:[1,0]
	v_add3_u32 v16, v16, v23, s1
	v_add3_u32 v17, v17, v22, s1
	v_perm_b32 v16, v17, v16, s5
	v_bfe_u32 v17, v15, 16, 1
	v_bfe_u32 v22, v14, 16, 1
	v_add3_u32 v14, v14, v22, s1
	v_add3_u32 v15, v15, v17, s1
	v_perm_b32 v17, v15, v14, s5
	v_mad_u32_u24 v14, v1, 40, v40
	ds_write_b64 v14, v[16:17]
	v_cvt_pk_f32_fp8_e32 v[14:15], v6
	v_cvt_pk_f32_fp8_sdwa v[16:17], v6 src0_sel:WORD_1
	v_cvt_pk_f32_fp8_e32 v[22:23], v7
	v_cvt_pk_f32_fp8_sdwa v[6:7], v7 src0_sel:WORD_1
	v_perm_b32 v14, v15, v14, s5
	v_perm_b32 v15, v17, v16, s5
	;; [unrolled: 1-line block ×4, first 2 shown]
	v_mfma_f32_4x4x4_16b_bf16 a[0:3], v[34:35], v[14:15], 0 cbsz:4
	v_cvt_pk_f32_fp8_e32 v[6:7], v8
	v_cvt_pk_f32_fp8_sdwa v[14:15], v8 src0_sel:WORD_1
	v_mfma_f32_4x4x4_16b_bf16 a[0:3], v[34:35], v[16:17], a[0:3] cbsz:4 abid:1
	v_cvt_pk_f32_fp8_e32 v[16:17], v9
	v_cvt_pk_f32_fp8_sdwa v[8:9], v9 src0_sel:WORD_1
	v_perm_b32 v6, v7, v6, s5
	v_perm_b32 v7, v15, v14, s5
	v_perm_b32 v14, v17, v16, s5
	v_perm_b32 v15, v9, v8, s5
	v_mfma_f32_4x4x4_16b_bf16 a[0:3], v[34:35], v[6:7], a[0:3] cbsz:4 abid:2
	v_cvt_pk_f32_fp8_e32 v[6:7], v2
	v_cvt_pk_f32_fp8_sdwa v[8:9], v2 src0_sel:WORD_1
	v_mfma_f32_4x4x4_16b_bf16 a[0:3], v[34:35], v[14:15], a[0:3] cbsz:4 abid:3
	v_cvt_pk_f32_fp8_e32 v[14:15], v3
	v_cvt_pk_f32_fp8_sdwa v[2:3], v3 src0_sel:WORD_1
	v_perm_b32 v6, v7, v6, s5
	v_perm_b32 v7, v9, v8, s5
	v_perm_b32 v8, v15, v14, s5
	v_perm_b32 v9, v3, v2, s5
	v_mfma_f32_4x4x4_16b_bf16 a[0:3], v[34:35], v[6:7], a[0:3] cbsz:4 abid:4
	;; [unrolled: 10-line block ×3, first 2 shown]
	s_waitcnt vmcnt(0)
	v_cvt_pk_f32_fp8_e32 v[2:3], v18
	v_cvt_pk_f32_fp8_sdwa v[4:5], v18 src0_sel:WORD_1
	v_mfma_f32_4x4x4_16b_bf16 a[0:3], v[34:35], v[6:7], a[0:3] cbsz:4 abid:7
	v_cvt_pk_f32_fp8_e32 v[6:7], v19
	v_cvt_pk_f32_fp8_sdwa v[8:9], v19 src0_sel:WORD_1
	v_perm_b32 v2, v3, v2, s5
	v_perm_b32 v3, v5, v4, s5
	;; [unrolled: 1-line block ×4, first 2 shown]
	v_mfma_f32_4x4x4_16b_bf16 a[0:3], v[34:35], v[2:3], a[0:3] cbsz:4 abid:8
	v_cvt_pk_f32_fp8_e32 v[2:3], v20
	v_cvt_pk_f32_fp8_e32 v[6:7], v21
	v_mfma_f32_4x4x4_16b_bf16 a[0:3], v[34:35], v[4:5], a[0:3] cbsz:4 abid:9
	v_cvt_pk_f32_fp8_sdwa v[4:5], v20 src0_sel:WORD_1
	v_cvt_pk_f32_fp8_sdwa v[8:9], v21 src0_sel:WORD_1
	v_perm_b32 v2, v3, v2, s5
	v_perm_b32 v3, v5, v4, s5
	v_perm_b32 v4, v7, v6, s5
	s_nop 0
	v_mfma_f32_4x4x4_16b_bf16 a[0:3], v[34:35], v[2:3], a[0:3] cbsz:4 abid:10
	v_perm_b32 v5, v9, v8, s5
	v_cvt_pk_f32_fp8_e32 v[2:3], v10
	v_cvt_pk_f32_fp8_e32 v[6:7], v11
	v_mfma_f32_4x4x4_16b_bf16 a[0:3], v[34:35], v[4:5], a[0:3] cbsz:4 abid:11
	v_cvt_pk_f32_fp8_sdwa v[4:5], v10 src0_sel:WORD_1
	v_cvt_pk_f32_fp8_sdwa v[8:9], v11 src0_sel:WORD_1
	v_perm_b32 v2, v3, v2, s5
	v_perm_b32 v3, v5, v4, s5
	v_perm_b32 v4, v7, v6, s5
	s_nop 0
	v_mfma_f32_4x4x4_16b_bf16 a[0:3], v[34:35], v[2:3], a[0:3] cbsz:4 abid:12
	v_perm_b32 v5, v9, v8, s5
	;; [unrolled: 11-line block ×3, first 2 shown]
	s_nop 1
	v_mfma_f32_4x4x4_16b_bf16 a[0:3], v[34:35], v[4:5], a[0:3] cbsz:4 abid:15
	s_nop 4
	v_accvgpr_read_b32 v5, a1
	v_accvgpr_read_b32 v4, a0
	v_accvgpr_read_b32 v3, a3
	v_accvgpr_read_b32 v2, a2
	v_pk_mul_f32 v[4:5], v[4:5], s[4:5] op_sel_hi:[1,0]
	v_pk_mul_f32 v[2:3], v[2:3], s[4:5] op_sel_hi:[1,0]
	v_bfe_u32 v6, v5, 16, 1
	v_bfe_u32 v7, v4, 16, 1
	v_add3_u32 v4, v4, v7, s1
	v_add3_u32 v5, v5, v6, s1
	v_bfe_u32 v6, v3, 16, 1
	v_bfe_u32 v7, v2, 16, 1
	v_add3_u32 v2, v2, v7, s1
	v_add3_u32 v3, v3, v6, s1
	v_perm_b32 v39, v3, v2, s5
	v_perm_b32 v38, v5, v4, s5
.LBB1369_25:
	s_or_b64 exec, exec, s[2:3]
	s_waitcnt vmcnt(5)
	v_mad_u32_u24 v2, v1, 40, v40
	v_cmp_gt_u32_e32 vcc, 64, v0
	ds_write_b64 v2, v[38:39] offset:2560
	s_waitcnt lgkmcnt(0)
	s_barrier
	s_and_saveexec_b64 s[2:3], vcc
	s_cbranch_execz .LBB1369_27
; %bb.26:
	s_waitcnt vmcnt(4)
	v_mul_u32_u24_e32 v6, 40, v1
	ds_read2_b64 v[2:5], v6 offset1:1
	ds_read2_b64 v[6:9], v6 offset0:2 offset1:3
	s_mov_b32 s1, 0
	s_lshl_b32 s0, s0, 7
	s_lshl_b64 s[2:3], s[0:1], 1
	s_waitcnt lgkmcnt(1)
	v_and_b32_e32 v3, 0xffff0000, v2
	v_add_f32_e32 v3, 0, v3
	v_and_b32_e32 v5, 0xffff0000, v4
	v_and_b32_e32 v3, 0xffff0000, v3
	v_add_f32_e32 v3, v3, v5
	s_waitcnt lgkmcnt(0)
	v_and_b32_e32 v7, 0xffff0000, v6
	v_and_b32_e32 v3, 0xffff0000, v3
	v_add_f32_e32 v3, v3, v7
	v_mov_b32_e32 v7, 0xa00
	v_mad_u32_u24 v7, v1, 40, v7
	s_waitcnt vmcnt(1)
	ds_read2_b64 v[10:13], v7 offset1:1
	v_and_b32_e32 v3, 0xffff0000, v3
	v_and_b32_e32 v5, 0xffff0000, v8
	v_add_f32_e32 v7, v3, v5
	v_mov_b32_e32 v3, 0xa10
	v_mad_u32_u24 v1, v1, 40, v3
	ds_read2_b64 v[14:17], v1 offset1:1
	s_waitcnt lgkmcnt(1)
	v_lshlrev_b32_e32 v1, 16, v10
	v_add_f32_e32 v1, 0, v1
	v_and_b32_e32 v3, 0xffff0000, v10
	v_and_b32_e32 v1, 0xffff0000, v1
	v_add_f32_e32 v3, 0, v3
	v_lshlrev_b32_e32 v5, 16, v12
	v_and_b32_e32 v3, 0xffff0000, v3
	v_add_f32_e32 v1, v1, v5
	v_and_b32_e32 v5, 0xffff0000, v12
	v_and_b32_e32 v1, 0xffff0000, v1
	v_add_f32_e32 v3, v3, v5
	s_waitcnt lgkmcnt(0)
	v_lshlrev_b32_e32 v5, 16, v14
	v_and_b32_e32 v3, 0xffff0000, v3
	v_add_f32_e32 v1, v1, v5
	v_and_b32_e32 v5, 0xffff0000, v14
	v_and_b32_e32 v1, 0xffff0000, v1
	v_add_f32_e32 v3, v3, v5
	v_lshlrev_b32_e32 v5, 16, v16
	v_and_b32_e32 v3, 0xffff0000, v3
	v_add_f32_e32 v9, v1, v5
	v_and_b32_e32 v1, 0xffff0000, v16
	v_add_f32_e32 v10, v3, v1
	v_lshlrev_b32_e32 v1, 16, v2
	s_add_u32 s2, s22, s2
	v_add_f32_e32 v1, 0, v1
	s_addc_u32 s3, s23, s3
	s_lshl_b32 s0, s20, 7
	v_and_b32_e32 v1, 0xffff0000, v1
	v_lshlrev_b32_e32 v2, 16, v4
	s_lshl_b64 s[0:1], s[0:1], 1
	v_add_f32_e32 v1, v1, v2
	s_add_u32 s0, s2, s0
	v_and_b32_e32 v1, 0xffff0000, v1
	v_lshlrev_b32_e32 v2, 16, v6
	s_addc_u32 s1, s3, s1
	s_lshl_b32 s2, s38, 7
	v_add_f32_e32 v1, v1, v2
	v_and_b32_e32 v1, 0xffff0000, v1
	v_lshlrev_b32_e32 v2, 16, v8
	s_mul_i32 s3, s2, s33
	v_add_f32_e32 v1, v1, v2
	v_or_b32_e32 v2, s3, v0
	v_mov_b32_e32 v3, 0
	s_add_i32 s3, s3, s2
	v_lshl_add_u64 v[4:5], v[2:3], 1, s[0:1]
	v_or_b32_e32 v2, s3, v0
	global_store_short_d16_hi v[4:5], v1, off
	v_lshl_add_u64 v[0:1], v[2:3], 1, s[0:1]
	global_store_short_d16_hi v[0:1], v7, off
	global_store_short_d16_hi v[4:5], v9, off offset:128
	global_store_short_d16_hi v[0:1], v10, off offset:128
.LBB1369_27:
	s_endpgm
	.section	.rodata,"a",@progbits
	.p2align	6, 0x0
	.amdhsa_kernel _Z38paged_attention_ll4mi_QKV_mfma4_kernelI14__hip_bfloat16hLN4vllm18Fp8KVCacheDataTypeE1ES0_Li32ELi128ELi256ELb1ELi2EEvPKT_PKT0_S8_ifPKiSA_SA_iPKfiiiPfSD_PS3_PT2_iSC_SC_
		.amdhsa_group_segment_fixed_size 5280
		.amdhsa_private_segment_fixed_size 0
		.amdhsa_kernarg_size 400
		.amdhsa_user_sgpr_count 2
		.amdhsa_user_sgpr_dispatch_ptr 0
		.amdhsa_user_sgpr_queue_ptr 0
		.amdhsa_user_sgpr_kernarg_segment_ptr 1
		.amdhsa_user_sgpr_dispatch_id 0
		.amdhsa_user_sgpr_kernarg_preload_length 0
		.amdhsa_user_sgpr_kernarg_preload_offset 0
		.amdhsa_user_sgpr_private_segment_size 0
		.amdhsa_uses_dynamic_stack 0
		.amdhsa_enable_private_segment 0
		.amdhsa_system_sgpr_workgroup_id_x 1
		.amdhsa_system_sgpr_workgroup_id_y 1
		.amdhsa_system_sgpr_workgroup_id_z 1
		.amdhsa_system_sgpr_workgroup_info 0
		.amdhsa_system_vgpr_workitem_id 0
		.amdhsa_next_free_vgpr 60
		.amdhsa_next_free_sgpr 44
		.amdhsa_accum_offset 56
		.amdhsa_reserve_vcc 1
		.amdhsa_float_round_mode_32 0
		.amdhsa_float_round_mode_16_64 0
		.amdhsa_float_denorm_mode_32 3
		.amdhsa_float_denorm_mode_16_64 3
		.amdhsa_dx10_clamp 1
		.amdhsa_ieee_mode 1
		.amdhsa_fp16_overflow 0
		.amdhsa_tg_split 0
		.amdhsa_exception_fp_ieee_invalid_op 0
		.amdhsa_exception_fp_denorm_src 0
		.amdhsa_exception_fp_ieee_div_zero 0
		.amdhsa_exception_fp_ieee_overflow 0
		.amdhsa_exception_fp_ieee_underflow 0
		.amdhsa_exception_fp_ieee_inexact 0
		.amdhsa_exception_int_div_zero 0
	.end_amdhsa_kernel
	.section	.text._Z38paged_attention_ll4mi_QKV_mfma4_kernelI14__hip_bfloat16hLN4vllm18Fp8KVCacheDataTypeE1ES0_Li32ELi128ELi256ELb1ELi2EEvPKT_PKT0_S8_ifPKiSA_SA_iPKfiiiPfSD_PS3_PT2_iSC_SC_,"axG",@progbits,_Z38paged_attention_ll4mi_QKV_mfma4_kernelI14__hip_bfloat16hLN4vllm18Fp8KVCacheDataTypeE1ES0_Li32ELi128ELi256ELb1ELi2EEvPKT_PKT0_S8_ifPKiSA_SA_iPKfiiiPfSD_PS3_PT2_iSC_SC_,comdat
.Lfunc_end1369:
	.size	_Z38paged_attention_ll4mi_QKV_mfma4_kernelI14__hip_bfloat16hLN4vllm18Fp8KVCacheDataTypeE1ES0_Li32ELi128ELi256ELb1ELi2EEvPKT_PKT0_S8_ifPKiSA_SA_iPKfiiiPfSD_PS3_PT2_iSC_SC_, .Lfunc_end1369-_Z38paged_attention_ll4mi_QKV_mfma4_kernelI14__hip_bfloat16hLN4vllm18Fp8KVCacheDataTypeE1ES0_Li32ELi128ELi256ELb1ELi2EEvPKT_PKT0_S8_ifPKiSA_SA_iPKfiiiPfSD_PS3_PT2_iSC_SC_
                                        ; -- End function
	.section	.AMDGPU.csdata,"",@progbits
; Kernel info:
; codeLenInByte = 5684
; NumSgprs: 50
; NumVgprs: 56
; NumAgprs: 4
; TotalNumVgprs: 60
; ScratchSize: 0
; MemoryBound: 0
; FloatMode: 240
; IeeeMode: 1
; LDSByteSize: 5280 bytes/workgroup (compile time only)
; SGPRBlocks: 6
; VGPRBlocks: 7
; NumSGPRsForWavesPerEU: 50
; NumVGPRsForWavesPerEU: 60
; AccumOffset: 56
; Occupancy: 8
; WaveLimiterHint : 1
; COMPUTE_PGM_RSRC2:SCRATCH_EN: 0
; COMPUTE_PGM_RSRC2:USER_SGPR: 2
; COMPUTE_PGM_RSRC2:TRAP_HANDLER: 0
; COMPUTE_PGM_RSRC2:TGID_X_EN: 1
; COMPUTE_PGM_RSRC2:TGID_Y_EN: 1
; COMPUTE_PGM_RSRC2:TGID_Z_EN: 1
; COMPUTE_PGM_RSRC2:TIDIG_COMP_CNT: 0
; COMPUTE_PGM_RSRC3_GFX90A:ACCUM_OFFSET: 13
; COMPUTE_PGM_RSRC3_GFX90A:TG_SPLIT: 0
	.section	.text._Z38paged_attention_ll4mi_QKV_mfma4_kernelI14__hip_bfloat16hLN4vllm18Fp8KVCacheDataTypeE1ES0_Li32ELi128ELi256ELb1ELi3EEvPKT_PKT0_S8_ifPKiSA_SA_iPKfiiiPfSD_PS3_PT2_iSC_SC_,"axG",@progbits,_Z38paged_attention_ll4mi_QKV_mfma4_kernelI14__hip_bfloat16hLN4vllm18Fp8KVCacheDataTypeE1ES0_Li32ELi128ELi256ELb1ELi3EEvPKT_PKT0_S8_ifPKiSA_SA_iPKfiiiPfSD_PS3_PT2_iSC_SC_,comdat
	.protected	_Z38paged_attention_ll4mi_QKV_mfma4_kernelI14__hip_bfloat16hLN4vllm18Fp8KVCacheDataTypeE1ES0_Li32ELi128ELi256ELb1ELi3EEvPKT_PKT0_S8_ifPKiSA_SA_iPKfiiiPfSD_PS3_PT2_iSC_SC_ ; -- Begin function _Z38paged_attention_ll4mi_QKV_mfma4_kernelI14__hip_bfloat16hLN4vllm18Fp8KVCacheDataTypeE1ES0_Li32ELi128ELi256ELb1ELi3EEvPKT_PKT0_S8_ifPKiSA_SA_iPKfiiiPfSD_PS3_PT2_iSC_SC_
	.globl	_Z38paged_attention_ll4mi_QKV_mfma4_kernelI14__hip_bfloat16hLN4vllm18Fp8KVCacheDataTypeE1ES0_Li32ELi128ELi256ELb1ELi3EEvPKT_PKT0_S8_ifPKiSA_SA_iPKfiiiPfSD_PS3_PT2_iSC_SC_
	.p2align	8
	.type	_Z38paged_attention_ll4mi_QKV_mfma4_kernelI14__hip_bfloat16hLN4vllm18Fp8KVCacheDataTypeE1ES0_Li32ELi128ELi256ELb1ELi3EEvPKT_PKT0_S8_ifPKiSA_SA_iPKfiiiPfSD_PS3_PT2_iSC_SC_,@function
_Z38paged_attention_ll4mi_QKV_mfma4_kernelI14__hip_bfloat16hLN4vllm18Fp8KVCacheDataTypeE1ES0_Li32ELi128ELi256ELb1ELi3EEvPKT_PKT0_S8_ifPKiSA_SA_iPKfiiiPfSD_PS3_PT2_iSC_SC_: ; @_Z38paged_attention_ll4mi_QKV_mfma4_kernelI14__hip_bfloat16hLN4vllm18Fp8KVCacheDataTypeE1ES0_Li32ELi128ELi256ELb1ELi3EEvPKT_PKT0_S8_ifPKiSA_SA_iPKfiiiPfSD_PS3_PT2_iSC_SC_
; %bb.0:
	s_load_dwordx2 s[16:17], s[0:1], 0x30
	s_mov_b32 s20, s3
	s_mov_b64 s[6:7], 0
	s_waitcnt lgkmcnt(0)
	s_cmp_lg_u64 s[16:17], 0
	s_cselect_b64 s[18:19], -1, 0
	s_and_b64 vcc, exec, s[18:19]
	s_cbranch_vccz .LBB1370_10
; %bb.1:
	s_add_i32 s8, s2, 1
	s_mov_b32 s9, 0
	s_lshl_b64 s[10:11], s[8:9], 2
	s_add_u32 s10, s16, s10
	s_mov_b32 s3, s9
	s_addc_u32 s11, s17, s11
	s_lshl_b64 s[8:9], s[2:3], 2
	s_add_u32 s8, s16, s8
	s_addc_u32 s9, s17, s9
	s_load_dword s5, s[10:11], 0x0
	s_load_dword s12, s[8:9], 0x0
	s_waitcnt lgkmcnt(0)
	s_sub_i32 s5, s5, s12
	s_cmp_eq_u32 s5, 1
	s_cselect_b64 s[8:9], -1, 0
	s_andn2_b64 vcc, exec, s[6:7]
	s_cbranch_vccnz .LBB1370_3
.LBB1370_2:
	s_mov_b32 s3, 0
	s_mov_b64 s[8:9], -1
.LBB1370_3:
	s_andn2_b64 vcc, exec, s[8:9]
	s_cbranch_vccnz .LBB1370_27
; %bb.4:
	s_load_dword s5, s[0:1], 0x9c
	s_load_dwordx2 s[6:7], s[0:1], 0x28
	s_add_u32 s24, s0, 0x90
	s_addc_u32 s25, s1, 0
	s_lshl_b64 s[28:29], s[2:3], 2
	s_waitcnt lgkmcnt(0)
	s_and_b32 s5, s5, 0xffff
	s_add_u32 s6, s6, s28
	s_addc_u32 s7, s7, s29
	s_load_dword s3, s[6:7], 0x0
	s_mul_i32 s5, s20, s5
	s_waitcnt lgkmcnt(0)
	s_cmp_ge_i32 s5, s3
	s_cbranch_scc1 .LBB1370_27
; %bb.5:
	v_and_b32_e32 v1, 0xc0, v0
	v_add_u32_e32 v4, s5, v1
	v_lshrrev_b32_e32 v46, 6, v0
	v_cmp_le_i32_e64 s[6:7], s3, v4
                                        ; implicit-def: $sgpr30
                                        ; implicit-def: $sgpr21
	s_and_saveexec_b64 s[8:9], s[6:7]
	s_xor_b64 s[8:9], exec, s[8:9]
	s_cbranch_execz .LBB1370_7
; %bb.6:
	v_mul_u32_u24_e32 v1, 20, v46
	v_or_b32_e32 v1, 0x1400, v1
	v_mov_b32_e32 v2, 0x1450
	v_mov_b32_e32 v3, 0xff7fffff
	v_mad_u32_u24 v2, v46, 20, v2
	ds_write2_b32 v1, v3, v3 offset1:1
	v_mov_b32_e32 v1, 0
	ds_write2_b32 v2, v1, v1 offset1:1
	v_mov_b32_e32 v2, 0x1408
	v_mov_b32_e32 v4, 0x1458
	s_mov_b32 s21, 0xff7fffff
	s_mov_b32 s30, 0
	v_mad_u32_u24 v2, v46, 20, v2
	v_mad_u32_u24 v4, v46, 20, v4
	ds_write2_b32 v2, v3, v3 offset1:1
	ds_write2_b32 v4, v1, v1 offset1:1
                                        ; implicit-def: $vgpr4
.LBB1370_7:
	s_or_saveexec_b64 s[26:27], s[8:9]
	s_load_dwordx2 s[22:23], s[0:1], 0x68
	s_load_dwordx4 s[12:15], s[0:1], 0x58
	s_load_dword s38, s[24:25], 0x4
	s_load_dwordx4 s[8:11], s[0:1], 0x80
	v_and_b32_e32 v1, 63, v0
	v_and_b32_e32 v47, 3, v0
	s_mul_i32 s33, s4, 3
	v_mov_b32_e32 v37, s30
	v_mov_b32_e32 v41, s21
	;; [unrolled: 1-line block ×5, first 2 shown]
                                        ; implicit-def: $vgpr26_vgpr27
                                        ; implicit-def: $vgpr10_vgpr11
                                        ; implicit-def: $vgpr30_vgpr31
                                        ; implicit-def: $vgpr18_vgpr19
                                        ; implicit-def: $vgpr6_vgpr7
                                        ; implicit-def: $vgpr2_vgpr3
                                        ; implicit-def: $vgpr22_vgpr23
                                        ; implicit-def: $vgpr14_vgpr15
	s_xor_b64 exec, exec, s[26:27]
	s_cbranch_execz .LBB1370_19
; %bb.8:
	s_load_dwordx2 s[30:31], s[0:1], 0x20
	s_load_dword s21, s[0:1], 0x38
	s_add_i32 s34, s3, 31
	s_ashr_i32 s35, s34, 31
	s_lshr_b32 s35, s35, 27
	v_add_u32_e32 v48, s5, v0
	s_add_i32 s34, s34, s35
	v_ashrrev_i32_e32 v2, 31, v48
	s_ashr_i32 s34, s34, 5
	v_lshrrev_b32_e32 v2, 27, v2
	s_add_i32 s36, s34, -1
	s_waitcnt lgkmcnt(0)
	s_mul_i32 s34, s2, s21
	s_mov_b32 s35, 0
	v_add_u32_e32 v2, v48, v2
	s_lshl_b64 s[34:35], s[34:35], 2
	v_ashrrev_i32_e32 v2, 5, v2
	v_mov_b32_e32 v3, s36
	v_cmp_gt_i32_e32 vcc, s3, v48
	s_add_u32 s30, s30, s34
	s_addc_u32 s31, s31, s35
	v_cndmask_b32_e32 v2, v3, v2, vcc
	v_ashrrev_i32_e32 v3, 31, v2
	v_lshl_add_u64 v[6:7], v[2:3], 2, s[30:31]
	v_ashrrev_i32_e32 v2, 31, v4
	v_lshrrev_b32_e32 v2, 27, v2
	v_add_u32_e32 v2, v4, v2
	v_ashrrev_i32_e32 v8, 5, v2
	v_min_i32_e32 v2, s36, v8
	v_ashrrev_i32_e32 v3, 31, v2
	v_lshl_add_u64 v[4:5], v[2:3], 2, s[30:31]
	v_add_u32_e32 v2, 1, v8
	v_min_i32_e32 v2, s36, v2
	v_ashrrev_i32_e32 v3, 31, v2
	v_lshl_add_u64 v[8:9], v[2:3], 2, s[30:31]
	global_load_dword v2, v[6:7], off
	global_load_dword v29, v[4:5], off
	;; [unrolled: 1-line block ×3, first 2 shown]
	s_load_dwordx2 s[30:31], s[0:1], 0x8
	s_andn2_b64 vcc, exec, s[18:19]
	s_cbranch_vccnz .LBB1370_11
; %bb.9:
	s_add_u32 s16, s16, s28
	s_addc_u32 s17, s17, s29
	s_load_dword s5, s[16:17], 0x0
	s_branch .LBB1370_12
.LBB1370_10:
	s_mov_b64 s[8:9], 0
	s_branch .LBB1370_2
.LBB1370_11:
	s_mov_b32 s5, s2
.LBB1370_12:
	s_load_dwordx2 s[28:29], s[0:1], 0x10
	s_load_dwordx4 s[16:19], s[0:1], 0x48
	v_cmp_ne_u32_e32 vcc, 3, v47
	s_mov_b32 s37, 0
	v_mov_b32_e32 v27, 0
	v_mov_b32_e32 v14, 0
	;; [unrolled: 1-line block ×5, first 2 shown]
	s_and_saveexec_b64 s[34:35], vcc
	s_cbranch_execz .LBB1370_14
; %bb.13:
	s_load_dwordx2 s[40:41], s[0:1], 0x0
	s_waitcnt lgkmcnt(0)
	s_ashr_i32 s19, s16, 31
	s_mul_hi_u32 s21, s5, s16
	s_mul_i32 s19, s5, s19
	s_add_i32 s43, s21, s19
	s_mul_i32 s42, s5, s16
	s_lshl_b64 s[42:43], s[42:43], 1
	s_add_u32 s5, s40, s42
	s_mul_i32 s36, s4, 0x180
	s_addc_u32 s16, s41, s43
	s_lshl_b64 s[36:37], s[36:37], 1
	v_lshlrev_b32_e32 v3, 2, v1
	s_add_u32 s36, s5, s36
	v_and_b32_e32 v3, 0xf0, v3
	s_addc_u32 s37, s16, s37
	v_lshl_or_b32 v3, v47, 8, v3
	global_load_dwordx4 v[14:17], v3, s[36:37]
.LBB1370_14:
	s_or_b64 exec, exec, s[34:35]
	s_waitcnt lgkmcnt(0)
	s_mul_i32 s16, s4, s18
	s_add_u32 s4, s16, s30
	s_addc_u32 s5, 0, s31
	v_mov_b64_e32 v[4:5], s[4:5]
	s_waitcnt vmcnt(2)
	v_mad_i64_i32 v[2:3], s[4:5], v2, s17, v[4:5]
	v_lshlrev_b32_e32 v4, 4, v0
	v_and_b32_e32 v26, 0x1f0, v4
	v_lshl_add_u64 v[42:43], v[2:3], 0, v[26:27]
	global_load_dwordx4 v[10:13], v[42:43], off
	global_load_dwordx4 v[6:9], v[42:43], off offset:512
	global_load_dwordx4 v[2:5], v[42:43], off offset:1024
	;; [unrolled: 1-line block ×7, first 2 shown]
	v_mov_b32_e32 v43, 1.0
	v_mov_b32_e32 v42, 0
	s_and_saveexec_b64 s[4:5], vcc
	s_cbranch_execz .LBB1370_16
; %bb.15:
	s_load_dwordx2 s[18:19], s[0:1], 0x40
	v_add_u32_e32 v42, s33, v47
	v_mov_b32_e32 v43, 0
	s_waitcnt lgkmcnt(0)
	v_lshl_add_u64 v[44:45], v[42:43], 2, s[18:19]
	global_load_dword v42, v[44:45], off
.LBB1370_16:
	s_or_b64 exec, exec, s[4:5]
	s_waitcnt vmcnt(9)
	v_mul_hi_i32 v26, v29, s17
	v_ashrrev_i32_e32 v26, 31, v26
	v_lshrrev_b32_e32 v44, 29, v26
	v_mov_b32_e32 v45, 0
	v_mad_i64_i32 v[50:51], s[18:19], v29, s17, v[44:45]
	s_waitcnt vmcnt(8)
	v_mul_hi_i32 v29, v28, s17
	v_ashrrev_i32_e32 v29, 31, v29
	v_lshrrev_b32_e32 v44, 29, v29
	s_add_u32 s4, s28, s16
	v_mad_i64_i32 v[28:29], s[16:17], v28, s17, v[44:45]
	s_addc_u32 s5, s29, 0
	v_and_b32_e32 v50, -8, v50
	v_and_b32_e32 v28, -8, v28
	v_lshl_add_u64 v[50:51], s[4:5], 0, v[50:51]
	v_lshlrev_b32_e32 v26, 5, v1
	v_lshl_add_u64 v[28:29], s[4:5], 0, v[28:29]
	v_lshl_add_u64 v[50:51], v[50:51], 0, v[26:27]
	;; [unrolled: 1-line block ×3, first 2 shown]
	s_waitcnt vmcnt(7)
	v_cvt_pk_f32_fp8_e32 v[26:27], v10
	v_cvt_pk_f32_fp8_sdwa v[28:29], v10 src0_sel:WORD_1
	v_cvt_pk_f32_fp8_e32 v[52:53], v11
	v_cvt_pk_f32_fp8_sdwa v[10:11], v11 src0_sel:WORD_1
	s_mov_b32 s4, 0x7060302
	v_perm_b32 v26, v27, v26, s4
	v_perm_b32 v27, v29, v28, s4
	;; [unrolled: 1-line block ×3, first 2 shown]
	v_cvt_pk_f32_fp8_e32 v[10:11], v12
	v_mfma_f32_4x4x4_16b_bf16 a[0:3], v[14:15], v[26:27], 0 cbsz:4
	v_cvt_pk_f32_fp8_sdwa v[26:27], v12 src0_sel:WORD_1
	v_perm_b32 v28, v53, v52, s4
	v_perm_b32 v10, v11, v10, s4
	s_waitcnt vmcnt(4)
	v_cvt_pk_f32_fp8_e32 v[52:53], v41
	v_mfma_f32_4x4x4_16b_bf16 a[0:3], v[16:17], v[28:29], a[0:3] cbsz:4
	v_cvt_pk_f32_fp8_e32 v[28:29], v13
	v_cvt_pk_f32_fp8_sdwa v[12:13], v13 src0_sel:WORD_1
	v_perm_b32 v11, v27, v26, s4
	s_load_dword s0, s[0:1], 0x1c
	v_perm_b32 v26, v29, v28, s4
	v_mfma_f32_4x4x4_16b_bf16 a[0:3], v[14:15], v[10:11], a[0:3] cbsz:4 abid:1
	v_perm_b32 v27, v13, v12, s4
	v_cvt_pk_f32_fp8_e32 v[10:11], v6
	v_cvt_pk_f32_fp8_sdwa v[12:13], v6 src0_sel:WORD_1
	v_mfma_f32_4x4x4_16b_bf16 a[0:3], v[16:17], v[26:27], a[0:3] cbsz:4 abid:1
	v_cvt_pk_f32_fp8_e32 v[26:27], v7
	v_cvt_pk_f32_fp8_sdwa v[6:7], v7 src0_sel:WORD_1
	v_perm_b32 v28, v11, v10, s4
	v_perm_b32 v29, v13, v12, s4
	;; [unrolled: 1-line block ×4, first 2 shown]
	v_mfma_f32_4x4x4_16b_bf16 a[0:3], v[14:15], v[28:29], a[0:3] cbsz:4 abid:2
	v_cvt_pk_f32_fp8_e32 v[6:7], v8
	v_cvt_pk_f32_fp8_sdwa v[28:29], v8 src0_sel:WORD_1
	v_mfma_f32_4x4x4_16b_bf16 a[0:3], v[16:17], v[26:27], a[0:3] cbsz:4 abid:2
	v_cvt_pk_f32_fp8_e32 v[26:27], v9
	v_perm_b32 v6, v7, v6, s4
	v_perm_b32 v7, v29, v28, s4
	v_cvt_pk_f32_fp8_sdwa v[8:9], v9 src0_sel:WORD_1
	v_cvt_pk_f32_fp8_sdwa v[28:29], v2 src0_sel:WORD_1
	v_mfma_f32_4x4x4_16b_bf16 a[0:3], v[14:15], v[6:7], a[0:3] cbsz:4 abid:3
	v_cvt_pk_f32_fp8_e32 v[6:7], v2
	v_perm_b32 v26, v27, v26, s4
	v_perm_b32 v27, v9, v8, s4
	v_cvt_pk_f32_fp8_sdwa v[8:9], v3 src0_sel:WORD_1
	v_perm_b32 v2, v7, v6, s4
	v_cvt_pk_f32_fp8_e32 v[6:7], v3
	v_mfma_f32_4x4x4_16b_bf16 a[0:3], v[16:17], v[26:27], a[0:3] cbsz:4 abid:3
	v_perm_b32 v3, v29, v28, s4
	global_load_dwordx4 v[10:13], v[50:51], off offset:16
	global_load_dwordx4 v[26:29], v[50:51], off
	v_mfma_f32_4x4x4_16b_bf16 a[0:3], v[14:15], v[2:3], a[0:3] cbsz:4 abid:4
	v_perm_b32 v6, v7, v6, s4
	v_perm_b32 v7, v9, v8, s4
	v_cvt_pk_f32_fp8_e32 v[2:3], v4
	v_cvt_pk_f32_fp8_e32 v[8:9], v5
	v_mfma_f32_4x4x4_16b_bf16 a[0:3], v[16:17], v[6:7], a[0:3] cbsz:4 abid:4
	v_cvt_pk_f32_fp8_sdwa v[6:7], v4 src0_sel:WORD_1
	v_cvt_pk_f32_fp8_sdwa v[4:5], v5 src0_sel:WORD_1
	v_perm_b32 v2, v3, v2, s4
	s_load_dword s1, s[8:9], 0x0
	v_perm_b32 v3, v7, v6, s4
	v_perm_b32 v7, v5, v4, s4
	v_cvt_pk_f32_fp8_sdwa v[4:5], v38 src0_sel:WORD_1
	v_mfma_f32_4x4x4_16b_bf16 a[0:3], v[14:15], v[2:3], a[0:3] cbsz:4 abid:5
	v_cvt_pk_f32_fp8_e32 v[2:3], v38
	v_perm_b32 v6, v9, v8, s4
	v_cvt_pk_f32_fp8_sdwa v[8:9], v39 src0_sel:WORD_1
	v_cmp_eq_u32_e32 vcc, 0, v47
	v_mfma_f32_4x4x4_16b_bf16 a[0:3], v[16:17], v[6:7], a[0:3] cbsz:4 abid:5
	v_cvt_pk_f32_fp8_e32 v[6:7], v39
	v_perm_b32 v38, v3, v2, s4
	v_perm_b32 v39, v5, v4, s4
	global_load_dwordx4 v[2:5], v[50:51], off offset:2064
	v_perm_b32 v6, v7, v6, s4
	v_mfma_f32_4x4x4_16b_bf16 a[0:3], v[14:15], v[38:39], a[0:3] cbsz:4 abid:6
	v_cvt_pk_f32_fp8_sdwa v[38:39], v40 src0_sel:WORD_1
	v_perm_b32 v7, v9, v8, s4
	v_cvt_pk_f32_fp8_e32 v[8:9], v40
	v_perm_b32 v40, v53, v52, s4
	v_perm_b32 v55, v39, v38, s4
	v_cvt_pk_f32_fp8_sdwa v[38:39], v41 src0_sel:WORD_1
	v_mfma_f32_4x4x4_16b_bf16 a[0:3], v[16:17], v[6:7], a[0:3] cbsz:4 abid:6
	v_perm_b32 v54, v9, v8, s4
	global_load_dwordx4 v[6:9], v[50:51], off offset:2048
	s_waitcnt vmcnt(7)
	v_cvt_pk_f32_fp8_e32 v[50:51], v18
	v_mfma_f32_4x4x4_16b_bf16 a[0:3], v[14:15], v[54:55], a[0:3] cbsz:4 abid:7
	v_cvt_pk_f32_fp8_sdwa v[52:53], v18 src0_sel:WORD_1
	v_perm_b32 v41, v39, v38, s4
	v_cvt_pk_f32_fp8_e32 v[38:39], v19
	v_perm_b32 v18, v51, v50, s4
	v_mfma_f32_4x4x4_16b_bf16 a[0:3], v[16:17], v[40:41], a[0:3] cbsz:4 abid:7
	v_cvt_pk_f32_fp8_sdwa v[40:41], v19 src0_sel:WORD_1
	v_perm_b32 v19, v53, v52, s4
	v_perm_b32 v38, v39, v38, s4
	v_cvt_pk_f32_fp8_e32 v[50:51], v21
	v_mfma_f32_4x4x4_16b_bf16 a[0:3], v[14:15], v[18:19], a[0:3] cbsz:4 abid:8
	v_perm_b32 v39, v41, v40, s4
	v_cvt_pk_f32_fp8_sdwa v[40:41], v20 src0_sel:WORD_1
	v_cvt_pk_f32_fp8_sdwa v[52:53], v21 src0_sel:WORD_1
	v_mfma_f32_4x4x4_16b_bf16 a[0:3], v[16:17], v[38:39], a[0:3] cbsz:4 abid:8
	v_cvt_pk_f32_fp8_e32 v[38:39], v20
	global_load_dwordx4 v[18:21], v[44:45], off offset:16
	v_perm_b32 v38, v39, v38, s4
	v_perm_b32 v39, v41, v40, s4
	;; [unrolled: 1-line block ×4, first 2 shown]
	v_mfma_f32_4x4x4_16b_bf16 a[0:3], v[14:15], v[38:39], a[0:3] cbsz:4 abid:9
	s_waitcnt vmcnt(7)
	v_cvt_pk_f32_fp8_e32 v[38:39], v30
	v_cvt_pk_f32_fp8_e32 v[50:51], v31
	v_mfma_f32_4x4x4_16b_bf16 a[0:3], v[16:17], v[40:41], a[0:3] cbsz:4 abid:9
	v_cvt_pk_f32_fp8_sdwa v[40:41], v30 src0_sel:WORD_1
	v_perm_b32 v30, v39, v38, s4
	v_cvt_pk_f32_fp8_sdwa v[38:39], v31 src0_sel:WORD_1
	v_cvt_pk_f32_fp8_sdwa v[52:53], v33 src0_sel:WORD_1
	v_perm_b32 v31, v41, v40, s4
	v_perm_b32 v40, v51, v50, s4
	;; [unrolled: 1-line block ×3, first 2 shown]
	v_mfma_f32_4x4x4_16b_bf16 a[0:3], v[14:15], v[30:31], a[0:3] cbsz:4 abid:10
	v_cvt_pk_f32_fp8_e32 v[38:39], v32
	v_cvt_pk_f32_fp8_e32 v[50:51], v33
	v_mfma_f32_4x4x4_16b_bf16 a[0:3], v[16:17], v[40:41], a[0:3] cbsz:4 abid:10
	v_cvt_pk_f32_fp8_sdwa v[40:41], v32 src0_sel:WORD_1
	global_load_dwordx4 v[30:33], v[44:45], off
	v_perm_b32 v38, v39, v38, s4
	v_perm_b32 v39, v41, v40, s4
	;; [unrolled: 1-line block ×3, first 2 shown]
	s_nop 0
	v_mfma_f32_4x4x4_16b_bf16 a[0:3], v[14:15], v[38:39], a[0:3] cbsz:4 abid:11
	s_waitcnt vmcnt(7)
	v_cvt_pk_f32_fp8_e32 v[38:39], v34
	v_perm_b32 v41, v53, v52, s4
	v_cvt_pk_f32_fp8_e32 v[50:51], v35
	s_nop 0
	v_mfma_f32_4x4x4_16b_bf16 a[0:3], v[16:17], v[40:41], a[0:3] cbsz:4 abid:11
	v_cvt_pk_f32_fp8_sdwa v[40:41], v34 src0_sel:WORD_1
	v_perm_b32 v34, v39, v38, s4
	v_cvt_pk_f32_fp8_sdwa v[38:39], v35 src0_sel:WORD_1
	v_perm_b32 v35, v41, v40, s4
	v_perm_b32 v40, v51, v50, s4
	s_nop 0
	v_mfma_f32_4x4x4_16b_bf16 a[0:3], v[14:15], v[34:35], a[0:3] cbsz:4 abid:12
	v_perm_b32 v41, v39, v38, s4
	v_cvt_pk_f32_fp8_e32 v[34:35], v36
	v_cvt_pk_f32_fp8_sdwa v[38:39], v36 src0_sel:WORD_1
	v_mfma_f32_4x4x4_16b_bf16 a[0:3], v[16:17], v[40:41], a[0:3] cbsz:4 abid:12
	v_cvt_pk_f32_fp8_e32 v[40:41], v37
	v_cvt_pk_f32_fp8_sdwa v[36:37], v37 src0_sel:WORD_1
	v_perm_b32 v34, v35, v34, s4
	v_perm_b32 v35, v39, v38, s4
	;; [unrolled: 1-line block ×4, first 2 shown]
	v_mfma_f32_4x4x4_16b_bf16 a[0:3], v[14:15], v[34:35], a[0:3] cbsz:4 abid:13
	s_waitcnt vmcnt(6)
	v_cvt_pk_f32_fp8_e32 v[34:35], v22
	v_cvt_pk_f32_fp8_sdwa v[36:37], v22 src0_sel:WORD_1
	v_mfma_f32_4x4x4_16b_bf16 a[0:3], v[16:17], v[38:39], a[0:3] cbsz:4 abid:13
	v_cvt_pk_f32_fp8_e32 v[38:39], v23
	v_perm_b32 v22, v35, v34, s4
	v_cvt_pk_f32_fp8_sdwa v[34:35], v23 src0_sel:WORD_1
	v_perm_b32 v23, v37, v36, s4
	v_perm_b32 v36, v39, v38, s4
	v_mov_b32_e32 v41, 0xff7fffff
	v_mfma_f32_4x4x4_16b_bf16 a[0:3], v[14:15], v[22:23], a[0:3] cbsz:4 abid:14
	v_perm_b32 v37, v35, v34, s4
	v_cvt_pk_f32_fp8_e32 v[22:23], v24
	v_cvt_pk_f32_fp8_sdwa v[34:35], v24 src0_sel:WORD_1
	v_mfma_f32_4x4x4_16b_bf16 a[0:3], v[16:17], v[36:37], a[0:3] cbsz:4 abid:14
	v_cvt_pk_f32_fp8_e32 v[36:37], v25
	v_cvt_pk_f32_fp8_sdwa v[24:25], v25 src0_sel:WORD_1
	v_perm_b32 v22, v23, v22, s4
	v_perm_b32 v23, v35, v34, s4
	v_perm_b32 v34, v37, v36, s4
	v_perm_b32 v35, v25, v24, s4
	v_mfma_f32_4x4x4_16b_bf16 a[0:3], v[14:15], v[22:23], a[0:3] cbsz:4 abid:15
	s_waitcnt lgkmcnt(0)
	v_mov_b32_e32 v14, s0
	v_mfma_f32_4x4x4_16b_bf16 a[0:3], v[16:17], v[34:35], a[0:3] cbsz:4 abid:15
	v_mul_f32_e32 v16, s1, v14
	s_nop 3
	v_accvgpr_read_b32 v23, a1
	v_accvgpr_read_b32 v22, a0
	v_pk_mul_f32 v[22:23], v[22:23], v[16:17] op_sel_hi:[1,0]
	v_accvgpr_read_b32 v15, a3
	v_accvgpr_read_b32 v14, a2
	v_pk_mul_f32 v[34:35], v[14:15], v[16:17] op_sel_hi:[1,0]
	v_cndmask_b32_e64 v14, 0, 1.0, vcc
	v_cmp_eq_u32_e32 vcc, 1, v47
	s_nop 0
	v_mfma_f32_4x4x1_16b_f32 a[0:3], v22, v14, 0
	v_cndmask_b32_e64 v14, 0, 1.0, vcc
	v_cmp_eq_u32_e32 vcc, 2, v47
	s_nop 0
	v_mfma_f32_4x4x1_16b_f32 a[0:3], v23, v14, a[0:3]
	v_cndmask_b32_e64 v14, 0, 1.0, vcc
	s_nop 1
	v_mfma_f32_4x4x1_16b_f32 a[0:3], v34, v14, a[0:3]
	global_load_dwordx4 v[14:17], v[44:45], off offset:2064
	global_load_dwordx4 v[22:25], v[44:45], off offset:2048
	v_and_b32_e32 v34, -4, v48
	v_mfma_f32_4x4x1_16b_f32 a[0:3], v35, v43, a[0:3]
	v_subrev_u32_e32 v35, s3, v34
	v_add_u32_e32 v36, 1, v35
	v_cvt_f32_i32_e32 v36, v36
	v_add_u32_e32 v37, 2, v35
	v_cvt_f32_i32_e32 v37, v37
	v_accvgpr_read_b32 v38, a0
	v_fma_f32 v36, v42, v36, v38
	v_accvgpr_read_b32 v38, a1
	v_fma_f32 v37, v42, v37, v38
	v_add_u32_e32 v38, 3, v35
	v_cvt_f32_i32_e32 v38, v38
	v_add_u32_e32 v35, 4, v35
	v_cvt_f32_i32_e32 v35, v35
	v_accvgpr_read_b32 v39, a2
	v_max_f32_e32 v40, 0xff7fffff, v36
	v_cmp_gt_i32_e32 vcc, s3, v34
	v_fma_f32 v38, v42, v38, v39
	v_accvgpr_read_b32 v39, a3
	v_cndmask_b32_e32 v40, v41, v40, vcc
	v_or_b32_e32 v41, 1, v34
	v_fmac_f32_e32 v39, v42, v35
	v_max_f32_e32 v42, v40, v37
	v_cmp_gt_i32_e64 s[0:1], s3, v41
	v_or_b32_e32 v34, 2, v34
	v_cmp_gt_i32_e64 s[4:5], s3, v34
	v_cndmask_b32_e64 v40, v40, v42, s[0:1]
	v_max_f32_e32 v41, v40, v38
	v_cndmask_b32_e64 v34, v40, v41, s[4:5]
	v_or_b32_e32 v40, 3, v48
	v_max_f32_e32 v41, v34, v39
	v_cmp_gt_i32_e64 s[8:9], s3, v40
	v_lshlrev_b32_e32 v35, 2, v0
	v_and_or_b32 v35, v35, 48, v47
	v_cndmask_b32_e64 v34, v34, v41, s[8:9]
	;;#ASMSTART
	v_nop
 v_nop
 v_max_f32_dpp v34, v34, v34 row_ror:4
	;;#ASMEND
	v_lshlrev_b32_e32 v40, 2, v35
	;;#ASMSTART
	v_nop
 v_nop
 v_max_f32_dpp v34, v34, v34 row_ror:8
	;;#ASMEND
	ds_bpermute_b32 v34, v40, v34
	s_waitcnt lgkmcnt(0)
	;;#ASMSTART
	v_nop
 v_nop
 v_max_f32_dpp v34, v34, v34 row_ror:4
	;;#ASMEND
	s_nop 0
	;;#ASMSTART
	v_nop
 v_nop
 v_max_f32_dpp v41, v34, v34 row_ror:8
	;;#ASMEND
	s_nop 0
	v_sub_f32_e32 v34, v36, v41
	v_mul_f32_e32 v34, 0x3fb8aa3b, v34
	v_sub_f32_e32 v35, v37, v41
	v_exp_f32_e32 v34, v34
	v_mul_f32_e32 v35, 0x3fb8aa3b, v35
	v_sub_f32_e32 v37, v38, v41
	v_exp_f32_e32 v35, v35
	;; [unrolled: 3-line block ×3, first 2 shown]
	v_mul_f32_e32 v38, 0x3fb8aa3b, v38
	v_exp_f32_e32 v38, v38
	v_cndmask_b32_e32 v34, 0, v34, vcc
	v_add_f32_e32 v36, 0, v34
	v_cndmask_b32_e64 v35, 0, v35, s[0:1]
	v_add_f32_e32 v39, v36, v35
	v_cndmask_b32_e64 v36, 0, v37, s[4:5]
	;; [unrolled: 2-line block ×3, first 2 shown]
	v_add_f32_e32 v38, v39, v37
	;;#ASMSTART
	v_nop
 v_nop
 v_add_f32_dpp v38, v38, v38 row_ror:4
	;;#ASMEND
	v_cmp_gt_u32_e32 vcc, 4, v1
	;;#ASMSTART
	v_nop
 v_nop
 v_add_f32_dpp v38, v38, v38 row_ror:8
	;;#ASMEND
	ds_bpermute_b32 v38, v40, v38
	s_waitcnt lgkmcnt(0)
	;;#ASMSTART
	v_nop
 v_nop
 v_add_f32_dpp v38, v38, v38 row_ror:4
	;;#ASMEND
	s_nop 0
	;;#ASMSTART
	v_nop
 v_nop
 v_add_f32_dpp v38, v38, v38 row_ror:8
	;;#ASMEND
	s_and_saveexec_b64 s[0:1], vcc
	s_cbranch_execz .LBB1370_18
; %bb.17:
	v_mul_u32_u24_e32 v39, 20, v46
	v_lshl_add_u32 v39, v47, 2, v39
	v_add_u32_e32 v39, 0x1400, v39
	ds_write2_b32 v39, v41, v38 offset1:20
.LBB1370_18:
	s_or_b64 exec, exec, s[0:1]
.LBB1370_19:
	s_or_b64 exec, exec, s[26:27]
	s_waitcnt lgkmcnt(0)
	s_barrier
	s_load_dword s0, s[24:25], 0x8
	v_lshlrev_b32_e32 v38, 2, v47
	v_add_u32_e32 v40, 0x1400, v38
	ds_read2_b32 v[38:39], v40 offset1:5
	ds_read2_b32 v[44:45], v40 offset0:10 offset1:15
	s_mul_i32 s1, s2, s38
	s_waitcnt lgkmcnt(0)
	s_mul_i32 s0, s1, s0
	s_mov_b32 s1, 0xff7fffff
	v_max3_f32 v42, v38, s1, v39
	v_max3_f32 v42, v42, v44, v45
	v_sub_f32_e32 v38, v38, v42
	v_mul_f32_e32 v38, 0x3fb8aa3b, v38
	v_exp_f32_e32 v43, v38
	v_sub_f32_e32 v38, v39, v42
	ds_read2_b32 v[48:49], v40 offset0:20 offset1:25
	v_mul_f32_e32 v38, 0x3fb8aa3b, v38
	v_exp_f32_e32 v50, v38
	ds_read2_b32 v[38:39], v40 offset0:30 offset1:35
	v_sub_f32_e32 v40, v44, v42
	v_mul_f32_e32 v40, 0x3fb8aa3b, v40
	v_sub_f32_e32 v44, v45, v42
	v_exp_f32_e32 v40, v40
	v_mul_f32_e32 v44, 0x3fb8aa3b, v44
	v_exp_f32_e32 v44, v44
	s_waitcnt lgkmcnt(1)
	v_fma_f32 v43, v43, v48, 0
	v_fmac_f32_e32 v43, v50, v49
	s_waitcnt lgkmcnt(0)
	v_fmac_f32_e32 v43, v40, v38
	s_mul_i32 s0, s0, 3
	v_fmac_f32_e32 v43, v44, v39
	v_cmp_ne_u32_e32 vcc, 3, v47
	s_and_saveexec_b64 s[2:3], vcc
	s_cbranch_execz .LBB1370_21
; %bb.20:
	s_mov_b32 s1, 0
	s_lshl_b64 s[4:5], s[0:1], 2
	s_add_u32 s12, s12, s4
	s_mov_b32 s21, s1
	s_addc_u32 s13, s13, s5
	s_lshl_b64 s[8:9], s[20:21], 2
	s_add_u32 s12, s12, s8
	s_addc_u32 s13, s13, s9
	s_add_u32 s1, s14, s4
	s_addc_u32 s5, s15, s5
	v_add_u32_e32 v38, s33, v47
	s_add_u32 s4, s1, s8
	v_mul_lo_u32 v38, s38, v38
	v_mov_b32_e32 v39, 0
	s_addc_u32 s5, s5, s9
	v_lshlrev_b64 v[38:39], 2, v[38:39]
	v_lshl_add_u64 v[44:45], s[12:13], 0, v[38:39]
	v_lshl_add_u64 v[38:39], s[4:5], 0, v[38:39]
	global_store_dword v[38:39], v42, off
	global_store_dword v[44:45], v43, off
.LBB1370_21:
	s_or_b64 exec, exec, s[2:3]
	v_lshlrev_b32_e32 v40, 3, v46
                                        ; implicit-def: $sgpr1
	s_and_saveexec_b64 s[2:3], s[6:7]
	s_xor_b64 s[2:3], exec, s[2:3]
	s_cbranch_execz .LBB1370_23
; %bb.22:
	s_waitcnt vmcnt(5)
	v_mov_b32_e32 v2, 0
	v_mad_u32_u24 v4, v1, 40, v40
	s_mov_b32 s1, 0
	v_mov_b32_e32 v3, v2
	ds_write_b64 v4, v[2:3]
                                        ; implicit-def: $vgpr37
                                        ; implicit-def: $vgpr35
                                        ; implicit-def: $vgpr41
                                        ; implicit-def: $vgpr26_vgpr27
                                        ; implicit-def: $vgpr10_vgpr11
                                        ; implicit-def: $vgpr30_vgpr31
                                        ; implicit-def: $vgpr18_vgpr19
                                        ; implicit-def: $vgpr6_vgpr7
                                        ; implicit-def: $vgpr2_vgpr3
                                        ; implicit-def: $vgpr22_vgpr23
                                        ; implicit-def: $vgpr14_vgpr15
                                        ; implicit-def: $vgpr42
                                        ; implicit-def: $vgpr43
.LBB1370_23:
	s_or_saveexec_b64 s[2:3], s[2:3]
	v_mov_b32_e32 v38, s1
	v_mov_b32_e32 v39, s1
	s_xor_b64 exec, exec, s[2:3]
	s_cbranch_execz .LBB1370_25
; %bb.24:
	v_add_f32_e32 v38, 0x358637bd, v43
	v_div_scale_f32 v39, s[4:5], v38, v38, 1.0
	v_rcp_f32_e32 v43, v39
	v_sub_f32_e32 v41, v41, v42
	v_mul_f32_e32 v41, 0x3fb8aa3b, v41
	v_exp_f32_e32 v41, v41
	v_fma_f32 v42, -v39, v43, 1.0
	v_fmac_f32_e32 v43, v42, v43
	v_div_scale_f32 v42, vcc, 1.0, v38, 1.0
	v_mul_f32_e32 v44, v42, v43
	v_fma_f32 v45, -v39, v44, v42
	v_fmac_f32_e32 v44, v45, v43
	v_fma_f32 v39, -v39, v44, v42
	v_div_fmas_f32 v39, v39, v43, v44
	v_div_fixup_f32 v38, v39, v38, 1.0
	v_mul_f32_e32 v38, v41, v38
	v_pk_mul_f32 v[34:35], v[34:35], v[38:39] op_sel_hi:[1,0]
	v_pk_mul_f32 v[36:37], v[36:37], v[38:39] op_sel_hi:[1,0]
	v_bfe_u32 v38, v35, 16, 1
	v_bfe_u32 v39, v34, 16, 1
	s_movk_i32 s1, 0x7fff
	v_add3_u32 v34, v34, v39, s1
	v_add3_u32 v35, v35, v38, s1
	s_mov_b32 s5, 0x7060302
	v_perm_b32 v34, v35, v34, s5
	v_bfe_u32 v35, v37, 16, 1
	v_bfe_u32 v38, v36, 16, 1
	v_add3_u32 v36, v36, v38, s1
	v_add3_u32 v35, v37, v35, s1
	v_perm_b32 v35, v35, v36, s5
	s_waitcnt vmcnt(6)
	v_cvt_pk_f32_fp8_e32 v[36:37], v26
	v_cvt_pk_f32_fp8_sdwa v[38:39], v26 src0_sel:WORD_1
	v_cvt_pk_f32_fp8_e32 v[42:43], v27
	v_cvt_pk_f32_fp8_sdwa v[26:27], v27 src0_sel:WORD_1
	v_perm_b32 v36, v37, v36, s5
	v_perm_b32 v37, v39, v38, s5
	;; [unrolled: 1-line block ×4, first 2 shown]
	v_mfma_f32_4x4x4_16b_bf16 a[0:3], v[34:35], v[36:37], 0 cbsz:4
	v_cvt_pk_f32_fp8_e32 v[26:27], v28
	v_cvt_pk_f32_fp8_sdwa v[36:37], v28 src0_sel:WORD_1
	v_mfma_f32_4x4x4_16b_bf16 a[0:3], v[34:35], v[38:39], a[0:3] cbsz:4 abid:1
	v_cvt_pk_f32_fp8_e32 v[38:39], v29
	v_cvt_pk_f32_fp8_sdwa v[28:29], v29 src0_sel:WORD_1
	v_perm_b32 v26, v27, v26, s5
	v_perm_b32 v27, v37, v36, s5
	v_perm_b32 v36, v39, v38, s5
	v_perm_b32 v37, v29, v28, s5
	v_mfma_f32_4x4x4_16b_bf16 a[0:3], v[34:35], v[26:27], a[0:3] cbsz:4 abid:2
	v_cvt_pk_f32_fp8_e32 v[26:27], v10
	v_cvt_pk_f32_fp8_sdwa v[28:29], v10 src0_sel:WORD_1
	v_mfma_f32_4x4x4_16b_bf16 a[0:3], v[34:35], v[36:37], a[0:3] cbsz:4 abid:3
	v_cvt_pk_f32_fp8_e32 v[36:37], v11
	v_cvt_pk_f32_fp8_sdwa v[10:11], v11 src0_sel:WORD_1
	v_perm_b32 v26, v27, v26, s5
	v_perm_b32 v27, v29, v28, s5
	v_perm_b32 v28, v37, v36, s5
	v_perm_b32 v29, v11, v10, s5
	v_mfma_f32_4x4x4_16b_bf16 a[0:3], v[34:35], v[26:27], a[0:3] cbsz:4 abid:4
	;; [unrolled: 10-line block ×3, first 2 shown]
	s_waitcnt vmcnt(2)
	v_cvt_pk_f32_fp8_e32 v[10:11], v30
	v_cvt_pk_f32_fp8_sdwa v[12:13], v30 src0_sel:WORD_1
	v_mfma_f32_4x4x4_16b_bf16 a[0:3], v[34:35], v[26:27], a[0:3] cbsz:4 abid:7
	v_cvt_pk_f32_fp8_e32 v[26:27], v31
	v_cvt_pk_f32_fp8_sdwa v[28:29], v31 src0_sel:WORD_1
	v_perm_b32 v10, v11, v10, s5
	v_perm_b32 v11, v13, v12, s5
	;; [unrolled: 1-line block ×4, first 2 shown]
	v_mfma_f32_4x4x4_16b_bf16 a[0:3], v[34:35], v[10:11], a[0:3] cbsz:4 abid:8
	v_cvt_pk_f32_fp8_e32 v[10:11], v32
	v_cvt_pk_f32_fp8_e32 v[26:27], v33
	v_mfma_f32_4x4x4_16b_bf16 a[0:3], v[34:35], v[12:13], a[0:3] cbsz:4 abid:9
	v_cvt_pk_f32_fp8_sdwa v[12:13], v32 src0_sel:WORD_1
	v_cvt_pk_f32_fp8_sdwa v[28:29], v33 src0_sel:WORD_1
	v_perm_b32 v10, v11, v10, s5
	s_load_dword s4, s[10:11], 0x0
	v_perm_b32 v11, v13, v12, s5
	v_perm_b32 v12, v27, v26, s5
	;; [unrolled: 1-line block ×3, first 2 shown]
	v_mfma_f32_4x4x4_16b_bf16 a[0:3], v[34:35], v[10:11], a[0:3] cbsz:4 abid:10
	v_cvt_pk_f32_fp8_e32 v[10:11], v18
	v_cvt_pk_f32_fp8_e32 v[26:27], v19
	v_mfma_f32_4x4x4_16b_bf16 a[0:3], v[34:35], v[12:13], a[0:3] cbsz:4 abid:11
	v_cvt_pk_f32_fp8_sdwa v[12:13], v18 src0_sel:WORD_1
	v_cvt_pk_f32_fp8_sdwa v[18:19], v19 src0_sel:WORD_1
	v_perm_b32 v10, v11, v10, s5
	v_perm_b32 v11, v13, v12, s5
	;; [unrolled: 1-line block ×3, first 2 shown]
	s_nop 0
	v_mfma_f32_4x4x4_16b_bf16 a[0:3], v[34:35], v[10:11], a[0:3] cbsz:4 abid:12
	v_perm_b32 v13, v19, v18, s5
	v_cvt_pk_f32_fp8_e32 v[10:11], v20
	v_cvt_pk_f32_fp8_e32 v[18:19], v21
	v_mfma_f32_4x4x4_16b_bf16 a[0:3], v[34:35], v[12:13], a[0:3] cbsz:4 abid:13
	v_cvt_pk_f32_fp8_sdwa v[12:13], v20 src0_sel:WORD_1
	v_cvt_pk_f32_fp8_sdwa v[20:21], v21 src0_sel:WORD_1
	v_perm_b32 v10, v11, v10, s5
	v_perm_b32 v11, v13, v12, s5
	;; [unrolled: 1-line block ×3, first 2 shown]
	s_nop 0
	v_mfma_f32_4x4x4_16b_bf16 a[0:3], v[34:35], v[10:11], a[0:3] cbsz:4 abid:14
	v_perm_b32 v13, v21, v20, s5
	s_nop 1
	v_mfma_f32_4x4x4_16b_bf16 a[0:3], v[34:35], v[12:13], a[0:3] cbsz:4 abid:15
	s_nop 4
	v_accvgpr_read_b32 v13, a1
	v_accvgpr_read_b32 v12, a0
	s_waitcnt lgkmcnt(0)
	v_pk_mul_f32 v[12:13], v[12:13], s[4:5] op_sel_hi:[1,0]
	v_accvgpr_read_b32 v11, a3
	v_accvgpr_read_b32 v10, a2
	v_bfe_u32 v18, v13, 16, 1
	v_bfe_u32 v19, v12, 16, 1
	v_pk_mul_f32 v[10:11], v[10:11], s[4:5] op_sel_hi:[1,0]
	v_add3_u32 v12, v12, v19, s1
	v_add3_u32 v13, v13, v18, s1
	v_perm_b32 v12, v13, v12, s5
	v_bfe_u32 v13, v11, 16, 1
	v_bfe_u32 v18, v10, 16, 1
	v_add3_u32 v10, v10, v18, s1
	v_add3_u32 v11, v11, v13, s1
	v_perm_b32 v13, v11, v10, s5
	v_mad_u32_u24 v10, v1, 40, v40
	ds_write_b64 v10, v[12:13]
	v_cvt_pk_f32_fp8_e32 v[10:11], v6
	v_cvt_pk_f32_fp8_sdwa v[12:13], v6 src0_sel:WORD_1
	v_cvt_pk_f32_fp8_e32 v[18:19], v7
	v_cvt_pk_f32_fp8_sdwa v[6:7], v7 src0_sel:WORD_1
	v_perm_b32 v10, v11, v10, s5
	v_perm_b32 v11, v13, v12, s5
	;; [unrolled: 1-line block ×4, first 2 shown]
	v_mfma_f32_4x4x4_16b_bf16 a[0:3], v[34:35], v[10:11], 0 cbsz:4
	v_cvt_pk_f32_fp8_e32 v[6:7], v8
	v_cvt_pk_f32_fp8_sdwa v[10:11], v8 src0_sel:WORD_1
	v_mfma_f32_4x4x4_16b_bf16 a[0:3], v[34:35], v[12:13], a[0:3] cbsz:4 abid:1
	v_cvt_pk_f32_fp8_e32 v[12:13], v9
	v_cvt_pk_f32_fp8_sdwa v[8:9], v9 src0_sel:WORD_1
	v_perm_b32 v6, v7, v6, s5
	v_perm_b32 v7, v11, v10, s5
	v_perm_b32 v10, v13, v12, s5
	v_perm_b32 v11, v9, v8, s5
	v_mfma_f32_4x4x4_16b_bf16 a[0:3], v[34:35], v[6:7], a[0:3] cbsz:4 abid:2
	v_cvt_pk_f32_fp8_e32 v[6:7], v2
	v_cvt_pk_f32_fp8_sdwa v[8:9], v2 src0_sel:WORD_1
	v_mfma_f32_4x4x4_16b_bf16 a[0:3], v[34:35], v[10:11], a[0:3] cbsz:4 abid:3
	v_cvt_pk_f32_fp8_e32 v[10:11], v3
	v_cvt_pk_f32_fp8_sdwa v[2:3], v3 src0_sel:WORD_1
	v_perm_b32 v6, v7, v6, s5
	v_perm_b32 v7, v9, v8, s5
	v_perm_b32 v8, v11, v10, s5
	v_perm_b32 v9, v3, v2, s5
	v_mfma_f32_4x4x4_16b_bf16 a[0:3], v[34:35], v[6:7], a[0:3] cbsz:4 abid:4
	;; [unrolled: 10-line block ×3, first 2 shown]
	s_waitcnt vmcnt(0)
	v_cvt_pk_f32_fp8_e32 v[2:3], v22
	v_cvt_pk_f32_fp8_sdwa v[4:5], v22 src0_sel:WORD_1
	v_mfma_f32_4x4x4_16b_bf16 a[0:3], v[34:35], v[6:7], a[0:3] cbsz:4 abid:7
	v_cvt_pk_f32_fp8_e32 v[6:7], v23
	v_cvt_pk_f32_fp8_sdwa v[8:9], v23 src0_sel:WORD_1
	v_perm_b32 v2, v3, v2, s5
	v_perm_b32 v3, v5, v4, s5
	;; [unrolled: 1-line block ×4, first 2 shown]
	v_mfma_f32_4x4x4_16b_bf16 a[0:3], v[34:35], v[2:3], a[0:3] cbsz:4 abid:8
	v_cvt_pk_f32_fp8_e32 v[2:3], v24
	v_cvt_pk_f32_fp8_e32 v[6:7], v25
	v_mfma_f32_4x4x4_16b_bf16 a[0:3], v[34:35], v[4:5], a[0:3] cbsz:4 abid:9
	v_cvt_pk_f32_fp8_sdwa v[4:5], v24 src0_sel:WORD_1
	v_cvt_pk_f32_fp8_sdwa v[8:9], v25 src0_sel:WORD_1
	v_perm_b32 v2, v3, v2, s5
	v_perm_b32 v3, v5, v4, s5
	v_perm_b32 v4, v7, v6, s5
	s_nop 0
	v_mfma_f32_4x4x4_16b_bf16 a[0:3], v[34:35], v[2:3], a[0:3] cbsz:4 abid:10
	v_perm_b32 v5, v9, v8, s5
	v_cvt_pk_f32_fp8_e32 v[2:3], v14
	v_cvt_pk_f32_fp8_e32 v[6:7], v15
	v_mfma_f32_4x4x4_16b_bf16 a[0:3], v[34:35], v[4:5], a[0:3] cbsz:4 abid:11
	v_cvt_pk_f32_fp8_sdwa v[4:5], v14 src0_sel:WORD_1
	v_cvt_pk_f32_fp8_sdwa v[8:9], v15 src0_sel:WORD_1
	v_perm_b32 v2, v3, v2, s5
	v_perm_b32 v3, v5, v4, s5
	v_perm_b32 v4, v7, v6, s5
	s_nop 0
	v_mfma_f32_4x4x4_16b_bf16 a[0:3], v[34:35], v[2:3], a[0:3] cbsz:4 abid:12
	v_perm_b32 v5, v9, v8, s5
	;; [unrolled: 11-line block ×3, first 2 shown]
	s_nop 1
	v_mfma_f32_4x4x4_16b_bf16 a[0:3], v[34:35], v[4:5], a[0:3] cbsz:4 abid:15
	s_nop 4
	v_accvgpr_read_b32 v5, a1
	v_accvgpr_read_b32 v4, a0
	;; [unrolled: 1-line block ×4, first 2 shown]
	v_pk_mul_f32 v[4:5], v[4:5], s[4:5] op_sel_hi:[1,0]
	v_pk_mul_f32 v[2:3], v[2:3], s[4:5] op_sel_hi:[1,0]
	v_bfe_u32 v6, v5, 16, 1
	v_bfe_u32 v7, v4, 16, 1
	v_add3_u32 v4, v4, v7, s1
	v_add3_u32 v5, v5, v6, s1
	v_bfe_u32 v6, v3, 16, 1
	v_bfe_u32 v7, v2, 16, 1
	v_add3_u32 v2, v2, v7, s1
	v_add3_u32 v3, v3, v6, s1
	v_perm_b32 v39, v3, v2, s5
	v_perm_b32 v38, v5, v4, s5
.LBB1370_25:
	s_or_b64 exec, exec, s[2:3]
	s_waitcnt vmcnt(5)
	v_mad_u32_u24 v2, v1, 40, v40
	v_cmp_gt_u32_e32 vcc, 64, v0
	ds_write_b64 v2, v[38:39] offset:2560
	s_waitcnt lgkmcnt(0)
	s_barrier
	s_and_saveexec_b64 s[2:3], vcc
	s_cbranch_execz .LBB1370_27
; %bb.26:
	s_waitcnt vmcnt(4)
	v_mul_u32_u24_e32 v6, 40, v1
	ds_read2_b64 v[2:5], v6 offset1:1
	ds_read2_b64 v[6:9], v6 offset0:2 offset1:3
	s_mov_b32 s1, 0
	s_lshl_b32 s0, s0, 7
	s_lshl_b64 s[2:3], s[0:1], 1
	s_waitcnt lgkmcnt(1)
	v_and_b32_e32 v10, 0xffff0000, v2
	v_lshlrev_b32_e32 v3, 16, v3
	v_add_f32_e32 v10, 0, v10
	v_add_f32_e32 v3, 0, v3
	v_and_b32_e32 v10, 0xffff0000, v10
	v_and_b32_e32 v11, 0xffff0000, v4
	;; [unrolled: 1-line block ×3, first 2 shown]
	v_add_f32_e32 v10, v10, v11
	v_lshlrev_b32_e32 v5, 16, v5
	v_and_b32_e32 v10, 0xffff0000, v10
	v_add_f32_e32 v3, v3, v5
	s_waitcnt lgkmcnt(0)
	v_and_b32_e32 v5, 0xffff0000, v6
	v_and_b32_e32 v3, 0xffff0000, v3
	v_add_f32_e32 v5, v10, v5
	v_lshlrev_b32_e32 v7, 16, v7
	v_and_b32_e32 v5, 0xffff0000, v5
	v_add_f32_e32 v3, v3, v7
	v_and_b32_e32 v7, 0xffff0000, v8
	s_waitcnt vmcnt(3)
	v_add_f32_e32 v18, v5, v7
	v_mov_b32_e32 v7, 0xa00
	v_mad_u32_u24 v7, v1, 40, v7
	ds_read2_b64 v[10:13], v7 offset1:1
	v_and_b32_e32 v3, 0xffff0000, v3
	v_lshlrev_b32_e32 v5, 16, v9
	v_add_f32_e32 v9, v3, v5
	v_mov_b32_e32 v3, 0xa10
	v_mad_u32_u24 v1, v1, 40, v3
	s_waitcnt vmcnt(1)
	ds_read2_b64 v[14:17], v1 offset1:1
	s_waitcnt lgkmcnt(1)
	v_lshlrev_b32_e32 v1, 16, v10
	v_add_f32_e32 v1, 0, v1
	v_and_b32_e32 v3, 0xffff0000, v10
	v_and_b32_e32 v1, 0xffff0000, v1
	v_add_f32_e32 v3, 0, v3
	v_lshlrev_b32_e32 v5, 16, v11
	v_lshlrev_b32_e32 v7, 16, v12
	v_and_b32_e32 v3, 0xffff0000, v3
	v_add_f32_e32 v5, 0, v5
	v_add_f32_e32 v1, v1, v7
	v_and_b32_e32 v7, 0xffff0000, v12
	v_and_b32_e32 v5, 0xffff0000, v5
	v_add_f32_e32 v3, v3, v7
	v_lshlrev_b32_e32 v7, 16, v13
	v_and_b32_e32 v1, 0xffff0000, v1
	v_add_f32_e32 v5, v5, v7
	s_waitcnt lgkmcnt(0)
	v_lshlrev_b32_e32 v7, 16, v14
	v_and_b32_e32 v3, 0xffff0000, v3
	v_add_f32_e32 v1, v1, v7
	v_and_b32_e32 v7, 0xffff0000, v14
	v_and_b32_e32 v5, 0xffff0000, v5
	v_add_f32_e32 v3, v3, v7
	v_lshlrev_b32_e32 v7, 16, v15
	v_and_b32_e32 v1, 0xffff0000, v1
	v_add_f32_e32 v5, v5, v7
	v_lshlrev_b32_e32 v7, 16, v16
	v_and_b32_e32 v3, 0xffff0000, v3
	v_add_f32_e32 v10, v1, v7
	v_and_b32_e32 v1, 0xffff0000, v16
	v_and_b32_e32 v5, 0xffff0000, v5
	v_add_f32_e32 v11, v3, v1
	v_lshlrev_b32_e32 v1, 16, v17
	v_add_f32_e32 v12, v5, v1
	v_lshlrev_b32_e32 v1, 16, v2
	s_add_u32 s2, s22, s2
	v_add_f32_e32 v1, 0, v1
	s_addc_u32 s3, s23, s3
	s_lshl_b32 s0, s20, 7
	v_and_b32_e32 v1, 0xffff0000, v1
	v_lshlrev_b32_e32 v2, 16, v4
	s_lshl_b64 s[0:1], s[0:1], 1
	v_add_f32_e32 v1, v1, v2
	s_add_u32 s0, s2, s0
	v_and_b32_e32 v1, 0xffff0000, v1
	v_lshlrev_b32_e32 v2, 16, v6
	s_addc_u32 s1, s3, s1
	s_lshl_b32 s2, s38, 7
	v_add_f32_e32 v1, v1, v2
	v_and_b32_e32 v1, 0xffff0000, v1
	v_lshlrev_b32_e32 v2, 16, v8
	s_mul_i32 s3, s2, s33
	v_add_f32_e32 v1, v1, v2
	v_or_b32_e32 v2, s3, v0
	v_mov_b32_e32 v3, 0
	s_add_i32 s3, s3, s2
	v_lshl_add_u64 v[4:5], v[2:3], 1, s[0:1]
	v_or_b32_e32 v2, s3, v0
	s_add_i32 s3, s3, s2
	v_lshl_add_u64 v[6:7], v[2:3], 1, s[0:1]
	v_or_b32_e32 v2, s3, v0
	global_store_short_d16_hi v[4:5], v1, off
	v_lshl_add_u64 v[0:1], v[2:3], 1, s[0:1]
	global_store_short_d16_hi v[6:7], v18, off
	global_store_short_d16_hi v[0:1], v9, off
	global_store_short_d16_hi v[4:5], v10, off offset:128
	global_store_short_d16_hi v[6:7], v11, off offset:128
	;; [unrolled: 1-line block ×3, first 2 shown]
.LBB1370_27:
	s_endpgm
	.section	.rodata,"a",@progbits
	.p2align	6, 0x0
	.amdhsa_kernel _Z38paged_attention_ll4mi_QKV_mfma4_kernelI14__hip_bfloat16hLN4vllm18Fp8KVCacheDataTypeE1ES0_Li32ELi128ELi256ELb1ELi3EEvPKT_PKT0_S8_ifPKiSA_SA_iPKfiiiPfSD_PS3_PT2_iSC_SC_
		.amdhsa_group_segment_fixed_size 5280
		.amdhsa_private_segment_fixed_size 0
		.amdhsa_kernarg_size 400
		.amdhsa_user_sgpr_count 2
		.amdhsa_user_sgpr_dispatch_ptr 0
		.amdhsa_user_sgpr_queue_ptr 0
		.amdhsa_user_sgpr_kernarg_segment_ptr 1
		.amdhsa_user_sgpr_dispatch_id 0
		.amdhsa_user_sgpr_kernarg_preload_length 0
		.amdhsa_user_sgpr_kernarg_preload_offset 0
		.amdhsa_user_sgpr_private_segment_size 0
		.amdhsa_uses_dynamic_stack 0
		.amdhsa_enable_private_segment 0
		.amdhsa_system_sgpr_workgroup_id_x 1
		.amdhsa_system_sgpr_workgroup_id_y 1
		.amdhsa_system_sgpr_workgroup_id_z 1
		.amdhsa_system_sgpr_workgroup_info 0
		.amdhsa_system_vgpr_workitem_id 0
		.amdhsa_next_free_vgpr 60
		.amdhsa_next_free_sgpr 44
		.amdhsa_accum_offset 56
		.amdhsa_reserve_vcc 1
		.amdhsa_float_round_mode_32 0
		.amdhsa_float_round_mode_16_64 0
		.amdhsa_float_denorm_mode_32 3
		.amdhsa_float_denorm_mode_16_64 3
		.amdhsa_dx10_clamp 1
		.amdhsa_ieee_mode 1
		.amdhsa_fp16_overflow 0
		.amdhsa_tg_split 0
		.amdhsa_exception_fp_ieee_invalid_op 0
		.amdhsa_exception_fp_denorm_src 0
		.amdhsa_exception_fp_ieee_div_zero 0
		.amdhsa_exception_fp_ieee_overflow 0
		.amdhsa_exception_fp_ieee_underflow 0
		.amdhsa_exception_fp_ieee_inexact 0
		.amdhsa_exception_int_div_zero 0
	.end_amdhsa_kernel
	.section	.text._Z38paged_attention_ll4mi_QKV_mfma4_kernelI14__hip_bfloat16hLN4vllm18Fp8KVCacheDataTypeE1ES0_Li32ELi128ELi256ELb1ELi3EEvPKT_PKT0_S8_ifPKiSA_SA_iPKfiiiPfSD_PS3_PT2_iSC_SC_,"axG",@progbits,_Z38paged_attention_ll4mi_QKV_mfma4_kernelI14__hip_bfloat16hLN4vllm18Fp8KVCacheDataTypeE1ES0_Li32ELi128ELi256ELb1ELi3EEvPKT_PKT0_S8_ifPKiSA_SA_iPKfiiiPfSD_PS3_PT2_iSC_SC_,comdat
.Lfunc_end1370:
	.size	_Z38paged_attention_ll4mi_QKV_mfma4_kernelI14__hip_bfloat16hLN4vllm18Fp8KVCacheDataTypeE1ES0_Li32ELi128ELi256ELb1ELi3EEvPKT_PKT0_S8_ifPKiSA_SA_iPKfiiiPfSD_PS3_PT2_iSC_SC_, .Lfunc_end1370-_Z38paged_attention_ll4mi_QKV_mfma4_kernelI14__hip_bfloat16hLN4vllm18Fp8KVCacheDataTypeE1ES0_Li32ELi128ELi256ELb1ELi3EEvPKT_PKT0_S8_ifPKiSA_SA_iPKfiiiPfSD_PS3_PT2_iSC_SC_
                                        ; -- End function
	.section	.AMDGPU.csdata,"",@progbits
; Kernel info:
; codeLenInByte = 5836
; NumSgprs: 50
; NumVgprs: 56
; NumAgprs: 4
; TotalNumVgprs: 60
; ScratchSize: 0
; MemoryBound: 0
; FloatMode: 240
; IeeeMode: 1
; LDSByteSize: 5280 bytes/workgroup (compile time only)
; SGPRBlocks: 6
; VGPRBlocks: 7
; NumSGPRsForWavesPerEU: 50
; NumVGPRsForWavesPerEU: 60
; AccumOffset: 56
; Occupancy: 8
; WaveLimiterHint : 1
; COMPUTE_PGM_RSRC2:SCRATCH_EN: 0
; COMPUTE_PGM_RSRC2:USER_SGPR: 2
; COMPUTE_PGM_RSRC2:TRAP_HANDLER: 0
; COMPUTE_PGM_RSRC2:TGID_X_EN: 1
; COMPUTE_PGM_RSRC2:TGID_Y_EN: 1
; COMPUTE_PGM_RSRC2:TGID_Z_EN: 1
; COMPUTE_PGM_RSRC2:TIDIG_COMP_CNT: 0
; COMPUTE_PGM_RSRC3_GFX90A:ACCUM_OFFSET: 13
; COMPUTE_PGM_RSRC3_GFX90A:TG_SPLIT: 0
	.section	.text._Z38paged_attention_ll4mi_QKV_mfma4_kernelI14__hip_bfloat16hLN4vllm18Fp8KVCacheDataTypeE1ES0_Li32ELi128ELi256ELb1ELi4EEvPKT_PKT0_S8_ifPKiSA_SA_iPKfiiiPfSD_PS3_PT2_iSC_SC_,"axG",@progbits,_Z38paged_attention_ll4mi_QKV_mfma4_kernelI14__hip_bfloat16hLN4vllm18Fp8KVCacheDataTypeE1ES0_Li32ELi128ELi256ELb1ELi4EEvPKT_PKT0_S8_ifPKiSA_SA_iPKfiiiPfSD_PS3_PT2_iSC_SC_,comdat
	.protected	_Z38paged_attention_ll4mi_QKV_mfma4_kernelI14__hip_bfloat16hLN4vllm18Fp8KVCacheDataTypeE1ES0_Li32ELi128ELi256ELb1ELi4EEvPKT_PKT0_S8_ifPKiSA_SA_iPKfiiiPfSD_PS3_PT2_iSC_SC_ ; -- Begin function _Z38paged_attention_ll4mi_QKV_mfma4_kernelI14__hip_bfloat16hLN4vllm18Fp8KVCacheDataTypeE1ES0_Li32ELi128ELi256ELb1ELi4EEvPKT_PKT0_S8_ifPKiSA_SA_iPKfiiiPfSD_PS3_PT2_iSC_SC_
	.globl	_Z38paged_attention_ll4mi_QKV_mfma4_kernelI14__hip_bfloat16hLN4vllm18Fp8KVCacheDataTypeE1ES0_Li32ELi128ELi256ELb1ELi4EEvPKT_PKT0_S8_ifPKiSA_SA_iPKfiiiPfSD_PS3_PT2_iSC_SC_
	.p2align	8
	.type	_Z38paged_attention_ll4mi_QKV_mfma4_kernelI14__hip_bfloat16hLN4vllm18Fp8KVCacheDataTypeE1ES0_Li32ELi128ELi256ELb1ELi4EEvPKT_PKT0_S8_ifPKiSA_SA_iPKfiiiPfSD_PS3_PT2_iSC_SC_,@function
_Z38paged_attention_ll4mi_QKV_mfma4_kernelI14__hip_bfloat16hLN4vllm18Fp8KVCacheDataTypeE1ES0_Li32ELi128ELi256ELb1ELi4EEvPKT_PKT0_S8_ifPKiSA_SA_iPKfiiiPfSD_PS3_PT2_iSC_SC_: ; @_Z38paged_attention_ll4mi_QKV_mfma4_kernelI14__hip_bfloat16hLN4vllm18Fp8KVCacheDataTypeE1ES0_Li32ELi128ELi256ELb1ELi4EEvPKT_PKT0_S8_ifPKiSA_SA_iPKfiiiPfSD_PS3_PT2_iSC_SC_
; %bb.0:
	s_load_dwordx2 s[16:17], s[0:1], 0x30
	s_mov_b32 s24, s3
	s_mov_b64 s[6:7], 0
	s_waitcnt lgkmcnt(0)
	s_cmp_lg_u64 s[16:17], 0
	s_cselect_b64 s[18:19], -1, 0
	s_and_b64 vcc, exec, s[18:19]
	s_cbranch_vccz .LBB1371_20
; %bb.1:
	s_add_i32 s8, s2, 1
	s_mov_b32 s9, 0
	s_lshl_b64 s[10:11], s[8:9], 2
	s_add_u32 s10, s16, s10
	s_mov_b32 s3, s9
	s_addc_u32 s11, s17, s11
	s_lshl_b64 s[8:9], s[2:3], 2
	s_add_u32 s8, s16, s8
	s_addc_u32 s9, s17, s9
	s_load_dword s5, s[10:11], 0x0
	s_load_dword s12, s[8:9], 0x0
	s_mov_b64 s[34:35], s[2:3]
	s_waitcnt lgkmcnt(0)
	s_sub_i32 s5, s5, s12
	s_cmp_eq_u32 s5, 1
	s_cselect_b64 s[8:9], -1, 0
	s_andn2_b64 vcc, exec, s[6:7]
	s_cbranch_vccnz .LBB1371_3
.LBB1371_2:
	s_mov_b32 s3, 0
	s_mov_b64 s[8:9], -1
	s_mov_b64 s[34:35], s[2:3]
.LBB1371_3:
	s_andn2_b64 vcc, exec, s[8:9]
	s_cbranch_vccnz .LBB1371_19
; %bb.4:
	s_load_dword s3, s[0:1], 0x9c
	s_load_dwordx2 s[6:7], s[0:1], 0x28
	s_add_u32 s28, s0, 0x90
	s_addc_u32 s29, s1, 0
	s_lshl_b64 s[42:43], s[34:35], 2
	s_waitcnt lgkmcnt(0)
	s_and_b32 s5, s3, 0xffff
	s_add_u32 s6, s6, s42
	s_addc_u32 s7, s7, s43
	s_load_dword s3, s[6:7], 0x0
	s_mul_i32 s5, s24, s5
	s_waitcnt lgkmcnt(0)
	s_cmp_ge_i32 s5, s3
	s_cbranch_scc1 .LBB1371_19
; %bb.5:
	v_and_b32_e32 v1, 0xc0, v0
	v_and_b32_e32 v41, 3, v0
	s_lshl_b32 s33, s4, 2
	v_add_u32_e32 v4, s5, v1
	v_lshrrev_b32_e32 v40, 6, v0
	v_cmp_le_i32_e64 s[6:7], s3, v4
	v_or_b32_e32 v34, s33, v41
                                        ; implicit-def: $sgpr21
                                        ; implicit-def: $sgpr20
	s_and_saveexec_b64 s[8:9], s[6:7]
	s_xor_b64 s[8:9], exec, s[8:9]
	s_cbranch_execz .LBB1371_7
; %bb.6:
	v_mul_u32_u24_e32 v1, 20, v40
	v_or_b32_e32 v1, 0x1400, v1
	v_mov_b32_e32 v2, 0x1450
	v_mov_b32_e32 v3, 0xff7fffff
	v_mad_u32_u24 v2, v40, 20, v2
	ds_write2_b32 v1, v3, v3 offset1:1
	v_mov_b32_e32 v1, 0
	ds_write2_b32 v2, v1, v1 offset1:1
	v_mov_b32_e32 v2, 0x1408
	v_mov_b32_e32 v4, 0x1458
	s_mov_b32 s20, 0xff7fffff
	s_mov_b32 s21, 0
	v_mad_u32_u24 v2, v40, 20, v2
	v_mad_u32_u24 v4, v40, 20, v4
	v_or_b32_e32 v34, s33, v41
	ds_write2_b32 v2, v3, v3 offset1:1
	ds_write2_b32 v4, v1, v1 offset1:1
                                        ; implicit-def: $vgpr4
.LBB1371_7:
	s_or_saveexec_b64 s[30:31], s[8:9]
	s_load_dwordx2 s[26:27], s[0:1], 0x68
	s_load_dwordx4 s[12:15], s[0:1], 0x58
	s_load_dword s44, s[28:29], 0x4
	s_load_dwordx4 s[8:11], s[0:1], 0x80
	v_and_b32_e32 v1, 63, v0
	v_mov_b32_e32 v39, s21
	v_mov_b32_e32 v42, s20
	;; [unrolled: 1-line block ×5, first 2 shown]
                                        ; implicit-def: $vgpr30_vgpr31
                                        ; implicit-def: $vgpr22_vgpr23
                                        ; implicit-def: $vgpr26_vgpr27
                                        ; implicit-def: $vgpr18_vgpr19
                                        ; implicit-def: $vgpr10_vgpr11
                                        ; implicit-def: $vgpr2_vgpr3
                                        ; implicit-def: $vgpr14_vgpr15
                                        ; implicit-def: $vgpr6_vgpr7
	s_xor_b64 exec, exec, s[30:31]
	s_cbranch_execz .LBB1371_13
; %bb.8:
	s_load_dwordx2 s[20:21], s[0:1], 0x20
	s_load_dword s22, s[0:1], 0x38
	s_add_i32 s23, s3, 31
	s_ashr_i32 s25, s23, 31
	s_lshr_b32 s25, s25, 27
	v_add_u32_e32 v36, s5, v0
	s_add_i32 s23, s23, s25
	v_ashrrev_i32_e32 v2, 31, v36
	s_ashr_i32 s23, s23, 5
	v_lshrrev_b32_e32 v2, 27, v2
	s_add_i32 s25, s23, -1
	s_waitcnt lgkmcnt(0)
	s_mul_i32 s36, s2, s22
	s_mov_b32 s37, 0
	v_add_u32_e32 v2, v36, v2
	s_lshl_b64 s[22:23], s[36:37], 2
	v_ashrrev_i32_e32 v2, 5, v2
	v_mov_b32_e32 v3, s25
	v_cmp_gt_i32_e32 vcc, s3, v36
	s_add_u32 s20, s20, s22
	s_addc_u32 s21, s21, s23
	v_cndmask_b32_e32 v2, v3, v2, vcc
	v_ashrrev_i32_e32 v3, 31, v2
	v_lshl_add_u64 v[6:7], v[2:3], 2, s[20:21]
	v_ashrrev_i32_e32 v2, 31, v4
	v_lshrrev_b32_e32 v2, 27, v2
	v_add_u32_e32 v2, v4, v2
	v_ashrrev_i32_e32 v4, 5, v2
	v_min_i32_e32 v2, s25, v4
	v_ashrrev_i32_e32 v3, 31, v2
	v_lshl_add_u64 v[8:9], v[2:3], 2, s[20:21]
	v_add_u32_e32 v2, 1, v4
	v_min_i32_e32 v2, s25, v2
	v_ashrrev_i32_e32 v3, 31, v2
	v_lshl_add_u64 v[10:11], v[2:3], 2, s[20:21]
	global_load_dword v4, v[6:7], off
	global_load_dword v2, v[8:9], off
	;; [unrolled: 1-line block ×3, first 2 shown]
	s_load_dwordx2 s[40:41], s[0:1], 0x40
	s_load_dwordx4 s[20:23], s[0:1], 0x0
	s_load_dwordx2 s[38:39], s[0:1], 0x10
	s_andn2_b64 vcc, exec, s[18:19]
	s_cbranch_vccnz .LBB1371_10
; %bb.9:
	s_add_u32 s16, s16, s42
	s_addc_u32 s17, s17, s43
	s_load_dword s36, s[16:17], 0x0
	s_waitcnt lgkmcnt(0)
	s_mov_b64 s[34:35], s[36:37]
.LBB1371_10:
	s_load_dwordx4 s[16:19], s[0:1], 0x48
	s_load_dword s5, s[0:1], 0x1c
	v_mov_b32_e32 v17, 0
	v_mov_b32_e32 v35, v17
	s_waitcnt lgkmcnt(0)
	v_lshl_add_u64 v[22:23], v[34:35], 2, s[40:41]
	s_ashr_i32 s1, s16, 31
	s_mul_hi_u32 s19, s34, s16
	s_mul_i32 s1, s34, s1
	s_mul_i32 s25, s35, s16
	s_add_i32 s1, s19, s1
	s_mul_i32 s0, s34, s16
	s_add_i32 s1, s1, s25
	s_lshl_b64 s[0:1], s[0:1], 1
	s_add_u32 s16, s20, s0
	s_addc_u32 s19, s21, s1
	s_lshl_b32 s36, s4, 9
	s_lshl_b64 s[0:1], s[36:37], 1
	s_add_u32 s0, s16, s0
	s_addc_u32 s1, s19, s1
	s_mul_i32 s4, s4, s18
	s_add_u32 s18, s4, s22
	s_addc_u32 s19, 0, s23
	v_mov_b64_e32 v[6:7], s[18:19]
	s_waitcnt vmcnt(2)
	v_mad_i64_i32 v[4:5], s[18:19], v4, s17, v[6:7]
	v_lshlrev_b32_e32 v6, 4, v0
	v_and_b32_e32 v16, 0x1f0, v6
	v_lshl_add_u64 v[18:19], v[4:5], 0, v[16:17]
	global_load_dwordx4 v[4:7], v[18:19], off
	global_load_dwordx4 v[8:11], v[18:19], off offset:512
	global_load_dwordx4 v[12:15], v[18:19], off offset:1024
	v_lshlrev_b32_e32 v16, 2, v1
	v_and_b32_e32 v16, 0xf0, v16
	v_lshl_or_b32 v16, v41, 8, v16
	global_load_dwordx4 v[42:45], v16, s[0:1]
	global_load_dwordx4 v[46:49], v[18:19], off offset:1536
	global_load_dword v35, v[22:23], off
	global_load_dwordx4 v[50:53], v[18:19], off offset:2048
	global_load_dwordx4 v[54:57], v[18:19], off offset:2560
	;; [unrolled: 1-line block ×4, first 2 shown]
	s_waitcnt vmcnt(10)
	v_mul_hi_i32 v20, v3, s17
	v_mul_hi_i32 v16, v2, s17
	v_ashrrev_i32_e32 v20, 31, v20
	v_mov_b32_e32 v21, v17
	v_ashrrev_i32_e32 v16, 31, v16
	v_lshrrev_b32_e32 v20, 29, v20
	v_mad_i64_i32 v[20:21], s[18:19], v3, s17, v[20:21]
	v_lshrrev_b32_e32 v16, 29, v16
	s_add_u32 s18, s38, s4
	v_mad_i64_i32 v[2:3], s[16:17], v2, s17, v[16:17]
	v_and_b32_e32 v20, -8, v20
	s_addc_u32 s19, s39, 0
	v_and_b32_e32 v2, -8, v2
	v_lshl_add_u64 v[20:21], s[18:19], 0, v[20:21]
	v_lshlrev_b32_e32 v16, 5, v1
	v_lshl_add_u64 v[2:3], s[18:19], 0, v[2:3]
	v_lshl_add_u64 v[38:39], v[20:21], 0, v[16:17]
	;; [unrolled: 1-line block ×3, first 2 shown]
	s_mov_b32 s0, 0x7060302
	v_mov_b32_e32 v37, s5
	v_cmp_eq_u32_e32 vcc, 0, v41
	s_waitcnt vmcnt(9)
	v_cvt_pk_f32_fp8_e32 v[2:3], v4
	v_cvt_pk_f32_fp8_sdwa v[20:21], v4 src0_sel:WORD_1
	v_cvt_pk_f32_fp8_e32 v[22:23], v5
	v_cvt_pk_f32_fp8_sdwa v[4:5], v5 src0_sel:WORD_1
	v_cvt_pk_f32_fp8_e32 v[24:25], v6
	v_cvt_pk_f32_fp8_sdwa v[26:27], v6 src0_sel:WORD_1
	v_perm_b32 v2, v3, v2, s0
	v_perm_b32 v3, v21, v20, s0
	v_cvt_pk_f32_fp8_e32 v[28:29], v7
	v_cvt_pk_f32_fp8_sdwa v[6:7], v7 src0_sel:WORD_1
	s_waitcnt vmcnt(6)
	v_mfma_f32_4x4x4_16b_bf16 a[0:3], v[42:43], v[2:3], 0 cbsz:4
	v_perm_b32 v20, v23, v22, s0
	v_perm_b32 v21, v5, v4, s0
	v_cvt_pk_f32_fp8_e32 v[30:31], v8
	v_cvt_pk_f32_fp8_sdwa v[32:33], v8 src0_sel:WORD_1
	v_mfma_f32_4x4x4_16b_bf16 a[0:3], v[44:45], v[20:21], a[0:3] cbsz:4
	v_perm_b32 v18, v25, v24, s0
	v_perm_b32 v19, v27, v26, s0
	v_cvt_pk_f32_fp8_e32 v[66:67], v9
	v_cvt_pk_f32_fp8_sdwa v[8:9], v9 src0_sel:WORD_1
	v_mfma_f32_4x4x4_16b_bf16 a[0:3], v[42:43], v[18:19], a[0:3] cbsz:4 abid:1
	v_perm_b32 v26, v29, v28, s0
	v_perm_b32 v27, v7, v6, s0
	v_cvt_pk_f32_fp8_e32 v[68:69], v10
	v_cvt_pk_f32_fp8_sdwa v[70:71], v10 src0_sel:WORD_1
	v_mfma_f32_4x4x4_16b_bf16 a[0:3], v[44:45], v[26:27], a[0:3] cbsz:4 abid:1
	v_perm_b32 v6, v31, v30, s0
	v_perm_b32 v7, v33, v32, s0
	v_cvt_pk_f32_fp8_e32 v[72:73], v11
	v_cvt_pk_f32_fp8_sdwa v[10:11], v11 src0_sel:WORD_1
	v_mfma_f32_4x4x4_16b_bf16 a[0:3], v[42:43], v[6:7], a[0:3] cbsz:4 abid:2
	v_perm_b32 v28, v67, v66, s0
	v_perm_b32 v29, v9, v8, s0
	v_cvt_pk_f32_fp8_e32 v[74:75], v12
	v_cvt_pk_f32_fp8_sdwa v[76:77], v12 src0_sel:WORD_1
	v_mfma_f32_4x4x4_16b_bf16 a[0:3], v[44:45], v[28:29], a[0:3] cbsz:4 abid:2
	v_perm_b32 v8, v69, v68, s0
	v_perm_b32 v9, v71, v70, s0
	v_cvt_pk_f32_fp8_e32 v[78:79], v13
	v_cvt_pk_f32_fp8_sdwa v[80:81], v13 src0_sel:WORD_1
	v_mfma_f32_4x4x4_16b_bf16 a[0:3], v[42:43], v[8:9], a[0:3] cbsz:4 abid:3
	v_perm_b32 v66, v73, v72, s0
	v_perm_b32 v67, v11, v10, s0
	v_cvt_pk_f32_fp8_e32 v[82:83], v14
	v_cvt_pk_f32_fp8_sdwa v[84:85], v14 src0_sel:WORD_1
	v_mfma_f32_4x4x4_16b_bf16 a[0:3], v[44:45], v[66:67], a[0:3] cbsz:4 abid:3
	v_perm_b32 v20, v75, v74, s0
	v_perm_b32 v21, v77, v76, s0
	v_cvt_pk_f32_fp8_e32 v[86:87], v15
	v_cvt_pk_f32_fp8_sdwa v[14:15], v15 src0_sel:WORD_1
	v_mfma_f32_4x4x4_16b_bf16 a[0:3], v[42:43], v[20:21], a[0:3] cbsz:4 abid:4
	v_perm_b32 v6, v79, v78, s0
	v_perm_b32 v7, v81, v80, s0
	global_load_dwordx4 v[22:25], v[16:17], off offset:16
	global_load_dwordx4 v[30:33], v[16:17], off
	v_mfma_f32_4x4x4_16b_bf16 a[0:3], v[44:45], v[6:7], a[0:3] cbsz:4 abid:4
	global_load_dwordx4 v[2:5], v[16:17], off offset:2064
	global_load_dwordx4 v[10:13], v[16:17], off offset:2048
	s_waitcnt vmcnt(9)
	v_cvt_pk_f32_fp8_e32 v[16:17], v46
	v_cvt_pk_f32_fp8_sdwa v[18:19], v46 src0_sel:WORD_1
	v_perm_b32 v8, v83, v82, s0
	v_perm_b32 v9, v85, v84, s0
	;; [unrolled: 1-line block ×4, first 2 shown]
	v_mfma_f32_4x4x4_16b_bf16 a[0:3], v[42:43], v[8:9], a[0:3] cbsz:4 abid:5
	v_cvt_pk_f32_fp8_e32 v[8:9], v47
	v_cvt_pk_f32_fp8_sdwa v[14:15], v47 src0_sel:WORD_1
	v_mfma_f32_4x4x4_16b_bf16 a[0:3], v[44:45], v[6:7], a[0:3] cbsz:4 abid:5
	v_perm_b32 v6, v17, v16, s0
	v_perm_b32 v7, v19, v18, s0
	;; [unrolled: 1-line block ×4, first 2 shown]
	v_mfma_f32_4x4x4_16b_bf16 a[0:3], v[42:43], v[6:7], a[0:3] cbsz:4 abid:6
	v_cvt_pk_f32_fp8_e32 v[6:7], v48
	v_cvt_pk_f32_fp8_e32 v[14:15], v49
	v_mfma_f32_4x4x4_16b_bf16 a[0:3], v[44:45], v[8:9], a[0:3] cbsz:4 abid:6
	v_cvt_pk_f32_fp8_sdwa v[8:9], v48 src0_sel:WORD_1
	v_cvt_pk_f32_fp8_sdwa v[16:17], v49 src0_sel:WORD_1
	v_perm_b32 v6, v7, v6, s0
	s_waitcnt vmcnt(7)
	v_cvt_pk_f32_fp8_e32 v[46:47], v52
	v_perm_b32 v7, v9, v8, s0
	v_perm_b32 v8, v15, v14, s0
	;; [unrolled: 1-line block ×3, first 2 shown]
	v_mfma_f32_4x4x4_16b_bf16 a[0:3], v[42:43], v[6:7], a[0:3] cbsz:4 abid:7
	v_cvt_pk_f32_fp8_e32 v[6:7], v50
	v_cvt_pk_f32_fp8_e32 v[14:15], v51
	v_mfma_f32_4x4x4_16b_bf16 a[0:3], v[44:45], v[8:9], a[0:3] cbsz:4 abid:7
	v_cvt_pk_f32_fp8_sdwa v[8:9], v50 src0_sel:WORD_1
	v_cvt_pk_f32_fp8_sdwa v[16:17], v51 src0_sel:WORD_1
	v_perm_b32 v6, v7, v6, s0
	v_cvt_pk_f32_fp8_sdwa v[48:49], v52 src0_sel:WORD_1
	v_perm_b32 v7, v9, v8, s0
	v_perm_b32 v8, v15, v14, s0
	;; [unrolled: 1-line block ×3, first 2 shown]
	v_mfma_f32_4x4x4_16b_bf16 a[0:3], v[42:43], v[6:7], a[0:3] cbsz:4 abid:8
	v_cvt_pk_f32_fp8_e32 v[50:51], v53
	v_cvt_pk_f32_fp8_sdwa v[52:53], v53 src0_sel:WORD_1
	v_mfma_f32_4x4x4_16b_bf16 a[0:3], v[44:45], v[8:9], a[0:3] cbsz:4 abid:8
	global_load_dwordx4 v[18:21], v[38:39], off offset:16
	global_load_dwordx4 v[26:29], v[38:39], off
	global_load_dwordx4 v[6:9], v[38:39], off offset:2064
	global_load_dwordx4 v[14:17], v[38:39], off offset:2048
	v_perm_b32 v38, v47, v46, s0
	v_perm_b32 v39, v49, v48, s0
	v_perm_b32 v46, v51, v50, s0
	v_perm_b32 v47, v53, v52, s0
	v_mfma_f32_4x4x4_16b_bf16 a[0:3], v[42:43], v[38:39], a[0:3] cbsz:4 abid:9
	s_waitcnt vmcnt(10)
	v_cvt_pk_f32_fp8_e32 v[38:39], v54
	v_cvt_pk_f32_fp8_e32 v[48:49], v55
	v_mfma_f32_4x4x4_16b_bf16 a[0:3], v[44:45], v[46:47], a[0:3] cbsz:4 abid:9
	v_cvt_pk_f32_fp8_sdwa v[46:47], v54 src0_sel:WORD_1
	v_cvt_pk_f32_fp8_sdwa v[50:51], v55 src0_sel:WORD_1
	v_perm_b32 v38, v39, v38, s0
	v_perm_b32 v39, v47, v46, s0
	;; [unrolled: 1-line block ×3, first 2 shown]
	s_nop 0
	v_mfma_f32_4x4x4_16b_bf16 a[0:3], v[42:43], v[38:39], a[0:3] cbsz:4 abid:10
	v_perm_b32 v47, v51, v50, s0
	v_cvt_pk_f32_fp8_e32 v[38:39], v56
	v_cvt_pk_f32_fp8_e32 v[48:49], v57
	v_mfma_f32_4x4x4_16b_bf16 a[0:3], v[44:45], v[46:47], a[0:3] cbsz:4 abid:10
	v_cvt_pk_f32_fp8_sdwa v[46:47], v56 src0_sel:WORD_1
	v_cvt_pk_f32_fp8_sdwa v[50:51], v57 src0_sel:WORD_1
	v_perm_b32 v38, v39, v38, s0
	v_perm_b32 v39, v47, v46, s0
	;; [unrolled: 1-line block ×3, first 2 shown]
	s_nop 0
	v_mfma_f32_4x4x4_16b_bf16 a[0:3], v[42:43], v[38:39], a[0:3] cbsz:4 abid:11
	v_perm_b32 v47, v51, v50, s0
	s_waitcnt vmcnt(9)
	v_cvt_pk_f32_fp8_e32 v[38:39], v58
	v_cvt_pk_f32_fp8_e32 v[48:49], v59
	v_mfma_f32_4x4x4_16b_bf16 a[0:3], v[44:45], v[46:47], a[0:3] cbsz:4 abid:11
	v_cvt_pk_f32_fp8_sdwa v[46:47], v58 src0_sel:WORD_1
	v_cvt_pk_f32_fp8_sdwa v[50:51], v59 src0_sel:WORD_1
	v_perm_b32 v38, v39, v38, s0
	v_perm_b32 v39, v47, v46, s0
	;; [unrolled: 1-line block ×3, first 2 shown]
	s_nop 0
	v_mfma_f32_4x4x4_16b_bf16 a[0:3], v[42:43], v[38:39], a[0:3] cbsz:4 abid:12
	v_perm_b32 v47, v51, v50, s0
	v_cvt_pk_f32_fp8_e32 v[38:39], v60
	v_cvt_pk_f32_fp8_e32 v[48:49], v61
	v_mfma_f32_4x4x4_16b_bf16 a[0:3], v[44:45], v[46:47], a[0:3] cbsz:4 abid:12
	v_cvt_pk_f32_fp8_sdwa v[46:47], v60 src0_sel:WORD_1
	v_cvt_pk_f32_fp8_sdwa v[50:51], v61 src0_sel:WORD_1
	v_perm_b32 v38, v39, v38, s0
	v_perm_b32 v39, v47, v46, s0
	;; [unrolled: 1-line block ×3, first 2 shown]
	s_nop 0
	v_mfma_f32_4x4x4_16b_bf16 a[0:3], v[42:43], v[38:39], a[0:3] cbsz:4 abid:13
	v_perm_b32 v47, v51, v50, s0
	s_waitcnt vmcnt(8)
	v_cvt_pk_f32_fp8_e32 v[38:39], v62
	v_cvt_pk_f32_fp8_e32 v[48:49], v63
	v_mfma_f32_4x4x4_16b_bf16 a[0:3], v[44:45], v[46:47], a[0:3] cbsz:4 abid:13
	v_cvt_pk_f32_fp8_sdwa v[46:47], v62 src0_sel:WORD_1
	v_cvt_pk_f32_fp8_sdwa v[50:51], v63 src0_sel:WORD_1
	v_perm_b32 v38, v39, v38, s0
	v_perm_b32 v39, v47, v46, s0
	;; [unrolled: 1-line block ×3, first 2 shown]
	s_nop 0
	v_mfma_f32_4x4x4_16b_bf16 a[0:3], v[42:43], v[38:39], a[0:3] cbsz:4 abid:14
	v_perm_b32 v47, v51, v50, s0
	v_cvt_pk_f32_fp8_e32 v[38:39], v64
	v_cvt_pk_f32_fp8_e32 v[48:49], v65
	v_mfma_f32_4x4x4_16b_bf16 a[0:3], v[44:45], v[46:47], a[0:3] cbsz:4 abid:14
	v_cvt_pk_f32_fp8_sdwa v[46:47], v64 src0_sel:WORD_1
	v_cvt_pk_f32_fp8_sdwa v[50:51], v65 src0_sel:WORD_1
	v_perm_b32 v38, v39, v38, s0
	v_perm_b32 v39, v47, v46, s0
	;; [unrolled: 1-line block ×4, first 2 shown]
	v_mfma_f32_4x4x4_16b_bf16 a[0:3], v[42:43], v[38:39], a[0:3] cbsz:4 abid:15
	s_load_dword s0, s[8:9], 0x0
	s_waitcnt lgkmcnt(0)
	v_mul_f32_e32 v42, s0, v37
	v_mfma_f32_4x4x4_16b_bf16 a[0:3], v[44:45], v[46:47], a[0:3] cbsz:4 abid:15
	v_cndmask_b32_e64 v37, 0, 1.0, vcc
	v_cmp_eq_u32_e32 vcc, 1, v41
	s_nop 2
	v_accvgpr_read_b32 v45, a1
	v_accvgpr_read_b32 v44, a0
	v_pk_mul_f32 v[44:45], v[44:45], v[42:43] op_sel_hi:[1,0]
	v_accvgpr_read_b32 v39, a3
	v_accvgpr_read_b32 v38, a2
	v_pk_mul_f32 v[38:39], v[38:39], v[42:43] op_sel_hi:[1,0]
	v_mfma_f32_4x4x1_16b_f32 a[0:3], v44, v37, 0
	v_cndmask_b32_e64 v37, 0, 1.0, vcc
	v_cmp_eq_u32_e32 vcc, 2, v41
	s_nop 0
	v_mfma_f32_4x4x1_16b_f32 a[0:3], v45, v37, a[0:3]
	v_cndmask_b32_e64 v37, 0, 1.0, vcc
	v_cmp_eq_u32_e32 vcc, 3, v41
	s_nop 0
	v_mfma_f32_4x4x1_16b_f32 a[0:3], v38, v37, a[0:3]
	v_cndmask_b32_e64 v37, 0, 1.0, vcc
	s_nop 1
	v_mfma_f32_4x4x1_16b_f32 a[0:3], v39, v37, a[0:3]
	v_and_b32_e32 v37, -4, v36
	v_subrev_u32_e32 v38, s3, v37
	v_add_u32_e32 v39, 1, v38
	v_cvt_f32_i32_e32 v39, v39
	v_add_u32_e32 v42, 2, v38
	v_cvt_f32_i32_e32 v42, v42
	v_accvgpr_read_b32 v43, a0
	v_fma_f32 v39, v35, v39, v43
	v_accvgpr_read_b32 v43, a1
	v_fma_f32 v43, v35, v42, v43
	v_add_u32_e32 v42, 3, v38
	v_add_u32_e32 v38, 4, v38
	v_cvt_f32_i32_e32 v42, v42
	v_cvt_f32_i32_e32 v38, v38
	v_accvgpr_read_b32 v44, a2
	v_accvgpr_read_b32 v45, a3
	v_fma_f32 v44, v35, v42, v44
	v_fmac_f32_e32 v45, v35, v38
	v_max_f32_e32 v38, 0xff7fffff, v39
	v_mov_b32_e32 v42, 0xff7fffff
	v_cmp_gt_i32_e32 vcc, s3, v37
	v_or_b32_e32 v36, 3, v36
	v_cmp_gt_i32_e64 s[8:9], s3, v36
	v_cndmask_b32_e32 v38, v42, v38, vcc
	v_or_b32_e32 v42, 1, v37
	v_max_f32_e32 v46, v38, v43
	v_cmp_gt_i32_e64 s[0:1], s3, v42
	v_or_b32_e32 v37, 2, v37
	v_cmp_gt_i32_e64 s[4:5], s3, v37
	v_cndmask_b32_e64 v38, v38, v46, s[0:1]
	v_max_f32_e32 v42, v38, v44
	v_cndmask_b32_e64 v37, v38, v42, s[4:5]
	v_max_f32_e32 v38, v37, v45
	v_lshlrev_b32_e32 v35, 2, v0
	v_cndmask_b32_e64 v36, v37, v38, s[8:9]
	v_and_or_b32 v35, v35, 48, v41
	;;#ASMSTART
	v_nop
 v_nop
 v_max_f32_dpp v36, v36, v36 row_ror:4
	;;#ASMEND
	v_lshlrev_b32_e32 v35, 2, v35
	;;#ASMSTART
	v_nop
 v_nop
 v_max_f32_dpp v36, v36, v36 row_ror:8
	;;#ASMEND
	ds_bpermute_b32 v36, v35, v36
	s_waitcnt lgkmcnt(0)
	;;#ASMSTART
	v_nop
 v_nop
 v_max_f32_dpp v36, v36, v36 row_ror:4
	;;#ASMEND
	s_nop 0
	;;#ASMSTART
	v_nop
 v_nop
 v_max_f32_dpp v42, v36, v36 row_ror:8
	;;#ASMEND
	s_nop 0
	v_sub_f32_e32 v36, v39, v42
	v_mul_f32_e32 v36, 0x3fb8aa3b, v36
	v_sub_f32_e32 v37, v43, v42
	v_exp_f32_e32 v36, v36
	v_mul_f32_e32 v37, 0x3fb8aa3b, v37
	v_sub_f32_e32 v39, v44, v42
	v_exp_f32_e32 v37, v37
	;; [unrolled: 3-line block ×3, first 2 shown]
	v_mul_f32_e32 v43, 0x3fb8aa3b, v43
	v_exp_f32_e32 v43, v43
	v_cndmask_b32_e32 v36, 0, v36, vcc
	v_add_f32_e32 v38, 0, v36
	v_cndmask_b32_e64 v37, 0, v37, s[0:1]
	v_add_f32_e32 v44, v38, v37
	v_cndmask_b32_e64 v38, 0, v39, s[4:5]
	;; [unrolled: 2-line block ×3, first 2 shown]
	v_add_f32_e32 v43, v44, v39
	;;#ASMSTART
	v_nop
 v_nop
 v_add_f32_dpp v43, v43, v43 row_ror:4
	;;#ASMEND
	v_cmp_gt_u32_e32 vcc, 4, v1
	;;#ASMSTART
	v_nop
 v_nop
 v_add_f32_dpp v43, v43, v43 row_ror:8
	;;#ASMEND
	ds_bpermute_b32 v35, v35, v43
	s_waitcnt lgkmcnt(0)
	;;#ASMSTART
	v_nop
 v_nop
 v_add_f32_dpp v35, v35, v35 row_ror:4
	;;#ASMEND
	s_nop 0
	;;#ASMSTART
	v_nop
 v_nop
 v_add_f32_dpp v35, v35, v35 row_ror:8
	;;#ASMEND
	s_and_saveexec_b64 s[0:1], vcc
	s_cbranch_execz .LBB1371_12
; %bb.11:
	v_mul_u32_u24_e32 v43, 20, v40
	v_lshl_add_u32 v43, v41, 2, v43
	v_add_u32_e32 v43, 0x1400, v43
	ds_write2_b32 v43, v42, v35 offset1:20
.LBB1371_12:
	s_or_b64 exec, exec, s[0:1]
.LBB1371_13:
	s_or_b64 exec, exec, s[30:31]
	v_lshlrev_b32_e32 v35, 2, v41
	v_add_u32_e32 v35, 0x1400, v35
	s_waitcnt lgkmcnt(0)
	s_barrier
	s_load_dword s0, s[28:29], 0x8
	ds_read2_b32 v[44:45], v35 offset1:5
	ds_read2_b32 v[46:47], v35 offset0:10 offset1:15
	s_mov_b32 s4, 0xff7fffff
	s_mul_i32 s1, s2, s44
	ds_read2_b32 v[48:49], v35 offset0:20 offset1:25
	s_waitcnt lgkmcnt(0)
	v_max3_f32 v41, v44, s4, v45
	s_mul_i32 s1, s1, s0
	v_max3_f32 v41, v41, v46, v47
	s_lshl_b32 s0, s1, 2
	s_mov_b32 s1, 0
	v_sub_f32_e32 v43, v44, v41
	v_sub_f32_e32 v44, v45, v41
	s_lshl_b64 s[2:3], s[0:1], 2
	v_mul_f32_e32 v43, 0x3fb8aa3b, v43
	v_mul_f32_e32 v44, 0x3fb8aa3b, v44
	s_add_u32 s8, s12, s2
	v_exp_f32_e32 v43, v43
	v_exp_f32_e32 v50, v44
	ds_read2_b32 v[44:45], v35 offset0:30 offset1:35
	v_sub_f32_e32 v35, v46, v41
	s_addc_u32 s9, s13, s3
	v_mul_f32_e32 v35, 0x3fb8aa3b, v35
	v_sub_f32_e32 v46, v47, v41
	s_mov_b32 s25, s1
	s_add_u32 s4, s14, s2
	v_exp_f32_e32 v35, v35
	v_mul_f32_e32 v46, 0x3fb8aa3b, v46
	s_addc_u32 s5, s15, s3
	s_lshl_b64 s[2:3], s[24:25], 2
	v_exp_f32_e32 v46, v46
	s_add_u32 s4, s4, s2
	v_fma_f32 v43, v43, v48, 0
	s_addc_u32 s5, s5, s3
	v_fmac_f32_e32 v43, v50, v49
	s_waitcnt lgkmcnt(0)
	v_fmac_f32_e32 v43, v35, v44
	s_add_u32 s2, s8, s2
	v_mul_lo_u32 v34, s44, v34
	v_mov_b32_e32 v35, 0
	v_fmac_f32_e32 v43, v46, v45
	s_addc_u32 s3, s9, s3
	v_lshlrev_b64 v[44:45], 2, v[34:35]
	v_lshl_add_u64 v[46:47], s[4:5], 0, v[44:45]
	v_lshl_add_u64 v[44:45], s[2:3], 0, v[44:45]
	v_lshlrev_b32_e32 v40, 3, v40
	global_store_dword v[46:47], v41, off
	global_store_dword v[44:45], v43, off
	s_and_saveexec_b64 s[2:3], s[6:7]
	s_xor_b64 s[2:3], exec, s[2:3]
	s_cbranch_execz .LBB1371_15
; %bb.14:
	s_waitcnt vmcnt(7)
	v_mad_u32_u24 v2, v1, 40, v40
	v_mov_b32_e32 v34, v35
	ds_write_b64 v2, v[34:35]
                                        ; implicit-def: $vgpr39
                                        ; implicit-def: $vgpr37
                                        ; implicit-def: $vgpr42
                                        ; implicit-def: $vgpr30_vgpr31
                                        ; implicit-def: $vgpr22_vgpr23
                                        ; implicit-def: $vgpr26_vgpr27
                                        ; implicit-def: $vgpr18_vgpr19
                                        ; implicit-def: $vgpr10_vgpr11
                                        ; implicit-def: $vgpr2_vgpr3
                                        ; implicit-def: $vgpr14_vgpr15
                                        ; implicit-def: $vgpr6_vgpr7
                                        ; implicit-def: $vgpr41
                                        ; implicit-def: $vgpr43
.LBB1371_15:
	s_or_saveexec_b64 s[2:3], s[2:3]
	v_mov_b32_e32 v34, s1
	v_mov_b32_e32 v35, s1
	s_xor_b64 exec, exec, s[2:3]
	s_cbranch_execz .LBB1371_17
; %bb.16:
	v_add_f32_e32 v34, 0x358637bd, v43
	v_div_scale_f32 v35, s[4:5], v34, v34, 1.0
	v_rcp_f32_e32 v43, v35
	v_sub_f32_e32 v41, v42, v41
	v_mul_f32_e32 v41, 0x3fb8aa3b, v41
	v_exp_f32_e32 v41, v41
	v_fma_f32 v42, -v35, v43, 1.0
	v_fmac_f32_e32 v43, v42, v43
	v_div_scale_f32 v42, vcc, 1.0, v34, 1.0
	v_mul_f32_e32 v44, v42, v43
	v_fma_f32 v45, -v35, v44, v42
	v_fmac_f32_e32 v44, v45, v43
	v_fma_f32 v35, -v35, v44, v42
	v_div_fmas_f32 v35, v35, v43, v44
	v_div_fixup_f32 v34, v35, v34, 1.0
	v_mul_f32_e32 v34, v41, v34
	v_pk_mul_f32 v[38:39], v[38:39], v[34:35] op_sel_hi:[1,0]
	v_pk_mul_f32 v[34:35], v[36:37], v[34:35] op_sel_hi:[1,0]
	s_movk_i32 s1, 0x7fff
	v_bfe_u32 v36, v35, 16, 1
	v_bfe_u32 v37, v34, 16, 1
	v_add3_u32 v34, v34, v37, s1
	v_add3_u32 v35, v35, v36, s1
	s_mov_b32 s5, 0x7060302
	v_perm_b32 v34, v35, v34, s5
	v_bfe_u32 v35, v39, 16, 1
	v_bfe_u32 v36, v38, 16, 1
	v_add3_u32 v36, v38, v36, s1
	v_add3_u32 v35, v39, v35, s1
	v_perm_b32 v35, v35, v36, s5
	s_waitcnt vmcnt(8)
	v_cvt_pk_f32_fp8_e32 v[36:37], v30
	v_cvt_pk_f32_fp8_sdwa v[38:39], v30 src0_sel:WORD_1
	v_cvt_pk_f32_fp8_e32 v[42:43], v31
	v_cvt_pk_f32_fp8_sdwa v[30:31], v31 src0_sel:WORD_1
	v_perm_b32 v36, v37, v36, s5
	v_perm_b32 v37, v39, v38, s5
	;; [unrolled: 1-line block ×4, first 2 shown]
	v_mfma_f32_4x4x4_16b_bf16 a[0:3], v[34:35], v[36:37], 0 cbsz:4
	v_cvt_pk_f32_fp8_e32 v[30:31], v32
	v_cvt_pk_f32_fp8_sdwa v[36:37], v32 src0_sel:WORD_1
	v_mfma_f32_4x4x4_16b_bf16 a[0:3], v[34:35], v[38:39], a[0:3] cbsz:4 abid:1
	v_cvt_pk_f32_fp8_e32 v[38:39], v33
	v_cvt_pk_f32_fp8_sdwa v[32:33], v33 src0_sel:WORD_1
	v_perm_b32 v30, v31, v30, s5
	v_perm_b32 v31, v37, v36, s5
	v_perm_b32 v36, v39, v38, s5
	v_perm_b32 v37, v33, v32, s5
	v_mfma_f32_4x4x4_16b_bf16 a[0:3], v[34:35], v[30:31], a[0:3] cbsz:4 abid:2
	v_cvt_pk_f32_fp8_e32 v[30:31], v22
	v_cvt_pk_f32_fp8_sdwa v[32:33], v22 src0_sel:WORD_1
	v_mfma_f32_4x4x4_16b_bf16 a[0:3], v[34:35], v[36:37], a[0:3] cbsz:4 abid:3
	v_cvt_pk_f32_fp8_e32 v[36:37], v23
	v_cvt_pk_f32_fp8_sdwa v[22:23], v23 src0_sel:WORD_1
	v_perm_b32 v30, v31, v30, s5
	v_perm_b32 v31, v33, v32, s5
	v_perm_b32 v32, v37, v36, s5
	v_perm_b32 v33, v23, v22, s5
	v_mfma_f32_4x4x4_16b_bf16 a[0:3], v[34:35], v[30:31], a[0:3] cbsz:4 abid:4
	;; [unrolled: 10-line block ×3, first 2 shown]
	s_waitcnt vmcnt(4)
	v_cvt_pk_f32_fp8_e32 v[22:23], v26
	v_cvt_pk_f32_fp8_sdwa v[24:25], v26 src0_sel:WORD_1
	v_mfma_f32_4x4x4_16b_bf16 a[0:3], v[34:35], v[30:31], a[0:3] cbsz:4 abid:7
	v_cvt_pk_f32_fp8_e32 v[30:31], v27
	v_cvt_pk_f32_fp8_sdwa v[26:27], v27 src0_sel:WORD_1
	v_perm_b32 v22, v23, v22, s5
	v_perm_b32 v23, v25, v24, s5
	;; [unrolled: 1-line block ×4, first 2 shown]
	v_mfma_f32_4x4x4_16b_bf16 a[0:3], v[34:35], v[22:23], a[0:3] cbsz:4 abid:8
	v_cvt_pk_f32_fp8_e32 v[22:23], v28
	v_cvt_pk_f32_fp8_e32 v[26:27], v29
	v_mfma_f32_4x4x4_16b_bf16 a[0:3], v[34:35], v[24:25], a[0:3] cbsz:4 abid:9
	v_cvt_pk_f32_fp8_sdwa v[24:25], v28 src0_sel:WORD_1
	v_cvt_pk_f32_fp8_sdwa v[28:29], v29 src0_sel:WORD_1
	v_perm_b32 v22, v23, v22, s5
	s_load_dword s4, s[10:11], 0x0
	v_perm_b32 v23, v25, v24, s5
	v_perm_b32 v24, v27, v26, s5
	;; [unrolled: 1-line block ×3, first 2 shown]
	v_mfma_f32_4x4x4_16b_bf16 a[0:3], v[34:35], v[22:23], a[0:3] cbsz:4 abid:10
	v_cvt_pk_f32_fp8_e32 v[22:23], v18
	v_cvt_pk_f32_fp8_e32 v[26:27], v19
	v_mfma_f32_4x4x4_16b_bf16 a[0:3], v[34:35], v[24:25], a[0:3] cbsz:4 abid:11
	v_cvt_pk_f32_fp8_sdwa v[24:25], v18 src0_sel:WORD_1
	v_cvt_pk_f32_fp8_sdwa v[18:19], v19 src0_sel:WORD_1
	v_perm_b32 v22, v23, v22, s5
	v_perm_b32 v23, v25, v24, s5
	v_perm_b32 v25, v19, v18, s5
	s_nop 0
	v_mfma_f32_4x4x4_16b_bf16 a[0:3], v[34:35], v[22:23], a[0:3] cbsz:4 abid:12
	v_cvt_pk_f32_fp8_e32 v[18:19], v20
	v_cvt_pk_f32_fp8_sdwa v[22:23], v20 src0_sel:WORD_1
	v_perm_b32 v24, v27, v26, s5
	v_perm_b32 v18, v19, v18, s5
	s_nop 0
	v_mfma_f32_4x4x4_16b_bf16 a[0:3], v[34:35], v[24:25], a[0:3] cbsz:4 abid:13
	v_cvt_pk_f32_fp8_e32 v[24:25], v21
	v_cvt_pk_f32_fp8_sdwa v[20:21], v21 src0_sel:WORD_1
	v_perm_b32 v19, v23, v22, s5
	v_perm_b32 v22, v25, v24, s5
	s_nop 0
	v_mfma_f32_4x4x4_16b_bf16 a[0:3], v[34:35], v[18:19], a[0:3] cbsz:4 abid:14
	v_perm_b32 v23, v21, v20, s5
	s_nop 1
	v_mfma_f32_4x4x4_16b_bf16 a[0:3], v[34:35], v[22:23], a[0:3] cbsz:4 abid:15
	s_nop 4
	v_accvgpr_read_b32 v21, a1
	v_accvgpr_read_b32 v20, a0
	s_waitcnt lgkmcnt(0)
	v_pk_mul_f32 v[20:21], v[20:21], s[4:5] op_sel_hi:[1,0]
	v_accvgpr_read_b32 v19, a3
	v_accvgpr_read_b32 v18, a2
	v_bfe_u32 v22, v21, 16, 1
	v_bfe_u32 v23, v20, 16, 1
	v_pk_mul_f32 v[18:19], v[18:19], s[4:5] op_sel_hi:[1,0]
	v_add3_u32 v20, v20, v23, s1
	v_add3_u32 v21, v21, v22, s1
	v_perm_b32 v20, v21, v20, s5
	v_bfe_u32 v21, v19, 16, 1
	v_bfe_u32 v22, v18, 16, 1
	v_add3_u32 v18, v18, v22, s1
	v_add3_u32 v19, v19, v21, s1
	v_perm_b32 v21, v19, v18, s5
	v_mad_u32_u24 v18, v1, 40, v40
	ds_write_b64 v18, v[20:21]
	v_cvt_pk_f32_fp8_e32 v[18:19], v10
	v_cvt_pk_f32_fp8_sdwa v[20:21], v10 src0_sel:WORD_1
	v_cvt_pk_f32_fp8_e32 v[22:23], v11
	v_cvt_pk_f32_fp8_sdwa v[10:11], v11 src0_sel:WORD_1
	v_perm_b32 v18, v19, v18, s5
	v_perm_b32 v19, v21, v20, s5
	;; [unrolled: 1-line block ×4, first 2 shown]
	v_mfma_f32_4x4x4_16b_bf16 a[0:3], v[34:35], v[18:19], 0 cbsz:4
	v_cvt_pk_f32_fp8_e32 v[10:11], v12
	v_cvt_pk_f32_fp8_sdwa v[18:19], v12 src0_sel:WORD_1
	v_mfma_f32_4x4x4_16b_bf16 a[0:3], v[34:35], v[20:21], a[0:3] cbsz:4 abid:1
	v_cvt_pk_f32_fp8_e32 v[20:21], v13
	v_cvt_pk_f32_fp8_sdwa v[12:13], v13 src0_sel:WORD_1
	v_perm_b32 v10, v11, v10, s5
	v_perm_b32 v11, v19, v18, s5
	v_perm_b32 v18, v21, v20, s5
	v_perm_b32 v19, v13, v12, s5
	v_mfma_f32_4x4x4_16b_bf16 a[0:3], v[34:35], v[10:11], a[0:3] cbsz:4 abid:2
	v_cvt_pk_f32_fp8_e32 v[10:11], v2
	v_cvt_pk_f32_fp8_sdwa v[12:13], v2 src0_sel:WORD_1
	v_mfma_f32_4x4x4_16b_bf16 a[0:3], v[34:35], v[18:19], a[0:3] cbsz:4 abid:3
	v_cvt_pk_f32_fp8_e32 v[18:19], v3
	v_cvt_pk_f32_fp8_sdwa v[2:3], v3 src0_sel:WORD_1
	v_perm_b32 v10, v11, v10, s5
	v_perm_b32 v11, v13, v12, s5
	v_perm_b32 v12, v19, v18, s5
	v_perm_b32 v13, v3, v2, s5
	v_mfma_f32_4x4x4_16b_bf16 a[0:3], v[34:35], v[10:11], a[0:3] cbsz:4 abid:4
	v_cvt_pk_f32_fp8_e32 v[2:3], v4
	v_cvt_pk_f32_fp8_sdwa v[10:11], v4 src0_sel:WORD_1
	v_mfma_f32_4x4x4_16b_bf16 a[0:3], v[34:35], v[12:13], a[0:3] cbsz:4 abid:5
	v_cvt_pk_f32_fp8_e32 v[12:13], v5
	v_cvt_pk_f32_fp8_sdwa v[4:5], v5 src0_sel:WORD_1
	v_perm_b32 v2, v3, v2, s5
	v_perm_b32 v3, v11, v10, s5
	v_perm_b32 v10, v13, v12, s5
	v_perm_b32 v11, v5, v4, s5
	v_mfma_f32_4x4x4_16b_bf16 a[0:3], v[34:35], v[2:3], a[0:3] cbsz:4 abid:6
	s_waitcnt vmcnt(2)
	v_cvt_pk_f32_fp8_e32 v[2:3], v14
	v_cvt_pk_f32_fp8_sdwa v[4:5], v14 src0_sel:WORD_1
	v_mfma_f32_4x4x4_16b_bf16 a[0:3], v[34:35], v[10:11], a[0:3] cbsz:4 abid:7
	v_cvt_pk_f32_fp8_e32 v[10:11], v15
	v_cvt_pk_f32_fp8_sdwa v[12:13], v15 src0_sel:WORD_1
	v_perm_b32 v2, v3, v2, s5
	v_perm_b32 v3, v5, v4, s5
	;; [unrolled: 1-line block ×4, first 2 shown]
	v_mfma_f32_4x4x4_16b_bf16 a[0:3], v[34:35], v[2:3], a[0:3] cbsz:4 abid:8
	v_cvt_pk_f32_fp8_e32 v[2:3], v16
	v_cvt_pk_f32_fp8_e32 v[10:11], v17
	v_mfma_f32_4x4x4_16b_bf16 a[0:3], v[34:35], v[4:5], a[0:3] cbsz:4 abid:9
	v_cvt_pk_f32_fp8_sdwa v[4:5], v16 src0_sel:WORD_1
	v_cvt_pk_f32_fp8_sdwa v[12:13], v17 src0_sel:WORD_1
	v_perm_b32 v2, v3, v2, s5
	v_perm_b32 v3, v5, v4, s5
	v_perm_b32 v4, v11, v10, s5
	s_nop 0
	v_mfma_f32_4x4x4_16b_bf16 a[0:3], v[34:35], v[2:3], a[0:3] cbsz:4 abid:10
	v_perm_b32 v5, v13, v12, s5
	v_cvt_pk_f32_fp8_e32 v[2:3], v6
	v_cvt_pk_f32_fp8_e32 v[10:11], v7
	v_mfma_f32_4x4x4_16b_bf16 a[0:3], v[34:35], v[4:5], a[0:3] cbsz:4 abid:11
	v_cvt_pk_f32_fp8_sdwa v[4:5], v6 src0_sel:WORD_1
	v_cvt_pk_f32_fp8_sdwa v[6:7], v7 src0_sel:WORD_1
	v_perm_b32 v2, v3, v2, s5
	v_perm_b32 v3, v5, v4, s5
	v_perm_b32 v4, v11, v10, s5
	s_nop 0
	v_mfma_f32_4x4x4_16b_bf16 a[0:3], v[34:35], v[2:3], a[0:3] cbsz:4 abid:12
	v_perm_b32 v5, v7, v6, s5
	;; [unrolled: 11-line block ×3, first 2 shown]
	s_nop 1
	v_mfma_f32_4x4x4_16b_bf16 a[0:3], v[34:35], v[4:5], a[0:3] cbsz:4 abid:15
	s_nop 4
	v_accvgpr_read_b32 v5, a1
	v_accvgpr_read_b32 v4, a0
	;; [unrolled: 1-line block ×4, first 2 shown]
	v_pk_mul_f32 v[4:5], v[4:5], s[4:5] op_sel_hi:[1,0]
	v_pk_mul_f32 v[2:3], v[2:3], s[4:5] op_sel_hi:[1,0]
	v_bfe_u32 v6, v5, 16, 1
	v_bfe_u32 v7, v4, 16, 1
	v_add3_u32 v4, v4, v7, s1
	v_add3_u32 v5, v5, v6, s1
	v_bfe_u32 v6, v3, 16, 1
	v_bfe_u32 v7, v2, 16, 1
	v_add3_u32 v2, v2, v7, s1
	v_add3_u32 v3, v3, v6, s1
	v_perm_b32 v35, v3, v2, s5
	v_perm_b32 v34, v5, v4, s5
.LBB1371_17:
	s_or_b64 exec, exec, s[2:3]
	s_waitcnt vmcnt(7)
	v_mad_u32_u24 v2, v1, 40, v40
	v_cmp_gt_u32_e32 vcc, 64, v0
	ds_write_b64 v2, v[34:35] offset:2560
	s_waitcnt lgkmcnt(0)
	s_barrier
	s_and_saveexec_b64 s[2:3], vcc
	s_cbranch_execz .LBB1371_19
; %bb.18:
	s_waitcnt vmcnt(3)
	v_mul_u32_u24_e32 v6, 40, v1
	ds_read2_b64 v[2:5], v6 offset1:1
	ds_read2_b64 v[6:9], v6 offset0:2 offset1:3
	s_mov_b32 s1, 0
	s_lshl_b32 s0, s0, 7
	s_lshl_b64 s[2:3], s[0:1], 1
	s_waitcnt lgkmcnt(1)
	v_lshlrev_b32_e32 v10, 16, v2
	v_and_b32_e32 v2, 0xffff0000, v2
	v_add_f32_e32 v2, 0, v2
	v_lshlrev_b32_e32 v11, 16, v3
	v_and_b32_e32 v3, 0xffff0000, v3
	v_and_b32_e32 v2, 0xffff0000, v2
	v_add_f32_e32 v11, 0, v11
	v_add_f32_e32 v3, 0, v3
	v_lshlrev_b32_e32 v12, 16, v4
	v_and_b32_e32 v4, 0xffff0000, v4
	v_add_f32_e32 v10, 0, v10
	v_and_b32_e32 v11, 0xffff0000, v11
	v_and_b32_e32 v3, 0xffff0000, v3
	v_add_f32_e32 v2, v2, v4
	v_lshlrev_b32_e32 v4, 16, v5
	v_and_b32_e32 v5, 0xffff0000, v5
	v_and_b32_e32 v10, 0xffff0000, v10
	v_and_b32_e32 v2, 0xffff0000, v2
	v_add_f32_e32 v4, v11, v4
	v_add_f32_e32 v3, v3, v5
	s_waitcnt lgkmcnt(0)
	v_lshlrev_b32_e32 v5, 16, v6
	v_and_b32_e32 v6, 0xffff0000, v6
	v_add_f32_e32 v10, v10, v12
	v_and_b32_e32 v4, 0xffff0000, v4
	v_add_f32_e32 v2, v2, v6
	v_lshlrev_b32_e32 v6, 16, v7
	v_and_b32_e32 v10, 0xffff0000, v10
	v_and_b32_e32 v3, 0xffff0000, v3
	v_add_f32_e32 v4, v4, v6
	v_and_b32_e32 v6, 0xffff0000, v7
	v_add_f32_e32 v5, v10, v5
	v_add_f32_e32 v3, v3, v6
	v_and_b32_e32 v5, 0xffff0000, v5
	v_and_b32_e32 v6, 0xffff0000, v3
	v_lshlrev_b32_e32 v3, 16, v8
	v_and_b32_e32 v2, 0xffff0000, v2
	v_add_f32_e32 v10, v5, v3
	v_and_b32_e32 v3, 0xffff0000, v8
	v_and_b32_e32 v4, 0xffff0000, v4
	v_add_f32_e32 v11, v2, v3
	v_lshlrev_b32_e32 v2, 16, v9
	v_add_f32_e32 v12, v4, v2
	v_mov_b32_e32 v2, 0xa00
	v_mad_u32_u24 v2, v1, 40, v2
	ds_read2_b64 v[2:5], v2 offset1:1
	v_and_b32_e32 v7, 0xffff0000, v9
	v_add_f32_e32 v13, v6, v7
	v_mov_b32_e32 v6, 0xa10
	v_mad_u32_u24 v1, v1, 40, v6
	ds_read2_b64 v[6:9], v1 offset1:1
	s_waitcnt lgkmcnt(1)
	v_lshlrev_b32_e32 v1, 16, v2
	v_and_b32_e32 v2, 0xffff0000, v2
	v_add_f32_e32 v1, 0, v1
	v_add_f32_e32 v2, 0, v2
	s_waitcnt vmcnt(2)
	v_lshlrev_b32_e32 v14, 16, v3
	v_and_b32_e32 v3, 0xffff0000, v3
	v_and_b32_e32 v1, 0xffff0000, v1
	;; [unrolled: 1-line block ×3, first 2 shown]
	v_add_f32_e32 v3, 0, v3
	v_lshlrev_b32_e32 v15, 16, v4
	v_and_b32_e32 v4, 0xffff0000, v4
	v_add_f32_e32 v14, 0, v14
	v_and_b32_e32 v3, 0xffff0000, v3
	v_add_f32_e32 v1, v1, v15
	v_add_f32_e32 v2, v2, v4
	v_lshlrev_b32_e32 v4, 16, v5
	v_and_b32_e32 v5, 0xffff0000, v5
	v_and_b32_e32 v14, 0xffff0000, v14
	v_and_b32_e32 v1, 0xffff0000, v1
	v_add_f32_e32 v3, v3, v5
	s_waitcnt lgkmcnt(0)
	v_lshlrev_b32_e32 v5, 16, v6
	v_and_b32_e32 v2, 0xffff0000, v2
	v_add_f32_e32 v4, v14, v4
	v_add_f32_e32 v1, v1, v5
	v_and_b32_e32 v5, 0xffff0000, v6
	v_and_b32_e32 v4, 0xffff0000, v4
	v_add_f32_e32 v2, v2, v5
	v_lshlrev_b32_e32 v5, 16, v7
	s_add_u32 s2, s26, s2
	v_and_b32_e32 v3, 0xffff0000, v3
	v_add_f32_e32 v4, v4, v5
	v_and_b32_e32 v5, 0xffff0000, v7
	s_addc_u32 s3, s27, s3
	s_lshl_b32 s0, s24, 7
	v_and_b32_e32 v1, 0xffff0000, v1
	v_add_f32_e32 v3, v3, v5
	v_lshlrev_b32_e32 v5, 16, v8
	s_lshl_b64 s[0:1], s[0:1], 1
	v_and_b32_e32 v2, 0xffff0000, v2
	v_add_f32_e32 v14, v1, v5
	v_and_b32_e32 v1, 0xffff0000, v8
	s_add_u32 s0, s2, s0
	v_and_b32_e32 v4, 0xffff0000, v4
	v_add_f32_e32 v15, v2, v1
	v_lshlrev_b32_e32 v1, 16, v9
	s_addc_u32 s1, s3, s1
	s_lshl_b32 s2, s44, 7
	v_and_b32_e32 v3, 0xffff0000, v3
	v_add_f32_e32 v16, v4, v1
	v_and_b32_e32 v1, 0xffff0000, v9
	s_mul_i32 s3, s2, s33
	v_add_f32_e32 v17, v3, v1
	v_or_b32_e32 v2, s3, v0
	v_mov_b32_e32 v3, 0
	s_add_i32 s3, s3, s2
	v_lshl_add_u64 v[4:5], v[2:3], 1, s[0:1]
	v_or_b32_e32 v2, s3, v0
	s_add_i32 s3, s3, s2
	v_lshl_add_u64 v[6:7], v[2:3], 1, s[0:1]
	v_or_b32_e32 v2, s3, v0
	;; [unrolled: 3-line block ×3, first 2 shown]
	v_lshl_add_u64 v[0:1], v[2:3], 1, s[0:1]
	global_store_short_d16_hi v[4:5], v10, off
	global_store_short_d16_hi v[6:7], v11, off
	;; [unrolled: 1-line block ×4, first 2 shown]
	global_store_short_d16_hi v[4:5], v14, off offset:128
	global_store_short_d16_hi v[6:7], v15, off offset:128
	;; [unrolled: 1-line block ×4, first 2 shown]
.LBB1371_19:
	s_endpgm
.LBB1371_20:
	s_mov_b64 s[8:9], 0
                                        ; implicit-def: $sgpr34_sgpr35
	s_branch .LBB1371_2
	.section	.rodata,"a",@progbits
	.p2align	6, 0x0
	.amdhsa_kernel _Z38paged_attention_ll4mi_QKV_mfma4_kernelI14__hip_bfloat16hLN4vllm18Fp8KVCacheDataTypeE1ES0_Li32ELi128ELi256ELb1ELi4EEvPKT_PKT0_S8_ifPKiSA_SA_iPKfiiiPfSD_PS3_PT2_iSC_SC_
		.amdhsa_group_segment_fixed_size 5280
		.amdhsa_private_segment_fixed_size 0
		.amdhsa_kernarg_size 400
		.amdhsa_user_sgpr_count 2
		.amdhsa_user_sgpr_dispatch_ptr 0
		.amdhsa_user_sgpr_queue_ptr 0
		.amdhsa_user_sgpr_kernarg_segment_ptr 1
		.amdhsa_user_sgpr_dispatch_id 0
		.amdhsa_user_sgpr_kernarg_preload_length 0
		.amdhsa_user_sgpr_kernarg_preload_offset 0
		.amdhsa_user_sgpr_private_segment_size 0
		.amdhsa_uses_dynamic_stack 0
		.amdhsa_enable_private_segment 0
		.amdhsa_system_sgpr_workgroup_id_x 1
		.amdhsa_system_sgpr_workgroup_id_y 1
		.amdhsa_system_sgpr_workgroup_id_z 1
		.amdhsa_system_sgpr_workgroup_info 0
		.amdhsa_system_vgpr_workitem_id 0
		.amdhsa_next_free_vgpr 92
		.amdhsa_next_free_sgpr 45
		.amdhsa_accum_offset 88
		.amdhsa_reserve_vcc 1
		.amdhsa_float_round_mode_32 0
		.amdhsa_float_round_mode_16_64 0
		.amdhsa_float_denorm_mode_32 3
		.amdhsa_float_denorm_mode_16_64 3
		.amdhsa_dx10_clamp 1
		.amdhsa_ieee_mode 1
		.amdhsa_fp16_overflow 0
		.amdhsa_tg_split 0
		.amdhsa_exception_fp_ieee_invalid_op 0
		.amdhsa_exception_fp_denorm_src 0
		.amdhsa_exception_fp_ieee_div_zero 0
		.amdhsa_exception_fp_ieee_overflow 0
		.amdhsa_exception_fp_ieee_underflow 0
		.amdhsa_exception_fp_ieee_inexact 0
		.amdhsa_exception_int_div_zero 0
	.end_amdhsa_kernel
	.section	.text._Z38paged_attention_ll4mi_QKV_mfma4_kernelI14__hip_bfloat16hLN4vllm18Fp8KVCacheDataTypeE1ES0_Li32ELi128ELi256ELb1ELi4EEvPKT_PKT0_S8_ifPKiSA_SA_iPKfiiiPfSD_PS3_PT2_iSC_SC_,"axG",@progbits,_Z38paged_attention_ll4mi_QKV_mfma4_kernelI14__hip_bfloat16hLN4vllm18Fp8KVCacheDataTypeE1ES0_Li32ELi128ELi256ELb1ELi4EEvPKT_PKT0_S8_ifPKiSA_SA_iPKfiiiPfSD_PS3_PT2_iSC_SC_,comdat
.Lfunc_end1371:
	.size	_Z38paged_attention_ll4mi_QKV_mfma4_kernelI14__hip_bfloat16hLN4vllm18Fp8KVCacheDataTypeE1ES0_Li32ELi128ELi256ELb1ELi4EEvPKT_PKT0_S8_ifPKiSA_SA_iPKfiiiPfSD_PS3_PT2_iSC_SC_, .Lfunc_end1371-_Z38paged_attention_ll4mi_QKV_mfma4_kernelI14__hip_bfloat16hLN4vllm18Fp8KVCacheDataTypeE1ES0_Li32ELi128ELi256ELb1ELi4EEvPKT_PKT0_S8_ifPKiSA_SA_iPKfiiiPfSD_PS3_PT2_iSC_SC_
                                        ; -- End function
	.section	.AMDGPU.csdata,"",@progbits
; Kernel info:
; codeLenInByte = 5944
; NumSgprs: 51
; NumVgprs: 88
; NumAgprs: 4
; TotalNumVgprs: 92
; ScratchSize: 0
; MemoryBound: 0
; FloatMode: 240
; IeeeMode: 1
; LDSByteSize: 5280 bytes/workgroup (compile time only)
; SGPRBlocks: 6
; VGPRBlocks: 11
; NumSGPRsForWavesPerEU: 51
; NumVGPRsForWavesPerEU: 92
; AccumOffset: 88
; Occupancy: 5
; WaveLimiterHint : 1
; COMPUTE_PGM_RSRC2:SCRATCH_EN: 0
; COMPUTE_PGM_RSRC2:USER_SGPR: 2
; COMPUTE_PGM_RSRC2:TRAP_HANDLER: 0
; COMPUTE_PGM_RSRC2:TGID_X_EN: 1
; COMPUTE_PGM_RSRC2:TGID_Y_EN: 1
; COMPUTE_PGM_RSRC2:TGID_Z_EN: 1
; COMPUTE_PGM_RSRC2:TIDIG_COMP_CNT: 0
; COMPUTE_PGM_RSRC3_GFX90A:ACCUM_OFFSET: 21
; COMPUTE_PGM_RSRC3_GFX90A:TG_SPLIT: 0
	.section	.text._Z39paged_attention_ll4mi_QKV_mfma16_kernelI14__hip_bfloat16hLN4vllm18Fp8KVCacheDataTypeE1ES0_Li32ELi128ELi256ELb1ELi5EEvPKT_PKT0_S8_ifPKiSA_SA_iPKfiiiPfSD_PS3_PT2_iSC_SC_,"axG",@progbits,_Z39paged_attention_ll4mi_QKV_mfma16_kernelI14__hip_bfloat16hLN4vllm18Fp8KVCacheDataTypeE1ES0_Li32ELi128ELi256ELb1ELi5EEvPKT_PKT0_S8_ifPKiSA_SA_iPKfiiiPfSD_PS3_PT2_iSC_SC_,comdat
	.protected	_Z39paged_attention_ll4mi_QKV_mfma16_kernelI14__hip_bfloat16hLN4vllm18Fp8KVCacheDataTypeE1ES0_Li32ELi128ELi256ELb1ELi5EEvPKT_PKT0_S8_ifPKiSA_SA_iPKfiiiPfSD_PS3_PT2_iSC_SC_ ; -- Begin function _Z39paged_attention_ll4mi_QKV_mfma16_kernelI14__hip_bfloat16hLN4vllm18Fp8KVCacheDataTypeE1ES0_Li32ELi128ELi256ELb1ELi5EEvPKT_PKT0_S8_ifPKiSA_SA_iPKfiiiPfSD_PS3_PT2_iSC_SC_
	.globl	_Z39paged_attention_ll4mi_QKV_mfma16_kernelI14__hip_bfloat16hLN4vllm18Fp8KVCacheDataTypeE1ES0_Li32ELi128ELi256ELb1ELi5EEvPKT_PKT0_S8_ifPKiSA_SA_iPKfiiiPfSD_PS3_PT2_iSC_SC_
	.p2align	8
	.type	_Z39paged_attention_ll4mi_QKV_mfma16_kernelI14__hip_bfloat16hLN4vllm18Fp8KVCacheDataTypeE1ES0_Li32ELi128ELi256ELb1ELi5EEvPKT_PKT0_S8_ifPKiSA_SA_iPKfiiiPfSD_PS3_PT2_iSC_SC_,@function
_Z39paged_attention_ll4mi_QKV_mfma16_kernelI14__hip_bfloat16hLN4vllm18Fp8KVCacheDataTypeE1ES0_Li32ELi128ELi256ELb1ELi5EEvPKT_PKT0_S8_ifPKiSA_SA_iPKfiiiPfSD_PS3_PT2_iSC_SC_: ; @_Z39paged_attention_ll4mi_QKV_mfma16_kernelI14__hip_bfloat16hLN4vllm18Fp8KVCacheDataTypeE1ES0_Li32ELi128ELi256ELb1ELi5EEvPKT_PKT0_S8_ifPKiSA_SA_iPKfiiiPfSD_PS3_PT2_iSC_SC_
; %bb.0:
	s_load_dwordx2 s[10:11], s[0:1], 0x30
	s_mov_b32 s6, s3
	s_mov_b64 s[8:9], 0
	s_waitcnt lgkmcnt(0)
	s_cmp_lg_u64 s[10:11], 0
	s_cselect_b64 s[12:13], -1, 0
	s_and_b64 vcc, exec, s[12:13]
	s_cbranch_vccz .LBB1372_7
; %bb.1:
	s_add_i32 s14, s2, 1
	s_mov_b32 s15, 0
	s_lshl_b64 s[16:17], s[14:15], 2
	s_add_u32 s16, s10, s16
	s_mov_b32 s3, s15
	s_addc_u32 s17, s11, s17
	s_lshl_b64 s[14:15], s[2:3], 2
	s_add_u32 s14, s10, s14
	s_addc_u32 s15, s11, s15
	s_load_dword s5, s[16:17], 0x0
	s_load_dword s7, s[14:15], 0x0
	s_waitcnt lgkmcnt(0)
	s_sub_i32 s5, s5, s7
	s_cmp_eq_u32 s5, 1
	s_cselect_b64 s[14:15], -1, 0
	s_andn2_b64 vcc, exec, s[8:9]
	s_cbranch_vccnz .LBB1372_3
.LBB1372_2:
	s_mov_b32 s3, 0
	s_mov_b64 s[14:15], -1
.LBB1372_3:
	s_andn2_b64 vcc, exec, s[14:15]
	s_cbranch_vccnz .LBB1372_20
; %bb.4:
	s_load_dwordx2 s[8:9], s[0:1], 0x28
	s_lshl_b64 s[14:15], s[2:3], 2
	s_waitcnt lgkmcnt(0)
	s_add_u32 s8, s8, s14
	s_addc_u32 s9, s9, s15
	s_load_dword s7, s[8:9], 0x0
	s_lshl_b32 s18, s6, 8
	s_waitcnt lgkmcnt(0)
	s_cmp_ge_i32 s18, s7
	s_cbranch_scc1 .LBB1372_20
; %bb.5:
	s_load_dwordx2 s[8:9], s[0:1], 0x20
	s_load_dword s5, s[0:1], 0x38
	s_add_i32 s16, s7, 31
	s_ashr_i32 s17, s16, 31
	v_and_b32_e32 v1, 0xcf, v0
	s_lshr_b32 s17, s17, 27
	v_add_u32_e32 v1, s18, v1
	s_add_i32 s16, s16, s17
	v_ashrrev_i32_e32 v2, 31, v1
	s_ashr_i32 s19, s16, 5
	v_lshrrev_b32_e32 v4, 27, v2
	s_add_i32 s19, s19, -1
	s_waitcnt lgkmcnt(0)
	s_mul_i32 s16, s2, s5
	s_mov_b32 s17, 0
	v_add_u32_e32 v2, v1, v4
	s_lshl_b64 s[16:17], s[16:17], 2
	v_ashrrev_i32_e32 v2, 5, v2
	v_mov_b32_e32 v5, s19
	v_cmp_gt_i32_e32 vcc, s7, v1
	s_add_u32 s8, s8, s16
	s_addc_u32 s9, s9, s17
	v_cndmask_b32_e32 v2, v5, v2, vcc
	v_ashrrev_i32_e32 v3, 31, v2
	v_lshl_add_u64 v[6:7], v[2:3], 2, s[8:9]
	v_or_b32_e32 v2, 16, v1
	v_add_u32_e32 v3, v2, v4
	v_ashrrev_i32_e32 v3, 5, v3
	v_cmp_gt_i32_e32 vcc, s7, v2
	s_load_dwordx2 s[16:17], s[0:1], 0x8
	s_nop 0
	v_cndmask_b32_e32 v2, v5, v3, vcc
	v_ashrrev_i32_e32 v3, 31, v2
	v_lshl_add_u64 v[8:9], v[2:3], 2, s[8:9]
	v_or_b32_e32 v2, 32, v1
	v_add_u32_e32 v3, v2, v4
	v_ashrrev_i32_e32 v3, 5, v3
	v_cmp_gt_i32_e32 vcc, s7, v2
	v_or_b32_e32 v1, 48, v1
	s_nop 0
	v_cndmask_b32_e32 v2, v5, v3, vcc
	v_ashrrev_i32_e32 v3, 31, v2
	v_lshl_add_u64 v[12:13], v[2:3], 2, s[8:9]
	v_add_u32_e32 v2, v1, v4
	v_ashrrev_i32_e32 v2, 5, v2
	v_cmp_gt_i32_e32 vcc, s7, v1
	s_nop 1
	v_cndmask_b32_e32 v2, v5, v2, vcc
	v_ashrrev_i32_e32 v3, 31, v2
	v_lshl_add_u64 v[14:15], v[2:3], 2, s[8:9]
	global_load_dword v4, v[6:7], off
	global_load_dword v3, v[8:9], off
	;; [unrolled: 1-line block ×4, first 2 shown]
	s_andn2_b64 vcc, exec, s[12:13]
	s_cbranch_vccnz .LBB1372_8
; %bb.6:
	s_add_u32 s10, s10, s14
	s_addc_u32 s11, s11, s15
	s_load_dword s5, s[10:11], 0x0
	s_branch .LBB1372_9
.LBB1372_7:
	s_mov_b64 s[14:15], 0
	s_branch .LBB1372_2
.LBB1372_8:
	s_mov_b32 s5, s2
.LBB1372_9:
	s_load_dwordx2 s[10:11], s[0:1], 0x10
	s_load_dwordx4 s[44:47], s[0:1], 0x48
	v_lshrrev_b32_e32 v57, 6, v0
	v_bfe_u32 v62, v0, 4, 2
	v_and_b32_e32 v56, 15, v0
	v_lshl_or_b32 v5, v57, 2, v62
	v_lshlrev_b32_e32 v1, 3, v56
	s_mul_i32 s48, s4, 5
	v_cmp_gt_u32_e32 vcc, 5, v5
	v_lshlrev_b32_e32 v54, 1, v1
	v_lshlrev_b32_e32 v1, 4, v0
	s_and_saveexec_b64 s[12:13], vcc
	s_cbranch_execz .LBB1372_11
; %bb.10:
	s_load_dwordx2 s[14:15], s[0:1], 0x0
	s_waitcnt lgkmcnt(0)
	s_ashr_i32 s20, s44, 31
	s_mul_hi_u32 s21, s5, s44
	s_mul_i32 s20, s5, s20
	s_add_i32 s21, s21, s20
	s_mul_i32 s20, s5, s44
	s_lshl_b64 s[20:21], s[20:21], 1
	s_add_u32 s14, s14, s20
	v_add_lshl_u32 v6, v5, s48, 7
	s_addc_u32 s15, s15, s21
	v_ashrrev_i32_e32 v7, 31, v6
	v_lshl_add_u64 v[6:7], v[6:7], 1, s[14:15]
	v_mov_b32_e32 v55, 0
	v_lshl_add_u64 v[6:7], v[6:7], 0, v[54:55]
	global_load_dwordx4 v[6:9], v[6:7], off
	v_lshlrev_b32_e32 v12, 8, v0
	v_lshlrev_b32_e32 v11, 8, v56
	v_and_b32_e32 v12, 0x600, v12
	s_movk_i32 s5, 0x800
	v_and_or_b32 v11, v11, s5, v12
	v_lshlrev_b32_e32 v5, 5, v5
	v_and_b32_e32 v12, 16, v1
	v_or3_b32 v5, v11, v5, v12
	s_waitcnt vmcnt(0)
	ds_write_b128 v5, v[6:9]
.LBB1372_11:
	s_or_b64 exec, exec, s[12:13]
	s_waitcnt lgkmcnt(0)
	s_mul_i32 s12, s4, s46
	s_add_u32 s4, s16, s12
	s_addc_u32 s5, s17, 0
	v_mov_b32_e32 v59, 0
	v_mov_b64_e32 v[12:13], s[4:5]
	v_and_b32_e32 v34, 48, v0
	s_waitcnt vmcnt(3)
	v_mad_i64_i32 v[4:5], s[4:5], v4, s45, v[12:13]
	v_lshlrev_b32_e32 v14, 4, v56
	v_mov_b32_e32 v15, v59
	v_lshlrev_b32_e32 v58, 5, v34
	v_lshl_add_u64 v[4:5], v[4:5], 0, v[14:15]
	v_lshl_add_u64 v[4:5], v[4:5], 0, v[58:59]
	s_barrier
	global_load_dwordx4 v[50:53], v[4:5], off
	global_load_dwordx4 v[46:49], v[4:5], off offset:2048
	s_waitcnt vmcnt(4)
	v_mad_i64_i32 v[4:5], s[4:5], v3, s45, v[12:13]
	v_or_b32_e32 v16, 0x100, v14
	v_mov_b32_e32 v17, v59
	s_waitcnt vmcnt(3)
	v_mad_i64_i32 v[2:3], s[4:5], v2, s45, v[12:13]
	v_lshl_add_u64 v[4:5], v[4:5], 0, v[16:17]
	v_lshl_add_u64 v[2:3], v[2:3], 0, v[14:15]
	s_waitcnt vmcnt(2)
	v_mad_i64_i32 v[10:11], s[4:5], v10, s45, v[12:13]
	v_lshl_add_u64 v[4:5], v[4:5], 0, v[58:59]
	v_lshl_add_u64 v[14:15], v[2:3], 0, v[58:59]
	;; [unrolled: 1-line block ×3, first 2 shown]
	global_load_dwordx4 v[36:39], v[4:5], off
	global_load_dwordx4 v[6:9], v[4:5], off offset:2048
	s_nop 0
	global_load_dwordx4 v[2:5], v[14:15], off
	global_load_dwordx4 v[42:45], v[14:15], off offset:2048
	v_lshl_add_u64 v[14:15], v[10:11], 0, v[58:59]
	global_load_dwordx4 v[26:29], v[14:15], off
	global_load_dwordx4 v[10:13], v[14:15], off offset:2048
	v_mul_lo_u16_e32 v14, 52, v56
	v_mov_b32_e32 v15, 5
	v_mul_lo_u16_sdwa v14, v14, v15 dst_sel:DWORD dst_unused:UNUSED_PAD src0_sel:BYTE_1 src1_sel:DWORD
	v_sub_u16_e32 v14, v56, v14
	v_lshlrev_b32_sdwa v14, v15, v14 dst_sel:DWORD dst_unused:UNUSED_PAD src0_sel:DWORD src1_sel:BYTE_0
	v_lshl_add_u32 v14, v62, 9, v14
	ds_read_b128 v[30:33], v14
	ds_read_b128 v[22:25], v14 offset:16
	ds_read_b128 v[18:21], v14 offset:2048
	;; [unrolled: 1-line block ×3, first 2 shown]
	v_and_b32_e32 v55, 63, v0
	v_cmp_gt_u32_e32 vcc, 5, v56
	v_mov_b32_e32 v63, 0
	s_and_saveexec_b64 s[4:5], vcc
	s_cbranch_execz .LBB1372_13
; %bb.12:
	s_load_dwordx2 s[14:15], s[0:1], 0x40
	v_add_u32_e32 v40, s48, v56
	v_ashrrev_i32_e32 v41, 31, v40
	s_waitcnt lgkmcnt(0)
	v_lshl_add_u64 v[40:41], v[40:41], 2, s[14:15]
	global_load_dword v63, v[40:41], off
.LBB1372_13:
	s_or_b64 exec, exec, s[4:5]
	s_ashr_i32 s4, s18, 31
	v_or_b32_e32 v58, s18, v34
	s_lshr_b32 s4, s4, 27
	v_add_u32_e32 v34, s4, v58
	v_or_b32_e32 v40, 64, v58
	v_ashrrev_i32_e32 v34, 5, v34
	v_mov_b32_e32 v64, s19
	v_cmp_gt_i32_e32 vcc, s7, v58
	v_add_u32_e32 v41, s4, v40
	v_or_b32_e32 v60, 0x80, v58
	v_cndmask_b32_e32 v34, v64, v34, vcc
	v_ashrrev_i32_e32 v41, 5, v41
	v_cmp_gt_i32_e32 vcc, s7, v40
	v_add_u32_e32 v61, s4, v60
	v_or_b32_e32 v58, 0xc0, v58
	v_cndmask_b32_e32 v40, v64, v41, vcc
	v_ashrrev_i32_e32 v61, 5, v61
	v_cmp_gt_i32_e32 vcc, s7, v60
	v_add_u32_e32 v65, s4, v58
	v_ashrrev_i32_e32 v65, 5, v65
	v_cndmask_b32_e32 v60, v64, v61, vcc
	v_cmp_gt_i32_e32 vcc, s7, v58
	s_waitcnt vmcnt(7)
	v_cvt_pk_f32_fp8_sdwa v[66:67], v50 src0_sel:WORD_1
	s_mov_b32 s33, 0x7060302
	v_cndmask_b32_e32 v68, v64, v65, vcc
	v_cvt_pk_f32_fp8_e32 v[64:65], v50
	v_cvt_pk_f32_fp8_e32 v[70:71], v51
	v_cvt_pk_f32_fp8_sdwa v[50:51], v51 src0_sel:WORD_1
	v_cvt_pk_f32_fp8_e32 v[72:73], v52
	v_perm_b32 v64, v65, v64, s33
	v_perm_b32 v65, v67, v66, s33
	v_perm_b32 v70, v71, v70, s33
	v_cvt_pk_f32_fp8_sdwa v[74:75], v52 src0_sel:WORD_1
	v_perm_b32 v71, v51, v50, s33
	s_waitcnt lgkmcnt(3)
	v_mfma_f32_16x16x16_bf16 v[64:67], v[64:65], v[30:31], 0
	v_perm_b32 v72, v73, v72, s33
	v_perm_b32 v73, v75, v74, s33
	v_cvt_pk_f32_fp8_e32 v[74:75], v53
	v_cvt_pk_f32_fp8_sdwa v[76:77], v53 src0_sel:WORD_1
	v_mfma_f32_16x16x16_bf16 v[50:53], v[70:71], v[32:33], v[64:67]
	v_ashrrev_i32_e32 v35, 31, v34
	v_lshl_add_u64 v[34:35], v[34:35], 2, s[8:9]
	v_ashrrev_i32_e32 v41, 31, v40
	v_perm_b32 v64, v75, v74, s33
	v_perm_b32 v65, v77, v76, s33
	s_waitcnt lgkmcnt(2)
	v_mfma_f32_16x16x16_bf16 v[50:53], v[72:73], v[22:23], v[50:53]
	s_waitcnt vmcnt(6)
	v_cvt_pk_f32_fp8_e32 v[66:67], v46
	v_ashrrev_i32_e32 v61, 31, v60
	v_ashrrev_i32_e32 v69, 31, v68
	v_lshl_add_u64 v[40:41], v[40:41], 2, s[8:9]
	v_lshl_add_u64 v[60:61], v[60:61], 2, s[8:9]
	;; [unrolled: 1-line block ×3, first 2 shown]
	v_mfma_f32_16x16x16_bf16 v[50:53], v[64:65], v[24:25], v[50:53]
	v_perm_b32 v74, v67, v66, s33
	global_load_dword v68, v[34:35], off
	global_load_dword v66, v[40:41], off
	;; [unrolled: 1-line block ×4, first 2 shown]
	v_cvt_pk_f32_fp8_sdwa v[70:71], v46 src0_sel:WORD_1
	v_cvt_pk_f32_fp8_e32 v[40:41], v48
	s_waitcnt vmcnt(9)
	v_cvt_pk_f32_fp8_e32 v[60:61], v36
	s_add_u32 s4, s10, s12
	v_perm_b32 v75, v71, v70, s33
	v_cvt_pk_f32_fp8_e32 v[70:71], v47
	v_cvt_pk_f32_fp8_sdwa v[46:47], v47 src0_sel:WORD_1
	s_waitcnt lgkmcnt(1)
	v_mfma_f32_16x16x16_bf16 v[50:53], v[74:75], v[18:19], v[50:53]
	v_perm_b32 v34, v71, v70, s33
	v_perm_b32 v35, v47, v46, s33
	v_cvt_pk_f32_fp8_sdwa v[46:47], v48 src0_sel:WORD_1
	v_perm_b32 v40, v41, v40, s33
	v_mfma_f32_16x16x16_bf16 v[50:53], v[34:35], v[20:21], v[50:53]
	v_perm_b32 v41, v47, v46, s33
	v_cvt_pk_f32_fp8_e32 v[34:35], v49
	v_cvt_pk_f32_fp8_sdwa v[46:47], v49 src0_sel:WORD_1
	v_cvt_pk_f32_fp8_sdwa v[70:71], v36 src0_sel:WORD_1
	s_addc_u32 s5, s11, 0
	v_perm_b32 v34, v35, v34, s33
	v_perm_b32 v35, v47, v46, s33
	s_waitcnt lgkmcnt(0)
	v_mfma_f32_16x16x16_bf16 v[46:49], v[40:41], v[14:15], v[50:53]
	v_perm_b32 v40, v61, v60, s33
	v_perm_b32 v41, v71, v70, s33
	s_waitcnt vmcnt(8)
	v_cvt_pk_f32_fp8_sdwa v[60:61], v6 src0_sel:WORD_1
	v_cvt_pk_f32_fp8_e32 v[50:51], v37
	v_cvt_pk_f32_fp8_sdwa v[52:53], v37 src0_sel:WORD_1
	v_mfma_f32_16x16x16_bf16 v[34:37], v[34:35], v[16:17], v[46:49]
	v_and_b32_e32 v58, 16, v0
	v_perm_b32 v50, v51, v50, s33
	v_perm_b32 v51, v53, v52, s33
	v_mfma_f32_16x16x16_bf16 v[46:49], v[40:41], v[30:31], 0
	v_cvt_pk_f32_fp8_e32 v[40:41], v38
	v_cvt_pk_f32_fp8_sdwa v[52:53], v38 src0_sel:WORD_1
	v_lshl_or_b32 v64, v57, 4, v56
	v_mfma_f32_16x16x16_bf16 v[46:49], v[50:51], v[32:33], v[46:49]
	v_cvt_pk_f32_fp8_e32 v[50:51], v39
	v_perm_b32 v40, v41, v40, s33
	v_perm_b32 v41, v53, v52, s33
	v_cvt_pk_f32_fp8_sdwa v[38:39], v39 src0_sel:WORD_1
	v_perm_b32 v50, v51, v50, s33
	v_cvt_pk_f32_fp8_e32 v[52:53], v6
	s_waitcnt vmcnt(6)
	v_cvt_pk_f32_fp8_e32 v[74:75], v43
	v_perm_b32 v51, v39, v38, s33
	v_mfma_f32_16x16x16_bf16 v[38:41], v[40:41], v[22:23], v[46:49]
	s_nop 2
	v_perm_b32 v48, v53, v52, s33
	v_perm_b32 v49, v61, v60, s33
	v_cvt_pk_f32_fp8_e32 v[52:53], v7
	v_cvt_pk_f32_fp8_sdwa v[6:7], v7 src0_sel:WORD_1
	v_mfma_f32_16x16x16_bf16 v[38:41], v[50:51], v[24:25], v[38:41]
	v_lshl_add_u64 v[46:47], s[4:5], 0, v[58:59]
	v_perm_b32 v50, v53, v52, s33
	v_perm_b32 v51, v7, v6, s33
	v_mfma_f32_16x16x16_bf16 v[38:41], v[48:49], v[18:19], v[38:41]
	v_cvt_pk_f32_fp8_e32 v[6:7], v8
	v_cvt_pk_f32_fp8_sdwa v[48:49], v8 src0_sel:WORD_1
	v_cvt_pk_f32_fp8_sdwa v[52:53], v2 src0_sel:WORD_1
	v_mfma_f32_16x16x16_bf16 v[38:41], v[50:51], v[20:21], v[38:41]
	v_cvt_pk_f32_fp8_e32 v[50:51], v9
	v_perm_b32 v6, v7, v6, s33
	v_perm_b32 v7, v49, v48, s33
	v_cvt_pk_f32_fp8_sdwa v[8:9], v9 src0_sel:WORD_1
	v_perm_b32 v48, v51, v50, s33
	v_cvt_pk_f32_fp8_e32 v[50:51], v2
	v_lshlrev_b32_e32 v58, 5, v64
	v_perm_b32 v49, v9, v8, s33
	v_mfma_f32_16x16x16_bf16 v[6:9], v[6:7], v[14:15], v[38:41]
	v_perm_b32 v50, v51, v50, s33
	v_perm_b32 v51, v53, v52, s33
	v_cvt_pk_f32_fp8_e32 v[52:53], v3
	v_cvt_pk_f32_fp8_sdwa v[2:3], v3 src0_sel:WORD_1
	v_mfma_f32_16x16x16_bf16 v[38:41], v[48:49], v[16:17], v[6:9]
	v_lshl_add_u64 v[48:49], v[46:47], 0, v[58:59]
	v_perm_b32 v52, v53, v52, s33
	v_perm_b32 v53, v3, v2, s33
	v_mfma_f32_16x16x16_bf16 v[6:9], v[50:51], v[30:31], 0
	v_cvt_pk_f32_fp8_e32 v[2:3], v4
	v_cvt_pk_f32_fp8_sdwa v[50:51], v4 src0_sel:WORD_1
	s_waitcnt vmcnt(3)
	v_mad_i64_i32 v[60:61], s[4:5], v68, s45, v[48:49]
	v_perm_b32 v2, v3, v2, s33
	v_perm_b32 v3, v51, v50, s33
	v_mfma_f32_16x16x16_bf16 v[6:9], v[52:53], v[32:33], v[6:9]
	v_cvt_pk_f32_fp8_e32 v[50:51], v5
	v_cvt_pk_f32_fp8_sdwa v[4:5], v5 src0_sel:WORD_1
	s_waitcnt vmcnt(2)
	v_mad_i64_i32 v[70:71], s[4:5], v66, s45, v[48:49]
	v_perm_b32 v50, v51, v50, s33
	v_perm_b32 v51, v5, v4, s33
	v_mfma_f32_16x16x16_bf16 v[2:5], v[2:3], v[22:23], v[6:9]
	v_or_b32_e32 v58, 0x800, v58
	s_nop 1
	v_cvt_pk_f32_fp8_e32 v[6:7], v42
	v_cvt_pk_f32_fp8_sdwa v[8:9], v42 src0_sel:WORD_1
	v_cvt_pk_f32_fp8_sdwa v[42:43], v43 src0_sel:WORD_1
	v_mfma_f32_16x16x16_bf16 v[50:53], v[50:51], v[24:25], v[2:5]
	v_perm_b32 v72, v7, v6, s33
	v_perm_b32 v73, v9, v8, s33
	global_load_dwordx4 v[6:9], v[60:61], off
	global_load_dwordx4 v[2:5], v[70:71], off
	v_perm_b32 v60, v75, v74, s33
	v_perm_b32 v61, v43, v42, s33
	v_mfma_f32_16x16x16_bf16 v[70:73], v[72:73], v[18:19], v[50:53]
	v_cvt_pk_f32_fp8_e32 v[42:43], v44
	v_perm_b32 v42, v43, v42, s33
	s_nop 0
	v_cvt_pk_f32_fp8_sdwa v[52:53], v44 src0_sel:WORD_1
	v_mfma_f32_16x16x16_bf16 v[70:73], v[60:61], v[20:21], v[70:73]
	v_cvt_pk_f32_fp8_e32 v[60:61], v45
	s_waitcnt vmcnt(3)
	v_mad_i64_i32 v[50:51], s[4:5], v67, s45, v[48:49]
	s_load_dword s4, s[0:1], 0x1c
	s_load_dwordx4 s[40:43], s[0:1], 0x80
	v_perm_b32 v43, v53, v52, s33
	v_perm_b32 v74, v61, v60, s33
	v_cvt_pk_f32_fp8_e32 v[52:53], v26
	v_cvt_pk_f32_fp8_sdwa v[60:61], v26 src0_sel:WORD_1
	s_load_dword s44, s[0:1], 0x98
	s_waitcnt lgkmcnt(0)
	s_load_dword s5, s[40:41], 0x0
	v_cvt_pk_f32_fp8_sdwa v[44:45], v45 src0_sel:WORD_1
	v_perm_b32 v52, v53, v52, s33
	v_perm_b32 v53, v61, v60, s33
	v_cvt_pk_f32_fp8_e32 v[60:61], v27
	v_cvt_pk_f32_fp8_sdwa v[26:27], v27 src0_sel:WORD_1
	v_perm_b32 v75, v45, v44, s33
	v_mfma_f32_16x16x16_bf16 v[42:45], v[42:43], v[14:15], v[70:73]
	v_perm_b32 v60, v61, v60, s33
	v_perm_b32 v61, v27, v26, s33
	v_mov_b32_e32 v26, s4
	v_mfma_f32_16x16x16_bf16 v[70:73], v[52:53], v[30:31], 0
	s_waitcnt lgkmcnt(0)
	v_mul_f32_e32 v52, s5, v26
	v_cvt_pk_f32_fp8_e32 v[26:27], v28
	v_cvt_pk_f32_fp8_sdwa v[30:31], v28 src0_sel:WORD_1
	v_mfma_f32_16x16x16_bf16 v[70:73], v[60:61], v[32:33], v[70:73]
	v_cvt_pk_f32_fp8_e32 v[32:33], v29
	v_cvt_pk_f32_fp8_sdwa v[28:29], v29 src0_sel:WORD_1
	v_perm_b32 v26, v27, v26, s33
	v_perm_b32 v27, v31, v30, s33
	v_mfma_f32_16x16x16_bf16 v[42:45], v[74:75], v[16:17], v[42:45]
	v_perm_b32 v32, v33, v32, s33
	v_perm_b32 v33, v29, v28, s33
	v_cvt_pk_f32_fp8_e32 v[60:61], v10
	v_cvt_pk_f32_fp8_sdwa v[74:75], v10 src0_sel:WORD_1
	v_mfma_f32_16x16x16_bf16 v[26:29], v[26:27], v[22:23], v[70:73]
	v_pk_mul_f32 v[30:31], v[52:53], v[36:37] op_sel_hi:[0,1]
	v_perm_b32 v36, v61, v60, s33
	v_perm_b32 v37, v75, v74, s33
	v_cvt_pk_f32_fp8_e32 v[60:61], v11
	v_cvt_pk_f32_fp8_sdwa v[70:71], v11 src0_sel:WORD_1
	v_mfma_f32_16x16x16_bf16 v[22:25], v[32:33], v[24:25], v[26:29]
	v_pk_mul_f32 v[10:11], v[52:53], v[34:35] op_sel_hi:[0,1]
	v_perm_b32 v60, v61, v60, s33
	v_perm_b32 v61, v71, v70, s33
	v_mfma_f32_16x16x16_bf16 v[32:35], v[36:37], v[18:19], v[22:25]
	v_cvt_pk_f32_fp8_e32 v[18:19], v12
	v_cvt_pk_f32_fp8_sdwa v[36:37], v12 src0_sel:WORD_1
	s_waitcnt vmcnt(2)
	v_mad_i64_i32 v[48:49], s[8:9], v65, s45, v[48:49]
	global_load_dwordx4 v[26:29], v[50:51], off
	global_load_dwordx4 v[22:25], v[48:49], off
	v_perm_b32 v48, v19, v18, s33
	v_perm_b32 v49, v37, v36, s33
	v_cvt_pk_f32_fp8_e32 v[36:37], v13
	v_cvt_pk_f32_fp8_sdwa v[12:13], v13 src0_sel:WORD_1
	v_mfma_f32_16x16x16_bf16 v[18:21], v[60:61], v[20:21], v[32:35]
	v_pk_mul_f32 v[40:41], v[52:53], v[40:41] op_sel_hi:[0,1]
	v_pk_mul_f32 v[42:43], v[52:53], v[42:43] op_sel_hi:[0,1]
	s_mov_b32 s40, 0xff7fffff
	v_perm_b32 v32, v37, v36, s33
	v_perm_b32 v33, v13, v12, s33
	v_mfma_f32_16x16x16_bf16 v[12:15], v[48:49], v[14:15], v[18:21]
	v_pk_mul_f32 v[48:49], v[52:53], v[38:39] op_sel_hi:[0,1]
	v_pk_mul_f32 v[38:39], v[52:53], v[44:45] op_sel_hi:[0,1]
	v_mfma_f32_16x16x16_bf16 v[12:15], v[32:33], v[16:17], v[12:15]
	s_nop 6
	v_pk_mul_f32 v[36:37], v[52:53], v[12:13] op_sel_hi:[0,1]
	v_and_b32_e32 v12, 0xc0, v0
	v_add_u32_e32 v12, s18, v12
	v_lshl_or_b32 v12, v62, 2, v12
	v_or_b32_e32 v13, 1, v12
	v_pk_mul_f32 v[34:35], v[52:53], v[14:15] op_sel_hi:[0,1]
	v_subrev_u32_e32 v14, s7, v13
	v_add_u32_e32 v16, 1, v14
	v_add_u32_e32 v17, 2, v14
	v_cvt_f32_i32_e32 v15, v14
	v_cvt_f32_i32_e32 v16, v16
	;; [unrolled: 1-line block ×3, first 2 shown]
	v_add_u32_e32 v18, 3, v14
	v_fma_f32 v10, v63, v15, v10
	v_fmac_f32_e32 v11, v63, v16
	v_fma_f32 v51, v63, v17, v30
	v_add_u32_e32 v15, 16, v14
	v_add_u32_e32 v16, 17, v14
	;; [unrolled: 1-line block ×3, first 2 shown]
	v_cvt_f32_i32_e32 v18, v18
	v_cvt_f32_i32_e32 v15, v15
	;; [unrolled: 1-line block ×4, first 2 shown]
	v_fmac_f32_e32 v31, v63, v18
	v_add_u32_e32 v18, 19, v14
	v_fma_f32 v48, v63, v15, v48
	v_fmac_f32_e32 v49, v63, v16
	v_fma_f32 v40, v63, v17, v40
	v_add_u32_e32 v15, 32, v14
	v_add_u32_e32 v16, 33, v14
	;; [unrolled: 1-line block ×3, first 2 shown]
	v_cvt_f32_i32_e32 v18, v18
	v_cvt_f32_i32_e32 v15, v15
	;; [unrolled: 1-line block ×4, first 2 shown]
	v_fmac_f32_e32 v41, v63, v18
	v_add_u32_e32 v18, 35, v14
	v_fma_f32 v42, v63, v15, v42
	v_fmac_f32_e32 v43, v63, v16
	v_fma_f32 v38, v63, v17, v38
	v_add_u32_e32 v15, 48, v14
	v_add_u32_e32 v16, 49, v14
	;; [unrolled: 1-line block ×4, first 2 shown]
	v_cvt_f32_i32_e32 v14, v14
	v_cvt_f32_i32_e32 v15, v15
	;; [unrolled: 1-line block ×3, first 2 shown]
	v_cmp_gt_i32_e64 s[8:9], s7, v12
	v_fmac_f32_e32 v35, v63, v14
	v_mov_b32_e32 v14, 0xff7fffff
	v_cmp_gt_i32_e64 s[10:11], s7, v13
	v_fma_f32 v36, v63, v15, v36
	v_cndmask_b32_e64 v15, v14, v10, s[8:9]
	v_cndmask_b32_e64 v13, v14, v11, s[10:11]
	v_fmac_f32_e32 v37, v63, v16
	v_max3_f32 v13, v15, s40, v13
	v_or_b32_e32 v15, 2, v12
	v_or_b32_e32 v16, 3, v12
	v_cmp_gt_i32_e64 s[12:13], s7, v15
	v_cmp_gt_i32_e64 s[14:15], s7, v16
	v_cvt_f32_i32_e32 v18, v18
	v_cndmask_b32_e64 v15, v14, v51, s[12:13]
	v_cndmask_b32_e64 v16, v14, v31, s[14:15]
	v_max3_f32 v13, v13, v15, v16
	v_or_b32_e32 v15, 16, v12
	v_or_b32_e32 v16, 17, v12
	v_cmp_gt_i32_e64 s[16:17], s7, v15
	v_cmp_gt_i32_e64 s[18:19], s7, v16
	v_fmac_f32_e32 v39, v63, v18
	v_cndmask_b32_e64 v15, v14, v48, s[16:17]
	v_cndmask_b32_e64 v16, v14, v49, s[18:19]
	v_max3_f32 v13, v13, v15, v16
	v_or_b32_e32 v15, 18, v12
	v_or_b32_e32 v16, 19, v12
	v_cmp_gt_i32_e64 s[20:21], s7, v15
	v_cmp_gt_i32_e64 s[22:23], s7, v16
	v_cvt_f32_i32_e32 v17, v17
	v_cndmask_b32_e64 v15, v14, v40, s[20:21]
	v_cndmask_b32_e64 v16, v14, v41, s[22:23]
	v_max3_f32 v13, v13, v15, v16
	v_or_b32_e32 v15, 32, v12
	v_or_b32_e32 v16, 33, v12
	v_cmp_gt_i32_e64 s[24:25], s7, v15
	v_cmp_gt_i32_e64 s[26:27], s7, v16
	v_fma_f32 v34, v63, v17, v34
	v_cndmask_b32_e64 v15, v14, v42, s[24:25]
	v_cndmask_b32_e64 v16, v14, v43, s[26:27]
	v_max3_f32 v13, v13, v15, v16
	v_or_b32_e32 v15, 34, v12
	v_or_b32_e32 v16, 35, v12
	v_cmp_gt_i32_e64 s[28:29], s7, v15
	v_cmp_gt_i32_e64 s[30:31], s7, v16
	s_nop 0
	v_cndmask_b32_e64 v15, v14, v38, s[28:29]
	v_cndmask_b32_e64 v16, v14, v39, s[30:31]
	v_max3_f32 v13, v13, v15, v16
	v_or_b32_e32 v15, 48, v12
	v_or_b32_e32 v16, 49, v12
	v_cmp_gt_i32_e64 s[34:35], s7, v15
	v_cmp_gt_i32_e64 s[36:37], s7, v16
	s_nop 0
	v_cndmask_b32_e64 v15, v14, v36, s[34:35]
	v_cndmask_b32_e64 v16, v14, v37, s[36:37]
	v_max3_f32 v13, v13, v15, v16
	v_or_b32_e32 v15, 50, v12
	v_or_b32_e32 v12, 51, v12
	v_cmp_gt_i32_e32 vcc, s7, v15
	v_cmp_gt_i32_e64 s[4:5], s7, v12
	s_nop 0
	v_cndmask_b32_e32 v15, v14, v34, vcc
	v_cndmask_b32_e64 v12, v14, v35, s[4:5]
	v_max3_f32 v16, v13, v15, v12
	v_mbcnt_lo_u32_b32 v12, -1, 0
	v_mbcnt_hi_u32_b32 v17, -1, v12
	v_and_b32_e32 v12, 64, v17
	v_add_u32_e32 v18, 64, v12
	v_xor_b32_e32 v12, 32, v17
	v_cmp_lt_i32_e64 s[38:39], v12, v18
	s_nop 1
	v_cndmask_b32_e64 v12, v17, v12, s[38:39]
	v_lshlrev_b32_e32 v52, 2, v12
	ds_bpermute_b32 v19, v52, v16
	v_lshl_add_u64 v[12:13], v[46:47], 0, v[58:59]
	v_mad_i64_i32 v[14:15], s[38:39], v68, s45, v[12:13]
	s_waitcnt lgkmcnt(0)
	v_max_f32_e32 v19, v19, v19
	v_max_f32_e32 v19, v16, v19
	v_xor_b32_e32 v16, 16, v17
	v_cmp_lt_i32_e64 s[38:39], v16, v18
	s_nop 1
	v_cndmask_b32_e64 v16, v17, v16, s[38:39]
	v_lshlrev_b32_e32 v53, 2, v16
	ds_bpermute_b32 v18, v53, v19
	v_mad_i64_i32 v[16:17], s[38:39], v66, s45, v[12:13]
	v_mad_i64_i32 v[44:45], s[38:39], v67, s45, v[12:13]
	s_waitcnt lgkmcnt(0)
	v_max_f32_e32 v18, v18, v18
	v_max_f32_e32 v50, v19, v18
	v_sub_f32_e32 v10, v10, v50
	v_mul_f32_e32 v10, 0x3fb8aa3b, v10
	v_exp_f32_e32 v18, v10
	v_sub_f32_e32 v10, v11, v50
	v_mul_f32_e32 v10, 0x3fb8aa3b, v10
	v_exp_f32_e32 v19, v10
	v_mad_i64_i32 v[10:11], s[38:39], v65, s45, v[12:13]
	v_sub_f32_e32 v12, v51, v50
	v_mul_f32_e32 v12, 0x3fb8aa3b, v12
	v_cndmask_b32_e64 v46, 0, v18, s[8:9]
	v_cndmask_b32_e64 v47, 0, v19, s[10:11]
	v_sub_f32_e32 v58, v31, v50
	global_load_dwordx4 v[30:33], v[14:15], off
	global_load_dwordx4 v[18:21], v[16:17], off
	v_exp_f32_e32 v51, v12
	global_load_dwordx4 v[14:17], v[44:45], off
	s_nop 0
	global_load_dwordx4 v[10:13], v[10:11], off
	v_sub_f32_e32 v45, v48, v50
	v_sub_f32_e32 v48, v49, v50
	;; [unrolled: 1-line block ×4, first 2 shown]
	v_mul_f32_e32 v44, 0x3fb8aa3b, v58
	v_mul_f32_e32 v45, 0x3fb8aa3b, v45
	;; [unrolled: 1-line block ×5, first 2 shown]
	v_exp_f32_e32 v44, v44
	v_exp_f32_e32 v45, v45
	;; [unrolled: 1-line block ×3, first 2 shown]
	v_cndmask_b32_e64 v48, 0, v51, s[12:13]
	v_exp_f32_e32 v40, v40
	v_exp_f32_e32 v51, v42
	v_sub_f32_e32 v42, v43, v50
	v_mul_f32_e32 v42, 0x3fb8aa3b, v42
	v_cndmask_b32_e64 v49, 0, v44, s[14:15]
	v_cndmask_b32_e64 v44, 0, v45, s[16:17]
	;; [unrolled: 1-line block ×3, first 2 shown]
	v_sub_f32_e32 v41, v41, v50
	v_exp_f32_e32 v58, v42
	v_cndmask_b32_e64 v42, 0, v40, s[20:21]
	v_cndmask_b32_e64 v40, 0, v51, s[24:25]
	v_add_f32_e32 v51, 0, v46
	v_mul_f32_e32 v41, 0x3fb8aa3b, v41
	v_add_f32_e32 v51, v51, v47
	v_exp_f32_e32 v41, v41
	v_add_f32_e32 v51, v51, v48
	v_sub_f32_e32 v38, v38, v50
	v_add_f32_e32 v51, v51, v49
	v_sub_f32_e32 v39, v39, v50
	v_mul_f32_e32 v38, 0x3fb8aa3b, v38
	v_add_f32_e32 v51, v51, v44
	v_exp_f32_e32 v38, v38
	v_mul_f32_e32 v39, 0x3fb8aa3b, v39
	v_sub_f32_e32 v36, v36, v50
	v_add_f32_e32 v51, v51, v45
	v_cndmask_b32_e64 v43, 0, v41, s[22:23]
	v_exp_f32_e32 v39, v39
	v_mul_f32_e32 v36, 0x3fb8aa3b, v36
	v_sub_f32_e32 v37, v37, v50
	v_add_f32_e32 v51, v51, v42
	v_exp_f32_e32 v36, v36
	v_mul_f32_e32 v37, 0x3fb8aa3b, v37
	v_add_f32_e32 v51, v51, v43
	v_sub_f32_e32 v34, v34, v50
	v_cndmask_b32_e64 v41, 0, v58, s[26:27]
	v_exp_f32_e32 v37, v37
	v_add_f32_e32 v51, v51, v40
	v_mul_f32_e32 v34, 0x3fb8aa3b, v34
	v_sub_f32_e32 v35, v35, v50
	v_cndmask_b32_e64 v38, 0, v38, s[28:29]
	v_add_f32_e32 v51, v51, v41
	v_exp_f32_e32 v34, v34
	v_mul_f32_e32 v35, 0x3fb8aa3b, v35
	v_cndmask_b32_e64 v39, 0, v39, s[30:31]
	v_add_f32_e32 v51, v51, v38
	v_exp_f32_e32 v35, v35
	v_cndmask_b32_e64 v36, 0, v36, s[34:35]
	v_add_f32_e32 v51, v51, v39
	v_cndmask_b32_e64 v37, 0, v37, s[36:37]
	v_add_f32_e32 v51, v51, v36
	v_add_f32_e32 v51, v51, v37
	v_cndmask_b32_e32 v34, 0, v34, vcc
	v_add_f32_e32 v51, v51, v34
	v_cndmask_b32_e64 v35, 0, v35, s[4:5]
	v_add_f32_e32 v51, v51, v35
	ds_bpermute_b32 v52, v52, v51
	v_cmp_gt_u32_e64 s[4:5], 16, v55
	s_waitcnt lgkmcnt(0)
	s_barrier
	v_add_f32_e32 v51, v51, v52
	ds_bpermute_b32 v52, v53, v51
	s_and_saveexec_b64 s[8:9], s[4:5]
	s_cbranch_execz .LBB1372_15
; %bb.14:
	s_waitcnt lgkmcnt(0)
	v_add_f32_e32 v51, v51, v52
	v_lshlrev_b32_e32 v52, 2, v64
	ds_write2st64_b32 v52, v50, v51 offset1:1
.LBB1372_15:
	s_or_b64 exec, exec, s[8:9]
	v_lshlrev_b32_e32 v51, 2, v56
	s_load_dword s7, s[0:1], 0x94
	s_waitcnt lgkmcnt(0)
	s_barrier
	ds_read2_b32 v[52:53], v51 offset1:16
	ds_read2_b32 v[58:59], v51 offset0:32 offset1:48
	ds_read2_b32 v[60:61], v51 offset0:64 offset1:80
	s_movk_i32 s11, 0x7fff
	s_mul_i32 s10, s44, 5
	s_waitcnt lgkmcnt(2)
	v_max3_f32 v50, v52, s40, v53
	s_waitcnt lgkmcnt(1)
	v_max3_f32 v50, v50, v58, v59
	v_sub_f32_e32 v52, v52, v50
	v_mul_f32_e32 v52, 0x3fb8aa3b, v52
	v_exp_f32_e32 v55, v52
	v_sub_f32_e32 v52, v53, v50
	v_mul_f32_e32 v52, 0x3fb8aa3b, v52
	v_exp_f32_e32 v63, v52
	;; [unrolled: 3-line block ×3, first 2 shown]
	ds_read2_b32 v[52:53], v51 offset0:96 offset1:112
	v_sub_f32_e32 v51, v59, v50
	v_mul_f32_e32 v51, 0x3fb8aa3b, v51
	v_exp_f32_e32 v59, v51
	s_waitcnt lgkmcnt(1)
	v_fma_f32 v51, v55, v60, 0
	v_fmac_f32_e32 v51, v63, v61
	s_waitcnt lgkmcnt(0)
	v_fmac_f32_e32 v51, v58, v52
	v_fmac_f32_e32 v51, v59, v53
	v_add_f32_e32 v52, 0x358637bd, v51
	v_div_scale_f32 v53, s[8:9], v52, v52, 1.0
	v_rcp_f32_e32 v60, v53
	s_barrier
	v_fma_f32 v61, -v53, v60, 1.0
	v_fmac_f32_e32 v60, v61, v60
	v_div_scale_f32 v61, vcc, 1.0, v52, 1.0
	v_mul_f32_e32 v64, v61, v60
	v_fma_f32 v65, -v53, v64, v61
	v_fmac_f32_e32 v64, v65, v60
	v_fma_f32 v53, -v53, v64, v61
	v_div_fmas_f32 v53, v53, v60, v64
	v_cmp_eq_u32_e32 vcc, 1, v57
	v_div_fixup_f32 v52, v53, v52, 1.0
	s_nop 0
	v_cndmask_b32_e32 v53, v55, v63, vcc
	v_cmp_eq_u32_e32 vcc, 2, v57
	s_nop 1
	v_cndmask_b32_e32 v53, v53, v58, vcc
	v_cmp_eq_u32_e32 vcc, 3, v57
	s_nop 1
	v_cndmask_b32_e32 v53, v53, v59, vcc
	v_mul_f32_e32 v52, v53, v52
	v_pk_mul_f32 v[46:47], v[52:53], v[46:47] op_sel_hi:[0,1]
	v_pk_mul_f32 v[48:49], v[52:53], v[48:49] op_sel_hi:[0,1]
	v_bfe_u32 v53, v47, 16, 1
	v_bfe_u32 v55, v46, 16, 1
	v_add3_u32 v46, v46, v55, s11
	v_add3_u32 v47, v47, v53, s11
	v_perm_b32 v58, v47, v46, s33
	v_bfe_u32 v46, v49, 16, 1
	v_bfe_u32 v47, v48, 16, 1
	v_add3_u32 v47, v48, v47, s11
	v_add3_u32 v46, v49, v46, s11
	v_perm_b32 v59, v46, v47, s33
	v_lshlrev_b32_e32 v47, 3, v62
	v_lshlrev_b32_e32 v46, 5, v56
	;; [unrolled: 1-line block ×3, first 2 shown]
	v_pk_mul_f32 v[44:45], v[52:53], v[44:45] op_sel_hi:[0,1]
	v_or3_b32 v55, v48, v46, v47
	v_bfe_u32 v47, v45, 16, 1
	v_bfe_u32 v48, v44, 16, 1
	v_pk_mul_f32 v[42:43], v[52:53], v[42:43] op_sel_hi:[0,1]
	v_add3_u32 v44, v44, v48, s11
	v_add3_u32 v45, v45, v47, s11
	v_perm_b32 v44, v45, v44, s33
	v_bfe_u32 v45, v43, 16, 1
	v_bfe_u32 v47, v42, 16, 1
	v_add3_u32 v42, v42, v47, s11
	v_add3_u32 v43, v43, v45, s11
	v_pk_mul_f32 v[40:41], v[52:53], v[40:41] op_sel_hi:[0,1]
	v_perm_b32 v45, v43, v42, s33
	v_bfe_u32 v42, v41, 16, 1
	v_bfe_u32 v43, v40, 16, 1
	v_pk_mul_f32 v[38:39], v[52:53], v[38:39] op_sel_hi:[0,1]
	v_add3_u32 v40, v40, v43, s11
	v_add3_u32 v41, v41, v42, s11
	v_perm_b32 v40, v41, v40, s33
	v_bfe_u32 v41, v39, 16, 1
	v_bfe_u32 v42, v38, 16, 1
	v_add3_u32 v38, v38, v42, s11
	v_add3_u32 v39, v39, v41, s11
	v_pk_mul_f32 v[36:37], v[52:53], v[36:37] op_sel_hi:[0,1]
	v_perm_b32 v41, v39, v38, s33
	v_bfe_u32 v38, v37, 16, 1
	v_bfe_u32 v39, v36, 16, 1
	v_pk_mul_f32 v[34:35], v[52:53], v[34:35] op_sel_hi:[0,1]
	v_add3_u32 v36, v36, v39, s11
	v_add3_u32 v37, v37, v38, s11
	v_perm_b32 v36, v37, v36, s33
	v_bfe_u32 v37, v35, 16, 1
	v_bfe_u32 v38, v34, 16, 1
	v_add3_u32 v34, v34, v38, s11
	v_add3_u32 v35, v35, v37, s11
	v_perm_b32 v37, v35, v34, s33
	v_cmp_gt_u32_e32 vcc, 5, v0
	ds_write2st64_b64 v55, v[58:59], v[44:45] offset1:1
	ds_write2st64_b64 v55, v[40:41], v[36:37] offset0:2 offset1:3
	s_and_saveexec_b64 s[8:9], vcc
	s_cbranch_execz .LBB1372_17
; %bb.16:
	s_mov_b32 s49, 0
	v_mov_b32_e32 v57, 0
	v_lshl_add_u64 v[34:35], s[48:49], 0, v[56:57]
	v_mov_b32_e32 v36, s10
	v_mad_u64_u32 v[34:35], s[16:17], s2, v36, v[34:35]
	s_mul_i32 s3, s3, s10
	v_mov_b32_e32 v36, s6
	v_mov_b32_e32 v37, v57
	s_load_dwordx4 s[12:15], s[0:1], 0x58
	v_add_u32_e32 v38, s3, v35
	v_mad_u64_u32 v[34:35], s[16:17], v34, s7, v[36:37]
	v_mov_b32_e32 v36, v35
	v_mad_u64_u32 v[36:37], s[16:17], v38, s7, v[36:37]
	v_mov_b32_e32 v35, v36
	v_lshlrev_b64 v[34:35], 2, v[34:35]
	s_waitcnt lgkmcnt(0)
	v_lshl_add_u64 v[36:37], s[14:15], 0, v[34:35]
	v_lshl_add_u64 v[34:35], s[12:13], 0, v[34:35]
	global_store_dword v[36:37], v50, off
	global_store_dword v[34:35], v51, off
.LBB1372_17:
	s_or_b64 exec, exec, s[8:9]
	s_waitcnt vmcnt(7)
	v_cvt_pk_f32_fp8_e32 v[34:35], v6
	v_cvt_pk_f32_fp8_sdwa v[36:37], v6 src0_sel:WORD_1
	v_lshl_or_b32 v50, v62, 9, v46
	s_mov_b32 s9, 0x7060302
	s_waitcnt lgkmcnt(0)
	s_barrier
	v_cvt_pk_f32_fp8_e32 v[38:39], v7
	v_perm_b32 v6, v35, v34, s9
	v_cvt_pk_f32_fp8_sdwa v[40:41], v7 src0_sel:WORD_1
	v_perm_b32 v7, v37, v36, s9
	ds_read_b128 v[34:37], v50
	v_perm_b32 v46, v39, v38, s9
	v_perm_b32 v47, v41, v40, s9
	ds_read_b128 v[38:41], v50 offset:16
	v_cvt_pk_f32_fp8_e32 v[48:49], v8
	v_cvt_pk_f32_fp8_sdwa v[52:53], v8 src0_sel:WORD_1
	s_waitcnt lgkmcnt(1)
	v_mfma_f32_16x16x16_bf16 v[42:45], v[6:7], v[34:35], 0
	s_waitcnt vmcnt(6)
	v_cvt_pk_f32_fp8_e32 v[58:59], v4
	v_perm_b32 v6, v49, v48, s9
	v_perm_b32 v7, v53, v52, s9
	v_cvt_pk_f32_fp8_e32 v[48:49], v9
	v_mfma_f32_16x16x16_bf16 v[42:45], v[46:47], v[36:37], v[42:45]
	v_cvt_pk_f32_fp8_sdwa v[46:47], v9 src0_sel:WORD_1
	v_cvt_pk_f32_fp8_sdwa v[60:61], v4 src0_sel:WORD_1
	v_perm_b32 v48, v49, v48, s9
	s_waitcnt lgkmcnt(0)
	v_mfma_f32_16x16x16_bf16 v[6:9], v[6:7], v[38:39], v[42:45]
	v_perm_b32 v49, v47, v46, s9
	s_waitcnt vmcnt(5)
	v_cvt_pk_f32_fp8_e32 v[64:65], v28
	v_cvt_pk_f32_fp8_sdwa v[66:67], v28 src0_sel:WORD_1
	v_cvt_pk_f32_fp8_e32 v[42:43], v2
	v_mfma_f32_16x16x16_bf16 v[46:49], v[48:49], v[40:41], v[6:9]
	s_waitcnt vmcnt(4)
	v_cvt_pk_f32_fp8_sdwa v[68:69], v24 src0_sel:WORD_1
	s_load_dword s8, s[42:43], 0x0
	v_cvt_pk_f32_fp8_sdwa v[6:7], v2 src0_sel:WORD_1
	v_cvt_pk_f32_fp8_e32 v[8:9], v3
	v_perm_b32 v2, v43, v42, s9
	v_cvt_pk_f32_fp8_sdwa v[42:43], v3 src0_sel:WORD_1
	v_perm_b32 v3, v7, v6, s9
	v_perm_b32 v52, v9, v8, s9
	ds_read_b128 v[6:9], v50 offset:2048
	v_perm_b32 v53, v43, v42, s9
	ds_read_b128 v[42:45], v50 offset:2064
	s_waitcnt lgkmcnt(0)
	v_mfma_f32_16x16x16_bf16 v[46:49], v[2:3], v[6:7], v[46:49]
	v_perm_b32 v2, v59, v58, s9
	v_perm_b32 v3, v61, v60, s9
	v_cvt_pk_f32_fp8_e32 v[58:59], v5
	v_mfma_f32_16x16x16_bf16 v[46:49], v[52:53], v[8:9], v[46:49]
	v_cvt_pk_f32_fp8_sdwa v[52:53], v5 src0_sel:WORD_1
	s_waitcnt vmcnt(3)
	v_cvt_pk_f32_fp8_sdwa v[70:71], v32 src0_sel:WORD_1
	v_perm_b32 v58, v59, v58, s9
	v_mfma_f32_16x16x16_bf16 v[2:5], v[2:3], v[42:43], v[46:49]
	v_perm_b32 v59, v53, v52, s9
	s_mov_b32 s3, 0
	v_cmp_gt_u32_e32 vcc, 64, v0
	v_cvt_pk_f32_fp8_e32 v[46:47], v26
	v_mfma_f32_16x16x16_bf16 v[58:61], v[58:59], v[44:45], v[2:5]
	s_nop 2
	v_cvt_pk_f32_fp8_sdwa v[2:3], v26 src0_sel:WORD_1
	v_cvt_pk_f32_fp8_e32 v[4:5], v27
	v_perm_b32 v26, v47, v46, s9
	v_cvt_pk_f32_fp8_sdwa v[46:47], v27 src0_sel:WORD_1
	v_perm_b32 v27, v3, v2, s9
	v_perm_b32 v52, v5, v4, s9
	ds_read_b128 v[2:5], v50 offset:4096
	v_perm_b32 v53, v47, v46, s9
	ds_read_b128 v[46:49], v50 offset:4112
	s_waitcnt lgkmcnt(1)
	v_mfma_f32_16x16x16_bf16 v[58:61], v[26:27], v[2:3], v[58:61]
	v_perm_b32 v26, v65, v64, s9
	v_perm_b32 v27, v67, v66, s9
	v_cvt_pk_f32_fp8_e32 v[64:65], v29
	v_mfma_f32_16x16x16_bf16 v[58:61], v[52:53], v[4:5], v[58:61]
	v_cvt_pk_f32_fp8_sdwa v[52:53], v29 src0_sel:WORD_1
	v_cvt_pk_f32_fp8_e32 v[66:67], v24
	v_perm_b32 v64, v65, v64, s9
	s_waitcnt lgkmcnt(0)
	v_mfma_f32_16x16x16_bf16 v[26:29], v[26:27], v[46:47], v[58:61]
	v_perm_b32 v65, v53, v52, s9
	v_cvt_pk_f32_fp8_e32 v[52:53], v22
	s_nop 0
	v_mfma_f32_16x16x16_bf16 v[58:61], v[64:65], v[48:49], v[26:29]
	s_nop 2
	v_cvt_pk_f32_fp8_sdwa v[26:27], v22 src0_sel:WORD_1
	v_cvt_pk_f32_fp8_e32 v[28:29], v23
	v_perm_b32 v22, v53, v52, s9
	v_cvt_pk_f32_fp8_sdwa v[52:53], v23 src0_sel:WORD_1
	v_perm_b32 v23, v27, v26, s9
	v_perm_b32 v64, v29, v28, s9
	ds_read_b128 v[26:29], v50 offset:6144
	v_perm_b32 v65, v53, v52, s9
	s_waitcnt lgkmcnt(0)
	v_mfma_f32_16x16x16_bf16 v[58:61], v[22:23], v[26:27], v[58:61]
	ds_read_b128 v[50:53], v50 offset:6160
	v_perm_b32 v22, v67, v66, s9
	v_perm_b32 v23, v69, v68, s9
	v_cvt_pk_f32_fp8_e32 v[66:67], v25
	v_mfma_f32_16x16x16_bf16 v[58:61], v[64:65], v[28:29], v[58:61]
	v_cvt_pk_f32_fp8_sdwa v[64:65], v25 src0_sel:WORD_1
	v_cvt_pk_f32_fp8_e32 v[68:69], v32
	v_perm_b32 v66, v67, v66, s9
	s_waitcnt lgkmcnt(0)
	v_mfma_f32_16x16x16_bf16 v[22:25], v[22:23], v[50:51], v[58:61]
	v_perm_b32 v67, v65, v64, s9
	s_barrier
	s_nop 0
	v_mfma_f32_16x16x16_bf16 v[58:61], v[66:67], v[52:53], v[22:25]
	s_nop 2
	v_cvt_pk_f32_fp8_e32 v[24:25], v30
	v_perm_b32 v24, v25, v24, s9
	s_nop 1
	v_pk_mul_f32 v[22:23], v[60:61], s[8:9] op_sel_hi:[1,0]
	v_cvt_pk_f32_fp8_sdwa v[60:61], v30 src0_sel:WORD_1
	v_pk_mul_f32 v[64:65], v[58:59], s[8:9] op_sel_hi:[1,0]
	v_cvt_pk_f32_fp8_e32 v[58:59], v31
	v_cvt_pk_f32_fp8_sdwa v[30:31], v31 src0_sel:WORD_1
	v_perm_b32 v25, v61, v60, s9
	v_bfe_u32 v57, v65, 16, 1
	v_perm_b32 v66, v59, v58, s9
	v_perm_b32 v67, v31, v30, s9
	v_mfma_f32_16x16x16_bf16 v[58:61], v[24:25], v[34:35], 0
	v_perm_b32 v24, v69, v68, s9
	v_perm_b32 v25, v71, v70, s9
	v_cvt_pk_f32_fp8_e32 v[34:35], v33
	v_cvt_pk_f32_fp8_sdwa v[68:69], v33 src0_sel:WORD_1
	v_mfma_f32_16x16x16_bf16 v[30:33], v[66:67], v[36:37], v[58:61]
	s_waitcnt vmcnt(2)
	v_cvt_pk_f32_fp8_sdwa v[36:37], v18 src0_sel:WORD_1
	v_perm_b32 v34, v35, v34, s9
	v_perm_b32 v35, v69, v68, s9
	v_mfma_f32_16x16x16_bf16 v[30:33], v[24:25], v[38:39], v[30:33]
	v_cvt_pk_f32_fp8_e32 v[24:25], v18
	v_cvt_pk_f32_fp8_sdwa v[38:39], v20 src0_sel:WORD_1
	v_bfe_u32 v58, v64, 16, 1
	v_mfma_f32_16x16x16_bf16 v[30:33], v[34:35], v[40:41], v[30:33]
	v_cvt_pk_f32_fp8_e32 v[34:35], v19
	v_perm_b32 v24, v25, v24, s9
	v_perm_b32 v25, v37, v36, s9
	v_cvt_pk_f32_fp8_sdwa v[18:19], v19 src0_sel:WORD_1
	v_perm_b32 v34, v35, v34, s9
	v_cvt_pk_f32_fp8_e32 v[36:37], v20
	v_mfma_f32_16x16x16_bf16 v[30:33], v[24:25], v[6:7], v[30:33]
	v_perm_b32 v35, v19, v18, s9
	v_perm_b32 v18, v37, v36, s9
	;; [unrolled: 1-line block ×3, first 2 shown]
	v_cvt_pk_f32_fp8_e32 v[24:25], v21
	v_cvt_pk_f32_fp8_sdwa v[20:21], v21 src0_sel:WORD_1
	v_mfma_f32_16x16x16_bf16 v[6:9], v[34:35], v[8:9], v[30:33]
	v_perm_b32 v24, v25, v24, s9
	v_perm_b32 v25, v21, v20, s9
	v_mfma_f32_16x16x16_bf16 v[6:9], v[18:19], v[42:43], v[6:9]
	s_waitcnt vmcnt(1)
	v_cvt_pk_f32_fp8_e32 v[18:19], v14
	v_cvt_pk_f32_fp8_sdwa v[20:21], v14 src0_sel:WORD_1
	v_cvt_pk_f32_fp8_sdwa v[30:31], v16 src0_sel:WORD_1
	v_mfma_f32_16x16x16_bf16 v[6:9], v[24:25], v[44:45], v[6:9]
	v_cvt_pk_f32_fp8_e32 v[24:25], v15
	v_perm_b32 v18, v19, v18, s9
	v_perm_b32 v19, v21, v20, s9
	v_cvt_pk_f32_fp8_sdwa v[14:15], v15 src0_sel:WORD_1
	v_perm_b32 v20, v25, v24, s9
	v_cvt_pk_f32_fp8_e32 v[24:25], v16
	v_mfma_f32_16x16x16_bf16 v[6:9], v[18:19], v[2:3], v[6:9]
	v_perm_b32 v21, v15, v14, s9
	v_perm_b32 v14, v25, v24, s9
	;; [unrolled: 1-line block ×3, first 2 shown]
	v_cvt_pk_f32_fp8_e32 v[18:19], v17
	v_cvt_pk_f32_fp8_sdwa v[16:17], v17 src0_sel:WORD_1
	v_mfma_f32_16x16x16_bf16 v[2:5], v[20:21], v[4:5], v[6:9]
	v_add3_u32 v32, v64, v58, s11
	v_add3_u32 v33, v65, v57, s11
	s_nop 0
	v_perm_b32 v8, v19, v18, s9
	v_perm_b32 v9, v17, v16, s9
	v_mfma_f32_16x16x16_bf16 v[2:5], v[14:15], v[46:47], v[2:5]
	s_waitcnt vmcnt(0)
	v_cvt_pk_f32_fp8_e32 v[14:15], v10
	v_cvt_pk_f32_fp8_sdwa v[16:17], v10 src0_sel:WORD_1
	v_cvt_pk_f32_fp8_sdwa v[18:19], v12 src0_sel:WORD_1
	v_mfma_f32_16x16x16_bf16 v[2:5], v[8:9], v[48:49], v[2:5]
	v_cvt_pk_f32_fp8_e32 v[8:9], v11
	v_perm_b32 v14, v15, v14, s9
	v_perm_b32 v15, v17, v16, s9
	v_cvt_pk_f32_fp8_sdwa v[10:11], v11 src0_sel:WORD_1
	v_perm_b32 v8, v9, v8, s9
	v_cvt_pk_f32_fp8_e32 v[16:17], v12
	v_mfma_f32_16x16x16_bf16 v[2:5], v[14:15], v[26:27], v[2:5]
	v_perm_b32 v9, v11, v10, s9
	v_perm_b32 v10, v17, v16, s9
	;; [unrolled: 1-line block ×3, first 2 shown]
	v_cvt_pk_f32_fp8_e32 v[14:15], v13
	v_cvt_pk_f32_fp8_sdwa v[12:13], v13 src0_sel:WORD_1
	v_mfma_f32_16x16x16_bf16 v[2:5], v[8:9], v[28:29], v[2:5]
	v_bfe_u32 v7, v23, 16, 1
	v_perm_b32 v8, v15, v14, s9
	v_perm_b32 v9, v13, v12, s9
	v_mfma_f32_16x16x16_bf16 v[2:5], v[10:11], v[50:51], v[2:5]
	v_bfe_u32 v16, v22, 16, 1
	v_add3_u32 v10, v22, v16, s11
	v_add3_u32 v7, v23, v7, s11
	v_mfma_f32_16x16x16_bf16 v[2:5], v[8:9], v[52:53], v[2:5]
	v_perm_b32 v6, v33, v32, s9
	v_perm_b32 v7, v7, v10, s9
	s_nop 4
	v_pk_mul_f32 v[2:3], v[2:3], s[8:9] op_sel_hi:[1,0]
	v_pk_mul_f32 v[4:5], v[4:5], s[8:9] op_sel_hi:[1,0]
	v_bfe_u32 v8, v3, 16, 1
	v_bfe_u32 v9, v2, 16, 1
	v_add3_u32 v2, v2, v9, s11
	v_add3_u32 v3, v3, v8, s11
	v_perm_b32 v2, v3, v2, s9
	v_bfe_u32 v3, v5, 16, 1
	v_bfe_u32 v8, v4, 16, 1
	v_add3_u32 v4, v4, v8, s11
	v_add3_u32 v3, v5, v3, s11
	v_perm_b32 v3, v3, v4, s9
	ds_write2st64_b64 v55, v[6:7], v[2:3] offset1:1
	s_waitcnt lgkmcnt(0)
	s_barrier
	s_and_saveexec_b64 s[8:9], vcc
	s_cbranch_execz .LBB1372_20
; %bb.18:
	s_load_dwordx2 s[8:9], s[0:1], 0x68
	s_lshl_b32 s0, s7, 7
	s_mul_i32 s1, s10, s2
	v_lshlrev_b32_e32 v3, 6, v56
	s_mul_hi_u32 s11, s1, s0
	s_mul_i32 s10, s1, s0
	v_lshl_or_b32 v0, v0, 10, v3
	s_lshl_b64 s[10:11], s[10:11], 1
	v_lshlrev_b32_e32 v2, 5, v62
	v_and_b32_e32 v1, 16, v1
	v_and_b32_e32 v0, 0x1a00, v0
	s_waitcnt lgkmcnt(0)
	s_add_u32 s1, s8, s10
	v_or3_b32 v2, v0, v2, v1
	s_addc_u32 s7, s9, s11
	s_lshl_b32 s2, s6, 7
	s_lshl_b64 s[2:3], s[2:3], 1
	ds_read_b128 v[4:7], v2
	s_add_u32 s2, s1, s2
	s_addc_u32 s3, s7, s3
	v_mov_b32_e32 v55, 0
	v_add_u32_e32 v3, s48, v62
	v_lshl_add_u64 v[0:1], s[2:3], 0, v[54:55]
	v_mad_u64_u32 v[8:9], s[2:3], v3, s0, 0
	v_lshl_add_u64 v[8:9], v[8:9], 1, v[0:1]
	s_waitcnt lgkmcnt(0)
	global_store_dwordx4 v[8:9], v[4:7], off
	s_and_b64 exec, exec, s[4:5]
	s_cbranch_execz .LBB1372_20
; %bb.19:
	ds_read_b128 v[2:5], v2 offset:128
	v_add3_u32 v6, s48, v62, 4
	v_mad_u64_u32 v[6:7], s[0:1], v6, s0, 0
	v_lshl_add_u64 v[0:1], v[6:7], 1, v[0:1]
	s_waitcnt lgkmcnt(0)
	global_store_dwordx4 v[0:1], v[2:5], off
.LBB1372_20:
	s_endpgm
	.section	.rodata,"a",@progbits
	.p2align	6, 0x0
	.amdhsa_kernel _Z39paged_attention_ll4mi_QKV_mfma16_kernelI14__hip_bfloat16hLN4vllm18Fp8KVCacheDataTypeE1ES0_Li32ELi128ELi256ELb1ELi5EEvPKT_PKT0_S8_ifPKiSA_SA_iPKfiiiPfSD_PS3_PT2_iSC_SC_
		.amdhsa_group_segment_fixed_size 8192
		.amdhsa_private_segment_fixed_size 0
		.amdhsa_kernarg_size 400
		.amdhsa_user_sgpr_count 2
		.amdhsa_user_sgpr_dispatch_ptr 0
		.amdhsa_user_sgpr_queue_ptr 0
		.amdhsa_user_sgpr_kernarg_segment_ptr 1
		.amdhsa_user_sgpr_dispatch_id 0
		.amdhsa_user_sgpr_kernarg_preload_length 0
		.amdhsa_user_sgpr_kernarg_preload_offset 0
		.amdhsa_user_sgpr_private_segment_size 0
		.amdhsa_uses_dynamic_stack 0
		.amdhsa_enable_private_segment 0
		.amdhsa_system_sgpr_workgroup_id_x 1
		.amdhsa_system_sgpr_workgroup_id_y 1
		.amdhsa_system_sgpr_workgroup_id_z 1
		.amdhsa_system_sgpr_workgroup_info 0
		.amdhsa_system_vgpr_workitem_id 0
		.amdhsa_next_free_vgpr 78
		.amdhsa_next_free_sgpr 50
		.amdhsa_accum_offset 80
		.amdhsa_reserve_vcc 1
		.amdhsa_float_round_mode_32 0
		.amdhsa_float_round_mode_16_64 0
		.amdhsa_float_denorm_mode_32 3
		.amdhsa_float_denorm_mode_16_64 3
		.amdhsa_dx10_clamp 1
		.amdhsa_ieee_mode 1
		.amdhsa_fp16_overflow 0
		.amdhsa_tg_split 0
		.amdhsa_exception_fp_ieee_invalid_op 0
		.amdhsa_exception_fp_denorm_src 0
		.amdhsa_exception_fp_ieee_div_zero 0
		.amdhsa_exception_fp_ieee_overflow 0
		.amdhsa_exception_fp_ieee_underflow 0
		.amdhsa_exception_fp_ieee_inexact 0
		.amdhsa_exception_int_div_zero 0
	.end_amdhsa_kernel
	.section	.text._Z39paged_attention_ll4mi_QKV_mfma16_kernelI14__hip_bfloat16hLN4vllm18Fp8KVCacheDataTypeE1ES0_Li32ELi128ELi256ELb1ELi5EEvPKT_PKT0_S8_ifPKiSA_SA_iPKfiiiPfSD_PS3_PT2_iSC_SC_,"axG",@progbits,_Z39paged_attention_ll4mi_QKV_mfma16_kernelI14__hip_bfloat16hLN4vllm18Fp8KVCacheDataTypeE1ES0_Li32ELi128ELi256ELb1ELi5EEvPKT_PKT0_S8_ifPKiSA_SA_iPKfiiiPfSD_PS3_PT2_iSC_SC_,comdat
.Lfunc_end1372:
	.size	_Z39paged_attention_ll4mi_QKV_mfma16_kernelI14__hip_bfloat16hLN4vllm18Fp8KVCacheDataTypeE1ES0_Li32ELi128ELi256ELb1ELi5EEvPKT_PKT0_S8_ifPKiSA_SA_iPKfiiiPfSD_PS3_PT2_iSC_SC_, .Lfunc_end1372-_Z39paged_attention_ll4mi_QKV_mfma16_kernelI14__hip_bfloat16hLN4vllm18Fp8KVCacheDataTypeE1ES0_Li32ELi128ELi256ELb1ELi5EEvPKT_PKT0_S8_ifPKiSA_SA_iPKfiiiPfSD_PS3_PT2_iSC_SC_
                                        ; -- End function
	.section	.AMDGPU.csdata,"",@progbits
; Kernel info:
; codeLenInByte = 6664
; NumSgprs: 56
; NumVgprs: 78
; NumAgprs: 0
; TotalNumVgprs: 78
; ScratchSize: 0
; MemoryBound: 0
; FloatMode: 240
; IeeeMode: 1
; LDSByteSize: 8192 bytes/workgroup (compile time only)
; SGPRBlocks: 6
; VGPRBlocks: 9
; NumSGPRsForWavesPerEU: 56
; NumVGPRsForWavesPerEU: 78
; AccumOffset: 80
; Occupancy: 6
; WaveLimiterHint : 1
; COMPUTE_PGM_RSRC2:SCRATCH_EN: 0
; COMPUTE_PGM_RSRC2:USER_SGPR: 2
; COMPUTE_PGM_RSRC2:TRAP_HANDLER: 0
; COMPUTE_PGM_RSRC2:TGID_X_EN: 1
; COMPUTE_PGM_RSRC2:TGID_Y_EN: 1
; COMPUTE_PGM_RSRC2:TGID_Z_EN: 1
; COMPUTE_PGM_RSRC2:TIDIG_COMP_CNT: 0
; COMPUTE_PGM_RSRC3_GFX90A:ACCUM_OFFSET: 19
; COMPUTE_PGM_RSRC3_GFX90A:TG_SPLIT: 0
	.section	.text._Z39paged_attention_ll4mi_QKV_mfma16_kernelI14__hip_bfloat16hLN4vllm18Fp8KVCacheDataTypeE1ES0_Li32ELi128ELi256ELb1ELi6EEvPKT_PKT0_S8_ifPKiSA_SA_iPKfiiiPfSD_PS3_PT2_iSC_SC_,"axG",@progbits,_Z39paged_attention_ll4mi_QKV_mfma16_kernelI14__hip_bfloat16hLN4vllm18Fp8KVCacheDataTypeE1ES0_Li32ELi128ELi256ELb1ELi6EEvPKT_PKT0_S8_ifPKiSA_SA_iPKfiiiPfSD_PS3_PT2_iSC_SC_,comdat
	.protected	_Z39paged_attention_ll4mi_QKV_mfma16_kernelI14__hip_bfloat16hLN4vllm18Fp8KVCacheDataTypeE1ES0_Li32ELi128ELi256ELb1ELi6EEvPKT_PKT0_S8_ifPKiSA_SA_iPKfiiiPfSD_PS3_PT2_iSC_SC_ ; -- Begin function _Z39paged_attention_ll4mi_QKV_mfma16_kernelI14__hip_bfloat16hLN4vllm18Fp8KVCacheDataTypeE1ES0_Li32ELi128ELi256ELb1ELi6EEvPKT_PKT0_S8_ifPKiSA_SA_iPKfiiiPfSD_PS3_PT2_iSC_SC_
	.globl	_Z39paged_attention_ll4mi_QKV_mfma16_kernelI14__hip_bfloat16hLN4vllm18Fp8KVCacheDataTypeE1ES0_Li32ELi128ELi256ELb1ELi6EEvPKT_PKT0_S8_ifPKiSA_SA_iPKfiiiPfSD_PS3_PT2_iSC_SC_
	.p2align	8
	.type	_Z39paged_attention_ll4mi_QKV_mfma16_kernelI14__hip_bfloat16hLN4vllm18Fp8KVCacheDataTypeE1ES0_Li32ELi128ELi256ELb1ELi6EEvPKT_PKT0_S8_ifPKiSA_SA_iPKfiiiPfSD_PS3_PT2_iSC_SC_,@function
_Z39paged_attention_ll4mi_QKV_mfma16_kernelI14__hip_bfloat16hLN4vllm18Fp8KVCacheDataTypeE1ES0_Li32ELi128ELi256ELb1ELi6EEvPKT_PKT0_S8_ifPKiSA_SA_iPKfiiiPfSD_PS3_PT2_iSC_SC_: ; @_Z39paged_attention_ll4mi_QKV_mfma16_kernelI14__hip_bfloat16hLN4vllm18Fp8KVCacheDataTypeE1ES0_Li32ELi128ELi256ELb1ELi6EEvPKT_PKT0_S8_ifPKiSA_SA_iPKfiiiPfSD_PS3_PT2_iSC_SC_
; %bb.0:
	s_load_dwordx2 s[10:11], s[0:1], 0x30
	s_mov_b32 s6, s3
	s_mov_b64 s[8:9], 0
	s_waitcnt lgkmcnt(0)
	s_cmp_lg_u64 s[10:11], 0
	s_cselect_b64 s[12:13], -1, 0
	s_and_b64 vcc, exec, s[12:13]
	s_cbranch_vccz .LBB1373_7
; %bb.1:
	s_add_i32 s14, s2, 1
	s_mov_b32 s15, 0
	s_lshl_b64 s[16:17], s[14:15], 2
	s_add_u32 s16, s10, s16
	s_mov_b32 s3, s15
	s_addc_u32 s17, s11, s17
	s_lshl_b64 s[14:15], s[2:3], 2
	s_add_u32 s14, s10, s14
	s_addc_u32 s15, s11, s15
	s_load_dword s5, s[16:17], 0x0
	s_load_dword s7, s[14:15], 0x0
	s_waitcnt lgkmcnt(0)
	s_sub_i32 s5, s5, s7
	s_cmp_eq_u32 s5, 1
	s_cselect_b64 s[14:15], -1, 0
	s_andn2_b64 vcc, exec, s[8:9]
	s_cbranch_vccnz .LBB1373_3
.LBB1373_2:
	s_mov_b32 s3, 0
	s_mov_b64 s[14:15], -1
.LBB1373_3:
	s_andn2_b64 vcc, exec, s[14:15]
	s_cbranch_vccnz .LBB1373_20
; %bb.4:
	s_load_dwordx2 s[8:9], s[0:1], 0x28
	s_lshl_b64 s[16:17], s[2:3], 2
	s_waitcnt lgkmcnt(0)
	s_add_u32 s8, s8, s16
	s_addc_u32 s9, s9, s17
	s_load_dword s7, s[8:9], 0x0
	s_lshl_b32 s18, s6, 8
	s_waitcnt lgkmcnt(0)
	s_cmp_ge_i32 s18, s7
	s_cbranch_scc1 .LBB1373_20
; %bb.5:
	s_load_dwordx2 s[8:9], s[0:1], 0x20
	s_load_dword s5, s[0:1], 0x38
	s_add_i32 s14, s7, 31
	s_ashr_i32 s15, s14, 31
	v_and_b32_e32 v1, 0xcf, v0
	s_lshr_b32 s15, s15, 27
	v_add_u32_e32 v1, s18, v1
	s_add_i32 s14, s14, s15
	v_ashrrev_i32_e32 v2, 31, v1
	s_ashr_i32 s19, s14, 5
	v_lshrrev_b32_e32 v4, 27, v2
	s_add_i32 s19, s19, -1
	s_waitcnt lgkmcnt(0)
	s_mul_i32 s14, s2, s5
	s_mov_b32 s15, 0
	v_add_u32_e32 v2, v1, v4
	s_lshl_b64 s[14:15], s[14:15], 2
	v_ashrrev_i32_e32 v2, 5, v2
	v_mov_b32_e32 v5, s19
	v_cmp_gt_i32_e32 vcc, s7, v1
	s_add_u32 s8, s8, s14
	s_addc_u32 s9, s9, s15
	v_cndmask_b32_e32 v2, v5, v2, vcc
	v_ashrrev_i32_e32 v3, 31, v2
	v_lshl_add_u64 v[6:7], v[2:3], 2, s[8:9]
	v_or_b32_e32 v2, 16, v1
	v_add_u32_e32 v3, v2, v4
	v_ashrrev_i32_e32 v3, 5, v3
	v_cmp_gt_i32_e32 vcc, s7, v2
	s_load_dwordx2 s[14:15], s[0:1], 0x8
	s_nop 0
	v_cndmask_b32_e32 v2, v5, v3, vcc
	v_ashrrev_i32_e32 v3, 31, v2
	v_lshl_add_u64 v[8:9], v[2:3], 2, s[8:9]
	v_or_b32_e32 v2, 32, v1
	v_add_u32_e32 v3, v2, v4
	v_ashrrev_i32_e32 v3, 5, v3
	v_cmp_gt_i32_e32 vcc, s7, v2
	v_or_b32_e32 v1, 48, v1
	s_nop 0
	v_cndmask_b32_e32 v2, v5, v3, vcc
	v_ashrrev_i32_e32 v3, 31, v2
	v_lshl_add_u64 v[12:13], v[2:3], 2, s[8:9]
	v_add_u32_e32 v2, v1, v4
	v_ashrrev_i32_e32 v2, 5, v2
	v_cmp_gt_i32_e32 vcc, s7, v1
	s_nop 1
	v_cndmask_b32_e32 v2, v5, v2, vcc
	v_ashrrev_i32_e32 v3, 31, v2
	v_lshl_add_u64 v[14:15], v[2:3], 2, s[8:9]
	global_load_dword v4, v[6:7], off
	global_load_dword v3, v[8:9], off
	;; [unrolled: 1-line block ×4, first 2 shown]
	s_andn2_b64 vcc, exec, s[12:13]
	s_cbranch_vccnz .LBB1373_8
; %bb.6:
	s_add_u32 s10, s10, s16
	s_addc_u32 s11, s11, s17
	s_load_dword s5, s[10:11], 0x0
	s_branch .LBB1373_9
.LBB1373_7:
	s_mov_b64 s[14:15], 0
	s_branch .LBB1373_2
.LBB1373_8:
	s_mov_b32 s5, s2
.LBB1373_9:
	s_load_dwordx2 s[10:11], s[0:1], 0x10
	s_load_dwordx4 s[44:47], s[0:1], 0x48
	v_lshrrev_b32_e32 v57, 6, v0
	v_bfe_u32 v62, v0, 4, 2
	v_and_b32_e32 v56, 15, v0
	v_lshl_or_b32 v5, v57, 2, v62
	v_lshlrev_b32_e32 v1, 3, v56
	s_mul_i32 s48, s4, 6
	v_cmp_gt_u32_e32 vcc, 6, v5
	v_lshlrev_b32_e32 v54, 1, v1
	v_lshlrev_b32_e32 v1, 4, v0
	s_and_saveexec_b64 s[12:13], vcc
	s_cbranch_execz .LBB1373_11
; %bb.10:
	s_load_dwordx2 s[16:17], s[0:1], 0x0
	s_waitcnt lgkmcnt(0)
	s_ashr_i32 s20, s44, 31
	s_mul_hi_u32 s21, s5, s44
	s_mul_i32 s20, s5, s20
	s_add_i32 s21, s21, s20
	s_mul_i32 s20, s5, s44
	s_lshl_b64 s[20:21], s[20:21], 1
	s_add_u32 s16, s16, s20
	v_add_lshl_u32 v6, v5, s48, 7
	s_addc_u32 s17, s17, s21
	v_ashrrev_i32_e32 v7, 31, v6
	v_lshl_add_u64 v[6:7], v[6:7], 1, s[16:17]
	v_mov_b32_e32 v55, 0
	v_lshl_add_u64 v[6:7], v[6:7], 0, v[54:55]
	global_load_dwordx4 v[6:9], v[6:7], off
	v_lshlrev_b32_e32 v12, 8, v0
	v_lshlrev_b32_e32 v11, 8, v56
	v_and_b32_e32 v12, 0x600, v12
	s_movk_i32 s5, 0x800
	v_and_or_b32 v11, v11, s5, v12
	v_lshlrev_b32_e32 v5, 5, v5
	v_and_b32_e32 v12, 16, v1
	v_or3_b32 v5, v11, v5, v12
	s_waitcnt vmcnt(0)
	ds_write_b128 v5, v[6:9]
.LBB1373_11:
	s_or_b64 exec, exec, s[12:13]
	s_waitcnt lgkmcnt(0)
	s_mul_i32 s12, s4, s46
	s_add_u32 s4, s14, s12
	s_addc_u32 s5, s15, 0
	v_mov_b32_e32 v59, 0
	v_mov_b64_e32 v[12:13], s[4:5]
	v_and_b32_e32 v34, 48, v0
	s_waitcnt vmcnt(3)
	v_mad_i64_i32 v[4:5], s[4:5], v4, s45, v[12:13]
	v_lshlrev_b32_e32 v14, 4, v56
	v_mov_b32_e32 v15, v59
	v_lshlrev_b32_e32 v58, 5, v34
	v_lshl_add_u64 v[4:5], v[4:5], 0, v[14:15]
	v_lshl_add_u64 v[4:5], v[4:5], 0, v[58:59]
	s_barrier
	global_load_dwordx4 v[50:53], v[4:5], off
	global_load_dwordx4 v[46:49], v[4:5], off offset:2048
	s_waitcnt vmcnt(4)
	v_mad_i64_i32 v[4:5], s[4:5], v3, s45, v[12:13]
	v_or_b32_e32 v16, 0x100, v14
	v_mov_b32_e32 v17, v59
	s_waitcnt vmcnt(3)
	v_mad_i64_i32 v[2:3], s[4:5], v2, s45, v[12:13]
	v_lshl_add_u64 v[4:5], v[4:5], 0, v[16:17]
	v_lshl_add_u64 v[2:3], v[2:3], 0, v[14:15]
	s_waitcnt vmcnt(2)
	v_mad_i64_i32 v[10:11], s[4:5], v10, s45, v[12:13]
	v_lshl_add_u64 v[4:5], v[4:5], 0, v[58:59]
	v_lshl_add_u64 v[14:15], v[2:3], 0, v[58:59]
	;; [unrolled: 1-line block ×3, first 2 shown]
	global_load_dwordx4 v[36:39], v[4:5], off
	global_load_dwordx4 v[6:9], v[4:5], off offset:2048
	s_nop 0
	global_load_dwordx4 v[2:5], v[14:15], off
	global_load_dwordx4 v[42:45], v[14:15], off offset:2048
	v_lshl_add_u64 v[14:15], v[10:11], 0, v[58:59]
	global_load_dwordx4 v[26:29], v[14:15], off
	global_load_dwordx4 v[10:13], v[14:15], off offset:2048
	v_mul_lo_u16_e32 v14, 43, v56
	v_mov_b32_e32 v15, 6
	v_mul_lo_u16_sdwa v14, v14, v15 dst_sel:DWORD dst_unused:UNUSED_PAD src0_sel:BYTE_1 src1_sel:DWORD
	v_sub_u16_e32 v14, v56, v14
	v_mov_b32_e32 v15, 5
	v_lshlrev_b32_sdwa v14, v15, v14 dst_sel:DWORD dst_unused:UNUSED_PAD src0_sel:DWORD src1_sel:BYTE_0
	v_lshl_add_u32 v14, v62, 9, v14
	ds_read_b128 v[30:33], v14
	ds_read_b128 v[22:25], v14 offset:16
	ds_read_b128 v[18:21], v14 offset:2048
	;; [unrolled: 1-line block ×3, first 2 shown]
	v_and_b32_e32 v55, 63, v0
	v_cmp_gt_u32_e32 vcc, 6, v56
	v_mov_b32_e32 v63, 0
	s_and_saveexec_b64 s[4:5], vcc
	s_cbranch_execz .LBB1373_13
; %bb.12:
	s_load_dwordx2 s[14:15], s[0:1], 0x40
	v_add_u32_e32 v40, s48, v56
	v_ashrrev_i32_e32 v41, 31, v40
	s_waitcnt lgkmcnt(0)
	v_lshl_add_u64 v[40:41], v[40:41], 2, s[14:15]
	global_load_dword v63, v[40:41], off
.LBB1373_13:
	s_or_b64 exec, exec, s[4:5]
	s_ashr_i32 s4, s18, 31
	v_or_b32_e32 v58, s18, v34
	s_lshr_b32 s4, s4, 27
	v_add_u32_e32 v34, s4, v58
	v_or_b32_e32 v40, 64, v58
	v_ashrrev_i32_e32 v34, 5, v34
	v_mov_b32_e32 v64, s19
	v_cmp_gt_i32_e32 vcc, s7, v58
	v_add_u32_e32 v41, s4, v40
	v_or_b32_e32 v60, 0x80, v58
	v_cndmask_b32_e32 v34, v64, v34, vcc
	v_ashrrev_i32_e32 v41, 5, v41
	v_cmp_gt_i32_e32 vcc, s7, v40
	v_add_u32_e32 v61, s4, v60
	v_or_b32_e32 v58, 0xc0, v58
	v_cndmask_b32_e32 v40, v64, v41, vcc
	v_ashrrev_i32_e32 v61, 5, v61
	v_cmp_gt_i32_e32 vcc, s7, v60
	v_add_u32_e32 v65, s4, v58
	v_ashrrev_i32_e32 v65, 5, v65
	v_cndmask_b32_e32 v60, v64, v61, vcc
	v_cmp_gt_i32_e32 vcc, s7, v58
	s_waitcnt vmcnt(7)
	v_cvt_pk_f32_fp8_sdwa v[66:67], v50 src0_sel:WORD_1
	s_mov_b32 s33, 0x7060302
	v_cndmask_b32_e32 v68, v64, v65, vcc
	v_cvt_pk_f32_fp8_e32 v[64:65], v50
	v_cvt_pk_f32_fp8_e32 v[70:71], v51
	v_cvt_pk_f32_fp8_sdwa v[50:51], v51 src0_sel:WORD_1
	v_cvt_pk_f32_fp8_e32 v[72:73], v52
	v_perm_b32 v64, v65, v64, s33
	v_perm_b32 v65, v67, v66, s33
	;; [unrolled: 1-line block ×3, first 2 shown]
	v_cvt_pk_f32_fp8_sdwa v[74:75], v52 src0_sel:WORD_1
	v_perm_b32 v71, v51, v50, s33
	s_waitcnt lgkmcnt(3)
	v_mfma_f32_16x16x16_bf16 v[64:67], v[64:65], v[30:31], 0
	v_perm_b32 v72, v73, v72, s33
	v_perm_b32 v73, v75, v74, s33
	v_cvt_pk_f32_fp8_e32 v[74:75], v53
	v_cvt_pk_f32_fp8_sdwa v[76:77], v53 src0_sel:WORD_1
	v_mfma_f32_16x16x16_bf16 v[50:53], v[70:71], v[32:33], v[64:67]
	v_ashrrev_i32_e32 v35, 31, v34
	v_lshl_add_u64 v[34:35], v[34:35], 2, s[8:9]
	v_ashrrev_i32_e32 v41, 31, v40
	v_perm_b32 v64, v75, v74, s33
	v_perm_b32 v65, v77, v76, s33
	s_waitcnt lgkmcnt(2)
	v_mfma_f32_16x16x16_bf16 v[50:53], v[72:73], v[22:23], v[50:53]
	s_waitcnt vmcnt(6)
	v_cvt_pk_f32_fp8_e32 v[66:67], v46
	v_ashrrev_i32_e32 v61, 31, v60
	v_ashrrev_i32_e32 v69, 31, v68
	v_lshl_add_u64 v[40:41], v[40:41], 2, s[8:9]
	v_lshl_add_u64 v[60:61], v[60:61], 2, s[8:9]
	;; [unrolled: 1-line block ×3, first 2 shown]
	v_mfma_f32_16x16x16_bf16 v[50:53], v[64:65], v[24:25], v[50:53]
	v_perm_b32 v74, v67, v66, s33
	global_load_dword v68, v[34:35], off
	global_load_dword v66, v[40:41], off
	global_load_dword v67, v[60:61], off
	global_load_dword v65, v[72:73], off
	v_cvt_pk_f32_fp8_sdwa v[70:71], v46 src0_sel:WORD_1
	v_cvt_pk_f32_fp8_e32 v[40:41], v48
	s_waitcnt vmcnt(9)
	v_cvt_pk_f32_fp8_e32 v[60:61], v36
	s_add_u32 s4, s10, s12
	v_perm_b32 v75, v71, v70, s33
	v_cvt_pk_f32_fp8_e32 v[70:71], v47
	v_cvt_pk_f32_fp8_sdwa v[46:47], v47 src0_sel:WORD_1
	s_waitcnt lgkmcnt(1)
	v_mfma_f32_16x16x16_bf16 v[50:53], v[74:75], v[18:19], v[50:53]
	v_perm_b32 v34, v71, v70, s33
	v_perm_b32 v35, v47, v46, s33
	v_cvt_pk_f32_fp8_sdwa v[46:47], v48 src0_sel:WORD_1
	v_perm_b32 v40, v41, v40, s33
	v_mfma_f32_16x16x16_bf16 v[50:53], v[34:35], v[20:21], v[50:53]
	v_perm_b32 v41, v47, v46, s33
	v_cvt_pk_f32_fp8_e32 v[34:35], v49
	v_cvt_pk_f32_fp8_sdwa v[46:47], v49 src0_sel:WORD_1
	v_cvt_pk_f32_fp8_sdwa v[70:71], v36 src0_sel:WORD_1
	s_addc_u32 s5, s11, 0
	v_perm_b32 v34, v35, v34, s33
	v_perm_b32 v35, v47, v46, s33
	s_waitcnt lgkmcnt(0)
	v_mfma_f32_16x16x16_bf16 v[46:49], v[40:41], v[14:15], v[50:53]
	v_perm_b32 v40, v61, v60, s33
	v_perm_b32 v41, v71, v70, s33
	s_waitcnt vmcnt(8)
	v_cvt_pk_f32_fp8_sdwa v[60:61], v6 src0_sel:WORD_1
	v_cvt_pk_f32_fp8_e32 v[50:51], v37
	v_cvt_pk_f32_fp8_sdwa v[52:53], v37 src0_sel:WORD_1
	v_mfma_f32_16x16x16_bf16 v[34:37], v[34:35], v[16:17], v[46:49]
	v_and_b32_e32 v58, 16, v0
	v_perm_b32 v50, v51, v50, s33
	v_perm_b32 v51, v53, v52, s33
	v_mfma_f32_16x16x16_bf16 v[46:49], v[40:41], v[30:31], 0
	v_cvt_pk_f32_fp8_e32 v[40:41], v38
	v_cvt_pk_f32_fp8_sdwa v[52:53], v38 src0_sel:WORD_1
	v_lshl_or_b32 v64, v57, 4, v56
	v_mfma_f32_16x16x16_bf16 v[46:49], v[50:51], v[32:33], v[46:49]
	v_cvt_pk_f32_fp8_e32 v[50:51], v39
	v_perm_b32 v40, v41, v40, s33
	v_perm_b32 v41, v53, v52, s33
	v_cvt_pk_f32_fp8_sdwa v[38:39], v39 src0_sel:WORD_1
	v_perm_b32 v50, v51, v50, s33
	v_cvt_pk_f32_fp8_e32 v[52:53], v6
	s_waitcnt vmcnt(6)
	v_cvt_pk_f32_fp8_e32 v[74:75], v43
	v_perm_b32 v51, v39, v38, s33
	v_mfma_f32_16x16x16_bf16 v[38:41], v[40:41], v[22:23], v[46:49]
	s_nop 2
	v_perm_b32 v48, v53, v52, s33
	v_perm_b32 v49, v61, v60, s33
	v_cvt_pk_f32_fp8_e32 v[52:53], v7
	v_cvt_pk_f32_fp8_sdwa v[6:7], v7 src0_sel:WORD_1
	v_mfma_f32_16x16x16_bf16 v[38:41], v[50:51], v[24:25], v[38:41]
	v_lshl_add_u64 v[46:47], s[4:5], 0, v[58:59]
	v_perm_b32 v50, v53, v52, s33
	v_perm_b32 v51, v7, v6, s33
	v_mfma_f32_16x16x16_bf16 v[38:41], v[48:49], v[18:19], v[38:41]
	v_cvt_pk_f32_fp8_e32 v[6:7], v8
	v_cvt_pk_f32_fp8_sdwa v[48:49], v8 src0_sel:WORD_1
	v_cvt_pk_f32_fp8_sdwa v[52:53], v2 src0_sel:WORD_1
	v_mfma_f32_16x16x16_bf16 v[38:41], v[50:51], v[20:21], v[38:41]
	v_cvt_pk_f32_fp8_e32 v[50:51], v9
	v_perm_b32 v6, v7, v6, s33
	v_perm_b32 v7, v49, v48, s33
	v_cvt_pk_f32_fp8_sdwa v[8:9], v9 src0_sel:WORD_1
	v_perm_b32 v48, v51, v50, s33
	v_cvt_pk_f32_fp8_e32 v[50:51], v2
	v_lshlrev_b32_e32 v58, 5, v64
	v_perm_b32 v49, v9, v8, s33
	v_mfma_f32_16x16x16_bf16 v[6:9], v[6:7], v[14:15], v[38:41]
	v_perm_b32 v50, v51, v50, s33
	v_perm_b32 v51, v53, v52, s33
	v_cvt_pk_f32_fp8_e32 v[52:53], v3
	v_cvt_pk_f32_fp8_sdwa v[2:3], v3 src0_sel:WORD_1
	v_mfma_f32_16x16x16_bf16 v[38:41], v[48:49], v[16:17], v[6:9]
	v_lshl_add_u64 v[48:49], v[46:47], 0, v[58:59]
	v_perm_b32 v52, v53, v52, s33
	v_perm_b32 v53, v3, v2, s33
	v_mfma_f32_16x16x16_bf16 v[6:9], v[50:51], v[30:31], 0
	v_cvt_pk_f32_fp8_e32 v[2:3], v4
	v_cvt_pk_f32_fp8_sdwa v[50:51], v4 src0_sel:WORD_1
	s_waitcnt vmcnt(3)
	v_mad_i64_i32 v[60:61], s[4:5], v68, s45, v[48:49]
	v_perm_b32 v2, v3, v2, s33
	v_perm_b32 v3, v51, v50, s33
	v_mfma_f32_16x16x16_bf16 v[6:9], v[52:53], v[32:33], v[6:9]
	v_cvt_pk_f32_fp8_e32 v[50:51], v5
	v_cvt_pk_f32_fp8_sdwa v[4:5], v5 src0_sel:WORD_1
	s_waitcnt vmcnt(2)
	v_mad_i64_i32 v[70:71], s[4:5], v66, s45, v[48:49]
	v_perm_b32 v50, v51, v50, s33
	v_perm_b32 v51, v5, v4, s33
	v_mfma_f32_16x16x16_bf16 v[2:5], v[2:3], v[22:23], v[6:9]
	v_or_b32_e32 v58, 0x800, v58
	s_nop 1
	v_cvt_pk_f32_fp8_e32 v[6:7], v42
	v_cvt_pk_f32_fp8_sdwa v[8:9], v42 src0_sel:WORD_1
	v_cvt_pk_f32_fp8_sdwa v[42:43], v43 src0_sel:WORD_1
	v_mfma_f32_16x16x16_bf16 v[50:53], v[50:51], v[24:25], v[2:5]
	v_perm_b32 v72, v7, v6, s33
	v_perm_b32 v73, v9, v8, s33
	global_load_dwordx4 v[6:9], v[60:61], off
	global_load_dwordx4 v[2:5], v[70:71], off
	v_perm_b32 v60, v75, v74, s33
	v_perm_b32 v61, v43, v42, s33
	v_mfma_f32_16x16x16_bf16 v[70:73], v[72:73], v[18:19], v[50:53]
	v_cvt_pk_f32_fp8_e32 v[42:43], v44
	v_perm_b32 v42, v43, v42, s33
	s_nop 0
	v_cvt_pk_f32_fp8_sdwa v[52:53], v44 src0_sel:WORD_1
	v_mfma_f32_16x16x16_bf16 v[70:73], v[60:61], v[20:21], v[70:73]
	v_cvt_pk_f32_fp8_e32 v[60:61], v45
	s_waitcnt vmcnt(3)
	v_mad_i64_i32 v[50:51], s[4:5], v67, s45, v[48:49]
	s_load_dword s4, s[0:1], 0x1c
	s_load_dwordx4 s[40:43], s[0:1], 0x80
	v_perm_b32 v43, v53, v52, s33
	v_perm_b32 v74, v61, v60, s33
	v_cvt_pk_f32_fp8_e32 v[52:53], v26
	v_cvt_pk_f32_fp8_sdwa v[60:61], v26 src0_sel:WORD_1
	s_load_dword s44, s[0:1], 0x98
	s_waitcnt lgkmcnt(0)
	s_load_dword s5, s[40:41], 0x0
	v_cvt_pk_f32_fp8_sdwa v[44:45], v45 src0_sel:WORD_1
	v_perm_b32 v52, v53, v52, s33
	v_perm_b32 v53, v61, v60, s33
	v_cvt_pk_f32_fp8_e32 v[60:61], v27
	v_cvt_pk_f32_fp8_sdwa v[26:27], v27 src0_sel:WORD_1
	v_perm_b32 v75, v45, v44, s33
	v_mfma_f32_16x16x16_bf16 v[42:45], v[42:43], v[14:15], v[70:73]
	v_perm_b32 v60, v61, v60, s33
	v_perm_b32 v61, v27, v26, s33
	v_mov_b32_e32 v26, s4
	v_mfma_f32_16x16x16_bf16 v[70:73], v[52:53], v[30:31], 0
	s_waitcnt lgkmcnt(0)
	v_mul_f32_e32 v52, s5, v26
	v_cvt_pk_f32_fp8_e32 v[26:27], v28
	v_cvt_pk_f32_fp8_sdwa v[30:31], v28 src0_sel:WORD_1
	v_mfma_f32_16x16x16_bf16 v[70:73], v[60:61], v[32:33], v[70:73]
	v_cvt_pk_f32_fp8_e32 v[32:33], v29
	v_cvt_pk_f32_fp8_sdwa v[28:29], v29 src0_sel:WORD_1
	v_perm_b32 v26, v27, v26, s33
	v_perm_b32 v27, v31, v30, s33
	v_mfma_f32_16x16x16_bf16 v[42:45], v[74:75], v[16:17], v[42:45]
	v_perm_b32 v32, v33, v32, s33
	v_perm_b32 v33, v29, v28, s33
	v_cvt_pk_f32_fp8_e32 v[60:61], v10
	v_cvt_pk_f32_fp8_sdwa v[74:75], v10 src0_sel:WORD_1
	v_mfma_f32_16x16x16_bf16 v[26:29], v[26:27], v[22:23], v[70:73]
	v_pk_mul_f32 v[30:31], v[52:53], v[36:37] op_sel_hi:[0,1]
	v_perm_b32 v36, v61, v60, s33
	v_perm_b32 v37, v75, v74, s33
	v_cvt_pk_f32_fp8_e32 v[60:61], v11
	v_cvt_pk_f32_fp8_sdwa v[70:71], v11 src0_sel:WORD_1
	v_mfma_f32_16x16x16_bf16 v[22:25], v[32:33], v[24:25], v[26:29]
	v_pk_mul_f32 v[10:11], v[52:53], v[34:35] op_sel_hi:[0,1]
	v_perm_b32 v60, v61, v60, s33
	v_perm_b32 v61, v71, v70, s33
	v_mfma_f32_16x16x16_bf16 v[32:35], v[36:37], v[18:19], v[22:25]
	v_cvt_pk_f32_fp8_e32 v[18:19], v12
	v_cvt_pk_f32_fp8_sdwa v[36:37], v12 src0_sel:WORD_1
	s_waitcnt vmcnt(2)
	v_mad_i64_i32 v[48:49], s[8:9], v65, s45, v[48:49]
	global_load_dwordx4 v[26:29], v[50:51], off
	global_load_dwordx4 v[22:25], v[48:49], off
	v_perm_b32 v48, v19, v18, s33
	v_perm_b32 v49, v37, v36, s33
	v_cvt_pk_f32_fp8_e32 v[36:37], v13
	v_cvt_pk_f32_fp8_sdwa v[12:13], v13 src0_sel:WORD_1
	v_mfma_f32_16x16x16_bf16 v[18:21], v[60:61], v[20:21], v[32:35]
	v_pk_mul_f32 v[40:41], v[52:53], v[40:41] op_sel_hi:[0,1]
	v_pk_mul_f32 v[42:43], v[52:53], v[42:43] op_sel_hi:[0,1]
	s_mov_b32 s40, 0xff7fffff
	v_perm_b32 v32, v37, v36, s33
	v_perm_b32 v33, v13, v12, s33
	v_mfma_f32_16x16x16_bf16 v[12:15], v[48:49], v[14:15], v[18:21]
	v_pk_mul_f32 v[48:49], v[52:53], v[38:39] op_sel_hi:[0,1]
	v_pk_mul_f32 v[38:39], v[52:53], v[44:45] op_sel_hi:[0,1]
	v_mfma_f32_16x16x16_bf16 v[12:15], v[32:33], v[16:17], v[12:15]
	s_nop 6
	v_pk_mul_f32 v[36:37], v[52:53], v[12:13] op_sel_hi:[0,1]
	v_and_b32_e32 v12, 0xc0, v0
	v_add_u32_e32 v12, s18, v12
	v_lshl_or_b32 v12, v62, 2, v12
	v_or_b32_e32 v13, 1, v12
	v_pk_mul_f32 v[34:35], v[52:53], v[14:15] op_sel_hi:[0,1]
	v_subrev_u32_e32 v14, s7, v13
	v_add_u32_e32 v16, 1, v14
	v_add_u32_e32 v17, 2, v14
	v_cvt_f32_i32_e32 v15, v14
	v_cvt_f32_i32_e32 v16, v16
	;; [unrolled: 1-line block ×3, first 2 shown]
	v_add_u32_e32 v18, 3, v14
	v_fma_f32 v10, v63, v15, v10
	v_fmac_f32_e32 v11, v63, v16
	v_fma_f32 v51, v63, v17, v30
	v_add_u32_e32 v15, 16, v14
	v_add_u32_e32 v16, 17, v14
	;; [unrolled: 1-line block ×3, first 2 shown]
	v_cvt_f32_i32_e32 v18, v18
	v_cvt_f32_i32_e32 v15, v15
	;; [unrolled: 1-line block ×4, first 2 shown]
	v_fmac_f32_e32 v31, v63, v18
	v_add_u32_e32 v18, 19, v14
	v_fma_f32 v48, v63, v15, v48
	v_fmac_f32_e32 v49, v63, v16
	v_fma_f32 v40, v63, v17, v40
	v_add_u32_e32 v15, 32, v14
	v_add_u32_e32 v16, 33, v14
	;; [unrolled: 1-line block ×3, first 2 shown]
	v_cvt_f32_i32_e32 v18, v18
	v_cvt_f32_i32_e32 v15, v15
	;; [unrolled: 1-line block ×4, first 2 shown]
	v_fmac_f32_e32 v41, v63, v18
	v_add_u32_e32 v18, 35, v14
	v_fma_f32 v42, v63, v15, v42
	v_fmac_f32_e32 v43, v63, v16
	v_fma_f32 v38, v63, v17, v38
	v_add_u32_e32 v15, 48, v14
	v_add_u32_e32 v16, 49, v14
	;; [unrolled: 1-line block ×4, first 2 shown]
	v_cvt_f32_i32_e32 v14, v14
	v_cvt_f32_i32_e32 v15, v15
	;; [unrolled: 1-line block ×3, first 2 shown]
	v_cmp_gt_i32_e64 s[8:9], s7, v12
	v_fmac_f32_e32 v35, v63, v14
	v_mov_b32_e32 v14, 0xff7fffff
	v_cmp_gt_i32_e64 s[10:11], s7, v13
	v_fma_f32 v36, v63, v15, v36
	v_cndmask_b32_e64 v15, v14, v10, s[8:9]
	v_cndmask_b32_e64 v13, v14, v11, s[10:11]
	v_fmac_f32_e32 v37, v63, v16
	v_max3_f32 v13, v15, s40, v13
	v_or_b32_e32 v15, 2, v12
	v_or_b32_e32 v16, 3, v12
	v_cmp_gt_i32_e64 s[12:13], s7, v15
	v_cmp_gt_i32_e64 s[14:15], s7, v16
	v_cvt_f32_i32_e32 v18, v18
	v_cndmask_b32_e64 v15, v14, v51, s[12:13]
	v_cndmask_b32_e64 v16, v14, v31, s[14:15]
	v_max3_f32 v13, v13, v15, v16
	v_or_b32_e32 v15, 16, v12
	v_or_b32_e32 v16, 17, v12
	v_cmp_gt_i32_e64 s[16:17], s7, v15
	v_cmp_gt_i32_e64 s[18:19], s7, v16
	v_fmac_f32_e32 v39, v63, v18
	v_cndmask_b32_e64 v15, v14, v48, s[16:17]
	v_cndmask_b32_e64 v16, v14, v49, s[18:19]
	v_max3_f32 v13, v13, v15, v16
	v_or_b32_e32 v15, 18, v12
	v_or_b32_e32 v16, 19, v12
	v_cmp_gt_i32_e64 s[20:21], s7, v15
	v_cmp_gt_i32_e64 s[22:23], s7, v16
	v_cvt_f32_i32_e32 v17, v17
	v_cndmask_b32_e64 v15, v14, v40, s[20:21]
	v_cndmask_b32_e64 v16, v14, v41, s[22:23]
	v_max3_f32 v13, v13, v15, v16
	v_or_b32_e32 v15, 32, v12
	v_or_b32_e32 v16, 33, v12
	v_cmp_gt_i32_e64 s[24:25], s7, v15
	v_cmp_gt_i32_e64 s[26:27], s7, v16
	v_fma_f32 v34, v63, v17, v34
	v_cndmask_b32_e64 v15, v14, v42, s[24:25]
	v_cndmask_b32_e64 v16, v14, v43, s[26:27]
	v_max3_f32 v13, v13, v15, v16
	v_or_b32_e32 v15, 34, v12
	v_or_b32_e32 v16, 35, v12
	v_cmp_gt_i32_e64 s[28:29], s7, v15
	v_cmp_gt_i32_e64 s[30:31], s7, v16
	s_nop 0
	v_cndmask_b32_e64 v15, v14, v38, s[28:29]
	v_cndmask_b32_e64 v16, v14, v39, s[30:31]
	v_max3_f32 v13, v13, v15, v16
	v_or_b32_e32 v15, 48, v12
	v_or_b32_e32 v16, 49, v12
	v_cmp_gt_i32_e64 s[34:35], s7, v15
	v_cmp_gt_i32_e64 s[36:37], s7, v16
	s_nop 0
	v_cndmask_b32_e64 v15, v14, v36, s[34:35]
	v_cndmask_b32_e64 v16, v14, v37, s[36:37]
	v_max3_f32 v13, v13, v15, v16
	v_or_b32_e32 v15, 50, v12
	v_or_b32_e32 v12, 51, v12
	v_cmp_gt_i32_e32 vcc, s7, v15
	v_cmp_gt_i32_e64 s[4:5], s7, v12
	s_nop 0
	v_cndmask_b32_e32 v15, v14, v34, vcc
	v_cndmask_b32_e64 v12, v14, v35, s[4:5]
	v_max3_f32 v16, v13, v15, v12
	v_mbcnt_lo_u32_b32 v12, -1, 0
	v_mbcnt_hi_u32_b32 v17, -1, v12
	v_and_b32_e32 v12, 64, v17
	v_add_u32_e32 v18, 64, v12
	v_xor_b32_e32 v12, 32, v17
	v_cmp_lt_i32_e64 s[38:39], v12, v18
	s_nop 1
	v_cndmask_b32_e64 v12, v17, v12, s[38:39]
	v_lshlrev_b32_e32 v52, 2, v12
	ds_bpermute_b32 v19, v52, v16
	v_lshl_add_u64 v[12:13], v[46:47], 0, v[58:59]
	v_mad_i64_i32 v[14:15], s[38:39], v68, s45, v[12:13]
	s_waitcnt lgkmcnt(0)
	v_max_f32_e32 v19, v19, v19
	v_max_f32_e32 v19, v16, v19
	v_xor_b32_e32 v16, 16, v17
	v_cmp_lt_i32_e64 s[38:39], v16, v18
	s_nop 1
	v_cndmask_b32_e64 v16, v17, v16, s[38:39]
	v_lshlrev_b32_e32 v53, 2, v16
	ds_bpermute_b32 v18, v53, v19
	v_mad_i64_i32 v[16:17], s[38:39], v66, s45, v[12:13]
	v_mad_i64_i32 v[44:45], s[38:39], v67, s45, v[12:13]
	s_waitcnt lgkmcnt(0)
	v_max_f32_e32 v18, v18, v18
	v_max_f32_e32 v50, v19, v18
	v_sub_f32_e32 v10, v10, v50
	v_mul_f32_e32 v10, 0x3fb8aa3b, v10
	v_exp_f32_e32 v18, v10
	v_sub_f32_e32 v10, v11, v50
	v_mul_f32_e32 v10, 0x3fb8aa3b, v10
	v_exp_f32_e32 v19, v10
	v_mad_i64_i32 v[10:11], s[38:39], v65, s45, v[12:13]
	v_sub_f32_e32 v12, v51, v50
	v_mul_f32_e32 v12, 0x3fb8aa3b, v12
	v_cndmask_b32_e64 v46, 0, v18, s[8:9]
	v_cndmask_b32_e64 v47, 0, v19, s[10:11]
	v_sub_f32_e32 v58, v31, v50
	global_load_dwordx4 v[30:33], v[14:15], off
	global_load_dwordx4 v[18:21], v[16:17], off
	v_exp_f32_e32 v51, v12
	global_load_dwordx4 v[14:17], v[44:45], off
	s_nop 0
	global_load_dwordx4 v[10:13], v[10:11], off
	v_sub_f32_e32 v45, v48, v50
	v_sub_f32_e32 v48, v49, v50
	;; [unrolled: 1-line block ×4, first 2 shown]
	v_mul_f32_e32 v44, 0x3fb8aa3b, v58
	v_mul_f32_e32 v45, 0x3fb8aa3b, v45
	;; [unrolled: 1-line block ×5, first 2 shown]
	v_exp_f32_e32 v44, v44
	v_exp_f32_e32 v45, v45
	;; [unrolled: 1-line block ×3, first 2 shown]
	v_cndmask_b32_e64 v48, 0, v51, s[12:13]
	v_exp_f32_e32 v40, v40
	v_exp_f32_e32 v51, v42
	v_sub_f32_e32 v42, v43, v50
	v_mul_f32_e32 v42, 0x3fb8aa3b, v42
	v_cndmask_b32_e64 v49, 0, v44, s[14:15]
	v_cndmask_b32_e64 v44, 0, v45, s[16:17]
	;; [unrolled: 1-line block ×3, first 2 shown]
	v_sub_f32_e32 v41, v41, v50
	v_exp_f32_e32 v58, v42
	v_cndmask_b32_e64 v42, 0, v40, s[20:21]
	v_cndmask_b32_e64 v40, 0, v51, s[24:25]
	v_add_f32_e32 v51, 0, v46
	v_mul_f32_e32 v41, 0x3fb8aa3b, v41
	v_add_f32_e32 v51, v51, v47
	v_exp_f32_e32 v41, v41
	v_add_f32_e32 v51, v51, v48
	v_sub_f32_e32 v38, v38, v50
	v_add_f32_e32 v51, v51, v49
	v_sub_f32_e32 v39, v39, v50
	v_mul_f32_e32 v38, 0x3fb8aa3b, v38
	v_add_f32_e32 v51, v51, v44
	v_exp_f32_e32 v38, v38
	v_mul_f32_e32 v39, 0x3fb8aa3b, v39
	v_sub_f32_e32 v36, v36, v50
	v_add_f32_e32 v51, v51, v45
	v_cndmask_b32_e64 v43, 0, v41, s[22:23]
	v_exp_f32_e32 v39, v39
	v_mul_f32_e32 v36, 0x3fb8aa3b, v36
	v_sub_f32_e32 v37, v37, v50
	v_add_f32_e32 v51, v51, v42
	v_exp_f32_e32 v36, v36
	v_mul_f32_e32 v37, 0x3fb8aa3b, v37
	v_add_f32_e32 v51, v51, v43
	v_sub_f32_e32 v34, v34, v50
	v_cndmask_b32_e64 v41, 0, v58, s[26:27]
	v_exp_f32_e32 v37, v37
	v_add_f32_e32 v51, v51, v40
	v_mul_f32_e32 v34, 0x3fb8aa3b, v34
	v_sub_f32_e32 v35, v35, v50
	v_cndmask_b32_e64 v38, 0, v38, s[28:29]
	v_add_f32_e32 v51, v51, v41
	v_exp_f32_e32 v34, v34
	v_mul_f32_e32 v35, 0x3fb8aa3b, v35
	v_cndmask_b32_e64 v39, 0, v39, s[30:31]
	v_add_f32_e32 v51, v51, v38
	v_exp_f32_e32 v35, v35
	v_cndmask_b32_e64 v36, 0, v36, s[34:35]
	v_add_f32_e32 v51, v51, v39
	v_cndmask_b32_e64 v37, 0, v37, s[36:37]
	v_add_f32_e32 v51, v51, v36
	v_add_f32_e32 v51, v51, v37
	v_cndmask_b32_e32 v34, 0, v34, vcc
	v_add_f32_e32 v51, v51, v34
	v_cndmask_b32_e64 v35, 0, v35, s[4:5]
	v_add_f32_e32 v51, v51, v35
	ds_bpermute_b32 v52, v52, v51
	v_cmp_gt_u32_e32 vcc, 16, v55
	s_waitcnt lgkmcnt(0)
	s_barrier
	v_add_f32_e32 v51, v51, v52
	ds_bpermute_b32 v52, v53, v51
	s_and_saveexec_b64 s[4:5], vcc
	s_cbranch_execz .LBB1373_15
; %bb.14:
	s_waitcnt lgkmcnt(0)
	v_add_f32_e32 v51, v51, v52
	v_lshlrev_b32_e32 v52, 2, v64
	ds_write2st64_b32 v52, v50, v51 offset1:1
.LBB1373_15:
	s_or_b64 exec, exec, s[4:5]
	v_lshlrev_b32_e32 v51, 2, v56
	s_load_dword s7, s[0:1], 0x94
	s_waitcnt lgkmcnt(0)
	s_barrier
	ds_read2_b32 v[52:53], v51 offset1:16
	ds_read2_b32 v[58:59], v51 offset0:32 offset1:48
	ds_read2_b32 v[60:61], v51 offset0:64 offset1:80
	s_movk_i32 s9, 0x7fff
	s_mul_i32 s8, s44, 6
	s_waitcnt lgkmcnt(2)
	v_max3_f32 v50, v52, s40, v53
	s_waitcnt lgkmcnt(1)
	v_max3_f32 v50, v50, v58, v59
	v_sub_f32_e32 v52, v52, v50
	v_mul_f32_e32 v52, 0x3fb8aa3b, v52
	v_exp_f32_e32 v55, v52
	v_sub_f32_e32 v52, v53, v50
	v_mul_f32_e32 v52, 0x3fb8aa3b, v52
	v_exp_f32_e32 v63, v52
	;; [unrolled: 3-line block ×3, first 2 shown]
	ds_read2_b32 v[52:53], v51 offset0:96 offset1:112
	v_sub_f32_e32 v51, v59, v50
	v_mul_f32_e32 v51, 0x3fb8aa3b, v51
	v_exp_f32_e32 v59, v51
	s_waitcnt lgkmcnt(1)
	v_fma_f32 v51, v55, v60, 0
	v_fmac_f32_e32 v51, v63, v61
	s_waitcnt lgkmcnt(0)
	v_fmac_f32_e32 v51, v58, v52
	v_fmac_f32_e32 v51, v59, v53
	v_add_f32_e32 v52, 0x358637bd, v51
	v_div_scale_f32 v53, s[4:5], v52, v52, 1.0
	v_rcp_f32_e32 v60, v53
	s_barrier
	v_fma_f32 v61, -v53, v60, 1.0
	v_fmac_f32_e32 v60, v61, v60
	v_div_scale_f32 v61, vcc, 1.0, v52, 1.0
	v_mul_f32_e32 v64, v61, v60
	v_fma_f32 v65, -v53, v64, v61
	v_fmac_f32_e32 v64, v65, v60
	v_fma_f32 v53, -v53, v64, v61
	v_div_fmas_f32 v53, v53, v60, v64
	v_cmp_eq_u32_e32 vcc, 1, v57
	v_div_fixup_f32 v52, v53, v52, 1.0
	s_nop 0
	v_cndmask_b32_e32 v53, v55, v63, vcc
	v_cmp_eq_u32_e32 vcc, 2, v57
	s_nop 1
	v_cndmask_b32_e32 v53, v53, v58, vcc
	v_cmp_eq_u32_e32 vcc, 3, v57
	s_nop 1
	v_cndmask_b32_e32 v53, v53, v59, vcc
	v_mul_f32_e32 v52, v53, v52
	v_pk_mul_f32 v[46:47], v[52:53], v[46:47] op_sel_hi:[0,1]
	v_pk_mul_f32 v[48:49], v[52:53], v[48:49] op_sel_hi:[0,1]
	v_bfe_u32 v53, v47, 16, 1
	v_bfe_u32 v55, v46, 16, 1
	v_add3_u32 v46, v46, v55, s9
	v_add3_u32 v47, v47, v53, s9
	v_perm_b32 v58, v47, v46, s33
	v_bfe_u32 v46, v49, 16, 1
	v_bfe_u32 v47, v48, 16, 1
	v_add3_u32 v47, v48, v47, s9
	v_add3_u32 v46, v49, v46, s9
	v_perm_b32 v59, v46, v47, s33
	v_lshlrev_b32_e32 v47, 3, v62
	v_lshlrev_b32_e32 v46, 5, v56
	;; [unrolled: 1-line block ×3, first 2 shown]
	v_pk_mul_f32 v[44:45], v[52:53], v[44:45] op_sel_hi:[0,1]
	v_or3_b32 v55, v48, v46, v47
	v_bfe_u32 v47, v45, 16, 1
	v_bfe_u32 v48, v44, 16, 1
	v_pk_mul_f32 v[42:43], v[52:53], v[42:43] op_sel_hi:[0,1]
	v_add3_u32 v44, v44, v48, s9
	v_add3_u32 v45, v45, v47, s9
	v_perm_b32 v44, v45, v44, s33
	v_bfe_u32 v45, v43, 16, 1
	v_bfe_u32 v47, v42, 16, 1
	v_add3_u32 v42, v42, v47, s9
	v_add3_u32 v43, v43, v45, s9
	v_pk_mul_f32 v[40:41], v[52:53], v[40:41] op_sel_hi:[0,1]
	v_perm_b32 v45, v43, v42, s33
	v_bfe_u32 v42, v41, 16, 1
	v_bfe_u32 v43, v40, 16, 1
	v_pk_mul_f32 v[38:39], v[52:53], v[38:39] op_sel_hi:[0,1]
	v_add3_u32 v40, v40, v43, s9
	v_add3_u32 v41, v41, v42, s9
	v_perm_b32 v40, v41, v40, s33
	v_bfe_u32 v41, v39, 16, 1
	v_bfe_u32 v42, v38, 16, 1
	v_add3_u32 v38, v38, v42, s9
	v_add3_u32 v39, v39, v41, s9
	v_pk_mul_f32 v[36:37], v[52:53], v[36:37] op_sel_hi:[0,1]
	v_perm_b32 v41, v39, v38, s33
	v_bfe_u32 v38, v37, 16, 1
	v_bfe_u32 v39, v36, 16, 1
	v_pk_mul_f32 v[34:35], v[52:53], v[34:35] op_sel_hi:[0,1]
	v_add3_u32 v36, v36, v39, s9
	v_add3_u32 v37, v37, v38, s9
	v_perm_b32 v36, v37, v36, s33
	v_bfe_u32 v37, v35, 16, 1
	v_bfe_u32 v38, v34, 16, 1
	v_add3_u32 v34, v34, v38, s9
	v_add3_u32 v35, v35, v37, s9
	v_perm_b32 v37, v35, v34, s33
	v_cmp_gt_u32_e32 vcc, 6, v0
	ds_write2st64_b64 v55, v[58:59], v[44:45] offset1:1
	ds_write2st64_b64 v55, v[40:41], v[36:37] offset0:2 offset1:3
	s_and_saveexec_b64 s[4:5], vcc
	s_cbranch_execz .LBB1373_17
; %bb.16:
	s_mov_b32 s49, 0
	v_mov_b32_e32 v57, 0
	v_lshl_add_u64 v[34:35], s[48:49], 0, v[56:57]
	v_mov_b32_e32 v36, s8
	v_mad_u64_u32 v[34:35], s[10:11], s2, v36, v[34:35]
	s_mul_i32 s3, s3, s8
	v_mov_b32_e32 v36, s6
	v_mov_b32_e32 v37, v57
	s_load_dwordx4 s[12:15], s[0:1], 0x58
	v_add_u32_e32 v38, s3, v35
	v_mad_u64_u32 v[34:35], s[10:11], v34, s7, v[36:37]
	v_mov_b32_e32 v36, v35
	v_mad_u64_u32 v[36:37], s[10:11], v38, s7, v[36:37]
	v_mov_b32_e32 v35, v36
	v_lshlrev_b64 v[34:35], 2, v[34:35]
	s_waitcnt lgkmcnt(0)
	v_lshl_add_u64 v[36:37], s[14:15], 0, v[34:35]
	v_lshl_add_u64 v[34:35], s[12:13], 0, v[34:35]
	global_store_dword v[36:37], v50, off
	global_store_dword v[34:35], v51, off
.LBB1373_17:
	s_or_b64 exec, exec, s[4:5]
	s_waitcnt vmcnt(7)
	v_cvt_pk_f32_fp8_e32 v[34:35], v6
	v_cvt_pk_f32_fp8_sdwa v[36:37], v6 src0_sel:WORD_1
	v_lshl_or_b32 v50, v62, 9, v46
	s_mov_b32 s5, 0x7060302
	s_waitcnt lgkmcnt(0)
	s_barrier
	v_cvt_pk_f32_fp8_e32 v[38:39], v7
	v_perm_b32 v6, v35, v34, s5
	v_cvt_pk_f32_fp8_sdwa v[40:41], v7 src0_sel:WORD_1
	v_perm_b32 v7, v37, v36, s5
	ds_read_b128 v[34:37], v50
	v_perm_b32 v46, v39, v38, s5
	v_perm_b32 v47, v41, v40, s5
	ds_read_b128 v[38:41], v50 offset:16
	v_cvt_pk_f32_fp8_e32 v[48:49], v8
	v_cvt_pk_f32_fp8_sdwa v[52:53], v8 src0_sel:WORD_1
	s_waitcnt lgkmcnt(1)
	v_mfma_f32_16x16x16_bf16 v[42:45], v[6:7], v[34:35], 0
	s_waitcnt vmcnt(6)
	v_cvt_pk_f32_fp8_e32 v[58:59], v4
	v_perm_b32 v6, v49, v48, s5
	v_perm_b32 v7, v53, v52, s5
	v_cvt_pk_f32_fp8_e32 v[48:49], v9
	v_mfma_f32_16x16x16_bf16 v[42:45], v[46:47], v[36:37], v[42:45]
	v_cvt_pk_f32_fp8_sdwa v[46:47], v9 src0_sel:WORD_1
	v_cvt_pk_f32_fp8_sdwa v[60:61], v4 src0_sel:WORD_1
	v_perm_b32 v48, v49, v48, s5
	s_waitcnt lgkmcnt(0)
	v_mfma_f32_16x16x16_bf16 v[6:9], v[6:7], v[38:39], v[42:45]
	v_perm_b32 v49, v47, v46, s5
	s_waitcnt vmcnt(5)
	v_cvt_pk_f32_fp8_e32 v[64:65], v28
	v_cvt_pk_f32_fp8_sdwa v[66:67], v28 src0_sel:WORD_1
	v_cvt_pk_f32_fp8_e32 v[42:43], v2
	v_mfma_f32_16x16x16_bf16 v[46:49], v[48:49], v[40:41], v[6:9]
	s_waitcnt vmcnt(4)
	v_cvt_pk_f32_fp8_sdwa v[68:69], v24 src0_sel:WORD_1
	s_load_dword s4, s[42:43], 0x0
	v_cvt_pk_f32_fp8_sdwa v[6:7], v2 src0_sel:WORD_1
	v_cvt_pk_f32_fp8_e32 v[8:9], v3
	v_perm_b32 v2, v43, v42, s5
	v_cvt_pk_f32_fp8_sdwa v[42:43], v3 src0_sel:WORD_1
	v_perm_b32 v3, v7, v6, s5
	v_perm_b32 v52, v9, v8, s5
	ds_read_b128 v[6:9], v50 offset:2048
	v_perm_b32 v53, v43, v42, s5
	ds_read_b128 v[42:45], v50 offset:2064
	s_waitcnt lgkmcnt(0)
	v_mfma_f32_16x16x16_bf16 v[46:49], v[2:3], v[6:7], v[46:49]
	v_perm_b32 v2, v59, v58, s5
	v_perm_b32 v3, v61, v60, s5
	v_cvt_pk_f32_fp8_e32 v[58:59], v5
	v_mfma_f32_16x16x16_bf16 v[46:49], v[52:53], v[8:9], v[46:49]
	v_cvt_pk_f32_fp8_sdwa v[52:53], v5 src0_sel:WORD_1
	s_waitcnt vmcnt(3)
	v_cvt_pk_f32_fp8_sdwa v[70:71], v32 src0_sel:WORD_1
	v_perm_b32 v58, v59, v58, s5
	v_mfma_f32_16x16x16_bf16 v[2:5], v[2:3], v[42:43], v[46:49]
	v_perm_b32 v59, v53, v52, s5
	s_mov_b32 s3, 0
	v_cmp_gt_u32_e32 vcc, 64, v0
	v_cvt_pk_f32_fp8_e32 v[46:47], v26
	v_mfma_f32_16x16x16_bf16 v[58:61], v[58:59], v[44:45], v[2:5]
	s_nop 2
	v_cvt_pk_f32_fp8_sdwa v[2:3], v26 src0_sel:WORD_1
	v_cvt_pk_f32_fp8_e32 v[4:5], v27
	v_perm_b32 v26, v47, v46, s5
	v_cvt_pk_f32_fp8_sdwa v[46:47], v27 src0_sel:WORD_1
	v_perm_b32 v27, v3, v2, s5
	v_perm_b32 v52, v5, v4, s5
	ds_read_b128 v[2:5], v50 offset:4096
	v_perm_b32 v53, v47, v46, s5
	ds_read_b128 v[46:49], v50 offset:4112
	s_waitcnt lgkmcnt(1)
	v_mfma_f32_16x16x16_bf16 v[58:61], v[26:27], v[2:3], v[58:61]
	v_perm_b32 v26, v65, v64, s5
	v_perm_b32 v27, v67, v66, s5
	v_cvt_pk_f32_fp8_e32 v[64:65], v29
	v_mfma_f32_16x16x16_bf16 v[58:61], v[52:53], v[4:5], v[58:61]
	v_cvt_pk_f32_fp8_sdwa v[52:53], v29 src0_sel:WORD_1
	v_cvt_pk_f32_fp8_e32 v[66:67], v24
	v_perm_b32 v64, v65, v64, s5
	s_waitcnt lgkmcnt(0)
	v_mfma_f32_16x16x16_bf16 v[26:29], v[26:27], v[46:47], v[58:61]
	v_perm_b32 v65, v53, v52, s5
	v_cvt_pk_f32_fp8_e32 v[52:53], v22
	s_nop 0
	v_mfma_f32_16x16x16_bf16 v[58:61], v[64:65], v[48:49], v[26:29]
	s_nop 2
	v_cvt_pk_f32_fp8_sdwa v[26:27], v22 src0_sel:WORD_1
	v_cvt_pk_f32_fp8_e32 v[28:29], v23
	v_perm_b32 v22, v53, v52, s5
	v_cvt_pk_f32_fp8_sdwa v[52:53], v23 src0_sel:WORD_1
	v_perm_b32 v23, v27, v26, s5
	v_perm_b32 v64, v29, v28, s5
	ds_read_b128 v[26:29], v50 offset:6144
	v_perm_b32 v65, v53, v52, s5
	s_waitcnt lgkmcnt(0)
	v_mfma_f32_16x16x16_bf16 v[58:61], v[22:23], v[26:27], v[58:61]
	ds_read_b128 v[50:53], v50 offset:6160
	v_perm_b32 v22, v67, v66, s5
	v_perm_b32 v23, v69, v68, s5
	v_cvt_pk_f32_fp8_e32 v[66:67], v25
	v_mfma_f32_16x16x16_bf16 v[58:61], v[64:65], v[28:29], v[58:61]
	v_cvt_pk_f32_fp8_sdwa v[64:65], v25 src0_sel:WORD_1
	v_cvt_pk_f32_fp8_e32 v[68:69], v32
	v_perm_b32 v66, v67, v66, s5
	s_waitcnt lgkmcnt(0)
	v_mfma_f32_16x16x16_bf16 v[22:25], v[22:23], v[50:51], v[58:61]
	v_perm_b32 v67, v65, v64, s5
	s_barrier
	s_nop 0
	v_mfma_f32_16x16x16_bf16 v[58:61], v[66:67], v[52:53], v[22:25]
	s_nop 2
	v_cvt_pk_f32_fp8_e32 v[24:25], v30
	v_perm_b32 v24, v25, v24, s5
	s_nop 1
	v_pk_mul_f32 v[22:23], v[60:61], s[4:5] op_sel_hi:[1,0]
	v_cvt_pk_f32_fp8_sdwa v[60:61], v30 src0_sel:WORD_1
	v_pk_mul_f32 v[64:65], v[58:59], s[4:5] op_sel_hi:[1,0]
	v_cvt_pk_f32_fp8_e32 v[58:59], v31
	v_cvt_pk_f32_fp8_sdwa v[30:31], v31 src0_sel:WORD_1
	v_perm_b32 v25, v61, v60, s5
	v_bfe_u32 v57, v65, 16, 1
	v_perm_b32 v66, v59, v58, s5
	v_perm_b32 v67, v31, v30, s5
	v_mfma_f32_16x16x16_bf16 v[58:61], v[24:25], v[34:35], 0
	v_perm_b32 v24, v69, v68, s5
	v_perm_b32 v25, v71, v70, s5
	v_cvt_pk_f32_fp8_e32 v[34:35], v33
	v_cvt_pk_f32_fp8_sdwa v[68:69], v33 src0_sel:WORD_1
	v_mfma_f32_16x16x16_bf16 v[30:33], v[66:67], v[36:37], v[58:61]
	s_waitcnt vmcnt(2)
	v_cvt_pk_f32_fp8_sdwa v[36:37], v18 src0_sel:WORD_1
	v_perm_b32 v34, v35, v34, s5
	v_perm_b32 v35, v69, v68, s5
	v_mfma_f32_16x16x16_bf16 v[30:33], v[24:25], v[38:39], v[30:33]
	v_cvt_pk_f32_fp8_e32 v[24:25], v18
	v_cvt_pk_f32_fp8_sdwa v[38:39], v20 src0_sel:WORD_1
	v_bfe_u32 v58, v64, 16, 1
	v_mfma_f32_16x16x16_bf16 v[30:33], v[34:35], v[40:41], v[30:33]
	v_cvt_pk_f32_fp8_e32 v[34:35], v19
	v_perm_b32 v24, v25, v24, s5
	v_perm_b32 v25, v37, v36, s5
	v_cvt_pk_f32_fp8_sdwa v[18:19], v19 src0_sel:WORD_1
	v_perm_b32 v34, v35, v34, s5
	v_cvt_pk_f32_fp8_e32 v[36:37], v20
	v_mfma_f32_16x16x16_bf16 v[30:33], v[24:25], v[6:7], v[30:33]
	v_perm_b32 v35, v19, v18, s5
	v_perm_b32 v18, v37, v36, s5
	;; [unrolled: 1-line block ×3, first 2 shown]
	v_cvt_pk_f32_fp8_e32 v[24:25], v21
	v_cvt_pk_f32_fp8_sdwa v[20:21], v21 src0_sel:WORD_1
	v_mfma_f32_16x16x16_bf16 v[6:9], v[34:35], v[8:9], v[30:33]
	v_perm_b32 v24, v25, v24, s5
	v_perm_b32 v25, v21, v20, s5
	v_mfma_f32_16x16x16_bf16 v[6:9], v[18:19], v[42:43], v[6:9]
	s_waitcnt vmcnt(1)
	v_cvt_pk_f32_fp8_e32 v[18:19], v14
	v_cvt_pk_f32_fp8_sdwa v[20:21], v14 src0_sel:WORD_1
	v_cvt_pk_f32_fp8_sdwa v[30:31], v16 src0_sel:WORD_1
	v_mfma_f32_16x16x16_bf16 v[6:9], v[24:25], v[44:45], v[6:9]
	v_cvt_pk_f32_fp8_e32 v[24:25], v15
	v_perm_b32 v18, v19, v18, s5
	v_perm_b32 v19, v21, v20, s5
	v_cvt_pk_f32_fp8_sdwa v[14:15], v15 src0_sel:WORD_1
	v_perm_b32 v20, v25, v24, s5
	v_cvt_pk_f32_fp8_e32 v[24:25], v16
	v_mfma_f32_16x16x16_bf16 v[6:9], v[18:19], v[2:3], v[6:9]
	v_perm_b32 v21, v15, v14, s5
	v_perm_b32 v14, v25, v24, s5
	;; [unrolled: 1-line block ×3, first 2 shown]
	v_cvt_pk_f32_fp8_e32 v[18:19], v17
	v_cvt_pk_f32_fp8_sdwa v[16:17], v17 src0_sel:WORD_1
	v_mfma_f32_16x16x16_bf16 v[2:5], v[20:21], v[4:5], v[6:9]
	v_add3_u32 v32, v64, v58, s9
	v_add3_u32 v33, v65, v57, s9
	s_nop 0
	v_perm_b32 v8, v19, v18, s5
	v_perm_b32 v9, v17, v16, s5
	v_mfma_f32_16x16x16_bf16 v[2:5], v[14:15], v[46:47], v[2:5]
	s_waitcnt vmcnt(0)
	v_cvt_pk_f32_fp8_e32 v[14:15], v10
	v_cvt_pk_f32_fp8_sdwa v[16:17], v10 src0_sel:WORD_1
	v_cvt_pk_f32_fp8_sdwa v[18:19], v12 src0_sel:WORD_1
	v_mfma_f32_16x16x16_bf16 v[2:5], v[8:9], v[48:49], v[2:5]
	v_cvt_pk_f32_fp8_e32 v[8:9], v11
	v_perm_b32 v14, v15, v14, s5
	v_perm_b32 v15, v17, v16, s5
	v_cvt_pk_f32_fp8_sdwa v[10:11], v11 src0_sel:WORD_1
	v_perm_b32 v8, v9, v8, s5
	v_cvt_pk_f32_fp8_e32 v[16:17], v12
	v_mfma_f32_16x16x16_bf16 v[2:5], v[14:15], v[26:27], v[2:5]
	v_perm_b32 v9, v11, v10, s5
	v_perm_b32 v10, v17, v16, s5
	;; [unrolled: 1-line block ×3, first 2 shown]
	v_cvt_pk_f32_fp8_e32 v[14:15], v13
	v_cvt_pk_f32_fp8_sdwa v[12:13], v13 src0_sel:WORD_1
	v_mfma_f32_16x16x16_bf16 v[2:5], v[8:9], v[28:29], v[2:5]
	v_bfe_u32 v7, v23, 16, 1
	v_perm_b32 v8, v15, v14, s5
	v_perm_b32 v9, v13, v12, s5
	v_mfma_f32_16x16x16_bf16 v[2:5], v[10:11], v[50:51], v[2:5]
	v_bfe_u32 v16, v22, 16, 1
	v_add3_u32 v10, v22, v16, s9
	v_add3_u32 v7, v23, v7, s9
	v_mfma_f32_16x16x16_bf16 v[2:5], v[8:9], v[52:53], v[2:5]
	v_perm_b32 v6, v33, v32, s5
	v_perm_b32 v7, v7, v10, s5
	s_nop 4
	v_pk_mul_f32 v[2:3], v[2:3], s[4:5] op_sel_hi:[1,0]
	v_pk_mul_f32 v[4:5], v[4:5], s[4:5] op_sel_hi:[1,0]
	v_bfe_u32 v8, v3, 16, 1
	v_bfe_u32 v9, v2, 16, 1
	v_add3_u32 v2, v2, v9, s9
	v_add3_u32 v3, v3, v8, s9
	v_perm_b32 v2, v3, v2, s5
	v_bfe_u32 v3, v5, 16, 1
	v_bfe_u32 v8, v4, 16, 1
	v_add3_u32 v4, v4, v8, s9
	v_add3_u32 v3, v5, v3, s9
	v_perm_b32 v3, v3, v4, s5
	ds_write2st64_b64 v55, v[6:7], v[2:3] offset1:1
	s_waitcnt lgkmcnt(0)
	s_barrier
	s_and_saveexec_b64 s[4:5], vcc
	s_cbranch_execz .LBB1373_20
; %bb.18:
	s_load_dwordx2 s[4:5], s[0:1], 0x68
	s_lshl_b32 s0, s7, 7
	s_mul_i32 s1, s8, s2
	v_lshlrev_b32_e32 v4, 6, v56
	s_mul_hi_u32 s9, s1, s0
	s_mul_i32 s8, s1, s0
	v_lshl_or_b32 v0, v0, 10, v4
	s_lshl_b64 s[8:9], s[8:9], 1
	v_lshlrev_b32_e32 v3, 5, v62
	v_and_b32_e32 v1, 16, v1
	v_and_b32_e32 v0, 0x1a00, v0
	s_waitcnt lgkmcnt(0)
	s_add_u32 s1, s4, s8
	v_or3_b32 v3, v0, v3, v1
	s_addc_u32 s4, s5, s9
	s_lshl_b32 s2, s6, 7
	s_lshl_b64 s[2:3], s[2:3], 1
	ds_read_b128 v[4:7], v3
	s_add_u32 s2, s1, s2
	s_addc_u32 s3, s4, s3
	v_mov_b32_e32 v55, 0
	v_add_u32_e32 v8, s48, v62
	v_or_b32_e32 v2, 4, v62
	v_lshl_add_u64 v[0:1], s[2:3], 0, v[54:55]
	v_mad_u64_u32 v[8:9], s[2:3], v8, s0, 0
	v_lshl_add_u64 v[8:9], v[8:9], 1, v[0:1]
	v_cmp_gt_u32_e32 vcc, 6, v2
	s_waitcnt lgkmcnt(0)
	global_store_dwordx4 v[8:9], v[4:7], off
	s_and_b64 exec, exec, vcc
	s_cbranch_execz .LBB1373_20
; %bb.19:
	ds_read_b128 v[4:7], v3 offset:128
	v_add_u32_e32 v2, s48, v2
	v_mad_u64_u32 v[2:3], s[0:1], v2, s0, 0
	v_lshl_add_u64 v[0:1], v[2:3], 1, v[0:1]
	s_waitcnt lgkmcnt(0)
	global_store_dwordx4 v[0:1], v[4:7], off
.LBB1373_20:
	s_endpgm
	.section	.rodata,"a",@progbits
	.p2align	6, 0x0
	.amdhsa_kernel _Z39paged_attention_ll4mi_QKV_mfma16_kernelI14__hip_bfloat16hLN4vllm18Fp8KVCacheDataTypeE1ES0_Li32ELi128ELi256ELb1ELi6EEvPKT_PKT0_S8_ifPKiSA_SA_iPKfiiiPfSD_PS3_PT2_iSC_SC_
		.amdhsa_group_segment_fixed_size 8192
		.amdhsa_private_segment_fixed_size 0
		.amdhsa_kernarg_size 400
		.amdhsa_user_sgpr_count 2
		.amdhsa_user_sgpr_dispatch_ptr 0
		.amdhsa_user_sgpr_queue_ptr 0
		.amdhsa_user_sgpr_kernarg_segment_ptr 1
		.amdhsa_user_sgpr_dispatch_id 0
		.amdhsa_user_sgpr_kernarg_preload_length 0
		.amdhsa_user_sgpr_kernarg_preload_offset 0
		.amdhsa_user_sgpr_private_segment_size 0
		.amdhsa_uses_dynamic_stack 0
		.amdhsa_enable_private_segment 0
		.amdhsa_system_sgpr_workgroup_id_x 1
		.amdhsa_system_sgpr_workgroup_id_y 1
		.amdhsa_system_sgpr_workgroup_id_z 1
		.amdhsa_system_sgpr_workgroup_info 0
		.amdhsa_system_vgpr_workitem_id 0
		.amdhsa_next_free_vgpr 78
		.amdhsa_next_free_sgpr 50
		.amdhsa_accum_offset 80
		.amdhsa_reserve_vcc 1
		.amdhsa_float_round_mode_32 0
		.amdhsa_float_round_mode_16_64 0
		.amdhsa_float_denorm_mode_32 3
		.amdhsa_float_denorm_mode_16_64 3
		.amdhsa_dx10_clamp 1
		.amdhsa_ieee_mode 1
		.amdhsa_fp16_overflow 0
		.amdhsa_tg_split 0
		.amdhsa_exception_fp_ieee_invalid_op 0
		.amdhsa_exception_fp_denorm_src 0
		.amdhsa_exception_fp_ieee_div_zero 0
		.amdhsa_exception_fp_ieee_overflow 0
		.amdhsa_exception_fp_ieee_underflow 0
		.amdhsa_exception_fp_ieee_inexact 0
		.amdhsa_exception_int_div_zero 0
	.end_amdhsa_kernel
	.section	.text._Z39paged_attention_ll4mi_QKV_mfma16_kernelI14__hip_bfloat16hLN4vllm18Fp8KVCacheDataTypeE1ES0_Li32ELi128ELi256ELb1ELi6EEvPKT_PKT0_S8_ifPKiSA_SA_iPKfiiiPfSD_PS3_PT2_iSC_SC_,"axG",@progbits,_Z39paged_attention_ll4mi_QKV_mfma16_kernelI14__hip_bfloat16hLN4vllm18Fp8KVCacheDataTypeE1ES0_Li32ELi128ELi256ELb1ELi6EEvPKT_PKT0_S8_ifPKiSA_SA_iPKfiiiPfSD_PS3_PT2_iSC_SC_,comdat
.Lfunc_end1373:
	.size	_Z39paged_attention_ll4mi_QKV_mfma16_kernelI14__hip_bfloat16hLN4vllm18Fp8KVCacheDataTypeE1ES0_Li32ELi128ELi256ELb1ELi6EEvPKT_PKT0_S8_ifPKiSA_SA_iPKfiiiPfSD_PS3_PT2_iSC_SC_, .Lfunc_end1373-_Z39paged_attention_ll4mi_QKV_mfma16_kernelI14__hip_bfloat16hLN4vllm18Fp8KVCacheDataTypeE1ES0_Li32ELi128ELi256ELb1ELi6EEvPKT_PKT0_S8_ifPKiSA_SA_iPKfiiiPfSD_PS3_PT2_iSC_SC_
                                        ; -- End function
	.section	.AMDGPU.csdata,"",@progbits
; Kernel info:
; codeLenInByte = 6668
; NumSgprs: 56
; NumVgprs: 78
; NumAgprs: 0
; TotalNumVgprs: 78
; ScratchSize: 0
; MemoryBound: 0
; FloatMode: 240
; IeeeMode: 1
; LDSByteSize: 8192 bytes/workgroup (compile time only)
; SGPRBlocks: 6
; VGPRBlocks: 9
; NumSGPRsForWavesPerEU: 56
; NumVGPRsForWavesPerEU: 78
; AccumOffset: 80
; Occupancy: 6
; WaveLimiterHint : 1
; COMPUTE_PGM_RSRC2:SCRATCH_EN: 0
; COMPUTE_PGM_RSRC2:USER_SGPR: 2
; COMPUTE_PGM_RSRC2:TRAP_HANDLER: 0
; COMPUTE_PGM_RSRC2:TGID_X_EN: 1
; COMPUTE_PGM_RSRC2:TGID_Y_EN: 1
; COMPUTE_PGM_RSRC2:TGID_Z_EN: 1
; COMPUTE_PGM_RSRC2:TIDIG_COMP_CNT: 0
; COMPUTE_PGM_RSRC3_GFX90A:ACCUM_OFFSET: 19
; COMPUTE_PGM_RSRC3_GFX90A:TG_SPLIT: 0
	.section	.text._Z39paged_attention_ll4mi_QKV_mfma16_kernelI14__hip_bfloat16hLN4vllm18Fp8KVCacheDataTypeE1ES0_Li32ELi128ELi256ELb1ELi7EEvPKT_PKT0_S8_ifPKiSA_SA_iPKfiiiPfSD_PS3_PT2_iSC_SC_,"axG",@progbits,_Z39paged_attention_ll4mi_QKV_mfma16_kernelI14__hip_bfloat16hLN4vllm18Fp8KVCacheDataTypeE1ES0_Li32ELi128ELi256ELb1ELi7EEvPKT_PKT0_S8_ifPKiSA_SA_iPKfiiiPfSD_PS3_PT2_iSC_SC_,comdat
	.protected	_Z39paged_attention_ll4mi_QKV_mfma16_kernelI14__hip_bfloat16hLN4vllm18Fp8KVCacheDataTypeE1ES0_Li32ELi128ELi256ELb1ELi7EEvPKT_PKT0_S8_ifPKiSA_SA_iPKfiiiPfSD_PS3_PT2_iSC_SC_ ; -- Begin function _Z39paged_attention_ll4mi_QKV_mfma16_kernelI14__hip_bfloat16hLN4vllm18Fp8KVCacheDataTypeE1ES0_Li32ELi128ELi256ELb1ELi7EEvPKT_PKT0_S8_ifPKiSA_SA_iPKfiiiPfSD_PS3_PT2_iSC_SC_
	.globl	_Z39paged_attention_ll4mi_QKV_mfma16_kernelI14__hip_bfloat16hLN4vllm18Fp8KVCacheDataTypeE1ES0_Li32ELi128ELi256ELb1ELi7EEvPKT_PKT0_S8_ifPKiSA_SA_iPKfiiiPfSD_PS3_PT2_iSC_SC_
	.p2align	8
	.type	_Z39paged_attention_ll4mi_QKV_mfma16_kernelI14__hip_bfloat16hLN4vllm18Fp8KVCacheDataTypeE1ES0_Li32ELi128ELi256ELb1ELi7EEvPKT_PKT0_S8_ifPKiSA_SA_iPKfiiiPfSD_PS3_PT2_iSC_SC_,@function
_Z39paged_attention_ll4mi_QKV_mfma16_kernelI14__hip_bfloat16hLN4vllm18Fp8KVCacheDataTypeE1ES0_Li32ELi128ELi256ELb1ELi7EEvPKT_PKT0_S8_ifPKiSA_SA_iPKfiiiPfSD_PS3_PT2_iSC_SC_: ; @_Z39paged_attention_ll4mi_QKV_mfma16_kernelI14__hip_bfloat16hLN4vllm18Fp8KVCacheDataTypeE1ES0_Li32ELi128ELi256ELb1ELi7EEvPKT_PKT0_S8_ifPKiSA_SA_iPKfiiiPfSD_PS3_PT2_iSC_SC_
; %bb.0:
	s_load_dwordx2 s[10:11], s[0:1], 0x30
	s_mov_b32 s6, s3
	s_mov_b64 s[8:9], 0
	s_waitcnt lgkmcnt(0)
	s_cmp_lg_u64 s[10:11], 0
	s_cselect_b64 s[12:13], -1, 0
	s_and_b64 vcc, exec, s[12:13]
	s_cbranch_vccz .LBB1374_7
; %bb.1:
	s_add_i32 s14, s2, 1
	s_mov_b32 s15, 0
	s_lshl_b64 s[16:17], s[14:15], 2
	s_add_u32 s16, s10, s16
	s_mov_b32 s3, s15
	s_addc_u32 s17, s11, s17
	s_lshl_b64 s[14:15], s[2:3], 2
	s_add_u32 s14, s10, s14
	s_addc_u32 s15, s11, s15
	s_load_dword s5, s[16:17], 0x0
	s_load_dword s7, s[14:15], 0x0
	s_waitcnt lgkmcnt(0)
	s_sub_i32 s5, s5, s7
	s_cmp_eq_u32 s5, 1
	s_cselect_b64 s[14:15], -1, 0
	s_andn2_b64 vcc, exec, s[8:9]
	s_cbranch_vccnz .LBB1374_3
.LBB1374_2:
	s_mov_b32 s3, 0
	s_mov_b64 s[14:15], -1
.LBB1374_3:
	s_andn2_b64 vcc, exec, s[14:15]
	s_cbranch_vccnz .LBB1374_20
; %bb.4:
	s_load_dwordx2 s[8:9], s[0:1], 0x28
	s_lshl_b64 s[16:17], s[2:3], 2
	s_waitcnt lgkmcnt(0)
	s_add_u32 s8, s8, s16
	s_addc_u32 s9, s9, s17
	s_load_dword s7, s[8:9], 0x0
	s_lshl_b32 s18, s6, 8
	s_waitcnt lgkmcnt(0)
	s_cmp_ge_i32 s18, s7
	s_cbranch_scc1 .LBB1374_20
; %bb.5:
	s_load_dwordx2 s[8:9], s[0:1], 0x20
	s_load_dword s5, s[0:1], 0x38
	s_add_i32 s14, s7, 31
	s_ashr_i32 s15, s14, 31
	v_and_b32_e32 v1, 0xcf, v0
	s_lshr_b32 s15, s15, 27
	v_add_u32_e32 v1, s18, v1
	s_add_i32 s14, s14, s15
	v_ashrrev_i32_e32 v2, 31, v1
	s_ashr_i32 s19, s14, 5
	v_lshrrev_b32_e32 v4, 27, v2
	s_add_i32 s19, s19, -1
	s_waitcnt lgkmcnt(0)
	s_mul_i32 s14, s2, s5
	s_mov_b32 s15, 0
	v_add_u32_e32 v2, v1, v4
	s_lshl_b64 s[14:15], s[14:15], 2
	v_ashrrev_i32_e32 v2, 5, v2
	v_mov_b32_e32 v5, s19
	v_cmp_gt_i32_e32 vcc, s7, v1
	s_add_u32 s8, s8, s14
	s_addc_u32 s9, s9, s15
	v_cndmask_b32_e32 v2, v5, v2, vcc
	v_ashrrev_i32_e32 v3, 31, v2
	v_lshl_add_u64 v[6:7], v[2:3], 2, s[8:9]
	v_or_b32_e32 v2, 16, v1
	v_add_u32_e32 v3, v2, v4
	v_ashrrev_i32_e32 v3, 5, v3
	v_cmp_gt_i32_e32 vcc, s7, v2
	s_load_dwordx2 s[14:15], s[0:1], 0x8
	s_nop 0
	v_cndmask_b32_e32 v2, v5, v3, vcc
	v_ashrrev_i32_e32 v3, 31, v2
	v_lshl_add_u64 v[8:9], v[2:3], 2, s[8:9]
	v_or_b32_e32 v2, 32, v1
	v_add_u32_e32 v3, v2, v4
	v_ashrrev_i32_e32 v3, 5, v3
	v_cmp_gt_i32_e32 vcc, s7, v2
	v_or_b32_e32 v1, 48, v1
	s_nop 0
	v_cndmask_b32_e32 v2, v5, v3, vcc
	v_ashrrev_i32_e32 v3, 31, v2
	v_lshl_add_u64 v[12:13], v[2:3], 2, s[8:9]
	v_add_u32_e32 v2, v1, v4
	v_ashrrev_i32_e32 v2, 5, v2
	v_cmp_gt_i32_e32 vcc, s7, v1
	s_nop 1
	v_cndmask_b32_e32 v2, v5, v2, vcc
	v_ashrrev_i32_e32 v3, 31, v2
	v_lshl_add_u64 v[14:15], v[2:3], 2, s[8:9]
	global_load_dword v4, v[6:7], off
	global_load_dword v3, v[8:9], off
	;; [unrolled: 1-line block ×4, first 2 shown]
	s_andn2_b64 vcc, exec, s[12:13]
	s_cbranch_vccnz .LBB1374_8
; %bb.6:
	s_add_u32 s10, s10, s16
	s_addc_u32 s11, s11, s17
	s_load_dword s5, s[10:11], 0x0
	s_branch .LBB1374_9
.LBB1374_7:
	s_mov_b64 s[14:15], 0
	s_branch .LBB1374_2
.LBB1374_8:
	s_mov_b32 s5, s2
.LBB1374_9:
	s_load_dwordx2 s[10:11], s[0:1], 0x10
	s_load_dwordx4 s[44:47], s[0:1], 0x48
	v_lshrrev_b32_e32 v57, 6, v0
	v_bfe_u32 v62, v0, 4, 2
	v_and_b32_e32 v56, 15, v0
	v_lshl_or_b32 v5, v57, 2, v62
	v_lshlrev_b32_e32 v1, 3, v56
	s_mul_i32 s48, s4, 7
	v_cmp_gt_u32_e32 vcc, 7, v5
	v_lshlrev_b32_e32 v54, 1, v1
	v_lshlrev_b32_e32 v1, 4, v0
	s_and_saveexec_b64 s[12:13], vcc
	s_cbranch_execz .LBB1374_11
; %bb.10:
	s_load_dwordx2 s[16:17], s[0:1], 0x0
	s_waitcnt lgkmcnt(0)
	s_ashr_i32 s20, s44, 31
	s_mul_hi_u32 s21, s5, s44
	s_mul_i32 s20, s5, s20
	s_add_i32 s21, s21, s20
	s_mul_i32 s20, s5, s44
	s_lshl_b64 s[20:21], s[20:21], 1
	s_add_u32 s16, s16, s20
	v_add_lshl_u32 v6, v5, s48, 7
	s_addc_u32 s17, s17, s21
	v_ashrrev_i32_e32 v7, 31, v6
	v_lshl_add_u64 v[6:7], v[6:7], 1, s[16:17]
	v_mov_b32_e32 v55, 0
	v_lshl_add_u64 v[6:7], v[6:7], 0, v[54:55]
	global_load_dwordx4 v[6:9], v[6:7], off
	v_lshlrev_b32_e32 v12, 8, v0
	v_lshlrev_b32_e32 v11, 8, v56
	v_and_b32_e32 v12, 0x600, v12
	s_movk_i32 s5, 0x800
	v_and_or_b32 v11, v11, s5, v12
	v_lshlrev_b32_e32 v5, 5, v5
	v_and_b32_e32 v12, 16, v1
	v_or3_b32 v5, v11, v5, v12
	s_waitcnt vmcnt(0)
	ds_write_b128 v5, v[6:9]
.LBB1374_11:
	s_or_b64 exec, exec, s[12:13]
	s_waitcnt lgkmcnt(0)
	s_mul_i32 s12, s4, s46
	s_add_u32 s4, s14, s12
	s_addc_u32 s5, s15, 0
	v_mov_b32_e32 v59, 0
	v_mov_b64_e32 v[12:13], s[4:5]
	v_and_b32_e32 v34, 48, v0
	s_waitcnt vmcnt(3)
	v_mad_i64_i32 v[4:5], s[4:5], v4, s45, v[12:13]
	v_lshlrev_b32_e32 v14, 4, v56
	v_mov_b32_e32 v15, v59
	v_lshlrev_b32_e32 v58, 5, v34
	v_lshl_add_u64 v[4:5], v[4:5], 0, v[14:15]
	v_lshl_add_u64 v[4:5], v[4:5], 0, v[58:59]
	s_barrier
	global_load_dwordx4 v[50:53], v[4:5], off
	global_load_dwordx4 v[46:49], v[4:5], off offset:2048
	s_waitcnt vmcnt(4)
	v_mad_i64_i32 v[4:5], s[4:5], v3, s45, v[12:13]
	v_or_b32_e32 v16, 0x100, v14
	v_mov_b32_e32 v17, v59
	s_waitcnt vmcnt(3)
	v_mad_i64_i32 v[2:3], s[4:5], v2, s45, v[12:13]
	v_lshl_add_u64 v[4:5], v[4:5], 0, v[16:17]
	v_lshl_add_u64 v[2:3], v[2:3], 0, v[14:15]
	s_waitcnt vmcnt(2)
	v_mad_i64_i32 v[10:11], s[4:5], v10, s45, v[12:13]
	v_lshl_add_u64 v[4:5], v[4:5], 0, v[58:59]
	v_lshl_add_u64 v[14:15], v[2:3], 0, v[58:59]
	;; [unrolled: 1-line block ×3, first 2 shown]
	global_load_dwordx4 v[36:39], v[4:5], off
	global_load_dwordx4 v[6:9], v[4:5], off offset:2048
	s_nop 0
	global_load_dwordx4 v[2:5], v[14:15], off
	global_load_dwordx4 v[42:45], v[14:15], off offset:2048
	v_lshl_add_u64 v[14:15], v[10:11], 0, v[58:59]
	global_load_dwordx4 v[26:29], v[14:15], off
	global_load_dwordx4 v[10:13], v[14:15], off offset:2048
	v_mul_lo_u16_e32 v14, 37, v56
	v_mov_b32_e32 v15, 7
	v_mul_lo_u16_sdwa v14, v14, v15 dst_sel:DWORD dst_unused:UNUSED_PAD src0_sel:BYTE_1 src1_sel:DWORD
	v_sub_u16_e32 v14, v56, v14
	v_mov_b32_e32 v15, 5
	v_lshlrev_b32_sdwa v14, v15, v14 dst_sel:DWORD dst_unused:UNUSED_PAD src0_sel:DWORD src1_sel:BYTE_0
	v_lshl_add_u32 v14, v62, 9, v14
	ds_read_b128 v[30:33], v14
	ds_read_b128 v[22:25], v14 offset:16
	ds_read_b128 v[18:21], v14 offset:2048
	;; [unrolled: 1-line block ×3, first 2 shown]
	v_and_b32_e32 v55, 63, v0
	v_cmp_gt_u32_e32 vcc, 7, v56
	v_mov_b32_e32 v63, 0
	s_and_saveexec_b64 s[4:5], vcc
	s_cbranch_execz .LBB1374_13
; %bb.12:
	s_load_dwordx2 s[14:15], s[0:1], 0x40
	v_add_u32_e32 v40, s48, v56
	v_ashrrev_i32_e32 v41, 31, v40
	s_waitcnt lgkmcnt(0)
	v_lshl_add_u64 v[40:41], v[40:41], 2, s[14:15]
	global_load_dword v63, v[40:41], off
.LBB1374_13:
	s_or_b64 exec, exec, s[4:5]
	s_ashr_i32 s4, s18, 31
	v_or_b32_e32 v58, s18, v34
	s_lshr_b32 s4, s4, 27
	v_add_u32_e32 v34, s4, v58
	v_or_b32_e32 v40, 64, v58
	v_ashrrev_i32_e32 v34, 5, v34
	v_mov_b32_e32 v64, s19
	v_cmp_gt_i32_e32 vcc, s7, v58
	v_add_u32_e32 v41, s4, v40
	v_or_b32_e32 v60, 0x80, v58
	v_cndmask_b32_e32 v34, v64, v34, vcc
	v_ashrrev_i32_e32 v41, 5, v41
	v_cmp_gt_i32_e32 vcc, s7, v40
	v_add_u32_e32 v61, s4, v60
	v_or_b32_e32 v58, 0xc0, v58
	v_cndmask_b32_e32 v40, v64, v41, vcc
	v_ashrrev_i32_e32 v61, 5, v61
	v_cmp_gt_i32_e32 vcc, s7, v60
	v_add_u32_e32 v65, s4, v58
	v_ashrrev_i32_e32 v65, 5, v65
	v_cndmask_b32_e32 v60, v64, v61, vcc
	v_cmp_gt_i32_e32 vcc, s7, v58
	s_waitcnt vmcnt(7)
	v_cvt_pk_f32_fp8_sdwa v[66:67], v50 src0_sel:WORD_1
	s_mov_b32 s33, 0x7060302
	v_cndmask_b32_e32 v68, v64, v65, vcc
	v_cvt_pk_f32_fp8_e32 v[64:65], v50
	v_cvt_pk_f32_fp8_e32 v[70:71], v51
	v_cvt_pk_f32_fp8_sdwa v[50:51], v51 src0_sel:WORD_1
	v_cvt_pk_f32_fp8_e32 v[72:73], v52
	v_perm_b32 v64, v65, v64, s33
	v_perm_b32 v65, v67, v66, s33
	;; [unrolled: 1-line block ×3, first 2 shown]
	v_cvt_pk_f32_fp8_sdwa v[74:75], v52 src0_sel:WORD_1
	v_perm_b32 v71, v51, v50, s33
	s_waitcnt lgkmcnt(3)
	v_mfma_f32_16x16x16_bf16 v[64:67], v[64:65], v[30:31], 0
	v_perm_b32 v72, v73, v72, s33
	v_perm_b32 v73, v75, v74, s33
	v_cvt_pk_f32_fp8_e32 v[74:75], v53
	v_cvt_pk_f32_fp8_sdwa v[76:77], v53 src0_sel:WORD_1
	v_mfma_f32_16x16x16_bf16 v[50:53], v[70:71], v[32:33], v[64:67]
	v_ashrrev_i32_e32 v35, 31, v34
	v_lshl_add_u64 v[34:35], v[34:35], 2, s[8:9]
	v_ashrrev_i32_e32 v41, 31, v40
	v_perm_b32 v64, v75, v74, s33
	v_perm_b32 v65, v77, v76, s33
	s_waitcnt lgkmcnt(2)
	v_mfma_f32_16x16x16_bf16 v[50:53], v[72:73], v[22:23], v[50:53]
	s_waitcnt vmcnt(6)
	v_cvt_pk_f32_fp8_e32 v[66:67], v46
	v_ashrrev_i32_e32 v61, 31, v60
	v_ashrrev_i32_e32 v69, 31, v68
	v_lshl_add_u64 v[40:41], v[40:41], 2, s[8:9]
	v_lshl_add_u64 v[60:61], v[60:61], 2, s[8:9]
	v_lshl_add_u64 v[72:73], v[68:69], 2, s[8:9]
	v_mfma_f32_16x16x16_bf16 v[50:53], v[64:65], v[24:25], v[50:53]
	v_perm_b32 v74, v67, v66, s33
	global_load_dword v68, v[34:35], off
	global_load_dword v66, v[40:41], off
	;; [unrolled: 1-line block ×4, first 2 shown]
	v_cvt_pk_f32_fp8_sdwa v[70:71], v46 src0_sel:WORD_1
	v_cvt_pk_f32_fp8_e32 v[40:41], v48
	s_waitcnt vmcnt(9)
	v_cvt_pk_f32_fp8_e32 v[60:61], v36
	s_add_u32 s4, s10, s12
	v_perm_b32 v75, v71, v70, s33
	v_cvt_pk_f32_fp8_e32 v[70:71], v47
	v_cvt_pk_f32_fp8_sdwa v[46:47], v47 src0_sel:WORD_1
	s_waitcnt lgkmcnt(1)
	v_mfma_f32_16x16x16_bf16 v[50:53], v[74:75], v[18:19], v[50:53]
	v_perm_b32 v34, v71, v70, s33
	v_perm_b32 v35, v47, v46, s33
	v_cvt_pk_f32_fp8_sdwa v[46:47], v48 src0_sel:WORD_1
	v_perm_b32 v40, v41, v40, s33
	v_mfma_f32_16x16x16_bf16 v[50:53], v[34:35], v[20:21], v[50:53]
	v_perm_b32 v41, v47, v46, s33
	v_cvt_pk_f32_fp8_e32 v[34:35], v49
	v_cvt_pk_f32_fp8_sdwa v[46:47], v49 src0_sel:WORD_1
	v_cvt_pk_f32_fp8_sdwa v[70:71], v36 src0_sel:WORD_1
	s_addc_u32 s5, s11, 0
	v_perm_b32 v34, v35, v34, s33
	v_perm_b32 v35, v47, v46, s33
	s_waitcnt lgkmcnt(0)
	v_mfma_f32_16x16x16_bf16 v[46:49], v[40:41], v[14:15], v[50:53]
	v_perm_b32 v40, v61, v60, s33
	v_perm_b32 v41, v71, v70, s33
	s_waitcnt vmcnt(8)
	v_cvt_pk_f32_fp8_sdwa v[60:61], v6 src0_sel:WORD_1
	v_cvt_pk_f32_fp8_e32 v[50:51], v37
	v_cvt_pk_f32_fp8_sdwa v[52:53], v37 src0_sel:WORD_1
	v_mfma_f32_16x16x16_bf16 v[34:37], v[34:35], v[16:17], v[46:49]
	v_and_b32_e32 v58, 16, v0
	v_perm_b32 v50, v51, v50, s33
	v_perm_b32 v51, v53, v52, s33
	v_mfma_f32_16x16x16_bf16 v[46:49], v[40:41], v[30:31], 0
	v_cvt_pk_f32_fp8_e32 v[40:41], v38
	v_cvt_pk_f32_fp8_sdwa v[52:53], v38 src0_sel:WORD_1
	v_lshl_or_b32 v64, v57, 4, v56
	v_mfma_f32_16x16x16_bf16 v[46:49], v[50:51], v[32:33], v[46:49]
	v_cvt_pk_f32_fp8_e32 v[50:51], v39
	v_perm_b32 v40, v41, v40, s33
	v_perm_b32 v41, v53, v52, s33
	v_cvt_pk_f32_fp8_sdwa v[38:39], v39 src0_sel:WORD_1
	v_perm_b32 v50, v51, v50, s33
	v_cvt_pk_f32_fp8_e32 v[52:53], v6
	s_waitcnt vmcnt(6)
	v_cvt_pk_f32_fp8_e32 v[74:75], v43
	v_perm_b32 v51, v39, v38, s33
	v_mfma_f32_16x16x16_bf16 v[38:41], v[40:41], v[22:23], v[46:49]
	s_nop 2
	v_perm_b32 v48, v53, v52, s33
	v_perm_b32 v49, v61, v60, s33
	v_cvt_pk_f32_fp8_e32 v[52:53], v7
	v_cvt_pk_f32_fp8_sdwa v[6:7], v7 src0_sel:WORD_1
	v_mfma_f32_16x16x16_bf16 v[38:41], v[50:51], v[24:25], v[38:41]
	v_lshl_add_u64 v[46:47], s[4:5], 0, v[58:59]
	v_perm_b32 v50, v53, v52, s33
	v_perm_b32 v51, v7, v6, s33
	v_mfma_f32_16x16x16_bf16 v[38:41], v[48:49], v[18:19], v[38:41]
	v_cvt_pk_f32_fp8_e32 v[6:7], v8
	v_cvt_pk_f32_fp8_sdwa v[48:49], v8 src0_sel:WORD_1
	v_cvt_pk_f32_fp8_sdwa v[52:53], v2 src0_sel:WORD_1
	v_mfma_f32_16x16x16_bf16 v[38:41], v[50:51], v[20:21], v[38:41]
	v_cvt_pk_f32_fp8_e32 v[50:51], v9
	v_perm_b32 v6, v7, v6, s33
	v_perm_b32 v7, v49, v48, s33
	v_cvt_pk_f32_fp8_sdwa v[8:9], v9 src0_sel:WORD_1
	v_perm_b32 v48, v51, v50, s33
	v_cvt_pk_f32_fp8_e32 v[50:51], v2
	v_lshlrev_b32_e32 v58, 5, v64
	v_perm_b32 v49, v9, v8, s33
	v_mfma_f32_16x16x16_bf16 v[6:9], v[6:7], v[14:15], v[38:41]
	v_perm_b32 v50, v51, v50, s33
	v_perm_b32 v51, v53, v52, s33
	v_cvt_pk_f32_fp8_e32 v[52:53], v3
	v_cvt_pk_f32_fp8_sdwa v[2:3], v3 src0_sel:WORD_1
	v_mfma_f32_16x16x16_bf16 v[38:41], v[48:49], v[16:17], v[6:9]
	v_lshl_add_u64 v[48:49], v[46:47], 0, v[58:59]
	v_perm_b32 v52, v53, v52, s33
	v_perm_b32 v53, v3, v2, s33
	v_mfma_f32_16x16x16_bf16 v[6:9], v[50:51], v[30:31], 0
	v_cvt_pk_f32_fp8_e32 v[2:3], v4
	v_cvt_pk_f32_fp8_sdwa v[50:51], v4 src0_sel:WORD_1
	s_waitcnt vmcnt(3)
	v_mad_i64_i32 v[60:61], s[4:5], v68, s45, v[48:49]
	v_perm_b32 v2, v3, v2, s33
	v_perm_b32 v3, v51, v50, s33
	v_mfma_f32_16x16x16_bf16 v[6:9], v[52:53], v[32:33], v[6:9]
	v_cvt_pk_f32_fp8_e32 v[50:51], v5
	v_cvt_pk_f32_fp8_sdwa v[4:5], v5 src0_sel:WORD_1
	s_waitcnt vmcnt(2)
	v_mad_i64_i32 v[70:71], s[4:5], v66, s45, v[48:49]
	v_perm_b32 v50, v51, v50, s33
	v_perm_b32 v51, v5, v4, s33
	v_mfma_f32_16x16x16_bf16 v[2:5], v[2:3], v[22:23], v[6:9]
	v_or_b32_e32 v58, 0x800, v58
	s_nop 1
	v_cvt_pk_f32_fp8_e32 v[6:7], v42
	v_cvt_pk_f32_fp8_sdwa v[8:9], v42 src0_sel:WORD_1
	v_cvt_pk_f32_fp8_sdwa v[42:43], v43 src0_sel:WORD_1
	v_mfma_f32_16x16x16_bf16 v[50:53], v[50:51], v[24:25], v[2:5]
	v_perm_b32 v72, v7, v6, s33
	v_perm_b32 v73, v9, v8, s33
	global_load_dwordx4 v[6:9], v[60:61], off
	global_load_dwordx4 v[2:5], v[70:71], off
	v_perm_b32 v60, v75, v74, s33
	v_perm_b32 v61, v43, v42, s33
	v_mfma_f32_16x16x16_bf16 v[70:73], v[72:73], v[18:19], v[50:53]
	v_cvt_pk_f32_fp8_e32 v[42:43], v44
	v_perm_b32 v42, v43, v42, s33
	s_nop 0
	v_cvt_pk_f32_fp8_sdwa v[52:53], v44 src0_sel:WORD_1
	v_mfma_f32_16x16x16_bf16 v[70:73], v[60:61], v[20:21], v[70:73]
	v_cvt_pk_f32_fp8_e32 v[60:61], v45
	s_waitcnt vmcnt(3)
	v_mad_i64_i32 v[50:51], s[4:5], v67, s45, v[48:49]
	s_load_dword s4, s[0:1], 0x1c
	s_load_dwordx4 s[40:43], s[0:1], 0x80
	v_perm_b32 v43, v53, v52, s33
	v_perm_b32 v74, v61, v60, s33
	v_cvt_pk_f32_fp8_e32 v[52:53], v26
	v_cvt_pk_f32_fp8_sdwa v[60:61], v26 src0_sel:WORD_1
	s_load_dword s44, s[0:1], 0x98
	s_waitcnt lgkmcnt(0)
	s_load_dword s5, s[40:41], 0x0
	v_cvt_pk_f32_fp8_sdwa v[44:45], v45 src0_sel:WORD_1
	v_perm_b32 v52, v53, v52, s33
	v_perm_b32 v53, v61, v60, s33
	v_cvt_pk_f32_fp8_e32 v[60:61], v27
	v_cvt_pk_f32_fp8_sdwa v[26:27], v27 src0_sel:WORD_1
	v_perm_b32 v75, v45, v44, s33
	v_mfma_f32_16x16x16_bf16 v[42:45], v[42:43], v[14:15], v[70:73]
	v_perm_b32 v60, v61, v60, s33
	v_perm_b32 v61, v27, v26, s33
	v_mov_b32_e32 v26, s4
	v_mfma_f32_16x16x16_bf16 v[70:73], v[52:53], v[30:31], 0
	s_waitcnt lgkmcnt(0)
	v_mul_f32_e32 v52, s5, v26
	v_cvt_pk_f32_fp8_e32 v[26:27], v28
	v_cvt_pk_f32_fp8_sdwa v[30:31], v28 src0_sel:WORD_1
	v_mfma_f32_16x16x16_bf16 v[70:73], v[60:61], v[32:33], v[70:73]
	v_cvt_pk_f32_fp8_e32 v[32:33], v29
	v_cvt_pk_f32_fp8_sdwa v[28:29], v29 src0_sel:WORD_1
	v_perm_b32 v26, v27, v26, s33
	v_perm_b32 v27, v31, v30, s33
	v_mfma_f32_16x16x16_bf16 v[42:45], v[74:75], v[16:17], v[42:45]
	v_perm_b32 v32, v33, v32, s33
	v_perm_b32 v33, v29, v28, s33
	v_cvt_pk_f32_fp8_e32 v[60:61], v10
	v_cvt_pk_f32_fp8_sdwa v[74:75], v10 src0_sel:WORD_1
	v_mfma_f32_16x16x16_bf16 v[26:29], v[26:27], v[22:23], v[70:73]
	v_pk_mul_f32 v[30:31], v[52:53], v[36:37] op_sel_hi:[0,1]
	v_perm_b32 v36, v61, v60, s33
	v_perm_b32 v37, v75, v74, s33
	v_cvt_pk_f32_fp8_e32 v[60:61], v11
	v_cvt_pk_f32_fp8_sdwa v[70:71], v11 src0_sel:WORD_1
	v_mfma_f32_16x16x16_bf16 v[22:25], v[32:33], v[24:25], v[26:29]
	v_pk_mul_f32 v[10:11], v[52:53], v[34:35] op_sel_hi:[0,1]
	v_perm_b32 v60, v61, v60, s33
	v_perm_b32 v61, v71, v70, s33
	v_mfma_f32_16x16x16_bf16 v[32:35], v[36:37], v[18:19], v[22:25]
	v_cvt_pk_f32_fp8_e32 v[18:19], v12
	v_cvt_pk_f32_fp8_sdwa v[36:37], v12 src0_sel:WORD_1
	s_waitcnt vmcnt(2)
	v_mad_i64_i32 v[48:49], s[8:9], v65, s45, v[48:49]
	global_load_dwordx4 v[26:29], v[50:51], off
	global_load_dwordx4 v[22:25], v[48:49], off
	v_perm_b32 v48, v19, v18, s33
	v_perm_b32 v49, v37, v36, s33
	v_cvt_pk_f32_fp8_e32 v[36:37], v13
	v_cvt_pk_f32_fp8_sdwa v[12:13], v13 src0_sel:WORD_1
	v_mfma_f32_16x16x16_bf16 v[18:21], v[60:61], v[20:21], v[32:35]
	v_pk_mul_f32 v[40:41], v[52:53], v[40:41] op_sel_hi:[0,1]
	v_pk_mul_f32 v[42:43], v[52:53], v[42:43] op_sel_hi:[0,1]
	s_mov_b32 s40, 0xff7fffff
	v_perm_b32 v32, v37, v36, s33
	v_perm_b32 v33, v13, v12, s33
	v_mfma_f32_16x16x16_bf16 v[12:15], v[48:49], v[14:15], v[18:21]
	v_pk_mul_f32 v[48:49], v[52:53], v[38:39] op_sel_hi:[0,1]
	v_pk_mul_f32 v[38:39], v[52:53], v[44:45] op_sel_hi:[0,1]
	v_mfma_f32_16x16x16_bf16 v[12:15], v[32:33], v[16:17], v[12:15]
	s_nop 6
	v_pk_mul_f32 v[36:37], v[52:53], v[12:13] op_sel_hi:[0,1]
	v_and_b32_e32 v12, 0xc0, v0
	v_add_u32_e32 v12, s18, v12
	v_lshl_or_b32 v12, v62, 2, v12
	v_or_b32_e32 v13, 1, v12
	v_pk_mul_f32 v[34:35], v[52:53], v[14:15] op_sel_hi:[0,1]
	v_subrev_u32_e32 v14, s7, v13
	v_add_u32_e32 v16, 1, v14
	v_add_u32_e32 v17, 2, v14
	v_cvt_f32_i32_e32 v15, v14
	v_cvt_f32_i32_e32 v16, v16
	;; [unrolled: 1-line block ×3, first 2 shown]
	v_add_u32_e32 v18, 3, v14
	v_fma_f32 v10, v63, v15, v10
	v_fmac_f32_e32 v11, v63, v16
	v_fma_f32 v51, v63, v17, v30
	v_add_u32_e32 v15, 16, v14
	v_add_u32_e32 v16, 17, v14
	;; [unrolled: 1-line block ×3, first 2 shown]
	v_cvt_f32_i32_e32 v18, v18
	v_cvt_f32_i32_e32 v15, v15
	;; [unrolled: 1-line block ×4, first 2 shown]
	v_fmac_f32_e32 v31, v63, v18
	v_add_u32_e32 v18, 19, v14
	v_fma_f32 v48, v63, v15, v48
	v_fmac_f32_e32 v49, v63, v16
	v_fma_f32 v40, v63, v17, v40
	v_add_u32_e32 v15, 32, v14
	v_add_u32_e32 v16, 33, v14
	;; [unrolled: 1-line block ×3, first 2 shown]
	v_cvt_f32_i32_e32 v18, v18
	v_cvt_f32_i32_e32 v15, v15
	v_cvt_f32_i32_e32 v16, v16
	v_cvt_f32_i32_e32 v17, v17
	v_fmac_f32_e32 v41, v63, v18
	v_add_u32_e32 v18, 35, v14
	v_fma_f32 v42, v63, v15, v42
	v_fmac_f32_e32 v43, v63, v16
	v_fma_f32 v38, v63, v17, v38
	v_add_u32_e32 v15, 48, v14
	v_add_u32_e32 v16, 49, v14
	;; [unrolled: 1-line block ×4, first 2 shown]
	v_cvt_f32_i32_e32 v14, v14
	v_cvt_f32_i32_e32 v15, v15
	;; [unrolled: 1-line block ×3, first 2 shown]
	v_cmp_gt_i32_e64 s[8:9], s7, v12
	v_fmac_f32_e32 v35, v63, v14
	v_mov_b32_e32 v14, 0xff7fffff
	v_cmp_gt_i32_e64 s[10:11], s7, v13
	v_fma_f32 v36, v63, v15, v36
	v_cndmask_b32_e64 v15, v14, v10, s[8:9]
	v_cndmask_b32_e64 v13, v14, v11, s[10:11]
	v_fmac_f32_e32 v37, v63, v16
	v_max3_f32 v13, v15, s40, v13
	v_or_b32_e32 v15, 2, v12
	v_or_b32_e32 v16, 3, v12
	v_cmp_gt_i32_e64 s[12:13], s7, v15
	v_cmp_gt_i32_e64 s[14:15], s7, v16
	v_cvt_f32_i32_e32 v18, v18
	v_cndmask_b32_e64 v15, v14, v51, s[12:13]
	v_cndmask_b32_e64 v16, v14, v31, s[14:15]
	v_max3_f32 v13, v13, v15, v16
	v_or_b32_e32 v15, 16, v12
	v_or_b32_e32 v16, 17, v12
	v_cmp_gt_i32_e64 s[16:17], s7, v15
	v_cmp_gt_i32_e64 s[18:19], s7, v16
	v_fmac_f32_e32 v39, v63, v18
	v_cndmask_b32_e64 v15, v14, v48, s[16:17]
	v_cndmask_b32_e64 v16, v14, v49, s[18:19]
	v_max3_f32 v13, v13, v15, v16
	v_or_b32_e32 v15, 18, v12
	v_or_b32_e32 v16, 19, v12
	v_cmp_gt_i32_e64 s[20:21], s7, v15
	v_cmp_gt_i32_e64 s[22:23], s7, v16
	v_cvt_f32_i32_e32 v17, v17
	v_cndmask_b32_e64 v15, v14, v40, s[20:21]
	v_cndmask_b32_e64 v16, v14, v41, s[22:23]
	v_max3_f32 v13, v13, v15, v16
	v_or_b32_e32 v15, 32, v12
	v_or_b32_e32 v16, 33, v12
	v_cmp_gt_i32_e64 s[24:25], s7, v15
	v_cmp_gt_i32_e64 s[26:27], s7, v16
	v_fma_f32 v34, v63, v17, v34
	v_cndmask_b32_e64 v15, v14, v42, s[24:25]
	v_cndmask_b32_e64 v16, v14, v43, s[26:27]
	v_max3_f32 v13, v13, v15, v16
	v_or_b32_e32 v15, 34, v12
	v_or_b32_e32 v16, 35, v12
	v_cmp_gt_i32_e64 s[28:29], s7, v15
	v_cmp_gt_i32_e64 s[30:31], s7, v16
	s_nop 0
	v_cndmask_b32_e64 v15, v14, v38, s[28:29]
	v_cndmask_b32_e64 v16, v14, v39, s[30:31]
	v_max3_f32 v13, v13, v15, v16
	v_or_b32_e32 v15, 48, v12
	v_or_b32_e32 v16, 49, v12
	v_cmp_gt_i32_e64 s[34:35], s7, v15
	v_cmp_gt_i32_e64 s[36:37], s7, v16
	s_nop 0
	v_cndmask_b32_e64 v15, v14, v36, s[34:35]
	v_cndmask_b32_e64 v16, v14, v37, s[36:37]
	v_max3_f32 v13, v13, v15, v16
	v_or_b32_e32 v15, 50, v12
	v_or_b32_e32 v12, 51, v12
	v_cmp_gt_i32_e32 vcc, s7, v15
	v_cmp_gt_i32_e64 s[4:5], s7, v12
	s_nop 0
	v_cndmask_b32_e32 v15, v14, v34, vcc
	v_cndmask_b32_e64 v12, v14, v35, s[4:5]
	v_max3_f32 v16, v13, v15, v12
	v_mbcnt_lo_u32_b32 v12, -1, 0
	v_mbcnt_hi_u32_b32 v17, -1, v12
	v_and_b32_e32 v12, 64, v17
	v_add_u32_e32 v18, 64, v12
	v_xor_b32_e32 v12, 32, v17
	v_cmp_lt_i32_e64 s[38:39], v12, v18
	s_nop 1
	v_cndmask_b32_e64 v12, v17, v12, s[38:39]
	v_lshlrev_b32_e32 v52, 2, v12
	ds_bpermute_b32 v19, v52, v16
	v_lshl_add_u64 v[12:13], v[46:47], 0, v[58:59]
	v_mad_i64_i32 v[14:15], s[38:39], v68, s45, v[12:13]
	s_waitcnt lgkmcnt(0)
	v_max_f32_e32 v19, v19, v19
	v_max_f32_e32 v19, v16, v19
	v_xor_b32_e32 v16, 16, v17
	v_cmp_lt_i32_e64 s[38:39], v16, v18
	s_nop 1
	v_cndmask_b32_e64 v16, v17, v16, s[38:39]
	v_lshlrev_b32_e32 v53, 2, v16
	ds_bpermute_b32 v18, v53, v19
	v_mad_i64_i32 v[16:17], s[38:39], v66, s45, v[12:13]
	v_mad_i64_i32 v[44:45], s[38:39], v67, s45, v[12:13]
	s_waitcnt lgkmcnt(0)
	v_max_f32_e32 v18, v18, v18
	v_max_f32_e32 v50, v19, v18
	v_sub_f32_e32 v10, v10, v50
	v_mul_f32_e32 v10, 0x3fb8aa3b, v10
	v_exp_f32_e32 v18, v10
	v_sub_f32_e32 v10, v11, v50
	v_mul_f32_e32 v10, 0x3fb8aa3b, v10
	v_exp_f32_e32 v19, v10
	v_mad_i64_i32 v[10:11], s[38:39], v65, s45, v[12:13]
	v_sub_f32_e32 v12, v51, v50
	v_mul_f32_e32 v12, 0x3fb8aa3b, v12
	v_cndmask_b32_e64 v46, 0, v18, s[8:9]
	v_cndmask_b32_e64 v47, 0, v19, s[10:11]
	v_sub_f32_e32 v58, v31, v50
	global_load_dwordx4 v[30:33], v[14:15], off
	global_load_dwordx4 v[18:21], v[16:17], off
	v_exp_f32_e32 v51, v12
	global_load_dwordx4 v[14:17], v[44:45], off
	s_nop 0
	global_load_dwordx4 v[10:13], v[10:11], off
	v_sub_f32_e32 v45, v48, v50
	v_sub_f32_e32 v48, v49, v50
	;; [unrolled: 1-line block ×4, first 2 shown]
	v_mul_f32_e32 v44, 0x3fb8aa3b, v58
	v_mul_f32_e32 v45, 0x3fb8aa3b, v45
	;; [unrolled: 1-line block ×5, first 2 shown]
	v_exp_f32_e32 v44, v44
	v_exp_f32_e32 v45, v45
	v_exp_f32_e32 v58, v48
	v_cndmask_b32_e64 v48, 0, v51, s[12:13]
	v_exp_f32_e32 v40, v40
	v_exp_f32_e32 v51, v42
	v_sub_f32_e32 v42, v43, v50
	v_mul_f32_e32 v42, 0x3fb8aa3b, v42
	v_cndmask_b32_e64 v49, 0, v44, s[14:15]
	v_cndmask_b32_e64 v44, 0, v45, s[16:17]
	;; [unrolled: 1-line block ×3, first 2 shown]
	v_sub_f32_e32 v41, v41, v50
	v_exp_f32_e32 v58, v42
	v_cndmask_b32_e64 v42, 0, v40, s[20:21]
	v_cndmask_b32_e64 v40, 0, v51, s[24:25]
	v_add_f32_e32 v51, 0, v46
	v_mul_f32_e32 v41, 0x3fb8aa3b, v41
	v_add_f32_e32 v51, v51, v47
	v_exp_f32_e32 v41, v41
	v_add_f32_e32 v51, v51, v48
	v_sub_f32_e32 v38, v38, v50
	v_add_f32_e32 v51, v51, v49
	v_sub_f32_e32 v39, v39, v50
	v_mul_f32_e32 v38, 0x3fb8aa3b, v38
	v_add_f32_e32 v51, v51, v44
	v_exp_f32_e32 v38, v38
	v_mul_f32_e32 v39, 0x3fb8aa3b, v39
	v_sub_f32_e32 v36, v36, v50
	v_add_f32_e32 v51, v51, v45
	v_cndmask_b32_e64 v43, 0, v41, s[22:23]
	v_exp_f32_e32 v39, v39
	v_mul_f32_e32 v36, 0x3fb8aa3b, v36
	v_sub_f32_e32 v37, v37, v50
	v_add_f32_e32 v51, v51, v42
	v_exp_f32_e32 v36, v36
	v_mul_f32_e32 v37, 0x3fb8aa3b, v37
	v_add_f32_e32 v51, v51, v43
	v_sub_f32_e32 v34, v34, v50
	v_cndmask_b32_e64 v41, 0, v58, s[26:27]
	v_exp_f32_e32 v37, v37
	v_add_f32_e32 v51, v51, v40
	v_mul_f32_e32 v34, 0x3fb8aa3b, v34
	v_sub_f32_e32 v35, v35, v50
	v_cndmask_b32_e64 v38, 0, v38, s[28:29]
	v_add_f32_e32 v51, v51, v41
	v_exp_f32_e32 v34, v34
	v_mul_f32_e32 v35, 0x3fb8aa3b, v35
	v_cndmask_b32_e64 v39, 0, v39, s[30:31]
	v_add_f32_e32 v51, v51, v38
	v_exp_f32_e32 v35, v35
	v_cndmask_b32_e64 v36, 0, v36, s[34:35]
	v_add_f32_e32 v51, v51, v39
	v_cndmask_b32_e64 v37, 0, v37, s[36:37]
	v_add_f32_e32 v51, v51, v36
	v_add_f32_e32 v51, v51, v37
	v_cndmask_b32_e32 v34, 0, v34, vcc
	v_add_f32_e32 v51, v51, v34
	v_cndmask_b32_e64 v35, 0, v35, s[4:5]
	v_add_f32_e32 v51, v51, v35
	ds_bpermute_b32 v52, v52, v51
	v_cmp_gt_u32_e32 vcc, 16, v55
	s_waitcnt lgkmcnt(0)
	s_barrier
	v_add_f32_e32 v51, v51, v52
	ds_bpermute_b32 v52, v53, v51
	s_and_saveexec_b64 s[4:5], vcc
	s_cbranch_execz .LBB1374_15
; %bb.14:
	s_waitcnt lgkmcnt(0)
	v_add_f32_e32 v51, v51, v52
	v_lshlrev_b32_e32 v52, 2, v64
	ds_write2st64_b32 v52, v50, v51 offset1:1
.LBB1374_15:
	s_or_b64 exec, exec, s[4:5]
	v_lshlrev_b32_e32 v51, 2, v56
	s_load_dword s7, s[0:1], 0x94
	s_waitcnt lgkmcnt(0)
	s_barrier
	ds_read2_b32 v[52:53], v51 offset1:16
	ds_read2_b32 v[58:59], v51 offset0:32 offset1:48
	ds_read2_b32 v[60:61], v51 offset0:64 offset1:80
	s_movk_i32 s9, 0x7fff
	s_mul_i32 s8, s44, 7
	s_waitcnt lgkmcnt(2)
	v_max3_f32 v50, v52, s40, v53
	s_waitcnt lgkmcnt(1)
	v_max3_f32 v50, v50, v58, v59
	v_sub_f32_e32 v52, v52, v50
	v_mul_f32_e32 v52, 0x3fb8aa3b, v52
	v_exp_f32_e32 v55, v52
	v_sub_f32_e32 v52, v53, v50
	v_mul_f32_e32 v52, 0x3fb8aa3b, v52
	v_exp_f32_e32 v63, v52
	;; [unrolled: 3-line block ×3, first 2 shown]
	ds_read2_b32 v[52:53], v51 offset0:96 offset1:112
	v_sub_f32_e32 v51, v59, v50
	v_mul_f32_e32 v51, 0x3fb8aa3b, v51
	v_exp_f32_e32 v59, v51
	s_waitcnt lgkmcnt(1)
	v_fma_f32 v51, v55, v60, 0
	v_fmac_f32_e32 v51, v63, v61
	s_waitcnt lgkmcnt(0)
	v_fmac_f32_e32 v51, v58, v52
	v_fmac_f32_e32 v51, v59, v53
	v_add_f32_e32 v52, 0x358637bd, v51
	v_div_scale_f32 v53, s[4:5], v52, v52, 1.0
	v_rcp_f32_e32 v60, v53
	s_barrier
	v_fma_f32 v61, -v53, v60, 1.0
	v_fmac_f32_e32 v60, v61, v60
	v_div_scale_f32 v61, vcc, 1.0, v52, 1.0
	v_mul_f32_e32 v64, v61, v60
	v_fma_f32 v65, -v53, v64, v61
	v_fmac_f32_e32 v64, v65, v60
	v_fma_f32 v53, -v53, v64, v61
	v_div_fmas_f32 v53, v53, v60, v64
	v_cmp_eq_u32_e32 vcc, 1, v57
	v_div_fixup_f32 v52, v53, v52, 1.0
	s_nop 0
	v_cndmask_b32_e32 v53, v55, v63, vcc
	v_cmp_eq_u32_e32 vcc, 2, v57
	s_nop 1
	v_cndmask_b32_e32 v53, v53, v58, vcc
	v_cmp_eq_u32_e32 vcc, 3, v57
	s_nop 1
	v_cndmask_b32_e32 v53, v53, v59, vcc
	v_mul_f32_e32 v52, v53, v52
	v_pk_mul_f32 v[46:47], v[52:53], v[46:47] op_sel_hi:[0,1]
	v_pk_mul_f32 v[48:49], v[52:53], v[48:49] op_sel_hi:[0,1]
	v_bfe_u32 v53, v47, 16, 1
	v_bfe_u32 v55, v46, 16, 1
	v_add3_u32 v46, v46, v55, s9
	v_add3_u32 v47, v47, v53, s9
	v_perm_b32 v58, v47, v46, s33
	v_bfe_u32 v46, v49, 16, 1
	v_bfe_u32 v47, v48, 16, 1
	v_add3_u32 v47, v48, v47, s9
	v_add3_u32 v46, v49, v46, s9
	v_perm_b32 v59, v46, v47, s33
	v_lshlrev_b32_e32 v47, 3, v62
	v_lshlrev_b32_e32 v46, 5, v56
	;; [unrolled: 1-line block ×3, first 2 shown]
	v_pk_mul_f32 v[44:45], v[52:53], v[44:45] op_sel_hi:[0,1]
	v_or3_b32 v55, v48, v46, v47
	v_bfe_u32 v47, v45, 16, 1
	v_bfe_u32 v48, v44, 16, 1
	v_pk_mul_f32 v[42:43], v[52:53], v[42:43] op_sel_hi:[0,1]
	v_add3_u32 v44, v44, v48, s9
	v_add3_u32 v45, v45, v47, s9
	v_perm_b32 v44, v45, v44, s33
	v_bfe_u32 v45, v43, 16, 1
	v_bfe_u32 v47, v42, 16, 1
	v_add3_u32 v42, v42, v47, s9
	v_add3_u32 v43, v43, v45, s9
	v_pk_mul_f32 v[40:41], v[52:53], v[40:41] op_sel_hi:[0,1]
	v_perm_b32 v45, v43, v42, s33
	v_bfe_u32 v42, v41, 16, 1
	v_bfe_u32 v43, v40, 16, 1
	v_pk_mul_f32 v[38:39], v[52:53], v[38:39] op_sel_hi:[0,1]
	v_add3_u32 v40, v40, v43, s9
	v_add3_u32 v41, v41, v42, s9
	v_perm_b32 v40, v41, v40, s33
	v_bfe_u32 v41, v39, 16, 1
	v_bfe_u32 v42, v38, 16, 1
	v_add3_u32 v38, v38, v42, s9
	v_add3_u32 v39, v39, v41, s9
	v_pk_mul_f32 v[36:37], v[52:53], v[36:37] op_sel_hi:[0,1]
	v_perm_b32 v41, v39, v38, s33
	v_bfe_u32 v38, v37, 16, 1
	v_bfe_u32 v39, v36, 16, 1
	v_pk_mul_f32 v[34:35], v[52:53], v[34:35] op_sel_hi:[0,1]
	v_add3_u32 v36, v36, v39, s9
	v_add3_u32 v37, v37, v38, s9
	v_perm_b32 v36, v37, v36, s33
	v_bfe_u32 v37, v35, 16, 1
	v_bfe_u32 v38, v34, 16, 1
	v_add3_u32 v34, v34, v38, s9
	v_add3_u32 v35, v35, v37, s9
	v_perm_b32 v37, v35, v34, s33
	v_cmp_gt_u32_e32 vcc, 7, v0
	ds_write2st64_b64 v55, v[58:59], v[44:45] offset1:1
	ds_write2st64_b64 v55, v[40:41], v[36:37] offset0:2 offset1:3
	s_and_saveexec_b64 s[4:5], vcc
	s_cbranch_execz .LBB1374_17
; %bb.16:
	s_mov_b32 s49, 0
	v_mov_b32_e32 v57, 0
	v_lshl_add_u64 v[34:35], s[48:49], 0, v[56:57]
	v_mov_b32_e32 v36, s8
	v_mad_u64_u32 v[34:35], s[10:11], s2, v36, v[34:35]
	s_mul_i32 s3, s3, s8
	v_mov_b32_e32 v36, s6
	v_mov_b32_e32 v37, v57
	s_load_dwordx4 s[12:15], s[0:1], 0x58
	v_add_u32_e32 v38, s3, v35
	v_mad_u64_u32 v[34:35], s[10:11], v34, s7, v[36:37]
	v_mov_b32_e32 v36, v35
	v_mad_u64_u32 v[36:37], s[10:11], v38, s7, v[36:37]
	v_mov_b32_e32 v35, v36
	v_lshlrev_b64 v[34:35], 2, v[34:35]
	s_waitcnt lgkmcnt(0)
	v_lshl_add_u64 v[36:37], s[14:15], 0, v[34:35]
	v_lshl_add_u64 v[34:35], s[12:13], 0, v[34:35]
	global_store_dword v[36:37], v50, off
	global_store_dword v[34:35], v51, off
.LBB1374_17:
	s_or_b64 exec, exec, s[4:5]
	s_waitcnt vmcnt(7)
	v_cvt_pk_f32_fp8_e32 v[34:35], v6
	v_cvt_pk_f32_fp8_sdwa v[36:37], v6 src0_sel:WORD_1
	v_lshl_or_b32 v50, v62, 9, v46
	s_mov_b32 s5, 0x7060302
	s_waitcnt lgkmcnt(0)
	s_barrier
	v_cvt_pk_f32_fp8_e32 v[38:39], v7
	v_perm_b32 v6, v35, v34, s5
	v_cvt_pk_f32_fp8_sdwa v[40:41], v7 src0_sel:WORD_1
	v_perm_b32 v7, v37, v36, s5
	ds_read_b128 v[34:37], v50
	v_perm_b32 v46, v39, v38, s5
	v_perm_b32 v47, v41, v40, s5
	ds_read_b128 v[38:41], v50 offset:16
	v_cvt_pk_f32_fp8_e32 v[48:49], v8
	v_cvt_pk_f32_fp8_sdwa v[52:53], v8 src0_sel:WORD_1
	s_waitcnt lgkmcnt(1)
	v_mfma_f32_16x16x16_bf16 v[42:45], v[6:7], v[34:35], 0
	s_waitcnt vmcnt(6)
	v_cvt_pk_f32_fp8_e32 v[58:59], v4
	v_perm_b32 v6, v49, v48, s5
	v_perm_b32 v7, v53, v52, s5
	v_cvt_pk_f32_fp8_e32 v[48:49], v9
	v_mfma_f32_16x16x16_bf16 v[42:45], v[46:47], v[36:37], v[42:45]
	v_cvt_pk_f32_fp8_sdwa v[46:47], v9 src0_sel:WORD_1
	v_cvt_pk_f32_fp8_sdwa v[60:61], v4 src0_sel:WORD_1
	v_perm_b32 v48, v49, v48, s5
	s_waitcnt lgkmcnt(0)
	v_mfma_f32_16x16x16_bf16 v[6:9], v[6:7], v[38:39], v[42:45]
	v_perm_b32 v49, v47, v46, s5
	s_waitcnt vmcnt(5)
	v_cvt_pk_f32_fp8_e32 v[64:65], v28
	v_cvt_pk_f32_fp8_sdwa v[66:67], v28 src0_sel:WORD_1
	v_cvt_pk_f32_fp8_e32 v[42:43], v2
	v_mfma_f32_16x16x16_bf16 v[46:49], v[48:49], v[40:41], v[6:9]
	s_waitcnt vmcnt(4)
	v_cvt_pk_f32_fp8_sdwa v[68:69], v24 src0_sel:WORD_1
	s_load_dword s4, s[42:43], 0x0
	v_cvt_pk_f32_fp8_sdwa v[6:7], v2 src0_sel:WORD_1
	v_cvt_pk_f32_fp8_e32 v[8:9], v3
	v_perm_b32 v2, v43, v42, s5
	v_cvt_pk_f32_fp8_sdwa v[42:43], v3 src0_sel:WORD_1
	v_perm_b32 v3, v7, v6, s5
	v_perm_b32 v52, v9, v8, s5
	ds_read_b128 v[6:9], v50 offset:2048
	v_perm_b32 v53, v43, v42, s5
	ds_read_b128 v[42:45], v50 offset:2064
	s_waitcnt lgkmcnt(0)
	v_mfma_f32_16x16x16_bf16 v[46:49], v[2:3], v[6:7], v[46:49]
	v_perm_b32 v2, v59, v58, s5
	v_perm_b32 v3, v61, v60, s5
	v_cvt_pk_f32_fp8_e32 v[58:59], v5
	v_mfma_f32_16x16x16_bf16 v[46:49], v[52:53], v[8:9], v[46:49]
	v_cvt_pk_f32_fp8_sdwa v[52:53], v5 src0_sel:WORD_1
	s_waitcnt vmcnt(3)
	v_cvt_pk_f32_fp8_sdwa v[70:71], v32 src0_sel:WORD_1
	v_perm_b32 v58, v59, v58, s5
	v_mfma_f32_16x16x16_bf16 v[2:5], v[2:3], v[42:43], v[46:49]
	v_perm_b32 v59, v53, v52, s5
	s_mov_b32 s3, 0
	v_cmp_gt_u32_e32 vcc, 64, v0
	v_cvt_pk_f32_fp8_e32 v[46:47], v26
	v_mfma_f32_16x16x16_bf16 v[58:61], v[58:59], v[44:45], v[2:5]
	s_nop 2
	v_cvt_pk_f32_fp8_sdwa v[2:3], v26 src0_sel:WORD_1
	v_cvt_pk_f32_fp8_e32 v[4:5], v27
	v_perm_b32 v26, v47, v46, s5
	v_cvt_pk_f32_fp8_sdwa v[46:47], v27 src0_sel:WORD_1
	v_perm_b32 v27, v3, v2, s5
	v_perm_b32 v52, v5, v4, s5
	ds_read_b128 v[2:5], v50 offset:4096
	v_perm_b32 v53, v47, v46, s5
	ds_read_b128 v[46:49], v50 offset:4112
	s_waitcnt lgkmcnt(1)
	v_mfma_f32_16x16x16_bf16 v[58:61], v[26:27], v[2:3], v[58:61]
	v_perm_b32 v26, v65, v64, s5
	v_perm_b32 v27, v67, v66, s5
	v_cvt_pk_f32_fp8_e32 v[64:65], v29
	v_mfma_f32_16x16x16_bf16 v[58:61], v[52:53], v[4:5], v[58:61]
	v_cvt_pk_f32_fp8_sdwa v[52:53], v29 src0_sel:WORD_1
	v_cvt_pk_f32_fp8_e32 v[66:67], v24
	v_perm_b32 v64, v65, v64, s5
	s_waitcnt lgkmcnt(0)
	v_mfma_f32_16x16x16_bf16 v[26:29], v[26:27], v[46:47], v[58:61]
	v_perm_b32 v65, v53, v52, s5
	v_cvt_pk_f32_fp8_e32 v[52:53], v22
	s_nop 0
	v_mfma_f32_16x16x16_bf16 v[58:61], v[64:65], v[48:49], v[26:29]
	s_nop 2
	v_cvt_pk_f32_fp8_sdwa v[26:27], v22 src0_sel:WORD_1
	v_cvt_pk_f32_fp8_e32 v[28:29], v23
	v_perm_b32 v22, v53, v52, s5
	v_cvt_pk_f32_fp8_sdwa v[52:53], v23 src0_sel:WORD_1
	v_perm_b32 v23, v27, v26, s5
	v_perm_b32 v64, v29, v28, s5
	ds_read_b128 v[26:29], v50 offset:6144
	v_perm_b32 v65, v53, v52, s5
	s_waitcnt lgkmcnt(0)
	v_mfma_f32_16x16x16_bf16 v[58:61], v[22:23], v[26:27], v[58:61]
	ds_read_b128 v[50:53], v50 offset:6160
	v_perm_b32 v22, v67, v66, s5
	v_perm_b32 v23, v69, v68, s5
	v_cvt_pk_f32_fp8_e32 v[66:67], v25
	v_mfma_f32_16x16x16_bf16 v[58:61], v[64:65], v[28:29], v[58:61]
	v_cvt_pk_f32_fp8_sdwa v[64:65], v25 src0_sel:WORD_1
	v_cvt_pk_f32_fp8_e32 v[68:69], v32
	v_perm_b32 v66, v67, v66, s5
	s_waitcnt lgkmcnt(0)
	v_mfma_f32_16x16x16_bf16 v[22:25], v[22:23], v[50:51], v[58:61]
	v_perm_b32 v67, v65, v64, s5
	s_barrier
	s_nop 0
	v_mfma_f32_16x16x16_bf16 v[58:61], v[66:67], v[52:53], v[22:25]
	s_nop 2
	v_cvt_pk_f32_fp8_e32 v[24:25], v30
	v_perm_b32 v24, v25, v24, s5
	s_nop 1
	v_pk_mul_f32 v[22:23], v[60:61], s[4:5] op_sel_hi:[1,0]
	v_cvt_pk_f32_fp8_sdwa v[60:61], v30 src0_sel:WORD_1
	v_pk_mul_f32 v[64:65], v[58:59], s[4:5] op_sel_hi:[1,0]
	v_cvt_pk_f32_fp8_e32 v[58:59], v31
	v_cvt_pk_f32_fp8_sdwa v[30:31], v31 src0_sel:WORD_1
	v_perm_b32 v25, v61, v60, s5
	v_bfe_u32 v57, v65, 16, 1
	v_perm_b32 v66, v59, v58, s5
	v_perm_b32 v67, v31, v30, s5
	v_mfma_f32_16x16x16_bf16 v[58:61], v[24:25], v[34:35], 0
	v_perm_b32 v24, v69, v68, s5
	v_perm_b32 v25, v71, v70, s5
	v_cvt_pk_f32_fp8_e32 v[34:35], v33
	v_cvt_pk_f32_fp8_sdwa v[68:69], v33 src0_sel:WORD_1
	v_mfma_f32_16x16x16_bf16 v[30:33], v[66:67], v[36:37], v[58:61]
	s_waitcnt vmcnt(2)
	v_cvt_pk_f32_fp8_sdwa v[36:37], v18 src0_sel:WORD_1
	v_perm_b32 v34, v35, v34, s5
	v_perm_b32 v35, v69, v68, s5
	v_mfma_f32_16x16x16_bf16 v[30:33], v[24:25], v[38:39], v[30:33]
	v_cvt_pk_f32_fp8_e32 v[24:25], v18
	v_cvt_pk_f32_fp8_sdwa v[38:39], v20 src0_sel:WORD_1
	v_bfe_u32 v58, v64, 16, 1
	v_mfma_f32_16x16x16_bf16 v[30:33], v[34:35], v[40:41], v[30:33]
	v_cvt_pk_f32_fp8_e32 v[34:35], v19
	v_perm_b32 v24, v25, v24, s5
	v_perm_b32 v25, v37, v36, s5
	v_cvt_pk_f32_fp8_sdwa v[18:19], v19 src0_sel:WORD_1
	v_perm_b32 v34, v35, v34, s5
	v_cvt_pk_f32_fp8_e32 v[36:37], v20
	v_mfma_f32_16x16x16_bf16 v[30:33], v[24:25], v[6:7], v[30:33]
	v_perm_b32 v35, v19, v18, s5
	v_perm_b32 v18, v37, v36, s5
	;; [unrolled: 1-line block ×3, first 2 shown]
	v_cvt_pk_f32_fp8_e32 v[24:25], v21
	v_cvt_pk_f32_fp8_sdwa v[20:21], v21 src0_sel:WORD_1
	v_mfma_f32_16x16x16_bf16 v[6:9], v[34:35], v[8:9], v[30:33]
	v_perm_b32 v24, v25, v24, s5
	v_perm_b32 v25, v21, v20, s5
	v_mfma_f32_16x16x16_bf16 v[6:9], v[18:19], v[42:43], v[6:9]
	s_waitcnt vmcnt(1)
	v_cvt_pk_f32_fp8_e32 v[18:19], v14
	v_cvt_pk_f32_fp8_sdwa v[20:21], v14 src0_sel:WORD_1
	v_cvt_pk_f32_fp8_sdwa v[30:31], v16 src0_sel:WORD_1
	v_mfma_f32_16x16x16_bf16 v[6:9], v[24:25], v[44:45], v[6:9]
	v_cvt_pk_f32_fp8_e32 v[24:25], v15
	v_perm_b32 v18, v19, v18, s5
	v_perm_b32 v19, v21, v20, s5
	v_cvt_pk_f32_fp8_sdwa v[14:15], v15 src0_sel:WORD_1
	v_perm_b32 v20, v25, v24, s5
	v_cvt_pk_f32_fp8_e32 v[24:25], v16
	v_mfma_f32_16x16x16_bf16 v[6:9], v[18:19], v[2:3], v[6:9]
	v_perm_b32 v21, v15, v14, s5
	v_perm_b32 v14, v25, v24, s5
	;; [unrolled: 1-line block ×3, first 2 shown]
	v_cvt_pk_f32_fp8_e32 v[18:19], v17
	v_cvt_pk_f32_fp8_sdwa v[16:17], v17 src0_sel:WORD_1
	v_mfma_f32_16x16x16_bf16 v[2:5], v[20:21], v[4:5], v[6:9]
	v_add3_u32 v32, v64, v58, s9
	v_add3_u32 v33, v65, v57, s9
	s_nop 0
	v_perm_b32 v8, v19, v18, s5
	v_perm_b32 v9, v17, v16, s5
	v_mfma_f32_16x16x16_bf16 v[2:5], v[14:15], v[46:47], v[2:5]
	s_waitcnt vmcnt(0)
	v_cvt_pk_f32_fp8_e32 v[14:15], v10
	v_cvt_pk_f32_fp8_sdwa v[16:17], v10 src0_sel:WORD_1
	v_cvt_pk_f32_fp8_sdwa v[18:19], v12 src0_sel:WORD_1
	v_mfma_f32_16x16x16_bf16 v[2:5], v[8:9], v[48:49], v[2:5]
	v_cvt_pk_f32_fp8_e32 v[8:9], v11
	v_perm_b32 v14, v15, v14, s5
	v_perm_b32 v15, v17, v16, s5
	v_cvt_pk_f32_fp8_sdwa v[10:11], v11 src0_sel:WORD_1
	v_perm_b32 v8, v9, v8, s5
	v_cvt_pk_f32_fp8_e32 v[16:17], v12
	v_mfma_f32_16x16x16_bf16 v[2:5], v[14:15], v[26:27], v[2:5]
	v_perm_b32 v9, v11, v10, s5
	v_perm_b32 v10, v17, v16, s5
	;; [unrolled: 1-line block ×3, first 2 shown]
	v_cvt_pk_f32_fp8_e32 v[14:15], v13
	v_cvt_pk_f32_fp8_sdwa v[12:13], v13 src0_sel:WORD_1
	v_mfma_f32_16x16x16_bf16 v[2:5], v[8:9], v[28:29], v[2:5]
	v_bfe_u32 v7, v23, 16, 1
	v_perm_b32 v8, v15, v14, s5
	v_perm_b32 v9, v13, v12, s5
	v_mfma_f32_16x16x16_bf16 v[2:5], v[10:11], v[50:51], v[2:5]
	v_bfe_u32 v16, v22, 16, 1
	v_add3_u32 v10, v22, v16, s9
	v_add3_u32 v7, v23, v7, s9
	v_mfma_f32_16x16x16_bf16 v[2:5], v[8:9], v[52:53], v[2:5]
	v_perm_b32 v6, v33, v32, s5
	v_perm_b32 v7, v7, v10, s5
	s_nop 4
	v_pk_mul_f32 v[2:3], v[2:3], s[4:5] op_sel_hi:[1,0]
	v_pk_mul_f32 v[4:5], v[4:5], s[4:5] op_sel_hi:[1,0]
	v_bfe_u32 v8, v3, 16, 1
	v_bfe_u32 v9, v2, 16, 1
	v_add3_u32 v2, v2, v9, s9
	v_add3_u32 v3, v3, v8, s9
	v_perm_b32 v2, v3, v2, s5
	v_bfe_u32 v3, v5, 16, 1
	v_bfe_u32 v8, v4, 16, 1
	v_add3_u32 v4, v4, v8, s9
	v_add3_u32 v3, v5, v3, s9
	v_perm_b32 v3, v3, v4, s5
	ds_write2st64_b64 v55, v[6:7], v[2:3] offset1:1
	s_waitcnt lgkmcnt(0)
	s_barrier
	s_and_saveexec_b64 s[4:5], vcc
	s_cbranch_execz .LBB1374_20
; %bb.18:
	s_load_dwordx2 s[4:5], s[0:1], 0x68
	s_lshl_b32 s0, s7, 7
	s_mul_i32 s1, s8, s2
	v_lshlrev_b32_e32 v3, 6, v56
	s_mul_hi_u32 s9, s1, s0
	s_mul_i32 s8, s1, s0
	v_lshl_or_b32 v0, v0, 10, v3
	s_lshl_b64 s[8:9], s[8:9], 1
	v_lshlrev_b32_e32 v2, 5, v62
	v_and_b32_e32 v1, 16, v1
	v_and_b32_e32 v0, 0x1a00, v0
	s_waitcnt lgkmcnt(0)
	s_add_u32 s1, s4, s8
	v_or3_b32 v2, v0, v2, v1
	s_addc_u32 s4, s5, s9
	s_lshl_b32 s2, s6, 7
	s_lshl_b64 s[2:3], s[2:3], 1
	ds_read_b128 v[4:7], v2
	s_add_u32 s2, s1, s2
	s_addc_u32 s3, s4, s3
	v_mov_b32_e32 v55, 0
	v_add_u32_e32 v3, s48, v62
	v_lshl_add_u64 v[0:1], s[2:3], 0, v[54:55]
	v_mad_u64_u32 v[8:9], s[2:3], v3, s0, 0
	v_lshl_add_u64 v[8:9], v[8:9], 1, v[0:1]
	v_cmp_ne_u32_e32 vcc, 3, v62
	s_waitcnt lgkmcnt(0)
	global_store_dwordx4 v[8:9], v[4:7], off
	s_and_b64 exec, exec, vcc
	s_cbranch_execz .LBB1374_20
; %bb.19:
	ds_read_b128 v[2:5], v2 offset:128
	v_add3_u32 v6, s48, v62, 4
	v_mad_u64_u32 v[6:7], s[0:1], v6, s0, 0
	v_lshl_add_u64 v[0:1], v[6:7], 1, v[0:1]
	s_waitcnt lgkmcnt(0)
	global_store_dwordx4 v[0:1], v[2:5], off
.LBB1374_20:
	s_endpgm
	.section	.rodata,"a",@progbits
	.p2align	6, 0x0
	.amdhsa_kernel _Z39paged_attention_ll4mi_QKV_mfma16_kernelI14__hip_bfloat16hLN4vllm18Fp8KVCacheDataTypeE1ES0_Li32ELi128ELi256ELb1ELi7EEvPKT_PKT0_S8_ifPKiSA_SA_iPKfiiiPfSD_PS3_PT2_iSC_SC_
		.amdhsa_group_segment_fixed_size 8192
		.amdhsa_private_segment_fixed_size 0
		.amdhsa_kernarg_size 400
		.amdhsa_user_sgpr_count 2
		.amdhsa_user_sgpr_dispatch_ptr 0
		.amdhsa_user_sgpr_queue_ptr 0
		.amdhsa_user_sgpr_kernarg_segment_ptr 1
		.amdhsa_user_sgpr_dispatch_id 0
		.amdhsa_user_sgpr_kernarg_preload_length 0
		.amdhsa_user_sgpr_kernarg_preload_offset 0
		.amdhsa_user_sgpr_private_segment_size 0
		.amdhsa_uses_dynamic_stack 0
		.amdhsa_enable_private_segment 0
		.amdhsa_system_sgpr_workgroup_id_x 1
		.amdhsa_system_sgpr_workgroup_id_y 1
		.amdhsa_system_sgpr_workgroup_id_z 1
		.amdhsa_system_sgpr_workgroup_info 0
		.amdhsa_system_vgpr_workitem_id 0
		.amdhsa_next_free_vgpr 78
		.amdhsa_next_free_sgpr 50
		.amdhsa_accum_offset 80
		.amdhsa_reserve_vcc 1
		.amdhsa_float_round_mode_32 0
		.amdhsa_float_round_mode_16_64 0
		.amdhsa_float_denorm_mode_32 3
		.amdhsa_float_denorm_mode_16_64 3
		.amdhsa_dx10_clamp 1
		.amdhsa_ieee_mode 1
		.amdhsa_fp16_overflow 0
		.amdhsa_tg_split 0
		.amdhsa_exception_fp_ieee_invalid_op 0
		.amdhsa_exception_fp_denorm_src 0
		.amdhsa_exception_fp_ieee_div_zero 0
		.amdhsa_exception_fp_ieee_overflow 0
		.amdhsa_exception_fp_ieee_underflow 0
		.amdhsa_exception_fp_ieee_inexact 0
		.amdhsa_exception_int_div_zero 0
	.end_amdhsa_kernel
	.section	.text._Z39paged_attention_ll4mi_QKV_mfma16_kernelI14__hip_bfloat16hLN4vllm18Fp8KVCacheDataTypeE1ES0_Li32ELi128ELi256ELb1ELi7EEvPKT_PKT0_S8_ifPKiSA_SA_iPKfiiiPfSD_PS3_PT2_iSC_SC_,"axG",@progbits,_Z39paged_attention_ll4mi_QKV_mfma16_kernelI14__hip_bfloat16hLN4vllm18Fp8KVCacheDataTypeE1ES0_Li32ELi128ELi256ELb1ELi7EEvPKT_PKT0_S8_ifPKiSA_SA_iPKfiiiPfSD_PS3_PT2_iSC_SC_,comdat
.Lfunc_end1374:
	.size	_Z39paged_attention_ll4mi_QKV_mfma16_kernelI14__hip_bfloat16hLN4vllm18Fp8KVCacheDataTypeE1ES0_Li32ELi128ELi256ELb1ELi7EEvPKT_PKT0_S8_ifPKiSA_SA_iPKfiiiPfSD_PS3_PT2_iSC_SC_, .Lfunc_end1374-_Z39paged_attention_ll4mi_QKV_mfma16_kernelI14__hip_bfloat16hLN4vllm18Fp8KVCacheDataTypeE1ES0_Li32ELi128ELi256ELb1ELi7EEvPKT_PKT0_S8_ifPKiSA_SA_iPKfiiiPfSD_PS3_PT2_iSC_SC_
                                        ; -- End function
	.section	.AMDGPU.csdata,"",@progbits
; Kernel info:
; codeLenInByte = 6668
; NumSgprs: 56
; NumVgprs: 78
; NumAgprs: 0
; TotalNumVgprs: 78
; ScratchSize: 0
; MemoryBound: 0
; FloatMode: 240
; IeeeMode: 1
; LDSByteSize: 8192 bytes/workgroup (compile time only)
; SGPRBlocks: 6
; VGPRBlocks: 9
; NumSGPRsForWavesPerEU: 56
; NumVGPRsForWavesPerEU: 78
; AccumOffset: 80
; Occupancy: 6
; WaveLimiterHint : 1
; COMPUTE_PGM_RSRC2:SCRATCH_EN: 0
; COMPUTE_PGM_RSRC2:USER_SGPR: 2
; COMPUTE_PGM_RSRC2:TRAP_HANDLER: 0
; COMPUTE_PGM_RSRC2:TGID_X_EN: 1
; COMPUTE_PGM_RSRC2:TGID_Y_EN: 1
; COMPUTE_PGM_RSRC2:TGID_Z_EN: 1
; COMPUTE_PGM_RSRC2:TIDIG_COMP_CNT: 0
; COMPUTE_PGM_RSRC3_GFX90A:ACCUM_OFFSET: 19
; COMPUTE_PGM_RSRC3_GFX90A:TG_SPLIT: 0
	.section	.text._Z39paged_attention_ll4mi_QKV_mfma16_kernelI14__hip_bfloat16hLN4vllm18Fp8KVCacheDataTypeE1ES0_Li32ELi128ELi256ELb1ELi8EEvPKT_PKT0_S8_ifPKiSA_SA_iPKfiiiPfSD_PS3_PT2_iSC_SC_,"axG",@progbits,_Z39paged_attention_ll4mi_QKV_mfma16_kernelI14__hip_bfloat16hLN4vllm18Fp8KVCacheDataTypeE1ES0_Li32ELi128ELi256ELb1ELi8EEvPKT_PKT0_S8_ifPKiSA_SA_iPKfiiiPfSD_PS3_PT2_iSC_SC_,comdat
	.protected	_Z39paged_attention_ll4mi_QKV_mfma16_kernelI14__hip_bfloat16hLN4vllm18Fp8KVCacheDataTypeE1ES0_Li32ELi128ELi256ELb1ELi8EEvPKT_PKT0_S8_ifPKiSA_SA_iPKfiiiPfSD_PS3_PT2_iSC_SC_ ; -- Begin function _Z39paged_attention_ll4mi_QKV_mfma16_kernelI14__hip_bfloat16hLN4vllm18Fp8KVCacheDataTypeE1ES0_Li32ELi128ELi256ELb1ELi8EEvPKT_PKT0_S8_ifPKiSA_SA_iPKfiiiPfSD_PS3_PT2_iSC_SC_
	.globl	_Z39paged_attention_ll4mi_QKV_mfma16_kernelI14__hip_bfloat16hLN4vllm18Fp8KVCacheDataTypeE1ES0_Li32ELi128ELi256ELb1ELi8EEvPKT_PKT0_S8_ifPKiSA_SA_iPKfiiiPfSD_PS3_PT2_iSC_SC_
	.p2align	8
	.type	_Z39paged_attention_ll4mi_QKV_mfma16_kernelI14__hip_bfloat16hLN4vllm18Fp8KVCacheDataTypeE1ES0_Li32ELi128ELi256ELb1ELi8EEvPKT_PKT0_S8_ifPKiSA_SA_iPKfiiiPfSD_PS3_PT2_iSC_SC_,@function
_Z39paged_attention_ll4mi_QKV_mfma16_kernelI14__hip_bfloat16hLN4vllm18Fp8KVCacheDataTypeE1ES0_Li32ELi128ELi256ELb1ELi8EEvPKT_PKT0_S8_ifPKiSA_SA_iPKfiiiPfSD_PS3_PT2_iSC_SC_: ; @_Z39paged_attention_ll4mi_QKV_mfma16_kernelI14__hip_bfloat16hLN4vllm18Fp8KVCacheDataTypeE1ES0_Li32ELi128ELi256ELb1ELi8EEvPKT_PKT0_S8_ifPKiSA_SA_iPKfiiiPfSD_PS3_PT2_iSC_SC_
; %bb.0:
	s_load_dwordx2 s[8:9], s[0:1], 0x30
	s_mov_b32 s10, s3
	s_mov_b64 s[6:7], 0
	s_waitcnt lgkmcnt(0)
	s_cmp_lg_u64 s[8:9], 0
	s_cselect_b64 s[12:13], -1, 0
	s_and_b64 vcc, exec, s[12:13]
	s_cbranch_vccz .LBB1375_7
; %bb.1:
	s_add_i32 s14, s2, 1
	s_mov_b32 s15, 0
	s_lshl_b64 s[16:17], s[14:15], 2
	s_add_u32 s16, s8, s16
	s_mov_b32 s3, s15
	s_addc_u32 s17, s9, s17
	s_lshl_b64 s[14:15], s[2:3], 2
	s_add_u32 s14, s8, s14
	s_addc_u32 s15, s9, s15
	s_load_dword s5, s[16:17], 0x0
	s_load_dword s11, s[14:15], 0x0
	s_waitcnt lgkmcnt(0)
	s_sub_i32 s5, s5, s11
	s_cmp_eq_u32 s5, 1
	s_cselect_b64 s[14:15], -1, 0
	s_andn2_b64 vcc, exec, s[6:7]
	s_cbranch_vccnz .LBB1375_3
.LBB1375_2:
	s_mov_b32 s3, 0
	s_mov_b64 s[14:15], -1
.LBB1375_3:
	s_andn2_b64 vcc, exec, s[14:15]
	s_cbranch_vccnz .LBB1375_19
; %bb.4:
	s_load_dwordx2 s[6:7], s[0:1], 0x28
	s_lshl_b64 s[14:15], s[2:3], 2
	s_waitcnt lgkmcnt(0)
	s_add_u32 s6, s6, s14
	s_addc_u32 s7, s7, s15
	s_load_dword s33, s[6:7], 0x0
	s_lshl_b32 s18, s10, 8
	s_waitcnt lgkmcnt(0)
	s_cmp_ge_i32 s18, s33
	s_cbranch_scc1 .LBB1375_19
; %bb.5:
	s_load_dwordx2 s[6:7], s[0:1], 0x20
	s_load_dword s5, s[0:1], 0x38
	s_add_i32 s11, s33, 31
	s_ashr_i32 s16, s11, 31
	v_and_b32_e32 v1, 0xcf, v0
	s_lshr_b32 s16, s16, 27
	v_add_u32_e32 v1, s18, v1
	s_add_i32 s11, s11, s16
	v_ashrrev_i32_e32 v2, 31, v1
	s_ashr_i32 s19, s11, 5
	v_lshrrev_b32_e32 v4, 27, v2
	s_add_i32 s19, s19, -1
	s_waitcnt lgkmcnt(0)
	s_mul_i32 s16, s2, s5
	s_mov_b32 s17, 0
	v_add_u32_e32 v2, v1, v4
	s_lshl_b64 s[16:17], s[16:17], 2
	v_ashrrev_i32_e32 v2, 5, v2
	v_mov_b32_e32 v5, s19
	v_cmp_gt_i32_e32 vcc, s33, v1
	s_add_u32 s6, s6, s16
	s_addc_u32 s7, s7, s17
	v_cndmask_b32_e32 v2, v5, v2, vcc
	v_ashrrev_i32_e32 v3, 31, v2
	v_lshl_add_u64 v[6:7], v[2:3], 2, s[6:7]
	v_or_b32_e32 v2, 16, v1
	v_add_u32_e32 v3, v2, v4
	v_ashrrev_i32_e32 v3, 5, v3
	v_cmp_gt_i32_e32 vcc, s33, v2
	s_load_dwordx2 s[16:17], s[0:1], 0x8
	s_nop 0
	v_cndmask_b32_e32 v2, v5, v3, vcc
	v_ashrrev_i32_e32 v3, 31, v2
	v_lshl_add_u64 v[8:9], v[2:3], 2, s[6:7]
	v_or_b32_e32 v2, 32, v1
	v_add_u32_e32 v3, v2, v4
	v_ashrrev_i32_e32 v3, 5, v3
	v_cmp_gt_i32_e32 vcc, s33, v2
	v_or_b32_e32 v1, 48, v1
	s_nop 0
	v_cndmask_b32_e32 v2, v5, v3, vcc
	v_ashrrev_i32_e32 v3, 31, v2
	v_lshl_add_u64 v[12:13], v[2:3], 2, s[6:7]
	v_add_u32_e32 v2, v1, v4
	v_ashrrev_i32_e32 v2, 5, v2
	v_cmp_gt_i32_e32 vcc, s33, v1
	s_nop 1
	v_cndmask_b32_e32 v2, v5, v2, vcc
	v_ashrrev_i32_e32 v3, 31, v2
	v_lshl_add_u64 v[14:15], v[2:3], 2, s[6:7]
	global_load_dword v4, v[6:7], off
	global_load_dword v3, v[8:9], off
	;; [unrolled: 1-line block ×4, first 2 shown]
	s_andn2_b64 vcc, exec, s[12:13]
	s_cbranch_vccnz .LBB1375_8
; %bb.6:
	s_add_u32 s8, s8, s14
	s_addc_u32 s9, s9, s15
	s_load_dword s5, s[8:9], 0x0
	s_branch .LBB1375_9
.LBB1375_7:
	s_mov_b64 s[14:15], 0
	s_branch .LBB1375_2
.LBB1375_8:
	s_mov_b32 s5, s2
.LBB1375_9:
	s_load_dwordx2 s[8:9], s[0:1], 0x10
	s_load_dwordx4 s[44:47], s[0:1], 0x48
	v_and_b32_e32 v56, 15, v0
	v_lshlrev_b32_e32 v5, 3, v56
	s_movk_i32 s12, 0x80
	v_lshrrev_b32_e32 v58, 6, v0
	v_bfe_u32 v1, v0, 4, 2
	s_lshl_b32 s11, s4, 3
	v_cmp_gt_u32_e32 vcc, s12, v0
	v_lshlrev_b32_e32 v54, 1, v5
	v_lshlrev_b32_e32 v57, 4, v0
	s_and_saveexec_b64 s[12:13], vcc
	s_cbranch_execz .LBB1375_11
; %bb.10:
	s_load_dwordx2 s[14:15], s[0:1], 0x0
	s_waitcnt lgkmcnt(0)
	s_ashr_i32 s20, s44, 31
	s_mul_hi_u32 s21, s5, s44
	s_mul_i32 s20, s5, s20
	s_add_i32 s21, s21, s20
	s_mul_i32 s20, s5, s44
	v_lshl_or_b32 v5, v58, 2, v1
	s_lshl_b64 s[20:21], s[20:21], 1
	s_add_u32 s14, s14, s20
	v_add_lshl_u32 v6, v5, s11, 7
	s_addc_u32 s15, s15, s21
	v_ashrrev_i32_e32 v7, 31, v6
	v_lshl_add_u64 v[6:7], v[6:7], 1, s[14:15]
	v_mov_b32_e32 v55, 0
	v_lshl_add_u64 v[6:7], v[6:7], 0, v[54:55]
	global_load_dwordx4 v[6:9], v[6:7], off
	v_lshlrev_b32_e32 v12, 8, v0
	v_lshlrev_b32_e32 v11, 8, v56
	v_and_b32_e32 v12, 0x600, v12
	s_movk_i32 s5, 0x800
	v_and_or_b32 v11, v11, s5, v12
	v_lshlrev_b32_e32 v5, 5, v5
	v_and_b32_e32 v12, 16, v57
	v_or3_b32 v5, v11, v5, v12
	s_waitcnt vmcnt(0)
	ds_write_b128 v5, v[6:9]
.LBB1375_11:
	s_or_b64 exec, exec, s[12:13]
	s_waitcnt lgkmcnt(0)
	s_mul_i32 s12, s4, s46
	s_add_u32 s4, s16, s12
	s_addc_u32 s5, s17, 0
	v_mov_b32_e32 v51, 0
	v_mov_b64_e32 v[12:13], s[4:5]
	v_and_b32_e32 v52, 48, v0
	s_waitcnt vmcnt(3)
	v_mad_i64_i32 v[4:5], s[4:5], v4, s45, v[12:13]
	v_lshlrev_b32_e32 v14, 4, v56
	v_mov_b32_e32 v15, v51
	v_lshlrev_b32_e32 v50, 5, v52
	v_lshl_add_u64 v[4:5], v[4:5], 0, v[14:15]
	v_lshl_add_u64 v[4:5], v[4:5], 0, v[50:51]
	s_barrier
	global_load_dwordx4 v[46:49], v[4:5], off
	global_load_dwordx4 v[34:37], v[4:5], off offset:2048
	s_waitcnt vmcnt(4)
	v_mad_i64_i32 v[4:5], s[4:5], v3, s45, v[12:13]
	v_or_b32_e32 v16, 0x100, v14
	v_mov_b32_e32 v17, v51
	s_waitcnt vmcnt(3)
	v_mad_i64_i32 v[2:3], s[4:5], v2, s45, v[12:13]
	s_waitcnt vmcnt(2)
	v_mad_i64_i32 v[10:11], s[4:5], v10, s45, v[12:13]
	v_lshl_add_u64 v[4:5], v[4:5], 0, v[16:17]
	v_lshl_add_u64 v[2:3], v[2:3], 0, v[14:15]
	;; [unrolled: 1-line block ×6, first 2 shown]
	global_load_dwordx4 v[38:41], v[4:5], off
	global_load_dwordx4 v[6:9], v[4:5], off offset:2048
	s_nop 0
	global_load_dwordx4 v[2:5], v[14:15], off
	global_load_dwordx4 v[42:45], v[14:15], off offset:2048
	global_load_dwordx4 v[26:29], v[10:11], off
	s_nop 0
	global_load_dwordx4 v[14:17], v[10:11], off offset:2048
	v_and_b32_e32 v10, 7, v0
	v_lshlrev_b32_e32 v10, 5, v10
	v_lshl_or_b32 v10, v1, 9, v10
	ds_read_b128 v[30:33], v10
	ds_read_b128 v[22:25], v10 offset:16
	ds_read_b128 v[18:21], v10 offset:2048
	ds_read_b128 v[10:13], v10 offset:2064
	v_and_b32_e32 v55, 63, v0
	v_cmp_gt_u32_e32 vcc, 8, v56
	v_mov_b32_e32 v59, 0
	s_and_saveexec_b64 s[4:5], vcc
	s_cbranch_execz .LBB1375_13
; %bb.12:
	s_load_dwordx2 s[14:15], s[0:1], 0x40
	v_or_b32_e32 v60, s11, v56
	v_ashrrev_i32_e32 v61, 31, v60
	s_waitcnt lgkmcnt(0)
	v_lshl_add_u64 v[60:61], v[60:61], 2, s[14:15]
	global_load_dword v59, v[60:61], off
.LBB1375_13:
	s_or_b64 exec, exec, s[4:5]
	s_ashr_i32 s4, s18, 31
	v_or_b32_e32 v50, s18, v52
	s_lshr_b32 s4, s4, 27
	v_add_u32_e32 v52, s4, v50
	v_or_b32_e32 v60, 64, v50
	v_ashrrev_i32_e32 v52, 5, v52
	v_mov_b32_e32 v66, s19
	v_cmp_gt_i32_e32 vcc, s33, v50
	v_add_u32_e32 v61, s4, v60
	v_ashrrev_i32_e32 v61, 5, v61
	v_cndmask_b32_e32 v52, v66, v52, vcc
	v_cmp_gt_i32_e32 vcc, s33, v60
	s_waitcnt vmcnt(7)
	v_cvt_pk_f32_fp8_sdwa v[62:63], v46 src0_sel:WORD_1
	s_mov_b32 s44, 0x7060302
	v_cndmask_b32_e32 v60, v66, v61, vcc
	v_ashrrev_i32_e32 v61, 31, v60
	v_lshl_add_u64 v[64:65], v[60:61], 2, s[6:7]
	v_or_b32_e32 v60, 0x80, v50
	v_add_u32_e32 v61, s4, v60
	v_ashrrev_i32_e32 v61, 5, v61
	v_cmp_gt_i32_e32 vcc, s33, v60
	v_or_b32_e32 v50, 0xc0, v50
	v_add_u32_e32 v67, s4, v50
	v_cndmask_b32_e32 v60, v66, v61, vcc
	v_ashrrev_i32_e32 v61, 31, v60
	v_lshl_add_u64 v[70:71], v[60:61], 2, s[6:7]
	v_cvt_pk_f32_fp8_e32 v[60:61], v46
	v_ashrrev_i32_e32 v67, 5, v67
	v_cmp_gt_i32_e32 vcc, s33, v50
	v_ashrrev_i32_e32 v53, 31, v52
	v_perm_b32 v60, v61, v60, s44
	v_perm_b32 v61, v63, v62, s44
	v_cvt_pk_f32_fp8_e32 v[62:63], v47
	v_cvt_pk_f32_fp8_sdwa v[46:47], v47 src0_sel:WORD_1
	v_cndmask_b32_e32 v66, v66, v67, vcc
	v_cvt_pk_f32_fp8_sdwa v[72:73], v48 src0_sel:WORD_1
	v_perm_b32 v68, v63, v62, s44
	v_perm_b32 v69, v47, v46, s44
	s_waitcnt lgkmcnt(3)
	v_mfma_f32_16x16x16_bf16 v[60:63], v[60:61], v[30:31], 0
	v_cvt_pk_f32_fp8_e32 v[46:47], v48
	v_lshl_add_u64 v[52:53], v[52:53], 2, s[6:7]
	v_ashrrev_i32_e32 v67, 31, v66
	v_lshl_add_u64 v[74:75], v[66:67], 2, s[6:7]
	v_mfma_f32_16x16x16_bf16 v[66:69], v[68:69], v[32:33], v[60:63]
	s_nop 2
	global_load_dword v63, v[52:53], off
	s_nop 0
	global_load_dword v64, v[64:65], off
	;; [unrolled: 2-line block ×3, first 2 shown]
	global_load_dword v62, v[74:75], off
	v_perm_b32 v46, v47, v46, s44
	v_perm_b32 v47, v73, v72, s44
	v_cvt_pk_f32_fp8_e32 v[72:73], v49
	v_cvt_pk_f32_fp8_sdwa v[48:49], v49 src0_sel:WORD_1
	s_waitcnt vmcnt(10)
	v_cvt_pk_f32_fp8_sdwa v[70:71], v36 src0_sel:WORD_1
	s_waitcnt vmcnt(7)
	v_cvt_pk_f32_fp8_sdwa v[76:77], v5 src0_sel:WORD_1
	v_perm_b32 v52, v73, v72, s44
	v_perm_b32 v53, v49, v48, s44
	s_waitcnt lgkmcnt(2)
	v_mfma_f32_16x16x16_bf16 v[46:49], v[46:47], v[22:23], v[66:69]
	v_cvt_pk_f32_fp8_sdwa v[72:73], v4 src0_sel:WORD_1
	s_add_u32 s4, s8, s12
	s_addc_u32 s5, s9, 0
	v_cvt_pk_f32_fp8_e32 v[66:67], v34
	v_cvt_pk_f32_fp8_sdwa v[68:69], v34 src0_sel:WORD_1
	v_mfma_f32_16x16x16_bf16 v[46:49], v[52:53], v[24:25], v[46:49]
	v_cvt_pk_f32_fp8_e32 v[52:53], v35
	v_perm_b32 v66, v67, v66, s44
	v_perm_b32 v67, v69, v68, s44
	v_cvt_pk_f32_fp8_sdwa v[34:35], v35 src0_sel:WORD_1
	v_perm_b32 v52, v53, v52, s44
	v_cvt_pk_f32_fp8_e32 v[68:69], v36
	s_waitcnt lgkmcnt(1)
	v_mfma_f32_16x16x16_bf16 v[46:49], v[66:67], v[18:19], v[46:49]
	v_perm_b32 v53, v35, v34, s44
	v_perm_b32 v66, v69, v68, s44
	;; [unrolled: 1-line block ×3, first 2 shown]
	v_cvt_pk_f32_fp8_e32 v[68:69], v37
	v_cvt_pk_f32_fp8_sdwa v[70:71], v37 src0_sel:WORD_1
	v_mfma_f32_16x16x16_bf16 v[34:37], v[52:53], v[20:21], v[46:49]
	v_cvt_pk_f32_fp8_sdwa v[52:53], v38 src0_sel:WORD_1
	v_and_b32_e32 v50, 16, v0
	v_lshl_or_b32 v60, v58, 4, v56
	v_perm_b32 v46, v69, v68, s44
	v_perm_b32 v47, v71, v70, s44
	s_waitcnt lgkmcnt(0)
	v_mfma_f32_16x16x16_bf16 v[34:37], v[66:67], v[10:11], v[34:37]
	v_cvt_pk_f32_fp8_e32 v[48:49], v38
	v_cvt_pk_f32_fp8_e32 v[66:67], v40
	v_cvt_pk_f32_fp8_sdwa v[68:69], v40 src0_sel:WORD_1
	v_mfma_f32_16x16x16_bf16 v[34:37], v[46:47], v[12:13], v[34:37]
	v_cvt_pk_f32_fp8_e32 v[46:47], v39
	v_perm_b32 v48, v49, v48, s44
	v_perm_b32 v49, v53, v52, s44
	v_cvt_pk_f32_fp8_sdwa v[38:39], v39 src0_sel:WORD_1
	v_perm_b32 v52, v47, v46, s44
	v_mfma_f32_16x16x16_bf16 v[46:49], v[48:49], v[30:31], 0
	v_perm_b32 v53, v39, v38, s44
	v_perm_b32 v66, v67, v66, s44
	v_perm_b32 v67, v69, v68, s44
	v_cvt_pk_f32_fp8_e32 v[68:69], v41
	v_cvt_pk_f32_fp8_sdwa v[70:71], v41 src0_sel:WORD_1
	v_mfma_f32_16x16x16_bf16 v[38:41], v[52:53], v[32:33], v[46:49]
	v_cvt_pk_f32_fp8_e32 v[52:53], v6
	v_perm_b32 v52, v53, v52, s44
	s_nop 0
	v_perm_b32 v48, v69, v68, s44
	v_perm_b32 v49, v71, v70, s44
	v_mfma_f32_16x16x16_bf16 v[38:41], v[66:67], v[22:23], v[38:41]
	v_cvt_pk_f32_fp8_sdwa v[66:67], v6 src0_sel:WORD_1
	v_cvt_pk_f32_fp8_sdwa v[68:69], v8 src0_sel:WORD_1
	v_lshl_add_u64 v[46:47], s[4:5], 0, v[50:51]
	v_mfma_f32_16x16x16_bf16 v[38:41], v[48:49], v[24:25], v[38:41]
	v_cvt_pk_f32_fp8_e32 v[48:49], v7
	v_perm_b32 v53, v67, v66, s44
	v_cvt_pk_f32_fp8_sdwa v[6:7], v7 src0_sel:WORD_1
	v_cvt_pk_f32_fp8_e32 v[66:67], v8
	v_perm_b32 v48, v49, v48, s44
	v_mfma_f32_16x16x16_bf16 v[38:41], v[52:53], v[18:19], v[38:41]
	v_perm_b32 v49, v7, v6, s44
	v_perm_b32 v52, v67, v66, s44
	;; [unrolled: 1-line block ×3, first 2 shown]
	v_cvt_pk_f32_fp8_e32 v[66:67], v9
	v_cvt_pk_f32_fp8_sdwa v[68:69], v9 src0_sel:WORD_1
	v_mfma_f32_16x16x16_bf16 v[6:9], v[48:49], v[20:21], v[38:41]
	v_cvt_pk_f32_fp8_e32 v[48:49], v2
	v_lshlrev_b32_e32 v50, 5, v60
	v_lshl_add_u64 v[70:71], v[46:47], 0, v[50:51]
	v_perm_b32 v38, v67, v66, s44
	v_perm_b32 v39, v69, v68, s44
	v_mfma_f32_16x16x16_bf16 v[6:9], v[52:53], v[10:11], v[6:9]
	v_cvt_pk_f32_fp8_sdwa v[52:53], v2 src0_sel:WORD_1
	s_waitcnt vmcnt(2)
	v_mad_i64_i32 v[74:75], s[4:5], v64, s45, v[70:71]
	v_mfma_f32_16x16x16_bf16 v[38:41], v[38:39], v[12:13], v[6:9]
	v_or_b32_e32 v50, 0x800, v50
	v_lshl_add_u64 v[46:47], v[46:47], 0, v[50:51]
	s_nop 0
	v_perm_b32 v6, v49, v48, s44
	v_perm_b32 v7, v53, v52, s44
	v_cvt_pk_f32_fp8_e32 v[8:9], v3
	v_cvt_pk_f32_fp8_sdwa v[2:3], v3 src0_sel:WORD_1
	v_mad_i64_i32 v[48:49], s[4:5], v63, s45, v[70:71]
	v_perm_b32 v52, v9, v8, s44
	v_perm_b32 v53, v3, v2, s44
	v_mfma_f32_16x16x16_bf16 v[6:9], v[6:7], v[30:31], 0
	v_cvt_pk_f32_fp8_e32 v[2:3], v4
	v_mfma_f32_16x16x16_bf16 v[66:69], v[52:53], v[32:33], v[6:9]
	v_perm_b32 v52, v3, v2, s44
	v_perm_b32 v53, v73, v72, s44
	v_cvt_pk_f32_fp8_e32 v[72:73], v5
	s_nop 1
	global_load_dwordx4 v[6:9], v[48:49], off
	global_load_dwordx4 v[2:5], v[74:75], off
	v_mfma_f32_16x16x16_bf16 v[66:69], v[52:53], v[22:23], v[66:69]
	v_perm_b32 v72, v73, v72, s44
	v_perm_b32 v73, v77, v76, s44
	s_waitcnt vmcnt(3)
	v_mad_i64_i32 v[48:49], s[4:5], v61, s45, v[70:71]
	s_waitcnt vmcnt(2)
	v_mad_i64_i32 v[52:53], s[4:5], v62, s45, v[70:71]
	v_mfma_f32_16x16x16_bf16 v[66:69], v[72:73], v[24:25], v[66:69]
	v_cvt_pk_f32_fp8_e32 v[70:71], v42
	v_cvt_pk_f32_fp8_sdwa v[72:73], v42 src0_sel:WORD_1
	v_cvt_pk_f32_fp8_e32 v[74:75], v43
	v_cvt_pk_f32_fp8_sdwa v[42:43], v43 src0_sel:WORD_1
	v_perm_b32 v70, v71, v70, s44
	v_perm_b32 v71, v73, v72, s44
	;; [unrolled: 1-line block ×4, first 2 shown]
	v_cvt_pk_f32_fp8_e32 v[42:43], v44
	v_cvt_pk_f32_fp8_sdwa v[74:75], v44 src0_sel:WORD_1
	v_mfma_f32_16x16x16_bf16 v[66:69], v[70:71], v[18:19], v[66:69]
	v_cvt_pk_f32_fp8_sdwa v[76:77], v45 src0_sel:WORD_1
	v_perm_b32 v70, v43, v42, s44
	v_perm_b32 v71, v75, v74, s44
	v_cvt_pk_f32_fp8_e32 v[74:75], v45
	v_mfma_f32_16x16x16_bf16 v[42:45], v[72:73], v[20:21], v[66:69]
	v_perm_b32 v51, v77, v76, s44
	v_cvt_pk_f32_fp8_sdwa v[72:73], v26 src0_sel:WORD_1
	v_perm_b32 v50, v75, v74, s44
	v_mfma_f32_16x16x16_bf16 v[42:45], v[70:71], v[10:11], v[42:45]
	v_cvt_pk_f32_fp8_e32 v[70:71], v26
	s_load_dword s4, s[0:1], 0x1c
	s_load_dwordx4 s[40:43], s[0:1], 0x80
	s_load_dword s46, s[0:1], 0x98
	s_waitcnt lgkmcnt(0)
	s_load_dword s5, s[40:41], 0x0
	v_mfma_f32_16x16x16_bf16 v[66:69], v[50:51], v[12:13], v[42:45]
	s_mov_b32 s40, 0xff7fffff
	s_nop 1
	v_cvt_pk_f32_fp8_e32 v[42:43], v27
	v_perm_b32 v44, v71, v70, s44
	v_perm_b32 v45, v73, v72, s44
	v_cvt_pk_f32_fp8_sdwa v[26:27], v27 src0_sel:WORD_1
	v_perm_b32 v50, v43, v42, s44
	v_cvt_pk_f32_fp8_e32 v[70:71], v28
	v_cvt_pk_f32_fp8_sdwa v[72:73], v28 src0_sel:WORD_1
	v_perm_b32 v51, v27, v26, s44
	v_mfma_f32_16x16x16_bf16 v[42:45], v[44:45], v[30:31], 0
	v_perm_b32 v30, v71, v70, s44
	v_perm_b32 v31, v73, v72, s44
	v_cvt_pk_f32_fp8_e32 v[70:71], v29
	v_cvt_pk_f32_fp8_sdwa v[72:73], v29 src0_sel:WORD_1
	v_mfma_f32_16x16x16_bf16 v[26:29], v[50:51], v[32:33], v[42:45]
	v_perm_b32 v32, v71, v70, s44
	v_perm_b32 v33, v73, v72, s44
	v_mfma_f32_16x16x16_bf16 v[26:29], v[30:31], v[22:23], v[26:29]
	v_mov_b32_e32 v42, s4
	s_waitcnt lgkmcnt(0)
	v_mul_f32_e32 v50, s5, v42
	v_pk_mul_f32 v[30:31], v[50:51], v[34:35] op_sel_hi:[0,1]
	v_mfma_f32_16x16x16_bf16 v[32:35], v[32:33], v[24:25], v[26:29]
	v_cvt_pk_f32_fp8_e32 v[22:23], v14
	v_cvt_pk_f32_fp8_sdwa v[24:25], v14 src0_sel:WORD_1
	v_pk_mul_f32 v[42:43], v[50:51], v[36:37] op_sel_hi:[0,1]
	v_cvt_pk_f32_fp8_e32 v[26:27], v15
	v_cvt_pk_f32_fp8_sdwa v[14:15], v15 src0_sel:WORD_1
	v_perm_b32 v36, v23, v22, s44
	v_perm_b32 v37, v25, v24, s44
	;; [unrolled: 1-line block ×4, first 2 shown]
	v_cvt_pk_f32_fp8_e32 v[14:15], v16
	v_cvt_pk_f32_fp8_sdwa v[70:71], v16 src0_sel:WORD_1
	v_mfma_f32_16x16x16_bf16 v[32:35], v[36:37], v[18:19], v[32:35]
	global_load_dwordx4 v[26:29], v[48:49], off
	global_load_dwordx4 v[22:25], v[52:53], off
	v_perm_b32 v18, v15, v14, s44
	v_perm_b32 v19, v71, v70, s44
	v_cvt_pk_f32_fp8_e32 v[36:37], v17
	v_cvt_pk_f32_fp8_sdwa v[48:49], v17 src0_sel:WORD_1
	v_mfma_f32_16x16x16_bf16 v[14:17], v[44:45], v[20:21], v[32:35]
	v_pk_mul_f32 v[44:45], v[50:51], v[40:41] op_sel_hi:[0,1]
	v_perm_b32 v20, v37, v36, s44
	v_perm_b32 v21, v49, v48, s44
	v_mfma_f32_16x16x16_bf16 v[14:17], v[18:19], v[10:11], v[14:17]
	v_pk_mul_f32 v[48:49], v[50:51], v[38:39] op_sel_hi:[0,1]
	v_pk_mul_f32 v[38:39], v[50:51], v[68:69] op_sel_hi:[0,1]
	;; [unrolled: 1-line block ×3, first 2 shown]
	v_mfma_f32_16x16x16_bf16 v[10:13], v[20:21], v[12:13], v[14:17]
	s_nop 6
	v_pk_mul_f32 v[36:37], v[50:51], v[10:11] op_sel_hi:[0,1]
	v_and_b32_e32 v10, 0xc0, v0
	v_add_u32_e32 v10, s18, v10
	v_lshl_or_b32 v10, v1, 2, v10
	v_or_b32_e32 v11, 1, v10
	v_pk_mul_f32 v[34:35], v[50:51], v[12:13] op_sel_hi:[0,1]
	v_subrev_u32_e32 v12, s33, v11
	v_add_u32_e32 v14, 1, v12
	v_add_u32_e32 v15, 2, v12
	v_cvt_f32_i32_e32 v13, v12
	v_cvt_f32_i32_e32 v14, v14
	;; [unrolled: 1-line block ×3, first 2 shown]
	v_add_u32_e32 v16, 3, v12
	v_fma_f32 v17, v59, v13, v30
	v_fmac_f32_e32 v31, v59, v14
	v_fma_f32 v42, v59, v15, v42
	v_add_u32_e32 v13, 16, v12
	v_add_u32_e32 v14, 17, v12
	;; [unrolled: 1-line block ×3, first 2 shown]
	v_cvt_f32_i32_e32 v16, v16
	v_cvt_f32_i32_e32 v13, v13
	;; [unrolled: 1-line block ×4, first 2 shown]
	v_fmac_f32_e32 v43, v59, v16
	v_add_u32_e32 v16, 19, v12
	v_fma_f32 v52, v59, v13, v48
	v_fmac_f32_e32 v49, v59, v14
	v_fma_f32 v44, v59, v15, v44
	v_add_u32_e32 v13, 32, v12
	v_add_u32_e32 v14, 33, v12
	;; [unrolled: 1-line block ×3, first 2 shown]
	v_cvt_f32_i32_e32 v16, v16
	v_cvt_f32_i32_e32 v13, v13
	;; [unrolled: 1-line block ×4, first 2 shown]
	v_fmac_f32_e32 v45, v59, v16
	v_add_u32_e32 v16, 35, v12
	v_fma_f32 v40, v59, v13, v40
	v_fmac_f32_e32 v41, v59, v14
	v_fma_f32 v38, v59, v15, v38
	v_add_u32_e32 v13, 48, v12
	v_add_u32_e32 v14, 49, v12
	v_add_u32_e32 v15, 50, v12
	v_add_u32_e32 v12, 51, v12
	v_cvt_f32_i32_e32 v12, v12
	v_cvt_f32_i32_e32 v13, v13
	;; [unrolled: 1-line block ×3, first 2 shown]
	v_cmp_gt_i32_e64 s[12:13], s33, v10
	v_fmac_f32_e32 v35, v59, v12
	v_mov_b32_e32 v12, 0xff7fffff
	v_cmp_gt_i32_e64 s[14:15], s33, v11
	v_fma_f32 v36, v59, v13, v36
	v_cndmask_b32_e64 v13, v12, v17, s[12:13]
	v_cndmask_b32_e64 v11, v12, v31, s[14:15]
	v_fmac_f32_e32 v37, v59, v14
	v_max3_f32 v11, v13, s40, v11
	v_or_b32_e32 v13, 2, v10
	v_or_b32_e32 v14, 3, v10
	v_cmp_gt_i32_e64 s[16:17], s33, v13
	v_cmp_gt_i32_e64 s[18:19], s33, v14
	v_cvt_f32_i32_e32 v16, v16
	v_cndmask_b32_e64 v13, v12, v42, s[16:17]
	v_cndmask_b32_e64 v14, v12, v43, s[18:19]
	v_max3_f32 v11, v11, v13, v14
	v_or_b32_e32 v13, 16, v10
	v_or_b32_e32 v14, 17, v10
	v_cmp_gt_i32_e64 s[20:21], s33, v13
	v_cmp_gt_i32_e64 s[22:23], s33, v14
	v_fmac_f32_e32 v39, v59, v16
	v_cndmask_b32_e64 v13, v12, v52, s[20:21]
	v_cndmask_b32_e64 v14, v12, v49, s[22:23]
	v_max3_f32 v11, v11, v13, v14
	v_or_b32_e32 v13, 18, v10
	v_or_b32_e32 v14, 19, v10
	v_cmp_gt_i32_e64 s[24:25], s33, v13
	v_cmp_gt_i32_e64 s[26:27], s33, v14
	v_cvt_f32_i32_e32 v15, v15
	v_cndmask_b32_e64 v13, v12, v44, s[24:25]
	v_cndmask_b32_e64 v14, v12, v45, s[26:27]
	v_max3_f32 v11, v11, v13, v14
	v_or_b32_e32 v13, 32, v10
	v_or_b32_e32 v14, 33, v10
	v_cmp_gt_i32_e64 s[28:29], s33, v13
	v_cmp_gt_i32_e64 s[30:31], s33, v14
	v_fma_f32 v34, v59, v15, v34
	v_cndmask_b32_e64 v13, v12, v40, s[28:29]
	v_cndmask_b32_e64 v14, v12, v41, s[30:31]
	v_max3_f32 v11, v11, v13, v14
	v_or_b32_e32 v13, 34, v10
	v_or_b32_e32 v14, 35, v10
	v_cmp_gt_i32_e64 s[34:35], s33, v13
	v_cmp_gt_i32_e64 s[36:37], s33, v14
	s_nop 0
	v_cndmask_b32_e64 v13, v12, v38, s[34:35]
	v_cndmask_b32_e64 v14, v12, v39, s[36:37]
	v_max3_f32 v11, v11, v13, v14
	v_or_b32_e32 v13, 48, v10
	v_or_b32_e32 v14, 49, v10
	v_cmp_gt_i32_e64 s[6:7], s33, v13
	v_cmp_gt_i32_e64 s[8:9], s33, v14
	s_nop 0
	v_cndmask_b32_e64 v13, v12, v36, s[6:7]
	v_cndmask_b32_e64 v14, v12, v37, s[8:9]
	v_max3_f32 v11, v11, v13, v14
	v_or_b32_e32 v13, 50, v10
	v_or_b32_e32 v10, 51, v10
	v_cmp_gt_i32_e32 vcc, s33, v13
	v_cmp_gt_i32_e64 s[4:5], s33, v10
	s_nop 0
	v_cndmask_b32_e32 v13, v12, v34, vcc
	v_cndmask_b32_e64 v10, v12, v35, s[4:5]
	v_max3_f32 v14, v11, v13, v10
	v_mbcnt_lo_u32_b32 v10, -1, 0
	v_mbcnt_hi_u32_b32 v15, -1, v10
	v_and_b32_e32 v10, 64, v15
	v_add_u32_e32 v16, 64, v10
	v_xor_b32_e32 v10, 32, v15
	v_cmp_lt_i32_e64 s[38:39], v10, v16
	s_nop 1
	v_cndmask_b32_e64 v10, v15, v10, s[38:39]
	v_lshlrev_b32_e32 v53, 2, v10
	ds_bpermute_b32 v18, v53, v14
	v_mad_i64_i32 v[10:11], s[38:39], v63, s45, v[46:47]
	v_mad_i64_i32 v[12:13], s[38:39], v64, s45, v[46:47]
	s_waitcnt lgkmcnt(0)
	v_max_f32_e32 v18, v18, v18
	v_max_f32_e32 v18, v14, v18
	v_xor_b32_e32 v14, 16, v15
	v_cmp_lt_i32_e64 s[38:39], v14, v16
	s_nop 1
	v_cndmask_b32_e64 v14, v15, v14, s[38:39]
	v_lshlrev_b32_e32 v59, 2, v14
	ds_bpermute_b32 v16, v59, v18
	v_mad_i64_i32 v[14:15], s[38:39], v61, s45, v[46:47]
	v_mad_i64_i32 v[46:47], s[38:39], v62, s45, v[46:47]
	s_waitcnt lgkmcnt(0)
	v_max_f32_e32 v16, v16, v16
	v_max_f32_e32 v48, v18, v16
	v_sub_f32_e32 v16, v31, v48
	global_load_dwordx4 v[30:33], v[10:11], off
	global_load_dwordx4 v[18:21], v[12:13], off
	v_sub_f32_e32 v10, v17, v48
	v_mul_f32_e32 v10, 0x3fb8aa3b, v10
	v_exp_f32_e32 v50, v10
	v_mul_f32_e32 v10, 0x3fb8aa3b, v16
	v_exp_f32_e32 v51, v10
	v_sub_f32_e32 v10, v42, v48
	v_mul_f32_e32 v10, 0x3fb8aa3b, v10
	v_exp_f32_e32 v42, v10
	v_sub_f32_e32 v10, v43, v48
	v_mul_f32_e32 v10, 0x3fb8aa3b, v10
	v_exp_f32_e32 v43, v10
	global_load_dwordx4 v[14:17], v[14:15], off
	s_nop 0
	global_load_dwordx4 v[10:13], v[46:47], off
	v_sub_f32_e32 v40, v40, v48
	v_sub_f32_e32 v38, v38, v48
	v_mul_f32_e32 v40, 0x3fb8aa3b, v40
	v_mul_f32_e32 v38, 0x3fb8aa3b, v38
	v_cndmask_b32_e64 v47, 0, v51, s[14:15]
	v_cndmask_b32_e64 v51, 0, v43, s[18:19]
	v_sub_f32_e32 v43, v49, v48
	v_exp_f32_e32 v40, v40
	v_exp_f32_e32 v49, v38
	v_cndmask_b32_e64 v46, 0, v50, s[12:13]
	v_cndmask_b32_e64 v50, 0, v42, s[16:17]
	v_sub_f32_e32 v42, v52, v48
	v_mul_f32_e32 v42, 0x3fb8aa3b, v42
	v_sub_f32_e32 v38, v39, v48
	v_exp_f32_e32 v42, v42
	v_mul_f32_e32 v43, 0x3fb8aa3b, v43
	v_sub_f32_e32 v44, v44, v48
	v_mul_f32_e32 v38, 0x3fb8aa3b, v38
	v_exp_f32_e32 v43, v43
	v_mul_f32_e32 v44, 0x3fb8aa3b, v44
	v_sub_f32_e32 v45, v45, v48
	v_exp_f32_e32 v52, v38
	v_cndmask_b32_e64 v38, 0, v40, s[28:29]
	v_cndmask_b32_e64 v40, 0, v49, s[34:35]
	v_add_f32_e32 v49, 0, v46
	v_exp_f32_e32 v44, v44
	v_mul_f32_e32 v45, 0x3fb8aa3b, v45
	v_add_f32_e32 v49, v49, v47
	v_exp_f32_e32 v45, v45
	v_sub_f32_e32 v41, v41, v48
	v_add_f32_e32 v49, v49, v50
	v_cndmask_b32_e64 v42, 0, v42, s[20:21]
	v_mul_f32_e32 v41, 0x3fb8aa3b, v41
	v_add_f32_e32 v49, v49, v51
	v_cndmask_b32_e64 v43, 0, v43, s[22:23]
	v_exp_f32_e32 v41, v41
	v_add_f32_e32 v49, v49, v42
	v_cndmask_b32_e64 v44, 0, v44, s[24:25]
	v_add_f32_e32 v49, v49, v43
	v_sub_f32_e32 v36, v36, v48
	v_cndmask_b32_e64 v45, 0, v45, s[26:27]
	v_add_f32_e32 v49, v49, v44
	v_mul_f32_e32 v36, 0x3fb8aa3b, v36
	v_sub_f32_e32 v37, v37, v48
	v_add_f32_e32 v49, v49, v45
	v_exp_f32_e32 v36, v36
	v_mul_f32_e32 v37, 0x3fb8aa3b, v37
	v_sub_f32_e32 v34, v34, v48
	v_cndmask_b32_e64 v39, 0, v41, s[30:31]
	v_add_f32_e32 v49, v49, v38
	v_exp_f32_e32 v37, v37
	v_mul_f32_e32 v34, 0x3fb8aa3b, v34
	v_sub_f32_e32 v35, v35, v48
	v_add_f32_e32 v49, v49, v39
	v_exp_f32_e32 v34, v34
	v_mul_f32_e32 v35, 0x3fb8aa3b, v35
	v_cndmask_b32_e64 v41, 0, v52, s[36:37]
	v_add_f32_e32 v49, v49, v40
	v_exp_f32_e32 v35, v35
	v_add_f32_e32 v49, v49, v41
	v_cndmask_b32_e64 v36, 0, v36, s[6:7]
	v_add_f32_e32 v49, v49, v36
	v_cndmask_b32_e64 v37, 0, v37, s[8:9]
	v_add_f32_e32 v49, v49, v37
	v_cndmask_b32_e32 v34, 0, v34, vcc
	v_add_f32_e32 v49, v49, v34
	v_cndmask_b32_e64 v35, 0, v35, s[4:5]
	v_add_f32_e32 v49, v49, v35
	ds_bpermute_b32 v52, v53, v49
	v_cmp_gt_u32_e32 vcc, 16, v55
	s_waitcnt lgkmcnt(0)
	s_barrier
	v_add_f32_e32 v49, v49, v52
	ds_bpermute_b32 v52, v59, v49
	s_and_saveexec_b64 s[4:5], vcc
	s_cbranch_execz .LBB1375_15
; %bb.14:
	s_waitcnt lgkmcnt(0)
	v_add_f32_e32 v49, v49, v52
	v_lshlrev_b32_e32 v52, 2, v60
	ds_write2st64_b32 v52, v48, v49 offset1:1
.LBB1375_15:
	s_or_b64 exec, exec, s[4:5]
	v_lshlrev_b32_e32 v49, 2, v56
	s_load_dword s6, s[0:1], 0x94
	s_waitcnt lgkmcnt(0)
	s_barrier
	ds_read2_b32 v[52:53], v49 offset1:16
	ds_read2_b32 v[60:61], v49 offset0:32 offset1:48
	ds_read2_b32 v[62:63], v49 offset0:64 offset1:80
	s_movk_i32 s8, 0x7fff
	s_lshl_b32 s7, s46, 3
	s_waitcnt lgkmcnt(2)
	v_max3_f32 v48, v52, s40, v53
	s_waitcnt lgkmcnt(1)
	v_max3_f32 v48, v48, v60, v61
	v_sub_f32_e32 v52, v52, v48
	v_mul_f32_e32 v52, 0x3fb8aa3b, v52
	v_exp_f32_e32 v55, v52
	v_sub_f32_e32 v52, v53, v48
	v_mul_f32_e32 v52, 0x3fb8aa3b, v52
	v_exp_f32_e32 v59, v52
	;; [unrolled: 3-line block ×3, first 2 shown]
	ds_read2_b32 v[52:53], v49 offset0:96 offset1:112
	v_sub_f32_e32 v49, v61, v48
	v_mul_f32_e32 v49, 0x3fb8aa3b, v49
	v_exp_f32_e32 v61, v49
	s_waitcnt lgkmcnt(1)
	v_fma_f32 v49, v55, v62, 0
	v_fmac_f32_e32 v49, v59, v63
	s_waitcnt lgkmcnt(0)
	v_fmac_f32_e32 v49, v60, v52
	v_fmac_f32_e32 v49, v61, v53
	v_add_f32_e32 v52, 0x358637bd, v49
	v_div_scale_f32 v53, s[4:5], v52, v52, 1.0
	v_rcp_f32_e32 v62, v53
	s_barrier
	v_fma_f32 v63, -v53, v62, 1.0
	v_fmac_f32_e32 v62, v63, v62
	v_div_scale_f32 v63, vcc, 1.0, v52, 1.0
	v_mul_f32_e32 v64, v63, v62
	v_fma_f32 v65, -v53, v64, v63
	v_fmac_f32_e32 v64, v65, v62
	v_fma_f32 v53, -v53, v64, v63
	v_div_fmas_f32 v53, v53, v62, v64
	v_cmp_eq_u32_e32 vcc, 1, v58
	v_div_fixup_f32 v52, v53, v52, 1.0
	s_nop 0
	v_cndmask_b32_e32 v53, v55, v59, vcc
	v_cmp_eq_u32_e32 vcc, 2, v58
	s_nop 1
	v_cndmask_b32_e32 v53, v53, v60, vcc
	v_cmp_eq_u32_e32 vcc, 3, v58
	s_nop 1
	v_cndmask_b32_e32 v53, v53, v61, vcc
	v_mul_f32_e32 v52, v53, v52
	v_pk_mul_f32 v[46:47], v[52:53], v[46:47] op_sel_hi:[0,1]
	v_pk_mul_f32 v[50:51], v[52:53], v[50:51] op_sel_hi:[0,1]
	v_bfe_u32 v53, v47, 16, 1
	v_bfe_u32 v55, v46, 16, 1
	v_add3_u32 v46, v46, v55, s8
	v_add3_u32 v47, v47, v53, s8
	v_perm_b32 v60, v47, v46, s44
	v_bfe_u32 v46, v51, 16, 1
	v_bfe_u32 v47, v50, 16, 1
	v_add3_u32 v47, v50, v47, s8
	v_add3_u32 v46, v51, v46, s8
	v_perm_b32 v61, v46, v47, s44
	v_lshlrev_b32_e32 v47, 3, v1
	v_lshlrev_b32_e32 v46, 5, v56
	;; [unrolled: 1-line block ×3, first 2 shown]
	v_pk_mul_f32 v[42:43], v[52:53], v[42:43] op_sel_hi:[0,1]
	v_or3_b32 v55, v50, v46, v47
	v_bfe_u32 v47, v43, 16, 1
	v_bfe_u32 v50, v42, 16, 1
	v_pk_mul_f32 v[44:45], v[52:53], v[44:45] op_sel_hi:[0,1]
	v_add3_u32 v42, v42, v50, s8
	v_add3_u32 v43, v43, v47, s8
	v_perm_b32 v42, v43, v42, s44
	v_bfe_u32 v43, v45, 16, 1
	v_bfe_u32 v47, v44, 16, 1
	v_add3_u32 v44, v44, v47, s8
	v_add3_u32 v43, v45, v43, s8
	v_perm_b32 v43, v43, v44, s44
	v_pk_mul_f32 v[38:39], v[52:53], v[38:39] op_sel_hi:[0,1]
	ds_write2st64_b64 v55, v[60:61], v[42:43] offset1:1
	v_bfe_u32 v42, v39, 16, 1
	v_bfe_u32 v43, v38, 16, 1
	v_pk_mul_f32 v[40:41], v[52:53], v[40:41] op_sel_hi:[0,1]
	v_add3_u32 v38, v38, v43, s8
	v_add3_u32 v39, v39, v42, s8
	v_perm_b32 v38, v39, v38, s44
	v_bfe_u32 v39, v41, 16, 1
	v_bfe_u32 v42, v40, 16, 1
	v_add3_u32 v40, v40, v42, s8
	v_add3_u32 v39, v41, v39, s8
	v_pk_mul_f32 v[36:37], v[52:53], v[36:37] op_sel_hi:[0,1]
	v_perm_b32 v39, v39, v40, s44
	v_bfe_u32 v40, v37, 16, 1
	v_bfe_u32 v41, v36, 16, 1
	v_pk_mul_f32 v[34:35], v[52:53], v[34:35] op_sel_hi:[0,1]
	v_add3_u32 v36, v36, v41, s8
	v_add3_u32 v37, v37, v40, s8
	v_perm_b32 v36, v37, v36, s44
	v_bfe_u32 v37, v35, 16, 1
	v_bfe_u32 v40, v34, 16, 1
	v_add3_u32 v34, v34, v40, s8
	v_add3_u32 v35, v35, v37, s8
	v_perm_b32 v37, v35, v34, s44
	v_cmp_gt_u32_e32 vcc, 8, v0
	ds_write2st64_b64 v55, v[38:39], v[36:37] offset0:2 offset1:3
	s_and_saveexec_b64 s[4:5], vcc
	s_cbranch_execz .LBB1375_17
; %bb.16:
	v_or_b32_e32 v34, s11, v0
	v_mov_b32_e32 v35, 0
	v_mov_b32_e32 v36, s7
	v_mad_u64_u32 v[36:37], s[16:17], s2, v36, v[34:35]
	v_mov_b32_e32 v34, s10
	s_load_dwordx4 s[12:15], s[0:1], 0x58
	s_mul_i32 s3, s3, s7
	v_mad_u64_u32 v[34:35], s[16:17], v36, s6, v[34:35]
	v_add_u32_e32 v37, s3, v37
	v_mov_b32_e32 v36, v35
	v_mad_u64_u32 v[36:37], s[16:17], v37, s6, v[36:37]
	v_mov_b32_e32 v35, v36
	v_lshlrev_b64 v[34:35], 2, v[34:35]
	s_waitcnt lgkmcnt(0)
	v_lshl_add_u64 v[36:37], s[14:15], 0, v[34:35]
	v_lshl_add_u64 v[34:35], s[12:13], 0, v[34:35]
	global_store_dword v[36:37], v48, off
	global_store_dword v[34:35], v49, off
.LBB1375_17:
	s_or_b64 exec, exec, s[4:5]
	s_waitcnt vmcnt(7)
	v_cvt_pk_f32_fp8_e32 v[34:35], v6
	v_cvt_pk_f32_fp8_sdwa v[36:37], v6 src0_sel:WORD_1
	v_lshl_or_b32 v50, v1, 9, v46
	s_mov_b32 s5, 0x7060302
	s_waitcnt lgkmcnt(0)
	s_barrier
	v_cvt_pk_f32_fp8_e32 v[38:39], v7
	v_perm_b32 v6, v35, v34, s5
	v_cvt_pk_f32_fp8_sdwa v[40:41], v7 src0_sel:WORD_1
	v_perm_b32 v7, v37, v36, s5
	ds_read_b128 v[34:37], v50
	v_perm_b32 v46, v39, v38, s5
	v_perm_b32 v47, v41, v40, s5
	ds_read_b128 v[38:41], v50 offset:16
	v_cvt_pk_f32_fp8_e32 v[48:49], v8
	v_cvt_pk_f32_fp8_sdwa v[52:53], v8 src0_sel:WORD_1
	s_waitcnt lgkmcnt(1)
	v_mfma_f32_16x16x16_bf16 v[42:45], v[6:7], v[34:35], 0
	s_waitcnt vmcnt(6)
	v_cvt_pk_f32_fp8_e32 v[58:59], v4
	v_perm_b32 v6, v49, v48, s5
	v_perm_b32 v7, v53, v52, s5
	v_cvt_pk_f32_fp8_e32 v[48:49], v9
	v_mfma_f32_16x16x16_bf16 v[42:45], v[46:47], v[36:37], v[42:45]
	v_cvt_pk_f32_fp8_sdwa v[46:47], v9 src0_sel:WORD_1
	v_cvt_pk_f32_fp8_sdwa v[60:61], v4 src0_sel:WORD_1
	v_perm_b32 v48, v49, v48, s5
	s_waitcnt lgkmcnt(0)
	v_mfma_f32_16x16x16_bf16 v[6:9], v[6:7], v[38:39], v[42:45]
	v_perm_b32 v49, v47, v46, s5
	s_waitcnt vmcnt(5)
	v_cvt_pk_f32_fp8_e32 v[62:63], v28
	v_cvt_pk_f32_fp8_sdwa v[64:65], v28 src0_sel:WORD_1
	v_cvt_pk_f32_fp8_e32 v[42:43], v2
	v_mfma_f32_16x16x16_bf16 v[46:49], v[48:49], v[40:41], v[6:9]
	s_waitcnt vmcnt(4)
	v_cvt_pk_f32_fp8_sdwa v[66:67], v24 src0_sel:WORD_1
	s_load_dword s4, s[42:43], 0x0
	v_cvt_pk_f32_fp8_sdwa v[6:7], v2 src0_sel:WORD_1
	v_cvt_pk_f32_fp8_e32 v[8:9], v3
	v_perm_b32 v2, v43, v42, s5
	v_cvt_pk_f32_fp8_sdwa v[42:43], v3 src0_sel:WORD_1
	v_perm_b32 v3, v7, v6, s5
	v_perm_b32 v52, v9, v8, s5
	ds_read_b128 v[6:9], v50 offset:2048
	v_perm_b32 v53, v43, v42, s5
	ds_read_b128 v[42:45], v50 offset:2064
	s_waitcnt lgkmcnt(0)
	v_mfma_f32_16x16x16_bf16 v[46:49], v[2:3], v[6:7], v[46:49]
	v_perm_b32 v2, v59, v58, s5
	v_perm_b32 v3, v61, v60, s5
	v_cvt_pk_f32_fp8_e32 v[58:59], v5
	v_mfma_f32_16x16x16_bf16 v[46:49], v[52:53], v[8:9], v[46:49]
	v_cvt_pk_f32_fp8_sdwa v[52:53], v5 src0_sel:WORD_1
	s_waitcnt vmcnt(3)
	v_cvt_pk_f32_fp8_sdwa v[68:69], v32 src0_sel:WORD_1
	v_perm_b32 v58, v59, v58, s5
	v_mfma_f32_16x16x16_bf16 v[2:5], v[2:3], v[42:43], v[46:49]
	v_perm_b32 v59, v53, v52, s5
	s_mov_b32 s3, 0
	v_cmp_gt_u32_e32 vcc, 64, v0
	v_cvt_pk_f32_fp8_e32 v[46:47], v26
	v_mfma_f32_16x16x16_bf16 v[58:61], v[58:59], v[44:45], v[2:5]
	s_nop 2
	v_cvt_pk_f32_fp8_sdwa v[2:3], v26 src0_sel:WORD_1
	v_cvt_pk_f32_fp8_e32 v[4:5], v27
	v_perm_b32 v26, v47, v46, s5
	v_cvt_pk_f32_fp8_sdwa v[46:47], v27 src0_sel:WORD_1
	v_perm_b32 v27, v3, v2, s5
	v_perm_b32 v52, v5, v4, s5
	ds_read_b128 v[2:5], v50 offset:4096
	v_perm_b32 v53, v47, v46, s5
	ds_read_b128 v[46:49], v50 offset:4112
	s_waitcnt lgkmcnt(1)
	v_mfma_f32_16x16x16_bf16 v[58:61], v[26:27], v[2:3], v[58:61]
	v_perm_b32 v26, v63, v62, s5
	v_perm_b32 v27, v65, v64, s5
	v_cvt_pk_f32_fp8_e32 v[62:63], v29
	v_mfma_f32_16x16x16_bf16 v[58:61], v[52:53], v[4:5], v[58:61]
	v_cvt_pk_f32_fp8_sdwa v[52:53], v29 src0_sel:WORD_1
	v_cvt_pk_f32_fp8_e32 v[64:65], v24
	v_perm_b32 v62, v63, v62, s5
	s_waitcnt lgkmcnt(0)
	v_mfma_f32_16x16x16_bf16 v[26:29], v[26:27], v[46:47], v[58:61]
	v_perm_b32 v63, v53, v52, s5
	v_cvt_pk_f32_fp8_e32 v[52:53], v22
	s_nop 0
	v_mfma_f32_16x16x16_bf16 v[58:61], v[62:63], v[48:49], v[26:29]
	s_nop 2
	v_cvt_pk_f32_fp8_sdwa v[26:27], v22 src0_sel:WORD_1
	v_cvt_pk_f32_fp8_e32 v[28:29], v23
	v_perm_b32 v22, v53, v52, s5
	v_cvt_pk_f32_fp8_sdwa v[52:53], v23 src0_sel:WORD_1
	v_perm_b32 v23, v27, v26, s5
	v_perm_b32 v62, v29, v28, s5
	ds_read_b128 v[26:29], v50 offset:6144
	v_perm_b32 v63, v53, v52, s5
	s_waitcnt lgkmcnt(0)
	v_mfma_f32_16x16x16_bf16 v[58:61], v[22:23], v[26:27], v[58:61]
	ds_read_b128 v[50:53], v50 offset:6160
	v_perm_b32 v22, v65, v64, s5
	v_perm_b32 v23, v67, v66, s5
	v_cvt_pk_f32_fp8_e32 v[64:65], v25
	v_mfma_f32_16x16x16_bf16 v[58:61], v[62:63], v[28:29], v[58:61]
	v_cvt_pk_f32_fp8_sdwa v[62:63], v25 src0_sel:WORD_1
	v_cvt_pk_f32_fp8_e32 v[66:67], v32
	v_perm_b32 v64, v65, v64, s5
	s_waitcnt lgkmcnt(0)
	v_mfma_f32_16x16x16_bf16 v[22:25], v[22:23], v[50:51], v[58:61]
	v_perm_b32 v65, v63, v62, s5
	s_barrier
	s_nop 0
	v_mfma_f32_16x16x16_bf16 v[58:61], v[64:65], v[52:53], v[22:25]
	s_nop 2
	v_cvt_pk_f32_fp8_e32 v[24:25], v30
	v_perm_b32 v24, v25, v24, s5
	s_nop 1
	v_pk_mul_f32 v[22:23], v[60:61], s[4:5] op_sel_hi:[1,0]
	v_cvt_pk_f32_fp8_sdwa v[60:61], v30 src0_sel:WORD_1
	v_pk_mul_f32 v[62:63], v[58:59], s[4:5] op_sel_hi:[1,0]
	v_cvt_pk_f32_fp8_e32 v[58:59], v31
	v_cvt_pk_f32_fp8_sdwa v[30:31], v31 src0_sel:WORD_1
	v_perm_b32 v25, v61, v60, s5
	v_perm_b32 v64, v59, v58, s5
	;; [unrolled: 1-line block ×3, first 2 shown]
	v_mfma_f32_16x16x16_bf16 v[58:61], v[24:25], v[34:35], 0
	v_perm_b32 v24, v67, v66, s5
	v_perm_b32 v25, v69, v68, s5
	v_cvt_pk_f32_fp8_e32 v[34:35], v33
	v_cvt_pk_f32_fp8_sdwa v[66:67], v33 src0_sel:WORD_1
	v_mfma_f32_16x16x16_bf16 v[30:33], v[64:65], v[36:37], v[58:61]
	s_waitcnt vmcnt(2)
	v_cvt_pk_f32_fp8_sdwa v[36:37], v18 src0_sel:WORD_1
	v_perm_b32 v34, v35, v34, s5
	v_perm_b32 v35, v67, v66, s5
	v_mfma_f32_16x16x16_bf16 v[30:33], v[24:25], v[38:39], v[30:33]
	v_cvt_pk_f32_fp8_e32 v[24:25], v18
	v_cvt_pk_f32_fp8_sdwa v[38:39], v20 src0_sel:WORD_1
	v_bfe_u32 v58, v63, 16, 1
	v_mfma_f32_16x16x16_bf16 v[30:33], v[34:35], v[40:41], v[30:33]
	v_cvt_pk_f32_fp8_e32 v[34:35], v19
	v_perm_b32 v24, v25, v24, s5
	v_perm_b32 v25, v37, v36, s5
	v_cvt_pk_f32_fp8_sdwa v[18:19], v19 src0_sel:WORD_1
	v_perm_b32 v34, v35, v34, s5
	v_cvt_pk_f32_fp8_e32 v[36:37], v20
	v_mfma_f32_16x16x16_bf16 v[30:33], v[24:25], v[6:7], v[30:33]
	v_perm_b32 v35, v19, v18, s5
	v_perm_b32 v18, v37, v36, s5
	;; [unrolled: 1-line block ×3, first 2 shown]
	v_cvt_pk_f32_fp8_e32 v[24:25], v21
	v_cvt_pk_f32_fp8_sdwa v[20:21], v21 src0_sel:WORD_1
	v_mfma_f32_16x16x16_bf16 v[6:9], v[34:35], v[8:9], v[30:33]
	v_bfe_u32 v59, v62, 16, 1
	v_perm_b32 v24, v25, v24, s5
	v_perm_b32 v25, v21, v20, s5
	v_mfma_f32_16x16x16_bf16 v[6:9], v[18:19], v[42:43], v[6:9]
	s_waitcnt vmcnt(1)
	v_cvt_pk_f32_fp8_e32 v[18:19], v14
	v_cvt_pk_f32_fp8_sdwa v[20:21], v14 src0_sel:WORD_1
	v_cvt_pk_f32_fp8_sdwa v[30:31], v16 src0_sel:WORD_1
	v_mfma_f32_16x16x16_bf16 v[6:9], v[24:25], v[44:45], v[6:9]
	v_cvt_pk_f32_fp8_e32 v[24:25], v15
	v_perm_b32 v18, v19, v18, s5
	v_perm_b32 v19, v21, v20, s5
	v_cvt_pk_f32_fp8_sdwa v[14:15], v15 src0_sel:WORD_1
	v_perm_b32 v20, v25, v24, s5
	v_cvt_pk_f32_fp8_e32 v[24:25], v16
	v_mfma_f32_16x16x16_bf16 v[6:9], v[18:19], v[2:3], v[6:9]
	v_perm_b32 v21, v15, v14, s5
	v_perm_b32 v14, v25, v24, s5
	;; [unrolled: 1-line block ×3, first 2 shown]
	v_cvt_pk_f32_fp8_e32 v[18:19], v17
	v_cvt_pk_f32_fp8_sdwa v[16:17], v17 src0_sel:WORD_1
	v_mfma_f32_16x16x16_bf16 v[2:5], v[20:21], v[4:5], v[6:9]
	v_add3_u32 v32, v62, v59, s8
	v_add3_u32 v33, v63, v58, s8
	s_nop 0
	v_perm_b32 v8, v19, v18, s5
	v_perm_b32 v9, v17, v16, s5
	v_mfma_f32_16x16x16_bf16 v[2:5], v[14:15], v[46:47], v[2:5]
	s_waitcnt vmcnt(0)
	v_cvt_pk_f32_fp8_e32 v[14:15], v10
	v_cvt_pk_f32_fp8_sdwa v[16:17], v10 src0_sel:WORD_1
	v_cvt_pk_f32_fp8_sdwa v[18:19], v12 src0_sel:WORD_1
	v_mfma_f32_16x16x16_bf16 v[2:5], v[8:9], v[48:49], v[2:5]
	v_cvt_pk_f32_fp8_e32 v[8:9], v11
	v_perm_b32 v14, v15, v14, s5
	v_perm_b32 v15, v17, v16, s5
	v_cvt_pk_f32_fp8_sdwa v[10:11], v11 src0_sel:WORD_1
	v_perm_b32 v8, v9, v8, s5
	v_cvt_pk_f32_fp8_e32 v[16:17], v12
	v_mfma_f32_16x16x16_bf16 v[2:5], v[14:15], v[26:27], v[2:5]
	v_perm_b32 v9, v11, v10, s5
	v_perm_b32 v10, v17, v16, s5
	;; [unrolled: 1-line block ×3, first 2 shown]
	v_cvt_pk_f32_fp8_e32 v[14:15], v13
	v_cvt_pk_f32_fp8_sdwa v[12:13], v13 src0_sel:WORD_1
	v_mfma_f32_16x16x16_bf16 v[2:5], v[8:9], v[28:29], v[2:5]
	v_bfe_u32 v7, v23, 16, 1
	v_perm_b32 v8, v15, v14, s5
	v_perm_b32 v9, v13, v12, s5
	v_mfma_f32_16x16x16_bf16 v[2:5], v[10:11], v[50:51], v[2:5]
	v_bfe_u32 v16, v22, 16, 1
	v_add3_u32 v10, v22, v16, s8
	v_add3_u32 v7, v23, v7, s8
	v_mfma_f32_16x16x16_bf16 v[2:5], v[8:9], v[52:53], v[2:5]
	v_perm_b32 v6, v33, v32, s5
	v_perm_b32 v7, v7, v10, s5
	s_nop 4
	v_pk_mul_f32 v[2:3], v[2:3], s[4:5] op_sel_hi:[1,0]
	v_pk_mul_f32 v[4:5], v[4:5], s[4:5] op_sel_hi:[1,0]
	v_bfe_u32 v8, v3, 16, 1
	v_bfe_u32 v9, v2, 16, 1
	v_add3_u32 v2, v2, v9, s8
	v_add3_u32 v3, v3, v8, s8
	v_perm_b32 v2, v3, v2, s5
	v_bfe_u32 v3, v5, 16, 1
	v_bfe_u32 v8, v4, 16, 1
	v_add3_u32 v4, v4, v8, s8
	v_add3_u32 v3, v5, v3, s8
	v_perm_b32 v3, v3, v4, s5
	ds_write2st64_b64 v55, v[6:7], v[2:3] offset1:1
	s_waitcnt lgkmcnt(0)
	s_barrier
	s_and_saveexec_b64 s[4:5], vcc
	s_cbranch_execz .LBB1375_19
; %bb.18:
	s_load_dwordx2 s[0:1], s[0:1], 0x68
	s_lshl_b32 s6, s6, 7
	s_mul_i32 s2, s7, s2
	s_mul_hi_u32 s5, s2, s6
	s_mul_i32 s4, s2, s6
	v_lshlrev_b32_e32 v4, 6, v56
	s_lshl_b64 s[4:5], s[4:5], 1
	v_lshl_or_b32 v0, v0, 10, v4
	s_waitcnt lgkmcnt(0)
	s_add_u32 s4, s0, s4
	v_lshlrev_b32_e32 v2, 5, v1
	v_and_b32_e32 v3, 16, v57
	v_and_b32_e32 v0, 0x1a00, v0
	s_addc_u32 s5, s1, s5
	s_lshl_b32 s2, s10, 7
	v_or3_b32 v0, v0, v2, v3
	s_lshl_b64 s[0:1], s[2:3], 1
	ds_read_b128 v[2:5], v0
	ds_read_b128 v[6:9], v0 offset:128
	s_add_u32 s0, s4, s0
	s_addc_u32 s1, s5, s1
	v_mov_b32_e32 v55, 0
	v_or_b32_e32 v12, s11, v1
	v_lshl_add_u64 v[10:11], s[0:1], 0, v[54:55]
	v_mad_u64_u32 v[0:1], s[0:1], v12, s6, 0
	v_lshl_add_u64 v[0:1], v[0:1], 1, v[10:11]
	s_waitcnt lgkmcnt(1)
	global_store_dwordx4 v[0:1], v[2:5], off
	v_or_b32_e32 v0, 4, v12
	v_mad_u64_u32 v[0:1], s[0:1], v0, s6, 0
	v_lshl_add_u64 v[0:1], v[0:1], 1, v[10:11]
	s_waitcnt lgkmcnt(0)
	global_store_dwordx4 v[0:1], v[6:9], off
.LBB1375_19:
	s_endpgm
	.section	.rodata,"a",@progbits
	.p2align	6, 0x0
	.amdhsa_kernel _Z39paged_attention_ll4mi_QKV_mfma16_kernelI14__hip_bfloat16hLN4vllm18Fp8KVCacheDataTypeE1ES0_Li32ELi128ELi256ELb1ELi8EEvPKT_PKT0_S8_ifPKiSA_SA_iPKfiiiPfSD_PS3_PT2_iSC_SC_
		.amdhsa_group_segment_fixed_size 8192
		.amdhsa_private_segment_fixed_size 0
		.amdhsa_kernarg_size 400
		.amdhsa_user_sgpr_count 2
		.amdhsa_user_sgpr_dispatch_ptr 0
		.amdhsa_user_sgpr_queue_ptr 0
		.amdhsa_user_sgpr_kernarg_segment_ptr 1
		.amdhsa_user_sgpr_dispatch_id 0
		.amdhsa_user_sgpr_kernarg_preload_length 0
		.amdhsa_user_sgpr_kernarg_preload_offset 0
		.amdhsa_user_sgpr_private_segment_size 0
		.amdhsa_uses_dynamic_stack 0
		.amdhsa_enable_private_segment 0
		.amdhsa_system_sgpr_workgroup_id_x 1
		.amdhsa_system_sgpr_workgroup_id_y 1
		.amdhsa_system_sgpr_workgroup_id_z 1
		.amdhsa_system_sgpr_workgroup_info 0
		.amdhsa_system_vgpr_workitem_id 0
		.amdhsa_next_free_vgpr 78
		.amdhsa_next_free_sgpr 48
		.amdhsa_accum_offset 80
		.amdhsa_reserve_vcc 1
		.amdhsa_float_round_mode_32 0
		.amdhsa_float_round_mode_16_64 0
		.amdhsa_float_denorm_mode_32 3
		.amdhsa_float_denorm_mode_16_64 3
		.amdhsa_dx10_clamp 1
		.amdhsa_ieee_mode 1
		.amdhsa_fp16_overflow 0
		.amdhsa_tg_split 0
		.amdhsa_exception_fp_ieee_invalid_op 0
		.amdhsa_exception_fp_denorm_src 0
		.amdhsa_exception_fp_ieee_div_zero 0
		.amdhsa_exception_fp_ieee_overflow 0
		.amdhsa_exception_fp_ieee_underflow 0
		.amdhsa_exception_fp_ieee_inexact 0
		.amdhsa_exception_int_div_zero 0
	.end_amdhsa_kernel
	.section	.text._Z39paged_attention_ll4mi_QKV_mfma16_kernelI14__hip_bfloat16hLN4vllm18Fp8KVCacheDataTypeE1ES0_Li32ELi128ELi256ELb1ELi8EEvPKT_PKT0_S8_ifPKiSA_SA_iPKfiiiPfSD_PS3_PT2_iSC_SC_,"axG",@progbits,_Z39paged_attention_ll4mi_QKV_mfma16_kernelI14__hip_bfloat16hLN4vllm18Fp8KVCacheDataTypeE1ES0_Li32ELi128ELi256ELb1ELi8EEvPKT_PKT0_S8_ifPKiSA_SA_iPKfiiiPfSD_PS3_PT2_iSC_SC_,comdat
.Lfunc_end1375:
	.size	_Z39paged_attention_ll4mi_QKV_mfma16_kernelI14__hip_bfloat16hLN4vllm18Fp8KVCacheDataTypeE1ES0_Li32ELi128ELi256ELb1ELi8EEvPKT_PKT0_S8_ifPKiSA_SA_iPKfiiiPfSD_PS3_PT2_iSC_SC_, .Lfunc_end1375-_Z39paged_attention_ll4mi_QKV_mfma16_kernelI14__hip_bfloat16hLN4vllm18Fp8KVCacheDataTypeE1ES0_Li32ELi128ELi256ELb1ELi8EEvPKT_PKT0_S8_ifPKiSA_SA_iPKfiiiPfSD_PS3_PT2_iSC_SC_
                                        ; -- End function
	.section	.AMDGPU.csdata,"",@progbits
; Kernel info:
; codeLenInByte = 6628
; NumSgprs: 54
; NumVgprs: 78
; NumAgprs: 0
; TotalNumVgprs: 78
; ScratchSize: 0
; MemoryBound: 0
; FloatMode: 240
; IeeeMode: 1
; LDSByteSize: 8192 bytes/workgroup (compile time only)
; SGPRBlocks: 6
; VGPRBlocks: 9
; NumSGPRsForWavesPerEU: 54
; NumVGPRsForWavesPerEU: 78
; AccumOffset: 80
; Occupancy: 6
; WaveLimiterHint : 1
; COMPUTE_PGM_RSRC2:SCRATCH_EN: 0
; COMPUTE_PGM_RSRC2:USER_SGPR: 2
; COMPUTE_PGM_RSRC2:TRAP_HANDLER: 0
; COMPUTE_PGM_RSRC2:TGID_X_EN: 1
; COMPUTE_PGM_RSRC2:TGID_Y_EN: 1
; COMPUTE_PGM_RSRC2:TGID_Z_EN: 1
; COMPUTE_PGM_RSRC2:TIDIG_COMP_CNT: 0
; COMPUTE_PGM_RSRC3_GFX90A:ACCUM_OFFSET: 19
; COMPUTE_PGM_RSRC3_GFX90A:TG_SPLIT: 0
	.section	.text._Z39paged_attention_ll4mi_QKV_mfma16_kernelI14__hip_bfloat16hLN4vllm18Fp8KVCacheDataTypeE1ES0_Li32ELi128ELi256ELb1ELi9EEvPKT_PKT0_S8_ifPKiSA_SA_iPKfiiiPfSD_PS3_PT2_iSC_SC_,"axG",@progbits,_Z39paged_attention_ll4mi_QKV_mfma16_kernelI14__hip_bfloat16hLN4vllm18Fp8KVCacheDataTypeE1ES0_Li32ELi128ELi256ELb1ELi9EEvPKT_PKT0_S8_ifPKiSA_SA_iPKfiiiPfSD_PS3_PT2_iSC_SC_,comdat
	.protected	_Z39paged_attention_ll4mi_QKV_mfma16_kernelI14__hip_bfloat16hLN4vllm18Fp8KVCacheDataTypeE1ES0_Li32ELi128ELi256ELb1ELi9EEvPKT_PKT0_S8_ifPKiSA_SA_iPKfiiiPfSD_PS3_PT2_iSC_SC_ ; -- Begin function _Z39paged_attention_ll4mi_QKV_mfma16_kernelI14__hip_bfloat16hLN4vllm18Fp8KVCacheDataTypeE1ES0_Li32ELi128ELi256ELb1ELi9EEvPKT_PKT0_S8_ifPKiSA_SA_iPKfiiiPfSD_PS3_PT2_iSC_SC_
	.globl	_Z39paged_attention_ll4mi_QKV_mfma16_kernelI14__hip_bfloat16hLN4vllm18Fp8KVCacheDataTypeE1ES0_Li32ELi128ELi256ELb1ELi9EEvPKT_PKT0_S8_ifPKiSA_SA_iPKfiiiPfSD_PS3_PT2_iSC_SC_
	.p2align	8
	.type	_Z39paged_attention_ll4mi_QKV_mfma16_kernelI14__hip_bfloat16hLN4vllm18Fp8KVCacheDataTypeE1ES0_Li32ELi128ELi256ELb1ELi9EEvPKT_PKT0_S8_ifPKiSA_SA_iPKfiiiPfSD_PS3_PT2_iSC_SC_,@function
_Z39paged_attention_ll4mi_QKV_mfma16_kernelI14__hip_bfloat16hLN4vllm18Fp8KVCacheDataTypeE1ES0_Li32ELi128ELi256ELb1ELi9EEvPKT_PKT0_S8_ifPKiSA_SA_iPKfiiiPfSD_PS3_PT2_iSC_SC_: ; @_Z39paged_attention_ll4mi_QKV_mfma16_kernelI14__hip_bfloat16hLN4vllm18Fp8KVCacheDataTypeE1ES0_Li32ELi128ELi256ELb1ELi9EEvPKT_PKT0_S8_ifPKiSA_SA_iPKfiiiPfSD_PS3_PT2_iSC_SC_
; %bb.0:
	s_load_dwordx2 s[10:11], s[0:1], 0x30
	s_mov_b32 s6, s3
	s_mov_b64 s[8:9], 0
	s_waitcnt lgkmcnt(0)
	s_cmp_lg_u64 s[10:11], 0
	s_cselect_b64 s[12:13], -1, 0
	s_and_b64 vcc, exec, s[12:13]
	s_cbranch_vccz .LBB1376_7
; %bb.1:
	s_add_i32 s14, s2, 1
	s_mov_b32 s15, 0
	s_lshl_b64 s[16:17], s[14:15], 2
	s_add_u32 s16, s10, s16
	s_mov_b32 s3, s15
	s_addc_u32 s17, s11, s17
	s_lshl_b64 s[14:15], s[2:3], 2
	s_add_u32 s14, s10, s14
	s_addc_u32 s15, s11, s15
	s_load_dword s5, s[16:17], 0x0
	s_load_dword s7, s[14:15], 0x0
	s_waitcnt lgkmcnt(0)
	s_sub_i32 s5, s5, s7
	s_cmp_eq_u32 s5, 1
	s_cselect_b64 s[14:15], -1, 0
	s_andn2_b64 vcc, exec, s[8:9]
	s_cbranch_vccnz .LBB1376_3
.LBB1376_2:
	s_mov_b32 s3, 0
	s_mov_b64 s[14:15], -1
.LBB1376_3:
	s_andn2_b64 vcc, exec, s[14:15]
	s_cbranch_vccnz .LBB1376_20
; %bb.4:
	s_load_dwordx2 s[8:9], s[0:1], 0x28
	s_lshl_b64 s[14:15], s[2:3], 2
	s_waitcnt lgkmcnt(0)
	s_add_u32 s8, s8, s14
	s_addc_u32 s9, s9, s15
	s_load_dword s7, s[8:9], 0x0
	s_lshl_b32 s18, s6, 8
	s_waitcnt lgkmcnt(0)
	s_cmp_ge_i32 s18, s7
	s_cbranch_scc1 .LBB1376_20
; %bb.5:
	s_load_dwordx2 s[8:9], s[0:1], 0x20
	s_load_dword s5, s[0:1], 0x38
	s_add_i32 s16, s7, 31
	s_ashr_i32 s17, s16, 31
	v_and_b32_e32 v1, 0xcf, v0
	s_lshr_b32 s17, s17, 27
	v_add_u32_e32 v1, s18, v1
	s_add_i32 s16, s16, s17
	v_ashrrev_i32_e32 v2, 31, v1
	s_ashr_i32 s19, s16, 5
	v_lshrrev_b32_e32 v4, 27, v2
	s_add_i32 s19, s19, -1
	s_waitcnt lgkmcnt(0)
	s_mul_i32 s16, s2, s5
	s_mov_b32 s17, 0
	v_add_u32_e32 v2, v1, v4
	s_lshl_b64 s[16:17], s[16:17], 2
	v_ashrrev_i32_e32 v2, 5, v2
	v_mov_b32_e32 v5, s19
	v_cmp_gt_i32_e32 vcc, s7, v1
	s_add_u32 s8, s8, s16
	s_addc_u32 s9, s9, s17
	v_cndmask_b32_e32 v2, v5, v2, vcc
	v_ashrrev_i32_e32 v3, 31, v2
	v_lshl_add_u64 v[6:7], v[2:3], 2, s[8:9]
	v_or_b32_e32 v2, 16, v1
	v_add_u32_e32 v3, v2, v4
	v_ashrrev_i32_e32 v3, 5, v3
	v_cmp_gt_i32_e32 vcc, s7, v2
	s_load_dwordx2 s[16:17], s[0:1], 0x8
	s_nop 0
	v_cndmask_b32_e32 v2, v5, v3, vcc
	v_ashrrev_i32_e32 v3, 31, v2
	v_lshl_add_u64 v[8:9], v[2:3], 2, s[8:9]
	v_or_b32_e32 v2, 32, v1
	v_add_u32_e32 v3, v2, v4
	v_ashrrev_i32_e32 v3, 5, v3
	v_cmp_gt_i32_e32 vcc, s7, v2
	v_or_b32_e32 v1, 48, v1
	s_nop 0
	v_cndmask_b32_e32 v2, v5, v3, vcc
	v_ashrrev_i32_e32 v3, 31, v2
	v_lshl_add_u64 v[12:13], v[2:3], 2, s[8:9]
	v_add_u32_e32 v2, v1, v4
	v_ashrrev_i32_e32 v2, 5, v2
	v_cmp_gt_i32_e32 vcc, s7, v1
	s_nop 1
	v_cndmask_b32_e32 v2, v5, v2, vcc
	v_ashrrev_i32_e32 v3, 31, v2
	v_lshl_add_u64 v[14:15], v[2:3], 2, s[8:9]
	global_load_dword v4, v[6:7], off
	global_load_dword v3, v[8:9], off
	;; [unrolled: 1-line block ×4, first 2 shown]
	s_andn2_b64 vcc, exec, s[12:13]
	s_cbranch_vccnz .LBB1376_8
; %bb.6:
	s_add_u32 s10, s10, s14
	s_addc_u32 s11, s11, s15
	s_load_dword s5, s[10:11], 0x0
	s_branch .LBB1376_9
.LBB1376_7:
	s_mov_b64 s[14:15], 0
	s_branch .LBB1376_2
.LBB1376_8:
	s_mov_b32 s5, s2
.LBB1376_9:
	s_load_dwordx2 s[10:11], s[0:1], 0x10
	s_load_dwordx4 s[44:47], s[0:1], 0x48
	v_lshrrev_b32_e32 v57, 6, v0
	v_bfe_u32 v62, v0, 4, 2
	v_and_b32_e32 v56, 15, v0
	v_lshl_or_b32 v5, v57, 2, v62
	v_lshlrev_b32_e32 v1, 3, v56
	s_mul_i32 s48, s4, 9
	v_cmp_gt_u32_e32 vcc, 9, v5
	v_lshlrev_b32_e32 v54, 1, v1
	v_lshlrev_b32_e32 v1, 4, v0
	s_and_saveexec_b64 s[12:13], vcc
	s_cbranch_execz .LBB1376_11
; %bb.10:
	s_load_dwordx2 s[14:15], s[0:1], 0x0
	s_waitcnt lgkmcnt(0)
	s_ashr_i32 s20, s44, 31
	s_mul_hi_u32 s21, s5, s44
	s_mul_i32 s20, s5, s20
	s_add_i32 s21, s21, s20
	s_mul_i32 s20, s5, s44
	s_lshl_b64 s[20:21], s[20:21], 1
	s_add_u32 s14, s14, s20
	v_add_lshl_u32 v6, v5, s48, 7
	s_addc_u32 s15, s15, s21
	v_ashrrev_i32_e32 v7, 31, v6
	v_lshl_add_u64 v[6:7], v[6:7], 1, s[14:15]
	v_mov_b32_e32 v55, 0
	v_lshl_add_u64 v[6:7], v[6:7], 0, v[54:55]
	global_load_dwordx4 v[6:9], v[6:7], off
	v_lshlrev_b32_e32 v12, 8, v0
	v_lshlrev_b32_e32 v11, 8, v56
	v_and_b32_e32 v12, 0x600, v12
	s_movk_i32 s5, 0x800
	v_and_or_b32 v11, v11, s5, v12
	v_lshlrev_b32_e32 v5, 5, v5
	v_and_b32_e32 v12, 16, v1
	v_or3_b32 v5, v11, v5, v12
	s_waitcnt vmcnt(0)
	ds_write_b128 v5, v[6:9]
.LBB1376_11:
	s_or_b64 exec, exec, s[12:13]
	s_waitcnt lgkmcnt(0)
	s_mul_i32 s12, s4, s46
	s_add_u32 s4, s16, s12
	s_addc_u32 s5, s17, 0
	v_mov_b32_e32 v59, 0
	v_mov_b64_e32 v[12:13], s[4:5]
	v_and_b32_e32 v34, 48, v0
	s_waitcnt vmcnt(3)
	v_mad_i64_i32 v[4:5], s[4:5], v4, s45, v[12:13]
	v_lshlrev_b32_e32 v14, 4, v56
	v_mov_b32_e32 v15, v59
	v_lshlrev_b32_e32 v58, 5, v34
	v_lshl_add_u64 v[4:5], v[4:5], 0, v[14:15]
	v_lshl_add_u64 v[4:5], v[4:5], 0, v[58:59]
	s_barrier
	global_load_dwordx4 v[50:53], v[4:5], off
	global_load_dwordx4 v[46:49], v[4:5], off offset:2048
	s_waitcnt vmcnt(4)
	v_mad_i64_i32 v[4:5], s[4:5], v3, s45, v[12:13]
	v_or_b32_e32 v16, 0x100, v14
	v_mov_b32_e32 v17, v59
	s_waitcnt vmcnt(3)
	v_mad_i64_i32 v[2:3], s[4:5], v2, s45, v[12:13]
	v_lshl_add_u64 v[4:5], v[4:5], 0, v[16:17]
	v_lshl_add_u64 v[2:3], v[2:3], 0, v[14:15]
	s_waitcnt vmcnt(2)
	v_mad_i64_i32 v[10:11], s[4:5], v10, s45, v[12:13]
	v_lshl_add_u64 v[4:5], v[4:5], 0, v[58:59]
	v_lshl_add_u64 v[14:15], v[2:3], 0, v[58:59]
	;; [unrolled: 1-line block ×3, first 2 shown]
	global_load_dwordx4 v[36:39], v[4:5], off
	global_load_dwordx4 v[6:9], v[4:5], off offset:2048
	s_nop 0
	global_load_dwordx4 v[2:5], v[14:15], off
	global_load_dwordx4 v[42:45], v[14:15], off offset:2048
	v_lshl_add_u64 v[14:15], v[10:11], 0, v[58:59]
	global_load_dwordx4 v[26:29], v[14:15], off
	global_load_dwordx4 v[10:13], v[14:15], off offset:2048
	v_add_u32_e32 v14, -9, v56
	v_cmp_gt_u32_e32 vcc, 9, v56
	v_and_b32_e32 v55, 63, v0
	v_mov_b32_e32 v63, 0
	v_cndmask_b32_e32 v14, v14, v56, vcc
	v_lshlrev_b32_e32 v14, 5, v14
	v_lshl_add_u32 v14, v62, 9, v14
	ds_read_b128 v[30:33], v14
	ds_read_b128 v[22:25], v14 offset:16
	ds_read_b128 v[18:21], v14 offset:2048
	;; [unrolled: 1-line block ×3, first 2 shown]
	s_and_saveexec_b64 s[4:5], vcc
	s_cbranch_execz .LBB1376_13
; %bb.12:
	s_load_dwordx2 s[14:15], s[0:1], 0x40
	v_add_u32_e32 v40, s48, v56
	v_ashrrev_i32_e32 v41, 31, v40
	s_waitcnt lgkmcnt(0)
	v_lshl_add_u64 v[40:41], v[40:41], 2, s[14:15]
	global_load_dword v63, v[40:41], off
.LBB1376_13:
	s_or_b64 exec, exec, s[4:5]
	s_ashr_i32 s4, s18, 31
	v_or_b32_e32 v58, s18, v34
	s_lshr_b32 s4, s4, 27
	v_add_u32_e32 v34, s4, v58
	v_or_b32_e32 v40, 64, v58
	v_ashrrev_i32_e32 v34, 5, v34
	v_mov_b32_e32 v64, s19
	v_cmp_gt_i32_e32 vcc, s7, v58
	v_add_u32_e32 v41, s4, v40
	v_or_b32_e32 v60, 0x80, v58
	v_cndmask_b32_e32 v34, v64, v34, vcc
	v_ashrrev_i32_e32 v41, 5, v41
	v_cmp_gt_i32_e32 vcc, s7, v40
	v_add_u32_e32 v61, s4, v60
	v_or_b32_e32 v58, 0xc0, v58
	v_cndmask_b32_e32 v40, v64, v41, vcc
	v_ashrrev_i32_e32 v61, 5, v61
	v_cmp_gt_i32_e32 vcc, s7, v60
	v_add_u32_e32 v65, s4, v58
	v_ashrrev_i32_e32 v65, 5, v65
	v_cndmask_b32_e32 v60, v64, v61, vcc
	v_cmp_gt_i32_e32 vcc, s7, v58
	s_waitcnt vmcnt(7)
	v_cvt_pk_f32_fp8_sdwa v[66:67], v50 src0_sel:WORD_1
	s_mov_b32 s33, 0x7060302
	v_cndmask_b32_e32 v68, v64, v65, vcc
	v_cvt_pk_f32_fp8_e32 v[64:65], v50
	v_cvt_pk_f32_fp8_e32 v[70:71], v51
	v_cvt_pk_f32_fp8_sdwa v[50:51], v51 src0_sel:WORD_1
	v_cvt_pk_f32_fp8_e32 v[72:73], v52
	v_perm_b32 v64, v65, v64, s33
	v_perm_b32 v65, v67, v66, s33
	;; [unrolled: 1-line block ×3, first 2 shown]
	v_cvt_pk_f32_fp8_sdwa v[74:75], v52 src0_sel:WORD_1
	v_perm_b32 v71, v51, v50, s33
	s_waitcnt lgkmcnt(3)
	v_mfma_f32_16x16x16_bf16 v[64:67], v[64:65], v[30:31], 0
	v_perm_b32 v72, v73, v72, s33
	v_perm_b32 v73, v75, v74, s33
	v_cvt_pk_f32_fp8_e32 v[74:75], v53
	v_cvt_pk_f32_fp8_sdwa v[76:77], v53 src0_sel:WORD_1
	v_mfma_f32_16x16x16_bf16 v[50:53], v[70:71], v[32:33], v[64:67]
	v_ashrrev_i32_e32 v35, 31, v34
	v_lshl_add_u64 v[34:35], v[34:35], 2, s[8:9]
	v_ashrrev_i32_e32 v41, 31, v40
	v_perm_b32 v64, v75, v74, s33
	v_perm_b32 v65, v77, v76, s33
	s_waitcnt lgkmcnt(2)
	v_mfma_f32_16x16x16_bf16 v[50:53], v[72:73], v[22:23], v[50:53]
	s_waitcnt vmcnt(6)
	v_cvt_pk_f32_fp8_e32 v[66:67], v46
	v_ashrrev_i32_e32 v61, 31, v60
	v_ashrrev_i32_e32 v69, 31, v68
	v_lshl_add_u64 v[40:41], v[40:41], 2, s[8:9]
	v_lshl_add_u64 v[60:61], v[60:61], 2, s[8:9]
	;; [unrolled: 1-line block ×3, first 2 shown]
	v_mfma_f32_16x16x16_bf16 v[50:53], v[64:65], v[24:25], v[50:53]
	v_perm_b32 v74, v67, v66, s33
	global_load_dword v68, v[34:35], off
	global_load_dword v66, v[40:41], off
	;; [unrolled: 1-line block ×4, first 2 shown]
	v_cvt_pk_f32_fp8_sdwa v[70:71], v46 src0_sel:WORD_1
	v_cvt_pk_f32_fp8_e32 v[40:41], v48
	s_waitcnt vmcnt(9)
	v_cvt_pk_f32_fp8_e32 v[60:61], v36
	s_add_u32 s4, s10, s12
	v_perm_b32 v75, v71, v70, s33
	v_cvt_pk_f32_fp8_e32 v[70:71], v47
	v_cvt_pk_f32_fp8_sdwa v[46:47], v47 src0_sel:WORD_1
	s_waitcnt lgkmcnt(1)
	v_mfma_f32_16x16x16_bf16 v[50:53], v[74:75], v[18:19], v[50:53]
	v_perm_b32 v34, v71, v70, s33
	v_perm_b32 v35, v47, v46, s33
	v_cvt_pk_f32_fp8_sdwa v[46:47], v48 src0_sel:WORD_1
	v_perm_b32 v40, v41, v40, s33
	v_mfma_f32_16x16x16_bf16 v[50:53], v[34:35], v[20:21], v[50:53]
	v_perm_b32 v41, v47, v46, s33
	v_cvt_pk_f32_fp8_e32 v[34:35], v49
	v_cvt_pk_f32_fp8_sdwa v[46:47], v49 src0_sel:WORD_1
	v_cvt_pk_f32_fp8_sdwa v[70:71], v36 src0_sel:WORD_1
	s_addc_u32 s5, s11, 0
	v_perm_b32 v34, v35, v34, s33
	v_perm_b32 v35, v47, v46, s33
	s_waitcnt lgkmcnt(0)
	v_mfma_f32_16x16x16_bf16 v[46:49], v[40:41], v[14:15], v[50:53]
	v_perm_b32 v40, v61, v60, s33
	v_perm_b32 v41, v71, v70, s33
	s_waitcnt vmcnt(8)
	v_cvt_pk_f32_fp8_sdwa v[60:61], v6 src0_sel:WORD_1
	v_cvt_pk_f32_fp8_e32 v[50:51], v37
	v_cvt_pk_f32_fp8_sdwa v[52:53], v37 src0_sel:WORD_1
	v_mfma_f32_16x16x16_bf16 v[34:37], v[34:35], v[16:17], v[46:49]
	v_and_b32_e32 v58, 16, v0
	v_perm_b32 v50, v51, v50, s33
	v_perm_b32 v51, v53, v52, s33
	v_mfma_f32_16x16x16_bf16 v[46:49], v[40:41], v[30:31], 0
	v_cvt_pk_f32_fp8_e32 v[40:41], v38
	v_cvt_pk_f32_fp8_sdwa v[52:53], v38 src0_sel:WORD_1
	v_lshl_or_b32 v64, v57, 4, v56
	v_mfma_f32_16x16x16_bf16 v[46:49], v[50:51], v[32:33], v[46:49]
	v_cvt_pk_f32_fp8_e32 v[50:51], v39
	v_perm_b32 v40, v41, v40, s33
	v_perm_b32 v41, v53, v52, s33
	v_cvt_pk_f32_fp8_sdwa v[38:39], v39 src0_sel:WORD_1
	v_perm_b32 v50, v51, v50, s33
	v_cvt_pk_f32_fp8_e32 v[52:53], v6
	s_waitcnt vmcnt(6)
	v_cvt_pk_f32_fp8_e32 v[74:75], v43
	v_perm_b32 v51, v39, v38, s33
	v_mfma_f32_16x16x16_bf16 v[38:41], v[40:41], v[22:23], v[46:49]
	s_nop 2
	v_perm_b32 v48, v53, v52, s33
	v_perm_b32 v49, v61, v60, s33
	v_cvt_pk_f32_fp8_e32 v[52:53], v7
	v_cvt_pk_f32_fp8_sdwa v[6:7], v7 src0_sel:WORD_1
	v_mfma_f32_16x16x16_bf16 v[38:41], v[50:51], v[24:25], v[38:41]
	v_lshl_add_u64 v[46:47], s[4:5], 0, v[58:59]
	v_perm_b32 v50, v53, v52, s33
	v_perm_b32 v51, v7, v6, s33
	v_mfma_f32_16x16x16_bf16 v[38:41], v[48:49], v[18:19], v[38:41]
	v_cvt_pk_f32_fp8_e32 v[6:7], v8
	v_cvt_pk_f32_fp8_sdwa v[48:49], v8 src0_sel:WORD_1
	v_cvt_pk_f32_fp8_sdwa v[52:53], v2 src0_sel:WORD_1
	v_mfma_f32_16x16x16_bf16 v[38:41], v[50:51], v[20:21], v[38:41]
	v_cvt_pk_f32_fp8_e32 v[50:51], v9
	v_perm_b32 v6, v7, v6, s33
	v_perm_b32 v7, v49, v48, s33
	v_cvt_pk_f32_fp8_sdwa v[8:9], v9 src0_sel:WORD_1
	v_perm_b32 v48, v51, v50, s33
	v_cvt_pk_f32_fp8_e32 v[50:51], v2
	v_lshlrev_b32_e32 v58, 5, v64
	v_perm_b32 v49, v9, v8, s33
	v_mfma_f32_16x16x16_bf16 v[6:9], v[6:7], v[14:15], v[38:41]
	v_perm_b32 v50, v51, v50, s33
	v_perm_b32 v51, v53, v52, s33
	v_cvt_pk_f32_fp8_e32 v[52:53], v3
	v_cvt_pk_f32_fp8_sdwa v[2:3], v3 src0_sel:WORD_1
	v_mfma_f32_16x16x16_bf16 v[38:41], v[48:49], v[16:17], v[6:9]
	v_lshl_add_u64 v[48:49], v[46:47], 0, v[58:59]
	v_perm_b32 v52, v53, v52, s33
	v_perm_b32 v53, v3, v2, s33
	v_mfma_f32_16x16x16_bf16 v[6:9], v[50:51], v[30:31], 0
	v_cvt_pk_f32_fp8_e32 v[2:3], v4
	v_cvt_pk_f32_fp8_sdwa v[50:51], v4 src0_sel:WORD_1
	s_waitcnt vmcnt(3)
	v_mad_i64_i32 v[60:61], s[4:5], v68, s45, v[48:49]
	v_perm_b32 v2, v3, v2, s33
	v_perm_b32 v3, v51, v50, s33
	v_mfma_f32_16x16x16_bf16 v[6:9], v[52:53], v[32:33], v[6:9]
	v_cvt_pk_f32_fp8_e32 v[50:51], v5
	v_cvt_pk_f32_fp8_sdwa v[4:5], v5 src0_sel:WORD_1
	s_waitcnt vmcnt(2)
	v_mad_i64_i32 v[70:71], s[4:5], v66, s45, v[48:49]
	v_perm_b32 v50, v51, v50, s33
	v_perm_b32 v51, v5, v4, s33
	v_mfma_f32_16x16x16_bf16 v[2:5], v[2:3], v[22:23], v[6:9]
	v_or_b32_e32 v58, 0x800, v58
	s_nop 1
	v_cvt_pk_f32_fp8_e32 v[6:7], v42
	v_cvt_pk_f32_fp8_sdwa v[8:9], v42 src0_sel:WORD_1
	v_cvt_pk_f32_fp8_sdwa v[42:43], v43 src0_sel:WORD_1
	v_mfma_f32_16x16x16_bf16 v[50:53], v[50:51], v[24:25], v[2:5]
	v_perm_b32 v72, v7, v6, s33
	v_perm_b32 v73, v9, v8, s33
	global_load_dwordx4 v[6:9], v[60:61], off
	global_load_dwordx4 v[2:5], v[70:71], off
	v_perm_b32 v60, v75, v74, s33
	v_perm_b32 v61, v43, v42, s33
	v_mfma_f32_16x16x16_bf16 v[70:73], v[72:73], v[18:19], v[50:53]
	v_cvt_pk_f32_fp8_e32 v[42:43], v44
	v_perm_b32 v42, v43, v42, s33
	s_nop 0
	v_cvt_pk_f32_fp8_sdwa v[52:53], v44 src0_sel:WORD_1
	v_mfma_f32_16x16x16_bf16 v[70:73], v[60:61], v[20:21], v[70:73]
	v_cvt_pk_f32_fp8_e32 v[60:61], v45
	s_waitcnt vmcnt(3)
	v_mad_i64_i32 v[50:51], s[4:5], v67, s45, v[48:49]
	s_load_dword s4, s[0:1], 0x1c
	s_load_dwordx4 s[40:43], s[0:1], 0x80
	v_perm_b32 v43, v53, v52, s33
	v_perm_b32 v74, v61, v60, s33
	v_cvt_pk_f32_fp8_e32 v[52:53], v26
	v_cvt_pk_f32_fp8_sdwa v[60:61], v26 src0_sel:WORD_1
	s_load_dword s44, s[0:1], 0x98
	s_waitcnt lgkmcnt(0)
	s_load_dword s5, s[40:41], 0x0
	v_cvt_pk_f32_fp8_sdwa v[44:45], v45 src0_sel:WORD_1
	v_perm_b32 v52, v53, v52, s33
	v_perm_b32 v53, v61, v60, s33
	v_cvt_pk_f32_fp8_e32 v[60:61], v27
	v_cvt_pk_f32_fp8_sdwa v[26:27], v27 src0_sel:WORD_1
	v_perm_b32 v75, v45, v44, s33
	v_mfma_f32_16x16x16_bf16 v[42:45], v[42:43], v[14:15], v[70:73]
	v_perm_b32 v60, v61, v60, s33
	v_perm_b32 v61, v27, v26, s33
	v_mov_b32_e32 v26, s4
	v_mfma_f32_16x16x16_bf16 v[70:73], v[52:53], v[30:31], 0
	s_waitcnt lgkmcnt(0)
	v_mul_f32_e32 v52, s5, v26
	v_cvt_pk_f32_fp8_e32 v[26:27], v28
	v_cvt_pk_f32_fp8_sdwa v[30:31], v28 src0_sel:WORD_1
	v_mfma_f32_16x16x16_bf16 v[70:73], v[60:61], v[32:33], v[70:73]
	v_cvt_pk_f32_fp8_e32 v[32:33], v29
	v_cvt_pk_f32_fp8_sdwa v[28:29], v29 src0_sel:WORD_1
	v_perm_b32 v26, v27, v26, s33
	v_perm_b32 v27, v31, v30, s33
	v_mfma_f32_16x16x16_bf16 v[42:45], v[74:75], v[16:17], v[42:45]
	v_perm_b32 v32, v33, v32, s33
	v_perm_b32 v33, v29, v28, s33
	v_cvt_pk_f32_fp8_e32 v[60:61], v10
	v_cvt_pk_f32_fp8_sdwa v[74:75], v10 src0_sel:WORD_1
	v_mfma_f32_16x16x16_bf16 v[26:29], v[26:27], v[22:23], v[70:73]
	v_pk_mul_f32 v[30:31], v[52:53], v[36:37] op_sel_hi:[0,1]
	v_perm_b32 v36, v61, v60, s33
	v_perm_b32 v37, v75, v74, s33
	v_cvt_pk_f32_fp8_e32 v[60:61], v11
	v_cvt_pk_f32_fp8_sdwa v[70:71], v11 src0_sel:WORD_1
	v_mfma_f32_16x16x16_bf16 v[22:25], v[32:33], v[24:25], v[26:29]
	v_pk_mul_f32 v[10:11], v[52:53], v[34:35] op_sel_hi:[0,1]
	v_perm_b32 v60, v61, v60, s33
	v_perm_b32 v61, v71, v70, s33
	v_mfma_f32_16x16x16_bf16 v[32:35], v[36:37], v[18:19], v[22:25]
	v_cvt_pk_f32_fp8_e32 v[18:19], v12
	v_cvt_pk_f32_fp8_sdwa v[36:37], v12 src0_sel:WORD_1
	s_waitcnt vmcnt(2)
	v_mad_i64_i32 v[48:49], s[8:9], v65, s45, v[48:49]
	global_load_dwordx4 v[26:29], v[50:51], off
	global_load_dwordx4 v[22:25], v[48:49], off
	v_perm_b32 v48, v19, v18, s33
	v_perm_b32 v49, v37, v36, s33
	v_cvt_pk_f32_fp8_e32 v[36:37], v13
	v_cvt_pk_f32_fp8_sdwa v[12:13], v13 src0_sel:WORD_1
	v_mfma_f32_16x16x16_bf16 v[18:21], v[60:61], v[20:21], v[32:35]
	v_pk_mul_f32 v[40:41], v[52:53], v[40:41] op_sel_hi:[0,1]
	v_pk_mul_f32 v[42:43], v[52:53], v[42:43] op_sel_hi:[0,1]
	s_mov_b32 s40, 0xff7fffff
	v_perm_b32 v32, v37, v36, s33
	v_perm_b32 v33, v13, v12, s33
	v_mfma_f32_16x16x16_bf16 v[12:15], v[48:49], v[14:15], v[18:21]
	v_pk_mul_f32 v[48:49], v[52:53], v[38:39] op_sel_hi:[0,1]
	v_pk_mul_f32 v[38:39], v[52:53], v[44:45] op_sel_hi:[0,1]
	v_mfma_f32_16x16x16_bf16 v[12:15], v[32:33], v[16:17], v[12:15]
	s_nop 6
	v_pk_mul_f32 v[36:37], v[52:53], v[12:13] op_sel_hi:[0,1]
	v_and_b32_e32 v12, 0xc0, v0
	v_add_u32_e32 v12, s18, v12
	v_lshl_or_b32 v12, v62, 2, v12
	v_or_b32_e32 v13, 1, v12
	v_pk_mul_f32 v[34:35], v[52:53], v[14:15] op_sel_hi:[0,1]
	v_subrev_u32_e32 v14, s7, v13
	v_add_u32_e32 v16, 1, v14
	v_add_u32_e32 v17, 2, v14
	v_cvt_f32_i32_e32 v15, v14
	v_cvt_f32_i32_e32 v16, v16
	;; [unrolled: 1-line block ×3, first 2 shown]
	v_add_u32_e32 v18, 3, v14
	v_fma_f32 v10, v63, v15, v10
	v_fmac_f32_e32 v11, v63, v16
	v_fma_f32 v51, v63, v17, v30
	v_add_u32_e32 v15, 16, v14
	v_add_u32_e32 v16, 17, v14
	;; [unrolled: 1-line block ×3, first 2 shown]
	v_cvt_f32_i32_e32 v18, v18
	v_cvt_f32_i32_e32 v15, v15
	v_cvt_f32_i32_e32 v16, v16
	v_cvt_f32_i32_e32 v17, v17
	v_fmac_f32_e32 v31, v63, v18
	v_add_u32_e32 v18, 19, v14
	v_fma_f32 v48, v63, v15, v48
	v_fmac_f32_e32 v49, v63, v16
	v_fma_f32 v40, v63, v17, v40
	v_add_u32_e32 v15, 32, v14
	v_add_u32_e32 v16, 33, v14
	;; [unrolled: 1-line block ×3, first 2 shown]
	v_cvt_f32_i32_e32 v18, v18
	v_cvt_f32_i32_e32 v15, v15
	v_cvt_f32_i32_e32 v16, v16
	v_cvt_f32_i32_e32 v17, v17
	v_fmac_f32_e32 v41, v63, v18
	v_add_u32_e32 v18, 35, v14
	v_fma_f32 v42, v63, v15, v42
	v_fmac_f32_e32 v43, v63, v16
	v_fma_f32 v38, v63, v17, v38
	v_add_u32_e32 v15, 48, v14
	v_add_u32_e32 v16, 49, v14
	;; [unrolled: 1-line block ×4, first 2 shown]
	v_cvt_f32_i32_e32 v14, v14
	v_cvt_f32_i32_e32 v15, v15
	;; [unrolled: 1-line block ×3, first 2 shown]
	v_cmp_gt_i32_e64 s[8:9], s7, v12
	v_fmac_f32_e32 v35, v63, v14
	v_mov_b32_e32 v14, 0xff7fffff
	v_cmp_gt_i32_e64 s[10:11], s7, v13
	v_fma_f32 v36, v63, v15, v36
	v_cndmask_b32_e64 v15, v14, v10, s[8:9]
	v_cndmask_b32_e64 v13, v14, v11, s[10:11]
	v_fmac_f32_e32 v37, v63, v16
	v_max3_f32 v13, v15, s40, v13
	v_or_b32_e32 v15, 2, v12
	v_or_b32_e32 v16, 3, v12
	v_cmp_gt_i32_e64 s[12:13], s7, v15
	v_cmp_gt_i32_e64 s[14:15], s7, v16
	v_cvt_f32_i32_e32 v18, v18
	v_cndmask_b32_e64 v15, v14, v51, s[12:13]
	v_cndmask_b32_e64 v16, v14, v31, s[14:15]
	v_max3_f32 v13, v13, v15, v16
	v_or_b32_e32 v15, 16, v12
	v_or_b32_e32 v16, 17, v12
	v_cmp_gt_i32_e64 s[16:17], s7, v15
	v_cmp_gt_i32_e64 s[18:19], s7, v16
	v_fmac_f32_e32 v39, v63, v18
	v_cndmask_b32_e64 v15, v14, v48, s[16:17]
	v_cndmask_b32_e64 v16, v14, v49, s[18:19]
	v_max3_f32 v13, v13, v15, v16
	v_or_b32_e32 v15, 18, v12
	v_or_b32_e32 v16, 19, v12
	v_cmp_gt_i32_e64 s[20:21], s7, v15
	v_cmp_gt_i32_e64 s[22:23], s7, v16
	v_cvt_f32_i32_e32 v17, v17
	v_cndmask_b32_e64 v15, v14, v40, s[20:21]
	v_cndmask_b32_e64 v16, v14, v41, s[22:23]
	v_max3_f32 v13, v13, v15, v16
	v_or_b32_e32 v15, 32, v12
	v_or_b32_e32 v16, 33, v12
	v_cmp_gt_i32_e64 s[24:25], s7, v15
	v_cmp_gt_i32_e64 s[26:27], s7, v16
	v_fma_f32 v34, v63, v17, v34
	v_cndmask_b32_e64 v15, v14, v42, s[24:25]
	v_cndmask_b32_e64 v16, v14, v43, s[26:27]
	v_max3_f32 v13, v13, v15, v16
	v_or_b32_e32 v15, 34, v12
	v_or_b32_e32 v16, 35, v12
	v_cmp_gt_i32_e64 s[28:29], s7, v15
	v_cmp_gt_i32_e64 s[30:31], s7, v16
	s_nop 0
	v_cndmask_b32_e64 v15, v14, v38, s[28:29]
	v_cndmask_b32_e64 v16, v14, v39, s[30:31]
	v_max3_f32 v13, v13, v15, v16
	v_or_b32_e32 v15, 48, v12
	v_or_b32_e32 v16, 49, v12
	v_cmp_gt_i32_e64 s[34:35], s7, v15
	v_cmp_gt_i32_e64 s[36:37], s7, v16
	s_nop 0
	v_cndmask_b32_e64 v15, v14, v36, s[34:35]
	v_cndmask_b32_e64 v16, v14, v37, s[36:37]
	v_max3_f32 v13, v13, v15, v16
	v_or_b32_e32 v15, 50, v12
	v_or_b32_e32 v12, 51, v12
	v_cmp_gt_i32_e32 vcc, s7, v15
	v_cmp_gt_i32_e64 s[4:5], s7, v12
	s_nop 0
	v_cndmask_b32_e32 v15, v14, v34, vcc
	v_cndmask_b32_e64 v12, v14, v35, s[4:5]
	v_max3_f32 v16, v13, v15, v12
	v_mbcnt_lo_u32_b32 v12, -1, 0
	v_mbcnt_hi_u32_b32 v17, -1, v12
	v_and_b32_e32 v12, 64, v17
	v_add_u32_e32 v18, 64, v12
	v_xor_b32_e32 v12, 32, v17
	v_cmp_lt_i32_e64 s[38:39], v12, v18
	s_nop 1
	v_cndmask_b32_e64 v12, v17, v12, s[38:39]
	v_lshlrev_b32_e32 v52, 2, v12
	ds_bpermute_b32 v19, v52, v16
	v_lshl_add_u64 v[12:13], v[46:47], 0, v[58:59]
	v_mad_i64_i32 v[14:15], s[38:39], v68, s45, v[12:13]
	s_waitcnt lgkmcnt(0)
	v_max_f32_e32 v19, v19, v19
	v_max_f32_e32 v19, v16, v19
	v_xor_b32_e32 v16, 16, v17
	v_cmp_lt_i32_e64 s[38:39], v16, v18
	s_nop 1
	v_cndmask_b32_e64 v16, v17, v16, s[38:39]
	v_lshlrev_b32_e32 v53, 2, v16
	ds_bpermute_b32 v18, v53, v19
	v_mad_i64_i32 v[16:17], s[38:39], v66, s45, v[12:13]
	v_mad_i64_i32 v[44:45], s[38:39], v67, s45, v[12:13]
	s_waitcnt lgkmcnt(0)
	v_max_f32_e32 v18, v18, v18
	v_max_f32_e32 v50, v19, v18
	v_sub_f32_e32 v10, v10, v50
	v_mul_f32_e32 v10, 0x3fb8aa3b, v10
	v_exp_f32_e32 v18, v10
	v_sub_f32_e32 v10, v11, v50
	v_mul_f32_e32 v10, 0x3fb8aa3b, v10
	v_exp_f32_e32 v19, v10
	v_mad_i64_i32 v[10:11], s[38:39], v65, s45, v[12:13]
	v_sub_f32_e32 v12, v51, v50
	v_mul_f32_e32 v12, 0x3fb8aa3b, v12
	v_cndmask_b32_e64 v46, 0, v18, s[8:9]
	v_cndmask_b32_e64 v47, 0, v19, s[10:11]
	v_sub_f32_e32 v58, v31, v50
	global_load_dwordx4 v[30:33], v[14:15], off
	global_load_dwordx4 v[18:21], v[16:17], off
	v_exp_f32_e32 v51, v12
	global_load_dwordx4 v[14:17], v[44:45], off
	s_nop 0
	global_load_dwordx4 v[10:13], v[10:11], off
	v_sub_f32_e32 v45, v48, v50
	v_sub_f32_e32 v48, v49, v50
	;; [unrolled: 1-line block ×4, first 2 shown]
	v_mul_f32_e32 v44, 0x3fb8aa3b, v58
	v_mul_f32_e32 v45, 0x3fb8aa3b, v45
	;; [unrolled: 1-line block ×5, first 2 shown]
	v_exp_f32_e32 v44, v44
	v_exp_f32_e32 v45, v45
	;; [unrolled: 1-line block ×3, first 2 shown]
	v_cndmask_b32_e64 v48, 0, v51, s[12:13]
	v_exp_f32_e32 v40, v40
	v_exp_f32_e32 v51, v42
	v_sub_f32_e32 v42, v43, v50
	v_mul_f32_e32 v42, 0x3fb8aa3b, v42
	v_cndmask_b32_e64 v49, 0, v44, s[14:15]
	v_cndmask_b32_e64 v44, 0, v45, s[16:17]
	;; [unrolled: 1-line block ×3, first 2 shown]
	v_sub_f32_e32 v41, v41, v50
	v_exp_f32_e32 v58, v42
	v_cndmask_b32_e64 v42, 0, v40, s[20:21]
	v_cndmask_b32_e64 v40, 0, v51, s[24:25]
	v_add_f32_e32 v51, 0, v46
	v_mul_f32_e32 v41, 0x3fb8aa3b, v41
	v_add_f32_e32 v51, v51, v47
	v_exp_f32_e32 v41, v41
	v_add_f32_e32 v51, v51, v48
	v_sub_f32_e32 v38, v38, v50
	v_add_f32_e32 v51, v51, v49
	v_sub_f32_e32 v39, v39, v50
	v_mul_f32_e32 v38, 0x3fb8aa3b, v38
	v_add_f32_e32 v51, v51, v44
	v_exp_f32_e32 v38, v38
	v_mul_f32_e32 v39, 0x3fb8aa3b, v39
	v_sub_f32_e32 v36, v36, v50
	v_add_f32_e32 v51, v51, v45
	v_cndmask_b32_e64 v43, 0, v41, s[22:23]
	v_exp_f32_e32 v39, v39
	v_mul_f32_e32 v36, 0x3fb8aa3b, v36
	v_sub_f32_e32 v37, v37, v50
	v_add_f32_e32 v51, v51, v42
	v_exp_f32_e32 v36, v36
	v_mul_f32_e32 v37, 0x3fb8aa3b, v37
	v_add_f32_e32 v51, v51, v43
	v_sub_f32_e32 v34, v34, v50
	v_cndmask_b32_e64 v41, 0, v58, s[26:27]
	v_exp_f32_e32 v37, v37
	v_add_f32_e32 v51, v51, v40
	v_mul_f32_e32 v34, 0x3fb8aa3b, v34
	v_sub_f32_e32 v35, v35, v50
	v_cndmask_b32_e64 v38, 0, v38, s[28:29]
	v_add_f32_e32 v51, v51, v41
	v_exp_f32_e32 v34, v34
	v_mul_f32_e32 v35, 0x3fb8aa3b, v35
	v_cndmask_b32_e64 v39, 0, v39, s[30:31]
	v_add_f32_e32 v51, v51, v38
	v_exp_f32_e32 v35, v35
	v_cndmask_b32_e64 v36, 0, v36, s[34:35]
	v_add_f32_e32 v51, v51, v39
	v_cndmask_b32_e64 v37, 0, v37, s[36:37]
	v_add_f32_e32 v51, v51, v36
	v_add_f32_e32 v51, v51, v37
	v_cndmask_b32_e32 v34, 0, v34, vcc
	v_add_f32_e32 v51, v51, v34
	v_cndmask_b32_e64 v35, 0, v35, s[4:5]
	v_add_f32_e32 v51, v51, v35
	ds_bpermute_b32 v52, v52, v51
	v_cmp_gt_u32_e64 s[4:5], 16, v55
	s_waitcnt lgkmcnt(0)
	s_barrier
	v_add_f32_e32 v51, v51, v52
	ds_bpermute_b32 v52, v53, v51
	s_and_saveexec_b64 s[8:9], s[4:5]
	s_cbranch_execz .LBB1376_15
; %bb.14:
	s_waitcnt lgkmcnt(0)
	v_add_f32_e32 v51, v51, v52
	v_lshlrev_b32_e32 v52, 2, v64
	ds_write2st64_b32 v52, v50, v51 offset1:1
.LBB1376_15:
	s_or_b64 exec, exec, s[8:9]
	v_lshlrev_b32_e32 v51, 2, v56
	s_load_dword s7, s[0:1], 0x94
	s_waitcnt lgkmcnt(0)
	s_barrier
	ds_read2_b32 v[52:53], v51 offset1:16
	ds_read2_b32 v[58:59], v51 offset0:32 offset1:48
	ds_read2_b32 v[60:61], v51 offset0:64 offset1:80
	s_movk_i32 s11, 0x7fff
	s_mul_i32 s10, s44, 9
	s_waitcnt lgkmcnt(2)
	v_max3_f32 v50, v52, s40, v53
	s_waitcnt lgkmcnt(1)
	v_max3_f32 v50, v50, v58, v59
	v_sub_f32_e32 v52, v52, v50
	v_mul_f32_e32 v52, 0x3fb8aa3b, v52
	v_exp_f32_e32 v55, v52
	v_sub_f32_e32 v52, v53, v50
	v_mul_f32_e32 v52, 0x3fb8aa3b, v52
	v_exp_f32_e32 v63, v52
	;; [unrolled: 3-line block ×3, first 2 shown]
	ds_read2_b32 v[52:53], v51 offset0:96 offset1:112
	v_sub_f32_e32 v51, v59, v50
	v_mul_f32_e32 v51, 0x3fb8aa3b, v51
	v_exp_f32_e32 v59, v51
	s_waitcnt lgkmcnt(1)
	v_fma_f32 v51, v55, v60, 0
	v_fmac_f32_e32 v51, v63, v61
	s_waitcnt lgkmcnt(0)
	v_fmac_f32_e32 v51, v58, v52
	v_fmac_f32_e32 v51, v59, v53
	v_add_f32_e32 v52, 0x358637bd, v51
	v_div_scale_f32 v53, s[8:9], v52, v52, 1.0
	v_rcp_f32_e32 v60, v53
	s_barrier
	v_fma_f32 v61, -v53, v60, 1.0
	v_fmac_f32_e32 v60, v61, v60
	v_div_scale_f32 v61, vcc, 1.0, v52, 1.0
	v_mul_f32_e32 v64, v61, v60
	v_fma_f32 v65, -v53, v64, v61
	v_fmac_f32_e32 v64, v65, v60
	v_fma_f32 v53, -v53, v64, v61
	v_div_fmas_f32 v53, v53, v60, v64
	v_cmp_eq_u32_e32 vcc, 1, v57
	v_div_fixup_f32 v52, v53, v52, 1.0
	s_nop 0
	v_cndmask_b32_e32 v53, v55, v63, vcc
	v_cmp_eq_u32_e32 vcc, 2, v57
	s_nop 1
	v_cndmask_b32_e32 v53, v53, v58, vcc
	v_cmp_eq_u32_e32 vcc, 3, v57
	s_nop 1
	v_cndmask_b32_e32 v53, v53, v59, vcc
	v_mul_f32_e32 v52, v53, v52
	v_pk_mul_f32 v[46:47], v[52:53], v[46:47] op_sel_hi:[0,1]
	v_pk_mul_f32 v[48:49], v[52:53], v[48:49] op_sel_hi:[0,1]
	v_bfe_u32 v53, v47, 16, 1
	v_bfe_u32 v55, v46, 16, 1
	v_add3_u32 v46, v46, v55, s11
	v_add3_u32 v47, v47, v53, s11
	v_perm_b32 v58, v47, v46, s33
	v_bfe_u32 v46, v49, 16, 1
	v_bfe_u32 v47, v48, 16, 1
	v_add3_u32 v47, v48, v47, s11
	v_add3_u32 v46, v49, v46, s11
	v_perm_b32 v59, v46, v47, s33
	v_lshlrev_b32_e32 v47, 3, v62
	v_lshlrev_b32_e32 v46, 5, v56
	;; [unrolled: 1-line block ×3, first 2 shown]
	v_pk_mul_f32 v[44:45], v[52:53], v[44:45] op_sel_hi:[0,1]
	v_or3_b32 v55, v48, v46, v47
	v_bfe_u32 v47, v45, 16, 1
	v_bfe_u32 v48, v44, 16, 1
	v_pk_mul_f32 v[42:43], v[52:53], v[42:43] op_sel_hi:[0,1]
	v_add3_u32 v44, v44, v48, s11
	v_add3_u32 v45, v45, v47, s11
	v_perm_b32 v44, v45, v44, s33
	v_bfe_u32 v45, v43, 16, 1
	v_bfe_u32 v47, v42, 16, 1
	v_add3_u32 v42, v42, v47, s11
	v_add3_u32 v43, v43, v45, s11
	v_pk_mul_f32 v[40:41], v[52:53], v[40:41] op_sel_hi:[0,1]
	v_perm_b32 v45, v43, v42, s33
	v_bfe_u32 v42, v41, 16, 1
	v_bfe_u32 v43, v40, 16, 1
	v_pk_mul_f32 v[38:39], v[52:53], v[38:39] op_sel_hi:[0,1]
	v_add3_u32 v40, v40, v43, s11
	v_add3_u32 v41, v41, v42, s11
	v_perm_b32 v40, v41, v40, s33
	v_bfe_u32 v41, v39, 16, 1
	v_bfe_u32 v42, v38, 16, 1
	v_add3_u32 v38, v38, v42, s11
	v_add3_u32 v39, v39, v41, s11
	v_pk_mul_f32 v[36:37], v[52:53], v[36:37] op_sel_hi:[0,1]
	v_perm_b32 v41, v39, v38, s33
	v_bfe_u32 v38, v37, 16, 1
	v_bfe_u32 v39, v36, 16, 1
	v_pk_mul_f32 v[34:35], v[52:53], v[34:35] op_sel_hi:[0,1]
	v_add3_u32 v36, v36, v39, s11
	v_add3_u32 v37, v37, v38, s11
	v_perm_b32 v36, v37, v36, s33
	v_bfe_u32 v37, v35, 16, 1
	v_bfe_u32 v38, v34, 16, 1
	v_add3_u32 v34, v34, v38, s11
	v_add3_u32 v35, v35, v37, s11
	v_perm_b32 v37, v35, v34, s33
	v_cmp_gt_u32_e32 vcc, 9, v0
	ds_write2st64_b64 v55, v[58:59], v[44:45] offset1:1
	ds_write2st64_b64 v55, v[40:41], v[36:37] offset0:2 offset1:3
	s_and_saveexec_b64 s[8:9], vcc
	s_cbranch_execz .LBB1376_17
; %bb.16:
	s_mov_b32 s49, 0
	v_mov_b32_e32 v57, 0
	v_lshl_add_u64 v[34:35], s[48:49], 0, v[56:57]
	v_mov_b32_e32 v36, s10
	v_mad_u64_u32 v[34:35], s[16:17], s2, v36, v[34:35]
	s_mul_i32 s3, s3, s10
	v_mov_b32_e32 v36, s6
	v_mov_b32_e32 v37, v57
	s_load_dwordx4 s[12:15], s[0:1], 0x58
	v_add_u32_e32 v38, s3, v35
	v_mad_u64_u32 v[34:35], s[16:17], v34, s7, v[36:37]
	v_mov_b32_e32 v36, v35
	v_mad_u64_u32 v[36:37], s[16:17], v38, s7, v[36:37]
	v_mov_b32_e32 v35, v36
	v_lshlrev_b64 v[34:35], 2, v[34:35]
	s_waitcnt lgkmcnt(0)
	v_lshl_add_u64 v[36:37], s[14:15], 0, v[34:35]
	v_lshl_add_u64 v[34:35], s[12:13], 0, v[34:35]
	global_store_dword v[36:37], v50, off
	global_store_dword v[34:35], v51, off
.LBB1376_17:
	s_or_b64 exec, exec, s[8:9]
	s_waitcnt vmcnt(7)
	v_cvt_pk_f32_fp8_e32 v[34:35], v6
	v_cvt_pk_f32_fp8_sdwa v[36:37], v6 src0_sel:WORD_1
	v_lshl_or_b32 v50, v62, 9, v46
	s_mov_b32 s9, 0x7060302
	s_waitcnt lgkmcnt(0)
	s_barrier
	v_cvt_pk_f32_fp8_e32 v[38:39], v7
	v_perm_b32 v6, v35, v34, s9
	v_cvt_pk_f32_fp8_sdwa v[40:41], v7 src0_sel:WORD_1
	v_perm_b32 v7, v37, v36, s9
	ds_read_b128 v[34:37], v50
	v_perm_b32 v46, v39, v38, s9
	v_perm_b32 v47, v41, v40, s9
	ds_read_b128 v[38:41], v50 offset:16
	v_cvt_pk_f32_fp8_e32 v[48:49], v8
	v_cvt_pk_f32_fp8_sdwa v[52:53], v8 src0_sel:WORD_1
	s_waitcnt lgkmcnt(1)
	v_mfma_f32_16x16x16_bf16 v[42:45], v[6:7], v[34:35], 0
	s_waitcnt vmcnt(6)
	v_cvt_pk_f32_fp8_e32 v[58:59], v4
	v_perm_b32 v6, v49, v48, s9
	v_perm_b32 v7, v53, v52, s9
	v_cvt_pk_f32_fp8_e32 v[48:49], v9
	v_mfma_f32_16x16x16_bf16 v[42:45], v[46:47], v[36:37], v[42:45]
	v_cvt_pk_f32_fp8_sdwa v[46:47], v9 src0_sel:WORD_1
	v_cvt_pk_f32_fp8_sdwa v[60:61], v4 src0_sel:WORD_1
	v_perm_b32 v48, v49, v48, s9
	s_waitcnt lgkmcnt(0)
	v_mfma_f32_16x16x16_bf16 v[6:9], v[6:7], v[38:39], v[42:45]
	v_perm_b32 v49, v47, v46, s9
	s_waitcnt vmcnt(5)
	v_cvt_pk_f32_fp8_e32 v[64:65], v28
	v_cvt_pk_f32_fp8_sdwa v[66:67], v28 src0_sel:WORD_1
	v_cvt_pk_f32_fp8_e32 v[42:43], v2
	v_mfma_f32_16x16x16_bf16 v[46:49], v[48:49], v[40:41], v[6:9]
	s_waitcnt vmcnt(4)
	v_cvt_pk_f32_fp8_sdwa v[68:69], v24 src0_sel:WORD_1
	s_load_dword s8, s[42:43], 0x0
	v_cvt_pk_f32_fp8_sdwa v[6:7], v2 src0_sel:WORD_1
	v_cvt_pk_f32_fp8_e32 v[8:9], v3
	v_perm_b32 v2, v43, v42, s9
	v_cvt_pk_f32_fp8_sdwa v[42:43], v3 src0_sel:WORD_1
	v_perm_b32 v3, v7, v6, s9
	v_perm_b32 v52, v9, v8, s9
	ds_read_b128 v[6:9], v50 offset:2048
	v_perm_b32 v53, v43, v42, s9
	ds_read_b128 v[42:45], v50 offset:2064
	s_waitcnt lgkmcnt(0)
	v_mfma_f32_16x16x16_bf16 v[46:49], v[2:3], v[6:7], v[46:49]
	v_perm_b32 v2, v59, v58, s9
	v_perm_b32 v3, v61, v60, s9
	v_cvt_pk_f32_fp8_e32 v[58:59], v5
	v_mfma_f32_16x16x16_bf16 v[46:49], v[52:53], v[8:9], v[46:49]
	v_cvt_pk_f32_fp8_sdwa v[52:53], v5 src0_sel:WORD_1
	s_waitcnt vmcnt(3)
	v_cvt_pk_f32_fp8_sdwa v[70:71], v32 src0_sel:WORD_1
	v_perm_b32 v58, v59, v58, s9
	v_mfma_f32_16x16x16_bf16 v[2:5], v[2:3], v[42:43], v[46:49]
	v_perm_b32 v59, v53, v52, s9
	s_mov_b32 s3, 0
	v_cmp_gt_u32_e32 vcc, 64, v0
	v_cvt_pk_f32_fp8_e32 v[46:47], v26
	v_mfma_f32_16x16x16_bf16 v[58:61], v[58:59], v[44:45], v[2:5]
	s_nop 2
	v_cvt_pk_f32_fp8_sdwa v[2:3], v26 src0_sel:WORD_1
	v_cvt_pk_f32_fp8_e32 v[4:5], v27
	v_perm_b32 v26, v47, v46, s9
	v_cvt_pk_f32_fp8_sdwa v[46:47], v27 src0_sel:WORD_1
	v_perm_b32 v27, v3, v2, s9
	v_perm_b32 v52, v5, v4, s9
	ds_read_b128 v[2:5], v50 offset:4096
	v_perm_b32 v53, v47, v46, s9
	ds_read_b128 v[46:49], v50 offset:4112
	s_waitcnt lgkmcnt(1)
	v_mfma_f32_16x16x16_bf16 v[58:61], v[26:27], v[2:3], v[58:61]
	v_perm_b32 v26, v65, v64, s9
	v_perm_b32 v27, v67, v66, s9
	v_cvt_pk_f32_fp8_e32 v[64:65], v29
	v_mfma_f32_16x16x16_bf16 v[58:61], v[52:53], v[4:5], v[58:61]
	v_cvt_pk_f32_fp8_sdwa v[52:53], v29 src0_sel:WORD_1
	v_cvt_pk_f32_fp8_e32 v[66:67], v24
	v_perm_b32 v64, v65, v64, s9
	s_waitcnt lgkmcnt(0)
	v_mfma_f32_16x16x16_bf16 v[26:29], v[26:27], v[46:47], v[58:61]
	v_perm_b32 v65, v53, v52, s9
	v_cvt_pk_f32_fp8_e32 v[52:53], v22
	s_nop 0
	v_mfma_f32_16x16x16_bf16 v[58:61], v[64:65], v[48:49], v[26:29]
	s_nop 2
	v_cvt_pk_f32_fp8_sdwa v[26:27], v22 src0_sel:WORD_1
	v_cvt_pk_f32_fp8_e32 v[28:29], v23
	v_perm_b32 v22, v53, v52, s9
	v_cvt_pk_f32_fp8_sdwa v[52:53], v23 src0_sel:WORD_1
	v_perm_b32 v23, v27, v26, s9
	v_perm_b32 v64, v29, v28, s9
	ds_read_b128 v[26:29], v50 offset:6144
	v_perm_b32 v65, v53, v52, s9
	s_waitcnt lgkmcnt(0)
	v_mfma_f32_16x16x16_bf16 v[58:61], v[22:23], v[26:27], v[58:61]
	ds_read_b128 v[50:53], v50 offset:6160
	v_perm_b32 v22, v67, v66, s9
	v_perm_b32 v23, v69, v68, s9
	v_cvt_pk_f32_fp8_e32 v[66:67], v25
	v_mfma_f32_16x16x16_bf16 v[58:61], v[64:65], v[28:29], v[58:61]
	v_cvt_pk_f32_fp8_sdwa v[64:65], v25 src0_sel:WORD_1
	v_cvt_pk_f32_fp8_e32 v[68:69], v32
	v_perm_b32 v66, v67, v66, s9
	s_waitcnt lgkmcnt(0)
	v_mfma_f32_16x16x16_bf16 v[22:25], v[22:23], v[50:51], v[58:61]
	v_perm_b32 v67, v65, v64, s9
	s_barrier
	s_nop 0
	v_mfma_f32_16x16x16_bf16 v[58:61], v[66:67], v[52:53], v[22:25]
	s_nop 2
	v_cvt_pk_f32_fp8_e32 v[24:25], v30
	v_perm_b32 v24, v25, v24, s9
	s_nop 1
	v_pk_mul_f32 v[22:23], v[60:61], s[8:9] op_sel_hi:[1,0]
	v_cvt_pk_f32_fp8_sdwa v[60:61], v30 src0_sel:WORD_1
	v_pk_mul_f32 v[64:65], v[58:59], s[8:9] op_sel_hi:[1,0]
	v_cvt_pk_f32_fp8_e32 v[58:59], v31
	v_cvt_pk_f32_fp8_sdwa v[30:31], v31 src0_sel:WORD_1
	v_perm_b32 v25, v61, v60, s9
	v_bfe_u32 v57, v65, 16, 1
	v_perm_b32 v66, v59, v58, s9
	v_perm_b32 v67, v31, v30, s9
	v_mfma_f32_16x16x16_bf16 v[58:61], v[24:25], v[34:35], 0
	v_perm_b32 v24, v69, v68, s9
	v_perm_b32 v25, v71, v70, s9
	v_cvt_pk_f32_fp8_e32 v[34:35], v33
	v_cvt_pk_f32_fp8_sdwa v[68:69], v33 src0_sel:WORD_1
	v_mfma_f32_16x16x16_bf16 v[30:33], v[66:67], v[36:37], v[58:61]
	s_waitcnt vmcnt(2)
	v_cvt_pk_f32_fp8_sdwa v[36:37], v18 src0_sel:WORD_1
	v_perm_b32 v34, v35, v34, s9
	v_perm_b32 v35, v69, v68, s9
	v_mfma_f32_16x16x16_bf16 v[30:33], v[24:25], v[38:39], v[30:33]
	v_cvt_pk_f32_fp8_e32 v[24:25], v18
	v_cvt_pk_f32_fp8_sdwa v[38:39], v20 src0_sel:WORD_1
	v_bfe_u32 v58, v64, 16, 1
	v_mfma_f32_16x16x16_bf16 v[30:33], v[34:35], v[40:41], v[30:33]
	v_cvt_pk_f32_fp8_e32 v[34:35], v19
	v_perm_b32 v24, v25, v24, s9
	v_perm_b32 v25, v37, v36, s9
	v_cvt_pk_f32_fp8_sdwa v[18:19], v19 src0_sel:WORD_1
	v_perm_b32 v34, v35, v34, s9
	v_cvt_pk_f32_fp8_e32 v[36:37], v20
	v_mfma_f32_16x16x16_bf16 v[30:33], v[24:25], v[6:7], v[30:33]
	v_perm_b32 v35, v19, v18, s9
	v_perm_b32 v18, v37, v36, s9
	;; [unrolled: 1-line block ×3, first 2 shown]
	v_cvt_pk_f32_fp8_e32 v[24:25], v21
	v_cvt_pk_f32_fp8_sdwa v[20:21], v21 src0_sel:WORD_1
	v_mfma_f32_16x16x16_bf16 v[6:9], v[34:35], v[8:9], v[30:33]
	v_perm_b32 v24, v25, v24, s9
	v_perm_b32 v25, v21, v20, s9
	v_mfma_f32_16x16x16_bf16 v[6:9], v[18:19], v[42:43], v[6:9]
	s_waitcnt vmcnt(1)
	v_cvt_pk_f32_fp8_e32 v[18:19], v14
	v_cvt_pk_f32_fp8_sdwa v[20:21], v14 src0_sel:WORD_1
	v_cvt_pk_f32_fp8_sdwa v[30:31], v16 src0_sel:WORD_1
	v_mfma_f32_16x16x16_bf16 v[6:9], v[24:25], v[44:45], v[6:9]
	v_cvt_pk_f32_fp8_e32 v[24:25], v15
	v_perm_b32 v18, v19, v18, s9
	v_perm_b32 v19, v21, v20, s9
	v_cvt_pk_f32_fp8_sdwa v[14:15], v15 src0_sel:WORD_1
	v_perm_b32 v20, v25, v24, s9
	v_cvt_pk_f32_fp8_e32 v[24:25], v16
	v_mfma_f32_16x16x16_bf16 v[6:9], v[18:19], v[2:3], v[6:9]
	v_perm_b32 v21, v15, v14, s9
	v_perm_b32 v14, v25, v24, s9
	;; [unrolled: 1-line block ×3, first 2 shown]
	v_cvt_pk_f32_fp8_e32 v[18:19], v17
	v_cvt_pk_f32_fp8_sdwa v[16:17], v17 src0_sel:WORD_1
	v_mfma_f32_16x16x16_bf16 v[2:5], v[20:21], v[4:5], v[6:9]
	v_add3_u32 v32, v64, v58, s11
	v_add3_u32 v33, v65, v57, s11
	s_nop 0
	v_perm_b32 v8, v19, v18, s9
	v_perm_b32 v9, v17, v16, s9
	v_mfma_f32_16x16x16_bf16 v[2:5], v[14:15], v[46:47], v[2:5]
	s_waitcnt vmcnt(0)
	v_cvt_pk_f32_fp8_e32 v[14:15], v10
	v_cvt_pk_f32_fp8_sdwa v[16:17], v10 src0_sel:WORD_1
	v_cvt_pk_f32_fp8_sdwa v[18:19], v12 src0_sel:WORD_1
	v_mfma_f32_16x16x16_bf16 v[2:5], v[8:9], v[48:49], v[2:5]
	v_cvt_pk_f32_fp8_e32 v[8:9], v11
	v_perm_b32 v14, v15, v14, s9
	v_perm_b32 v15, v17, v16, s9
	v_cvt_pk_f32_fp8_sdwa v[10:11], v11 src0_sel:WORD_1
	v_perm_b32 v8, v9, v8, s9
	v_cvt_pk_f32_fp8_e32 v[16:17], v12
	v_mfma_f32_16x16x16_bf16 v[2:5], v[14:15], v[26:27], v[2:5]
	v_perm_b32 v9, v11, v10, s9
	v_perm_b32 v10, v17, v16, s9
	;; [unrolled: 1-line block ×3, first 2 shown]
	v_cvt_pk_f32_fp8_e32 v[14:15], v13
	v_cvt_pk_f32_fp8_sdwa v[12:13], v13 src0_sel:WORD_1
	v_mfma_f32_16x16x16_bf16 v[2:5], v[8:9], v[28:29], v[2:5]
	v_bfe_u32 v7, v23, 16, 1
	v_perm_b32 v8, v15, v14, s9
	v_perm_b32 v9, v13, v12, s9
	v_mfma_f32_16x16x16_bf16 v[2:5], v[10:11], v[50:51], v[2:5]
	v_bfe_u32 v16, v22, 16, 1
	v_add3_u32 v10, v22, v16, s11
	v_add3_u32 v7, v23, v7, s11
	v_mfma_f32_16x16x16_bf16 v[2:5], v[8:9], v[52:53], v[2:5]
	v_perm_b32 v6, v33, v32, s9
	v_perm_b32 v7, v7, v10, s9
	s_nop 4
	v_pk_mul_f32 v[2:3], v[2:3], s[8:9] op_sel_hi:[1,0]
	v_pk_mul_f32 v[4:5], v[4:5], s[8:9] op_sel_hi:[1,0]
	v_bfe_u32 v8, v3, 16, 1
	v_bfe_u32 v9, v2, 16, 1
	v_add3_u32 v2, v2, v9, s11
	v_add3_u32 v3, v3, v8, s11
	v_perm_b32 v2, v3, v2, s9
	v_bfe_u32 v3, v5, 16, 1
	v_bfe_u32 v8, v4, 16, 1
	v_add3_u32 v4, v4, v8, s11
	v_add3_u32 v3, v5, v3, s11
	v_perm_b32 v3, v3, v4, s9
	ds_write2st64_b64 v55, v[6:7], v[2:3] offset1:1
	s_waitcnt lgkmcnt(0)
	s_barrier
	s_and_saveexec_b64 s[8:9], vcc
	s_cbranch_execz .LBB1376_20
; %bb.18:
	s_load_dwordx2 s[8:9], s[0:1], 0x68
	s_lshl_b32 s0, s7, 7
	s_mul_i32 s1, s10, s2
	v_lshlrev_b32_e32 v3, 6, v56
	s_mul_hi_u32 s11, s1, s0
	s_mul_i32 s10, s1, s0
	v_lshl_or_b32 v0, v0, 10, v3
	s_lshl_b64 s[10:11], s[10:11], 1
	v_lshlrev_b32_e32 v2, 5, v62
	v_and_b32_e32 v1, 16, v1
	v_and_b32_e32 v0, 0x1a00, v0
	s_waitcnt lgkmcnt(0)
	s_add_u32 s1, s8, s10
	v_or3_b32 v2, v0, v2, v1
	s_addc_u32 s7, s9, s11
	s_lshl_b32 s2, s6, 7
	s_lshl_b64 s[2:3], s[2:3], 1
	ds_read_b128 v[4:7], v2 offset:128
	ds_read_b128 v[8:11], v2
	s_add_u32 s2, s1, s2
	s_addc_u32 s3, s7, s3
	v_mov_b32_e32 v55, 0
	v_add_u32_e32 v3, s48, v62
	v_lshl_add_u64 v[0:1], s[2:3], 0, v[54:55]
	v_mad_u64_u32 v[12:13], s[2:3], v3, s0, 0
	v_lshl_add_u64 v[12:13], v[12:13], 1, v[0:1]
	v_add_u32_e32 v3, 4, v3
	s_waitcnt lgkmcnt(0)
	global_store_dwordx4 v[12:13], v[8:11], off
	s_nop 1
	v_mad_u64_u32 v[8:9], s[2:3], v3, s0, 0
	v_lshl_add_u64 v[8:9], v[8:9], 1, v[0:1]
	global_store_dwordx4 v[8:9], v[4:7], off
	s_and_b64 exec, exec, s[4:5]
	s_cbranch_execz .LBB1376_20
; %bb.19:
	ds_read_b128 v[2:5], v2 offset:256
	v_add3_u32 v6, s48, v62, 8
	v_mad_u64_u32 v[6:7], s[0:1], v6, s0, 0
	v_lshl_add_u64 v[0:1], v[6:7], 1, v[0:1]
	s_waitcnt lgkmcnt(0)
	global_store_dwordx4 v[0:1], v[2:5], off
.LBB1376_20:
	s_endpgm
	.section	.rodata,"a",@progbits
	.p2align	6, 0x0
	.amdhsa_kernel _Z39paged_attention_ll4mi_QKV_mfma16_kernelI14__hip_bfloat16hLN4vllm18Fp8KVCacheDataTypeE1ES0_Li32ELi128ELi256ELb1ELi9EEvPKT_PKT0_S8_ifPKiSA_SA_iPKfiiiPfSD_PS3_PT2_iSC_SC_
		.amdhsa_group_segment_fixed_size 8192
		.amdhsa_private_segment_fixed_size 0
		.amdhsa_kernarg_size 400
		.amdhsa_user_sgpr_count 2
		.amdhsa_user_sgpr_dispatch_ptr 0
		.amdhsa_user_sgpr_queue_ptr 0
		.amdhsa_user_sgpr_kernarg_segment_ptr 1
		.amdhsa_user_sgpr_dispatch_id 0
		.amdhsa_user_sgpr_kernarg_preload_length 0
		.amdhsa_user_sgpr_kernarg_preload_offset 0
		.amdhsa_user_sgpr_private_segment_size 0
		.amdhsa_uses_dynamic_stack 0
		.amdhsa_enable_private_segment 0
		.amdhsa_system_sgpr_workgroup_id_x 1
		.amdhsa_system_sgpr_workgroup_id_y 1
		.amdhsa_system_sgpr_workgroup_id_z 1
		.amdhsa_system_sgpr_workgroup_info 0
		.amdhsa_system_vgpr_workitem_id 0
		.amdhsa_next_free_vgpr 78
		.amdhsa_next_free_sgpr 50
		.amdhsa_accum_offset 80
		.amdhsa_reserve_vcc 1
		.amdhsa_float_round_mode_32 0
		.amdhsa_float_round_mode_16_64 0
		.amdhsa_float_denorm_mode_32 3
		.amdhsa_float_denorm_mode_16_64 3
		.amdhsa_dx10_clamp 1
		.amdhsa_ieee_mode 1
		.amdhsa_fp16_overflow 0
		.amdhsa_tg_split 0
		.amdhsa_exception_fp_ieee_invalid_op 0
		.amdhsa_exception_fp_denorm_src 0
		.amdhsa_exception_fp_ieee_div_zero 0
		.amdhsa_exception_fp_ieee_overflow 0
		.amdhsa_exception_fp_ieee_underflow 0
		.amdhsa_exception_fp_ieee_inexact 0
		.amdhsa_exception_int_div_zero 0
	.end_amdhsa_kernel
	.section	.text._Z39paged_attention_ll4mi_QKV_mfma16_kernelI14__hip_bfloat16hLN4vllm18Fp8KVCacheDataTypeE1ES0_Li32ELi128ELi256ELb1ELi9EEvPKT_PKT0_S8_ifPKiSA_SA_iPKfiiiPfSD_PS3_PT2_iSC_SC_,"axG",@progbits,_Z39paged_attention_ll4mi_QKV_mfma16_kernelI14__hip_bfloat16hLN4vllm18Fp8KVCacheDataTypeE1ES0_Li32ELi128ELi256ELb1ELi9EEvPKT_PKT0_S8_ifPKiSA_SA_iPKfiiiPfSD_PS3_PT2_iSC_SC_,comdat
.Lfunc_end1376:
	.size	_Z39paged_attention_ll4mi_QKV_mfma16_kernelI14__hip_bfloat16hLN4vllm18Fp8KVCacheDataTypeE1ES0_Li32ELi128ELi256ELb1ELi9EEvPKT_PKT0_S8_ifPKiSA_SA_iPKfiiiPfSD_PS3_PT2_iSC_SC_, .Lfunc_end1376-_Z39paged_attention_ll4mi_QKV_mfma16_kernelI14__hip_bfloat16hLN4vllm18Fp8KVCacheDataTypeE1ES0_Li32ELi128ELi256ELb1ELi9EEvPKT_PKT0_S8_ifPKiSA_SA_iPKfiiiPfSD_PS3_PT2_iSC_SC_
                                        ; -- End function
	.section	.AMDGPU.csdata,"",@progbits
; Kernel info:
; codeLenInByte = 6688
; NumSgprs: 56
; NumVgprs: 78
; NumAgprs: 0
; TotalNumVgprs: 78
; ScratchSize: 0
; MemoryBound: 0
; FloatMode: 240
; IeeeMode: 1
; LDSByteSize: 8192 bytes/workgroup (compile time only)
; SGPRBlocks: 6
; VGPRBlocks: 9
; NumSGPRsForWavesPerEU: 56
; NumVGPRsForWavesPerEU: 78
; AccumOffset: 80
; Occupancy: 6
; WaveLimiterHint : 1
; COMPUTE_PGM_RSRC2:SCRATCH_EN: 0
; COMPUTE_PGM_RSRC2:USER_SGPR: 2
; COMPUTE_PGM_RSRC2:TRAP_HANDLER: 0
; COMPUTE_PGM_RSRC2:TGID_X_EN: 1
; COMPUTE_PGM_RSRC2:TGID_Y_EN: 1
; COMPUTE_PGM_RSRC2:TGID_Z_EN: 1
; COMPUTE_PGM_RSRC2:TIDIG_COMP_CNT: 0
; COMPUTE_PGM_RSRC3_GFX90A:ACCUM_OFFSET: 19
; COMPUTE_PGM_RSRC3_GFX90A:TG_SPLIT: 0
	.section	.text._Z39paged_attention_ll4mi_QKV_mfma16_kernelI14__hip_bfloat16hLN4vllm18Fp8KVCacheDataTypeE1ES0_Li32ELi128ELi256ELb1ELi10EEvPKT_PKT0_S8_ifPKiSA_SA_iPKfiiiPfSD_PS3_PT2_iSC_SC_,"axG",@progbits,_Z39paged_attention_ll4mi_QKV_mfma16_kernelI14__hip_bfloat16hLN4vllm18Fp8KVCacheDataTypeE1ES0_Li32ELi128ELi256ELb1ELi10EEvPKT_PKT0_S8_ifPKiSA_SA_iPKfiiiPfSD_PS3_PT2_iSC_SC_,comdat
	.protected	_Z39paged_attention_ll4mi_QKV_mfma16_kernelI14__hip_bfloat16hLN4vllm18Fp8KVCacheDataTypeE1ES0_Li32ELi128ELi256ELb1ELi10EEvPKT_PKT0_S8_ifPKiSA_SA_iPKfiiiPfSD_PS3_PT2_iSC_SC_ ; -- Begin function _Z39paged_attention_ll4mi_QKV_mfma16_kernelI14__hip_bfloat16hLN4vllm18Fp8KVCacheDataTypeE1ES0_Li32ELi128ELi256ELb1ELi10EEvPKT_PKT0_S8_ifPKiSA_SA_iPKfiiiPfSD_PS3_PT2_iSC_SC_
	.globl	_Z39paged_attention_ll4mi_QKV_mfma16_kernelI14__hip_bfloat16hLN4vllm18Fp8KVCacheDataTypeE1ES0_Li32ELi128ELi256ELb1ELi10EEvPKT_PKT0_S8_ifPKiSA_SA_iPKfiiiPfSD_PS3_PT2_iSC_SC_
	.p2align	8
	.type	_Z39paged_attention_ll4mi_QKV_mfma16_kernelI14__hip_bfloat16hLN4vllm18Fp8KVCacheDataTypeE1ES0_Li32ELi128ELi256ELb1ELi10EEvPKT_PKT0_S8_ifPKiSA_SA_iPKfiiiPfSD_PS3_PT2_iSC_SC_,@function
_Z39paged_attention_ll4mi_QKV_mfma16_kernelI14__hip_bfloat16hLN4vllm18Fp8KVCacheDataTypeE1ES0_Li32ELi128ELi256ELb1ELi10EEvPKT_PKT0_S8_ifPKiSA_SA_iPKfiiiPfSD_PS3_PT2_iSC_SC_: ; @_Z39paged_attention_ll4mi_QKV_mfma16_kernelI14__hip_bfloat16hLN4vllm18Fp8KVCacheDataTypeE1ES0_Li32ELi128ELi256ELb1ELi10EEvPKT_PKT0_S8_ifPKiSA_SA_iPKfiiiPfSD_PS3_PT2_iSC_SC_
; %bb.0:
	s_load_dwordx2 s[10:11], s[0:1], 0x30
	s_mov_b32 s6, s3
	s_mov_b64 s[8:9], 0
	s_waitcnt lgkmcnt(0)
	s_cmp_lg_u64 s[10:11], 0
	s_cselect_b64 s[12:13], -1, 0
	s_and_b64 vcc, exec, s[12:13]
	s_cbranch_vccz .LBB1377_7
; %bb.1:
	s_add_i32 s14, s2, 1
	s_mov_b32 s15, 0
	s_lshl_b64 s[16:17], s[14:15], 2
	s_add_u32 s16, s10, s16
	s_mov_b32 s3, s15
	s_addc_u32 s17, s11, s17
	s_lshl_b64 s[14:15], s[2:3], 2
	s_add_u32 s14, s10, s14
	s_addc_u32 s15, s11, s15
	s_load_dword s5, s[16:17], 0x0
	s_load_dword s7, s[14:15], 0x0
	s_waitcnt lgkmcnt(0)
	s_sub_i32 s5, s5, s7
	s_cmp_eq_u32 s5, 1
	s_cselect_b64 s[14:15], -1, 0
	s_andn2_b64 vcc, exec, s[8:9]
	s_cbranch_vccnz .LBB1377_3
.LBB1377_2:
	s_mov_b32 s3, 0
	s_mov_b64 s[14:15], -1
.LBB1377_3:
	s_andn2_b64 vcc, exec, s[14:15]
	s_cbranch_vccnz .LBB1377_20
; %bb.4:
	s_load_dwordx2 s[8:9], s[0:1], 0x28
	s_lshl_b64 s[14:15], s[2:3], 2
	s_waitcnt lgkmcnt(0)
	s_add_u32 s8, s8, s14
	s_addc_u32 s9, s9, s15
	s_load_dword s7, s[8:9], 0x0
	s_lshl_b32 s18, s6, 8
	s_waitcnt lgkmcnt(0)
	s_cmp_ge_i32 s18, s7
	s_cbranch_scc1 .LBB1377_20
; %bb.5:
	s_load_dwordx2 s[8:9], s[0:1], 0x20
	s_load_dword s5, s[0:1], 0x38
	s_add_i32 s16, s7, 31
	s_ashr_i32 s17, s16, 31
	v_and_b32_e32 v1, 0xcf, v0
	s_lshr_b32 s17, s17, 27
	v_add_u32_e32 v1, s18, v1
	s_add_i32 s16, s16, s17
	v_ashrrev_i32_e32 v2, 31, v1
	s_ashr_i32 s19, s16, 5
	v_lshrrev_b32_e32 v4, 27, v2
	s_add_i32 s19, s19, -1
	s_waitcnt lgkmcnt(0)
	s_mul_i32 s16, s2, s5
	s_mov_b32 s17, 0
	v_add_u32_e32 v2, v1, v4
	s_lshl_b64 s[16:17], s[16:17], 2
	v_ashrrev_i32_e32 v2, 5, v2
	v_mov_b32_e32 v5, s19
	v_cmp_gt_i32_e32 vcc, s7, v1
	s_add_u32 s8, s8, s16
	s_addc_u32 s9, s9, s17
	v_cndmask_b32_e32 v2, v5, v2, vcc
	v_ashrrev_i32_e32 v3, 31, v2
	v_lshl_add_u64 v[6:7], v[2:3], 2, s[8:9]
	v_or_b32_e32 v2, 16, v1
	v_add_u32_e32 v3, v2, v4
	v_ashrrev_i32_e32 v3, 5, v3
	v_cmp_gt_i32_e32 vcc, s7, v2
	s_load_dwordx2 s[16:17], s[0:1], 0x8
	s_nop 0
	v_cndmask_b32_e32 v2, v5, v3, vcc
	v_ashrrev_i32_e32 v3, 31, v2
	v_lshl_add_u64 v[8:9], v[2:3], 2, s[8:9]
	v_or_b32_e32 v2, 32, v1
	v_add_u32_e32 v3, v2, v4
	v_ashrrev_i32_e32 v3, 5, v3
	v_cmp_gt_i32_e32 vcc, s7, v2
	v_or_b32_e32 v1, 48, v1
	s_nop 0
	v_cndmask_b32_e32 v2, v5, v3, vcc
	v_ashrrev_i32_e32 v3, 31, v2
	v_lshl_add_u64 v[12:13], v[2:3], 2, s[8:9]
	v_add_u32_e32 v2, v1, v4
	v_ashrrev_i32_e32 v2, 5, v2
	v_cmp_gt_i32_e32 vcc, s7, v1
	s_nop 1
	v_cndmask_b32_e32 v2, v5, v2, vcc
	v_ashrrev_i32_e32 v3, 31, v2
	v_lshl_add_u64 v[14:15], v[2:3], 2, s[8:9]
	global_load_dword v4, v[6:7], off
	global_load_dword v3, v[8:9], off
	;; [unrolled: 1-line block ×4, first 2 shown]
	s_andn2_b64 vcc, exec, s[12:13]
	s_cbranch_vccnz .LBB1377_8
; %bb.6:
	s_add_u32 s10, s10, s14
	s_addc_u32 s11, s11, s15
	s_load_dword s5, s[10:11], 0x0
	s_branch .LBB1377_9
.LBB1377_7:
	s_mov_b64 s[14:15], 0
	s_branch .LBB1377_2
.LBB1377_8:
	s_mov_b32 s5, s2
.LBB1377_9:
	s_load_dwordx2 s[10:11], s[0:1], 0x10
	s_load_dwordx4 s[44:47], s[0:1], 0x48
	v_lshrrev_b32_e32 v57, 6, v0
	v_bfe_u32 v62, v0, 4, 2
	v_and_b32_e32 v56, 15, v0
	v_lshl_or_b32 v5, v57, 2, v62
	v_lshlrev_b32_e32 v1, 3, v56
	s_mul_i32 s48, s4, 10
	v_cmp_gt_u32_e32 vcc, 10, v5
	v_lshlrev_b32_e32 v54, 1, v1
	v_lshlrev_b32_e32 v1, 4, v0
	s_and_saveexec_b64 s[12:13], vcc
	s_cbranch_execz .LBB1377_11
; %bb.10:
	s_load_dwordx2 s[14:15], s[0:1], 0x0
	s_waitcnt lgkmcnt(0)
	s_ashr_i32 s20, s44, 31
	s_mul_hi_u32 s21, s5, s44
	s_mul_i32 s20, s5, s20
	s_add_i32 s21, s21, s20
	s_mul_i32 s20, s5, s44
	s_lshl_b64 s[20:21], s[20:21], 1
	s_add_u32 s14, s14, s20
	v_add_lshl_u32 v6, v5, s48, 7
	s_addc_u32 s15, s15, s21
	v_ashrrev_i32_e32 v7, 31, v6
	v_lshl_add_u64 v[6:7], v[6:7], 1, s[14:15]
	v_mov_b32_e32 v55, 0
	v_lshl_add_u64 v[6:7], v[6:7], 0, v[54:55]
	global_load_dwordx4 v[6:9], v[6:7], off
	v_lshlrev_b32_e32 v12, 8, v0
	v_lshlrev_b32_e32 v11, 8, v56
	v_and_b32_e32 v12, 0x600, v12
	s_movk_i32 s5, 0x800
	v_and_or_b32 v11, v11, s5, v12
	v_lshlrev_b32_e32 v5, 5, v5
	v_and_b32_e32 v12, 16, v1
	v_or3_b32 v5, v11, v5, v12
	s_waitcnt vmcnt(0)
	ds_write_b128 v5, v[6:9]
.LBB1377_11:
	s_or_b64 exec, exec, s[12:13]
	s_waitcnt lgkmcnt(0)
	s_mul_i32 s12, s4, s46
	s_add_u32 s4, s16, s12
	s_addc_u32 s5, s17, 0
	v_mov_b32_e32 v59, 0
	v_mov_b64_e32 v[12:13], s[4:5]
	v_and_b32_e32 v34, 48, v0
	s_waitcnt vmcnt(3)
	v_mad_i64_i32 v[4:5], s[4:5], v4, s45, v[12:13]
	v_lshlrev_b32_e32 v14, 4, v56
	v_mov_b32_e32 v15, v59
	v_lshlrev_b32_e32 v58, 5, v34
	v_lshl_add_u64 v[4:5], v[4:5], 0, v[14:15]
	v_lshl_add_u64 v[4:5], v[4:5], 0, v[58:59]
	s_barrier
	global_load_dwordx4 v[50:53], v[4:5], off
	global_load_dwordx4 v[46:49], v[4:5], off offset:2048
	s_waitcnt vmcnt(4)
	v_mad_i64_i32 v[4:5], s[4:5], v3, s45, v[12:13]
	v_or_b32_e32 v16, 0x100, v14
	v_mov_b32_e32 v17, v59
	s_waitcnt vmcnt(3)
	v_mad_i64_i32 v[2:3], s[4:5], v2, s45, v[12:13]
	v_lshl_add_u64 v[4:5], v[4:5], 0, v[16:17]
	v_lshl_add_u64 v[2:3], v[2:3], 0, v[14:15]
	s_waitcnt vmcnt(2)
	v_mad_i64_i32 v[10:11], s[4:5], v10, s45, v[12:13]
	v_lshl_add_u64 v[4:5], v[4:5], 0, v[58:59]
	v_lshl_add_u64 v[14:15], v[2:3], 0, v[58:59]
	;; [unrolled: 1-line block ×3, first 2 shown]
	global_load_dwordx4 v[36:39], v[4:5], off
	global_load_dwordx4 v[6:9], v[4:5], off offset:2048
	s_nop 0
	global_load_dwordx4 v[2:5], v[14:15], off
	global_load_dwordx4 v[42:45], v[14:15], off offset:2048
	v_lshl_add_u64 v[14:15], v[10:11], 0, v[58:59]
	global_load_dwordx4 v[26:29], v[14:15], off
	global_load_dwordx4 v[10:13], v[14:15], off offset:2048
	v_add_u32_e32 v14, -10, v56
	v_cmp_gt_u32_e32 vcc, 10, v56
	v_and_b32_e32 v55, 63, v0
	v_mov_b32_e32 v63, 0
	v_cndmask_b32_e32 v14, v14, v56, vcc
	v_lshlrev_b32_e32 v14, 5, v14
	v_lshl_add_u32 v14, v62, 9, v14
	ds_read_b128 v[30:33], v14
	ds_read_b128 v[22:25], v14 offset:16
	ds_read_b128 v[18:21], v14 offset:2048
	;; [unrolled: 1-line block ×3, first 2 shown]
	s_and_saveexec_b64 s[4:5], vcc
	s_cbranch_execz .LBB1377_13
; %bb.12:
	s_load_dwordx2 s[14:15], s[0:1], 0x40
	v_add_u32_e32 v40, s48, v56
	v_ashrrev_i32_e32 v41, 31, v40
	s_waitcnt lgkmcnt(0)
	v_lshl_add_u64 v[40:41], v[40:41], 2, s[14:15]
	global_load_dword v63, v[40:41], off
.LBB1377_13:
	s_or_b64 exec, exec, s[4:5]
	s_ashr_i32 s4, s18, 31
	v_or_b32_e32 v58, s18, v34
	s_lshr_b32 s4, s4, 27
	v_add_u32_e32 v34, s4, v58
	v_or_b32_e32 v40, 64, v58
	v_ashrrev_i32_e32 v34, 5, v34
	v_mov_b32_e32 v64, s19
	v_cmp_gt_i32_e32 vcc, s7, v58
	v_add_u32_e32 v41, s4, v40
	v_or_b32_e32 v60, 0x80, v58
	v_cndmask_b32_e32 v34, v64, v34, vcc
	v_ashrrev_i32_e32 v41, 5, v41
	v_cmp_gt_i32_e32 vcc, s7, v40
	v_add_u32_e32 v61, s4, v60
	v_or_b32_e32 v58, 0xc0, v58
	v_cndmask_b32_e32 v40, v64, v41, vcc
	v_ashrrev_i32_e32 v61, 5, v61
	v_cmp_gt_i32_e32 vcc, s7, v60
	v_add_u32_e32 v65, s4, v58
	v_ashrrev_i32_e32 v65, 5, v65
	v_cndmask_b32_e32 v60, v64, v61, vcc
	v_cmp_gt_i32_e32 vcc, s7, v58
	s_waitcnt vmcnt(7)
	v_cvt_pk_f32_fp8_sdwa v[66:67], v50 src0_sel:WORD_1
	s_mov_b32 s33, 0x7060302
	v_cndmask_b32_e32 v68, v64, v65, vcc
	v_cvt_pk_f32_fp8_e32 v[64:65], v50
	v_cvt_pk_f32_fp8_e32 v[70:71], v51
	v_cvt_pk_f32_fp8_sdwa v[50:51], v51 src0_sel:WORD_1
	v_cvt_pk_f32_fp8_e32 v[72:73], v52
	v_perm_b32 v64, v65, v64, s33
	v_perm_b32 v65, v67, v66, s33
	;; [unrolled: 1-line block ×3, first 2 shown]
	v_cvt_pk_f32_fp8_sdwa v[74:75], v52 src0_sel:WORD_1
	v_perm_b32 v71, v51, v50, s33
	s_waitcnt lgkmcnt(3)
	v_mfma_f32_16x16x16_bf16 v[64:67], v[64:65], v[30:31], 0
	v_perm_b32 v72, v73, v72, s33
	v_perm_b32 v73, v75, v74, s33
	v_cvt_pk_f32_fp8_e32 v[74:75], v53
	v_cvt_pk_f32_fp8_sdwa v[76:77], v53 src0_sel:WORD_1
	v_mfma_f32_16x16x16_bf16 v[50:53], v[70:71], v[32:33], v[64:67]
	v_ashrrev_i32_e32 v35, 31, v34
	v_lshl_add_u64 v[34:35], v[34:35], 2, s[8:9]
	v_ashrrev_i32_e32 v41, 31, v40
	v_perm_b32 v64, v75, v74, s33
	v_perm_b32 v65, v77, v76, s33
	s_waitcnt lgkmcnt(2)
	v_mfma_f32_16x16x16_bf16 v[50:53], v[72:73], v[22:23], v[50:53]
	s_waitcnt vmcnt(6)
	v_cvt_pk_f32_fp8_e32 v[66:67], v46
	v_ashrrev_i32_e32 v61, 31, v60
	v_ashrrev_i32_e32 v69, 31, v68
	v_lshl_add_u64 v[40:41], v[40:41], 2, s[8:9]
	v_lshl_add_u64 v[60:61], v[60:61], 2, s[8:9]
	;; [unrolled: 1-line block ×3, first 2 shown]
	v_mfma_f32_16x16x16_bf16 v[50:53], v[64:65], v[24:25], v[50:53]
	v_perm_b32 v74, v67, v66, s33
	global_load_dword v68, v[34:35], off
	global_load_dword v66, v[40:41], off
	;; [unrolled: 1-line block ×4, first 2 shown]
	v_cvt_pk_f32_fp8_sdwa v[70:71], v46 src0_sel:WORD_1
	v_cvt_pk_f32_fp8_e32 v[40:41], v48
	s_waitcnt vmcnt(9)
	v_cvt_pk_f32_fp8_e32 v[60:61], v36
	s_add_u32 s4, s10, s12
	v_perm_b32 v75, v71, v70, s33
	v_cvt_pk_f32_fp8_e32 v[70:71], v47
	v_cvt_pk_f32_fp8_sdwa v[46:47], v47 src0_sel:WORD_1
	s_waitcnt lgkmcnt(1)
	v_mfma_f32_16x16x16_bf16 v[50:53], v[74:75], v[18:19], v[50:53]
	v_perm_b32 v34, v71, v70, s33
	v_perm_b32 v35, v47, v46, s33
	v_cvt_pk_f32_fp8_sdwa v[46:47], v48 src0_sel:WORD_1
	v_perm_b32 v40, v41, v40, s33
	v_mfma_f32_16x16x16_bf16 v[50:53], v[34:35], v[20:21], v[50:53]
	v_perm_b32 v41, v47, v46, s33
	v_cvt_pk_f32_fp8_e32 v[34:35], v49
	v_cvt_pk_f32_fp8_sdwa v[46:47], v49 src0_sel:WORD_1
	v_cvt_pk_f32_fp8_sdwa v[70:71], v36 src0_sel:WORD_1
	s_addc_u32 s5, s11, 0
	v_perm_b32 v34, v35, v34, s33
	v_perm_b32 v35, v47, v46, s33
	s_waitcnt lgkmcnt(0)
	v_mfma_f32_16x16x16_bf16 v[46:49], v[40:41], v[14:15], v[50:53]
	v_perm_b32 v40, v61, v60, s33
	v_perm_b32 v41, v71, v70, s33
	s_waitcnt vmcnt(8)
	v_cvt_pk_f32_fp8_sdwa v[60:61], v6 src0_sel:WORD_1
	v_cvt_pk_f32_fp8_e32 v[50:51], v37
	v_cvt_pk_f32_fp8_sdwa v[52:53], v37 src0_sel:WORD_1
	v_mfma_f32_16x16x16_bf16 v[34:37], v[34:35], v[16:17], v[46:49]
	v_and_b32_e32 v58, 16, v0
	v_perm_b32 v50, v51, v50, s33
	v_perm_b32 v51, v53, v52, s33
	v_mfma_f32_16x16x16_bf16 v[46:49], v[40:41], v[30:31], 0
	v_cvt_pk_f32_fp8_e32 v[40:41], v38
	v_cvt_pk_f32_fp8_sdwa v[52:53], v38 src0_sel:WORD_1
	v_lshl_or_b32 v64, v57, 4, v56
	v_mfma_f32_16x16x16_bf16 v[46:49], v[50:51], v[32:33], v[46:49]
	v_cvt_pk_f32_fp8_e32 v[50:51], v39
	v_perm_b32 v40, v41, v40, s33
	v_perm_b32 v41, v53, v52, s33
	v_cvt_pk_f32_fp8_sdwa v[38:39], v39 src0_sel:WORD_1
	v_perm_b32 v50, v51, v50, s33
	v_cvt_pk_f32_fp8_e32 v[52:53], v6
	s_waitcnt vmcnt(6)
	v_cvt_pk_f32_fp8_e32 v[74:75], v43
	v_perm_b32 v51, v39, v38, s33
	v_mfma_f32_16x16x16_bf16 v[38:41], v[40:41], v[22:23], v[46:49]
	s_nop 2
	v_perm_b32 v48, v53, v52, s33
	v_perm_b32 v49, v61, v60, s33
	v_cvt_pk_f32_fp8_e32 v[52:53], v7
	v_cvt_pk_f32_fp8_sdwa v[6:7], v7 src0_sel:WORD_1
	v_mfma_f32_16x16x16_bf16 v[38:41], v[50:51], v[24:25], v[38:41]
	v_lshl_add_u64 v[46:47], s[4:5], 0, v[58:59]
	v_perm_b32 v50, v53, v52, s33
	v_perm_b32 v51, v7, v6, s33
	v_mfma_f32_16x16x16_bf16 v[38:41], v[48:49], v[18:19], v[38:41]
	v_cvt_pk_f32_fp8_e32 v[6:7], v8
	v_cvt_pk_f32_fp8_sdwa v[48:49], v8 src0_sel:WORD_1
	v_cvt_pk_f32_fp8_sdwa v[52:53], v2 src0_sel:WORD_1
	v_mfma_f32_16x16x16_bf16 v[38:41], v[50:51], v[20:21], v[38:41]
	v_cvt_pk_f32_fp8_e32 v[50:51], v9
	v_perm_b32 v6, v7, v6, s33
	v_perm_b32 v7, v49, v48, s33
	v_cvt_pk_f32_fp8_sdwa v[8:9], v9 src0_sel:WORD_1
	v_perm_b32 v48, v51, v50, s33
	v_cvt_pk_f32_fp8_e32 v[50:51], v2
	v_lshlrev_b32_e32 v58, 5, v64
	v_perm_b32 v49, v9, v8, s33
	v_mfma_f32_16x16x16_bf16 v[6:9], v[6:7], v[14:15], v[38:41]
	v_perm_b32 v50, v51, v50, s33
	v_perm_b32 v51, v53, v52, s33
	v_cvt_pk_f32_fp8_e32 v[52:53], v3
	v_cvt_pk_f32_fp8_sdwa v[2:3], v3 src0_sel:WORD_1
	v_mfma_f32_16x16x16_bf16 v[38:41], v[48:49], v[16:17], v[6:9]
	v_lshl_add_u64 v[48:49], v[46:47], 0, v[58:59]
	v_perm_b32 v52, v53, v52, s33
	v_perm_b32 v53, v3, v2, s33
	v_mfma_f32_16x16x16_bf16 v[6:9], v[50:51], v[30:31], 0
	v_cvt_pk_f32_fp8_e32 v[2:3], v4
	v_cvt_pk_f32_fp8_sdwa v[50:51], v4 src0_sel:WORD_1
	s_waitcnt vmcnt(3)
	v_mad_i64_i32 v[60:61], s[4:5], v68, s45, v[48:49]
	v_perm_b32 v2, v3, v2, s33
	v_perm_b32 v3, v51, v50, s33
	v_mfma_f32_16x16x16_bf16 v[6:9], v[52:53], v[32:33], v[6:9]
	v_cvt_pk_f32_fp8_e32 v[50:51], v5
	v_cvt_pk_f32_fp8_sdwa v[4:5], v5 src0_sel:WORD_1
	s_waitcnt vmcnt(2)
	v_mad_i64_i32 v[70:71], s[4:5], v66, s45, v[48:49]
	v_perm_b32 v50, v51, v50, s33
	v_perm_b32 v51, v5, v4, s33
	v_mfma_f32_16x16x16_bf16 v[2:5], v[2:3], v[22:23], v[6:9]
	v_or_b32_e32 v58, 0x800, v58
	s_nop 1
	v_cvt_pk_f32_fp8_e32 v[6:7], v42
	v_cvt_pk_f32_fp8_sdwa v[8:9], v42 src0_sel:WORD_1
	v_cvt_pk_f32_fp8_sdwa v[42:43], v43 src0_sel:WORD_1
	v_mfma_f32_16x16x16_bf16 v[50:53], v[50:51], v[24:25], v[2:5]
	v_perm_b32 v72, v7, v6, s33
	v_perm_b32 v73, v9, v8, s33
	global_load_dwordx4 v[6:9], v[60:61], off
	global_load_dwordx4 v[2:5], v[70:71], off
	v_perm_b32 v60, v75, v74, s33
	v_perm_b32 v61, v43, v42, s33
	v_mfma_f32_16x16x16_bf16 v[70:73], v[72:73], v[18:19], v[50:53]
	v_cvt_pk_f32_fp8_e32 v[42:43], v44
	v_perm_b32 v42, v43, v42, s33
	s_nop 0
	v_cvt_pk_f32_fp8_sdwa v[52:53], v44 src0_sel:WORD_1
	v_mfma_f32_16x16x16_bf16 v[70:73], v[60:61], v[20:21], v[70:73]
	v_cvt_pk_f32_fp8_e32 v[60:61], v45
	s_waitcnt vmcnt(3)
	v_mad_i64_i32 v[50:51], s[4:5], v67, s45, v[48:49]
	s_load_dword s4, s[0:1], 0x1c
	s_load_dwordx4 s[40:43], s[0:1], 0x80
	v_perm_b32 v43, v53, v52, s33
	v_perm_b32 v74, v61, v60, s33
	v_cvt_pk_f32_fp8_e32 v[52:53], v26
	v_cvt_pk_f32_fp8_sdwa v[60:61], v26 src0_sel:WORD_1
	s_load_dword s44, s[0:1], 0x98
	s_waitcnt lgkmcnt(0)
	s_load_dword s5, s[40:41], 0x0
	v_cvt_pk_f32_fp8_sdwa v[44:45], v45 src0_sel:WORD_1
	v_perm_b32 v52, v53, v52, s33
	v_perm_b32 v53, v61, v60, s33
	v_cvt_pk_f32_fp8_e32 v[60:61], v27
	v_cvt_pk_f32_fp8_sdwa v[26:27], v27 src0_sel:WORD_1
	v_perm_b32 v75, v45, v44, s33
	v_mfma_f32_16x16x16_bf16 v[42:45], v[42:43], v[14:15], v[70:73]
	v_perm_b32 v60, v61, v60, s33
	v_perm_b32 v61, v27, v26, s33
	v_mov_b32_e32 v26, s4
	v_mfma_f32_16x16x16_bf16 v[70:73], v[52:53], v[30:31], 0
	s_waitcnt lgkmcnt(0)
	v_mul_f32_e32 v52, s5, v26
	v_cvt_pk_f32_fp8_e32 v[26:27], v28
	v_cvt_pk_f32_fp8_sdwa v[30:31], v28 src0_sel:WORD_1
	v_mfma_f32_16x16x16_bf16 v[70:73], v[60:61], v[32:33], v[70:73]
	v_cvt_pk_f32_fp8_e32 v[32:33], v29
	v_cvt_pk_f32_fp8_sdwa v[28:29], v29 src0_sel:WORD_1
	v_perm_b32 v26, v27, v26, s33
	v_perm_b32 v27, v31, v30, s33
	v_mfma_f32_16x16x16_bf16 v[42:45], v[74:75], v[16:17], v[42:45]
	v_perm_b32 v32, v33, v32, s33
	v_perm_b32 v33, v29, v28, s33
	v_cvt_pk_f32_fp8_e32 v[60:61], v10
	v_cvt_pk_f32_fp8_sdwa v[74:75], v10 src0_sel:WORD_1
	v_mfma_f32_16x16x16_bf16 v[26:29], v[26:27], v[22:23], v[70:73]
	v_pk_mul_f32 v[30:31], v[52:53], v[36:37] op_sel_hi:[0,1]
	v_perm_b32 v36, v61, v60, s33
	v_perm_b32 v37, v75, v74, s33
	v_cvt_pk_f32_fp8_e32 v[60:61], v11
	v_cvt_pk_f32_fp8_sdwa v[70:71], v11 src0_sel:WORD_1
	v_mfma_f32_16x16x16_bf16 v[22:25], v[32:33], v[24:25], v[26:29]
	v_pk_mul_f32 v[10:11], v[52:53], v[34:35] op_sel_hi:[0,1]
	v_perm_b32 v60, v61, v60, s33
	v_perm_b32 v61, v71, v70, s33
	v_mfma_f32_16x16x16_bf16 v[32:35], v[36:37], v[18:19], v[22:25]
	v_cvt_pk_f32_fp8_e32 v[18:19], v12
	v_cvt_pk_f32_fp8_sdwa v[36:37], v12 src0_sel:WORD_1
	s_waitcnt vmcnt(2)
	v_mad_i64_i32 v[48:49], s[8:9], v65, s45, v[48:49]
	global_load_dwordx4 v[26:29], v[50:51], off
	global_load_dwordx4 v[22:25], v[48:49], off
	v_perm_b32 v48, v19, v18, s33
	v_perm_b32 v49, v37, v36, s33
	v_cvt_pk_f32_fp8_e32 v[36:37], v13
	v_cvt_pk_f32_fp8_sdwa v[12:13], v13 src0_sel:WORD_1
	v_mfma_f32_16x16x16_bf16 v[18:21], v[60:61], v[20:21], v[32:35]
	v_pk_mul_f32 v[40:41], v[52:53], v[40:41] op_sel_hi:[0,1]
	v_pk_mul_f32 v[42:43], v[52:53], v[42:43] op_sel_hi:[0,1]
	s_mov_b32 s40, 0xff7fffff
	v_perm_b32 v32, v37, v36, s33
	v_perm_b32 v33, v13, v12, s33
	v_mfma_f32_16x16x16_bf16 v[12:15], v[48:49], v[14:15], v[18:21]
	v_pk_mul_f32 v[48:49], v[52:53], v[38:39] op_sel_hi:[0,1]
	v_pk_mul_f32 v[38:39], v[52:53], v[44:45] op_sel_hi:[0,1]
	v_mfma_f32_16x16x16_bf16 v[12:15], v[32:33], v[16:17], v[12:15]
	s_nop 6
	v_pk_mul_f32 v[36:37], v[52:53], v[12:13] op_sel_hi:[0,1]
	v_and_b32_e32 v12, 0xc0, v0
	v_add_u32_e32 v12, s18, v12
	v_lshl_or_b32 v12, v62, 2, v12
	v_or_b32_e32 v13, 1, v12
	v_pk_mul_f32 v[34:35], v[52:53], v[14:15] op_sel_hi:[0,1]
	v_subrev_u32_e32 v14, s7, v13
	v_add_u32_e32 v16, 1, v14
	v_add_u32_e32 v17, 2, v14
	v_cvt_f32_i32_e32 v15, v14
	v_cvt_f32_i32_e32 v16, v16
	;; [unrolled: 1-line block ×3, first 2 shown]
	v_add_u32_e32 v18, 3, v14
	v_fma_f32 v10, v63, v15, v10
	v_fmac_f32_e32 v11, v63, v16
	v_fma_f32 v51, v63, v17, v30
	v_add_u32_e32 v15, 16, v14
	v_add_u32_e32 v16, 17, v14
	;; [unrolled: 1-line block ×3, first 2 shown]
	v_cvt_f32_i32_e32 v18, v18
	v_cvt_f32_i32_e32 v15, v15
	;; [unrolled: 1-line block ×4, first 2 shown]
	v_fmac_f32_e32 v31, v63, v18
	v_add_u32_e32 v18, 19, v14
	v_fma_f32 v48, v63, v15, v48
	v_fmac_f32_e32 v49, v63, v16
	v_fma_f32 v40, v63, v17, v40
	v_add_u32_e32 v15, 32, v14
	v_add_u32_e32 v16, 33, v14
	;; [unrolled: 1-line block ×3, first 2 shown]
	v_cvt_f32_i32_e32 v18, v18
	v_cvt_f32_i32_e32 v15, v15
	;; [unrolled: 1-line block ×4, first 2 shown]
	v_fmac_f32_e32 v41, v63, v18
	v_add_u32_e32 v18, 35, v14
	v_fma_f32 v42, v63, v15, v42
	v_fmac_f32_e32 v43, v63, v16
	v_fma_f32 v38, v63, v17, v38
	v_add_u32_e32 v15, 48, v14
	v_add_u32_e32 v16, 49, v14
	;; [unrolled: 1-line block ×4, first 2 shown]
	v_cvt_f32_i32_e32 v14, v14
	v_cvt_f32_i32_e32 v15, v15
	;; [unrolled: 1-line block ×3, first 2 shown]
	v_cmp_gt_i32_e64 s[8:9], s7, v12
	v_fmac_f32_e32 v35, v63, v14
	v_mov_b32_e32 v14, 0xff7fffff
	v_cmp_gt_i32_e64 s[10:11], s7, v13
	v_fma_f32 v36, v63, v15, v36
	v_cndmask_b32_e64 v15, v14, v10, s[8:9]
	v_cndmask_b32_e64 v13, v14, v11, s[10:11]
	v_fmac_f32_e32 v37, v63, v16
	v_max3_f32 v13, v15, s40, v13
	v_or_b32_e32 v15, 2, v12
	v_or_b32_e32 v16, 3, v12
	v_cmp_gt_i32_e64 s[12:13], s7, v15
	v_cmp_gt_i32_e64 s[14:15], s7, v16
	v_cvt_f32_i32_e32 v18, v18
	v_cndmask_b32_e64 v15, v14, v51, s[12:13]
	v_cndmask_b32_e64 v16, v14, v31, s[14:15]
	v_max3_f32 v13, v13, v15, v16
	v_or_b32_e32 v15, 16, v12
	v_or_b32_e32 v16, 17, v12
	v_cmp_gt_i32_e64 s[16:17], s7, v15
	v_cmp_gt_i32_e64 s[18:19], s7, v16
	v_fmac_f32_e32 v39, v63, v18
	v_cndmask_b32_e64 v15, v14, v48, s[16:17]
	v_cndmask_b32_e64 v16, v14, v49, s[18:19]
	v_max3_f32 v13, v13, v15, v16
	v_or_b32_e32 v15, 18, v12
	v_or_b32_e32 v16, 19, v12
	v_cmp_gt_i32_e64 s[20:21], s7, v15
	v_cmp_gt_i32_e64 s[22:23], s7, v16
	v_cvt_f32_i32_e32 v17, v17
	v_cndmask_b32_e64 v15, v14, v40, s[20:21]
	v_cndmask_b32_e64 v16, v14, v41, s[22:23]
	v_max3_f32 v13, v13, v15, v16
	v_or_b32_e32 v15, 32, v12
	v_or_b32_e32 v16, 33, v12
	v_cmp_gt_i32_e64 s[24:25], s7, v15
	v_cmp_gt_i32_e64 s[26:27], s7, v16
	v_fma_f32 v34, v63, v17, v34
	v_cndmask_b32_e64 v15, v14, v42, s[24:25]
	v_cndmask_b32_e64 v16, v14, v43, s[26:27]
	v_max3_f32 v13, v13, v15, v16
	v_or_b32_e32 v15, 34, v12
	v_or_b32_e32 v16, 35, v12
	v_cmp_gt_i32_e64 s[28:29], s7, v15
	v_cmp_gt_i32_e64 s[30:31], s7, v16
	s_nop 0
	v_cndmask_b32_e64 v15, v14, v38, s[28:29]
	v_cndmask_b32_e64 v16, v14, v39, s[30:31]
	v_max3_f32 v13, v13, v15, v16
	v_or_b32_e32 v15, 48, v12
	v_or_b32_e32 v16, 49, v12
	v_cmp_gt_i32_e64 s[34:35], s7, v15
	v_cmp_gt_i32_e64 s[36:37], s7, v16
	s_nop 0
	v_cndmask_b32_e64 v15, v14, v36, s[34:35]
	v_cndmask_b32_e64 v16, v14, v37, s[36:37]
	v_max3_f32 v13, v13, v15, v16
	v_or_b32_e32 v15, 50, v12
	v_or_b32_e32 v12, 51, v12
	v_cmp_gt_i32_e32 vcc, s7, v15
	v_cmp_gt_i32_e64 s[4:5], s7, v12
	s_nop 0
	v_cndmask_b32_e32 v15, v14, v34, vcc
	v_cndmask_b32_e64 v12, v14, v35, s[4:5]
	v_max3_f32 v16, v13, v15, v12
	v_mbcnt_lo_u32_b32 v12, -1, 0
	v_mbcnt_hi_u32_b32 v17, -1, v12
	v_and_b32_e32 v12, 64, v17
	v_add_u32_e32 v18, 64, v12
	v_xor_b32_e32 v12, 32, v17
	v_cmp_lt_i32_e64 s[38:39], v12, v18
	s_nop 1
	v_cndmask_b32_e64 v12, v17, v12, s[38:39]
	v_lshlrev_b32_e32 v52, 2, v12
	ds_bpermute_b32 v19, v52, v16
	v_lshl_add_u64 v[12:13], v[46:47], 0, v[58:59]
	v_mad_i64_i32 v[14:15], s[38:39], v68, s45, v[12:13]
	s_waitcnt lgkmcnt(0)
	v_max_f32_e32 v19, v19, v19
	v_max_f32_e32 v19, v16, v19
	v_xor_b32_e32 v16, 16, v17
	v_cmp_lt_i32_e64 s[38:39], v16, v18
	s_nop 1
	v_cndmask_b32_e64 v16, v17, v16, s[38:39]
	v_lshlrev_b32_e32 v53, 2, v16
	ds_bpermute_b32 v18, v53, v19
	v_mad_i64_i32 v[16:17], s[38:39], v66, s45, v[12:13]
	v_mad_i64_i32 v[44:45], s[38:39], v67, s45, v[12:13]
	s_waitcnt lgkmcnt(0)
	v_max_f32_e32 v18, v18, v18
	v_max_f32_e32 v50, v19, v18
	v_sub_f32_e32 v10, v10, v50
	v_mul_f32_e32 v10, 0x3fb8aa3b, v10
	v_exp_f32_e32 v18, v10
	v_sub_f32_e32 v10, v11, v50
	v_mul_f32_e32 v10, 0x3fb8aa3b, v10
	v_exp_f32_e32 v19, v10
	v_mad_i64_i32 v[10:11], s[38:39], v65, s45, v[12:13]
	v_sub_f32_e32 v12, v51, v50
	v_mul_f32_e32 v12, 0x3fb8aa3b, v12
	v_cndmask_b32_e64 v46, 0, v18, s[8:9]
	v_cndmask_b32_e64 v47, 0, v19, s[10:11]
	v_sub_f32_e32 v58, v31, v50
	global_load_dwordx4 v[30:33], v[14:15], off
	global_load_dwordx4 v[18:21], v[16:17], off
	v_exp_f32_e32 v51, v12
	global_load_dwordx4 v[14:17], v[44:45], off
	s_nop 0
	global_load_dwordx4 v[10:13], v[10:11], off
	v_sub_f32_e32 v45, v48, v50
	v_sub_f32_e32 v48, v49, v50
	;; [unrolled: 1-line block ×4, first 2 shown]
	v_mul_f32_e32 v44, 0x3fb8aa3b, v58
	v_mul_f32_e32 v45, 0x3fb8aa3b, v45
	;; [unrolled: 1-line block ×5, first 2 shown]
	v_exp_f32_e32 v44, v44
	v_exp_f32_e32 v45, v45
	;; [unrolled: 1-line block ×3, first 2 shown]
	v_cndmask_b32_e64 v48, 0, v51, s[12:13]
	v_exp_f32_e32 v40, v40
	v_exp_f32_e32 v51, v42
	v_sub_f32_e32 v42, v43, v50
	v_mul_f32_e32 v42, 0x3fb8aa3b, v42
	v_cndmask_b32_e64 v49, 0, v44, s[14:15]
	v_cndmask_b32_e64 v44, 0, v45, s[16:17]
	;; [unrolled: 1-line block ×3, first 2 shown]
	v_sub_f32_e32 v41, v41, v50
	v_exp_f32_e32 v58, v42
	v_cndmask_b32_e64 v42, 0, v40, s[20:21]
	v_cndmask_b32_e64 v40, 0, v51, s[24:25]
	v_add_f32_e32 v51, 0, v46
	v_mul_f32_e32 v41, 0x3fb8aa3b, v41
	v_add_f32_e32 v51, v51, v47
	v_exp_f32_e32 v41, v41
	v_add_f32_e32 v51, v51, v48
	v_sub_f32_e32 v38, v38, v50
	v_add_f32_e32 v51, v51, v49
	v_sub_f32_e32 v39, v39, v50
	v_mul_f32_e32 v38, 0x3fb8aa3b, v38
	v_add_f32_e32 v51, v51, v44
	v_exp_f32_e32 v38, v38
	v_mul_f32_e32 v39, 0x3fb8aa3b, v39
	v_sub_f32_e32 v36, v36, v50
	v_add_f32_e32 v51, v51, v45
	v_cndmask_b32_e64 v43, 0, v41, s[22:23]
	v_exp_f32_e32 v39, v39
	v_mul_f32_e32 v36, 0x3fb8aa3b, v36
	v_sub_f32_e32 v37, v37, v50
	v_add_f32_e32 v51, v51, v42
	v_exp_f32_e32 v36, v36
	v_mul_f32_e32 v37, 0x3fb8aa3b, v37
	v_add_f32_e32 v51, v51, v43
	v_sub_f32_e32 v34, v34, v50
	v_cndmask_b32_e64 v41, 0, v58, s[26:27]
	v_exp_f32_e32 v37, v37
	v_add_f32_e32 v51, v51, v40
	v_mul_f32_e32 v34, 0x3fb8aa3b, v34
	v_sub_f32_e32 v35, v35, v50
	v_cndmask_b32_e64 v38, 0, v38, s[28:29]
	v_add_f32_e32 v51, v51, v41
	v_exp_f32_e32 v34, v34
	v_mul_f32_e32 v35, 0x3fb8aa3b, v35
	v_cndmask_b32_e64 v39, 0, v39, s[30:31]
	v_add_f32_e32 v51, v51, v38
	v_exp_f32_e32 v35, v35
	v_cndmask_b32_e64 v36, 0, v36, s[34:35]
	v_add_f32_e32 v51, v51, v39
	v_cndmask_b32_e64 v37, 0, v37, s[36:37]
	v_add_f32_e32 v51, v51, v36
	v_add_f32_e32 v51, v51, v37
	v_cndmask_b32_e32 v34, 0, v34, vcc
	v_add_f32_e32 v51, v51, v34
	v_cndmask_b32_e64 v35, 0, v35, s[4:5]
	v_add_f32_e32 v51, v51, v35
	ds_bpermute_b32 v52, v52, v51
	v_cmp_gt_u32_e32 vcc, 16, v55
	s_waitcnt lgkmcnt(0)
	s_barrier
	v_add_f32_e32 v51, v51, v52
	ds_bpermute_b32 v52, v53, v51
	s_and_saveexec_b64 s[4:5], vcc
	s_cbranch_execz .LBB1377_15
; %bb.14:
	s_waitcnt lgkmcnt(0)
	v_add_f32_e32 v51, v51, v52
	v_lshlrev_b32_e32 v52, 2, v64
	ds_write2st64_b32 v52, v50, v51 offset1:1
.LBB1377_15:
	s_or_b64 exec, exec, s[4:5]
	v_lshlrev_b32_e32 v51, 2, v56
	s_load_dword s7, s[0:1], 0x94
	s_waitcnt lgkmcnt(0)
	s_barrier
	ds_read2_b32 v[52:53], v51 offset1:16
	ds_read2_b32 v[58:59], v51 offset0:32 offset1:48
	ds_read2_b32 v[60:61], v51 offset0:64 offset1:80
	s_movk_i32 s9, 0x7fff
	s_mul_i32 s8, s44, 10
	s_waitcnt lgkmcnt(2)
	v_max3_f32 v50, v52, s40, v53
	s_waitcnt lgkmcnt(1)
	v_max3_f32 v50, v50, v58, v59
	v_sub_f32_e32 v52, v52, v50
	v_mul_f32_e32 v52, 0x3fb8aa3b, v52
	v_exp_f32_e32 v55, v52
	v_sub_f32_e32 v52, v53, v50
	v_mul_f32_e32 v52, 0x3fb8aa3b, v52
	v_exp_f32_e32 v63, v52
	;; [unrolled: 3-line block ×3, first 2 shown]
	ds_read2_b32 v[52:53], v51 offset0:96 offset1:112
	v_sub_f32_e32 v51, v59, v50
	v_mul_f32_e32 v51, 0x3fb8aa3b, v51
	v_exp_f32_e32 v59, v51
	s_waitcnt lgkmcnt(1)
	v_fma_f32 v51, v55, v60, 0
	v_fmac_f32_e32 v51, v63, v61
	s_waitcnt lgkmcnt(0)
	v_fmac_f32_e32 v51, v58, v52
	v_fmac_f32_e32 v51, v59, v53
	v_add_f32_e32 v52, 0x358637bd, v51
	v_div_scale_f32 v53, s[4:5], v52, v52, 1.0
	v_rcp_f32_e32 v60, v53
	s_barrier
	v_fma_f32 v61, -v53, v60, 1.0
	v_fmac_f32_e32 v60, v61, v60
	v_div_scale_f32 v61, vcc, 1.0, v52, 1.0
	v_mul_f32_e32 v64, v61, v60
	v_fma_f32 v65, -v53, v64, v61
	v_fmac_f32_e32 v64, v65, v60
	v_fma_f32 v53, -v53, v64, v61
	v_div_fmas_f32 v53, v53, v60, v64
	v_cmp_eq_u32_e32 vcc, 1, v57
	v_div_fixup_f32 v52, v53, v52, 1.0
	s_nop 0
	v_cndmask_b32_e32 v53, v55, v63, vcc
	v_cmp_eq_u32_e32 vcc, 2, v57
	s_nop 1
	v_cndmask_b32_e32 v53, v53, v58, vcc
	v_cmp_eq_u32_e32 vcc, 3, v57
	s_nop 1
	v_cndmask_b32_e32 v53, v53, v59, vcc
	v_mul_f32_e32 v52, v53, v52
	v_pk_mul_f32 v[46:47], v[52:53], v[46:47] op_sel_hi:[0,1]
	v_pk_mul_f32 v[48:49], v[52:53], v[48:49] op_sel_hi:[0,1]
	v_bfe_u32 v53, v47, 16, 1
	v_bfe_u32 v55, v46, 16, 1
	v_add3_u32 v46, v46, v55, s9
	v_add3_u32 v47, v47, v53, s9
	v_perm_b32 v58, v47, v46, s33
	v_bfe_u32 v46, v49, 16, 1
	v_bfe_u32 v47, v48, 16, 1
	v_add3_u32 v47, v48, v47, s9
	v_add3_u32 v46, v49, v46, s9
	v_perm_b32 v59, v46, v47, s33
	v_lshlrev_b32_e32 v47, 3, v62
	v_lshlrev_b32_e32 v46, 5, v56
	;; [unrolled: 1-line block ×3, first 2 shown]
	v_pk_mul_f32 v[44:45], v[52:53], v[44:45] op_sel_hi:[0,1]
	v_or3_b32 v55, v48, v46, v47
	v_bfe_u32 v47, v45, 16, 1
	v_bfe_u32 v48, v44, 16, 1
	v_pk_mul_f32 v[42:43], v[52:53], v[42:43] op_sel_hi:[0,1]
	v_add3_u32 v44, v44, v48, s9
	v_add3_u32 v45, v45, v47, s9
	v_perm_b32 v44, v45, v44, s33
	v_bfe_u32 v45, v43, 16, 1
	v_bfe_u32 v47, v42, 16, 1
	v_add3_u32 v42, v42, v47, s9
	v_add3_u32 v43, v43, v45, s9
	v_pk_mul_f32 v[40:41], v[52:53], v[40:41] op_sel_hi:[0,1]
	v_perm_b32 v45, v43, v42, s33
	v_bfe_u32 v42, v41, 16, 1
	v_bfe_u32 v43, v40, 16, 1
	v_pk_mul_f32 v[38:39], v[52:53], v[38:39] op_sel_hi:[0,1]
	v_add3_u32 v40, v40, v43, s9
	v_add3_u32 v41, v41, v42, s9
	v_perm_b32 v40, v41, v40, s33
	v_bfe_u32 v41, v39, 16, 1
	v_bfe_u32 v42, v38, 16, 1
	v_add3_u32 v38, v38, v42, s9
	v_add3_u32 v39, v39, v41, s9
	v_pk_mul_f32 v[36:37], v[52:53], v[36:37] op_sel_hi:[0,1]
	v_perm_b32 v41, v39, v38, s33
	v_bfe_u32 v38, v37, 16, 1
	v_bfe_u32 v39, v36, 16, 1
	v_pk_mul_f32 v[34:35], v[52:53], v[34:35] op_sel_hi:[0,1]
	v_add3_u32 v36, v36, v39, s9
	v_add3_u32 v37, v37, v38, s9
	v_perm_b32 v36, v37, v36, s33
	v_bfe_u32 v37, v35, 16, 1
	v_bfe_u32 v38, v34, 16, 1
	v_add3_u32 v34, v34, v38, s9
	v_add3_u32 v35, v35, v37, s9
	v_perm_b32 v37, v35, v34, s33
	v_cmp_gt_u32_e32 vcc, 10, v0
	ds_write2st64_b64 v55, v[58:59], v[44:45] offset1:1
	ds_write2st64_b64 v55, v[40:41], v[36:37] offset0:2 offset1:3
	s_and_saveexec_b64 s[4:5], vcc
	s_cbranch_execz .LBB1377_17
; %bb.16:
	s_mov_b32 s49, 0
	v_mov_b32_e32 v57, 0
	v_lshl_add_u64 v[34:35], s[48:49], 0, v[56:57]
	v_mov_b32_e32 v36, s8
	v_mad_u64_u32 v[34:35], s[10:11], s2, v36, v[34:35]
	s_mul_i32 s3, s3, s8
	v_mov_b32_e32 v36, s6
	v_mov_b32_e32 v37, v57
	s_load_dwordx4 s[12:15], s[0:1], 0x58
	v_add_u32_e32 v38, s3, v35
	v_mad_u64_u32 v[34:35], s[10:11], v34, s7, v[36:37]
	v_mov_b32_e32 v36, v35
	v_mad_u64_u32 v[36:37], s[10:11], v38, s7, v[36:37]
	v_mov_b32_e32 v35, v36
	v_lshlrev_b64 v[34:35], 2, v[34:35]
	s_waitcnt lgkmcnt(0)
	v_lshl_add_u64 v[36:37], s[14:15], 0, v[34:35]
	v_lshl_add_u64 v[34:35], s[12:13], 0, v[34:35]
	global_store_dword v[36:37], v50, off
	global_store_dword v[34:35], v51, off
.LBB1377_17:
	s_or_b64 exec, exec, s[4:5]
	s_waitcnt vmcnt(7)
	v_cvt_pk_f32_fp8_e32 v[34:35], v6
	v_cvt_pk_f32_fp8_sdwa v[36:37], v6 src0_sel:WORD_1
	v_lshl_or_b32 v50, v62, 9, v46
	s_mov_b32 s5, 0x7060302
	s_waitcnt lgkmcnt(0)
	s_barrier
	v_cvt_pk_f32_fp8_e32 v[38:39], v7
	v_perm_b32 v6, v35, v34, s5
	v_cvt_pk_f32_fp8_sdwa v[40:41], v7 src0_sel:WORD_1
	v_perm_b32 v7, v37, v36, s5
	ds_read_b128 v[34:37], v50
	v_perm_b32 v46, v39, v38, s5
	v_perm_b32 v47, v41, v40, s5
	ds_read_b128 v[38:41], v50 offset:16
	v_cvt_pk_f32_fp8_e32 v[48:49], v8
	v_cvt_pk_f32_fp8_sdwa v[52:53], v8 src0_sel:WORD_1
	s_waitcnt lgkmcnt(1)
	v_mfma_f32_16x16x16_bf16 v[42:45], v[6:7], v[34:35], 0
	s_waitcnt vmcnt(6)
	v_cvt_pk_f32_fp8_e32 v[58:59], v4
	v_perm_b32 v6, v49, v48, s5
	v_perm_b32 v7, v53, v52, s5
	v_cvt_pk_f32_fp8_e32 v[48:49], v9
	v_mfma_f32_16x16x16_bf16 v[42:45], v[46:47], v[36:37], v[42:45]
	v_cvt_pk_f32_fp8_sdwa v[46:47], v9 src0_sel:WORD_1
	v_cvt_pk_f32_fp8_sdwa v[60:61], v4 src0_sel:WORD_1
	v_perm_b32 v48, v49, v48, s5
	s_waitcnt lgkmcnt(0)
	v_mfma_f32_16x16x16_bf16 v[6:9], v[6:7], v[38:39], v[42:45]
	v_perm_b32 v49, v47, v46, s5
	s_waitcnt vmcnt(5)
	v_cvt_pk_f32_fp8_e32 v[64:65], v28
	v_cvt_pk_f32_fp8_sdwa v[66:67], v28 src0_sel:WORD_1
	v_cvt_pk_f32_fp8_e32 v[42:43], v2
	v_mfma_f32_16x16x16_bf16 v[46:49], v[48:49], v[40:41], v[6:9]
	s_waitcnt vmcnt(4)
	v_cvt_pk_f32_fp8_sdwa v[68:69], v24 src0_sel:WORD_1
	s_load_dword s4, s[42:43], 0x0
	v_cvt_pk_f32_fp8_sdwa v[6:7], v2 src0_sel:WORD_1
	v_cvt_pk_f32_fp8_e32 v[8:9], v3
	v_perm_b32 v2, v43, v42, s5
	v_cvt_pk_f32_fp8_sdwa v[42:43], v3 src0_sel:WORD_1
	v_perm_b32 v3, v7, v6, s5
	v_perm_b32 v52, v9, v8, s5
	ds_read_b128 v[6:9], v50 offset:2048
	v_perm_b32 v53, v43, v42, s5
	ds_read_b128 v[42:45], v50 offset:2064
	s_waitcnt lgkmcnt(0)
	v_mfma_f32_16x16x16_bf16 v[46:49], v[2:3], v[6:7], v[46:49]
	v_perm_b32 v2, v59, v58, s5
	v_perm_b32 v3, v61, v60, s5
	v_cvt_pk_f32_fp8_e32 v[58:59], v5
	v_mfma_f32_16x16x16_bf16 v[46:49], v[52:53], v[8:9], v[46:49]
	v_cvt_pk_f32_fp8_sdwa v[52:53], v5 src0_sel:WORD_1
	s_waitcnt vmcnt(3)
	v_cvt_pk_f32_fp8_sdwa v[70:71], v32 src0_sel:WORD_1
	v_perm_b32 v58, v59, v58, s5
	v_mfma_f32_16x16x16_bf16 v[2:5], v[2:3], v[42:43], v[46:49]
	v_perm_b32 v59, v53, v52, s5
	s_mov_b32 s3, 0
	v_cmp_gt_u32_e32 vcc, 64, v0
	v_cvt_pk_f32_fp8_e32 v[46:47], v26
	v_mfma_f32_16x16x16_bf16 v[58:61], v[58:59], v[44:45], v[2:5]
	s_nop 2
	v_cvt_pk_f32_fp8_sdwa v[2:3], v26 src0_sel:WORD_1
	v_cvt_pk_f32_fp8_e32 v[4:5], v27
	v_perm_b32 v26, v47, v46, s5
	v_cvt_pk_f32_fp8_sdwa v[46:47], v27 src0_sel:WORD_1
	v_perm_b32 v27, v3, v2, s5
	v_perm_b32 v52, v5, v4, s5
	ds_read_b128 v[2:5], v50 offset:4096
	v_perm_b32 v53, v47, v46, s5
	ds_read_b128 v[46:49], v50 offset:4112
	s_waitcnt lgkmcnt(1)
	v_mfma_f32_16x16x16_bf16 v[58:61], v[26:27], v[2:3], v[58:61]
	v_perm_b32 v26, v65, v64, s5
	v_perm_b32 v27, v67, v66, s5
	v_cvt_pk_f32_fp8_e32 v[64:65], v29
	v_mfma_f32_16x16x16_bf16 v[58:61], v[52:53], v[4:5], v[58:61]
	v_cvt_pk_f32_fp8_sdwa v[52:53], v29 src0_sel:WORD_1
	v_cvt_pk_f32_fp8_e32 v[66:67], v24
	v_perm_b32 v64, v65, v64, s5
	s_waitcnt lgkmcnt(0)
	v_mfma_f32_16x16x16_bf16 v[26:29], v[26:27], v[46:47], v[58:61]
	v_perm_b32 v65, v53, v52, s5
	v_cvt_pk_f32_fp8_e32 v[52:53], v22
	s_nop 0
	v_mfma_f32_16x16x16_bf16 v[58:61], v[64:65], v[48:49], v[26:29]
	s_nop 2
	v_cvt_pk_f32_fp8_sdwa v[26:27], v22 src0_sel:WORD_1
	v_cvt_pk_f32_fp8_e32 v[28:29], v23
	v_perm_b32 v22, v53, v52, s5
	v_cvt_pk_f32_fp8_sdwa v[52:53], v23 src0_sel:WORD_1
	v_perm_b32 v23, v27, v26, s5
	v_perm_b32 v64, v29, v28, s5
	ds_read_b128 v[26:29], v50 offset:6144
	v_perm_b32 v65, v53, v52, s5
	s_waitcnt lgkmcnt(0)
	v_mfma_f32_16x16x16_bf16 v[58:61], v[22:23], v[26:27], v[58:61]
	ds_read_b128 v[50:53], v50 offset:6160
	v_perm_b32 v22, v67, v66, s5
	v_perm_b32 v23, v69, v68, s5
	v_cvt_pk_f32_fp8_e32 v[66:67], v25
	v_mfma_f32_16x16x16_bf16 v[58:61], v[64:65], v[28:29], v[58:61]
	v_cvt_pk_f32_fp8_sdwa v[64:65], v25 src0_sel:WORD_1
	v_cvt_pk_f32_fp8_e32 v[68:69], v32
	v_perm_b32 v66, v67, v66, s5
	s_waitcnt lgkmcnt(0)
	v_mfma_f32_16x16x16_bf16 v[22:25], v[22:23], v[50:51], v[58:61]
	v_perm_b32 v67, v65, v64, s5
	s_barrier
	s_nop 0
	v_mfma_f32_16x16x16_bf16 v[58:61], v[66:67], v[52:53], v[22:25]
	s_nop 2
	v_cvt_pk_f32_fp8_e32 v[24:25], v30
	v_perm_b32 v24, v25, v24, s5
	s_nop 1
	v_pk_mul_f32 v[22:23], v[60:61], s[4:5] op_sel_hi:[1,0]
	v_cvt_pk_f32_fp8_sdwa v[60:61], v30 src0_sel:WORD_1
	v_pk_mul_f32 v[64:65], v[58:59], s[4:5] op_sel_hi:[1,0]
	v_cvt_pk_f32_fp8_e32 v[58:59], v31
	v_cvt_pk_f32_fp8_sdwa v[30:31], v31 src0_sel:WORD_1
	v_perm_b32 v25, v61, v60, s5
	v_bfe_u32 v57, v65, 16, 1
	v_perm_b32 v66, v59, v58, s5
	v_perm_b32 v67, v31, v30, s5
	v_mfma_f32_16x16x16_bf16 v[58:61], v[24:25], v[34:35], 0
	v_perm_b32 v24, v69, v68, s5
	v_perm_b32 v25, v71, v70, s5
	v_cvt_pk_f32_fp8_e32 v[34:35], v33
	v_cvt_pk_f32_fp8_sdwa v[68:69], v33 src0_sel:WORD_1
	v_mfma_f32_16x16x16_bf16 v[30:33], v[66:67], v[36:37], v[58:61]
	s_waitcnt vmcnt(2)
	v_cvt_pk_f32_fp8_sdwa v[36:37], v18 src0_sel:WORD_1
	v_perm_b32 v34, v35, v34, s5
	v_perm_b32 v35, v69, v68, s5
	v_mfma_f32_16x16x16_bf16 v[30:33], v[24:25], v[38:39], v[30:33]
	v_cvt_pk_f32_fp8_e32 v[24:25], v18
	v_cvt_pk_f32_fp8_sdwa v[38:39], v20 src0_sel:WORD_1
	v_bfe_u32 v58, v64, 16, 1
	v_mfma_f32_16x16x16_bf16 v[30:33], v[34:35], v[40:41], v[30:33]
	v_cvt_pk_f32_fp8_e32 v[34:35], v19
	v_perm_b32 v24, v25, v24, s5
	v_perm_b32 v25, v37, v36, s5
	v_cvt_pk_f32_fp8_sdwa v[18:19], v19 src0_sel:WORD_1
	v_perm_b32 v34, v35, v34, s5
	v_cvt_pk_f32_fp8_e32 v[36:37], v20
	v_mfma_f32_16x16x16_bf16 v[30:33], v[24:25], v[6:7], v[30:33]
	v_perm_b32 v35, v19, v18, s5
	v_perm_b32 v18, v37, v36, s5
	v_perm_b32 v19, v39, v38, s5
	v_cvt_pk_f32_fp8_e32 v[24:25], v21
	v_cvt_pk_f32_fp8_sdwa v[20:21], v21 src0_sel:WORD_1
	v_mfma_f32_16x16x16_bf16 v[6:9], v[34:35], v[8:9], v[30:33]
	v_perm_b32 v24, v25, v24, s5
	v_perm_b32 v25, v21, v20, s5
	v_mfma_f32_16x16x16_bf16 v[6:9], v[18:19], v[42:43], v[6:9]
	s_waitcnt vmcnt(1)
	v_cvt_pk_f32_fp8_e32 v[18:19], v14
	v_cvt_pk_f32_fp8_sdwa v[20:21], v14 src0_sel:WORD_1
	v_cvt_pk_f32_fp8_sdwa v[30:31], v16 src0_sel:WORD_1
	v_mfma_f32_16x16x16_bf16 v[6:9], v[24:25], v[44:45], v[6:9]
	v_cvt_pk_f32_fp8_e32 v[24:25], v15
	v_perm_b32 v18, v19, v18, s5
	v_perm_b32 v19, v21, v20, s5
	v_cvt_pk_f32_fp8_sdwa v[14:15], v15 src0_sel:WORD_1
	v_perm_b32 v20, v25, v24, s5
	v_cvt_pk_f32_fp8_e32 v[24:25], v16
	v_mfma_f32_16x16x16_bf16 v[6:9], v[18:19], v[2:3], v[6:9]
	v_perm_b32 v21, v15, v14, s5
	v_perm_b32 v14, v25, v24, s5
	;; [unrolled: 1-line block ×3, first 2 shown]
	v_cvt_pk_f32_fp8_e32 v[18:19], v17
	v_cvt_pk_f32_fp8_sdwa v[16:17], v17 src0_sel:WORD_1
	v_mfma_f32_16x16x16_bf16 v[2:5], v[20:21], v[4:5], v[6:9]
	v_add3_u32 v32, v64, v58, s9
	v_add3_u32 v33, v65, v57, s9
	s_nop 0
	v_perm_b32 v8, v19, v18, s5
	v_perm_b32 v9, v17, v16, s5
	v_mfma_f32_16x16x16_bf16 v[2:5], v[14:15], v[46:47], v[2:5]
	s_waitcnt vmcnt(0)
	v_cvt_pk_f32_fp8_e32 v[14:15], v10
	v_cvt_pk_f32_fp8_sdwa v[16:17], v10 src0_sel:WORD_1
	v_cvt_pk_f32_fp8_sdwa v[18:19], v12 src0_sel:WORD_1
	v_mfma_f32_16x16x16_bf16 v[2:5], v[8:9], v[48:49], v[2:5]
	v_cvt_pk_f32_fp8_e32 v[8:9], v11
	v_perm_b32 v14, v15, v14, s5
	v_perm_b32 v15, v17, v16, s5
	v_cvt_pk_f32_fp8_sdwa v[10:11], v11 src0_sel:WORD_1
	v_perm_b32 v8, v9, v8, s5
	v_cvt_pk_f32_fp8_e32 v[16:17], v12
	v_mfma_f32_16x16x16_bf16 v[2:5], v[14:15], v[26:27], v[2:5]
	v_perm_b32 v9, v11, v10, s5
	v_perm_b32 v10, v17, v16, s5
	;; [unrolled: 1-line block ×3, first 2 shown]
	v_cvt_pk_f32_fp8_e32 v[14:15], v13
	v_cvt_pk_f32_fp8_sdwa v[12:13], v13 src0_sel:WORD_1
	v_mfma_f32_16x16x16_bf16 v[2:5], v[8:9], v[28:29], v[2:5]
	v_bfe_u32 v7, v23, 16, 1
	v_perm_b32 v8, v15, v14, s5
	v_perm_b32 v9, v13, v12, s5
	v_mfma_f32_16x16x16_bf16 v[2:5], v[10:11], v[50:51], v[2:5]
	v_bfe_u32 v16, v22, 16, 1
	v_add3_u32 v10, v22, v16, s9
	v_add3_u32 v7, v23, v7, s9
	v_mfma_f32_16x16x16_bf16 v[2:5], v[8:9], v[52:53], v[2:5]
	v_perm_b32 v6, v33, v32, s5
	v_perm_b32 v7, v7, v10, s5
	s_nop 4
	v_pk_mul_f32 v[2:3], v[2:3], s[4:5] op_sel_hi:[1,0]
	v_pk_mul_f32 v[4:5], v[4:5], s[4:5] op_sel_hi:[1,0]
	v_bfe_u32 v8, v3, 16, 1
	v_bfe_u32 v9, v2, 16, 1
	v_add3_u32 v2, v2, v9, s9
	v_add3_u32 v3, v3, v8, s9
	v_perm_b32 v2, v3, v2, s5
	v_bfe_u32 v3, v5, 16, 1
	v_bfe_u32 v8, v4, 16, 1
	v_add3_u32 v4, v4, v8, s9
	v_add3_u32 v3, v5, v3, s9
	v_perm_b32 v3, v3, v4, s5
	ds_write2st64_b64 v55, v[6:7], v[2:3] offset1:1
	s_waitcnt lgkmcnt(0)
	s_barrier
	s_and_saveexec_b64 s[4:5], vcc
	s_cbranch_execz .LBB1377_20
; %bb.18:
	s_load_dwordx2 s[4:5], s[0:1], 0x68
	s_lshl_b32 s0, s7, 7
	s_mul_i32 s1, s8, s2
	v_lshlrev_b32_e32 v3, 6, v56
	s_mul_hi_u32 s9, s1, s0
	s_mul_i32 s8, s1, s0
	v_lshl_or_b32 v0, v0, 10, v3
	s_lshl_b64 s[8:9], s[8:9], 1
	v_lshlrev_b32_e32 v2, 5, v62
	v_and_b32_e32 v1, 16, v1
	v_and_b32_e32 v0, 0x1a00, v0
	s_waitcnt lgkmcnt(0)
	s_add_u32 s1, s4, s8
	v_or3_b32 v2, v0, v2, v1
	s_addc_u32 s4, s5, s9
	s_lshl_b32 s2, s6, 7
	s_lshl_b64 s[2:3], s[2:3], 1
	ds_read_b128 v[4:7], v2 offset:128
	ds_read_b128 v[8:11], v2
	s_add_u32 s2, s1, s2
	s_addc_u32 s3, s4, s3
	v_mov_b32_e32 v55, 0
	v_add_u32_e32 v14, s48, v62
	v_lshl_add_u64 v[0:1], s[2:3], 0, v[54:55]
	v_mad_u64_u32 v[12:13], s[2:3], v14, s0, 0
	v_lshl_add_u64 v[12:13], v[12:13], 1, v[0:1]
	s_waitcnt lgkmcnt(0)
	global_store_dwordx4 v[12:13], v[8:11], off
	v_or_b32_e32 v3, 8, v62
	v_cmp_gt_u32_e32 vcc, 10, v3
	v_add_u32_e32 v8, 4, v14
	v_mad_u64_u32 v[8:9], s[2:3], v8, s0, 0
	v_lshl_add_u64 v[8:9], v[8:9], 1, v[0:1]
	global_store_dwordx4 v[8:9], v[4:7], off
	s_and_b64 exec, exec, vcc
	s_cbranch_execz .LBB1377_20
; %bb.19:
	ds_read_b128 v[4:7], v2 offset:256
	v_add_u32_e32 v2, s48, v3
	v_mad_u64_u32 v[2:3], s[0:1], v2, s0, 0
	v_lshl_add_u64 v[0:1], v[2:3], 1, v[0:1]
	s_waitcnt lgkmcnt(0)
	global_store_dwordx4 v[0:1], v[4:7], off
.LBB1377_20:
	s_endpgm
	.section	.rodata,"a",@progbits
	.p2align	6, 0x0
	.amdhsa_kernel _Z39paged_attention_ll4mi_QKV_mfma16_kernelI14__hip_bfloat16hLN4vllm18Fp8KVCacheDataTypeE1ES0_Li32ELi128ELi256ELb1ELi10EEvPKT_PKT0_S8_ifPKiSA_SA_iPKfiiiPfSD_PS3_PT2_iSC_SC_
		.amdhsa_group_segment_fixed_size 8192
		.amdhsa_private_segment_fixed_size 0
		.amdhsa_kernarg_size 400
		.amdhsa_user_sgpr_count 2
		.amdhsa_user_sgpr_dispatch_ptr 0
		.amdhsa_user_sgpr_queue_ptr 0
		.amdhsa_user_sgpr_kernarg_segment_ptr 1
		.amdhsa_user_sgpr_dispatch_id 0
		.amdhsa_user_sgpr_kernarg_preload_length 0
		.amdhsa_user_sgpr_kernarg_preload_offset 0
		.amdhsa_user_sgpr_private_segment_size 0
		.amdhsa_uses_dynamic_stack 0
		.amdhsa_enable_private_segment 0
		.amdhsa_system_sgpr_workgroup_id_x 1
		.amdhsa_system_sgpr_workgroup_id_y 1
		.amdhsa_system_sgpr_workgroup_id_z 1
		.amdhsa_system_sgpr_workgroup_info 0
		.amdhsa_system_vgpr_workitem_id 0
		.amdhsa_next_free_vgpr 78
		.amdhsa_next_free_sgpr 50
		.amdhsa_accum_offset 80
		.amdhsa_reserve_vcc 1
		.amdhsa_float_round_mode_32 0
		.amdhsa_float_round_mode_16_64 0
		.amdhsa_float_denorm_mode_32 3
		.amdhsa_float_denorm_mode_16_64 3
		.amdhsa_dx10_clamp 1
		.amdhsa_ieee_mode 1
		.amdhsa_fp16_overflow 0
		.amdhsa_tg_split 0
		.amdhsa_exception_fp_ieee_invalid_op 0
		.amdhsa_exception_fp_denorm_src 0
		.amdhsa_exception_fp_ieee_div_zero 0
		.amdhsa_exception_fp_ieee_overflow 0
		.amdhsa_exception_fp_ieee_underflow 0
		.amdhsa_exception_fp_ieee_inexact 0
		.amdhsa_exception_int_div_zero 0
	.end_amdhsa_kernel
	.section	.text._Z39paged_attention_ll4mi_QKV_mfma16_kernelI14__hip_bfloat16hLN4vllm18Fp8KVCacheDataTypeE1ES0_Li32ELi128ELi256ELb1ELi10EEvPKT_PKT0_S8_ifPKiSA_SA_iPKfiiiPfSD_PS3_PT2_iSC_SC_,"axG",@progbits,_Z39paged_attention_ll4mi_QKV_mfma16_kernelI14__hip_bfloat16hLN4vllm18Fp8KVCacheDataTypeE1ES0_Li32ELi128ELi256ELb1ELi10EEvPKT_PKT0_S8_ifPKiSA_SA_iPKfiiiPfSD_PS3_PT2_iSC_SC_,comdat
.Lfunc_end1377:
	.size	_Z39paged_attention_ll4mi_QKV_mfma16_kernelI14__hip_bfloat16hLN4vllm18Fp8KVCacheDataTypeE1ES0_Li32ELi128ELi256ELb1ELi10EEvPKT_PKT0_S8_ifPKiSA_SA_iPKfiiiPfSD_PS3_PT2_iSC_SC_, .Lfunc_end1377-_Z39paged_attention_ll4mi_QKV_mfma16_kernelI14__hip_bfloat16hLN4vllm18Fp8KVCacheDataTypeE1ES0_Li32ELi128ELi256ELb1ELi10EEvPKT_PKT0_S8_ifPKiSA_SA_iPKfiiiPfSD_PS3_PT2_iSC_SC_
                                        ; -- End function
	.section	.AMDGPU.csdata,"",@progbits
; Kernel info:
; codeLenInByte = 6684
; NumSgprs: 56
; NumVgprs: 78
; NumAgprs: 0
; TotalNumVgprs: 78
; ScratchSize: 0
; MemoryBound: 0
; FloatMode: 240
; IeeeMode: 1
; LDSByteSize: 8192 bytes/workgroup (compile time only)
; SGPRBlocks: 6
; VGPRBlocks: 9
; NumSGPRsForWavesPerEU: 56
; NumVGPRsForWavesPerEU: 78
; AccumOffset: 80
; Occupancy: 6
; WaveLimiterHint : 1
; COMPUTE_PGM_RSRC2:SCRATCH_EN: 0
; COMPUTE_PGM_RSRC2:USER_SGPR: 2
; COMPUTE_PGM_RSRC2:TRAP_HANDLER: 0
; COMPUTE_PGM_RSRC2:TGID_X_EN: 1
; COMPUTE_PGM_RSRC2:TGID_Y_EN: 1
; COMPUTE_PGM_RSRC2:TGID_Z_EN: 1
; COMPUTE_PGM_RSRC2:TIDIG_COMP_CNT: 0
; COMPUTE_PGM_RSRC3_GFX90A:ACCUM_OFFSET: 19
; COMPUTE_PGM_RSRC3_GFX90A:TG_SPLIT: 0
	.section	.text._Z39paged_attention_ll4mi_QKV_mfma16_kernelI14__hip_bfloat16hLN4vllm18Fp8KVCacheDataTypeE1ES0_Li32ELi128ELi256ELb1ELi11EEvPKT_PKT0_S8_ifPKiSA_SA_iPKfiiiPfSD_PS3_PT2_iSC_SC_,"axG",@progbits,_Z39paged_attention_ll4mi_QKV_mfma16_kernelI14__hip_bfloat16hLN4vllm18Fp8KVCacheDataTypeE1ES0_Li32ELi128ELi256ELb1ELi11EEvPKT_PKT0_S8_ifPKiSA_SA_iPKfiiiPfSD_PS3_PT2_iSC_SC_,comdat
	.protected	_Z39paged_attention_ll4mi_QKV_mfma16_kernelI14__hip_bfloat16hLN4vllm18Fp8KVCacheDataTypeE1ES0_Li32ELi128ELi256ELb1ELi11EEvPKT_PKT0_S8_ifPKiSA_SA_iPKfiiiPfSD_PS3_PT2_iSC_SC_ ; -- Begin function _Z39paged_attention_ll4mi_QKV_mfma16_kernelI14__hip_bfloat16hLN4vllm18Fp8KVCacheDataTypeE1ES0_Li32ELi128ELi256ELb1ELi11EEvPKT_PKT0_S8_ifPKiSA_SA_iPKfiiiPfSD_PS3_PT2_iSC_SC_
	.globl	_Z39paged_attention_ll4mi_QKV_mfma16_kernelI14__hip_bfloat16hLN4vllm18Fp8KVCacheDataTypeE1ES0_Li32ELi128ELi256ELb1ELi11EEvPKT_PKT0_S8_ifPKiSA_SA_iPKfiiiPfSD_PS3_PT2_iSC_SC_
	.p2align	8
	.type	_Z39paged_attention_ll4mi_QKV_mfma16_kernelI14__hip_bfloat16hLN4vllm18Fp8KVCacheDataTypeE1ES0_Li32ELi128ELi256ELb1ELi11EEvPKT_PKT0_S8_ifPKiSA_SA_iPKfiiiPfSD_PS3_PT2_iSC_SC_,@function
_Z39paged_attention_ll4mi_QKV_mfma16_kernelI14__hip_bfloat16hLN4vllm18Fp8KVCacheDataTypeE1ES0_Li32ELi128ELi256ELb1ELi11EEvPKT_PKT0_S8_ifPKiSA_SA_iPKfiiiPfSD_PS3_PT2_iSC_SC_: ; @_Z39paged_attention_ll4mi_QKV_mfma16_kernelI14__hip_bfloat16hLN4vllm18Fp8KVCacheDataTypeE1ES0_Li32ELi128ELi256ELb1ELi11EEvPKT_PKT0_S8_ifPKiSA_SA_iPKfiiiPfSD_PS3_PT2_iSC_SC_
; %bb.0:
	s_load_dwordx2 s[10:11], s[0:1], 0x30
	s_mov_b32 s6, s3
	s_mov_b64 s[8:9], 0
	s_waitcnt lgkmcnt(0)
	s_cmp_lg_u64 s[10:11], 0
	s_cselect_b64 s[12:13], -1, 0
	s_and_b64 vcc, exec, s[12:13]
	s_cbranch_vccz .LBB1378_7
; %bb.1:
	s_add_i32 s14, s2, 1
	s_mov_b32 s15, 0
	s_lshl_b64 s[16:17], s[14:15], 2
	s_add_u32 s16, s10, s16
	s_mov_b32 s3, s15
	s_addc_u32 s17, s11, s17
	s_lshl_b64 s[14:15], s[2:3], 2
	s_add_u32 s14, s10, s14
	s_addc_u32 s15, s11, s15
	s_load_dword s5, s[16:17], 0x0
	s_load_dword s7, s[14:15], 0x0
	s_waitcnt lgkmcnt(0)
	s_sub_i32 s5, s5, s7
	s_cmp_eq_u32 s5, 1
	s_cselect_b64 s[14:15], -1, 0
	s_andn2_b64 vcc, exec, s[8:9]
	s_cbranch_vccnz .LBB1378_3
.LBB1378_2:
	s_mov_b32 s3, 0
	s_mov_b64 s[14:15], -1
.LBB1378_3:
	s_andn2_b64 vcc, exec, s[14:15]
	s_cbranch_vccnz .LBB1378_20
; %bb.4:
	s_load_dwordx2 s[8:9], s[0:1], 0x28
	s_lshl_b64 s[14:15], s[2:3], 2
	s_waitcnt lgkmcnt(0)
	s_add_u32 s8, s8, s14
	s_addc_u32 s9, s9, s15
	s_load_dword s7, s[8:9], 0x0
	s_lshl_b32 s18, s6, 8
	s_waitcnt lgkmcnt(0)
	s_cmp_ge_i32 s18, s7
	s_cbranch_scc1 .LBB1378_20
; %bb.5:
	s_load_dwordx2 s[8:9], s[0:1], 0x20
	s_load_dword s5, s[0:1], 0x38
	s_add_i32 s16, s7, 31
	s_ashr_i32 s17, s16, 31
	v_and_b32_e32 v1, 0xcf, v0
	s_lshr_b32 s17, s17, 27
	v_add_u32_e32 v1, s18, v1
	s_add_i32 s16, s16, s17
	v_ashrrev_i32_e32 v2, 31, v1
	s_ashr_i32 s19, s16, 5
	v_lshrrev_b32_e32 v4, 27, v2
	s_add_i32 s19, s19, -1
	s_waitcnt lgkmcnt(0)
	s_mul_i32 s16, s2, s5
	s_mov_b32 s17, 0
	v_add_u32_e32 v2, v1, v4
	s_lshl_b64 s[16:17], s[16:17], 2
	v_ashrrev_i32_e32 v2, 5, v2
	v_mov_b32_e32 v5, s19
	v_cmp_gt_i32_e32 vcc, s7, v1
	s_add_u32 s8, s8, s16
	s_addc_u32 s9, s9, s17
	v_cndmask_b32_e32 v2, v5, v2, vcc
	v_ashrrev_i32_e32 v3, 31, v2
	v_lshl_add_u64 v[6:7], v[2:3], 2, s[8:9]
	v_or_b32_e32 v2, 16, v1
	v_add_u32_e32 v3, v2, v4
	v_ashrrev_i32_e32 v3, 5, v3
	v_cmp_gt_i32_e32 vcc, s7, v2
	s_load_dwordx2 s[16:17], s[0:1], 0x8
	s_nop 0
	v_cndmask_b32_e32 v2, v5, v3, vcc
	v_ashrrev_i32_e32 v3, 31, v2
	v_lshl_add_u64 v[8:9], v[2:3], 2, s[8:9]
	v_or_b32_e32 v2, 32, v1
	v_add_u32_e32 v3, v2, v4
	v_ashrrev_i32_e32 v3, 5, v3
	v_cmp_gt_i32_e32 vcc, s7, v2
	v_or_b32_e32 v1, 48, v1
	s_nop 0
	v_cndmask_b32_e32 v2, v5, v3, vcc
	v_ashrrev_i32_e32 v3, 31, v2
	v_lshl_add_u64 v[12:13], v[2:3], 2, s[8:9]
	v_add_u32_e32 v2, v1, v4
	v_ashrrev_i32_e32 v2, 5, v2
	v_cmp_gt_i32_e32 vcc, s7, v1
	s_nop 1
	v_cndmask_b32_e32 v2, v5, v2, vcc
	v_ashrrev_i32_e32 v3, 31, v2
	v_lshl_add_u64 v[14:15], v[2:3], 2, s[8:9]
	global_load_dword v4, v[6:7], off
	global_load_dword v3, v[8:9], off
	;; [unrolled: 1-line block ×4, first 2 shown]
	s_andn2_b64 vcc, exec, s[12:13]
	s_cbranch_vccnz .LBB1378_8
; %bb.6:
	s_add_u32 s10, s10, s14
	s_addc_u32 s11, s11, s15
	s_load_dword s5, s[10:11], 0x0
	s_branch .LBB1378_9
.LBB1378_7:
	s_mov_b64 s[14:15], 0
	s_branch .LBB1378_2
.LBB1378_8:
	s_mov_b32 s5, s2
.LBB1378_9:
	s_load_dwordx2 s[10:11], s[0:1], 0x10
	s_load_dwordx4 s[44:47], s[0:1], 0x48
	v_lshrrev_b32_e32 v57, 6, v0
	v_bfe_u32 v62, v0, 4, 2
	v_and_b32_e32 v56, 15, v0
	v_lshl_or_b32 v5, v57, 2, v62
	v_lshlrev_b32_e32 v1, 3, v56
	s_mul_i32 s48, s4, 11
	v_cmp_gt_u32_e32 vcc, 11, v5
	v_lshlrev_b32_e32 v54, 1, v1
	v_lshlrev_b32_e32 v1, 4, v0
	s_and_saveexec_b64 s[12:13], vcc
	s_cbranch_execz .LBB1378_11
; %bb.10:
	s_load_dwordx2 s[14:15], s[0:1], 0x0
	s_waitcnt lgkmcnt(0)
	s_ashr_i32 s20, s44, 31
	s_mul_hi_u32 s21, s5, s44
	s_mul_i32 s20, s5, s20
	s_add_i32 s21, s21, s20
	s_mul_i32 s20, s5, s44
	s_lshl_b64 s[20:21], s[20:21], 1
	s_add_u32 s14, s14, s20
	v_add_lshl_u32 v6, v5, s48, 7
	s_addc_u32 s15, s15, s21
	v_ashrrev_i32_e32 v7, 31, v6
	v_lshl_add_u64 v[6:7], v[6:7], 1, s[14:15]
	v_mov_b32_e32 v55, 0
	v_lshl_add_u64 v[6:7], v[6:7], 0, v[54:55]
	global_load_dwordx4 v[6:9], v[6:7], off
	v_lshlrev_b32_e32 v12, 8, v0
	v_lshlrev_b32_e32 v11, 8, v56
	v_and_b32_e32 v12, 0x600, v12
	s_movk_i32 s5, 0x800
	v_and_or_b32 v11, v11, s5, v12
	v_lshlrev_b32_e32 v5, 5, v5
	v_and_b32_e32 v12, 16, v1
	v_or3_b32 v5, v11, v5, v12
	s_waitcnt vmcnt(0)
	ds_write_b128 v5, v[6:9]
.LBB1378_11:
	s_or_b64 exec, exec, s[12:13]
	s_waitcnt lgkmcnt(0)
	s_mul_i32 s12, s4, s46
	s_add_u32 s4, s16, s12
	s_addc_u32 s5, s17, 0
	v_mov_b32_e32 v59, 0
	v_mov_b64_e32 v[12:13], s[4:5]
	v_and_b32_e32 v34, 48, v0
	s_waitcnt vmcnt(3)
	v_mad_i64_i32 v[4:5], s[4:5], v4, s45, v[12:13]
	v_lshlrev_b32_e32 v14, 4, v56
	v_mov_b32_e32 v15, v59
	v_lshlrev_b32_e32 v58, 5, v34
	v_lshl_add_u64 v[4:5], v[4:5], 0, v[14:15]
	v_lshl_add_u64 v[4:5], v[4:5], 0, v[58:59]
	s_barrier
	global_load_dwordx4 v[50:53], v[4:5], off
	global_load_dwordx4 v[46:49], v[4:5], off offset:2048
	s_waitcnt vmcnt(4)
	v_mad_i64_i32 v[4:5], s[4:5], v3, s45, v[12:13]
	v_or_b32_e32 v16, 0x100, v14
	v_mov_b32_e32 v17, v59
	s_waitcnt vmcnt(3)
	v_mad_i64_i32 v[2:3], s[4:5], v2, s45, v[12:13]
	v_lshl_add_u64 v[4:5], v[4:5], 0, v[16:17]
	v_lshl_add_u64 v[2:3], v[2:3], 0, v[14:15]
	s_waitcnt vmcnt(2)
	v_mad_i64_i32 v[10:11], s[4:5], v10, s45, v[12:13]
	v_lshl_add_u64 v[4:5], v[4:5], 0, v[58:59]
	v_lshl_add_u64 v[14:15], v[2:3], 0, v[58:59]
	v_lshl_add_u64 v[10:11], v[10:11], 0, v[16:17]
	global_load_dwordx4 v[36:39], v[4:5], off
	global_load_dwordx4 v[6:9], v[4:5], off offset:2048
	s_nop 0
	global_load_dwordx4 v[2:5], v[14:15], off
	global_load_dwordx4 v[42:45], v[14:15], off offset:2048
	v_lshl_add_u64 v[14:15], v[10:11], 0, v[58:59]
	global_load_dwordx4 v[26:29], v[14:15], off
	global_load_dwordx4 v[10:13], v[14:15], off offset:2048
	v_add_u32_e32 v14, -11, v56
	v_cmp_gt_u32_e32 vcc, 11, v56
	v_and_b32_e32 v55, 63, v0
	v_mov_b32_e32 v63, 0
	v_cndmask_b32_e32 v14, v14, v56, vcc
	v_lshlrev_b32_e32 v14, 5, v14
	v_lshl_add_u32 v14, v62, 9, v14
	ds_read_b128 v[30:33], v14
	ds_read_b128 v[22:25], v14 offset:16
	ds_read_b128 v[18:21], v14 offset:2048
	;; [unrolled: 1-line block ×3, first 2 shown]
	s_and_saveexec_b64 s[4:5], vcc
	s_cbranch_execz .LBB1378_13
; %bb.12:
	s_load_dwordx2 s[14:15], s[0:1], 0x40
	v_add_u32_e32 v40, s48, v56
	v_ashrrev_i32_e32 v41, 31, v40
	s_waitcnt lgkmcnt(0)
	v_lshl_add_u64 v[40:41], v[40:41], 2, s[14:15]
	global_load_dword v63, v[40:41], off
.LBB1378_13:
	s_or_b64 exec, exec, s[4:5]
	s_ashr_i32 s4, s18, 31
	v_or_b32_e32 v58, s18, v34
	s_lshr_b32 s4, s4, 27
	v_add_u32_e32 v34, s4, v58
	v_or_b32_e32 v40, 64, v58
	v_ashrrev_i32_e32 v34, 5, v34
	v_mov_b32_e32 v64, s19
	v_cmp_gt_i32_e32 vcc, s7, v58
	v_add_u32_e32 v41, s4, v40
	v_or_b32_e32 v60, 0x80, v58
	v_cndmask_b32_e32 v34, v64, v34, vcc
	v_ashrrev_i32_e32 v41, 5, v41
	v_cmp_gt_i32_e32 vcc, s7, v40
	v_add_u32_e32 v61, s4, v60
	v_or_b32_e32 v58, 0xc0, v58
	v_cndmask_b32_e32 v40, v64, v41, vcc
	v_ashrrev_i32_e32 v61, 5, v61
	v_cmp_gt_i32_e32 vcc, s7, v60
	v_add_u32_e32 v65, s4, v58
	v_ashrrev_i32_e32 v65, 5, v65
	v_cndmask_b32_e32 v60, v64, v61, vcc
	v_cmp_gt_i32_e32 vcc, s7, v58
	s_waitcnt vmcnt(7)
	v_cvt_pk_f32_fp8_sdwa v[66:67], v50 src0_sel:WORD_1
	s_mov_b32 s33, 0x7060302
	v_cndmask_b32_e32 v68, v64, v65, vcc
	v_cvt_pk_f32_fp8_e32 v[64:65], v50
	v_cvt_pk_f32_fp8_e32 v[70:71], v51
	v_cvt_pk_f32_fp8_sdwa v[50:51], v51 src0_sel:WORD_1
	v_cvt_pk_f32_fp8_e32 v[72:73], v52
	v_perm_b32 v64, v65, v64, s33
	v_perm_b32 v65, v67, v66, s33
	;; [unrolled: 1-line block ×3, first 2 shown]
	v_cvt_pk_f32_fp8_sdwa v[74:75], v52 src0_sel:WORD_1
	v_perm_b32 v71, v51, v50, s33
	s_waitcnt lgkmcnt(3)
	v_mfma_f32_16x16x16_bf16 v[64:67], v[64:65], v[30:31], 0
	v_perm_b32 v72, v73, v72, s33
	v_perm_b32 v73, v75, v74, s33
	v_cvt_pk_f32_fp8_e32 v[74:75], v53
	v_cvt_pk_f32_fp8_sdwa v[76:77], v53 src0_sel:WORD_1
	v_mfma_f32_16x16x16_bf16 v[50:53], v[70:71], v[32:33], v[64:67]
	v_ashrrev_i32_e32 v35, 31, v34
	v_lshl_add_u64 v[34:35], v[34:35], 2, s[8:9]
	v_ashrrev_i32_e32 v41, 31, v40
	v_perm_b32 v64, v75, v74, s33
	v_perm_b32 v65, v77, v76, s33
	s_waitcnt lgkmcnt(2)
	v_mfma_f32_16x16x16_bf16 v[50:53], v[72:73], v[22:23], v[50:53]
	s_waitcnt vmcnt(6)
	v_cvt_pk_f32_fp8_e32 v[66:67], v46
	v_ashrrev_i32_e32 v61, 31, v60
	v_ashrrev_i32_e32 v69, 31, v68
	v_lshl_add_u64 v[40:41], v[40:41], 2, s[8:9]
	v_lshl_add_u64 v[60:61], v[60:61], 2, s[8:9]
	;; [unrolled: 1-line block ×3, first 2 shown]
	v_mfma_f32_16x16x16_bf16 v[50:53], v[64:65], v[24:25], v[50:53]
	v_perm_b32 v74, v67, v66, s33
	global_load_dword v68, v[34:35], off
	global_load_dword v66, v[40:41], off
	;; [unrolled: 1-line block ×4, first 2 shown]
	v_cvt_pk_f32_fp8_sdwa v[70:71], v46 src0_sel:WORD_1
	v_cvt_pk_f32_fp8_e32 v[40:41], v48
	s_waitcnt vmcnt(9)
	v_cvt_pk_f32_fp8_e32 v[60:61], v36
	s_add_u32 s4, s10, s12
	v_perm_b32 v75, v71, v70, s33
	v_cvt_pk_f32_fp8_e32 v[70:71], v47
	v_cvt_pk_f32_fp8_sdwa v[46:47], v47 src0_sel:WORD_1
	s_waitcnt lgkmcnt(1)
	v_mfma_f32_16x16x16_bf16 v[50:53], v[74:75], v[18:19], v[50:53]
	v_perm_b32 v34, v71, v70, s33
	v_perm_b32 v35, v47, v46, s33
	v_cvt_pk_f32_fp8_sdwa v[46:47], v48 src0_sel:WORD_1
	v_perm_b32 v40, v41, v40, s33
	v_mfma_f32_16x16x16_bf16 v[50:53], v[34:35], v[20:21], v[50:53]
	v_perm_b32 v41, v47, v46, s33
	v_cvt_pk_f32_fp8_e32 v[34:35], v49
	v_cvt_pk_f32_fp8_sdwa v[46:47], v49 src0_sel:WORD_1
	v_cvt_pk_f32_fp8_sdwa v[70:71], v36 src0_sel:WORD_1
	s_addc_u32 s5, s11, 0
	v_perm_b32 v34, v35, v34, s33
	v_perm_b32 v35, v47, v46, s33
	s_waitcnt lgkmcnt(0)
	v_mfma_f32_16x16x16_bf16 v[46:49], v[40:41], v[14:15], v[50:53]
	v_perm_b32 v40, v61, v60, s33
	v_perm_b32 v41, v71, v70, s33
	s_waitcnt vmcnt(8)
	v_cvt_pk_f32_fp8_sdwa v[60:61], v6 src0_sel:WORD_1
	v_cvt_pk_f32_fp8_e32 v[50:51], v37
	v_cvt_pk_f32_fp8_sdwa v[52:53], v37 src0_sel:WORD_1
	v_mfma_f32_16x16x16_bf16 v[34:37], v[34:35], v[16:17], v[46:49]
	v_and_b32_e32 v58, 16, v0
	v_perm_b32 v50, v51, v50, s33
	v_perm_b32 v51, v53, v52, s33
	v_mfma_f32_16x16x16_bf16 v[46:49], v[40:41], v[30:31], 0
	v_cvt_pk_f32_fp8_e32 v[40:41], v38
	v_cvt_pk_f32_fp8_sdwa v[52:53], v38 src0_sel:WORD_1
	v_lshl_or_b32 v64, v57, 4, v56
	v_mfma_f32_16x16x16_bf16 v[46:49], v[50:51], v[32:33], v[46:49]
	v_cvt_pk_f32_fp8_e32 v[50:51], v39
	v_perm_b32 v40, v41, v40, s33
	v_perm_b32 v41, v53, v52, s33
	v_cvt_pk_f32_fp8_sdwa v[38:39], v39 src0_sel:WORD_1
	v_perm_b32 v50, v51, v50, s33
	v_cvt_pk_f32_fp8_e32 v[52:53], v6
	s_waitcnt vmcnt(6)
	v_cvt_pk_f32_fp8_e32 v[74:75], v43
	v_perm_b32 v51, v39, v38, s33
	v_mfma_f32_16x16x16_bf16 v[38:41], v[40:41], v[22:23], v[46:49]
	s_nop 2
	v_perm_b32 v48, v53, v52, s33
	v_perm_b32 v49, v61, v60, s33
	v_cvt_pk_f32_fp8_e32 v[52:53], v7
	v_cvt_pk_f32_fp8_sdwa v[6:7], v7 src0_sel:WORD_1
	v_mfma_f32_16x16x16_bf16 v[38:41], v[50:51], v[24:25], v[38:41]
	v_lshl_add_u64 v[46:47], s[4:5], 0, v[58:59]
	v_perm_b32 v50, v53, v52, s33
	v_perm_b32 v51, v7, v6, s33
	v_mfma_f32_16x16x16_bf16 v[38:41], v[48:49], v[18:19], v[38:41]
	v_cvt_pk_f32_fp8_e32 v[6:7], v8
	v_cvt_pk_f32_fp8_sdwa v[48:49], v8 src0_sel:WORD_1
	v_cvt_pk_f32_fp8_sdwa v[52:53], v2 src0_sel:WORD_1
	v_mfma_f32_16x16x16_bf16 v[38:41], v[50:51], v[20:21], v[38:41]
	v_cvt_pk_f32_fp8_e32 v[50:51], v9
	v_perm_b32 v6, v7, v6, s33
	v_perm_b32 v7, v49, v48, s33
	v_cvt_pk_f32_fp8_sdwa v[8:9], v9 src0_sel:WORD_1
	v_perm_b32 v48, v51, v50, s33
	v_cvt_pk_f32_fp8_e32 v[50:51], v2
	v_lshlrev_b32_e32 v58, 5, v64
	v_perm_b32 v49, v9, v8, s33
	v_mfma_f32_16x16x16_bf16 v[6:9], v[6:7], v[14:15], v[38:41]
	v_perm_b32 v50, v51, v50, s33
	v_perm_b32 v51, v53, v52, s33
	v_cvt_pk_f32_fp8_e32 v[52:53], v3
	v_cvt_pk_f32_fp8_sdwa v[2:3], v3 src0_sel:WORD_1
	v_mfma_f32_16x16x16_bf16 v[38:41], v[48:49], v[16:17], v[6:9]
	v_lshl_add_u64 v[48:49], v[46:47], 0, v[58:59]
	v_perm_b32 v52, v53, v52, s33
	v_perm_b32 v53, v3, v2, s33
	v_mfma_f32_16x16x16_bf16 v[6:9], v[50:51], v[30:31], 0
	v_cvt_pk_f32_fp8_e32 v[2:3], v4
	v_cvt_pk_f32_fp8_sdwa v[50:51], v4 src0_sel:WORD_1
	s_waitcnt vmcnt(3)
	v_mad_i64_i32 v[60:61], s[4:5], v68, s45, v[48:49]
	v_perm_b32 v2, v3, v2, s33
	v_perm_b32 v3, v51, v50, s33
	v_mfma_f32_16x16x16_bf16 v[6:9], v[52:53], v[32:33], v[6:9]
	v_cvt_pk_f32_fp8_e32 v[50:51], v5
	v_cvt_pk_f32_fp8_sdwa v[4:5], v5 src0_sel:WORD_1
	s_waitcnt vmcnt(2)
	v_mad_i64_i32 v[70:71], s[4:5], v66, s45, v[48:49]
	v_perm_b32 v50, v51, v50, s33
	v_perm_b32 v51, v5, v4, s33
	v_mfma_f32_16x16x16_bf16 v[2:5], v[2:3], v[22:23], v[6:9]
	v_or_b32_e32 v58, 0x800, v58
	s_nop 1
	v_cvt_pk_f32_fp8_e32 v[6:7], v42
	v_cvt_pk_f32_fp8_sdwa v[8:9], v42 src0_sel:WORD_1
	v_cvt_pk_f32_fp8_sdwa v[42:43], v43 src0_sel:WORD_1
	v_mfma_f32_16x16x16_bf16 v[50:53], v[50:51], v[24:25], v[2:5]
	v_perm_b32 v72, v7, v6, s33
	v_perm_b32 v73, v9, v8, s33
	global_load_dwordx4 v[6:9], v[60:61], off
	global_load_dwordx4 v[2:5], v[70:71], off
	v_perm_b32 v60, v75, v74, s33
	v_perm_b32 v61, v43, v42, s33
	v_mfma_f32_16x16x16_bf16 v[70:73], v[72:73], v[18:19], v[50:53]
	v_cvt_pk_f32_fp8_e32 v[42:43], v44
	v_perm_b32 v42, v43, v42, s33
	s_nop 0
	v_cvt_pk_f32_fp8_sdwa v[52:53], v44 src0_sel:WORD_1
	v_mfma_f32_16x16x16_bf16 v[70:73], v[60:61], v[20:21], v[70:73]
	v_cvt_pk_f32_fp8_e32 v[60:61], v45
	s_waitcnt vmcnt(3)
	v_mad_i64_i32 v[50:51], s[4:5], v67, s45, v[48:49]
	s_load_dword s4, s[0:1], 0x1c
	s_load_dwordx4 s[40:43], s[0:1], 0x80
	v_perm_b32 v43, v53, v52, s33
	v_perm_b32 v74, v61, v60, s33
	v_cvt_pk_f32_fp8_e32 v[52:53], v26
	v_cvt_pk_f32_fp8_sdwa v[60:61], v26 src0_sel:WORD_1
	s_load_dword s44, s[0:1], 0x98
	s_waitcnt lgkmcnt(0)
	s_load_dword s5, s[40:41], 0x0
	v_cvt_pk_f32_fp8_sdwa v[44:45], v45 src0_sel:WORD_1
	v_perm_b32 v52, v53, v52, s33
	v_perm_b32 v53, v61, v60, s33
	v_cvt_pk_f32_fp8_e32 v[60:61], v27
	v_cvt_pk_f32_fp8_sdwa v[26:27], v27 src0_sel:WORD_1
	v_perm_b32 v75, v45, v44, s33
	v_mfma_f32_16x16x16_bf16 v[42:45], v[42:43], v[14:15], v[70:73]
	v_perm_b32 v60, v61, v60, s33
	v_perm_b32 v61, v27, v26, s33
	v_mov_b32_e32 v26, s4
	v_mfma_f32_16x16x16_bf16 v[70:73], v[52:53], v[30:31], 0
	s_waitcnt lgkmcnt(0)
	v_mul_f32_e32 v52, s5, v26
	v_cvt_pk_f32_fp8_e32 v[26:27], v28
	v_cvt_pk_f32_fp8_sdwa v[30:31], v28 src0_sel:WORD_1
	v_mfma_f32_16x16x16_bf16 v[70:73], v[60:61], v[32:33], v[70:73]
	v_cvt_pk_f32_fp8_e32 v[32:33], v29
	v_cvt_pk_f32_fp8_sdwa v[28:29], v29 src0_sel:WORD_1
	v_perm_b32 v26, v27, v26, s33
	v_perm_b32 v27, v31, v30, s33
	v_mfma_f32_16x16x16_bf16 v[42:45], v[74:75], v[16:17], v[42:45]
	v_perm_b32 v32, v33, v32, s33
	v_perm_b32 v33, v29, v28, s33
	v_cvt_pk_f32_fp8_e32 v[60:61], v10
	v_cvt_pk_f32_fp8_sdwa v[74:75], v10 src0_sel:WORD_1
	v_mfma_f32_16x16x16_bf16 v[26:29], v[26:27], v[22:23], v[70:73]
	v_pk_mul_f32 v[30:31], v[52:53], v[36:37] op_sel_hi:[0,1]
	v_perm_b32 v36, v61, v60, s33
	v_perm_b32 v37, v75, v74, s33
	v_cvt_pk_f32_fp8_e32 v[60:61], v11
	v_cvt_pk_f32_fp8_sdwa v[70:71], v11 src0_sel:WORD_1
	v_mfma_f32_16x16x16_bf16 v[22:25], v[32:33], v[24:25], v[26:29]
	v_pk_mul_f32 v[10:11], v[52:53], v[34:35] op_sel_hi:[0,1]
	v_perm_b32 v60, v61, v60, s33
	v_perm_b32 v61, v71, v70, s33
	v_mfma_f32_16x16x16_bf16 v[32:35], v[36:37], v[18:19], v[22:25]
	v_cvt_pk_f32_fp8_e32 v[18:19], v12
	v_cvt_pk_f32_fp8_sdwa v[36:37], v12 src0_sel:WORD_1
	s_waitcnt vmcnt(2)
	v_mad_i64_i32 v[48:49], s[8:9], v65, s45, v[48:49]
	global_load_dwordx4 v[26:29], v[50:51], off
	global_load_dwordx4 v[22:25], v[48:49], off
	v_perm_b32 v48, v19, v18, s33
	v_perm_b32 v49, v37, v36, s33
	v_cvt_pk_f32_fp8_e32 v[36:37], v13
	v_cvt_pk_f32_fp8_sdwa v[12:13], v13 src0_sel:WORD_1
	v_mfma_f32_16x16x16_bf16 v[18:21], v[60:61], v[20:21], v[32:35]
	v_pk_mul_f32 v[40:41], v[52:53], v[40:41] op_sel_hi:[0,1]
	v_pk_mul_f32 v[42:43], v[52:53], v[42:43] op_sel_hi:[0,1]
	s_mov_b32 s40, 0xff7fffff
	v_perm_b32 v32, v37, v36, s33
	v_perm_b32 v33, v13, v12, s33
	v_mfma_f32_16x16x16_bf16 v[12:15], v[48:49], v[14:15], v[18:21]
	v_pk_mul_f32 v[48:49], v[52:53], v[38:39] op_sel_hi:[0,1]
	v_pk_mul_f32 v[38:39], v[52:53], v[44:45] op_sel_hi:[0,1]
	v_mfma_f32_16x16x16_bf16 v[12:15], v[32:33], v[16:17], v[12:15]
	s_nop 6
	v_pk_mul_f32 v[36:37], v[52:53], v[12:13] op_sel_hi:[0,1]
	v_and_b32_e32 v12, 0xc0, v0
	v_add_u32_e32 v12, s18, v12
	v_lshl_or_b32 v12, v62, 2, v12
	v_or_b32_e32 v13, 1, v12
	v_pk_mul_f32 v[34:35], v[52:53], v[14:15] op_sel_hi:[0,1]
	v_subrev_u32_e32 v14, s7, v13
	v_add_u32_e32 v16, 1, v14
	v_add_u32_e32 v17, 2, v14
	v_cvt_f32_i32_e32 v15, v14
	v_cvt_f32_i32_e32 v16, v16
	;; [unrolled: 1-line block ×3, first 2 shown]
	v_add_u32_e32 v18, 3, v14
	v_fma_f32 v10, v63, v15, v10
	v_fmac_f32_e32 v11, v63, v16
	v_fma_f32 v51, v63, v17, v30
	v_add_u32_e32 v15, 16, v14
	v_add_u32_e32 v16, 17, v14
	;; [unrolled: 1-line block ×3, first 2 shown]
	v_cvt_f32_i32_e32 v18, v18
	v_cvt_f32_i32_e32 v15, v15
	;; [unrolled: 1-line block ×4, first 2 shown]
	v_fmac_f32_e32 v31, v63, v18
	v_add_u32_e32 v18, 19, v14
	v_fma_f32 v48, v63, v15, v48
	v_fmac_f32_e32 v49, v63, v16
	v_fma_f32 v40, v63, v17, v40
	v_add_u32_e32 v15, 32, v14
	v_add_u32_e32 v16, 33, v14
	;; [unrolled: 1-line block ×3, first 2 shown]
	v_cvt_f32_i32_e32 v18, v18
	v_cvt_f32_i32_e32 v15, v15
	;; [unrolled: 1-line block ×4, first 2 shown]
	v_fmac_f32_e32 v41, v63, v18
	v_add_u32_e32 v18, 35, v14
	v_fma_f32 v42, v63, v15, v42
	v_fmac_f32_e32 v43, v63, v16
	v_fma_f32 v38, v63, v17, v38
	v_add_u32_e32 v15, 48, v14
	v_add_u32_e32 v16, 49, v14
	;; [unrolled: 1-line block ×4, first 2 shown]
	v_cvt_f32_i32_e32 v14, v14
	v_cvt_f32_i32_e32 v15, v15
	;; [unrolled: 1-line block ×3, first 2 shown]
	v_cmp_gt_i32_e64 s[8:9], s7, v12
	v_fmac_f32_e32 v35, v63, v14
	v_mov_b32_e32 v14, 0xff7fffff
	v_cmp_gt_i32_e64 s[10:11], s7, v13
	v_fma_f32 v36, v63, v15, v36
	v_cndmask_b32_e64 v15, v14, v10, s[8:9]
	v_cndmask_b32_e64 v13, v14, v11, s[10:11]
	v_fmac_f32_e32 v37, v63, v16
	v_max3_f32 v13, v15, s40, v13
	v_or_b32_e32 v15, 2, v12
	v_or_b32_e32 v16, 3, v12
	v_cmp_gt_i32_e64 s[12:13], s7, v15
	v_cmp_gt_i32_e64 s[14:15], s7, v16
	v_cvt_f32_i32_e32 v18, v18
	v_cndmask_b32_e64 v15, v14, v51, s[12:13]
	v_cndmask_b32_e64 v16, v14, v31, s[14:15]
	v_max3_f32 v13, v13, v15, v16
	v_or_b32_e32 v15, 16, v12
	v_or_b32_e32 v16, 17, v12
	v_cmp_gt_i32_e64 s[16:17], s7, v15
	v_cmp_gt_i32_e64 s[18:19], s7, v16
	v_fmac_f32_e32 v39, v63, v18
	v_cndmask_b32_e64 v15, v14, v48, s[16:17]
	v_cndmask_b32_e64 v16, v14, v49, s[18:19]
	v_max3_f32 v13, v13, v15, v16
	v_or_b32_e32 v15, 18, v12
	v_or_b32_e32 v16, 19, v12
	v_cmp_gt_i32_e64 s[20:21], s7, v15
	v_cmp_gt_i32_e64 s[22:23], s7, v16
	v_cvt_f32_i32_e32 v17, v17
	v_cndmask_b32_e64 v15, v14, v40, s[20:21]
	v_cndmask_b32_e64 v16, v14, v41, s[22:23]
	v_max3_f32 v13, v13, v15, v16
	v_or_b32_e32 v15, 32, v12
	v_or_b32_e32 v16, 33, v12
	v_cmp_gt_i32_e64 s[24:25], s7, v15
	v_cmp_gt_i32_e64 s[26:27], s7, v16
	v_fma_f32 v34, v63, v17, v34
	v_cndmask_b32_e64 v15, v14, v42, s[24:25]
	v_cndmask_b32_e64 v16, v14, v43, s[26:27]
	v_max3_f32 v13, v13, v15, v16
	v_or_b32_e32 v15, 34, v12
	v_or_b32_e32 v16, 35, v12
	v_cmp_gt_i32_e64 s[28:29], s7, v15
	v_cmp_gt_i32_e64 s[30:31], s7, v16
	s_nop 0
	v_cndmask_b32_e64 v15, v14, v38, s[28:29]
	v_cndmask_b32_e64 v16, v14, v39, s[30:31]
	v_max3_f32 v13, v13, v15, v16
	v_or_b32_e32 v15, 48, v12
	v_or_b32_e32 v16, 49, v12
	v_cmp_gt_i32_e64 s[34:35], s7, v15
	v_cmp_gt_i32_e64 s[36:37], s7, v16
	s_nop 0
	v_cndmask_b32_e64 v15, v14, v36, s[34:35]
	v_cndmask_b32_e64 v16, v14, v37, s[36:37]
	v_max3_f32 v13, v13, v15, v16
	v_or_b32_e32 v15, 50, v12
	v_or_b32_e32 v12, 51, v12
	v_cmp_gt_i32_e32 vcc, s7, v15
	v_cmp_gt_i32_e64 s[4:5], s7, v12
	s_nop 0
	v_cndmask_b32_e32 v15, v14, v34, vcc
	v_cndmask_b32_e64 v12, v14, v35, s[4:5]
	v_max3_f32 v16, v13, v15, v12
	v_mbcnt_lo_u32_b32 v12, -1, 0
	v_mbcnt_hi_u32_b32 v17, -1, v12
	v_and_b32_e32 v12, 64, v17
	v_add_u32_e32 v18, 64, v12
	v_xor_b32_e32 v12, 32, v17
	v_cmp_lt_i32_e64 s[38:39], v12, v18
	s_nop 1
	v_cndmask_b32_e64 v12, v17, v12, s[38:39]
	v_lshlrev_b32_e32 v52, 2, v12
	ds_bpermute_b32 v19, v52, v16
	v_lshl_add_u64 v[12:13], v[46:47], 0, v[58:59]
	v_mad_i64_i32 v[14:15], s[38:39], v68, s45, v[12:13]
	s_waitcnt lgkmcnt(0)
	v_max_f32_e32 v19, v19, v19
	v_max_f32_e32 v19, v16, v19
	v_xor_b32_e32 v16, 16, v17
	v_cmp_lt_i32_e64 s[38:39], v16, v18
	s_nop 1
	v_cndmask_b32_e64 v16, v17, v16, s[38:39]
	v_lshlrev_b32_e32 v53, 2, v16
	ds_bpermute_b32 v18, v53, v19
	v_mad_i64_i32 v[16:17], s[38:39], v66, s45, v[12:13]
	v_mad_i64_i32 v[44:45], s[38:39], v67, s45, v[12:13]
	s_waitcnt lgkmcnt(0)
	v_max_f32_e32 v18, v18, v18
	v_max_f32_e32 v50, v19, v18
	v_sub_f32_e32 v10, v10, v50
	v_mul_f32_e32 v10, 0x3fb8aa3b, v10
	v_exp_f32_e32 v18, v10
	v_sub_f32_e32 v10, v11, v50
	v_mul_f32_e32 v10, 0x3fb8aa3b, v10
	v_exp_f32_e32 v19, v10
	v_mad_i64_i32 v[10:11], s[38:39], v65, s45, v[12:13]
	v_sub_f32_e32 v12, v51, v50
	v_mul_f32_e32 v12, 0x3fb8aa3b, v12
	v_cndmask_b32_e64 v46, 0, v18, s[8:9]
	v_cndmask_b32_e64 v47, 0, v19, s[10:11]
	v_sub_f32_e32 v58, v31, v50
	global_load_dwordx4 v[30:33], v[14:15], off
	global_load_dwordx4 v[18:21], v[16:17], off
	v_exp_f32_e32 v51, v12
	global_load_dwordx4 v[14:17], v[44:45], off
	s_nop 0
	global_load_dwordx4 v[10:13], v[10:11], off
	v_sub_f32_e32 v45, v48, v50
	v_sub_f32_e32 v48, v49, v50
	;; [unrolled: 1-line block ×4, first 2 shown]
	v_mul_f32_e32 v44, 0x3fb8aa3b, v58
	v_mul_f32_e32 v45, 0x3fb8aa3b, v45
	;; [unrolled: 1-line block ×5, first 2 shown]
	v_exp_f32_e32 v44, v44
	v_exp_f32_e32 v45, v45
	;; [unrolled: 1-line block ×3, first 2 shown]
	v_cndmask_b32_e64 v48, 0, v51, s[12:13]
	v_exp_f32_e32 v40, v40
	v_exp_f32_e32 v51, v42
	v_sub_f32_e32 v42, v43, v50
	v_mul_f32_e32 v42, 0x3fb8aa3b, v42
	v_cndmask_b32_e64 v49, 0, v44, s[14:15]
	v_cndmask_b32_e64 v44, 0, v45, s[16:17]
	v_cndmask_b32_e64 v45, 0, v58, s[18:19]
	v_sub_f32_e32 v41, v41, v50
	v_exp_f32_e32 v58, v42
	v_cndmask_b32_e64 v42, 0, v40, s[20:21]
	v_cndmask_b32_e64 v40, 0, v51, s[24:25]
	v_add_f32_e32 v51, 0, v46
	v_mul_f32_e32 v41, 0x3fb8aa3b, v41
	v_add_f32_e32 v51, v51, v47
	v_exp_f32_e32 v41, v41
	v_add_f32_e32 v51, v51, v48
	v_sub_f32_e32 v38, v38, v50
	v_add_f32_e32 v51, v51, v49
	v_sub_f32_e32 v39, v39, v50
	v_mul_f32_e32 v38, 0x3fb8aa3b, v38
	v_add_f32_e32 v51, v51, v44
	v_exp_f32_e32 v38, v38
	v_mul_f32_e32 v39, 0x3fb8aa3b, v39
	v_sub_f32_e32 v36, v36, v50
	v_add_f32_e32 v51, v51, v45
	v_cndmask_b32_e64 v43, 0, v41, s[22:23]
	v_exp_f32_e32 v39, v39
	v_mul_f32_e32 v36, 0x3fb8aa3b, v36
	v_sub_f32_e32 v37, v37, v50
	v_add_f32_e32 v51, v51, v42
	v_exp_f32_e32 v36, v36
	v_mul_f32_e32 v37, 0x3fb8aa3b, v37
	v_add_f32_e32 v51, v51, v43
	v_sub_f32_e32 v34, v34, v50
	v_cndmask_b32_e64 v41, 0, v58, s[26:27]
	v_exp_f32_e32 v37, v37
	v_add_f32_e32 v51, v51, v40
	v_mul_f32_e32 v34, 0x3fb8aa3b, v34
	v_sub_f32_e32 v35, v35, v50
	v_cndmask_b32_e64 v38, 0, v38, s[28:29]
	v_add_f32_e32 v51, v51, v41
	v_exp_f32_e32 v34, v34
	v_mul_f32_e32 v35, 0x3fb8aa3b, v35
	v_cndmask_b32_e64 v39, 0, v39, s[30:31]
	v_add_f32_e32 v51, v51, v38
	v_exp_f32_e32 v35, v35
	v_cndmask_b32_e64 v36, 0, v36, s[34:35]
	v_add_f32_e32 v51, v51, v39
	v_cndmask_b32_e64 v37, 0, v37, s[36:37]
	v_add_f32_e32 v51, v51, v36
	v_add_f32_e32 v51, v51, v37
	v_cndmask_b32_e32 v34, 0, v34, vcc
	v_add_f32_e32 v51, v51, v34
	v_cndmask_b32_e64 v35, 0, v35, s[4:5]
	v_add_f32_e32 v51, v51, v35
	ds_bpermute_b32 v52, v52, v51
	v_cmp_gt_u32_e32 vcc, 16, v55
	s_waitcnt lgkmcnt(0)
	s_barrier
	v_add_f32_e32 v51, v51, v52
	ds_bpermute_b32 v52, v53, v51
	s_and_saveexec_b64 s[4:5], vcc
	s_cbranch_execz .LBB1378_15
; %bb.14:
	s_waitcnt lgkmcnt(0)
	v_add_f32_e32 v51, v51, v52
	v_lshlrev_b32_e32 v52, 2, v64
	ds_write2st64_b32 v52, v50, v51 offset1:1
.LBB1378_15:
	s_or_b64 exec, exec, s[4:5]
	v_lshlrev_b32_e32 v51, 2, v56
	s_load_dword s7, s[0:1], 0x94
	s_waitcnt lgkmcnt(0)
	s_barrier
	ds_read2_b32 v[52:53], v51 offset1:16
	ds_read2_b32 v[58:59], v51 offset0:32 offset1:48
	ds_read2_b32 v[60:61], v51 offset0:64 offset1:80
	s_movk_i32 s9, 0x7fff
	s_mul_i32 s8, s44, 11
	s_waitcnt lgkmcnt(2)
	v_max3_f32 v50, v52, s40, v53
	s_waitcnt lgkmcnt(1)
	v_max3_f32 v50, v50, v58, v59
	v_sub_f32_e32 v52, v52, v50
	v_mul_f32_e32 v52, 0x3fb8aa3b, v52
	v_exp_f32_e32 v55, v52
	v_sub_f32_e32 v52, v53, v50
	v_mul_f32_e32 v52, 0x3fb8aa3b, v52
	v_exp_f32_e32 v63, v52
	;; [unrolled: 3-line block ×3, first 2 shown]
	ds_read2_b32 v[52:53], v51 offset0:96 offset1:112
	v_sub_f32_e32 v51, v59, v50
	v_mul_f32_e32 v51, 0x3fb8aa3b, v51
	v_exp_f32_e32 v59, v51
	s_waitcnt lgkmcnt(1)
	v_fma_f32 v51, v55, v60, 0
	v_fmac_f32_e32 v51, v63, v61
	s_waitcnt lgkmcnt(0)
	v_fmac_f32_e32 v51, v58, v52
	v_fmac_f32_e32 v51, v59, v53
	v_add_f32_e32 v52, 0x358637bd, v51
	v_div_scale_f32 v53, s[4:5], v52, v52, 1.0
	v_rcp_f32_e32 v60, v53
	s_barrier
	v_fma_f32 v61, -v53, v60, 1.0
	v_fmac_f32_e32 v60, v61, v60
	v_div_scale_f32 v61, vcc, 1.0, v52, 1.0
	v_mul_f32_e32 v64, v61, v60
	v_fma_f32 v65, -v53, v64, v61
	v_fmac_f32_e32 v64, v65, v60
	v_fma_f32 v53, -v53, v64, v61
	v_div_fmas_f32 v53, v53, v60, v64
	v_cmp_eq_u32_e32 vcc, 1, v57
	v_div_fixup_f32 v52, v53, v52, 1.0
	s_nop 0
	v_cndmask_b32_e32 v53, v55, v63, vcc
	v_cmp_eq_u32_e32 vcc, 2, v57
	s_nop 1
	v_cndmask_b32_e32 v53, v53, v58, vcc
	v_cmp_eq_u32_e32 vcc, 3, v57
	s_nop 1
	v_cndmask_b32_e32 v53, v53, v59, vcc
	v_mul_f32_e32 v52, v53, v52
	v_pk_mul_f32 v[46:47], v[52:53], v[46:47] op_sel_hi:[0,1]
	v_pk_mul_f32 v[48:49], v[52:53], v[48:49] op_sel_hi:[0,1]
	v_bfe_u32 v53, v47, 16, 1
	v_bfe_u32 v55, v46, 16, 1
	v_add3_u32 v46, v46, v55, s9
	v_add3_u32 v47, v47, v53, s9
	v_perm_b32 v58, v47, v46, s33
	v_bfe_u32 v46, v49, 16, 1
	v_bfe_u32 v47, v48, 16, 1
	v_add3_u32 v47, v48, v47, s9
	v_add3_u32 v46, v49, v46, s9
	v_perm_b32 v59, v46, v47, s33
	v_lshlrev_b32_e32 v47, 3, v62
	v_lshlrev_b32_e32 v46, 5, v56
	;; [unrolled: 1-line block ×3, first 2 shown]
	v_pk_mul_f32 v[44:45], v[52:53], v[44:45] op_sel_hi:[0,1]
	v_or3_b32 v55, v48, v46, v47
	v_bfe_u32 v47, v45, 16, 1
	v_bfe_u32 v48, v44, 16, 1
	v_pk_mul_f32 v[42:43], v[52:53], v[42:43] op_sel_hi:[0,1]
	v_add3_u32 v44, v44, v48, s9
	v_add3_u32 v45, v45, v47, s9
	v_perm_b32 v44, v45, v44, s33
	v_bfe_u32 v45, v43, 16, 1
	v_bfe_u32 v47, v42, 16, 1
	v_add3_u32 v42, v42, v47, s9
	v_add3_u32 v43, v43, v45, s9
	v_pk_mul_f32 v[40:41], v[52:53], v[40:41] op_sel_hi:[0,1]
	v_perm_b32 v45, v43, v42, s33
	v_bfe_u32 v42, v41, 16, 1
	v_bfe_u32 v43, v40, 16, 1
	v_pk_mul_f32 v[38:39], v[52:53], v[38:39] op_sel_hi:[0,1]
	v_add3_u32 v40, v40, v43, s9
	v_add3_u32 v41, v41, v42, s9
	v_perm_b32 v40, v41, v40, s33
	v_bfe_u32 v41, v39, 16, 1
	v_bfe_u32 v42, v38, 16, 1
	v_add3_u32 v38, v38, v42, s9
	v_add3_u32 v39, v39, v41, s9
	v_pk_mul_f32 v[36:37], v[52:53], v[36:37] op_sel_hi:[0,1]
	v_perm_b32 v41, v39, v38, s33
	v_bfe_u32 v38, v37, 16, 1
	v_bfe_u32 v39, v36, 16, 1
	v_pk_mul_f32 v[34:35], v[52:53], v[34:35] op_sel_hi:[0,1]
	v_add3_u32 v36, v36, v39, s9
	v_add3_u32 v37, v37, v38, s9
	v_perm_b32 v36, v37, v36, s33
	v_bfe_u32 v37, v35, 16, 1
	v_bfe_u32 v38, v34, 16, 1
	v_add3_u32 v34, v34, v38, s9
	v_add3_u32 v35, v35, v37, s9
	v_perm_b32 v37, v35, v34, s33
	v_cmp_gt_u32_e32 vcc, 11, v0
	ds_write2st64_b64 v55, v[58:59], v[44:45] offset1:1
	ds_write2st64_b64 v55, v[40:41], v[36:37] offset0:2 offset1:3
	s_and_saveexec_b64 s[4:5], vcc
	s_cbranch_execz .LBB1378_17
; %bb.16:
	s_mov_b32 s49, 0
	v_mov_b32_e32 v57, 0
	v_lshl_add_u64 v[34:35], s[48:49], 0, v[56:57]
	v_mov_b32_e32 v36, s8
	v_mad_u64_u32 v[34:35], s[10:11], s2, v36, v[34:35]
	s_mul_i32 s3, s3, s8
	v_mov_b32_e32 v36, s6
	v_mov_b32_e32 v37, v57
	s_load_dwordx4 s[12:15], s[0:1], 0x58
	v_add_u32_e32 v38, s3, v35
	v_mad_u64_u32 v[34:35], s[10:11], v34, s7, v[36:37]
	v_mov_b32_e32 v36, v35
	v_mad_u64_u32 v[36:37], s[10:11], v38, s7, v[36:37]
	v_mov_b32_e32 v35, v36
	v_lshlrev_b64 v[34:35], 2, v[34:35]
	s_waitcnt lgkmcnt(0)
	v_lshl_add_u64 v[36:37], s[14:15], 0, v[34:35]
	v_lshl_add_u64 v[34:35], s[12:13], 0, v[34:35]
	global_store_dword v[36:37], v50, off
	global_store_dword v[34:35], v51, off
.LBB1378_17:
	s_or_b64 exec, exec, s[4:5]
	s_waitcnt vmcnt(7)
	v_cvt_pk_f32_fp8_e32 v[34:35], v6
	v_cvt_pk_f32_fp8_sdwa v[36:37], v6 src0_sel:WORD_1
	v_lshl_or_b32 v50, v62, 9, v46
	s_mov_b32 s5, 0x7060302
	s_waitcnt lgkmcnt(0)
	s_barrier
	v_cvt_pk_f32_fp8_e32 v[38:39], v7
	v_perm_b32 v6, v35, v34, s5
	v_cvt_pk_f32_fp8_sdwa v[40:41], v7 src0_sel:WORD_1
	v_perm_b32 v7, v37, v36, s5
	ds_read_b128 v[34:37], v50
	v_perm_b32 v46, v39, v38, s5
	v_perm_b32 v47, v41, v40, s5
	ds_read_b128 v[38:41], v50 offset:16
	v_cvt_pk_f32_fp8_e32 v[48:49], v8
	v_cvt_pk_f32_fp8_sdwa v[52:53], v8 src0_sel:WORD_1
	s_waitcnt lgkmcnt(1)
	v_mfma_f32_16x16x16_bf16 v[42:45], v[6:7], v[34:35], 0
	s_waitcnt vmcnt(6)
	v_cvt_pk_f32_fp8_e32 v[58:59], v4
	v_perm_b32 v6, v49, v48, s5
	v_perm_b32 v7, v53, v52, s5
	v_cvt_pk_f32_fp8_e32 v[48:49], v9
	v_mfma_f32_16x16x16_bf16 v[42:45], v[46:47], v[36:37], v[42:45]
	v_cvt_pk_f32_fp8_sdwa v[46:47], v9 src0_sel:WORD_1
	v_cvt_pk_f32_fp8_sdwa v[60:61], v4 src0_sel:WORD_1
	v_perm_b32 v48, v49, v48, s5
	s_waitcnt lgkmcnt(0)
	v_mfma_f32_16x16x16_bf16 v[6:9], v[6:7], v[38:39], v[42:45]
	v_perm_b32 v49, v47, v46, s5
	s_waitcnt vmcnt(5)
	v_cvt_pk_f32_fp8_e32 v[64:65], v28
	v_cvt_pk_f32_fp8_sdwa v[66:67], v28 src0_sel:WORD_1
	v_cvt_pk_f32_fp8_e32 v[42:43], v2
	v_mfma_f32_16x16x16_bf16 v[46:49], v[48:49], v[40:41], v[6:9]
	s_waitcnt vmcnt(4)
	v_cvt_pk_f32_fp8_sdwa v[68:69], v24 src0_sel:WORD_1
	s_load_dword s4, s[42:43], 0x0
	v_cvt_pk_f32_fp8_sdwa v[6:7], v2 src0_sel:WORD_1
	v_cvt_pk_f32_fp8_e32 v[8:9], v3
	v_perm_b32 v2, v43, v42, s5
	v_cvt_pk_f32_fp8_sdwa v[42:43], v3 src0_sel:WORD_1
	v_perm_b32 v3, v7, v6, s5
	v_perm_b32 v52, v9, v8, s5
	ds_read_b128 v[6:9], v50 offset:2048
	v_perm_b32 v53, v43, v42, s5
	ds_read_b128 v[42:45], v50 offset:2064
	s_waitcnt lgkmcnt(0)
	v_mfma_f32_16x16x16_bf16 v[46:49], v[2:3], v[6:7], v[46:49]
	v_perm_b32 v2, v59, v58, s5
	v_perm_b32 v3, v61, v60, s5
	v_cvt_pk_f32_fp8_e32 v[58:59], v5
	v_mfma_f32_16x16x16_bf16 v[46:49], v[52:53], v[8:9], v[46:49]
	v_cvt_pk_f32_fp8_sdwa v[52:53], v5 src0_sel:WORD_1
	s_waitcnt vmcnt(3)
	v_cvt_pk_f32_fp8_sdwa v[70:71], v32 src0_sel:WORD_1
	v_perm_b32 v58, v59, v58, s5
	v_mfma_f32_16x16x16_bf16 v[2:5], v[2:3], v[42:43], v[46:49]
	v_perm_b32 v59, v53, v52, s5
	s_mov_b32 s3, 0
	v_cmp_gt_u32_e32 vcc, 64, v0
	v_cvt_pk_f32_fp8_e32 v[46:47], v26
	v_mfma_f32_16x16x16_bf16 v[58:61], v[58:59], v[44:45], v[2:5]
	s_nop 2
	v_cvt_pk_f32_fp8_sdwa v[2:3], v26 src0_sel:WORD_1
	v_cvt_pk_f32_fp8_e32 v[4:5], v27
	v_perm_b32 v26, v47, v46, s5
	v_cvt_pk_f32_fp8_sdwa v[46:47], v27 src0_sel:WORD_1
	v_perm_b32 v27, v3, v2, s5
	v_perm_b32 v52, v5, v4, s5
	ds_read_b128 v[2:5], v50 offset:4096
	v_perm_b32 v53, v47, v46, s5
	ds_read_b128 v[46:49], v50 offset:4112
	s_waitcnt lgkmcnt(1)
	v_mfma_f32_16x16x16_bf16 v[58:61], v[26:27], v[2:3], v[58:61]
	v_perm_b32 v26, v65, v64, s5
	v_perm_b32 v27, v67, v66, s5
	v_cvt_pk_f32_fp8_e32 v[64:65], v29
	v_mfma_f32_16x16x16_bf16 v[58:61], v[52:53], v[4:5], v[58:61]
	v_cvt_pk_f32_fp8_sdwa v[52:53], v29 src0_sel:WORD_1
	v_cvt_pk_f32_fp8_e32 v[66:67], v24
	v_perm_b32 v64, v65, v64, s5
	s_waitcnt lgkmcnt(0)
	v_mfma_f32_16x16x16_bf16 v[26:29], v[26:27], v[46:47], v[58:61]
	v_perm_b32 v65, v53, v52, s5
	v_cvt_pk_f32_fp8_e32 v[52:53], v22
	s_nop 0
	v_mfma_f32_16x16x16_bf16 v[58:61], v[64:65], v[48:49], v[26:29]
	s_nop 2
	v_cvt_pk_f32_fp8_sdwa v[26:27], v22 src0_sel:WORD_1
	v_cvt_pk_f32_fp8_e32 v[28:29], v23
	v_perm_b32 v22, v53, v52, s5
	v_cvt_pk_f32_fp8_sdwa v[52:53], v23 src0_sel:WORD_1
	v_perm_b32 v23, v27, v26, s5
	v_perm_b32 v64, v29, v28, s5
	ds_read_b128 v[26:29], v50 offset:6144
	v_perm_b32 v65, v53, v52, s5
	s_waitcnt lgkmcnt(0)
	v_mfma_f32_16x16x16_bf16 v[58:61], v[22:23], v[26:27], v[58:61]
	ds_read_b128 v[50:53], v50 offset:6160
	v_perm_b32 v22, v67, v66, s5
	v_perm_b32 v23, v69, v68, s5
	v_cvt_pk_f32_fp8_e32 v[66:67], v25
	v_mfma_f32_16x16x16_bf16 v[58:61], v[64:65], v[28:29], v[58:61]
	v_cvt_pk_f32_fp8_sdwa v[64:65], v25 src0_sel:WORD_1
	v_cvt_pk_f32_fp8_e32 v[68:69], v32
	v_perm_b32 v66, v67, v66, s5
	s_waitcnt lgkmcnt(0)
	v_mfma_f32_16x16x16_bf16 v[22:25], v[22:23], v[50:51], v[58:61]
	v_perm_b32 v67, v65, v64, s5
	s_barrier
	s_nop 0
	v_mfma_f32_16x16x16_bf16 v[58:61], v[66:67], v[52:53], v[22:25]
	s_nop 2
	v_cvt_pk_f32_fp8_e32 v[24:25], v30
	v_perm_b32 v24, v25, v24, s5
	s_nop 1
	v_pk_mul_f32 v[22:23], v[60:61], s[4:5] op_sel_hi:[1,0]
	v_cvt_pk_f32_fp8_sdwa v[60:61], v30 src0_sel:WORD_1
	v_pk_mul_f32 v[64:65], v[58:59], s[4:5] op_sel_hi:[1,0]
	v_cvt_pk_f32_fp8_e32 v[58:59], v31
	v_cvt_pk_f32_fp8_sdwa v[30:31], v31 src0_sel:WORD_1
	v_perm_b32 v25, v61, v60, s5
	v_bfe_u32 v57, v65, 16, 1
	v_perm_b32 v66, v59, v58, s5
	v_perm_b32 v67, v31, v30, s5
	v_mfma_f32_16x16x16_bf16 v[58:61], v[24:25], v[34:35], 0
	v_perm_b32 v24, v69, v68, s5
	v_perm_b32 v25, v71, v70, s5
	v_cvt_pk_f32_fp8_e32 v[34:35], v33
	v_cvt_pk_f32_fp8_sdwa v[68:69], v33 src0_sel:WORD_1
	v_mfma_f32_16x16x16_bf16 v[30:33], v[66:67], v[36:37], v[58:61]
	s_waitcnt vmcnt(2)
	v_cvt_pk_f32_fp8_sdwa v[36:37], v18 src0_sel:WORD_1
	v_perm_b32 v34, v35, v34, s5
	v_perm_b32 v35, v69, v68, s5
	v_mfma_f32_16x16x16_bf16 v[30:33], v[24:25], v[38:39], v[30:33]
	v_cvt_pk_f32_fp8_e32 v[24:25], v18
	v_cvt_pk_f32_fp8_sdwa v[38:39], v20 src0_sel:WORD_1
	v_bfe_u32 v58, v64, 16, 1
	v_mfma_f32_16x16x16_bf16 v[30:33], v[34:35], v[40:41], v[30:33]
	v_cvt_pk_f32_fp8_e32 v[34:35], v19
	v_perm_b32 v24, v25, v24, s5
	v_perm_b32 v25, v37, v36, s5
	v_cvt_pk_f32_fp8_sdwa v[18:19], v19 src0_sel:WORD_1
	v_perm_b32 v34, v35, v34, s5
	v_cvt_pk_f32_fp8_e32 v[36:37], v20
	v_mfma_f32_16x16x16_bf16 v[30:33], v[24:25], v[6:7], v[30:33]
	v_perm_b32 v35, v19, v18, s5
	v_perm_b32 v18, v37, v36, s5
	;; [unrolled: 1-line block ×3, first 2 shown]
	v_cvt_pk_f32_fp8_e32 v[24:25], v21
	v_cvt_pk_f32_fp8_sdwa v[20:21], v21 src0_sel:WORD_1
	v_mfma_f32_16x16x16_bf16 v[6:9], v[34:35], v[8:9], v[30:33]
	v_perm_b32 v24, v25, v24, s5
	v_perm_b32 v25, v21, v20, s5
	v_mfma_f32_16x16x16_bf16 v[6:9], v[18:19], v[42:43], v[6:9]
	s_waitcnt vmcnt(1)
	v_cvt_pk_f32_fp8_e32 v[18:19], v14
	v_cvt_pk_f32_fp8_sdwa v[20:21], v14 src0_sel:WORD_1
	v_cvt_pk_f32_fp8_sdwa v[30:31], v16 src0_sel:WORD_1
	v_mfma_f32_16x16x16_bf16 v[6:9], v[24:25], v[44:45], v[6:9]
	v_cvt_pk_f32_fp8_e32 v[24:25], v15
	v_perm_b32 v18, v19, v18, s5
	v_perm_b32 v19, v21, v20, s5
	v_cvt_pk_f32_fp8_sdwa v[14:15], v15 src0_sel:WORD_1
	v_perm_b32 v20, v25, v24, s5
	v_cvt_pk_f32_fp8_e32 v[24:25], v16
	v_mfma_f32_16x16x16_bf16 v[6:9], v[18:19], v[2:3], v[6:9]
	v_perm_b32 v21, v15, v14, s5
	v_perm_b32 v14, v25, v24, s5
	;; [unrolled: 1-line block ×3, first 2 shown]
	v_cvt_pk_f32_fp8_e32 v[18:19], v17
	v_cvt_pk_f32_fp8_sdwa v[16:17], v17 src0_sel:WORD_1
	v_mfma_f32_16x16x16_bf16 v[2:5], v[20:21], v[4:5], v[6:9]
	v_add3_u32 v32, v64, v58, s9
	v_add3_u32 v33, v65, v57, s9
	s_nop 0
	v_perm_b32 v8, v19, v18, s5
	v_perm_b32 v9, v17, v16, s5
	v_mfma_f32_16x16x16_bf16 v[2:5], v[14:15], v[46:47], v[2:5]
	s_waitcnt vmcnt(0)
	v_cvt_pk_f32_fp8_e32 v[14:15], v10
	v_cvt_pk_f32_fp8_sdwa v[16:17], v10 src0_sel:WORD_1
	v_cvt_pk_f32_fp8_sdwa v[18:19], v12 src0_sel:WORD_1
	v_mfma_f32_16x16x16_bf16 v[2:5], v[8:9], v[48:49], v[2:5]
	v_cvt_pk_f32_fp8_e32 v[8:9], v11
	v_perm_b32 v14, v15, v14, s5
	v_perm_b32 v15, v17, v16, s5
	v_cvt_pk_f32_fp8_sdwa v[10:11], v11 src0_sel:WORD_1
	v_perm_b32 v8, v9, v8, s5
	v_cvt_pk_f32_fp8_e32 v[16:17], v12
	v_mfma_f32_16x16x16_bf16 v[2:5], v[14:15], v[26:27], v[2:5]
	v_perm_b32 v9, v11, v10, s5
	v_perm_b32 v10, v17, v16, s5
	;; [unrolled: 1-line block ×3, first 2 shown]
	v_cvt_pk_f32_fp8_e32 v[14:15], v13
	v_cvt_pk_f32_fp8_sdwa v[12:13], v13 src0_sel:WORD_1
	v_mfma_f32_16x16x16_bf16 v[2:5], v[8:9], v[28:29], v[2:5]
	v_bfe_u32 v7, v23, 16, 1
	v_perm_b32 v8, v15, v14, s5
	v_perm_b32 v9, v13, v12, s5
	v_mfma_f32_16x16x16_bf16 v[2:5], v[10:11], v[50:51], v[2:5]
	v_bfe_u32 v16, v22, 16, 1
	v_add3_u32 v10, v22, v16, s9
	v_add3_u32 v7, v23, v7, s9
	v_mfma_f32_16x16x16_bf16 v[2:5], v[8:9], v[52:53], v[2:5]
	v_perm_b32 v6, v33, v32, s5
	v_perm_b32 v7, v7, v10, s5
	s_nop 4
	v_pk_mul_f32 v[2:3], v[2:3], s[4:5] op_sel_hi:[1,0]
	v_pk_mul_f32 v[4:5], v[4:5], s[4:5] op_sel_hi:[1,0]
	v_bfe_u32 v8, v3, 16, 1
	v_bfe_u32 v9, v2, 16, 1
	v_add3_u32 v2, v2, v9, s9
	v_add3_u32 v3, v3, v8, s9
	v_perm_b32 v2, v3, v2, s5
	v_bfe_u32 v3, v5, 16, 1
	v_bfe_u32 v8, v4, 16, 1
	v_add3_u32 v4, v4, v8, s9
	v_add3_u32 v3, v5, v3, s9
	v_perm_b32 v3, v3, v4, s5
	ds_write2st64_b64 v55, v[6:7], v[2:3] offset1:1
	s_waitcnt lgkmcnt(0)
	s_barrier
	s_and_saveexec_b64 s[4:5], vcc
	s_cbranch_execz .LBB1378_20
; %bb.18:
	s_load_dwordx2 s[4:5], s[0:1], 0x68
	s_lshl_b32 s0, s7, 7
	s_mul_i32 s1, s8, s2
	v_lshlrev_b32_e32 v3, 6, v56
	s_mul_hi_u32 s9, s1, s0
	s_mul_i32 s8, s1, s0
	v_lshl_or_b32 v0, v0, 10, v3
	s_lshl_b64 s[8:9], s[8:9], 1
	v_lshlrev_b32_e32 v2, 5, v62
	v_and_b32_e32 v1, 16, v1
	v_and_b32_e32 v0, 0x1a00, v0
	s_waitcnt lgkmcnt(0)
	s_add_u32 s1, s4, s8
	v_or3_b32 v2, v0, v2, v1
	s_addc_u32 s4, s5, s9
	s_lshl_b32 s2, s6, 7
	s_lshl_b64 s[2:3], s[2:3], 1
	ds_read_b128 v[4:7], v2 offset:128
	ds_read_b128 v[8:11], v2
	s_add_u32 s2, s1, s2
	s_addc_u32 s3, s4, s3
	v_mov_b32_e32 v55, 0
	v_add_u32_e32 v3, s48, v62
	v_lshl_add_u64 v[0:1], s[2:3], 0, v[54:55]
	v_mad_u64_u32 v[12:13], s[2:3], v3, s0, 0
	v_lshl_add_u64 v[12:13], v[12:13], 1, v[0:1]
	v_add_u32_e32 v3, 4, v3
	s_waitcnt lgkmcnt(0)
	global_store_dwordx4 v[12:13], v[8:11], off
	v_cmp_ne_u32_e32 vcc, 3, v62
	s_nop 0
	v_mad_u64_u32 v[8:9], s[2:3], v3, s0, 0
	v_lshl_add_u64 v[8:9], v[8:9], 1, v[0:1]
	global_store_dwordx4 v[8:9], v[4:7], off
	s_and_b64 exec, exec, vcc
	s_cbranch_execz .LBB1378_20
; %bb.19:
	ds_read_b128 v[2:5], v2 offset:256
	v_add3_u32 v6, s48, v62, 8
	v_mad_u64_u32 v[6:7], s[0:1], v6, s0, 0
	v_lshl_add_u64 v[0:1], v[6:7], 1, v[0:1]
	s_waitcnt lgkmcnt(0)
	global_store_dwordx4 v[0:1], v[2:5], off
.LBB1378_20:
	s_endpgm
	.section	.rodata,"a",@progbits
	.p2align	6, 0x0
	.amdhsa_kernel _Z39paged_attention_ll4mi_QKV_mfma16_kernelI14__hip_bfloat16hLN4vllm18Fp8KVCacheDataTypeE1ES0_Li32ELi128ELi256ELb1ELi11EEvPKT_PKT0_S8_ifPKiSA_SA_iPKfiiiPfSD_PS3_PT2_iSC_SC_
		.amdhsa_group_segment_fixed_size 8192
		.amdhsa_private_segment_fixed_size 0
		.amdhsa_kernarg_size 400
		.amdhsa_user_sgpr_count 2
		.amdhsa_user_sgpr_dispatch_ptr 0
		.amdhsa_user_sgpr_queue_ptr 0
		.amdhsa_user_sgpr_kernarg_segment_ptr 1
		.amdhsa_user_sgpr_dispatch_id 0
		.amdhsa_user_sgpr_kernarg_preload_length 0
		.amdhsa_user_sgpr_kernarg_preload_offset 0
		.amdhsa_user_sgpr_private_segment_size 0
		.amdhsa_uses_dynamic_stack 0
		.amdhsa_enable_private_segment 0
		.amdhsa_system_sgpr_workgroup_id_x 1
		.amdhsa_system_sgpr_workgroup_id_y 1
		.amdhsa_system_sgpr_workgroup_id_z 1
		.amdhsa_system_sgpr_workgroup_info 0
		.amdhsa_system_vgpr_workitem_id 0
		.amdhsa_next_free_vgpr 78
		.amdhsa_next_free_sgpr 50
		.amdhsa_accum_offset 80
		.amdhsa_reserve_vcc 1
		.amdhsa_float_round_mode_32 0
		.amdhsa_float_round_mode_16_64 0
		.amdhsa_float_denorm_mode_32 3
		.amdhsa_float_denorm_mode_16_64 3
		.amdhsa_dx10_clamp 1
		.amdhsa_ieee_mode 1
		.amdhsa_fp16_overflow 0
		.amdhsa_tg_split 0
		.amdhsa_exception_fp_ieee_invalid_op 0
		.amdhsa_exception_fp_denorm_src 0
		.amdhsa_exception_fp_ieee_div_zero 0
		.amdhsa_exception_fp_ieee_overflow 0
		.amdhsa_exception_fp_ieee_underflow 0
		.amdhsa_exception_fp_ieee_inexact 0
		.amdhsa_exception_int_div_zero 0
	.end_amdhsa_kernel
	.section	.text._Z39paged_attention_ll4mi_QKV_mfma16_kernelI14__hip_bfloat16hLN4vllm18Fp8KVCacheDataTypeE1ES0_Li32ELi128ELi256ELb1ELi11EEvPKT_PKT0_S8_ifPKiSA_SA_iPKfiiiPfSD_PS3_PT2_iSC_SC_,"axG",@progbits,_Z39paged_attention_ll4mi_QKV_mfma16_kernelI14__hip_bfloat16hLN4vllm18Fp8KVCacheDataTypeE1ES0_Li32ELi128ELi256ELb1ELi11EEvPKT_PKT0_S8_ifPKiSA_SA_iPKfiiiPfSD_PS3_PT2_iSC_SC_,comdat
.Lfunc_end1378:
	.size	_Z39paged_attention_ll4mi_QKV_mfma16_kernelI14__hip_bfloat16hLN4vllm18Fp8KVCacheDataTypeE1ES0_Li32ELi128ELi256ELb1ELi11EEvPKT_PKT0_S8_ifPKiSA_SA_iPKfiiiPfSD_PS3_PT2_iSC_SC_, .Lfunc_end1378-_Z39paged_attention_ll4mi_QKV_mfma16_kernelI14__hip_bfloat16hLN4vllm18Fp8KVCacheDataTypeE1ES0_Li32ELi128ELi256ELb1ELi11EEvPKT_PKT0_S8_ifPKiSA_SA_iPKfiiiPfSD_PS3_PT2_iSC_SC_
                                        ; -- End function
	.section	.AMDGPU.csdata,"",@progbits
; Kernel info:
; codeLenInByte = 6688
; NumSgprs: 56
; NumVgprs: 78
; NumAgprs: 0
; TotalNumVgprs: 78
; ScratchSize: 0
; MemoryBound: 0
; FloatMode: 240
; IeeeMode: 1
; LDSByteSize: 8192 bytes/workgroup (compile time only)
; SGPRBlocks: 6
; VGPRBlocks: 9
; NumSGPRsForWavesPerEU: 56
; NumVGPRsForWavesPerEU: 78
; AccumOffset: 80
; Occupancy: 6
; WaveLimiterHint : 1
; COMPUTE_PGM_RSRC2:SCRATCH_EN: 0
; COMPUTE_PGM_RSRC2:USER_SGPR: 2
; COMPUTE_PGM_RSRC2:TRAP_HANDLER: 0
; COMPUTE_PGM_RSRC2:TGID_X_EN: 1
; COMPUTE_PGM_RSRC2:TGID_Y_EN: 1
; COMPUTE_PGM_RSRC2:TGID_Z_EN: 1
; COMPUTE_PGM_RSRC2:TIDIG_COMP_CNT: 0
; COMPUTE_PGM_RSRC3_GFX90A:ACCUM_OFFSET: 19
; COMPUTE_PGM_RSRC3_GFX90A:TG_SPLIT: 0
	.section	.text._Z39paged_attention_ll4mi_QKV_mfma16_kernelI14__hip_bfloat16hLN4vllm18Fp8KVCacheDataTypeE1ES0_Li32ELi128ELi256ELb1ELi12EEvPKT_PKT0_S8_ifPKiSA_SA_iPKfiiiPfSD_PS3_PT2_iSC_SC_,"axG",@progbits,_Z39paged_attention_ll4mi_QKV_mfma16_kernelI14__hip_bfloat16hLN4vllm18Fp8KVCacheDataTypeE1ES0_Li32ELi128ELi256ELb1ELi12EEvPKT_PKT0_S8_ifPKiSA_SA_iPKfiiiPfSD_PS3_PT2_iSC_SC_,comdat
	.protected	_Z39paged_attention_ll4mi_QKV_mfma16_kernelI14__hip_bfloat16hLN4vllm18Fp8KVCacheDataTypeE1ES0_Li32ELi128ELi256ELb1ELi12EEvPKT_PKT0_S8_ifPKiSA_SA_iPKfiiiPfSD_PS3_PT2_iSC_SC_ ; -- Begin function _Z39paged_attention_ll4mi_QKV_mfma16_kernelI14__hip_bfloat16hLN4vllm18Fp8KVCacheDataTypeE1ES0_Li32ELi128ELi256ELb1ELi12EEvPKT_PKT0_S8_ifPKiSA_SA_iPKfiiiPfSD_PS3_PT2_iSC_SC_
	.globl	_Z39paged_attention_ll4mi_QKV_mfma16_kernelI14__hip_bfloat16hLN4vllm18Fp8KVCacheDataTypeE1ES0_Li32ELi128ELi256ELb1ELi12EEvPKT_PKT0_S8_ifPKiSA_SA_iPKfiiiPfSD_PS3_PT2_iSC_SC_
	.p2align	8
	.type	_Z39paged_attention_ll4mi_QKV_mfma16_kernelI14__hip_bfloat16hLN4vllm18Fp8KVCacheDataTypeE1ES0_Li32ELi128ELi256ELb1ELi12EEvPKT_PKT0_S8_ifPKiSA_SA_iPKfiiiPfSD_PS3_PT2_iSC_SC_,@function
_Z39paged_attention_ll4mi_QKV_mfma16_kernelI14__hip_bfloat16hLN4vllm18Fp8KVCacheDataTypeE1ES0_Li32ELi128ELi256ELb1ELi12EEvPKT_PKT0_S8_ifPKiSA_SA_iPKfiiiPfSD_PS3_PT2_iSC_SC_: ; @_Z39paged_attention_ll4mi_QKV_mfma16_kernelI14__hip_bfloat16hLN4vllm18Fp8KVCacheDataTypeE1ES0_Li32ELi128ELi256ELb1ELi12EEvPKT_PKT0_S8_ifPKiSA_SA_iPKfiiiPfSD_PS3_PT2_iSC_SC_
; %bb.0:
	s_load_dwordx2 s[10:11], s[0:1], 0x30
	s_mov_b32 s6, s3
	s_mov_b64 s[8:9], 0
	s_waitcnt lgkmcnt(0)
	s_cmp_lg_u64 s[10:11], 0
	s_cselect_b64 s[12:13], -1, 0
	s_and_b64 vcc, exec, s[12:13]
	s_cbranch_vccz .LBB1379_7
; %bb.1:
	s_add_i32 s14, s2, 1
	s_mov_b32 s15, 0
	s_lshl_b64 s[16:17], s[14:15], 2
	s_add_u32 s16, s10, s16
	s_mov_b32 s3, s15
	s_addc_u32 s17, s11, s17
	s_lshl_b64 s[14:15], s[2:3], 2
	s_add_u32 s14, s10, s14
	s_addc_u32 s15, s11, s15
	s_load_dword s5, s[16:17], 0x0
	s_load_dword s7, s[14:15], 0x0
	s_waitcnt lgkmcnt(0)
	s_sub_i32 s5, s5, s7
	s_cmp_eq_u32 s5, 1
	s_cselect_b64 s[14:15], -1, 0
	s_andn2_b64 vcc, exec, s[8:9]
	s_cbranch_vccnz .LBB1379_3
.LBB1379_2:
	s_mov_b32 s3, 0
	s_mov_b64 s[14:15], -1
.LBB1379_3:
	s_andn2_b64 vcc, exec, s[14:15]
	s_cbranch_vccnz .LBB1379_19
; %bb.4:
	s_load_dwordx2 s[8:9], s[0:1], 0x28
	s_lshl_b64 s[14:15], s[2:3], 2
	s_waitcnt lgkmcnt(0)
	s_add_u32 s8, s8, s14
	s_addc_u32 s9, s9, s15
	s_load_dword s7, s[8:9], 0x0
	s_lshl_b32 s18, s6, 8
	s_waitcnt lgkmcnt(0)
	s_cmp_ge_i32 s18, s7
	s_cbranch_scc1 .LBB1379_19
; %bb.5:
	s_load_dwordx2 s[8:9], s[0:1], 0x20
	s_load_dword s5, s[0:1], 0x38
	s_add_i32 s16, s7, 31
	s_ashr_i32 s17, s16, 31
	v_and_b32_e32 v1, 0xcf, v0
	s_lshr_b32 s17, s17, 27
	v_add_u32_e32 v1, s18, v1
	s_add_i32 s16, s16, s17
	v_ashrrev_i32_e32 v2, 31, v1
	s_ashr_i32 s19, s16, 5
	v_lshrrev_b32_e32 v4, 27, v2
	s_add_i32 s19, s19, -1
	s_waitcnt lgkmcnt(0)
	s_mul_i32 s16, s2, s5
	s_mov_b32 s17, 0
	v_add_u32_e32 v2, v1, v4
	s_lshl_b64 s[16:17], s[16:17], 2
	v_ashrrev_i32_e32 v2, 5, v2
	v_mov_b32_e32 v5, s19
	v_cmp_gt_i32_e32 vcc, s7, v1
	s_add_u32 s8, s8, s16
	s_addc_u32 s9, s9, s17
	v_cndmask_b32_e32 v2, v5, v2, vcc
	v_ashrrev_i32_e32 v3, 31, v2
	v_lshl_add_u64 v[6:7], v[2:3], 2, s[8:9]
	v_or_b32_e32 v2, 16, v1
	v_add_u32_e32 v3, v2, v4
	v_ashrrev_i32_e32 v3, 5, v3
	v_cmp_gt_i32_e32 vcc, s7, v2
	s_load_dwordx2 s[16:17], s[0:1], 0x8
	s_nop 0
	v_cndmask_b32_e32 v2, v5, v3, vcc
	v_ashrrev_i32_e32 v3, 31, v2
	v_lshl_add_u64 v[8:9], v[2:3], 2, s[8:9]
	v_or_b32_e32 v2, 32, v1
	v_add_u32_e32 v3, v2, v4
	v_ashrrev_i32_e32 v3, 5, v3
	v_cmp_gt_i32_e32 vcc, s7, v2
	v_or_b32_e32 v1, 48, v1
	s_nop 0
	v_cndmask_b32_e32 v2, v5, v3, vcc
	v_ashrrev_i32_e32 v3, 31, v2
	v_lshl_add_u64 v[12:13], v[2:3], 2, s[8:9]
	v_add_u32_e32 v2, v1, v4
	v_ashrrev_i32_e32 v2, 5, v2
	v_cmp_gt_i32_e32 vcc, s7, v1
	s_nop 1
	v_cndmask_b32_e32 v2, v5, v2, vcc
	v_ashrrev_i32_e32 v3, 31, v2
	v_lshl_add_u64 v[14:15], v[2:3], 2, s[8:9]
	global_load_dword v4, v[6:7], off
	global_load_dword v3, v[8:9], off
	;; [unrolled: 1-line block ×4, first 2 shown]
	s_andn2_b64 vcc, exec, s[12:13]
	s_cbranch_vccnz .LBB1379_8
; %bb.6:
	s_add_u32 s10, s10, s14
	s_addc_u32 s11, s11, s15
	s_load_dword s5, s[10:11], 0x0
	s_branch .LBB1379_9
.LBB1379_7:
	s_mov_b64 s[14:15], 0
	s_branch .LBB1379_2
.LBB1379_8:
	s_mov_b32 s5, s2
.LBB1379_9:
	s_load_dwordx2 s[10:11], s[0:1], 0x10
	s_load_dwordx4 s[44:47], s[0:1], 0x48
	v_and_b32_e32 v56, 15, v0
	v_lshlrev_b32_e32 v5, 3, v56
	s_movk_i32 s12, 0xc0
	v_lshrrev_b32_e32 v57, 6, v0
	v_bfe_u32 v1, v0, 4, 2
	s_mul_i32 s48, s4, 12
	v_cmp_gt_u32_e32 vcc, s12, v0
	v_lshlrev_b32_e32 v54, 1, v5
	v_lshlrev_b32_e32 v62, 4, v0
	s_and_saveexec_b64 s[12:13], vcc
	s_cbranch_execz .LBB1379_11
; %bb.10:
	s_load_dwordx2 s[14:15], s[0:1], 0x0
	s_waitcnt lgkmcnt(0)
	s_ashr_i32 s20, s44, 31
	s_mul_hi_u32 s21, s5, s44
	s_mul_i32 s20, s5, s20
	s_add_i32 s21, s21, s20
	s_mul_i32 s20, s5, s44
	v_lshl_or_b32 v5, v57, 2, v1
	s_lshl_b64 s[20:21], s[20:21], 1
	s_add_u32 s14, s14, s20
	v_add_lshl_u32 v6, v5, s48, 7
	s_addc_u32 s15, s15, s21
	v_ashrrev_i32_e32 v7, 31, v6
	v_lshl_add_u64 v[6:7], v[6:7], 1, s[14:15]
	v_mov_b32_e32 v55, 0
	v_lshl_add_u64 v[6:7], v[6:7], 0, v[54:55]
	global_load_dwordx4 v[6:9], v[6:7], off
	v_lshlrev_b32_e32 v12, 8, v0
	v_lshlrev_b32_e32 v11, 8, v56
	v_and_b32_e32 v12, 0x600, v12
	s_movk_i32 s5, 0x800
	v_and_or_b32 v11, v11, s5, v12
	v_lshlrev_b32_e32 v5, 5, v5
	v_and_b32_e32 v12, 16, v62
	v_or3_b32 v5, v11, v5, v12
	s_waitcnt vmcnt(0)
	ds_write_b128 v5, v[6:9]
.LBB1379_11:
	s_or_b64 exec, exec, s[12:13]
	s_waitcnt lgkmcnt(0)
	s_mul_i32 s12, s4, s46
	s_add_u32 s4, s16, s12
	s_addc_u32 s5, s17, 0
	v_mov_b32_e32 v59, 0
	v_mov_b64_e32 v[12:13], s[4:5]
	v_and_b32_e32 v34, 48, v0
	s_waitcnt vmcnt(3)
	v_mad_i64_i32 v[4:5], s[4:5], v4, s45, v[12:13]
	v_lshlrev_b32_e32 v14, 4, v56
	v_mov_b32_e32 v15, v59
	v_lshlrev_b32_e32 v58, 5, v34
	v_lshl_add_u64 v[4:5], v[4:5], 0, v[14:15]
	v_lshl_add_u64 v[4:5], v[4:5], 0, v[58:59]
	s_barrier
	global_load_dwordx4 v[50:53], v[4:5], off
	global_load_dwordx4 v[46:49], v[4:5], off offset:2048
	s_waitcnt vmcnt(4)
	v_mad_i64_i32 v[4:5], s[4:5], v3, s45, v[12:13]
	v_or_b32_e32 v16, 0x100, v14
	v_mov_b32_e32 v17, v59
	s_waitcnt vmcnt(3)
	v_mad_i64_i32 v[2:3], s[4:5], v2, s45, v[12:13]
	v_lshl_add_u64 v[4:5], v[4:5], 0, v[16:17]
	v_lshl_add_u64 v[2:3], v[2:3], 0, v[14:15]
	s_waitcnt vmcnt(2)
	v_mad_i64_i32 v[10:11], s[4:5], v10, s45, v[12:13]
	v_lshl_add_u64 v[4:5], v[4:5], 0, v[58:59]
	v_lshl_add_u64 v[14:15], v[2:3], 0, v[58:59]
	;; [unrolled: 1-line block ×3, first 2 shown]
	global_load_dwordx4 v[36:39], v[4:5], off
	global_load_dwordx4 v[6:9], v[4:5], off offset:2048
	s_nop 0
	global_load_dwordx4 v[2:5], v[14:15], off
	global_load_dwordx4 v[42:45], v[14:15], off offset:2048
	v_lshl_add_u64 v[14:15], v[10:11], 0, v[58:59]
	global_load_dwordx4 v[26:29], v[14:15], off
	global_load_dwordx4 v[10:13], v[14:15], off offset:2048
	v_add_u32_e32 v14, -12, v56
	v_cmp_gt_u32_e32 vcc, 12, v56
	v_and_b32_e32 v55, 63, v0
	v_mov_b32_e32 v63, 0
	v_cndmask_b32_e32 v14, v14, v56, vcc
	v_lshlrev_b32_e32 v14, 5, v14
	v_lshl_add_u32 v14, v1, 9, v14
	ds_read_b128 v[30:33], v14
	ds_read_b128 v[22:25], v14 offset:16
	ds_read_b128 v[18:21], v14 offset:2048
	;; [unrolled: 1-line block ×3, first 2 shown]
	s_and_saveexec_b64 s[4:5], vcc
	s_cbranch_execz .LBB1379_13
; %bb.12:
	s_load_dwordx2 s[14:15], s[0:1], 0x40
	v_add_u32_e32 v40, s48, v56
	v_ashrrev_i32_e32 v41, 31, v40
	s_waitcnt lgkmcnt(0)
	v_lshl_add_u64 v[40:41], v[40:41], 2, s[14:15]
	global_load_dword v63, v[40:41], off
.LBB1379_13:
	s_or_b64 exec, exec, s[4:5]
	s_ashr_i32 s4, s18, 31
	v_or_b32_e32 v58, s18, v34
	s_lshr_b32 s4, s4, 27
	v_add_u32_e32 v34, s4, v58
	v_or_b32_e32 v40, 64, v58
	v_ashrrev_i32_e32 v34, 5, v34
	v_mov_b32_e32 v64, s19
	v_cmp_gt_i32_e32 vcc, s7, v58
	v_add_u32_e32 v41, s4, v40
	v_or_b32_e32 v60, 0x80, v58
	v_cndmask_b32_e32 v34, v64, v34, vcc
	v_ashrrev_i32_e32 v41, 5, v41
	v_cmp_gt_i32_e32 vcc, s7, v40
	v_add_u32_e32 v61, s4, v60
	v_or_b32_e32 v58, 0xc0, v58
	v_cndmask_b32_e32 v40, v64, v41, vcc
	v_ashrrev_i32_e32 v61, 5, v61
	v_cmp_gt_i32_e32 vcc, s7, v60
	v_add_u32_e32 v65, s4, v58
	v_ashrrev_i32_e32 v65, 5, v65
	v_cndmask_b32_e32 v60, v64, v61, vcc
	v_cmp_gt_i32_e32 vcc, s7, v58
	s_waitcnt vmcnt(7)
	v_cvt_pk_f32_fp8_sdwa v[66:67], v50 src0_sel:WORD_1
	s_mov_b32 s33, 0x7060302
	v_cndmask_b32_e32 v68, v64, v65, vcc
	v_cvt_pk_f32_fp8_e32 v[64:65], v50
	v_cvt_pk_f32_fp8_e32 v[70:71], v51
	v_cvt_pk_f32_fp8_sdwa v[50:51], v51 src0_sel:WORD_1
	v_cvt_pk_f32_fp8_e32 v[72:73], v52
	v_perm_b32 v64, v65, v64, s33
	v_perm_b32 v65, v67, v66, s33
	;; [unrolled: 1-line block ×3, first 2 shown]
	v_cvt_pk_f32_fp8_sdwa v[74:75], v52 src0_sel:WORD_1
	v_perm_b32 v71, v51, v50, s33
	s_waitcnt lgkmcnt(3)
	v_mfma_f32_16x16x16_bf16 v[64:67], v[64:65], v[30:31], 0
	v_perm_b32 v72, v73, v72, s33
	v_perm_b32 v73, v75, v74, s33
	v_cvt_pk_f32_fp8_e32 v[74:75], v53
	v_cvt_pk_f32_fp8_sdwa v[76:77], v53 src0_sel:WORD_1
	v_mfma_f32_16x16x16_bf16 v[50:53], v[70:71], v[32:33], v[64:67]
	v_ashrrev_i32_e32 v35, 31, v34
	v_lshl_add_u64 v[34:35], v[34:35], 2, s[8:9]
	v_ashrrev_i32_e32 v41, 31, v40
	v_perm_b32 v64, v75, v74, s33
	v_perm_b32 v65, v77, v76, s33
	s_waitcnt lgkmcnt(2)
	v_mfma_f32_16x16x16_bf16 v[50:53], v[72:73], v[22:23], v[50:53]
	s_waitcnt vmcnt(6)
	v_cvt_pk_f32_fp8_e32 v[66:67], v46
	v_ashrrev_i32_e32 v61, 31, v60
	v_ashrrev_i32_e32 v69, 31, v68
	v_lshl_add_u64 v[40:41], v[40:41], 2, s[8:9]
	v_lshl_add_u64 v[60:61], v[60:61], 2, s[8:9]
	v_lshl_add_u64 v[72:73], v[68:69], 2, s[8:9]
	v_mfma_f32_16x16x16_bf16 v[50:53], v[64:65], v[24:25], v[50:53]
	v_perm_b32 v74, v67, v66, s33
	global_load_dword v68, v[34:35], off
	global_load_dword v66, v[40:41], off
	;; [unrolled: 1-line block ×4, first 2 shown]
	v_cvt_pk_f32_fp8_sdwa v[70:71], v46 src0_sel:WORD_1
	v_cvt_pk_f32_fp8_e32 v[40:41], v48
	s_waitcnt vmcnt(9)
	v_cvt_pk_f32_fp8_e32 v[60:61], v36
	s_add_u32 s4, s10, s12
	v_perm_b32 v75, v71, v70, s33
	v_cvt_pk_f32_fp8_e32 v[70:71], v47
	v_cvt_pk_f32_fp8_sdwa v[46:47], v47 src0_sel:WORD_1
	s_waitcnt lgkmcnt(1)
	v_mfma_f32_16x16x16_bf16 v[50:53], v[74:75], v[18:19], v[50:53]
	v_perm_b32 v34, v71, v70, s33
	v_perm_b32 v35, v47, v46, s33
	v_cvt_pk_f32_fp8_sdwa v[46:47], v48 src0_sel:WORD_1
	v_perm_b32 v40, v41, v40, s33
	v_mfma_f32_16x16x16_bf16 v[50:53], v[34:35], v[20:21], v[50:53]
	v_perm_b32 v41, v47, v46, s33
	v_cvt_pk_f32_fp8_e32 v[34:35], v49
	v_cvt_pk_f32_fp8_sdwa v[46:47], v49 src0_sel:WORD_1
	v_cvt_pk_f32_fp8_sdwa v[70:71], v36 src0_sel:WORD_1
	s_addc_u32 s5, s11, 0
	v_perm_b32 v34, v35, v34, s33
	v_perm_b32 v35, v47, v46, s33
	s_waitcnt lgkmcnt(0)
	v_mfma_f32_16x16x16_bf16 v[46:49], v[40:41], v[14:15], v[50:53]
	v_perm_b32 v40, v61, v60, s33
	v_perm_b32 v41, v71, v70, s33
	s_waitcnt vmcnt(8)
	v_cvt_pk_f32_fp8_sdwa v[60:61], v6 src0_sel:WORD_1
	v_cvt_pk_f32_fp8_e32 v[50:51], v37
	v_cvt_pk_f32_fp8_sdwa v[52:53], v37 src0_sel:WORD_1
	v_mfma_f32_16x16x16_bf16 v[34:37], v[34:35], v[16:17], v[46:49]
	v_and_b32_e32 v58, 16, v0
	v_perm_b32 v50, v51, v50, s33
	v_perm_b32 v51, v53, v52, s33
	v_mfma_f32_16x16x16_bf16 v[46:49], v[40:41], v[30:31], 0
	v_cvt_pk_f32_fp8_e32 v[40:41], v38
	v_cvt_pk_f32_fp8_sdwa v[52:53], v38 src0_sel:WORD_1
	v_lshl_or_b32 v64, v57, 4, v56
	v_mfma_f32_16x16x16_bf16 v[46:49], v[50:51], v[32:33], v[46:49]
	v_cvt_pk_f32_fp8_e32 v[50:51], v39
	v_perm_b32 v40, v41, v40, s33
	v_perm_b32 v41, v53, v52, s33
	v_cvt_pk_f32_fp8_sdwa v[38:39], v39 src0_sel:WORD_1
	v_perm_b32 v50, v51, v50, s33
	v_cvt_pk_f32_fp8_e32 v[52:53], v6
	s_waitcnt vmcnt(6)
	v_cvt_pk_f32_fp8_e32 v[74:75], v43
	v_perm_b32 v51, v39, v38, s33
	v_mfma_f32_16x16x16_bf16 v[38:41], v[40:41], v[22:23], v[46:49]
	s_nop 2
	v_perm_b32 v48, v53, v52, s33
	v_perm_b32 v49, v61, v60, s33
	v_cvt_pk_f32_fp8_e32 v[52:53], v7
	v_cvt_pk_f32_fp8_sdwa v[6:7], v7 src0_sel:WORD_1
	v_mfma_f32_16x16x16_bf16 v[38:41], v[50:51], v[24:25], v[38:41]
	v_lshl_add_u64 v[46:47], s[4:5], 0, v[58:59]
	v_perm_b32 v50, v53, v52, s33
	v_perm_b32 v51, v7, v6, s33
	v_mfma_f32_16x16x16_bf16 v[38:41], v[48:49], v[18:19], v[38:41]
	v_cvt_pk_f32_fp8_e32 v[6:7], v8
	v_cvt_pk_f32_fp8_sdwa v[48:49], v8 src0_sel:WORD_1
	v_cvt_pk_f32_fp8_sdwa v[52:53], v2 src0_sel:WORD_1
	v_mfma_f32_16x16x16_bf16 v[38:41], v[50:51], v[20:21], v[38:41]
	v_cvt_pk_f32_fp8_e32 v[50:51], v9
	v_perm_b32 v6, v7, v6, s33
	v_perm_b32 v7, v49, v48, s33
	v_cvt_pk_f32_fp8_sdwa v[8:9], v9 src0_sel:WORD_1
	v_perm_b32 v48, v51, v50, s33
	v_cvt_pk_f32_fp8_e32 v[50:51], v2
	v_lshlrev_b32_e32 v58, 5, v64
	v_perm_b32 v49, v9, v8, s33
	v_mfma_f32_16x16x16_bf16 v[6:9], v[6:7], v[14:15], v[38:41]
	v_perm_b32 v50, v51, v50, s33
	v_perm_b32 v51, v53, v52, s33
	v_cvt_pk_f32_fp8_e32 v[52:53], v3
	v_cvt_pk_f32_fp8_sdwa v[2:3], v3 src0_sel:WORD_1
	v_mfma_f32_16x16x16_bf16 v[38:41], v[48:49], v[16:17], v[6:9]
	v_lshl_add_u64 v[48:49], v[46:47], 0, v[58:59]
	v_perm_b32 v52, v53, v52, s33
	v_perm_b32 v53, v3, v2, s33
	v_mfma_f32_16x16x16_bf16 v[6:9], v[50:51], v[30:31], 0
	v_cvt_pk_f32_fp8_e32 v[2:3], v4
	v_cvt_pk_f32_fp8_sdwa v[50:51], v4 src0_sel:WORD_1
	s_waitcnt vmcnt(3)
	v_mad_i64_i32 v[60:61], s[4:5], v68, s45, v[48:49]
	v_perm_b32 v2, v3, v2, s33
	v_perm_b32 v3, v51, v50, s33
	v_mfma_f32_16x16x16_bf16 v[6:9], v[52:53], v[32:33], v[6:9]
	v_cvt_pk_f32_fp8_e32 v[50:51], v5
	v_cvt_pk_f32_fp8_sdwa v[4:5], v5 src0_sel:WORD_1
	s_waitcnt vmcnt(2)
	v_mad_i64_i32 v[70:71], s[4:5], v66, s45, v[48:49]
	v_perm_b32 v50, v51, v50, s33
	v_perm_b32 v51, v5, v4, s33
	v_mfma_f32_16x16x16_bf16 v[2:5], v[2:3], v[22:23], v[6:9]
	v_or_b32_e32 v58, 0x800, v58
	s_nop 1
	v_cvt_pk_f32_fp8_e32 v[6:7], v42
	v_cvt_pk_f32_fp8_sdwa v[8:9], v42 src0_sel:WORD_1
	v_cvt_pk_f32_fp8_sdwa v[42:43], v43 src0_sel:WORD_1
	v_mfma_f32_16x16x16_bf16 v[50:53], v[50:51], v[24:25], v[2:5]
	v_perm_b32 v72, v7, v6, s33
	v_perm_b32 v73, v9, v8, s33
	global_load_dwordx4 v[6:9], v[60:61], off
	global_load_dwordx4 v[2:5], v[70:71], off
	v_perm_b32 v60, v75, v74, s33
	v_perm_b32 v61, v43, v42, s33
	v_mfma_f32_16x16x16_bf16 v[70:73], v[72:73], v[18:19], v[50:53]
	v_cvt_pk_f32_fp8_e32 v[42:43], v44
	v_perm_b32 v42, v43, v42, s33
	s_nop 0
	v_cvt_pk_f32_fp8_sdwa v[52:53], v44 src0_sel:WORD_1
	v_mfma_f32_16x16x16_bf16 v[70:73], v[60:61], v[20:21], v[70:73]
	v_cvt_pk_f32_fp8_e32 v[60:61], v45
	s_waitcnt vmcnt(3)
	v_mad_i64_i32 v[50:51], s[4:5], v67, s45, v[48:49]
	s_load_dword s4, s[0:1], 0x1c
	s_load_dwordx4 s[40:43], s[0:1], 0x80
	v_perm_b32 v43, v53, v52, s33
	v_perm_b32 v74, v61, v60, s33
	v_cvt_pk_f32_fp8_e32 v[52:53], v26
	v_cvt_pk_f32_fp8_sdwa v[60:61], v26 src0_sel:WORD_1
	s_load_dword s44, s[0:1], 0x98
	s_waitcnt lgkmcnt(0)
	s_load_dword s5, s[40:41], 0x0
	v_cvt_pk_f32_fp8_sdwa v[44:45], v45 src0_sel:WORD_1
	v_perm_b32 v52, v53, v52, s33
	v_perm_b32 v53, v61, v60, s33
	v_cvt_pk_f32_fp8_e32 v[60:61], v27
	v_cvt_pk_f32_fp8_sdwa v[26:27], v27 src0_sel:WORD_1
	v_perm_b32 v75, v45, v44, s33
	v_mfma_f32_16x16x16_bf16 v[42:45], v[42:43], v[14:15], v[70:73]
	v_perm_b32 v60, v61, v60, s33
	v_perm_b32 v61, v27, v26, s33
	v_mov_b32_e32 v26, s4
	v_mfma_f32_16x16x16_bf16 v[70:73], v[52:53], v[30:31], 0
	s_waitcnt lgkmcnt(0)
	v_mul_f32_e32 v52, s5, v26
	v_cvt_pk_f32_fp8_e32 v[26:27], v28
	v_cvt_pk_f32_fp8_sdwa v[30:31], v28 src0_sel:WORD_1
	v_mfma_f32_16x16x16_bf16 v[70:73], v[60:61], v[32:33], v[70:73]
	v_cvt_pk_f32_fp8_e32 v[32:33], v29
	v_cvt_pk_f32_fp8_sdwa v[28:29], v29 src0_sel:WORD_1
	v_perm_b32 v26, v27, v26, s33
	v_perm_b32 v27, v31, v30, s33
	v_mfma_f32_16x16x16_bf16 v[42:45], v[74:75], v[16:17], v[42:45]
	v_perm_b32 v32, v33, v32, s33
	v_perm_b32 v33, v29, v28, s33
	v_cvt_pk_f32_fp8_e32 v[60:61], v10
	v_cvt_pk_f32_fp8_sdwa v[74:75], v10 src0_sel:WORD_1
	v_mfma_f32_16x16x16_bf16 v[26:29], v[26:27], v[22:23], v[70:73]
	v_pk_mul_f32 v[30:31], v[52:53], v[36:37] op_sel_hi:[0,1]
	v_perm_b32 v36, v61, v60, s33
	v_perm_b32 v37, v75, v74, s33
	v_cvt_pk_f32_fp8_e32 v[60:61], v11
	v_cvt_pk_f32_fp8_sdwa v[70:71], v11 src0_sel:WORD_1
	v_mfma_f32_16x16x16_bf16 v[22:25], v[32:33], v[24:25], v[26:29]
	v_pk_mul_f32 v[10:11], v[52:53], v[34:35] op_sel_hi:[0,1]
	v_perm_b32 v60, v61, v60, s33
	v_perm_b32 v61, v71, v70, s33
	v_mfma_f32_16x16x16_bf16 v[32:35], v[36:37], v[18:19], v[22:25]
	v_cvt_pk_f32_fp8_e32 v[18:19], v12
	v_cvt_pk_f32_fp8_sdwa v[36:37], v12 src0_sel:WORD_1
	s_waitcnt vmcnt(2)
	v_mad_i64_i32 v[48:49], s[8:9], v65, s45, v[48:49]
	global_load_dwordx4 v[26:29], v[50:51], off
	global_load_dwordx4 v[22:25], v[48:49], off
	v_perm_b32 v48, v19, v18, s33
	v_perm_b32 v49, v37, v36, s33
	v_cvt_pk_f32_fp8_e32 v[36:37], v13
	v_cvt_pk_f32_fp8_sdwa v[12:13], v13 src0_sel:WORD_1
	v_mfma_f32_16x16x16_bf16 v[18:21], v[60:61], v[20:21], v[32:35]
	v_pk_mul_f32 v[40:41], v[52:53], v[40:41] op_sel_hi:[0,1]
	v_pk_mul_f32 v[42:43], v[52:53], v[42:43] op_sel_hi:[0,1]
	s_mov_b32 s40, 0xff7fffff
	v_perm_b32 v32, v37, v36, s33
	v_perm_b32 v33, v13, v12, s33
	v_mfma_f32_16x16x16_bf16 v[12:15], v[48:49], v[14:15], v[18:21]
	v_pk_mul_f32 v[48:49], v[52:53], v[38:39] op_sel_hi:[0,1]
	v_pk_mul_f32 v[38:39], v[52:53], v[44:45] op_sel_hi:[0,1]
	v_mfma_f32_16x16x16_bf16 v[12:15], v[32:33], v[16:17], v[12:15]
	s_nop 6
	v_pk_mul_f32 v[36:37], v[52:53], v[12:13] op_sel_hi:[0,1]
	v_and_b32_e32 v12, 0xc0, v0
	v_add_u32_e32 v12, s18, v12
	v_lshl_or_b32 v12, v1, 2, v12
	v_or_b32_e32 v13, 1, v12
	v_pk_mul_f32 v[34:35], v[52:53], v[14:15] op_sel_hi:[0,1]
	v_subrev_u32_e32 v14, s7, v13
	v_add_u32_e32 v16, 1, v14
	v_add_u32_e32 v17, 2, v14
	v_cvt_f32_i32_e32 v15, v14
	v_cvt_f32_i32_e32 v16, v16
	;; [unrolled: 1-line block ×3, first 2 shown]
	v_add_u32_e32 v18, 3, v14
	v_fma_f32 v10, v63, v15, v10
	v_fmac_f32_e32 v11, v63, v16
	v_fma_f32 v51, v63, v17, v30
	v_add_u32_e32 v15, 16, v14
	v_add_u32_e32 v16, 17, v14
	;; [unrolled: 1-line block ×3, first 2 shown]
	v_cvt_f32_i32_e32 v18, v18
	v_cvt_f32_i32_e32 v15, v15
	v_cvt_f32_i32_e32 v16, v16
	v_cvt_f32_i32_e32 v17, v17
	v_fmac_f32_e32 v31, v63, v18
	v_add_u32_e32 v18, 19, v14
	v_fma_f32 v48, v63, v15, v48
	v_fmac_f32_e32 v49, v63, v16
	v_fma_f32 v40, v63, v17, v40
	v_add_u32_e32 v15, 32, v14
	v_add_u32_e32 v16, 33, v14
	;; [unrolled: 1-line block ×3, first 2 shown]
	v_cvt_f32_i32_e32 v18, v18
	v_cvt_f32_i32_e32 v15, v15
	v_cvt_f32_i32_e32 v16, v16
	v_cvt_f32_i32_e32 v17, v17
	v_fmac_f32_e32 v41, v63, v18
	v_add_u32_e32 v18, 35, v14
	v_fma_f32 v42, v63, v15, v42
	v_fmac_f32_e32 v43, v63, v16
	v_fma_f32 v38, v63, v17, v38
	v_add_u32_e32 v15, 48, v14
	v_add_u32_e32 v16, 49, v14
	;; [unrolled: 1-line block ×4, first 2 shown]
	v_cvt_f32_i32_e32 v14, v14
	v_cvt_f32_i32_e32 v15, v15
	v_cvt_f32_i32_e32 v16, v16
	v_cmp_gt_i32_e64 s[8:9], s7, v12
	v_fmac_f32_e32 v35, v63, v14
	v_mov_b32_e32 v14, 0xff7fffff
	v_cmp_gt_i32_e64 s[10:11], s7, v13
	v_fma_f32 v36, v63, v15, v36
	v_cndmask_b32_e64 v15, v14, v10, s[8:9]
	v_cndmask_b32_e64 v13, v14, v11, s[10:11]
	v_fmac_f32_e32 v37, v63, v16
	v_max3_f32 v13, v15, s40, v13
	v_or_b32_e32 v15, 2, v12
	v_or_b32_e32 v16, 3, v12
	v_cmp_gt_i32_e64 s[12:13], s7, v15
	v_cmp_gt_i32_e64 s[14:15], s7, v16
	v_cvt_f32_i32_e32 v18, v18
	v_cndmask_b32_e64 v15, v14, v51, s[12:13]
	v_cndmask_b32_e64 v16, v14, v31, s[14:15]
	v_max3_f32 v13, v13, v15, v16
	v_or_b32_e32 v15, 16, v12
	v_or_b32_e32 v16, 17, v12
	v_cmp_gt_i32_e64 s[16:17], s7, v15
	v_cmp_gt_i32_e64 s[18:19], s7, v16
	v_fmac_f32_e32 v39, v63, v18
	v_cndmask_b32_e64 v15, v14, v48, s[16:17]
	v_cndmask_b32_e64 v16, v14, v49, s[18:19]
	v_max3_f32 v13, v13, v15, v16
	v_or_b32_e32 v15, 18, v12
	v_or_b32_e32 v16, 19, v12
	v_cmp_gt_i32_e64 s[20:21], s7, v15
	v_cmp_gt_i32_e64 s[22:23], s7, v16
	v_cvt_f32_i32_e32 v17, v17
	v_cndmask_b32_e64 v15, v14, v40, s[20:21]
	v_cndmask_b32_e64 v16, v14, v41, s[22:23]
	v_max3_f32 v13, v13, v15, v16
	v_or_b32_e32 v15, 32, v12
	v_or_b32_e32 v16, 33, v12
	v_cmp_gt_i32_e64 s[24:25], s7, v15
	v_cmp_gt_i32_e64 s[26:27], s7, v16
	v_fma_f32 v34, v63, v17, v34
	v_cndmask_b32_e64 v15, v14, v42, s[24:25]
	v_cndmask_b32_e64 v16, v14, v43, s[26:27]
	v_max3_f32 v13, v13, v15, v16
	v_or_b32_e32 v15, 34, v12
	v_or_b32_e32 v16, 35, v12
	v_cmp_gt_i32_e64 s[28:29], s7, v15
	v_cmp_gt_i32_e64 s[30:31], s7, v16
	s_nop 0
	v_cndmask_b32_e64 v15, v14, v38, s[28:29]
	v_cndmask_b32_e64 v16, v14, v39, s[30:31]
	v_max3_f32 v13, v13, v15, v16
	v_or_b32_e32 v15, 48, v12
	v_or_b32_e32 v16, 49, v12
	v_cmp_gt_i32_e64 s[34:35], s7, v15
	v_cmp_gt_i32_e64 s[36:37], s7, v16
	s_nop 0
	v_cndmask_b32_e64 v15, v14, v36, s[34:35]
	v_cndmask_b32_e64 v16, v14, v37, s[36:37]
	v_max3_f32 v13, v13, v15, v16
	v_or_b32_e32 v15, 50, v12
	v_or_b32_e32 v12, 51, v12
	v_cmp_gt_i32_e32 vcc, s7, v15
	v_cmp_gt_i32_e64 s[4:5], s7, v12
	s_nop 0
	v_cndmask_b32_e32 v15, v14, v34, vcc
	v_cndmask_b32_e64 v12, v14, v35, s[4:5]
	v_max3_f32 v16, v13, v15, v12
	v_mbcnt_lo_u32_b32 v12, -1, 0
	v_mbcnt_hi_u32_b32 v17, -1, v12
	v_and_b32_e32 v12, 64, v17
	v_add_u32_e32 v18, 64, v12
	v_xor_b32_e32 v12, 32, v17
	v_cmp_lt_i32_e64 s[38:39], v12, v18
	s_nop 1
	v_cndmask_b32_e64 v12, v17, v12, s[38:39]
	v_lshlrev_b32_e32 v52, 2, v12
	ds_bpermute_b32 v19, v52, v16
	v_lshl_add_u64 v[12:13], v[46:47], 0, v[58:59]
	v_mad_i64_i32 v[14:15], s[38:39], v68, s45, v[12:13]
	s_waitcnt lgkmcnt(0)
	v_max_f32_e32 v19, v19, v19
	v_max_f32_e32 v19, v16, v19
	v_xor_b32_e32 v16, 16, v17
	v_cmp_lt_i32_e64 s[38:39], v16, v18
	s_nop 1
	v_cndmask_b32_e64 v16, v17, v16, s[38:39]
	v_lshlrev_b32_e32 v53, 2, v16
	ds_bpermute_b32 v18, v53, v19
	v_mad_i64_i32 v[16:17], s[38:39], v66, s45, v[12:13]
	v_mad_i64_i32 v[44:45], s[38:39], v67, s45, v[12:13]
	s_waitcnt lgkmcnt(0)
	v_max_f32_e32 v18, v18, v18
	v_max_f32_e32 v50, v19, v18
	v_sub_f32_e32 v10, v10, v50
	v_mul_f32_e32 v10, 0x3fb8aa3b, v10
	v_exp_f32_e32 v18, v10
	v_sub_f32_e32 v10, v11, v50
	v_mul_f32_e32 v10, 0x3fb8aa3b, v10
	v_exp_f32_e32 v19, v10
	v_mad_i64_i32 v[10:11], s[38:39], v65, s45, v[12:13]
	v_sub_f32_e32 v12, v51, v50
	v_mul_f32_e32 v12, 0x3fb8aa3b, v12
	v_cndmask_b32_e64 v46, 0, v18, s[8:9]
	v_cndmask_b32_e64 v47, 0, v19, s[10:11]
	v_sub_f32_e32 v58, v31, v50
	global_load_dwordx4 v[30:33], v[14:15], off
	global_load_dwordx4 v[18:21], v[16:17], off
	v_exp_f32_e32 v51, v12
	global_load_dwordx4 v[14:17], v[44:45], off
	s_nop 0
	global_load_dwordx4 v[10:13], v[10:11], off
	v_sub_f32_e32 v45, v48, v50
	v_sub_f32_e32 v48, v49, v50
	;; [unrolled: 1-line block ×4, first 2 shown]
	v_mul_f32_e32 v44, 0x3fb8aa3b, v58
	v_mul_f32_e32 v45, 0x3fb8aa3b, v45
	;; [unrolled: 1-line block ×5, first 2 shown]
	v_exp_f32_e32 v44, v44
	v_exp_f32_e32 v45, v45
	;; [unrolled: 1-line block ×3, first 2 shown]
	v_cndmask_b32_e64 v48, 0, v51, s[12:13]
	v_exp_f32_e32 v40, v40
	v_exp_f32_e32 v51, v42
	v_sub_f32_e32 v42, v43, v50
	v_mul_f32_e32 v42, 0x3fb8aa3b, v42
	v_cndmask_b32_e64 v49, 0, v44, s[14:15]
	v_cndmask_b32_e64 v44, 0, v45, s[16:17]
	;; [unrolled: 1-line block ×3, first 2 shown]
	v_sub_f32_e32 v41, v41, v50
	v_exp_f32_e32 v58, v42
	v_cndmask_b32_e64 v42, 0, v40, s[20:21]
	v_cndmask_b32_e64 v40, 0, v51, s[24:25]
	v_add_f32_e32 v51, 0, v46
	v_mul_f32_e32 v41, 0x3fb8aa3b, v41
	v_add_f32_e32 v51, v51, v47
	v_exp_f32_e32 v41, v41
	v_add_f32_e32 v51, v51, v48
	v_sub_f32_e32 v38, v38, v50
	v_add_f32_e32 v51, v51, v49
	v_sub_f32_e32 v39, v39, v50
	v_mul_f32_e32 v38, 0x3fb8aa3b, v38
	v_add_f32_e32 v51, v51, v44
	v_exp_f32_e32 v38, v38
	v_mul_f32_e32 v39, 0x3fb8aa3b, v39
	v_sub_f32_e32 v36, v36, v50
	v_add_f32_e32 v51, v51, v45
	v_cndmask_b32_e64 v43, 0, v41, s[22:23]
	v_exp_f32_e32 v39, v39
	v_mul_f32_e32 v36, 0x3fb8aa3b, v36
	v_sub_f32_e32 v37, v37, v50
	v_add_f32_e32 v51, v51, v42
	v_exp_f32_e32 v36, v36
	v_mul_f32_e32 v37, 0x3fb8aa3b, v37
	v_add_f32_e32 v51, v51, v43
	v_sub_f32_e32 v34, v34, v50
	v_cndmask_b32_e64 v41, 0, v58, s[26:27]
	v_exp_f32_e32 v37, v37
	v_add_f32_e32 v51, v51, v40
	v_mul_f32_e32 v34, 0x3fb8aa3b, v34
	v_sub_f32_e32 v35, v35, v50
	v_cndmask_b32_e64 v38, 0, v38, s[28:29]
	v_add_f32_e32 v51, v51, v41
	v_exp_f32_e32 v34, v34
	v_mul_f32_e32 v35, 0x3fb8aa3b, v35
	v_cndmask_b32_e64 v39, 0, v39, s[30:31]
	v_add_f32_e32 v51, v51, v38
	v_exp_f32_e32 v35, v35
	v_cndmask_b32_e64 v36, 0, v36, s[34:35]
	v_add_f32_e32 v51, v51, v39
	v_cndmask_b32_e64 v37, 0, v37, s[36:37]
	v_add_f32_e32 v51, v51, v36
	v_add_f32_e32 v51, v51, v37
	v_cndmask_b32_e32 v34, 0, v34, vcc
	v_add_f32_e32 v51, v51, v34
	v_cndmask_b32_e64 v35, 0, v35, s[4:5]
	v_add_f32_e32 v51, v51, v35
	ds_bpermute_b32 v52, v52, v51
	v_cmp_gt_u32_e32 vcc, 16, v55
	s_waitcnt lgkmcnt(0)
	s_barrier
	v_add_f32_e32 v51, v51, v52
	ds_bpermute_b32 v52, v53, v51
	s_and_saveexec_b64 s[4:5], vcc
	s_cbranch_execz .LBB1379_15
; %bb.14:
	s_waitcnt lgkmcnt(0)
	v_add_f32_e32 v51, v51, v52
	v_lshlrev_b32_e32 v52, 2, v64
	ds_write2st64_b32 v52, v50, v51 offset1:1
.LBB1379_15:
	s_or_b64 exec, exec, s[4:5]
	v_lshlrev_b32_e32 v51, 2, v56
	s_load_dword s7, s[0:1], 0x94
	s_waitcnt lgkmcnt(0)
	s_barrier
	ds_read2_b32 v[52:53], v51 offset1:16
	ds_read2_b32 v[58:59], v51 offset0:32 offset1:48
	ds_read2_b32 v[60:61], v51 offset0:64 offset1:80
	s_movk_i32 s9, 0x7fff
	s_mul_i32 s8, s44, 12
	s_waitcnt lgkmcnt(2)
	v_max3_f32 v50, v52, s40, v53
	s_waitcnt lgkmcnt(1)
	v_max3_f32 v50, v50, v58, v59
	v_sub_f32_e32 v52, v52, v50
	v_mul_f32_e32 v52, 0x3fb8aa3b, v52
	v_exp_f32_e32 v55, v52
	v_sub_f32_e32 v52, v53, v50
	v_mul_f32_e32 v52, 0x3fb8aa3b, v52
	v_exp_f32_e32 v63, v52
	;; [unrolled: 3-line block ×3, first 2 shown]
	ds_read2_b32 v[52:53], v51 offset0:96 offset1:112
	v_sub_f32_e32 v51, v59, v50
	v_mul_f32_e32 v51, 0x3fb8aa3b, v51
	v_exp_f32_e32 v59, v51
	s_waitcnt lgkmcnt(1)
	v_fma_f32 v51, v55, v60, 0
	v_fmac_f32_e32 v51, v63, v61
	s_waitcnt lgkmcnt(0)
	v_fmac_f32_e32 v51, v58, v52
	v_fmac_f32_e32 v51, v59, v53
	v_add_f32_e32 v52, 0x358637bd, v51
	v_div_scale_f32 v53, s[4:5], v52, v52, 1.0
	v_rcp_f32_e32 v60, v53
	s_barrier
	v_fma_f32 v61, -v53, v60, 1.0
	v_fmac_f32_e32 v60, v61, v60
	v_div_scale_f32 v61, vcc, 1.0, v52, 1.0
	v_mul_f32_e32 v64, v61, v60
	v_fma_f32 v65, -v53, v64, v61
	v_fmac_f32_e32 v64, v65, v60
	v_fma_f32 v53, -v53, v64, v61
	v_div_fmas_f32 v53, v53, v60, v64
	v_cmp_eq_u32_e32 vcc, 1, v57
	v_div_fixup_f32 v52, v53, v52, 1.0
	s_nop 0
	v_cndmask_b32_e32 v53, v55, v63, vcc
	v_cmp_eq_u32_e32 vcc, 2, v57
	s_nop 1
	v_cndmask_b32_e32 v53, v53, v58, vcc
	v_cmp_eq_u32_e32 vcc, 3, v57
	s_nop 1
	v_cndmask_b32_e32 v53, v53, v59, vcc
	v_mul_f32_e32 v52, v53, v52
	v_pk_mul_f32 v[46:47], v[52:53], v[46:47] op_sel_hi:[0,1]
	v_pk_mul_f32 v[48:49], v[52:53], v[48:49] op_sel_hi:[0,1]
	v_bfe_u32 v53, v47, 16, 1
	v_bfe_u32 v55, v46, 16, 1
	v_add3_u32 v46, v46, v55, s9
	v_add3_u32 v47, v47, v53, s9
	v_perm_b32 v58, v47, v46, s33
	v_bfe_u32 v46, v49, 16, 1
	v_bfe_u32 v47, v48, 16, 1
	v_add3_u32 v47, v48, v47, s9
	v_add3_u32 v46, v49, v46, s9
	v_perm_b32 v59, v46, v47, s33
	v_lshlrev_b32_e32 v47, 3, v1
	v_lshlrev_b32_e32 v46, 5, v56
	;; [unrolled: 1-line block ×3, first 2 shown]
	v_pk_mul_f32 v[44:45], v[52:53], v[44:45] op_sel_hi:[0,1]
	v_or3_b32 v55, v48, v46, v47
	v_bfe_u32 v47, v45, 16, 1
	v_bfe_u32 v48, v44, 16, 1
	v_pk_mul_f32 v[42:43], v[52:53], v[42:43] op_sel_hi:[0,1]
	v_add3_u32 v44, v44, v48, s9
	v_add3_u32 v45, v45, v47, s9
	v_perm_b32 v44, v45, v44, s33
	v_bfe_u32 v45, v43, 16, 1
	v_bfe_u32 v47, v42, 16, 1
	v_add3_u32 v42, v42, v47, s9
	v_add3_u32 v43, v43, v45, s9
	v_pk_mul_f32 v[40:41], v[52:53], v[40:41] op_sel_hi:[0,1]
	v_perm_b32 v45, v43, v42, s33
	v_bfe_u32 v42, v41, 16, 1
	v_bfe_u32 v43, v40, 16, 1
	v_pk_mul_f32 v[38:39], v[52:53], v[38:39] op_sel_hi:[0,1]
	v_add3_u32 v40, v40, v43, s9
	v_add3_u32 v41, v41, v42, s9
	v_perm_b32 v40, v41, v40, s33
	v_bfe_u32 v41, v39, 16, 1
	v_bfe_u32 v42, v38, 16, 1
	v_add3_u32 v38, v38, v42, s9
	v_add3_u32 v39, v39, v41, s9
	v_pk_mul_f32 v[36:37], v[52:53], v[36:37] op_sel_hi:[0,1]
	v_perm_b32 v41, v39, v38, s33
	v_bfe_u32 v38, v37, 16, 1
	v_bfe_u32 v39, v36, 16, 1
	v_pk_mul_f32 v[34:35], v[52:53], v[34:35] op_sel_hi:[0,1]
	v_add3_u32 v36, v36, v39, s9
	v_add3_u32 v37, v37, v38, s9
	v_perm_b32 v36, v37, v36, s33
	v_bfe_u32 v37, v35, 16, 1
	v_bfe_u32 v38, v34, 16, 1
	v_add3_u32 v34, v34, v38, s9
	v_add3_u32 v35, v35, v37, s9
	v_perm_b32 v37, v35, v34, s33
	v_cmp_gt_u32_e32 vcc, 12, v0
	ds_write2st64_b64 v55, v[58:59], v[44:45] offset1:1
	ds_write2st64_b64 v55, v[40:41], v[36:37] offset0:2 offset1:3
	s_and_saveexec_b64 s[4:5], vcc
	s_cbranch_execz .LBB1379_17
; %bb.16:
	s_mov_b32 s49, 0
	v_mov_b32_e32 v57, 0
	v_lshl_add_u64 v[34:35], s[48:49], 0, v[56:57]
	v_mov_b32_e32 v36, s8
	v_mad_u64_u32 v[34:35], s[10:11], s2, v36, v[34:35]
	s_mul_i32 s3, s3, s8
	v_mov_b32_e32 v36, s6
	v_mov_b32_e32 v37, v57
	s_load_dwordx4 s[12:15], s[0:1], 0x58
	v_add_u32_e32 v38, s3, v35
	v_mad_u64_u32 v[34:35], s[10:11], v34, s7, v[36:37]
	v_mov_b32_e32 v36, v35
	v_mad_u64_u32 v[36:37], s[10:11], v38, s7, v[36:37]
	v_mov_b32_e32 v35, v36
	v_lshlrev_b64 v[34:35], 2, v[34:35]
	s_waitcnt lgkmcnt(0)
	v_lshl_add_u64 v[36:37], s[14:15], 0, v[34:35]
	v_lshl_add_u64 v[34:35], s[12:13], 0, v[34:35]
	global_store_dword v[36:37], v50, off
	global_store_dword v[34:35], v51, off
.LBB1379_17:
	s_or_b64 exec, exec, s[4:5]
	s_waitcnt vmcnt(7)
	v_cvt_pk_f32_fp8_e32 v[34:35], v6
	v_cvt_pk_f32_fp8_sdwa v[36:37], v6 src0_sel:WORD_1
	v_lshl_or_b32 v50, v1, 9, v46
	s_mov_b32 s5, 0x7060302
	s_waitcnt lgkmcnt(0)
	s_barrier
	v_cvt_pk_f32_fp8_e32 v[38:39], v7
	v_perm_b32 v6, v35, v34, s5
	v_cvt_pk_f32_fp8_sdwa v[40:41], v7 src0_sel:WORD_1
	v_perm_b32 v7, v37, v36, s5
	ds_read_b128 v[34:37], v50
	v_perm_b32 v46, v39, v38, s5
	v_perm_b32 v47, v41, v40, s5
	ds_read_b128 v[38:41], v50 offset:16
	v_cvt_pk_f32_fp8_e32 v[48:49], v8
	v_cvt_pk_f32_fp8_sdwa v[52:53], v8 src0_sel:WORD_1
	s_waitcnt lgkmcnt(1)
	v_mfma_f32_16x16x16_bf16 v[42:45], v[6:7], v[34:35], 0
	s_waitcnt vmcnt(6)
	v_cvt_pk_f32_fp8_e32 v[58:59], v4
	v_perm_b32 v6, v49, v48, s5
	v_perm_b32 v7, v53, v52, s5
	v_cvt_pk_f32_fp8_e32 v[48:49], v9
	v_mfma_f32_16x16x16_bf16 v[42:45], v[46:47], v[36:37], v[42:45]
	v_cvt_pk_f32_fp8_sdwa v[46:47], v9 src0_sel:WORD_1
	v_cvt_pk_f32_fp8_sdwa v[60:61], v4 src0_sel:WORD_1
	v_perm_b32 v48, v49, v48, s5
	s_waitcnt lgkmcnt(0)
	v_mfma_f32_16x16x16_bf16 v[6:9], v[6:7], v[38:39], v[42:45]
	v_perm_b32 v49, v47, v46, s5
	s_waitcnt vmcnt(5)
	v_cvt_pk_f32_fp8_e32 v[64:65], v28
	v_cvt_pk_f32_fp8_sdwa v[66:67], v28 src0_sel:WORD_1
	v_cvt_pk_f32_fp8_e32 v[42:43], v2
	v_mfma_f32_16x16x16_bf16 v[46:49], v[48:49], v[40:41], v[6:9]
	s_waitcnt vmcnt(4)
	v_cvt_pk_f32_fp8_sdwa v[68:69], v24 src0_sel:WORD_1
	s_load_dword s4, s[42:43], 0x0
	v_cvt_pk_f32_fp8_sdwa v[6:7], v2 src0_sel:WORD_1
	v_cvt_pk_f32_fp8_e32 v[8:9], v3
	v_perm_b32 v2, v43, v42, s5
	v_cvt_pk_f32_fp8_sdwa v[42:43], v3 src0_sel:WORD_1
	v_perm_b32 v3, v7, v6, s5
	v_perm_b32 v52, v9, v8, s5
	ds_read_b128 v[6:9], v50 offset:2048
	v_perm_b32 v53, v43, v42, s5
	ds_read_b128 v[42:45], v50 offset:2064
	s_waitcnt lgkmcnt(0)
	v_mfma_f32_16x16x16_bf16 v[46:49], v[2:3], v[6:7], v[46:49]
	v_perm_b32 v2, v59, v58, s5
	v_perm_b32 v3, v61, v60, s5
	v_cvt_pk_f32_fp8_e32 v[58:59], v5
	v_mfma_f32_16x16x16_bf16 v[46:49], v[52:53], v[8:9], v[46:49]
	v_cvt_pk_f32_fp8_sdwa v[52:53], v5 src0_sel:WORD_1
	s_waitcnt vmcnt(3)
	v_cvt_pk_f32_fp8_sdwa v[70:71], v32 src0_sel:WORD_1
	v_perm_b32 v58, v59, v58, s5
	v_mfma_f32_16x16x16_bf16 v[2:5], v[2:3], v[42:43], v[46:49]
	v_perm_b32 v59, v53, v52, s5
	s_mov_b32 s3, 0
	v_cmp_gt_u32_e32 vcc, 64, v0
	v_cvt_pk_f32_fp8_e32 v[46:47], v26
	v_mfma_f32_16x16x16_bf16 v[58:61], v[58:59], v[44:45], v[2:5]
	s_nop 2
	v_cvt_pk_f32_fp8_sdwa v[2:3], v26 src0_sel:WORD_1
	v_cvt_pk_f32_fp8_e32 v[4:5], v27
	v_perm_b32 v26, v47, v46, s5
	v_cvt_pk_f32_fp8_sdwa v[46:47], v27 src0_sel:WORD_1
	v_perm_b32 v27, v3, v2, s5
	v_perm_b32 v52, v5, v4, s5
	ds_read_b128 v[2:5], v50 offset:4096
	v_perm_b32 v53, v47, v46, s5
	ds_read_b128 v[46:49], v50 offset:4112
	s_waitcnt lgkmcnt(1)
	v_mfma_f32_16x16x16_bf16 v[58:61], v[26:27], v[2:3], v[58:61]
	v_perm_b32 v26, v65, v64, s5
	v_perm_b32 v27, v67, v66, s5
	v_cvt_pk_f32_fp8_e32 v[64:65], v29
	v_mfma_f32_16x16x16_bf16 v[58:61], v[52:53], v[4:5], v[58:61]
	v_cvt_pk_f32_fp8_sdwa v[52:53], v29 src0_sel:WORD_1
	v_cvt_pk_f32_fp8_e32 v[66:67], v24
	v_perm_b32 v64, v65, v64, s5
	s_waitcnt lgkmcnt(0)
	v_mfma_f32_16x16x16_bf16 v[26:29], v[26:27], v[46:47], v[58:61]
	v_perm_b32 v65, v53, v52, s5
	v_cvt_pk_f32_fp8_e32 v[52:53], v22
	s_nop 0
	v_mfma_f32_16x16x16_bf16 v[58:61], v[64:65], v[48:49], v[26:29]
	s_nop 2
	v_cvt_pk_f32_fp8_sdwa v[26:27], v22 src0_sel:WORD_1
	v_cvt_pk_f32_fp8_e32 v[28:29], v23
	v_perm_b32 v22, v53, v52, s5
	v_cvt_pk_f32_fp8_sdwa v[52:53], v23 src0_sel:WORD_1
	v_perm_b32 v23, v27, v26, s5
	v_perm_b32 v64, v29, v28, s5
	ds_read_b128 v[26:29], v50 offset:6144
	v_perm_b32 v65, v53, v52, s5
	s_waitcnt lgkmcnt(0)
	v_mfma_f32_16x16x16_bf16 v[58:61], v[22:23], v[26:27], v[58:61]
	ds_read_b128 v[50:53], v50 offset:6160
	v_perm_b32 v22, v67, v66, s5
	v_perm_b32 v23, v69, v68, s5
	v_cvt_pk_f32_fp8_e32 v[66:67], v25
	v_mfma_f32_16x16x16_bf16 v[58:61], v[64:65], v[28:29], v[58:61]
	v_cvt_pk_f32_fp8_sdwa v[64:65], v25 src0_sel:WORD_1
	v_cvt_pk_f32_fp8_e32 v[68:69], v32
	v_perm_b32 v66, v67, v66, s5
	s_waitcnt lgkmcnt(0)
	v_mfma_f32_16x16x16_bf16 v[22:25], v[22:23], v[50:51], v[58:61]
	v_perm_b32 v67, v65, v64, s5
	s_barrier
	s_nop 0
	v_mfma_f32_16x16x16_bf16 v[58:61], v[66:67], v[52:53], v[22:25]
	s_nop 2
	v_cvt_pk_f32_fp8_e32 v[24:25], v30
	v_perm_b32 v24, v25, v24, s5
	s_nop 1
	v_pk_mul_f32 v[22:23], v[60:61], s[4:5] op_sel_hi:[1,0]
	v_cvt_pk_f32_fp8_sdwa v[60:61], v30 src0_sel:WORD_1
	v_pk_mul_f32 v[64:65], v[58:59], s[4:5] op_sel_hi:[1,0]
	v_cvt_pk_f32_fp8_e32 v[58:59], v31
	v_cvt_pk_f32_fp8_sdwa v[30:31], v31 src0_sel:WORD_1
	v_perm_b32 v25, v61, v60, s5
	v_bfe_u32 v57, v65, 16, 1
	v_perm_b32 v66, v59, v58, s5
	v_perm_b32 v67, v31, v30, s5
	v_mfma_f32_16x16x16_bf16 v[58:61], v[24:25], v[34:35], 0
	v_perm_b32 v24, v69, v68, s5
	v_perm_b32 v25, v71, v70, s5
	v_cvt_pk_f32_fp8_e32 v[34:35], v33
	v_cvt_pk_f32_fp8_sdwa v[68:69], v33 src0_sel:WORD_1
	v_mfma_f32_16x16x16_bf16 v[30:33], v[66:67], v[36:37], v[58:61]
	s_waitcnt vmcnt(2)
	v_cvt_pk_f32_fp8_sdwa v[36:37], v18 src0_sel:WORD_1
	v_perm_b32 v34, v35, v34, s5
	v_perm_b32 v35, v69, v68, s5
	v_mfma_f32_16x16x16_bf16 v[30:33], v[24:25], v[38:39], v[30:33]
	v_cvt_pk_f32_fp8_e32 v[24:25], v18
	v_cvt_pk_f32_fp8_sdwa v[38:39], v20 src0_sel:WORD_1
	v_bfe_u32 v58, v64, 16, 1
	v_mfma_f32_16x16x16_bf16 v[30:33], v[34:35], v[40:41], v[30:33]
	v_cvt_pk_f32_fp8_e32 v[34:35], v19
	v_perm_b32 v24, v25, v24, s5
	v_perm_b32 v25, v37, v36, s5
	v_cvt_pk_f32_fp8_sdwa v[18:19], v19 src0_sel:WORD_1
	v_perm_b32 v34, v35, v34, s5
	v_cvt_pk_f32_fp8_e32 v[36:37], v20
	v_mfma_f32_16x16x16_bf16 v[30:33], v[24:25], v[6:7], v[30:33]
	v_perm_b32 v35, v19, v18, s5
	v_perm_b32 v18, v37, v36, s5
	;; [unrolled: 1-line block ×3, first 2 shown]
	v_cvt_pk_f32_fp8_e32 v[24:25], v21
	v_cvt_pk_f32_fp8_sdwa v[20:21], v21 src0_sel:WORD_1
	v_mfma_f32_16x16x16_bf16 v[6:9], v[34:35], v[8:9], v[30:33]
	v_perm_b32 v24, v25, v24, s5
	v_perm_b32 v25, v21, v20, s5
	v_mfma_f32_16x16x16_bf16 v[6:9], v[18:19], v[42:43], v[6:9]
	s_waitcnt vmcnt(1)
	v_cvt_pk_f32_fp8_e32 v[18:19], v14
	v_cvt_pk_f32_fp8_sdwa v[20:21], v14 src0_sel:WORD_1
	v_cvt_pk_f32_fp8_sdwa v[30:31], v16 src0_sel:WORD_1
	v_mfma_f32_16x16x16_bf16 v[6:9], v[24:25], v[44:45], v[6:9]
	v_cvt_pk_f32_fp8_e32 v[24:25], v15
	v_perm_b32 v18, v19, v18, s5
	v_perm_b32 v19, v21, v20, s5
	v_cvt_pk_f32_fp8_sdwa v[14:15], v15 src0_sel:WORD_1
	v_perm_b32 v20, v25, v24, s5
	v_cvt_pk_f32_fp8_e32 v[24:25], v16
	v_mfma_f32_16x16x16_bf16 v[6:9], v[18:19], v[2:3], v[6:9]
	v_perm_b32 v21, v15, v14, s5
	v_perm_b32 v14, v25, v24, s5
	;; [unrolled: 1-line block ×3, first 2 shown]
	v_cvt_pk_f32_fp8_e32 v[18:19], v17
	v_cvt_pk_f32_fp8_sdwa v[16:17], v17 src0_sel:WORD_1
	v_mfma_f32_16x16x16_bf16 v[2:5], v[20:21], v[4:5], v[6:9]
	v_add3_u32 v32, v64, v58, s9
	v_add3_u32 v33, v65, v57, s9
	s_nop 0
	v_perm_b32 v8, v19, v18, s5
	v_perm_b32 v9, v17, v16, s5
	v_mfma_f32_16x16x16_bf16 v[2:5], v[14:15], v[46:47], v[2:5]
	s_waitcnt vmcnt(0)
	v_cvt_pk_f32_fp8_e32 v[14:15], v10
	v_cvt_pk_f32_fp8_sdwa v[16:17], v10 src0_sel:WORD_1
	v_cvt_pk_f32_fp8_sdwa v[18:19], v12 src0_sel:WORD_1
	v_mfma_f32_16x16x16_bf16 v[2:5], v[8:9], v[48:49], v[2:5]
	v_cvt_pk_f32_fp8_e32 v[8:9], v11
	v_perm_b32 v14, v15, v14, s5
	v_perm_b32 v15, v17, v16, s5
	v_cvt_pk_f32_fp8_sdwa v[10:11], v11 src0_sel:WORD_1
	v_perm_b32 v8, v9, v8, s5
	v_cvt_pk_f32_fp8_e32 v[16:17], v12
	v_mfma_f32_16x16x16_bf16 v[2:5], v[14:15], v[26:27], v[2:5]
	v_perm_b32 v9, v11, v10, s5
	v_perm_b32 v10, v17, v16, s5
	;; [unrolled: 1-line block ×3, first 2 shown]
	v_cvt_pk_f32_fp8_e32 v[14:15], v13
	v_cvt_pk_f32_fp8_sdwa v[12:13], v13 src0_sel:WORD_1
	v_mfma_f32_16x16x16_bf16 v[2:5], v[8:9], v[28:29], v[2:5]
	v_bfe_u32 v7, v23, 16, 1
	v_perm_b32 v8, v15, v14, s5
	v_perm_b32 v9, v13, v12, s5
	v_mfma_f32_16x16x16_bf16 v[2:5], v[10:11], v[50:51], v[2:5]
	v_bfe_u32 v16, v22, 16, 1
	v_add3_u32 v10, v22, v16, s9
	v_add3_u32 v7, v23, v7, s9
	v_mfma_f32_16x16x16_bf16 v[2:5], v[8:9], v[52:53], v[2:5]
	v_perm_b32 v6, v33, v32, s5
	v_perm_b32 v7, v7, v10, s5
	s_nop 4
	v_pk_mul_f32 v[2:3], v[2:3], s[4:5] op_sel_hi:[1,0]
	v_pk_mul_f32 v[4:5], v[4:5], s[4:5] op_sel_hi:[1,0]
	v_bfe_u32 v8, v3, 16, 1
	v_bfe_u32 v9, v2, 16, 1
	v_add3_u32 v2, v2, v9, s9
	v_add3_u32 v3, v3, v8, s9
	v_perm_b32 v2, v3, v2, s5
	v_bfe_u32 v3, v5, 16, 1
	v_bfe_u32 v8, v4, 16, 1
	v_add3_u32 v4, v4, v8, s9
	v_add3_u32 v3, v5, v3, s9
	v_perm_b32 v3, v3, v4, s5
	ds_write2st64_b64 v55, v[6:7], v[2:3] offset1:1
	s_waitcnt lgkmcnt(0)
	s_barrier
	s_and_saveexec_b64 s[4:5], vcc
	s_cbranch_execz .LBB1379_19
; %bb.18:
	s_load_dwordx2 s[0:1], s[0:1], 0x68
	s_lshl_b32 s7, s7, 7
	s_mul_i32 s2, s8, s2
	s_mul_hi_u32 s5, s2, s7
	s_mul_i32 s4, s2, s7
	s_lshl_b64 s[4:5], s[4:5], 1
	v_lshlrev_b32_e32 v4, 6, v56
	s_waitcnt lgkmcnt(0)
	s_add_u32 s4, s0, s4
	v_lshl_or_b32 v0, v0, 10, v4
	s_addc_u32 s5, s1, s5
	s_lshl_b32 s2, s6, 7
	v_lshlrev_b32_e32 v2, 5, v1
	v_and_b32_e32 v3, 16, v62
	v_and_b32_e32 v0, 0x1a00, v0
	s_lshl_b64 s[0:1], s[2:3], 1
	v_or3_b32 v0, v0, v2, v3
	s_add_u32 s0, s4, s0
	ds_read_b128 v[2:5], v0
	ds_read_b128 v[6:9], v0 offset:128
	ds_read_b128 v[10:13], v0 offset:256
	s_addc_u32 s1, s5, s1
	v_or_b32_e32 v16, s48, v1
	v_mov_b32_e32 v55, 0
	v_lshl_add_u64 v[0:1], s[0:1], 0, v[54:55]
	v_mad_u64_u32 v[14:15], s[0:1], v16, s7, 0
	v_lshl_add_u64 v[14:15], v[14:15], 1, v[0:1]
	s_waitcnt lgkmcnt(2)
	global_store_dwordx4 v[14:15], v[2:5], off
	s_nop 1
	v_add_u32_e32 v2, 4, v16
	v_mad_u64_u32 v[2:3], s[0:1], v2, s7, 0
	v_lshl_add_u64 v[2:3], v[2:3], 1, v[0:1]
	s_waitcnt lgkmcnt(1)
	global_store_dwordx4 v[2:3], v[6:9], off
	v_add_u32_e32 v2, 8, v16
	v_mad_u64_u32 v[2:3], s[0:1], v2, s7, 0
	v_lshl_add_u64 v[0:1], v[2:3], 1, v[0:1]
	s_waitcnt lgkmcnt(0)
	global_store_dwordx4 v[0:1], v[10:13], off
.LBB1379_19:
	s_endpgm
	.section	.rodata,"a",@progbits
	.p2align	6, 0x0
	.amdhsa_kernel _Z39paged_attention_ll4mi_QKV_mfma16_kernelI14__hip_bfloat16hLN4vllm18Fp8KVCacheDataTypeE1ES0_Li32ELi128ELi256ELb1ELi12EEvPKT_PKT0_S8_ifPKiSA_SA_iPKfiiiPfSD_PS3_PT2_iSC_SC_
		.amdhsa_group_segment_fixed_size 8192
		.amdhsa_private_segment_fixed_size 0
		.amdhsa_kernarg_size 400
		.amdhsa_user_sgpr_count 2
		.amdhsa_user_sgpr_dispatch_ptr 0
		.amdhsa_user_sgpr_queue_ptr 0
		.amdhsa_user_sgpr_kernarg_segment_ptr 1
		.amdhsa_user_sgpr_dispatch_id 0
		.amdhsa_user_sgpr_kernarg_preload_length 0
		.amdhsa_user_sgpr_kernarg_preload_offset 0
		.amdhsa_user_sgpr_private_segment_size 0
		.amdhsa_uses_dynamic_stack 0
		.amdhsa_enable_private_segment 0
		.amdhsa_system_sgpr_workgroup_id_x 1
		.amdhsa_system_sgpr_workgroup_id_y 1
		.amdhsa_system_sgpr_workgroup_id_z 1
		.amdhsa_system_sgpr_workgroup_info 0
		.amdhsa_system_vgpr_workitem_id 0
		.amdhsa_next_free_vgpr 78
		.amdhsa_next_free_sgpr 50
		.amdhsa_accum_offset 80
		.amdhsa_reserve_vcc 1
		.amdhsa_float_round_mode_32 0
		.amdhsa_float_round_mode_16_64 0
		.amdhsa_float_denorm_mode_32 3
		.amdhsa_float_denorm_mode_16_64 3
		.amdhsa_dx10_clamp 1
		.amdhsa_ieee_mode 1
		.amdhsa_fp16_overflow 0
		.amdhsa_tg_split 0
		.amdhsa_exception_fp_ieee_invalid_op 0
		.amdhsa_exception_fp_denorm_src 0
		.amdhsa_exception_fp_ieee_div_zero 0
		.amdhsa_exception_fp_ieee_overflow 0
		.amdhsa_exception_fp_ieee_underflow 0
		.amdhsa_exception_fp_ieee_inexact 0
		.amdhsa_exception_int_div_zero 0
	.end_amdhsa_kernel
	.section	.text._Z39paged_attention_ll4mi_QKV_mfma16_kernelI14__hip_bfloat16hLN4vllm18Fp8KVCacheDataTypeE1ES0_Li32ELi128ELi256ELb1ELi12EEvPKT_PKT0_S8_ifPKiSA_SA_iPKfiiiPfSD_PS3_PT2_iSC_SC_,"axG",@progbits,_Z39paged_attention_ll4mi_QKV_mfma16_kernelI14__hip_bfloat16hLN4vllm18Fp8KVCacheDataTypeE1ES0_Li32ELi128ELi256ELb1ELi12EEvPKT_PKT0_S8_ifPKiSA_SA_iPKfiiiPfSD_PS3_PT2_iSC_SC_,comdat
.Lfunc_end1379:
	.size	_Z39paged_attention_ll4mi_QKV_mfma16_kernelI14__hip_bfloat16hLN4vllm18Fp8KVCacheDataTypeE1ES0_Li32ELi128ELi256ELb1ELi12EEvPKT_PKT0_S8_ifPKiSA_SA_iPKfiiiPfSD_PS3_PT2_iSC_SC_, .Lfunc_end1379-_Z39paged_attention_ll4mi_QKV_mfma16_kernelI14__hip_bfloat16hLN4vllm18Fp8KVCacheDataTypeE1ES0_Li32ELi128ELi256ELb1ELi12EEvPKT_PKT0_S8_ifPKiSA_SA_iPKfiiiPfSD_PS3_PT2_iSC_SC_
                                        ; -- End function
	.section	.AMDGPU.csdata,"",@progbits
; Kernel info:
; codeLenInByte = 6680
; NumSgprs: 56
; NumVgprs: 78
; NumAgprs: 0
; TotalNumVgprs: 78
; ScratchSize: 0
; MemoryBound: 0
; FloatMode: 240
; IeeeMode: 1
; LDSByteSize: 8192 bytes/workgroup (compile time only)
; SGPRBlocks: 6
; VGPRBlocks: 9
; NumSGPRsForWavesPerEU: 56
; NumVGPRsForWavesPerEU: 78
; AccumOffset: 80
; Occupancy: 6
; WaveLimiterHint : 1
; COMPUTE_PGM_RSRC2:SCRATCH_EN: 0
; COMPUTE_PGM_RSRC2:USER_SGPR: 2
; COMPUTE_PGM_RSRC2:TRAP_HANDLER: 0
; COMPUTE_PGM_RSRC2:TGID_X_EN: 1
; COMPUTE_PGM_RSRC2:TGID_Y_EN: 1
; COMPUTE_PGM_RSRC2:TGID_Z_EN: 1
; COMPUTE_PGM_RSRC2:TIDIG_COMP_CNT: 0
; COMPUTE_PGM_RSRC3_GFX90A:ACCUM_OFFSET: 19
; COMPUTE_PGM_RSRC3_GFX90A:TG_SPLIT: 0
	.section	.text._Z39paged_attention_ll4mi_QKV_mfma16_kernelI14__hip_bfloat16hLN4vllm18Fp8KVCacheDataTypeE1ES0_Li32ELi128ELi256ELb1ELi13EEvPKT_PKT0_S8_ifPKiSA_SA_iPKfiiiPfSD_PS3_PT2_iSC_SC_,"axG",@progbits,_Z39paged_attention_ll4mi_QKV_mfma16_kernelI14__hip_bfloat16hLN4vllm18Fp8KVCacheDataTypeE1ES0_Li32ELi128ELi256ELb1ELi13EEvPKT_PKT0_S8_ifPKiSA_SA_iPKfiiiPfSD_PS3_PT2_iSC_SC_,comdat
	.protected	_Z39paged_attention_ll4mi_QKV_mfma16_kernelI14__hip_bfloat16hLN4vllm18Fp8KVCacheDataTypeE1ES0_Li32ELi128ELi256ELb1ELi13EEvPKT_PKT0_S8_ifPKiSA_SA_iPKfiiiPfSD_PS3_PT2_iSC_SC_ ; -- Begin function _Z39paged_attention_ll4mi_QKV_mfma16_kernelI14__hip_bfloat16hLN4vllm18Fp8KVCacheDataTypeE1ES0_Li32ELi128ELi256ELb1ELi13EEvPKT_PKT0_S8_ifPKiSA_SA_iPKfiiiPfSD_PS3_PT2_iSC_SC_
	.globl	_Z39paged_attention_ll4mi_QKV_mfma16_kernelI14__hip_bfloat16hLN4vllm18Fp8KVCacheDataTypeE1ES0_Li32ELi128ELi256ELb1ELi13EEvPKT_PKT0_S8_ifPKiSA_SA_iPKfiiiPfSD_PS3_PT2_iSC_SC_
	.p2align	8
	.type	_Z39paged_attention_ll4mi_QKV_mfma16_kernelI14__hip_bfloat16hLN4vllm18Fp8KVCacheDataTypeE1ES0_Li32ELi128ELi256ELb1ELi13EEvPKT_PKT0_S8_ifPKiSA_SA_iPKfiiiPfSD_PS3_PT2_iSC_SC_,@function
_Z39paged_attention_ll4mi_QKV_mfma16_kernelI14__hip_bfloat16hLN4vllm18Fp8KVCacheDataTypeE1ES0_Li32ELi128ELi256ELb1ELi13EEvPKT_PKT0_S8_ifPKiSA_SA_iPKfiiiPfSD_PS3_PT2_iSC_SC_: ; @_Z39paged_attention_ll4mi_QKV_mfma16_kernelI14__hip_bfloat16hLN4vllm18Fp8KVCacheDataTypeE1ES0_Li32ELi128ELi256ELb1ELi13EEvPKT_PKT0_S8_ifPKiSA_SA_iPKfiiiPfSD_PS3_PT2_iSC_SC_
; %bb.0:
	s_load_dwordx2 s[10:11], s[0:1], 0x30
	s_mov_b32 s6, s3
	s_mov_b64 s[8:9], 0
	s_waitcnt lgkmcnt(0)
	s_cmp_lg_u64 s[10:11], 0
	s_cselect_b64 s[12:13], -1, 0
	s_and_b64 vcc, exec, s[12:13]
	s_cbranch_vccz .LBB1380_7
; %bb.1:
	s_add_i32 s14, s2, 1
	s_mov_b32 s15, 0
	s_lshl_b64 s[16:17], s[14:15], 2
	s_add_u32 s16, s10, s16
	s_mov_b32 s3, s15
	s_addc_u32 s17, s11, s17
	s_lshl_b64 s[14:15], s[2:3], 2
	s_add_u32 s14, s10, s14
	s_addc_u32 s15, s11, s15
	s_load_dword s5, s[16:17], 0x0
	s_load_dword s7, s[14:15], 0x0
	s_waitcnt lgkmcnt(0)
	s_sub_i32 s5, s5, s7
	s_cmp_eq_u32 s5, 1
	s_cselect_b64 s[14:15], -1, 0
	s_andn2_b64 vcc, exec, s[8:9]
	s_cbranch_vccnz .LBB1380_3
.LBB1380_2:
	s_mov_b32 s3, 0
	s_mov_b64 s[14:15], -1
.LBB1380_3:
	s_andn2_b64 vcc, exec, s[14:15]
	s_cbranch_vccnz .LBB1380_20
; %bb.4:
	s_load_dwordx2 s[8:9], s[0:1], 0x28
	s_lshl_b64 s[14:15], s[2:3], 2
	s_waitcnt lgkmcnt(0)
	s_add_u32 s8, s8, s14
	s_addc_u32 s9, s9, s15
	s_load_dword s7, s[8:9], 0x0
	s_lshl_b32 s18, s6, 8
	s_waitcnt lgkmcnt(0)
	s_cmp_ge_i32 s18, s7
	s_cbranch_scc1 .LBB1380_20
; %bb.5:
	s_load_dwordx2 s[8:9], s[0:1], 0x20
	s_load_dword s5, s[0:1], 0x38
	s_add_i32 s16, s7, 31
	s_ashr_i32 s17, s16, 31
	v_and_b32_e32 v1, 0xcf, v0
	s_lshr_b32 s17, s17, 27
	v_add_u32_e32 v1, s18, v1
	s_add_i32 s16, s16, s17
	v_ashrrev_i32_e32 v2, 31, v1
	s_ashr_i32 s19, s16, 5
	v_lshrrev_b32_e32 v4, 27, v2
	s_add_i32 s19, s19, -1
	s_waitcnt lgkmcnt(0)
	s_mul_i32 s16, s2, s5
	s_mov_b32 s17, 0
	v_add_u32_e32 v2, v1, v4
	s_lshl_b64 s[16:17], s[16:17], 2
	v_ashrrev_i32_e32 v2, 5, v2
	v_mov_b32_e32 v5, s19
	v_cmp_gt_i32_e32 vcc, s7, v1
	s_add_u32 s8, s8, s16
	s_addc_u32 s9, s9, s17
	v_cndmask_b32_e32 v2, v5, v2, vcc
	v_ashrrev_i32_e32 v3, 31, v2
	v_lshl_add_u64 v[6:7], v[2:3], 2, s[8:9]
	v_or_b32_e32 v2, 16, v1
	v_add_u32_e32 v3, v2, v4
	v_ashrrev_i32_e32 v3, 5, v3
	v_cmp_gt_i32_e32 vcc, s7, v2
	s_load_dwordx2 s[16:17], s[0:1], 0x8
	s_nop 0
	v_cndmask_b32_e32 v2, v5, v3, vcc
	v_ashrrev_i32_e32 v3, 31, v2
	v_lshl_add_u64 v[8:9], v[2:3], 2, s[8:9]
	v_or_b32_e32 v2, 32, v1
	v_add_u32_e32 v3, v2, v4
	v_ashrrev_i32_e32 v3, 5, v3
	v_cmp_gt_i32_e32 vcc, s7, v2
	v_or_b32_e32 v1, 48, v1
	s_nop 0
	v_cndmask_b32_e32 v2, v5, v3, vcc
	v_ashrrev_i32_e32 v3, 31, v2
	v_lshl_add_u64 v[12:13], v[2:3], 2, s[8:9]
	v_add_u32_e32 v2, v1, v4
	v_ashrrev_i32_e32 v2, 5, v2
	v_cmp_gt_i32_e32 vcc, s7, v1
	s_nop 1
	v_cndmask_b32_e32 v2, v5, v2, vcc
	v_ashrrev_i32_e32 v3, 31, v2
	v_lshl_add_u64 v[14:15], v[2:3], 2, s[8:9]
	global_load_dword v4, v[6:7], off
	global_load_dword v3, v[8:9], off
	;; [unrolled: 1-line block ×4, first 2 shown]
	s_andn2_b64 vcc, exec, s[12:13]
	s_cbranch_vccnz .LBB1380_8
; %bb.6:
	s_add_u32 s10, s10, s14
	s_addc_u32 s11, s11, s15
	s_load_dword s5, s[10:11], 0x0
	s_branch .LBB1380_9
.LBB1380_7:
	s_mov_b64 s[14:15], 0
	s_branch .LBB1380_2
.LBB1380_8:
	s_mov_b32 s5, s2
.LBB1380_9:
	s_load_dwordx2 s[10:11], s[0:1], 0x10
	s_load_dwordx4 s[44:47], s[0:1], 0x48
	v_lshrrev_b32_e32 v57, 6, v0
	v_bfe_u32 v62, v0, 4, 2
	v_and_b32_e32 v56, 15, v0
	v_lshl_or_b32 v5, v57, 2, v62
	v_lshlrev_b32_e32 v1, 3, v56
	s_mul_i32 s48, s4, 13
	v_cmp_gt_u32_e32 vcc, 13, v5
	v_lshlrev_b32_e32 v54, 1, v1
	v_lshlrev_b32_e32 v1, 4, v0
	s_and_saveexec_b64 s[12:13], vcc
	s_cbranch_execz .LBB1380_11
; %bb.10:
	s_load_dwordx2 s[14:15], s[0:1], 0x0
	s_waitcnt lgkmcnt(0)
	s_ashr_i32 s20, s44, 31
	s_mul_hi_u32 s21, s5, s44
	s_mul_i32 s20, s5, s20
	s_add_i32 s21, s21, s20
	s_mul_i32 s20, s5, s44
	s_lshl_b64 s[20:21], s[20:21], 1
	s_add_u32 s14, s14, s20
	v_add_lshl_u32 v6, v5, s48, 7
	s_addc_u32 s15, s15, s21
	v_ashrrev_i32_e32 v7, 31, v6
	v_lshl_add_u64 v[6:7], v[6:7], 1, s[14:15]
	v_mov_b32_e32 v55, 0
	v_lshl_add_u64 v[6:7], v[6:7], 0, v[54:55]
	global_load_dwordx4 v[6:9], v[6:7], off
	v_lshlrev_b32_e32 v12, 8, v0
	v_lshlrev_b32_e32 v11, 8, v56
	v_and_b32_e32 v12, 0x600, v12
	s_movk_i32 s5, 0x800
	v_and_or_b32 v11, v11, s5, v12
	v_lshlrev_b32_e32 v5, 5, v5
	v_and_b32_e32 v12, 16, v1
	v_or3_b32 v5, v11, v5, v12
	s_waitcnt vmcnt(0)
	ds_write_b128 v5, v[6:9]
.LBB1380_11:
	s_or_b64 exec, exec, s[12:13]
	s_waitcnt lgkmcnt(0)
	s_mul_i32 s12, s4, s46
	s_add_u32 s4, s16, s12
	s_addc_u32 s5, s17, 0
	v_mov_b32_e32 v59, 0
	v_mov_b64_e32 v[12:13], s[4:5]
	v_and_b32_e32 v34, 48, v0
	s_waitcnt vmcnt(3)
	v_mad_i64_i32 v[4:5], s[4:5], v4, s45, v[12:13]
	v_lshlrev_b32_e32 v14, 4, v56
	v_mov_b32_e32 v15, v59
	v_lshlrev_b32_e32 v58, 5, v34
	v_lshl_add_u64 v[4:5], v[4:5], 0, v[14:15]
	v_lshl_add_u64 v[4:5], v[4:5], 0, v[58:59]
	s_barrier
	global_load_dwordx4 v[50:53], v[4:5], off
	global_load_dwordx4 v[46:49], v[4:5], off offset:2048
	s_waitcnt vmcnt(4)
	v_mad_i64_i32 v[4:5], s[4:5], v3, s45, v[12:13]
	v_or_b32_e32 v16, 0x100, v14
	v_mov_b32_e32 v17, v59
	s_waitcnt vmcnt(3)
	v_mad_i64_i32 v[2:3], s[4:5], v2, s45, v[12:13]
	v_lshl_add_u64 v[4:5], v[4:5], 0, v[16:17]
	v_lshl_add_u64 v[2:3], v[2:3], 0, v[14:15]
	s_waitcnt vmcnt(2)
	v_mad_i64_i32 v[10:11], s[4:5], v10, s45, v[12:13]
	v_lshl_add_u64 v[4:5], v[4:5], 0, v[58:59]
	v_lshl_add_u64 v[14:15], v[2:3], 0, v[58:59]
	;; [unrolled: 1-line block ×3, first 2 shown]
	global_load_dwordx4 v[36:39], v[4:5], off
	global_load_dwordx4 v[6:9], v[4:5], off offset:2048
	s_nop 0
	global_load_dwordx4 v[2:5], v[14:15], off
	global_load_dwordx4 v[42:45], v[14:15], off offset:2048
	v_lshl_add_u64 v[14:15], v[10:11], 0, v[58:59]
	global_load_dwordx4 v[26:29], v[14:15], off
	global_load_dwordx4 v[10:13], v[14:15], off offset:2048
	v_add_u32_e32 v14, -13, v56
	v_cmp_gt_u32_e32 vcc, 13, v56
	v_and_b32_e32 v55, 63, v0
	v_mov_b32_e32 v63, 0
	v_cndmask_b32_e32 v14, v14, v56, vcc
	v_lshlrev_b32_e32 v14, 5, v14
	v_lshl_add_u32 v14, v62, 9, v14
	ds_read_b128 v[30:33], v14
	ds_read_b128 v[22:25], v14 offset:16
	ds_read_b128 v[18:21], v14 offset:2048
	ds_read_b128 v[14:17], v14 offset:2064
	s_and_saveexec_b64 s[4:5], vcc
	s_cbranch_execz .LBB1380_13
; %bb.12:
	s_load_dwordx2 s[14:15], s[0:1], 0x40
	v_add_u32_e32 v40, s48, v56
	v_ashrrev_i32_e32 v41, 31, v40
	s_waitcnt lgkmcnt(0)
	v_lshl_add_u64 v[40:41], v[40:41], 2, s[14:15]
	global_load_dword v63, v[40:41], off
.LBB1380_13:
	s_or_b64 exec, exec, s[4:5]
	s_ashr_i32 s4, s18, 31
	v_or_b32_e32 v58, s18, v34
	s_lshr_b32 s4, s4, 27
	v_add_u32_e32 v34, s4, v58
	v_or_b32_e32 v40, 64, v58
	v_ashrrev_i32_e32 v34, 5, v34
	v_mov_b32_e32 v64, s19
	v_cmp_gt_i32_e32 vcc, s7, v58
	v_add_u32_e32 v41, s4, v40
	v_or_b32_e32 v60, 0x80, v58
	v_cndmask_b32_e32 v34, v64, v34, vcc
	v_ashrrev_i32_e32 v41, 5, v41
	v_cmp_gt_i32_e32 vcc, s7, v40
	v_add_u32_e32 v61, s4, v60
	v_or_b32_e32 v58, 0xc0, v58
	v_cndmask_b32_e32 v40, v64, v41, vcc
	v_ashrrev_i32_e32 v61, 5, v61
	v_cmp_gt_i32_e32 vcc, s7, v60
	v_add_u32_e32 v65, s4, v58
	v_ashrrev_i32_e32 v65, 5, v65
	v_cndmask_b32_e32 v60, v64, v61, vcc
	v_cmp_gt_i32_e32 vcc, s7, v58
	s_waitcnt vmcnt(7)
	v_cvt_pk_f32_fp8_sdwa v[66:67], v50 src0_sel:WORD_1
	s_mov_b32 s33, 0x7060302
	v_cndmask_b32_e32 v68, v64, v65, vcc
	v_cvt_pk_f32_fp8_e32 v[64:65], v50
	v_cvt_pk_f32_fp8_e32 v[70:71], v51
	v_cvt_pk_f32_fp8_sdwa v[50:51], v51 src0_sel:WORD_1
	v_cvt_pk_f32_fp8_e32 v[72:73], v52
	v_perm_b32 v64, v65, v64, s33
	v_perm_b32 v65, v67, v66, s33
	;; [unrolled: 1-line block ×3, first 2 shown]
	v_cvt_pk_f32_fp8_sdwa v[74:75], v52 src0_sel:WORD_1
	v_perm_b32 v71, v51, v50, s33
	s_waitcnt lgkmcnt(3)
	v_mfma_f32_16x16x16_bf16 v[64:67], v[64:65], v[30:31], 0
	v_perm_b32 v72, v73, v72, s33
	v_perm_b32 v73, v75, v74, s33
	v_cvt_pk_f32_fp8_e32 v[74:75], v53
	v_cvt_pk_f32_fp8_sdwa v[76:77], v53 src0_sel:WORD_1
	v_mfma_f32_16x16x16_bf16 v[50:53], v[70:71], v[32:33], v[64:67]
	v_ashrrev_i32_e32 v35, 31, v34
	v_lshl_add_u64 v[34:35], v[34:35], 2, s[8:9]
	v_ashrrev_i32_e32 v41, 31, v40
	v_perm_b32 v64, v75, v74, s33
	v_perm_b32 v65, v77, v76, s33
	s_waitcnt lgkmcnt(2)
	v_mfma_f32_16x16x16_bf16 v[50:53], v[72:73], v[22:23], v[50:53]
	s_waitcnt vmcnt(6)
	v_cvt_pk_f32_fp8_e32 v[66:67], v46
	v_ashrrev_i32_e32 v61, 31, v60
	v_ashrrev_i32_e32 v69, 31, v68
	v_lshl_add_u64 v[40:41], v[40:41], 2, s[8:9]
	v_lshl_add_u64 v[60:61], v[60:61], 2, s[8:9]
	;; [unrolled: 1-line block ×3, first 2 shown]
	v_mfma_f32_16x16x16_bf16 v[50:53], v[64:65], v[24:25], v[50:53]
	v_perm_b32 v74, v67, v66, s33
	global_load_dword v68, v[34:35], off
	global_load_dword v66, v[40:41], off
	global_load_dword v67, v[60:61], off
	global_load_dword v65, v[72:73], off
	v_cvt_pk_f32_fp8_sdwa v[70:71], v46 src0_sel:WORD_1
	v_cvt_pk_f32_fp8_e32 v[40:41], v48
	s_waitcnt vmcnt(9)
	v_cvt_pk_f32_fp8_e32 v[60:61], v36
	s_add_u32 s4, s10, s12
	v_perm_b32 v75, v71, v70, s33
	v_cvt_pk_f32_fp8_e32 v[70:71], v47
	v_cvt_pk_f32_fp8_sdwa v[46:47], v47 src0_sel:WORD_1
	s_waitcnt lgkmcnt(1)
	v_mfma_f32_16x16x16_bf16 v[50:53], v[74:75], v[18:19], v[50:53]
	v_perm_b32 v34, v71, v70, s33
	v_perm_b32 v35, v47, v46, s33
	v_cvt_pk_f32_fp8_sdwa v[46:47], v48 src0_sel:WORD_1
	v_perm_b32 v40, v41, v40, s33
	v_mfma_f32_16x16x16_bf16 v[50:53], v[34:35], v[20:21], v[50:53]
	v_perm_b32 v41, v47, v46, s33
	v_cvt_pk_f32_fp8_e32 v[34:35], v49
	v_cvt_pk_f32_fp8_sdwa v[46:47], v49 src0_sel:WORD_1
	v_cvt_pk_f32_fp8_sdwa v[70:71], v36 src0_sel:WORD_1
	s_addc_u32 s5, s11, 0
	v_perm_b32 v34, v35, v34, s33
	v_perm_b32 v35, v47, v46, s33
	s_waitcnt lgkmcnt(0)
	v_mfma_f32_16x16x16_bf16 v[46:49], v[40:41], v[14:15], v[50:53]
	v_perm_b32 v40, v61, v60, s33
	v_perm_b32 v41, v71, v70, s33
	s_waitcnt vmcnt(8)
	v_cvt_pk_f32_fp8_sdwa v[60:61], v6 src0_sel:WORD_1
	v_cvt_pk_f32_fp8_e32 v[50:51], v37
	v_cvt_pk_f32_fp8_sdwa v[52:53], v37 src0_sel:WORD_1
	v_mfma_f32_16x16x16_bf16 v[34:37], v[34:35], v[16:17], v[46:49]
	v_and_b32_e32 v58, 16, v0
	v_perm_b32 v50, v51, v50, s33
	v_perm_b32 v51, v53, v52, s33
	v_mfma_f32_16x16x16_bf16 v[46:49], v[40:41], v[30:31], 0
	v_cvt_pk_f32_fp8_e32 v[40:41], v38
	v_cvt_pk_f32_fp8_sdwa v[52:53], v38 src0_sel:WORD_1
	v_lshl_or_b32 v64, v57, 4, v56
	v_mfma_f32_16x16x16_bf16 v[46:49], v[50:51], v[32:33], v[46:49]
	v_cvt_pk_f32_fp8_e32 v[50:51], v39
	v_perm_b32 v40, v41, v40, s33
	v_perm_b32 v41, v53, v52, s33
	v_cvt_pk_f32_fp8_sdwa v[38:39], v39 src0_sel:WORD_1
	v_perm_b32 v50, v51, v50, s33
	v_cvt_pk_f32_fp8_e32 v[52:53], v6
	s_waitcnt vmcnt(6)
	v_cvt_pk_f32_fp8_e32 v[74:75], v43
	v_perm_b32 v51, v39, v38, s33
	v_mfma_f32_16x16x16_bf16 v[38:41], v[40:41], v[22:23], v[46:49]
	s_nop 2
	v_perm_b32 v48, v53, v52, s33
	v_perm_b32 v49, v61, v60, s33
	v_cvt_pk_f32_fp8_e32 v[52:53], v7
	v_cvt_pk_f32_fp8_sdwa v[6:7], v7 src0_sel:WORD_1
	v_mfma_f32_16x16x16_bf16 v[38:41], v[50:51], v[24:25], v[38:41]
	v_lshl_add_u64 v[46:47], s[4:5], 0, v[58:59]
	v_perm_b32 v50, v53, v52, s33
	v_perm_b32 v51, v7, v6, s33
	v_mfma_f32_16x16x16_bf16 v[38:41], v[48:49], v[18:19], v[38:41]
	v_cvt_pk_f32_fp8_e32 v[6:7], v8
	v_cvt_pk_f32_fp8_sdwa v[48:49], v8 src0_sel:WORD_1
	v_cvt_pk_f32_fp8_sdwa v[52:53], v2 src0_sel:WORD_1
	v_mfma_f32_16x16x16_bf16 v[38:41], v[50:51], v[20:21], v[38:41]
	v_cvt_pk_f32_fp8_e32 v[50:51], v9
	v_perm_b32 v6, v7, v6, s33
	v_perm_b32 v7, v49, v48, s33
	v_cvt_pk_f32_fp8_sdwa v[8:9], v9 src0_sel:WORD_1
	v_perm_b32 v48, v51, v50, s33
	v_cvt_pk_f32_fp8_e32 v[50:51], v2
	v_lshlrev_b32_e32 v58, 5, v64
	v_perm_b32 v49, v9, v8, s33
	v_mfma_f32_16x16x16_bf16 v[6:9], v[6:7], v[14:15], v[38:41]
	v_perm_b32 v50, v51, v50, s33
	v_perm_b32 v51, v53, v52, s33
	v_cvt_pk_f32_fp8_e32 v[52:53], v3
	v_cvt_pk_f32_fp8_sdwa v[2:3], v3 src0_sel:WORD_1
	v_mfma_f32_16x16x16_bf16 v[38:41], v[48:49], v[16:17], v[6:9]
	v_lshl_add_u64 v[48:49], v[46:47], 0, v[58:59]
	v_perm_b32 v52, v53, v52, s33
	v_perm_b32 v53, v3, v2, s33
	v_mfma_f32_16x16x16_bf16 v[6:9], v[50:51], v[30:31], 0
	v_cvt_pk_f32_fp8_e32 v[2:3], v4
	v_cvt_pk_f32_fp8_sdwa v[50:51], v4 src0_sel:WORD_1
	s_waitcnt vmcnt(3)
	v_mad_i64_i32 v[60:61], s[4:5], v68, s45, v[48:49]
	v_perm_b32 v2, v3, v2, s33
	v_perm_b32 v3, v51, v50, s33
	v_mfma_f32_16x16x16_bf16 v[6:9], v[52:53], v[32:33], v[6:9]
	v_cvt_pk_f32_fp8_e32 v[50:51], v5
	v_cvt_pk_f32_fp8_sdwa v[4:5], v5 src0_sel:WORD_1
	s_waitcnt vmcnt(2)
	v_mad_i64_i32 v[70:71], s[4:5], v66, s45, v[48:49]
	v_perm_b32 v50, v51, v50, s33
	v_perm_b32 v51, v5, v4, s33
	v_mfma_f32_16x16x16_bf16 v[2:5], v[2:3], v[22:23], v[6:9]
	v_or_b32_e32 v58, 0x800, v58
	s_nop 1
	v_cvt_pk_f32_fp8_e32 v[6:7], v42
	v_cvt_pk_f32_fp8_sdwa v[8:9], v42 src0_sel:WORD_1
	v_cvt_pk_f32_fp8_sdwa v[42:43], v43 src0_sel:WORD_1
	v_mfma_f32_16x16x16_bf16 v[50:53], v[50:51], v[24:25], v[2:5]
	v_perm_b32 v72, v7, v6, s33
	v_perm_b32 v73, v9, v8, s33
	global_load_dwordx4 v[6:9], v[60:61], off
	global_load_dwordx4 v[2:5], v[70:71], off
	v_perm_b32 v60, v75, v74, s33
	v_perm_b32 v61, v43, v42, s33
	v_mfma_f32_16x16x16_bf16 v[70:73], v[72:73], v[18:19], v[50:53]
	v_cvt_pk_f32_fp8_e32 v[42:43], v44
	v_perm_b32 v42, v43, v42, s33
	s_nop 0
	v_cvt_pk_f32_fp8_sdwa v[52:53], v44 src0_sel:WORD_1
	v_mfma_f32_16x16x16_bf16 v[70:73], v[60:61], v[20:21], v[70:73]
	v_cvt_pk_f32_fp8_e32 v[60:61], v45
	s_waitcnt vmcnt(3)
	v_mad_i64_i32 v[50:51], s[4:5], v67, s45, v[48:49]
	s_load_dword s4, s[0:1], 0x1c
	s_load_dwordx4 s[40:43], s[0:1], 0x80
	v_perm_b32 v43, v53, v52, s33
	v_perm_b32 v74, v61, v60, s33
	v_cvt_pk_f32_fp8_e32 v[52:53], v26
	v_cvt_pk_f32_fp8_sdwa v[60:61], v26 src0_sel:WORD_1
	s_load_dword s44, s[0:1], 0x98
	s_waitcnt lgkmcnt(0)
	s_load_dword s5, s[40:41], 0x0
	v_cvt_pk_f32_fp8_sdwa v[44:45], v45 src0_sel:WORD_1
	v_perm_b32 v52, v53, v52, s33
	v_perm_b32 v53, v61, v60, s33
	v_cvt_pk_f32_fp8_e32 v[60:61], v27
	v_cvt_pk_f32_fp8_sdwa v[26:27], v27 src0_sel:WORD_1
	v_perm_b32 v75, v45, v44, s33
	v_mfma_f32_16x16x16_bf16 v[42:45], v[42:43], v[14:15], v[70:73]
	v_perm_b32 v60, v61, v60, s33
	v_perm_b32 v61, v27, v26, s33
	v_mov_b32_e32 v26, s4
	v_mfma_f32_16x16x16_bf16 v[70:73], v[52:53], v[30:31], 0
	s_waitcnt lgkmcnt(0)
	v_mul_f32_e32 v52, s5, v26
	v_cvt_pk_f32_fp8_e32 v[26:27], v28
	v_cvt_pk_f32_fp8_sdwa v[30:31], v28 src0_sel:WORD_1
	v_mfma_f32_16x16x16_bf16 v[70:73], v[60:61], v[32:33], v[70:73]
	v_cvt_pk_f32_fp8_e32 v[32:33], v29
	v_cvt_pk_f32_fp8_sdwa v[28:29], v29 src0_sel:WORD_1
	v_perm_b32 v26, v27, v26, s33
	v_perm_b32 v27, v31, v30, s33
	v_mfma_f32_16x16x16_bf16 v[42:45], v[74:75], v[16:17], v[42:45]
	v_perm_b32 v32, v33, v32, s33
	v_perm_b32 v33, v29, v28, s33
	v_cvt_pk_f32_fp8_e32 v[60:61], v10
	v_cvt_pk_f32_fp8_sdwa v[74:75], v10 src0_sel:WORD_1
	v_mfma_f32_16x16x16_bf16 v[26:29], v[26:27], v[22:23], v[70:73]
	v_pk_mul_f32 v[30:31], v[52:53], v[36:37] op_sel_hi:[0,1]
	v_perm_b32 v36, v61, v60, s33
	v_perm_b32 v37, v75, v74, s33
	v_cvt_pk_f32_fp8_e32 v[60:61], v11
	v_cvt_pk_f32_fp8_sdwa v[70:71], v11 src0_sel:WORD_1
	v_mfma_f32_16x16x16_bf16 v[22:25], v[32:33], v[24:25], v[26:29]
	v_pk_mul_f32 v[10:11], v[52:53], v[34:35] op_sel_hi:[0,1]
	v_perm_b32 v60, v61, v60, s33
	v_perm_b32 v61, v71, v70, s33
	v_mfma_f32_16x16x16_bf16 v[32:35], v[36:37], v[18:19], v[22:25]
	v_cvt_pk_f32_fp8_e32 v[18:19], v12
	v_cvt_pk_f32_fp8_sdwa v[36:37], v12 src0_sel:WORD_1
	s_waitcnt vmcnt(2)
	v_mad_i64_i32 v[48:49], s[8:9], v65, s45, v[48:49]
	global_load_dwordx4 v[26:29], v[50:51], off
	global_load_dwordx4 v[22:25], v[48:49], off
	v_perm_b32 v48, v19, v18, s33
	v_perm_b32 v49, v37, v36, s33
	v_cvt_pk_f32_fp8_e32 v[36:37], v13
	v_cvt_pk_f32_fp8_sdwa v[12:13], v13 src0_sel:WORD_1
	v_mfma_f32_16x16x16_bf16 v[18:21], v[60:61], v[20:21], v[32:35]
	v_pk_mul_f32 v[40:41], v[52:53], v[40:41] op_sel_hi:[0,1]
	v_pk_mul_f32 v[42:43], v[52:53], v[42:43] op_sel_hi:[0,1]
	s_mov_b32 s40, 0xff7fffff
	v_perm_b32 v32, v37, v36, s33
	v_perm_b32 v33, v13, v12, s33
	v_mfma_f32_16x16x16_bf16 v[12:15], v[48:49], v[14:15], v[18:21]
	v_pk_mul_f32 v[48:49], v[52:53], v[38:39] op_sel_hi:[0,1]
	v_pk_mul_f32 v[38:39], v[52:53], v[44:45] op_sel_hi:[0,1]
	v_mfma_f32_16x16x16_bf16 v[12:15], v[32:33], v[16:17], v[12:15]
	s_nop 6
	v_pk_mul_f32 v[36:37], v[52:53], v[12:13] op_sel_hi:[0,1]
	v_and_b32_e32 v12, 0xc0, v0
	v_add_u32_e32 v12, s18, v12
	v_lshl_or_b32 v12, v62, 2, v12
	v_or_b32_e32 v13, 1, v12
	v_pk_mul_f32 v[34:35], v[52:53], v[14:15] op_sel_hi:[0,1]
	v_subrev_u32_e32 v14, s7, v13
	v_add_u32_e32 v16, 1, v14
	v_add_u32_e32 v17, 2, v14
	v_cvt_f32_i32_e32 v15, v14
	v_cvt_f32_i32_e32 v16, v16
	;; [unrolled: 1-line block ×3, first 2 shown]
	v_add_u32_e32 v18, 3, v14
	v_fma_f32 v10, v63, v15, v10
	v_fmac_f32_e32 v11, v63, v16
	v_fma_f32 v51, v63, v17, v30
	v_add_u32_e32 v15, 16, v14
	v_add_u32_e32 v16, 17, v14
	;; [unrolled: 1-line block ×3, first 2 shown]
	v_cvt_f32_i32_e32 v18, v18
	v_cvt_f32_i32_e32 v15, v15
	;; [unrolled: 1-line block ×4, first 2 shown]
	v_fmac_f32_e32 v31, v63, v18
	v_add_u32_e32 v18, 19, v14
	v_fma_f32 v48, v63, v15, v48
	v_fmac_f32_e32 v49, v63, v16
	v_fma_f32 v40, v63, v17, v40
	v_add_u32_e32 v15, 32, v14
	v_add_u32_e32 v16, 33, v14
	;; [unrolled: 1-line block ×3, first 2 shown]
	v_cvt_f32_i32_e32 v18, v18
	v_cvt_f32_i32_e32 v15, v15
	;; [unrolled: 1-line block ×4, first 2 shown]
	v_fmac_f32_e32 v41, v63, v18
	v_add_u32_e32 v18, 35, v14
	v_fma_f32 v42, v63, v15, v42
	v_fmac_f32_e32 v43, v63, v16
	v_fma_f32 v38, v63, v17, v38
	v_add_u32_e32 v15, 48, v14
	v_add_u32_e32 v16, 49, v14
	;; [unrolled: 1-line block ×4, first 2 shown]
	v_cvt_f32_i32_e32 v14, v14
	v_cvt_f32_i32_e32 v15, v15
	;; [unrolled: 1-line block ×3, first 2 shown]
	v_cmp_gt_i32_e64 s[8:9], s7, v12
	v_fmac_f32_e32 v35, v63, v14
	v_mov_b32_e32 v14, 0xff7fffff
	v_cmp_gt_i32_e64 s[10:11], s7, v13
	v_fma_f32 v36, v63, v15, v36
	v_cndmask_b32_e64 v15, v14, v10, s[8:9]
	v_cndmask_b32_e64 v13, v14, v11, s[10:11]
	v_fmac_f32_e32 v37, v63, v16
	v_max3_f32 v13, v15, s40, v13
	v_or_b32_e32 v15, 2, v12
	v_or_b32_e32 v16, 3, v12
	v_cmp_gt_i32_e64 s[12:13], s7, v15
	v_cmp_gt_i32_e64 s[14:15], s7, v16
	v_cvt_f32_i32_e32 v18, v18
	v_cndmask_b32_e64 v15, v14, v51, s[12:13]
	v_cndmask_b32_e64 v16, v14, v31, s[14:15]
	v_max3_f32 v13, v13, v15, v16
	v_or_b32_e32 v15, 16, v12
	v_or_b32_e32 v16, 17, v12
	v_cmp_gt_i32_e64 s[16:17], s7, v15
	v_cmp_gt_i32_e64 s[18:19], s7, v16
	v_fmac_f32_e32 v39, v63, v18
	v_cndmask_b32_e64 v15, v14, v48, s[16:17]
	v_cndmask_b32_e64 v16, v14, v49, s[18:19]
	v_max3_f32 v13, v13, v15, v16
	v_or_b32_e32 v15, 18, v12
	v_or_b32_e32 v16, 19, v12
	v_cmp_gt_i32_e64 s[20:21], s7, v15
	v_cmp_gt_i32_e64 s[22:23], s7, v16
	v_cvt_f32_i32_e32 v17, v17
	v_cndmask_b32_e64 v15, v14, v40, s[20:21]
	v_cndmask_b32_e64 v16, v14, v41, s[22:23]
	v_max3_f32 v13, v13, v15, v16
	v_or_b32_e32 v15, 32, v12
	v_or_b32_e32 v16, 33, v12
	v_cmp_gt_i32_e64 s[24:25], s7, v15
	v_cmp_gt_i32_e64 s[26:27], s7, v16
	v_fma_f32 v34, v63, v17, v34
	v_cndmask_b32_e64 v15, v14, v42, s[24:25]
	v_cndmask_b32_e64 v16, v14, v43, s[26:27]
	v_max3_f32 v13, v13, v15, v16
	v_or_b32_e32 v15, 34, v12
	v_or_b32_e32 v16, 35, v12
	v_cmp_gt_i32_e64 s[28:29], s7, v15
	v_cmp_gt_i32_e64 s[30:31], s7, v16
	s_nop 0
	v_cndmask_b32_e64 v15, v14, v38, s[28:29]
	v_cndmask_b32_e64 v16, v14, v39, s[30:31]
	v_max3_f32 v13, v13, v15, v16
	v_or_b32_e32 v15, 48, v12
	v_or_b32_e32 v16, 49, v12
	v_cmp_gt_i32_e64 s[34:35], s7, v15
	v_cmp_gt_i32_e64 s[36:37], s7, v16
	s_nop 0
	v_cndmask_b32_e64 v15, v14, v36, s[34:35]
	v_cndmask_b32_e64 v16, v14, v37, s[36:37]
	v_max3_f32 v13, v13, v15, v16
	v_or_b32_e32 v15, 50, v12
	v_or_b32_e32 v12, 51, v12
	v_cmp_gt_i32_e32 vcc, s7, v15
	v_cmp_gt_i32_e64 s[4:5], s7, v12
	s_nop 0
	v_cndmask_b32_e32 v15, v14, v34, vcc
	v_cndmask_b32_e64 v12, v14, v35, s[4:5]
	v_max3_f32 v16, v13, v15, v12
	v_mbcnt_lo_u32_b32 v12, -1, 0
	v_mbcnt_hi_u32_b32 v17, -1, v12
	v_and_b32_e32 v12, 64, v17
	v_add_u32_e32 v18, 64, v12
	v_xor_b32_e32 v12, 32, v17
	v_cmp_lt_i32_e64 s[38:39], v12, v18
	s_nop 1
	v_cndmask_b32_e64 v12, v17, v12, s[38:39]
	v_lshlrev_b32_e32 v52, 2, v12
	ds_bpermute_b32 v19, v52, v16
	v_lshl_add_u64 v[12:13], v[46:47], 0, v[58:59]
	v_mad_i64_i32 v[14:15], s[38:39], v68, s45, v[12:13]
	s_waitcnt lgkmcnt(0)
	v_max_f32_e32 v19, v19, v19
	v_max_f32_e32 v19, v16, v19
	v_xor_b32_e32 v16, 16, v17
	v_cmp_lt_i32_e64 s[38:39], v16, v18
	s_nop 1
	v_cndmask_b32_e64 v16, v17, v16, s[38:39]
	v_lshlrev_b32_e32 v53, 2, v16
	ds_bpermute_b32 v18, v53, v19
	v_mad_i64_i32 v[16:17], s[38:39], v66, s45, v[12:13]
	v_mad_i64_i32 v[44:45], s[38:39], v67, s45, v[12:13]
	s_waitcnt lgkmcnt(0)
	v_max_f32_e32 v18, v18, v18
	v_max_f32_e32 v50, v19, v18
	v_sub_f32_e32 v10, v10, v50
	v_mul_f32_e32 v10, 0x3fb8aa3b, v10
	v_exp_f32_e32 v18, v10
	v_sub_f32_e32 v10, v11, v50
	v_mul_f32_e32 v10, 0x3fb8aa3b, v10
	v_exp_f32_e32 v19, v10
	v_mad_i64_i32 v[10:11], s[38:39], v65, s45, v[12:13]
	v_sub_f32_e32 v12, v51, v50
	v_mul_f32_e32 v12, 0x3fb8aa3b, v12
	v_cndmask_b32_e64 v46, 0, v18, s[8:9]
	v_cndmask_b32_e64 v47, 0, v19, s[10:11]
	v_sub_f32_e32 v58, v31, v50
	global_load_dwordx4 v[30:33], v[14:15], off
	global_load_dwordx4 v[18:21], v[16:17], off
	v_exp_f32_e32 v51, v12
	global_load_dwordx4 v[14:17], v[44:45], off
	s_nop 0
	global_load_dwordx4 v[10:13], v[10:11], off
	v_sub_f32_e32 v45, v48, v50
	v_sub_f32_e32 v48, v49, v50
	;; [unrolled: 1-line block ×4, first 2 shown]
	v_mul_f32_e32 v44, 0x3fb8aa3b, v58
	v_mul_f32_e32 v45, 0x3fb8aa3b, v45
	;; [unrolled: 1-line block ×5, first 2 shown]
	v_exp_f32_e32 v44, v44
	v_exp_f32_e32 v45, v45
	;; [unrolled: 1-line block ×3, first 2 shown]
	v_cndmask_b32_e64 v48, 0, v51, s[12:13]
	v_exp_f32_e32 v40, v40
	v_exp_f32_e32 v51, v42
	v_sub_f32_e32 v42, v43, v50
	v_mul_f32_e32 v42, 0x3fb8aa3b, v42
	v_cndmask_b32_e64 v49, 0, v44, s[14:15]
	v_cndmask_b32_e64 v44, 0, v45, s[16:17]
	;; [unrolled: 1-line block ×3, first 2 shown]
	v_sub_f32_e32 v41, v41, v50
	v_exp_f32_e32 v58, v42
	v_cndmask_b32_e64 v42, 0, v40, s[20:21]
	v_cndmask_b32_e64 v40, 0, v51, s[24:25]
	v_add_f32_e32 v51, 0, v46
	v_mul_f32_e32 v41, 0x3fb8aa3b, v41
	v_add_f32_e32 v51, v51, v47
	v_exp_f32_e32 v41, v41
	v_add_f32_e32 v51, v51, v48
	v_sub_f32_e32 v38, v38, v50
	v_add_f32_e32 v51, v51, v49
	v_sub_f32_e32 v39, v39, v50
	v_mul_f32_e32 v38, 0x3fb8aa3b, v38
	v_add_f32_e32 v51, v51, v44
	v_exp_f32_e32 v38, v38
	v_mul_f32_e32 v39, 0x3fb8aa3b, v39
	v_sub_f32_e32 v36, v36, v50
	v_add_f32_e32 v51, v51, v45
	v_cndmask_b32_e64 v43, 0, v41, s[22:23]
	v_exp_f32_e32 v39, v39
	v_mul_f32_e32 v36, 0x3fb8aa3b, v36
	v_sub_f32_e32 v37, v37, v50
	v_add_f32_e32 v51, v51, v42
	v_exp_f32_e32 v36, v36
	v_mul_f32_e32 v37, 0x3fb8aa3b, v37
	v_add_f32_e32 v51, v51, v43
	v_sub_f32_e32 v34, v34, v50
	v_cndmask_b32_e64 v41, 0, v58, s[26:27]
	v_exp_f32_e32 v37, v37
	v_add_f32_e32 v51, v51, v40
	v_mul_f32_e32 v34, 0x3fb8aa3b, v34
	v_sub_f32_e32 v35, v35, v50
	v_cndmask_b32_e64 v38, 0, v38, s[28:29]
	v_add_f32_e32 v51, v51, v41
	v_exp_f32_e32 v34, v34
	v_mul_f32_e32 v35, 0x3fb8aa3b, v35
	v_cndmask_b32_e64 v39, 0, v39, s[30:31]
	v_add_f32_e32 v51, v51, v38
	v_exp_f32_e32 v35, v35
	v_cndmask_b32_e64 v36, 0, v36, s[34:35]
	v_add_f32_e32 v51, v51, v39
	v_cndmask_b32_e64 v37, 0, v37, s[36:37]
	v_add_f32_e32 v51, v51, v36
	v_add_f32_e32 v51, v51, v37
	v_cndmask_b32_e32 v34, 0, v34, vcc
	v_add_f32_e32 v51, v51, v34
	v_cndmask_b32_e64 v35, 0, v35, s[4:5]
	v_add_f32_e32 v51, v51, v35
	ds_bpermute_b32 v52, v52, v51
	v_cmp_gt_u32_e64 s[4:5], 16, v55
	s_waitcnt lgkmcnt(0)
	s_barrier
	v_add_f32_e32 v51, v51, v52
	ds_bpermute_b32 v52, v53, v51
	s_and_saveexec_b64 s[8:9], s[4:5]
	s_cbranch_execz .LBB1380_15
; %bb.14:
	s_waitcnt lgkmcnt(0)
	v_add_f32_e32 v51, v51, v52
	v_lshlrev_b32_e32 v52, 2, v64
	ds_write2st64_b32 v52, v50, v51 offset1:1
.LBB1380_15:
	s_or_b64 exec, exec, s[8:9]
	v_lshlrev_b32_e32 v51, 2, v56
	s_load_dword s7, s[0:1], 0x94
	s_waitcnt lgkmcnt(0)
	s_barrier
	ds_read2_b32 v[52:53], v51 offset1:16
	ds_read2_b32 v[58:59], v51 offset0:32 offset1:48
	ds_read2_b32 v[60:61], v51 offset0:64 offset1:80
	s_movk_i32 s11, 0x7fff
	s_mul_i32 s10, s44, 13
	s_waitcnt lgkmcnt(2)
	v_max3_f32 v50, v52, s40, v53
	s_waitcnt lgkmcnt(1)
	v_max3_f32 v50, v50, v58, v59
	v_sub_f32_e32 v52, v52, v50
	v_mul_f32_e32 v52, 0x3fb8aa3b, v52
	v_exp_f32_e32 v55, v52
	v_sub_f32_e32 v52, v53, v50
	v_mul_f32_e32 v52, 0x3fb8aa3b, v52
	v_exp_f32_e32 v63, v52
	;; [unrolled: 3-line block ×3, first 2 shown]
	ds_read2_b32 v[52:53], v51 offset0:96 offset1:112
	v_sub_f32_e32 v51, v59, v50
	v_mul_f32_e32 v51, 0x3fb8aa3b, v51
	v_exp_f32_e32 v59, v51
	s_waitcnt lgkmcnt(1)
	v_fma_f32 v51, v55, v60, 0
	v_fmac_f32_e32 v51, v63, v61
	s_waitcnt lgkmcnt(0)
	v_fmac_f32_e32 v51, v58, v52
	v_fmac_f32_e32 v51, v59, v53
	v_add_f32_e32 v52, 0x358637bd, v51
	v_div_scale_f32 v53, s[8:9], v52, v52, 1.0
	v_rcp_f32_e32 v60, v53
	s_barrier
	v_fma_f32 v61, -v53, v60, 1.0
	v_fmac_f32_e32 v60, v61, v60
	v_div_scale_f32 v61, vcc, 1.0, v52, 1.0
	v_mul_f32_e32 v64, v61, v60
	v_fma_f32 v65, -v53, v64, v61
	v_fmac_f32_e32 v64, v65, v60
	v_fma_f32 v53, -v53, v64, v61
	v_div_fmas_f32 v53, v53, v60, v64
	v_cmp_eq_u32_e32 vcc, 1, v57
	v_div_fixup_f32 v52, v53, v52, 1.0
	s_nop 0
	v_cndmask_b32_e32 v53, v55, v63, vcc
	v_cmp_eq_u32_e32 vcc, 2, v57
	s_nop 1
	v_cndmask_b32_e32 v53, v53, v58, vcc
	v_cmp_eq_u32_e32 vcc, 3, v57
	s_nop 1
	v_cndmask_b32_e32 v53, v53, v59, vcc
	v_mul_f32_e32 v52, v53, v52
	v_pk_mul_f32 v[46:47], v[52:53], v[46:47] op_sel_hi:[0,1]
	v_pk_mul_f32 v[48:49], v[52:53], v[48:49] op_sel_hi:[0,1]
	v_bfe_u32 v53, v47, 16, 1
	v_bfe_u32 v55, v46, 16, 1
	v_add3_u32 v46, v46, v55, s11
	v_add3_u32 v47, v47, v53, s11
	v_perm_b32 v58, v47, v46, s33
	v_bfe_u32 v46, v49, 16, 1
	v_bfe_u32 v47, v48, 16, 1
	v_add3_u32 v47, v48, v47, s11
	v_add3_u32 v46, v49, v46, s11
	v_perm_b32 v59, v46, v47, s33
	v_lshlrev_b32_e32 v47, 3, v62
	v_lshlrev_b32_e32 v46, 5, v56
	;; [unrolled: 1-line block ×3, first 2 shown]
	v_pk_mul_f32 v[44:45], v[52:53], v[44:45] op_sel_hi:[0,1]
	v_or3_b32 v55, v48, v46, v47
	v_bfe_u32 v47, v45, 16, 1
	v_bfe_u32 v48, v44, 16, 1
	v_pk_mul_f32 v[42:43], v[52:53], v[42:43] op_sel_hi:[0,1]
	v_add3_u32 v44, v44, v48, s11
	v_add3_u32 v45, v45, v47, s11
	v_perm_b32 v44, v45, v44, s33
	v_bfe_u32 v45, v43, 16, 1
	v_bfe_u32 v47, v42, 16, 1
	v_add3_u32 v42, v42, v47, s11
	v_add3_u32 v43, v43, v45, s11
	v_pk_mul_f32 v[40:41], v[52:53], v[40:41] op_sel_hi:[0,1]
	v_perm_b32 v45, v43, v42, s33
	v_bfe_u32 v42, v41, 16, 1
	v_bfe_u32 v43, v40, 16, 1
	v_pk_mul_f32 v[38:39], v[52:53], v[38:39] op_sel_hi:[0,1]
	v_add3_u32 v40, v40, v43, s11
	v_add3_u32 v41, v41, v42, s11
	v_perm_b32 v40, v41, v40, s33
	v_bfe_u32 v41, v39, 16, 1
	v_bfe_u32 v42, v38, 16, 1
	v_add3_u32 v38, v38, v42, s11
	v_add3_u32 v39, v39, v41, s11
	v_pk_mul_f32 v[36:37], v[52:53], v[36:37] op_sel_hi:[0,1]
	v_perm_b32 v41, v39, v38, s33
	v_bfe_u32 v38, v37, 16, 1
	v_bfe_u32 v39, v36, 16, 1
	v_pk_mul_f32 v[34:35], v[52:53], v[34:35] op_sel_hi:[0,1]
	v_add3_u32 v36, v36, v39, s11
	v_add3_u32 v37, v37, v38, s11
	v_perm_b32 v36, v37, v36, s33
	v_bfe_u32 v37, v35, 16, 1
	v_bfe_u32 v38, v34, 16, 1
	v_add3_u32 v34, v34, v38, s11
	v_add3_u32 v35, v35, v37, s11
	v_perm_b32 v37, v35, v34, s33
	v_cmp_gt_u32_e32 vcc, 13, v0
	ds_write2st64_b64 v55, v[58:59], v[44:45] offset1:1
	ds_write2st64_b64 v55, v[40:41], v[36:37] offset0:2 offset1:3
	s_and_saveexec_b64 s[8:9], vcc
	s_cbranch_execz .LBB1380_17
; %bb.16:
	s_mov_b32 s49, 0
	v_mov_b32_e32 v57, 0
	v_lshl_add_u64 v[34:35], s[48:49], 0, v[56:57]
	v_mov_b32_e32 v36, s10
	v_mad_u64_u32 v[34:35], s[16:17], s2, v36, v[34:35]
	s_mul_i32 s3, s3, s10
	v_mov_b32_e32 v36, s6
	v_mov_b32_e32 v37, v57
	s_load_dwordx4 s[12:15], s[0:1], 0x58
	v_add_u32_e32 v38, s3, v35
	v_mad_u64_u32 v[34:35], s[16:17], v34, s7, v[36:37]
	v_mov_b32_e32 v36, v35
	v_mad_u64_u32 v[36:37], s[16:17], v38, s7, v[36:37]
	v_mov_b32_e32 v35, v36
	v_lshlrev_b64 v[34:35], 2, v[34:35]
	s_waitcnt lgkmcnt(0)
	v_lshl_add_u64 v[36:37], s[14:15], 0, v[34:35]
	v_lshl_add_u64 v[34:35], s[12:13], 0, v[34:35]
	global_store_dword v[36:37], v50, off
	global_store_dword v[34:35], v51, off
.LBB1380_17:
	s_or_b64 exec, exec, s[8:9]
	s_waitcnt vmcnt(7)
	v_cvt_pk_f32_fp8_e32 v[34:35], v6
	v_cvt_pk_f32_fp8_sdwa v[36:37], v6 src0_sel:WORD_1
	v_lshl_or_b32 v50, v62, 9, v46
	s_mov_b32 s9, 0x7060302
	s_waitcnt lgkmcnt(0)
	s_barrier
	v_cvt_pk_f32_fp8_e32 v[38:39], v7
	v_perm_b32 v6, v35, v34, s9
	v_cvt_pk_f32_fp8_sdwa v[40:41], v7 src0_sel:WORD_1
	v_perm_b32 v7, v37, v36, s9
	ds_read_b128 v[34:37], v50
	v_perm_b32 v46, v39, v38, s9
	v_perm_b32 v47, v41, v40, s9
	ds_read_b128 v[38:41], v50 offset:16
	v_cvt_pk_f32_fp8_e32 v[48:49], v8
	v_cvt_pk_f32_fp8_sdwa v[52:53], v8 src0_sel:WORD_1
	s_waitcnt lgkmcnt(1)
	v_mfma_f32_16x16x16_bf16 v[42:45], v[6:7], v[34:35], 0
	s_waitcnt vmcnt(6)
	v_cvt_pk_f32_fp8_e32 v[58:59], v4
	v_perm_b32 v6, v49, v48, s9
	v_perm_b32 v7, v53, v52, s9
	v_cvt_pk_f32_fp8_e32 v[48:49], v9
	v_mfma_f32_16x16x16_bf16 v[42:45], v[46:47], v[36:37], v[42:45]
	v_cvt_pk_f32_fp8_sdwa v[46:47], v9 src0_sel:WORD_1
	v_cvt_pk_f32_fp8_sdwa v[60:61], v4 src0_sel:WORD_1
	v_perm_b32 v48, v49, v48, s9
	s_waitcnt lgkmcnt(0)
	v_mfma_f32_16x16x16_bf16 v[6:9], v[6:7], v[38:39], v[42:45]
	v_perm_b32 v49, v47, v46, s9
	s_waitcnt vmcnt(5)
	v_cvt_pk_f32_fp8_e32 v[64:65], v28
	v_cvt_pk_f32_fp8_sdwa v[66:67], v28 src0_sel:WORD_1
	v_cvt_pk_f32_fp8_e32 v[42:43], v2
	v_mfma_f32_16x16x16_bf16 v[46:49], v[48:49], v[40:41], v[6:9]
	s_waitcnt vmcnt(4)
	v_cvt_pk_f32_fp8_sdwa v[68:69], v24 src0_sel:WORD_1
	s_load_dword s8, s[42:43], 0x0
	v_cvt_pk_f32_fp8_sdwa v[6:7], v2 src0_sel:WORD_1
	v_cvt_pk_f32_fp8_e32 v[8:9], v3
	v_perm_b32 v2, v43, v42, s9
	v_cvt_pk_f32_fp8_sdwa v[42:43], v3 src0_sel:WORD_1
	v_perm_b32 v3, v7, v6, s9
	v_perm_b32 v52, v9, v8, s9
	ds_read_b128 v[6:9], v50 offset:2048
	v_perm_b32 v53, v43, v42, s9
	ds_read_b128 v[42:45], v50 offset:2064
	s_waitcnt lgkmcnt(0)
	v_mfma_f32_16x16x16_bf16 v[46:49], v[2:3], v[6:7], v[46:49]
	v_perm_b32 v2, v59, v58, s9
	v_perm_b32 v3, v61, v60, s9
	v_cvt_pk_f32_fp8_e32 v[58:59], v5
	v_mfma_f32_16x16x16_bf16 v[46:49], v[52:53], v[8:9], v[46:49]
	v_cvt_pk_f32_fp8_sdwa v[52:53], v5 src0_sel:WORD_1
	s_waitcnt vmcnt(3)
	v_cvt_pk_f32_fp8_sdwa v[70:71], v32 src0_sel:WORD_1
	v_perm_b32 v58, v59, v58, s9
	v_mfma_f32_16x16x16_bf16 v[2:5], v[2:3], v[42:43], v[46:49]
	v_perm_b32 v59, v53, v52, s9
	s_mov_b32 s3, 0
	v_cmp_gt_u32_e32 vcc, 64, v0
	v_cvt_pk_f32_fp8_e32 v[46:47], v26
	v_mfma_f32_16x16x16_bf16 v[58:61], v[58:59], v[44:45], v[2:5]
	s_nop 2
	v_cvt_pk_f32_fp8_sdwa v[2:3], v26 src0_sel:WORD_1
	v_cvt_pk_f32_fp8_e32 v[4:5], v27
	v_perm_b32 v26, v47, v46, s9
	v_cvt_pk_f32_fp8_sdwa v[46:47], v27 src0_sel:WORD_1
	v_perm_b32 v27, v3, v2, s9
	v_perm_b32 v52, v5, v4, s9
	ds_read_b128 v[2:5], v50 offset:4096
	v_perm_b32 v53, v47, v46, s9
	ds_read_b128 v[46:49], v50 offset:4112
	s_waitcnt lgkmcnt(1)
	v_mfma_f32_16x16x16_bf16 v[58:61], v[26:27], v[2:3], v[58:61]
	v_perm_b32 v26, v65, v64, s9
	v_perm_b32 v27, v67, v66, s9
	v_cvt_pk_f32_fp8_e32 v[64:65], v29
	v_mfma_f32_16x16x16_bf16 v[58:61], v[52:53], v[4:5], v[58:61]
	v_cvt_pk_f32_fp8_sdwa v[52:53], v29 src0_sel:WORD_1
	v_cvt_pk_f32_fp8_e32 v[66:67], v24
	v_perm_b32 v64, v65, v64, s9
	s_waitcnt lgkmcnt(0)
	v_mfma_f32_16x16x16_bf16 v[26:29], v[26:27], v[46:47], v[58:61]
	v_perm_b32 v65, v53, v52, s9
	v_cvt_pk_f32_fp8_e32 v[52:53], v22
	s_nop 0
	v_mfma_f32_16x16x16_bf16 v[58:61], v[64:65], v[48:49], v[26:29]
	s_nop 2
	v_cvt_pk_f32_fp8_sdwa v[26:27], v22 src0_sel:WORD_1
	v_cvt_pk_f32_fp8_e32 v[28:29], v23
	v_perm_b32 v22, v53, v52, s9
	v_cvt_pk_f32_fp8_sdwa v[52:53], v23 src0_sel:WORD_1
	v_perm_b32 v23, v27, v26, s9
	v_perm_b32 v64, v29, v28, s9
	ds_read_b128 v[26:29], v50 offset:6144
	v_perm_b32 v65, v53, v52, s9
	s_waitcnt lgkmcnt(0)
	v_mfma_f32_16x16x16_bf16 v[58:61], v[22:23], v[26:27], v[58:61]
	ds_read_b128 v[50:53], v50 offset:6160
	v_perm_b32 v22, v67, v66, s9
	v_perm_b32 v23, v69, v68, s9
	v_cvt_pk_f32_fp8_e32 v[66:67], v25
	v_mfma_f32_16x16x16_bf16 v[58:61], v[64:65], v[28:29], v[58:61]
	v_cvt_pk_f32_fp8_sdwa v[64:65], v25 src0_sel:WORD_1
	v_cvt_pk_f32_fp8_e32 v[68:69], v32
	v_perm_b32 v66, v67, v66, s9
	s_waitcnt lgkmcnt(0)
	v_mfma_f32_16x16x16_bf16 v[22:25], v[22:23], v[50:51], v[58:61]
	v_perm_b32 v67, v65, v64, s9
	s_barrier
	s_nop 0
	v_mfma_f32_16x16x16_bf16 v[58:61], v[66:67], v[52:53], v[22:25]
	s_nop 2
	v_cvt_pk_f32_fp8_e32 v[24:25], v30
	v_perm_b32 v24, v25, v24, s9
	s_nop 1
	v_pk_mul_f32 v[22:23], v[60:61], s[8:9] op_sel_hi:[1,0]
	v_cvt_pk_f32_fp8_sdwa v[60:61], v30 src0_sel:WORD_1
	v_pk_mul_f32 v[64:65], v[58:59], s[8:9] op_sel_hi:[1,0]
	v_cvt_pk_f32_fp8_e32 v[58:59], v31
	v_cvt_pk_f32_fp8_sdwa v[30:31], v31 src0_sel:WORD_1
	v_perm_b32 v25, v61, v60, s9
	v_bfe_u32 v57, v65, 16, 1
	v_perm_b32 v66, v59, v58, s9
	v_perm_b32 v67, v31, v30, s9
	v_mfma_f32_16x16x16_bf16 v[58:61], v[24:25], v[34:35], 0
	v_perm_b32 v24, v69, v68, s9
	v_perm_b32 v25, v71, v70, s9
	v_cvt_pk_f32_fp8_e32 v[34:35], v33
	v_cvt_pk_f32_fp8_sdwa v[68:69], v33 src0_sel:WORD_1
	v_mfma_f32_16x16x16_bf16 v[30:33], v[66:67], v[36:37], v[58:61]
	s_waitcnt vmcnt(2)
	v_cvt_pk_f32_fp8_sdwa v[36:37], v18 src0_sel:WORD_1
	v_perm_b32 v34, v35, v34, s9
	v_perm_b32 v35, v69, v68, s9
	v_mfma_f32_16x16x16_bf16 v[30:33], v[24:25], v[38:39], v[30:33]
	v_cvt_pk_f32_fp8_e32 v[24:25], v18
	v_cvt_pk_f32_fp8_sdwa v[38:39], v20 src0_sel:WORD_1
	v_bfe_u32 v58, v64, 16, 1
	v_mfma_f32_16x16x16_bf16 v[30:33], v[34:35], v[40:41], v[30:33]
	v_cvt_pk_f32_fp8_e32 v[34:35], v19
	v_perm_b32 v24, v25, v24, s9
	v_perm_b32 v25, v37, v36, s9
	v_cvt_pk_f32_fp8_sdwa v[18:19], v19 src0_sel:WORD_1
	v_perm_b32 v34, v35, v34, s9
	v_cvt_pk_f32_fp8_e32 v[36:37], v20
	v_mfma_f32_16x16x16_bf16 v[30:33], v[24:25], v[6:7], v[30:33]
	v_perm_b32 v35, v19, v18, s9
	v_perm_b32 v18, v37, v36, s9
	;; [unrolled: 1-line block ×3, first 2 shown]
	v_cvt_pk_f32_fp8_e32 v[24:25], v21
	v_cvt_pk_f32_fp8_sdwa v[20:21], v21 src0_sel:WORD_1
	v_mfma_f32_16x16x16_bf16 v[6:9], v[34:35], v[8:9], v[30:33]
	v_perm_b32 v24, v25, v24, s9
	v_perm_b32 v25, v21, v20, s9
	v_mfma_f32_16x16x16_bf16 v[6:9], v[18:19], v[42:43], v[6:9]
	s_waitcnt vmcnt(1)
	v_cvt_pk_f32_fp8_e32 v[18:19], v14
	v_cvt_pk_f32_fp8_sdwa v[20:21], v14 src0_sel:WORD_1
	v_cvt_pk_f32_fp8_sdwa v[30:31], v16 src0_sel:WORD_1
	v_mfma_f32_16x16x16_bf16 v[6:9], v[24:25], v[44:45], v[6:9]
	v_cvt_pk_f32_fp8_e32 v[24:25], v15
	v_perm_b32 v18, v19, v18, s9
	v_perm_b32 v19, v21, v20, s9
	v_cvt_pk_f32_fp8_sdwa v[14:15], v15 src0_sel:WORD_1
	v_perm_b32 v20, v25, v24, s9
	v_cvt_pk_f32_fp8_e32 v[24:25], v16
	v_mfma_f32_16x16x16_bf16 v[6:9], v[18:19], v[2:3], v[6:9]
	v_perm_b32 v21, v15, v14, s9
	v_perm_b32 v14, v25, v24, s9
	;; [unrolled: 1-line block ×3, first 2 shown]
	v_cvt_pk_f32_fp8_e32 v[18:19], v17
	v_cvt_pk_f32_fp8_sdwa v[16:17], v17 src0_sel:WORD_1
	v_mfma_f32_16x16x16_bf16 v[2:5], v[20:21], v[4:5], v[6:9]
	v_add3_u32 v32, v64, v58, s11
	v_add3_u32 v33, v65, v57, s11
	s_nop 0
	v_perm_b32 v8, v19, v18, s9
	v_perm_b32 v9, v17, v16, s9
	v_mfma_f32_16x16x16_bf16 v[2:5], v[14:15], v[46:47], v[2:5]
	s_waitcnt vmcnt(0)
	v_cvt_pk_f32_fp8_e32 v[14:15], v10
	v_cvt_pk_f32_fp8_sdwa v[16:17], v10 src0_sel:WORD_1
	v_cvt_pk_f32_fp8_sdwa v[18:19], v12 src0_sel:WORD_1
	v_mfma_f32_16x16x16_bf16 v[2:5], v[8:9], v[48:49], v[2:5]
	v_cvt_pk_f32_fp8_e32 v[8:9], v11
	v_perm_b32 v14, v15, v14, s9
	v_perm_b32 v15, v17, v16, s9
	v_cvt_pk_f32_fp8_sdwa v[10:11], v11 src0_sel:WORD_1
	v_perm_b32 v8, v9, v8, s9
	v_cvt_pk_f32_fp8_e32 v[16:17], v12
	v_mfma_f32_16x16x16_bf16 v[2:5], v[14:15], v[26:27], v[2:5]
	v_perm_b32 v9, v11, v10, s9
	v_perm_b32 v10, v17, v16, s9
	v_perm_b32 v11, v19, v18, s9
	v_cvt_pk_f32_fp8_e32 v[14:15], v13
	v_cvt_pk_f32_fp8_sdwa v[12:13], v13 src0_sel:WORD_1
	v_mfma_f32_16x16x16_bf16 v[2:5], v[8:9], v[28:29], v[2:5]
	v_bfe_u32 v7, v23, 16, 1
	v_perm_b32 v8, v15, v14, s9
	v_perm_b32 v9, v13, v12, s9
	v_mfma_f32_16x16x16_bf16 v[2:5], v[10:11], v[50:51], v[2:5]
	v_bfe_u32 v16, v22, 16, 1
	v_add3_u32 v10, v22, v16, s11
	v_add3_u32 v7, v23, v7, s11
	v_mfma_f32_16x16x16_bf16 v[2:5], v[8:9], v[52:53], v[2:5]
	v_perm_b32 v6, v33, v32, s9
	v_perm_b32 v7, v7, v10, s9
	s_nop 4
	v_pk_mul_f32 v[2:3], v[2:3], s[8:9] op_sel_hi:[1,0]
	v_pk_mul_f32 v[4:5], v[4:5], s[8:9] op_sel_hi:[1,0]
	v_bfe_u32 v8, v3, 16, 1
	v_bfe_u32 v9, v2, 16, 1
	v_add3_u32 v2, v2, v9, s11
	v_add3_u32 v3, v3, v8, s11
	v_perm_b32 v2, v3, v2, s9
	v_bfe_u32 v3, v5, 16, 1
	v_bfe_u32 v8, v4, 16, 1
	v_add3_u32 v4, v4, v8, s11
	v_add3_u32 v3, v5, v3, s11
	v_perm_b32 v3, v3, v4, s9
	ds_write2st64_b64 v55, v[6:7], v[2:3] offset1:1
	s_waitcnt lgkmcnt(0)
	s_barrier
	s_and_saveexec_b64 s[8:9], vcc
	s_cbranch_execz .LBB1380_20
; %bb.18:
	s_load_dwordx2 s[8:9], s[0:1], 0x68
	s_lshl_b32 s0, s7, 7
	s_mul_i32 s1, s10, s2
	v_lshlrev_b32_e32 v3, 6, v56
	s_mul_hi_u32 s11, s1, s0
	s_mul_i32 s10, s1, s0
	v_lshl_or_b32 v0, v0, 10, v3
	s_lshl_b64 s[10:11], s[10:11], 1
	v_lshlrev_b32_e32 v2, 5, v62
	v_and_b32_e32 v1, 16, v1
	v_and_b32_e32 v0, 0x1a00, v0
	s_waitcnt lgkmcnt(0)
	s_add_u32 s1, s8, s10
	v_or3_b32 v2, v0, v2, v1
	s_addc_u32 s7, s9, s11
	s_lshl_b32 s2, s6, 7
	ds_read_b128 v[4:7], v2 offset:256
	s_lshl_b64 s[2:3], s[2:3], 1
	ds_read_b128 v[8:11], v2 offset:128
	ds_read_b128 v[12:15], v2
	s_add_u32 s2, s1, s2
	s_addc_u32 s3, s7, s3
	v_mov_b32_e32 v55, 0
	v_add_u32_e32 v3, s48, v62
	v_lshl_add_u64 v[0:1], s[2:3], 0, v[54:55]
	v_mad_u64_u32 v[16:17], s[2:3], v3, s0, 0
	v_lshl_add_u64 v[16:17], v[16:17], 1, v[0:1]
	s_waitcnt lgkmcnt(0)
	global_store_dwordx4 v[16:17], v[12:15], off
	s_nop 1
	v_add_u32_e32 v12, 4, v3
	v_mad_u64_u32 v[12:13], s[2:3], v12, s0, 0
	v_lshl_add_u64 v[12:13], v[12:13], 1, v[0:1]
	v_add_u32_e32 v3, 8, v3
	global_store_dwordx4 v[12:13], v[8:11], off
	s_nop 1
	v_mad_u64_u32 v[8:9], s[2:3], v3, s0, 0
	v_lshl_add_u64 v[8:9], v[8:9], 1, v[0:1]
	global_store_dwordx4 v[8:9], v[4:7], off
	s_and_b64 exec, exec, s[4:5]
	s_cbranch_execz .LBB1380_20
; %bb.19:
	ds_read_b128 v[2:5], v2 offset:384
	v_add3_u32 v6, s48, v62, 12
	v_mad_u64_u32 v[6:7], s[0:1], v6, s0, 0
	v_lshl_add_u64 v[0:1], v[6:7], 1, v[0:1]
	s_waitcnt lgkmcnt(0)
	global_store_dwordx4 v[0:1], v[2:5], off
.LBB1380_20:
	s_endpgm
	.section	.rodata,"a",@progbits
	.p2align	6, 0x0
	.amdhsa_kernel _Z39paged_attention_ll4mi_QKV_mfma16_kernelI14__hip_bfloat16hLN4vllm18Fp8KVCacheDataTypeE1ES0_Li32ELi128ELi256ELb1ELi13EEvPKT_PKT0_S8_ifPKiSA_SA_iPKfiiiPfSD_PS3_PT2_iSC_SC_
		.amdhsa_group_segment_fixed_size 8192
		.amdhsa_private_segment_fixed_size 0
		.amdhsa_kernarg_size 400
		.amdhsa_user_sgpr_count 2
		.amdhsa_user_sgpr_dispatch_ptr 0
		.amdhsa_user_sgpr_queue_ptr 0
		.amdhsa_user_sgpr_kernarg_segment_ptr 1
		.amdhsa_user_sgpr_dispatch_id 0
		.amdhsa_user_sgpr_kernarg_preload_length 0
		.amdhsa_user_sgpr_kernarg_preload_offset 0
		.amdhsa_user_sgpr_private_segment_size 0
		.amdhsa_uses_dynamic_stack 0
		.amdhsa_enable_private_segment 0
		.amdhsa_system_sgpr_workgroup_id_x 1
		.amdhsa_system_sgpr_workgroup_id_y 1
		.amdhsa_system_sgpr_workgroup_id_z 1
		.amdhsa_system_sgpr_workgroup_info 0
		.amdhsa_system_vgpr_workitem_id 0
		.amdhsa_next_free_vgpr 78
		.amdhsa_next_free_sgpr 50
		.amdhsa_accum_offset 80
		.amdhsa_reserve_vcc 1
		.amdhsa_float_round_mode_32 0
		.amdhsa_float_round_mode_16_64 0
		.amdhsa_float_denorm_mode_32 3
		.amdhsa_float_denorm_mode_16_64 3
		.amdhsa_dx10_clamp 1
		.amdhsa_ieee_mode 1
		.amdhsa_fp16_overflow 0
		.amdhsa_tg_split 0
		.amdhsa_exception_fp_ieee_invalid_op 0
		.amdhsa_exception_fp_denorm_src 0
		.amdhsa_exception_fp_ieee_div_zero 0
		.amdhsa_exception_fp_ieee_overflow 0
		.amdhsa_exception_fp_ieee_underflow 0
		.amdhsa_exception_fp_ieee_inexact 0
		.amdhsa_exception_int_div_zero 0
	.end_amdhsa_kernel
	.section	.text._Z39paged_attention_ll4mi_QKV_mfma16_kernelI14__hip_bfloat16hLN4vllm18Fp8KVCacheDataTypeE1ES0_Li32ELi128ELi256ELb1ELi13EEvPKT_PKT0_S8_ifPKiSA_SA_iPKfiiiPfSD_PS3_PT2_iSC_SC_,"axG",@progbits,_Z39paged_attention_ll4mi_QKV_mfma16_kernelI14__hip_bfloat16hLN4vllm18Fp8KVCacheDataTypeE1ES0_Li32ELi128ELi256ELb1ELi13EEvPKT_PKT0_S8_ifPKiSA_SA_iPKfiiiPfSD_PS3_PT2_iSC_SC_,comdat
.Lfunc_end1380:
	.size	_Z39paged_attention_ll4mi_QKV_mfma16_kernelI14__hip_bfloat16hLN4vllm18Fp8KVCacheDataTypeE1ES0_Li32ELi128ELi256ELb1ELi13EEvPKT_PKT0_S8_ifPKiSA_SA_iPKfiiiPfSD_PS3_PT2_iSC_SC_, .Lfunc_end1380-_Z39paged_attention_ll4mi_QKV_mfma16_kernelI14__hip_bfloat16hLN4vllm18Fp8KVCacheDataTypeE1ES0_Li32ELi128ELi256ELb1ELi13EEvPKT_PKT0_S8_ifPKiSA_SA_iPKfiiiPfSD_PS3_PT2_iSC_SC_
                                        ; -- End function
	.section	.AMDGPU.csdata,"",@progbits
; Kernel info:
; codeLenInByte = 6728
; NumSgprs: 56
; NumVgprs: 78
; NumAgprs: 0
; TotalNumVgprs: 78
; ScratchSize: 0
; MemoryBound: 0
; FloatMode: 240
; IeeeMode: 1
; LDSByteSize: 8192 bytes/workgroup (compile time only)
; SGPRBlocks: 6
; VGPRBlocks: 9
; NumSGPRsForWavesPerEU: 56
; NumVGPRsForWavesPerEU: 78
; AccumOffset: 80
; Occupancy: 6
; WaveLimiterHint : 1
; COMPUTE_PGM_RSRC2:SCRATCH_EN: 0
; COMPUTE_PGM_RSRC2:USER_SGPR: 2
; COMPUTE_PGM_RSRC2:TRAP_HANDLER: 0
; COMPUTE_PGM_RSRC2:TGID_X_EN: 1
; COMPUTE_PGM_RSRC2:TGID_Y_EN: 1
; COMPUTE_PGM_RSRC2:TGID_Z_EN: 1
; COMPUTE_PGM_RSRC2:TIDIG_COMP_CNT: 0
; COMPUTE_PGM_RSRC3_GFX90A:ACCUM_OFFSET: 19
; COMPUTE_PGM_RSRC3_GFX90A:TG_SPLIT: 0
	.section	.text._Z39paged_attention_ll4mi_QKV_mfma16_kernelI14__hip_bfloat16hLN4vllm18Fp8KVCacheDataTypeE1ES0_Li32ELi128ELi256ELb1ELi14EEvPKT_PKT0_S8_ifPKiSA_SA_iPKfiiiPfSD_PS3_PT2_iSC_SC_,"axG",@progbits,_Z39paged_attention_ll4mi_QKV_mfma16_kernelI14__hip_bfloat16hLN4vllm18Fp8KVCacheDataTypeE1ES0_Li32ELi128ELi256ELb1ELi14EEvPKT_PKT0_S8_ifPKiSA_SA_iPKfiiiPfSD_PS3_PT2_iSC_SC_,comdat
	.protected	_Z39paged_attention_ll4mi_QKV_mfma16_kernelI14__hip_bfloat16hLN4vllm18Fp8KVCacheDataTypeE1ES0_Li32ELi128ELi256ELb1ELi14EEvPKT_PKT0_S8_ifPKiSA_SA_iPKfiiiPfSD_PS3_PT2_iSC_SC_ ; -- Begin function _Z39paged_attention_ll4mi_QKV_mfma16_kernelI14__hip_bfloat16hLN4vllm18Fp8KVCacheDataTypeE1ES0_Li32ELi128ELi256ELb1ELi14EEvPKT_PKT0_S8_ifPKiSA_SA_iPKfiiiPfSD_PS3_PT2_iSC_SC_
	.globl	_Z39paged_attention_ll4mi_QKV_mfma16_kernelI14__hip_bfloat16hLN4vllm18Fp8KVCacheDataTypeE1ES0_Li32ELi128ELi256ELb1ELi14EEvPKT_PKT0_S8_ifPKiSA_SA_iPKfiiiPfSD_PS3_PT2_iSC_SC_
	.p2align	8
	.type	_Z39paged_attention_ll4mi_QKV_mfma16_kernelI14__hip_bfloat16hLN4vllm18Fp8KVCacheDataTypeE1ES0_Li32ELi128ELi256ELb1ELi14EEvPKT_PKT0_S8_ifPKiSA_SA_iPKfiiiPfSD_PS3_PT2_iSC_SC_,@function
_Z39paged_attention_ll4mi_QKV_mfma16_kernelI14__hip_bfloat16hLN4vllm18Fp8KVCacheDataTypeE1ES0_Li32ELi128ELi256ELb1ELi14EEvPKT_PKT0_S8_ifPKiSA_SA_iPKfiiiPfSD_PS3_PT2_iSC_SC_: ; @_Z39paged_attention_ll4mi_QKV_mfma16_kernelI14__hip_bfloat16hLN4vllm18Fp8KVCacheDataTypeE1ES0_Li32ELi128ELi256ELb1ELi14EEvPKT_PKT0_S8_ifPKiSA_SA_iPKfiiiPfSD_PS3_PT2_iSC_SC_
; %bb.0:
	s_load_dwordx2 s[10:11], s[0:1], 0x30
	s_mov_b32 s6, s3
	s_mov_b64 s[8:9], 0
	s_waitcnt lgkmcnt(0)
	s_cmp_lg_u64 s[10:11], 0
	s_cselect_b64 s[12:13], -1, 0
	s_and_b64 vcc, exec, s[12:13]
	s_cbranch_vccz .LBB1381_7
; %bb.1:
	s_add_i32 s14, s2, 1
	s_mov_b32 s15, 0
	s_lshl_b64 s[16:17], s[14:15], 2
	s_add_u32 s16, s10, s16
	s_mov_b32 s3, s15
	s_addc_u32 s17, s11, s17
	s_lshl_b64 s[14:15], s[2:3], 2
	s_add_u32 s14, s10, s14
	s_addc_u32 s15, s11, s15
	s_load_dword s5, s[16:17], 0x0
	s_load_dword s7, s[14:15], 0x0
	s_waitcnt lgkmcnt(0)
	s_sub_i32 s5, s5, s7
	s_cmp_eq_u32 s5, 1
	s_cselect_b64 s[14:15], -1, 0
	s_andn2_b64 vcc, exec, s[8:9]
	s_cbranch_vccnz .LBB1381_3
.LBB1381_2:
	s_mov_b32 s3, 0
	s_mov_b64 s[14:15], -1
.LBB1381_3:
	s_andn2_b64 vcc, exec, s[14:15]
	s_cbranch_vccnz .LBB1381_20
; %bb.4:
	s_load_dwordx2 s[8:9], s[0:1], 0x28
	s_lshl_b64 s[14:15], s[2:3], 2
	s_waitcnt lgkmcnt(0)
	s_add_u32 s8, s8, s14
	s_addc_u32 s9, s9, s15
	s_load_dword s7, s[8:9], 0x0
	s_lshl_b32 s18, s6, 8
	s_waitcnt lgkmcnt(0)
	s_cmp_ge_i32 s18, s7
	s_cbranch_scc1 .LBB1381_20
; %bb.5:
	s_load_dwordx2 s[8:9], s[0:1], 0x20
	s_load_dword s5, s[0:1], 0x38
	s_add_i32 s16, s7, 31
	s_ashr_i32 s17, s16, 31
	v_and_b32_e32 v1, 0xcf, v0
	s_lshr_b32 s17, s17, 27
	v_add_u32_e32 v1, s18, v1
	s_add_i32 s16, s16, s17
	v_ashrrev_i32_e32 v2, 31, v1
	s_ashr_i32 s19, s16, 5
	v_lshrrev_b32_e32 v4, 27, v2
	s_add_i32 s19, s19, -1
	s_waitcnt lgkmcnt(0)
	s_mul_i32 s16, s2, s5
	s_mov_b32 s17, 0
	v_add_u32_e32 v2, v1, v4
	s_lshl_b64 s[16:17], s[16:17], 2
	v_ashrrev_i32_e32 v2, 5, v2
	v_mov_b32_e32 v5, s19
	v_cmp_gt_i32_e32 vcc, s7, v1
	s_add_u32 s8, s8, s16
	s_addc_u32 s9, s9, s17
	v_cndmask_b32_e32 v2, v5, v2, vcc
	v_ashrrev_i32_e32 v3, 31, v2
	v_lshl_add_u64 v[6:7], v[2:3], 2, s[8:9]
	v_or_b32_e32 v2, 16, v1
	v_add_u32_e32 v3, v2, v4
	v_ashrrev_i32_e32 v3, 5, v3
	v_cmp_gt_i32_e32 vcc, s7, v2
	s_load_dwordx2 s[16:17], s[0:1], 0x8
	s_nop 0
	v_cndmask_b32_e32 v2, v5, v3, vcc
	v_ashrrev_i32_e32 v3, 31, v2
	v_lshl_add_u64 v[8:9], v[2:3], 2, s[8:9]
	v_or_b32_e32 v2, 32, v1
	v_add_u32_e32 v3, v2, v4
	v_ashrrev_i32_e32 v3, 5, v3
	v_cmp_gt_i32_e32 vcc, s7, v2
	v_or_b32_e32 v1, 48, v1
	s_nop 0
	v_cndmask_b32_e32 v2, v5, v3, vcc
	v_ashrrev_i32_e32 v3, 31, v2
	v_lshl_add_u64 v[12:13], v[2:3], 2, s[8:9]
	v_add_u32_e32 v2, v1, v4
	v_ashrrev_i32_e32 v2, 5, v2
	v_cmp_gt_i32_e32 vcc, s7, v1
	s_nop 1
	v_cndmask_b32_e32 v2, v5, v2, vcc
	v_ashrrev_i32_e32 v3, 31, v2
	v_lshl_add_u64 v[14:15], v[2:3], 2, s[8:9]
	global_load_dword v4, v[6:7], off
	global_load_dword v3, v[8:9], off
	;; [unrolled: 1-line block ×4, first 2 shown]
	s_andn2_b64 vcc, exec, s[12:13]
	s_cbranch_vccnz .LBB1381_8
; %bb.6:
	s_add_u32 s10, s10, s14
	s_addc_u32 s11, s11, s15
	s_load_dword s5, s[10:11], 0x0
	s_branch .LBB1381_9
.LBB1381_7:
	s_mov_b64 s[14:15], 0
	s_branch .LBB1381_2
.LBB1381_8:
	s_mov_b32 s5, s2
.LBB1381_9:
	s_load_dwordx2 s[10:11], s[0:1], 0x10
	s_load_dwordx4 s[44:47], s[0:1], 0x48
	v_lshrrev_b32_e32 v57, 6, v0
	v_bfe_u32 v62, v0, 4, 2
	v_and_b32_e32 v56, 15, v0
	v_lshl_or_b32 v5, v57, 2, v62
	v_lshlrev_b32_e32 v1, 3, v56
	s_mul_i32 s48, s4, 14
	v_cmp_gt_u32_e32 vcc, 14, v5
	v_lshlrev_b32_e32 v54, 1, v1
	v_lshlrev_b32_e32 v1, 4, v0
	s_and_saveexec_b64 s[12:13], vcc
	s_cbranch_execz .LBB1381_11
; %bb.10:
	s_load_dwordx2 s[14:15], s[0:1], 0x0
	s_waitcnt lgkmcnt(0)
	s_ashr_i32 s20, s44, 31
	s_mul_hi_u32 s21, s5, s44
	s_mul_i32 s20, s5, s20
	s_add_i32 s21, s21, s20
	s_mul_i32 s20, s5, s44
	s_lshl_b64 s[20:21], s[20:21], 1
	s_add_u32 s14, s14, s20
	v_add_lshl_u32 v6, v5, s48, 7
	s_addc_u32 s15, s15, s21
	v_ashrrev_i32_e32 v7, 31, v6
	v_lshl_add_u64 v[6:7], v[6:7], 1, s[14:15]
	v_mov_b32_e32 v55, 0
	v_lshl_add_u64 v[6:7], v[6:7], 0, v[54:55]
	global_load_dwordx4 v[6:9], v[6:7], off
	v_lshlrev_b32_e32 v12, 8, v0
	v_lshlrev_b32_e32 v11, 8, v56
	v_and_b32_e32 v12, 0x600, v12
	s_movk_i32 s5, 0x800
	v_and_or_b32 v11, v11, s5, v12
	v_lshlrev_b32_e32 v5, 5, v5
	v_and_b32_e32 v12, 16, v1
	v_or3_b32 v5, v11, v5, v12
	s_waitcnt vmcnt(0)
	ds_write_b128 v5, v[6:9]
.LBB1381_11:
	s_or_b64 exec, exec, s[12:13]
	s_waitcnt lgkmcnt(0)
	s_mul_i32 s12, s4, s46
	s_add_u32 s4, s16, s12
	s_addc_u32 s5, s17, 0
	v_mov_b32_e32 v59, 0
	v_mov_b64_e32 v[12:13], s[4:5]
	v_and_b32_e32 v34, 48, v0
	s_waitcnt vmcnt(3)
	v_mad_i64_i32 v[4:5], s[4:5], v4, s45, v[12:13]
	v_lshlrev_b32_e32 v14, 4, v56
	v_mov_b32_e32 v15, v59
	v_lshlrev_b32_e32 v58, 5, v34
	v_lshl_add_u64 v[4:5], v[4:5], 0, v[14:15]
	v_lshl_add_u64 v[4:5], v[4:5], 0, v[58:59]
	s_barrier
	global_load_dwordx4 v[50:53], v[4:5], off
	global_load_dwordx4 v[46:49], v[4:5], off offset:2048
	s_waitcnt vmcnt(4)
	v_mad_i64_i32 v[4:5], s[4:5], v3, s45, v[12:13]
	v_or_b32_e32 v16, 0x100, v14
	v_mov_b32_e32 v17, v59
	s_waitcnt vmcnt(3)
	v_mad_i64_i32 v[2:3], s[4:5], v2, s45, v[12:13]
	v_lshl_add_u64 v[4:5], v[4:5], 0, v[16:17]
	v_lshl_add_u64 v[2:3], v[2:3], 0, v[14:15]
	s_waitcnt vmcnt(2)
	v_mad_i64_i32 v[10:11], s[4:5], v10, s45, v[12:13]
	v_lshl_add_u64 v[4:5], v[4:5], 0, v[58:59]
	v_lshl_add_u64 v[14:15], v[2:3], 0, v[58:59]
	;; [unrolled: 1-line block ×3, first 2 shown]
	global_load_dwordx4 v[36:39], v[4:5], off
	global_load_dwordx4 v[6:9], v[4:5], off offset:2048
	s_nop 0
	global_load_dwordx4 v[2:5], v[14:15], off
	global_load_dwordx4 v[42:45], v[14:15], off offset:2048
	v_lshl_add_u64 v[14:15], v[10:11], 0, v[58:59]
	global_load_dwordx4 v[26:29], v[14:15], off
	global_load_dwordx4 v[10:13], v[14:15], off offset:2048
	v_add_u32_e32 v14, -14, v56
	v_cmp_gt_u32_e32 vcc, 14, v56
	v_and_b32_e32 v55, 63, v0
	v_mov_b32_e32 v63, 0
	v_cndmask_b32_e32 v14, v14, v56, vcc
	v_lshlrev_b32_e32 v14, 5, v14
	v_lshl_add_u32 v14, v62, 9, v14
	ds_read_b128 v[30:33], v14
	ds_read_b128 v[22:25], v14 offset:16
	ds_read_b128 v[18:21], v14 offset:2048
	;; [unrolled: 1-line block ×3, first 2 shown]
	s_and_saveexec_b64 s[4:5], vcc
	s_cbranch_execz .LBB1381_13
; %bb.12:
	s_load_dwordx2 s[14:15], s[0:1], 0x40
	v_add_u32_e32 v40, s48, v56
	v_ashrrev_i32_e32 v41, 31, v40
	s_waitcnt lgkmcnt(0)
	v_lshl_add_u64 v[40:41], v[40:41], 2, s[14:15]
	global_load_dword v63, v[40:41], off
.LBB1381_13:
	s_or_b64 exec, exec, s[4:5]
	s_ashr_i32 s4, s18, 31
	v_or_b32_e32 v58, s18, v34
	s_lshr_b32 s4, s4, 27
	v_add_u32_e32 v34, s4, v58
	v_or_b32_e32 v40, 64, v58
	v_ashrrev_i32_e32 v34, 5, v34
	v_mov_b32_e32 v64, s19
	v_cmp_gt_i32_e32 vcc, s7, v58
	v_add_u32_e32 v41, s4, v40
	v_or_b32_e32 v60, 0x80, v58
	v_cndmask_b32_e32 v34, v64, v34, vcc
	v_ashrrev_i32_e32 v41, 5, v41
	v_cmp_gt_i32_e32 vcc, s7, v40
	v_add_u32_e32 v61, s4, v60
	v_or_b32_e32 v58, 0xc0, v58
	v_cndmask_b32_e32 v40, v64, v41, vcc
	v_ashrrev_i32_e32 v61, 5, v61
	v_cmp_gt_i32_e32 vcc, s7, v60
	v_add_u32_e32 v65, s4, v58
	v_ashrrev_i32_e32 v65, 5, v65
	v_cndmask_b32_e32 v60, v64, v61, vcc
	v_cmp_gt_i32_e32 vcc, s7, v58
	s_waitcnt vmcnt(7)
	v_cvt_pk_f32_fp8_sdwa v[66:67], v50 src0_sel:WORD_1
	s_mov_b32 s33, 0x7060302
	v_cndmask_b32_e32 v68, v64, v65, vcc
	v_cvt_pk_f32_fp8_e32 v[64:65], v50
	v_cvt_pk_f32_fp8_e32 v[70:71], v51
	v_cvt_pk_f32_fp8_sdwa v[50:51], v51 src0_sel:WORD_1
	v_cvt_pk_f32_fp8_e32 v[72:73], v52
	v_perm_b32 v64, v65, v64, s33
	v_perm_b32 v65, v67, v66, s33
	;; [unrolled: 1-line block ×3, first 2 shown]
	v_cvt_pk_f32_fp8_sdwa v[74:75], v52 src0_sel:WORD_1
	v_perm_b32 v71, v51, v50, s33
	s_waitcnt lgkmcnt(3)
	v_mfma_f32_16x16x16_bf16 v[64:67], v[64:65], v[30:31], 0
	v_perm_b32 v72, v73, v72, s33
	v_perm_b32 v73, v75, v74, s33
	v_cvt_pk_f32_fp8_e32 v[74:75], v53
	v_cvt_pk_f32_fp8_sdwa v[76:77], v53 src0_sel:WORD_1
	v_mfma_f32_16x16x16_bf16 v[50:53], v[70:71], v[32:33], v[64:67]
	v_ashrrev_i32_e32 v35, 31, v34
	v_lshl_add_u64 v[34:35], v[34:35], 2, s[8:9]
	v_ashrrev_i32_e32 v41, 31, v40
	v_perm_b32 v64, v75, v74, s33
	v_perm_b32 v65, v77, v76, s33
	s_waitcnt lgkmcnt(2)
	v_mfma_f32_16x16x16_bf16 v[50:53], v[72:73], v[22:23], v[50:53]
	s_waitcnt vmcnt(6)
	v_cvt_pk_f32_fp8_e32 v[66:67], v46
	v_ashrrev_i32_e32 v61, 31, v60
	v_ashrrev_i32_e32 v69, 31, v68
	v_lshl_add_u64 v[40:41], v[40:41], 2, s[8:9]
	v_lshl_add_u64 v[60:61], v[60:61], 2, s[8:9]
	;; [unrolled: 1-line block ×3, first 2 shown]
	v_mfma_f32_16x16x16_bf16 v[50:53], v[64:65], v[24:25], v[50:53]
	v_perm_b32 v74, v67, v66, s33
	global_load_dword v68, v[34:35], off
	global_load_dword v66, v[40:41], off
	;; [unrolled: 1-line block ×4, first 2 shown]
	v_cvt_pk_f32_fp8_sdwa v[70:71], v46 src0_sel:WORD_1
	v_cvt_pk_f32_fp8_e32 v[40:41], v48
	s_waitcnt vmcnt(9)
	v_cvt_pk_f32_fp8_e32 v[60:61], v36
	s_add_u32 s4, s10, s12
	v_perm_b32 v75, v71, v70, s33
	v_cvt_pk_f32_fp8_e32 v[70:71], v47
	v_cvt_pk_f32_fp8_sdwa v[46:47], v47 src0_sel:WORD_1
	s_waitcnt lgkmcnt(1)
	v_mfma_f32_16x16x16_bf16 v[50:53], v[74:75], v[18:19], v[50:53]
	v_perm_b32 v34, v71, v70, s33
	v_perm_b32 v35, v47, v46, s33
	v_cvt_pk_f32_fp8_sdwa v[46:47], v48 src0_sel:WORD_1
	v_perm_b32 v40, v41, v40, s33
	v_mfma_f32_16x16x16_bf16 v[50:53], v[34:35], v[20:21], v[50:53]
	v_perm_b32 v41, v47, v46, s33
	v_cvt_pk_f32_fp8_e32 v[34:35], v49
	v_cvt_pk_f32_fp8_sdwa v[46:47], v49 src0_sel:WORD_1
	v_cvt_pk_f32_fp8_sdwa v[70:71], v36 src0_sel:WORD_1
	s_addc_u32 s5, s11, 0
	v_perm_b32 v34, v35, v34, s33
	v_perm_b32 v35, v47, v46, s33
	s_waitcnt lgkmcnt(0)
	v_mfma_f32_16x16x16_bf16 v[46:49], v[40:41], v[14:15], v[50:53]
	v_perm_b32 v40, v61, v60, s33
	v_perm_b32 v41, v71, v70, s33
	s_waitcnt vmcnt(8)
	v_cvt_pk_f32_fp8_sdwa v[60:61], v6 src0_sel:WORD_1
	v_cvt_pk_f32_fp8_e32 v[50:51], v37
	v_cvt_pk_f32_fp8_sdwa v[52:53], v37 src0_sel:WORD_1
	v_mfma_f32_16x16x16_bf16 v[34:37], v[34:35], v[16:17], v[46:49]
	v_and_b32_e32 v58, 16, v0
	v_perm_b32 v50, v51, v50, s33
	v_perm_b32 v51, v53, v52, s33
	v_mfma_f32_16x16x16_bf16 v[46:49], v[40:41], v[30:31], 0
	v_cvt_pk_f32_fp8_e32 v[40:41], v38
	v_cvt_pk_f32_fp8_sdwa v[52:53], v38 src0_sel:WORD_1
	v_lshl_or_b32 v64, v57, 4, v56
	v_mfma_f32_16x16x16_bf16 v[46:49], v[50:51], v[32:33], v[46:49]
	v_cvt_pk_f32_fp8_e32 v[50:51], v39
	v_perm_b32 v40, v41, v40, s33
	v_perm_b32 v41, v53, v52, s33
	v_cvt_pk_f32_fp8_sdwa v[38:39], v39 src0_sel:WORD_1
	v_perm_b32 v50, v51, v50, s33
	v_cvt_pk_f32_fp8_e32 v[52:53], v6
	s_waitcnt vmcnt(6)
	v_cvt_pk_f32_fp8_e32 v[74:75], v43
	v_perm_b32 v51, v39, v38, s33
	v_mfma_f32_16x16x16_bf16 v[38:41], v[40:41], v[22:23], v[46:49]
	s_nop 2
	v_perm_b32 v48, v53, v52, s33
	v_perm_b32 v49, v61, v60, s33
	v_cvt_pk_f32_fp8_e32 v[52:53], v7
	v_cvt_pk_f32_fp8_sdwa v[6:7], v7 src0_sel:WORD_1
	v_mfma_f32_16x16x16_bf16 v[38:41], v[50:51], v[24:25], v[38:41]
	v_lshl_add_u64 v[46:47], s[4:5], 0, v[58:59]
	v_perm_b32 v50, v53, v52, s33
	v_perm_b32 v51, v7, v6, s33
	v_mfma_f32_16x16x16_bf16 v[38:41], v[48:49], v[18:19], v[38:41]
	v_cvt_pk_f32_fp8_e32 v[6:7], v8
	v_cvt_pk_f32_fp8_sdwa v[48:49], v8 src0_sel:WORD_1
	v_cvt_pk_f32_fp8_sdwa v[52:53], v2 src0_sel:WORD_1
	v_mfma_f32_16x16x16_bf16 v[38:41], v[50:51], v[20:21], v[38:41]
	v_cvt_pk_f32_fp8_e32 v[50:51], v9
	v_perm_b32 v6, v7, v6, s33
	v_perm_b32 v7, v49, v48, s33
	v_cvt_pk_f32_fp8_sdwa v[8:9], v9 src0_sel:WORD_1
	v_perm_b32 v48, v51, v50, s33
	v_cvt_pk_f32_fp8_e32 v[50:51], v2
	v_lshlrev_b32_e32 v58, 5, v64
	v_perm_b32 v49, v9, v8, s33
	v_mfma_f32_16x16x16_bf16 v[6:9], v[6:7], v[14:15], v[38:41]
	v_perm_b32 v50, v51, v50, s33
	v_perm_b32 v51, v53, v52, s33
	v_cvt_pk_f32_fp8_e32 v[52:53], v3
	v_cvt_pk_f32_fp8_sdwa v[2:3], v3 src0_sel:WORD_1
	v_mfma_f32_16x16x16_bf16 v[38:41], v[48:49], v[16:17], v[6:9]
	v_lshl_add_u64 v[48:49], v[46:47], 0, v[58:59]
	v_perm_b32 v52, v53, v52, s33
	v_perm_b32 v53, v3, v2, s33
	v_mfma_f32_16x16x16_bf16 v[6:9], v[50:51], v[30:31], 0
	v_cvt_pk_f32_fp8_e32 v[2:3], v4
	v_cvt_pk_f32_fp8_sdwa v[50:51], v4 src0_sel:WORD_1
	s_waitcnt vmcnt(3)
	v_mad_i64_i32 v[60:61], s[4:5], v68, s45, v[48:49]
	v_perm_b32 v2, v3, v2, s33
	v_perm_b32 v3, v51, v50, s33
	v_mfma_f32_16x16x16_bf16 v[6:9], v[52:53], v[32:33], v[6:9]
	v_cvt_pk_f32_fp8_e32 v[50:51], v5
	v_cvt_pk_f32_fp8_sdwa v[4:5], v5 src0_sel:WORD_1
	s_waitcnt vmcnt(2)
	v_mad_i64_i32 v[70:71], s[4:5], v66, s45, v[48:49]
	v_perm_b32 v50, v51, v50, s33
	v_perm_b32 v51, v5, v4, s33
	v_mfma_f32_16x16x16_bf16 v[2:5], v[2:3], v[22:23], v[6:9]
	v_or_b32_e32 v58, 0x800, v58
	s_nop 1
	v_cvt_pk_f32_fp8_e32 v[6:7], v42
	v_cvt_pk_f32_fp8_sdwa v[8:9], v42 src0_sel:WORD_1
	v_cvt_pk_f32_fp8_sdwa v[42:43], v43 src0_sel:WORD_1
	v_mfma_f32_16x16x16_bf16 v[50:53], v[50:51], v[24:25], v[2:5]
	v_perm_b32 v72, v7, v6, s33
	v_perm_b32 v73, v9, v8, s33
	global_load_dwordx4 v[6:9], v[60:61], off
	global_load_dwordx4 v[2:5], v[70:71], off
	v_perm_b32 v60, v75, v74, s33
	v_perm_b32 v61, v43, v42, s33
	v_mfma_f32_16x16x16_bf16 v[70:73], v[72:73], v[18:19], v[50:53]
	v_cvt_pk_f32_fp8_e32 v[42:43], v44
	v_perm_b32 v42, v43, v42, s33
	s_nop 0
	v_cvt_pk_f32_fp8_sdwa v[52:53], v44 src0_sel:WORD_1
	v_mfma_f32_16x16x16_bf16 v[70:73], v[60:61], v[20:21], v[70:73]
	v_cvt_pk_f32_fp8_e32 v[60:61], v45
	s_waitcnt vmcnt(3)
	v_mad_i64_i32 v[50:51], s[4:5], v67, s45, v[48:49]
	s_load_dword s4, s[0:1], 0x1c
	s_load_dwordx4 s[40:43], s[0:1], 0x80
	v_perm_b32 v43, v53, v52, s33
	v_perm_b32 v74, v61, v60, s33
	v_cvt_pk_f32_fp8_e32 v[52:53], v26
	v_cvt_pk_f32_fp8_sdwa v[60:61], v26 src0_sel:WORD_1
	s_load_dword s44, s[0:1], 0x98
	s_waitcnt lgkmcnt(0)
	s_load_dword s5, s[40:41], 0x0
	v_cvt_pk_f32_fp8_sdwa v[44:45], v45 src0_sel:WORD_1
	v_perm_b32 v52, v53, v52, s33
	v_perm_b32 v53, v61, v60, s33
	v_cvt_pk_f32_fp8_e32 v[60:61], v27
	v_cvt_pk_f32_fp8_sdwa v[26:27], v27 src0_sel:WORD_1
	v_perm_b32 v75, v45, v44, s33
	v_mfma_f32_16x16x16_bf16 v[42:45], v[42:43], v[14:15], v[70:73]
	v_perm_b32 v60, v61, v60, s33
	v_perm_b32 v61, v27, v26, s33
	v_mov_b32_e32 v26, s4
	v_mfma_f32_16x16x16_bf16 v[70:73], v[52:53], v[30:31], 0
	s_waitcnt lgkmcnt(0)
	v_mul_f32_e32 v52, s5, v26
	v_cvt_pk_f32_fp8_e32 v[26:27], v28
	v_cvt_pk_f32_fp8_sdwa v[30:31], v28 src0_sel:WORD_1
	v_mfma_f32_16x16x16_bf16 v[70:73], v[60:61], v[32:33], v[70:73]
	v_cvt_pk_f32_fp8_e32 v[32:33], v29
	v_cvt_pk_f32_fp8_sdwa v[28:29], v29 src0_sel:WORD_1
	v_perm_b32 v26, v27, v26, s33
	v_perm_b32 v27, v31, v30, s33
	v_mfma_f32_16x16x16_bf16 v[42:45], v[74:75], v[16:17], v[42:45]
	v_perm_b32 v32, v33, v32, s33
	v_perm_b32 v33, v29, v28, s33
	v_cvt_pk_f32_fp8_e32 v[60:61], v10
	v_cvt_pk_f32_fp8_sdwa v[74:75], v10 src0_sel:WORD_1
	v_mfma_f32_16x16x16_bf16 v[26:29], v[26:27], v[22:23], v[70:73]
	v_pk_mul_f32 v[30:31], v[52:53], v[36:37] op_sel_hi:[0,1]
	v_perm_b32 v36, v61, v60, s33
	v_perm_b32 v37, v75, v74, s33
	v_cvt_pk_f32_fp8_e32 v[60:61], v11
	v_cvt_pk_f32_fp8_sdwa v[70:71], v11 src0_sel:WORD_1
	v_mfma_f32_16x16x16_bf16 v[22:25], v[32:33], v[24:25], v[26:29]
	v_pk_mul_f32 v[10:11], v[52:53], v[34:35] op_sel_hi:[0,1]
	v_perm_b32 v60, v61, v60, s33
	v_perm_b32 v61, v71, v70, s33
	v_mfma_f32_16x16x16_bf16 v[32:35], v[36:37], v[18:19], v[22:25]
	v_cvt_pk_f32_fp8_e32 v[18:19], v12
	v_cvt_pk_f32_fp8_sdwa v[36:37], v12 src0_sel:WORD_1
	s_waitcnt vmcnt(2)
	v_mad_i64_i32 v[48:49], s[8:9], v65, s45, v[48:49]
	global_load_dwordx4 v[26:29], v[50:51], off
	global_load_dwordx4 v[22:25], v[48:49], off
	v_perm_b32 v48, v19, v18, s33
	v_perm_b32 v49, v37, v36, s33
	v_cvt_pk_f32_fp8_e32 v[36:37], v13
	v_cvt_pk_f32_fp8_sdwa v[12:13], v13 src0_sel:WORD_1
	v_mfma_f32_16x16x16_bf16 v[18:21], v[60:61], v[20:21], v[32:35]
	v_pk_mul_f32 v[40:41], v[52:53], v[40:41] op_sel_hi:[0,1]
	v_pk_mul_f32 v[42:43], v[52:53], v[42:43] op_sel_hi:[0,1]
	s_mov_b32 s40, 0xff7fffff
	v_perm_b32 v32, v37, v36, s33
	v_perm_b32 v33, v13, v12, s33
	v_mfma_f32_16x16x16_bf16 v[12:15], v[48:49], v[14:15], v[18:21]
	v_pk_mul_f32 v[48:49], v[52:53], v[38:39] op_sel_hi:[0,1]
	v_pk_mul_f32 v[38:39], v[52:53], v[44:45] op_sel_hi:[0,1]
	v_mfma_f32_16x16x16_bf16 v[12:15], v[32:33], v[16:17], v[12:15]
	s_nop 6
	v_pk_mul_f32 v[36:37], v[52:53], v[12:13] op_sel_hi:[0,1]
	v_and_b32_e32 v12, 0xc0, v0
	v_add_u32_e32 v12, s18, v12
	v_lshl_or_b32 v12, v62, 2, v12
	v_or_b32_e32 v13, 1, v12
	v_pk_mul_f32 v[34:35], v[52:53], v[14:15] op_sel_hi:[0,1]
	v_subrev_u32_e32 v14, s7, v13
	v_add_u32_e32 v16, 1, v14
	v_add_u32_e32 v17, 2, v14
	v_cvt_f32_i32_e32 v15, v14
	v_cvt_f32_i32_e32 v16, v16
	;; [unrolled: 1-line block ×3, first 2 shown]
	v_add_u32_e32 v18, 3, v14
	v_fma_f32 v10, v63, v15, v10
	v_fmac_f32_e32 v11, v63, v16
	v_fma_f32 v51, v63, v17, v30
	v_add_u32_e32 v15, 16, v14
	v_add_u32_e32 v16, 17, v14
	;; [unrolled: 1-line block ×3, first 2 shown]
	v_cvt_f32_i32_e32 v18, v18
	v_cvt_f32_i32_e32 v15, v15
	;; [unrolled: 1-line block ×4, first 2 shown]
	v_fmac_f32_e32 v31, v63, v18
	v_add_u32_e32 v18, 19, v14
	v_fma_f32 v48, v63, v15, v48
	v_fmac_f32_e32 v49, v63, v16
	v_fma_f32 v40, v63, v17, v40
	v_add_u32_e32 v15, 32, v14
	v_add_u32_e32 v16, 33, v14
	v_add_u32_e32 v17, 34, v14
	v_cvt_f32_i32_e32 v18, v18
	v_cvt_f32_i32_e32 v15, v15
	;; [unrolled: 1-line block ×4, first 2 shown]
	v_fmac_f32_e32 v41, v63, v18
	v_add_u32_e32 v18, 35, v14
	v_fma_f32 v42, v63, v15, v42
	v_fmac_f32_e32 v43, v63, v16
	v_fma_f32 v38, v63, v17, v38
	v_add_u32_e32 v15, 48, v14
	v_add_u32_e32 v16, 49, v14
	;; [unrolled: 1-line block ×4, first 2 shown]
	v_cvt_f32_i32_e32 v14, v14
	v_cvt_f32_i32_e32 v15, v15
	;; [unrolled: 1-line block ×3, first 2 shown]
	v_cmp_gt_i32_e64 s[8:9], s7, v12
	v_fmac_f32_e32 v35, v63, v14
	v_mov_b32_e32 v14, 0xff7fffff
	v_cmp_gt_i32_e64 s[10:11], s7, v13
	v_fma_f32 v36, v63, v15, v36
	v_cndmask_b32_e64 v15, v14, v10, s[8:9]
	v_cndmask_b32_e64 v13, v14, v11, s[10:11]
	v_fmac_f32_e32 v37, v63, v16
	v_max3_f32 v13, v15, s40, v13
	v_or_b32_e32 v15, 2, v12
	v_or_b32_e32 v16, 3, v12
	v_cmp_gt_i32_e64 s[12:13], s7, v15
	v_cmp_gt_i32_e64 s[14:15], s7, v16
	v_cvt_f32_i32_e32 v18, v18
	v_cndmask_b32_e64 v15, v14, v51, s[12:13]
	v_cndmask_b32_e64 v16, v14, v31, s[14:15]
	v_max3_f32 v13, v13, v15, v16
	v_or_b32_e32 v15, 16, v12
	v_or_b32_e32 v16, 17, v12
	v_cmp_gt_i32_e64 s[16:17], s7, v15
	v_cmp_gt_i32_e64 s[18:19], s7, v16
	v_fmac_f32_e32 v39, v63, v18
	v_cndmask_b32_e64 v15, v14, v48, s[16:17]
	v_cndmask_b32_e64 v16, v14, v49, s[18:19]
	v_max3_f32 v13, v13, v15, v16
	v_or_b32_e32 v15, 18, v12
	v_or_b32_e32 v16, 19, v12
	v_cmp_gt_i32_e64 s[20:21], s7, v15
	v_cmp_gt_i32_e64 s[22:23], s7, v16
	v_cvt_f32_i32_e32 v17, v17
	v_cndmask_b32_e64 v15, v14, v40, s[20:21]
	v_cndmask_b32_e64 v16, v14, v41, s[22:23]
	v_max3_f32 v13, v13, v15, v16
	v_or_b32_e32 v15, 32, v12
	v_or_b32_e32 v16, 33, v12
	v_cmp_gt_i32_e64 s[24:25], s7, v15
	v_cmp_gt_i32_e64 s[26:27], s7, v16
	v_fma_f32 v34, v63, v17, v34
	v_cndmask_b32_e64 v15, v14, v42, s[24:25]
	v_cndmask_b32_e64 v16, v14, v43, s[26:27]
	v_max3_f32 v13, v13, v15, v16
	v_or_b32_e32 v15, 34, v12
	v_or_b32_e32 v16, 35, v12
	v_cmp_gt_i32_e64 s[28:29], s7, v15
	v_cmp_gt_i32_e64 s[30:31], s7, v16
	s_nop 0
	v_cndmask_b32_e64 v15, v14, v38, s[28:29]
	v_cndmask_b32_e64 v16, v14, v39, s[30:31]
	v_max3_f32 v13, v13, v15, v16
	v_or_b32_e32 v15, 48, v12
	v_or_b32_e32 v16, 49, v12
	v_cmp_gt_i32_e64 s[34:35], s7, v15
	v_cmp_gt_i32_e64 s[36:37], s7, v16
	s_nop 0
	v_cndmask_b32_e64 v15, v14, v36, s[34:35]
	v_cndmask_b32_e64 v16, v14, v37, s[36:37]
	v_max3_f32 v13, v13, v15, v16
	v_or_b32_e32 v15, 50, v12
	v_or_b32_e32 v12, 51, v12
	v_cmp_gt_i32_e32 vcc, s7, v15
	v_cmp_gt_i32_e64 s[4:5], s7, v12
	s_nop 0
	v_cndmask_b32_e32 v15, v14, v34, vcc
	v_cndmask_b32_e64 v12, v14, v35, s[4:5]
	v_max3_f32 v16, v13, v15, v12
	v_mbcnt_lo_u32_b32 v12, -1, 0
	v_mbcnt_hi_u32_b32 v17, -1, v12
	v_and_b32_e32 v12, 64, v17
	v_add_u32_e32 v18, 64, v12
	v_xor_b32_e32 v12, 32, v17
	v_cmp_lt_i32_e64 s[38:39], v12, v18
	s_nop 1
	v_cndmask_b32_e64 v12, v17, v12, s[38:39]
	v_lshlrev_b32_e32 v52, 2, v12
	ds_bpermute_b32 v19, v52, v16
	v_lshl_add_u64 v[12:13], v[46:47], 0, v[58:59]
	v_mad_i64_i32 v[14:15], s[38:39], v68, s45, v[12:13]
	s_waitcnt lgkmcnt(0)
	v_max_f32_e32 v19, v19, v19
	v_max_f32_e32 v19, v16, v19
	v_xor_b32_e32 v16, 16, v17
	v_cmp_lt_i32_e64 s[38:39], v16, v18
	s_nop 1
	v_cndmask_b32_e64 v16, v17, v16, s[38:39]
	v_lshlrev_b32_e32 v53, 2, v16
	ds_bpermute_b32 v18, v53, v19
	v_mad_i64_i32 v[16:17], s[38:39], v66, s45, v[12:13]
	v_mad_i64_i32 v[44:45], s[38:39], v67, s45, v[12:13]
	s_waitcnt lgkmcnt(0)
	v_max_f32_e32 v18, v18, v18
	v_max_f32_e32 v50, v19, v18
	v_sub_f32_e32 v10, v10, v50
	v_mul_f32_e32 v10, 0x3fb8aa3b, v10
	v_exp_f32_e32 v18, v10
	v_sub_f32_e32 v10, v11, v50
	v_mul_f32_e32 v10, 0x3fb8aa3b, v10
	v_exp_f32_e32 v19, v10
	v_mad_i64_i32 v[10:11], s[38:39], v65, s45, v[12:13]
	v_sub_f32_e32 v12, v51, v50
	v_mul_f32_e32 v12, 0x3fb8aa3b, v12
	v_cndmask_b32_e64 v46, 0, v18, s[8:9]
	v_cndmask_b32_e64 v47, 0, v19, s[10:11]
	v_sub_f32_e32 v58, v31, v50
	global_load_dwordx4 v[30:33], v[14:15], off
	global_load_dwordx4 v[18:21], v[16:17], off
	v_exp_f32_e32 v51, v12
	global_load_dwordx4 v[14:17], v[44:45], off
	s_nop 0
	global_load_dwordx4 v[10:13], v[10:11], off
	v_sub_f32_e32 v45, v48, v50
	v_sub_f32_e32 v48, v49, v50
	;; [unrolled: 1-line block ×4, first 2 shown]
	v_mul_f32_e32 v44, 0x3fb8aa3b, v58
	v_mul_f32_e32 v45, 0x3fb8aa3b, v45
	;; [unrolled: 1-line block ×5, first 2 shown]
	v_exp_f32_e32 v44, v44
	v_exp_f32_e32 v45, v45
	;; [unrolled: 1-line block ×3, first 2 shown]
	v_cndmask_b32_e64 v48, 0, v51, s[12:13]
	v_exp_f32_e32 v40, v40
	v_exp_f32_e32 v51, v42
	v_sub_f32_e32 v42, v43, v50
	v_mul_f32_e32 v42, 0x3fb8aa3b, v42
	v_cndmask_b32_e64 v49, 0, v44, s[14:15]
	v_cndmask_b32_e64 v44, 0, v45, s[16:17]
	v_cndmask_b32_e64 v45, 0, v58, s[18:19]
	v_sub_f32_e32 v41, v41, v50
	v_exp_f32_e32 v58, v42
	v_cndmask_b32_e64 v42, 0, v40, s[20:21]
	v_cndmask_b32_e64 v40, 0, v51, s[24:25]
	v_add_f32_e32 v51, 0, v46
	v_mul_f32_e32 v41, 0x3fb8aa3b, v41
	v_add_f32_e32 v51, v51, v47
	v_exp_f32_e32 v41, v41
	v_add_f32_e32 v51, v51, v48
	v_sub_f32_e32 v38, v38, v50
	v_add_f32_e32 v51, v51, v49
	v_sub_f32_e32 v39, v39, v50
	v_mul_f32_e32 v38, 0x3fb8aa3b, v38
	v_add_f32_e32 v51, v51, v44
	v_exp_f32_e32 v38, v38
	v_mul_f32_e32 v39, 0x3fb8aa3b, v39
	v_sub_f32_e32 v36, v36, v50
	v_add_f32_e32 v51, v51, v45
	v_cndmask_b32_e64 v43, 0, v41, s[22:23]
	v_exp_f32_e32 v39, v39
	v_mul_f32_e32 v36, 0x3fb8aa3b, v36
	v_sub_f32_e32 v37, v37, v50
	v_add_f32_e32 v51, v51, v42
	v_exp_f32_e32 v36, v36
	v_mul_f32_e32 v37, 0x3fb8aa3b, v37
	v_add_f32_e32 v51, v51, v43
	v_sub_f32_e32 v34, v34, v50
	v_cndmask_b32_e64 v41, 0, v58, s[26:27]
	v_exp_f32_e32 v37, v37
	v_add_f32_e32 v51, v51, v40
	v_mul_f32_e32 v34, 0x3fb8aa3b, v34
	v_sub_f32_e32 v35, v35, v50
	v_cndmask_b32_e64 v38, 0, v38, s[28:29]
	v_add_f32_e32 v51, v51, v41
	v_exp_f32_e32 v34, v34
	v_mul_f32_e32 v35, 0x3fb8aa3b, v35
	v_cndmask_b32_e64 v39, 0, v39, s[30:31]
	v_add_f32_e32 v51, v51, v38
	v_exp_f32_e32 v35, v35
	v_cndmask_b32_e64 v36, 0, v36, s[34:35]
	v_add_f32_e32 v51, v51, v39
	v_cndmask_b32_e64 v37, 0, v37, s[36:37]
	v_add_f32_e32 v51, v51, v36
	v_add_f32_e32 v51, v51, v37
	v_cndmask_b32_e32 v34, 0, v34, vcc
	v_add_f32_e32 v51, v51, v34
	v_cndmask_b32_e64 v35, 0, v35, s[4:5]
	v_add_f32_e32 v51, v51, v35
	ds_bpermute_b32 v52, v52, v51
	v_cmp_gt_u32_e32 vcc, 16, v55
	s_waitcnt lgkmcnt(0)
	s_barrier
	v_add_f32_e32 v51, v51, v52
	ds_bpermute_b32 v52, v53, v51
	s_and_saveexec_b64 s[4:5], vcc
	s_cbranch_execz .LBB1381_15
; %bb.14:
	s_waitcnt lgkmcnt(0)
	v_add_f32_e32 v51, v51, v52
	v_lshlrev_b32_e32 v52, 2, v64
	ds_write2st64_b32 v52, v50, v51 offset1:1
.LBB1381_15:
	s_or_b64 exec, exec, s[4:5]
	v_lshlrev_b32_e32 v51, 2, v56
	s_load_dword s7, s[0:1], 0x94
	s_waitcnt lgkmcnt(0)
	s_barrier
	ds_read2_b32 v[52:53], v51 offset1:16
	ds_read2_b32 v[58:59], v51 offset0:32 offset1:48
	ds_read2_b32 v[60:61], v51 offset0:64 offset1:80
	s_movk_i32 s9, 0x7fff
	s_mul_i32 s8, s44, 14
	s_waitcnt lgkmcnt(2)
	v_max3_f32 v50, v52, s40, v53
	s_waitcnt lgkmcnt(1)
	v_max3_f32 v50, v50, v58, v59
	v_sub_f32_e32 v52, v52, v50
	v_mul_f32_e32 v52, 0x3fb8aa3b, v52
	v_exp_f32_e32 v55, v52
	v_sub_f32_e32 v52, v53, v50
	v_mul_f32_e32 v52, 0x3fb8aa3b, v52
	v_exp_f32_e32 v63, v52
	;; [unrolled: 3-line block ×3, first 2 shown]
	ds_read2_b32 v[52:53], v51 offset0:96 offset1:112
	v_sub_f32_e32 v51, v59, v50
	v_mul_f32_e32 v51, 0x3fb8aa3b, v51
	v_exp_f32_e32 v59, v51
	s_waitcnt lgkmcnt(1)
	v_fma_f32 v51, v55, v60, 0
	v_fmac_f32_e32 v51, v63, v61
	s_waitcnt lgkmcnt(0)
	v_fmac_f32_e32 v51, v58, v52
	v_fmac_f32_e32 v51, v59, v53
	v_add_f32_e32 v52, 0x358637bd, v51
	v_div_scale_f32 v53, s[4:5], v52, v52, 1.0
	v_rcp_f32_e32 v60, v53
	s_barrier
	v_fma_f32 v61, -v53, v60, 1.0
	v_fmac_f32_e32 v60, v61, v60
	v_div_scale_f32 v61, vcc, 1.0, v52, 1.0
	v_mul_f32_e32 v64, v61, v60
	v_fma_f32 v65, -v53, v64, v61
	v_fmac_f32_e32 v64, v65, v60
	v_fma_f32 v53, -v53, v64, v61
	v_div_fmas_f32 v53, v53, v60, v64
	v_cmp_eq_u32_e32 vcc, 1, v57
	v_div_fixup_f32 v52, v53, v52, 1.0
	s_nop 0
	v_cndmask_b32_e32 v53, v55, v63, vcc
	v_cmp_eq_u32_e32 vcc, 2, v57
	s_nop 1
	v_cndmask_b32_e32 v53, v53, v58, vcc
	v_cmp_eq_u32_e32 vcc, 3, v57
	s_nop 1
	v_cndmask_b32_e32 v53, v53, v59, vcc
	v_mul_f32_e32 v52, v53, v52
	v_pk_mul_f32 v[46:47], v[52:53], v[46:47] op_sel_hi:[0,1]
	v_pk_mul_f32 v[48:49], v[52:53], v[48:49] op_sel_hi:[0,1]
	v_bfe_u32 v53, v47, 16, 1
	v_bfe_u32 v55, v46, 16, 1
	v_add3_u32 v46, v46, v55, s9
	v_add3_u32 v47, v47, v53, s9
	v_perm_b32 v58, v47, v46, s33
	v_bfe_u32 v46, v49, 16, 1
	v_bfe_u32 v47, v48, 16, 1
	v_add3_u32 v47, v48, v47, s9
	v_add3_u32 v46, v49, v46, s9
	v_perm_b32 v59, v46, v47, s33
	v_lshlrev_b32_e32 v47, 3, v62
	v_lshlrev_b32_e32 v46, 5, v56
	;; [unrolled: 1-line block ×3, first 2 shown]
	v_pk_mul_f32 v[44:45], v[52:53], v[44:45] op_sel_hi:[0,1]
	v_or3_b32 v55, v48, v46, v47
	v_bfe_u32 v47, v45, 16, 1
	v_bfe_u32 v48, v44, 16, 1
	v_pk_mul_f32 v[42:43], v[52:53], v[42:43] op_sel_hi:[0,1]
	v_add3_u32 v44, v44, v48, s9
	v_add3_u32 v45, v45, v47, s9
	v_perm_b32 v44, v45, v44, s33
	v_bfe_u32 v45, v43, 16, 1
	v_bfe_u32 v47, v42, 16, 1
	v_add3_u32 v42, v42, v47, s9
	v_add3_u32 v43, v43, v45, s9
	v_pk_mul_f32 v[40:41], v[52:53], v[40:41] op_sel_hi:[0,1]
	v_perm_b32 v45, v43, v42, s33
	v_bfe_u32 v42, v41, 16, 1
	v_bfe_u32 v43, v40, 16, 1
	v_pk_mul_f32 v[38:39], v[52:53], v[38:39] op_sel_hi:[0,1]
	v_add3_u32 v40, v40, v43, s9
	v_add3_u32 v41, v41, v42, s9
	v_perm_b32 v40, v41, v40, s33
	v_bfe_u32 v41, v39, 16, 1
	v_bfe_u32 v42, v38, 16, 1
	v_add3_u32 v38, v38, v42, s9
	v_add3_u32 v39, v39, v41, s9
	v_pk_mul_f32 v[36:37], v[52:53], v[36:37] op_sel_hi:[0,1]
	v_perm_b32 v41, v39, v38, s33
	v_bfe_u32 v38, v37, 16, 1
	v_bfe_u32 v39, v36, 16, 1
	v_pk_mul_f32 v[34:35], v[52:53], v[34:35] op_sel_hi:[0,1]
	v_add3_u32 v36, v36, v39, s9
	v_add3_u32 v37, v37, v38, s9
	v_perm_b32 v36, v37, v36, s33
	v_bfe_u32 v37, v35, 16, 1
	v_bfe_u32 v38, v34, 16, 1
	v_add3_u32 v34, v34, v38, s9
	v_add3_u32 v35, v35, v37, s9
	v_perm_b32 v37, v35, v34, s33
	v_cmp_gt_u32_e32 vcc, 14, v0
	ds_write2st64_b64 v55, v[58:59], v[44:45] offset1:1
	ds_write2st64_b64 v55, v[40:41], v[36:37] offset0:2 offset1:3
	s_and_saveexec_b64 s[4:5], vcc
	s_cbranch_execz .LBB1381_17
; %bb.16:
	s_mov_b32 s49, 0
	v_mov_b32_e32 v57, 0
	v_lshl_add_u64 v[34:35], s[48:49], 0, v[56:57]
	v_mov_b32_e32 v36, s8
	v_mad_u64_u32 v[34:35], s[10:11], s2, v36, v[34:35]
	s_mul_i32 s3, s3, s8
	v_mov_b32_e32 v36, s6
	v_mov_b32_e32 v37, v57
	s_load_dwordx4 s[12:15], s[0:1], 0x58
	v_add_u32_e32 v38, s3, v35
	v_mad_u64_u32 v[34:35], s[10:11], v34, s7, v[36:37]
	v_mov_b32_e32 v36, v35
	v_mad_u64_u32 v[36:37], s[10:11], v38, s7, v[36:37]
	v_mov_b32_e32 v35, v36
	v_lshlrev_b64 v[34:35], 2, v[34:35]
	s_waitcnt lgkmcnt(0)
	v_lshl_add_u64 v[36:37], s[14:15], 0, v[34:35]
	v_lshl_add_u64 v[34:35], s[12:13], 0, v[34:35]
	global_store_dword v[36:37], v50, off
	global_store_dword v[34:35], v51, off
.LBB1381_17:
	s_or_b64 exec, exec, s[4:5]
	s_waitcnt vmcnt(7)
	v_cvt_pk_f32_fp8_e32 v[34:35], v6
	v_cvt_pk_f32_fp8_sdwa v[36:37], v6 src0_sel:WORD_1
	v_lshl_or_b32 v50, v62, 9, v46
	s_mov_b32 s5, 0x7060302
	s_waitcnt lgkmcnt(0)
	s_barrier
	v_cvt_pk_f32_fp8_e32 v[38:39], v7
	v_perm_b32 v6, v35, v34, s5
	v_cvt_pk_f32_fp8_sdwa v[40:41], v7 src0_sel:WORD_1
	v_perm_b32 v7, v37, v36, s5
	ds_read_b128 v[34:37], v50
	v_perm_b32 v46, v39, v38, s5
	v_perm_b32 v47, v41, v40, s5
	ds_read_b128 v[38:41], v50 offset:16
	v_cvt_pk_f32_fp8_e32 v[48:49], v8
	v_cvt_pk_f32_fp8_sdwa v[52:53], v8 src0_sel:WORD_1
	s_waitcnt lgkmcnt(1)
	v_mfma_f32_16x16x16_bf16 v[42:45], v[6:7], v[34:35], 0
	s_waitcnt vmcnt(6)
	v_cvt_pk_f32_fp8_e32 v[58:59], v4
	v_perm_b32 v6, v49, v48, s5
	v_perm_b32 v7, v53, v52, s5
	v_cvt_pk_f32_fp8_e32 v[48:49], v9
	v_mfma_f32_16x16x16_bf16 v[42:45], v[46:47], v[36:37], v[42:45]
	v_cvt_pk_f32_fp8_sdwa v[46:47], v9 src0_sel:WORD_1
	v_cvt_pk_f32_fp8_sdwa v[60:61], v4 src0_sel:WORD_1
	v_perm_b32 v48, v49, v48, s5
	s_waitcnt lgkmcnt(0)
	v_mfma_f32_16x16x16_bf16 v[6:9], v[6:7], v[38:39], v[42:45]
	v_perm_b32 v49, v47, v46, s5
	s_waitcnt vmcnt(5)
	v_cvt_pk_f32_fp8_e32 v[64:65], v28
	v_cvt_pk_f32_fp8_sdwa v[66:67], v28 src0_sel:WORD_1
	v_cvt_pk_f32_fp8_e32 v[42:43], v2
	v_mfma_f32_16x16x16_bf16 v[46:49], v[48:49], v[40:41], v[6:9]
	s_waitcnt vmcnt(4)
	v_cvt_pk_f32_fp8_sdwa v[68:69], v24 src0_sel:WORD_1
	s_load_dword s4, s[42:43], 0x0
	v_cvt_pk_f32_fp8_sdwa v[6:7], v2 src0_sel:WORD_1
	v_cvt_pk_f32_fp8_e32 v[8:9], v3
	v_perm_b32 v2, v43, v42, s5
	v_cvt_pk_f32_fp8_sdwa v[42:43], v3 src0_sel:WORD_1
	v_perm_b32 v3, v7, v6, s5
	v_perm_b32 v52, v9, v8, s5
	ds_read_b128 v[6:9], v50 offset:2048
	v_perm_b32 v53, v43, v42, s5
	ds_read_b128 v[42:45], v50 offset:2064
	s_waitcnt lgkmcnt(0)
	v_mfma_f32_16x16x16_bf16 v[46:49], v[2:3], v[6:7], v[46:49]
	v_perm_b32 v2, v59, v58, s5
	v_perm_b32 v3, v61, v60, s5
	v_cvt_pk_f32_fp8_e32 v[58:59], v5
	v_mfma_f32_16x16x16_bf16 v[46:49], v[52:53], v[8:9], v[46:49]
	v_cvt_pk_f32_fp8_sdwa v[52:53], v5 src0_sel:WORD_1
	s_waitcnt vmcnt(3)
	v_cvt_pk_f32_fp8_sdwa v[70:71], v32 src0_sel:WORD_1
	v_perm_b32 v58, v59, v58, s5
	v_mfma_f32_16x16x16_bf16 v[2:5], v[2:3], v[42:43], v[46:49]
	v_perm_b32 v59, v53, v52, s5
	s_mov_b32 s3, 0
	v_cmp_gt_u32_e32 vcc, 64, v0
	v_cvt_pk_f32_fp8_e32 v[46:47], v26
	v_mfma_f32_16x16x16_bf16 v[58:61], v[58:59], v[44:45], v[2:5]
	s_nop 2
	v_cvt_pk_f32_fp8_sdwa v[2:3], v26 src0_sel:WORD_1
	v_cvt_pk_f32_fp8_e32 v[4:5], v27
	v_perm_b32 v26, v47, v46, s5
	v_cvt_pk_f32_fp8_sdwa v[46:47], v27 src0_sel:WORD_1
	v_perm_b32 v27, v3, v2, s5
	v_perm_b32 v52, v5, v4, s5
	ds_read_b128 v[2:5], v50 offset:4096
	v_perm_b32 v53, v47, v46, s5
	ds_read_b128 v[46:49], v50 offset:4112
	s_waitcnt lgkmcnt(1)
	v_mfma_f32_16x16x16_bf16 v[58:61], v[26:27], v[2:3], v[58:61]
	v_perm_b32 v26, v65, v64, s5
	v_perm_b32 v27, v67, v66, s5
	v_cvt_pk_f32_fp8_e32 v[64:65], v29
	v_mfma_f32_16x16x16_bf16 v[58:61], v[52:53], v[4:5], v[58:61]
	v_cvt_pk_f32_fp8_sdwa v[52:53], v29 src0_sel:WORD_1
	v_cvt_pk_f32_fp8_e32 v[66:67], v24
	v_perm_b32 v64, v65, v64, s5
	s_waitcnt lgkmcnt(0)
	v_mfma_f32_16x16x16_bf16 v[26:29], v[26:27], v[46:47], v[58:61]
	v_perm_b32 v65, v53, v52, s5
	v_cvt_pk_f32_fp8_e32 v[52:53], v22
	s_nop 0
	v_mfma_f32_16x16x16_bf16 v[58:61], v[64:65], v[48:49], v[26:29]
	s_nop 2
	v_cvt_pk_f32_fp8_sdwa v[26:27], v22 src0_sel:WORD_1
	v_cvt_pk_f32_fp8_e32 v[28:29], v23
	v_perm_b32 v22, v53, v52, s5
	v_cvt_pk_f32_fp8_sdwa v[52:53], v23 src0_sel:WORD_1
	v_perm_b32 v23, v27, v26, s5
	v_perm_b32 v64, v29, v28, s5
	ds_read_b128 v[26:29], v50 offset:6144
	v_perm_b32 v65, v53, v52, s5
	s_waitcnt lgkmcnt(0)
	v_mfma_f32_16x16x16_bf16 v[58:61], v[22:23], v[26:27], v[58:61]
	ds_read_b128 v[50:53], v50 offset:6160
	v_perm_b32 v22, v67, v66, s5
	v_perm_b32 v23, v69, v68, s5
	v_cvt_pk_f32_fp8_e32 v[66:67], v25
	v_mfma_f32_16x16x16_bf16 v[58:61], v[64:65], v[28:29], v[58:61]
	v_cvt_pk_f32_fp8_sdwa v[64:65], v25 src0_sel:WORD_1
	v_cvt_pk_f32_fp8_e32 v[68:69], v32
	v_perm_b32 v66, v67, v66, s5
	s_waitcnt lgkmcnt(0)
	v_mfma_f32_16x16x16_bf16 v[22:25], v[22:23], v[50:51], v[58:61]
	v_perm_b32 v67, v65, v64, s5
	s_barrier
	s_nop 0
	v_mfma_f32_16x16x16_bf16 v[58:61], v[66:67], v[52:53], v[22:25]
	s_nop 2
	v_cvt_pk_f32_fp8_e32 v[24:25], v30
	v_perm_b32 v24, v25, v24, s5
	s_nop 1
	v_pk_mul_f32 v[22:23], v[60:61], s[4:5] op_sel_hi:[1,0]
	v_cvt_pk_f32_fp8_sdwa v[60:61], v30 src0_sel:WORD_1
	v_pk_mul_f32 v[64:65], v[58:59], s[4:5] op_sel_hi:[1,0]
	v_cvt_pk_f32_fp8_e32 v[58:59], v31
	v_cvt_pk_f32_fp8_sdwa v[30:31], v31 src0_sel:WORD_1
	v_perm_b32 v25, v61, v60, s5
	v_bfe_u32 v57, v65, 16, 1
	v_perm_b32 v66, v59, v58, s5
	v_perm_b32 v67, v31, v30, s5
	v_mfma_f32_16x16x16_bf16 v[58:61], v[24:25], v[34:35], 0
	v_perm_b32 v24, v69, v68, s5
	v_perm_b32 v25, v71, v70, s5
	v_cvt_pk_f32_fp8_e32 v[34:35], v33
	v_cvt_pk_f32_fp8_sdwa v[68:69], v33 src0_sel:WORD_1
	v_mfma_f32_16x16x16_bf16 v[30:33], v[66:67], v[36:37], v[58:61]
	s_waitcnt vmcnt(2)
	v_cvt_pk_f32_fp8_sdwa v[36:37], v18 src0_sel:WORD_1
	v_perm_b32 v34, v35, v34, s5
	v_perm_b32 v35, v69, v68, s5
	v_mfma_f32_16x16x16_bf16 v[30:33], v[24:25], v[38:39], v[30:33]
	v_cvt_pk_f32_fp8_e32 v[24:25], v18
	v_cvt_pk_f32_fp8_sdwa v[38:39], v20 src0_sel:WORD_1
	v_bfe_u32 v58, v64, 16, 1
	v_mfma_f32_16x16x16_bf16 v[30:33], v[34:35], v[40:41], v[30:33]
	v_cvt_pk_f32_fp8_e32 v[34:35], v19
	v_perm_b32 v24, v25, v24, s5
	v_perm_b32 v25, v37, v36, s5
	v_cvt_pk_f32_fp8_sdwa v[18:19], v19 src0_sel:WORD_1
	v_perm_b32 v34, v35, v34, s5
	v_cvt_pk_f32_fp8_e32 v[36:37], v20
	v_mfma_f32_16x16x16_bf16 v[30:33], v[24:25], v[6:7], v[30:33]
	v_perm_b32 v35, v19, v18, s5
	v_perm_b32 v18, v37, v36, s5
	;; [unrolled: 1-line block ×3, first 2 shown]
	v_cvt_pk_f32_fp8_e32 v[24:25], v21
	v_cvt_pk_f32_fp8_sdwa v[20:21], v21 src0_sel:WORD_1
	v_mfma_f32_16x16x16_bf16 v[6:9], v[34:35], v[8:9], v[30:33]
	v_perm_b32 v24, v25, v24, s5
	v_perm_b32 v25, v21, v20, s5
	v_mfma_f32_16x16x16_bf16 v[6:9], v[18:19], v[42:43], v[6:9]
	s_waitcnt vmcnt(1)
	v_cvt_pk_f32_fp8_e32 v[18:19], v14
	v_cvt_pk_f32_fp8_sdwa v[20:21], v14 src0_sel:WORD_1
	v_cvt_pk_f32_fp8_sdwa v[30:31], v16 src0_sel:WORD_1
	v_mfma_f32_16x16x16_bf16 v[6:9], v[24:25], v[44:45], v[6:9]
	v_cvt_pk_f32_fp8_e32 v[24:25], v15
	v_perm_b32 v18, v19, v18, s5
	v_perm_b32 v19, v21, v20, s5
	v_cvt_pk_f32_fp8_sdwa v[14:15], v15 src0_sel:WORD_1
	v_perm_b32 v20, v25, v24, s5
	v_cvt_pk_f32_fp8_e32 v[24:25], v16
	v_mfma_f32_16x16x16_bf16 v[6:9], v[18:19], v[2:3], v[6:9]
	v_perm_b32 v21, v15, v14, s5
	v_perm_b32 v14, v25, v24, s5
	;; [unrolled: 1-line block ×3, first 2 shown]
	v_cvt_pk_f32_fp8_e32 v[18:19], v17
	v_cvt_pk_f32_fp8_sdwa v[16:17], v17 src0_sel:WORD_1
	v_mfma_f32_16x16x16_bf16 v[2:5], v[20:21], v[4:5], v[6:9]
	v_add3_u32 v32, v64, v58, s9
	v_add3_u32 v33, v65, v57, s9
	s_nop 0
	v_perm_b32 v8, v19, v18, s5
	v_perm_b32 v9, v17, v16, s5
	v_mfma_f32_16x16x16_bf16 v[2:5], v[14:15], v[46:47], v[2:5]
	s_waitcnt vmcnt(0)
	v_cvt_pk_f32_fp8_e32 v[14:15], v10
	v_cvt_pk_f32_fp8_sdwa v[16:17], v10 src0_sel:WORD_1
	v_cvt_pk_f32_fp8_sdwa v[18:19], v12 src0_sel:WORD_1
	v_mfma_f32_16x16x16_bf16 v[2:5], v[8:9], v[48:49], v[2:5]
	v_cvt_pk_f32_fp8_e32 v[8:9], v11
	v_perm_b32 v14, v15, v14, s5
	v_perm_b32 v15, v17, v16, s5
	v_cvt_pk_f32_fp8_sdwa v[10:11], v11 src0_sel:WORD_1
	v_perm_b32 v8, v9, v8, s5
	v_cvt_pk_f32_fp8_e32 v[16:17], v12
	v_mfma_f32_16x16x16_bf16 v[2:5], v[14:15], v[26:27], v[2:5]
	v_perm_b32 v9, v11, v10, s5
	v_perm_b32 v10, v17, v16, s5
	;; [unrolled: 1-line block ×3, first 2 shown]
	v_cvt_pk_f32_fp8_e32 v[14:15], v13
	v_cvt_pk_f32_fp8_sdwa v[12:13], v13 src0_sel:WORD_1
	v_mfma_f32_16x16x16_bf16 v[2:5], v[8:9], v[28:29], v[2:5]
	v_bfe_u32 v7, v23, 16, 1
	v_perm_b32 v8, v15, v14, s5
	v_perm_b32 v9, v13, v12, s5
	v_mfma_f32_16x16x16_bf16 v[2:5], v[10:11], v[50:51], v[2:5]
	v_bfe_u32 v16, v22, 16, 1
	v_add3_u32 v10, v22, v16, s9
	v_add3_u32 v7, v23, v7, s9
	v_mfma_f32_16x16x16_bf16 v[2:5], v[8:9], v[52:53], v[2:5]
	v_perm_b32 v6, v33, v32, s5
	v_perm_b32 v7, v7, v10, s5
	s_nop 4
	v_pk_mul_f32 v[2:3], v[2:3], s[4:5] op_sel_hi:[1,0]
	v_pk_mul_f32 v[4:5], v[4:5], s[4:5] op_sel_hi:[1,0]
	v_bfe_u32 v8, v3, 16, 1
	v_bfe_u32 v9, v2, 16, 1
	v_add3_u32 v2, v2, v9, s9
	v_add3_u32 v3, v3, v8, s9
	v_perm_b32 v2, v3, v2, s5
	v_bfe_u32 v3, v5, 16, 1
	v_bfe_u32 v8, v4, 16, 1
	v_add3_u32 v4, v4, v8, s9
	v_add3_u32 v3, v5, v3, s9
	v_perm_b32 v3, v3, v4, s5
	ds_write2st64_b64 v55, v[6:7], v[2:3] offset1:1
	s_waitcnt lgkmcnt(0)
	s_barrier
	s_and_saveexec_b64 s[4:5], vcc
	s_cbranch_execz .LBB1381_20
; %bb.18:
	s_load_dwordx2 s[4:5], s[0:1], 0x68
	s_lshl_b32 s0, s7, 7
	s_mul_i32 s1, s8, s2
	v_lshlrev_b32_e32 v3, 6, v56
	s_mul_hi_u32 s9, s1, s0
	s_mul_i32 s8, s1, s0
	v_lshl_or_b32 v0, v0, 10, v3
	s_lshl_b64 s[8:9], s[8:9], 1
	v_lshlrev_b32_e32 v2, 5, v62
	v_and_b32_e32 v1, 16, v1
	v_and_b32_e32 v0, 0x1a00, v0
	s_waitcnt lgkmcnt(0)
	s_add_u32 s1, s4, s8
	v_or3_b32 v2, v0, v2, v1
	s_addc_u32 s4, s5, s9
	s_lshl_b32 s2, s6, 7
	ds_read_b128 v[4:7], v2 offset:256
	s_lshl_b64 s[2:3], s[2:3], 1
	ds_read_b128 v[8:11], v2 offset:128
	ds_read_b128 v[12:15], v2
	s_add_u32 s2, s1, s2
	s_addc_u32 s3, s4, s3
	v_mov_b32_e32 v55, 0
	v_add_u32_e32 v18, s48, v62
	v_lshl_add_u64 v[0:1], s[2:3], 0, v[54:55]
	v_mad_u64_u32 v[16:17], s[2:3], v18, s0, 0
	v_lshl_add_u64 v[16:17], v[16:17], 1, v[0:1]
	s_waitcnt lgkmcnt(0)
	global_store_dwordx4 v[16:17], v[12:15], off
	v_or_b32_e32 v3, 12, v62
	v_cmp_gt_u32_e32 vcc, 14, v3
	v_add_u32_e32 v12, 4, v18
	v_mad_u64_u32 v[12:13], s[2:3], v12, s0, 0
	v_lshl_add_u64 v[12:13], v[12:13], 1, v[0:1]
	global_store_dwordx4 v[12:13], v[8:11], off
	s_nop 1
	v_add_u32_e32 v8, 8, v18
	v_mad_u64_u32 v[8:9], s[2:3], v8, s0, 0
	v_lshl_add_u64 v[8:9], v[8:9], 1, v[0:1]
	global_store_dwordx4 v[8:9], v[4:7], off
	s_and_b64 exec, exec, vcc
	s_cbranch_execz .LBB1381_20
; %bb.19:
	ds_read_b128 v[4:7], v2 offset:384
	v_add_u32_e32 v2, s48, v3
	v_mad_u64_u32 v[2:3], s[0:1], v2, s0, 0
	v_lshl_add_u64 v[0:1], v[2:3], 1, v[0:1]
	s_waitcnt lgkmcnt(0)
	global_store_dwordx4 v[0:1], v[4:7], off
.LBB1381_20:
	s_endpgm
	.section	.rodata,"a",@progbits
	.p2align	6, 0x0
	.amdhsa_kernel _Z39paged_attention_ll4mi_QKV_mfma16_kernelI14__hip_bfloat16hLN4vllm18Fp8KVCacheDataTypeE1ES0_Li32ELi128ELi256ELb1ELi14EEvPKT_PKT0_S8_ifPKiSA_SA_iPKfiiiPfSD_PS3_PT2_iSC_SC_
		.amdhsa_group_segment_fixed_size 8192
		.amdhsa_private_segment_fixed_size 0
		.amdhsa_kernarg_size 400
		.amdhsa_user_sgpr_count 2
		.amdhsa_user_sgpr_dispatch_ptr 0
		.amdhsa_user_sgpr_queue_ptr 0
		.amdhsa_user_sgpr_kernarg_segment_ptr 1
		.amdhsa_user_sgpr_dispatch_id 0
		.amdhsa_user_sgpr_kernarg_preload_length 0
		.amdhsa_user_sgpr_kernarg_preload_offset 0
		.amdhsa_user_sgpr_private_segment_size 0
		.amdhsa_uses_dynamic_stack 0
		.amdhsa_enable_private_segment 0
		.amdhsa_system_sgpr_workgroup_id_x 1
		.amdhsa_system_sgpr_workgroup_id_y 1
		.amdhsa_system_sgpr_workgroup_id_z 1
		.amdhsa_system_sgpr_workgroup_info 0
		.amdhsa_system_vgpr_workitem_id 0
		.amdhsa_next_free_vgpr 78
		.amdhsa_next_free_sgpr 50
		.amdhsa_accum_offset 80
		.amdhsa_reserve_vcc 1
		.amdhsa_float_round_mode_32 0
		.amdhsa_float_round_mode_16_64 0
		.amdhsa_float_denorm_mode_32 3
		.amdhsa_float_denorm_mode_16_64 3
		.amdhsa_dx10_clamp 1
		.amdhsa_ieee_mode 1
		.amdhsa_fp16_overflow 0
		.amdhsa_tg_split 0
		.amdhsa_exception_fp_ieee_invalid_op 0
		.amdhsa_exception_fp_denorm_src 0
		.amdhsa_exception_fp_ieee_div_zero 0
		.amdhsa_exception_fp_ieee_overflow 0
		.amdhsa_exception_fp_ieee_underflow 0
		.amdhsa_exception_fp_ieee_inexact 0
		.amdhsa_exception_int_div_zero 0
	.end_amdhsa_kernel
	.section	.text._Z39paged_attention_ll4mi_QKV_mfma16_kernelI14__hip_bfloat16hLN4vllm18Fp8KVCacheDataTypeE1ES0_Li32ELi128ELi256ELb1ELi14EEvPKT_PKT0_S8_ifPKiSA_SA_iPKfiiiPfSD_PS3_PT2_iSC_SC_,"axG",@progbits,_Z39paged_attention_ll4mi_QKV_mfma16_kernelI14__hip_bfloat16hLN4vllm18Fp8KVCacheDataTypeE1ES0_Li32ELi128ELi256ELb1ELi14EEvPKT_PKT0_S8_ifPKiSA_SA_iPKfiiiPfSD_PS3_PT2_iSC_SC_,comdat
.Lfunc_end1381:
	.size	_Z39paged_attention_ll4mi_QKV_mfma16_kernelI14__hip_bfloat16hLN4vllm18Fp8KVCacheDataTypeE1ES0_Li32ELi128ELi256ELb1ELi14EEvPKT_PKT0_S8_ifPKiSA_SA_iPKfiiiPfSD_PS3_PT2_iSC_SC_, .Lfunc_end1381-_Z39paged_attention_ll4mi_QKV_mfma16_kernelI14__hip_bfloat16hLN4vllm18Fp8KVCacheDataTypeE1ES0_Li32ELi128ELi256ELb1ELi14EEvPKT_PKT0_S8_ifPKiSA_SA_iPKfiiiPfSD_PS3_PT2_iSC_SC_
                                        ; -- End function
	.section	.AMDGPU.csdata,"",@progbits
; Kernel info:
; codeLenInByte = 6724
; NumSgprs: 56
; NumVgprs: 78
; NumAgprs: 0
; TotalNumVgprs: 78
; ScratchSize: 0
; MemoryBound: 0
; FloatMode: 240
; IeeeMode: 1
; LDSByteSize: 8192 bytes/workgroup (compile time only)
; SGPRBlocks: 6
; VGPRBlocks: 9
; NumSGPRsForWavesPerEU: 56
; NumVGPRsForWavesPerEU: 78
; AccumOffset: 80
; Occupancy: 6
; WaveLimiterHint : 1
; COMPUTE_PGM_RSRC2:SCRATCH_EN: 0
; COMPUTE_PGM_RSRC2:USER_SGPR: 2
; COMPUTE_PGM_RSRC2:TRAP_HANDLER: 0
; COMPUTE_PGM_RSRC2:TGID_X_EN: 1
; COMPUTE_PGM_RSRC2:TGID_Y_EN: 1
; COMPUTE_PGM_RSRC2:TGID_Z_EN: 1
; COMPUTE_PGM_RSRC2:TIDIG_COMP_CNT: 0
; COMPUTE_PGM_RSRC3_GFX90A:ACCUM_OFFSET: 19
; COMPUTE_PGM_RSRC3_GFX90A:TG_SPLIT: 0
	.section	.text._Z39paged_attention_ll4mi_QKV_mfma16_kernelI14__hip_bfloat16hLN4vllm18Fp8KVCacheDataTypeE1ES0_Li32ELi128ELi256ELb1ELi15EEvPKT_PKT0_S8_ifPKiSA_SA_iPKfiiiPfSD_PS3_PT2_iSC_SC_,"axG",@progbits,_Z39paged_attention_ll4mi_QKV_mfma16_kernelI14__hip_bfloat16hLN4vllm18Fp8KVCacheDataTypeE1ES0_Li32ELi128ELi256ELb1ELi15EEvPKT_PKT0_S8_ifPKiSA_SA_iPKfiiiPfSD_PS3_PT2_iSC_SC_,comdat
	.protected	_Z39paged_attention_ll4mi_QKV_mfma16_kernelI14__hip_bfloat16hLN4vllm18Fp8KVCacheDataTypeE1ES0_Li32ELi128ELi256ELb1ELi15EEvPKT_PKT0_S8_ifPKiSA_SA_iPKfiiiPfSD_PS3_PT2_iSC_SC_ ; -- Begin function _Z39paged_attention_ll4mi_QKV_mfma16_kernelI14__hip_bfloat16hLN4vllm18Fp8KVCacheDataTypeE1ES0_Li32ELi128ELi256ELb1ELi15EEvPKT_PKT0_S8_ifPKiSA_SA_iPKfiiiPfSD_PS3_PT2_iSC_SC_
	.globl	_Z39paged_attention_ll4mi_QKV_mfma16_kernelI14__hip_bfloat16hLN4vllm18Fp8KVCacheDataTypeE1ES0_Li32ELi128ELi256ELb1ELi15EEvPKT_PKT0_S8_ifPKiSA_SA_iPKfiiiPfSD_PS3_PT2_iSC_SC_
	.p2align	8
	.type	_Z39paged_attention_ll4mi_QKV_mfma16_kernelI14__hip_bfloat16hLN4vllm18Fp8KVCacheDataTypeE1ES0_Li32ELi128ELi256ELb1ELi15EEvPKT_PKT0_S8_ifPKiSA_SA_iPKfiiiPfSD_PS3_PT2_iSC_SC_,@function
_Z39paged_attention_ll4mi_QKV_mfma16_kernelI14__hip_bfloat16hLN4vllm18Fp8KVCacheDataTypeE1ES0_Li32ELi128ELi256ELb1ELi15EEvPKT_PKT0_S8_ifPKiSA_SA_iPKfiiiPfSD_PS3_PT2_iSC_SC_: ; @_Z39paged_attention_ll4mi_QKV_mfma16_kernelI14__hip_bfloat16hLN4vllm18Fp8KVCacheDataTypeE1ES0_Li32ELi128ELi256ELb1ELi15EEvPKT_PKT0_S8_ifPKiSA_SA_iPKfiiiPfSD_PS3_PT2_iSC_SC_
; %bb.0:
	s_load_dwordx2 s[10:11], s[0:1], 0x30
	s_mov_b32 s6, s3
	s_mov_b64 s[8:9], 0
	s_waitcnt lgkmcnt(0)
	s_cmp_lg_u64 s[10:11], 0
	s_cselect_b64 s[12:13], -1, 0
	s_and_b64 vcc, exec, s[12:13]
	s_cbranch_vccz .LBB1382_7
; %bb.1:
	s_add_i32 s14, s2, 1
	s_mov_b32 s15, 0
	s_lshl_b64 s[16:17], s[14:15], 2
	s_add_u32 s16, s10, s16
	s_mov_b32 s3, s15
	s_addc_u32 s17, s11, s17
	s_lshl_b64 s[14:15], s[2:3], 2
	s_add_u32 s14, s10, s14
	s_addc_u32 s15, s11, s15
	s_load_dword s5, s[16:17], 0x0
	s_load_dword s7, s[14:15], 0x0
	s_waitcnt lgkmcnt(0)
	s_sub_i32 s5, s5, s7
	s_cmp_eq_u32 s5, 1
	s_cselect_b64 s[14:15], -1, 0
	s_andn2_b64 vcc, exec, s[8:9]
	s_cbranch_vccnz .LBB1382_3
.LBB1382_2:
	s_mov_b32 s3, 0
	s_mov_b64 s[14:15], -1
.LBB1382_3:
	s_andn2_b64 vcc, exec, s[14:15]
	s_cbranch_vccnz .LBB1382_20
; %bb.4:
	s_load_dwordx2 s[8:9], s[0:1], 0x28
	s_lshl_b64 s[14:15], s[2:3], 2
	s_waitcnt lgkmcnt(0)
	s_add_u32 s8, s8, s14
	s_addc_u32 s9, s9, s15
	s_load_dword s7, s[8:9], 0x0
	s_lshl_b32 s18, s6, 8
	s_waitcnt lgkmcnt(0)
	s_cmp_ge_i32 s18, s7
	s_cbranch_scc1 .LBB1382_20
; %bb.5:
	s_load_dwordx2 s[8:9], s[0:1], 0x20
	s_load_dword s5, s[0:1], 0x38
	s_add_i32 s16, s7, 31
	s_ashr_i32 s17, s16, 31
	v_and_b32_e32 v1, 0xcf, v0
	s_lshr_b32 s17, s17, 27
	v_add_u32_e32 v1, s18, v1
	s_add_i32 s16, s16, s17
	v_ashrrev_i32_e32 v2, 31, v1
	s_ashr_i32 s19, s16, 5
	v_lshrrev_b32_e32 v4, 27, v2
	s_add_i32 s19, s19, -1
	s_waitcnt lgkmcnt(0)
	s_mul_i32 s16, s2, s5
	s_mov_b32 s17, 0
	v_add_u32_e32 v2, v1, v4
	s_lshl_b64 s[16:17], s[16:17], 2
	v_ashrrev_i32_e32 v2, 5, v2
	v_mov_b32_e32 v5, s19
	v_cmp_gt_i32_e32 vcc, s7, v1
	s_add_u32 s8, s8, s16
	s_addc_u32 s9, s9, s17
	v_cndmask_b32_e32 v2, v5, v2, vcc
	v_ashrrev_i32_e32 v3, 31, v2
	v_lshl_add_u64 v[6:7], v[2:3], 2, s[8:9]
	v_or_b32_e32 v2, 16, v1
	v_add_u32_e32 v3, v2, v4
	v_ashrrev_i32_e32 v3, 5, v3
	v_cmp_gt_i32_e32 vcc, s7, v2
	s_load_dwordx2 s[16:17], s[0:1], 0x8
	s_nop 0
	v_cndmask_b32_e32 v2, v5, v3, vcc
	v_ashrrev_i32_e32 v3, 31, v2
	v_lshl_add_u64 v[8:9], v[2:3], 2, s[8:9]
	v_or_b32_e32 v2, 32, v1
	v_add_u32_e32 v3, v2, v4
	v_ashrrev_i32_e32 v3, 5, v3
	v_cmp_gt_i32_e32 vcc, s7, v2
	v_or_b32_e32 v1, 48, v1
	s_nop 0
	v_cndmask_b32_e32 v2, v5, v3, vcc
	v_ashrrev_i32_e32 v3, 31, v2
	v_lshl_add_u64 v[12:13], v[2:3], 2, s[8:9]
	v_add_u32_e32 v2, v1, v4
	v_ashrrev_i32_e32 v2, 5, v2
	v_cmp_gt_i32_e32 vcc, s7, v1
	s_nop 1
	v_cndmask_b32_e32 v2, v5, v2, vcc
	v_ashrrev_i32_e32 v3, 31, v2
	v_lshl_add_u64 v[14:15], v[2:3], 2, s[8:9]
	global_load_dword v4, v[6:7], off
	global_load_dword v3, v[8:9], off
	;; [unrolled: 1-line block ×4, first 2 shown]
	s_andn2_b64 vcc, exec, s[12:13]
	s_cbranch_vccnz .LBB1382_8
; %bb.6:
	s_add_u32 s10, s10, s14
	s_addc_u32 s11, s11, s15
	s_load_dword s5, s[10:11], 0x0
	s_branch .LBB1382_9
.LBB1382_7:
	s_mov_b64 s[14:15], 0
	s_branch .LBB1382_2
.LBB1382_8:
	s_mov_b32 s5, s2
.LBB1382_9:
	s_load_dwordx2 s[10:11], s[0:1], 0x10
	s_load_dwordx4 s[44:47], s[0:1], 0x48
	v_lshrrev_b32_e32 v57, 6, v0
	v_bfe_u32 v62, v0, 4, 2
	v_and_b32_e32 v56, 15, v0
	v_lshl_or_b32 v5, v57, 2, v62
	v_lshlrev_b32_e32 v1, 3, v56
	s_mul_i32 s48, s4, 15
	v_cmp_gt_u32_e32 vcc, 15, v5
	v_lshlrev_b32_e32 v54, 1, v1
	v_lshlrev_b32_e32 v1, 4, v0
	s_and_saveexec_b64 s[12:13], vcc
	s_cbranch_execz .LBB1382_11
; %bb.10:
	s_load_dwordx2 s[14:15], s[0:1], 0x0
	s_waitcnt lgkmcnt(0)
	s_ashr_i32 s20, s44, 31
	s_mul_hi_u32 s21, s5, s44
	s_mul_i32 s20, s5, s20
	s_add_i32 s21, s21, s20
	s_mul_i32 s20, s5, s44
	s_lshl_b64 s[20:21], s[20:21], 1
	s_add_u32 s14, s14, s20
	v_add_lshl_u32 v6, v5, s48, 7
	s_addc_u32 s15, s15, s21
	v_ashrrev_i32_e32 v7, 31, v6
	v_lshl_add_u64 v[6:7], v[6:7], 1, s[14:15]
	v_mov_b32_e32 v55, 0
	v_lshl_add_u64 v[6:7], v[6:7], 0, v[54:55]
	global_load_dwordx4 v[6:9], v[6:7], off
	v_lshlrev_b32_e32 v12, 8, v0
	v_lshlrev_b32_e32 v11, 8, v56
	v_and_b32_e32 v12, 0x600, v12
	s_movk_i32 s5, 0x800
	v_and_or_b32 v11, v11, s5, v12
	v_lshlrev_b32_e32 v5, 5, v5
	v_and_b32_e32 v12, 16, v1
	v_or3_b32 v5, v11, v5, v12
	s_waitcnt vmcnt(0)
	ds_write_b128 v5, v[6:9]
.LBB1382_11:
	s_or_b64 exec, exec, s[12:13]
	s_waitcnt lgkmcnt(0)
	s_mul_i32 s12, s4, s46
	s_add_u32 s4, s16, s12
	s_addc_u32 s5, s17, 0
	v_mov_b32_e32 v59, 0
	v_mov_b64_e32 v[12:13], s[4:5]
	v_and_b32_e32 v34, 48, v0
	s_waitcnt vmcnt(3)
	v_mad_i64_i32 v[4:5], s[4:5], v4, s45, v[12:13]
	v_lshlrev_b32_e32 v14, 4, v56
	v_mov_b32_e32 v15, v59
	v_lshlrev_b32_e32 v58, 5, v34
	v_lshl_add_u64 v[4:5], v[4:5], 0, v[14:15]
	v_lshl_add_u64 v[4:5], v[4:5], 0, v[58:59]
	s_barrier
	global_load_dwordx4 v[50:53], v[4:5], off
	global_load_dwordx4 v[46:49], v[4:5], off offset:2048
	s_waitcnt vmcnt(4)
	v_mad_i64_i32 v[4:5], s[4:5], v3, s45, v[12:13]
	v_or_b32_e32 v16, 0x100, v14
	v_mov_b32_e32 v17, v59
	s_waitcnt vmcnt(3)
	v_mad_i64_i32 v[2:3], s[4:5], v2, s45, v[12:13]
	s_waitcnt vmcnt(2)
	v_mad_i64_i32 v[10:11], s[4:5], v10, s45, v[12:13]
	v_lshl_add_u64 v[4:5], v[4:5], 0, v[16:17]
	v_lshl_add_u64 v[2:3], v[2:3], 0, v[14:15]
	;; [unrolled: 1-line block ×6, first 2 shown]
	global_load_dwordx4 v[36:39], v[4:5], off
	global_load_dwordx4 v[6:9], v[4:5], off offset:2048
	s_nop 0
	global_load_dwordx4 v[2:5], v[14:15], off
	global_load_dwordx4 v[42:45], v[14:15], off offset:2048
	global_load_dwordx4 v[26:29], v[10:11], off
	s_nop 0
	global_load_dwordx4 v[14:17], v[10:11], off offset:2048
	v_cmp_ne_u32_e32 vcc, 15, v56
	v_and_b32_e32 v55, 63, v0
	v_mov_b32_e32 v63, 0
	v_cndmask_b32_e32 v10, 0, v56, vcc
	v_lshlrev_b32_e32 v10, 5, v10
	v_lshl_or_b32 v10, v62, 9, v10
	ds_read_b128 v[30:33], v10
	ds_read_b128 v[22:25], v10 offset:16
	ds_read_b128 v[18:21], v10 offset:2048
	ds_read_b128 v[10:13], v10 offset:2064
	s_and_saveexec_b64 s[4:5], vcc
	s_cbranch_execz .LBB1382_13
; %bb.12:
	s_load_dwordx2 s[14:15], s[0:1], 0x40
	v_add_u32_e32 v40, s48, v56
	v_ashrrev_i32_e32 v41, 31, v40
	s_waitcnt lgkmcnt(0)
	v_lshl_add_u64 v[40:41], v[40:41], 2, s[14:15]
	global_load_dword v63, v[40:41], off
.LBB1382_13:
	s_or_b64 exec, exec, s[4:5]
	s_ashr_i32 s4, s18, 31
	v_or_b32_e32 v58, s18, v34
	s_lshr_b32 s4, s4, 27
	v_add_u32_e32 v34, s4, v58
	v_or_b32_e32 v40, 64, v58
	v_ashrrev_i32_e32 v34, 5, v34
	v_mov_b32_e32 v64, s19
	v_cmp_gt_i32_e32 vcc, s7, v58
	v_add_u32_e32 v41, s4, v40
	v_or_b32_e32 v60, 0x80, v58
	v_cndmask_b32_e32 v34, v64, v34, vcc
	v_ashrrev_i32_e32 v41, 5, v41
	v_cmp_gt_i32_e32 vcc, s7, v40
	v_add_u32_e32 v61, s4, v60
	v_or_b32_e32 v58, 0xc0, v58
	v_cndmask_b32_e32 v40, v64, v41, vcc
	v_ashrrev_i32_e32 v61, 5, v61
	v_cmp_gt_i32_e32 vcc, s7, v60
	v_add_u32_e32 v65, s4, v58
	v_ashrrev_i32_e32 v65, 5, v65
	v_cndmask_b32_e32 v60, v64, v61, vcc
	v_cmp_gt_i32_e32 vcc, s7, v58
	s_waitcnt vmcnt(7)
	v_cvt_pk_f32_fp8_sdwa v[66:67], v50 src0_sel:WORD_1
	s_mov_b32 s33, 0x7060302
	v_cndmask_b32_e32 v68, v64, v65, vcc
	v_cvt_pk_f32_fp8_e32 v[64:65], v50
	v_cvt_pk_f32_fp8_e32 v[70:71], v51
	v_cvt_pk_f32_fp8_sdwa v[50:51], v51 src0_sel:WORD_1
	v_cvt_pk_f32_fp8_e32 v[72:73], v52
	v_perm_b32 v64, v65, v64, s33
	v_perm_b32 v65, v67, v66, s33
	;; [unrolled: 1-line block ×3, first 2 shown]
	v_cvt_pk_f32_fp8_sdwa v[74:75], v52 src0_sel:WORD_1
	v_perm_b32 v71, v51, v50, s33
	s_waitcnt lgkmcnt(3)
	v_mfma_f32_16x16x16_bf16 v[64:67], v[64:65], v[30:31], 0
	v_perm_b32 v72, v73, v72, s33
	v_perm_b32 v73, v75, v74, s33
	v_cvt_pk_f32_fp8_e32 v[74:75], v53
	v_cvt_pk_f32_fp8_sdwa v[76:77], v53 src0_sel:WORD_1
	v_mfma_f32_16x16x16_bf16 v[50:53], v[70:71], v[32:33], v[64:67]
	v_ashrrev_i32_e32 v35, 31, v34
	v_lshl_add_u64 v[34:35], v[34:35], 2, s[8:9]
	v_ashrrev_i32_e32 v41, 31, v40
	v_perm_b32 v64, v75, v74, s33
	v_perm_b32 v65, v77, v76, s33
	s_waitcnt lgkmcnt(2)
	v_mfma_f32_16x16x16_bf16 v[50:53], v[72:73], v[22:23], v[50:53]
	s_waitcnt vmcnt(6)
	v_cvt_pk_f32_fp8_e32 v[66:67], v46
	v_ashrrev_i32_e32 v61, 31, v60
	v_ashrrev_i32_e32 v69, 31, v68
	v_lshl_add_u64 v[40:41], v[40:41], 2, s[8:9]
	v_lshl_add_u64 v[60:61], v[60:61], 2, s[8:9]
	;; [unrolled: 1-line block ×3, first 2 shown]
	v_mfma_f32_16x16x16_bf16 v[50:53], v[64:65], v[24:25], v[50:53]
	v_perm_b32 v74, v67, v66, s33
	global_load_dword v68, v[34:35], off
	global_load_dword v66, v[40:41], off
	global_load_dword v67, v[60:61], off
	global_load_dword v65, v[72:73], off
	v_cvt_pk_f32_fp8_sdwa v[70:71], v46 src0_sel:WORD_1
	v_cvt_pk_f32_fp8_e32 v[40:41], v48
	s_waitcnt vmcnt(9)
	v_cvt_pk_f32_fp8_e32 v[60:61], v36
	s_add_u32 s4, s10, s12
	v_perm_b32 v75, v71, v70, s33
	v_cvt_pk_f32_fp8_e32 v[70:71], v47
	v_cvt_pk_f32_fp8_sdwa v[46:47], v47 src0_sel:WORD_1
	s_waitcnt lgkmcnt(1)
	v_mfma_f32_16x16x16_bf16 v[50:53], v[74:75], v[18:19], v[50:53]
	v_perm_b32 v34, v71, v70, s33
	v_perm_b32 v35, v47, v46, s33
	v_cvt_pk_f32_fp8_sdwa v[46:47], v48 src0_sel:WORD_1
	v_perm_b32 v40, v41, v40, s33
	v_mfma_f32_16x16x16_bf16 v[50:53], v[34:35], v[20:21], v[50:53]
	v_perm_b32 v41, v47, v46, s33
	v_cvt_pk_f32_fp8_e32 v[34:35], v49
	v_cvt_pk_f32_fp8_sdwa v[46:47], v49 src0_sel:WORD_1
	v_cvt_pk_f32_fp8_sdwa v[70:71], v36 src0_sel:WORD_1
	s_addc_u32 s5, s11, 0
	v_perm_b32 v34, v35, v34, s33
	v_perm_b32 v35, v47, v46, s33
	s_waitcnt lgkmcnt(0)
	v_mfma_f32_16x16x16_bf16 v[46:49], v[40:41], v[10:11], v[50:53]
	v_perm_b32 v40, v61, v60, s33
	v_perm_b32 v41, v71, v70, s33
	s_waitcnt vmcnt(8)
	v_cvt_pk_f32_fp8_sdwa v[60:61], v6 src0_sel:WORD_1
	v_cvt_pk_f32_fp8_e32 v[50:51], v37
	v_cvt_pk_f32_fp8_sdwa v[52:53], v37 src0_sel:WORD_1
	v_mfma_f32_16x16x16_bf16 v[34:37], v[34:35], v[12:13], v[46:49]
	v_and_b32_e32 v58, 16, v0
	v_perm_b32 v50, v51, v50, s33
	v_perm_b32 v51, v53, v52, s33
	v_mfma_f32_16x16x16_bf16 v[46:49], v[40:41], v[30:31], 0
	v_cvt_pk_f32_fp8_e32 v[40:41], v38
	v_cvt_pk_f32_fp8_sdwa v[52:53], v38 src0_sel:WORD_1
	v_lshl_or_b32 v64, v57, 4, v56
	v_mfma_f32_16x16x16_bf16 v[46:49], v[50:51], v[32:33], v[46:49]
	v_cvt_pk_f32_fp8_e32 v[50:51], v39
	v_perm_b32 v40, v41, v40, s33
	v_perm_b32 v41, v53, v52, s33
	v_cvt_pk_f32_fp8_sdwa v[38:39], v39 src0_sel:WORD_1
	v_perm_b32 v50, v51, v50, s33
	v_cvt_pk_f32_fp8_e32 v[52:53], v6
	s_waitcnt vmcnt(6)
	v_cvt_pk_f32_fp8_e32 v[74:75], v43
	v_perm_b32 v51, v39, v38, s33
	v_mfma_f32_16x16x16_bf16 v[38:41], v[40:41], v[22:23], v[46:49]
	s_nop 2
	v_perm_b32 v48, v53, v52, s33
	v_perm_b32 v49, v61, v60, s33
	v_cvt_pk_f32_fp8_e32 v[52:53], v7
	v_cvt_pk_f32_fp8_sdwa v[6:7], v7 src0_sel:WORD_1
	v_mfma_f32_16x16x16_bf16 v[38:41], v[50:51], v[24:25], v[38:41]
	v_lshl_add_u64 v[46:47], s[4:5], 0, v[58:59]
	v_perm_b32 v50, v53, v52, s33
	v_perm_b32 v51, v7, v6, s33
	v_mfma_f32_16x16x16_bf16 v[38:41], v[48:49], v[18:19], v[38:41]
	v_cvt_pk_f32_fp8_e32 v[6:7], v8
	v_cvt_pk_f32_fp8_sdwa v[48:49], v8 src0_sel:WORD_1
	v_cvt_pk_f32_fp8_sdwa v[52:53], v2 src0_sel:WORD_1
	v_mfma_f32_16x16x16_bf16 v[38:41], v[50:51], v[20:21], v[38:41]
	v_cvt_pk_f32_fp8_e32 v[50:51], v9
	v_perm_b32 v6, v7, v6, s33
	v_perm_b32 v7, v49, v48, s33
	v_cvt_pk_f32_fp8_sdwa v[8:9], v9 src0_sel:WORD_1
	v_perm_b32 v48, v51, v50, s33
	v_cvt_pk_f32_fp8_e32 v[50:51], v2
	v_lshlrev_b32_e32 v58, 5, v64
	v_perm_b32 v49, v9, v8, s33
	v_mfma_f32_16x16x16_bf16 v[6:9], v[6:7], v[10:11], v[38:41]
	v_perm_b32 v50, v51, v50, s33
	v_perm_b32 v51, v53, v52, s33
	v_cvt_pk_f32_fp8_e32 v[52:53], v3
	v_cvt_pk_f32_fp8_sdwa v[2:3], v3 src0_sel:WORD_1
	v_mfma_f32_16x16x16_bf16 v[38:41], v[48:49], v[12:13], v[6:9]
	v_lshl_add_u64 v[48:49], v[46:47], 0, v[58:59]
	v_perm_b32 v52, v53, v52, s33
	v_perm_b32 v53, v3, v2, s33
	v_mfma_f32_16x16x16_bf16 v[6:9], v[50:51], v[30:31], 0
	v_cvt_pk_f32_fp8_e32 v[2:3], v4
	v_cvt_pk_f32_fp8_sdwa v[50:51], v4 src0_sel:WORD_1
	s_waitcnt vmcnt(3)
	v_mad_i64_i32 v[60:61], s[4:5], v68, s45, v[48:49]
	v_perm_b32 v2, v3, v2, s33
	v_perm_b32 v3, v51, v50, s33
	v_mfma_f32_16x16x16_bf16 v[6:9], v[52:53], v[32:33], v[6:9]
	v_cvt_pk_f32_fp8_e32 v[50:51], v5
	v_cvt_pk_f32_fp8_sdwa v[4:5], v5 src0_sel:WORD_1
	s_waitcnt vmcnt(2)
	v_mad_i64_i32 v[70:71], s[4:5], v66, s45, v[48:49]
	v_perm_b32 v50, v51, v50, s33
	v_perm_b32 v51, v5, v4, s33
	v_mfma_f32_16x16x16_bf16 v[2:5], v[2:3], v[22:23], v[6:9]
	v_or_b32_e32 v58, 0x800, v58
	s_nop 1
	v_cvt_pk_f32_fp8_e32 v[6:7], v42
	v_cvt_pk_f32_fp8_sdwa v[8:9], v42 src0_sel:WORD_1
	v_cvt_pk_f32_fp8_sdwa v[42:43], v43 src0_sel:WORD_1
	v_mfma_f32_16x16x16_bf16 v[50:53], v[50:51], v[24:25], v[2:5]
	v_perm_b32 v72, v7, v6, s33
	v_perm_b32 v73, v9, v8, s33
	global_load_dwordx4 v[6:9], v[60:61], off
	global_load_dwordx4 v[2:5], v[70:71], off
	v_perm_b32 v60, v75, v74, s33
	v_perm_b32 v61, v43, v42, s33
	v_mfma_f32_16x16x16_bf16 v[70:73], v[72:73], v[18:19], v[50:53]
	v_cvt_pk_f32_fp8_e32 v[42:43], v44
	v_perm_b32 v42, v43, v42, s33
	s_nop 0
	v_cvt_pk_f32_fp8_sdwa v[52:53], v44 src0_sel:WORD_1
	v_mfma_f32_16x16x16_bf16 v[70:73], v[60:61], v[20:21], v[70:73]
	v_cvt_pk_f32_fp8_e32 v[60:61], v45
	s_waitcnt vmcnt(3)
	v_mad_i64_i32 v[50:51], s[4:5], v67, s45, v[48:49]
	s_load_dword s4, s[0:1], 0x1c
	s_load_dwordx4 s[40:43], s[0:1], 0x80
	v_perm_b32 v43, v53, v52, s33
	v_perm_b32 v74, v61, v60, s33
	v_cvt_pk_f32_fp8_e32 v[52:53], v26
	v_cvt_pk_f32_fp8_sdwa v[60:61], v26 src0_sel:WORD_1
	s_load_dword s44, s[0:1], 0x98
	s_waitcnt lgkmcnt(0)
	s_load_dword s5, s[40:41], 0x0
	v_cvt_pk_f32_fp8_sdwa v[44:45], v45 src0_sel:WORD_1
	v_perm_b32 v52, v53, v52, s33
	v_perm_b32 v53, v61, v60, s33
	v_cvt_pk_f32_fp8_e32 v[60:61], v27
	v_cvt_pk_f32_fp8_sdwa v[26:27], v27 src0_sel:WORD_1
	v_perm_b32 v75, v45, v44, s33
	v_mfma_f32_16x16x16_bf16 v[42:45], v[42:43], v[10:11], v[70:73]
	v_perm_b32 v60, v61, v60, s33
	v_perm_b32 v61, v27, v26, s33
	v_mov_b32_e32 v26, s4
	v_mfma_f32_16x16x16_bf16 v[70:73], v[52:53], v[30:31], 0
	s_waitcnt lgkmcnt(0)
	v_mul_f32_e32 v52, s5, v26
	v_cvt_pk_f32_fp8_e32 v[26:27], v28
	v_cvt_pk_f32_fp8_sdwa v[30:31], v28 src0_sel:WORD_1
	v_mfma_f32_16x16x16_bf16 v[70:73], v[60:61], v[32:33], v[70:73]
	v_cvt_pk_f32_fp8_e32 v[32:33], v29
	v_cvt_pk_f32_fp8_sdwa v[28:29], v29 src0_sel:WORD_1
	v_perm_b32 v26, v27, v26, s33
	v_perm_b32 v27, v31, v30, s33
	v_mfma_f32_16x16x16_bf16 v[42:45], v[74:75], v[12:13], v[42:45]
	v_perm_b32 v32, v33, v32, s33
	v_perm_b32 v33, v29, v28, s33
	v_cvt_pk_f32_fp8_e32 v[60:61], v14
	v_cvt_pk_f32_fp8_sdwa v[74:75], v14 src0_sel:WORD_1
	v_mfma_f32_16x16x16_bf16 v[26:29], v[26:27], v[22:23], v[70:73]
	v_pk_mul_f32 v[30:31], v[52:53], v[36:37] op_sel_hi:[0,1]
	v_perm_b32 v36, v61, v60, s33
	v_perm_b32 v37, v75, v74, s33
	v_cvt_pk_f32_fp8_e32 v[60:61], v15
	v_cvt_pk_f32_fp8_sdwa v[70:71], v15 src0_sel:WORD_1
	v_mfma_f32_16x16x16_bf16 v[22:25], v[32:33], v[24:25], v[26:29]
	v_pk_mul_f32 v[14:15], v[52:53], v[34:35] op_sel_hi:[0,1]
	v_perm_b32 v60, v61, v60, s33
	v_perm_b32 v61, v71, v70, s33
	v_mfma_f32_16x16x16_bf16 v[32:35], v[36:37], v[18:19], v[22:25]
	v_cvt_pk_f32_fp8_e32 v[18:19], v16
	v_cvt_pk_f32_fp8_sdwa v[36:37], v16 src0_sel:WORD_1
	s_waitcnt vmcnt(2)
	v_mad_i64_i32 v[48:49], s[8:9], v65, s45, v[48:49]
	global_load_dwordx4 v[26:29], v[50:51], off
	global_load_dwordx4 v[22:25], v[48:49], off
	v_perm_b32 v48, v19, v18, s33
	v_perm_b32 v49, v37, v36, s33
	v_cvt_pk_f32_fp8_e32 v[36:37], v17
	v_cvt_pk_f32_fp8_sdwa v[50:51], v17 src0_sel:WORD_1
	v_mfma_f32_16x16x16_bf16 v[16:19], v[60:61], v[20:21], v[32:35]
	v_pk_mul_f32 v[40:41], v[52:53], v[40:41] op_sel_hi:[0,1]
	v_perm_b32 v20, v37, v36, s33
	v_perm_b32 v21, v51, v50, s33
	v_mfma_f32_16x16x16_bf16 v[16:19], v[48:49], v[10:11], v[16:19]
	v_pk_mul_f32 v[48:49], v[52:53], v[38:39] op_sel_hi:[0,1]
	v_pk_mul_f32 v[38:39], v[52:53], v[44:45] op_sel_hi:[0,1]
	;; [unrolled: 1-line block ×3, first 2 shown]
	v_mfma_f32_16x16x16_bf16 v[10:13], v[20:21], v[12:13], v[16:19]
	s_mov_b32 s40, 0xff7fffff
	s_nop 5
	v_pk_mul_f32 v[36:37], v[52:53], v[10:11] op_sel_hi:[0,1]
	v_and_b32_e32 v10, 0xc0, v0
	v_add_u32_e32 v10, s18, v10
	v_lshl_or_b32 v10, v62, 2, v10
	v_or_b32_e32 v11, 1, v10
	v_pk_mul_f32 v[34:35], v[52:53], v[12:13] op_sel_hi:[0,1]
	v_subrev_u32_e32 v12, s7, v11
	v_add_u32_e32 v16, 1, v12
	v_add_u32_e32 v17, 2, v12
	v_cvt_f32_i32_e32 v13, v12
	v_cvt_f32_i32_e32 v16, v16
	;; [unrolled: 1-line block ×3, first 2 shown]
	v_add_u32_e32 v18, 3, v12
	v_fma_f32 v14, v63, v13, v14
	v_fmac_f32_e32 v15, v63, v16
	v_fma_f32 v51, v63, v17, v30
	v_add_u32_e32 v13, 16, v12
	v_add_u32_e32 v16, 17, v12
	;; [unrolled: 1-line block ×3, first 2 shown]
	v_cvt_f32_i32_e32 v18, v18
	v_cvt_f32_i32_e32 v13, v13
	;; [unrolled: 1-line block ×4, first 2 shown]
	v_fmac_f32_e32 v31, v63, v18
	v_add_u32_e32 v18, 19, v12
	v_fma_f32 v48, v63, v13, v48
	v_fmac_f32_e32 v49, v63, v16
	v_fma_f32 v40, v63, v17, v40
	v_add_u32_e32 v13, 32, v12
	v_add_u32_e32 v16, 33, v12
	;; [unrolled: 1-line block ×3, first 2 shown]
	v_cvt_f32_i32_e32 v18, v18
	v_cvt_f32_i32_e32 v13, v13
	;; [unrolled: 1-line block ×4, first 2 shown]
	v_fmac_f32_e32 v41, v63, v18
	v_add_u32_e32 v18, 35, v12
	v_fma_f32 v42, v63, v13, v42
	v_fmac_f32_e32 v43, v63, v16
	v_fma_f32 v38, v63, v17, v38
	v_add_u32_e32 v13, 48, v12
	v_add_u32_e32 v16, 49, v12
	;; [unrolled: 1-line block ×4, first 2 shown]
	v_cvt_f32_i32_e32 v12, v12
	v_cvt_f32_i32_e32 v13, v13
	v_cvt_f32_i32_e32 v16, v16
	v_cmp_gt_i32_e64 s[8:9], s7, v10
	v_fmac_f32_e32 v35, v63, v12
	v_mov_b32_e32 v12, 0xff7fffff
	v_cmp_gt_i32_e64 s[10:11], s7, v11
	v_fma_f32 v36, v63, v13, v36
	v_cndmask_b32_e64 v13, v12, v14, s[8:9]
	v_cndmask_b32_e64 v11, v12, v15, s[10:11]
	v_fmac_f32_e32 v37, v63, v16
	v_max3_f32 v11, v13, s40, v11
	v_or_b32_e32 v13, 2, v10
	v_or_b32_e32 v16, 3, v10
	v_cmp_gt_i32_e64 s[12:13], s7, v13
	v_cmp_gt_i32_e64 s[14:15], s7, v16
	v_cvt_f32_i32_e32 v18, v18
	v_cndmask_b32_e64 v13, v12, v51, s[12:13]
	v_cndmask_b32_e64 v16, v12, v31, s[14:15]
	v_max3_f32 v11, v11, v13, v16
	v_or_b32_e32 v13, 16, v10
	v_or_b32_e32 v16, 17, v10
	v_cmp_gt_i32_e64 s[16:17], s7, v13
	v_cmp_gt_i32_e64 s[18:19], s7, v16
	v_fmac_f32_e32 v39, v63, v18
	v_cndmask_b32_e64 v13, v12, v48, s[16:17]
	v_cndmask_b32_e64 v16, v12, v49, s[18:19]
	v_max3_f32 v11, v11, v13, v16
	v_or_b32_e32 v13, 18, v10
	v_or_b32_e32 v16, 19, v10
	v_cmp_gt_i32_e64 s[20:21], s7, v13
	v_cmp_gt_i32_e64 s[22:23], s7, v16
	v_cvt_f32_i32_e32 v17, v17
	v_cndmask_b32_e64 v13, v12, v40, s[20:21]
	v_cndmask_b32_e64 v16, v12, v41, s[22:23]
	v_max3_f32 v11, v11, v13, v16
	v_or_b32_e32 v13, 32, v10
	v_or_b32_e32 v16, 33, v10
	v_cmp_gt_i32_e64 s[24:25], s7, v13
	v_cmp_gt_i32_e64 s[26:27], s7, v16
	v_fma_f32 v34, v63, v17, v34
	v_cndmask_b32_e64 v13, v12, v42, s[24:25]
	v_cndmask_b32_e64 v16, v12, v43, s[26:27]
	v_max3_f32 v11, v11, v13, v16
	v_or_b32_e32 v13, 34, v10
	v_or_b32_e32 v16, 35, v10
	v_cmp_gt_i32_e64 s[28:29], s7, v13
	v_cmp_gt_i32_e64 s[30:31], s7, v16
	s_nop 0
	v_cndmask_b32_e64 v13, v12, v38, s[28:29]
	v_cndmask_b32_e64 v16, v12, v39, s[30:31]
	v_max3_f32 v11, v11, v13, v16
	v_or_b32_e32 v13, 48, v10
	v_or_b32_e32 v16, 49, v10
	v_cmp_gt_i32_e64 s[34:35], s7, v13
	v_cmp_gt_i32_e64 s[36:37], s7, v16
	s_nop 0
	v_cndmask_b32_e64 v13, v12, v36, s[34:35]
	v_cndmask_b32_e64 v16, v12, v37, s[36:37]
	v_max3_f32 v11, v11, v13, v16
	v_or_b32_e32 v13, 50, v10
	v_or_b32_e32 v10, 51, v10
	v_cmp_gt_i32_e32 vcc, s7, v13
	v_cmp_gt_i32_e64 s[4:5], s7, v10
	s_nop 0
	v_cndmask_b32_e32 v13, v12, v34, vcc
	v_cndmask_b32_e64 v10, v12, v35, s[4:5]
	v_max3_f32 v16, v11, v13, v10
	v_mbcnt_lo_u32_b32 v10, -1, 0
	v_mbcnt_hi_u32_b32 v17, -1, v10
	v_and_b32_e32 v10, 64, v17
	v_add_u32_e32 v18, 64, v10
	v_xor_b32_e32 v10, 32, v17
	v_cmp_lt_i32_e64 s[38:39], v10, v18
	s_nop 1
	v_cndmask_b32_e64 v10, v17, v10, s[38:39]
	v_lshlrev_b32_e32 v52, 2, v10
	ds_bpermute_b32 v19, v52, v16
	v_lshl_add_u64 v[10:11], v[46:47], 0, v[58:59]
	v_mad_i64_i32 v[12:13], s[38:39], v68, s45, v[10:11]
	s_waitcnt lgkmcnt(0)
	v_max_f32_e32 v19, v19, v19
	v_max_f32_e32 v19, v16, v19
	v_xor_b32_e32 v16, 16, v17
	v_cmp_lt_i32_e64 s[38:39], v16, v18
	s_nop 1
	v_cndmask_b32_e64 v16, v17, v16, s[38:39]
	v_lshlrev_b32_e32 v53, 2, v16
	ds_bpermute_b32 v18, v53, v19
	v_mad_i64_i32 v[16:17], s[38:39], v66, s45, v[10:11]
	v_mad_i64_i32 v[44:45], s[38:39], v67, s45, v[10:11]
	s_waitcnt lgkmcnt(0)
	v_max_f32_e32 v18, v18, v18
	v_max_f32_e32 v50, v19, v18
	v_sub_f32_e32 v14, v14, v50
	v_sub_f32_e32 v15, v15, v50
	v_mul_f32_e32 v14, 0x3fb8aa3b, v14
	v_mul_f32_e32 v15, 0x3fb8aa3b, v15
	v_exp_f32_e32 v14, v14
	v_exp_f32_e32 v15, v15
	v_sub_f32_e32 v58, v31, v50
	global_load_dwordx4 v[30:33], v[12:13], off
	global_load_dwordx4 v[18:21], v[16:17], off
	v_sub_f32_e32 v12, v51, v50
	v_mad_i64_i32 v[10:11], s[38:39], v65, s45, v[10:11]
	v_mul_f32_e32 v12, 0x3fb8aa3b, v12
	v_cndmask_b32_e64 v46, 0, v14, s[8:9]
	v_cndmask_b32_e64 v47, 0, v15, s[10:11]
	v_exp_f32_e32 v51, v12
	global_load_dwordx4 v[14:17], v[44:45], off
	s_nop 0
	global_load_dwordx4 v[10:13], v[10:11], off
	v_sub_f32_e32 v45, v48, v50
	v_sub_f32_e32 v48, v49, v50
	;; [unrolled: 1-line block ×4, first 2 shown]
	v_mul_f32_e32 v44, 0x3fb8aa3b, v58
	v_mul_f32_e32 v45, 0x3fb8aa3b, v45
	;; [unrolled: 1-line block ×5, first 2 shown]
	v_exp_f32_e32 v44, v44
	v_exp_f32_e32 v45, v45
	;; [unrolled: 1-line block ×3, first 2 shown]
	v_cndmask_b32_e64 v48, 0, v51, s[12:13]
	v_exp_f32_e32 v40, v40
	v_exp_f32_e32 v51, v42
	v_sub_f32_e32 v42, v43, v50
	v_mul_f32_e32 v42, 0x3fb8aa3b, v42
	v_cndmask_b32_e64 v49, 0, v44, s[14:15]
	v_cndmask_b32_e64 v44, 0, v45, s[16:17]
	;; [unrolled: 1-line block ×3, first 2 shown]
	v_sub_f32_e32 v41, v41, v50
	v_exp_f32_e32 v58, v42
	v_cndmask_b32_e64 v42, 0, v40, s[20:21]
	v_cndmask_b32_e64 v40, 0, v51, s[24:25]
	v_add_f32_e32 v51, 0, v46
	v_mul_f32_e32 v41, 0x3fb8aa3b, v41
	v_add_f32_e32 v51, v51, v47
	v_exp_f32_e32 v41, v41
	v_add_f32_e32 v51, v51, v48
	v_sub_f32_e32 v38, v38, v50
	v_add_f32_e32 v51, v51, v49
	v_sub_f32_e32 v39, v39, v50
	v_mul_f32_e32 v38, 0x3fb8aa3b, v38
	v_add_f32_e32 v51, v51, v44
	v_exp_f32_e32 v38, v38
	v_mul_f32_e32 v39, 0x3fb8aa3b, v39
	v_sub_f32_e32 v36, v36, v50
	v_add_f32_e32 v51, v51, v45
	v_cndmask_b32_e64 v43, 0, v41, s[22:23]
	v_exp_f32_e32 v39, v39
	v_mul_f32_e32 v36, 0x3fb8aa3b, v36
	v_sub_f32_e32 v37, v37, v50
	v_add_f32_e32 v51, v51, v42
	v_exp_f32_e32 v36, v36
	v_mul_f32_e32 v37, 0x3fb8aa3b, v37
	v_add_f32_e32 v51, v51, v43
	v_sub_f32_e32 v34, v34, v50
	v_cndmask_b32_e64 v41, 0, v58, s[26:27]
	v_exp_f32_e32 v37, v37
	v_add_f32_e32 v51, v51, v40
	v_mul_f32_e32 v34, 0x3fb8aa3b, v34
	v_sub_f32_e32 v35, v35, v50
	v_cndmask_b32_e64 v38, 0, v38, s[28:29]
	v_add_f32_e32 v51, v51, v41
	v_exp_f32_e32 v34, v34
	v_mul_f32_e32 v35, 0x3fb8aa3b, v35
	v_cndmask_b32_e64 v39, 0, v39, s[30:31]
	v_add_f32_e32 v51, v51, v38
	v_exp_f32_e32 v35, v35
	v_cndmask_b32_e64 v36, 0, v36, s[34:35]
	v_add_f32_e32 v51, v51, v39
	v_cndmask_b32_e64 v37, 0, v37, s[36:37]
	v_add_f32_e32 v51, v51, v36
	v_add_f32_e32 v51, v51, v37
	v_cndmask_b32_e32 v34, 0, v34, vcc
	v_add_f32_e32 v51, v51, v34
	v_cndmask_b32_e64 v35, 0, v35, s[4:5]
	v_add_f32_e32 v51, v51, v35
	ds_bpermute_b32 v52, v52, v51
	v_cmp_gt_u32_e32 vcc, 16, v55
	s_waitcnt lgkmcnt(0)
	s_barrier
	v_add_f32_e32 v51, v51, v52
	ds_bpermute_b32 v52, v53, v51
	s_and_saveexec_b64 s[4:5], vcc
	s_cbranch_execz .LBB1382_15
; %bb.14:
	s_waitcnt lgkmcnt(0)
	v_add_f32_e32 v51, v51, v52
	v_lshlrev_b32_e32 v52, 2, v64
	ds_write2st64_b32 v52, v50, v51 offset1:1
.LBB1382_15:
	s_or_b64 exec, exec, s[4:5]
	v_lshlrev_b32_e32 v51, 2, v56
	s_load_dword s7, s[0:1], 0x94
	s_waitcnt lgkmcnt(0)
	s_barrier
	ds_read2_b32 v[52:53], v51 offset1:16
	ds_read2_b32 v[58:59], v51 offset0:32 offset1:48
	ds_read2_b32 v[60:61], v51 offset0:64 offset1:80
	s_movk_i32 s9, 0x7fff
	s_mul_i32 s8, s44, 15
	s_waitcnt lgkmcnt(2)
	v_max3_f32 v50, v52, s40, v53
	s_waitcnt lgkmcnt(1)
	v_max3_f32 v50, v50, v58, v59
	v_sub_f32_e32 v52, v52, v50
	v_mul_f32_e32 v52, 0x3fb8aa3b, v52
	v_exp_f32_e32 v55, v52
	v_sub_f32_e32 v52, v53, v50
	v_mul_f32_e32 v52, 0x3fb8aa3b, v52
	v_exp_f32_e32 v63, v52
	;; [unrolled: 3-line block ×3, first 2 shown]
	ds_read2_b32 v[52:53], v51 offset0:96 offset1:112
	v_sub_f32_e32 v51, v59, v50
	v_mul_f32_e32 v51, 0x3fb8aa3b, v51
	v_exp_f32_e32 v59, v51
	s_waitcnt lgkmcnt(1)
	v_fma_f32 v51, v55, v60, 0
	v_fmac_f32_e32 v51, v63, v61
	s_waitcnt lgkmcnt(0)
	v_fmac_f32_e32 v51, v58, v52
	v_fmac_f32_e32 v51, v59, v53
	v_add_f32_e32 v52, 0x358637bd, v51
	v_div_scale_f32 v53, s[4:5], v52, v52, 1.0
	v_rcp_f32_e32 v60, v53
	s_barrier
	v_fma_f32 v61, -v53, v60, 1.0
	v_fmac_f32_e32 v60, v61, v60
	v_div_scale_f32 v61, vcc, 1.0, v52, 1.0
	v_mul_f32_e32 v64, v61, v60
	v_fma_f32 v65, -v53, v64, v61
	v_fmac_f32_e32 v64, v65, v60
	v_fma_f32 v53, -v53, v64, v61
	v_div_fmas_f32 v53, v53, v60, v64
	v_cmp_eq_u32_e32 vcc, 1, v57
	v_div_fixup_f32 v52, v53, v52, 1.0
	s_nop 0
	v_cndmask_b32_e32 v53, v55, v63, vcc
	v_cmp_eq_u32_e32 vcc, 2, v57
	s_nop 1
	v_cndmask_b32_e32 v53, v53, v58, vcc
	v_cmp_eq_u32_e32 vcc, 3, v57
	s_nop 1
	v_cndmask_b32_e32 v53, v53, v59, vcc
	v_mul_f32_e32 v52, v53, v52
	v_pk_mul_f32 v[46:47], v[52:53], v[46:47] op_sel_hi:[0,1]
	v_pk_mul_f32 v[48:49], v[52:53], v[48:49] op_sel_hi:[0,1]
	v_bfe_u32 v53, v47, 16, 1
	v_bfe_u32 v55, v46, 16, 1
	v_add3_u32 v46, v46, v55, s9
	v_add3_u32 v47, v47, v53, s9
	v_perm_b32 v58, v47, v46, s33
	v_bfe_u32 v46, v49, 16, 1
	v_bfe_u32 v47, v48, 16, 1
	v_add3_u32 v47, v48, v47, s9
	v_add3_u32 v46, v49, v46, s9
	v_perm_b32 v59, v46, v47, s33
	v_lshlrev_b32_e32 v47, 3, v62
	v_lshlrev_b32_e32 v46, 5, v56
	;; [unrolled: 1-line block ×3, first 2 shown]
	v_pk_mul_f32 v[44:45], v[52:53], v[44:45] op_sel_hi:[0,1]
	v_or3_b32 v55, v48, v46, v47
	v_bfe_u32 v47, v45, 16, 1
	v_bfe_u32 v48, v44, 16, 1
	v_pk_mul_f32 v[42:43], v[52:53], v[42:43] op_sel_hi:[0,1]
	v_add3_u32 v44, v44, v48, s9
	v_add3_u32 v45, v45, v47, s9
	v_perm_b32 v44, v45, v44, s33
	v_bfe_u32 v45, v43, 16, 1
	v_bfe_u32 v47, v42, 16, 1
	v_add3_u32 v42, v42, v47, s9
	v_add3_u32 v43, v43, v45, s9
	v_pk_mul_f32 v[40:41], v[52:53], v[40:41] op_sel_hi:[0,1]
	v_perm_b32 v45, v43, v42, s33
	v_bfe_u32 v42, v41, 16, 1
	v_bfe_u32 v43, v40, 16, 1
	v_pk_mul_f32 v[38:39], v[52:53], v[38:39] op_sel_hi:[0,1]
	v_add3_u32 v40, v40, v43, s9
	v_add3_u32 v41, v41, v42, s9
	v_perm_b32 v40, v41, v40, s33
	v_bfe_u32 v41, v39, 16, 1
	v_bfe_u32 v42, v38, 16, 1
	v_add3_u32 v38, v38, v42, s9
	v_add3_u32 v39, v39, v41, s9
	v_pk_mul_f32 v[36:37], v[52:53], v[36:37] op_sel_hi:[0,1]
	v_perm_b32 v41, v39, v38, s33
	v_bfe_u32 v38, v37, 16, 1
	v_bfe_u32 v39, v36, 16, 1
	v_pk_mul_f32 v[34:35], v[52:53], v[34:35] op_sel_hi:[0,1]
	v_add3_u32 v36, v36, v39, s9
	v_add3_u32 v37, v37, v38, s9
	v_perm_b32 v36, v37, v36, s33
	v_bfe_u32 v37, v35, 16, 1
	v_bfe_u32 v38, v34, 16, 1
	v_add3_u32 v34, v34, v38, s9
	v_add3_u32 v35, v35, v37, s9
	v_perm_b32 v37, v35, v34, s33
	v_cmp_gt_u32_e32 vcc, 15, v0
	ds_write2st64_b64 v55, v[58:59], v[44:45] offset1:1
	ds_write2st64_b64 v55, v[40:41], v[36:37] offset0:2 offset1:3
	s_and_saveexec_b64 s[4:5], vcc
	s_cbranch_execz .LBB1382_17
; %bb.16:
	s_mov_b32 s49, 0
	v_mov_b32_e32 v57, 0
	v_lshl_add_u64 v[34:35], s[48:49], 0, v[56:57]
	v_mov_b32_e32 v36, s8
	v_mad_u64_u32 v[34:35], s[10:11], s2, v36, v[34:35]
	s_mul_i32 s3, s3, s8
	v_mov_b32_e32 v36, s6
	v_mov_b32_e32 v37, v57
	s_load_dwordx4 s[12:15], s[0:1], 0x58
	v_add_u32_e32 v38, s3, v35
	v_mad_u64_u32 v[34:35], s[10:11], v34, s7, v[36:37]
	v_mov_b32_e32 v36, v35
	v_mad_u64_u32 v[36:37], s[10:11], v38, s7, v[36:37]
	v_mov_b32_e32 v35, v36
	v_lshlrev_b64 v[34:35], 2, v[34:35]
	s_waitcnt lgkmcnt(0)
	v_lshl_add_u64 v[36:37], s[14:15], 0, v[34:35]
	v_lshl_add_u64 v[34:35], s[12:13], 0, v[34:35]
	global_store_dword v[36:37], v50, off
	global_store_dword v[34:35], v51, off
.LBB1382_17:
	s_or_b64 exec, exec, s[4:5]
	s_waitcnt vmcnt(7)
	v_cvt_pk_f32_fp8_e32 v[34:35], v6
	v_cvt_pk_f32_fp8_sdwa v[36:37], v6 src0_sel:WORD_1
	v_lshl_or_b32 v50, v62, 9, v46
	s_mov_b32 s5, 0x7060302
	s_waitcnt lgkmcnt(0)
	s_barrier
	v_cvt_pk_f32_fp8_e32 v[38:39], v7
	v_perm_b32 v6, v35, v34, s5
	v_cvt_pk_f32_fp8_sdwa v[40:41], v7 src0_sel:WORD_1
	v_perm_b32 v7, v37, v36, s5
	ds_read_b128 v[34:37], v50
	v_perm_b32 v46, v39, v38, s5
	v_perm_b32 v47, v41, v40, s5
	ds_read_b128 v[38:41], v50 offset:16
	v_cvt_pk_f32_fp8_e32 v[48:49], v8
	v_cvt_pk_f32_fp8_sdwa v[52:53], v8 src0_sel:WORD_1
	s_waitcnt lgkmcnt(1)
	v_mfma_f32_16x16x16_bf16 v[42:45], v[6:7], v[34:35], 0
	s_waitcnt vmcnt(6)
	v_cvt_pk_f32_fp8_e32 v[58:59], v4
	v_perm_b32 v6, v49, v48, s5
	v_perm_b32 v7, v53, v52, s5
	v_cvt_pk_f32_fp8_e32 v[48:49], v9
	v_mfma_f32_16x16x16_bf16 v[42:45], v[46:47], v[36:37], v[42:45]
	v_cvt_pk_f32_fp8_sdwa v[46:47], v9 src0_sel:WORD_1
	v_cvt_pk_f32_fp8_sdwa v[60:61], v4 src0_sel:WORD_1
	v_perm_b32 v48, v49, v48, s5
	s_waitcnt lgkmcnt(0)
	v_mfma_f32_16x16x16_bf16 v[6:9], v[6:7], v[38:39], v[42:45]
	v_perm_b32 v49, v47, v46, s5
	s_waitcnt vmcnt(5)
	v_cvt_pk_f32_fp8_e32 v[64:65], v28
	v_cvt_pk_f32_fp8_sdwa v[66:67], v28 src0_sel:WORD_1
	v_cvt_pk_f32_fp8_e32 v[42:43], v2
	v_mfma_f32_16x16x16_bf16 v[46:49], v[48:49], v[40:41], v[6:9]
	s_waitcnt vmcnt(4)
	v_cvt_pk_f32_fp8_sdwa v[68:69], v24 src0_sel:WORD_1
	s_load_dword s4, s[42:43], 0x0
	v_cvt_pk_f32_fp8_sdwa v[6:7], v2 src0_sel:WORD_1
	v_cvt_pk_f32_fp8_e32 v[8:9], v3
	v_perm_b32 v2, v43, v42, s5
	v_cvt_pk_f32_fp8_sdwa v[42:43], v3 src0_sel:WORD_1
	v_perm_b32 v3, v7, v6, s5
	v_perm_b32 v52, v9, v8, s5
	ds_read_b128 v[6:9], v50 offset:2048
	v_perm_b32 v53, v43, v42, s5
	ds_read_b128 v[42:45], v50 offset:2064
	s_waitcnt lgkmcnt(0)
	v_mfma_f32_16x16x16_bf16 v[46:49], v[2:3], v[6:7], v[46:49]
	v_perm_b32 v2, v59, v58, s5
	v_perm_b32 v3, v61, v60, s5
	v_cvt_pk_f32_fp8_e32 v[58:59], v5
	v_mfma_f32_16x16x16_bf16 v[46:49], v[52:53], v[8:9], v[46:49]
	v_cvt_pk_f32_fp8_sdwa v[52:53], v5 src0_sel:WORD_1
	s_waitcnt vmcnt(3)
	v_cvt_pk_f32_fp8_sdwa v[70:71], v32 src0_sel:WORD_1
	v_perm_b32 v58, v59, v58, s5
	v_mfma_f32_16x16x16_bf16 v[2:5], v[2:3], v[42:43], v[46:49]
	v_perm_b32 v59, v53, v52, s5
	s_mov_b32 s3, 0
	v_cmp_gt_u32_e32 vcc, 64, v0
	v_cvt_pk_f32_fp8_e32 v[46:47], v26
	v_mfma_f32_16x16x16_bf16 v[58:61], v[58:59], v[44:45], v[2:5]
	s_nop 2
	v_cvt_pk_f32_fp8_sdwa v[2:3], v26 src0_sel:WORD_1
	v_cvt_pk_f32_fp8_e32 v[4:5], v27
	v_perm_b32 v26, v47, v46, s5
	v_cvt_pk_f32_fp8_sdwa v[46:47], v27 src0_sel:WORD_1
	v_perm_b32 v27, v3, v2, s5
	v_perm_b32 v52, v5, v4, s5
	ds_read_b128 v[2:5], v50 offset:4096
	v_perm_b32 v53, v47, v46, s5
	ds_read_b128 v[46:49], v50 offset:4112
	s_waitcnt lgkmcnt(1)
	v_mfma_f32_16x16x16_bf16 v[58:61], v[26:27], v[2:3], v[58:61]
	v_perm_b32 v26, v65, v64, s5
	v_perm_b32 v27, v67, v66, s5
	v_cvt_pk_f32_fp8_e32 v[64:65], v29
	v_mfma_f32_16x16x16_bf16 v[58:61], v[52:53], v[4:5], v[58:61]
	v_cvt_pk_f32_fp8_sdwa v[52:53], v29 src0_sel:WORD_1
	v_cvt_pk_f32_fp8_e32 v[66:67], v24
	v_perm_b32 v64, v65, v64, s5
	s_waitcnt lgkmcnt(0)
	v_mfma_f32_16x16x16_bf16 v[26:29], v[26:27], v[46:47], v[58:61]
	v_perm_b32 v65, v53, v52, s5
	v_cvt_pk_f32_fp8_e32 v[52:53], v22
	s_nop 0
	v_mfma_f32_16x16x16_bf16 v[58:61], v[64:65], v[48:49], v[26:29]
	s_nop 2
	v_cvt_pk_f32_fp8_sdwa v[26:27], v22 src0_sel:WORD_1
	v_cvt_pk_f32_fp8_e32 v[28:29], v23
	v_perm_b32 v22, v53, v52, s5
	v_cvt_pk_f32_fp8_sdwa v[52:53], v23 src0_sel:WORD_1
	v_perm_b32 v23, v27, v26, s5
	v_perm_b32 v64, v29, v28, s5
	ds_read_b128 v[26:29], v50 offset:6144
	v_perm_b32 v65, v53, v52, s5
	s_waitcnt lgkmcnt(0)
	v_mfma_f32_16x16x16_bf16 v[58:61], v[22:23], v[26:27], v[58:61]
	ds_read_b128 v[50:53], v50 offset:6160
	v_perm_b32 v22, v67, v66, s5
	v_perm_b32 v23, v69, v68, s5
	v_cvt_pk_f32_fp8_e32 v[66:67], v25
	v_mfma_f32_16x16x16_bf16 v[58:61], v[64:65], v[28:29], v[58:61]
	v_cvt_pk_f32_fp8_sdwa v[64:65], v25 src0_sel:WORD_1
	v_cvt_pk_f32_fp8_e32 v[68:69], v32
	v_perm_b32 v66, v67, v66, s5
	s_waitcnt lgkmcnt(0)
	v_mfma_f32_16x16x16_bf16 v[22:25], v[22:23], v[50:51], v[58:61]
	v_perm_b32 v67, v65, v64, s5
	s_barrier
	s_nop 0
	v_mfma_f32_16x16x16_bf16 v[58:61], v[66:67], v[52:53], v[22:25]
	s_nop 2
	v_cvt_pk_f32_fp8_e32 v[24:25], v30
	v_perm_b32 v24, v25, v24, s5
	s_nop 1
	v_pk_mul_f32 v[22:23], v[60:61], s[4:5] op_sel_hi:[1,0]
	v_cvt_pk_f32_fp8_sdwa v[60:61], v30 src0_sel:WORD_1
	v_pk_mul_f32 v[64:65], v[58:59], s[4:5] op_sel_hi:[1,0]
	v_cvt_pk_f32_fp8_e32 v[58:59], v31
	v_cvt_pk_f32_fp8_sdwa v[30:31], v31 src0_sel:WORD_1
	v_perm_b32 v25, v61, v60, s5
	v_bfe_u32 v57, v65, 16, 1
	v_perm_b32 v66, v59, v58, s5
	v_perm_b32 v67, v31, v30, s5
	v_mfma_f32_16x16x16_bf16 v[58:61], v[24:25], v[34:35], 0
	v_perm_b32 v24, v69, v68, s5
	v_perm_b32 v25, v71, v70, s5
	v_cvt_pk_f32_fp8_e32 v[34:35], v33
	v_cvt_pk_f32_fp8_sdwa v[68:69], v33 src0_sel:WORD_1
	v_mfma_f32_16x16x16_bf16 v[30:33], v[66:67], v[36:37], v[58:61]
	s_waitcnt vmcnt(2)
	v_cvt_pk_f32_fp8_sdwa v[36:37], v18 src0_sel:WORD_1
	v_perm_b32 v34, v35, v34, s5
	v_perm_b32 v35, v69, v68, s5
	v_mfma_f32_16x16x16_bf16 v[30:33], v[24:25], v[38:39], v[30:33]
	v_cvt_pk_f32_fp8_e32 v[24:25], v18
	v_cvt_pk_f32_fp8_sdwa v[38:39], v20 src0_sel:WORD_1
	v_bfe_u32 v58, v64, 16, 1
	v_mfma_f32_16x16x16_bf16 v[30:33], v[34:35], v[40:41], v[30:33]
	v_cvt_pk_f32_fp8_e32 v[34:35], v19
	v_perm_b32 v24, v25, v24, s5
	v_perm_b32 v25, v37, v36, s5
	v_cvt_pk_f32_fp8_sdwa v[18:19], v19 src0_sel:WORD_1
	v_perm_b32 v34, v35, v34, s5
	v_cvt_pk_f32_fp8_e32 v[36:37], v20
	v_mfma_f32_16x16x16_bf16 v[30:33], v[24:25], v[6:7], v[30:33]
	v_perm_b32 v35, v19, v18, s5
	v_perm_b32 v18, v37, v36, s5
	;; [unrolled: 1-line block ×3, first 2 shown]
	v_cvt_pk_f32_fp8_e32 v[24:25], v21
	v_cvt_pk_f32_fp8_sdwa v[20:21], v21 src0_sel:WORD_1
	v_mfma_f32_16x16x16_bf16 v[6:9], v[34:35], v[8:9], v[30:33]
	v_perm_b32 v24, v25, v24, s5
	v_perm_b32 v25, v21, v20, s5
	v_mfma_f32_16x16x16_bf16 v[6:9], v[18:19], v[42:43], v[6:9]
	s_waitcnt vmcnt(1)
	v_cvt_pk_f32_fp8_e32 v[18:19], v14
	v_cvt_pk_f32_fp8_sdwa v[20:21], v14 src0_sel:WORD_1
	v_cvt_pk_f32_fp8_sdwa v[30:31], v16 src0_sel:WORD_1
	v_mfma_f32_16x16x16_bf16 v[6:9], v[24:25], v[44:45], v[6:9]
	v_cvt_pk_f32_fp8_e32 v[24:25], v15
	v_perm_b32 v18, v19, v18, s5
	v_perm_b32 v19, v21, v20, s5
	v_cvt_pk_f32_fp8_sdwa v[14:15], v15 src0_sel:WORD_1
	v_perm_b32 v20, v25, v24, s5
	v_cvt_pk_f32_fp8_e32 v[24:25], v16
	v_mfma_f32_16x16x16_bf16 v[6:9], v[18:19], v[2:3], v[6:9]
	v_perm_b32 v21, v15, v14, s5
	v_perm_b32 v14, v25, v24, s5
	;; [unrolled: 1-line block ×3, first 2 shown]
	v_cvt_pk_f32_fp8_e32 v[18:19], v17
	v_cvt_pk_f32_fp8_sdwa v[16:17], v17 src0_sel:WORD_1
	v_mfma_f32_16x16x16_bf16 v[2:5], v[20:21], v[4:5], v[6:9]
	v_add3_u32 v32, v64, v58, s9
	v_add3_u32 v33, v65, v57, s9
	s_nop 0
	v_perm_b32 v8, v19, v18, s5
	v_perm_b32 v9, v17, v16, s5
	v_mfma_f32_16x16x16_bf16 v[2:5], v[14:15], v[46:47], v[2:5]
	s_waitcnt vmcnt(0)
	v_cvt_pk_f32_fp8_e32 v[14:15], v10
	v_cvt_pk_f32_fp8_sdwa v[16:17], v10 src0_sel:WORD_1
	v_cvt_pk_f32_fp8_sdwa v[18:19], v12 src0_sel:WORD_1
	v_mfma_f32_16x16x16_bf16 v[2:5], v[8:9], v[48:49], v[2:5]
	v_cvt_pk_f32_fp8_e32 v[8:9], v11
	v_perm_b32 v14, v15, v14, s5
	v_perm_b32 v15, v17, v16, s5
	v_cvt_pk_f32_fp8_sdwa v[10:11], v11 src0_sel:WORD_1
	v_perm_b32 v8, v9, v8, s5
	v_cvt_pk_f32_fp8_e32 v[16:17], v12
	v_mfma_f32_16x16x16_bf16 v[2:5], v[14:15], v[26:27], v[2:5]
	v_perm_b32 v9, v11, v10, s5
	v_perm_b32 v10, v17, v16, s5
	;; [unrolled: 1-line block ×3, first 2 shown]
	v_cvt_pk_f32_fp8_e32 v[14:15], v13
	v_cvt_pk_f32_fp8_sdwa v[12:13], v13 src0_sel:WORD_1
	v_mfma_f32_16x16x16_bf16 v[2:5], v[8:9], v[28:29], v[2:5]
	v_bfe_u32 v7, v23, 16, 1
	v_perm_b32 v8, v15, v14, s5
	v_perm_b32 v9, v13, v12, s5
	v_mfma_f32_16x16x16_bf16 v[2:5], v[10:11], v[50:51], v[2:5]
	v_bfe_u32 v16, v22, 16, 1
	v_add3_u32 v10, v22, v16, s9
	v_add3_u32 v7, v23, v7, s9
	v_mfma_f32_16x16x16_bf16 v[2:5], v[8:9], v[52:53], v[2:5]
	v_perm_b32 v6, v33, v32, s5
	v_perm_b32 v7, v7, v10, s5
	s_nop 4
	v_pk_mul_f32 v[2:3], v[2:3], s[4:5] op_sel_hi:[1,0]
	v_pk_mul_f32 v[4:5], v[4:5], s[4:5] op_sel_hi:[1,0]
	v_bfe_u32 v8, v3, 16, 1
	v_bfe_u32 v9, v2, 16, 1
	v_add3_u32 v2, v2, v9, s9
	v_add3_u32 v3, v3, v8, s9
	v_perm_b32 v2, v3, v2, s5
	v_bfe_u32 v3, v5, 16, 1
	v_bfe_u32 v8, v4, 16, 1
	v_add3_u32 v4, v4, v8, s9
	v_add3_u32 v3, v5, v3, s9
	v_perm_b32 v3, v3, v4, s5
	ds_write2st64_b64 v55, v[6:7], v[2:3] offset1:1
	s_waitcnt lgkmcnt(0)
	s_barrier
	s_and_saveexec_b64 s[4:5], vcc
	s_cbranch_execz .LBB1382_20
; %bb.18:
	s_load_dwordx2 s[4:5], s[0:1], 0x68
	s_lshl_b32 s0, s7, 7
	s_mul_i32 s1, s8, s2
	v_lshlrev_b32_e32 v3, 6, v56
	s_mul_hi_u32 s9, s1, s0
	s_mul_i32 s8, s1, s0
	v_lshl_or_b32 v0, v0, 10, v3
	s_lshl_b64 s[8:9], s[8:9], 1
	v_lshlrev_b32_e32 v2, 5, v62
	v_and_b32_e32 v1, 16, v1
	v_and_b32_e32 v0, 0x1a00, v0
	s_waitcnt lgkmcnt(0)
	s_add_u32 s1, s4, s8
	v_or3_b32 v2, v0, v2, v1
	s_addc_u32 s4, s5, s9
	s_lshl_b32 s2, s6, 7
	ds_read_b128 v[4:7], v2 offset:256
	s_lshl_b64 s[2:3], s[2:3], 1
	ds_read_b128 v[8:11], v2 offset:128
	ds_read_b128 v[12:15], v2
	s_add_u32 s2, s1, s2
	s_addc_u32 s3, s4, s3
	v_mov_b32_e32 v55, 0
	v_add_u32_e32 v3, s48, v62
	v_lshl_add_u64 v[0:1], s[2:3], 0, v[54:55]
	v_mad_u64_u32 v[16:17], s[2:3], v3, s0, 0
	v_lshl_add_u64 v[16:17], v[16:17], 1, v[0:1]
	s_waitcnt lgkmcnt(0)
	global_store_dwordx4 v[16:17], v[12:15], off
	v_cmp_ne_u32_e32 vcc, 3, v62
	s_nop 0
	v_add_u32_e32 v12, 4, v3
	v_mad_u64_u32 v[12:13], s[2:3], v12, s0, 0
	v_lshl_add_u64 v[12:13], v[12:13], 1, v[0:1]
	v_add_u32_e32 v3, 8, v3
	global_store_dwordx4 v[12:13], v[8:11], off
	s_nop 1
	v_mad_u64_u32 v[8:9], s[2:3], v3, s0, 0
	v_lshl_add_u64 v[8:9], v[8:9], 1, v[0:1]
	global_store_dwordx4 v[8:9], v[4:7], off
	s_and_b64 exec, exec, vcc
	s_cbranch_execz .LBB1382_20
; %bb.19:
	ds_read_b128 v[2:5], v2 offset:384
	v_add3_u32 v6, s48, v62, 12
	v_mad_u64_u32 v[6:7], s[0:1], v6, s0, 0
	v_lshl_add_u64 v[0:1], v[6:7], 1, v[0:1]
	s_waitcnt lgkmcnt(0)
	global_store_dwordx4 v[0:1], v[2:5], off
.LBB1382_20:
	s_endpgm
	.section	.rodata,"a",@progbits
	.p2align	6, 0x0
	.amdhsa_kernel _Z39paged_attention_ll4mi_QKV_mfma16_kernelI14__hip_bfloat16hLN4vllm18Fp8KVCacheDataTypeE1ES0_Li32ELi128ELi256ELb1ELi15EEvPKT_PKT0_S8_ifPKiSA_SA_iPKfiiiPfSD_PS3_PT2_iSC_SC_
		.amdhsa_group_segment_fixed_size 8192
		.amdhsa_private_segment_fixed_size 0
		.amdhsa_kernarg_size 400
		.amdhsa_user_sgpr_count 2
		.amdhsa_user_sgpr_dispatch_ptr 0
		.amdhsa_user_sgpr_queue_ptr 0
		.amdhsa_user_sgpr_kernarg_segment_ptr 1
		.amdhsa_user_sgpr_dispatch_id 0
		.amdhsa_user_sgpr_kernarg_preload_length 0
		.amdhsa_user_sgpr_kernarg_preload_offset 0
		.amdhsa_user_sgpr_private_segment_size 0
		.amdhsa_uses_dynamic_stack 0
		.amdhsa_enable_private_segment 0
		.amdhsa_system_sgpr_workgroup_id_x 1
		.amdhsa_system_sgpr_workgroup_id_y 1
		.amdhsa_system_sgpr_workgroup_id_z 1
		.amdhsa_system_sgpr_workgroup_info 0
		.amdhsa_system_vgpr_workitem_id 0
		.amdhsa_next_free_vgpr 78
		.amdhsa_next_free_sgpr 50
		.amdhsa_accum_offset 80
		.amdhsa_reserve_vcc 1
		.amdhsa_float_round_mode_32 0
		.amdhsa_float_round_mode_16_64 0
		.amdhsa_float_denorm_mode_32 3
		.amdhsa_float_denorm_mode_16_64 3
		.amdhsa_dx10_clamp 1
		.amdhsa_ieee_mode 1
		.amdhsa_fp16_overflow 0
		.amdhsa_tg_split 0
		.amdhsa_exception_fp_ieee_invalid_op 0
		.amdhsa_exception_fp_denorm_src 0
		.amdhsa_exception_fp_ieee_div_zero 0
		.amdhsa_exception_fp_ieee_overflow 0
		.amdhsa_exception_fp_ieee_underflow 0
		.amdhsa_exception_fp_ieee_inexact 0
		.amdhsa_exception_int_div_zero 0
	.end_amdhsa_kernel
	.section	.text._Z39paged_attention_ll4mi_QKV_mfma16_kernelI14__hip_bfloat16hLN4vllm18Fp8KVCacheDataTypeE1ES0_Li32ELi128ELi256ELb1ELi15EEvPKT_PKT0_S8_ifPKiSA_SA_iPKfiiiPfSD_PS3_PT2_iSC_SC_,"axG",@progbits,_Z39paged_attention_ll4mi_QKV_mfma16_kernelI14__hip_bfloat16hLN4vllm18Fp8KVCacheDataTypeE1ES0_Li32ELi128ELi256ELb1ELi15EEvPKT_PKT0_S8_ifPKiSA_SA_iPKfiiiPfSD_PS3_PT2_iSC_SC_,comdat
.Lfunc_end1382:
	.size	_Z39paged_attention_ll4mi_QKV_mfma16_kernelI14__hip_bfloat16hLN4vllm18Fp8KVCacheDataTypeE1ES0_Li32ELi128ELi256ELb1ELi15EEvPKT_PKT0_S8_ifPKiSA_SA_iPKfiiiPfSD_PS3_PT2_iSC_SC_, .Lfunc_end1382-_Z39paged_attention_ll4mi_QKV_mfma16_kernelI14__hip_bfloat16hLN4vllm18Fp8KVCacheDataTypeE1ES0_Li32ELi128ELi256ELb1ELi15EEvPKT_PKT0_S8_ifPKiSA_SA_iPKfiiiPfSD_PS3_PT2_iSC_SC_
                                        ; -- End function
	.section	.AMDGPU.csdata,"",@progbits
; Kernel info:
; codeLenInByte = 6728
; NumSgprs: 56
; NumVgprs: 78
; NumAgprs: 0
; TotalNumVgprs: 78
; ScratchSize: 0
; MemoryBound: 0
; FloatMode: 240
; IeeeMode: 1
; LDSByteSize: 8192 bytes/workgroup (compile time only)
; SGPRBlocks: 6
; VGPRBlocks: 9
; NumSGPRsForWavesPerEU: 56
; NumVGPRsForWavesPerEU: 78
; AccumOffset: 80
; Occupancy: 6
; WaveLimiterHint : 1
; COMPUTE_PGM_RSRC2:SCRATCH_EN: 0
; COMPUTE_PGM_RSRC2:USER_SGPR: 2
; COMPUTE_PGM_RSRC2:TRAP_HANDLER: 0
; COMPUTE_PGM_RSRC2:TGID_X_EN: 1
; COMPUTE_PGM_RSRC2:TGID_Y_EN: 1
; COMPUTE_PGM_RSRC2:TGID_Z_EN: 1
; COMPUTE_PGM_RSRC2:TIDIG_COMP_CNT: 0
; COMPUTE_PGM_RSRC3_GFX90A:ACCUM_OFFSET: 19
; COMPUTE_PGM_RSRC3_GFX90A:TG_SPLIT: 0
	.section	.text._Z39paged_attention_ll4mi_QKV_mfma16_kernelI14__hip_bfloat16hLN4vllm18Fp8KVCacheDataTypeE1ES0_Li32ELi128ELi256ELb1ELi16EEvPKT_PKT0_S8_ifPKiSA_SA_iPKfiiiPfSD_PS3_PT2_iSC_SC_,"axG",@progbits,_Z39paged_attention_ll4mi_QKV_mfma16_kernelI14__hip_bfloat16hLN4vllm18Fp8KVCacheDataTypeE1ES0_Li32ELi128ELi256ELb1ELi16EEvPKT_PKT0_S8_ifPKiSA_SA_iPKfiiiPfSD_PS3_PT2_iSC_SC_,comdat
	.protected	_Z39paged_attention_ll4mi_QKV_mfma16_kernelI14__hip_bfloat16hLN4vllm18Fp8KVCacheDataTypeE1ES0_Li32ELi128ELi256ELb1ELi16EEvPKT_PKT0_S8_ifPKiSA_SA_iPKfiiiPfSD_PS3_PT2_iSC_SC_ ; -- Begin function _Z39paged_attention_ll4mi_QKV_mfma16_kernelI14__hip_bfloat16hLN4vllm18Fp8KVCacheDataTypeE1ES0_Li32ELi128ELi256ELb1ELi16EEvPKT_PKT0_S8_ifPKiSA_SA_iPKfiiiPfSD_PS3_PT2_iSC_SC_
	.globl	_Z39paged_attention_ll4mi_QKV_mfma16_kernelI14__hip_bfloat16hLN4vllm18Fp8KVCacheDataTypeE1ES0_Li32ELi128ELi256ELb1ELi16EEvPKT_PKT0_S8_ifPKiSA_SA_iPKfiiiPfSD_PS3_PT2_iSC_SC_
	.p2align	8
	.type	_Z39paged_attention_ll4mi_QKV_mfma16_kernelI14__hip_bfloat16hLN4vllm18Fp8KVCacheDataTypeE1ES0_Li32ELi128ELi256ELb1ELi16EEvPKT_PKT0_S8_ifPKiSA_SA_iPKfiiiPfSD_PS3_PT2_iSC_SC_,@function
_Z39paged_attention_ll4mi_QKV_mfma16_kernelI14__hip_bfloat16hLN4vllm18Fp8KVCacheDataTypeE1ES0_Li32ELi128ELi256ELb1ELi16EEvPKT_PKT0_S8_ifPKiSA_SA_iPKfiiiPfSD_PS3_PT2_iSC_SC_: ; @_Z39paged_attention_ll4mi_QKV_mfma16_kernelI14__hip_bfloat16hLN4vllm18Fp8KVCacheDataTypeE1ES0_Li32ELi128ELi256ELb1ELi16EEvPKT_PKT0_S8_ifPKiSA_SA_iPKfiiiPfSD_PS3_PT2_iSC_SC_
; %bb.0:
	s_load_dwordx2 s[14:15], s[0:1], 0x30
	s_mov_b32 s33, s3
	s_mov_b64 s[6:7], 0
	s_waitcnt lgkmcnt(0)
	s_cmp_lg_u64 s[14:15], 0
	s_cselect_b64 s[16:17], -1, 0
	s_and_b64 vcc, exec, s[16:17]
	s_cbranch_vccz .LBB1383_7
; %bb.1:
	s_add_i32 s8, s2, 1
	s_mov_b32 s9, 0
	s_lshl_b64 s[10:11], s[8:9], 2
	s_add_u32 s10, s14, s10
	s_mov_b32 s3, s9
	s_addc_u32 s11, s15, s11
	s_lshl_b64 s[8:9], s[2:3], 2
	s_add_u32 s8, s14, s8
	s_addc_u32 s9, s15, s9
	s_load_dword s5, s[10:11], 0x0
	s_load_dword s12, s[8:9], 0x0
	s_waitcnt lgkmcnt(0)
	s_sub_i32 s5, s5, s12
	s_cmp_eq_u32 s5, 1
	s_cselect_b64 s[8:9], -1, 0
	s_andn2_b64 vcc, exec, s[6:7]
	s_cbranch_vccnz .LBB1383_3
.LBB1383_2:
	s_mov_b32 s3, 0
	s_mov_b64 s[8:9], -1
.LBB1383_3:
	s_andn2_b64 vcc, exec, s[8:9]
	s_cbranch_vccnz .LBB1383_17
; %bb.4:
	s_load_dwordx2 s[6:7], s[0:1], 0x28
	s_lshl_b64 s[18:19], s[2:3], 2
	s_waitcnt lgkmcnt(0)
	s_add_u32 s6, s6, s18
	s_addc_u32 s7, s7, s19
	s_load_dword s5, s[6:7], 0x0
	s_lshl_b32 s20, s33, 8
	s_waitcnt lgkmcnt(0)
	s_cmp_ge_i32 s20, s5
	s_cbranch_scc1 .LBB1383_17
; %bb.5:
	s_load_dwordx2 s[6:7], s[0:1], 0x20
	s_load_dword s8, s[0:1], 0x38
	s_add_i32 s9, s5, 31
	s_ashr_i32 s10, s9, 31
	v_and_b32_e32 v1, 0xcf, v0
	s_lshr_b32 s10, s10, 27
	v_add_u32_e32 v1, s20, v1
	s_add_i32 s9, s9, s10
	v_ashrrev_i32_e32 v2, 31, v1
	s_ashr_i32 s21, s9, 5
	v_lshrrev_b32_e32 v10, 27, v2
	s_add_i32 s21, s21, -1
	s_waitcnt lgkmcnt(0)
	s_mul_i32 s8, s2, s8
	s_mov_b32 s9, 0
	v_add_u32_e32 v2, v1, v10
	s_lshl_b64 s[8:9], s[8:9], 2
	v_ashrrev_i32_e32 v2, 5, v2
	v_mov_b32_e32 v11, s21
	v_cmp_gt_i32_e32 vcc, s5, v1
	s_add_u32 s6, s6, s8
	s_addc_u32 s7, s7, s9
	v_cndmask_b32_e32 v2, v11, v2, vcc
	v_ashrrev_i32_e32 v3, 31, v2
	v_lshl_add_u64 v[4:5], v[2:3], 2, s[6:7]
	v_or_b32_e32 v2, 16, v1
	v_add_u32_e32 v3, v2, v10
	v_ashrrev_i32_e32 v3, 5, v3
	v_cmp_gt_i32_e32 vcc, s5, v2
	s_nop 1
	v_cndmask_b32_e32 v2, v11, v3, vcc
	v_ashrrev_i32_e32 v3, 31, v2
	v_lshl_add_u64 v[6:7], v[2:3], 2, s[6:7]
	v_or_b32_e32 v2, 32, v1
	v_add_u32_e32 v3, v2, v10
	v_ashrrev_i32_e32 v3, 5, v3
	v_cmp_gt_i32_e32 vcc, s5, v2
	v_or_b32_e32 v1, 48, v1
	s_nop 0
	v_cndmask_b32_e32 v2, v11, v3, vcc
	v_ashrrev_i32_e32 v3, 31, v2
	v_lshl_add_u64 v[8:9], v[2:3], 2, s[6:7]
	v_add_u32_e32 v2, v1, v10
	v_ashrrev_i32_e32 v2, 5, v2
	v_cmp_gt_i32_e32 vcc, s5, v1
	s_nop 1
	v_cndmask_b32_e32 v2, v11, v2, vcc
	v_ashrrev_i32_e32 v3, 31, v2
	v_lshl_add_u64 v[10:11], v[2:3], 2, s[6:7]
	global_load_dword v2, v[4:5], off
	global_load_dword v28, v[6:7], off
	;; [unrolled: 1-line block ×4, first 2 shown]
	s_load_dwordx2 s[12:13], s[0:1], 0x40
	s_load_dwordx4 s[8:11], s[0:1], 0x8
	s_andn2_b64 vcc, exec, s[16:17]
	s_cbranch_vccnz .LBB1383_8
; %bb.6:
	s_add_u32 s14, s14, s18
	s_addc_u32 s15, s15, s19
	s_load_dword s16, s[14:15], 0x0
	s_branch .LBB1383_9
.LBB1383_7:
	s_mov_b64 s[8:9], 0
	s_branch .LBB1383_2
.LBB1383_8:
	s_mov_b32 s16, s2
.LBB1383_9:
	s_load_dwordx4 s[40:43], s[0:1], 0x48
	v_and_b32_e32 v58, 15, v0
	v_lshlrev_b32_e32 v3, 3, v58
	s_movk_i32 s14, 0x100
	v_lshrrev_b32_e32 v60, 6, v0
	v_and_b32_e32 v61, 63, v0
	v_bfe_u32 v1, v0, 4, 2
	s_lshl_b32 s44, s4, 4
	v_cmp_gt_u32_e32 vcc, s14, v0
	v_lshlrev_b32_e32 v54, 1, v3
	v_lshlrev_b32_e32 v59, 4, v0
	s_and_saveexec_b64 s[14:15], vcc
	s_cbranch_execz .LBB1383_11
; %bb.10:
	s_load_dwordx2 s[18:19], s[0:1], 0x0
	s_waitcnt lgkmcnt(0)
	s_ashr_i32 s17, s40, 31
	s_mul_hi_u32 s22, s16, s40
	s_mul_i32 s17, s16, s17
	s_add_i32 s17, s22, s17
	s_mul_i32 s16, s16, s40
	v_lshl_or_b32 v3, v60, 2, v1
	s_lshl_b64 s[16:17], s[16:17], 1
	s_add_u32 s16, s18, s16
	v_add_lshl_u32 v4, v3, s44, 7
	s_addc_u32 s17, s19, s17
	v_ashrrev_i32_e32 v5, 31, v4
	v_lshl_add_u64 v[4:5], v[4:5], 1, s[16:17]
	v_mov_b32_e32 v55, 0
	v_lshl_add_u64 v[4:5], v[4:5], 0, v[54:55]
	global_load_dwordx4 v[4:7], v[4:5], off
	v_lshlrev_b32_e32 v9, 8, v0
	v_lshlrev_b32_e32 v8, 8, v58
	v_and_b32_e32 v9, 0x600, v9
	s_movk_i32 s16, 0x800
	v_and_or_b32 v8, v8, s16, v9
	v_lshlrev_b32_e32 v3, 5, v3
	v_and_b32_e32 v9, 16, v59
	v_or3_b32 v3, v8, v3, v9
	s_waitcnt vmcnt(0)
	ds_write_b128 v3, v[4:7]
.LBB1383_11:
	s_or_b64 exec, exec, s[14:15]
	s_waitcnt lgkmcnt(0)
	s_mul_i32 s14, s4, s42
	s_add_u32 s8, s8, s14
	s_addc_u32 s9, s9, 0
	v_mov_b32_e32 v53, 0
	v_mov_b64_e32 v[24:25], s[8:9]
	v_and_b32_e32 v4, 48, v0
	s_waitcnt vmcnt(3)
	v_mad_i64_i32 v[2:3], s[8:9], v2, s41, v[24:25]
	v_lshlrev_b32_e32 v22, 4, v58
	v_mov_b32_e32 v23, v53
	v_lshlrev_b32_e32 v52, 5, v4
	v_lshl_add_u64 v[2:3], v[2:3], 0, v[22:23]
	v_lshl_add_u64 v[2:3], v[2:3], 0, v[52:53]
	s_load_dword s40, s[0:1], 0x98
	s_load_dwordx4 s[36:39], s[0:1], 0x80
	s_waitcnt lgkmcnt(0)
	s_barrier
	global_load_dwordx4 v[34:37], v[2:3], off
	global_load_dwordx4 v[18:21], v[2:3], off offset:2048
	v_or_b32_e32 v30, 0x100, v22
	v_mov_b32_e32 v31, v53
	s_waitcnt vmcnt(4)
	v_mad_i64_i32 v[28:29], s[8:9], v28, s41, v[24:25]
	v_lshlrev_b32_e32 v62, 5, v58
	v_lshl_add_u64 v[28:29], v[28:29], 0, v[30:31]
	v_lshl_or_b32 v55, v1, 9, v62
	v_lshl_add_u64 v[28:29], v[28:29], 0, v[52:53]
	v_or_b32_e32 v39, s20, v4
	ds_read_b128 v[14:17], v55
	ds_read_b128 v[2:5], v55 offset:16
	ds_read_b128 v[10:13], v55 offset:2048
	;; [unrolled: 1-line block ×3, first 2 shown]
	global_load_dwordx4 v[46:49], v[28:29], off
	v_or_b32_e32 v50, s44, v58
	v_ashrrev_i32_e32 v51, 31, v50
	v_lshl_add_u64 v[32:33], v[50:51], 2, s[12:13]
	s_ashr_i32 s12, s20, 31
	v_or_b32_e32 v41, 0x80, v39
	v_or_b32_e32 v51, 0xc0, v39
	s_lshr_b32 s12, s12, 27
	global_load_dword v63, v[32:33], off
	s_waitcnt vmcnt(5)
	v_mad_i64_i32 v[32:33], s[8:9], v26, s41, v[24:25]
	s_waitcnt vmcnt(4)
	v_mad_i64_i32 v[24:25], s[8:9], v27, s41, v[24:25]
	v_add_u32_e32 v42, s12, v41
	v_add_u32_e32 v43, s12, v51
	v_lshl_add_u64 v[24:25], v[24:25], 0, v[30:31]
	v_ashrrev_i32_e32 v30, 5, v42
	v_ashrrev_i32_e32 v31, 5, v43
	global_load_dwordx4 v[42:45], v[28:29], off offset:2048
	v_or_b32_e32 v40, 64, v39
	v_add_u32_e32 v26, s12, v39
	v_mov_b32_e32 v38, s21
	v_add_u32_e32 v27, s12, v40
	v_ashrrev_i32_e32 v26, 5, v26
	v_cmp_gt_i32_e32 vcc, s5, v39
	v_ashrrev_i32_e32 v27, 5, v27
	v_lshl_add_u64 v[22:23], v[32:33], 0, v[22:23]
	v_cndmask_b32_e32 v64, v38, v26, vcc
	v_cmp_gt_i32_e32 vcc, s5, v40
	v_lshl_add_u64 v[22:23], v[22:23], 0, v[52:53]
	v_lshl_add_u64 v[24:25], v[24:25], 0, v[52:53]
	v_cndmask_b32_e32 v66, v38, v27, vcc
	v_cmp_gt_i32_e32 vcc, s5, v41
	s_mov_b32 s42, 0x7060302
	v_ashrrev_i32_e32 v65, 31, v64
	v_cndmask_b32_e32 v68, v38, v30, vcc
	v_cmp_gt_i32_e32 vcc, s5, v51
	v_ashrrev_i32_e32 v67, 31, v66
	v_ashrrev_i32_e32 v69, 31, v68
	v_cndmask_b32_e32 v56, v38, v31, vcc
	global_load_dwordx4 v[38:41], v[22:23], off
	global_load_dwordx4 v[30:33], v[22:23], off offset:2048
	global_load_dwordx4 v[26:29], v[24:25], off
	s_nop 0
	global_load_dwordx4 v[22:25], v[24:25], off offset:2048
	v_ashrrev_i32_e32 v57, 31, v56
	v_lshl_add_u64 v[64:65], v[64:65], 2, s[6:7]
	v_lshl_add_u64 v[66:67], v[66:67], 2, s[6:7]
	;; [unrolled: 1-line block ×4, first 2 shown]
	global_load_dword v65, v[64:65], off
	s_nop 0
	global_load_dword v64, v[66:67], off
	global_load_dword v51, v[68:69], off
	s_nop 0
	global_load_dword v56, v[56:57], off
	s_add_u32 s6, s10, s14
	s_addc_u32 s7, s11, 0
	v_and_b32_e32 v52, 16, v0
	v_lshl_or_b32 v57, v60, 4, v58
	s_load_dword s4, s[0:1], 0x1c
	s_mov_b32 s43, 0xff7fffff
	s_waitcnt vmcnt(12)
	v_cvt_pk_f32_fp8_e32 v[70:71], v34
	v_cvt_pk_f32_fp8_sdwa v[72:73], v34 src0_sel:WORD_1
	v_cvt_pk_f32_fp8_e32 v[74:75], v35
	v_cvt_pk_f32_fp8_sdwa v[34:35], v35 src0_sel:WORD_1
	v_perm_b32 v70, v71, v70, s42
	v_perm_b32 v71, v73, v72, s42
	v_cvt_pk_f32_fp8_e32 v[76:77], v36
	v_cvt_pk_f32_fp8_sdwa v[78:79], v36 src0_sel:WORD_1
	v_perm_b32 v74, v75, v74, s42
	v_perm_b32 v75, v35, v34, s42
	v_cvt_pk_f32_fp8_e32 v[80:81], v37
	v_cvt_pk_f32_fp8_sdwa v[72:73], v37 src0_sel:WORD_1
	s_waitcnt lgkmcnt(0)
	v_mfma_f32_16x16x16_bf16 v[34:37], v[70:71], v[14:15], 0
	v_perm_b32 v76, v77, v76, s42
	v_perm_b32 v77, v79, v78, s42
	s_waitcnt vmcnt(11)
	v_cvt_pk_f32_fp8_e32 v[82:83], v18
	v_mfma_f32_16x16x16_bf16 v[34:37], v[74:75], v[16:17], v[34:37]
	v_cvt_pk_f32_fp8_sdwa v[70:71], v18 src0_sel:WORD_1
	v_perm_b32 v78, v81, v80, s42
	v_perm_b32 v79, v73, v72, s42
	v_mfma_f32_16x16x16_bf16 v[34:37], v[76:77], v[2:3], v[34:37]
	v_cvt_pk_f32_fp8_e32 v[74:75], v19
	v_cvt_pk_f32_fp8_sdwa v[18:19], v19 src0_sel:WORD_1
	v_perm_b32 v72, v83, v82, s42
	v_perm_b32 v73, v71, v70, s42
	v_mfma_f32_16x16x16_bf16 v[34:37], v[78:79], v[4:5], v[34:37]
	v_perm_b32 v70, v75, v74, s42
	v_perm_b32 v71, v19, v18, s42
	v_cvt_pk_f32_fp8_e32 v[18:19], v20
	v_cvt_pk_f32_fp8_sdwa v[66:67], v20 src0_sel:WORD_1
	v_mfma_f32_16x16x16_bf16 v[34:37], v[72:73], v[10:11], v[34:37]
	v_cvt_pk_f32_fp8_e32 v[68:69], v21
	v_perm_b32 v18, v19, v18, s42
	v_perm_b32 v19, v67, v66, s42
	v_cvt_pk_f32_fp8_sdwa v[20:21], v21 src0_sel:WORD_1
	v_mfma_f32_16x16x16_bf16 v[34:37], v[70:71], v[12:13], v[34:37]
	v_perm_b32 v66, v69, v68, s42
	s_waitcnt vmcnt(10)
	v_cvt_pk_f32_fp8_e32 v[68:69], v46
	v_cvt_pk_f32_fp8_sdwa v[70:71], v46 src0_sel:WORD_1
	v_perm_b32 v67, v21, v20, s42
	v_mfma_f32_16x16x16_bf16 v[18:21], v[18:19], v[6:7], v[34:37]
	s_waitcnt vmcnt(5)
	v_cvt_pk_f32_fp8_sdwa v[72:73], v28 src0_sel:WORD_1
	s_nop 0
	v_perm_b32 v34, v69, v68, s42
	v_perm_b32 v35, v71, v70, s42
	v_cvt_pk_f32_fp8_e32 v[36:37], v47
	v_cvt_pk_f32_fp8_sdwa v[46:47], v47 src0_sel:WORD_1
	v_mfma_f32_16x16x16_bf16 v[18:21], v[66:67], v[8:9], v[18:21]
	v_cvt_pk_f32_fp8_sdwa v[68:69], v48 src0_sel:WORD_1
	v_perm_b32 v66, v37, v36, s42
	v_perm_b32 v67, v47, v46, s42
	v_mfma_f32_16x16x16_bf16 v[34:37], v[34:35], v[14:15], 0
	v_cvt_pk_f32_fp8_e32 v[46:47], v48
	v_cvt_pk_f32_fp8_sdwa v[70:71], v42 src0_sel:WORD_1
	v_perm_b32 v46, v47, v46, s42
	v_mfma_f32_16x16x16_bf16 v[34:37], v[66:67], v[16:17], v[34:37]
	v_cvt_pk_f32_fp8_e32 v[66:67], v49
	v_perm_b32 v47, v69, v68, s42
	v_cvt_pk_f32_fp8_sdwa v[48:49], v49 src0_sel:WORD_1
	v_cvt_pk_f32_fp8_e32 v[68:69], v42
	v_perm_b32 v66, v67, v66, s42
	v_mfma_f32_16x16x16_bf16 v[34:37], v[46:47], v[2:3], v[34:37]
	v_perm_b32 v67, v49, v48, s42
	v_perm_b32 v46, v69, v68, s42
	;; [unrolled: 1-line block ×3, first 2 shown]
	v_cvt_pk_f32_fp8_e32 v[48:49], v43
	v_cvt_pk_f32_fp8_sdwa v[42:43], v43 src0_sel:WORD_1
	v_mfma_f32_16x16x16_bf16 v[34:37], v[66:67], v[4:5], v[34:37]
	v_cvt_pk_f32_fp8_sdwa v[66:67], v44 src0_sel:WORD_1
	v_perm_b32 v48, v49, v48, s42
	v_perm_b32 v49, v43, v42, s42
	v_mfma_f32_16x16x16_bf16 v[34:37], v[46:47], v[10:11], v[34:37]
	v_cvt_pk_f32_fp8_e32 v[46:47], v44
	v_cvt_pk_f32_fp8_sdwa v[68:69], v38 src0_sel:WORD_1
	v_lshl_add_u64 v[42:43], s[6:7], 0, v[52:53]
	v_mfma_f32_16x16x16_bf16 v[34:37], v[48:49], v[12:13], v[34:37]
	v_cvt_pk_f32_fp8_e32 v[48:49], v45
	v_perm_b32 v46, v47, v46, s42
	v_perm_b32 v47, v67, v66, s42
	v_cvt_pk_f32_fp8_sdwa v[44:45], v45 src0_sel:WORD_1
	v_cvt_pk_f32_fp8_e32 v[66:67], v38
	v_perm_b32 v48, v49, v48, s42
	v_mfma_f32_16x16x16_bf16 v[34:37], v[46:47], v[6:7], v[34:37]
	v_perm_b32 v49, v45, v44, s42
	v_perm_b32 v44, v67, v66, s42
	;; [unrolled: 1-line block ×3, first 2 shown]
	v_cvt_pk_f32_fp8_e32 v[46:47], v39
	v_cvt_pk_f32_fp8_sdwa v[38:39], v39 src0_sel:WORD_1
	v_mfma_f32_16x16x16_bf16 v[34:37], v[48:49], v[8:9], v[34:37]
	v_cvt_pk_f32_fp8_sdwa v[66:67], v40 src0_sel:WORD_1
	v_perm_b32 v48, v47, v46, s42
	v_perm_b32 v49, v39, v38, s42
	v_mfma_f32_16x16x16_bf16 v[44:47], v[44:45], v[14:15], 0
	v_cvt_pk_f32_fp8_e32 v[38:39], v40
	v_cvt_pk_f32_fp8_sdwa v[68:69], v30 src0_sel:WORD_1
	v_lshlrev_b32_e32 v52, 5, v57
	v_mfma_f32_16x16x16_bf16 v[44:47], v[48:49], v[16:17], v[44:47]
	v_cvt_pk_f32_fp8_e32 v[48:49], v41
	v_perm_b32 v38, v39, v38, s42
	v_perm_b32 v39, v67, v66, s42
	v_cvt_pk_f32_fp8_sdwa v[40:41], v41 src0_sel:WORD_1
	v_perm_b32 v48, v49, v48, s42
	v_cvt_pk_f32_fp8_e32 v[66:67], v30
	v_perm_b32 v49, v41, v40, s42
	v_mfma_f32_16x16x16_bf16 v[38:41], v[38:39], v[2:3], v[44:47]
	s_nop 2
	v_perm_b32 v44, v67, v66, s42
	v_perm_b32 v45, v69, v68, s42
	v_cvt_pk_f32_fp8_e32 v[46:47], v31
	v_cvt_pk_f32_fp8_sdwa v[66:67], v31 src0_sel:WORD_1
	v_mfma_f32_16x16x16_bf16 v[38:41], v[48:49], v[4:5], v[38:41]
	v_cvt_pk_f32_fp8_sdwa v[48:49], v32 src0_sel:WORD_1
	v_perm_b32 v46, v47, v46, s42
	v_perm_b32 v47, v67, v66, s42
	v_mfma_f32_16x16x16_bf16 v[38:41], v[44:45], v[10:11], v[38:41]
	v_cvt_pk_f32_fp8_e32 v[44:45], v32
	v_lshl_add_u64 v[30:31], v[42:43], 0, v[52:53]
	s_waitcnt vmcnt(3)
	v_mad_i64_i32 v[70:71], s[6:7], v65, s41, v[30:31]
	v_mfma_f32_16x16x16_bf16 v[38:41], v[46:47], v[12:13], v[38:41]
	v_perm_b32 v44, v45, v44, s42
	v_perm_b32 v45, v49, v48, s42
	v_cvt_pk_f32_fp8_e32 v[46:47], v33
	v_cvt_pk_f32_fp8_sdwa v[32:33], v33 src0_sel:WORD_1
	v_mfma_f32_16x16x16_bf16 v[38:41], v[44:45], v[6:7], v[38:41]
	v_perm_b32 v46, v47, v46, s42
	v_perm_b32 v47, v33, v32, s42
	v_cvt_pk_f32_fp8_e32 v[32:33], v26
	v_cvt_pk_f32_fp8_sdwa v[44:45], v26 src0_sel:WORD_1
	v_mfma_f32_16x16x16_bf16 v[66:69], v[46:47], v[8:9], v[38:41]
	v_perm_b32 v32, v33, v32, s42
	s_nop 1
	v_cvt_pk_f32_fp8_e32 v[38:39], v27
	v_perm_b32 v33, v45, v44, s42
	v_cvt_pk_f32_fp8_sdwa v[26:27], v27 src0_sel:WORD_1
	v_cvt_pk_f32_fp8_e32 v[46:47], v28
	v_perm_b32 v44, v39, v38, s42
	v_mfma_f32_16x16x16_bf16 v[38:41], v[32:33], v[14:15], 0
	v_perm_b32 v45, v27, v26, s42
	v_perm_b32 v26, v47, v46, s42
	;; [unrolled: 1-line block ×3, first 2 shown]
	v_cvt_pk_f32_fp8_e32 v[32:33], v29
	v_cvt_pk_f32_fp8_sdwa v[28:29], v29 src0_sel:WORD_1
	v_mfma_f32_16x16x16_bf16 v[14:17], v[44:45], v[16:17], v[38:41]
	s_waitcnt vmcnt(2)
	v_mad_i64_i32 v[48:49], s[6:7], v64, s41, v[30:31]
	s_load_dword s6, s[36:37], 0x0
	v_perm_b32 v32, v33, v32, s42
	v_perm_b32 v33, v29, v28, s42
	v_mfma_f32_16x16x16_bf16 v[26:29], v[26:27], v[2:3], v[14:17]
	v_mov_b32_e32 v38, s4
	s_waitcnt lgkmcnt(0)
	v_mul_f32_e32 v72, s6, v38
	v_cvt_pk_f32_fp8_e32 v[2:3], v22
	v_pk_mul_f32 v[14:15], v[72:73], v[20:21] op_sel_hi:[0,1]
	v_pk_mul_f32 v[16:17], v[72:73], v[18:19] op_sel_hi:[0,1]
	v_mfma_f32_16x16x16_bf16 v[18:21], v[32:33], v[4:5], v[26:29]
	v_cvt_pk_f32_fp8_sdwa v[4:5], v22 src0_sel:WORD_1
	v_perm_b32 v32, v3, v2, s42
	v_cvt_pk_f32_fp8_sdwa v[40:41], v24 src0_sel:WORD_1
	v_cvt_pk_f32_fp8_e32 v[26:27], v23
	v_cvt_pk_f32_fp8_sdwa v[22:23], v23 src0_sel:WORD_1
	v_perm_b32 v33, v5, v4, s42
	v_pk_mul_f32 v[46:47], v[72:73], v[34:35] op_sel_hi:[0,1]
	v_perm_b32 v38, v27, v26, s42
	v_perm_b32 v39, v23, v22, s42
	v_cvt_pk_f32_fp8_e32 v[22:23], v24
	v_mfma_f32_16x16x16_bf16 v[18:21], v[32:33], v[10:11], v[18:21]
	v_cvt_pk_f32_fp8_e32 v[32:33], v25
	v_cvt_pk_f32_fp8_sdwa v[24:25], v25 src0_sel:WORD_1
	v_perm_b32 v22, v23, v22, s42
	v_perm_b32 v23, v41, v40, s42
	v_mfma_f32_16x16x16_bf16 v[10:13], v[38:39], v[12:13], v[18:21]
	v_pk_mul_f32 v[40:41], v[72:73], v[36:37] op_sel_hi:[0,1]
	v_pk_mul_f32 v[38:39], v[72:73], v[68:69] op_sel_hi:[0,1]
	;; [unrolled: 1-line block ×3, first 2 shown]
	v_perm_b32 v18, v33, v32, s42
	v_perm_b32 v19, v25, v24, s42
	v_mfma_f32_16x16x16_bf16 v[10:13], v[22:23], v[6:7], v[10:13]
	global_load_dwordx4 v[26:29], v[70:71], off
	global_load_dwordx4 v[2:5], v[48:49], off
	v_or_b32_e32 v52, 0x800, v52
	v_mfma_f32_16x16x16_bf16 v[6:9], v[18:19], v[8:9], v[10:13]
	s_nop 6
	v_pk_mul_f32 v[36:37], v[72:73], v[6:7] op_sel_hi:[0,1]
	v_and_b32_e32 v6, 0xc0, v0
	v_add_u32_e32 v6, s20, v6
	v_lshl_or_b32 v6, v1, 2, v6
	v_or_b32_e32 v7, 1, v6
	v_pk_mul_f32 v[34:35], v[72:73], v[8:9] op_sel_hi:[0,1]
	v_subrev_u32_e32 v8, s5, v7
	v_add_u32_e32 v10, 1, v8
	v_add_u32_e32 v11, 2, v8
	v_cvt_f32_i32_e32 v9, v8
	v_cvt_f32_i32_e32 v10, v10
	;; [unrolled: 1-line block ×3, first 2 shown]
	v_add_u32_e32 v12, 3, v8
	v_fma_f32 v13, v63, v9, v16
	v_fmac_f32_e32 v17, v63, v10
	v_fma_f32 v14, v63, v11, v14
	v_add_u32_e32 v9, 16, v8
	v_add_u32_e32 v10, 17, v8
	;; [unrolled: 1-line block ×3, first 2 shown]
	v_cvt_f32_i32_e32 v12, v12
	v_cvt_f32_i32_e32 v9, v9
	;; [unrolled: 1-line block ×4, first 2 shown]
	v_fmac_f32_e32 v15, v63, v12
	v_add_u32_e32 v12, 19, v8
	v_fma_f32 v46, v63, v9, v46
	v_fmac_f32_e32 v47, v63, v10
	v_fma_f32 v40, v63, v11, v40
	v_add_u32_e32 v9, 32, v8
	v_add_u32_e32 v10, 33, v8
	;; [unrolled: 1-line block ×3, first 2 shown]
	v_cvt_f32_i32_e32 v12, v12
	v_cvt_f32_i32_e32 v9, v9
	;; [unrolled: 1-line block ×4, first 2 shown]
	v_fmac_f32_e32 v41, v63, v12
	v_add_u32_e32 v12, 35, v8
	v_fma_f32 v44, v63, v9, v44
	v_fmac_f32_e32 v45, v63, v10
	v_fma_f32 v38, v63, v11, v38
	v_add_u32_e32 v9, 48, v8
	v_add_u32_e32 v10, 49, v8
	v_add_u32_e32 v11, 50, v8
	v_add_u32_e32 v8, 51, v8
	v_cvt_f32_i32_e32 v8, v8
	v_cvt_f32_i32_e32 v9, v9
	;; [unrolled: 1-line block ×3, first 2 shown]
	v_cmp_gt_i32_e64 s[18:19], s5, v6
	v_fmac_f32_e32 v35, v63, v8
	v_mov_b32_e32 v8, 0xff7fffff
	v_cmp_gt_i32_e64 s[22:23], s5, v7
	v_fma_f32 v36, v63, v9, v36
	v_cndmask_b32_e64 v9, v8, v13, s[18:19]
	v_cndmask_b32_e64 v7, v8, v17, s[22:23]
	v_fmac_f32_e32 v37, v63, v10
	v_max3_f32 v7, v9, s43, v7
	v_or_b32_e32 v9, 2, v6
	v_or_b32_e32 v10, 3, v6
	v_cmp_gt_i32_e64 s[28:29], s5, v9
	v_cmp_gt_i32_e64 s[34:35], s5, v10
	v_cvt_f32_i32_e32 v12, v12
	v_cndmask_b32_e64 v9, v8, v14, s[28:29]
	v_cndmask_b32_e64 v10, v8, v15, s[34:35]
	v_max3_f32 v7, v7, v9, v10
	v_or_b32_e32 v9, 16, v6
	v_or_b32_e32 v10, 17, v6
	v_cmp_gt_i32_e64 s[12:13], s5, v9
	v_cmp_gt_i32_e64 s[16:17], s5, v10
	v_fmac_f32_e32 v39, v63, v12
	v_cndmask_b32_e64 v9, v8, v46, s[12:13]
	v_cndmask_b32_e64 v10, v8, v47, s[16:17]
	v_max3_f32 v7, v7, v9, v10
	v_or_b32_e32 v9, 18, v6
	v_or_b32_e32 v10, 19, v6
	v_cmp_gt_i32_e64 s[24:25], s5, v9
	v_cmp_gt_i32_e64 s[30:31], s5, v10
	v_cvt_f32_i32_e32 v11, v11
	v_cndmask_b32_e64 v9, v8, v40, s[24:25]
	v_cndmask_b32_e64 v10, v8, v41, s[30:31]
	v_max3_f32 v7, v7, v9, v10
	v_or_b32_e32 v9, 32, v6
	v_or_b32_e32 v10, 33, v6
	v_cmp_gt_i32_e64 s[10:11], s5, v9
	v_cmp_gt_i32_e64 s[14:15], s5, v10
	v_fma_f32 v34, v63, v11, v34
	v_cndmask_b32_e64 v9, v8, v44, s[10:11]
	v_cndmask_b32_e64 v10, v8, v45, s[14:15]
	v_max3_f32 v7, v7, v9, v10
	v_or_b32_e32 v9, 34, v6
	v_or_b32_e32 v10, 35, v6
	v_cmp_gt_i32_e64 s[20:21], s5, v9
	v_cmp_gt_i32_e64 s[26:27], s5, v10
	s_nop 0
	v_cndmask_b32_e64 v9, v8, v38, s[20:21]
	v_cndmask_b32_e64 v10, v8, v39, s[26:27]
	v_max3_f32 v7, v7, v9, v10
	v_or_b32_e32 v9, 48, v6
	v_or_b32_e32 v10, 49, v6
	v_cmp_gt_i32_e64 s[6:7], s5, v9
	v_cmp_gt_i32_e64 s[8:9], s5, v10
	s_nop 0
	v_cndmask_b32_e64 v9, v8, v36, s[6:7]
	v_cndmask_b32_e64 v10, v8, v37, s[8:9]
	v_max3_f32 v7, v7, v9, v10
	v_or_b32_e32 v9, 50, v6
	v_or_b32_e32 v6, 51, v6
	v_cmp_gt_i32_e32 vcc, s5, v9
	v_cmp_gt_i32_e64 s[4:5], s5, v6
	s_nop 0
	v_cndmask_b32_e32 v9, v8, v34, vcc
	v_cndmask_b32_e64 v6, v8, v35, s[4:5]
	v_max3_f32 v6, v7, v9, v6
	v_mbcnt_lo_u32_b32 v7, -1, 0
	v_mbcnt_hi_u32_b32 v7, -1, v7
	v_and_b32_e32 v8, 64, v7
	v_add_u32_e32 v12, 64, v8
	v_xor_b32_e32 v8, 32, v7
	v_cmp_lt_i32_e64 s[36:37], v8, v12
	s_nop 1
	v_cndmask_b32_e64 v8, v7, v8, s[36:37]
	v_lshlrev_b32_e32 v63, 2, v8
	ds_bpermute_b32 v16, v63, v6
	s_waitcnt vmcnt(3)
	v_mad_i64_i32 v[8:9], s[36:37], v51, s41, v[30:31]
	s_waitcnt vmcnt(2)
	v_mad_i64_i32 v[10:11], s[36:37], v56, s41, v[30:31]
	s_waitcnt lgkmcnt(0)
	v_max_f32_e32 v16, v16, v16
	v_max_f32_e32 v16, v6, v16
	v_xor_b32_e32 v6, 16, v7
	v_cmp_lt_i32_e64 s[36:37], v6, v12
	global_load_dwordx4 v[30:33], v[8:9], off
	global_load_dwordx4 v[18:21], v[10:11], off
	v_cndmask_b32_e64 v6, v7, v6, s[36:37]
	v_lshlrev_b32_e32 v67, 2, v6
	ds_bpermute_b32 v12, v67, v16
	v_lshl_add_u64 v[6:7], v[42:43], 0, v[52:53]
	v_mad_i64_i32 v[10:11], s[36:37], v64, s41, v[6:7]
	s_waitcnt lgkmcnt(0)
	v_max_f32_e32 v8, v12, v12
	v_max_f32_e32 v66, v16, v8
	v_sub_f32_e32 v12, v17, v66
	v_mul_f32_e32 v12, 0x3fb8aa3b, v12
	v_exp_f32_e32 v43, v12
	v_sub_f32_e32 v12, v14, v66
	v_mul_f32_e32 v12, 0x3fb8aa3b, v12
	v_sub_f32_e32 v13, v13, v66
	v_exp_f32_e32 v52, v12
	v_sub_f32_e32 v12, v15, v66
	v_mad_i64_i32 v[8:9], s[36:37], v65, s41, v[6:7]
	v_mul_f32_e32 v13, 0x3fb8aa3b, v13
	v_mul_f32_e32 v12, 0x3fb8aa3b, v12
	v_exp_f32_e32 v42, v13
	v_exp_f32_e32 v53, v12
	global_load_dwordx4 v[22:25], v[8:9], off
	s_nop 0
	global_load_dwordx4 v[10:13], v[10:11], off
	v_mad_i64_i32 v[8:9], s[36:37], v51, s41, v[6:7]
	v_mad_i64_i32 v[6:7], s[36:37], v56, s41, v[6:7]
	global_load_dwordx4 v[14:17], v[8:9], off
	s_nop 0
	global_load_dwordx4 v[6:9], v[6:7], off
	v_cndmask_b32_e64 v48, 0, v42, s[18:19]
	v_sub_f32_e32 v42, v46, v66
	v_mul_f32_e32 v42, 0x3fb8aa3b, v42
	v_cndmask_b32_e64 v49, 0, v43, s[22:23]
	v_exp_f32_e32 v42, v42
	v_sub_f32_e32 v43, v47, v66
	v_sub_f32_e32 v40, v40, v66
	v_mul_f32_e32 v43, 0x3fb8aa3b, v43
	v_mul_f32_e32 v40, 0x3fb8aa3b, v40
	v_exp_f32_e32 v43, v43
	v_exp_f32_e32 v46, v40
	v_sub_f32_e32 v40, v41, v66
	v_mul_f32_e32 v40, 0x3fb8aa3b, v40
	v_exp_f32_e32 v47, v40
	v_cndmask_b32_e64 v40, 0, v42, s[12:13]
	v_sub_f32_e32 v42, v45, v66
	v_sub_f32_e32 v38, v38, v66
	v_mul_f32_e32 v42, 0x3fb8aa3b, v42
	v_mul_f32_e32 v38, 0x3fb8aa3b, v38
	v_cndmask_b32_e64 v41, 0, v43, s[16:17]
	v_sub_f32_e32 v43, v44, v66
	v_exp_f32_e32 v42, v42
	v_exp_f32_e32 v44, v38
	v_sub_f32_e32 v38, v39, v66
	v_cndmask_b32_e64 v52, 0, v52, s[28:29]
	v_cndmask_b32_e64 v39, 0, v42, s[14:15]
	;; [unrolled: 1-line block ×3, first 2 shown]
	v_add_f32_e32 v44, 0, v48
	v_add_f32_e32 v44, v44, v49
	v_cndmask_b32_e64 v53, 0, v53, s[34:35]
	v_mul_f32_e32 v43, 0x3fb8aa3b, v43
	v_add_f32_e32 v44, v44, v52
	v_exp_f32_e32 v43, v43
	v_add_f32_e32 v44, v44, v53
	v_add_f32_e32 v44, v44, v40
	v_cndmask_b32_e64 v46, 0, v46, s[24:25]
	v_mul_f32_e32 v38, 0x3fb8aa3b, v38
	v_add_f32_e32 v44, v44, v41
	v_sub_f32_e32 v36, v36, v66
	v_cndmask_b32_e64 v47, 0, v47, s[30:31]
	v_exp_f32_e32 v45, v38
	v_add_f32_e32 v44, v44, v46
	v_mul_f32_e32 v36, 0x3fb8aa3b, v36
	v_sub_f32_e32 v37, v37, v66
	v_cndmask_b32_e64 v38, 0, v43, s[10:11]
	v_add_f32_e32 v44, v44, v47
	v_exp_f32_e32 v36, v36
	v_mul_f32_e32 v37, 0x3fb8aa3b, v37
	v_sub_f32_e32 v34, v34, v66
	v_add_f32_e32 v44, v44, v38
	v_exp_f32_e32 v37, v37
	v_mul_f32_e32 v34, 0x3fb8aa3b, v34
	v_sub_f32_e32 v35, v35, v66
	v_add_f32_e32 v44, v44, v39
	v_exp_f32_e32 v34, v34
	v_mul_f32_e32 v35, 0x3fb8aa3b, v35
	v_cndmask_b32_e64 v43, 0, v45, s[26:27]
	v_add_f32_e32 v44, v44, v42
	v_exp_f32_e32 v35, v35
	v_add_f32_e32 v44, v44, v43
	v_cndmask_b32_e64 v36, 0, v36, s[6:7]
	v_add_f32_e32 v44, v44, v36
	v_cndmask_b32_e64 v37, 0, v37, s[8:9]
	v_add_f32_e32 v44, v44, v37
	v_cndmask_b32_e32 v34, 0, v34, vcc
	v_add_f32_e32 v44, v44, v34
	v_cndmask_b32_e64 v35, 0, v35, s[4:5]
	v_add_f32_e32 v44, v44, v35
	ds_bpermute_b32 v45, v63, v44
	v_cmp_gt_u32_e32 vcc, 16, v61
	s_waitcnt lgkmcnt(0)
	s_barrier
	v_add_f32_e32 v44, v44, v45
	ds_bpermute_b32 v45, v67, v44
	s_and_saveexec_b64 s[4:5], vcc
	s_cbranch_execz .LBB1383_13
; %bb.12:
	s_waitcnt lgkmcnt(0)
	v_add_f32_e32 v44, v44, v45
	v_lshlrev_b32_e32 v45, 2, v57
	ds_write2st64_b32 v45, v66, v44 offset1:1
.LBB1383_13:
	s_or_b64 exec, exec, s[4:5]
	s_waitcnt lgkmcnt(0)
	v_lshlrev_b32_e32 v45, 2, v58
	s_load_dword s6, s[0:1], 0x94
	s_waitcnt lgkmcnt(0)
	s_barrier
	ds_read2_b32 v[56:57], v45 offset1:16
	ds_read2_b32 v[64:65], v45 offset0:32 offset1:48
	ds_read2_b32 v[66:67], v45 offset0:64 offset1:80
	s_movk_i32 s8, 0x7fff
	s_lshl_b32 s7, s40, 4
	s_waitcnt lgkmcnt(2)
	v_max3_f32 v44, v56, s43, v57
	s_waitcnt lgkmcnt(1)
	v_max3_f32 v44, v44, v64, v65
	v_sub_f32_e32 v51, v56, v44
	v_sub_f32_e32 v56, v57, v44
	v_mul_f32_e32 v56, 0x3fb8aa3b, v56
	v_mul_f32_e32 v51, 0x3fb8aa3b, v51
	v_exp_f32_e32 v61, v56
	v_sub_f32_e32 v56, v64, v44
	v_exp_f32_e32 v51, v51
	v_mul_f32_e32 v56, 0x3fb8aa3b, v56
	v_exp_f32_e32 v63, v56
	ds_read2_b32 v[56:57], v45 offset0:96 offset1:112
	v_sub_f32_e32 v45, v65, v44
	v_mul_f32_e32 v45, 0x3fb8aa3b, v45
	v_exp_f32_e32 v64, v45
	s_waitcnt lgkmcnt(1)
	v_fma_f32 v45, v51, v66, 0
	v_fmac_f32_e32 v45, v61, v67
	s_waitcnt lgkmcnt(0)
	v_fmac_f32_e32 v45, v63, v56
	v_fmac_f32_e32 v45, v64, v57
	v_add_f32_e32 v56, 0x358637bd, v45
	v_div_scale_f32 v57, s[4:5], v56, v56, 1.0
	v_rcp_f32_e32 v65, v57
	s_barrier
	v_fma_f32 v66, -v57, v65, 1.0
	v_fmac_f32_e32 v65, v66, v65
	v_div_scale_f32 v66, vcc, 1.0, v56, 1.0
	v_mul_f32_e32 v67, v66, v65
	v_fma_f32 v68, -v57, v67, v66
	v_fmac_f32_e32 v67, v68, v65
	v_fma_f32 v57, -v57, v67, v66
	v_div_fmas_f32 v57, v57, v65, v67
	v_cmp_eq_u32_e32 vcc, 1, v60
	v_div_fixup_f32 v56, v57, v56, 1.0
	s_nop 0
	v_cndmask_b32_e32 v51, v51, v61, vcc
	v_cmp_eq_u32_e32 vcc, 2, v60
	s_nop 1
	v_cndmask_b32_e32 v51, v51, v63, vcc
	v_cmp_eq_u32_e32 vcc, 3, v60
	s_nop 1
	v_cndmask_b32_e32 v51, v51, v64, vcc
	v_mul_f32_e32 v64, v51, v56
	v_pk_mul_f32 v[48:49], v[64:65], v[48:49] op_sel_hi:[0,1]
	v_bfe_u32 v51, v49, 16, 1
	v_bfe_u32 v56, v48, 16, 1
	v_pk_mul_f32 v[52:53], v[64:65], v[52:53] op_sel_hi:[0,1]
	v_add3_u32 v48, v48, v56, s8
	v_add3_u32 v49, v49, v51, s8
	v_perm_b32 v48, v49, v48, s42
	v_bfe_u32 v49, v53, 16, 1
	v_bfe_u32 v51, v52, 16, 1
	v_add3_u32 v51, v52, v51, s8
	v_add3_u32 v49, v53, v49, s8
	v_perm_b32 v49, v49, v51, s42
	v_lshlrev_b32_e32 v51, 3, v1
	v_lshlrev_b32_e32 v52, 11, v60
	v_pk_mul_f32 v[40:41], v[64:65], v[40:41] op_sel_hi:[0,1]
	v_or3_b32 v56, v52, v62, v51
	v_bfe_u32 v51, v41, 16, 1
	v_bfe_u32 v52, v40, 16, 1
	v_pk_mul_f32 v[46:47], v[64:65], v[46:47] op_sel_hi:[0,1]
	v_add3_u32 v40, v40, v52, s8
	v_add3_u32 v41, v41, v51, s8
	v_perm_b32 v40, v41, v40, s42
	v_bfe_u32 v41, v47, 16, 1
	v_bfe_u32 v51, v46, 16, 1
	v_add3_u32 v46, v46, v51, s8
	v_add3_u32 v41, v47, v41, s8
	v_perm_b32 v41, v41, v46, s42
	v_pk_mul_f32 v[38:39], v[64:65], v[38:39] op_sel_hi:[0,1]
	ds_write2st64_b64 v56, v[48:49], v[40:41] offset1:1
	v_pk_mul_f32 v[40:41], v[64:65], v[42:43] op_sel_hi:[0,1]
	v_bfe_u32 v42, v39, 16, 1
	v_bfe_u32 v43, v38, 16, 1
	v_add3_u32 v38, v38, v43, s8
	v_add3_u32 v39, v39, v42, s8
	v_perm_b32 v38, v39, v38, s42
	v_bfe_u32 v39, v41, 16, 1
	v_bfe_u32 v42, v40, 16, 1
	v_add3_u32 v40, v40, v42, s8
	v_add3_u32 v39, v41, v39, s8
	v_pk_mul_f32 v[36:37], v[64:65], v[36:37] op_sel_hi:[0,1]
	v_perm_b32 v39, v39, v40, s42
	v_bfe_u32 v40, v37, 16, 1
	v_bfe_u32 v41, v36, 16, 1
	v_pk_mul_f32 v[34:35], v[64:65], v[34:35] op_sel_hi:[0,1]
	v_add3_u32 v36, v36, v41, s8
	v_add3_u32 v37, v37, v40, s8
	v_perm_b32 v36, v37, v36, s42
	v_bfe_u32 v37, v35, 16, 1
	v_bfe_u32 v40, v34, 16, 1
	v_add3_u32 v34, v34, v40, s8
	v_add3_u32 v35, v35, v37, s8
	v_perm_b32 v37, v35, v34, s42
	v_cmp_gt_u32_e32 vcc, 16, v0
	ds_write2st64_b64 v56, v[38:39], v[36:37] offset0:2 offset1:3
	s_and_saveexec_b64 s[4:5], vcc
	s_cbranch_execz .LBB1383_15
; %bb.14:
	v_mov_b32_e32 v51, 0
	v_mov_b32_e32 v34, s7
	s_mul_i32 s3, s3, s7
	v_mad_u64_u32 v[34:35], s[10:11], s2, v34, v[50:51]
	v_mov_b32_e32 v50, s33
	s_load_dwordx4 s[12:15], s[0:1], 0x58
	v_add_u32_e32 v37, s3, v35
	v_mad_u64_u32 v[34:35], s[10:11], v34, s6, v[50:51]
	v_mov_b32_e32 v36, v35
	v_mad_u64_u32 v[36:37], s[10:11], v37, s6, v[36:37]
	v_mov_b32_e32 v35, v36
	v_lshlrev_b64 v[34:35], 2, v[34:35]
	s_waitcnt lgkmcnt(0)
	v_lshl_add_u64 v[36:37], s[14:15], 0, v[34:35]
	v_lshl_add_u64 v[34:35], s[12:13], 0, v[34:35]
	global_store_dword v[36:37], v44, off
	global_store_dword v[34:35], v45, off
.LBB1383_15:
	s_or_b64 exec, exec, s[4:5]
	s_waitcnt vmcnt(7)
	v_cvt_pk_f32_fp8_e32 v[34:35], v26
	v_cvt_pk_f32_fp8_sdwa v[36:37], v26 src0_sel:WORD_1
	s_mov_b32 s5, 0x7060302
	s_waitcnt lgkmcnt(0)
	s_barrier
	v_cvt_pk_f32_fp8_e32 v[38:39], v27
	v_perm_b32 v26, v35, v34, s5
	v_cvt_pk_f32_fp8_sdwa v[40:41], v27 src0_sel:WORD_1
	v_perm_b32 v27, v37, v36, s5
	ds_read_b128 v[34:37], v55
	v_perm_b32 v46, v39, v38, s5
	v_perm_b32 v47, v41, v40, s5
	ds_read_b128 v[38:41], v55 offset:16
	v_cvt_pk_f32_fp8_e32 v[48:49], v28
	v_cvt_pk_f32_fp8_sdwa v[50:51], v28 src0_sel:WORD_1
	s_waitcnt lgkmcnt(1)
	v_mfma_f32_16x16x16_bf16 v[42:45], v[26:27], v[34:35], 0
	s_waitcnt vmcnt(6)
	v_cvt_pk_f32_fp8_e32 v[52:53], v4
	v_perm_b32 v26, v49, v48, s5
	v_perm_b32 v27, v51, v50, s5
	v_cvt_pk_f32_fp8_e32 v[48:49], v29
	v_mfma_f32_16x16x16_bf16 v[42:45], v[46:47], v[36:37], v[42:45]
	v_cvt_pk_f32_fp8_sdwa v[46:47], v29 src0_sel:WORD_1
	v_cvt_pk_f32_fp8_sdwa v[60:61], v4 src0_sel:WORD_1
	v_perm_b32 v48, v49, v48, s5
	s_waitcnt lgkmcnt(0)
	v_mfma_f32_16x16x16_bf16 v[26:29], v[26:27], v[38:39], v[42:45]
	v_perm_b32 v49, v47, v46, s5
	s_waitcnt vmcnt(5)
	v_cvt_pk_f32_fp8_e32 v[62:63], v32
	v_cvt_pk_f32_fp8_sdwa v[64:65], v32 src0_sel:WORD_1
	v_cvt_pk_f32_fp8_e32 v[42:43], v2
	v_mfma_f32_16x16x16_bf16 v[46:49], v[48:49], v[40:41], v[26:29]
	s_waitcnt vmcnt(4)
	v_cvt_pk_f32_fp8_e32 v[66:67], v20
	v_cvt_pk_f32_fp8_sdwa v[68:69], v20 src0_sel:WORD_1
	v_cvt_pk_f32_fp8_sdwa v[26:27], v2 src0_sel:WORD_1
	v_cvt_pk_f32_fp8_e32 v[28:29], v3
	v_perm_b32 v2, v43, v42, s5
	v_cvt_pk_f32_fp8_sdwa v[42:43], v3 src0_sel:WORD_1
	v_perm_b32 v3, v27, v26, s5
	v_perm_b32 v50, v29, v28, s5
	ds_read_b128 v[26:29], v55 offset:2048
	v_perm_b32 v51, v43, v42, s5
	ds_read_b128 v[42:45], v55 offset:2064
	s_waitcnt lgkmcnt(1)
	v_mfma_f32_16x16x16_bf16 v[46:49], v[2:3], v[26:27], v[46:49]
	v_perm_b32 v2, v53, v52, s5
	v_perm_b32 v3, v61, v60, s5
	v_cvt_pk_f32_fp8_e32 v[52:53], v5
	v_mfma_f32_16x16x16_bf16 v[46:49], v[50:51], v[28:29], v[46:49]
	v_cvt_pk_f32_fp8_sdwa v[50:51], v5 src0_sel:WORD_1
	s_load_dword s4, s[38:39], 0x0
	v_perm_b32 v52, v53, v52, s5
	s_waitcnt lgkmcnt(0)
	v_mfma_f32_16x16x16_bf16 v[2:5], v[2:3], v[42:43], v[46:49]
	v_perm_b32 v53, v51, v50, s5
	s_mov_b32 s3, 0
	v_cmp_gt_u32_e32 vcc, 64, v0
	v_cvt_pk_f32_fp8_e32 v[46:47], v30
	v_mfma_f32_16x16x16_bf16 v[50:53], v[52:53], v[44:45], v[2:5]
	s_nop 2
	v_cvt_pk_f32_fp8_sdwa v[2:3], v30 src0_sel:WORD_1
	v_cvt_pk_f32_fp8_e32 v[4:5], v31
	v_perm_b32 v30, v47, v46, s5
	v_cvt_pk_f32_fp8_sdwa v[46:47], v31 src0_sel:WORD_1
	v_perm_b32 v31, v3, v2, s5
	v_perm_b32 v60, v5, v4, s5
	ds_read_b128 v[2:5], v55 offset:4096
	v_perm_b32 v61, v47, v46, s5
	ds_read_b128 v[46:49], v55 offset:4112
	s_waitcnt lgkmcnt(1)
	v_mfma_f32_16x16x16_bf16 v[50:53], v[30:31], v[2:3], v[50:53]
	v_perm_b32 v30, v63, v62, s5
	v_perm_b32 v31, v65, v64, s5
	v_cvt_pk_f32_fp8_e32 v[62:63], v33
	v_mfma_f32_16x16x16_bf16 v[50:53], v[60:61], v[4:5], v[50:53]
	v_cvt_pk_f32_fp8_sdwa v[60:61], v33 src0_sel:WORD_1
	v_perm_b32 v62, v63, v62, s5
	s_waitcnt lgkmcnt(0)
	v_mfma_f32_16x16x16_bf16 v[30:33], v[30:31], v[46:47], v[50:53]
	v_perm_b32 v63, v61, v60, s5
	s_nop 1
	v_cvt_pk_f32_fp8_e32 v[50:51], v18
	v_mfma_f32_16x16x16_bf16 v[60:63], v[62:63], v[48:49], v[30:33]
	s_nop 2
	v_cvt_pk_f32_fp8_sdwa v[30:31], v18 src0_sel:WORD_1
	v_cvt_pk_f32_fp8_e32 v[32:33], v19
	v_perm_b32 v18, v51, v50, s5
	v_cvt_pk_f32_fp8_sdwa v[50:51], v19 src0_sel:WORD_1
	v_perm_b32 v19, v31, v30, s5
	v_perm_b32 v64, v33, v32, s5
	ds_read_b128 v[30:33], v55 offset:6144
	v_perm_b32 v65, v51, v50, s5
	ds_read_b128 v[50:53], v55 offset:6160
	s_waitcnt lgkmcnt(1)
	v_mfma_f32_16x16x16_bf16 v[60:63], v[18:19], v[30:31], v[60:63]
	v_perm_b32 v18, v67, v66, s5
	v_perm_b32 v19, v69, v68, s5
	v_cvt_pk_f32_fp8_e32 v[66:67], v21
	v_mfma_f32_16x16x16_bf16 v[60:63], v[64:65], v[32:33], v[60:63]
	v_cvt_pk_f32_fp8_sdwa v[64:65], v21 src0_sel:WORD_1
	s_waitcnt lgkmcnt(0)
	v_perm_b32 v66, v67, v66, s5
	v_mfma_f32_16x16x16_bf16 v[18:21], v[18:19], v[50:51], v[60:63]
	v_perm_b32 v67, v65, v64, s5
	s_waitcnt vmcnt(3)
	v_cvt_pk_f32_fp8_e32 v[64:65], v23
	s_barrier
	v_mfma_f32_16x16x16_bf16 v[60:63], v[66:67], v[52:53], v[18:21]
	v_cvt_pk_f32_fp8_sdwa v[66:67], v24 src0_sel:WORD_1
	s_nop 1
	v_cvt_pk_f32_fp8_e32 v[20:21], v22
	s_nop 2
	v_pk_mul_f32 v[18:19], v[62:63], s[4:5] op_sel_hi:[1,0]
	v_cvt_pk_f32_fp8_sdwa v[62:63], v22 src0_sel:WORD_1
	v_perm_b32 v20, v21, v20, s5
	v_cvt_pk_f32_fp8_sdwa v[22:23], v23 src0_sel:WORD_1
	v_pk_mul_f32 v[60:61], v[60:61], s[4:5] op_sel_hi:[1,0]
	v_perm_b32 v21, v63, v62, s5
	v_perm_b32 v62, v65, v64, s5
	v_cvt_pk_f32_fp8_e32 v[64:65], v24
	v_perm_b32 v63, v23, v22, s5
	v_mfma_f32_16x16x16_bf16 v[20:23], v[20:21], v[34:35], 0
	v_perm_b32 v34, v65, v64, s5
	v_perm_b32 v35, v67, v66, s5
	v_cvt_pk_f32_fp8_e32 v[64:65], v25
	v_cvt_pk_f32_fp8_sdwa v[24:25], v25 src0_sel:WORD_1
	v_mfma_f32_16x16x16_bf16 v[20:23], v[62:63], v[36:37], v[20:23]
	v_bfe_u32 v55, v61, 16, 1
	v_perm_b32 v36, v65, v64, s5
	v_perm_b32 v37, v25, v24, s5
	v_mfma_f32_16x16x16_bf16 v[20:23], v[34:35], v[38:39], v[20:23]
	s_waitcnt vmcnt(2)
	v_cvt_pk_f32_fp8_e32 v[24:25], v10
	v_cvt_pk_f32_fp8_sdwa v[34:35], v10 src0_sel:WORD_1
	v_cvt_pk_f32_fp8_sdwa v[38:39], v12 src0_sel:WORD_1
	v_mfma_f32_16x16x16_bf16 v[20:23], v[36:37], v[40:41], v[20:23]
	v_cvt_pk_f32_fp8_e32 v[36:37], v11
	v_perm_b32 v24, v25, v24, s5
	v_perm_b32 v25, v35, v34, s5
	v_cvt_pk_f32_fp8_sdwa v[10:11], v11 src0_sel:WORD_1
	v_perm_b32 v34, v37, v36, s5
	v_cvt_pk_f32_fp8_e32 v[36:37], v12
	v_mfma_f32_16x16x16_bf16 v[20:23], v[24:25], v[26:27], v[20:23]
	v_perm_b32 v35, v11, v10, s5
	v_perm_b32 v24, v37, v36, s5
	;; [unrolled: 1-line block ×3, first 2 shown]
	v_cvt_pk_f32_fp8_e32 v[26:27], v13
	v_cvt_pk_f32_fp8_sdwa v[36:37], v13 src0_sel:WORD_1
	v_mfma_f32_16x16x16_bf16 v[10:13], v[34:35], v[28:29], v[20:23]
	v_bfe_u32 v57, v60, 16, 1
	v_add3_u32 v28, v60, v57, s8
	v_add3_u32 v29, v61, v55, s8
	v_perm_b32 v20, v27, v26, s5
	v_perm_b32 v21, v37, v36, s5
	v_mfma_f32_16x16x16_bf16 v[10:13], v[24:25], v[42:43], v[10:13]
	s_waitcnt vmcnt(1)
	v_cvt_pk_f32_fp8_e32 v[22:23], v14
	v_cvt_pk_f32_fp8_sdwa v[24:25], v14 src0_sel:WORD_1
	v_cvt_pk_f32_fp8_sdwa v[26:27], v16 src0_sel:WORD_1
	v_mfma_f32_16x16x16_bf16 v[10:13], v[20:21], v[44:45], v[10:13]
	v_cvt_pk_f32_fp8_e32 v[20:21], v15
	v_perm_b32 v22, v23, v22, s5
	v_perm_b32 v23, v25, v24, s5
	v_cvt_pk_f32_fp8_sdwa v[14:15], v15 src0_sel:WORD_1
	v_perm_b32 v20, v21, v20, s5
	v_cvt_pk_f32_fp8_e32 v[24:25], v16
	v_mfma_f32_16x16x16_bf16 v[10:13], v[22:23], v[2:3], v[10:13]
	v_perm_b32 v21, v15, v14, s5
	v_perm_b32 v14, v25, v24, s5
	;; [unrolled: 1-line block ×3, first 2 shown]
	v_cvt_pk_f32_fp8_e32 v[22:23], v17
	v_cvt_pk_f32_fp8_sdwa v[16:17], v17 src0_sel:WORD_1
	v_mfma_f32_16x16x16_bf16 v[2:5], v[20:21], v[4:5], v[10:13]
	s_waitcnt vmcnt(0)
	v_cvt_pk_f32_fp8_sdwa v[20:21], v8 src0_sel:WORD_1
	s_nop 0
	v_perm_b32 v12, v23, v22, s5
	v_perm_b32 v13, v17, v16, s5
	v_mfma_f32_16x16x16_bf16 v[2:5], v[14:15], v[46:47], v[2:5]
	v_cvt_pk_f32_fp8_e32 v[14:15], v6
	v_cvt_pk_f32_fp8_sdwa v[16:17], v6 src0_sel:WORD_1
	v_bfe_u32 v11, v19, 16, 1
	v_mfma_f32_16x16x16_bf16 v[2:5], v[12:13], v[48:49], v[2:5]
	v_cvt_pk_f32_fp8_e32 v[12:13], v7
	v_perm_b32 v14, v15, v14, s5
	v_perm_b32 v15, v17, v16, s5
	v_cvt_pk_f32_fp8_sdwa v[6:7], v7 src0_sel:WORD_1
	v_perm_b32 v12, v13, v12, s5
	v_cvt_pk_f32_fp8_e32 v[16:17], v8
	v_mfma_f32_16x16x16_bf16 v[2:5], v[14:15], v[30:31], v[2:5]
	v_perm_b32 v13, v7, v6, s5
	v_perm_b32 v6, v17, v16, s5
	;; [unrolled: 1-line block ×3, first 2 shown]
	v_cvt_pk_f32_fp8_e32 v[14:15], v9
	v_cvt_pk_f32_fp8_sdwa v[8:9], v9 src0_sel:WORD_1
	v_mfma_f32_16x16x16_bf16 v[2:5], v[12:13], v[32:33], v[2:5]
	v_bfe_u32 v16, v18, 16, 1
	v_perm_b32 v12, v15, v14, s5
	v_perm_b32 v13, v9, v8, s5
	v_mfma_f32_16x16x16_bf16 v[2:5], v[6:7], v[50:51], v[2:5]
	v_add3_u32 v6, v18, v16, s8
	v_add3_u32 v7, v19, v11, s8
	v_perm_b32 v11, v7, v6, s5
	v_mfma_f32_16x16x16_bf16 v[2:5], v[12:13], v[52:53], v[2:5]
	v_perm_b32 v10, v29, v28, s5
	s_nop 5
	v_pk_mul_f32 v[2:3], v[2:3], s[4:5] op_sel_hi:[1,0]
	v_pk_mul_f32 v[4:5], v[4:5], s[4:5] op_sel_hi:[1,0]
	v_bfe_u32 v6, v3, 16, 1
	v_bfe_u32 v7, v2, 16, 1
	v_add3_u32 v2, v2, v7, s8
	v_add3_u32 v3, v3, v6, s8
	v_perm_b32 v2, v3, v2, s5
	v_bfe_u32 v3, v5, 16, 1
	v_bfe_u32 v6, v4, 16, 1
	v_add3_u32 v4, v4, v6, s8
	v_add3_u32 v3, v5, v3, s8
	v_perm_b32 v3, v3, v4, s5
	ds_write2st64_b64 v56, v[10:11], v[2:3] offset1:1
	s_waitcnt lgkmcnt(0)
	s_barrier
	s_and_saveexec_b64 s[4:5], vcc
	s_cbranch_execz .LBB1383_17
; %bb.16:
	s_load_dwordx2 s[0:1], s[0:1], 0x68
	s_lshl_b32 s6, s6, 7
	s_mul_i32 s2, s7, s2
	s_mul_hi_u32 s5, s2, s6
	s_mul_i32 s4, s2, s6
	s_lshl_b64 s[4:5], s[4:5], 1
	s_waitcnt lgkmcnt(0)
	s_add_u32 s4, s0, s4
	v_lshlrev_b32_e32 v4, 6, v58
	s_addc_u32 s5, s1, s5
	s_lshl_b32 s2, s33, 7
	v_lshl_or_b32 v0, v0, 10, v4
	s_lshl_b64 s[0:1], s[2:3], 1
	v_lshlrev_b32_e32 v2, 5, v1
	v_and_b32_e32 v3, 16, v59
	v_and_b32_e32 v0, 0x1a00, v0
	s_add_u32 s0, s4, s0
	v_or3_b32 v0, v0, v2, v3
	s_addc_u32 s1, s5, s1
	v_mov_b32_e32 v55, 0
	v_or_b32_e32 v20, s44, v1
	ds_read_b128 v[2:5], v0
	ds_read_b128 v[6:9], v0 offset:128
	ds_read_b128 v[10:13], v0 offset:256
	;; [unrolled: 1-line block ×3, first 2 shown]
	v_lshl_add_u64 v[18:19], s[0:1], 0, v[54:55]
	v_mad_u64_u32 v[0:1], s[0:1], v20, s6, 0
	v_lshl_add_u64 v[0:1], v[0:1], 1, v[18:19]
	s_waitcnt lgkmcnt(3)
	global_store_dwordx4 v[0:1], v[2:5], off
	v_or_b32_e32 v0, 4, v20
	v_mad_u64_u32 v[0:1], s[0:1], v0, s6, 0
	v_lshl_add_u64 v[0:1], v[0:1], 1, v[18:19]
	s_waitcnt lgkmcnt(2)
	global_store_dwordx4 v[0:1], v[6:9], off
	v_or_b32_e32 v0, 8, v20
	;; [unrolled: 5-line block ×3, first 2 shown]
	v_mad_u64_u32 v[0:1], s[0:1], v0, s6, 0
	v_lshl_add_u64 v[0:1], v[0:1], 1, v[18:19]
	s_waitcnt lgkmcnt(0)
	global_store_dwordx4 v[0:1], v[14:17], off
.LBB1383_17:
	s_endpgm
	.section	.rodata,"a",@progbits
	.p2align	6, 0x0
	.amdhsa_kernel _Z39paged_attention_ll4mi_QKV_mfma16_kernelI14__hip_bfloat16hLN4vllm18Fp8KVCacheDataTypeE1ES0_Li32ELi128ELi256ELb1ELi16EEvPKT_PKT0_S8_ifPKiSA_SA_iPKfiiiPfSD_PS3_PT2_iSC_SC_
		.amdhsa_group_segment_fixed_size 8192
		.amdhsa_private_segment_fixed_size 0
		.amdhsa_kernarg_size 400
		.amdhsa_user_sgpr_count 2
		.amdhsa_user_sgpr_dispatch_ptr 0
		.amdhsa_user_sgpr_queue_ptr 0
		.amdhsa_user_sgpr_kernarg_segment_ptr 1
		.amdhsa_user_sgpr_dispatch_id 0
		.amdhsa_user_sgpr_kernarg_preload_length 0
		.amdhsa_user_sgpr_kernarg_preload_offset 0
		.amdhsa_user_sgpr_private_segment_size 0
		.amdhsa_uses_dynamic_stack 0
		.amdhsa_enable_private_segment 0
		.amdhsa_system_sgpr_workgroup_id_x 1
		.amdhsa_system_sgpr_workgroup_id_y 1
		.amdhsa_system_sgpr_workgroup_id_z 1
		.amdhsa_system_sgpr_workgroup_info 0
		.amdhsa_system_vgpr_workitem_id 0
		.amdhsa_next_free_vgpr 84
		.amdhsa_next_free_sgpr 45
		.amdhsa_accum_offset 84
		.amdhsa_reserve_vcc 1
		.amdhsa_float_round_mode_32 0
		.amdhsa_float_round_mode_16_64 0
		.amdhsa_float_denorm_mode_32 3
		.amdhsa_float_denorm_mode_16_64 3
		.amdhsa_dx10_clamp 1
		.amdhsa_ieee_mode 1
		.amdhsa_fp16_overflow 0
		.amdhsa_tg_split 0
		.amdhsa_exception_fp_ieee_invalid_op 0
		.amdhsa_exception_fp_denorm_src 0
		.amdhsa_exception_fp_ieee_div_zero 0
		.amdhsa_exception_fp_ieee_overflow 0
		.amdhsa_exception_fp_ieee_underflow 0
		.amdhsa_exception_fp_ieee_inexact 0
		.amdhsa_exception_int_div_zero 0
	.end_amdhsa_kernel
	.section	.text._Z39paged_attention_ll4mi_QKV_mfma16_kernelI14__hip_bfloat16hLN4vllm18Fp8KVCacheDataTypeE1ES0_Li32ELi128ELi256ELb1ELi16EEvPKT_PKT0_S8_ifPKiSA_SA_iPKfiiiPfSD_PS3_PT2_iSC_SC_,"axG",@progbits,_Z39paged_attention_ll4mi_QKV_mfma16_kernelI14__hip_bfloat16hLN4vllm18Fp8KVCacheDataTypeE1ES0_Li32ELi128ELi256ELb1ELi16EEvPKT_PKT0_S8_ifPKiSA_SA_iPKfiiiPfSD_PS3_PT2_iSC_SC_,comdat
.Lfunc_end1383:
	.size	_Z39paged_attention_ll4mi_QKV_mfma16_kernelI14__hip_bfloat16hLN4vllm18Fp8KVCacheDataTypeE1ES0_Li32ELi128ELi256ELb1ELi16EEvPKT_PKT0_S8_ifPKiSA_SA_iPKfiiiPfSD_PS3_PT2_iSC_SC_, .Lfunc_end1383-_Z39paged_attention_ll4mi_QKV_mfma16_kernelI14__hip_bfloat16hLN4vllm18Fp8KVCacheDataTypeE1ES0_Li32ELi128ELi256ELb1ELi16EEvPKT_PKT0_S8_ifPKiSA_SA_iPKfiiiPfSD_PS3_PT2_iSC_SC_
                                        ; -- End function
	.section	.AMDGPU.csdata,"",@progbits
; Kernel info:
; codeLenInByte = 6644
; NumSgprs: 51
; NumVgprs: 84
; NumAgprs: 0
; TotalNumVgprs: 84
; ScratchSize: 0
; MemoryBound: 0
; FloatMode: 240
; IeeeMode: 1
; LDSByteSize: 8192 bytes/workgroup (compile time only)
; SGPRBlocks: 6
; VGPRBlocks: 10
; NumSGPRsForWavesPerEU: 51
; NumVGPRsForWavesPerEU: 84
; AccumOffset: 84
; Occupancy: 5
; WaveLimiterHint : 1
; COMPUTE_PGM_RSRC2:SCRATCH_EN: 0
; COMPUTE_PGM_RSRC2:USER_SGPR: 2
; COMPUTE_PGM_RSRC2:TRAP_HANDLER: 0
; COMPUTE_PGM_RSRC2:TGID_X_EN: 1
; COMPUTE_PGM_RSRC2:TGID_Y_EN: 1
; COMPUTE_PGM_RSRC2:TGID_Z_EN: 1
; COMPUTE_PGM_RSRC2:TIDIG_COMP_CNT: 0
; COMPUTE_PGM_RSRC3_GFX90A:ACCUM_OFFSET: 20
; COMPUTE_PGM_RSRC3_GFX90A:TG_SPLIT: 0
	.section	.text._Z39paged_attention_ll4mi_QKV_mfma16_kernelI14__hip_bfloat16hLN4vllm18Fp8KVCacheDataTypeE1ES0_Li32ELi128ELi256ELb1ELi1EEvPKT_PKT0_S8_ifPKiSA_SA_iPKfiiiPfSD_PS3_PT2_iSC_SC_,"axG",@progbits,_Z39paged_attention_ll4mi_QKV_mfma16_kernelI14__hip_bfloat16hLN4vllm18Fp8KVCacheDataTypeE1ES0_Li32ELi128ELi256ELb1ELi1EEvPKT_PKT0_S8_ifPKiSA_SA_iPKfiiiPfSD_PS3_PT2_iSC_SC_,comdat
	.protected	_Z39paged_attention_ll4mi_QKV_mfma16_kernelI14__hip_bfloat16hLN4vllm18Fp8KVCacheDataTypeE1ES0_Li32ELi128ELi256ELb1ELi1EEvPKT_PKT0_S8_ifPKiSA_SA_iPKfiiiPfSD_PS3_PT2_iSC_SC_ ; -- Begin function _Z39paged_attention_ll4mi_QKV_mfma16_kernelI14__hip_bfloat16hLN4vllm18Fp8KVCacheDataTypeE1ES0_Li32ELi128ELi256ELb1ELi1EEvPKT_PKT0_S8_ifPKiSA_SA_iPKfiiiPfSD_PS3_PT2_iSC_SC_
	.globl	_Z39paged_attention_ll4mi_QKV_mfma16_kernelI14__hip_bfloat16hLN4vllm18Fp8KVCacheDataTypeE1ES0_Li32ELi128ELi256ELb1ELi1EEvPKT_PKT0_S8_ifPKiSA_SA_iPKfiiiPfSD_PS3_PT2_iSC_SC_
	.p2align	8
	.type	_Z39paged_attention_ll4mi_QKV_mfma16_kernelI14__hip_bfloat16hLN4vllm18Fp8KVCacheDataTypeE1ES0_Li32ELi128ELi256ELb1ELi1EEvPKT_PKT0_S8_ifPKiSA_SA_iPKfiiiPfSD_PS3_PT2_iSC_SC_,@function
_Z39paged_attention_ll4mi_QKV_mfma16_kernelI14__hip_bfloat16hLN4vllm18Fp8KVCacheDataTypeE1ES0_Li32ELi128ELi256ELb1ELi1EEvPKT_PKT0_S8_ifPKiSA_SA_iPKfiiiPfSD_PS3_PT2_iSC_SC_: ; @_Z39paged_attention_ll4mi_QKV_mfma16_kernelI14__hip_bfloat16hLN4vllm18Fp8KVCacheDataTypeE1ES0_Li32ELi128ELi256ELb1ELi1EEvPKT_PKT0_S8_ifPKiSA_SA_iPKfiiiPfSD_PS3_PT2_iSC_SC_
; %bb.0:
	s_load_dwordx2 s[8:9], s[0:1], 0x30
	s_mov_b32 s33, s3
	s_mov_b64 s[6:7], 0
	s_waitcnt lgkmcnt(0)
	s_cmp_lg_u64 s[8:9], 0
	s_cselect_b64 s[10:11], -1, 0
	s_and_b64 vcc, exec, s[10:11]
	s_cbranch_vccz .LBB1384_7
; %bb.1:
	s_add_i32 s12, s2, 1
	s_mov_b32 s13, 0
	s_lshl_b64 s[14:15], s[12:13], 2
	s_add_u32 s14, s8, s14
	s_mov_b32 s3, s13
	s_addc_u32 s15, s9, s15
	s_lshl_b64 s[12:13], s[2:3], 2
	s_add_u32 s12, s8, s12
	s_addc_u32 s13, s9, s13
	s_load_dword s5, s[14:15], 0x0
	s_load_dword s16, s[12:13], 0x0
	s_waitcnt lgkmcnt(0)
	s_sub_i32 s5, s5, s16
	s_cmp_eq_u32 s5, 1
	s_cselect_b64 s[12:13], -1, 0
	s_andn2_b64 vcc, exec, s[6:7]
	s_cbranch_vccnz .LBB1384_3
.LBB1384_2:
	s_mov_b32 s3, 0
	s_mov_b64 s[12:13], -1
.LBB1384_3:
	s_andn2_b64 vcc, exec, s[12:13]
	s_cbranch_vccnz .LBB1384_19
; %bb.4:
	s_load_dwordx2 s[6:7], s[0:1], 0x28
	s_lshl_b64 s[12:13], s[2:3], 2
	s_waitcnt lgkmcnt(0)
	s_add_u32 s6, s6, s12
	s_addc_u32 s7, s7, s13
	s_load_dword s38, s[6:7], 0x0
	s_lshl_b32 s16, s33, 8
	s_waitcnt lgkmcnt(0)
	s_cmp_ge_i32 s16, s38
	s_cbranch_scc1 .LBB1384_19
; %bb.5:
	s_load_dwordx2 s[6:7], s[0:1], 0x20
	s_load_dword s5, s[0:1], 0x38
	s_add_i32 s14, s38, 31
	s_ashr_i32 s15, s14, 31
	v_and_b32_e32 v1, 0xcf, v0
	s_lshr_b32 s15, s15, 27
	v_add_u32_e32 v1, s16, v1
	s_add_i32 s14, s14, s15
	v_ashrrev_i32_e32 v2, 31, v1
	s_ashr_i32 s17, s14, 5
	v_lshrrev_b32_e32 v4, 27, v2
	s_add_i32 s17, s17, -1
	s_waitcnt lgkmcnt(0)
	s_mul_i32 s14, s2, s5
	s_mov_b32 s15, 0
	v_add_u32_e32 v2, v1, v4
	s_lshl_b64 s[14:15], s[14:15], 2
	v_ashrrev_i32_e32 v2, 5, v2
	v_mov_b32_e32 v5, s17
	v_cmp_gt_i32_e32 vcc, s38, v1
	s_add_u32 s6, s6, s14
	s_addc_u32 s7, s7, s15
	v_cndmask_b32_e32 v2, v5, v2, vcc
	v_ashrrev_i32_e32 v3, 31, v2
	v_lshl_add_u64 v[6:7], v[2:3], 2, s[6:7]
	v_or_b32_e32 v2, 16, v1
	v_add_u32_e32 v3, v2, v4
	v_ashrrev_i32_e32 v3, 5, v3
	v_cmp_gt_i32_e32 vcc, s38, v2
	s_load_dwordx2 s[14:15], s[0:1], 0x8
	s_nop 0
	v_cndmask_b32_e32 v2, v5, v3, vcc
	v_ashrrev_i32_e32 v3, 31, v2
	v_lshl_add_u64 v[8:9], v[2:3], 2, s[6:7]
	v_or_b32_e32 v2, 32, v1
	v_add_u32_e32 v3, v2, v4
	v_ashrrev_i32_e32 v3, 5, v3
	v_cmp_gt_i32_e32 vcc, s38, v2
	v_or_b32_e32 v1, 48, v1
	s_nop 0
	v_cndmask_b32_e32 v2, v5, v3, vcc
	v_ashrrev_i32_e32 v3, 31, v2
	v_lshl_add_u64 v[10:11], v[2:3], 2, s[6:7]
	v_add_u32_e32 v2, v1, v4
	v_ashrrev_i32_e32 v2, 5, v2
	v_cmp_gt_i32_e32 vcc, s38, v1
	s_nop 1
	v_cndmask_b32_e32 v2, v5, v2, vcc
	v_ashrrev_i32_e32 v3, 31, v2
	v_lshl_add_u64 v[12:13], v[2:3], 2, s[6:7]
	global_load_dword v5, v[6:7], off
	global_load_dword v4, v[8:9], off
	;; [unrolled: 1-line block ×4, first 2 shown]
	s_andn2_b64 vcc, exec, s[10:11]
	s_cbranch_vccnz .LBB1384_8
; %bb.6:
	s_add_u32 s8, s8, s12
	s_addc_u32 s9, s9, s13
	s_load_dword s5, s[8:9], 0x0
	s_branch .LBB1384_9
.LBB1384_7:
	s_mov_b64 s[12:13], 0
	s_branch .LBB1384_2
.LBB1384_8:
	s_mov_b32 s5, s2
.LBB1384_9:
	s_load_dwordx2 s[8:9], s[0:1], 0x10
	s_load_dwordx4 s[44:47], s[0:1], 0x48
	v_lshrrev_b32_e32 v59, 6, v0
	v_bfe_u32 v56, v0, 4, 2
	v_and_b32_e32 v57, 15, v0
	v_lshl_or_b32 v1, v59, 2, v56
	v_lshlrev_b32_e32 v6, 3, v57
	v_cmp_eq_u32_e32 vcc, 0, v1
	v_lshlrev_b32_e32 v1, 1, v6
	v_lshlrev_b32_e32 v58, 4, v0
	s_and_saveexec_b64 s[10:11], vcc
	s_cbranch_execz .LBB1384_11
; %bb.10:
	s_load_dwordx2 s[12:13], s[0:1], 0x0
	s_waitcnt lgkmcnt(0)
	s_ashr_i32 s18, s44, 31
	s_mul_hi_u32 s19, s5, s44
	s_mul_i32 s18, s5, s18
	s_add_i32 s19, s19, s18
	s_mul_i32 s18, s5, s44
	s_lshl_b64 s[18:19], s[18:19], 1
	s_add_u32 s5, s12, s18
	s_addc_u32 s18, s13, s19
	s_lshl_b32 s12, s4, 7
	s_ashr_i32 s13, s12, 31
	s_lshl_b64 s[12:13], s[12:13], 1
	s_add_u32 s12, s5, s12
	s_addc_u32 s13, s18, s13
	global_load_dwordx4 v[6:9], v1, s[12:13]
	v_lshlrev_b32_e32 v10, 8, v0
	v_lshlrev_b32_e32 v11, 8, v57
	v_and_b32_e32 v10, 0x600, v10
	v_and_b32_e32 v11, 0x800, v11
	;; [unrolled: 1-line block ×3, first 2 shown]
	v_or3_b32 v10, v11, v10, v12
	s_waitcnt vmcnt(0)
	ds_write_b128 v10, v[6:9]
.LBB1384_11:
	s_or_b64 exec, exec, s[10:11]
	s_waitcnt lgkmcnt(0)
	s_mul_i32 s12, s4, s46
	s_add_u32 s10, s14, s12
	s_addc_u32 s11, s15, 0
	v_mov_b32_e32 v51, 0
	v_mov_b64_e32 v[10:11], s[10:11]
	v_lshlrev_b32_e32 v8, 4, v57
	v_and_b32_e32 v52, 48, v0
	s_waitcnt vmcnt(3)
	v_mad_i64_i32 v[6:7], s[10:11], v5, s45, v[10:11]
	v_mov_b32_e32 v9, v51
	s_waitcnt vmcnt(2)
	v_mad_i64_i32 v[4:5], s[10:11], v4, s45, v[10:11]
	v_or_b32_e32 v12, 0x100, v8
	v_mov_b32_e32 v13, v51
	v_lshlrev_b32_e32 v50, 5, v52
	v_lshl_add_u64 v[6:7], v[6:7], 0, v[8:9]
	v_lshl_add_u64 v[4:5], v[4:5], 0, v[12:13]
	v_lshl_add_u64 v[6:7], v[6:7], 0, v[50:51]
	v_lshl_add_u64 v[4:5], v[4:5], 0, v[50:51]
	s_barrier
	global_load_dwordx4 v[46:49], v[6:7], off
	global_load_dwordx4 v[42:45], v[6:7], off offset:2048
	global_load_dwordx4 v[38:41], v[4:5], off
	global_load_dwordx4 v[18:21], v[4:5], off offset:2048
	s_waitcnt vmcnt(5)
	v_mad_i64_i32 v[4:5], s[10:11], v3, s45, v[10:11]
	s_waitcnt vmcnt(4)
	v_mad_i64_i32 v[2:3], s[10:11], v2, s45, v[10:11]
	v_lshl_add_u64 v[4:5], v[4:5], 0, v[8:9]
	v_lshl_add_u64 v[2:3], v[2:3], 0, v[12:13]
	;; [unrolled: 1-line block ×4, first 2 shown]
	global_load_dwordx4 v[6:9], v[4:5], off
	global_load_dwordx4 v[34:37], v[4:5], off offset:2048
	global_load_dwordx4 v[10:13], v[2:3], off
	global_load_dwordx4 v[22:25], v[2:3], off offset:2048
	v_lshlrev_b32_e32 v14, 9, v56
	ds_read_b128 v[30:33], v14
	ds_read_b128 v[2:5], v14 offset:16
	ds_read_b128 v[26:29], v14 offset:2048
	;; [unrolled: 1-line block ×3, first 2 shown]
	v_and_b32_e32 v60, 63, v0
	v_cmp_eq_u32_e32 vcc, 0, v57
	v_mov_b32_e32 v61, 0
	s_and_saveexec_b64 s[10:11], vcc
	s_cbranch_execz .LBB1384_13
; %bb.12:
	s_load_dwordx2 s[14:15], s[0:1], 0x40
	s_ashr_i32 s5, s4, 31
	s_lshl_b64 s[18:19], s[4:5], 2
	s_waitcnt lgkmcnt(0)
	s_add_u32 s14, s14, s18
	s_addc_u32 s15, s15, s19
	s_load_dword s5, s[14:15], 0x0
	s_waitcnt lgkmcnt(0)
	v_mov_b32_e32 v61, s5
.LBB1384_13:
	s_or_b64 exec, exec, s[10:11]
	s_ashr_i32 s5, s16, 31
	v_or_b32_e32 v50, s16, v52
	s_lshr_b32 s5, s5, 27
	v_add_u32_e32 v52, s5, v50
	v_or_b32_e32 v54, 64, v50
	v_ashrrev_i32_e32 v52, 5, v52
	v_mov_b32_e32 v66, s17
	v_cmp_gt_i32_e32 vcc, s38, v50
	v_add_u32_e32 v55, s5, v54
	v_or_b32_e32 v62, 0x80, v50
	v_cndmask_b32_e32 v52, v66, v52, vcc
	v_ashrrev_i32_e32 v55, 5, v55
	v_cmp_gt_i32_e32 vcc, s38, v54
	v_add_u32_e32 v63, s5, v62
	v_ashrrev_i32_e32 v63, 5, v63
	v_cndmask_b32_e32 v54, v66, v55, vcc
	v_cmp_gt_i32_e32 vcc, s38, v62
	s_waitcnt vmcnt(7)
	v_cvt_pk_f32_fp8_sdwa v[64:65], v46 src0_sel:WORD_1
	v_or_b32_e32 v50, 0xc0, v50
	v_cndmask_b32_e32 v62, v66, v63, vcc
	v_ashrrev_i32_e32 v63, 31, v62
	v_lshl_add_u64 v[72:73], v[62:63], 2, s[6:7]
	v_cvt_pk_f32_fp8_e32 v[62:63], v46
	v_add_u32_e32 v67, s5, v50
	s_mov_b32 s5, 0x7060302
	v_ashrrev_i32_e32 v67, 5, v67
	v_perm_b32 v62, v63, v62, s5
	v_perm_b32 v63, v65, v64, s5
	v_cvt_pk_f32_fp8_e32 v[64:65], v47
	v_cvt_pk_f32_fp8_sdwa v[46:47], v47 src0_sel:WORD_1
	v_cmp_gt_i32_e32 vcc, s38, v50
	v_ashrrev_i32_e32 v53, 31, v52
	v_perm_b32 v68, v65, v64, s5
	v_perm_b32 v69, v47, v46, s5
	s_waitcnt lgkmcnt(3)
	v_mfma_f32_16x16x16_bf16 v[62:65], v[62:63], v[30:31], 0
	v_cndmask_b32_e32 v66, v66, v67, vcc
	v_lshl_add_u64 v[52:53], v[52:53], 2, s[6:7]
	v_ashrrev_i32_e32 v55, 31, v54
	v_ashrrev_i32_e32 v67, 31, v66
	s_load_dword s10, s[0:1], 0x1c
	s_load_dwordx4 s[40:43], s[0:1], 0x80
	v_lshl_add_u64 v[54:55], v[54:55], 2, s[6:7]
	v_lshl_add_u64 v[76:77], v[66:67], 2, s[6:7]
	v_mfma_f32_16x16x16_bf16 v[68:71], v[68:69], v[32:33], v[62:65]
	s_nop 2
	global_load_dword v65, v[52:53], off
	global_load_dword v66, v[54:55], off
	;; [unrolled: 1-line block ×4, first 2 shown]
	v_cvt_pk_f32_fp8_e32 v[46:47], v48
	v_cvt_pk_f32_fp8_sdwa v[74:75], v48 src0_sel:WORD_1
	s_waitcnt vmcnt(10)
	v_cvt_pk_f32_fp8_e32 v[54:55], v42
	s_add_u32 s6, s8, s12
	v_perm_b32 v46, v47, v46, s5
	v_perm_b32 v47, v75, v74, s5
	v_cvt_pk_f32_fp8_e32 v[74:75], v49
	v_cvt_pk_f32_fp8_sdwa v[48:49], v49 src0_sel:WORD_1
	v_perm_b32 v54, v55, v54, s5
	s_addc_u32 s7, s9, 0
	v_perm_b32 v52, v75, v74, s5
	v_perm_b32 v53, v49, v48, s5
	s_waitcnt lgkmcnt(0)
	v_mfma_f32_16x16x16_bf16 v[46:49], v[46:47], v[2:3], v[68:71]
	v_and_b32_e32 v50, 16, v0
	v_lshl_or_b32 v62, v59, 4, v57
	s_waitcnt vmcnt(7)
	v_cvt_pk_f32_fp8_sdwa v[76:77], v9 src0_sel:WORD_1
	v_cvt_pk_f32_fp8_sdwa v[68:69], v42 src0_sel:WORD_1
	v_mfma_f32_16x16x16_bf16 v[46:49], v[52:53], v[4:5], v[46:49]
	v_cvt_pk_f32_fp8_e32 v[52:53], v43
	v_cvt_pk_f32_fp8_sdwa v[42:43], v43 src0_sel:WORD_1
	v_perm_b32 v55, v69, v68, s5
	v_cvt_pk_f32_fp8_e32 v[68:69], v44
	v_perm_b32 v52, v53, v52, s5
	v_cvt_pk_f32_fp8_sdwa v[70:71], v44 src0_sel:WORD_1
	v_perm_b32 v53, v43, v42, s5
	v_mfma_f32_16x16x16_bf16 v[46:49], v[54:55], v[26:27], v[46:49]
	v_perm_b32 v54, v69, v68, s5
	v_perm_b32 v55, v71, v70, s5
	v_cvt_pk_f32_fp8_e32 v[68:69], v45
	v_cvt_pk_f32_fp8_sdwa v[70:71], v45 src0_sel:WORD_1
	v_mfma_f32_16x16x16_bf16 v[42:45], v[52:53], v[28:29], v[46:49]
	v_cvt_pk_f32_fp8_sdwa v[52:53], v38 src0_sel:WORD_1
	s_nop 1
	v_perm_b32 v46, v69, v68, s5
	v_perm_b32 v47, v71, v70, s5
	v_mfma_f32_16x16x16_bf16 v[42:45], v[54:55], v[14:15], v[42:45]
	v_cvt_pk_f32_fp8_e32 v[48:49], v38
	v_cvt_pk_f32_fp8_e32 v[54:55], v40
	v_cvt_pk_f32_fp8_sdwa v[68:69], v40 src0_sel:WORD_1
	v_mfma_f32_16x16x16_bf16 v[42:45], v[46:47], v[16:17], v[42:45]
	v_cvt_pk_f32_fp8_e32 v[46:47], v39
	v_perm_b32 v48, v49, v48, s5
	v_perm_b32 v49, v53, v52, s5
	v_cvt_pk_f32_fp8_sdwa v[38:39], v39 src0_sel:WORD_1
	v_perm_b32 v52, v47, v46, s5
	v_mfma_f32_16x16x16_bf16 v[46:49], v[48:49], v[30:31], 0
	v_perm_b32 v53, v39, v38, s5
	v_perm_b32 v54, v55, v54, s5
	;; [unrolled: 1-line block ×3, first 2 shown]
	v_cvt_pk_f32_fp8_e32 v[68:69], v41
	v_cvt_pk_f32_fp8_sdwa v[70:71], v41 src0_sel:WORD_1
	v_mfma_f32_16x16x16_bf16 v[38:41], v[52:53], v[32:33], v[46:49]
	v_cvt_pk_f32_fp8_e32 v[52:53], v18
	v_perm_b32 v52, v53, v52, s5
	s_nop 0
	v_perm_b32 v48, v69, v68, s5
	v_perm_b32 v49, v71, v70, s5
	v_mfma_f32_16x16x16_bf16 v[38:41], v[54:55], v[2:3], v[38:41]
	v_cvt_pk_f32_fp8_sdwa v[54:55], v18 src0_sel:WORD_1
	v_cvt_pk_f32_fp8_sdwa v[68:69], v20 src0_sel:WORD_1
	v_lshl_add_u64 v[46:47], s[6:7], 0, v[50:51]
	v_mfma_f32_16x16x16_bf16 v[38:41], v[48:49], v[4:5], v[38:41]
	v_cvt_pk_f32_fp8_e32 v[48:49], v19
	v_perm_b32 v53, v55, v54, s5
	v_cvt_pk_f32_fp8_sdwa v[18:19], v19 src0_sel:WORD_1
	v_cvt_pk_f32_fp8_e32 v[54:55], v20
	v_perm_b32 v48, v49, v48, s5
	v_mfma_f32_16x16x16_bf16 v[38:41], v[52:53], v[26:27], v[38:41]
	v_perm_b32 v49, v19, v18, s5
	v_perm_b32 v52, v55, v54, s5
	;; [unrolled: 1-line block ×3, first 2 shown]
	v_cvt_pk_f32_fp8_e32 v[54:55], v21
	v_cvt_pk_f32_fp8_sdwa v[68:69], v21 src0_sel:WORD_1
	v_mfma_f32_16x16x16_bf16 v[18:21], v[48:49], v[28:29], v[38:41]
	v_cvt_pk_f32_fp8_e32 v[48:49], v6
	v_lshlrev_b32_e32 v50, 5, v62
	v_lshl_add_u64 v[72:73], v[46:47], 0, v[50:51]
	v_perm_b32 v38, v55, v54, s5
	v_perm_b32 v39, v69, v68, s5
	v_mfma_f32_16x16x16_bf16 v[18:21], v[52:53], v[14:15], v[18:21]
	v_cvt_pk_f32_fp8_sdwa v[52:53], v6 src0_sel:WORD_1
	v_cvt_pk_f32_fp8_sdwa v[68:69], v8 src0_sel:WORD_1
	s_waitcnt vmcnt(2)
	v_mad_i64_i32 v[70:71], s[6:7], v66, s45, v[72:73]
	v_mfma_f32_16x16x16_bf16 v[38:41], v[38:39], v[16:17], v[18:21]
	v_perm_b32 v75, v69, v68, s5
	v_cvt_pk_f32_fp8_e32 v[68:69], v9
	v_or_b32_e32 v50, 0x800, v50
	v_perm_b32 v18, v49, v48, s5
	v_perm_b32 v19, v53, v52, s5
	v_cvt_pk_f32_fp8_e32 v[20:21], v7
	v_cvt_pk_f32_fp8_sdwa v[6:7], v7 src0_sel:WORD_1
	v_mad_i64_i32 v[48:49], s[6:7], v65, s45, v[72:73]
	v_perm_b32 v52, v21, v20, s5
	v_perm_b32 v53, v7, v6, s5
	v_cvt_pk_f32_fp8_e32 v[6:7], v8
	v_mfma_f32_16x16x16_bf16 v[18:21], v[18:19], v[30:31], 0
	v_lshl_add_u64 v[46:47], v[46:47], 0, v[50:51]
	v_perm_b32 v74, v7, v6, s5
	v_mfma_f32_16x16x16_bf16 v[52:55], v[52:53], v[32:33], v[18:21]
	s_nop 3
	global_load_dwordx4 v[18:21], v[48:49], off
	global_load_dwordx4 v[6:9], v[70:71], off
	v_perm_b32 v48, v69, v68, s5
	v_perm_b32 v49, v77, v76, s5
	v_mfma_f32_16x16x16_bf16 v[68:71], v[74:75], v[2:3], v[52:55]
	v_cvt_pk_f32_fp8_e32 v[74:75], v35
	v_cvt_pk_f32_fp8_sdwa v[76:77], v37 src0_sel:WORD_1
	s_waitcnt vmcnt(3)
	v_mad_i64_i32 v[52:53], s[6:7], v63, s45, v[72:73]
	s_waitcnt vmcnt(2)
	v_mad_i64_i32 v[54:55], s[6:7], v64, s45, v[72:73]
	v_mfma_f32_16x16x16_bf16 v[68:71], v[48:49], v[4:5], v[68:71]
	v_cvt_pk_f32_fp8_e32 v[48:49], v34
	v_cvt_pk_f32_fp8_sdwa v[72:73], v34 src0_sel:WORD_1
	v_cvt_pk_f32_fp8_sdwa v[34:35], v35 src0_sel:WORD_1
	v_perm_b32 v51, v77, v76, s5
	v_perm_b32 v48, v49, v48, s5
	;; [unrolled: 1-line block ×5, first 2 shown]
	v_cvt_pk_f32_fp8_e32 v[34:35], v36
	v_cvt_pk_f32_fp8_sdwa v[74:75], v36 src0_sel:WORD_1
	v_mfma_f32_16x16x16_bf16 v[68:71], v[48:49], v[26:27], v[68:71]
	s_load_dword s6, s[40:41], 0x0
	v_perm_b32 v48, v35, v34, s5
	v_perm_b32 v49, v75, v74, s5
	v_cvt_pk_f32_fp8_e32 v[74:75], v37
	v_mfma_f32_16x16x16_bf16 v[34:37], v[72:73], v[28:29], v[68:71]
	v_cvt_pk_f32_fp8_sdwa v[72:73], v12 src0_sel:WORD_1
	s_mov_b32 s40, 0xff7fffff
	v_perm_b32 v50, v75, v74, s5
	v_mfma_f32_16x16x16_bf16 v[34:37], v[48:49], v[14:15], v[34:37]
	v_cvt_pk_f32_fp8_e32 v[48:49], v10
	v_cvt_pk_f32_fp8_sdwa v[68:69], v10 src0_sel:WORD_1
	v_cvt_pk_f32_fp8_e32 v[70:71], v12
	v_mfma_f32_16x16x16_bf16 v[34:37], v[50:51], v[16:17], v[34:37]
	v_cvt_pk_f32_fp8_e32 v[50:51], v11
	v_perm_b32 v48, v49, v48, s5
	v_perm_b32 v49, v69, v68, s5
	v_cvt_pk_f32_fp8_sdwa v[10:11], v11 src0_sel:WORD_1
	v_perm_b32 v68, v51, v50, s5
	v_mfma_f32_16x16x16_bf16 v[48:51], v[48:49], v[30:31], 0
	v_perm_b32 v69, v11, v10, s5
	v_perm_b32 v30, v71, v70, s5
	;; [unrolled: 1-line block ×3, first 2 shown]
	v_cvt_pk_f32_fp8_e32 v[70:71], v13
	v_cvt_pk_f32_fp8_sdwa v[72:73], v13 src0_sel:WORD_1
	v_mfma_f32_16x16x16_bf16 v[10:13], v[68:69], v[32:33], v[48:51]
	v_cvt_pk_f32_fp8_e32 v[68:69], v24
	v_perm_b32 v32, v71, v70, s5
	v_perm_b32 v33, v73, v72, s5
	v_mfma_f32_16x16x16_bf16 v[10:13], v[30:31], v[2:3], v[10:13]
	v_mov_b32_e32 v48, s10
	s_waitcnt lgkmcnt(0)
	v_mul_f32_e32 v50, s6, v48
	v_pk_mul_f32 v[48:49], v[50:51], v[44:45] op_sel_hi:[0,1]
	v_pk_mul_f32 v[30:31], v[50:51], v[42:43] op_sel_hi:[0,1]
	v_mfma_f32_16x16x16_bf16 v[42:45], v[32:33], v[4:5], v[10:13]
	v_cvt_pk_f32_fp8_e32 v[2:3], v22
	v_cvt_pk_f32_fp8_sdwa v[4:5], v22 src0_sel:WORD_1
	v_cvt_pk_f32_fp8_sdwa v[70:71], v24 src0_sel:WORD_1
	v_cvt_pk_f32_fp8_e32 v[10:11], v23
	v_cvt_pk_f32_fp8_sdwa v[12:13], v23 src0_sel:WORD_1
	v_perm_b32 v22, v3, v2, s5
	v_perm_b32 v23, v5, v4, s5
	;; [unrolled: 1-line block ×4, first 2 shown]
	v_mfma_f32_16x16x16_bf16 v[42:45], v[22:23], v[26:27], v[42:45]
	global_load_dwordx4 v[10:13], v[52:53], off
	global_load_dwordx4 v[2:5], v[54:55], off
	v_perm_b32 v26, v69, v68, s5
	v_perm_b32 v27, v71, v70, s5
	v_cvt_pk_f32_fp8_e32 v[52:53], v25
	v_cvt_pk_f32_fp8_sdwa v[54:55], v25 src0_sel:WORD_1
	v_mfma_f32_16x16x16_bf16 v[22:25], v[32:33], v[28:29], v[42:45]
	v_pk_mul_f32 v[40:41], v[50:51], v[40:41] op_sel_hi:[0,1]
	v_perm_b32 v28, v53, v52, s5
	v_perm_b32 v29, v55, v54, s5
	v_mfma_f32_16x16x16_bf16 v[22:25], v[26:27], v[14:15], v[22:25]
	v_pk_mul_f32 v[44:45], v[50:51], v[38:39] op_sel_hi:[0,1]
	v_pk_mul_f32 v[38:39], v[50:51], v[36:37] op_sel_hi:[0,1]
	;; [unrolled: 1-line block ×3, first 2 shown]
	v_mfma_f32_16x16x16_bf16 v[14:17], v[28:29], v[16:17], v[22:25]
	s_nop 6
	v_pk_mul_f32 v[36:37], v[50:51], v[14:15] op_sel_hi:[0,1]
	v_and_b32_e32 v14, 0xc0, v0
	v_add_u32_e32 v14, s16, v14
	v_lshl_or_b32 v14, v56, 2, v14
	v_or_b32_e32 v15, 1, v14
	v_pk_mul_f32 v[34:35], v[50:51], v[16:17] op_sel_hi:[0,1]
	v_subrev_u32_e32 v16, s38, v15
	v_add_u32_e32 v22, 1, v16
	v_add_u32_e32 v23, 2, v16
	v_cvt_f32_i32_e32 v17, v16
	v_cvt_f32_i32_e32 v22, v22
	;; [unrolled: 1-line block ×3, first 2 shown]
	v_add_u32_e32 v24, 3, v16
	v_fma_f32 v28, v61, v17, v30
	v_fmac_f32_e32 v31, v61, v22
	v_fma_f32 v29, v61, v23, v48
	v_add_u32_e32 v17, 16, v16
	v_add_u32_e32 v22, 17, v16
	v_add_u32_e32 v23, 18, v16
	v_cvt_f32_i32_e32 v24, v24
	v_cvt_f32_i32_e32 v17, v17
	;; [unrolled: 1-line block ×4, first 2 shown]
	v_fmac_f32_e32 v49, v61, v24
	v_add_u32_e32 v24, 19, v16
	v_fma_f32 v44, v61, v17, v44
	v_fmac_f32_e32 v45, v61, v22
	v_fma_f32 v40, v61, v23, v40
	v_add_u32_e32 v17, 32, v16
	v_add_u32_e32 v22, 33, v16
	v_add_u32_e32 v23, 34, v16
	v_cvt_f32_i32_e32 v24, v24
	v_cvt_f32_i32_e32 v17, v17
	;; [unrolled: 1-line block ×4, first 2 shown]
	v_fmac_f32_e32 v41, v61, v24
	v_add_u32_e32 v24, 35, v16
	v_fma_f32 v42, v61, v17, v42
	v_fmac_f32_e32 v43, v61, v22
	v_fma_f32 v38, v61, v23, v38
	v_add_u32_e32 v17, 48, v16
	v_add_u32_e32 v22, 49, v16
	;; [unrolled: 1-line block ×4, first 2 shown]
	v_cvt_f32_i32_e32 v16, v16
	v_cvt_f32_i32_e32 v17, v17
	;; [unrolled: 1-line block ×3, first 2 shown]
	v_cmp_gt_i32_e64 s[36:37], s38, v14
	v_fmac_f32_e32 v35, v61, v16
	v_mov_b32_e32 v16, 0xff7fffff
	v_cmp_gt_i32_e64 s[24:25], s38, v15
	v_fma_f32 v36, v61, v17, v36
	v_cndmask_b32_e64 v17, v16, v28, s[36:37]
	v_cndmask_b32_e64 v15, v16, v31, s[24:25]
	v_fmac_f32_e32 v37, v61, v22
	v_max3_f32 v15, v17, s40, v15
	v_or_b32_e32 v17, 2, v14
	v_or_b32_e32 v22, 3, v14
	v_cmp_gt_i32_e64 s[28:29], s38, v17
	v_cmp_gt_i32_e64 s[34:35], s38, v22
	v_cvt_f32_i32_e32 v24, v24
	v_cndmask_b32_e64 v17, v16, v29, s[28:29]
	v_cndmask_b32_e64 v22, v16, v49, s[34:35]
	v_max3_f32 v15, v15, v17, v22
	v_or_b32_e32 v17, 16, v14
	v_or_b32_e32 v22, 17, v14
	v_cmp_gt_i32_e64 s[18:19], s38, v17
	v_cmp_gt_i32_e64 s[22:23], s38, v22
	v_fmac_f32_e32 v39, v61, v24
	v_cndmask_b32_e64 v17, v16, v44, s[18:19]
	v_cndmask_b32_e64 v22, v16, v45, s[22:23]
	v_max3_f32 v15, v15, v17, v22
	v_or_b32_e32 v17, 18, v14
	v_or_b32_e32 v22, 19, v14
	v_cmp_gt_i32_e64 s[26:27], s38, v17
	v_cmp_gt_i32_e64 s[30:31], s38, v22
	v_cvt_f32_i32_e32 v23, v23
	v_cndmask_b32_e64 v17, v16, v40, s[26:27]
	v_cndmask_b32_e64 v22, v16, v41, s[30:31]
	v_max3_f32 v15, v15, v17, v22
	v_or_b32_e32 v17, 32, v14
	v_or_b32_e32 v22, 33, v14
	v_cmp_gt_i32_e64 s[12:13], s38, v17
	v_cmp_gt_i32_e64 s[14:15], s38, v22
	v_fma_f32 v34, v61, v23, v34
	v_cndmask_b32_e64 v17, v16, v42, s[12:13]
	v_cndmask_b32_e64 v22, v16, v43, s[14:15]
	v_max3_f32 v15, v15, v17, v22
	v_or_b32_e32 v17, 34, v14
	v_or_b32_e32 v22, 35, v14
	v_cmp_gt_i32_e64 s[16:17], s38, v17
	v_cmp_gt_i32_e64 s[20:21], s38, v22
	s_nop 0
	v_cndmask_b32_e64 v17, v16, v38, s[16:17]
	v_cndmask_b32_e64 v22, v16, v39, s[20:21]
	v_max3_f32 v15, v15, v17, v22
	v_or_b32_e32 v17, 48, v14
	v_or_b32_e32 v22, 49, v14
	v_cmp_gt_i32_e64 s[8:9], s38, v17
	v_cmp_gt_i32_e64 s[10:11], s38, v22
	s_nop 0
	v_cndmask_b32_e64 v17, v16, v36, s[8:9]
	v_cndmask_b32_e64 v22, v16, v37, s[10:11]
	v_max3_f32 v15, v15, v17, v22
	v_or_b32_e32 v17, 50, v14
	v_or_b32_e32 v14, 51, v14
	v_cmp_gt_i32_e32 vcc, s38, v17
	v_cmp_gt_i32_e64 s[6:7], s38, v14
	s_nop 0
	v_cndmask_b32_e32 v17, v16, v34, vcc
	v_cndmask_b32_e64 v14, v16, v35, s[6:7]
	v_max3_f32 v22, v15, v17, v14
	v_mbcnt_lo_u32_b32 v14, -1, 0
	v_mbcnt_hi_u32_b32 v23, -1, v14
	v_and_b32_e32 v14, 64, v23
	v_add_u32_e32 v24, 64, v14
	v_xor_b32_e32 v14, 32, v23
	v_cmp_lt_i32_e64 s[38:39], v14, v24
	s_nop 1
	v_cndmask_b32_e64 v14, v23, v14, s[38:39]
	v_lshlrev_b32_e32 v51, 2, v14
	ds_bpermute_b32 v25, v51, v22
	v_mad_i64_i32 v[14:15], s[38:39], v65, s45, v[46:47]
	v_mad_i64_i32 v[16:17], s[38:39], v66, s45, v[46:47]
	s_waitcnt lgkmcnt(0)
	v_max_f32_e32 v25, v25, v25
	v_max_f32_e32 v22, v22, v25
	v_xor_b32_e32 v25, 16, v23
	v_cmp_lt_i32_e64 s[38:39], v25, v24
	s_nop 1
	v_cndmask_b32_e64 v23, v23, v25, s[38:39]
	v_lshlrev_b32_e32 v54, 2, v23
	ds_bpermute_b32 v23, v54, v22
	v_mad_i64_i32 v[26:27], s[38:39], v63, s45, v[46:47]
	v_mad_i64_i32 v[52:53], s[38:39], v64, s45, v[46:47]
	s_waitcnt lgkmcnt(0)
	v_max_f32_e32 v23, v23, v23
	v_max_f32_e32 v50, v22, v23
	v_sub_f32_e32 v46, v31, v50
	global_load_dwordx4 v[30:33], v[14:15], off
	global_load_dwordx4 v[22:25], v[16:17], off
	v_sub_f32_e32 v14, v28, v50
	v_mul_f32_e32 v14, 0x3fb8aa3b, v14
	v_mul_f32_e32 v15, 0x3fb8aa3b, v46
	v_exp_f32_e32 v14, v14
	v_exp_f32_e32 v47, v15
	v_sub_f32_e32 v15, v29, v50
	v_mul_f32_e32 v15, 0x3fb8aa3b, v15
	v_exp_f32_e32 v48, v15
	v_sub_f32_e32 v15, v49, v50
	v_mul_f32_e32 v15, 0x3fb8aa3b, v15
	v_exp_f32_e32 v49, v15
	v_cndmask_b32_e64 v46, 0, v14, s[36:37]
	global_load_dwordx4 v[26:29], v[26:27], off
	s_nop 0
	global_load_dwordx4 v[14:17], v[52:53], off
	v_sub_f32_e32 v44, v44, v50
	v_sub_f32_e32 v40, v40, v50
	v_mul_f32_e32 v44, 0x3fb8aa3b, v44
	v_mul_f32_e32 v40, 0x3fb8aa3b, v40
	v_exp_f32_e32 v44, v44
	v_exp_f32_e32 v52, v40
	v_sub_f32_e32 v45, v45, v50
	v_sub_f32_e32 v40, v41, v50
	;; [unrolled: 1-line block ×4, first 2 shown]
	v_mul_f32_e32 v45, 0x3fb8aa3b, v45
	v_mul_f32_e32 v40, 0x3fb8aa3b, v40
	;; [unrolled: 1-line block ×4, first 2 shown]
	v_exp_f32_e32 v45, v45
	v_exp_f32_e32 v53, v40
	v_cndmask_b32_e64 v40, 0, v44, s[18:19]
	v_cndmask_b32_e64 v44, 0, v52, s[26:27]
	v_exp_f32_e32 v42, v42
	v_exp_f32_e32 v52, v38
	v_sub_f32_e32 v38, v39, v50
	v_mul_f32_e32 v38, 0x3fb8aa3b, v38
	v_cndmask_b32_e64 v47, 0, v47, s[24:25]
	v_cndmask_b32_e64 v41, 0, v45, s[22:23]
	;; [unrolled: 1-line block ×3, first 2 shown]
	v_exp_f32_e32 v53, v38
	v_cndmask_b32_e64 v38, 0, v42, s[12:13]
	v_cndmask_b32_e64 v42, 0, v52, s[16:17]
	v_add_f32_e32 v52, 0, v46
	v_cndmask_b32_e64 v48, 0, v48, s[28:29]
	v_add_f32_e32 v52, v52, v47
	v_cndmask_b32_e64 v49, 0, v49, s[34:35]
	v_sub_f32_e32 v43, v43, v50
	v_add_f32_e32 v52, v52, v48
	v_mul_f32_e32 v43, 0x3fb8aa3b, v43
	v_add_f32_e32 v52, v52, v49
	v_exp_f32_e32 v43, v43
	v_add_f32_e32 v52, v52, v40
	v_add_f32_e32 v52, v52, v41
	v_sub_f32_e32 v36, v36, v50
	v_add_f32_e32 v52, v52, v44
	v_mul_f32_e32 v36, 0x3fb8aa3b, v36
	v_sub_f32_e32 v37, v37, v50
	v_add_f32_e32 v52, v52, v45
	v_exp_f32_e32 v36, v36
	v_mul_f32_e32 v37, 0x3fb8aa3b, v37
	v_sub_f32_e32 v34, v34, v50
	v_cndmask_b32_e64 v39, 0, v43, s[14:15]
	v_add_f32_e32 v52, v52, v38
	v_exp_f32_e32 v37, v37
	v_mul_f32_e32 v34, 0x3fb8aa3b, v34
	v_sub_f32_e32 v35, v35, v50
	v_add_f32_e32 v52, v52, v39
	v_exp_f32_e32 v34, v34
	v_mul_f32_e32 v35, 0x3fb8aa3b, v35
	v_cndmask_b32_e64 v43, 0, v53, s[20:21]
	v_add_f32_e32 v52, v52, v42
	v_exp_f32_e32 v35, v35
	v_add_f32_e32 v52, v52, v43
	v_cndmask_b32_e64 v36, 0, v36, s[8:9]
	v_add_f32_e32 v52, v52, v36
	v_cndmask_b32_e64 v37, 0, v37, s[10:11]
	v_add_f32_e32 v52, v52, v37
	v_cndmask_b32_e32 v34, 0, v34, vcc
	v_add_f32_e32 v52, v52, v34
	v_cndmask_b32_e64 v35, 0, v35, s[6:7]
	v_add_f32_e32 v52, v52, v35
	ds_bpermute_b32 v51, v51, v52
	v_cmp_lt_u32_e64 s[6:7], 15, v60
	v_cmp_gt_u32_e32 vcc, 16, v60
	s_waitcnt lgkmcnt(0)
	s_barrier
	v_add_f32_e32 v51, v52, v51
	ds_bpermute_b32 v52, v54, v51
	s_waitcnt lgkmcnt(0)
	s_and_saveexec_b64 s[8:9], vcc
	s_cbranch_execz .LBB1384_15
; %bb.14:
	v_add_f32_e32 v51, v51, v52
	v_lshlrev_b32_e32 v52, 2, v62
	ds_write2st64_b32 v52, v50, v51 offset1:1
.LBB1384_15:
	s_or_b64 exec, exec, s[8:9]
	v_lshlrev_b32_e32 v51, 2, v57
	s_load_dwordx2 s[8:9], s[0:1], 0x94
	s_waitcnt lgkmcnt(0)
	s_barrier
	ds_read2_b32 v[52:53], v51 offset1:16
	ds_read2_b32 v[54:55], v51 offset0:32 offset1:48
	ds_read2_b32 v[60:61], v51 offset0:64 offset1:80
	s_movk_i32 s12, 0x7fff
	s_waitcnt lgkmcnt(2)
	v_max3_f32 v50, v52, s40, v53
	s_waitcnt lgkmcnt(1)
	v_max3_f32 v50, v50, v54, v55
	v_sub_f32_e32 v52, v52, v50
	v_mul_f32_e32 v52, 0x3fb8aa3b, v52
	v_exp_f32_e32 v62, v52
	v_sub_f32_e32 v52, v53, v50
	v_mul_f32_e32 v52, 0x3fb8aa3b, v52
	v_exp_f32_e32 v63, v52
	;; [unrolled: 3-line block ×3, first 2 shown]
	ds_read2_b32 v[52:53], v51 offset0:96 offset1:112
	v_sub_f32_e32 v51, v55, v50
	v_mul_f32_e32 v51, 0x3fb8aa3b, v51
	v_exp_f32_e32 v55, v51
	s_waitcnt lgkmcnt(1)
	v_fma_f32 v51, v62, v60, 0
	v_fmac_f32_e32 v51, v63, v61
	s_waitcnt lgkmcnt(0)
	v_fmac_f32_e32 v51, v54, v52
	v_fmac_f32_e32 v51, v55, v53
	v_add_f32_e32 v53, 0x358637bd, v51
	v_div_scale_f32 v60, s[10:11], v53, v53, 1.0
	v_rcp_f32_e32 v61, v60
	s_barrier
	v_fma_f32 v64, -v60, v61, 1.0
	v_fmac_f32_e32 v61, v64, v61
	v_div_scale_f32 v64, vcc, 1.0, v53, 1.0
	v_mul_f32_e32 v65, v64, v61
	v_fma_f32 v66, -v60, v65, v64
	v_fmac_f32_e32 v65, v66, v61
	v_fma_f32 v60, -v60, v65, v64
	v_div_fmas_f32 v60, v60, v61, v65
	v_cmp_eq_u32_e32 vcc, 1, v59
	v_div_fixup_f32 v53, v60, v53, 1.0
	v_mov_b32_e32 v52, 0
	v_cndmask_b32_e32 v60, v62, v63, vcc
	v_cmp_eq_u32_e32 vcc, 2, v59
	s_nop 1
	v_cndmask_b32_e32 v54, v60, v54, vcc
	v_cmp_eq_u32_e32 vcc, 3, v59
	s_nop 1
	v_cndmask_b32_e32 v54, v54, v55, vcc
	v_mul_f32_e32 v60, v54, v53
	v_pk_mul_f32 v[46:47], v[60:61], v[46:47] op_sel_hi:[0,1]
	v_bfe_u32 v53, v47, 16, 1
	v_bfe_u32 v54, v46, 16, 1
	v_pk_mul_f32 v[48:49], v[60:61], v[48:49] op_sel_hi:[0,1]
	v_add3_u32 v46, v46, v54, s12
	v_add3_u32 v47, v47, v53, s12
	v_perm_b32 v62, v47, v46, s5
	v_bfe_u32 v46, v49, 16, 1
	v_bfe_u32 v47, v48, 16, 1
	v_add3_u32 v47, v48, v47, s12
	v_add3_u32 v46, v49, v46, s12
	v_perm_b32 v63, v46, v47, s5
	v_lshlrev_b32_e32 v47, 3, v56
	v_lshlrev_b32_e32 v46, 5, v57
	;; [unrolled: 1-line block ×3, first 2 shown]
	v_pk_mul_f32 v[40:41], v[60:61], v[40:41] op_sel_hi:[0,1]
	v_or3_b32 v54, v48, v46, v47
	v_bfe_u32 v47, v41, 16, 1
	v_bfe_u32 v48, v40, 16, 1
	v_pk_mul_f32 v[44:45], v[60:61], v[44:45] op_sel_hi:[0,1]
	v_add3_u32 v40, v40, v48, s12
	v_add3_u32 v41, v41, v47, s12
	v_perm_b32 v40, v41, v40, s5
	v_bfe_u32 v41, v45, 16, 1
	v_bfe_u32 v47, v44, 16, 1
	v_add3_u32 v44, v44, v47, s12
	v_add3_u32 v41, v45, v41, s12
	v_perm_b32 v41, v41, v44, s5
	v_pk_mul_f32 v[38:39], v[60:61], v[38:39] op_sel_hi:[0,1]
	ds_write2st64_b64 v54, v[62:63], v[40:41] offset1:1
	v_pk_mul_f32 v[40:41], v[60:61], v[42:43] op_sel_hi:[0,1]
	v_bfe_u32 v42, v39, 16, 1
	v_bfe_u32 v43, v38, 16, 1
	v_add3_u32 v38, v38, v43, s12
	v_add3_u32 v39, v39, v42, s12
	v_perm_b32 v38, v39, v38, s5
	v_bfe_u32 v39, v41, 16, 1
	v_bfe_u32 v42, v40, 16, 1
	v_add3_u32 v40, v40, v42, s12
	v_add3_u32 v39, v41, v39, s12
	v_pk_mul_f32 v[36:37], v[60:61], v[36:37] op_sel_hi:[0,1]
	v_perm_b32 v39, v39, v40, s5
	v_bfe_u32 v40, v37, 16, 1
	v_bfe_u32 v41, v36, 16, 1
	v_pk_mul_f32 v[34:35], v[60:61], v[34:35] op_sel_hi:[0,1]
	v_add3_u32 v36, v36, v41, s12
	v_add3_u32 v37, v37, v40, s12
	v_perm_b32 v36, v37, v36, s5
	v_bfe_u32 v37, v35, 16, 1
	v_bfe_u32 v40, v34, 16, 1
	v_add3_u32 v34, v34, v40, s12
	v_add3_u32 v35, v35, v37, s12
	v_perm_b32 v37, v35, v34, s5
	v_cmp_eq_u32_e32 vcc, 0, v0
	ds_write2st64_b64 v54, v[38:39], v[36:37] offset0:2 offset1:3
	s_and_saveexec_b64 s[10:11], vcc
	s_cbranch_execz .LBB1384_17
; %bb.16:
	s_mul_i32 s3, s3, s9
	s_mul_hi_u32 s5, s2, s9
	s_add_i32 s5, s5, s3
	s_mul_i32 s3, s2, s9
	s_add_u32 s3, s3, s4
	s_addc_u32 s5, s5, 0
	s_load_dwordx4 s[16:19], s[0:1], 0x58
	s_mul_i32 s5, s5, s8
	s_mul_hi_u32 s13, s3, s8
	s_add_i32 s13, s13, s5
	s_mul_i32 s3, s3, s8
	s_add_u32 s14, s3, s33
	s_addc_u32 s15, s13, 0
	s_lshl_b64 s[14:15], s[14:15], 2
	s_waitcnt lgkmcnt(0)
	s_add_u32 s18, s18, s14
	s_addc_u32 s19, s19, s15
	s_add_u32 s14, s16, s14
	s_addc_u32 s15, s17, s15
	global_store_dword v52, v50, s[18:19]
	global_store_dword v52, v51, s[14:15]
.LBB1384_17:
	s_or_b64 exec, exec, s[10:11]
	s_waitcnt vmcnt(7)
	v_cvt_pk_f32_fp8_e32 v[34:35], v18
	v_cvt_pk_f32_fp8_sdwa v[36:37], v18 src0_sel:WORD_1
	v_lshl_or_b32 v50, v56, 9, v46
	s_mov_b32 s5, 0x7060302
	s_waitcnt lgkmcnt(0)
	s_barrier
	v_cvt_pk_f32_fp8_e32 v[38:39], v19
	v_perm_b32 v18, v35, v34, s5
	v_cvt_pk_f32_fp8_sdwa v[40:41], v19 src0_sel:WORD_1
	v_perm_b32 v19, v37, v36, s5
	ds_read_b128 v[34:37], v50
	v_perm_b32 v46, v39, v38, s5
	v_perm_b32 v47, v41, v40, s5
	ds_read_b128 v[38:41], v50 offset:16
	v_cvt_pk_f32_fp8_e32 v[48:49], v20
	v_cvt_pk_f32_fp8_sdwa v[52:53], v20 src0_sel:WORD_1
	s_waitcnt lgkmcnt(1)
	v_mfma_f32_16x16x16_bf16 v[42:45], v[18:19], v[34:35], 0
	s_waitcnt vmcnt(6)
	v_cvt_pk_f32_fp8_e32 v[60:61], v8
	v_perm_b32 v18, v49, v48, s5
	v_perm_b32 v19, v53, v52, s5
	v_cvt_pk_f32_fp8_e32 v[48:49], v21
	v_mfma_f32_16x16x16_bf16 v[42:45], v[46:47], v[36:37], v[42:45]
	v_cvt_pk_f32_fp8_sdwa v[46:47], v21 src0_sel:WORD_1
	v_cvt_pk_f32_fp8_sdwa v[62:63], v8 src0_sel:WORD_1
	v_perm_b32 v48, v49, v48, s5
	s_waitcnt lgkmcnt(0)
	v_mfma_f32_16x16x16_bf16 v[18:21], v[18:19], v[38:39], v[42:45]
	v_perm_b32 v49, v47, v46, s5
	s_waitcnt vmcnt(5)
	v_cvt_pk_f32_fp8_e32 v[64:65], v12
	v_cvt_pk_f32_fp8_sdwa v[66:67], v12 src0_sel:WORD_1
	v_cvt_pk_f32_fp8_e32 v[42:43], v6
	v_mfma_f32_16x16x16_bf16 v[46:49], v[48:49], v[40:41], v[18:21]
	s_waitcnt vmcnt(4)
	v_cvt_pk_f32_fp8_sdwa v[68:69], v4 src0_sel:WORD_1
	s_load_dword s10, s[42:43], 0x0
	v_cvt_pk_f32_fp8_sdwa v[18:19], v6 src0_sel:WORD_1
	v_cvt_pk_f32_fp8_e32 v[20:21], v7
	v_perm_b32 v6, v43, v42, s5
	v_cvt_pk_f32_fp8_sdwa v[42:43], v7 src0_sel:WORD_1
	v_perm_b32 v7, v19, v18, s5
	v_perm_b32 v52, v21, v20, s5
	ds_read_b128 v[18:21], v50 offset:2048
	v_perm_b32 v53, v43, v42, s5
	ds_read_b128 v[42:45], v50 offset:2064
	s_waitcnt lgkmcnt(0)
	v_mfma_f32_16x16x16_bf16 v[46:49], v[6:7], v[18:19], v[46:49]
	v_perm_b32 v6, v61, v60, s5
	v_perm_b32 v7, v63, v62, s5
	v_cvt_pk_f32_fp8_e32 v[60:61], v9
	v_mfma_f32_16x16x16_bf16 v[46:49], v[52:53], v[20:21], v[46:49]
	v_cvt_pk_f32_fp8_sdwa v[52:53], v9 src0_sel:WORD_1
	s_waitcnt vmcnt(3)
	v_cvt_pk_f32_fp8_sdwa v[70:71], v32 src0_sel:WORD_1
	v_perm_b32 v60, v61, v60, s5
	v_mfma_f32_16x16x16_bf16 v[6:9], v[6:7], v[42:43], v[46:49]
	v_perm_b32 v61, v53, v52, s5
	v_cmp_gt_u32_e32 vcc, 64, v0
	s_xor_b64 s[6:7], s[6:7], -1
	v_cvt_pk_f32_fp8_e32 v[46:47], v10
	v_mfma_f32_16x16x16_bf16 v[60:63], v[60:61], v[44:45], v[6:9]
	s_mov_b32 s3, 0
	s_and_b64 s[6:7], vcc, s[6:7]
	s_nop 0
	v_cvt_pk_f32_fp8_sdwa v[6:7], v10 src0_sel:WORD_1
	v_cvt_pk_f32_fp8_e32 v[8:9], v11
	v_perm_b32 v10, v47, v46, s5
	v_cvt_pk_f32_fp8_sdwa v[46:47], v11 src0_sel:WORD_1
	v_perm_b32 v11, v7, v6, s5
	v_perm_b32 v52, v9, v8, s5
	ds_read_b128 v[6:9], v50 offset:4096
	v_perm_b32 v53, v47, v46, s5
	ds_read_b128 v[46:49], v50 offset:4112
	s_waitcnt lgkmcnt(1)
	v_mfma_f32_16x16x16_bf16 v[60:63], v[10:11], v[6:7], v[60:63]
	v_perm_b32 v10, v65, v64, s5
	v_perm_b32 v11, v67, v66, s5
	v_cvt_pk_f32_fp8_e32 v[64:65], v13
	v_mfma_f32_16x16x16_bf16 v[60:63], v[52:53], v[8:9], v[60:63]
	v_cvt_pk_f32_fp8_sdwa v[52:53], v13 src0_sel:WORD_1
	v_cvt_pk_f32_fp8_e32 v[66:67], v4
	v_perm_b32 v64, v65, v64, s5
	s_waitcnt lgkmcnt(0)
	v_mfma_f32_16x16x16_bf16 v[10:13], v[10:11], v[46:47], v[60:63]
	v_perm_b32 v65, v53, v52, s5
	v_cvt_pk_f32_fp8_e32 v[52:53], v2
	s_nop 0
	v_mfma_f32_16x16x16_bf16 v[60:63], v[64:65], v[48:49], v[10:13]
	s_nop 2
	v_cvt_pk_f32_fp8_sdwa v[10:11], v2 src0_sel:WORD_1
	v_cvt_pk_f32_fp8_e32 v[12:13], v3
	v_perm_b32 v2, v53, v52, s5
	v_cvt_pk_f32_fp8_sdwa v[52:53], v3 src0_sel:WORD_1
	v_perm_b32 v3, v11, v10, s5
	v_perm_b32 v64, v13, v12, s5
	ds_read_b128 v[10:13], v50 offset:6144
	v_perm_b32 v65, v53, v52, s5
	s_waitcnt lgkmcnt(0)
	v_mfma_f32_16x16x16_bf16 v[60:63], v[2:3], v[10:11], v[60:63]
	ds_read_b128 v[50:53], v50 offset:6160
	v_perm_b32 v2, v67, v66, s5
	v_perm_b32 v3, v69, v68, s5
	v_cvt_pk_f32_fp8_e32 v[66:67], v5
	v_mfma_f32_16x16x16_bf16 v[60:63], v[64:65], v[12:13], v[60:63]
	v_cvt_pk_f32_fp8_sdwa v[64:65], v5 src0_sel:WORD_1
	v_cvt_pk_f32_fp8_e32 v[68:69], v32
	v_perm_b32 v66, v67, v66, s5
	s_waitcnt lgkmcnt(0)
	v_mfma_f32_16x16x16_bf16 v[2:5], v[2:3], v[50:51], v[60:63]
	v_perm_b32 v67, v65, v64, s5
	s_barrier
	s_nop 0
	v_mfma_f32_16x16x16_bf16 v[60:63], v[66:67], v[52:53], v[2:5]
	s_nop 2
	v_cvt_pk_f32_fp8_e32 v[4:5], v30
	v_perm_b32 v4, v5, v4, s5
	s_nop 1
	v_pk_mul_f32 v[2:3], v[62:63], s[10:11] op_sel_hi:[1,0]
	v_cvt_pk_f32_fp8_sdwa v[62:63], v30 src0_sel:WORD_1
	v_pk_mul_f32 v[64:65], v[60:61], s[10:11] op_sel_hi:[1,0]
	v_cvt_pk_f32_fp8_e32 v[60:61], v31
	v_cvt_pk_f32_fp8_sdwa v[30:31], v31 src0_sel:WORD_1
	v_perm_b32 v5, v63, v62, s5
	v_bfe_u32 v55, v65, 16, 1
	v_perm_b32 v66, v61, v60, s5
	v_perm_b32 v67, v31, v30, s5
	v_mfma_f32_16x16x16_bf16 v[60:63], v[4:5], v[34:35], 0
	v_perm_b32 v4, v69, v68, s5
	v_perm_b32 v5, v71, v70, s5
	v_cvt_pk_f32_fp8_e32 v[34:35], v33
	v_cvt_pk_f32_fp8_sdwa v[68:69], v33 src0_sel:WORD_1
	v_mfma_f32_16x16x16_bf16 v[30:33], v[66:67], v[36:37], v[60:63]
	s_waitcnt vmcnt(2)
	v_cvt_pk_f32_fp8_sdwa v[36:37], v22 src0_sel:WORD_1
	v_perm_b32 v34, v35, v34, s5
	v_perm_b32 v35, v69, v68, s5
	v_mfma_f32_16x16x16_bf16 v[30:33], v[4:5], v[38:39], v[30:33]
	v_cvt_pk_f32_fp8_e32 v[4:5], v22
	v_cvt_pk_f32_fp8_sdwa v[38:39], v24 src0_sel:WORD_1
	v_bfe_u32 v59, v64, 16, 1
	v_mfma_f32_16x16x16_bf16 v[30:33], v[34:35], v[40:41], v[30:33]
	v_cvt_pk_f32_fp8_e32 v[34:35], v23
	v_perm_b32 v4, v5, v4, s5
	v_perm_b32 v5, v37, v36, s5
	v_cvt_pk_f32_fp8_sdwa v[22:23], v23 src0_sel:WORD_1
	v_perm_b32 v34, v35, v34, s5
	v_cvt_pk_f32_fp8_e32 v[36:37], v24
	v_mfma_f32_16x16x16_bf16 v[30:33], v[4:5], v[18:19], v[30:33]
	v_perm_b32 v35, v23, v22, s5
	v_perm_b32 v4, v37, v36, s5
	;; [unrolled: 1-line block ×3, first 2 shown]
	v_cvt_pk_f32_fp8_e32 v[22:23], v25
	v_cvt_pk_f32_fp8_sdwa v[24:25], v25 src0_sel:WORD_1
	v_mfma_f32_16x16x16_bf16 v[18:21], v[34:35], v[20:21], v[30:33]
	v_perm_b32 v22, v23, v22, s5
	v_perm_b32 v23, v25, v24, s5
	v_mfma_f32_16x16x16_bf16 v[18:21], v[4:5], v[42:43], v[18:21]
	s_waitcnt vmcnt(1)
	v_cvt_pk_f32_fp8_e32 v[4:5], v26
	v_cvt_pk_f32_fp8_sdwa v[24:25], v26 src0_sel:WORD_1
	v_cvt_pk_f32_fp8_sdwa v[30:31], v28 src0_sel:WORD_1
	v_mfma_f32_16x16x16_bf16 v[18:21], v[22:23], v[44:45], v[18:21]
	v_cvt_pk_f32_fp8_e32 v[22:23], v27
	v_perm_b32 v4, v5, v4, s5
	v_perm_b32 v5, v25, v24, s5
	v_cvt_pk_f32_fp8_sdwa v[24:25], v27 src0_sel:WORD_1
	v_perm_b32 v22, v23, v22, s5
	v_cvt_pk_f32_fp8_e32 v[26:27], v28
	v_mfma_f32_16x16x16_bf16 v[4:7], v[4:5], v[6:7], v[18:21]
	v_perm_b32 v23, v25, v24, s5
	v_cvt_pk_f32_fp8_sdwa v[24:25], v29 src0_sel:WORD_1
	s_nop 0
	v_perm_b32 v18, v27, v26, s5
	v_perm_b32 v19, v31, v30, s5
	v_cvt_pk_f32_fp8_e32 v[20:21], v29
	v_mfma_f32_16x16x16_bf16 v[4:7], v[22:23], v[8:9], v[4:7]
	s_waitcnt vmcnt(0)
	v_cvt_pk_f32_fp8_sdwa v[22:23], v14 src0_sel:WORD_1
	v_bfe_u32 v9, v3, 16, 1
	v_perm_b32 v20, v21, v20, s5
	v_perm_b32 v21, v25, v24, s5
	v_mfma_f32_16x16x16_bf16 v[4:7], v[18:19], v[46:47], v[4:7]
	v_cvt_pk_f32_fp8_e32 v[18:19], v14
	v_cvt_pk_f32_fp8_sdwa v[24:25], v16 src0_sel:WORD_1
	v_add3_u32 v3, v3, v9, s12
	v_mfma_f32_16x16x16_bf16 v[4:7], v[20:21], v[48:49], v[4:7]
	v_cvt_pk_f32_fp8_e32 v[20:21], v15
	v_perm_b32 v18, v19, v18, s5
	v_perm_b32 v19, v23, v22, s5
	v_cvt_pk_f32_fp8_sdwa v[14:15], v15 src0_sel:WORD_1
	v_perm_b32 v20, v21, v20, s5
	v_cvt_pk_f32_fp8_e32 v[22:23], v16
	v_mfma_f32_16x16x16_bf16 v[4:7], v[18:19], v[10:11], v[4:7]
	v_perm_b32 v21, v15, v14, s5
	v_perm_b32 v10, v23, v22, s5
	;; [unrolled: 1-line block ×3, first 2 shown]
	v_cvt_pk_f32_fp8_e32 v[14:15], v17
	v_cvt_pk_f32_fp8_sdwa v[16:17], v17 src0_sel:WORD_1
	v_mfma_f32_16x16x16_bf16 v[4:7], v[20:21], v[12:13], v[4:7]
	v_bfe_u32 v18, v2, 16, 1
	v_perm_b32 v12, v15, v14, s5
	v_perm_b32 v13, v17, v16, s5
	v_mfma_f32_16x16x16_bf16 v[4:7], v[10:11], v[50:51], v[4:7]
	v_add3_u32 v2, v2, v18, s12
	v_perm_b32 v9, v3, v2, s5
	v_add3_u32 v32, v64, v59, s12
	v_mfma_f32_16x16x16_bf16 v[2:5], v[12:13], v[52:53], v[4:7]
	v_add3_u32 v33, v65, v55, s12
	v_perm_b32 v8, v33, v32, s5
	s_nop 4
	v_pk_mul_f32 v[2:3], v[2:3], s[10:11] op_sel_hi:[1,0]
	v_pk_mul_f32 v[4:5], v[4:5], s[10:11] op_sel_hi:[1,0]
	v_bfe_u32 v6, v3, 16, 1
	v_bfe_u32 v7, v2, 16, 1
	v_add3_u32 v2, v2, v7, s12
	v_add3_u32 v3, v3, v6, s12
	v_perm_b32 v2, v3, v2, s5
	v_bfe_u32 v3, v5, 16, 1
	v_bfe_u32 v6, v4, 16, 1
	v_add3_u32 v4, v4, v6, s12
	v_add3_u32 v3, v5, v3, s12
	v_perm_b32 v3, v3, v4, s5
	ds_write2st64_b64 v54, v[8:9], v[2:3] offset1:1
	s_waitcnt lgkmcnt(0)
	s_barrier
	s_and_saveexec_b64 s[10:11], s[6:7]
	s_cbranch_execz .LBB1384_19
; %bb.18:
	s_load_dwordx2 s[0:1], s[0:1], 0x68
	s_mul_i32 s2, s9, s2
	s_lshl_b32 s5, s8, 7
	s_mul_hi_u32 s7, s2, s5
	s_mul_i32 s6, s2, s5
	v_lshlrev_b32_e32 v4, 6, v57
	s_lshl_b64 s[6:7], s[6:7], 1
	v_lshl_or_b32 v0, v0, 10, v4
	s_waitcnt lgkmcnt(0)
	s_add_u32 s6, s0, s6
	v_lshlrev_b32_e32 v2, 5, v56
	v_and_b32_e32 v3, 16, v58
	v_and_b32_e32 v0, 0x1a00, v0
	s_addc_u32 s7, s1, s7
	s_lshl_b32 s2, s33, 7
	v_or3_b32 v0, v0, v2, v3
	s_lshl_b64 s[0:1], s[2:3], 1
	ds_read_b128 v[2:5], v0
	s_add_u32 s2, s6, s0
	s_addc_u32 s3, s7, s1
	s_mul_hi_u32 s1, s5, s4
	s_mul_i32 s0, s5, s4
	s_lshl_b64 s[0:1], s[0:1], 1
	s_add_u32 s0, s2, s0
	s_addc_u32 s1, s3, s1
	s_waitcnt lgkmcnt(0)
	global_store_dwordx4 v1, v[2:5], s[0:1]
.LBB1384_19:
	s_endpgm
	.section	.rodata,"a",@progbits
	.p2align	6, 0x0
	.amdhsa_kernel _Z39paged_attention_ll4mi_QKV_mfma16_kernelI14__hip_bfloat16hLN4vllm18Fp8KVCacheDataTypeE1ES0_Li32ELi128ELi256ELb1ELi1EEvPKT_PKT0_S8_ifPKiSA_SA_iPKfiiiPfSD_PS3_PT2_iSC_SC_
		.amdhsa_group_segment_fixed_size 8192
		.amdhsa_private_segment_fixed_size 0
		.amdhsa_kernarg_size 400
		.amdhsa_user_sgpr_count 2
		.amdhsa_user_sgpr_dispatch_ptr 0
		.amdhsa_user_sgpr_queue_ptr 0
		.amdhsa_user_sgpr_kernarg_segment_ptr 1
		.amdhsa_user_sgpr_dispatch_id 0
		.amdhsa_user_sgpr_kernarg_preload_length 0
		.amdhsa_user_sgpr_kernarg_preload_offset 0
		.amdhsa_user_sgpr_private_segment_size 0
		.amdhsa_uses_dynamic_stack 0
		.amdhsa_enable_private_segment 0
		.amdhsa_system_sgpr_workgroup_id_x 1
		.amdhsa_system_sgpr_workgroup_id_y 1
		.amdhsa_system_sgpr_workgroup_id_z 1
		.amdhsa_system_sgpr_workgroup_info 0
		.amdhsa_system_vgpr_workitem_id 0
		.amdhsa_next_free_vgpr 78
		.amdhsa_next_free_sgpr 48
		.amdhsa_accum_offset 80
		.amdhsa_reserve_vcc 1
		.amdhsa_float_round_mode_32 0
		.amdhsa_float_round_mode_16_64 0
		.amdhsa_float_denorm_mode_32 3
		.amdhsa_float_denorm_mode_16_64 3
		.amdhsa_dx10_clamp 1
		.amdhsa_ieee_mode 1
		.amdhsa_fp16_overflow 0
		.amdhsa_tg_split 0
		.amdhsa_exception_fp_ieee_invalid_op 0
		.amdhsa_exception_fp_denorm_src 0
		.amdhsa_exception_fp_ieee_div_zero 0
		.amdhsa_exception_fp_ieee_overflow 0
		.amdhsa_exception_fp_ieee_underflow 0
		.amdhsa_exception_fp_ieee_inexact 0
		.amdhsa_exception_int_div_zero 0
	.end_amdhsa_kernel
	.section	.text._Z39paged_attention_ll4mi_QKV_mfma16_kernelI14__hip_bfloat16hLN4vllm18Fp8KVCacheDataTypeE1ES0_Li32ELi128ELi256ELb1ELi1EEvPKT_PKT0_S8_ifPKiSA_SA_iPKfiiiPfSD_PS3_PT2_iSC_SC_,"axG",@progbits,_Z39paged_attention_ll4mi_QKV_mfma16_kernelI14__hip_bfloat16hLN4vllm18Fp8KVCacheDataTypeE1ES0_Li32ELi128ELi256ELb1ELi1EEvPKT_PKT0_S8_ifPKiSA_SA_iPKfiiiPfSD_PS3_PT2_iSC_SC_,comdat
.Lfunc_end1384:
	.size	_Z39paged_attention_ll4mi_QKV_mfma16_kernelI14__hip_bfloat16hLN4vllm18Fp8KVCacheDataTypeE1ES0_Li32ELi128ELi256ELb1ELi1EEvPKT_PKT0_S8_ifPKiSA_SA_iPKfiiiPfSD_PS3_PT2_iSC_SC_, .Lfunc_end1384-_Z39paged_attention_ll4mi_QKV_mfma16_kernelI14__hip_bfloat16hLN4vllm18Fp8KVCacheDataTypeE1ES0_Li32ELi128ELi256ELb1ELi1EEvPKT_PKT0_S8_ifPKiSA_SA_iPKfiiiPfSD_PS3_PT2_iSC_SC_
                                        ; -- End function
	.section	.AMDGPU.csdata,"",@progbits
; Kernel info:
; codeLenInByte = 6504
; NumSgprs: 54
; NumVgprs: 78
; NumAgprs: 0
; TotalNumVgprs: 78
; ScratchSize: 0
; MemoryBound: 0
; FloatMode: 240
; IeeeMode: 1
; LDSByteSize: 8192 bytes/workgroup (compile time only)
; SGPRBlocks: 6
; VGPRBlocks: 9
; NumSGPRsForWavesPerEU: 54
; NumVGPRsForWavesPerEU: 78
; AccumOffset: 80
; Occupancy: 6
; WaveLimiterHint : 1
; COMPUTE_PGM_RSRC2:SCRATCH_EN: 0
; COMPUTE_PGM_RSRC2:USER_SGPR: 2
; COMPUTE_PGM_RSRC2:TRAP_HANDLER: 0
; COMPUTE_PGM_RSRC2:TGID_X_EN: 1
; COMPUTE_PGM_RSRC2:TGID_Y_EN: 1
; COMPUTE_PGM_RSRC2:TGID_Z_EN: 1
; COMPUTE_PGM_RSRC2:TIDIG_COMP_CNT: 0
; COMPUTE_PGM_RSRC3_GFX90A:ACCUM_OFFSET: 19
; COMPUTE_PGM_RSRC3_GFX90A:TG_SPLIT: 0
	.section	.text._Z39paged_attention_ll4mi_QKV_mfma16_kernelI14__hip_bfloat16hLN4vllm18Fp8KVCacheDataTypeE1ES0_Li32ELi128ELi256ELb1ELi2EEvPKT_PKT0_S8_ifPKiSA_SA_iPKfiiiPfSD_PS3_PT2_iSC_SC_,"axG",@progbits,_Z39paged_attention_ll4mi_QKV_mfma16_kernelI14__hip_bfloat16hLN4vllm18Fp8KVCacheDataTypeE1ES0_Li32ELi128ELi256ELb1ELi2EEvPKT_PKT0_S8_ifPKiSA_SA_iPKfiiiPfSD_PS3_PT2_iSC_SC_,comdat
	.protected	_Z39paged_attention_ll4mi_QKV_mfma16_kernelI14__hip_bfloat16hLN4vllm18Fp8KVCacheDataTypeE1ES0_Li32ELi128ELi256ELb1ELi2EEvPKT_PKT0_S8_ifPKiSA_SA_iPKfiiiPfSD_PS3_PT2_iSC_SC_ ; -- Begin function _Z39paged_attention_ll4mi_QKV_mfma16_kernelI14__hip_bfloat16hLN4vllm18Fp8KVCacheDataTypeE1ES0_Li32ELi128ELi256ELb1ELi2EEvPKT_PKT0_S8_ifPKiSA_SA_iPKfiiiPfSD_PS3_PT2_iSC_SC_
	.globl	_Z39paged_attention_ll4mi_QKV_mfma16_kernelI14__hip_bfloat16hLN4vllm18Fp8KVCacheDataTypeE1ES0_Li32ELi128ELi256ELb1ELi2EEvPKT_PKT0_S8_ifPKiSA_SA_iPKfiiiPfSD_PS3_PT2_iSC_SC_
	.p2align	8
	.type	_Z39paged_attention_ll4mi_QKV_mfma16_kernelI14__hip_bfloat16hLN4vllm18Fp8KVCacheDataTypeE1ES0_Li32ELi128ELi256ELb1ELi2EEvPKT_PKT0_S8_ifPKiSA_SA_iPKfiiiPfSD_PS3_PT2_iSC_SC_,@function
_Z39paged_attention_ll4mi_QKV_mfma16_kernelI14__hip_bfloat16hLN4vllm18Fp8KVCacheDataTypeE1ES0_Li32ELi128ELi256ELb1ELi2EEvPKT_PKT0_S8_ifPKiSA_SA_iPKfiiiPfSD_PS3_PT2_iSC_SC_: ; @_Z39paged_attention_ll4mi_QKV_mfma16_kernelI14__hip_bfloat16hLN4vllm18Fp8KVCacheDataTypeE1ES0_Li32ELi128ELi256ELb1ELi2EEvPKT_PKT0_S8_ifPKiSA_SA_iPKfiiiPfSD_PS3_PT2_iSC_SC_
; %bb.0:
	s_load_dwordx2 s[8:9], s[0:1], 0x30
	s_mov_b32 s10, s3
	s_mov_b64 s[6:7], 0
	s_waitcnt lgkmcnt(0)
	s_cmp_lg_u64 s[8:9], 0
	s_cselect_b64 s[12:13], -1, 0
	s_and_b64 vcc, exec, s[12:13]
	s_cbranch_vccz .LBB1385_7
; %bb.1:
	s_add_i32 s14, s2, 1
	s_mov_b32 s15, 0
	s_lshl_b64 s[16:17], s[14:15], 2
	s_add_u32 s16, s8, s16
	s_mov_b32 s3, s15
	s_addc_u32 s17, s9, s17
	s_lshl_b64 s[14:15], s[2:3], 2
	s_add_u32 s14, s8, s14
	s_addc_u32 s15, s9, s15
	s_load_dword s5, s[16:17], 0x0
	s_load_dword s11, s[14:15], 0x0
	s_waitcnt lgkmcnt(0)
	s_sub_i32 s5, s5, s11
	s_cmp_eq_u32 s5, 1
	s_cselect_b64 s[14:15], -1, 0
	s_andn2_b64 vcc, exec, s[6:7]
	s_cbranch_vccnz .LBB1385_3
.LBB1385_2:
	s_mov_b32 s3, 0
	s_mov_b64 s[14:15], -1
.LBB1385_3:
	s_andn2_b64 vcc, exec, s[14:15]
	s_cbranch_vccnz .LBB1385_19
; %bb.4:
	s_load_dwordx2 s[6:7], s[0:1], 0x28
	s_lshl_b64 s[14:15], s[2:3], 2
	s_waitcnt lgkmcnt(0)
	s_add_u32 s6, s6, s14
	s_addc_u32 s7, s7, s15
	s_load_dword s33, s[6:7], 0x0
	s_lshl_b32 s18, s10, 8
	s_waitcnt lgkmcnt(0)
	s_cmp_ge_i32 s18, s33
	s_cbranch_scc1 .LBB1385_19
; %bb.5:
	s_load_dwordx2 s[6:7], s[0:1], 0x20
	s_load_dword s5, s[0:1], 0x38
	s_add_i32 s11, s33, 31
	s_ashr_i32 s16, s11, 31
	v_and_b32_e32 v1, 0xcf, v0
	s_lshr_b32 s16, s16, 27
	v_add_u32_e32 v1, s18, v1
	s_add_i32 s11, s11, s16
	v_ashrrev_i32_e32 v2, 31, v1
	s_ashr_i32 s19, s11, 5
	v_lshrrev_b32_e32 v4, 27, v2
	s_add_i32 s19, s19, -1
	s_waitcnt lgkmcnt(0)
	s_mul_i32 s16, s2, s5
	s_mov_b32 s17, 0
	v_add_u32_e32 v2, v1, v4
	s_lshl_b64 s[16:17], s[16:17], 2
	v_ashrrev_i32_e32 v2, 5, v2
	v_mov_b32_e32 v5, s19
	v_cmp_gt_i32_e32 vcc, s33, v1
	s_add_u32 s6, s6, s16
	s_addc_u32 s7, s7, s17
	v_cndmask_b32_e32 v2, v5, v2, vcc
	v_ashrrev_i32_e32 v3, 31, v2
	v_lshl_add_u64 v[6:7], v[2:3], 2, s[6:7]
	v_or_b32_e32 v2, 16, v1
	v_add_u32_e32 v3, v2, v4
	v_ashrrev_i32_e32 v3, 5, v3
	v_cmp_gt_i32_e32 vcc, s33, v2
	s_load_dwordx2 s[16:17], s[0:1], 0x8
	s_nop 0
	v_cndmask_b32_e32 v2, v5, v3, vcc
	v_ashrrev_i32_e32 v3, 31, v2
	v_lshl_add_u64 v[8:9], v[2:3], 2, s[6:7]
	v_or_b32_e32 v2, 32, v1
	v_add_u32_e32 v3, v2, v4
	v_ashrrev_i32_e32 v3, 5, v3
	v_cmp_gt_i32_e32 vcc, s33, v2
	v_or_b32_e32 v1, 48, v1
	s_nop 0
	v_cndmask_b32_e32 v2, v5, v3, vcc
	v_ashrrev_i32_e32 v3, 31, v2
	v_lshl_add_u64 v[12:13], v[2:3], 2, s[6:7]
	v_add_u32_e32 v2, v1, v4
	v_ashrrev_i32_e32 v2, 5, v2
	v_cmp_gt_i32_e32 vcc, s33, v1
	s_nop 1
	v_cndmask_b32_e32 v2, v5, v2, vcc
	v_ashrrev_i32_e32 v3, 31, v2
	v_lshl_add_u64 v[14:15], v[2:3], 2, s[6:7]
	global_load_dword v4, v[6:7], off
	global_load_dword v3, v[8:9], off
	;; [unrolled: 1-line block ×4, first 2 shown]
	s_andn2_b64 vcc, exec, s[12:13]
	s_cbranch_vccnz .LBB1385_8
; %bb.6:
	s_add_u32 s8, s8, s14
	s_addc_u32 s9, s9, s15
	s_load_dword s5, s[8:9], 0x0
	s_branch .LBB1385_9
.LBB1385_7:
	s_mov_b64 s[14:15], 0
	s_branch .LBB1385_2
.LBB1385_8:
	s_mov_b32 s5, s2
.LBB1385_9:
	s_load_dwordx2 s[8:9], s[0:1], 0x10
	s_load_dwordx4 s[44:47], s[0:1], 0x48
	v_lshrrev_b32_e32 v58, 6, v0
	v_bfe_u32 v1, v0, 4, 2
	v_and_b32_e32 v56, 15, v0
	v_lshl_or_b32 v5, v58, 2, v1
	v_lshlrev_b32_e32 v6, 3, v56
	s_lshl_b32 s11, s4, 1
	v_cmp_gt_u32_e32 vcc, 2, v5
	v_lshlrev_b32_e32 v54, 1, v6
	v_lshlrev_b32_e32 v57, 4, v0
	s_and_saveexec_b64 s[12:13], vcc
	s_cbranch_execz .LBB1385_11
; %bb.10:
	s_load_dwordx2 s[14:15], s[0:1], 0x0
	s_waitcnt lgkmcnt(0)
	s_ashr_i32 s20, s44, 31
	s_mul_hi_u32 s21, s5, s44
	s_mul_i32 s20, s5, s20
	s_add_i32 s21, s21, s20
	s_mul_i32 s20, s5, s44
	s_lshl_b64 s[20:21], s[20:21], 1
	s_add_u32 s14, s14, s20
	v_add_lshl_u32 v6, v1, s11, 7
	s_addc_u32 s15, s15, s21
	v_ashrrev_i32_e32 v7, 31, v6
	v_lshl_add_u64 v[6:7], v[6:7], 1, s[14:15]
	v_mov_b32_e32 v55, 0
	v_lshl_add_u64 v[6:7], v[6:7], 0, v[54:55]
	global_load_dwordx4 v[6:9], v[6:7], off
	v_lshlrev_b32_e32 v12, 8, v0
	v_lshlrev_b32_e32 v11, 8, v56
	v_and_b32_e32 v12, 0x600, v12
	s_movk_i32 s5, 0x800
	v_and_or_b32 v11, v11, s5, v12
	v_lshlrev_b32_e32 v5, 5, v5
	v_and_b32_e32 v12, 16, v57
	v_or3_b32 v5, v11, v5, v12
	s_waitcnt vmcnt(0)
	ds_write_b128 v5, v[6:9]
.LBB1385_11:
	s_or_b64 exec, exec, s[12:13]
	s_waitcnt lgkmcnt(0)
	s_mul_i32 s12, s4, s46
	s_add_u32 s4, s16, s12
	s_addc_u32 s5, s17, 0
	v_mov_b32_e32 v51, 0
	v_mov_b64_e32 v[12:13], s[4:5]
	v_and_b32_e32 v52, 48, v0
	s_waitcnt vmcnt(3)
	v_mad_i64_i32 v[4:5], s[4:5], v4, s45, v[12:13]
	v_lshlrev_b32_e32 v14, 4, v56
	v_mov_b32_e32 v15, v51
	v_lshlrev_b32_e32 v50, 5, v52
	v_lshl_add_u64 v[4:5], v[4:5], 0, v[14:15]
	v_lshl_add_u64 v[4:5], v[4:5], 0, v[50:51]
	s_barrier
	global_load_dwordx4 v[46:49], v[4:5], off
	global_load_dwordx4 v[34:37], v[4:5], off offset:2048
	s_waitcnt vmcnt(4)
	v_mad_i64_i32 v[4:5], s[4:5], v3, s45, v[12:13]
	v_or_b32_e32 v16, 0x100, v14
	v_mov_b32_e32 v17, v51
	s_waitcnt vmcnt(3)
	v_mad_i64_i32 v[2:3], s[4:5], v2, s45, v[12:13]
	s_waitcnt vmcnt(2)
	v_mad_i64_i32 v[10:11], s[4:5], v10, s45, v[12:13]
	v_lshl_add_u64 v[4:5], v[4:5], 0, v[16:17]
	v_lshl_add_u64 v[2:3], v[2:3], 0, v[14:15]
	;; [unrolled: 1-line block ×6, first 2 shown]
	global_load_dwordx4 v[38:41], v[4:5], off
	global_load_dwordx4 v[6:9], v[4:5], off offset:2048
	s_nop 0
	global_load_dwordx4 v[2:5], v[14:15], off
	global_load_dwordx4 v[42:45], v[14:15], off offset:2048
	global_load_dwordx4 v[26:29], v[10:11], off
	s_nop 0
	global_load_dwordx4 v[14:17], v[10:11], off offset:2048
	v_and_b32_e32 v10, 1, v0
	v_lshlrev_b32_e32 v10, 5, v10
	v_lshl_or_b32 v10, v1, 9, v10
	ds_read_b128 v[30:33], v10
	ds_read_b128 v[22:25], v10 offset:16
	ds_read_b128 v[18:21], v10 offset:2048
	;; [unrolled: 1-line block ×3, first 2 shown]
	v_and_b32_e32 v55, 63, v0
	v_cmp_gt_u32_e32 vcc, 2, v56
	v_mov_b32_e32 v59, 0
	s_and_saveexec_b64 s[4:5], vcc
	s_cbranch_execz .LBB1385_13
; %bb.12:
	s_load_dwordx2 s[14:15], s[0:1], 0x40
	v_or_b32_e32 v60, s11, v56
	v_ashrrev_i32_e32 v61, 31, v60
	s_waitcnt lgkmcnt(0)
	v_lshl_add_u64 v[60:61], v[60:61], 2, s[14:15]
	global_load_dword v59, v[60:61], off
.LBB1385_13:
	s_or_b64 exec, exec, s[4:5]
	s_ashr_i32 s4, s18, 31
	v_or_b32_e32 v50, s18, v52
	s_lshr_b32 s4, s4, 27
	v_add_u32_e32 v52, s4, v50
	v_or_b32_e32 v60, 64, v50
	v_ashrrev_i32_e32 v52, 5, v52
	v_mov_b32_e32 v66, s19
	v_cmp_gt_i32_e32 vcc, s33, v50
	v_add_u32_e32 v61, s4, v60
	v_ashrrev_i32_e32 v61, 5, v61
	v_cndmask_b32_e32 v52, v66, v52, vcc
	v_cmp_gt_i32_e32 vcc, s33, v60
	s_waitcnt vmcnt(7)
	v_cvt_pk_f32_fp8_sdwa v[62:63], v46 src0_sel:WORD_1
	s_mov_b32 s44, 0x7060302
	v_cndmask_b32_e32 v60, v66, v61, vcc
	v_ashrrev_i32_e32 v61, 31, v60
	v_lshl_add_u64 v[64:65], v[60:61], 2, s[6:7]
	v_or_b32_e32 v60, 0x80, v50
	v_add_u32_e32 v61, s4, v60
	v_ashrrev_i32_e32 v61, 5, v61
	v_cmp_gt_i32_e32 vcc, s33, v60
	v_or_b32_e32 v50, 0xc0, v50
	v_add_u32_e32 v67, s4, v50
	v_cndmask_b32_e32 v60, v66, v61, vcc
	v_ashrrev_i32_e32 v61, 31, v60
	v_lshl_add_u64 v[70:71], v[60:61], 2, s[6:7]
	v_cvt_pk_f32_fp8_e32 v[60:61], v46
	v_ashrrev_i32_e32 v67, 5, v67
	v_cmp_gt_i32_e32 vcc, s33, v50
	v_ashrrev_i32_e32 v53, 31, v52
	v_perm_b32 v60, v61, v60, s44
	v_perm_b32 v61, v63, v62, s44
	v_cvt_pk_f32_fp8_e32 v[62:63], v47
	v_cvt_pk_f32_fp8_sdwa v[46:47], v47 src0_sel:WORD_1
	v_cndmask_b32_e32 v66, v66, v67, vcc
	v_cvt_pk_f32_fp8_sdwa v[72:73], v48 src0_sel:WORD_1
	v_perm_b32 v68, v63, v62, s44
	v_perm_b32 v69, v47, v46, s44
	s_waitcnt lgkmcnt(3)
	v_mfma_f32_16x16x16_bf16 v[60:63], v[60:61], v[30:31], 0
	v_cvt_pk_f32_fp8_e32 v[46:47], v48
	v_lshl_add_u64 v[52:53], v[52:53], 2, s[6:7]
	v_ashrrev_i32_e32 v67, 31, v66
	v_lshl_add_u64 v[74:75], v[66:67], 2, s[6:7]
	v_mfma_f32_16x16x16_bf16 v[66:69], v[68:69], v[32:33], v[60:63]
	s_nop 2
	global_load_dword v63, v[52:53], off
	s_nop 0
	global_load_dword v64, v[64:65], off
	s_nop 0
	global_load_dword v61, v[70:71], off
	global_load_dword v62, v[74:75], off
	v_perm_b32 v46, v47, v46, s44
	v_perm_b32 v47, v73, v72, s44
	v_cvt_pk_f32_fp8_e32 v[72:73], v49
	v_cvt_pk_f32_fp8_sdwa v[48:49], v49 src0_sel:WORD_1
	s_waitcnt vmcnt(10)
	v_cvt_pk_f32_fp8_sdwa v[70:71], v36 src0_sel:WORD_1
	s_waitcnt vmcnt(7)
	v_cvt_pk_f32_fp8_sdwa v[76:77], v5 src0_sel:WORD_1
	v_perm_b32 v52, v73, v72, s44
	v_perm_b32 v53, v49, v48, s44
	s_waitcnt lgkmcnt(2)
	v_mfma_f32_16x16x16_bf16 v[46:49], v[46:47], v[22:23], v[66:69]
	v_cvt_pk_f32_fp8_sdwa v[72:73], v4 src0_sel:WORD_1
	s_add_u32 s4, s8, s12
	s_addc_u32 s5, s9, 0
	v_cvt_pk_f32_fp8_e32 v[66:67], v34
	v_cvt_pk_f32_fp8_sdwa v[68:69], v34 src0_sel:WORD_1
	v_mfma_f32_16x16x16_bf16 v[46:49], v[52:53], v[24:25], v[46:49]
	v_cvt_pk_f32_fp8_e32 v[52:53], v35
	v_perm_b32 v66, v67, v66, s44
	v_perm_b32 v67, v69, v68, s44
	v_cvt_pk_f32_fp8_sdwa v[34:35], v35 src0_sel:WORD_1
	v_perm_b32 v52, v53, v52, s44
	v_cvt_pk_f32_fp8_e32 v[68:69], v36
	s_waitcnt lgkmcnt(1)
	v_mfma_f32_16x16x16_bf16 v[46:49], v[66:67], v[18:19], v[46:49]
	v_perm_b32 v53, v35, v34, s44
	v_perm_b32 v66, v69, v68, s44
	;; [unrolled: 1-line block ×3, first 2 shown]
	v_cvt_pk_f32_fp8_e32 v[68:69], v37
	v_cvt_pk_f32_fp8_sdwa v[70:71], v37 src0_sel:WORD_1
	v_mfma_f32_16x16x16_bf16 v[34:37], v[52:53], v[20:21], v[46:49]
	v_cvt_pk_f32_fp8_sdwa v[52:53], v38 src0_sel:WORD_1
	v_and_b32_e32 v50, 16, v0
	v_lshl_or_b32 v60, v58, 4, v56
	v_perm_b32 v46, v69, v68, s44
	v_perm_b32 v47, v71, v70, s44
	s_waitcnt lgkmcnt(0)
	v_mfma_f32_16x16x16_bf16 v[34:37], v[66:67], v[10:11], v[34:37]
	v_cvt_pk_f32_fp8_e32 v[48:49], v38
	v_cvt_pk_f32_fp8_e32 v[66:67], v40
	v_cvt_pk_f32_fp8_sdwa v[68:69], v40 src0_sel:WORD_1
	v_mfma_f32_16x16x16_bf16 v[34:37], v[46:47], v[12:13], v[34:37]
	v_cvt_pk_f32_fp8_e32 v[46:47], v39
	v_perm_b32 v48, v49, v48, s44
	v_perm_b32 v49, v53, v52, s44
	v_cvt_pk_f32_fp8_sdwa v[38:39], v39 src0_sel:WORD_1
	v_perm_b32 v52, v47, v46, s44
	v_mfma_f32_16x16x16_bf16 v[46:49], v[48:49], v[30:31], 0
	v_perm_b32 v53, v39, v38, s44
	v_perm_b32 v66, v67, v66, s44
	;; [unrolled: 1-line block ×3, first 2 shown]
	v_cvt_pk_f32_fp8_e32 v[68:69], v41
	v_cvt_pk_f32_fp8_sdwa v[70:71], v41 src0_sel:WORD_1
	v_mfma_f32_16x16x16_bf16 v[38:41], v[52:53], v[32:33], v[46:49]
	v_cvt_pk_f32_fp8_e32 v[52:53], v6
	v_perm_b32 v52, v53, v52, s44
	s_nop 0
	v_perm_b32 v48, v69, v68, s44
	v_perm_b32 v49, v71, v70, s44
	v_mfma_f32_16x16x16_bf16 v[38:41], v[66:67], v[22:23], v[38:41]
	v_cvt_pk_f32_fp8_sdwa v[66:67], v6 src0_sel:WORD_1
	v_cvt_pk_f32_fp8_sdwa v[68:69], v8 src0_sel:WORD_1
	v_lshl_add_u64 v[46:47], s[4:5], 0, v[50:51]
	v_mfma_f32_16x16x16_bf16 v[38:41], v[48:49], v[24:25], v[38:41]
	v_cvt_pk_f32_fp8_e32 v[48:49], v7
	v_perm_b32 v53, v67, v66, s44
	v_cvt_pk_f32_fp8_sdwa v[6:7], v7 src0_sel:WORD_1
	v_cvt_pk_f32_fp8_e32 v[66:67], v8
	v_perm_b32 v48, v49, v48, s44
	v_mfma_f32_16x16x16_bf16 v[38:41], v[52:53], v[18:19], v[38:41]
	v_perm_b32 v49, v7, v6, s44
	v_perm_b32 v52, v67, v66, s44
	;; [unrolled: 1-line block ×3, first 2 shown]
	v_cvt_pk_f32_fp8_e32 v[66:67], v9
	v_cvt_pk_f32_fp8_sdwa v[68:69], v9 src0_sel:WORD_1
	v_mfma_f32_16x16x16_bf16 v[6:9], v[48:49], v[20:21], v[38:41]
	v_cvt_pk_f32_fp8_e32 v[48:49], v2
	v_lshlrev_b32_e32 v50, 5, v60
	v_lshl_add_u64 v[70:71], v[46:47], 0, v[50:51]
	v_perm_b32 v38, v67, v66, s44
	v_perm_b32 v39, v69, v68, s44
	v_mfma_f32_16x16x16_bf16 v[6:9], v[52:53], v[10:11], v[6:9]
	v_cvt_pk_f32_fp8_sdwa v[52:53], v2 src0_sel:WORD_1
	s_waitcnt vmcnt(2)
	v_mad_i64_i32 v[74:75], s[4:5], v64, s45, v[70:71]
	v_mfma_f32_16x16x16_bf16 v[38:41], v[38:39], v[12:13], v[6:9]
	v_or_b32_e32 v50, 0x800, v50
	v_lshl_add_u64 v[46:47], v[46:47], 0, v[50:51]
	s_nop 0
	v_perm_b32 v6, v49, v48, s44
	v_perm_b32 v7, v53, v52, s44
	v_cvt_pk_f32_fp8_e32 v[8:9], v3
	v_cvt_pk_f32_fp8_sdwa v[2:3], v3 src0_sel:WORD_1
	v_mad_i64_i32 v[48:49], s[4:5], v63, s45, v[70:71]
	v_perm_b32 v52, v9, v8, s44
	v_perm_b32 v53, v3, v2, s44
	v_mfma_f32_16x16x16_bf16 v[6:9], v[6:7], v[30:31], 0
	v_cvt_pk_f32_fp8_e32 v[2:3], v4
	v_mfma_f32_16x16x16_bf16 v[66:69], v[52:53], v[32:33], v[6:9]
	v_perm_b32 v52, v3, v2, s44
	v_perm_b32 v53, v73, v72, s44
	v_cvt_pk_f32_fp8_e32 v[72:73], v5
	s_nop 1
	global_load_dwordx4 v[6:9], v[48:49], off
	global_load_dwordx4 v[2:5], v[74:75], off
	v_mfma_f32_16x16x16_bf16 v[66:69], v[52:53], v[22:23], v[66:69]
	v_perm_b32 v72, v73, v72, s44
	v_perm_b32 v73, v77, v76, s44
	s_waitcnt vmcnt(3)
	v_mad_i64_i32 v[48:49], s[4:5], v61, s45, v[70:71]
	s_waitcnt vmcnt(2)
	v_mad_i64_i32 v[52:53], s[4:5], v62, s45, v[70:71]
	v_mfma_f32_16x16x16_bf16 v[66:69], v[72:73], v[24:25], v[66:69]
	v_cvt_pk_f32_fp8_e32 v[70:71], v42
	v_cvt_pk_f32_fp8_sdwa v[72:73], v42 src0_sel:WORD_1
	v_cvt_pk_f32_fp8_e32 v[74:75], v43
	v_cvt_pk_f32_fp8_sdwa v[42:43], v43 src0_sel:WORD_1
	v_perm_b32 v70, v71, v70, s44
	v_perm_b32 v71, v73, v72, s44
	;; [unrolled: 1-line block ×4, first 2 shown]
	v_cvt_pk_f32_fp8_e32 v[42:43], v44
	v_cvt_pk_f32_fp8_sdwa v[74:75], v44 src0_sel:WORD_1
	v_mfma_f32_16x16x16_bf16 v[66:69], v[70:71], v[18:19], v[66:69]
	v_cvt_pk_f32_fp8_sdwa v[76:77], v45 src0_sel:WORD_1
	v_perm_b32 v70, v43, v42, s44
	v_perm_b32 v71, v75, v74, s44
	v_cvt_pk_f32_fp8_e32 v[74:75], v45
	v_mfma_f32_16x16x16_bf16 v[42:45], v[72:73], v[20:21], v[66:69]
	v_perm_b32 v51, v77, v76, s44
	v_cvt_pk_f32_fp8_sdwa v[72:73], v26 src0_sel:WORD_1
	v_perm_b32 v50, v75, v74, s44
	v_mfma_f32_16x16x16_bf16 v[42:45], v[70:71], v[10:11], v[42:45]
	v_cvt_pk_f32_fp8_e32 v[70:71], v26
	s_load_dword s4, s[0:1], 0x1c
	s_load_dwordx4 s[40:43], s[0:1], 0x80
	s_load_dword s46, s[0:1], 0x98
	s_waitcnt lgkmcnt(0)
	s_load_dword s5, s[40:41], 0x0
	v_mfma_f32_16x16x16_bf16 v[66:69], v[50:51], v[12:13], v[42:45]
	s_mov_b32 s40, 0xff7fffff
	s_nop 1
	v_cvt_pk_f32_fp8_e32 v[42:43], v27
	v_perm_b32 v44, v71, v70, s44
	v_perm_b32 v45, v73, v72, s44
	v_cvt_pk_f32_fp8_sdwa v[26:27], v27 src0_sel:WORD_1
	v_perm_b32 v50, v43, v42, s44
	v_cvt_pk_f32_fp8_e32 v[70:71], v28
	v_cvt_pk_f32_fp8_sdwa v[72:73], v28 src0_sel:WORD_1
	v_perm_b32 v51, v27, v26, s44
	v_mfma_f32_16x16x16_bf16 v[42:45], v[44:45], v[30:31], 0
	v_perm_b32 v30, v71, v70, s44
	v_perm_b32 v31, v73, v72, s44
	v_cvt_pk_f32_fp8_e32 v[70:71], v29
	v_cvt_pk_f32_fp8_sdwa v[72:73], v29 src0_sel:WORD_1
	v_mfma_f32_16x16x16_bf16 v[26:29], v[50:51], v[32:33], v[42:45]
	v_perm_b32 v32, v71, v70, s44
	v_perm_b32 v33, v73, v72, s44
	v_mfma_f32_16x16x16_bf16 v[26:29], v[30:31], v[22:23], v[26:29]
	v_mov_b32_e32 v42, s4
	s_waitcnt lgkmcnt(0)
	v_mul_f32_e32 v50, s5, v42
	v_pk_mul_f32 v[30:31], v[50:51], v[34:35] op_sel_hi:[0,1]
	v_mfma_f32_16x16x16_bf16 v[32:35], v[32:33], v[24:25], v[26:29]
	v_cvt_pk_f32_fp8_e32 v[22:23], v14
	v_cvt_pk_f32_fp8_sdwa v[24:25], v14 src0_sel:WORD_1
	v_pk_mul_f32 v[42:43], v[50:51], v[36:37] op_sel_hi:[0,1]
	v_cvt_pk_f32_fp8_e32 v[26:27], v15
	v_cvt_pk_f32_fp8_sdwa v[14:15], v15 src0_sel:WORD_1
	v_perm_b32 v36, v23, v22, s44
	v_perm_b32 v37, v25, v24, s44
	;; [unrolled: 1-line block ×4, first 2 shown]
	v_cvt_pk_f32_fp8_e32 v[14:15], v16
	v_cvt_pk_f32_fp8_sdwa v[70:71], v16 src0_sel:WORD_1
	v_mfma_f32_16x16x16_bf16 v[32:35], v[36:37], v[18:19], v[32:35]
	global_load_dwordx4 v[26:29], v[48:49], off
	global_load_dwordx4 v[22:25], v[52:53], off
	v_perm_b32 v18, v15, v14, s44
	v_perm_b32 v19, v71, v70, s44
	v_cvt_pk_f32_fp8_e32 v[36:37], v17
	v_cvt_pk_f32_fp8_sdwa v[48:49], v17 src0_sel:WORD_1
	v_mfma_f32_16x16x16_bf16 v[14:17], v[44:45], v[20:21], v[32:35]
	v_pk_mul_f32 v[44:45], v[50:51], v[40:41] op_sel_hi:[0,1]
	v_perm_b32 v20, v37, v36, s44
	v_perm_b32 v21, v49, v48, s44
	v_mfma_f32_16x16x16_bf16 v[14:17], v[18:19], v[10:11], v[14:17]
	v_pk_mul_f32 v[48:49], v[50:51], v[38:39] op_sel_hi:[0,1]
	v_pk_mul_f32 v[38:39], v[50:51], v[68:69] op_sel_hi:[0,1]
	;; [unrolled: 1-line block ×3, first 2 shown]
	v_mfma_f32_16x16x16_bf16 v[10:13], v[20:21], v[12:13], v[14:17]
	s_nop 6
	v_pk_mul_f32 v[36:37], v[50:51], v[10:11] op_sel_hi:[0,1]
	v_and_b32_e32 v10, 0xc0, v0
	v_add_u32_e32 v10, s18, v10
	v_lshl_or_b32 v10, v1, 2, v10
	v_or_b32_e32 v11, 1, v10
	v_pk_mul_f32 v[34:35], v[50:51], v[12:13] op_sel_hi:[0,1]
	v_subrev_u32_e32 v12, s33, v11
	v_add_u32_e32 v14, 1, v12
	v_add_u32_e32 v15, 2, v12
	v_cvt_f32_i32_e32 v13, v12
	v_cvt_f32_i32_e32 v14, v14
	;; [unrolled: 1-line block ×3, first 2 shown]
	v_add_u32_e32 v16, 3, v12
	v_fma_f32 v17, v59, v13, v30
	v_fmac_f32_e32 v31, v59, v14
	v_fma_f32 v42, v59, v15, v42
	v_add_u32_e32 v13, 16, v12
	v_add_u32_e32 v14, 17, v12
	;; [unrolled: 1-line block ×3, first 2 shown]
	v_cvt_f32_i32_e32 v16, v16
	v_cvt_f32_i32_e32 v13, v13
	;; [unrolled: 1-line block ×4, first 2 shown]
	v_fmac_f32_e32 v43, v59, v16
	v_add_u32_e32 v16, 19, v12
	v_fma_f32 v52, v59, v13, v48
	v_fmac_f32_e32 v49, v59, v14
	v_fma_f32 v44, v59, v15, v44
	v_add_u32_e32 v13, 32, v12
	v_add_u32_e32 v14, 33, v12
	;; [unrolled: 1-line block ×3, first 2 shown]
	v_cvt_f32_i32_e32 v16, v16
	v_cvt_f32_i32_e32 v13, v13
	;; [unrolled: 1-line block ×4, first 2 shown]
	v_fmac_f32_e32 v45, v59, v16
	v_add_u32_e32 v16, 35, v12
	v_fma_f32 v40, v59, v13, v40
	v_fmac_f32_e32 v41, v59, v14
	v_fma_f32 v38, v59, v15, v38
	v_add_u32_e32 v13, 48, v12
	v_add_u32_e32 v14, 49, v12
	;; [unrolled: 1-line block ×4, first 2 shown]
	v_cvt_f32_i32_e32 v12, v12
	v_cvt_f32_i32_e32 v13, v13
	;; [unrolled: 1-line block ×3, first 2 shown]
	v_cmp_gt_i32_e64 s[12:13], s33, v10
	v_fmac_f32_e32 v35, v59, v12
	v_mov_b32_e32 v12, 0xff7fffff
	v_cmp_gt_i32_e64 s[14:15], s33, v11
	v_fma_f32 v36, v59, v13, v36
	v_cndmask_b32_e64 v13, v12, v17, s[12:13]
	v_cndmask_b32_e64 v11, v12, v31, s[14:15]
	v_fmac_f32_e32 v37, v59, v14
	v_max3_f32 v11, v13, s40, v11
	v_or_b32_e32 v13, 2, v10
	v_or_b32_e32 v14, 3, v10
	v_cmp_gt_i32_e64 s[16:17], s33, v13
	v_cmp_gt_i32_e64 s[18:19], s33, v14
	v_cvt_f32_i32_e32 v16, v16
	v_cndmask_b32_e64 v13, v12, v42, s[16:17]
	v_cndmask_b32_e64 v14, v12, v43, s[18:19]
	v_max3_f32 v11, v11, v13, v14
	v_or_b32_e32 v13, 16, v10
	v_or_b32_e32 v14, 17, v10
	v_cmp_gt_i32_e64 s[20:21], s33, v13
	v_cmp_gt_i32_e64 s[22:23], s33, v14
	v_fmac_f32_e32 v39, v59, v16
	v_cndmask_b32_e64 v13, v12, v52, s[20:21]
	v_cndmask_b32_e64 v14, v12, v49, s[22:23]
	v_max3_f32 v11, v11, v13, v14
	v_or_b32_e32 v13, 18, v10
	v_or_b32_e32 v14, 19, v10
	v_cmp_gt_i32_e64 s[24:25], s33, v13
	v_cmp_gt_i32_e64 s[26:27], s33, v14
	v_cvt_f32_i32_e32 v15, v15
	v_cndmask_b32_e64 v13, v12, v44, s[24:25]
	v_cndmask_b32_e64 v14, v12, v45, s[26:27]
	v_max3_f32 v11, v11, v13, v14
	v_or_b32_e32 v13, 32, v10
	v_or_b32_e32 v14, 33, v10
	v_cmp_gt_i32_e64 s[28:29], s33, v13
	v_cmp_gt_i32_e64 s[30:31], s33, v14
	v_fma_f32 v34, v59, v15, v34
	v_cndmask_b32_e64 v13, v12, v40, s[28:29]
	v_cndmask_b32_e64 v14, v12, v41, s[30:31]
	v_max3_f32 v11, v11, v13, v14
	v_or_b32_e32 v13, 34, v10
	v_or_b32_e32 v14, 35, v10
	v_cmp_gt_i32_e64 s[34:35], s33, v13
	v_cmp_gt_i32_e64 s[36:37], s33, v14
	s_nop 0
	v_cndmask_b32_e64 v13, v12, v38, s[34:35]
	v_cndmask_b32_e64 v14, v12, v39, s[36:37]
	v_max3_f32 v11, v11, v13, v14
	v_or_b32_e32 v13, 48, v10
	v_or_b32_e32 v14, 49, v10
	v_cmp_gt_i32_e64 s[6:7], s33, v13
	v_cmp_gt_i32_e64 s[8:9], s33, v14
	s_nop 0
	v_cndmask_b32_e64 v13, v12, v36, s[6:7]
	v_cndmask_b32_e64 v14, v12, v37, s[8:9]
	v_max3_f32 v11, v11, v13, v14
	v_or_b32_e32 v13, 50, v10
	v_or_b32_e32 v10, 51, v10
	v_cmp_gt_i32_e32 vcc, s33, v13
	v_cmp_gt_i32_e64 s[4:5], s33, v10
	s_nop 0
	v_cndmask_b32_e32 v13, v12, v34, vcc
	v_cndmask_b32_e64 v10, v12, v35, s[4:5]
	v_max3_f32 v14, v11, v13, v10
	v_mbcnt_lo_u32_b32 v10, -1, 0
	v_mbcnt_hi_u32_b32 v15, -1, v10
	v_and_b32_e32 v10, 64, v15
	v_add_u32_e32 v16, 64, v10
	v_xor_b32_e32 v10, 32, v15
	v_cmp_lt_i32_e64 s[38:39], v10, v16
	s_nop 1
	v_cndmask_b32_e64 v10, v15, v10, s[38:39]
	v_lshlrev_b32_e32 v53, 2, v10
	ds_bpermute_b32 v18, v53, v14
	v_mad_i64_i32 v[10:11], s[38:39], v63, s45, v[46:47]
	v_mad_i64_i32 v[12:13], s[38:39], v64, s45, v[46:47]
	s_waitcnt lgkmcnt(0)
	v_max_f32_e32 v18, v18, v18
	v_max_f32_e32 v18, v14, v18
	v_xor_b32_e32 v14, 16, v15
	v_cmp_lt_i32_e64 s[38:39], v14, v16
	s_nop 1
	v_cndmask_b32_e64 v14, v15, v14, s[38:39]
	v_lshlrev_b32_e32 v59, 2, v14
	ds_bpermute_b32 v16, v59, v18
	v_mad_i64_i32 v[14:15], s[38:39], v61, s45, v[46:47]
	v_mad_i64_i32 v[46:47], s[38:39], v62, s45, v[46:47]
	s_waitcnt lgkmcnt(0)
	v_max_f32_e32 v16, v16, v16
	v_max_f32_e32 v48, v18, v16
	v_sub_f32_e32 v16, v31, v48
	global_load_dwordx4 v[30:33], v[10:11], off
	global_load_dwordx4 v[18:21], v[12:13], off
	v_sub_f32_e32 v10, v17, v48
	v_mul_f32_e32 v10, 0x3fb8aa3b, v10
	v_exp_f32_e32 v50, v10
	v_mul_f32_e32 v10, 0x3fb8aa3b, v16
	v_exp_f32_e32 v51, v10
	v_sub_f32_e32 v10, v42, v48
	v_mul_f32_e32 v10, 0x3fb8aa3b, v10
	v_exp_f32_e32 v42, v10
	v_sub_f32_e32 v10, v43, v48
	v_mul_f32_e32 v10, 0x3fb8aa3b, v10
	v_exp_f32_e32 v43, v10
	global_load_dwordx4 v[14:17], v[14:15], off
	s_nop 0
	global_load_dwordx4 v[10:13], v[46:47], off
	v_sub_f32_e32 v40, v40, v48
	v_sub_f32_e32 v38, v38, v48
	v_mul_f32_e32 v40, 0x3fb8aa3b, v40
	v_mul_f32_e32 v38, 0x3fb8aa3b, v38
	v_cndmask_b32_e64 v47, 0, v51, s[14:15]
	v_cndmask_b32_e64 v51, 0, v43, s[18:19]
	v_sub_f32_e32 v43, v49, v48
	v_exp_f32_e32 v40, v40
	v_exp_f32_e32 v49, v38
	v_cndmask_b32_e64 v46, 0, v50, s[12:13]
	v_cndmask_b32_e64 v50, 0, v42, s[16:17]
	v_sub_f32_e32 v42, v52, v48
	v_mul_f32_e32 v42, 0x3fb8aa3b, v42
	v_sub_f32_e32 v38, v39, v48
	v_exp_f32_e32 v42, v42
	v_mul_f32_e32 v43, 0x3fb8aa3b, v43
	v_sub_f32_e32 v44, v44, v48
	v_mul_f32_e32 v38, 0x3fb8aa3b, v38
	v_exp_f32_e32 v43, v43
	v_mul_f32_e32 v44, 0x3fb8aa3b, v44
	v_sub_f32_e32 v45, v45, v48
	v_exp_f32_e32 v52, v38
	v_cndmask_b32_e64 v38, 0, v40, s[28:29]
	v_cndmask_b32_e64 v40, 0, v49, s[34:35]
	v_add_f32_e32 v49, 0, v46
	v_exp_f32_e32 v44, v44
	v_mul_f32_e32 v45, 0x3fb8aa3b, v45
	v_add_f32_e32 v49, v49, v47
	v_exp_f32_e32 v45, v45
	v_sub_f32_e32 v41, v41, v48
	v_add_f32_e32 v49, v49, v50
	v_cndmask_b32_e64 v42, 0, v42, s[20:21]
	v_mul_f32_e32 v41, 0x3fb8aa3b, v41
	v_add_f32_e32 v49, v49, v51
	v_cndmask_b32_e64 v43, 0, v43, s[22:23]
	v_exp_f32_e32 v41, v41
	v_add_f32_e32 v49, v49, v42
	v_cndmask_b32_e64 v44, 0, v44, s[24:25]
	v_add_f32_e32 v49, v49, v43
	v_sub_f32_e32 v36, v36, v48
	v_cndmask_b32_e64 v45, 0, v45, s[26:27]
	v_add_f32_e32 v49, v49, v44
	v_mul_f32_e32 v36, 0x3fb8aa3b, v36
	v_sub_f32_e32 v37, v37, v48
	v_add_f32_e32 v49, v49, v45
	v_exp_f32_e32 v36, v36
	v_mul_f32_e32 v37, 0x3fb8aa3b, v37
	v_sub_f32_e32 v34, v34, v48
	v_cndmask_b32_e64 v39, 0, v41, s[30:31]
	v_add_f32_e32 v49, v49, v38
	v_exp_f32_e32 v37, v37
	v_mul_f32_e32 v34, 0x3fb8aa3b, v34
	v_sub_f32_e32 v35, v35, v48
	v_add_f32_e32 v49, v49, v39
	v_exp_f32_e32 v34, v34
	v_mul_f32_e32 v35, 0x3fb8aa3b, v35
	v_cndmask_b32_e64 v41, 0, v52, s[36:37]
	v_add_f32_e32 v49, v49, v40
	v_exp_f32_e32 v35, v35
	v_add_f32_e32 v49, v49, v41
	v_cndmask_b32_e64 v36, 0, v36, s[6:7]
	v_add_f32_e32 v49, v49, v36
	v_cndmask_b32_e64 v37, 0, v37, s[8:9]
	v_add_f32_e32 v49, v49, v37
	v_cndmask_b32_e32 v34, 0, v34, vcc
	v_add_f32_e32 v49, v49, v34
	v_cndmask_b32_e64 v35, 0, v35, s[4:5]
	v_add_f32_e32 v49, v49, v35
	ds_bpermute_b32 v52, v53, v49
	v_cmp_gt_u32_e32 vcc, 16, v55
	s_waitcnt lgkmcnt(0)
	s_barrier
	v_add_f32_e32 v49, v49, v52
	ds_bpermute_b32 v52, v59, v49
	s_and_saveexec_b64 s[4:5], vcc
	s_cbranch_execz .LBB1385_15
; %bb.14:
	s_waitcnt lgkmcnt(0)
	v_add_f32_e32 v49, v49, v52
	v_lshlrev_b32_e32 v52, 2, v60
	ds_write2st64_b32 v52, v48, v49 offset1:1
.LBB1385_15:
	s_or_b64 exec, exec, s[4:5]
	v_lshlrev_b32_e32 v49, 2, v56
	s_load_dword s6, s[0:1], 0x94
	s_waitcnt lgkmcnt(0)
	s_barrier
	ds_read2_b32 v[52:53], v49 offset1:16
	ds_read2_b32 v[60:61], v49 offset0:32 offset1:48
	ds_read2_b32 v[62:63], v49 offset0:64 offset1:80
	s_movk_i32 s8, 0x7fff
	s_lshl_b32 s7, s46, 1
	s_waitcnt lgkmcnt(2)
	v_max3_f32 v48, v52, s40, v53
	s_waitcnt lgkmcnt(1)
	v_max3_f32 v48, v48, v60, v61
	v_sub_f32_e32 v52, v52, v48
	v_mul_f32_e32 v52, 0x3fb8aa3b, v52
	v_exp_f32_e32 v59, v52
	v_sub_f32_e32 v52, v53, v48
	v_mul_f32_e32 v52, 0x3fb8aa3b, v52
	v_exp_f32_e32 v64, v52
	;; [unrolled: 3-line block ×3, first 2 shown]
	ds_read2_b32 v[52:53], v49 offset0:96 offset1:112
	v_sub_f32_e32 v49, v61, v48
	v_mul_f32_e32 v49, 0x3fb8aa3b, v49
	v_exp_f32_e32 v61, v49
	s_waitcnt lgkmcnt(1)
	v_fma_f32 v49, v59, v62, 0
	v_fmac_f32_e32 v49, v64, v63
	s_waitcnt lgkmcnt(0)
	v_fmac_f32_e32 v49, v60, v52
	v_fmac_f32_e32 v49, v61, v53
	v_add_f32_e32 v52, 0x358637bd, v49
	v_div_scale_f32 v53, s[4:5], v52, v52, 1.0
	v_rcp_f32_e32 v62, v53
	s_barrier
	v_fma_f32 v63, -v53, v62, 1.0
	v_fmac_f32_e32 v62, v63, v62
	v_div_scale_f32 v63, vcc, 1.0, v52, 1.0
	v_mul_f32_e32 v65, v63, v62
	v_fma_f32 v66, -v53, v65, v63
	v_fmac_f32_e32 v65, v66, v62
	v_fma_f32 v53, -v53, v65, v63
	v_div_fmas_f32 v53, v53, v62, v65
	v_cmp_eq_u32_e32 vcc, 1, v58
	v_div_fixup_f32 v52, v53, v52, 1.0
	s_nop 0
	v_cndmask_b32_e32 v53, v59, v64, vcc
	v_cmp_eq_u32_e32 vcc, 2, v58
	s_nop 1
	v_cndmask_b32_e32 v53, v53, v60, vcc
	v_cmp_eq_u32_e32 vcc, 3, v58
	s_nop 1
	v_cndmask_b32_e32 v53, v53, v61, vcc
	v_mul_f32_e32 v52, v53, v52
	v_pk_mul_f32 v[46:47], v[52:53], v[46:47] op_sel_hi:[0,1]
	v_pk_mul_f32 v[50:51], v[52:53], v[50:51] op_sel_hi:[0,1]
	v_bfe_u32 v53, v47, 16, 1
	v_bfe_u32 v59, v46, 16, 1
	v_add3_u32 v46, v46, v59, s8
	v_add3_u32 v47, v47, v53, s8
	v_perm_b32 v60, v47, v46, s44
	v_bfe_u32 v46, v51, 16, 1
	v_bfe_u32 v47, v50, 16, 1
	v_add3_u32 v47, v50, v47, s8
	v_add3_u32 v46, v51, v46, s8
	v_perm_b32 v61, v46, v47, s44
	v_lshlrev_b32_e32 v47, 3, v1
	v_lshlrev_b32_e32 v46, 5, v56
	v_lshlrev_b32_e32 v50, 11, v58
	v_pk_mul_f32 v[42:43], v[52:53], v[42:43] op_sel_hi:[0,1]
	v_or3_b32 v58, v50, v46, v47
	v_bfe_u32 v47, v43, 16, 1
	v_bfe_u32 v50, v42, 16, 1
	v_pk_mul_f32 v[44:45], v[52:53], v[44:45] op_sel_hi:[0,1]
	v_add3_u32 v42, v42, v50, s8
	v_add3_u32 v43, v43, v47, s8
	v_perm_b32 v42, v43, v42, s44
	v_bfe_u32 v43, v45, 16, 1
	v_bfe_u32 v47, v44, 16, 1
	v_add3_u32 v44, v44, v47, s8
	v_add3_u32 v43, v45, v43, s8
	v_perm_b32 v43, v43, v44, s44
	v_pk_mul_f32 v[38:39], v[52:53], v[38:39] op_sel_hi:[0,1]
	ds_write2st64_b64 v58, v[60:61], v[42:43] offset1:1
	v_bfe_u32 v42, v39, 16, 1
	v_bfe_u32 v43, v38, 16, 1
	v_pk_mul_f32 v[40:41], v[52:53], v[40:41] op_sel_hi:[0,1]
	v_add3_u32 v38, v38, v43, s8
	v_add3_u32 v39, v39, v42, s8
	v_perm_b32 v38, v39, v38, s44
	v_bfe_u32 v39, v41, 16, 1
	v_bfe_u32 v42, v40, 16, 1
	v_add3_u32 v40, v40, v42, s8
	v_add3_u32 v39, v41, v39, s8
	v_pk_mul_f32 v[36:37], v[52:53], v[36:37] op_sel_hi:[0,1]
	v_perm_b32 v39, v39, v40, s44
	v_bfe_u32 v40, v37, 16, 1
	v_bfe_u32 v41, v36, 16, 1
	v_pk_mul_f32 v[34:35], v[52:53], v[34:35] op_sel_hi:[0,1]
	v_add3_u32 v36, v36, v41, s8
	v_add3_u32 v37, v37, v40, s8
	v_perm_b32 v36, v37, v36, s44
	v_bfe_u32 v37, v35, 16, 1
	v_bfe_u32 v40, v34, 16, 1
	v_add3_u32 v34, v34, v40, s8
	v_add3_u32 v35, v35, v37, s8
	v_perm_b32 v37, v35, v34, s44
	v_cmp_gt_u32_e32 vcc, 2, v0
	ds_write2st64_b64 v58, v[38:39], v[36:37] offset0:2 offset1:3
	s_and_saveexec_b64 s[4:5], vcc
	s_cbranch_execz .LBB1385_17
; %bb.16:
	v_or_b32_e32 v34, s11, v0
	v_mov_b32_e32 v35, 0
	v_mov_b32_e32 v36, s7
	v_mad_u64_u32 v[36:37], s[16:17], s2, v36, v[34:35]
	v_mov_b32_e32 v34, s10
	s_load_dwordx4 s[12:15], s[0:1], 0x58
	s_mul_i32 s3, s3, s7
	v_mad_u64_u32 v[34:35], s[16:17], v36, s6, v[34:35]
	v_add_u32_e32 v37, s3, v37
	v_mov_b32_e32 v36, v35
	v_mad_u64_u32 v[36:37], s[16:17], v37, s6, v[36:37]
	v_mov_b32_e32 v35, v36
	v_lshlrev_b64 v[34:35], 2, v[34:35]
	s_waitcnt lgkmcnt(0)
	v_lshl_add_u64 v[36:37], s[14:15], 0, v[34:35]
	v_lshl_add_u64 v[34:35], s[12:13], 0, v[34:35]
	global_store_dword v[36:37], v48, off
	global_store_dword v[34:35], v49, off
.LBB1385_17:
	s_or_b64 exec, exec, s[4:5]
	s_waitcnt vmcnt(7)
	v_cvt_pk_f32_fp8_e32 v[34:35], v6
	v_cvt_pk_f32_fp8_sdwa v[36:37], v6 src0_sel:WORD_1
	v_lshl_or_b32 v50, v1, 9, v46
	s_mov_b32 s5, 0x7060302
	s_waitcnt lgkmcnt(0)
	s_barrier
	v_cvt_pk_f32_fp8_e32 v[38:39], v7
	v_perm_b32 v6, v35, v34, s5
	v_cvt_pk_f32_fp8_sdwa v[40:41], v7 src0_sel:WORD_1
	v_perm_b32 v7, v37, v36, s5
	ds_read_b128 v[34:37], v50
	v_perm_b32 v46, v39, v38, s5
	v_perm_b32 v47, v41, v40, s5
	ds_read_b128 v[38:41], v50 offset:16
	v_cvt_pk_f32_fp8_e32 v[48:49], v8
	v_cvt_pk_f32_fp8_sdwa v[52:53], v8 src0_sel:WORD_1
	s_waitcnt lgkmcnt(1)
	v_mfma_f32_16x16x16_bf16 v[42:45], v[6:7], v[34:35], 0
	s_waitcnt vmcnt(6)
	v_cvt_pk_f32_fp8_e32 v[60:61], v4
	v_perm_b32 v6, v49, v48, s5
	v_perm_b32 v7, v53, v52, s5
	v_cvt_pk_f32_fp8_e32 v[48:49], v9
	v_mfma_f32_16x16x16_bf16 v[42:45], v[46:47], v[36:37], v[42:45]
	v_cvt_pk_f32_fp8_sdwa v[46:47], v9 src0_sel:WORD_1
	v_cvt_pk_f32_fp8_sdwa v[62:63], v4 src0_sel:WORD_1
	v_perm_b32 v48, v49, v48, s5
	s_waitcnt lgkmcnt(0)
	v_mfma_f32_16x16x16_bf16 v[6:9], v[6:7], v[38:39], v[42:45]
	v_perm_b32 v49, v47, v46, s5
	s_waitcnt vmcnt(5)
	v_cvt_pk_f32_fp8_e32 v[64:65], v28
	v_cvt_pk_f32_fp8_sdwa v[66:67], v28 src0_sel:WORD_1
	v_cvt_pk_f32_fp8_e32 v[42:43], v2
	v_mfma_f32_16x16x16_bf16 v[46:49], v[48:49], v[40:41], v[6:9]
	s_waitcnt vmcnt(4)
	v_cvt_pk_f32_fp8_sdwa v[68:69], v24 src0_sel:WORD_1
	s_load_dword s4, s[42:43], 0x0
	v_cvt_pk_f32_fp8_sdwa v[6:7], v2 src0_sel:WORD_1
	v_cvt_pk_f32_fp8_e32 v[8:9], v3
	v_perm_b32 v2, v43, v42, s5
	v_cvt_pk_f32_fp8_sdwa v[42:43], v3 src0_sel:WORD_1
	v_perm_b32 v3, v7, v6, s5
	v_perm_b32 v52, v9, v8, s5
	ds_read_b128 v[6:9], v50 offset:2048
	v_perm_b32 v53, v43, v42, s5
	ds_read_b128 v[42:45], v50 offset:2064
	s_waitcnt lgkmcnt(0)
	v_mfma_f32_16x16x16_bf16 v[46:49], v[2:3], v[6:7], v[46:49]
	v_perm_b32 v2, v61, v60, s5
	v_perm_b32 v3, v63, v62, s5
	v_cvt_pk_f32_fp8_e32 v[60:61], v5
	v_mfma_f32_16x16x16_bf16 v[46:49], v[52:53], v[8:9], v[46:49]
	v_cvt_pk_f32_fp8_sdwa v[52:53], v5 src0_sel:WORD_1
	s_waitcnt vmcnt(3)
	v_cvt_pk_f32_fp8_sdwa v[70:71], v32 src0_sel:WORD_1
	v_perm_b32 v60, v61, v60, s5
	v_mfma_f32_16x16x16_bf16 v[2:5], v[2:3], v[42:43], v[46:49]
	v_perm_b32 v61, v53, v52, s5
	v_cmp_gt_u32_e32 vcc, 64, v0
	s_mov_b32 s3, 0
	v_cvt_pk_f32_fp8_e32 v[46:47], v26
	v_mfma_f32_16x16x16_bf16 v[60:63], v[60:61], v[44:45], v[2:5]
	s_nop 2
	v_cvt_pk_f32_fp8_sdwa v[2:3], v26 src0_sel:WORD_1
	v_cvt_pk_f32_fp8_e32 v[4:5], v27
	v_perm_b32 v26, v47, v46, s5
	v_cvt_pk_f32_fp8_sdwa v[46:47], v27 src0_sel:WORD_1
	v_perm_b32 v27, v3, v2, s5
	v_perm_b32 v52, v5, v4, s5
	ds_read_b128 v[2:5], v50 offset:4096
	v_perm_b32 v53, v47, v46, s5
	ds_read_b128 v[46:49], v50 offset:4112
	s_waitcnt lgkmcnt(1)
	v_mfma_f32_16x16x16_bf16 v[60:63], v[26:27], v[2:3], v[60:63]
	v_perm_b32 v26, v65, v64, s5
	v_perm_b32 v27, v67, v66, s5
	v_cvt_pk_f32_fp8_e32 v[64:65], v29
	v_mfma_f32_16x16x16_bf16 v[60:63], v[52:53], v[4:5], v[60:63]
	v_cvt_pk_f32_fp8_sdwa v[52:53], v29 src0_sel:WORD_1
	v_cvt_pk_f32_fp8_e32 v[66:67], v24
	v_perm_b32 v64, v65, v64, s5
	s_waitcnt lgkmcnt(0)
	v_mfma_f32_16x16x16_bf16 v[26:29], v[26:27], v[46:47], v[60:63]
	v_perm_b32 v65, v53, v52, s5
	v_cvt_pk_f32_fp8_e32 v[52:53], v22
	s_nop 0
	v_mfma_f32_16x16x16_bf16 v[60:63], v[64:65], v[48:49], v[26:29]
	s_nop 2
	v_cvt_pk_f32_fp8_sdwa v[26:27], v22 src0_sel:WORD_1
	v_cvt_pk_f32_fp8_e32 v[28:29], v23
	v_perm_b32 v22, v53, v52, s5
	v_cvt_pk_f32_fp8_sdwa v[52:53], v23 src0_sel:WORD_1
	v_perm_b32 v23, v27, v26, s5
	v_perm_b32 v64, v29, v28, s5
	ds_read_b128 v[26:29], v50 offset:6144
	v_perm_b32 v65, v53, v52, s5
	s_waitcnt lgkmcnt(0)
	v_mfma_f32_16x16x16_bf16 v[60:63], v[22:23], v[26:27], v[60:63]
	ds_read_b128 v[50:53], v50 offset:6160
	v_perm_b32 v22, v67, v66, s5
	v_perm_b32 v23, v69, v68, s5
	v_cvt_pk_f32_fp8_e32 v[66:67], v25
	v_mfma_f32_16x16x16_bf16 v[60:63], v[64:65], v[28:29], v[60:63]
	v_cvt_pk_f32_fp8_sdwa v[64:65], v25 src0_sel:WORD_1
	v_cvt_pk_f32_fp8_e32 v[68:69], v32
	v_perm_b32 v66, v67, v66, s5
	s_waitcnt lgkmcnt(0)
	v_mfma_f32_16x16x16_bf16 v[22:25], v[22:23], v[50:51], v[60:63]
	v_perm_b32 v67, v65, v64, s5
	s_barrier
	s_nop 0
	v_mfma_f32_16x16x16_bf16 v[60:63], v[66:67], v[52:53], v[22:25]
	s_nop 2
	v_cvt_pk_f32_fp8_e32 v[24:25], v30
	v_perm_b32 v24, v25, v24, s5
	s_nop 1
	v_pk_mul_f32 v[22:23], v[62:63], s[4:5] op_sel_hi:[1,0]
	v_cvt_pk_f32_fp8_sdwa v[62:63], v30 src0_sel:WORD_1
	v_pk_mul_f32 v[64:65], v[60:61], s[4:5] op_sel_hi:[1,0]
	v_cvt_pk_f32_fp8_e32 v[60:61], v31
	v_cvt_pk_f32_fp8_sdwa v[30:31], v31 src0_sel:WORD_1
	v_perm_b32 v25, v63, v62, s5
	v_bfe_u32 v59, v65, 16, 1
	v_perm_b32 v66, v61, v60, s5
	v_perm_b32 v67, v31, v30, s5
	v_mfma_f32_16x16x16_bf16 v[60:63], v[24:25], v[34:35], 0
	v_perm_b32 v24, v69, v68, s5
	v_perm_b32 v25, v71, v70, s5
	v_cvt_pk_f32_fp8_e32 v[34:35], v33
	v_cvt_pk_f32_fp8_sdwa v[68:69], v33 src0_sel:WORD_1
	v_mfma_f32_16x16x16_bf16 v[30:33], v[66:67], v[36:37], v[60:63]
	s_waitcnt vmcnt(2)
	v_cvt_pk_f32_fp8_sdwa v[36:37], v18 src0_sel:WORD_1
	v_perm_b32 v34, v35, v34, s5
	v_perm_b32 v35, v69, v68, s5
	v_mfma_f32_16x16x16_bf16 v[30:33], v[24:25], v[38:39], v[30:33]
	v_cvt_pk_f32_fp8_e32 v[24:25], v18
	v_cvt_pk_f32_fp8_sdwa v[38:39], v20 src0_sel:WORD_1
	v_bfe_u32 v60, v64, 16, 1
	v_mfma_f32_16x16x16_bf16 v[30:33], v[34:35], v[40:41], v[30:33]
	v_cvt_pk_f32_fp8_e32 v[34:35], v19
	v_perm_b32 v24, v25, v24, s5
	v_perm_b32 v25, v37, v36, s5
	v_cvt_pk_f32_fp8_sdwa v[18:19], v19 src0_sel:WORD_1
	v_perm_b32 v34, v35, v34, s5
	v_cvt_pk_f32_fp8_e32 v[36:37], v20
	v_mfma_f32_16x16x16_bf16 v[30:33], v[24:25], v[6:7], v[30:33]
	v_perm_b32 v35, v19, v18, s5
	v_perm_b32 v18, v37, v36, s5
	;; [unrolled: 1-line block ×3, first 2 shown]
	v_cvt_pk_f32_fp8_e32 v[24:25], v21
	v_cvt_pk_f32_fp8_sdwa v[20:21], v21 src0_sel:WORD_1
	v_mfma_f32_16x16x16_bf16 v[6:9], v[34:35], v[8:9], v[30:33]
	v_perm_b32 v24, v25, v24, s5
	v_perm_b32 v25, v21, v20, s5
	v_mfma_f32_16x16x16_bf16 v[6:9], v[18:19], v[42:43], v[6:9]
	s_waitcnt vmcnt(1)
	v_cvt_pk_f32_fp8_e32 v[18:19], v14
	v_cvt_pk_f32_fp8_sdwa v[20:21], v14 src0_sel:WORD_1
	v_cvt_pk_f32_fp8_sdwa v[30:31], v16 src0_sel:WORD_1
	v_mfma_f32_16x16x16_bf16 v[6:9], v[24:25], v[44:45], v[6:9]
	v_cvt_pk_f32_fp8_e32 v[24:25], v15
	v_perm_b32 v18, v19, v18, s5
	v_perm_b32 v19, v21, v20, s5
	v_cvt_pk_f32_fp8_sdwa v[14:15], v15 src0_sel:WORD_1
	v_perm_b32 v20, v25, v24, s5
	v_cvt_pk_f32_fp8_e32 v[24:25], v16
	v_mfma_f32_16x16x16_bf16 v[6:9], v[18:19], v[2:3], v[6:9]
	v_perm_b32 v21, v15, v14, s5
	v_perm_b32 v14, v25, v24, s5
	;; [unrolled: 1-line block ×3, first 2 shown]
	v_cvt_pk_f32_fp8_e32 v[18:19], v17
	v_cvt_pk_f32_fp8_sdwa v[16:17], v17 src0_sel:WORD_1
	v_mfma_f32_16x16x16_bf16 v[2:5], v[20:21], v[4:5], v[6:9]
	v_add3_u32 v32, v64, v60, s8
	v_add3_u32 v33, v65, v59, s8
	s_nop 0
	v_perm_b32 v8, v19, v18, s5
	v_perm_b32 v9, v17, v16, s5
	v_mfma_f32_16x16x16_bf16 v[2:5], v[14:15], v[46:47], v[2:5]
	s_waitcnt vmcnt(0)
	v_cvt_pk_f32_fp8_e32 v[14:15], v10
	v_cvt_pk_f32_fp8_sdwa v[16:17], v10 src0_sel:WORD_1
	v_cvt_pk_f32_fp8_sdwa v[18:19], v12 src0_sel:WORD_1
	v_mfma_f32_16x16x16_bf16 v[2:5], v[8:9], v[48:49], v[2:5]
	v_cvt_pk_f32_fp8_e32 v[8:9], v11
	v_perm_b32 v14, v15, v14, s5
	v_perm_b32 v15, v17, v16, s5
	v_cvt_pk_f32_fp8_sdwa v[10:11], v11 src0_sel:WORD_1
	v_perm_b32 v8, v9, v8, s5
	v_cvt_pk_f32_fp8_e32 v[16:17], v12
	v_mfma_f32_16x16x16_bf16 v[2:5], v[14:15], v[26:27], v[2:5]
	v_perm_b32 v9, v11, v10, s5
	v_perm_b32 v10, v17, v16, s5
	;; [unrolled: 1-line block ×3, first 2 shown]
	v_cvt_pk_f32_fp8_e32 v[14:15], v13
	v_cvt_pk_f32_fp8_sdwa v[12:13], v13 src0_sel:WORD_1
	v_mfma_f32_16x16x16_bf16 v[2:5], v[8:9], v[28:29], v[2:5]
	v_bfe_u32 v7, v23, 16, 1
	v_perm_b32 v8, v15, v14, s5
	v_perm_b32 v9, v13, v12, s5
	v_mfma_f32_16x16x16_bf16 v[2:5], v[10:11], v[50:51], v[2:5]
	v_bfe_u32 v16, v22, 16, 1
	v_add3_u32 v10, v22, v16, s8
	v_add3_u32 v7, v23, v7, s8
	v_mfma_f32_16x16x16_bf16 v[2:5], v[8:9], v[52:53], v[2:5]
	v_perm_b32 v6, v33, v32, s5
	v_perm_b32 v7, v7, v10, s5
	s_nop 4
	v_pk_mul_f32 v[2:3], v[2:3], s[4:5] op_sel_hi:[1,0]
	v_pk_mul_f32 v[4:5], v[4:5], s[4:5] op_sel_hi:[1,0]
	v_bfe_u32 v8, v3, 16, 1
	v_bfe_u32 v9, v2, 16, 1
	v_add3_u32 v2, v2, v9, s8
	v_add3_u32 v3, v3, v8, s8
	v_perm_b32 v2, v3, v2, s5
	v_bfe_u32 v3, v5, 16, 1
	v_bfe_u32 v8, v4, 16, 1
	v_add3_u32 v4, v4, v8, s8
	v_add3_u32 v3, v5, v3, s8
	v_perm_b32 v3, v3, v4, s5
	v_cmp_gt_u32_e64 s[4:5], 32, v55
	s_and_b64 s[4:5], vcc, s[4:5]
	ds_write2st64_b64 v58, v[6:7], v[2:3] offset1:1
	s_waitcnt lgkmcnt(0)
	s_barrier
	s_and_saveexec_b64 s[8:9], s[4:5]
	s_cbranch_execz .LBB1385_19
; %bb.18:
	s_load_dwordx2 s[0:1], s[0:1], 0x68
	s_mul_i32 s2, s7, s2
	s_lshl_b32 s6, s6, 7
	v_lshlrev_b32_e32 v4, 6, v56
	s_mul_hi_u32 s5, s2, s6
	s_mul_i32 s4, s2, s6
	v_lshl_or_b32 v0, v0, 10, v4
	s_lshl_b64 s[4:5], s[4:5], 1
	v_lshlrev_b32_e32 v2, 5, v1
	v_and_b32_e32 v3, 16, v57
	v_and_b32_e32 v0, 0x1a00, v0
	s_waitcnt lgkmcnt(0)
	s_add_u32 s4, s0, s4
	v_or3_b32 v0, v0, v2, v3
	s_addc_u32 s5, s1, s5
	s_lshl_b32 s2, s10, 7
	ds_read_b128 v[2:5], v0
	s_lshl_b64 s[0:1], s[2:3], 1
	s_add_u32 s0, s4, s0
	v_or_b32_e32 v0, s11, v1
	s_addc_u32 s1, s5, s1
	v_mad_u64_u32 v[0:1], s[2:3], s6, v0, 0
	v_lshl_add_u64 v[0:1], v[0:1], 1, s[0:1]
	v_mov_b32_e32 v55, 0
	v_lshl_add_u64 v[0:1], v[0:1], 0, v[54:55]
	s_waitcnt lgkmcnt(0)
	global_store_dwordx4 v[0:1], v[2:5], off
.LBB1385_19:
	s_endpgm
	.section	.rodata,"a",@progbits
	.p2align	6, 0x0
	.amdhsa_kernel _Z39paged_attention_ll4mi_QKV_mfma16_kernelI14__hip_bfloat16hLN4vllm18Fp8KVCacheDataTypeE1ES0_Li32ELi128ELi256ELb1ELi2EEvPKT_PKT0_S8_ifPKiSA_SA_iPKfiiiPfSD_PS3_PT2_iSC_SC_
		.amdhsa_group_segment_fixed_size 8192
		.amdhsa_private_segment_fixed_size 0
		.amdhsa_kernarg_size 400
		.amdhsa_user_sgpr_count 2
		.amdhsa_user_sgpr_dispatch_ptr 0
		.amdhsa_user_sgpr_queue_ptr 0
		.amdhsa_user_sgpr_kernarg_segment_ptr 1
		.amdhsa_user_sgpr_dispatch_id 0
		.amdhsa_user_sgpr_kernarg_preload_length 0
		.amdhsa_user_sgpr_kernarg_preload_offset 0
		.amdhsa_user_sgpr_private_segment_size 0
		.amdhsa_uses_dynamic_stack 0
		.amdhsa_enable_private_segment 0
		.amdhsa_system_sgpr_workgroup_id_x 1
		.amdhsa_system_sgpr_workgroup_id_y 1
		.amdhsa_system_sgpr_workgroup_id_z 1
		.amdhsa_system_sgpr_workgroup_info 0
		.amdhsa_system_vgpr_workitem_id 0
		.amdhsa_next_free_vgpr 78
		.amdhsa_next_free_sgpr 48
		.amdhsa_accum_offset 80
		.amdhsa_reserve_vcc 1
		.amdhsa_float_round_mode_32 0
		.amdhsa_float_round_mode_16_64 0
		.amdhsa_float_denorm_mode_32 3
		.amdhsa_float_denorm_mode_16_64 3
		.amdhsa_dx10_clamp 1
		.amdhsa_ieee_mode 1
		.amdhsa_fp16_overflow 0
		.amdhsa_tg_split 0
		.amdhsa_exception_fp_ieee_invalid_op 0
		.amdhsa_exception_fp_denorm_src 0
		.amdhsa_exception_fp_ieee_div_zero 0
		.amdhsa_exception_fp_ieee_overflow 0
		.amdhsa_exception_fp_ieee_underflow 0
		.amdhsa_exception_fp_ieee_inexact 0
		.amdhsa_exception_int_div_zero 0
	.end_amdhsa_kernel
	.section	.text._Z39paged_attention_ll4mi_QKV_mfma16_kernelI14__hip_bfloat16hLN4vllm18Fp8KVCacheDataTypeE1ES0_Li32ELi128ELi256ELb1ELi2EEvPKT_PKT0_S8_ifPKiSA_SA_iPKfiiiPfSD_PS3_PT2_iSC_SC_,"axG",@progbits,_Z39paged_attention_ll4mi_QKV_mfma16_kernelI14__hip_bfloat16hLN4vllm18Fp8KVCacheDataTypeE1ES0_Li32ELi128ELi256ELb1ELi2EEvPKT_PKT0_S8_ifPKiSA_SA_iPKfiiiPfSD_PS3_PT2_iSC_SC_,comdat
.Lfunc_end1385:
	.size	_Z39paged_attention_ll4mi_QKV_mfma16_kernelI14__hip_bfloat16hLN4vllm18Fp8KVCacheDataTypeE1ES0_Li32ELi128ELi256ELb1ELi2EEvPKT_PKT0_S8_ifPKiSA_SA_iPKfiiiPfSD_PS3_PT2_iSC_SC_, .Lfunc_end1385-_Z39paged_attention_ll4mi_QKV_mfma16_kernelI14__hip_bfloat16hLN4vllm18Fp8KVCacheDataTypeE1ES0_Li32ELi128ELi256ELb1ELi2EEvPKT_PKT0_S8_ifPKiSA_SA_iPKfiiiPfSD_PS3_PT2_iSC_SC_
                                        ; -- End function
	.section	.AMDGPU.csdata,"",@progbits
; Kernel info:
; codeLenInByte = 6596
; NumSgprs: 54
; NumVgprs: 78
; NumAgprs: 0
; TotalNumVgprs: 78
; ScratchSize: 0
; MemoryBound: 0
; FloatMode: 240
; IeeeMode: 1
; LDSByteSize: 8192 bytes/workgroup (compile time only)
; SGPRBlocks: 6
; VGPRBlocks: 9
; NumSGPRsForWavesPerEU: 54
; NumVGPRsForWavesPerEU: 78
; AccumOffset: 80
; Occupancy: 6
; WaveLimiterHint : 1
; COMPUTE_PGM_RSRC2:SCRATCH_EN: 0
; COMPUTE_PGM_RSRC2:USER_SGPR: 2
; COMPUTE_PGM_RSRC2:TRAP_HANDLER: 0
; COMPUTE_PGM_RSRC2:TGID_X_EN: 1
; COMPUTE_PGM_RSRC2:TGID_Y_EN: 1
; COMPUTE_PGM_RSRC2:TGID_Z_EN: 1
; COMPUTE_PGM_RSRC2:TIDIG_COMP_CNT: 0
; COMPUTE_PGM_RSRC3_GFX90A:ACCUM_OFFSET: 19
; COMPUTE_PGM_RSRC3_GFX90A:TG_SPLIT: 0
	.section	.text._Z39paged_attention_ll4mi_QKV_mfma16_kernelI14__hip_bfloat16hLN4vllm18Fp8KVCacheDataTypeE1ES0_Li32ELi128ELi256ELb1ELi3EEvPKT_PKT0_S8_ifPKiSA_SA_iPKfiiiPfSD_PS3_PT2_iSC_SC_,"axG",@progbits,_Z39paged_attention_ll4mi_QKV_mfma16_kernelI14__hip_bfloat16hLN4vllm18Fp8KVCacheDataTypeE1ES0_Li32ELi128ELi256ELb1ELi3EEvPKT_PKT0_S8_ifPKiSA_SA_iPKfiiiPfSD_PS3_PT2_iSC_SC_,comdat
	.protected	_Z39paged_attention_ll4mi_QKV_mfma16_kernelI14__hip_bfloat16hLN4vllm18Fp8KVCacheDataTypeE1ES0_Li32ELi128ELi256ELb1ELi3EEvPKT_PKT0_S8_ifPKiSA_SA_iPKfiiiPfSD_PS3_PT2_iSC_SC_ ; -- Begin function _Z39paged_attention_ll4mi_QKV_mfma16_kernelI14__hip_bfloat16hLN4vllm18Fp8KVCacheDataTypeE1ES0_Li32ELi128ELi256ELb1ELi3EEvPKT_PKT0_S8_ifPKiSA_SA_iPKfiiiPfSD_PS3_PT2_iSC_SC_
	.globl	_Z39paged_attention_ll4mi_QKV_mfma16_kernelI14__hip_bfloat16hLN4vllm18Fp8KVCacheDataTypeE1ES0_Li32ELi128ELi256ELb1ELi3EEvPKT_PKT0_S8_ifPKiSA_SA_iPKfiiiPfSD_PS3_PT2_iSC_SC_
	.p2align	8
	.type	_Z39paged_attention_ll4mi_QKV_mfma16_kernelI14__hip_bfloat16hLN4vllm18Fp8KVCacheDataTypeE1ES0_Li32ELi128ELi256ELb1ELi3EEvPKT_PKT0_S8_ifPKiSA_SA_iPKfiiiPfSD_PS3_PT2_iSC_SC_,@function
_Z39paged_attention_ll4mi_QKV_mfma16_kernelI14__hip_bfloat16hLN4vllm18Fp8KVCacheDataTypeE1ES0_Li32ELi128ELi256ELb1ELi3EEvPKT_PKT0_S8_ifPKiSA_SA_iPKfiiiPfSD_PS3_PT2_iSC_SC_: ; @_Z39paged_attention_ll4mi_QKV_mfma16_kernelI14__hip_bfloat16hLN4vllm18Fp8KVCacheDataTypeE1ES0_Li32ELi128ELi256ELb1ELi3EEvPKT_PKT0_S8_ifPKiSA_SA_iPKfiiiPfSD_PS3_PT2_iSC_SC_
; %bb.0:
	s_load_dwordx2 s[10:11], s[0:1], 0x30
	s_mov_b32 s6, s3
	s_mov_b64 s[8:9], 0
	s_waitcnt lgkmcnt(0)
	s_cmp_lg_u64 s[10:11], 0
	s_cselect_b64 s[12:13], -1, 0
	s_and_b64 vcc, exec, s[12:13]
	s_cbranch_vccz .LBB1386_7
; %bb.1:
	s_add_i32 s14, s2, 1
	s_mov_b32 s15, 0
	s_lshl_b64 s[16:17], s[14:15], 2
	s_add_u32 s16, s10, s16
	s_mov_b32 s3, s15
	s_addc_u32 s17, s11, s17
	s_lshl_b64 s[14:15], s[2:3], 2
	s_add_u32 s14, s10, s14
	s_addc_u32 s15, s11, s15
	s_load_dword s5, s[16:17], 0x0
	s_load_dword s7, s[14:15], 0x0
	s_waitcnt lgkmcnt(0)
	s_sub_i32 s5, s5, s7
	s_cmp_eq_u32 s5, 1
	s_cselect_b64 s[14:15], -1, 0
	s_andn2_b64 vcc, exec, s[8:9]
	s_cbranch_vccnz .LBB1386_3
.LBB1386_2:
	s_mov_b32 s3, 0
	s_mov_b64 s[14:15], -1
.LBB1386_3:
	s_andn2_b64 vcc, exec, s[14:15]
	s_cbranch_vccnz .LBB1386_19
; %bb.4:
	s_load_dwordx2 s[8:9], s[0:1], 0x28
	s_lshl_b64 s[16:17], s[2:3], 2
	s_waitcnt lgkmcnt(0)
	s_add_u32 s8, s8, s16
	s_addc_u32 s9, s9, s17
	s_load_dword s7, s[8:9], 0x0
	s_lshl_b32 s18, s6, 8
	s_waitcnt lgkmcnt(0)
	s_cmp_ge_i32 s18, s7
	s_cbranch_scc1 .LBB1386_19
; %bb.5:
	s_load_dwordx2 s[8:9], s[0:1], 0x20
	s_load_dword s5, s[0:1], 0x38
	s_add_i32 s14, s7, 31
	s_ashr_i32 s15, s14, 31
	v_and_b32_e32 v1, 0xcf, v0
	s_lshr_b32 s15, s15, 27
	v_add_u32_e32 v1, s18, v1
	s_add_i32 s14, s14, s15
	v_ashrrev_i32_e32 v2, 31, v1
	s_ashr_i32 s19, s14, 5
	v_lshrrev_b32_e32 v4, 27, v2
	s_add_i32 s19, s19, -1
	s_waitcnt lgkmcnt(0)
	s_mul_i32 s14, s2, s5
	s_mov_b32 s15, 0
	v_add_u32_e32 v2, v1, v4
	s_lshl_b64 s[14:15], s[14:15], 2
	v_ashrrev_i32_e32 v2, 5, v2
	v_mov_b32_e32 v5, s19
	v_cmp_gt_i32_e32 vcc, s7, v1
	s_add_u32 s8, s8, s14
	s_addc_u32 s9, s9, s15
	v_cndmask_b32_e32 v2, v5, v2, vcc
	v_ashrrev_i32_e32 v3, 31, v2
	v_lshl_add_u64 v[6:7], v[2:3], 2, s[8:9]
	v_or_b32_e32 v2, 16, v1
	v_add_u32_e32 v3, v2, v4
	v_ashrrev_i32_e32 v3, 5, v3
	v_cmp_gt_i32_e32 vcc, s7, v2
	s_load_dwordx2 s[14:15], s[0:1], 0x8
	s_nop 0
	v_cndmask_b32_e32 v2, v5, v3, vcc
	v_ashrrev_i32_e32 v3, 31, v2
	v_lshl_add_u64 v[8:9], v[2:3], 2, s[8:9]
	v_or_b32_e32 v2, 32, v1
	v_add_u32_e32 v3, v2, v4
	v_ashrrev_i32_e32 v3, 5, v3
	v_cmp_gt_i32_e32 vcc, s7, v2
	v_or_b32_e32 v1, 48, v1
	s_nop 0
	v_cndmask_b32_e32 v2, v5, v3, vcc
	v_ashrrev_i32_e32 v3, 31, v2
	v_lshl_add_u64 v[12:13], v[2:3], 2, s[8:9]
	v_add_u32_e32 v2, v1, v4
	v_ashrrev_i32_e32 v2, 5, v2
	v_cmp_gt_i32_e32 vcc, s7, v1
	s_nop 1
	v_cndmask_b32_e32 v2, v5, v2, vcc
	v_ashrrev_i32_e32 v3, 31, v2
	v_lshl_add_u64 v[14:15], v[2:3], 2, s[8:9]
	global_load_dword v4, v[6:7], off
	global_load_dword v3, v[8:9], off
	;; [unrolled: 1-line block ×4, first 2 shown]
	s_andn2_b64 vcc, exec, s[12:13]
	s_cbranch_vccnz .LBB1386_8
; %bb.6:
	s_add_u32 s10, s10, s16
	s_addc_u32 s11, s11, s17
	s_load_dword s5, s[10:11], 0x0
	s_branch .LBB1386_9
.LBB1386_7:
	s_mov_b64 s[14:15], 0
	s_branch .LBB1386_2
.LBB1386_8:
	s_mov_b32 s5, s2
.LBB1386_9:
	s_load_dwordx2 s[10:11], s[0:1], 0x10
	s_load_dwordx4 s[44:47], s[0:1], 0x48
	v_lshrrev_b32_e32 v57, 6, v0
	v_bfe_u32 v62, v0, 4, 2
	v_and_b32_e32 v56, 15, v0
	s_mul_i32 s48, s4, 3
	v_lshl_or_b32 v5, v57, 2, v62
	v_lshlrev_b32_e32 v6, 3, v56
	v_add_u32_e32 v1, s48, v62
	v_cmp_gt_u32_e32 vcc, 3, v5
	v_lshlrev_b32_e32 v54, 1, v6
	v_lshlrev_b32_e32 v63, 4, v0
	s_and_saveexec_b64 s[12:13], vcc
	s_cbranch_execz .LBB1386_11
; %bb.10:
	s_load_dwordx2 s[16:17], s[0:1], 0x0
	s_waitcnt lgkmcnt(0)
	s_ashr_i32 s20, s44, 31
	s_mul_hi_u32 s21, s5, s44
	s_mul_i32 s20, s5, s20
	s_add_i32 s21, s21, s20
	s_mul_i32 s20, s5, s44
	s_lshl_b64 s[20:21], s[20:21], 1
	s_add_u32 s16, s16, s20
	v_lshlrev_b32_e32 v6, 7, v1
	s_addc_u32 s17, s17, s21
	v_ashrrev_i32_e32 v7, 31, v6
	v_lshl_add_u64 v[6:7], v[6:7], 1, s[16:17]
	v_mov_b32_e32 v55, 0
	v_lshl_add_u64 v[6:7], v[6:7], 0, v[54:55]
	global_load_dwordx4 v[6:9], v[6:7], off
	v_lshlrev_b32_e32 v12, 8, v0
	v_lshlrev_b32_e32 v11, 8, v56
	v_and_b32_e32 v12, 0x600, v12
	s_movk_i32 s5, 0x800
	v_and_or_b32 v11, v11, s5, v12
	v_lshlrev_b32_e32 v5, 5, v5
	v_and_b32_e32 v12, 16, v63
	v_or3_b32 v5, v11, v5, v12
	s_waitcnt vmcnt(0)
	ds_write_b128 v5, v[6:9]
.LBB1386_11:
	s_or_b64 exec, exec, s[12:13]
	s_waitcnt lgkmcnt(0)
	s_mul_i32 s12, s4, s46
	s_add_u32 s4, s14, s12
	s_addc_u32 s5, s15, 0
	v_mov_b32_e32 v59, 0
	v_mov_b64_e32 v[12:13], s[4:5]
	v_and_b32_e32 v34, 48, v0
	s_waitcnt vmcnt(3)
	v_mad_i64_i32 v[4:5], s[4:5], v4, s45, v[12:13]
	v_lshlrev_b32_e32 v14, 4, v56
	v_mov_b32_e32 v15, v59
	v_lshlrev_b32_e32 v58, 5, v34
	v_lshl_add_u64 v[4:5], v[4:5], 0, v[14:15]
	v_lshl_add_u64 v[4:5], v[4:5], 0, v[58:59]
	s_barrier
	global_load_dwordx4 v[50:53], v[4:5], off
	global_load_dwordx4 v[46:49], v[4:5], off offset:2048
	s_waitcnt vmcnt(4)
	v_mad_i64_i32 v[4:5], s[4:5], v3, s45, v[12:13]
	v_or_b32_e32 v16, 0x100, v14
	v_mov_b32_e32 v17, v59
	s_waitcnt vmcnt(3)
	v_mad_i64_i32 v[2:3], s[4:5], v2, s45, v[12:13]
	v_lshl_add_u64 v[4:5], v[4:5], 0, v[16:17]
	v_lshl_add_u64 v[2:3], v[2:3], 0, v[14:15]
	s_waitcnt vmcnt(2)
	v_mad_i64_i32 v[10:11], s[4:5], v10, s45, v[12:13]
	v_lshl_add_u64 v[4:5], v[4:5], 0, v[58:59]
	v_lshl_add_u64 v[14:15], v[2:3], 0, v[58:59]
	v_lshl_add_u64 v[10:11], v[10:11], 0, v[16:17]
	global_load_dwordx4 v[36:39], v[4:5], off
	global_load_dwordx4 v[6:9], v[4:5], off offset:2048
	s_nop 0
	global_load_dwordx4 v[2:5], v[14:15], off
	global_load_dwordx4 v[42:45], v[14:15], off offset:2048
	v_lshl_add_u64 v[14:15], v[10:11], 0, v[58:59]
	global_load_dwordx4 v[26:29], v[14:15], off
	global_load_dwordx4 v[10:13], v[14:15], off offset:2048
	v_mul_lo_u16_e32 v14, 0x56, v56
	v_mov_b32_e32 v15, 3
	v_mul_lo_u16_sdwa v14, v14, v15 dst_sel:DWORD dst_unused:UNUSED_PAD src0_sel:BYTE_1 src1_sel:DWORD
	v_sub_u16_e32 v14, v56, v14
	v_mov_b32_e32 v15, 5
	v_lshlrev_b32_sdwa v14, v15, v14 dst_sel:DWORD dst_unused:UNUSED_PAD src0_sel:DWORD src1_sel:BYTE_0
	v_lshl_add_u32 v14, v62, 9, v14
	ds_read_b128 v[30:33], v14
	ds_read_b128 v[22:25], v14 offset:16
	ds_read_b128 v[18:21], v14 offset:2048
	;; [unrolled: 1-line block ×3, first 2 shown]
	v_and_b32_e32 v55, 63, v0
	v_cmp_gt_u32_e32 vcc, 3, v56
	v_mov_b32_e32 v64, 0
	s_and_saveexec_b64 s[4:5], vcc
	s_cbranch_execz .LBB1386_13
; %bb.12:
	s_load_dwordx2 s[14:15], s[0:1], 0x40
	v_add_u32_e32 v40, s48, v56
	v_ashrrev_i32_e32 v41, 31, v40
	s_waitcnt lgkmcnt(0)
	v_lshl_add_u64 v[40:41], v[40:41], 2, s[14:15]
	global_load_dword v64, v[40:41], off
.LBB1386_13:
	s_or_b64 exec, exec, s[4:5]
	s_ashr_i32 s4, s18, 31
	v_or_b32_e32 v58, s18, v34
	s_lshr_b32 s4, s4, 27
	v_add_u32_e32 v34, s4, v58
	v_or_b32_e32 v40, 64, v58
	v_ashrrev_i32_e32 v34, 5, v34
	v_mov_b32_e32 v65, s19
	v_cmp_gt_i32_e32 vcc, s7, v58
	v_add_u32_e32 v41, s4, v40
	v_or_b32_e32 v60, 0x80, v58
	v_cndmask_b32_e32 v34, v65, v34, vcc
	v_ashrrev_i32_e32 v41, 5, v41
	v_cmp_gt_i32_e32 vcc, s7, v40
	v_add_u32_e32 v61, s4, v60
	v_or_b32_e32 v58, 0xc0, v58
	v_cndmask_b32_e32 v40, v65, v41, vcc
	v_ashrrev_i32_e32 v61, 5, v61
	v_cmp_gt_i32_e32 vcc, s7, v60
	v_add_u32_e32 v66, s4, v58
	v_ashrrev_i32_e32 v66, 5, v66
	v_cndmask_b32_e32 v60, v65, v61, vcc
	v_cmp_gt_i32_e32 vcc, s7, v58
	s_waitcnt vmcnt(7)
	v_cvt_pk_f32_fp8_sdwa v[68:69], v50 src0_sel:WORD_1
	s_mov_b32 s33, 0x7060302
	v_cndmask_b32_e32 v70, v65, v66, vcc
	v_cvt_pk_f32_fp8_e32 v[66:67], v50
	v_cvt_pk_f32_fp8_e32 v[72:73], v51
	v_cvt_pk_f32_fp8_sdwa v[50:51], v51 src0_sel:WORD_1
	v_cvt_pk_f32_fp8_e32 v[74:75], v52
	v_perm_b32 v66, v67, v66, s33
	v_perm_b32 v67, v69, v68, s33
	;; [unrolled: 1-line block ×3, first 2 shown]
	v_cvt_pk_f32_fp8_sdwa v[76:77], v52 src0_sel:WORD_1
	v_perm_b32 v73, v51, v50, s33
	s_waitcnt lgkmcnt(3)
	v_mfma_f32_16x16x16_bf16 v[66:69], v[66:67], v[30:31], 0
	v_perm_b32 v74, v75, v74, s33
	v_perm_b32 v75, v77, v76, s33
	v_cvt_pk_f32_fp8_e32 v[76:77], v53
	v_cvt_pk_f32_fp8_sdwa v[78:79], v53 src0_sel:WORD_1
	v_mfma_f32_16x16x16_bf16 v[50:53], v[72:73], v[32:33], v[66:69]
	v_ashrrev_i32_e32 v35, 31, v34
	v_lshl_add_u64 v[34:35], v[34:35], 2, s[8:9]
	v_ashrrev_i32_e32 v41, 31, v40
	v_perm_b32 v66, v77, v76, s33
	v_perm_b32 v67, v79, v78, s33
	s_waitcnt lgkmcnt(2)
	v_mfma_f32_16x16x16_bf16 v[50:53], v[74:75], v[22:23], v[50:53]
	s_waitcnt vmcnt(6)
	v_cvt_pk_f32_fp8_e32 v[68:69], v46
	v_ashrrev_i32_e32 v61, 31, v60
	v_ashrrev_i32_e32 v71, 31, v70
	v_lshl_add_u64 v[40:41], v[40:41], 2, s[8:9]
	v_lshl_add_u64 v[60:61], v[60:61], 2, s[8:9]
	v_lshl_add_u64 v[70:71], v[70:71], 2, s[8:9]
	v_mfma_f32_16x16x16_bf16 v[50:53], v[66:67], v[24:25], v[50:53]
	v_perm_b32 v74, v69, v68, s33
	global_load_dword v69, v[34:35], off
	global_load_dword v67, v[40:41], off
	;; [unrolled: 1-line block ×4, first 2 shown]
	v_cvt_pk_f32_fp8_sdwa v[72:73], v46 src0_sel:WORD_1
	v_cvt_pk_f32_fp8_e32 v[40:41], v48
	s_waitcnt vmcnt(9)
	v_cvt_pk_f32_fp8_e32 v[60:61], v36
	v_cvt_pk_f32_fp8_sdwa v[70:71], v36 src0_sel:WORD_1
	v_perm_b32 v75, v73, v72, s33
	v_cvt_pk_f32_fp8_e32 v[72:73], v47
	v_cvt_pk_f32_fp8_sdwa v[46:47], v47 src0_sel:WORD_1
	s_waitcnt lgkmcnt(1)
	v_mfma_f32_16x16x16_bf16 v[50:53], v[74:75], v[18:19], v[50:53]
	v_perm_b32 v34, v73, v72, s33
	v_perm_b32 v35, v47, v46, s33
	v_cvt_pk_f32_fp8_sdwa v[46:47], v48 src0_sel:WORD_1
	v_perm_b32 v40, v41, v40, s33
	v_mfma_f32_16x16x16_bf16 v[50:53], v[34:35], v[20:21], v[50:53]
	v_perm_b32 v41, v47, v46, s33
	v_cvt_pk_f32_fp8_e32 v[34:35], v49
	v_cvt_pk_f32_fp8_sdwa v[46:47], v49 src0_sel:WORD_1
	s_add_u32 s4, s10, s12
	s_addc_u32 s5, s11, 0
	v_perm_b32 v34, v35, v34, s33
	v_perm_b32 v35, v47, v46, s33
	s_waitcnt lgkmcnt(0)
	v_mfma_f32_16x16x16_bf16 v[46:49], v[40:41], v[14:15], v[50:53]
	v_perm_b32 v40, v61, v60, s33
	v_perm_b32 v41, v71, v70, s33
	s_waitcnt vmcnt(8)
	v_cvt_pk_f32_fp8_sdwa v[60:61], v6 src0_sel:WORD_1
	v_cvt_pk_f32_fp8_e32 v[50:51], v37
	v_cvt_pk_f32_fp8_sdwa v[52:53], v37 src0_sel:WORD_1
	v_mfma_f32_16x16x16_bf16 v[34:37], v[34:35], v[16:17], v[46:49]
	v_and_b32_e32 v58, 16, v0
	v_perm_b32 v50, v51, v50, s33
	v_perm_b32 v51, v53, v52, s33
	v_mfma_f32_16x16x16_bf16 v[46:49], v[40:41], v[30:31], 0
	v_cvt_pk_f32_fp8_e32 v[40:41], v38
	v_cvt_pk_f32_fp8_sdwa v[52:53], v38 src0_sel:WORD_1
	v_lshl_or_b32 v65, v57, 4, v56
	v_mfma_f32_16x16x16_bf16 v[46:49], v[50:51], v[32:33], v[46:49]
	v_cvt_pk_f32_fp8_e32 v[50:51], v39
	v_perm_b32 v40, v41, v40, s33
	v_perm_b32 v41, v53, v52, s33
	v_cvt_pk_f32_fp8_sdwa v[38:39], v39 src0_sel:WORD_1
	v_perm_b32 v50, v51, v50, s33
	v_cvt_pk_f32_fp8_e32 v[52:53], v6
	s_waitcnt vmcnt(6)
	v_cvt_pk_f32_fp8_e32 v[74:75], v43
	v_perm_b32 v51, v39, v38, s33
	v_mfma_f32_16x16x16_bf16 v[38:41], v[40:41], v[22:23], v[46:49]
	s_nop 2
	v_perm_b32 v48, v53, v52, s33
	v_perm_b32 v49, v61, v60, s33
	v_cvt_pk_f32_fp8_e32 v[52:53], v7
	v_cvt_pk_f32_fp8_sdwa v[6:7], v7 src0_sel:WORD_1
	v_mfma_f32_16x16x16_bf16 v[38:41], v[50:51], v[24:25], v[38:41]
	v_lshl_add_u64 v[46:47], s[4:5], 0, v[58:59]
	v_perm_b32 v50, v53, v52, s33
	v_perm_b32 v51, v7, v6, s33
	v_mfma_f32_16x16x16_bf16 v[38:41], v[48:49], v[18:19], v[38:41]
	v_cvt_pk_f32_fp8_e32 v[6:7], v8
	v_cvt_pk_f32_fp8_sdwa v[48:49], v8 src0_sel:WORD_1
	v_cvt_pk_f32_fp8_sdwa v[52:53], v2 src0_sel:WORD_1
	v_mfma_f32_16x16x16_bf16 v[38:41], v[50:51], v[20:21], v[38:41]
	v_cvt_pk_f32_fp8_e32 v[50:51], v9
	v_perm_b32 v6, v7, v6, s33
	v_perm_b32 v7, v49, v48, s33
	v_cvt_pk_f32_fp8_sdwa v[8:9], v9 src0_sel:WORD_1
	v_perm_b32 v48, v51, v50, s33
	v_cvt_pk_f32_fp8_e32 v[50:51], v2
	v_lshlrev_b32_e32 v58, 5, v65
	v_perm_b32 v49, v9, v8, s33
	v_mfma_f32_16x16x16_bf16 v[6:9], v[6:7], v[14:15], v[38:41]
	v_perm_b32 v50, v51, v50, s33
	v_perm_b32 v51, v53, v52, s33
	v_cvt_pk_f32_fp8_e32 v[52:53], v3
	v_cvt_pk_f32_fp8_sdwa v[2:3], v3 src0_sel:WORD_1
	v_mfma_f32_16x16x16_bf16 v[38:41], v[48:49], v[16:17], v[6:9]
	v_lshl_add_u64 v[48:49], v[46:47], 0, v[58:59]
	v_perm_b32 v52, v53, v52, s33
	v_perm_b32 v53, v3, v2, s33
	v_mfma_f32_16x16x16_bf16 v[6:9], v[50:51], v[30:31], 0
	v_cvt_pk_f32_fp8_e32 v[2:3], v4
	v_cvt_pk_f32_fp8_sdwa v[50:51], v4 src0_sel:WORD_1
	s_waitcnt vmcnt(3)
	v_mad_i64_i32 v[60:61], s[4:5], v69, s45, v[48:49]
	v_perm_b32 v2, v3, v2, s33
	v_perm_b32 v3, v51, v50, s33
	v_mfma_f32_16x16x16_bf16 v[6:9], v[52:53], v[32:33], v[6:9]
	v_cvt_pk_f32_fp8_e32 v[50:51], v5
	v_cvt_pk_f32_fp8_sdwa v[4:5], v5 src0_sel:WORD_1
	s_waitcnt vmcnt(2)
	v_mad_i64_i32 v[70:71], s[4:5], v67, s45, v[48:49]
	v_perm_b32 v50, v51, v50, s33
	v_perm_b32 v51, v5, v4, s33
	v_mfma_f32_16x16x16_bf16 v[2:5], v[2:3], v[22:23], v[6:9]
	v_or_b32_e32 v58, 0x800, v58
	s_nop 1
	v_cvt_pk_f32_fp8_e32 v[6:7], v42
	v_cvt_pk_f32_fp8_sdwa v[8:9], v42 src0_sel:WORD_1
	v_cvt_pk_f32_fp8_sdwa v[42:43], v43 src0_sel:WORD_1
	v_mfma_f32_16x16x16_bf16 v[50:53], v[50:51], v[24:25], v[2:5]
	v_perm_b32 v72, v7, v6, s33
	v_perm_b32 v73, v9, v8, s33
	global_load_dwordx4 v[6:9], v[60:61], off
	global_load_dwordx4 v[2:5], v[70:71], off
	v_perm_b32 v60, v75, v74, s33
	v_perm_b32 v61, v43, v42, s33
	v_mfma_f32_16x16x16_bf16 v[70:73], v[72:73], v[18:19], v[50:53]
	v_cvt_pk_f32_fp8_e32 v[42:43], v44
	v_perm_b32 v42, v43, v42, s33
	s_nop 0
	v_cvt_pk_f32_fp8_sdwa v[52:53], v44 src0_sel:WORD_1
	v_mfma_f32_16x16x16_bf16 v[70:73], v[60:61], v[20:21], v[70:73]
	v_cvt_pk_f32_fp8_e32 v[60:61], v45
	s_waitcnt vmcnt(3)
	v_mad_i64_i32 v[50:51], s[4:5], v68, s45, v[48:49]
	s_load_dword s4, s[0:1], 0x1c
	s_load_dwordx4 s[40:43], s[0:1], 0x80
	v_perm_b32 v43, v53, v52, s33
	v_perm_b32 v74, v61, v60, s33
	v_cvt_pk_f32_fp8_e32 v[52:53], v26
	v_cvt_pk_f32_fp8_sdwa v[60:61], v26 src0_sel:WORD_1
	s_load_dword s44, s[0:1], 0x98
	s_waitcnt lgkmcnt(0)
	s_load_dword s5, s[40:41], 0x0
	v_cvt_pk_f32_fp8_sdwa v[44:45], v45 src0_sel:WORD_1
	v_perm_b32 v52, v53, v52, s33
	v_perm_b32 v53, v61, v60, s33
	v_cvt_pk_f32_fp8_e32 v[60:61], v27
	v_cvt_pk_f32_fp8_sdwa v[26:27], v27 src0_sel:WORD_1
	v_perm_b32 v75, v45, v44, s33
	v_mfma_f32_16x16x16_bf16 v[42:45], v[42:43], v[14:15], v[70:73]
	v_perm_b32 v60, v61, v60, s33
	v_perm_b32 v61, v27, v26, s33
	v_mov_b32_e32 v26, s4
	v_mfma_f32_16x16x16_bf16 v[70:73], v[52:53], v[30:31], 0
	s_waitcnt lgkmcnt(0)
	v_mul_f32_e32 v52, s5, v26
	v_cvt_pk_f32_fp8_e32 v[26:27], v28
	v_cvt_pk_f32_fp8_sdwa v[30:31], v28 src0_sel:WORD_1
	v_mfma_f32_16x16x16_bf16 v[70:73], v[60:61], v[32:33], v[70:73]
	v_cvt_pk_f32_fp8_e32 v[32:33], v29
	v_cvt_pk_f32_fp8_sdwa v[28:29], v29 src0_sel:WORD_1
	v_perm_b32 v26, v27, v26, s33
	v_perm_b32 v27, v31, v30, s33
	v_mfma_f32_16x16x16_bf16 v[42:45], v[74:75], v[16:17], v[42:45]
	v_perm_b32 v32, v33, v32, s33
	v_perm_b32 v33, v29, v28, s33
	v_cvt_pk_f32_fp8_e32 v[60:61], v10
	v_cvt_pk_f32_fp8_sdwa v[74:75], v10 src0_sel:WORD_1
	v_mfma_f32_16x16x16_bf16 v[26:29], v[26:27], v[22:23], v[70:73]
	v_pk_mul_f32 v[30:31], v[52:53], v[36:37] op_sel_hi:[0,1]
	v_perm_b32 v36, v61, v60, s33
	v_perm_b32 v37, v75, v74, s33
	v_cvt_pk_f32_fp8_e32 v[60:61], v11
	v_cvt_pk_f32_fp8_sdwa v[70:71], v11 src0_sel:WORD_1
	v_mfma_f32_16x16x16_bf16 v[22:25], v[32:33], v[24:25], v[26:29]
	v_pk_mul_f32 v[10:11], v[52:53], v[34:35] op_sel_hi:[0,1]
	v_perm_b32 v60, v61, v60, s33
	v_perm_b32 v61, v71, v70, s33
	v_mfma_f32_16x16x16_bf16 v[32:35], v[36:37], v[18:19], v[22:25]
	v_cvt_pk_f32_fp8_e32 v[18:19], v12
	v_cvt_pk_f32_fp8_sdwa v[36:37], v12 src0_sel:WORD_1
	s_waitcnt vmcnt(2)
	v_mad_i64_i32 v[48:49], s[8:9], v66, s45, v[48:49]
	global_load_dwordx4 v[26:29], v[50:51], off
	global_load_dwordx4 v[22:25], v[48:49], off
	v_perm_b32 v48, v19, v18, s33
	v_perm_b32 v49, v37, v36, s33
	v_cvt_pk_f32_fp8_e32 v[36:37], v13
	v_cvt_pk_f32_fp8_sdwa v[12:13], v13 src0_sel:WORD_1
	v_mfma_f32_16x16x16_bf16 v[18:21], v[60:61], v[20:21], v[32:35]
	v_pk_mul_f32 v[40:41], v[52:53], v[40:41] op_sel_hi:[0,1]
	v_pk_mul_f32 v[42:43], v[52:53], v[42:43] op_sel_hi:[0,1]
	s_mov_b32 s40, 0xff7fffff
	v_perm_b32 v32, v37, v36, s33
	v_perm_b32 v33, v13, v12, s33
	v_mfma_f32_16x16x16_bf16 v[12:15], v[48:49], v[14:15], v[18:21]
	v_pk_mul_f32 v[48:49], v[52:53], v[38:39] op_sel_hi:[0,1]
	v_pk_mul_f32 v[38:39], v[52:53], v[44:45] op_sel_hi:[0,1]
	v_mfma_f32_16x16x16_bf16 v[12:15], v[32:33], v[16:17], v[12:15]
	s_nop 6
	v_pk_mul_f32 v[36:37], v[52:53], v[12:13] op_sel_hi:[0,1]
	v_and_b32_e32 v12, 0xc0, v0
	v_add_u32_e32 v12, s18, v12
	v_lshl_or_b32 v12, v62, 2, v12
	v_or_b32_e32 v13, 1, v12
	v_pk_mul_f32 v[34:35], v[52:53], v[14:15] op_sel_hi:[0,1]
	v_subrev_u32_e32 v14, s7, v13
	v_add_u32_e32 v16, 1, v14
	v_add_u32_e32 v17, 2, v14
	v_cvt_f32_i32_e32 v15, v14
	v_cvt_f32_i32_e32 v16, v16
	;; [unrolled: 1-line block ×3, first 2 shown]
	v_add_u32_e32 v18, 3, v14
	v_fma_f32 v10, v64, v15, v10
	v_fmac_f32_e32 v11, v64, v16
	v_fma_f32 v51, v64, v17, v30
	v_add_u32_e32 v15, 16, v14
	v_add_u32_e32 v16, 17, v14
	;; [unrolled: 1-line block ×3, first 2 shown]
	v_cvt_f32_i32_e32 v18, v18
	v_cvt_f32_i32_e32 v15, v15
	;; [unrolled: 1-line block ×4, first 2 shown]
	v_fmac_f32_e32 v31, v64, v18
	v_add_u32_e32 v18, 19, v14
	v_fma_f32 v48, v64, v15, v48
	v_fmac_f32_e32 v49, v64, v16
	v_fma_f32 v40, v64, v17, v40
	v_add_u32_e32 v15, 32, v14
	v_add_u32_e32 v16, 33, v14
	;; [unrolled: 1-line block ×3, first 2 shown]
	v_cvt_f32_i32_e32 v18, v18
	v_cvt_f32_i32_e32 v15, v15
	;; [unrolled: 1-line block ×4, first 2 shown]
	v_fmac_f32_e32 v41, v64, v18
	v_add_u32_e32 v18, 35, v14
	v_fma_f32 v42, v64, v15, v42
	v_fmac_f32_e32 v43, v64, v16
	v_fma_f32 v38, v64, v17, v38
	v_add_u32_e32 v15, 48, v14
	v_add_u32_e32 v16, 49, v14
	;; [unrolled: 1-line block ×4, first 2 shown]
	v_cvt_f32_i32_e32 v14, v14
	v_cvt_f32_i32_e32 v15, v15
	;; [unrolled: 1-line block ×3, first 2 shown]
	v_cmp_gt_i32_e64 s[8:9], s7, v12
	v_fmac_f32_e32 v35, v64, v14
	v_mov_b32_e32 v14, 0xff7fffff
	v_cmp_gt_i32_e64 s[10:11], s7, v13
	v_fma_f32 v36, v64, v15, v36
	v_cndmask_b32_e64 v15, v14, v10, s[8:9]
	v_cndmask_b32_e64 v13, v14, v11, s[10:11]
	v_fmac_f32_e32 v37, v64, v16
	v_max3_f32 v13, v15, s40, v13
	v_or_b32_e32 v15, 2, v12
	v_or_b32_e32 v16, 3, v12
	v_cmp_gt_i32_e64 s[12:13], s7, v15
	v_cmp_gt_i32_e64 s[14:15], s7, v16
	v_cvt_f32_i32_e32 v18, v18
	v_cndmask_b32_e64 v15, v14, v51, s[12:13]
	v_cndmask_b32_e64 v16, v14, v31, s[14:15]
	v_max3_f32 v13, v13, v15, v16
	v_or_b32_e32 v15, 16, v12
	v_or_b32_e32 v16, 17, v12
	v_cmp_gt_i32_e64 s[16:17], s7, v15
	v_cmp_gt_i32_e64 s[18:19], s7, v16
	v_fmac_f32_e32 v39, v64, v18
	v_cndmask_b32_e64 v15, v14, v48, s[16:17]
	v_cndmask_b32_e64 v16, v14, v49, s[18:19]
	v_max3_f32 v13, v13, v15, v16
	v_or_b32_e32 v15, 18, v12
	v_or_b32_e32 v16, 19, v12
	v_cmp_gt_i32_e64 s[20:21], s7, v15
	v_cmp_gt_i32_e64 s[22:23], s7, v16
	v_cvt_f32_i32_e32 v17, v17
	v_cndmask_b32_e64 v15, v14, v40, s[20:21]
	v_cndmask_b32_e64 v16, v14, v41, s[22:23]
	v_max3_f32 v13, v13, v15, v16
	v_or_b32_e32 v15, 32, v12
	v_or_b32_e32 v16, 33, v12
	v_cmp_gt_i32_e64 s[24:25], s7, v15
	v_cmp_gt_i32_e64 s[26:27], s7, v16
	v_fma_f32 v34, v64, v17, v34
	v_cndmask_b32_e64 v15, v14, v42, s[24:25]
	v_cndmask_b32_e64 v16, v14, v43, s[26:27]
	v_max3_f32 v13, v13, v15, v16
	v_or_b32_e32 v15, 34, v12
	v_or_b32_e32 v16, 35, v12
	v_cmp_gt_i32_e64 s[28:29], s7, v15
	v_cmp_gt_i32_e64 s[30:31], s7, v16
	s_nop 0
	v_cndmask_b32_e64 v15, v14, v38, s[28:29]
	v_cndmask_b32_e64 v16, v14, v39, s[30:31]
	v_max3_f32 v13, v13, v15, v16
	v_or_b32_e32 v15, 48, v12
	v_or_b32_e32 v16, 49, v12
	v_cmp_gt_i32_e64 s[34:35], s7, v15
	v_cmp_gt_i32_e64 s[36:37], s7, v16
	s_nop 0
	v_cndmask_b32_e64 v15, v14, v36, s[34:35]
	v_cndmask_b32_e64 v16, v14, v37, s[36:37]
	v_max3_f32 v13, v13, v15, v16
	v_or_b32_e32 v15, 50, v12
	v_or_b32_e32 v12, 51, v12
	v_cmp_gt_i32_e32 vcc, s7, v15
	v_cmp_gt_i32_e64 s[4:5], s7, v12
	s_nop 0
	v_cndmask_b32_e32 v15, v14, v34, vcc
	v_cndmask_b32_e64 v12, v14, v35, s[4:5]
	v_max3_f32 v16, v13, v15, v12
	v_mbcnt_lo_u32_b32 v12, -1, 0
	v_mbcnt_hi_u32_b32 v17, -1, v12
	v_and_b32_e32 v12, 64, v17
	v_add_u32_e32 v18, 64, v12
	v_xor_b32_e32 v12, 32, v17
	v_cmp_lt_i32_e64 s[38:39], v12, v18
	s_nop 1
	v_cndmask_b32_e64 v12, v17, v12, s[38:39]
	v_lshlrev_b32_e32 v52, 2, v12
	ds_bpermute_b32 v19, v52, v16
	v_lshl_add_u64 v[12:13], v[46:47], 0, v[58:59]
	v_mad_i64_i32 v[14:15], s[38:39], v69, s45, v[12:13]
	s_waitcnt lgkmcnt(0)
	v_max_f32_e32 v19, v19, v19
	v_max_f32_e32 v19, v16, v19
	v_xor_b32_e32 v16, 16, v17
	v_cmp_lt_i32_e64 s[38:39], v16, v18
	s_nop 1
	v_cndmask_b32_e64 v16, v17, v16, s[38:39]
	v_lshlrev_b32_e32 v53, 2, v16
	ds_bpermute_b32 v18, v53, v19
	v_mad_i64_i32 v[16:17], s[38:39], v67, s45, v[12:13]
	v_mad_i64_i32 v[44:45], s[38:39], v68, s45, v[12:13]
	s_waitcnt lgkmcnt(0)
	v_max_f32_e32 v18, v18, v18
	v_max_f32_e32 v50, v19, v18
	v_sub_f32_e32 v10, v10, v50
	v_mul_f32_e32 v10, 0x3fb8aa3b, v10
	v_exp_f32_e32 v18, v10
	v_sub_f32_e32 v10, v11, v50
	v_mul_f32_e32 v10, 0x3fb8aa3b, v10
	v_exp_f32_e32 v19, v10
	v_mad_i64_i32 v[10:11], s[38:39], v66, s45, v[12:13]
	v_sub_f32_e32 v12, v51, v50
	v_mul_f32_e32 v12, 0x3fb8aa3b, v12
	v_cndmask_b32_e64 v46, 0, v18, s[8:9]
	v_cndmask_b32_e64 v47, 0, v19, s[10:11]
	v_sub_f32_e32 v58, v31, v50
	global_load_dwordx4 v[30:33], v[14:15], off
	global_load_dwordx4 v[18:21], v[16:17], off
	v_exp_f32_e32 v51, v12
	global_load_dwordx4 v[14:17], v[44:45], off
	s_nop 0
	global_load_dwordx4 v[10:13], v[10:11], off
	v_sub_f32_e32 v45, v48, v50
	v_sub_f32_e32 v48, v49, v50
	;; [unrolled: 1-line block ×4, first 2 shown]
	v_mul_f32_e32 v44, 0x3fb8aa3b, v58
	v_mul_f32_e32 v45, 0x3fb8aa3b, v45
	;; [unrolled: 1-line block ×5, first 2 shown]
	v_exp_f32_e32 v44, v44
	v_exp_f32_e32 v45, v45
	v_exp_f32_e32 v58, v48
	v_cndmask_b32_e64 v48, 0, v51, s[12:13]
	v_exp_f32_e32 v40, v40
	v_exp_f32_e32 v51, v42
	v_sub_f32_e32 v42, v43, v50
	v_mul_f32_e32 v42, 0x3fb8aa3b, v42
	v_cndmask_b32_e64 v49, 0, v44, s[14:15]
	v_cndmask_b32_e64 v44, 0, v45, s[16:17]
	;; [unrolled: 1-line block ×3, first 2 shown]
	v_sub_f32_e32 v41, v41, v50
	v_exp_f32_e32 v58, v42
	v_cndmask_b32_e64 v42, 0, v40, s[20:21]
	v_cndmask_b32_e64 v40, 0, v51, s[24:25]
	v_add_f32_e32 v51, 0, v46
	v_mul_f32_e32 v41, 0x3fb8aa3b, v41
	v_add_f32_e32 v51, v51, v47
	v_exp_f32_e32 v41, v41
	v_add_f32_e32 v51, v51, v48
	v_sub_f32_e32 v38, v38, v50
	v_add_f32_e32 v51, v51, v49
	v_sub_f32_e32 v39, v39, v50
	v_mul_f32_e32 v38, 0x3fb8aa3b, v38
	v_add_f32_e32 v51, v51, v44
	v_exp_f32_e32 v38, v38
	v_mul_f32_e32 v39, 0x3fb8aa3b, v39
	v_sub_f32_e32 v36, v36, v50
	v_add_f32_e32 v51, v51, v45
	v_cndmask_b32_e64 v43, 0, v41, s[22:23]
	v_exp_f32_e32 v39, v39
	v_mul_f32_e32 v36, 0x3fb8aa3b, v36
	v_sub_f32_e32 v37, v37, v50
	v_add_f32_e32 v51, v51, v42
	v_exp_f32_e32 v36, v36
	v_mul_f32_e32 v37, 0x3fb8aa3b, v37
	v_add_f32_e32 v51, v51, v43
	v_sub_f32_e32 v34, v34, v50
	v_cndmask_b32_e64 v41, 0, v58, s[26:27]
	v_exp_f32_e32 v37, v37
	v_add_f32_e32 v51, v51, v40
	v_mul_f32_e32 v34, 0x3fb8aa3b, v34
	v_sub_f32_e32 v35, v35, v50
	v_cndmask_b32_e64 v38, 0, v38, s[28:29]
	v_add_f32_e32 v51, v51, v41
	v_exp_f32_e32 v34, v34
	v_mul_f32_e32 v35, 0x3fb8aa3b, v35
	v_cndmask_b32_e64 v39, 0, v39, s[30:31]
	v_add_f32_e32 v51, v51, v38
	v_exp_f32_e32 v35, v35
	v_cndmask_b32_e64 v36, 0, v36, s[34:35]
	v_add_f32_e32 v51, v51, v39
	v_cndmask_b32_e64 v37, 0, v37, s[36:37]
	v_add_f32_e32 v51, v51, v36
	v_add_f32_e32 v51, v51, v37
	v_cndmask_b32_e32 v34, 0, v34, vcc
	v_add_f32_e32 v51, v51, v34
	v_cndmask_b32_e64 v35, 0, v35, s[4:5]
	v_add_f32_e32 v51, v51, v35
	ds_bpermute_b32 v52, v52, v51
	v_cmp_gt_u32_e32 vcc, 16, v55
	s_waitcnt lgkmcnt(0)
	s_barrier
	v_add_f32_e32 v51, v51, v52
	ds_bpermute_b32 v52, v53, v51
	s_and_saveexec_b64 s[4:5], vcc
	s_cbranch_execz .LBB1386_15
; %bb.14:
	s_waitcnt lgkmcnt(0)
	v_add_f32_e32 v51, v51, v52
	v_lshlrev_b32_e32 v52, 2, v65
	ds_write2st64_b32 v52, v50, v51 offset1:1
.LBB1386_15:
	s_or_b64 exec, exec, s[4:5]
	v_lshlrev_b32_e32 v51, 2, v56
	s_load_dword s7, s[0:1], 0x94
	s_waitcnt lgkmcnt(0)
	s_barrier
	ds_read2_b32 v[52:53], v51 offset1:16
	ds_read2_b32 v[58:59], v51 offset0:32 offset1:48
	ds_read2_b32 v[60:61], v51 offset0:64 offset1:80
	s_movk_i32 s9, 0x7fff
	s_mul_i32 s8, s44, 3
	s_waitcnt lgkmcnt(2)
	v_max3_f32 v50, v52, s40, v53
	s_waitcnt lgkmcnt(1)
	v_max3_f32 v50, v50, v58, v59
	v_sub_f32_e32 v52, v52, v50
	v_mul_f32_e32 v52, 0x3fb8aa3b, v52
	v_exp_f32_e32 v55, v52
	v_sub_f32_e32 v52, v53, v50
	v_mul_f32_e32 v52, 0x3fb8aa3b, v52
	v_exp_f32_e32 v64, v52
	;; [unrolled: 3-line block ×3, first 2 shown]
	ds_read2_b32 v[52:53], v51 offset0:96 offset1:112
	v_sub_f32_e32 v51, v59, v50
	v_mul_f32_e32 v51, 0x3fb8aa3b, v51
	v_exp_f32_e32 v59, v51
	s_waitcnt lgkmcnt(1)
	v_fma_f32 v51, v55, v60, 0
	v_fmac_f32_e32 v51, v64, v61
	s_waitcnt lgkmcnt(0)
	v_fmac_f32_e32 v51, v58, v52
	v_fmac_f32_e32 v51, v59, v53
	v_add_f32_e32 v52, 0x358637bd, v51
	v_div_scale_f32 v53, s[4:5], v52, v52, 1.0
	v_rcp_f32_e32 v60, v53
	s_barrier
	v_fma_f32 v61, -v53, v60, 1.0
	v_fmac_f32_e32 v60, v61, v60
	v_div_scale_f32 v61, vcc, 1.0, v52, 1.0
	v_mul_f32_e32 v65, v61, v60
	v_fma_f32 v66, -v53, v65, v61
	v_fmac_f32_e32 v65, v66, v60
	v_fma_f32 v53, -v53, v65, v61
	v_div_fmas_f32 v53, v53, v60, v65
	v_cmp_eq_u32_e32 vcc, 1, v57
	v_div_fixup_f32 v52, v53, v52, 1.0
	s_nop 0
	v_cndmask_b32_e32 v53, v55, v64, vcc
	v_cmp_eq_u32_e32 vcc, 2, v57
	s_nop 1
	v_cndmask_b32_e32 v53, v53, v58, vcc
	v_cmp_eq_u32_e32 vcc, 3, v57
	s_nop 1
	v_cndmask_b32_e32 v53, v53, v59, vcc
	v_mul_f32_e32 v52, v53, v52
	v_pk_mul_f32 v[46:47], v[52:53], v[46:47] op_sel_hi:[0,1]
	v_pk_mul_f32 v[48:49], v[52:53], v[48:49] op_sel_hi:[0,1]
	v_bfe_u32 v53, v47, 16, 1
	v_bfe_u32 v55, v46, 16, 1
	v_add3_u32 v46, v46, v55, s9
	v_add3_u32 v47, v47, v53, s9
	v_perm_b32 v58, v47, v46, s33
	v_bfe_u32 v46, v49, 16, 1
	v_bfe_u32 v47, v48, 16, 1
	v_add3_u32 v47, v48, v47, s9
	v_add3_u32 v46, v49, v46, s9
	v_perm_b32 v59, v46, v47, s33
	v_lshlrev_b32_e32 v47, 3, v62
	v_lshlrev_b32_e32 v46, 5, v56
	;; [unrolled: 1-line block ×3, first 2 shown]
	v_pk_mul_f32 v[44:45], v[52:53], v[44:45] op_sel_hi:[0,1]
	v_or3_b32 v55, v48, v46, v47
	v_bfe_u32 v47, v45, 16, 1
	v_bfe_u32 v48, v44, 16, 1
	v_pk_mul_f32 v[42:43], v[52:53], v[42:43] op_sel_hi:[0,1]
	v_add3_u32 v44, v44, v48, s9
	v_add3_u32 v45, v45, v47, s9
	v_perm_b32 v44, v45, v44, s33
	v_bfe_u32 v45, v43, 16, 1
	v_bfe_u32 v47, v42, 16, 1
	v_add3_u32 v42, v42, v47, s9
	v_add3_u32 v43, v43, v45, s9
	v_pk_mul_f32 v[40:41], v[52:53], v[40:41] op_sel_hi:[0,1]
	v_perm_b32 v45, v43, v42, s33
	v_bfe_u32 v42, v41, 16, 1
	v_bfe_u32 v43, v40, 16, 1
	v_pk_mul_f32 v[38:39], v[52:53], v[38:39] op_sel_hi:[0,1]
	v_add3_u32 v40, v40, v43, s9
	v_add3_u32 v41, v41, v42, s9
	v_perm_b32 v40, v41, v40, s33
	v_bfe_u32 v41, v39, 16, 1
	v_bfe_u32 v42, v38, 16, 1
	v_add3_u32 v38, v38, v42, s9
	v_add3_u32 v39, v39, v41, s9
	v_pk_mul_f32 v[36:37], v[52:53], v[36:37] op_sel_hi:[0,1]
	v_perm_b32 v41, v39, v38, s33
	v_bfe_u32 v38, v37, 16, 1
	v_bfe_u32 v39, v36, 16, 1
	v_pk_mul_f32 v[34:35], v[52:53], v[34:35] op_sel_hi:[0,1]
	v_add3_u32 v36, v36, v39, s9
	v_add3_u32 v37, v37, v38, s9
	v_perm_b32 v36, v37, v36, s33
	v_bfe_u32 v37, v35, 16, 1
	v_bfe_u32 v38, v34, 16, 1
	v_add3_u32 v34, v34, v38, s9
	v_add3_u32 v35, v35, v37, s9
	v_perm_b32 v37, v35, v34, s33
	v_cmp_gt_u32_e32 vcc, 3, v0
	ds_write2st64_b64 v55, v[58:59], v[44:45] offset1:1
	ds_write2st64_b64 v55, v[40:41], v[36:37] offset0:2 offset1:3
	s_and_saveexec_b64 s[4:5], vcc
	s_cbranch_execz .LBB1386_17
; %bb.16:
	s_mov_b32 s49, 0
	v_mov_b32_e32 v57, 0
	v_lshl_add_u64 v[34:35], s[48:49], 0, v[56:57]
	v_mov_b32_e32 v36, s8
	v_mad_u64_u32 v[34:35], s[10:11], s2, v36, v[34:35]
	s_mul_i32 s3, s3, s8
	v_mov_b32_e32 v36, s6
	v_mov_b32_e32 v37, v57
	s_load_dwordx4 s[12:15], s[0:1], 0x58
	v_add_u32_e32 v38, s3, v35
	v_mad_u64_u32 v[34:35], s[10:11], v34, s7, v[36:37]
	v_mov_b32_e32 v36, v35
	v_mad_u64_u32 v[36:37], s[10:11], v38, s7, v[36:37]
	v_mov_b32_e32 v35, v36
	v_lshlrev_b64 v[34:35], 2, v[34:35]
	s_waitcnt lgkmcnt(0)
	v_lshl_add_u64 v[36:37], s[14:15], 0, v[34:35]
	v_lshl_add_u64 v[34:35], s[12:13], 0, v[34:35]
	global_store_dword v[36:37], v50, off
	global_store_dword v[34:35], v51, off
.LBB1386_17:
	s_or_b64 exec, exec, s[4:5]
	s_waitcnt vmcnt(7)
	v_cvt_pk_f32_fp8_e32 v[34:35], v6
	v_cvt_pk_f32_fp8_sdwa v[36:37], v6 src0_sel:WORD_1
	v_lshl_or_b32 v50, v62, 9, v46
	s_mov_b32 s5, 0x7060302
	s_waitcnt lgkmcnt(0)
	s_barrier
	v_cvt_pk_f32_fp8_e32 v[38:39], v7
	v_perm_b32 v6, v35, v34, s5
	v_cvt_pk_f32_fp8_sdwa v[40:41], v7 src0_sel:WORD_1
	v_perm_b32 v7, v37, v36, s5
	ds_read_b128 v[34:37], v50
	v_perm_b32 v46, v39, v38, s5
	v_perm_b32 v47, v41, v40, s5
	ds_read_b128 v[38:41], v50 offset:16
	v_cvt_pk_f32_fp8_e32 v[48:49], v8
	v_cvt_pk_f32_fp8_sdwa v[52:53], v8 src0_sel:WORD_1
	s_waitcnt lgkmcnt(1)
	v_mfma_f32_16x16x16_bf16 v[42:45], v[6:7], v[34:35], 0
	s_waitcnt vmcnt(6)
	v_cvt_pk_f32_fp8_e32 v[58:59], v4
	v_perm_b32 v6, v49, v48, s5
	v_perm_b32 v7, v53, v52, s5
	v_cvt_pk_f32_fp8_e32 v[48:49], v9
	v_mfma_f32_16x16x16_bf16 v[42:45], v[46:47], v[36:37], v[42:45]
	v_cvt_pk_f32_fp8_sdwa v[46:47], v9 src0_sel:WORD_1
	v_cvt_pk_f32_fp8_sdwa v[60:61], v4 src0_sel:WORD_1
	v_perm_b32 v48, v49, v48, s5
	s_waitcnt lgkmcnt(0)
	v_mfma_f32_16x16x16_bf16 v[6:9], v[6:7], v[38:39], v[42:45]
	v_perm_b32 v49, v47, v46, s5
	s_waitcnt vmcnt(5)
	v_cvt_pk_f32_fp8_e32 v[64:65], v28
	v_cvt_pk_f32_fp8_sdwa v[66:67], v28 src0_sel:WORD_1
	v_cvt_pk_f32_fp8_e32 v[42:43], v2
	v_mfma_f32_16x16x16_bf16 v[46:49], v[48:49], v[40:41], v[6:9]
	s_waitcnt vmcnt(4)
	v_cvt_pk_f32_fp8_sdwa v[68:69], v24 src0_sel:WORD_1
	s_load_dword s4, s[42:43], 0x0
	v_cvt_pk_f32_fp8_sdwa v[6:7], v2 src0_sel:WORD_1
	v_cvt_pk_f32_fp8_e32 v[8:9], v3
	v_perm_b32 v2, v43, v42, s5
	v_cvt_pk_f32_fp8_sdwa v[42:43], v3 src0_sel:WORD_1
	v_perm_b32 v3, v7, v6, s5
	v_perm_b32 v52, v9, v8, s5
	ds_read_b128 v[6:9], v50 offset:2048
	v_perm_b32 v53, v43, v42, s5
	ds_read_b128 v[42:45], v50 offset:2064
	s_waitcnt lgkmcnt(0)
	v_mfma_f32_16x16x16_bf16 v[46:49], v[2:3], v[6:7], v[46:49]
	v_perm_b32 v2, v59, v58, s5
	v_perm_b32 v3, v61, v60, s5
	v_cvt_pk_f32_fp8_e32 v[58:59], v5
	v_mfma_f32_16x16x16_bf16 v[46:49], v[52:53], v[8:9], v[46:49]
	v_cvt_pk_f32_fp8_sdwa v[52:53], v5 src0_sel:WORD_1
	s_waitcnt vmcnt(3)
	v_cvt_pk_f32_fp8_sdwa v[70:71], v32 src0_sel:WORD_1
	v_perm_b32 v58, v59, v58, s5
	v_mfma_f32_16x16x16_bf16 v[2:5], v[2:3], v[42:43], v[46:49]
	v_perm_b32 v59, v53, v52, s5
	v_cmp_gt_u32_e32 vcc, 64, v0
	s_mov_b32 s3, 0
	v_cvt_pk_f32_fp8_e32 v[46:47], v26
	v_mfma_f32_16x16x16_bf16 v[58:61], v[58:59], v[44:45], v[2:5]
	s_nop 2
	v_cvt_pk_f32_fp8_sdwa v[2:3], v26 src0_sel:WORD_1
	v_cvt_pk_f32_fp8_e32 v[4:5], v27
	v_perm_b32 v26, v47, v46, s5
	v_cvt_pk_f32_fp8_sdwa v[46:47], v27 src0_sel:WORD_1
	v_perm_b32 v27, v3, v2, s5
	v_perm_b32 v52, v5, v4, s5
	ds_read_b128 v[2:5], v50 offset:4096
	v_perm_b32 v53, v47, v46, s5
	ds_read_b128 v[46:49], v50 offset:4112
	s_waitcnt lgkmcnt(1)
	v_mfma_f32_16x16x16_bf16 v[58:61], v[26:27], v[2:3], v[58:61]
	v_perm_b32 v26, v65, v64, s5
	v_perm_b32 v27, v67, v66, s5
	v_cvt_pk_f32_fp8_e32 v[64:65], v29
	v_mfma_f32_16x16x16_bf16 v[58:61], v[52:53], v[4:5], v[58:61]
	v_cvt_pk_f32_fp8_sdwa v[52:53], v29 src0_sel:WORD_1
	v_cvt_pk_f32_fp8_e32 v[66:67], v24
	v_perm_b32 v64, v65, v64, s5
	s_waitcnt lgkmcnt(0)
	v_mfma_f32_16x16x16_bf16 v[26:29], v[26:27], v[46:47], v[58:61]
	v_perm_b32 v65, v53, v52, s5
	v_cvt_pk_f32_fp8_e32 v[52:53], v22
	s_nop 0
	v_mfma_f32_16x16x16_bf16 v[58:61], v[64:65], v[48:49], v[26:29]
	s_nop 2
	v_cvt_pk_f32_fp8_sdwa v[26:27], v22 src0_sel:WORD_1
	v_cvt_pk_f32_fp8_e32 v[28:29], v23
	v_perm_b32 v22, v53, v52, s5
	v_cvt_pk_f32_fp8_sdwa v[52:53], v23 src0_sel:WORD_1
	v_perm_b32 v23, v27, v26, s5
	v_perm_b32 v64, v29, v28, s5
	ds_read_b128 v[26:29], v50 offset:6144
	v_perm_b32 v65, v53, v52, s5
	s_waitcnt lgkmcnt(0)
	v_mfma_f32_16x16x16_bf16 v[58:61], v[22:23], v[26:27], v[58:61]
	ds_read_b128 v[50:53], v50 offset:6160
	v_perm_b32 v22, v67, v66, s5
	v_perm_b32 v23, v69, v68, s5
	v_cvt_pk_f32_fp8_e32 v[66:67], v25
	v_mfma_f32_16x16x16_bf16 v[58:61], v[64:65], v[28:29], v[58:61]
	v_cvt_pk_f32_fp8_sdwa v[64:65], v25 src0_sel:WORD_1
	v_cvt_pk_f32_fp8_e32 v[68:69], v32
	v_perm_b32 v66, v67, v66, s5
	s_waitcnt lgkmcnt(0)
	v_mfma_f32_16x16x16_bf16 v[22:25], v[22:23], v[50:51], v[58:61]
	v_perm_b32 v67, v65, v64, s5
	s_barrier
	s_nop 0
	v_mfma_f32_16x16x16_bf16 v[58:61], v[66:67], v[52:53], v[22:25]
	s_nop 2
	v_cvt_pk_f32_fp8_e32 v[24:25], v30
	v_perm_b32 v24, v25, v24, s5
	s_nop 1
	v_pk_mul_f32 v[22:23], v[60:61], s[4:5] op_sel_hi:[1,0]
	v_cvt_pk_f32_fp8_sdwa v[60:61], v30 src0_sel:WORD_1
	v_pk_mul_f32 v[64:65], v[58:59], s[4:5] op_sel_hi:[1,0]
	v_cvt_pk_f32_fp8_e32 v[58:59], v31
	v_cvt_pk_f32_fp8_sdwa v[30:31], v31 src0_sel:WORD_1
	v_perm_b32 v25, v61, v60, s5
	v_bfe_u32 v57, v65, 16, 1
	v_perm_b32 v66, v59, v58, s5
	v_perm_b32 v67, v31, v30, s5
	v_mfma_f32_16x16x16_bf16 v[58:61], v[24:25], v[34:35], 0
	v_perm_b32 v24, v69, v68, s5
	v_perm_b32 v25, v71, v70, s5
	v_cvt_pk_f32_fp8_e32 v[34:35], v33
	v_cvt_pk_f32_fp8_sdwa v[68:69], v33 src0_sel:WORD_1
	v_mfma_f32_16x16x16_bf16 v[30:33], v[66:67], v[36:37], v[58:61]
	s_waitcnt vmcnt(2)
	v_cvt_pk_f32_fp8_sdwa v[36:37], v18 src0_sel:WORD_1
	v_perm_b32 v34, v35, v34, s5
	v_perm_b32 v35, v69, v68, s5
	v_mfma_f32_16x16x16_bf16 v[30:33], v[24:25], v[38:39], v[30:33]
	v_cvt_pk_f32_fp8_e32 v[24:25], v18
	v_cvt_pk_f32_fp8_sdwa v[38:39], v20 src0_sel:WORD_1
	v_bfe_u32 v58, v64, 16, 1
	v_mfma_f32_16x16x16_bf16 v[30:33], v[34:35], v[40:41], v[30:33]
	v_cvt_pk_f32_fp8_e32 v[34:35], v19
	v_perm_b32 v24, v25, v24, s5
	v_perm_b32 v25, v37, v36, s5
	v_cvt_pk_f32_fp8_sdwa v[18:19], v19 src0_sel:WORD_1
	v_perm_b32 v34, v35, v34, s5
	v_cvt_pk_f32_fp8_e32 v[36:37], v20
	v_mfma_f32_16x16x16_bf16 v[30:33], v[24:25], v[6:7], v[30:33]
	v_perm_b32 v35, v19, v18, s5
	v_perm_b32 v18, v37, v36, s5
	;; [unrolled: 1-line block ×3, first 2 shown]
	v_cvt_pk_f32_fp8_e32 v[24:25], v21
	v_cvt_pk_f32_fp8_sdwa v[20:21], v21 src0_sel:WORD_1
	v_mfma_f32_16x16x16_bf16 v[6:9], v[34:35], v[8:9], v[30:33]
	v_perm_b32 v24, v25, v24, s5
	v_perm_b32 v25, v21, v20, s5
	v_mfma_f32_16x16x16_bf16 v[6:9], v[18:19], v[42:43], v[6:9]
	s_waitcnt vmcnt(1)
	v_cvt_pk_f32_fp8_e32 v[18:19], v14
	v_cvt_pk_f32_fp8_sdwa v[20:21], v14 src0_sel:WORD_1
	v_cvt_pk_f32_fp8_sdwa v[30:31], v16 src0_sel:WORD_1
	v_mfma_f32_16x16x16_bf16 v[6:9], v[24:25], v[44:45], v[6:9]
	v_cvt_pk_f32_fp8_e32 v[24:25], v15
	v_perm_b32 v18, v19, v18, s5
	v_perm_b32 v19, v21, v20, s5
	v_cvt_pk_f32_fp8_sdwa v[14:15], v15 src0_sel:WORD_1
	v_perm_b32 v20, v25, v24, s5
	v_cvt_pk_f32_fp8_e32 v[24:25], v16
	v_mfma_f32_16x16x16_bf16 v[6:9], v[18:19], v[2:3], v[6:9]
	v_perm_b32 v21, v15, v14, s5
	v_perm_b32 v14, v25, v24, s5
	;; [unrolled: 1-line block ×3, first 2 shown]
	v_cvt_pk_f32_fp8_e32 v[18:19], v17
	v_cvt_pk_f32_fp8_sdwa v[16:17], v17 src0_sel:WORD_1
	v_mfma_f32_16x16x16_bf16 v[2:5], v[20:21], v[4:5], v[6:9]
	v_add3_u32 v32, v64, v58, s9
	v_add3_u32 v33, v65, v57, s9
	s_nop 0
	v_perm_b32 v8, v19, v18, s5
	v_perm_b32 v9, v17, v16, s5
	v_mfma_f32_16x16x16_bf16 v[2:5], v[14:15], v[46:47], v[2:5]
	s_waitcnt vmcnt(0)
	v_cvt_pk_f32_fp8_e32 v[14:15], v10
	v_cvt_pk_f32_fp8_sdwa v[16:17], v10 src0_sel:WORD_1
	v_cvt_pk_f32_fp8_sdwa v[18:19], v12 src0_sel:WORD_1
	v_mfma_f32_16x16x16_bf16 v[2:5], v[8:9], v[48:49], v[2:5]
	v_cvt_pk_f32_fp8_e32 v[8:9], v11
	v_perm_b32 v14, v15, v14, s5
	v_perm_b32 v15, v17, v16, s5
	v_cvt_pk_f32_fp8_sdwa v[10:11], v11 src0_sel:WORD_1
	v_perm_b32 v8, v9, v8, s5
	v_cvt_pk_f32_fp8_e32 v[16:17], v12
	v_mfma_f32_16x16x16_bf16 v[2:5], v[14:15], v[26:27], v[2:5]
	v_perm_b32 v9, v11, v10, s5
	v_perm_b32 v10, v17, v16, s5
	;; [unrolled: 1-line block ×3, first 2 shown]
	v_cvt_pk_f32_fp8_e32 v[14:15], v13
	v_cvt_pk_f32_fp8_sdwa v[12:13], v13 src0_sel:WORD_1
	v_mfma_f32_16x16x16_bf16 v[2:5], v[8:9], v[28:29], v[2:5]
	v_bfe_u32 v7, v23, 16, 1
	v_perm_b32 v8, v15, v14, s5
	v_perm_b32 v9, v13, v12, s5
	v_mfma_f32_16x16x16_bf16 v[2:5], v[10:11], v[50:51], v[2:5]
	v_bfe_u32 v16, v22, 16, 1
	v_add3_u32 v10, v22, v16, s9
	v_add3_u32 v7, v23, v7, s9
	v_mfma_f32_16x16x16_bf16 v[2:5], v[8:9], v[52:53], v[2:5]
	v_perm_b32 v6, v33, v32, s5
	v_perm_b32 v7, v7, v10, s5
	s_nop 4
	v_pk_mul_f32 v[2:3], v[2:3], s[4:5] op_sel_hi:[1,0]
	v_pk_mul_f32 v[4:5], v[4:5], s[4:5] op_sel_hi:[1,0]
	v_bfe_u32 v8, v3, 16, 1
	v_bfe_u32 v9, v2, 16, 1
	v_add3_u32 v2, v2, v9, s9
	v_add3_u32 v3, v3, v8, s9
	v_perm_b32 v2, v3, v2, s5
	v_bfe_u32 v3, v5, 16, 1
	v_bfe_u32 v8, v4, 16, 1
	v_add3_u32 v4, v4, v8, s9
	v_add3_u32 v3, v5, v3, s9
	v_perm_b32 v3, v3, v4, s5
	v_cmp_ne_u32_e64 s[4:5], 3, v62
	s_and_b64 s[4:5], vcc, s[4:5]
	ds_write2st64_b64 v55, v[6:7], v[2:3] offset1:1
	s_waitcnt lgkmcnt(0)
	s_barrier
	s_and_saveexec_b64 s[10:11], s[4:5]
	s_cbranch_execz .LBB1386_19
; %bb.18:
	s_load_dwordx2 s[0:1], s[0:1], 0x68
	s_mul_i32 s2, s8, s2
	s_lshl_b32 s7, s7, 7
	v_lshlrev_b32_e32 v4, 6, v56
	s_mul_hi_u32 s5, s2, s7
	s_mul_i32 s4, s2, s7
	v_lshl_or_b32 v0, v0, 10, v4
	s_lshl_b64 s[4:5], s[4:5], 1
	v_lshlrev_b32_e32 v2, 5, v62
	v_and_b32_e32 v3, 16, v63
	v_and_b32_e32 v0, 0x1a00, v0
	s_waitcnt lgkmcnt(0)
	s_add_u32 s4, s0, s4
	v_or3_b32 v0, v0, v2, v3
	s_addc_u32 s5, s1, s5
	s_lshl_b32 s2, s6, 7
	ds_read_b128 v[2:5], v0
	s_lshl_b64 s[0:1], s[2:3], 1
	s_add_u32 s0, s4, s0
	s_addc_u32 s1, s5, s1
	v_mad_u64_u32 v[0:1], s[2:3], s7, v1, 0
	v_lshl_add_u64 v[0:1], v[0:1], 1, s[0:1]
	v_mov_b32_e32 v55, 0
	v_lshl_add_u64 v[0:1], v[0:1], 0, v[54:55]
	s_waitcnt lgkmcnt(0)
	global_store_dwordx4 v[0:1], v[2:5], off
.LBB1386_19:
	s_endpgm
	.section	.rodata,"a",@progbits
	.p2align	6, 0x0
	.amdhsa_kernel _Z39paged_attention_ll4mi_QKV_mfma16_kernelI14__hip_bfloat16hLN4vllm18Fp8KVCacheDataTypeE1ES0_Li32ELi128ELi256ELb1ELi3EEvPKT_PKT0_S8_ifPKiSA_SA_iPKfiiiPfSD_PS3_PT2_iSC_SC_
		.amdhsa_group_segment_fixed_size 8192
		.amdhsa_private_segment_fixed_size 0
		.amdhsa_kernarg_size 400
		.amdhsa_user_sgpr_count 2
		.amdhsa_user_sgpr_dispatch_ptr 0
		.amdhsa_user_sgpr_queue_ptr 0
		.amdhsa_user_sgpr_kernarg_segment_ptr 1
		.amdhsa_user_sgpr_dispatch_id 0
		.amdhsa_user_sgpr_kernarg_preload_length 0
		.amdhsa_user_sgpr_kernarg_preload_offset 0
		.amdhsa_user_sgpr_private_segment_size 0
		.amdhsa_uses_dynamic_stack 0
		.amdhsa_enable_private_segment 0
		.amdhsa_system_sgpr_workgroup_id_x 1
		.amdhsa_system_sgpr_workgroup_id_y 1
		.amdhsa_system_sgpr_workgroup_id_z 1
		.amdhsa_system_sgpr_workgroup_info 0
		.amdhsa_system_vgpr_workitem_id 0
		.amdhsa_next_free_vgpr 80
		.amdhsa_next_free_sgpr 50
		.amdhsa_accum_offset 80
		.amdhsa_reserve_vcc 1
		.amdhsa_float_round_mode_32 0
		.amdhsa_float_round_mode_16_64 0
		.amdhsa_float_denorm_mode_32 3
		.amdhsa_float_denorm_mode_16_64 3
		.amdhsa_dx10_clamp 1
		.amdhsa_ieee_mode 1
		.amdhsa_fp16_overflow 0
		.amdhsa_tg_split 0
		.amdhsa_exception_fp_ieee_invalid_op 0
		.amdhsa_exception_fp_denorm_src 0
		.amdhsa_exception_fp_ieee_div_zero 0
		.amdhsa_exception_fp_ieee_overflow 0
		.amdhsa_exception_fp_ieee_underflow 0
		.amdhsa_exception_fp_ieee_inexact 0
		.amdhsa_exception_int_div_zero 0
	.end_amdhsa_kernel
	.section	.text._Z39paged_attention_ll4mi_QKV_mfma16_kernelI14__hip_bfloat16hLN4vllm18Fp8KVCacheDataTypeE1ES0_Li32ELi128ELi256ELb1ELi3EEvPKT_PKT0_S8_ifPKiSA_SA_iPKfiiiPfSD_PS3_PT2_iSC_SC_,"axG",@progbits,_Z39paged_attention_ll4mi_QKV_mfma16_kernelI14__hip_bfloat16hLN4vllm18Fp8KVCacheDataTypeE1ES0_Li32ELi128ELi256ELb1ELi3EEvPKT_PKT0_S8_ifPKiSA_SA_iPKfiiiPfSD_PS3_PT2_iSC_SC_,comdat
.Lfunc_end1386:
	.size	_Z39paged_attention_ll4mi_QKV_mfma16_kernelI14__hip_bfloat16hLN4vllm18Fp8KVCacheDataTypeE1ES0_Li32ELi128ELi256ELb1ELi3EEvPKT_PKT0_S8_ifPKiSA_SA_iPKfiiiPfSD_PS3_PT2_iSC_SC_, .Lfunc_end1386-_Z39paged_attention_ll4mi_QKV_mfma16_kernelI14__hip_bfloat16hLN4vllm18Fp8KVCacheDataTypeE1ES0_Li32ELi128ELi256ELb1ELi3EEvPKT_PKT0_S8_ifPKiSA_SA_iPKfiiiPfSD_PS3_PT2_iSC_SC_
                                        ; -- End function
	.section	.AMDGPU.csdata,"",@progbits
; Kernel info:
; codeLenInByte = 6624
; NumSgprs: 56
; NumVgprs: 80
; NumAgprs: 0
; TotalNumVgprs: 80
; ScratchSize: 0
; MemoryBound: 0
; FloatMode: 240
; IeeeMode: 1
; LDSByteSize: 8192 bytes/workgroup (compile time only)
; SGPRBlocks: 6
; VGPRBlocks: 9
; NumSGPRsForWavesPerEU: 56
; NumVGPRsForWavesPerEU: 80
; AccumOffset: 80
; Occupancy: 6
; WaveLimiterHint : 1
; COMPUTE_PGM_RSRC2:SCRATCH_EN: 0
; COMPUTE_PGM_RSRC2:USER_SGPR: 2
; COMPUTE_PGM_RSRC2:TRAP_HANDLER: 0
; COMPUTE_PGM_RSRC2:TGID_X_EN: 1
; COMPUTE_PGM_RSRC2:TGID_Y_EN: 1
; COMPUTE_PGM_RSRC2:TGID_Z_EN: 1
; COMPUTE_PGM_RSRC2:TIDIG_COMP_CNT: 0
; COMPUTE_PGM_RSRC3_GFX90A:ACCUM_OFFSET: 19
; COMPUTE_PGM_RSRC3_GFX90A:TG_SPLIT: 0
	.section	.text._Z39paged_attention_ll4mi_QKV_mfma16_kernelI14__hip_bfloat16hLN4vllm18Fp8KVCacheDataTypeE1ES0_Li32ELi128ELi256ELb1ELi4EEvPKT_PKT0_S8_ifPKiSA_SA_iPKfiiiPfSD_PS3_PT2_iSC_SC_,"axG",@progbits,_Z39paged_attention_ll4mi_QKV_mfma16_kernelI14__hip_bfloat16hLN4vllm18Fp8KVCacheDataTypeE1ES0_Li32ELi128ELi256ELb1ELi4EEvPKT_PKT0_S8_ifPKiSA_SA_iPKfiiiPfSD_PS3_PT2_iSC_SC_,comdat
	.protected	_Z39paged_attention_ll4mi_QKV_mfma16_kernelI14__hip_bfloat16hLN4vllm18Fp8KVCacheDataTypeE1ES0_Li32ELi128ELi256ELb1ELi4EEvPKT_PKT0_S8_ifPKiSA_SA_iPKfiiiPfSD_PS3_PT2_iSC_SC_ ; -- Begin function _Z39paged_attention_ll4mi_QKV_mfma16_kernelI14__hip_bfloat16hLN4vllm18Fp8KVCacheDataTypeE1ES0_Li32ELi128ELi256ELb1ELi4EEvPKT_PKT0_S8_ifPKiSA_SA_iPKfiiiPfSD_PS3_PT2_iSC_SC_
	.globl	_Z39paged_attention_ll4mi_QKV_mfma16_kernelI14__hip_bfloat16hLN4vllm18Fp8KVCacheDataTypeE1ES0_Li32ELi128ELi256ELb1ELi4EEvPKT_PKT0_S8_ifPKiSA_SA_iPKfiiiPfSD_PS3_PT2_iSC_SC_
	.p2align	8
	.type	_Z39paged_attention_ll4mi_QKV_mfma16_kernelI14__hip_bfloat16hLN4vllm18Fp8KVCacheDataTypeE1ES0_Li32ELi128ELi256ELb1ELi4EEvPKT_PKT0_S8_ifPKiSA_SA_iPKfiiiPfSD_PS3_PT2_iSC_SC_,@function
_Z39paged_attention_ll4mi_QKV_mfma16_kernelI14__hip_bfloat16hLN4vllm18Fp8KVCacheDataTypeE1ES0_Li32ELi128ELi256ELb1ELi4EEvPKT_PKT0_S8_ifPKiSA_SA_iPKfiiiPfSD_PS3_PT2_iSC_SC_: ; @_Z39paged_attention_ll4mi_QKV_mfma16_kernelI14__hip_bfloat16hLN4vllm18Fp8KVCacheDataTypeE1ES0_Li32ELi128ELi256ELb1ELi4EEvPKT_PKT0_S8_ifPKiSA_SA_iPKfiiiPfSD_PS3_PT2_iSC_SC_
; %bb.0:
	s_load_dwordx2 s[8:9], s[0:1], 0x30
	s_mov_b32 s12, s3
	s_mov_b64 s[6:7], 0
	s_waitcnt lgkmcnt(0)
	s_cmp_lg_u64 s[8:9], 0
	s_cselect_b64 s[10:11], -1, 0
	s_and_b64 vcc, exec, s[10:11]
	s_cbranch_vccz .LBB1387_7
; %bb.1:
	s_add_i32 s14, s2, 1
	s_mov_b32 s15, 0
	s_lshl_b64 s[16:17], s[14:15], 2
	s_add_u32 s16, s8, s16
	s_mov_b32 s3, s15
	s_addc_u32 s17, s9, s17
	s_lshl_b64 s[14:15], s[2:3], 2
	s_add_u32 s14, s8, s14
	s_addc_u32 s15, s9, s15
	s_load_dword s5, s[16:17], 0x0
	s_load_dword s13, s[14:15], 0x0
	s_waitcnt lgkmcnt(0)
	s_sub_i32 s5, s5, s13
	s_cmp_eq_u32 s5, 1
	s_cselect_b64 s[14:15], -1, 0
	s_andn2_b64 vcc, exec, s[6:7]
	s_cbranch_vccnz .LBB1387_3
.LBB1387_2:
	s_mov_b32 s3, 0
	s_mov_b64 s[14:15], -1
.LBB1387_3:
	s_andn2_b64 vcc, exec, s[14:15]
	s_cbranch_vccnz .LBB1387_19
; %bb.4:
	s_load_dwordx2 s[6:7], s[0:1], 0x28
	s_lshl_b64 s[14:15], s[2:3], 2
	s_waitcnt lgkmcnt(0)
	s_add_u32 s6, s6, s14
	s_addc_u32 s7, s7, s15
	s_load_dword s33, s[6:7], 0x0
	s_lshl_b32 s18, s12, 8
	s_waitcnt lgkmcnt(0)
	s_cmp_ge_i32 s18, s33
	s_cbranch_scc1 .LBB1387_19
; %bb.5:
	s_load_dwordx2 s[6:7], s[0:1], 0x20
	s_load_dword s5, s[0:1], 0x38
	s_add_i32 s13, s33, 31
	s_ashr_i32 s16, s13, 31
	v_and_b32_e32 v1, 0xcf, v0
	s_lshr_b32 s16, s16, 27
	v_add_u32_e32 v1, s18, v1
	s_add_i32 s13, s13, s16
	v_ashrrev_i32_e32 v2, 31, v1
	s_ashr_i32 s19, s13, 5
	v_lshrrev_b32_e32 v4, 27, v2
	s_add_i32 s19, s19, -1
	s_waitcnt lgkmcnt(0)
	s_mul_i32 s16, s2, s5
	s_mov_b32 s17, 0
	v_add_u32_e32 v2, v1, v4
	s_lshl_b64 s[16:17], s[16:17], 2
	v_ashrrev_i32_e32 v2, 5, v2
	v_mov_b32_e32 v5, s19
	v_cmp_gt_i32_e32 vcc, s33, v1
	s_add_u32 s6, s6, s16
	s_addc_u32 s7, s7, s17
	v_cndmask_b32_e32 v2, v5, v2, vcc
	v_ashrrev_i32_e32 v3, 31, v2
	v_lshl_add_u64 v[6:7], v[2:3], 2, s[6:7]
	v_or_b32_e32 v2, 16, v1
	v_add_u32_e32 v3, v2, v4
	v_ashrrev_i32_e32 v3, 5, v3
	v_cmp_gt_i32_e32 vcc, s33, v2
	s_load_dwordx2 s[16:17], s[0:1], 0x8
	s_nop 0
	v_cndmask_b32_e32 v2, v5, v3, vcc
	v_ashrrev_i32_e32 v3, 31, v2
	v_lshl_add_u64 v[8:9], v[2:3], 2, s[6:7]
	v_or_b32_e32 v2, 32, v1
	v_add_u32_e32 v3, v2, v4
	v_ashrrev_i32_e32 v3, 5, v3
	v_cmp_gt_i32_e32 vcc, s33, v2
	v_or_b32_e32 v1, 48, v1
	s_nop 0
	v_cndmask_b32_e32 v2, v5, v3, vcc
	v_ashrrev_i32_e32 v3, 31, v2
	v_lshl_add_u64 v[12:13], v[2:3], 2, s[6:7]
	v_add_u32_e32 v2, v1, v4
	v_ashrrev_i32_e32 v2, 5, v2
	v_cmp_gt_i32_e32 vcc, s33, v1
	s_nop 1
	v_cndmask_b32_e32 v2, v5, v2, vcc
	v_ashrrev_i32_e32 v3, 31, v2
	v_lshl_add_u64 v[14:15], v[2:3], 2, s[6:7]
	global_load_dword v4, v[6:7], off
	global_load_dword v3, v[8:9], off
	;; [unrolled: 1-line block ×4, first 2 shown]
	s_andn2_b64 vcc, exec, s[10:11]
	s_cbranch_vccnz .LBB1387_8
; %bb.6:
	s_add_u32 s8, s8, s14
	s_addc_u32 s9, s9, s15
	s_load_dword s5, s[8:9], 0x0
	s_branch .LBB1387_9
.LBB1387_7:
	s_mov_b64 s[14:15], 0
	s_branch .LBB1387_2
.LBB1387_8:
	s_mov_b32 s5, s2
.LBB1387_9:
	s_load_dwordx2 s[8:9], s[0:1], 0x10
	s_load_dwordx4 s[44:47], s[0:1], 0x48
	v_and_b32_e32 v56, 15, v0
	v_bfe_u32 v59, v0, 4, 2
	s_lshl_b32 s13, s4, 2
	v_lshlrev_b32_e32 v5, 3, v56
	v_lshrrev_b32_e32 v60, 6, v0
	v_or_b32_e32 v1, s13, v59
	v_cmp_gt_u32_e64 s[14:15], 64, v0
	v_lshlrev_b32_e32 v54, 1, v5
	v_lshlrev_b32_e32 v57, 5, v59
	;; [unrolled: 1-line block ×3, first 2 shown]
	s_and_saveexec_b64 s[10:11], s[14:15]
	s_cbranch_execz .LBB1387_11
; %bb.10:
	s_load_dwordx2 s[20:21], s[0:1], 0x0
	s_waitcnt lgkmcnt(0)
	s_ashr_i32 s22, s44, 31
	s_mul_hi_u32 s23, s5, s44
	s_mul_i32 s22, s5, s22
	s_add_i32 s23, s23, s22
	s_mul_i32 s22, s5, s44
	s_lshl_b64 s[22:23], s[22:23], 1
	s_add_u32 s20, s20, s22
	v_lshlrev_b32_e32 v6, 7, v1
	s_addc_u32 s21, s21, s23
	v_ashrrev_i32_e32 v7, 31, v6
	v_lshl_add_u64 v[6:7], v[6:7], 1, s[20:21]
	v_mov_b32_e32 v55, 0
	v_lshl_add_u64 v[6:7], v[6:7], 0, v[54:55]
	global_load_dwordx4 v[6:9], v[6:7], off
	v_lshlrev_b32_e32 v11, 8, v0
	v_lshlrev_b32_e32 v5, 8, v56
	v_and_b32_e32 v11, 0x600, v11
	s_movk_i32 s5, 0x800
	v_and_or_b32 v5, v5, s5, v11
	v_lshl_or_b32 v11, v60, 7, v57
	v_and_b32_e32 v12, 16, v58
	v_or3_b32 v5, v5, v11, v12
	s_waitcnt vmcnt(0)
	ds_write_b128 v5, v[6:9]
.LBB1387_11:
	s_or_b64 exec, exec, s[10:11]
	s_waitcnt lgkmcnt(0)
	s_mul_i32 s10, s4, s46
	s_add_u32 s4, s16, s10
	s_addc_u32 s5, s17, 0
	v_mov_b32_e32 v51, 0
	v_mov_b64_e32 v[12:13], s[4:5]
	v_and_b32_e32 v52, 48, v0
	s_waitcnt vmcnt(3)
	v_mad_i64_i32 v[4:5], s[4:5], v4, s45, v[12:13]
	v_lshlrev_b32_e32 v14, 4, v56
	v_mov_b32_e32 v15, v51
	v_lshlrev_b32_e32 v50, 5, v52
	v_lshl_add_u64 v[4:5], v[4:5], 0, v[14:15]
	v_lshl_add_u64 v[4:5], v[4:5], 0, v[50:51]
	s_barrier
	global_load_dwordx4 v[46:49], v[4:5], off
	global_load_dwordx4 v[34:37], v[4:5], off offset:2048
	s_waitcnt vmcnt(4)
	v_mad_i64_i32 v[4:5], s[4:5], v3, s45, v[12:13]
	v_or_b32_e32 v16, 0x100, v14
	v_mov_b32_e32 v17, v51
	s_waitcnt vmcnt(3)
	v_mad_i64_i32 v[2:3], s[4:5], v2, s45, v[12:13]
	s_waitcnt vmcnt(2)
	v_mad_i64_i32 v[10:11], s[4:5], v10, s45, v[12:13]
	v_lshl_add_u64 v[4:5], v[4:5], 0, v[16:17]
	v_lshl_add_u64 v[2:3], v[2:3], 0, v[14:15]
	;; [unrolled: 1-line block ×6, first 2 shown]
	global_load_dwordx4 v[38:41], v[4:5], off
	global_load_dwordx4 v[6:9], v[4:5], off offset:2048
	s_nop 0
	global_load_dwordx4 v[2:5], v[14:15], off
	global_load_dwordx4 v[42:45], v[14:15], off offset:2048
	global_load_dwordx4 v[26:29], v[10:11], off
	s_nop 0
	global_load_dwordx4 v[14:17], v[10:11], off offset:2048
	v_and_b32_e32 v10, 3, v0
	v_lshlrev_b32_e32 v10, 5, v10
	v_lshl_or_b32 v10, v59, 9, v10
	ds_read_b128 v[30:33], v10
	ds_read_b128 v[22:25], v10 offset:16
	ds_read_b128 v[18:21], v10 offset:2048
	;; [unrolled: 1-line block ×3, first 2 shown]
	v_and_b32_e32 v55, 63, v0
	v_cmp_gt_u32_e32 vcc, 4, v56
	v_mov_b32_e32 v61, 0
	s_and_saveexec_b64 s[4:5], vcc
	s_cbranch_execz .LBB1387_13
; %bb.12:
	s_load_dwordx2 s[16:17], s[0:1], 0x40
	v_or_b32_e32 v62, s13, v56
	v_ashrrev_i32_e32 v63, 31, v62
	s_waitcnt lgkmcnt(0)
	v_lshl_add_u64 v[62:63], v[62:63], 2, s[16:17]
	global_load_dword v61, v[62:63], off
.LBB1387_13:
	s_or_b64 exec, exec, s[4:5]
	s_ashr_i32 s4, s18, 31
	v_or_b32_e32 v50, s18, v52
	s_lshr_b32 s4, s4, 27
	v_add_u32_e32 v52, s4, v50
	v_or_b32_e32 v62, 64, v50
	v_ashrrev_i32_e32 v52, 5, v52
	v_mov_b32_e32 v68, s19
	v_cmp_gt_i32_e32 vcc, s33, v50
	v_add_u32_e32 v63, s4, v62
	v_ashrrev_i32_e32 v63, 5, v63
	v_cndmask_b32_e32 v52, v68, v52, vcc
	v_cmp_gt_i32_e32 vcc, s33, v62
	s_waitcnt vmcnt(7)
	v_cvt_pk_f32_fp8_sdwa v[64:65], v46 src0_sel:WORD_1
	s_mov_b32 s44, 0x7060302
	v_cndmask_b32_e32 v62, v68, v63, vcc
	v_ashrrev_i32_e32 v63, 31, v62
	v_lshl_add_u64 v[66:67], v[62:63], 2, s[6:7]
	v_or_b32_e32 v62, 0x80, v50
	v_add_u32_e32 v63, s4, v62
	v_ashrrev_i32_e32 v63, 5, v63
	v_cmp_gt_i32_e32 vcc, s33, v62
	v_or_b32_e32 v50, 0xc0, v50
	v_add_u32_e32 v69, s4, v50
	v_cndmask_b32_e32 v62, v68, v63, vcc
	v_ashrrev_i32_e32 v63, 31, v62
	v_lshl_add_u64 v[72:73], v[62:63], 2, s[6:7]
	v_cvt_pk_f32_fp8_e32 v[62:63], v46
	v_ashrrev_i32_e32 v69, 5, v69
	v_cmp_gt_i32_e32 vcc, s33, v50
	v_ashrrev_i32_e32 v53, 31, v52
	v_perm_b32 v62, v63, v62, s44
	v_perm_b32 v63, v65, v64, s44
	v_cvt_pk_f32_fp8_e32 v[64:65], v47
	v_cvt_pk_f32_fp8_sdwa v[46:47], v47 src0_sel:WORD_1
	v_cndmask_b32_e32 v68, v68, v69, vcc
	v_cvt_pk_f32_fp8_sdwa v[74:75], v48 src0_sel:WORD_1
	v_perm_b32 v70, v65, v64, s44
	v_perm_b32 v71, v47, v46, s44
	s_waitcnt lgkmcnt(3)
	v_mfma_f32_16x16x16_bf16 v[62:65], v[62:63], v[30:31], 0
	v_cvt_pk_f32_fp8_e32 v[46:47], v48
	v_lshl_add_u64 v[52:53], v[52:53], 2, s[6:7]
	v_ashrrev_i32_e32 v69, 31, v68
	v_lshl_add_u64 v[76:77], v[68:69], 2, s[6:7]
	v_mfma_f32_16x16x16_bf16 v[68:71], v[70:71], v[32:33], v[62:65]
	s_nop 2
	global_load_dword v65, v[52:53], off
	s_nop 0
	global_load_dword v66, v[66:67], off
	;; [unrolled: 2-line block ×3, first 2 shown]
	global_load_dword v64, v[76:77], off
	v_perm_b32 v46, v47, v46, s44
	v_perm_b32 v47, v75, v74, s44
	v_cvt_pk_f32_fp8_e32 v[74:75], v49
	v_cvt_pk_f32_fp8_sdwa v[48:49], v49 src0_sel:WORD_1
	s_waitcnt vmcnt(10)
	v_cvt_pk_f32_fp8_sdwa v[72:73], v36 src0_sel:WORD_1
	s_waitcnt vmcnt(7)
	v_cvt_pk_f32_fp8_sdwa v[78:79], v5 src0_sel:WORD_1
	v_perm_b32 v52, v75, v74, s44
	v_perm_b32 v53, v49, v48, s44
	s_waitcnt lgkmcnt(2)
	v_mfma_f32_16x16x16_bf16 v[46:49], v[46:47], v[22:23], v[68:71]
	v_cvt_pk_f32_fp8_sdwa v[74:75], v4 src0_sel:WORD_1
	s_add_u32 s4, s8, s10
	s_addc_u32 s5, s9, 0
	v_cvt_pk_f32_fp8_e32 v[68:69], v34
	v_cvt_pk_f32_fp8_sdwa v[70:71], v34 src0_sel:WORD_1
	v_mfma_f32_16x16x16_bf16 v[46:49], v[52:53], v[24:25], v[46:49]
	v_cvt_pk_f32_fp8_e32 v[52:53], v35
	v_perm_b32 v68, v69, v68, s44
	v_perm_b32 v69, v71, v70, s44
	v_cvt_pk_f32_fp8_sdwa v[34:35], v35 src0_sel:WORD_1
	v_perm_b32 v52, v53, v52, s44
	v_cvt_pk_f32_fp8_e32 v[70:71], v36
	s_waitcnt lgkmcnt(1)
	v_mfma_f32_16x16x16_bf16 v[46:49], v[68:69], v[18:19], v[46:49]
	v_perm_b32 v53, v35, v34, s44
	v_perm_b32 v68, v71, v70, s44
	;; [unrolled: 1-line block ×3, first 2 shown]
	v_cvt_pk_f32_fp8_e32 v[70:71], v37
	v_cvt_pk_f32_fp8_sdwa v[72:73], v37 src0_sel:WORD_1
	v_mfma_f32_16x16x16_bf16 v[34:37], v[52:53], v[20:21], v[46:49]
	v_cvt_pk_f32_fp8_sdwa v[52:53], v38 src0_sel:WORD_1
	v_and_b32_e32 v50, 16, v0
	v_lshl_or_b32 v62, v60, 4, v56
	v_perm_b32 v46, v71, v70, s44
	v_perm_b32 v47, v73, v72, s44
	s_waitcnt lgkmcnt(0)
	v_mfma_f32_16x16x16_bf16 v[34:37], v[68:69], v[10:11], v[34:37]
	v_cvt_pk_f32_fp8_e32 v[48:49], v38
	v_cvt_pk_f32_fp8_e32 v[68:69], v40
	v_cvt_pk_f32_fp8_sdwa v[70:71], v40 src0_sel:WORD_1
	v_mfma_f32_16x16x16_bf16 v[34:37], v[46:47], v[12:13], v[34:37]
	v_cvt_pk_f32_fp8_e32 v[46:47], v39
	v_perm_b32 v48, v49, v48, s44
	v_perm_b32 v49, v53, v52, s44
	v_cvt_pk_f32_fp8_sdwa v[38:39], v39 src0_sel:WORD_1
	v_perm_b32 v52, v47, v46, s44
	v_mfma_f32_16x16x16_bf16 v[46:49], v[48:49], v[30:31], 0
	v_perm_b32 v53, v39, v38, s44
	v_perm_b32 v68, v69, v68, s44
	;; [unrolled: 1-line block ×3, first 2 shown]
	v_cvt_pk_f32_fp8_e32 v[70:71], v41
	v_cvt_pk_f32_fp8_sdwa v[72:73], v41 src0_sel:WORD_1
	v_mfma_f32_16x16x16_bf16 v[38:41], v[52:53], v[32:33], v[46:49]
	v_cvt_pk_f32_fp8_e32 v[52:53], v6
	s_mov_b32 s47, 0xff7fffff
	v_perm_b32 v52, v53, v52, s44
	v_perm_b32 v48, v71, v70, s44
	;; [unrolled: 1-line block ×3, first 2 shown]
	v_mfma_f32_16x16x16_bf16 v[38:41], v[68:69], v[22:23], v[38:41]
	v_cvt_pk_f32_fp8_sdwa v[68:69], v6 src0_sel:WORD_1
	v_cvt_pk_f32_fp8_sdwa v[70:71], v8 src0_sel:WORD_1
	v_lshl_add_u64 v[46:47], s[4:5], 0, v[50:51]
	v_mfma_f32_16x16x16_bf16 v[38:41], v[48:49], v[24:25], v[38:41]
	v_cvt_pk_f32_fp8_e32 v[48:49], v7
	v_perm_b32 v53, v69, v68, s44
	v_cvt_pk_f32_fp8_sdwa v[6:7], v7 src0_sel:WORD_1
	v_cvt_pk_f32_fp8_e32 v[68:69], v8
	v_perm_b32 v48, v49, v48, s44
	v_mfma_f32_16x16x16_bf16 v[38:41], v[52:53], v[18:19], v[38:41]
	v_perm_b32 v49, v7, v6, s44
	v_perm_b32 v52, v69, v68, s44
	v_perm_b32 v53, v71, v70, s44
	v_cvt_pk_f32_fp8_e32 v[68:69], v9
	v_cvt_pk_f32_fp8_sdwa v[70:71], v9 src0_sel:WORD_1
	v_mfma_f32_16x16x16_bf16 v[6:9], v[48:49], v[20:21], v[38:41]
	v_cvt_pk_f32_fp8_e32 v[48:49], v2
	v_lshlrev_b32_e32 v50, 5, v62
	v_lshl_add_u64 v[72:73], v[46:47], 0, v[50:51]
	v_perm_b32 v38, v69, v68, s44
	v_perm_b32 v39, v71, v70, s44
	v_mfma_f32_16x16x16_bf16 v[6:9], v[52:53], v[10:11], v[6:9]
	v_cvt_pk_f32_fp8_sdwa v[52:53], v2 src0_sel:WORD_1
	s_waitcnt vmcnt(2)
	v_mad_i64_i32 v[76:77], s[4:5], v66, s45, v[72:73]
	v_mfma_f32_16x16x16_bf16 v[38:41], v[38:39], v[12:13], v[6:9]
	v_or_b32_e32 v50, 0x800, v50
	v_lshl_add_u64 v[46:47], v[46:47], 0, v[50:51]
	s_nop 0
	v_perm_b32 v6, v49, v48, s44
	v_perm_b32 v7, v53, v52, s44
	v_cvt_pk_f32_fp8_e32 v[8:9], v3
	v_cvt_pk_f32_fp8_sdwa v[2:3], v3 src0_sel:WORD_1
	v_mad_i64_i32 v[48:49], s[4:5], v65, s45, v[72:73]
	v_perm_b32 v52, v9, v8, s44
	v_perm_b32 v53, v3, v2, s44
	v_mfma_f32_16x16x16_bf16 v[6:9], v[6:7], v[30:31], 0
	v_cvt_pk_f32_fp8_e32 v[2:3], v4
	v_mfma_f32_16x16x16_bf16 v[68:71], v[52:53], v[32:33], v[6:9]
	v_perm_b32 v52, v3, v2, s44
	v_perm_b32 v53, v75, v74, s44
	v_cvt_pk_f32_fp8_e32 v[74:75], v5
	s_nop 1
	global_load_dwordx4 v[6:9], v[48:49], off
	global_load_dwordx4 v[2:5], v[76:77], off
	v_mfma_f32_16x16x16_bf16 v[68:71], v[52:53], v[22:23], v[68:71]
	v_perm_b32 v74, v75, v74, s44
	v_perm_b32 v75, v79, v78, s44
	s_waitcnt vmcnt(3)
	v_mad_i64_i32 v[48:49], s[4:5], v63, s45, v[72:73]
	s_waitcnt vmcnt(2)
	v_mad_i64_i32 v[52:53], s[4:5], v64, s45, v[72:73]
	v_mfma_f32_16x16x16_bf16 v[68:71], v[74:75], v[24:25], v[68:71]
	v_cvt_pk_f32_fp8_e32 v[72:73], v42
	v_cvt_pk_f32_fp8_sdwa v[74:75], v42 src0_sel:WORD_1
	v_cvt_pk_f32_fp8_e32 v[76:77], v43
	v_cvt_pk_f32_fp8_sdwa v[42:43], v43 src0_sel:WORD_1
	v_perm_b32 v72, v73, v72, s44
	v_perm_b32 v73, v75, v74, s44
	v_perm_b32 v74, v77, v76, s44
	v_perm_b32 v75, v43, v42, s44
	v_cvt_pk_f32_fp8_e32 v[42:43], v44
	v_cvt_pk_f32_fp8_sdwa v[76:77], v44 src0_sel:WORD_1
	v_mfma_f32_16x16x16_bf16 v[68:71], v[72:73], v[18:19], v[68:71]
	v_cvt_pk_f32_fp8_sdwa v[78:79], v45 src0_sel:WORD_1
	v_perm_b32 v72, v43, v42, s44
	v_perm_b32 v73, v77, v76, s44
	v_cvt_pk_f32_fp8_e32 v[76:77], v45
	v_mfma_f32_16x16x16_bf16 v[42:45], v[74:75], v[20:21], v[68:71]
	v_perm_b32 v51, v79, v78, s44
	v_cvt_pk_f32_fp8_sdwa v[74:75], v26 src0_sel:WORD_1
	v_perm_b32 v50, v77, v76, s44
	v_mfma_f32_16x16x16_bf16 v[42:45], v[72:73], v[10:11], v[42:45]
	v_cvt_pk_f32_fp8_e32 v[72:73], v26
	s_load_dword s4, s[0:1], 0x1c
	s_load_dwordx4 s[40:43], s[0:1], 0x80
	s_load_dword s46, s[0:1], 0x98
	s_waitcnt lgkmcnt(0)
	s_load_dword s5, s[40:41], 0x0
	v_mfma_f32_16x16x16_bf16 v[68:71], v[50:51], v[12:13], v[42:45]
	s_nop 2
	v_cvt_pk_f32_fp8_e32 v[42:43], v27
	v_perm_b32 v44, v73, v72, s44
	v_perm_b32 v45, v75, v74, s44
	v_cvt_pk_f32_fp8_sdwa v[26:27], v27 src0_sel:WORD_1
	v_perm_b32 v50, v43, v42, s44
	v_cvt_pk_f32_fp8_e32 v[72:73], v28
	v_cvt_pk_f32_fp8_sdwa v[74:75], v28 src0_sel:WORD_1
	v_perm_b32 v51, v27, v26, s44
	v_mfma_f32_16x16x16_bf16 v[42:45], v[44:45], v[30:31], 0
	v_perm_b32 v30, v73, v72, s44
	v_perm_b32 v31, v75, v74, s44
	v_cvt_pk_f32_fp8_e32 v[72:73], v29
	v_cvt_pk_f32_fp8_sdwa v[74:75], v29 src0_sel:WORD_1
	v_mfma_f32_16x16x16_bf16 v[26:29], v[50:51], v[32:33], v[42:45]
	v_perm_b32 v32, v73, v72, s44
	v_perm_b32 v33, v75, v74, s44
	v_mfma_f32_16x16x16_bf16 v[26:29], v[30:31], v[22:23], v[26:29]
	v_mov_b32_e32 v42, s4
	s_waitcnt lgkmcnt(0)
	v_mul_f32_e32 v50, s5, v42
	v_pk_mul_f32 v[30:31], v[50:51], v[34:35] op_sel_hi:[0,1]
	v_mfma_f32_16x16x16_bf16 v[32:35], v[32:33], v[24:25], v[26:29]
	v_cvt_pk_f32_fp8_e32 v[22:23], v14
	v_cvt_pk_f32_fp8_sdwa v[24:25], v14 src0_sel:WORD_1
	v_pk_mul_f32 v[42:43], v[50:51], v[36:37] op_sel_hi:[0,1]
	v_cvt_pk_f32_fp8_e32 v[26:27], v15
	v_cvt_pk_f32_fp8_sdwa v[14:15], v15 src0_sel:WORD_1
	v_perm_b32 v36, v23, v22, s44
	v_perm_b32 v37, v25, v24, s44
	;; [unrolled: 1-line block ×4, first 2 shown]
	v_cvt_pk_f32_fp8_e32 v[14:15], v16
	v_cvt_pk_f32_fp8_sdwa v[72:73], v16 src0_sel:WORD_1
	v_mfma_f32_16x16x16_bf16 v[32:35], v[36:37], v[18:19], v[32:35]
	global_load_dwordx4 v[26:29], v[48:49], off
	global_load_dwordx4 v[22:25], v[52:53], off
	v_perm_b32 v18, v15, v14, s44
	v_perm_b32 v19, v73, v72, s44
	v_cvt_pk_f32_fp8_e32 v[36:37], v17
	v_cvt_pk_f32_fp8_sdwa v[48:49], v17 src0_sel:WORD_1
	v_mfma_f32_16x16x16_bf16 v[14:17], v[44:45], v[20:21], v[32:35]
	v_pk_mul_f32 v[44:45], v[50:51], v[40:41] op_sel_hi:[0,1]
	v_perm_b32 v20, v37, v36, s44
	v_perm_b32 v21, v49, v48, s44
	v_mfma_f32_16x16x16_bf16 v[14:17], v[18:19], v[10:11], v[14:17]
	v_pk_mul_f32 v[48:49], v[50:51], v[38:39] op_sel_hi:[0,1]
	v_pk_mul_f32 v[38:39], v[50:51], v[70:71] op_sel_hi:[0,1]
	v_pk_mul_f32 v[40:41], v[50:51], v[68:69] op_sel_hi:[0,1]
	v_mfma_f32_16x16x16_bf16 v[10:13], v[20:21], v[12:13], v[14:17]
	s_nop 6
	v_pk_mul_f32 v[36:37], v[50:51], v[10:11] op_sel_hi:[0,1]
	v_and_b32_e32 v10, 0xc0, v0
	v_add_u32_e32 v10, s18, v10
	v_lshl_or_b32 v10, v59, 2, v10
	v_or_b32_e32 v11, 1, v10
	v_pk_mul_f32 v[34:35], v[50:51], v[12:13] op_sel_hi:[0,1]
	v_subrev_u32_e32 v12, s33, v11
	v_add_u32_e32 v14, 1, v12
	v_add_u32_e32 v15, 2, v12
	v_cvt_f32_i32_e32 v13, v12
	v_cvt_f32_i32_e32 v14, v14
	;; [unrolled: 1-line block ×3, first 2 shown]
	v_add_u32_e32 v16, 3, v12
	v_fma_f32 v17, v61, v13, v30
	v_fmac_f32_e32 v31, v61, v14
	v_fma_f32 v42, v61, v15, v42
	v_add_u32_e32 v13, 16, v12
	v_add_u32_e32 v14, 17, v12
	;; [unrolled: 1-line block ×3, first 2 shown]
	v_cvt_f32_i32_e32 v16, v16
	v_cvt_f32_i32_e32 v13, v13
	;; [unrolled: 1-line block ×4, first 2 shown]
	v_fmac_f32_e32 v43, v61, v16
	v_add_u32_e32 v16, 19, v12
	v_fma_f32 v52, v61, v13, v48
	v_fmac_f32_e32 v49, v61, v14
	v_fma_f32 v44, v61, v15, v44
	v_add_u32_e32 v13, 32, v12
	v_add_u32_e32 v14, 33, v12
	v_add_u32_e32 v15, 34, v12
	v_cvt_f32_i32_e32 v16, v16
	v_cvt_f32_i32_e32 v13, v13
	;; [unrolled: 1-line block ×4, first 2 shown]
	v_fmac_f32_e32 v45, v61, v16
	v_add_u32_e32 v16, 35, v12
	v_fma_f32 v40, v61, v13, v40
	v_fmac_f32_e32 v41, v61, v14
	v_fma_f32 v38, v61, v15, v38
	v_add_u32_e32 v13, 48, v12
	v_add_u32_e32 v14, 49, v12
	;; [unrolled: 1-line block ×4, first 2 shown]
	v_cvt_f32_i32_e32 v12, v12
	v_cvt_f32_i32_e32 v13, v13
	;; [unrolled: 1-line block ×3, first 2 shown]
	v_cmp_gt_i32_e64 s[4:5], s33, v10
	v_fmac_f32_e32 v35, v61, v12
	v_mov_b32_e32 v12, 0xff7fffff
	v_cmp_gt_i32_e64 s[16:17], s33, v11
	v_fma_f32 v36, v61, v13, v36
	v_cndmask_b32_e64 v13, v12, v17, s[4:5]
	v_cndmask_b32_e64 v11, v12, v31, s[16:17]
	v_fmac_f32_e32 v37, v61, v14
	v_max3_f32 v11, v13, s47, v11
	v_or_b32_e32 v13, 2, v10
	v_or_b32_e32 v14, 3, v10
	v_cmp_gt_i32_e64 s[18:19], s33, v13
	v_cmp_gt_i32_e64 s[20:21], s33, v14
	v_cvt_f32_i32_e32 v16, v16
	v_cndmask_b32_e64 v13, v12, v42, s[18:19]
	v_cndmask_b32_e64 v14, v12, v43, s[20:21]
	v_max3_f32 v11, v11, v13, v14
	v_or_b32_e32 v13, 16, v10
	v_or_b32_e32 v14, 17, v10
	v_cmp_gt_i32_e64 s[22:23], s33, v13
	v_cmp_gt_i32_e64 s[24:25], s33, v14
	v_fmac_f32_e32 v39, v61, v16
	v_cndmask_b32_e64 v13, v12, v52, s[22:23]
	v_cndmask_b32_e64 v14, v12, v49, s[24:25]
	v_max3_f32 v11, v11, v13, v14
	v_or_b32_e32 v13, 18, v10
	v_or_b32_e32 v14, 19, v10
	v_cmp_gt_i32_e64 s[26:27], s33, v13
	v_cmp_gt_i32_e64 s[28:29], s33, v14
	v_cvt_f32_i32_e32 v15, v15
	v_cndmask_b32_e64 v13, v12, v44, s[26:27]
	v_cndmask_b32_e64 v14, v12, v45, s[28:29]
	v_max3_f32 v11, v11, v13, v14
	v_or_b32_e32 v13, 32, v10
	v_or_b32_e32 v14, 33, v10
	v_cmp_gt_i32_e64 s[30:31], s33, v13
	v_cmp_gt_i32_e64 s[34:35], s33, v14
	v_fma_f32 v34, v61, v15, v34
	v_cndmask_b32_e64 v13, v12, v40, s[30:31]
	v_cndmask_b32_e64 v14, v12, v41, s[34:35]
	v_max3_f32 v11, v11, v13, v14
	v_or_b32_e32 v13, 34, v10
	v_or_b32_e32 v14, 35, v10
	v_cmp_gt_i32_e64 s[36:37], s33, v13
	v_cmp_gt_i32_e64 s[38:39], s33, v14
	s_nop 0
	v_cndmask_b32_e64 v13, v12, v38, s[36:37]
	v_cndmask_b32_e64 v14, v12, v39, s[38:39]
	v_max3_f32 v11, v11, v13, v14
	v_or_b32_e32 v13, 48, v10
	v_or_b32_e32 v14, 49, v10
	v_cmp_gt_i32_e64 s[8:9], s33, v13
	v_cmp_gt_i32_e64 s[10:11], s33, v14
	s_nop 0
	v_cndmask_b32_e64 v13, v12, v36, s[8:9]
	v_cndmask_b32_e64 v14, v12, v37, s[10:11]
	v_max3_f32 v11, v11, v13, v14
	v_or_b32_e32 v13, 50, v10
	v_or_b32_e32 v10, 51, v10
	v_cmp_gt_i32_e32 vcc, s33, v13
	v_cmp_gt_i32_e64 s[6:7], s33, v10
	s_nop 0
	v_cndmask_b32_e32 v13, v12, v34, vcc
	v_cndmask_b32_e64 v10, v12, v35, s[6:7]
	v_max3_f32 v14, v11, v13, v10
	v_mbcnt_lo_u32_b32 v10, -1, 0
	v_mbcnt_hi_u32_b32 v15, -1, v10
	v_and_b32_e32 v10, 64, v15
	v_add_u32_e32 v16, 64, v10
	v_xor_b32_e32 v10, 32, v15
	v_cmp_lt_i32_e64 s[40:41], v10, v16
	s_nop 1
	v_cndmask_b32_e64 v10, v15, v10, s[40:41]
	v_lshlrev_b32_e32 v53, 2, v10
	ds_bpermute_b32 v18, v53, v14
	v_mad_i64_i32 v[10:11], s[40:41], v65, s45, v[46:47]
	v_mad_i64_i32 v[12:13], s[40:41], v66, s45, v[46:47]
	s_waitcnt lgkmcnt(0)
	v_max_f32_e32 v18, v18, v18
	v_max_f32_e32 v18, v14, v18
	v_xor_b32_e32 v14, 16, v15
	v_cmp_lt_i32_e64 s[40:41], v14, v16
	s_nop 1
	v_cndmask_b32_e64 v14, v15, v14, s[40:41]
	v_lshlrev_b32_e32 v61, 2, v14
	ds_bpermute_b32 v16, v61, v18
	v_mad_i64_i32 v[14:15], s[40:41], v63, s45, v[46:47]
	v_mad_i64_i32 v[46:47], s[40:41], v64, s45, v[46:47]
	s_waitcnt lgkmcnt(0)
	v_max_f32_e32 v16, v16, v16
	v_max_f32_e32 v48, v18, v16
	v_sub_f32_e32 v16, v31, v48
	global_load_dwordx4 v[30:33], v[10:11], off
	global_load_dwordx4 v[18:21], v[12:13], off
	v_sub_f32_e32 v10, v17, v48
	v_mul_f32_e32 v10, 0x3fb8aa3b, v10
	v_exp_f32_e32 v50, v10
	v_mul_f32_e32 v10, 0x3fb8aa3b, v16
	v_exp_f32_e32 v51, v10
	v_sub_f32_e32 v10, v42, v48
	v_mul_f32_e32 v10, 0x3fb8aa3b, v10
	v_exp_f32_e32 v42, v10
	v_sub_f32_e32 v10, v43, v48
	v_mul_f32_e32 v10, 0x3fb8aa3b, v10
	v_exp_f32_e32 v43, v10
	global_load_dwordx4 v[14:17], v[14:15], off
	s_nop 0
	global_load_dwordx4 v[10:13], v[46:47], off
	v_sub_f32_e32 v40, v40, v48
	v_sub_f32_e32 v38, v38, v48
	v_mul_f32_e32 v40, 0x3fb8aa3b, v40
	v_mul_f32_e32 v38, 0x3fb8aa3b, v38
	v_cndmask_b32_e64 v47, 0, v51, s[16:17]
	v_cndmask_b32_e64 v51, 0, v43, s[20:21]
	v_sub_f32_e32 v43, v49, v48
	v_exp_f32_e32 v40, v40
	v_exp_f32_e32 v49, v38
	v_cndmask_b32_e64 v46, 0, v50, s[4:5]
	v_cndmask_b32_e64 v50, 0, v42, s[18:19]
	v_sub_f32_e32 v42, v52, v48
	v_mul_f32_e32 v42, 0x3fb8aa3b, v42
	v_sub_f32_e32 v38, v39, v48
	v_exp_f32_e32 v42, v42
	v_mul_f32_e32 v43, 0x3fb8aa3b, v43
	v_sub_f32_e32 v44, v44, v48
	v_mul_f32_e32 v38, 0x3fb8aa3b, v38
	v_exp_f32_e32 v43, v43
	v_mul_f32_e32 v44, 0x3fb8aa3b, v44
	v_sub_f32_e32 v45, v45, v48
	v_exp_f32_e32 v52, v38
	v_cndmask_b32_e64 v38, 0, v40, s[30:31]
	v_cndmask_b32_e64 v40, 0, v49, s[36:37]
	v_add_f32_e32 v49, 0, v46
	v_exp_f32_e32 v44, v44
	v_mul_f32_e32 v45, 0x3fb8aa3b, v45
	v_add_f32_e32 v49, v49, v47
	v_exp_f32_e32 v45, v45
	v_sub_f32_e32 v41, v41, v48
	v_add_f32_e32 v49, v49, v50
	v_cndmask_b32_e64 v42, 0, v42, s[22:23]
	v_mul_f32_e32 v41, 0x3fb8aa3b, v41
	v_add_f32_e32 v49, v49, v51
	v_cndmask_b32_e64 v43, 0, v43, s[24:25]
	v_exp_f32_e32 v41, v41
	v_add_f32_e32 v49, v49, v42
	v_cndmask_b32_e64 v44, 0, v44, s[26:27]
	v_add_f32_e32 v49, v49, v43
	v_sub_f32_e32 v36, v36, v48
	v_cndmask_b32_e64 v45, 0, v45, s[28:29]
	v_add_f32_e32 v49, v49, v44
	v_mul_f32_e32 v36, 0x3fb8aa3b, v36
	v_sub_f32_e32 v37, v37, v48
	v_add_f32_e32 v49, v49, v45
	v_exp_f32_e32 v36, v36
	v_mul_f32_e32 v37, 0x3fb8aa3b, v37
	v_sub_f32_e32 v34, v34, v48
	v_cndmask_b32_e64 v39, 0, v41, s[34:35]
	v_add_f32_e32 v49, v49, v38
	v_exp_f32_e32 v37, v37
	v_mul_f32_e32 v34, 0x3fb8aa3b, v34
	v_sub_f32_e32 v35, v35, v48
	v_add_f32_e32 v49, v49, v39
	v_exp_f32_e32 v34, v34
	v_mul_f32_e32 v35, 0x3fb8aa3b, v35
	v_cndmask_b32_e64 v41, 0, v52, s[38:39]
	v_add_f32_e32 v49, v49, v40
	v_exp_f32_e32 v35, v35
	v_add_f32_e32 v49, v49, v41
	v_cndmask_b32_e64 v36, 0, v36, s[8:9]
	v_add_f32_e32 v49, v49, v36
	v_cndmask_b32_e64 v37, 0, v37, s[10:11]
	v_add_f32_e32 v49, v49, v37
	v_cndmask_b32_e32 v34, 0, v34, vcc
	v_add_f32_e32 v49, v49, v34
	v_cndmask_b32_e64 v35, 0, v35, s[6:7]
	v_add_f32_e32 v49, v49, v35
	ds_bpermute_b32 v52, v53, v49
	v_cmp_gt_u32_e32 vcc, 16, v55
	s_waitcnt lgkmcnt(0)
	s_barrier
	v_add_f32_e32 v49, v49, v52
	ds_bpermute_b32 v52, v61, v49
	s_and_saveexec_b64 s[4:5], vcc
	s_cbranch_execz .LBB1387_15
; %bb.14:
	s_waitcnt lgkmcnt(0)
	v_add_f32_e32 v49, v49, v52
	v_lshlrev_b32_e32 v52, 2, v62
	ds_write2st64_b32 v52, v48, v49 offset1:1
.LBB1387_15:
	s_or_b64 exec, exec, s[4:5]
	v_lshlrev_b32_e32 v49, 2, v56
	s_load_dword s6, s[0:1], 0x94
	s_waitcnt lgkmcnt(0)
	s_barrier
	ds_read2_b32 v[52:53], v49 offset1:16
	ds_read2_b32 v[62:63], v49 offset0:32 offset1:48
	ds_read2_b32 v[64:65], v49 offset0:64 offset1:80
	s_movk_i32 s8, 0x7fff
	s_lshl_b32 s7, s46, 2
	s_waitcnt lgkmcnt(2)
	v_max3_f32 v48, v52, s47, v53
	s_waitcnt lgkmcnt(1)
	v_max3_f32 v48, v48, v62, v63
	v_sub_f32_e32 v52, v52, v48
	v_mul_f32_e32 v52, 0x3fb8aa3b, v52
	v_exp_f32_e32 v55, v52
	v_sub_f32_e32 v52, v53, v48
	v_mul_f32_e32 v52, 0x3fb8aa3b, v52
	v_exp_f32_e32 v61, v52
	;; [unrolled: 3-line block ×3, first 2 shown]
	ds_read2_b32 v[52:53], v49 offset0:96 offset1:112
	v_sub_f32_e32 v49, v63, v48
	v_mul_f32_e32 v49, 0x3fb8aa3b, v49
	v_exp_f32_e32 v63, v49
	s_waitcnt lgkmcnt(1)
	v_fma_f32 v49, v55, v64, 0
	v_fmac_f32_e32 v49, v61, v65
	s_waitcnt lgkmcnt(0)
	v_fmac_f32_e32 v49, v62, v52
	v_fmac_f32_e32 v49, v63, v53
	v_add_f32_e32 v52, 0x358637bd, v49
	v_div_scale_f32 v53, s[4:5], v52, v52, 1.0
	v_rcp_f32_e32 v64, v53
	s_barrier
	v_fma_f32 v65, -v53, v64, 1.0
	v_fmac_f32_e32 v64, v65, v64
	v_div_scale_f32 v65, vcc, 1.0, v52, 1.0
	v_mul_f32_e32 v66, v65, v64
	v_fma_f32 v67, -v53, v66, v65
	v_fmac_f32_e32 v66, v67, v64
	v_fma_f32 v53, -v53, v66, v65
	v_div_fmas_f32 v53, v53, v64, v66
	v_cmp_eq_u32_e32 vcc, 1, v60
	v_div_fixup_f32 v52, v53, v52, 1.0
	s_nop 0
	v_cndmask_b32_e32 v53, v55, v61, vcc
	v_cmp_eq_u32_e32 vcc, 2, v60
	s_nop 1
	v_cndmask_b32_e32 v53, v53, v62, vcc
	v_cmp_eq_u32_e32 vcc, 3, v60
	s_nop 1
	v_cndmask_b32_e32 v53, v53, v63, vcc
	v_mul_f32_e32 v52, v53, v52
	v_pk_mul_f32 v[46:47], v[52:53], v[46:47] op_sel_hi:[0,1]
	v_pk_mul_f32 v[50:51], v[52:53], v[50:51] op_sel_hi:[0,1]
	v_bfe_u32 v53, v47, 16, 1
	v_bfe_u32 v55, v46, 16, 1
	v_add3_u32 v46, v46, v55, s8
	v_add3_u32 v47, v47, v53, s8
	v_perm_b32 v62, v47, v46, s44
	v_bfe_u32 v46, v51, 16, 1
	v_bfe_u32 v47, v50, 16, 1
	v_add3_u32 v47, v50, v47, s8
	v_add3_u32 v46, v51, v46, s8
	v_perm_b32 v63, v46, v47, s44
	v_lshlrev_b32_e32 v47, 3, v59
	v_lshlrev_b32_e32 v46, 5, v56
	;; [unrolled: 1-line block ×3, first 2 shown]
	v_pk_mul_f32 v[42:43], v[52:53], v[42:43] op_sel_hi:[0,1]
	v_or3_b32 v55, v50, v46, v47
	v_bfe_u32 v47, v43, 16, 1
	v_bfe_u32 v50, v42, 16, 1
	v_pk_mul_f32 v[44:45], v[52:53], v[44:45] op_sel_hi:[0,1]
	v_add3_u32 v42, v42, v50, s8
	v_add3_u32 v43, v43, v47, s8
	v_perm_b32 v42, v43, v42, s44
	v_bfe_u32 v43, v45, 16, 1
	v_bfe_u32 v47, v44, 16, 1
	v_add3_u32 v44, v44, v47, s8
	v_add3_u32 v43, v45, v43, s8
	v_perm_b32 v43, v43, v44, s44
	v_pk_mul_f32 v[38:39], v[52:53], v[38:39] op_sel_hi:[0,1]
	ds_write2st64_b64 v55, v[62:63], v[42:43] offset1:1
	v_bfe_u32 v42, v39, 16, 1
	v_bfe_u32 v43, v38, 16, 1
	v_pk_mul_f32 v[40:41], v[52:53], v[40:41] op_sel_hi:[0,1]
	v_add3_u32 v38, v38, v43, s8
	v_add3_u32 v39, v39, v42, s8
	v_perm_b32 v38, v39, v38, s44
	v_bfe_u32 v39, v41, 16, 1
	v_bfe_u32 v42, v40, 16, 1
	v_add3_u32 v40, v40, v42, s8
	v_add3_u32 v39, v41, v39, s8
	v_pk_mul_f32 v[36:37], v[52:53], v[36:37] op_sel_hi:[0,1]
	v_perm_b32 v39, v39, v40, s44
	v_bfe_u32 v40, v37, 16, 1
	v_bfe_u32 v41, v36, 16, 1
	v_pk_mul_f32 v[34:35], v[52:53], v[34:35] op_sel_hi:[0,1]
	v_add3_u32 v36, v36, v41, s8
	v_add3_u32 v37, v37, v40, s8
	v_perm_b32 v36, v37, v36, s44
	v_bfe_u32 v37, v35, 16, 1
	v_bfe_u32 v40, v34, 16, 1
	v_add3_u32 v34, v34, v40, s8
	v_add3_u32 v35, v35, v37, s8
	v_perm_b32 v37, v35, v34, s44
	v_cmp_gt_u32_e32 vcc, 4, v0
	ds_write2st64_b64 v55, v[38:39], v[36:37] offset0:2 offset1:3
	s_and_saveexec_b64 s[4:5], vcc
	s_cbranch_execz .LBB1387_17
; %bb.16:
	v_or_b32_e32 v34, s13, v0
	v_mov_b32_e32 v35, 0
	v_mov_b32_e32 v36, s7
	v_mad_u64_u32 v[36:37], s[10:11], s2, v36, v[34:35]
	v_mov_b32_e32 v34, s12
	s_load_dwordx4 s[16:19], s[0:1], 0x58
	s_mul_i32 s3, s3, s7
	v_mad_u64_u32 v[34:35], s[10:11], v36, s6, v[34:35]
	v_add_u32_e32 v37, s3, v37
	v_mov_b32_e32 v36, v35
	v_mad_u64_u32 v[36:37], s[10:11], v37, s6, v[36:37]
	v_mov_b32_e32 v35, v36
	v_lshlrev_b64 v[34:35], 2, v[34:35]
	s_waitcnt lgkmcnt(0)
	v_lshl_add_u64 v[36:37], s[18:19], 0, v[34:35]
	v_lshl_add_u64 v[34:35], s[16:17], 0, v[34:35]
	global_store_dword v[36:37], v48, off
	global_store_dword v[34:35], v49, off
.LBB1387_17:
	s_or_b64 exec, exec, s[4:5]
	s_waitcnt vmcnt(7)
	v_cvt_pk_f32_fp8_e32 v[34:35], v6
	v_cvt_pk_f32_fp8_sdwa v[36:37], v6 src0_sel:WORD_1
	v_lshl_or_b32 v50, v59, 9, v46
	s_mov_b32 s5, 0x7060302
	s_waitcnt lgkmcnt(0)
	s_barrier
	v_cvt_pk_f32_fp8_e32 v[38:39], v7
	v_perm_b32 v6, v35, v34, s5
	v_cvt_pk_f32_fp8_sdwa v[40:41], v7 src0_sel:WORD_1
	v_perm_b32 v7, v37, v36, s5
	ds_read_b128 v[34:37], v50
	v_perm_b32 v46, v39, v38, s5
	v_perm_b32 v47, v41, v40, s5
	ds_read_b128 v[38:41], v50 offset:16
	v_cvt_pk_f32_fp8_e32 v[48:49], v8
	v_cvt_pk_f32_fp8_sdwa v[52:53], v8 src0_sel:WORD_1
	s_waitcnt lgkmcnt(1)
	v_mfma_f32_16x16x16_bf16 v[42:45], v[6:7], v[34:35], 0
	s_waitcnt vmcnt(6)
	v_cvt_pk_f32_fp8_e32 v[60:61], v4
	v_perm_b32 v6, v49, v48, s5
	v_perm_b32 v7, v53, v52, s5
	v_cvt_pk_f32_fp8_e32 v[48:49], v9
	v_mfma_f32_16x16x16_bf16 v[42:45], v[46:47], v[36:37], v[42:45]
	v_cvt_pk_f32_fp8_sdwa v[46:47], v9 src0_sel:WORD_1
	v_cvt_pk_f32_fp8_sdwa v[62:63], v4 src0_sel:WORD_1
	v_perm_b32 v48, v49, v48, s5
	s_waitcnt lgkmcnt(0)
	v_mfma_f32_16x16x16_bf16 v[6:9], v[6:7], v[38:39], v[42:45]
	v_perm_b32 v49, v47, v46, s5
	s_waitcnt vmcnt(5)
	v_cvt_pk_f32_fp8_e32 v[64:65], v28
	v_cvt_pk_f32_fp8_sdwa v[66:67], v28 src0_sel:WORD_1
	v_cvt_pk_f32_fp8_e32 v[42:43], v2
	v_mfma_f32_16x16x16_bf16 v[46:49], v[48:49], v[40:41], v[6:9]
	s_waitcnt vmcnt(4)
	v_cvt_pk_f32_fp8_sdwa v[68:69], v24 src0_sel:WORD_1
	s_load_dword s4, s[42:43], 0x0
	v_cvt_pk_f32_fp8_sdwa v[6:7], v2 src0_sel:WORD_1
	v_cvt_pk_f32_fp8_e32 v[8:9], v3
	v_perm_b32 v2, v43, v42, s5
	v_cvt_pk_f32_fp8_sdwa v[42:43], v3 src0_sel:WORD_1
	v_perm_b32 v3, v7, v6, s5
	v_perm_b32 v52, v9, v8, s5
	ds_read_b128 v[6:9], v50 offset:2048
	v_perm_b32 v53, v43, v42, s5
	ds_read_b128 v[42:45], v50 offset:2064
	s_waitcnt lgkmcnt(0)
	v_mfma_f32_16x16x16_bf16 v[46:49], v[2:3], v[6:7], v[46:49]
	v_perm_b32 v2, v61, v60, s5
	v_perm_b32 v3, v63, v62, s5
	v_cvt_pk_f32_fp8_e32 v[60:61], v5
	v_mfma_f32_16x16x16_bf16 v[46:49], v[52:53], v[8:9], v[46:49]
	v_cvt_pk_f32_fp8_sdwa v[52:53], v5 src0_sel:WORD_1
	s_waitcnt vmcnt(3)
	v_cvt_pk_f32_fp8_sdwa v[70:71], v32 src0_sel:WORD_1
	v_perm_b32 v60, v61, v60, s5
	v_mfma_f32_16x16x16_bf16 v[2:5], v[2:3], v[42:43], v[46:49]
	v_perm_b32 v61, v53, v52, s5
	s_mov_b32 s3, 0
	s_nop 0
	v_cvt_pk_f32_fp8_e32 v[46:47], v26
	v_mfma_f32_16x16x16_bf16 v[60:63], v[60:61], v[44:45], v[2:5]
	s_nop 2
	v_cvt_pk_f32_fp8_sdwa v[2:3], v26 src0_sel:WORD_1
	v_cvt_pk_f32_fp8_e32 v[4:5], v27
	v_perm_b32 v26, v47, v46, s5
	v_cvt_pk_f32_fp8_sdwa v[46:47], v27 src0_sel:WORD_1
	v_perm_b32 v27, v3, v2, s5
	v_perm_b32 v52, v5, v4, s5
	ds_read_b128 v[2:5], v50 offset:4096
	v_perm_b32 v53, v47, v46, s5
	ds_read_b128 v[46:49], v50 offset:4112
	s_waitcnt lgkmcnt(1)
	v_mfma_f32_16x16x16_bf16 v[60:63], v[26:27], v[2:3], v[60:63]
	v_perm_b32 v26, v65, v64, s5
	v_perm_b32 v27, v67, v66, s5
	v_cvt_pk_f32_fp8_e32 v[64:65], v29
	v_mfma_f32_16x16x16_bf16 v[60:63], v[52:53], v[4:5], v[60:63]
	v_cvt_pk_f32_fp8_sdwa v[52:53], v29 src0_sel:WORD_1
	v_cvt_pk_f32_fp8_e32 v[66:67], v24
	v_perm_b32 v64, v65, v64, s5
	s_waitcnt lgkmcnt(0)
	v_mfma_f32_16x16x16_bf16 v[26:29], v[26:27], v[46:47], v[60:63]
	v_perm_b32 v65, v53, v52, s5
	v_cvt_pk_f32_fp8_e32 v[52:53], v22
	s_nop 0
	v_mfma_f32_16x16x16_bf16 v[60:63], v[64:65], v[48:49], v[26:29]
	s_nop 2
	v_cvt_pk_f32_fp8_sdwa v[26:27], v22 src0_sel:WORD_1
	v_cvt_pk_f32_fp8_e32 v[28:29], v23
	v_perm_b32 v22, v53, v52, s5
	v_cvt_pk_f32_fp8_sdwa v[52:53], v23 src0_sel:WORD_1
	v_perm_b32 v23, v27, v26, s5
	v_perm_b32 v64, v29, v28, s5
	ds_read_b128 v[26:29], v50 offset:6144
	v_perm_b32 v65, v53, v52, s5
	s_waitcnt lgkmcnt(0)
	v_mfma_f32_16x16x16_bf16 v[60:63], v[22:23], v[26:27], v[60:63]
	ds_read_b128 v[50:53], v50 offset:6160
	v_perm_b32 v22, v67, v66, s5
	v_perm_b32 v23, v69, v68, s5
	v_cvt_pk_f32_fp8_e32 v[66:67], v25
	v_mfma_f32_16x16x16_bf16 v[60:63], v[64:65], v[28:29], v[60:63]
	v_cvt_pk_f32_fp8_sdwa v[64:65], v25 src0_sel:WORD_1
	v_cvt_pk_f32_fp8_e32 v[68:69], v32
	v_perm_b32 v66, v67, v66, s5
	s_waitcnt lgkmcnt(0)
	v_mfma_f32_16x16x16_bf16 v[22:25], v[22:23], v[50:51], v[60:63]
	v_perm_b32 v67, v65, v64, s5
	s_barrier
	s_nop 0
	v_mfma_f32_16x16x16_bf16 v[60:63], v[66:67], v[52:53], v[22:25]
	s_nop 2
	v_cvt_pk_f32_fp8_e32 v[24:25], v30
	v_perm_b32 v24, v25, v24, s5
	s_nop 1
	v_pk_mul_f32 v[22:23], v[62:63], s[4:5] op_sel_hi:[1,0]
	v_cvt_pk_f32_fp8_sdwa v[62:63], v30 src0_sel:WORD_1
	v_pk_mul_f32 v[64:65], v[60:61], s[4:5] op_sel_hi:[1,0]
	v_cvt_pk_f32_fp8_e32 v[60:61], v31
	v_cvt_pk_f32_fp8_sdwa v[30:31], v31 src0_sel:WORD_1
	v_perm_b32 v25, v63, v62, s5
	v_bfe_u32 v59, v65, 16, 1
	v_perm_b32 v66, v61, v60, s5
	v_perm_b32 v67, v31, v30, s5
	v_mfma_f32_16x16x16_bf16 v[60:63], v[24:25], v[34:35], 0
	v_perm_b32 v24, v69, v68, s5
	v_perm_b32 v25, v71, v70, s5
	v_cvt_pk_f32_fp8_e32 v[34:35], v33
	v_cvt_pk_f32_fp8_sdwa v[68:69], v33 src0_sel:WORD_1
	v_mfma_f32_16x16x16_bf16 v[30:33], v[66:67], v[36:37], v[60:63]
	s_waitcnt vmcnt(2)
	v_cvt_pk_f32_fp8_sdwa v[36:37], v18 src0_sel:WORD_1
	v_perm_b32 v34, v35, v34, s5
	v_perm_b32 v35, v69, v68, s5
	v_mfma_f32_16x16x16_bf16 v[30:33], v[24:25], v[38:39], v[30:33]
	v_cvt_pk_f32_fp8_e32 v[24:25], v18
	v_cvt_pk_f32_fp8_sdwa v[38:39], v20 src0_sel:WORD_1
	v_bfe_u32 v60, v64, 16, 1
	v_mfma_f32_16x16x16_bf16 v[30:33], v[34:35], v[40:41], v[30:33]
	v_cvt_pk_f32_fp8_e32 v[34:35], v19
	v_perm_b32 v24, v25, v24, s5
	v_perm_b32 v25, v37, v36, s5
	v_cvt_pk_f32_fp8_sdwa v[18:19], v19 src0_sel:WORD_1
	v_perm_b32 v34, v35, v34, s5
	v_cvt_pk_f32_fp8_e32 v[36:37], v20
	v_mfma_f32_16x16x16_bf16 v[30:33], v[24:25], v[6:7], v[30:33]
	v_perm_b32 v35, v19, v18, s5
	v_perm_b32 v18, v37, v36, s5
	;; [unrolled: 1-line block ×3, first 2 shown]
	v_cvt_pk_f32_fp8_e32 v[24:25], v21
	v_cvt_pk_f32_fp8_sdwa v[20:21], v21 src0_sel:WORD_1
	v_mfma_f32_16x16x16_bf16 v[6:9], v[34:35], v[8:9], v[30:33]
	v_perm_b32 v24, v25, v24, s5
	v_perm_b32 v25, v21, v20, s5
	v_mfma_f32_16x16x16_bf16 v[6:9], v[18:19], v[42:43], v[6:9]
	s_waitcnt vmcnt(1)
	v_cvt_pk_f32_fp8_e32 v[18:19], v14
	v_cvt_pk_f32_fp8_sdwa v[20:21], v14 src0_sel:WORD_1
	v_cvt_pk_f32_fp8_sdwa v[30:31], v16 src0_sel:WORD_1
	v_mfma_f32_16x16x16_bf16 v[6:9], v[24:25], v[44:45], v[6:9]
	v_cvt_pk_f32_fp8_e32 v[24:25], v15
	v_perm_b32 v18, v19, v18, s5
	v_perm_b32 v19, v21, v20, s5
	v_cvt_pk_f32_fp8_sdwa v[14:15], v15 src0_sel:WORD_1
	v_perm_b32 v20, v25, v24, s5
	v_cvt_pk_f32_fp8_e32 v[24:25], v16
	v_mfma_f32_16x16x16_bf16 v[6:9], v[18:19], v[2:3], v[6:9]
	v_perm_b32 v21, v15, v14, s5
	v_perm_b32 v14, v25, v24, s5
	;; [unrolled: 1-line block ×3, first 2 shown]
	v_cvt_pk_f32_fp8_e32 v[18:19], v17
	v_cvt_pk_f32_fp8_sdwa v[16:17], v17 src0_sel:WORD_1
	v_mfma_f32_16x16x16_bf16 v[2:5], v[20:21], v[4:5], v[6:9]
	v_add3_u32 v32, v64, v60, s8
	v_add3_u32 v33, v65, v59, s8
	s_nop 0
	v_perm_b32 v8, v19, v18, s5
	v_perm_b32 v9, v17, v16, s5
	v_mfma_f32_16x16x16_bf16 v[2:5], v[14:15], v[46:47], v[2:5]
	s_waitcnt vmcnt(0)
	v_cvt_pk_f32_fp8_e32 v[14:15], v10
	v_cvt_pk_f32_fp8_sdwa v[16:17], v10 src0_sel:WORD_1
	v_cvt_pk_f32_fp8_sdwa v[18:19], v12 src0_sel:WORD_1
	v_mfma_f32_16x16x16_bf16 v[2:5], v[8:9], v[48:49], v[2:5]
	v_cvt_pk_f32_fp8_e32 v[8:9], v11
	v_perm_b32 v14, v15, v14, s5
	v_perm_b32 v15, v17, v16, s5
	v_cvt_pk_f32_fp8_sdwa v[10:11], v11 src0_sel:WORD_1
	v_perm_b32 v8, v9, v8, s5
	v_cvt_pk_f32_fp8_e32 v[16:17], v12
	v_mfma_f32_16x16x16_bf16 v[2:5], v[14:15], v[26:27], v[2:5]
	v_perm_b32 v9, v11, v10, s5
	v_perm_b32 v10, v17, v16, s5
	;; [unrolled: 1-line block ×3, first 2 shown]
	v_cvt_pk_f32_fp8_e32 v[14:15], v13
	v_cvt_pk_f32_fp8_sdwa v[12:13], v13 src0_sel:WORD_1
	v_mfma_f32_16x16x16_bf16 v[2:5], v[8:9], v[28:29], v[2:5]
	v_bfe_u32 v7, v23, 16, 1
	v_perm_b32 v8, v15, v14, s5
	v_perm_b32 v9, v13, v12, s5
	v_mfma_f32_16x16x16_bf16 v[2:5], v[10:11], v[50:51], v[2:5]
	v_bfe_u32 v16, v22, 16, 1
	v_add3_u32 v10, v22, v16, s8
	v_add3_u32 v7, v23, v7, s8
	v_mfma_f32_16x16x16_bf16 v[2:5], v[8:9], v[52:53], v[2:5]
	v_perm_b32 v6, v33, v32, s5
	v_perm_b32 v7, v7, v10, s5
	s_nop 4
	v_pk_mul_f32 v[2:3], v[2:3], s[4:5] op_sel_hi:[1,0]
	v_pk_mul_f32 v[4:5], v[4:5], s[4:5] op_sel_hi:[1,0]
	v_bfe_u32 v8, v3, 16, 1
	v_bfe_u32 v9, v2, 16, 1
	v_add3_u32 v2, v2, v9, s8
	v_add3_u32 v3, v3, v8, s8
	v_perm_b32 v2, v3, v2, s5
	v_bfe_u32 v3, v5, 16, 1
	v_bfe_u32 v8, v4, 16, 1
	v_add3_u32 v4, v4, v8, s8
	v_add3_u32 v3, v5, v3, s8
	v_perm_b32 v3, v3, v4, s5
	ds_write2st64_b64 v55, v[6:7], v[2:3] offset1:1
	s_waitcnt lgkmcnt(0)
	s_barrier
	s_and_saveexec_b64 s[4:5], s[14:15]
	s_cbranch_execz .LBB1387_19
; %bb.18:
	s_load_dwordx2 s[0:1], s[0:1], 0x68
	s_lshl_b32 s6, s6, 7
	s_mul_i32 s2, s7, s2
	v_lshlrev_b32_e32 v3, 6, v56
	s_mul_hi_u32 s5, s2, s6
	s_mul_i32 s4, s2, s6
	v_lshl_or_b32 v0, v0, 10, v3
	s_lshl_b64 s[4:5], s[4:5], 1
	v_and_b32_e32 v2, 16, v58
	v_and_b32_e32 v0, 0x1a00, v0
	s_waitcnt lgkmcnt(0)
	s_add_u32 s4, s0, s4
	v_or3_b32 v0, v0, v57, v2
	s_addc_u32 s5, s1, s5
	s_lshl_b32 s2, s12, 7
	ds_read_b128 v[2:5], v0
	s_lshl_b64 s[0:1], s[2:3], 1
	s_add_u32 s0, s4, s0
	s_addc_u32 s1, s5, s1
	v_mad_u64_u32 v[0:1], s[2:3], s6, v1, 0
	v_lshl_add_u64 v[0:1], v[0:1], 1, s[0:1]
	v_mov_b32_e32 v55, 0
	v_lshl_add_u64 v[0:1], v[0:1], 0, v[54:55]
	s_waitcnt lgkmcnt(0)
	global_store_dwordx4 v[0:1], v[2:5], off
.LBB1387_19:
	s_endpgm
	.section	.rodata,"a",@progbits
	.p2align	6, 0x0
	.amdhsa_kernel _Z39paged_attention_ll4mi_QKV_mfma16_kernelI14__hip_bfloat16hLN4vllm18Fp8KVCacheDataTypeE1ES0_Li32ELi128ELi256ELb1ELi4EEvPKT_PKT0_S8_ifPKiSA_SA_iPKfiiiPfSD_PS3_PT2_iSC_SC_
		.amdhsa_group_segment_fixed_size 8192
		.amdhsa_private_segment_fixed_size 0
		.amdhsa_kernarg_size 400
		.amdhsa_user_sgpr_count 2
		.amdhsa_user_sgpr_dispatch_ptr 0
		.amdhsa_user_sgpr_queue_ptr 0
		.amdhsa_user_sgpr_kernarg_segment_ptr 1
		.amdhsa_user_sgpr_dispatch_id 0
		.amdhsa_user_sgpr_kernarg_preload_length 0
		.amdhsa_user_sgpr_kernarg_preload_offset 0
		.amdhsa_user_sgpr_private_segment_size 0
		.amdhsa_uses_dynamic_stack 0
		.amdhsa_enable_private_segment 0
		.amdhsa_system_sgpr_workgroup_id_x 1
		.amdhsa_system_sgpr_workgroup_id_y 1
		.amdhsa_system_sgpr_workgroup_id_z 1
		.amdhsa_system_sgpr_workgroup_info 0
		.amdhsa_system_vgpr_workitem_id 0
		.amdhsa_next_free_vgpr 80
		.amdhsa_next_free_sgpr 48
		.amdhsa_accum_offset 80
		.amdhsa_reserve_vcc 1
		.amdhsa_float_round_mode_32 0
		.amdhsa_float_round_mode_16_64 0
		.amdhsa_float_denorm_mode_32 3
		.amdhsa_float_denorm_mode_16_64 3
		.amdhsa_dx10_clamp 1
		.amdhsa_ieee_mode 1
		.amdhsa_fp16_overflow 0
		.amdhsa_tg_split 0
		.amdhsa_exception_fp_ieee_invalid_op 0
		.amdhsa_exception_fp_denorm_src 0
		.amdhsa_exception_fp_ieee_div_zero 0
		.amdhsa_exception_fp_ieee_overflow 0
		.amdhsa_exception_fp_ieee_underflow 0
		.amdhsa_exception_fp_ieee_inexact 0
		.amdhsa_exception_int_div_zero 0
	.end_amdhsa_kernel
	.section	.text._Z39paged_attention_ll4mi_QKV_mfma16_kernelI14__hip_bfloat16hLN4vllm18Fp8KVCacheDataTypeE1ES0_Li32ELi128ELi256ELb1ELi4EEvPKT_PKT0_S8_ifPKiSA_SA_iPKfiiiPfSD_PS3_PT2_iSC_SC_,"axG",@progbits,_Z39paged_attention_ll4mi_QKV_mfma16_kernelI14__hip_bfloat16hLN4vllm18Fp8KVCacheDataTypeE1ES0_Li32ELi128ELi256ELb1ELi4EEvPKT_PKT0_S8_ifPKiSA_SA_iPKfiiiPfSD_PS3_PT2_iSC_SC_,comdat
.Lfunc_end1387:
	.size	_Z39paged_attention_ll4mi_QKV_mfma16_kernelI14__hip_bfloat16hLN4vllm18Fp8KVCacheDataTypeE1ES0_Li32ELi128ELi256ELb1ELi4EEvPKT_PKT0_S8_ifPKiSA_SA_iPKfiiiPfSD_PS3_PT2_iSC_SC_, .Lfunc_end1387-_Z39paged_attention_ll4mi_QKV_mfma16_kernelI14__hip_bfloat16hLN4vllm18Fp8KVCacheDataTypeE1ES0_Li32ELi128ELi256ELb1ELi4EEvPKT_PKT0_S8_ifPKiSA_SA_iPKfiiiPfSD_PS3_PT2_iSC_SC_
                                        ; -- End function
	.section	.AMDGPU.csdata,"",@progbits
; Kernel info:
; codeLenInByte = 6576
; NumSgprs: 54
; NumVgprs: 80
; NumAgprs: 0
; TotalNumVgprs: 80
; ScratchSize: 0
; MemoryBound: 0
; FloatMode: 240
; IeeeMode: 1
; LDSByteSize: 8192 bytes/workgroup (compile time only)
; SGPRBlocks: 6
; VGPRBlocks: 9
; NumSGPRsForWavesPerEU: 54
; NumVGPRsForWavesPerEU: 80
; AccumOffset: 80
; Occupancy: 6
; WaveLimiterHint : 1
; COMPUTE_PGM_RSRC2:SCRATCH_EN: 0
; COMPUTE_PGM_RSRC2:USER_SGPR: 2
; COMPUTE_PGM_RSRC2:TRAP_HANDLER: 0
; COMPUTE_PGM_RSRC2:TGID_X_EN: 1
; COMPUTE_PGM_RSRC2:TGID_Y_EN: 1
; COMPUTE_PGM_RSRC2:TGID_Z_EN: 1
; COMPUTE_PGM_RSRC2:TIDIG_COMP_CNT: 0
; COMPUTE_PGM_RSRC3_GFX90A:ACCUM_OFFSET: 19
; COMPUTE_PGM_RSRC3_GFX90A:TG_SPLIT: 0
	.section	.text._Z38paged_attention_ll4mi_QKV_mfma4_kernelI14__hip_bfloat16hLN4vllm18Fp8KVCacheDataTypeE1ES0_Li32ELi128ELi256ELb0ELi1EEvPKT_PKT0_S8_ifPKiSA_SA_iPKfiiiPfSD_PS3_PT2_iSC_SC_,"axG",@progbits,_Z38paged_attention_ll4mi_QKV_mfma4_kernelI14__hip_bfloat16hLN4vllm18Fp8KVCacheDataTypeE1ES0_Li32ELi128ELi256ELb0ELi1EEvPKT_PKT0_S8_ifPKiSA_SA_iPKfiiiPfSD_PS3_PT2_iSC_SC_,comdat
	.protected	_Z38paged_attention_ll4mi_QKV_mfma4_kernelI14__hip_bfloat16hLN4vllm18Fp8KVCacheDataTypeE1ES0_Li32ELi128ELi256ELb0ELi1EEvPKT_PKT0_S8_ifPKiSA_SA_iPKfiiiPfSD_PS3_PT2_iSC_SC_ ; -- Begin function _Z38paged_attention_ll4mi_QKV_mfma4_kernelI14__hip_bfloat16hLN4vllm18Fp8KVCacheDataTypeE1ES0_Li32ELi128ELi256ELb0ELi1EEvPKT_PKT0_S8_ifPKiSA_SA_iPKfiiiPfSD_PS3_PT2_iSC_SC_
	.globl	_Z38paged_attention_ll4mi_QKV_mfma4_kernelI14__hip_bfloat16hLN4vllm18Fp8KVCacheDataTypeE1ES0_Li32ELi128ELi256ELb0ELi1EEvPKT_PKT0_S8_ifPKiSA_SA_iPKfiiiPfSD_PS3_PT2_iSC_SC_
	.p2align	8
	.type	_Z38paged_attention_ll4mi_QKV_mfma4_kernelI14__hip_bfloat16hLN4vllm18Fp8KVCacheDataTypeE1ES0_Li32ELi128ELi256ELb0ELi1EEvPKT_PKT0_S8_ifPKiSA_SA_iPKfiiiPfSD_PS3_PT2_iSC_SC_,@function
_Z38paged_attention_ll4mi_QKV_mfma4_kernelI14__hip_bfloat16hLN4vllm18Fp8KVCacheDataTypeE1ES0_Li32ELi128ELi256ELb0ELi1EEvPKT_PKT0_S8_ifPKiSA_SA_iPKfiiiPfSD_PS3_PT2_iSC_SC_: ; @_Z38paged_attention_ll4mi_QKV_mfma4_kernelI14__hip_bfloat16hLN4vllm18Fp8KVCacheDataTypeE1ES0_Li32ELi128ELi256ELb0ELi1EEvPKT_PKT0_S8_ifPKiSA_SA_iPKfiiiPfSD_PS3_PT2_iSC_SC_
; %bb.0:
	s_load_dwordx2 s[20:21], s[0:1], 0x30
	s_mov_b32 s24, s3
	s_mov_b64 s[6:7], 0
	s_waitcnt lgkmcnt(0)
	s_cmp_lg_u64 s[20:21], 0
	s_cselect_b64 s[22:23], -1, 0
	s_and_b64 vcc, exec, s[22:23]
	s_cbranch_vccz .LBB1388_10
; %bb.1:
	s_add_i32 s8, s2, 1
	s_mov_b32 s9, 0
	s_lshl_b64 s[10:11], s[8:9], 2
	s_add_u32 s10, s20, s10
	s_mov_b32 s3, s9
	s_addc_u32 s11, s21, s11
	s_lshl_b64 s[8:9], s[2:3], 2
	s_add_u32 s8, s20, s8
	s_addc_u32 s9, s21, s9
	s_load_dword s5, s[10:11], 0x0
	s_load_dword s12, s[8:9], 0x0
	s_waitcnt lgkmcnt(0)
	s_sub_i32 s5, s5, s12
	s_cmp_eq_u32 s5, 1
	s_cselect_b64 s[8:9], -1, 0
	s_andn2_b64 vcc, exec, s[6:7]
	s_cbranch_vccnz .LBB1388_3
.LBB1388_2:
	s_mov_b32 s3, 0
	s_mov_b64 s[8:9], -1
.LBB1388_3:
	s_andn2_b64 vcc, exec, s[8:9]
	s_cbranch_vccnz .LBB1388_25
; %bb.4:
	s_load_dword s5, s[0:1], 0x9c
	s_load_dwordx2 s[6:7], s[0:1], 0x28
	s_add_u32 s28, s0, 0x90
	s_addc_u32 s29, s1, 0
	s_lshl_b64 s[34:35], s[2:3], 2
	s_waitcnt lgkmcnt(0)
	s_and_b32 s5, s5, 0xffff
	s_add_u32 s6, s6, s34
	s_addc_u32 s7, s7, s35
	s_load_dword s3, s[6:7], 0x0
	s_mul_i32 s10, s24, s5
	s_waitcnt lgkmcnt(0)
	s_cmp_ge_i32 s10, s3
	s_cbranch_scc1 .LBB1388_25
; %bb.5:
	v_and_b32_e32 v1, 0xc0, v0
	v_add_u32_e32 v4, s10, v1
	v_lshrrev_b32_e32 v38, 6, v0
	v_cmp_le_i32_e64 s[6:7], s3, v4
                                        ; implicit-def: $sgpr25
                                        ; implicit-def: $sgpr11
	s_and_saveexec_b64 s[8:9], s[6:7]
	s_xor_b64 s[8:9], exec, s[8:9]
	s_cbranch_execz .LBB1388_7
; %bb.6:
	v_mul_u32_u24_e32 v1, 20, v38
	v_or_b32_e32 v1, 0x1400, v1
	v_mov_b32_e32 v2, 0x1450
	v_mov_b32_e32 v3, 0xff7fffff
	v_mad_u32_u24 v2, v38, 20, v2
	ds_write2_b32 v1, v3, v3 offset1:1
	v_mov_b32_e32 v1, 0
	ds_write2_b32 v2, v1, v1 offset1:1
	v_mov_b32_e32 v2, 0x1408
	v_mov_b32_e32 v4, 0x1458
	s_mov_b32 s11, 0xff7fffff
	s_mov_b32 s25, 0
	v_mad_u32_u24 v2, v38, 20, v2
	v_mad_u32_u24 v4, v38, 20, v4
	ds_write2_b32 v2, v3, v3 offset1:1
	ds_write2_b32 v4, v1, v1 offset1:1
                                        ; implicit-def: $vgpr4
.LBB1388_7:
	s_or_saveexec_b64 s[30:31], s[8:9]
	s_load_dwordx2 s[26:27], s[0:1], 0x68
	s_load_dwordx4 s[16:19], s[0:1], 0x58
	s_load_dword s5, s[28:29], 0x4
	s_load_dwordx4 s[12:15], s[0:1], 0x80
	v_and_b32_e32 v1, 63, v0
	v_and_b32_e32 v39, 3, v0
	v_mov_b32_e32 v37, s25
	v_mov_b32_e32 v41, s11
	v_mov_b32_e32 v36, s25
	v_mov_b32_e32 v35, s25
	v_mov_b32_e32 v34, s25
                                        ; implicit-def: $vgpr30_vgpr31
                                        ; implicit-def: $vgpr18_vgpr19
                                        ; implicit-def: $vgpr26_vgpr27
                                        ; implicit-def: $vgpr14_vgpr15
                                        ; implicit-def: $vgpr6_vgpr7
                                        ; implicit-def: $vgpr2_vgpr3
                                        ; implicit-def: $vgpr22_vgpr23
                                        ; implicit-def: $vgpr10_vgpr11
	s_xor_b64 exec, exec, s[30:31]
	s_cbranch_execz .LBB1388_17
; %bb.8:
	s_load_dwordx2 s[8:9], s[0:1], 0x20
	s_load_dword s11, s[0:1], 0x38
	s_add_i32 s25, s3, 31
	s_ashr_i32 s33, s25, 31
	s_lshr_b32 s33, s33, 27
	v_add_u32_e32 v36, s10, v0
	s_add_i32 s25, s25, s33
	v_ashrrev_i32_e32 v2, 31, v36
	s_ashr_i32 s25, s25, 5
	v_lshrrev_b32_e32 v2, 27, v2
	s_add_i32 s25, s25, -1
	s_waitcnt lgkmcnt(0)
	s_mul_i32 s36, s2, s11
	s_mov_b32 s37, 0
	v_add_u32_e32 v2, v36, v2
	s_lshl_b64 s[36:37], s[36:37], 2
	v_ashrrev_i32_e32 v2, 5, v2
	v_mov_b32_e32 v3, s25
	v_cmp_gt_i32_e32 vcc, s3, v36
	s_add_u32 s8, s8, s36
	s_addc_u32 s9, s9, s37
	v_cndmask_b32_e32 v2, v3, v2, vcc
	v_ashrrev_i32_e32 v3, 31, v2
	v_lshl_add_u64 v[6:7], v[2:3], 2, s[8:9]
	v_ashrrev_i32_e32 v2, 31, v4
	v_lshrrev_b32_e32 v2, 27, v2
	v_add_u32_e32 v2, v4, v2
	v_ashrrev_i32_e32 v8, 5, v2
	v_min_i32_e32 v2, s25, v8
	v_ashrrev_i32_e32 v3, 31, v2
	v_lshl_add_u64 v[4:5], v[2:3], 2, s[8:9]
	v_add_u32_e32 v2, 1, v8
	v_min_i32_e32 v2, s25, v2
	v_ashrrev_i32_e32 v3, 31, v2
	v_lshl_add_u64 v[8:9], v[2:3], 2, s[8:9]
	global_load_dword v2, v[6:7], off
	global_load_dword v26, v[4:5], off
	global_load_dword v27, v[8:9], off
	s_load_dwordx4 s[8:11], s[0:1], 0x8
	s_andn2_b64 vcc, exec, s[22:23]
	s_cbranch_vccnz .LBB1388_11
; %bb.9:
	s_add_u32 s20, s20, s34
	s_addc_u32 s21, s21, s35
	s_load_dword s25, s[20:21], 0x0
	s_branch .LBB1388_12
.LBB1388_10:
	s_mov_b64 s[8:9], 0
	s_branch .LBB1388_2
.LBB1388_11:
	s_mov_b32 s25, s2
.LBB1388_12:
	s_load_dwordx4 s[20:23], s[0:1], 0x48
	v_cmp_eq_u32_e32 vcc, 0, v39
	s_mov_b32 s37, 0
	v_mov_b32_e32 v37, 0
	v_mov_b32_e32 v23, 0
	;; [unrolled: 1-line block ×6, first 2 shown]
	s_and_saveexec_b64 s[34:35], vcc
	s_cbranch_execz .LBB1388_14
; %bb.13:
	s_load_dwordx2 s[38:39], s[0:1], 0x0
	s_waitcnt lgkmcnt(0)
	s_ashr_i32 s23, s20, 31
	s_mul_hi_u32 s33, s25, s20
	s_mul_i32 s23, s25, s23
	s_add_i32 s41, s33, s23
	s_mul_i32 s40, s25, s20
	s_lshl_b64 s[40:41], s[40:41], 1
	s_add_u32 s20, s38, s40
	s_addc_u32 s23, s39, s41
	s_lshl_b32 s36, s4, 7
	s_lshl_b64 s[36:37], s[36:37], 1
	s_add_u32 s36, s20, s36
	s_addc_u32 s37, s23, s37
	v_lshlrev_b32_e32 v3, 2, v1
	global_load_dwordx4 v[10:13], v3, s[36:37]
	v_mov_b32_e32 v37, 1.0
.LBB1388_14:
	s_or_b64 exec, exec, s[34:35]
	s_waitcnt lgkmcnt(0)
	s_mul_i32 s20, s4, s22
	s_add_u32 s8, s20, s8
	s_addc_u32 s9, 0, s9
	v_mov_b64_e32 v[4:5], s[8:9]
	s_waitcnt vmcnt(2)
	v_mad_i64_i32 v[2:3], s[8:9], v2, s21, v[4:5]
	v_lshlrev_b32_e32 v4, 4, v0
	v_and_b32_e32 v22, 0x1f0, v4
	v_lshl_add_u64 v[24:25], v[2:3], 0, v[22:23]
	global_load_dwordx4 v[18:21], v[24:25], off
	global_load_dwordx4 v[14:17], v[24:25], off offset:512
	global_load_dwordx4 v[6:9], v[24:25], off offset:1024
	;; [unrolled: 1-line block ×7, first 2 shown]
	s_waitcnt vmcnt(9)
	v_mul_hi_i32 v22, v26, s21
	s_waitcnt vmcnt(8)
	v_mul_hi_i32 v28, v27, s21
	v_ashrrev_i32_e32 v22, 31, v22
	v_ashrrev_i32_e32 v28, 31, v28
	v_mov_b32_e32 v29, v23
	v_lshrrev_b32_e32 v28, 29, v28
	v_lshrrev_b32_e32 v22, 29, v22
	s_add_u32 s10, s10, s20
	v_mad_i64_i32 v[28:29], s[22:23], v27, s21, v[28:29]
	v_mad_i64_i32 v[26:27], s[20:21], v26, s21, v[22:23]
	s_addc_u32 s11, s11, 0
	v_and_b32_e32 v28, -8, v28
	v_and_b32_e32 v26, -8, v26
	v_lshl_add_u64 v[28:29], s[10:11], 0, v[28:29]
	v_lshlrev_b32_e32 v22, 5, v1
	v_lshl_add_u64 v[26:27], s[10:11], 0, v[26:27]
	v_lshl_add_u64 v[34:35], v[28:29], 0, v[22:23]
	v_lshl_add_u64 v[22:23], v[26:27], 0, v[22:23]
	s_mov_b32 s8, 0x7060302
	s_load_dword s0, s[0:1], 0x1c
	v_cmp_eq_u32_e32 vcc, 1, v39
	s_waitcnt vmcnt(7)
	v_cvt_pk_f32_fp8_e32 v[26:27], v18
	v_cvt_pk_f32_fp8_sdwa v[28:29], v18 src0_sel:WORD_1
	v_cvt_pk_f32_fp8_e32 v[30:31], v19
	v_cvt_pk_f32_fp8_sdwa v[18:19], v19 src0_sel:WORD_1
	;; [unrolled: 2-line block ×3, first 2 shown]
	s_waitcnt vmcnt(4)
	v_cvt_pk_f32_fp8_e32 v[88:89], v2
	v_cvt_pk_f32_fp8_sdwa v[90:91], v2 src0_sel:WORD_1
	v_cvt_pk_f32_fp8_e32 v[92:93], v3
	v_cvt_pk_f32_fp8_sdwa v[94:95], v3 src0_sel:WORD_1
	v_perm_b32 v2, v27, v26, s8
	v_perm_b32 v3, v29, v28, s8
	v_cvt_pk_f32_fp8_e32 v[58:59], v21
	v_cvt_pk_f32_fp8_sdwa v[20:21], v21 src0_sel:WORD_1
	v_mfma_f32_4x4x4_16b_bf16 a[0:3], v[10:11], v[2:3], 0 cbsz:4
	v_perm_b32 v24, v31, v30, s8
	v_perm_b32 v25, v19, v18, s8
	v_cvt_pk_f32_fp8_e32 v[60:61], v14
	v_cvt_pk_f32_fp8_sdwa v[62:63], v14 src0_sel:WORD_1
	v_mfma_f32_4x4x4_16b_bf16 a[0:3], v[12:13], v[24:25], a[0:3] cbsz:4
	v_perm_b32 v26, v33, v32, s8
	v_perm_b32 v27, v57, v56, s8
	v_cvt_pk_f32_fp8_e32 v[64:65], v15
	v_cvt_pk_f32_fp8_sdwa v[14:15], v15 src0_sel:WORD_1
	v_mfma_f32_4x4x4_16b_bf16 a[0:3], v[10:11], v[26:27], a[0:3] cbsz:4 abid:1
	v_perm_b32 v28, v59, v58, s8
	v_perm_b32 v29, v21, v20, s8
	v_cvt_pk_f32_fp8_e32 v[66:67], v16
	v_cvt_pk_f32_fp8_sdwa v[68:69], v16 src0_sel:WORD_1
	v_mfma_f32_4x4x4_16b_bf16 a[0:3], v[12:13], v[28:29], a[0:3] cbsz:4 abid:1
	;; [unrolled: 5-line block ×5, first 2 shown]
	v_cvt_pk_f32_fp8_e32 v[80:81], v8
	v_cvt_pk_f32_fp8_sdwa v[82:83], v8 src0_sel:WORD_1
	v_cvt_pk_f32_fp8_e32 v[84:85], v9
	v_cvt_pk_f32_fp8_sdwa v[86:87], v9 src0_sel:WORD_1
	;; [unrolled: 2-line block ×4, first 2 shown]
	global_load_dwordx4 v[18:21], v[22:23], off offset:16
	global_load_dwordx4 v[30:33], v[22:23], off
	global_load_dwordx4 v[2:5], v[22:23], off offset:2064
	global_load_dwordx4 v[6:9], v[22:23], off offset:2048
	v_perm_b32 v22, v71, v70, s8
	v_perm_b32 v23, v17, v16, s8
	;; [unrolled: 1-line block ×4, first 2 shown]
	v_mfma_f32_4x4x4_16b_bf16 a[0:3], v[12:13], v[22:23], a[0:3] cbsz:4 abid:3
	v_perm_b32 v24, v77, v76, s8
	v_perm_b32 v25, v79, v78, s8
	v_mfma_f32_4x4x4_16b_bf16 a[0:3], v[10:11], v[16:17], a[0:3] cbsz:4 abid:4
	v_perm_b32 v26, v81, v80, s8
	v_perm_b32 v27, v83, v82, s8
	;; [unrolled: 3-line block ×7, first 2 shown]
	v_mfma_f32_4x4x4_16b_bf16 a[0:3], v[10:11], v[22:23], a[0:3] cbsz:4 abid:7
	s_waitcnt vmcnt(7)
	v_cvt_pk_f32_fp8_e32 v[22:23], v40
	v_cvt_pk_f32_fp8_e32 v[56:57], v41
	v_mfma_f32_4x4x4_16b_bf16 a[0:3], v[12:13], v[24:25], a[0:3] cbsz:4 abid:7
	v_cvt_pk_f32_fp8_sdwa v[24:25], v40 src0_sel:WORD_1
	v_cvt_pk_f32_fp8_sdwa v[40:41], v41 src0_sel:WORD_1
	v_perm_b32 v22, v23, v22, s8
	global_load_dwordx4 v[14:17], v[34:35], off offset:16
	global_load_dwordx4 v[26:29], v[34:35], off
	v_perm_b32 v23, v25, v24, s8
	v_perm_b32 v24, v57, v56, s8
	;; [unrolled: 1-line block ×3, first 2 shown]
	v_mfma_f32_4x4x4_16b_bf16 a[0:3], v[10:11], v[22:23], a[0:3] cbsz:4 abid:8
	v_cvt_pk_f32_fp8_e32 v[22:23], v42
	v_cvt_pk_f32_fp8_e32 v[40:41], v43
	v_mfma_f32_4x4x4_16b_bf16 a[0:3], v[12:13], v[24:25], a[0:3] cbsz:4 abid:8
	v_cvt_pk_f32_fp8_sdwa v[24:25], v42 src0_sel:WORD_1
	v_cvt_pk_f32_fp8_sdwa v[42:43], v43 src0_sel:WORD_1
	v_perm_b32 v22, v23, v22, s8
	s_load_dword s1, s[12:13], 0x0
	v_perm_b32 v23, v25, v24, s8
	v_perm_b32 v24, v41, v40, s8
	;; [unrolled: 1-line block ×3, first 2 shown]
	v_mfma_f32_4x4x4_16b_bf16 a[0:3], v[10:11], v[22:23], a[0:3] cbsz:4 abid:9
	s_waitcnt vmcnt(8)
	v_cvt_pk_f32_fp8_e32 v[22:23], v44
	v_cvt_pk_f32_fp8_e32 v[40:41], v45
	v_mfma_f32_4x4x4_16b_bf16 a[0:3], v[12:13], v[24:25], a[0:3] cbsz:4 abid:9
	v_cvt_pk_f32_fp8_sdwa v[24:25], v44 src0_sel:WORD_1
	v_cvt_pk_f32_fp8_sdwa v[42:43], v45 src0_sel:WORD_1
	v_perm_b32 v22, v23, v22, s8
	v_perm_b32 v23, v25, v24, s8
	;; [unrolled: 1-line block ×3, first 2 shown]
	s_nop 0
	v_mfma_f32_4x4x4_16b_bf16 a[0:3], v[10:11], v[22:23], a[0:3] cbsz:4 abid:10
	v_perm_b32 v25, v43, v42, s8
	v_cvt_pk_f32_fp8_e32 v[22:23], v46
	v_cvt_pk_f32_fp8_e32 v[40:41], v47
	v_mfma_f32_4x4x4_16b_bf16 a[0:3], v[12:13], v[24:25], a[0:3] cbsz:4 abid:10
	v_cvt_pk_f32_fp8_sdwa v[24:25], v46 src0_sel:WORD_1
	v_cvt_pk_f32_fp8_sdwa v[42:43], v47 src0_sel:WORD_1
	v_perm_b32 v22, v23, v22, s8
	v_perm_b32 v23, v25, v24, s8
	;; [unrolled: 1-line block ×3, first 2 shown]
	s_nop 0
	v_mfma_f32_4x4x4_16b_bf16 a[0:3], v[10:11], v[22:23], a[0:3] cbsz:4 abid:11
	v_perm_b32 v25, v43, v42, s8
	s_waitcnt vmcnt(7)
	v_cvt_pk_f32_fp8_e32 v[22:23], v48
	v_cvt_pk_f32_fp8_e32 v[40:41], v49
	v_mfma_f32_4x4x4_16b_bf16 a[0:3], v[12:13], v[24:25], a[0:3] cbsz:4 abid:11
	v_cvt_pk_f32_fp8_sdwa v[24:25], v48 src0_sel:WORD_1
	v_cvt_pk_f32_fp8_sdwa v[42:43], v49 src0_sel:WORD_1
	v_perm_b32 v22, v23, v22, s8
	v_perm_b32 v23, v25, v24, s8
	;; [unrolled: 1-line block ×3, first 2 shown]
	s_nop 0
	v_mfma_f32_4x4x4_16b_bf16 a[0:3], v[10:11], v[22:23], a[0:3] cbsz:4 abid:12
	v_perm_b32 v25, v43, v42, s8
	v_cvt_pk_f32_fp8_e32 v[22:23], v50
	v_cvt_pk_f32_fp8_e32 v[40:41], v51
	v_mfma_f32_4x4x4_16b_bf16 a[0:3], v[12:13], v[24:25], a[0:3] cbsz:4 abid:12
	v_cvt_pk_f32_fp8_sdwa v[24:25], v50 src0_sel:WORD_1
	v_cvt_pk_f32_fp8_sdwa v[42:43], v51 src0_sel:WORD_1
	v_perm_b32 v22, v23, v22, s8
	v_perm_b32 v23, v25, v24, s8
	;; [unrolled: 1-line block ×3, first 2 shown]
	s_nop 0
	v_mfma_f32_4x4x4_16b_bf16 a[0:3], v[10:11], v[22:23], a[0:3] cbsz:4 abid:13
	v_perm_b32 v25, v43, v42, s8
	s_waitcnt vmcnt(6)
	v_cvt_pk_f32_fp8_e32 v[22:23], v52
	v_cvt_pk_f32_fp8_e32 v[40:41], v53
	v_mfma_f32_4x4x4_16b_bf16 a[0:3], v[12:13], v[24:25], a[0:3] cbsz:4 abid:13
	v_cvt_pk_f32_fp8_sdwa v[24:25], v52 src0_sel:WORD_1
	v_cvt_pk_f32_fp8_sdwa v[42:43], v53 src0_sel:WORD_1
	v_perm_b32 v22, v23, v22, s8
	v_perm_b32 v23, v25, v24, s8
	;; [unrolled: 1-line block ×3, first 2 shown]
	s_nop 0
	v_mfma_f32_4x4x4_16b_bf16 a[0:3], v[10:11], v[22:23], a[0:3] cbsz:4 abid:14
	v_cvt_pk_f32_fp8_e32 v[22:23], v54
	v_cvt_pk_f32_fp8_sdwa v[40:41], v54 src0_sel:WORD_1
	v_perm_b32 v25, v43, v42, s8
	v_perm_b32 v22, v23, v22, s8
	s_nop 0
	v_mfma_f32_4x4x4_16b_bf16 a[0:3], v[12:13], v[24:25], a[0:3] cbsz:4 abid:14
	v_cvt_pk_f32_fp8_e32 v[24:25], v55
	v_perm_b32 v23, v41, v40, s8
	v_cvt_pk_f32_fp8_sdwa v[40:41], v55 src0_sel:WORD_1
	v_perm_b32 v24, v25, v24, s8
	v_mfma_f32_4x4x4_16b_bf16 a[0:3], v[10:11], v[22:23], a[0:3] cbsz:4 abid:15
	v_perm_b32 v25, v41, v40, s8
	s_waitcnt lgkmcnt(0)
	v_mov_b32_e32 v10, s0
	v_mul_f32_e32 v40, s1, v10
	v_mfma_f32_4x4x4_16b_bf16 a[0:3], v[12:13], v[24:25], a[0:3] cbsz:4 abid:15
	s_nop 4
	v_accvgpr_read_b32 v11, a1
	v_accvgpr_read_b32 v10, a0
	v_pk_mul_f32 v[42:43], v[10:11], v[40:41] op_sel_hi:[1,0]
	global_load_dwordx4 v[10:13], v[34:35], off offset:2064
	global_load_dwordx4 v[22:25], v[34:35], off offset:2048
	v_accvgpr_read_b32 v35, a3
	v_accvgpr_read_b32 v34, a2
	v_pk_mul_f32 v[34:35], v[34:35], v[40:41] op_sel_hi:[1,0]
	v_mfma_f32_4x4x1_16b_f32 a[0:3], v42, v37, 0
	v_cndmask_b32_e64 v37, 0, 1.0, vcc
	v_cmp_eq_u32_e32 vcc, 2, v39
	v_mov_b32_e32 v41, 0xff7fffff
	v_mfma_f32_4x4x1_16b_f32 a[0:3], v43, v37, a[0:3]
	v_cndmask_b32_e64 v37, 0, 1.0, vcc
	v_cmp_eq_u32_e32 vcc, 3, v39
	s_nop 0
	v_mfma_f32_4x4x1_16b_f32 a[0:3], v34, v37, a[0:3]
	v_cndmask_b32_e64 v34, 0, 1.0, vcc
	s_nop 1
	v_mfma_f32_4x4x1_16b_f32 a[0:3], v35, v34, a[0:3]
	v_and_b32_e32 v34, -4, v36
	v_cmp_gt_i32_e32 vcc, s3, v34
	v_or_b32_e32 v36, 3, v36
	v_cmp_gt_i32_e64 s[10:11], s3, v36
	v_accvgpr_read_b32 v37, a0
	v_max_f32_e32 v40, v37, v37
	v_max_f32_e32 v40, 0xff7fffff, v40
	v_accvgpr_read_b32 v42, a1
	v_cndmask_b32_e32 v40, v41, v40, vcc
	v_or_b32_e32 v41, 1, v34
	v_max_f32_e32 v43, v42, v42
	v_max_f32_e32 v43, v40, v43
	v_cmp_gt_i32_e64 s[0:1], s3, v41
	v_or_b32_e32 v34, 2, v34
	v_cmp_gt_i32_e64 s[8:9], s3, v34
	v_cndmask_b32_e64 v40, v40, v43, s[0:1]
	v_accvgpr_read_b32 v43, a2
	v_max_f32_e32 v41, v43, v43
	v_max_f32_e32 v41, v40, v41
	v_cndmask_b32_e64 v34, v40, v41, s[8:9]
	v_accvgpr_read_b32 v40, a3
	v_max_f32_e32 v41, v40, v40
	v_max_f32_e32 v41, v34, v41
	v_lshlrev_b32_e32 v35, 2, v0
	v_cndmask_b32_e64 v34, v34, v41, s[10:11]
	v_and_or_b32 v35, v35, 48, v39
	;;#ASMSTART
	v_nop
 v_nop
 v_max_f32_dpp v34, v34, v34 row_ror:4
	;;#ASMEND
	v_lshlrev_b32_e32 v44, 2, v35
	;;#ASMSTART
	v_nop
 v_nop
 v_max_f32_dpp v34, v34, v34 row_ror:8
	;;#ASMEND
	ds_bpermute_b32 v34, v44, v34
	s_waitcnt lgkmcnt(0)
	;;#ASMSTART
	v_nop
 v_nop
 v_max_f32_dpp v34, v34, v34 row_ror:4
	;;#ASMEND
	s_nop 0
	;;#ASMSTART
	v_nop
 v_nop
 v_max_f32_dpp v41, v34, v34 row_ror:8
	;;#ASMEND
	s_nop 0
	v_sub_f32_e32 v34, v37, v41
	v_mul_f32_e32 v34, 0x3fb8aa3b, v34
	v_sub_f32_e32 v35, v42, v41
	v_exp_f32_e32 v34, v34
	v_mul_f32_e32 v35, 0x3fb8aa3b, v35
	v_sub_f32_e32 v37, v43, v41
	v_exp_f32_e32 v35, v35
	v_mul_f32_e32 v37, 0x3fb8aa3b, v37
	v_sub_f32_e32 v40, v40, v41
	v_exp_f32_e32 v37, v37
	v_mul_f32_e32 v40, 0x3fb8aa3b, v40
	v_exp_f32_e32 v40, v40
	v_cndmask_b32_e32 v34, 0, v34, vcc
	v_add_f32_e32 v36, 0, v34
	v_cndmask_b32_e64 v35, 0, v35, s[0:1]
	v_add_f32_e32 v42, v36, v35
	v_cndmask_b32_e64 v36, 0, v37, s[8:9]
	;; [unrolled: 2-line block ×3, first 2 shown]
	v_add_f32_e32 v40, v42, v37
	;;#ASMSTART
	v_nop
 v_nop
 v_add_f32_dpp v40, v40, v40 row_ror:4
	;;#ASMEND
	v_cmp_gt_u32_e32 vcc, 4, v1
	;;#ASMSTART
	v_nop
 v_nop
 v_add_f32_dpp v40, v40, v40 row_ror:8
	;;#ASMEND
	ds_bpermute_b32 v40, v44, v40
	s_waitcnt lgkmcnt(0)
	;;#ASMSTART
	v_nop
 v_nop
 v_add_f32_dpp v40, v40, v40 row_ror:4
	;;#ASMEND
	s_nop 0
	;;#ASMSTART
	v_nop
 v_nop
 v_add_f32_dpp v40, v40, v40 row_ror:8
	;;#ASMEND
	s_and_saveexec_b64 s[0:1], vcc
	s_cbranch_execz .LBB1388_16
; %bb.15:
	v_mul_u32_u24_e32 v42, 20, v38
	v_lshl_add_u32 v42, v39, 2, v42
	v_add_u32_e32 v42, 0x1400, v42
	ds_write2_b32 v42, v41, v40 offset1:20
.LBB1388_16:
	s_or_b64 exec, exec, s[0:1]
.LBB1388_17:
	s_or_b64 exec, exec, s[30:31]
	s_waitcnt lgkmcnt(0)
	s_barrier
	s_load_dword s0, s[28:29], 0x8
	v_lshlrev_b32_e32 v40, 2, v39
	v_add_u32_e32 v43, 0x1400, v40
	ds_read2_b32 v[44:45], v43 offset1:5
	ds_read2_b32 v[46:47], v43 offset0:10 offset1:15
	s_mul_i32 s1, s5, s2
	s_waitcnt lgkmcnt(0)
	s_mul_i32 s0, s1, s0
	s_mov_b32 s1, 0xff7fffff
	v_max3_f32 v40, v44, s1, v45
	v_max3_f32 v42, v40, v46, v47
	v_sub_f32_e32 v40, v44, v42
	v_sub_f32_e32 v44, v45, v42
	v_mul_f32_e32 v44, 0x3fb8aa3b, v44
	ds_read2_b32 v[48:49], v43 offset0:20 offset1:25
	v_mul_f32_e32 v40, 0x3fb8aa3b, v40
	v_exp_f32_e32 v51, v44
	ds_read2_b32 v[44:45], v43 offset0:30 offset1:35
	v_sub_f32_e32 v43, v46, v42
	v_exp_f32_e32 v50, v40
	v_mul_f32_e32 v43, 0x3fb8aa3b, v43
	v_exp_f32_e32 v46, v43
	v_sub_f32_e32 v43, v47, v42
	v_mul_f32_e32 v43, 0x3fb8aa3b, v43
	v_exp_f32_e32 v47, v43
	s_waitcnt lgkmcnt(1)
	v_fma_f32 v43, v50, v48, 0
	v_fmac_f32_e32 v43, v51, v49
	s_waitcnt lgkmcnt(0)
	v_fmac_f32_e32 v43, v46, v44
	v_mov_b32_e32 v40, 0
	v_fmac_f32_e32 v43, v47, v45
	s_mov_b32 s1, 0
	v_cmp_eq_u32_e32 vcc, 0, v39
	s_and_saveexec_b64 s[2:3], vcc
	s_cbranch_execz .LBB1388_19
; %bb.18:
	s_lshl_b64 s[8:9], s[0:1], 2
	s_add_u32 s12, s16, s8
	s_mov_b32 s25, s1
	s_addc_u32 s13, s17, s9
	s_lshl_b64 s[10:11], s[24:25], 2
	s_add_u32 s12, s12, s10
	s_addc_u32 s13, s13, s11
	s_add_u32 s8, s18, s8
	s_addc_u32 s9, s19, s9
	;; [unrolled: 2-line block ×3, first 2 shown]
	s_mul_i32 s8, s5, s4
	s_mov_b32 s9, s1
	s_lshl_b64 s[8:9], s[8:9], 2
	s_add_u32 s10, s12, s8
	s_addc_u32 s11, s13, s9
	s_add_u32 s8, s16, s8
	s_addc_u32 s9, s17, s9
	global_store_dword v40, v42, s[8:9]
	global_store_dword v40, v43, s[10:11]
.LBB1388_19:
	s_or_b64 exec, exec, s[2:3]
	v_lshlrev_b32_e32 v40, 3, v38
                                        ; implicit-def: $sgpr1
	s_and_saveexec_b64 s[2:3], s[6:7]
	s_xor_b64 s[2:3], exec, s[2:3]
	s_cbranch_execz .LBB1388_21
; %bb.20:
	s_waitcnt vmcnt(5)
	v_mov_b32_e32 v2, 0
	v_mad_u32_u24 v4, v1, 40, v40
	s_mov_b32 s1, 0
	v_mov_b32_e32 v3, v2
	ds_write_b64 v4, v[2:3]
                                        ; implicit-def: $vgpr37
                                        ; implicit-def: $vgpr35
                                        ; implicit-def: $vgpr41
                                        ; implicit-def: $vgpr30_vgpr31
                                        ; implicit-def: $vgpr18_vgpr19
                                        ; implicit-def: $vgpr26_vgpr27
                                        ; implicit-def: $vgpr14_vgpr15
                                        ; implicit-def: $vgpr6_vgpr7
                                        ; implicit-def: $vgpr2_vgpr3
                                        ; implicit-def: $vgpr22_vgpr23
                                        ; implicit-def: $vgpr10_vgpr11
                                        ; implicit-def: $vgpr42
                                        ; implicit-def: $vgpr43
.LBB1388_21:
	s_or_saveexec_b64 s[2:3], s[2:3]
	v_mov_b32_e32 v38, s1
	v_mov_b32_e32 v39, s1
	s_xor_b64 exec, exec, s[2:3]
	s_cbranch_execz .LBB1388_23
; %bb.22:
	v_add_f32_e32 v38, 0x358637bd, v43
	v_div_scale_f32 v39, s[6:7], v38, v38, 1.0
	v_rcp_f32_e32 v43, v39
	v_sub_f32_e32 v41, v41, v42
	v_mul_f32_e32 v41, 0x3fb8aa3b, v41
	v_exp_f32_e32 v41, v41
	v_fma_f32 v42, -v39, v43, 1.0
	v_fmac_f32_e32 v43, v42, v43
	v_div_scale_f32 v42, vcc, 1.0, v38, 1.0
	v_mul_f32_e32 v44, v42, v43
	v_fma_f32 v45, -v39, v44, v42
	v_fmac_f32_e32 v44, v45, v43
	v_fma_f32 v39, -v39, v44, v42
	v_div_fmas_f32 v39, v39, v43, v44
	v_div_fixup_f32 v38, v39, v38, 1.0
	v_mul_f32_e32 v38, v41, v38
	v_pk_mul_f32 v[34:35], v[34:35], v[38:39] op_sel_hi:[1,0]
	v_pk_mul_f32 v[36:37], v[36:37], v[38:39] op_sel_hi:[1,0]
	v_bfe_u32 v38, v35, 16, 1
	v_bfe_u32 v39, v34, 16, 1
	s_movk_i32 s1, 0x7fff
	v_add3_u32 v34, v34, v39, s1
	v_add3_u32 v35, v35, v38, s1
	s_mov_b32 s7, 0x7060302
	v_perm_b32 v34, v35, v34, s7
	v_bfe_u32 v35, v37, 16, 1
	v_bfe_u32 v38, v36, 16, 1
	v_add3_u32 v36, v36, v38, s1
	v_add3_u32 v35, v37, v35, s1
	v_perm_b32 v35, v35, v36, s7
	s_waitcnt vmcnt(6)
	v_cvt_pk_f32_fp8_e32 v[36:37], v30
	v_cvt_pk_f32_fp8_sdwa v[38:39], v30 src0_sel:WORD_1
	v_cvt_pk_f32_fp8_e32 v[42:43], v31
	v_cvt_pk_f32_fp8_sdwa v[30:31], v31 src0_sel:WORD_1
	v_perm_b32 v36, v37, v36, s7
	v_perm_b32 v37, v39, v38, s7
	;; [unrolled: 1-line block ×4, first 2 shown]
	v_mfma_f32_4x4x4_16b_bf16 a[0:3], v[34:35], v[36:37], 0 cbsz:4
	v_cvt_pk_f32_fp8_e32 v[30:31], v32
	v_cvt_pk_f32_fp8_sdwa v[36:37], v32 src0_sel:WORD_1
	v_mfma_f32_4x4x4_16b_bf16 a[0:3], v[34:35], v[38:39], a[0:3] cbsz:4 abid:1
	v_cvt_pk_f32_fp8_e32 v[38:39], v33
	v_cvt_pk_f32_fp8_sdwa v[32:33], v33 src0_sel:WORD_1
	v_perm_b32 v30, v31, v30, s7
	v_perm_b32 v31, v37, v36, s7
	v_perm_b32 v36, v39, v38, s7
	v_perm_b32 v37, v33, v32, s7
	v_mfma_f32_4x4x4_16b_bf16 a[0:3], v[34:35], v[30:31], a[0:3] cbsz:4 abid:2
	v_cvt_pk_f32_fp8_e32 v[30:31], v18
	v_cvt_pk_f32_fp8_sdwa v[32:33], v18 src0_sel:WORD_1
	v_mfma_f32_4x4x4_16b_bf16 a[0:3], v[34:35], v[36:37], a[0:3] cbsz:4 abid:3
	v_cvt_pk_f32_fp8_e32 v[36:37], v19
	v_cvt_pk_f32_fp8_sdwa v[18:19], v19 src0_sel:WORD_1
	v_perm_b32 v30, v31, v30, s7
	v_perm_b32 v31, v33, v32, s7
	v_perm_b32 v32, v37, v36, s7
	v_perm_b32 v33, v19, v18, s7
	v_mfma_f32_4x4x4_16b_bf16 a[0:3], v[34:35], v[30:31], a[0:3] cbsz:4 abid:4
	;; [unrolled: 10-line block ×3, first 2 shown]
	s_waitcnt vmcnt(2)
	v_cvt_pk_f32_fp8_e32 v[18:19], v26
	v_cvt_pk_f32_fp8_sdwa v[20:21], v26 src0_sel:WORD_1
	v_mfma_f32_4x4x4_16b_bf16 a[0:3], v[34:35], v[30:31], a[0:3] cbsz:4 abid:7
	v_cvt_pk_f32_fp8_e32 v[30:31], v27
	v_cvt_pk_f32_fp8_sdwa v[26:27], v27 src0_sel:WORD_1
	v_perm_b32 v18, v19, v18, s7
	v_perm_b32 v19, v21, v20, s7
	;; [unrolled: 1-line block ×4, first 2 shown]
	v_mfma_f32_4x4x4_16b_bf16 a[0:3], v[34:35], v[18:19], a[0:3] cbsz:4 abid:8
	v_cvt_pk_f32_fp8_e32 v[18:19], v28
	v_cvt_pk_f32_fp8_e32 v[26:27], v29
	v_mfma_f32_4x4x4_16b_bf16 a[0:3], v[34:35], v[20:21], a[0:3] cbsz:4 abid:9
	v_cvt_pk_f32_fp8_sdwa v[20:21], v28 src0_sel:WORD_1
	v_cvt_pk_f32_fp8_sdwa v[28:29], v29 src0_sel:WORD_1
	v_perm_b32 v18, v19, v18, s7
	s_load_dword s6, s[14:15], 0x0
	v_perm_b32 v19, v21, v20, s7
	v_perm_b32 v20, v27, v26, s7
	;; [unrolled: 1-line block ×3, first 2 shown]
	v_mfma_f32_4x4x4_16b_bf16 a[0:3], v[34:35], v[18:19], a[0:3] cbsz:4 abid:10
	v_cvt_pk_f32_fp8_e32 v[18:19], v14
	v_cvt_pk_f32_fp8_e32 v[26:27], v15
	v_mfma_f32_4x4x4_16b_bf16 a[0:3], v[34:35], v[20:21], a[0:3] cbsz:4 abid:11
	v_cvt_pk_f32_fp8_sdwa v[20:21], v14 src0_sel:WORD_1
	v_cvt_pk_f32_fp8_sdwa v[14:15], v15 src0_sel:WORD_1
	v_perm_b32 v18, v19, v18, s7
	v_perm_b32 v19, v21, v20, s7
	;; [unrolled: 1-line block ×3, first 2 shown]
	s_nop 0
	v_mfma_f32_4x4x4_16b_bf16 a[0:3], v[34:35], v[18:19], a[0:3] cbsz:4 abid:12
	v_cvt_pk_f32_fp8_e32 v[14:15], v16
	v_cvt_pk_f32_fp8_sdwa v[18:19], v16 src0_sel:WORD_1
	v_perm_b32 v20, v27, v26, s7
	v_perm_b32 v14, v15, v14, s7
	s_nop 0
	v_mfma_f32_4x4x4_16b_bf16 a[0:3], v[34:35], v[20:21], a[0:3] cbsz:4 abid:13
	v_cvt_pk_f32_fp8_e32 v[20:21], v17
	v_cvt_pk_f32_fp8_sdwa v[16:17], v17 src0_sel:WORD_1
	v_perm_b32 v15, v19, v18, s7
	v_perm_b32 v18, v21, v20, s7
	s_nop 0
	v_mfma_f32_4x4x4_16b_bf16 a[0:3], v[34:35], v[14:15], a[0:3] cbsz:4 abid:14
	v_perm_b32 v19, v17, v16, s7
	s_nop 1
	v_mfma_f32_4x4x4_16b_bf16 a[0:3], v[34:35], v[18:19], a[0:3] cbsz:4 abid:15
	s_nop 4
	v_accvgpr_read_b32 v17, a1
	v_accvgpr_read_b32 v16, a0
	s_waitcnt lgkmcnt(0)
	v_pk_mul_f32 v[16:17], v[16:17], s[6:7] op_sel_hi:[1,0]
	v_accvgpr_read_b32 v15, a3
	v_accvgpr_read_b32 v14, a2
	v_bfe_u32 v18, v17, 16, 1
	v_bfe_u32 v19, v16, 16, 1
	v_pk_mul_f32 v[14:15], v[14:15], s[6:7] op_sel_hi:[1,0]
	v_add3_u32 v16, v16, v19, s1
	v_add3_u32 v17, v17, v18, s1
	v_perm_b32 v16, v17, v16, s7
	v_bfe_u32 v17, v15, 16, 1
	v_bfe_u32 v18, v14, 16, 1
	v_add3_u32 v14, v14, v18, s1
	v_add3_u32 v15, v15, v17, s1
	v_perm_b32 v17, v15, v14, s7
	v_mad_u32_u24 v14, v1, 40, v40
	ds_write_b64 v14, v[16:17]
	v_cvt_pk_f32_fp8_e32 v[14:15], v6
	v_cvt_pk_f32_fp8_sdwa v[16:17], v6 src0_sel:WORD_1
	v_cvt_pk_f32_fp8_e32 v[18:19], v7
	v_cvt_pk_f32_fp8_sdwa v[6:7], v7 src0_sel:WORD_1
	v_perm_b32 v14, v15, v14, s7
	v_perm_b32 v15, v17, v16, s7
	;; [unrolled: 1-line block ×4, first 2 shown]
	v_mfma_f32_4x4x4_16b_bf16 a[0:3], v[34:35], v[14:15], 0 cbsz:4
	v_cvt_pk_f32_fp8_e32 v[6:7], v8
	v_cvt_pk_f32_fp8_sdwa v[14:15], v8 src0_sel:WORD_1
	v_mfma_f32_4x4x4_16b_bf16 a[0:3], v[34:35], v[16:17], a[0:3] cbsz:4 abid:1
	v_cvt_pk_f32_fp8_e32 v[16:17], v9
	v_cvt_pk_f32_fp8_sdwa v[8:9], v9 src0_sel:WORD_1
	v_perm_b32 v6, v7, v6, s7
	v_perm_b32 v7, v15, v14, s7
	v_perm_b32 v14, v17, v16, s7
	v_perm_b32 v15, v9, v8, s7
	v_mfma_f32_4x4x4_16b_bf16 a[0:3], v[34:35], v[6:7], a[0:3] cbsz:4 abid:2
	v_cvt_pk_f32_fp8_e32 v[6:7], v2
	v_cvt_pk_f32_fp8_sdwa v[8:9], v2 src0_sel:WORD_1
	v_mfma_f32_4x4x4_16b_bf16 a[0:3], v[34:35], v[14:15], a[0:3] cbsz:4 abid:3
	v_cvt_pk_f32_fp8_e32 v[14:15], v3
	v_cvt_pk_f32_fp8_sdwa v[2:3], v3 src0_sel:WORD_1
	v_perm_b32 v6, v7, v6, s7
	v_perm_b32 v7, v9, v8, s7
	v_perm_b32 v8, v15, v14, s7
	v_perm_b32 v9, v3, v2, s7
	v_mfma_f32_4x4x4_16b_bf16 a[0:3], v[34:35], v[6:7], a[0:3] cbsz:4 abid:4
	;; [unrolled: 10-line block ×3, first 2 shown]
	s_waitcnt vmcnt(0)
	v_cvt_pk_f32_fp8_e32 v[2:3], v22
	v_cvt_pk_f32_fp8_sdwa v[4:5], v22 src0_sel:WORD_1
	v_mfma_f32_4x4x4_16b_bf16 a[0:3], v[34:35], v[6:7], a[0:3] cbsz:4 abid:7
	v_cvt_pk_f32_fp8_e32 v[6:7], v23
	v_cvt_pk_f32_fp8_sdwa v[8:9], v23 src0_sel:WORD_1
	v_perm_b32 v2, v3, v2, s7
	v_perm_b32 v3, v5, v4, s7
	v_perm_b32 v4, v7, v6, s7
	v_perm_b32 v5, v9, v8, s7
	v_mfma_f32_4x4x4_16b_bf16 a[0:3], v[34:35], v[2:3], a[0:3] cbsz:4 abid:8
	v_cvt_pk_f32_fp8_e32 v[2:3], v24
	v_cvt_pk_f32_fp8_e32 v[6:7], v25
	v_mfma_f32_4x4x4_16b_bf16 a[0:3], v[34:35], v[4:5], a[0:3] cbsz:4 abid:9
	v_cvt_pk_f32_fp8_sdwa v[4:5], v24 src0_sel:WORD_1
	v_cvt_pk_f32_fp8_sdwa v[8:9], v25 src0_sel:WORD_1
	v_perm_b32 v2, v3, v2, s7
	v_perm_b32 v3, v5, v4, s7
	v_perm_b32 v4, v7, v6, s7
	s_nop 0
	v_mfma_f32_4x4x4_16b_bf16 a[0:3], v[34:35], v[2:3], a[0:3] cbsz:4 abid:10
	v_perm_b32 v5, v9, v8, s7
	v_cvt_pk_f32_fp8_e32 v[2:3], v10
	v_cvt_pk_f32_fp8_e32 v[6:7], v11
	v_mfma_f32_4x4x4_16b_bf16 a[0:3], v[34:35], v[4:5], a[0:3] cbsz:4 abid:11
	v_cvt_pk_f32_fp8_sdwa v[4:5], v10 src0_sel:WORD_1
	v_cvt_pk_f32_fp8_sdwa v[8:9], v11 src0_sel:WORD_1
	v_perm_b32 v2, v3, v2, s7
	v_perm_b32 v3, v5, v4, s7
	v_perm_b32 v4, v7, v6, s7
	s_nop 0
	v_mfma_f32_4x4x4_16b_bf16 a[0:3], v[34:35], v[2:3], a[0:3] cbsz:4 abid:12
	v_perm_b32 v5, v9, v8, s7
	;; [unrolled: 11-line block ×3, first 2 shown]
	s_nop 1
	v_mfma_f32_4x4x4_16b_bf16 a[0:3], v[34:35], v[4:5], a[0:3] cbsz:4 abid:15
	s_nop 4
	v_accvgpr_read_b32 v5, a1
	v_accvgpr_read_b32 v4, a0
	;; [unrolled: 1-line block ×4, first 2 shown]
	v_pk_mul_f32 v[4:5], v[4:5], s[6:7] op_sel_hi:[1,0]
	v_pk_mul_f32 v[2:3], v[2:3], s[6:7] op_sel_hi:[1,0]
	v_bfe_u32 v6, v5, 16, 1
	v_bfe_u32 v7, v4, 16, 1
	v_add3_u32 v4, v4, v7, s1
	v_add3_u32 v5, v5, v6, s1
	v_bfe_u32 v6, v3, 16, 1
	v_bfe_u32 v7, v2, 16, 1
	v_add3_u32 v2, v2, v7, s1
	v_add3_u32 v3, v3, v6, s1
	v_perm_b32 v39, v3, v2, s7
	v_perm_b32 v38, v5, v4, s7
.LBB1388_23:
	s_or_b64 exec, exec, s[2:3]
	s_waitcnt vmcnt(5)
	v_mad_u32_u24 v2, v1, 40, v40
	v_cmp_gt_u32_e32 vcc, 64, v0
	ds_write_b64 v2, v[38:39] offset:2560
	s_waitcnt lgkmcnt(0)
	s_barrier
	s_and_saveexec_b64 s[2:3], vcc
	s_cbranch_execz .LBB1388_25
; %bb.24:
	v_mov_b32_e32 v2, 0xa00
	v_mad_u32_u24 v2, v1, 40, v2
	ds_read2_b64 v[2:5], v2 offset1:1
	s_waitcnt lgkmcnt(0)
	v_mov_b32_e32 v3, 0xa10
	s_waitcnt vmcnt(1)
	v_mul_u32_u24_e32 v10, 40, v1
	v_mad_u32_u24 v1, v1, 40, v3
	ds_read2_b64 v[6:9], v1 offset1:1
	v_lshlrev_b32_e32 v1, 16, v2
	v_add_f32_e32 v1, 0, v1
	v_and_b32_e32 v1, 0xffff0000, v1
	v_lshlrev_b32_e32 v2, 16, v4
	v_add_f32_e32 v1, v1, v2
	v_and_b32_e32 v1, 0xffff0000, v1
	s_waitcnt lgkmcnt(0)
	v_lshlrev_b32_e32 v2, 16, v6
	v_add_f32_e32 v1, v1, v2
	v_and_b32_e32 v1, 0xffff0000, v1
	v_lshlrev_b32_e32 v2, 16, v8
	v_add_f32_e32 v11, v1, v2
	ds_read2_b64 v[2:5], v10 offset1:1
	ds_read2_b64 v[6:9], v10 offset0:2 offset1:3
	s_mov_b32 s1, 0
	s_lshl_b32 s0, s0, 7
	s_lshl_b64 s[2:3], s[0:1], 1
	s_waitcnt lgkmcnt(1)
	v_lshlrev_b32_e32 v2, 16, v2
	v_add_f32_e32 v2, 0, v2
	s_add_u32 s2, s26, s2
	v_and_b32_e32 v2, 0xffff0000, v2
	v_lshlrev_b32_e32 v3, 16, v4
	s_addc_u32 s3, s27, s3
	s_lshl_b32 s0, s24, 7
	v_add_f32_e32 v2, v2, v3
	s_lshl_b64 s[0:1], s[0:1], 1
	v_and_b32_e32 v2, 0xffff0000, v2
	s_waitcnt lgkmcnt(0)
	v_lshlrev_b32_e32 v3, 16, v6
	s_add_u32 s0, s2, s0
	s_mul_i32 s4, s4, s5
	v_add_f32_e32 v2, v2, v3
	s_addc_u32 s1, s3, s1
	v_lshl_or_b32 v0, s4, 7, v0
	v_mov_b32_e32 v1, 0
	v_and_b32_e32 v2, 0xffff0000, v2
	v_lshlrev_b32_e32 v3, 16, v8
	v_lshl_add_u64 v[0:1], v[0:1], 1, s[0:1]
	v_add_f32_e32 v2, v2, v3
	global_store_short_d16_hi v[0:1], v2, off
	global_store_short_d16_hi v[0:1], v11, off offset:128
.LBB1388_25:
	s_endpgm
	.section	.rodata,"a",@progbits
	.p2align	6, 0x0
	.amdhsa_kernel _Z38paged_attention_ll4mi_QKV_mfma4_kernelI14__hip_bfloat16hLN4vllm18Fp8KVCacheDataTypeE1ES0_Li32ELi128ELi256ELb0ELi1EEvPKT_PKT0_S8_ifPKiSA_SA_iPKfiiiPfSD_PS3_PT2_iSC_SC_
		.amdhsa_group_segment_fixed_size 5280
		.amdhsa_private_segment_fixed_size 0
		.amdhsa_kernarg_size 400
		.amdhsa_user_sgpr_count 2
		.amdhsa_user_sgpr_dispatch_ptr 0
		.amdhsa_user_sgpr_queue_ptr 0
		.amdhsa_user_sgpr_kernarg_segment_ptr 1
		.amdhsa_user_sgpr_dispatch_id 0
		.amdhsa_user_sgpr_kernarg_preload_length 0
		.amdhsa_user_sgpr_kernarg_preload_offset 0
		.amdhsa_user_sgpr_private_segment_size 0
		.amdhsa_uses_dynamic_stack 0
		.amdhsa_enable_private_segment 0
		.amdhsa_system_sgpr_workgroup_id_x 1
		.amdhsa_system_sgpr_workgroup_id_y 1
		.amdhsa_system_sgpr_workgroup_id_z 1
		.amdhsa_system_sgpr_workgroup_info 0
		.amdhsa_system_vgpr_workitem_id 0
		.amdhsa_next_free_vgpr 108
		.amdhsa_next_free_sgpr 42
		.amdhsa_accum_offset 104
		.amdhsa_reserve_vcc 1
		.amdhsa_float_round_mode_32 0
		.amdhsa_float_round_mode_16_64 0
		.amdhsa_float_denorm_mode_32 3
		.amdhsa_float_denorm_mode_16_64 3
		.amdhsa_dx10_clamp 1
		.amdhsa_ieee_mode 1
		.amdhsa_fp16_overflow 0
		.amdhsa_tg_split 0
		.amdhsa_exception_fp_ieee_invalid_op 0
		.amdhsa_exception_fp_denorm_src 0
		.amdhsa_exception_fp_ieee_div_zero 0
		.amdhsa_exception_fp_ieee_overflow 0
		.amdhsa_exception_fp_ieee_underflow 0
		.amdhsa_exception_fp_ieee_inexact 0
		.amdhsa_exception_int_div_zero 0
	.end_amdhsa_kernel
	.section	.text._Z38paged_attention_ll4mi_QKV_mfma4_kernelI14__hip_bfloat16hLN4vllm18Fp8KVCacheDataTypeE1ES0_Li32ELi128ELi256ELb0ELi1EEvPKT_PKT0_S8_ifPKiSA_SA_iPKfiiiPfSD_PS3_PT2_iSC_SC_,"axG",@progbits,_Z38paged_attention_ll4mi_QKV_mfma4_kernelI14__hip_bfloat16hLN4vllm18Fp8KVCacheDataTypeE1ES0_Li32ELi128ELi256ELb0ELi1EEvPKT_PKT0_S8_ifPKiSA_SA_iPKfiiiPfSD_PS3_PT2_iSC_SC_,comdat
.Lfunc_end1388:
	.size	_Z38paged_attention_ll4mi_QKV_mfma4_kernelI14__hip_bfloat16hLN4vllm18Fp8KVCacheDataTypeE1ES0_Li32ELi128ELi256ELb0ELi1EEvPKT_PKT0_S8_ifPKiSA_SA_iPKfiiiPfSD_PS3_PT2_iSC_SC_, .Lfunc_end1388-_Z38paged_attention_ll4mi_QKV_mfma4_kernelI14__hip_bfloat16hLN4vllm18Fp8KVCacheDataTypeE1ES0_Li32ELi128ELi256ELb0ELi1EEvPKT_PKT0_S8_ifPKiSA_SA_iPKfiiiPfSD_PS3_PT2_iSC_SC_
                                        ; -- End function
	.section	.AMDGPU.csdata,"",@progbits
; Kernel info:
; codeLenInByte = 5380
; NumSgprs: 48
; NumVgprs: 104
; NumAgprs: 4
; TotalNumVgprs: 108
; ScratchSize: 0
; MemoryBound: 0
; FloatMode: 240
; IeeeMode: 1
; LDSByteSize: 5280 bytes/workgroup (compile time only)
; SGPRBlocks: 5
; VGPRBlocks: 13
; NumSGPRsForWavesPerEU: 48
; NumVGPRsForWavesPerEU: 108
; AccumOffset: 104
; Occupancy: 4
; WaveLimiterHint : 1
; COMPUTE_PGM_RSRC2:SCRATCH_EN: 0
; COMPUTE_PGM_RSRC2:USER_SGPR: 2
; COMPUTE_PGM_RSRC2:TRAP_HANDLER: 0
; COMPUTE_PGM_RSRC2:TGID_X_EN: 1
; COMPUTE_PGM_RSRC2:TGID_Y_EN: 1
; COMPUTE_PGM_RSRC2:TGID_Z_EN: 1
; COMPUTE_PGM_RSRC2:TIDIG_COMP_CNT: 0
; COMPUTE_PGM_RSRC3_GFX90A:ACCUM_OFFSET: 25
; COMPUTE_PGM_RSRC3_GFX90A:TG_SPLIT: 0
	.section	.text._Z38paged_attention_ll4mi_QKV_mfma4_kernelI14__hip_bfloat16hLN4vllm18Fp8KVCacheDataTypeE1ES0_Li32ELi128ELi256ELb0ELi2EEvPKT_PKT0_S8_ifPKiSA_SA_iPKfiiiPfSD_PS3_PT2_iSC_SC_,"axG",@progbits,_Z38paged_attention_ll4mi_QKV_mfma4_kernelI14__hip_bfloat16hLN4vllm18Fp8KVCacheDataTypeE1ES0_Li32ELi128ELi256ELb0ELi2EEvPKT_PKT0_S8_ifPKiSA_SA_iPKfiiiPfSD_PS3_PT2_iSC_SC_,comdat
	.protected	_Z38paged_attention_ll4mi_QKV_mfma4_kernelI14__hip_bfloat16hLN4vllm18Fp8KVCacheDataTypeE1ES0_Li32ELi128ELi256ELb0ELi2EEvPKT_PKT0_S8_ifPKiSA_SA_iPKfiiiPfSD_PS3_PT2_iSC_SC_ ; -- Begin function _Z38paged_attention_ll4mi_QKV_mfma4_kernelI14__hip_bfloat16hLN4vllm18Fp8KVCacheDataTypeE1ES0_Li32ELi128ELi256ELb0ELi2EEvPKT_PKT0_S8_ifPKiSA_SA_iPKfiiiPfSD_PS3_PT2_iSC_SC_
	.globl	_Z38paged_attention_ll4mi_QKV_mfma4_kernelI14__hip_bfloat16hLN4vllm18Fp8KVCacheDataTypeE1ES0_Li32ELi128ELi256ELb0ELi2EEvPKT_PKT0_S8_ifPKiSA_SA_iPKfiiiPfSD_PS3_PT2_iSC_SC_
	.p2align	8
	.type	_Z38paged_attention_ll4mi_QKV_mfma4_kernelI14__hip_bfloat16hLN4vllm18Fp8KVCacheDataTypeE1ES0_Li32ELi128ELi256ELb0ELi2EEvPKT_PKT0_S8_ifPKiSA_SA_iPKfiiiPfSD_PS3_PT2_iSC_SC_,@function
_Z38paged_attention_ll4mi_QKV_mfma4_kernelI14__hip_bfloat16hLN4vllm18Fp8KVCacheDataTypeE1ES0_Li32ELi128ELi256ELb0ELi2EEvPKT_PKT0_S8_ifPKiSA_SA_iPKfiiiPfSD_PS3_PT2_iSC_SC_: ; @_Z38paged_attention_ll4mi_QKV_mfma4_kernelI14__hip_bfloat16hLN4vllm18Fp8KVCacheDataTypeE1ES0_Li32ELi128ELi256ELb0ELi2EEvPKT_PKT0_S8_ifPKiSA_SA_iPKfiiiPfSD_PS3_PT2_iSC_SC_
; %bb.0:
	s_load_dwordx2 s[20:21], s[0:1], 0x30
	s_mov_b32 s24, s3
	s_mov_b64 s[6:7], 0
	s_waitcnt lgkmcnt(0)
	s_cmp_lg_u64 s[20:21], 0
	s_cselect_b64 s[22:23], -1, 0
	s_and_b64 vcc, exec, s[22:23]
	s_cbranch_vccz .LBB1389_10
; %bb.1:
	s_add_i32 s8, s2, 1
	s_mov_b32 s9, 0
	s_lshl_b64 s[10:11], s[8:9], 2
	s_add_u32 s10, s20, s10
	s_mov_b32 s3, s9
	s_addc_u32 s11, s21, s11
	s_lshl_b64 s[8:9], s[2:3], 2
	s_add_u32 s8, s20, s8
	s_addc_u32 s9, s21, s9
	s_load_dword s5, s[10:11], 0x0
	s_load_dword s12, s[8:9], 0x0
	s_waitcnt lgkmcnt(0)
	s_sub_i32 s5, s5, s12
	s_cmp_eq_u32 s5, 1
	s_cselect_b64 s[8:9], -1, 0
	s_andn2_b64 vcc, exec, s[6:7]
	s_cbranch_vccnz .LBB1389_3
.LBB1389_2:
	s_mov_b32 s3, 0
	s_mov_b64 s[8:9], -1
.LBB1389_3:
	s_andn2_b64 vcc, exec, s[8:9]
	s_cbranch_vccnz .LBB1389_25
; %bb.4:
	s_load_dword s5, s[0:1], 0x9c
	s_load_dwordx2 s[6:7], s[0:1], 0x28
	s_add_u32 s28, s0, 0x90
	s_addc_u32 s29, s1, 0
	s_lshl_b64 s[34:35], s[2:3], 2
	s_waitcnt lgkmcnt(0)
	s_and_b32 s5, s5, 0xffff
	s_add_u32 s6, s6, s34
	s_addc_u32 s7, s7, s35
	s_load_dword s3, s[6:7], 0x0
	s_mul_i32 s10, s24, s5
	s_waitcnt lgkmcnt(0)
	s_cmp_ge_i32 s10, s3
	s_cbranch_scc1 .LBB1389_25
; %bb.5:
	v_and_b32_e32 v1, 0xc0, v0
	v_add_u32_e32 v4, s10, v1
	v_lshrrev_b32_e32 v38, 6, v0
	v_cmp_le_i32_e64 s[6:7], s3, v4
                                        ; implicit-def: $sgpr25
                                        ; implicit-def: $sgpr11
	s_and_saveexec_b64 s[8:9], s[6:7]
	s_xor_b64 s[8:9], exec, s[8:9]
	s_cbranch_execz .LBB1389_7
; %bb.6:
	v_mul_u32_u24_e32 v1, 20, v38
	v_or_b32_e32 v1, 0x1400, v1
	v_mov_b32_e32 v2, 0x1450
	v_mov_b32_e32 v3, 0xff7fffff
	v_mad_u32_u24 v2, v38, 20, v2
	ds_write2_b32 v1, v3, v3 offset1:1
	v_mov_b32_e32 v1, 0
	ds_write2_b32 v2, v1, v1 offset1:1
	v_mov_b32_e32 v2, 0x1408
	v_mov_b32_e32 v4, 0x1458
	s_mov_b32 s11, 0xff7fffff
	s_mov_b32 s25, 0
	v_mad_u32_u24 v2, v38, 20, v2
	v_mad_u32_u24 v4, v38, 20, v4
	ds_write2_b32 v2, v3, v3 offset1:1
	ds_write2_b32 v4, v1, v1 offset1:1
                                        ; implicit-def: $vgpr4
.LBB1389_7:
	s_or_saveexec_b64 s[30:31], s[8:9]
	s_load_dwordx2 s[26:27], s[0:1], 0x68
	s_load_dwordx4 s[16:19], s[0:1], 0x58
	s_load_dword s5, s[28:29], 0x4
	s_load_dwordx4 s[12:15], s[0:1], 0x80
	v_and_b32_e32 v1, 63, v0
	v_and_b32_e32 v39, 3, v0
	v_mov_b32_e32 v37, s25
	v_mov_b32_e32 v41, s11
	;; [unrolled: 1-line block ×5, first 2 shown]
                                        ; implicit-def: $vgpr30_vgpr31
                                        ; implicit-def: $vgpr26_vgpr27
                                        ; implicit-def: $vgpr22_vgpr23
                                        ; implicit-def: $vgpr14_vgpr15
                                        ; implicit-def: $vgpr18_vgpr19
                                        ; implicit-def: $vgpr6_vgpr7
                                        ; implicit-def: $vgpr10_vgpr11
                                        ; implicit-def: $vgpr2_vgpr3
	s_xor_b64 exec, exec, s[30:31]
	s_cbranch_execz .LBB1389_17
; %bb.8:
	s_load_dwordx2 s[8:9], s[0:1], 0x20
	s_load_dword s11, s[0:1], 0x38
	s_add_i32 s25, s3, 31
	s_ashr_i32 s33, s25, 31
	s_lshr_b32 s33, s33, 27
	v_add_u32_e32 v40, s10, v0
	s_add_i32 s25, s25, s33
	v_ashrrev_i32_e32 v2, 31, v40
	s_ashr_i32 s25, s25, 5
	v_lshrrev_b32_e32 v2, 27, v2
	s_add_i32 s25, s25, -1
	s_waitcnt lgkmcnt(0)
	s_mul_i32 s36, s2, s11
	s_mov_b32 s37, 0
	v_add_u32_e32 v2, v40, v2
	s_lshl_b64 s[36:37], s[36:37], 2
	v_ashrrev_i32_e32 v2, 5, v2
	v_mov_b32_e32 v3, s25
	v_cmp_gt_i32_e32 vcc, s3, v40
	s_add_u32 s8, s8, s36
	s_addc_u32 s9, s9, s37
	v_cndmask_b32_e32 v2, v3, v2, vcc
	v_ashrrev_i32_e32 v3, 31, v2
	v_lshl_add_u64 v[8:9], v[2:3], 2, s[8:9]
	v_ashrrev_i32_e32 v2, 31, v4
	v_lshrrev_b32_e32 v2, 27, v2
	v_add_u32_e32 v2, v4, v2
	v_ashrrev_i32_e32 v6, 5, v2
	v_min_i32_e32 v2, s25, v6
	v_ashrrev_i32_e32 v3, 31, v2
	v_lshl_add_u64 v[4:5], v[2:3], 2, s[8:9]
	v_add_u32_e32 v2, 1, v6
	v_min_i32_e32 v2, s25, v2
	v_ashrrev_i32_e32 v3, 31, v2
	v_lshl_add_u64 v[10:11], v[2:3], 2, s[8:9]
	global_load_dword v2, v[8:9], off
	global_load_dword v6, v[4:5], off
	global_load_dword v7, v[10:11], off
	s_load_dwordx4 s[8:11], s[0:1], 0x8
	s_andn2_b64 vcc, exec, s[22:23]
	s_cbranch_vccnz .LBB1389_11
; %bb.9:
	s_add_u32 s20, s20, s34
	s_addc_u32 s21, s21, s35
	s_load_dword s25, s[20:21], 0x0
	s_branch .LBB1389_12
.LBB1389_10:
	s_mov_b64 s[8:9], 0
	s_branch .LBB1389_2
.LBB1389_11:
	s_mov_b32 s25, s2
.LBB1389_12:
	s_load_dwordx4 s[20:23], s[0:1], 0x48
	v_cmp_gt_u32_e32 vcc, 2, v39
	s_mov_b32 s37, 0
	v_mov_b32_e32 v3, 0
	v_mov_b32_e32 v34, 0
	;; [unrolled: 1-line block ×5, first 2 shown]
	s_and_saveexec_b64 s[34:35], vcc
	s_cbranch_execz .LBB1389_14
; %bb.13:
	s_load_dwordx2 s[38:39], s[0:1], 0x0
	s_waitcnt lgkmcnt(0)
	s_ashr_i32 s23, s20, 31
	s_mul_hi_u32 s33, s25, s20
	s_mul_i32 s23, s25, s23
	s_add_i32 s41, s33, s23
	s_mul_i32 s40, s25, s20
	s_lshl_b64 s[40:41], s[40:41], 1
	s_add_u32 s20, s38, s40
	s_addc_u32 s23, s39, s41
	s_lshl_b32 s36, s4, 8
	s_lshl_b64 s[36:37], s[36:37], 1
	v_lshlrev_b32_e32 v4, 2, v1
	s_add_u32 s36, s20, s36
	v_and_b32_e32 v4, 0xf0, v4
	s_addc_u32 s37, s23, s37
	v_lshl_or_b32 v4, v39, 8, v4
	global_load_dwordx4 v[34:37], v4, s[36:37]
.LBB1389_14:
	s_or_b64 exec, exec, s[34:35]
	s_waitcnt lgkmcnt(0)
	s_mul_i32 s20, s4, s22
	s_add_u32 s8, s20, s8
	s_addc_u32 s9, 0, s9
	v_mov_b64_e32 v[4:5], s[8:9]
	s_waitcnt vmcnt(2)
	v_mad_i64_i32 v[4:5], s[8:9], v2, s21, v[4:5]
	v_lshlrev_b32_e32 v2, 4, v0
	v_and_b32_e32 v2, 0x1f0, v2
	v_lshl_add_u64 v[4:5], v[4:5], 0, v[2:3]
	global_load_dwordx4 v[8:11], v[4:5], off
	global_load_dwordx4 v[12:15], v[4:5], off offset:512
	global_load_dwordx4 v[16:19], v[4:5], off offset:1024
	;; [unrolled: 1-line block ×4, first 2 shown]
	s_mov_b32 s8, 0x7060302
	s_waitcnt vmcnt(6)
	v_mul_hi_i32 v2, v6, s21
	s_waitcnt vmcnt(5)
	v_mul_hi_i32 v20, v7, s21
	v_ashrrev_i32_e32 v2, 31, v2
	v_ashrrev_i32_e32 v20, 31, v20
	v_mov_b32_e32 v21, v3
	v_lshrrev_b32_e32 v20, 29, v20
	v_lshrrev_b32_e32 v2, 29, v2
	s_add_u32 s10, s10, s20
	v_mad_i64_i32 v[20:21], s[22:23], v7, s21, v[20:21]
	v_mad_i64_i32 v[6:7], s[20:21], v6, s21, v[2:3]
	s_addc_u32 s11, s11, 0
	v_and_b32_e32 v20, -8, v20
	v_and_b32_e32 v6, -8, v6
	v_lshl_add_u64 v[20:21], s[10:11], 0, v[20:21]
	v_lshlrev_b32_e32 v2, 5, v1
	v_lshl_add_u64 v[6:7], s[10:11], 0, v[6:7]
	v_lshl_add_u64 v[58:59], v[20:21], 0, v[2:3]
	;; [unrolled: 1-line block ×3, first 2 shown]
	s_load_dword s0, s[0:1], 0x1c
	v_cmp_eq_u32_e32 vcc, 0, v39
	v_mov_b32_e32 v41, 0xff7fffff
	s_waitcnt vmcnt(4)
	v_cvt_pk_f32_fp8_e32 v[24:25], v10
	v_cvt_pk_f32_fp8_sdwa v[26:27], v10 src0_sel:WORD_1
	v_cvt_pk_f32_fp8_e32 v[28:29], v11
	v_cvt_pk_f32_fp8_sdwa v[30:31], v11 src0_sel:WORD_1
	s_waitcnt vmcnt(3)
	v_cvt_pk_f32_fp8_e32 v[32:33], v12
	v_cvt_pk_f32_fp8_sdwa v[50:51], v12 src0_sel:WORD_1
	v_cvt_pk_f32_fp8_e32 v[52:53], v13
	v_cvt_pk_f32_fp8_sdwa v[54:55], v13 src0_sel:WORD_1
	global_load_dwordx4 v[10:13], v[4:5], off offset:2048
	v_perm_b32 v79, v51, v50, s8
	v_perm_b32 v80, v53, v52, s8
	;; [unrolled: 1-line block ×3, first 2 shown]
	global_load_dwordx4 v[50:53], v[4:5], off offset:3072
	global_load_dwordx4 v[54:57], v[4:5], off offset:3584
	v_cvt_pk_f32_fp8_e32 v[6:7], v8
	v_cvt_pk_f32_fp8_sdwa v[20:21], v8 src0_sel:WORD_1
	v_cvt_pk_f32_fp8_e32 v[22:23], v9
	v_cvt_pk_f32_fp8_sdwa v[8:9], v9 src0_sel:WORD_1
	v_perm_b32 v6, v7, v6, s8
	v_perm_b32 v7, v21, v20, s8
	;; [unrolled: 1-line block ×4, first 2 shown]
	v_mfma_f32_4x4x4_16b_bf16 a[0:3], v[34:35], v[6:7], 0 cbsz:4
	v_perm_b32 v8, v25, v24, s8
	v_perm_b32 v9, v27, v26, s8
	v_mfma_f32_4x4x4_16b_bf16 a[0:3], v[36:37], v[20:21], a[0:3] cbsz:4
	v_perm_b32 v26, v29, v28, s8
	v_perm_b32 v27, v31, v30, s8
	v_mfma_f32_4x4x4_16b_bf16 a[0:3], v[34:35], v[8:9], a[0:3] cbsz:4 abid:1
	v_cvt_pk_f32_fp8_e32 v[60:61], v14
	v_cvt_pk_f32_fp8_sdwa v[62:63], v14 src0_sel:WORD_1
	v_mfma_f32_4x4x4_16b_bf16 a[0:3], v[36:37], v[26:27], a[0:3] cbsz:4 abid:1
	v_perm_b32 v78, v33, v32, s8
	v_cvt_pk_f32_fp8_e32 v[64:65], v15
	v_cvt_pk_f32_fp8_sdwa v[14:15], v15 src0_sel:WORD_1
	v_mfma_f32_4x4x4_16b_bf16 a[0:3], v[34:35], v[78:79], a[0:3] cbsz:4 abid:2
	s_waitcnt vmcnt(5)
	v_cvt_pk_f32_fp8_e32 v[66:67], v16
	v_cvt_pk_f32_fp8_sdwa v[68:69], v16 src0_sel:WORD_1
	v_mfma_f32_4x4x4_16b_bf16 a[0:3], v[36:37], v[80:81], a[0:3] cbsz:4 abid:2
	v_perm_b32 v4, v61, v60, s8
	v_perm_b32 v5, v63, v62, s8
	v_cvt_pk_f32_fp8_e32 v[70:71], v17
	v_cvt_pk_f32_fp8_sdwa v[16:17], v17 src0_sel:WORD_1
	v_mfma_f32_4x4x4_16b_bf16 a[0:3], v[34:35], v[4:5], a[0:3] cbsz:4 abid:3
	v_perm_b32 v60, v65, v64, s8
	v_perm_b32 v61, v15, v14, s8
	;; [unrolled: 5-line block ×4, first 2 shown]
	s_waitcnt vmcnt(4)
	v_cvt_pk_f32_fp8_e32 v[68:69], v42
	v_cvt_pk_f32_fp8_sdwa v[6:7], v42 src0_sel:WORD_1
	v_mfma_f32_4x4x4_16b_bf16 a[0:3], v[36:37], v[64:65], a[0:3] cbsz:4 abid:4
	v_perm_b32 v66, v73, v72, s8
	v_perm_b32 v67, v75, v74, s8
	global_load_dwordx4 v[14:17], v[58:59], off offset:16
	global_load_dwordx4 v[22:25], v[58:59], off
	v_mfma_f32_4x4x4_16b_bf16 a[0:3], v[34:35], v[66:67], a[0:3] cbsz:4 abid:5
	v_perm_b32 v70, v77, v76, s8
	v_perm_b32 v71, v19, v18, s8
	global_load_dwordx4 v[26:29], v[2:3], off offset:16
	global_load_dwordx4 v[30:33], v[2:3], off
	v_perm_b32 v68, v69, v68, s8
	v_perm_b32 v69, v7, v6, s8
	global_load_dwordx4 v[6:9], v[2:3], off offset:2064
	global_load_dwordx4 v[18:21], v[2:3], off offset:2048
	v_cvt_pk_f32_fp8_e32 v[2:3], v43
	v_cvt_pk_f32_fp8_sdwa v[4:5], v43 src0_sel:WORD_1
	v_mfma_f32_4x4x4_16b_bf16 a[0:3], v[36:37], v[70:71], a[0:3] cbsz:4 abid:5
	v_cvt_pk_f32_fp8_e32 v[42:43], v44
	v_cvt_pk_f32_fp8_sdwa v[60:61], v44 src0_sel:WORD_1
	v_mfma_f32_4x4x4_16b_bf16 a[0:3], v[34:35], v[68:69], a[0:3] cbsz:4 abid:6
	v_perm_b32 v2, v3, v2, s8
	v_perm_b32 v3, v5, v4, s8
	v_cvt_pk_f32_fp8_e32 v[62:63], v45
	v_perm_b32 v4, v43, v42, s8
	v_mfma_f32_4x4x4_16b_bf16 a[0:3], v[36:37], v[2:3], a[0:3] cbsz:4 abid:6
	v_cvt_pk_f32_fp8_sdwa v[2:3], v45 src0_sel:WORD_1
	v_perm_b32 v5, v61, v60, s8
	v_perm_b32 v42, v63, v62, s8
	;; [unrolled: 1-line block ×3, first 2 shown]
	v_mfma_f32_4x4x4_16b_bf16 a[0:3], v[34:35], v[4:5], a[0:3] cbsz:4 abid:7
	s_waitcnt vmcnt(8)
	v_cvt_pk_f32_fp8_e32 v[2:3], v10
	v_mfma_f32_4x4x4_16b_bf16 a[0:3], v[36:37], v[42:43], a[0:3] cbsz:4 abid:7
	v_cvt_pk_f32_fp8_sdwa v[4:5], v10 src0_sel:WORD_1
	v_cvt_pk_f32_fp8_e32 v[42:43], v11
	v_cvt_pk_f32_fp8_sdwa v[10:11], v11 src0_sel:WORD_1
	v_perm_b32 v2, v3, v2, s8
	v_perm_b32 v3, v5, v4, s8
	;; [unrolled: 1-line block ×3, first 2 shown]
	v_cvt_pk_f32_fp8_e32 v[42:43], v12
	v_cvt_pk_f32_fp8_sdwa v[44:45], v12 src0_sel:WORD_1
	v_mfma_f32_4x4x4_16b_bf16 a[0:3], v[34:35], v[2:3], a[0:3] cbsz:4 abid:8
	v_perm_b32 v5, v11, v10, s8
	v_cvt_pk_f32_fp8_e32 v[60:61], v13
	v_cvt_pk_f32_fp8_sdwa v[62:63], v13 src0_sel:WORD_1
	v_mfma_f32_4x4x4_16b_bf16 a[0:3], v[36:37], v[4:5], a[0:3] cbsz:4 abid:8
	v_perm_b32 v42, v43, v42, s8
	v_perm_b32 v43, v45, v44, s8
	;; [unrolled: 1-line block ×4, first 2 shown]
	v_mfma_f32_4x4x4_16b_bf16 a[0:3], v[34:35], v[42:43], a[0:3] cbsz:4 abid:9
	v_cvt_pk_f32_fp8_e32 v[42:43], v46
	global_load_dwordx4 v[2:5], v[58:59], off offset:2064
	global_load_dwordx4 v[10:13], v[58:59], off offset:2048
	v_mfma_f32_4x4x4_16b_bf16 a[0:3], v[36:37], v[44:45], a[0:3] cbsz:4 abid:9
	v_cvt_pk_f32_fp8_sdwa v[44:45], v46 src0_sel:WORD_1
	v_cvt_pk_f32_fp8_e32 v[58:59], v47
	v_cvt_pk_f32_fp8_sdwa v[46:47], v47 src0_sel:WORD_1
	v_perm_b32 v42, v43, v42, s8
	v_perm_b32 v43, v45, v44, s8
	v_perm_b32 v44, v59, v58, s8
	v_perm_b32 v45, v47, v46, s8
	v_mfma_f32_4x4x4_16b_bf16 a[0:3], v[34:35], v[42:43], a[0:3] cbsz:4 abid:10
	v_cvt_pk_f32_fp8_e32 v[42:43], v48
	v_cvt_pk_f32_fp8_e32 v[46:47], v49
	v_mfma_f32_4x4x4_16b_bf16 a[0:3], v[36:37], v[44:45], a[0:3] cbsz:4 abid:10
	v_cvt_pk_f32_fp8_sdwa v[44:45], v48 src0_sel:WORD_1
	v_cvt_pk_f32_fp8_sdwa v[48:49], v49 src0_sel:WORD_1
	v_perm_b32 v42, v43, v42, s8
	s_load_dword s1, s[12:13], 0x0
	v_perm_b32 v43, v45, v44, s8
	v_perm_b32 v44, v47, v46, s8
	;; [unrolled: 1-line block ×3, first 2 shown]
	v_mfma_f32_4x4x4_16b_bf16 a[0:3], v[34:35], v[42:43], a[0:3] cbsz:4 abid:11
	s_waitcnt vmcnt(9)
	v_cvt_pk_f32_fp8_e32 v[42:43], v50
	v_cvt_pk_f32_fp8_e32 v[46:47], v51
	v_mfma_f32_4x4x4_16b_bf16 a[0:3], v[36:37], v[44:45], a[0:3] cbsz:4 abid:11
	v_cvt_pk_f32_fp8_sdwa v[44:45], v50 src0_sel:WORD_1
	v_cvt_pk_f32_fp8_sdwa v[48:49], v51 src0_sel:WORD_1
	v_perm_b32 v42, v43, v42, s8
	v_perm_b32 v43, v45, v44, s8
	;; [unrolled: 1-line block ×3, first 2 shown]
	s_nop 0
	v_mfma_f32_4x4x4_16b_bf16 a[0:3], v[34:35], v[42:43], a[0:3] cbsz:4 abid:12
	v_perm_b32 v45, v49, v48, s8
	v_cvt_pk_f32_fp8_e32 v[42:43], v52
	v_cvt_pk_f32_fp8_e32 v[46:47], v53
	v_mfma_f32_4x4x4_16b_bf16 a[0:3], v[36:37], v[44:45], a[0:3] cbsz:4 abid:12
	v_cvt_pk_f32_fp8_sdwa v[44:45], v52 src0_sel:WORD_1
	v_cvt_pk_f32_fp8_sdwa v[48:49], v53 src0_sel:WORD_1
	v_perm_b32 v42, v43, v42, s8
	v_perm_b32 v43, v45, v44, s8
	;; [unrolled: 1-line block ×3, first 2 shown]
	s_nop 0
	v_mfma_f32_4x4x4_16b_bf16 a[0:3], v[34:35], v[42:43], a[0:3] cbsz:4 abid:13
	v_perm_b32 v45, v49, v48, s8
	s_waitcnt vmcnt(8)
	v_cvt_pk_f32_fp8_e32 v[42:43], v54
	v_cvt_pk_f32_fp8_e32 v[46:47], v55
	v_mfma_f32_4x4x4_16b_bf16 a[0:3], v[36:37], v[44:45], a[0:3] cbsz:4 abid:13
	v_cvt_pk_f32_fp8_sdwa v[44:45], v54 src0_sel:WORD_1
	v_cvt_pk_f32_fp8_sdwa v[48:49], v55 src0_sel:WORD_1
	v_perm_b32 v42, v43, v42, s8
	v_perm_b32 v43, v45, v44, s8
	;; [unrolled: 1-line block ×3, first 2 shown]
	s_nop 0
	v_mfma_f32_4x4x4_16b_bf16 a[0:3], v[34:35], v[42:43], a[0:3] cbsz:4 abid:14
	v_perm_b32 v45, v49, v48, s8
	v_cvt_pk_f32_fp8_e32 v[42:43], v56
	v_cvt_pk_f32_fp8_e32 v[46:47], v57
	v_mfma_f32_4x4x4_16b_bf16 a[0:3], v[36:37], v[44:45], a[0:3] cbsz:4 abid:14
	v_cvt_pk_f32_fp8_sdwa v[44:45], v56 src0_sel:WORD_1
	v_cvt_pk_f32_fp8_sdwa v[48:49], v57 src0_sel:WORD_1
	v_perm_b32 v42, v43, v42, s8
	v_perm_b32 v43, v45, v44, s8
	;; [unrolled: 1-line block ×3, first 2 shown]
	s_nop 0
	v_mfma_f32_4x4x4_16b_bf16 a[0:3], v[34:35], v[42:43], a[0:3] cbsz:4 abid:15
	v_perm_b32 v45, v49, v48, s8
	s_waitcnt lgkmcnt(0)
	v_mov_b32_e32 v34, s0
	v_mfma_f32_4x4x4_16b_bf16 a[0:3], v[36:37], v[44:45], a[0:3] cbsz:4 abid:15
	v_mul_f32_e32 v36, s1, v34
	s_nop 3
	v_accvgpr_read_b32 v43, a1
	v_accvgpr_read_b32 v42, a0
	v_pk_mul_f32 v[42:43], v[42:43], v[36:37] op_sel_hi:[1,0]
	v_accvgpr_read_b32 v35, a3
	v_accvgpr_read_b32 v34, a2
	v_pk_mul_f32 v[34:35], v[34:35], v[36:37] op_sel_hi:[1,0]
	v_cndmask_b32_e64 v36, 0, 1.0, vcc
	v_cmp_eq_u32_e32 vcc, 1, v39
	s_nop 0
	v_mfma_f32_4x4x1_16b_f32 a[0:3], v42, v36, 0
	v_cndmask_b32_e64 v36, 0, 1.0, vcc
	v_cmp_eq_u32_e32 vcc, 2, v39
	s_nop 0
	v_mfma_f32_4x4x1_16b_f32 a[0:3], v43, v36, a[0:3]
	;; [unrolled: 4-line block ×3, first 2 shown]
	v_cndmask_b32_e64 v34, 0, 1.0, vcc
	s_nop 1
	v_mfma_f32_4x4x1_16b_f32 a[0:3], v35, v34, a[0:3]
	v_and_b32_e32 v34, -4, v40
	v_cmp_gt_i32_e32 vcc, s3, v34
	v_lshlrev_b32_e32 v35, 2, v0
	v_and_or_b32 v35, v35, 48, v39
	v_accvgpr_read_b32 v36, a0
	v_max_f32_e32 v37, v36, v36
	v_max_f32_e32 v37, 0xff7fffff, v37
	v_accvgpr_read_b32 v42, a1
	v_cndmask_b32_e32 v37, v41, v37, vcc
	v_or_b32_e32 v41, 1, v34
	v_max_f32_e32 v43, v42, v42
	v_max_f32_e32 v43, v37, v43
	v_cmp_gt_i32_e64 s[0:1], s3, v41
	v_or_b32_e32 v34, 2, v34
	v_cmp_gt_i32_e64 s[8:9], s3, v34
	v_cndmask_b32_e64 v37, v37, v43, s[0:1]
	v_accvgpr_read_b32 v43, a2
	v_max_f32_e32 v41, v43, v43
	v_max_f32_e32 v41, v37, v41
	v_cndmask_b32_e64 v34, v37, v41, s[8:9]
	v_or_b32_e32 v37, 3, v40
	v_accvgpr_read_b32 v40, a3
	v_max_f32_e32 v41, v40, v40
	v_max_f32_e32 v41, v34, v41
	v_cmp_gt_i32_e64 s[10:11], s3, v37
	v_lshlrev_b32_e32 v44, 2, v35
	s_nop 0
	v_cndmask_b32_e64 v34, v34, v41, s[10:11]
	;;#ASMSTART
	v_nop
 v_nop
 v_max_f32_dpp v34, v34, v34 row_ror:4
	;;#ASMEND
	s_nop 0
	;;#ASMSTART
	v_nop
 v_nop
 v_max_f32_dpp v34, v34, v34 row_ror:8
	;;#ASMEND
	ds_bpermute_b32 v34, v44, v34
	s_waitcnt lgkmcnt(0)
	;;#ASMSTART
	v_nop
 v_nop
 v_max_f32_dpp v34, v34, v34 row_ror:4
	;;#ASMEND
	s_nop 0
	;;#ASMSTART
	v_nop
 v_nop
 v_max_f32_dpp v41, v34, v34 row_ror:8
	;;#ASMEND
	s_nop 0
	v_sub_f32_e32 v34, v36, v41
	v_mul_f32_e32 v34, 0x3fb8aa3b, v34
	v_sub_f32_e32 v35, v42, v41
	v_exp_f32_e32 v34, v34
	v_mul_f32_e32 v35, 0x3fb8aa3b, v35
	v_sub_f32_e32 v37, v43, v41
	v_exp_f32_e32 v35, v35
	;; [unrolled: 3-line block ×3, first 2 shown]
	v_mul_f32_e32 v40, 0x3fb8aa3b, v40
	v_exp_f32_e32 v40, v40
	v_cndmask_b32_e32 v34, 0, v34, vcc
	v_add_f32_e32 v36, 0, v34
	v_cndmask_b32_e64 v35, 0, v35, s[0:1]
	v_add_f32_e32 v42, v36, v35
	v_cndmask_b32_e64 v36, 0, v37, s[8:9]
	;; [unrolled: 2-line block ×3, first 2 shown]
	v_add_f32_e32 v40, v42, v37
	;;#ASMSTART
	v_nop
 v_nop
 v_add_f32_dpp v40, v40, v40 row_ror:4
	;;#ASMEND
	v_cmp_gt_u32_e32 vcc, 4, v1
	;;#ASMSTART
	v_nop
 v_nop
 v_add_f32_dpp v40, v40, v40 row_ror:8
	;;#ASMEND
	ds_bpermute_b32 v40, v44, v40
	s_waitcnt lgkmcnt(0)
	;;#ASMSTART
	v_nop
 v_nop
 v_add_f32_dpp v40, v40, v40 row_ror:4
	;;#ASMEND
	s_nop 0
	;;#ASMSTART
	v_nop
 v_nop
 v_add_f32_dpp v40, v40, v40 row_ror:8
	;;#ASMEND
	s_and_saveexec_b64 s[0:1], vcc
	s_cbranch_execz .LBB1389_16
; %bb.15:
	v_mul_u32_u24_e32 v42, 20, v38
	v_lshl_add_u32 v42, v39, 2, v42
	v_add_u32_e32 v42, 0x1400, v42
	ds_write2_b32 v42, v41, v40 offset1:20
.LBB1389_16:
	s_or_b64 exec, exec, s[0:1]
.LBB1389_17:
	s_or_b64 exec, exec, s[30:31]
	s_waitcnt lgkmcnt(0)
	s_barrier
	s_load_dword s0, s[28:29], 0x8
	v_lshlrev_b32_e32 v40, 2, v39
	v_add_u32_e32 v40, 0x1400, v40
	ds_read2_b32 v[44:45], v40 offset1:5
	ds_read2_b32 v[46:47], v40 offset0:10 offset1:15
	s_mul_i32 s1, s2, s5
	s_waitcnt lgkmcnt(0)
	s_mul_i32 s1, s1, s0
	s_lshl_b32 s0, s1, 1
	s_mov_b32 s1, 0xff7fffff
	v_max3_f32 v42, v44, s1, v45
	v_max3_f32 v42, v42, v46, v47
	v_sub_f32_e32 v43, v44, v42
	v_sub_f32_e32 v44, v45, v42
	ds_read2_b32 v[48:49], v40 offset0:20 offset1:25
	v_mul_f32_e32 v43, 0x3fb8aa3b, v43
	v_mul_f32_e32 v44, 0x3fb8aa3b, v44
	v_exp_f32_e32 v43, v43
	v_exp_f32_e32 v50, v44
	ds_read2_b32 v[44:45], v40 offset0:30 offset1:35
	v_sub_f32_e32 v40, v46, v42
	v_mul_f32_e32 v40, 0x3fb8aa3b, v40
	v_sub_f32_e32 v46, v47, v42
	v_exp_f32_e32 v40, v40
	v_mul_f32_e32 v46, 0x3fb8aa3b, v46
	v_exp_f32_e32 v46, v46
	s_waitcnt lgkmcnt(1)
	v_fma_f32 v43, v43, v48, 0
	v_fmac_f32_e32 v43, v50, v49
	s_waitcnt lgkmcnt(0)
	v_fmac_f32_e32 v43, v40, v44
	s_lshl_b32 s8, s4, 1
	v_fmac_f32_e32 v43, v46, v45
	v_cmp_gt_u32_e32 vcc, 2, v39
	s_and_saveexec_b64 s[2:3], vcc
	s_cbranch_execz .LBB1389_19
; %bb.18:
	s_mov_b32 s1, 0
	s_lshl_b64 s[10:11], s[0:1], 2
	s_add_u32 s4, s16, s10
	s_mov_b32 s25, s1
	s_addc_u32 s9, s17, s11
	s_lshl_b64 s[12:13], s[24:25], 2
	s_add_u32 s16, s4, s12
	s_addc_u32 s17, s9, s13
	s_add_u32 s1, s18, s10
	s_addc_u32 s4, s19, s11
	v_or_b32_e32 v39, s8, v39
	s_add_u32 s10, s1, s12
	v_mul_lo_u32 v44, s5, v39
	v_mov_b32_e32 v45, 0
	s_addc_u32 s11, s4, s13
	v_lshlrev_b64 v[44:45], 2, v[44:45]
	v_lshl_add_u64 v[46:47], s[16:17], 0, v[44:45]
	v_lshl_add_u64 v[44:45], s[10:11], 0, v[44:45]
	global_store_dword v[44:45], v42, off
	global_store_dword v[46:47], v43, off
.LBB1389_19:
	s_or_b64 exec, exec, s[2:3]
	v_lshlrev_b32_e32 v40, 3, v38
                                        ; implicit-def: $sgpr1
	s_and_saveexec_b64 s[2:3], s[6:7]
	s_xor_b64 s[2:3], exec, s[2:3]
	s_cbranch_execz .LBB1389_21
; %bb.20:
	s_waitcnt vmcnt(1)
	v_mov_b32_e32 v2, 0
	v_mad_u32_u24 v4, v1, 40, v40
	s_mov_b32 s1, 0
	v_mov_b32_e32 v3, v2
	ds_write_b64 v4, v[2:3]
                                        ; implicit-def: $vgpr37
                                        ; implicit-def: $vgpr35
                                        ; implicit-def: $vgpr41
                                        ; implicit-def: $vgpr30_vgpr31
                                        ; implicit-def: $vgpr26_vgpr27
                                        ; implicit-def: $vgpr22_vgpr23
                                        ; implicit-def: $vgpr14_vgpr15
                                        ; implicit-def: $vgpr18_vgpr19
                                        ; implicit-def: $vgpr6_vgpr7
                                        ; implicit-def: $vgpr10_vgpr11
                                        ; implicit-def: $vgpr2_vgpr3
                                        ; implicit-def: $vgpr42
                                        ; implicit-def: $vgpr43
.LBB1389_21:
	s_or_saveexec_b64 s[2:3], s[2:3]
	v_mov_b32_e32 v38, s1
	v_mov_b32_e32 v39, s1
	s_xor_b64 exec, exec, s[2:3]
	s_cbranch_execz .LBB1389_23
; %bb.22:
	v_add_f32_e32 v38, 0x358637bd, v43
	v_div_scale_f32 v39, s[6:7], v38, v38, 1.0
	v_rcp_f32_e32 v43, v39
	v_sub_f32_e32 v41, v41, v42
	v_mul_f32_e32 v41, 0x3fb8aa3b, v41
	v_exp_f32_e32 v41, v41
	v_fma_f32 v42, -v39, v43, 1.0
	v_fmac_f32_e32 v43, v42, v43
	v_div_scale_f32 v42, vcc, 1.0, v38, 1.0
	v_mul_f32_e32 v44, v42, v43
	v_fma_f32 v45, -v39, v44, v42
	v_fmac_f32_e32 v44, v45, v43
	v_fma_f32 v39, -v39, v44, v42
	v_div_fmas_f32 v39, v39, v43, v44
	v_div_fixup_f32 v38, v39, v38, 1.0
	v_mul_f32_e32 v38, v41, v38
	v_pk_mul_f32 v[34:35], v[34:35], v[38:39] op_sel_hi:[1,0]
	v_pk_mul_f32 v[36:37], v[36:37], v[38:39] op_sel_hi:[1,0]
	v_bfe_u32 v38, v35, 16, 1
	v_bfe_u32 v39, v34, 16, 1
	s_movk_i32 s1, 0x7fff
	v_add3_u32 v34, v34, v39, s1
	v_add3_u32 v35, v35, v38, s1
	s_mov_b32 s6, 0x7060302
	v_perm_b32 v34, v35, v34, s6
	v_bfe_u32 v35, v37, 16, 1
	v_bfe_u32 v38, v36, 16, 1
	v_add3_u32 v36, v36, v38, s1
	v_add3_u32 v35, v37, v35, s1
	v_perm_b32 v35, v35, v36, s6
	s_waitcnt vmcnt(4)
	v_cvt_pk_f32_fp8_e32 v[36:37], v30
	v_cvt_pk_f32_fp8_sdwa v[38:39], v30 src0_sel:WORD_1
	v_cvt_pk_f32_fp8_e32 v[42:43], v31
	v_cvt_pk_f32_fp8_sdwa v[30:31], v31 src0_sel:WORD_1
	v_perm_b32 v36, v37, v36, s6
	v_perm_b32 v37, v39, v38, s6
	;; [unrolled: 1-line block ×4, first 2 shown]
	v_mfma_f32_4x4x4_16b_bf16 a[0:3], v[34:35], v[36:37], 0 cbsz:4
	v_cvt_pk_f32_fp8_e32 v[30:31], v32
	v_cvt_pk_f32_fp8_sdwa v[36:37], v32 src0_sel:WORD_1
	v_mfma_f32_4x4x4_16b_bf16 a[0:3], v[34:35], v[38:39], a[0:3] cbsz:4 abid:1
	v_cvt_pk_f32_fp8_e32 v[38:39], v33
	v_cvt_pk_f32_fp8_sdwa v[32:33], v33 src0_sel:WORD_1
	v_perm_b32 v30, v31, v30, s6
	v_perm_b32 v31, v37, v36, s6
	v_perm_b32 v36, v39, v38, s6
	v_perm_b32 v37, v33, v32, s6
	v_mfma_f32_4x4x4_16b_bf16 a[0:3], v[34:35], v[30:31], a[0:3] cbsz:4 abid:2
	v_cvt_pk_f32_fp8_e32 v[30:31], v26
	v_cvt_pk_f32_fp8_sdwa v[32:33], v26 src0_sel:WORD_1
	v_mfma_f32_4x4x4_16b_bf16 a[0:3], v[34:35], v[36:37], a[0:3] cbsz:4 abid:3
	v_cvt_pk_f32_fp8_e32 v[36:37], v27
	v_cvt_pk_f32_fp8_sdwa v[26:27], v27 src0_sel:WORD_1
	v_perm_b32 v30, v31, v30, s6
	v_perm_b32 v31, v33, v32, s6
	v_perm_b32 v32, v37, v36, s6
	v_perm_b32 v33, v27, v26, s6
	v_mfma_f32_4x4x4_16b_bf16 a[0:3], v[34:35], v[30:31], a[0:3] cbsz:4 abid:4
	;; [unrolled: 10-line block ×6, first 2 shown]
	v_cvt_pk_f32_fp8_e32 v[14:15], v16
	v_cvt_pk_f32_fp8_sdwa v[22:23], v16 src0_sel:WORD_1
	v_mfma_f32_4x4x4_16b_bf16 a[0:3], v[34:35], v[24:25], a[0:3] cbsz:4 abid:13
	v_cvt_pk_f32_fp8_e32 v[24:25], v17
	v_cvt_pk_f32_fp8_sdwa v[16:17], v17 src0_sel:WORD_1
	v_perm_b32 v14, v15, v14, s6
	v_perm_b32 v15, v23, v22, s6
	s_load_dword s4, s[14:15], 0x0
	v_perm_b32 v22, v25, v24, s6
	v_mfma_f32_4x4x4_16b_bf16 a[0:3], v[34:35], v[14:15], a[0:3] cbsz:4 abid:14
	v_perm_b32 v23, v17, v16, s6
	s_nop 1
	v_mfma_f32_4x4x4_16b_bf16 a[0:3], v[34:35], v[22:23], a[0:3] cbsz:4 abid:15
	s_nop 4
	v_accvgpr_read_b32 v17, a1
	v_accvgpr_read_b32 v16, a0
	s_waitcnt lgkmcnt(0)
	v_pk_mul_f32 v[16:17], v[16:17], s[4:5] op_sel_hi:[1,0]
	v_accvgpr_read_b32 v15, a3
	v_accvgpr_read_b32 v14, a2
	v_bfe_u32 v22, v17, 16, 1
	v_bfe_u32 v23, v16, 16, 1
	v_pk_mul_f32 v[14:15], v[14:15], s[4:5] op_sel_hi:[1,0]
	v_add3_u32 v16, v16, v23, s1
	v_add3_u32 v17, v17, v22, s1
	v_perm_b32 v16, v17, v16, s6
	v_bfe_u32 v17, v15, 16, 1
	v_bfe_u32 v22, v14, 16, 1
	v_add3_u32 v14, v14, v22, s1
	v_add3_u32 v15, v15, v17, s1
	v_perm_b32 v17, v15, v14, s6
	v_mad_u32_u24 v14, v1, 40, v40
	ds_write_b64 v14, v[16:17]
	s_waitcnt vmcnt(2)
	v_cvt_pk_f32_fp8_e32 v[14:15], v18
	v_cvt_pk_f32_fp8_sdwa v[16:17], v18 src0_sel:WORD_1
	v_cvt_pk_f32_fp8_e32 v[22:23], v19
	v_cvt_pk_f32_fp8_sdwa v[18:19], v19 src0_sel:WORD_1
	v_perm_b32 v14, v15, v14, s6
	v_perm_b32 v15, v17, v16, s6
	;; [unrolled: 1-line block ×4, first 2 shown]
	v_mfma_f32_4x4x4_16b_bf16 a[0:3], v[34:35], v[14:15], 0 cbsz:4
	v_cvt_pk_f32_fp8_e32 v[14:15], v20
	v_cvt_pk_f32_fp8_e32 v[18:19], v21
	v_mfma_f32_4x4x4_16b_bf16 a[0:3], v[34:35], v[16:17], a[0:3] cbsz:4 abid:1
	v_cvt_pk_f32_fp8_sdwa v[16:17], v20 src0_sel:WORD_1
	v_cvt_pk_f32_fp8_sdwa v[20:21], v21 src0_sel:WORD_1
	v_perm_b32 v14, v15, v14, s6
	v_perm_b32 v15, v17, v16, s6
	;; [unrolled: 1-line block ×3, first 2 shown]
	s_nop 0
	v_mfma_f32_4x4x4_16b_bf16 a[0:3], v[34:35], v[14:15], a[0:3] cbsz:4 abid:2
	v_perm_b32 v17, v21, v20, s6
	v_cvt_pk_f32_fp8_e32 v[14:15], v6
	v_cvt_pk_f32_fp8_e32 v[18:19], v7
	v_mfma_f32_4x4x4_16b_bf16 a[0:3], v[34:35], v[16:17], a[0:3] cbsz:4 abid:3
	v_cvt_pk_f32_fp8_sdwa v[16:17], v6 src0_sel:WORD_1
	v_cvt_pk_f32_fp8_sdwa v[6:7], v7 src0_sel:WORD_1
	v_perm_b32 v14, v15, v14, s6
	v_perm_b32 v15, v17, v16, s6
	;; [unrolled: 1-line block ×3, first 2 shown]
	s_nop 0
	v_mfma_f32_4x4x4_16b_bf16 a[0:3], v[34:35], v[14:15], a[0:3] cbsz:4 abid:4
	v_perm_b32 v17, v7, v6, s6
	v_cvt_pk_f32_fp8_e32 v[6:7], v8
	v_cvt_pk_f32_fp8_sdwa v[14:15], v8 src0_sel:WORD_1
	v_mfma_f32_4x4x4_16b_bf16 a[0:3], v[34:35], v[16:17], a[0:3] cbsz:4 abid:5
	v_cvt_pk_f32_fp8_e32 v[16:17], v9
	v_cvt_pk_f32_fp8_sdwa v[8:9], v9 src0_sel:WORD_1
	v_perm_b32 v6, v7, v6, s6
	v_perm_b32 v7, v15, v14, s6
	;; [unrolled: 1-line block ×4, first 2 shown]
	v_mfma_f32_4x4x4_16b_bf16 a[0:3], v[34:35], v[6:7], a[0:3] cbsz:4 abid:6
	s_waitcnt vmcnt(0)
	v_cvt_pk_f32_fp8_e32 v[6:7], v10
	v_cvt_pk_f32_fp8_sdwa v[8:9], v10 src0_sel:WORD_1
	v_mfma_f32_4x4x4_16b_bf16 a[0:3], v[34:35], v[14:15], a[0:3] cbsz:4 abid:7
	v_cvt_pk_f32_fp8_e32 v[14:15], v11
	v_cvt_pk_f32_fp8_sdwa v[10:11], v11 src0_sel:WORD_1
	v_perm_b32 v6, v7, v6, s6
	v_perm_b32 v7, v9, v8, s6
	;; [unrolled: 1-line block ×4, first 2 shown]
	v_mfma_f32_4x4x4_16b_bf16 a[0:3], v[34:35], v[6:7], a[0:3] cbsz:4 abid:8
	v_cvt_pk_f32_fp8_e32 v[6:7], v12
	v_cvt_pk_f32_fp8_e32 v[10:11], v13
	v_mfma_f32_4x4x4_16b_bf16 a[0:3], v[34:35], v[8:9], a[0:3] cbsz:4 abid:9
	v_cvt_pk_f32_fp8_sdwa v[8:9], v12 src0_sel:WORD_1
	v_cvt_pk_f32_fp8_sdwa v[12:13], v13 src0_sel:WORD_1
	v_perm_b32 v6, v7, v6, s6
	v_perm_b32 v7, v9, v8, s6
	;; [unrolled: 1-line block ×3, first 2 shown]
	s_nop 0
	v_mfma_f32_4x4x4_16b_bf16 a[0:3], v[34:35], v[6:7], a[0:3] cbsz:4 abid:10
	v_perm_b32 v9, v13, v12, s6
	v_cvt_pk_f32_fp8_e32 v[6:7], v2
	v_cvt_pk_f32_fp8_e32 v[10:11], v3
	v_mfma_f32_4x4x4_16b_bf16 a[0:3], v[34:35], v[8:9], a[0:3] cbsz:4 abid:11
	v_cvt_pk_f32_fp8_sdwa v[8:9], v2 src0_sel:WORD_1
	v_cvt_pk_f32_fp8_sdwa v[2:3], v3 src0_sel:WORD_1
	v_perm_b32 v6, v7, v6, s6
	v_perm_b32 v7, v9, v8, s6
	;; [unrolled: 1-line block ×3, first 2 shown]
	s_nop 0
	v_mfma_f32_4x4x4_16b_bf16 a[0:3], v[34:35], v[6:7], a[0:3] cbsz:4 abid:12
	v_cvt_pk_f32_fp8_e32 v[2:3], v4
	v_cvt_pk_f32_fp8_sdwa v[6:7], v4 src0_sel:WORD_1
	v_perm_b32 v8, v11, v10, s6
	v_perm_b32 v2, v3, v2, s6
	s_nop 0
	v_mfma_f32_4x4x4_16b_bf16 a[0:3], v[34:35], v[8:9], a[0:3] cbsz:4 abid:13
	v_cvt_pk_f32_fp8_e32 v[8:9], v5
	v_cvt_pk_f32_fp8_sdwa v[4:5], v5 src0_sel:WORD_1
	v_perm_b32 v3, v7, v6, s6
	v_perm_b32 v6, v9, v8, s6
	s_nop 0
	v_mfma_f32_4x4x4_16b_bf16 a[0:3], v[34:35], v[2:3], a[0:3] cbsz:4 abid:14
	v_perm_b32 v7, v5, v4, s6
	s_nop 1
	v_mfma_f32_4x4x4_16b_bf16 a[0:3], v[34:35], v[6:7], a[0:3] cbsz:4 abid:15
	s_nop 4
	v_accvgpr_read_b32 v5, a1
	v_accvgpr_read_b32 v4, a0
	v_accvgpr_read_b32 v3, a3
	v_accvgpr_read_b32 v2, a2
	v_pk_mul_f32 v[4:5], v[4:5], s[4:5] op_sel_hi:[1,0]
	v_pk_mul_f32 v[2:3], v[2:3], s[4:5] op_sel_hi:[1,0]
	v_bfe_u32 v6, v5, 16, 1
	v_bfe_u32 v7, v4, 16, 1
	v_add3_u32 v4, v4, v7, s1
	v_add3_u32 v5, v5, v6, s1
	v_bfe_u32 v6, v3, 16, 1
	v_bfe_u32 v7, v2, 16, 1
	v_add3_u32 v2, v2, v7, s1
	v_add3_u32 v3, v3, v6, s1
	v_perm_b32 v39, v3, v2, s6
	v_perm_b32 v38, v5, v4, s6
.LBB1389_23:
	s_or_b64 exec, exec, s[2:3]
	s_waitcnt vmcnt(1)
	v_mad_u32_u24 v2, v1, 40, v40
	v_cmp_gt_u32_e32 vcc, 64, v0
	ds_write_b64 v2, v[38:39] offset:2560
	s_waitcnt lgkmcnt(0)
	s_barrier
	s_and_saveexec_b64 s[2:3], vcc
	s_cbranch_execz .LBB1389_25
; %bb.24:
	v_mul_u32_u24_e32 v6, 40, v1
	ds_read2_b64 v[2:5], v6 offset1:1
	ds_read2_b64 v[6:9], v6 offset0:2 offset1:3
	s_mov_b32 s1, 0
	s_lshl_b32 s0, s0, 7
	s_lshl_b64 s[2:3], s[0:1], 1
	s_waitcnt lgkmcnt(1)
	v_and_b32_e32 v3, 0xffff0000, v2
	v_add_f32_e32 v3, 0, v3
	v_and_b32_e32 v5, 0xffff0000, v4
	v_and_b32_e32 v3, 0xffff0000, v3
	v_add_f32_e32 v3, v3, v5
	s_waitcnt lgkmcnt(0)
	v_and_b32_e32 v7, 0xffff0000, v6
	v_and_b32_e32 v3, 0xffff0000, v3
	v_add_f32_e32 v3, v3, v7
	v_mov_b32_e32 v7, 0xa00
	v_mad_u32_u24 v7, v1, 40, v7
	s_waitcnt vmcnt(0)
	ds_read2_b64 v[10:13], v7 offset1:1
	v_and_b32_e32 v3, 0xffff0000, v3
	v_and_b32_e32 v5, 0xffff0000, v8
	v_add_f32_e32 v7, v3, v5
	v_mov_b32_e32 v3, 0xa10
	v_mad_u32_u24 v1, v1, 40, v3
	ds_read2_b64 v[14:17], v1 offset1:1
	s_waitcnt lgkmcnt(1)
	v_lshlrev_b32_e32 v1, 16, v10
	v_add_f32_e32 v1, 0, v1
	v_and_b32_e32 v3, 0xffff0000, v10
	v_and_b32_e32 v1, 0xffff0000, v1
	v_add_f32_e32 v3, 0, v3
	v_lshlrev_b32_e32 v5, 16, v12
	v_and_b32_e32 v3, 0xffff0000, v3
	v_add_f32_e32 v1, v1, v5
	v_and_b32_e32 v5, 0xffff0000, v12
	v_and_b32_e32 v1, 0xffff0000, v1
	v_add_f32_e32 v3, v3, v5
	s_waitcnt lgkmcnt(0)
	v_lshlrev_b32_e32 v5, 16, v14
	v_and_b32_e32 v3, 0xffff0000, v3
	v_add_f32_e32 v1, v1, v5
	v_and_b32_e32 v5, 0xffff0000, v14
	v_and_b32_e32 v1, 0xffff0000, v1
	v_add_f32_e32 v3, v3, v5
	v_lshlrev_b32_e32 v5, 16, v16
	v_and_b32_e32 v3, 0xffff0000, v3
	v_add_f32_e32 v9, v1, v5
	v_and_b32_e32 v1, 0xffff0000, v16
	v_add_f32_e32 v10, v3, v1
	v_lshlrev_b32_e32 v1, 16, v2
	s_add_u32 s2, s26, s2
	v_add_f32_e32 v1, 0, v1
	s_addc_u32 s3, s27, s3
	s_lshl_b32 s0, s24, 7
	v_and_b32_e32 v1, 0xffff0000, v1
	v_lshlrev_b32_e32 v2, 16, v4
	s_lshl_b64 s[0:1], s[0:1], 1
	v_add_f32_e32 v1, v1, v2
	s_add_u32 s0, s2, s0
	v_and_b32_e32 v1, 0xffff0000, v1
	v_lshlrev_b32_e32 v2, 16, v6
	s_addc_u32 s1, s3, s1
	s_lshl_b32 s2, s5, 7
	v_add_f32_e32 v1, v1, v2
	v_and_b32_e32 v1, 0xffff0000, v1
	v_lshlrev_b32_e32 v2, 16, v8
	s_mul_i32 s3, s2, s8
	v_add_f32_e32 v1, v1, v2
	v_or_b32_e32 v2, s3, v0
	v_mov_b32_e32 v3, 0
	s_add_i32 s3, s3, s2
	v_lshl_add_u64 v[4:5], v[2:3], 1, s[0:1]
	v_or_b32_e32 v2, s3, v0
	global_store_short_d16_hi v[4:5], v1, off
	v_lshl_add_u64 v[0:1], v[2:3], 1, s[0:1]
	global_store_short_d16_hi v[0:1], v7, off
	global_store_short_d16_hi v[4:5], v9, off offset:128
	global_store_short_d16_hi v[0:1], v10, off offset:128
.LBB1389_25:
	s_endpgm
	.section	.rodata,"a",@progbits
	.p2align	6, 0x0
	.amdhsa_kernel _Z38paged_attention_ll4mi_QKV_mfma4_kernelI14__hip_bfloat16hLN4vllm18Fp8KVCacheDataTypeE1ES0_Li32ELi128ELi256ELb0ELi2EEvPKT_PKT0_S8_ifPKiSA_SA_iPKfiiiPfSD_PS3_PT2_iSC_SC_
		.amdhsa_group_segment_fixed_size 5280
		.amdhsa_private_segment_fixed_size 0
		.amdhsa_kernarg_size 400
		.amdhsa_user_sgpr_count 2
		.amdhsa_user_sgpr_dispatch_ptr 0
		.amdhsa_user_sgpr_queue_ptr 0
		.amdhsa_user_sgpr_kernarg_segment_ptr 1
		.amdhsa_user_sgpr_dispatch_id 0
		.amdhsa_user_sgpr_kernarg_preload_length 0
		.amdhsa_user_sgpr_kernarg_preload_offset 0
		.amdhsa_user_sgpr_private_segment_size 0
		.amdhsa_uses_dynamic_stack 0
		.amdhsa_enable_private_segment 0
		.amdhsa_system_sgpr_workgroup_id_x 1
		.amdhsa_system_sgpr_workgroup_id_y 1
		.amdhsa_system_sgpr_workgroup_id_z 1
		.amdhsa_system_sgpr_workgroup_info 0
		.amdhsa_system_vgpr_workitem_id 0
		.amdhsa_next_free_vgpr 88
		.amdhsa_next_free_sgpr 42
		.amdhsa_accum_offset 84
		.amdhsa_reserve_vcc 1
		.amdhsa_float_round_mode_32 0
		.amdhsa_float_round_mode_16_64 0
		.amdhsa_float_denorm_mode_32 3
		.amdhsa_float_denorm_mode_16_64 3
		.amdhsa_dx10_clamp 1
		.amdhsa_ieee_mode 1
		.amdhsa_fp16_overflow 0
		.amdhsa_tg_split 0
		.amdhsa_exception_fp_ieee_invalid_op 0
		.amdhsa_exception_fp_denorm_src 0
		.amdhsa_exception_fp_ieee_div_zero 0
		.amdhsa_exception_fp_ieee_overflow 0
		.amdhsa_exception_fp_ieee_underflow 0
		.amdhsa_exception_fp_ieee_inexact 0
		.amdhsa_exception_int_div_zero 0
	.end_amdhsa_kernel
	.section	.text._Z38paged_attention_ll4mi_QKV_mfma4_kernelI14__hip_bfloat16hLN4vllm18Fp8KVCacheDataTypeE1ES0_Li32ELi128ELi256ELb0ELi2EEvPKT_PKT0_S8_ifPKiSA_SA_iPKfiiiPfSD_PS3_PT2_iSC_SC_,"axG",@progbits,_Z38paged_attention_ll4mi_QKV_mfma4_kernelI14__hip_bfloat16hLN4vllm18Fp8KVCacheDataTypeE1ES0_Li32ELi128ELi256ELb0ELi2EEvPKT_PKT0_S8_ifPKiSA_SA_iPKfiiiPfSD_PS3_PT2_iSC_SC_,comdat
.Lfunc_end1389:
	.size	_Z38paged_attention_ll4mi_QKV_mfma4_kernelI14__hip_bfloat16hLN4vllm18Fp8KVCacheDataTypeE1ES0_Li32ELi128ELi256ELb0ELi2EEvPKT_PKT0_S8_ifPKiSA_SA_iPKfiiiPfSD_PS3_PT2_iSC_SC_, .Lfunc_end1389-_Z38paged_attention_ll4mi_QKV_mfma4_kernelI14__hip_bfloat16hLN4vllm18Fp8KVCacheDataTypeE1ES0_Li32ELi128ELi256ELb0ELi2EEvPKT_PKT0_S8_ifPKiSA_SA_iPKfiiiPfSD_PS3_PT2_iSC_SC_
                                        ; -- End function
	.section	.AMDGPU.csdata,"",@progbits
; Kernel info:
; codeLenInByte = 5604
; NumSgprs: 48
; NumVgprs: 82
; NumAgprs: 4
; TotalNumVgprs: 88
; ScratchSize: 0
; MemoryBound: 0
; FloatMode: 240
; IeeeMode: 1
; LDSByteSize: 5280 bytes/workgroup (compile time only)
; SGPRBlocks: 5
; VGPRBlocks: 10
; NumSGPRsForWavesPerEU: 48
; NumVGPRsForWavesPerEU: 88
; AccumOffset: 84
; Occupancy: 5
; WaveLimiterHint : 1
; COMPUTE_PGM_RSRC2:SCRATCH_EN: 0
; COMPUTE_PGM_RSRC2:USER_SGPR: 2
; COMPUTE_PGM_RSRC2:TRAP_HANDLER: 0
; COMPUTE_PGM_RSRC2:TGID_X_EN: 1
; COMPUTE_PGM_RSRC2:TGID_Y_EN: 1
; COMPUTE_PGM_RSRC2:TGID_Z_EN: 1
; COMPUTE_PGM_RSRC2:TIDIG_COMP_CNT: 0
; COMPUTE_PGM_RSRC3_GFX90A:ACCUM_OFFSET: 20
; COMPUTE_PGM_RSRC3_GFX90A:TG_SPLIT: 0
	.section	.text._Z38paged_attention_ll4mi_QKV_mfma4_kernelI14__hip_bfloat16hLN4vllm18Fp8KVCacheDataTypeE1ES0_Li32ELi128ELi256ELb0ELi3EEvPKT_PKT0_S8_ifPKiSA_SA_iPKfiiiPfSD_PS3_PT2_iSC_SC_,"axG",@progbits,_Z38paged_attention_ll4mi_QKV_mfma4_kernelI14__hip_bfloat16hLN4vllm18Fp8KVCacheDataTypeE1ES0_Li32ELi128ELi256ELb0ELi3EEvPKT_PKT0_S8_ifPKiSA_SA_iPKfiiiPfSD_PS3_PT2_iSC_SC_,comdat
	.protected	_Z38paged_attention_ll4mi_QKV_mfma4_kernelI14__hip_bfloat16hLN4vllm18Fp8KVCacheDataTypeE1ES0_Li32ELi128ELi256ELb0ELi3EEvPKT_PKT0_S8_ifPKiSA_SA_iPKfiiiPfSD_PS3_PT2_iSC_SC_ ; -- Begin function _Z38paged_attention_ll4mi_QKV_mfma4_kernelI14__hip_bfloat16hLN4vllm18Fp8KVCacheDataTypeE1ES0_Li32ELi128ELi256ELb0ELi3EEvPKT_PKT0_S8_ifPKiSA_SA_iPKfiiiPfSD_PS3_PT2_iSC_SC_
	.globl	_Z38paged_attention_ll4mi_QKV_mfma4_kernelI14__hip_bfloat16hLN4vllm18Fp8KVCacheDataTypeE1ES0_Li32ELi128ELi256ELb0ELi3EEvPKT_PKT0_S8_ifPKiSA_SA_iPKfiiiPfSD_PS3_PT2_iSC_SC_
	.p2align	8
	.type	_Z38paged_attention_ll4mi_QKV_mfma4_kernelI14__hip_bfloat16hLN4vllm18Fp8KVCacheDataTypeE1ES0_Li32ELi128ELi256ELb0ELi3EEvPKT_PKT0_S8_ifPKiSA_SA_iPKfiiiPfSD_PS3_PT2_iSC_SC_,@function
_Z38paged_attention_ll4mi_QKV_mfma4_kernelI14__hip_bfloat16hLN4vllm18Fp8KVCacheDataTypeE1ES0_Li32ELi128ELi256ELb0ELi3EEvPKT_PKT0_S8_ifPKiSA_SA_iPKfiiiPfSD_PS3_PT2_iSC_SC_: ; @_Z38paged_attention_ll4mi_QKV_mfma4_kernelI14__hip_bfloat16hLN4vllm18Fp8KVCacheDataTypeE1ES0_Li32ELi128ELi256ELb0ELi3EEvPKT_PKT0_S8_ifPKiSA_SA_iPKfiiiPfSD_PS3_PT2_iSC_SC_
; %bb.0:
	s_load_dwordx2 s[20:21], s[0:1], 0x30
	s_mov_b32 s24, s3
	s_mov_b64 s[6:7], 0
	s_waitcnt lgkmcnt(0)
	s_cmp_lg_u64 s[20:21], 0
	s_cselect_b64 s[22:23], -1, 0
	s_and_b64 vcc, exec, s[22:23]
	s_cbranch_vccz .LBB1390_10
; %bb.1:
	s_add_i32 s8, s2, 1
	s_mov_b32 s9, 0
	s_lshl_b64 s[10:11], s[8:9], 2
	s_add_u32 s10, s20, s10
	s_mov_b32 s3, s9
	s_addc_u32 s11, s21, s11
	s_lshl_b64 s[8:9], s[2:3], 2
	s_add_u32 s8, s20, s8
	s_addc_u32 s9, s21, s9
	s_load_dword s5, s[10:11], 0x0
	s_load_dword s12, s[8:9], 0x0
	s_waitcnt lgkmcnt(0)
	s_sub_i32 s5, s5, s12
	s_cmp_eq_u32 s5, 1
	s_cselect_b64 s[8:9], -1, 0
	s_andn2_b64 vcc, exec, s[6:7]
	s_cbranch_vccnz .LBB1390_3
.LBB1390_2:
	s_mov_b32 s3, 0
	s_mov_b64 s[8:9], -1
.LBB1390_3:
	s_andn2_b64 vcc, exec, s[8:9]
	s_cbranch_vccnz .LBB1390_25
; %bb.4:
	s_load_dword s5, s[0:1], 0x9c
	s_load_dwordx2 s[6:7], s[0:1], 0x28
	s_add_u32 s28, s0, 0x90
	s_addc_u32 s29, s1, 0
	s_lshl_b64 s[34:35], s[2:3], 2
	s_waitcnt lgkmcnt(0)
	s_and_b32 s5, s5, 0xffff
	s_add_u32 s6, s6, s34
	s_addc_u32 s7, s7, s35
	s_load_dword s3, s[6:7], 0x0
	s_mul_i32 s10, s24, s5
	s_waitcnt lgkmcnt(0)
	s_cmp_ge_i32 s10, s3
	s_cbranch_scc1 .LBB1390_25
; %bb.5:
	v_and_b32_e32 v1, 0xc0, v0
	v_add_u32_e32 v4, s10, v1
	v_lshrrev_b32_e32 v38, 6, v0
	v_cmp_le_i32_e64 s[6:7], s3, v4
                                        ; implicit-def: $sgpr25
                                        ; implicit-def: $sgpr11
	s_and_saveexec_b64 s[8:9], s[6:7]
	s_xor_b64 s[8:9], exec, s[8:9]
	s_cbranch_execz .LBB1390_7
; %bb.6:
	v_mul_u32_u24_e32 v1, 20, v38
	v_or_b32_e32 v1, 0x1400, v1
	v_mov_b32_e32 v2, 0x1450
	v_mov_b32_e32 v3, 0xff7fffff
	v_mad_u32_u24 v2, v38, 20, v2
	ds_write2_b32 v1, v3, v3 offset1:1
	v_mov_b32_e32 v1, 0
	ds_write2_b32 v2, v1, v1 offset1:1
	v_mov_b32_e32 v2, 0x1408
	v_mov_b32_e32 v4, 0x1458
	s_mov_b32 s11, 0xff7fffff
	s_mov_b32 s25, 0
	v_mad_u32_u24 v2, v38, 20, v2
	v_mad_u32_u24 v4, v38, 20, v4
	ds_write2_b32 v2, v3, v3 offset1:1
	ds_write2_b32 v4, v1, v1 offset1:1
                                        ; implicit-def: $vgpr4
.LBB1390_7:
	s_or_saveexec_b64 s[30:31], s[8:9]
	s_load_dwordx2 s[26:27], s[0:1], 0x68
	s_load_dwordx4 s[16:19], s[0:1], 0x58
	s_load_dword s5, s[28:29], 0x4
	s_load_dwordx4 s[12:15], s[0:1], 0x80
	v_and_b32_e32 v1, 63, v0
	v_and_b32_e32 v39, 3, v0
	v_mov_b32_e32 v37, s25
	v_mov_b32_e32 v41, s11
	;; [unrolled: 1-line block ×5, first 2 shown]
                                        ; implicit-def: $vgpr30_vgpr31
                                        ; implicit-def: $vgpr18_vgpr19
                                        ; implicit-def: $vgpr22_vgpr23
                                        ; implicit-def: $vgpr10_vgpr11
                                        ; implicit-def: $vgpr6_vgpr7
                                        ; implicit-def: $vgpr2_vgpr3
                                        ; implicit-def: $vgpr26_vgpr27
                                        ; implicit-def: $vgpr14_vgpr15
	s_xor_b64 exec, exec, s[30:31]
	s_cbranch_execz .LBB1390_17
; %bb.8:
	s_load_dwordx2 s[8:9], s[0:1], 0x20
	s_load_dword s11, s[0:1], 0x38
	s_add_i32 s25, s3, 31
	s_ashr_i32 s33, s25, 31
	s_lshr_b32 s33, s33, 27
	v_add_u32_e32 v36, s10, v0
	s_add_i32 s25, s25, s33
	v_ashrrev_i32_e32 v2, 31, v36
	s_ashr_i32 s25, s25, 5
	v_lshrrev_b32_e32 v2, 27, v2
	s_add_i32 s25, s25, -1
	s_waitcnt lgkmcnt(0)
	s_mul_i32 s36, s2, s11
	s_mov_b32 s37, 0
	v_add_u32_e32 v2, v36, v2
	s_lshl_b64 s[36:37], s[36:37], 2
	v_ashrrev_i32_e32 v2, 5, v2
	v_mov_b32_e32 v3, s25
	v_cmp_gt_i32_e32 vcc, s3, v36
	s_add_u32 s8, s8, s36
	s_addc_u32 s9, s9, s37
	v_cndmask_b32_e32 v2, v3, v2, vcc
	v_ashrrev_i32_e32 v3, 31, v2
	v_lshl_add_u64 v[6:7], v[2:3], 2, s[8:9]
	v_ashrrev_i32_e32 v2, 31, v4
	v_lshrrev_b32_e32 v2, 27, v2
	v_add_u32_e32 v2, v4, v2
	v_ashrrev_i32_e32 v8, 5, v2
	v_min_i32_e32 v2, s25, v8
	v_ashrrev_i32_e32 v3, 31, v2
	v_lshl_add_u64 v[4:5], v[2:3], 2, s[8:9]
	v_add_u32_e32 v2, 1, v8
	v_min_i32_e32 v2, s25, v2
	v_ashrrev_i32_e32 v3, 31, v2
	v_lshl_add_u64 v[8:9], v[2:3], 2, s[8:9]
	global_load_dword v2, v[6:7], off
	global_load_dword v26, v[4:5], off
	;; [unrolled: 1-line block ×3, first 2 shown]
	s_load_dwordx4 s[8:11], s[0:1], 0x8
	s_andn2_b64 vcc, exec, s[22:23]
	s_cbranch_vccnz .LBB1390_11
; %bb.9:
	s_add_u32 s20, s20, s34
	s_addc_u32 s21, s21, s35
	s_load_dword s25, s[20:21], 0x0
	s_branch .LBB1390_12
.LBB1390_10:
	s_mov_b64 s[8:9], 0
	s_branch .LBB1390_2
.LBB1390_11:
	s_mov_b32 s25, s2
.LBB1390_12:
	s_load_dwordx4 s[20:23], s[0:1], 0x48
	v_cmp_ne_u32_e32 vcc, 3, v39
	s_mov_b32 s37, 0
	v_mov_b32_e32 v37, 1.0
	v_mov_b32_e32 v23, 0
	v_mov_b32_e32 v14, 0
	;; [unrolled: 1-line block ×5, first 2 shown]
	s_and_saveexec_b64 s[34:35], vcc
	s_cbranch_execz .LBB1390_14
; %bb.13:
	s_load_dwordx2 s[38:39], s[0:1], 0x0
	s_waitcnt lgkmcnt(0)
	s_ashr_i32 s23, s20, 31
	s_mul_hi_u32 s33, s25, s20
	s_mul_i32 s23, s25, s23
	s_add_i32 s41, s33, s23
	s_mul_i32 s40, s25, s20
	s_lshl_b64 s[40:41], s[40:41], 1
	s_add_u32 s20, s38, s40
	s_mul_i32 s36, s4, 0x180
	s_addc_u32 s23, s39, s41
	s_lshl_b64 s[36:37], s[36:37], 1
	v_lshlrev_b32_e32 v3, 2, v1
	s_add_u32 s36, s20, s36
	v_and_b32_e32 v3, 0xf0, v3
	s_addc_u32 s37, s23, s37
	v_lshl_or_b32 v3, v39, 8, v3
	global_load_dwordx4 v[14:17], v3, s[36:37]
	v_mov_b32_e32 v37, 0
.LBB1390_14:
	s_or_b64 exec, exec, s[34:35]
	s_waitcnt lgkmcnt(0)
	s_mul_i32 s20, s4, s22
	s_add_u32 s8, s20, s8
	s_addc_u32 s9, 0, s9
	v_mov_b64_e32 v[4:5], s[8:9]
	s_waitcnt vmcnt(2)
	v_mad_i64_i32 v[2:3], s[8:9], v2, s21, v[4:5]
	v_lshlrev_b32_e32 v4, 4, v0
	v_and_b32_e32 v22, 0x1f0, v4
	v_lshl_add_u64 v[24:25], v[2:3], 0, v[22:23]
	global_load_dwordx4 v[18:21], v[24:25], off
	global_load_dwordx4 v[10:13], v[24:25], off offset:512
	global_load_dwordx4 v[6:9], v[24:25], off offset:1024
	global_load_dwordx4 v[2:5], v[24:25], off offset:1536
	s_waitcnt vmcnt(4)
	v_mul_hi_i32 v28, v27, s21
	v_ashrrev_i32_e32 v28, 31, v28
	v_mul_hi_i32 v22, v26, s21
	v_mov_b32_e32 v29, v23
	v_lshrrev_b32_e32 v28, 29, v28
	v_ashrrev_i32_e32 v22, 31, v22
	s_add_u32 s10, s10, s20
	v_mad_i64_i32 v[28:29], s[22:23], v27, s21, v[28:29]
	s_addc_u32 s11, s11, 0
	v_and_b32_e32 v28, -8, v28
	v_lshrrev_b32_e32 v22, 29, v22
	v_lshl_add_u64 v[30:31], s[10:11], 0, v[28:29]
	v_mad_i64_i32 v[32:33], s[20:21], v26, s21, v[22:23]
	global_load_dwordx4 v[26:29], v[24:25], off offset:2048
	global_load_dwordx4 v[40:43], v[24:25], off offset:2560
	;; [unrolled: 1-line block ×4, first 2 shown]
	v_lshlrev_b32_e32 v22, 5, v1
	v_and_b32_e32 v32, -8, v32
	v_lshl_add_u64 v[34:35], v[30:31], 0, v[22:23]
	v_lshl_add_u64 v[30:31], s[10:11], 0, v[32:33]
	;; [unrolled: 1-line block ×3, first 2 shown]
	s_mov_b32 s8, 0x7060302
	s_load_dword s0, s[0:1], 0x1c
	v_cmp_eq_u32_e32 vcc, 0, v39
	s_waitcnt vmcnt(7)
	v_cvt_pk_f32_fp8_e32 v[30:31], v18
	v_cvt_pk_f32_fp8_sdwa v[32:33], v18 src0_sel:WORD_1
	v_cvt_pk_f32_fp8_e32 v[52:53], v19
	v_cvt_pk_f32_fp8_sdwa v[18:19], v19 src0_sel:WORD_1
	;; [unrolled: 2-line block ×3, first 2 shown]
	s_waitcnt vmcnt(4)
	v_cvt_pk_f32_fp8_e32 v[88:89], v2
	v_cvt_pk_f32_fp8_sdwa v[90:91], v2 src0_sel:WORD_1
	v_cvt_pk_f32_fp8_e32 v[92:93], v3
	v_cvt_pk_f32_fp8_sdwa v[94:95], v3 src0_sel:WORD_1
	v_perm_b32 v2, v31, v30, s8
	v_perm_b32 v3, v33, v32, s8
	v_cvt_pk_f32_fp8_e32 v[58:59], v21
	v_cvt_pk_f32_fp8_sdwa v[20:21], v21 src0_sel:WORD_1
	v_mfma_f32_4x4x4_16b_bf16 a[0:3], v[14:15], v[2:3], 0 cbsz:4
	v_perm_b32 v24, v53, v52, s8
	v_perm_b32 v25, v19, v18, s8
	v_cvt_pk_f32_fp8_e32 v[60:61], v10
	v_cvt_pk_f32_fp8_sdwa v[62:63], v10 src0_sel:WORD_1
	v_mfma_f32_4x4x4_16b_bf16 a[0:3], v[16:17], v[24:25], a[0:3] cbsz:4
	v_perm_b32 v52, v55, v54, s8
	v_perm_b32 v53, v57, v56, s8
	v_cvt_pk_f32_fp8_e32 v[64:65], v11
	v_cvt_pk_f32_fp8_sdwa v[10:11], v11 src0_sel:WORD_1
	v_mfma_f32_4x4x4_16b_bf16 a[0:3], v[14:15], v[52:53], a[0:3] cbsz:4 abid:1
	v_perm_b32 v54, v59, v58, s8
	v_perm_b32 v55, v21, v20, s8
	v_cvt_pk_f32_fp8_e32 v[66:67], v12
	v_cvt_pk_f32_fp8_sdwa v[68:69], v12 src0_sel:WORD_1
	v_mfma_f32_4x4x4_16b_bf16 a[0:3], v[16:17], v[54:55], a[0:3] cbsz:4 abid:1
	;; [unrolled: 5-line block ×5, first 2 shown]
	v_cvt_pk_f32_fp8_e32 v[80:81], v8
	v_cvt_pk_f32_fp8_sdwa v[82:83], v8 src0_sel:WORD_1
	v_cvt_pk_f32_fp8_e32 v[84:85], v9
	v_cvt_pk_f32_fp8_sdwa v[86:87], v9 src0_sel:WORD_1
	;; [unrolled: 2-line block ×4, first 2 shown]
	global_load_dwordx4 v[18:21], v[22:23], off offset:16
	global_load_dwordx4 v[30:33], v[22:23], off
	global_load_dwordx4 v[2:5], v[22:23], off offset:2064
	global_load_dwordx4 v[6:9], v[22:23], off offset:2048
	v_perm_b32 v22, v71, v70, s8
	v_perm_b32 v23, v13, v12, s8
	;; [unrolled: 1-line block ×4, first 2 shown]
	v_mfma_f32_4x4x4_16b_bf16 a[0:3], v[16:17], v[22:23], a[0:3] cbsz:4 abid:3
	v_perm_b32 v24, v77, v76, s8
	v_perm_b32 v25, v79, v78, s8
	v_mfma_f32_4x4x4_16b_bf16 a[0:3], v[14:15], v[12:13], a[0:3] cbsz:4 abid:4
	v_perm_b32 v52, v81, v80, s8
	v_perm_b32 v53, v83, v82, s8
	;; [unrolled: 3-line block ×7, first 2 shown]
	v_mfma_f32_4x4x4_16b_bf16 a[0:3], v[14:15], v[52:53], a[0:3] cbsz:4 abid:7
	s_waitcnt vmcnt(7)
	v_cvt_pk_f32_fp8_e32 v[52:53], v26
	v_cvt_pk_f32_fp8_e32 v[56:57], v27
	v_mfma_f32_4x4x4_16b_bf16 a[0:3], v[16:17], v[54:55], a[0:3] cbsz:4 abid:7
	v_cvt_pk_f32_fp8_sdwa v[54:55], v26 src0_sel:WORD_1
	v_perm_b32 v26, v53, v52, s8
	v_cvt_pk_f32_fp8_sdwa v[52:53], v27 src0_sel:WORD_1
	global_load_dwordx4 v[10:13], v[34:35], off offset:16
	global_load_dwordx4 v[22:25], v[34:35], off
	v_perm_b32 v27, v55, v54, s8
	v_perm_b32 v54, v57, v56, s8
	;; [unrolled: 1-line block ×3, first 2 shown]
	v_mfma_f32_4x4x4_16b_bf16 a[0:3], v[14:15], v[26:27], a[0:3] cbsz:4 abid:8
	v_cvt_pk_f32_fp8_e32 v[26:27], v28
	v_cvt_pk_f32_fp8_sdwa v[52:53], v28 src0_sel:WORD_1
	v_mfma_f32_4x4x4_16b_bf16 a[0:3], v[16:17], v[54:55], a[0:3] cbsz:4 abid:8
	v_cvt_pk_f32_fp8_e32 v[54:55], v29
	v_cvt_pk_f32_fp8_sdwa v[28:29], v29 src0_sel:WORD_1
	v_perm_b32 v26, v27, v26, s8
	v_perm_b32 v27, v53, v52, s8
	;; [unrolled: 1-line block ×4, first 2 shown]
	v_mfma_f32_4x4x4_16b_bf16 a[0:3], v[14:15], v[26:27], a[0:3] cbsz:4 abid:9
	s_waitcnt vmcnt(8)
	v_cvt_pk_f32_fp8_e32 v[26:27], v40
	v_cvt_pk_f32_fp8_sdwa v[28:29], v40 src0_sel:WORD_1
	v_mfma_f32_4x4x4_16b_bf16 a[0:3], v[16:17], v[52:53], a[0:3] cbsz:4 abid:9
	v_cvt_pk_f32_fp8_e32 v[52:53], v41
	v_cvt_pk_f32_fp8_sdwa v[40:41], v41 src0_sel:WORD_1
	v_perm_b32 v26, v27, v26, s8
	v_perm_b32 v27, v29, v28, s8
	;; [unrolled: 1-line block ×4, first 2 shown]
	v_mfma_f32_4x4x4_16b_bf16 a[0:3], v[14:15], v[26:27], a[0:3] cbsz:4 abid:10
	v_cvt_pk_f32_fp8_e32 v[26:27], v42
	v_cvt_pk_f32_fp8_e32 v[40:41], v43
	v_mfma_f32_4x4x4_16b_bf16 a[0:3], v[16:17], v[28:29], a[0:3] cbsz:4 abid:10
	v_cvt_pk_f32_fp8_sdwa v[28:29], v42 src0_sel:WORD_1
	v_cvt_pk_f32_fp8_sdwa v[42:43], v43 src0_sel:WORD_1
	v_perm_b32 v26, v27, v26, s8
	s_load_dword s1, s[12:13], 0x0
	v_perm_b32 v27, v29, v28, s8
	v_perm_b32 v28, v41, v40, s8
	;; [unrolled: 1-line block ×3, first 2 shown]
	v_mfma_f32_4x4x4_16b_bf16 a[0:3], v[14:15], v[26:27], a[0:3] cbsz:4 abid:11
	s_waitcnt vmcnt(7)
	v_cvt_pk_f32_fp8_e32 v[26:27], v44
	v_cvt_pk_f32_fp8_e32 v[40:41], v45
	v_mfma_f32_4x4x4_16b_bf16 a[0:3], v[16:17], v[28:29], a[0:3] cbsz:4 abid:11
	v_cvt_pk_f32_fp8_sdwa v[28:29], v44 src0_sel:WORD_1
	v_cvt_pk_f32_fp8_sdwa v[42:43], v45 src0_sel:WORD_1
	v_perm_b32 v26, v27, v26, s8
	v_perm_b32 v27, v29, v28, s8
	;; [unrolled: 1-line block ×3, first 2 shown]
	s_nop 0
	v_mfma_f32_4x4x4_16b_bf16 a[0:3], v[14:15], v[26:27], a[0:3] cbsz:4 abid:12
	v_perm_b32 v29, v43, v42, s8
	v_cvt_pk_f32_fp8_e32 v[26:27], v46
	v_cvt_pk_f32_fp8_e32 v[40:41], v47
	v_mfma_f32_4x4x4_16b_bf16 a[0:3], v[16:17], v[28:29], a[0:3] cbsz:4 abid:12
	v_cvt_pk_f32_fp8_sdwa v[28:29], v46 src0_sel:WORD_1
	v_cvt_pk_f32_fp8_sdwa v[42:43], v47 src0_sel:WORD_1
	v_perm_b32 v26, v27, v26, s8
	v_perm_b32 v27, v29, v28, s8
	;; [unrolled: 1-line block ×3, first 2 shown]
	s_nop 0
	v_mfma_f32_4x4x4_16b_bf16 a[0:3], v[14:15], v[26:27], a[0:3] cbsz:4 abid:13
	v_perm_b32 v29, v43, v42, s8
	s_waitcnt vmcnt(6)
	v_cvt_pk_f32_fp8_e32 v[26:27], v48
	v_cvt_pk_f32_fp8_e32 v[40:41], v49
	v_mfma_f32_4x4x4_16b_bf16 a[0:3], v[16:17], v[28:29], a[0:3] cbsz:4 abid:13
	v_cvt_pk_f32_fp8_sdwa v[28:29], v48 src0_sel:WORD_1
	v_cvt_pk_f32_fp8_sdwa v[42:43], v49 src0_sel:WORD_1
	v_perm_b32 v26, v27, v26, s8
	v_perm_b32 v27, v29, v28, s8
	;; [unrolled: 1-line block ×3, first 2 shown]
	s_nop 0
	v_mfma_f32_4x4x4_16b_bf16 a[0:3], v[14:15], v[26:27], a[0:3] cbsz:4 abid:14
	v_perm_b32 v29, v43, v42, s8
	v_cvt_pk_f32_fp8_e32 v[26:27], v50
	v_cvt_pk_f32_fp8_e32 v[40:41], v51
	v_mfma_f32_4x4x4_16b_bf16 a[0:3], v[16:17], v[28:29], a[0:3] cbsz:4 abid:14
	v_cvt_pk_f32_fp8_sdwa v[28:29], v50 src0_sel:WORD_1
	v_cvt_pk_f32_fp8_sdwa v[42:43], v51 src0_sel:WORD_1
	v_perm_b32 v26, v27, v26, s8
	v_perm_b32 v27, v29, v28, s8
	;; [unrolled: 1-line block ×3, first 2 shown]
	s_nop 0
	v_mfma_f32_4x4x4_16b_bf16 a[0:3], v[14:15], v[26:27], a[0:3] cbsz:4 abid:15
	v_perm_b32 v29, v43, v42, s8
	s_waitcnt lgkmcnt(0)
	v_mov_b32_e32 v14, s0
	v_mfma_f32_4x4x4_16b_bf16 a[0:3], v[16:17], v[28:29], a[0:3] cbsz:4 abid:15
	v_mul_f32_e32 v16, s1, v14
	s_nop 3
	v_accvgpr_read_b32 v27, a1
	v_accvgpr_read_b32 v26, a0
	v_pk_mul_f32 v[26:27], v[26:27], v[16:17] op_sel_hi:[1,0]
	v_accvgpr_read_b32 v15, a3
	v_accvgpr_read_b32 v14, a2
	v_pk_mul_f32 v[40:41], v[14:15], v[16:17] op_sel_hi:[1,0]
	v_cndmask_b32_e64 v14, 0, 1.0, vcc
	v_cmp_eq_u32_e32 vcc, 1, v39
	s_nop 0
	v_mfma_f32_4x4x1_16b_f32 a[0:3], v26, v14, 0
	v_cndmask_b32_e64 v14, 0, 1.0, vcc
	v_cmp_eq_u32_e32 vcc, 2, v39
	s_nop 0
	v_mfma_f32_4x4x1_16b_f32 a[0:3], v27, v14, a[0:3]
	v_cndmask_b32_e64 v14, 0, 1.0, vcc
	s_nop 1
	v_mfma_f32_4x4x1_16b_f32 a[0:3], v40, v14, a[0:3]
	global_load_dwordx4 v[14:17], v[34:35], off offset:2064
	global_load_dwordx4 v[26:29], v[34:35], off offset:2048
	v_mfma_f32_4x4x1_16b_f32 a[0:3], v41, v37, a[0:3]
	v_and_b32_e32 v34, -4, v36
	v_mov_b32_e32 v41, 0xff7fffff
	v_cmp_gt_i32_e32 vcc, s3, v34
	v_or_b32_e32 v36, 3, v36
	v_accvgpr_read_b32 v37, a0
	v_max_f32_e32 v40, v37, v37
	v_max_f32_e32 v40, 0xff7fffff, v40
	v_accvgpr_read_b32 v42, a1
	v_cndmask_b32_e32 v40, v41, v40, vcc
	v_or_b32_e32 v41, 1, v34
	v_max_f32_e32 v43, v42, v42
	v_max_f32_e32 v43, v40, v43
	v_cmp_gt_i32_e64 s[0:1], s3, v41
	v_or_b32_e32 v34, 2, v34
	v_cmp_gt_i32_e64 s[8:9], s3, v34
	v_cndmask_b32_e64 v40, v40, v43, s[0:1]
	v_accvgpr_read_b32 v43, a2
	v_max_f32_e32 v41, v43, v43
	v_max_f32_e32 v41, v40, v41
	v_cndmask_b32_e64 v34, v40, v41, s[8:9]
	v_accvgpr_read_b32 v40, a3
	v_max_f32_e32 v41, v40, v40
	v_max_f32_e32 v41, v34, v41
	v_cmp_gt_i32_e64 s[10:11], s3, v36
	v_lshlrev_b32_e32 v35, 2, v0
	v_and_or_b32 v35, v35, 48, v39
	v_cndmask_b32_e64 v34, v34, v41, s[10:11]
	;;#ASMSTART
	v_nop
 v_nop
 v_max_f32_dpp v34, v34, v34 row_ror:4
	;;#ASMEND
	v_lshlrev_b32_e32 v44, 2, v35
	;;#ASMSTART
	v_nop
 v_nop
 v_max_f32_dpp v34, v34, v34 row_ror:8
	;;#ASMEND
	ds_bpermute_b32 v34, v44, v34
	s_waitcnt lgkmcnt(0)
	;;#ASMSTART
	v_nop
 v_nop
 v_max_f32_dpp v34, v34, v34 row_ror:4
	;;#ASMEND
	s_nop 0
	;;#ASMSTART
	v_nop
 v_nop
 v_max_f32_dpp v41, v34, v34 row_ror:8
	;;#ASMEND
	s_nop 0
	v_sub_f32_e32 v34, v37, v41
	v_mul_f32_e32 v34, 0x3fb8aa3b, v34
	v_sub_f32_e32 v35, v42, v41
	v_exp_f32_e32 v34, v34
	v_mul_f32_e32 v35, 0x3fb8aa3b, v35
	v_sub_f32_e32 v37, v43, v41
	v_exp_f32_e32 v35, v35
	;; [unrolled: 3-line block ×3, first 2 shown]
	v_mul_f32_e32 v40, 0x3fb8aa3b, v40
	v_exp_f32_e32 v40, v40
	v_cndmask_b32_e32 v34, 0, v34, vcc
	v_add_f32_e32 v36, 0, v34
	v_cndmask_b32_e64 v35, 0, v35, s[0:1]
	v_add_f32_e32 v42, v36, v35
	v_cndmask_b32_e64 v36, 0, v37, s[8:9]
	;; [unrolled: 2-line block ×3, first 2 shown]
	v_add_f32_e32 v40, v42, v37
	;;#ASMSTART
	v_nop
 v_nop
 v_add_f32_dpp v40, v40, v40 row_ror:4
	;;#ASMEND
	v_cmp_gt_u32_e32 vcc, 4, v1
	;;#ASMSTART
	v_nop
 v_nop
 v_add_f32_dpp v40, v40, v40 row_ror:8
	;;#ASMEND
	ds_bpermute_b32 v40, v44, v40
	s_waitcnt lgkmcnt(0)
	;;#ASMSTART
	v_nop
 v_nop
 v_add_f32_dpp v40, v40, v40 row_ror:4
	;;#ASMEND
	s_nop 0
	;;#ASMSTART
	v_nop
 v_nop
 v_add_f32_dpp v40, v40, v40 row_ror:8
	;;#ASMEND
	s_and_saveexec_b64 s[0:1], vcc
	s_cbranch_execz .LBB1390_16
; %bb.15:
	v_mul_u32_u24_e32 v42, 20, v38
	v_lshl_add_u32 v42, v39, 2, v42
	v_add_u32_e32 v42, 0x1400, v42
	ds_write2_b32 v42, v41, v40 offset1:20
.LBB1390_16:
	s_or_b64 exec, exec, s[0:1]
.LBB1390_17:
	s_or_b64 exec, exec, s[30:31]
	s_waitcnt lgkmcnt(0)
	s_barrier
	s_load_dword s0, s[28:29], 0x8
	v_lshlrev_b32_e32 v40, 2, v39
	v_add_u32_e32 v40, 0x1400, v40
	ds_read2_b32 v[44:45], v40 offset1:5
	ds_read2_b32 v[46:47], v40 offset0:10 offset1:15
	s_mul_i32 s1, s2, s5
	s_waitcnt lgkmcnt(0)
	s_mul_i32 s0, s1, s0
	s_mov_b32 s1, 0xff7fffff
	v_max3_f32 v42, v44, s1, v45
	v_max3_f32 v42, v42, v46, v47
	v_sub_f32_e32 v43, v44, v42
	v_sub_f32_e32 v44, v45, v42
	ds_read2_b32 v[48:49], v40 offset0:20 offset1:25
	v_mul_f32_e32 v43, 0x3fb8aa3b, v43
	v_mul_f32_e32 v44, 0x3fb8aa3b, v44
	v_exp_f32_e32 v43, v43
	v_exp_f32_e32 v50, v44
	ds_read2_b32 v[44:45], v40 offset0:30 offset1:35
	v_sub_f32_e32 v40, v46, v42
	v_mul_f32_e32 v40, 0x3fb8aa3b, v40
	v_sub_f32_e32 v46, v47, v42
	v_exp_f32_e32 v40, v40
	v_mul_f32_e32 v46, 0x3fb8aa3b, v46
	v_exp_f32_e32 v46, v46
	s_waitcnt lgkmcnt(1)
	v_fma_f32 v43, v43, v48, 0
	v_fmac_f32_e32 v43, v50, v49
	s_waitcnt lgkmcnt(0)
	v_fmac_f32_e32 v43, v40, v44
	s_mul_i32 s8, s4, 3
	s_mul_i32 s0, s0, 3
	v_fmac_f32_e32 v43, v46, v45
	v_cmp_ne_u32_e32 vcc, 3, v39
	s_and_saveexec_b64 s[2:3], vcc
	s_cbranch_execz .LBB1390_19
; %bb.18:
	s_mov_b32 s1, 0
	s_lshl_b64 s[10:11], s[0:1], 2
	s_add_u32 s4, s16, s10
	s_mov_b32 s25, s1
	s_addc_u32 s9, s17, s11
	s_lshl_b64 s[12:13], s[24:25], 2
	s_add_u32 s16, s4, s12
	s_addc_u32 s17, s9, s13
	s_add_u32 s1, s18, s10
	s_addc_u32 s4, s19, s11
	v_add_u32_e32 v39, s8, v39
	s_add_u32 s10, s1, s12
	v_mul_lo_u32 v44, s5, v39
	v_mov_b32_e32 v45, 0
	s_addc_u32 s11, s4, s13
	v_lshlrev_b64 v[44:45], 2, v[44:45]
	v_lshl_add_u64 v[46:47], s[16:17], 0, v[44:45]
	v_lshl_add_u64 v[44:45], s[10:11], 0, v[44:45]
	global_store_dword v[44:45], v42, off
	global_store_dword v[46:47], v43, off
.LBB1390_19:
	s_or_b64 exec, exec, s[2:3]
	v_lshlrev_b32_e32 v40, 3, v38
                                        ; implicit-def: $sgpr1
	s_and_saveexec_b64 s[2:3], s[6:7]
	s_xor_b64 s[2:3], exec, s[2:3]
	s_cbranch_execz .LBB1390_21
; %bb.20:
	s_waitcnt vmcnt(5)
	v_mov_b32_e32 v2, 0
	v_mad_u32_u24 v4, v1, 40, v40
	s_mov_b32 s1, 0
	v_mov_b32_e32 v3, v2
	ds_write_b64 v4, v[2:3]
                                        ; implicit-def: $vgpr37
                                        ; implicit-def: $vgpr35
                                        ; implicit-def: $vgpr41
                                        ; implicit-def: $vgpr30_vgpr31
                                        ; implicit-def: $vgpr18_vgpr19
                                        ; implicit-def: $vgpr22_vgpr23
                                        ; implicit-def: $vgpr10_vgpr11
                                        ; implicit-def: $vgpr6_vgpr7
                                        ; implicit-def: $vgpr2_vgpr3
                                        ; implicit-def: $vgpr26_vgpr27
                                        ; implicit-def: $vgpr14_vgpr15
                                        ; implicit-def: $vgpr42
                                        ; implicit-def: $vgpr43
.LBB1390_21:
	s_or_saveexec_b64 s[2:3], s[2:3]
	v_mov_b32_e32 v38, s1
	v_mov_b32_e32 v39, s1
	s_xor_b64 exec, exec, s[2:3]
	s_cbranch_execz .LBB1390_23
; %bb.22:
	v_add_f32_e32 v38, 0x358637bd, v43
	v_div_scale_f32 v39, s[6:7], v38, v38, 1.0
	v_rcp_f32_e32 v43, v39
	v_sub_f32_e32 v41, v41, v42
	v_mul_f32_e32 v41, 0x3fb8aa3b, v41
	v_exp_f32_e32 v41, v41
	v_fma_f32 v42, -v39, v43, 1.0
	v_fmac_f32_e32 v43, v42, v43
	v_div_scale_f32 v42, vcc, 1.0, v38, 1.0
	v_mul_f32_e32 v44, v42, v43
	v_fma_f32 v45, -v39, v44, v42
	v_fmac_f32_e32 v44, v45, v43
	v_fma_f32 v39, -v39, v44, v42
	v_div_fmas_f32 v39, v39, v43, v44
	v_div_fixup_f32 v38, v39, v38, 1.0
	v_mul_f32_e32 v38, v41, v38
	v_pk_mul_f32 v[34:35], v[34:35], v[38:39] op_sel_hi:[1,0]
	v_pk_mul_f32 v[36:37], v[36:37], v[38:39] op_sel_hi:[1,0]
	v_bfe_u32 v38, v35, 16, 1
	v_bfe_u32 v39, v34, 16, 1
	s_movk_i32 s1, 0x7fff
	v_add3_u32 v34, v34, v39, s1
	v_add3_u32 v35, v35, v38, s1
	s_mov_b32 s6, 0x7060302
	v_perm_b32 v34, v35, v34, s6
	v_bfe_u32 v35, v37, 16, 1
	v_bfe_u32 v38, v36, 16, 1
	v_add3_u32 v36, v36, v38, s1
	v_add3_u32 v35, v37, v35, s1
	v_perm_b32 v35, v35, v36, s6
	s_waitcnt vmcnt(6)
	v_cvt_pk_f32_fp8_e32 v[36:37], v30
	v_cvt_pk_f32_fp8_sdwa v[38:39], v30 src0_sel:WORD_1
	v_cvt_pk_f32_fp8_e32 v[42:43], v31
	v_cvt_pk_f32_fp8_sdwa v[30:31], v31 src0_sel:WORD_1
	v_perm_b32 v36, v37, v36, s6
	v_perm_b32 v37, v39, v38, s6
	;; [unrolled: 1-line block ×4, first 2 shown]
	v_mfma_f32_4x4x4_16b_bf16 a[0:3], v[34:35], v[36:37], 0 cbsz:4
	v_cvt_pk_f32_fp8_e32 v[30:31], v32
	v_cvt_pk_f32_fp8_sdwa v[36:37], v32 src0_sel:WORD_1
	v_mfma_f32_4x4x4_16b_bf16 a[0:3], v[34:35], v[38:39], a[0:3] cbsz:4 abid:1
	v_cvt_pk_f32_fp8_e32 v[38:39], v33
	v_cvt_pk_f32_fp8_sdwa v[32:33], v33 src0_sel:WORD_1
	v_perm_b32 v30, v31, v30, s6
	v_perm_b32 v31, v37, v36, s6
	v_perm_b32 v36, v39, v38, s6
	v_perm_b32 v37, v33, v32, s6
	v_mfma_f32_4x4x4_16b_bf16 a[0:3], v[34:35], v[30:31], a[0:3] cbsz:4 abid:2
	v_cvt_pk_f32_fp8_e32 v[30:31], v18
	v_cvt_pk_f32_fp8_sdwa v[32:33], v18 src0_sel:WORD_1
	v_mfma_f32_4x4x4_16b_bf16 a[0:3], v[34:35], v[36:37], a[0:3] cbsz:4 abid:3
	v_cvt_pk_f32_fp8_e32 v[36:37], v19
	v_cvt_pk_f32_fp8_sdwa v[18:19], v19 src0_sel:WORD_1
	v_perm_b32 v30, v31, v30, s6
	v_perm_b32 v31, v33, v32, s6
	v_perm_b32 v32, v37, v36, s6
	v_perm_b32 v33, v19, v18, s6
	v_mfma_f32_4x4x4_16b_bf16 a[0:3], v[34:35], v[30:31], a[0:3] cbsz:4 abid:4
	;; [unrolled: 10-line block ×3, first 2 shown]
	s_waitcnt vmcnt(2)
	v_cvt_pk_f32_fp8_e32 v[18:19], v22
	v_cvt_pk_f32_fp8_sdwa v[20:21], v22 src0_sel:WORD_1
	v_mfma_f32_4x4x4_16b_bf16 a[0:3], v[34:35], v[30:31], a[0:3] cbsz:4 abid:7
	v_cvt_pk_f32_fp8_e32 v[30:31], v23
	v_cvt_pk_f32_fp8_sdwa v[22:23], v23 src0_sel:WORD_1
	v_perm_b32 v18, v19, v18, s6
	v_perm_b32 v19, v21, v20, s6
	;; [unrolled: 1-line block ×4, first 2 shown]
	v_mfma_f32_4x4x4_16b_bf16 a[0:3], v[34:35], v[18:19], a[0:3] cbsz:4 abid:8
	v_cvt_pk_f32_fp8_e32 v[18:19], v24
	v_cvt_pk_f32_fp8_e32 v[22:23], v25
	v_mfma_f32_4x4x4_16b_bf16 a[0:3], v[34:35], v[20:21], a[0:3] cbsz:4 abid:9
	v_cvt_pk_f32_fp8_sdwa v[20:21], v24 src0_sel:WORD_1
	v_cvt_pk_f32_fp8_sdwa v[24:25], v25 src0_sel:WORD_1
	v_perm_b32 v18, v19, v18, s6
	s_load_dword s4, s[14:15], 0x0
	v_perm_b32 v19, v21, v20, s6
	v_perm_b32 v20, v23, v22, s6
	;; [unrolled: 1-line block ×3, first 2 shown]
	v_mfma_f32_4x4x4_16b_bf16 a[0:3], v[34:35], v[18:19], a[0:3] cbsz:4 abid:10
	v_cvt_pk_f32_fp8_e32 v[18:19], v10
	v_cvt_pk_f32_fp8_e32 v[22:23], v11
	v_mfma_f32_4x4x4_16b_bf16 a[0:3], v[34:35], v[20:21], a[0:3] cbsz:4 abid:11
	v_cvt_pk_f32_fp8_sdwa v[20:21], v10 src0_sel:WORD_1
	v_cvt_pk_f32_fp8_sdwa v[10:11], v11 src0_sel:WORD_1
	v_perm_b32 v18, v19, v18, s6
	v_perm_b32 v19, v21, v20, s6
	;; [unrolled: 1-line block ×3, first 2 shown]
	s_nop 0
	v_mfma_f32_4x4x4_16b_bf16 a[0:3], v[34:35], v[18:19], a[0:3] cbsz:4 abid:12
	v_cvt_pk_f32_fp8_e32 v[10:11], v12
	v_cvt_pk_f32_fp8_sdwa v[18:19], v12 src0_sel:WORD_1
	v_perm_b32 v20, v23, v22, s6
	v_perm_b32 v10, v11, v10, s6
	s_nop 0
	v_mfma_f32_4x4x4_16b_bf16 a[0:3], v[34:35], v[20:21], a[0:3] cbsz:4 abid:13
	v_cvt_pk_f32_fp8_e32 v[20:21], v13
	v_cvt_pk_f32_fp8_sdwa v[12:13], v13 src0_sel:WORD_1
	v_perm_b32 v11, v19, v18, s6
	v_perm_b32 v18, v21, v20, s6
	s_nop 0
	v_mfma_f32_4x4x4_16b_bf16 a[0:3], v[34:35], v[10:11], a[0:3] cbsz:4 abid:14
	v_perm_b32 v19, v13, v12, s6
	s_nop 1
	v_mfma_f32_4x4x4_16b_bf16 a[0:3], v[34:35], v[18:19], a[0:3] cbsz:4 abid:15
	s_nop 4
	v_accvgpr_read_b32 v13, a1
	v_accvgpr_read_b32 v12, a0
	s_waitcnt lgkmcnt(0)
	v_pk_mul_f32 v[12:13], v[12:13], s[4:5] op_sel_hi:[1,0]
	v_accvgpr_read_b32 v11, a3
	v_accvgpr_read_b32 v10, a2
	v_bfe_u32 v18, v13, 16, 1
	v_bfe_u32 v19, v12, 16, 1
	v_pk_mul_f32 v[10:11], v[10:11], s[4:5] op_sel_hi:[1,0]
	v_add3_u32 v12, v12, v19, s1
	v_add3_u32 v13, v13, v18, s1
	v_perm_b32 v12, v13, v12, s6
	v_bfe_u32 v13, v11, 16, 1
	v_bfe_u32 v18, v10, 16, 1
	v_add3_u32 v10, v10, v18, s1
	v_add3_u32 v11, v11, v13, s1
	v_perm_b32 v13, v11, v10, s6
	v_mad_u32_u24 v10, v1, 40, v40
	ds_write_b64 v10, v[12:13]
	v_cvt_pk_f32_fp8_e32 v[10:11], v6
	v_cvt_pk_f32_fp8_sdwa v[12:13], v6 src0_sel:WORD_1
	v_cvt_pk_f32_fp8_e32 v[18:19], v7
	v_cvt_pk_f32_fp8_sdwa v[6:7], v7 src0_sel:WORD_1
	v_perm_b32 v10, v11, v10, s6
	v_perm_b32 v11, v13, v12, s6
	;; [unrolled: 1-line block ×4, first 2 shown]
	v_mfma_f32_4x4x4_16b_bf16 a[0:3], v[34:35], v[10:11], 0 cbsz:4
	v_cvt_pk_f32_fp8_e32 v[6:7], v8
	v_cvt_pk_f32_fp8_sdwa v[10:11], v8 src0_sel:WORD_1
	v_mfma_f32_4x4x4_16b_bf16 a[0:3], v[34:35], v[12:13], a[0:3] cbsz:4 abid:1
	v_cvt_pk_f32_fp8_e32 v[12:13], v9
	v_cvt_pk_f32_fp8_sdwa v[8:9], v9 src0_sel:WORD_1
	v_perm_b32 v6, v7, v6, s6
	v_perm_b32 v7, v11, v10, s6
	v_perm_b32 v10, v13, v12, s6
	v_perm_b32 v11, v9, v8, s6
	v_mfma_f32_4x4x4_16b_bf16 a[0:3], v[34:35], v[6:7], a[0:3] cbsz:4 abid:2
	v_cvt_pk_f32_fp8_e32 v[6:7], v2
	v_cvt_pk_f32_fp8_sdwa v[8:9], v2 src0_sel:WORD_1
	v_mfma_f32_4x4x4_16b_bf16 a[0:3], v[34:35], v[10:11], a[0:3] cbsz:4 abid:3
	v_cvt_pk_f32_fp8_e32 v[10:11], v3
	v_cvt_pk_f32_fp8_sdwa v[2:3], v3 src0_sel:WORD_1
	v_perm_b32 v6, v7, v6, s6
	v_perm_b32 v7, v9, v8, s6
	v_perm_b32 v8, v11, v10, s6
	v_perm_b32 v9, v3, v2, s6
	v_mfma_f32_4x4x4_16b_bf16 a[0:3], v[34:35], v[6:7], a[0:3] cbsz:4 abid:4
	;; [unrolled: 10-line block ×3, first 2 shown]
	s_waitcnt vmcnt(0)
	v_cvt_pk_f32_fp8_e32 v[2:3], v26
	v_cvt_pk_f32_fp8_sdwa v[4:5], v26 src0_sel:WORD_1
	v_mfma_f32_4x4x4_16b_bf16 a[0:3], v[34:35], v[6:7], a[0:3] cbsz:4 abid:7
	v_cvt_pk_f32_fp8_e32 v[6:7], v27
	v_cvt_pk_f32_fp8_sdwa v[8:9], v27 src0_sel:WORD_1
	v_perm_b32 v2, v3, v2, s6
	v_perm_b32 v3, v5, v4, s6
	;; [unrolled: 1-line block ×4, first 2 shown]
	v_mfma_f32_4x4x4_16b_bf16 a[0:3], v[34:35], v[2:3], a[0:3] cbsz:4 abid:8
	v_cvt_pk_f32_fp8_e32 v[2:3], v28
	v_cvt_pk_f32_fp8_e32 v[6:7], v29
	v_mfma_f32_4x4x4_16b_bf16 a[0:3], v[34:35], v[4:5], a[0:3] cbsz:4 abid:9
	v_cvt_pk_f32_fp8_sdwa v[4:5], v28 src0_sel:WORD_1
	v_cvt_pk_f32_fp8_sdwa v[8:9], v29 src0_sel:WORD_1
	v_perm_b32 v2, v3, v2, s6
	v_perm_b32 v3, v5, v4, s6
	v_perm_b32 v4, v7, v6, s6
	s_nop 0
	v_mfma_f32_4x4x4_16b_bf16 a[0:3], v[34:35], v[2:3], a[0:3] cbsz:4 abid:10
	v_perm_b32 v5, v9, v8, s6
	v_cvt_pk_f32_fp8_e32 v[2:3], v14
	v_cvt_pk_f32_fp8_e32 v[6:7], v15
	v_mfma_f32_4x4x4_16b_bf16 a[0:3], v[34:35], v[4:5], a[0:3] cbsz:4 abid:11
	v_cvt_pk_f32_fp8_sdwa v[4:5], v14 src0_sel:WORD_1
	v_cvt_pk_f32_fp8_sdwa v[8:9], v15 src0_sel:WORD_1
	v_perm_b32 v2, v3, v2, s6
	v_perm_b32 v3, v5, v4, s6
	v_perm_b32 v4, v7, v6, s6
	s_nop 0
	v_mfma_f32_4x4x4_16b_bf16 a[0:3], v[34:35], v[2:3], a[0:3] cbsz:4 abid:12
	v_perm_b32 v5, v9, v8, s6
	;; [unrolled: 11-line block ×3, first 2 shown]
	s_nop 1
	v_mfma_f32_4x4x4_16b_bf16 a[0:3], v[34:35], v[4:5], a[0:3] cbsz:4 abid:15
	s_nop 4
	v_accvgpr_read_b32 v5, a1
	v_accvgpr_read_b32 v4, a0
	;; [unrolled: 1-line block ×4, first 2 shown]
	v_pk_mul_f32 v[4:5], v[4:5], s[4:5] op_sel_hi:[1,0]
	v_pk_mul_f32 v[2:3], v[2:3], s[4:5] op_sel_hi:[1,0]
	v_bfe_u32 v6, v5, 16, 1
	v_bfe_u32 v7, v4, 16, 1
	v_add3_u32 v4, v4, v7, s1
	v_add3_u32 v5, v5, v6, s1
	v_bfe_u32 v6, v3, 16, 1
	v_bfe_u32 v7, v2, 16, 1
	v_add3_u32 v2, v2, v7, s1
	v_add3_u32 v3, v3, v6, s1
	v_perm_b32 v39, v3, v2, s6
	v_perm_b32 v38, v5, v4, s6
.LBB1390_23:
	s_or_b64 exec, exec, s[2:3]
	s_waitcnt vmcnt(5)
	v_mad_u32_u24 v2, v1, 40, v40
	v_cmp_gt_u32_e32 vcc, 64, v0
	ds_write_b64 v2, v[38:39] offset:2560
	s_waitcnt lgkmcnt(0)
	s_barrier
	s_and_saveexec_b64 s[2:3], vcc
	s_cbranch_execz .LBB1390_25
; %bb.24:
	s_waitcnt vmcnt(4)
	v_mul_u32_u24_e32 v6, 40, v1
	ds_read2_b64 v[2:5], v6 offset1:1
	ds_read2_b64 v[6:9], v6 offset0:2 offset1:3
	s_mov_b32 s1, 0
	s_lshl_b32 s0, s0, 7
	s_lshl_b64 s[2:3], s[0:1], 1
	s_waitcnt vmcnt(3) lgkmcnt(1)
	v_and_b32_e32 v10, 0xffff0000, v2
	v_lshlrev_b32_e32 v3, 16, v3
	v_add_f32_e32 v10, 0, v10
	v_add_f32_e32 v3, 0, v3
	v_and_b32_e32 v10, 0xffff0000, v10
	v_and_b32_e32 v11, 0xffff0000, v4
	;; [unrolled: 1-line block ×3, first 2 shown]
	v_add_f32_e32 v10, v10, v11
	v_lshlrev_b32_e32 v5, 16, v5
	v_and_b32_e32 v10, 0xffff0000, v10
	v_add_f32_e32 v3, v3, v5
	s_waitcnt lgkmcnt(0)
	v_and_b32_e32 v5, 0xffff0000, v6
	v_and_b32_e32 v3, 0xffff0000, v3
	v_add_f32_e32 v5, v10, v5
	v_lshlrev_b32_e32 v7, 16, v7
	v_and_b32_e32 v5, 0xffff0000, v5
	v_add_f32_e32 v3, v3, v7
	v_and_b32_e32 v7, 0xffff0000, v8
	v_add_f32_e32 v18, v5, v7
	v_mov_b32_e32 v7, 0xa00
	v_mad_u32_u24 v7, v1, 40, v7
	ds_read2_b64 v[10:13], v7 offset1:1
	v_and_b32_e32 v3, 0xffff0000, v3
	v_lshlrev_b32_e32 v5, 16, v9
	v_add_f32_e32 v9, v3, v5
	v_mov_b32_e32 v3, 0xa10
	v_mad_u32_u24 v1, v1, 40, v3
	s_waitcnt vmcnt(1)
	ds_read2_b64 v[14:17], v1 offset1:1
	s_waitcnt lgkmcnt(1)
	v_lshlrev_b32_e32 v1, 16, v10
	v_add_f32_e32 v1, 0, v1
	v_and_b32_e32 v3, 0xffff0000, v10
	v_and_b32_e32 v1, 0xffff0000, v1
	v_add_f32_e32 v3, 0, v3
	v_lshlrev_b32_e32 v5, 16, v11
	v_lshlrev_b32_e32 v7, 16, v12
	v_and_b32_e32 v3, 0xffff0000, v3
	v_add_f32_e32 v5, 0, v5
	v_add_f32_e32 v1, v1, v7
	v_and_b32_e32 v7, 0xffff0000, v12
	v_and_b32_e32 v5, 0xffff0000, v5
	v_add_f32_e32 v3, v3, v7
	v_lshlrev_b32_e32 v7, 16, v13
	v_and_b32_e32 v1, 0xffff0000, v1
	v_add_f32_e32 v5, v5, v7
	s_waitcnt lgkmcnt(0)
	v_lshlrev_b32_e32 v7, 16, v14
	v_and_b32_e32 v3, 0xffff0000, v3
	v_add_f32_e32 v1, v1, v7
	v_and_b32_e32 v7, 0xffff0000, v14
	v_and_b32_e32 v5, 0xffff0000, v5
	v_add_f32_e32 v3, v3, v7
	v_lshlrev_b32_e32 v7, 16, v15
	v_and_b32_e32 v1, 0xffff0000, v1
	v_add_f32_e32 v5, v5, v7
	v_lshlrev_b32_e32 v7, 16, v16
	v_and_b32_e32 v3, 0xffff0000, v3
	v_add_f32_e32 v10, v1, v7
	v_and_b32_e32 v1, 0xffff0000, v16
	v_and_b32_e32 v5, 0xffff0000, v5
	v_add_f32_e32 v11, v3, v1
	v_lshlrev_b32_e32 v1, 16, v17
	v_add_f32_e32 v12, v5, v1
	v_lshlrev_b32_e32 v1, 16, v2
	s_add_u32 s2, s26, s2
	v_add_f32_e32 v1, 0, v1
	s_addc_u32 s3, s27, s3
	s_lshl_b32 s0, s24, 7
	v_and_b32_e32 v1, 0xffff0000, v1
	v_lshlrev_b32_e32 v2, 16, v4
	s_lshl_b64 s[0:1], s[0:1], 1
	v_add_f32_e32 v1, v1, v2
	s_add_u32 s0, s2, s0
	v_and_b32_e32 v1, 0xffff0000, v1
	v_lshlrev_b32_e32 v2, 16, v6
	s_addc_u32 s1, s3, s1
	s_lshl_b32 s2, s5, 7
	v_add_f32_e32 v1, v1, v2
	v_and_b32_e32 v1, 0xffff0000, v1
	v_lshlrev_b32_e32 v2, 16, v8
	s_mul_i32 s3, s2, s8
	v_add_f32_e32 v1, v1, v2
	v_or_b32_e32 v2, s3, v0
	v_mov_b32_e32 v3, 0
	s_add_i32 s3, s3, s2
	v_lshl_add_u64 v[4:5], v[2:3], 1, s[0:1]
	v_or_b32_e32 v2, s3, v0
	s_add_i32 s3, s3, s2
	v_lshl_add_u64 v[6:7], v[2:3], 1, s[0:1]
	v_or_b32_e32 v2, s3, v0
	global_store_short_d16_hi v[4:5], v1, off
	v_lshl_add_u64 v[0:1], v[2:3], 1, s[0:1]
	global_store_short_d16_hi v[6:7], v18, off
	global_store_short_d16_hi v[0:1], v9, off
	global_store_short_d16_hi v[4:5], v10, off offset:128
	global_store_short_d16_hi v[6:7], v11, off offset:128
	;; [unrolled: 1-line block ×3, first 2 shown]
.LBB1390_25:
	s_endpgm
	.section	.rodata,"a",@progbits
	.p2align	6, 0x0
	.amdhsa_kernel _Z38paged_attention_ll4mi_QKV_mfma4_kernelI14__hip_bfloat16hLN4vllm18Fp8KVCacheDataTypeE1ES0_Li32ELi128ELi256ELb0ELi3EEvPKT_PKT0_S8_ifPKiSA_SA_iPKfiiiPfSD_PS3_PT2_iSC_SC_
		.amdhsa_group_segment_fixed_size 5280
		.amdhsa_private_segment_fixed_size 0
		.amdhsa_kernarg_size 400
		.amdhsa_user_sgpr_count 2
		.amdhsa_user_sgpr_dispatch_ptr 0
		.amdhsa_user_sgpr_queue_ptr 0
		.amdhsa_user_sgpr_kernarg_segment_ptr 1
		.amdhsa_user_sgpr_dispatch_id 0
		.amdhsa_user_sgpr_kernarg_preload_length 0
		.amdhsa_user_sgpr_kernarg_preload_offset 0
		.amdhsa_user_sgpr_private_segment_size 0
		.amdhsa_uses_dynamic_stack 0
		.amdhsa_enable_private_segment 0
		.amdhsa_system_sgpr_workgroup_id_x 1
		.amdhsa_system_sgpr_workgroup_id_y 1
		.amdhsa_system_sgpr_workgroup_id_z 1
		.amdhsa_system_sgpr_workgroup_info 0
		.amdhsa_system_vgpr_workitem_id 0
		.amdhsa_next_free_vgpr 108
		.amdhsa_next_free_sgpr 42
		.amdhsa_accum_offset 104
		.amdhsa_reserve_vcc 1
		.amdhsa_float_round_mode_32 0
		.amdhsa_float_round_mode_16_64 0
		.amdhsa_float_denorm_mode_32 3
		.amdhsa_float_denorm_mode_16_64 3
		.amdhsa_dx10_clamp 1
		.amdhsa_ieee_mode 1
		.amdhsa_fp16_overflow 0
		.amdhsa_tg_split 0
		.amdhsa_exception_fp_ieee_invalid_op 0
		.amdhsa_exception_fp_denorm_src 0
		.amdhsa_exception_fp_ieee_div_zero 0
		.amdhsa_exception_fp_ieee_overflow 0
		.amdhsa_exception_fp_ieee_underflow 0
		.amdhsa_exception_fp_ieee_inexact 0
		.amdhsa_exception_int_div_zero 0
	.end_amdhsa_kernel
	.section	.text._Z38paged_attention_ll4mi_QKV_mfma4_kernelI14__hip_bfloat16hLN4vllm18Fp8KVCacheDataTypeE1ES0_Li32ELi128ELi256ELb0ELi3EEvPKT_PKT0_S8_ifPKiSA_SA_iPKfiiiPfSD_PS3_PT2_iSC_SC_,"axG",@progbits,_Z38paged_attention_ll4mi_QKV_mfma4_kernelI14__hip_bfloat16hLN4vllm18Fp8KVCacheDataTypeE1ES0_Li32ELi128ELi256ELb0ELi3EEvPKT_PKT0_S8_ifPKiSA_SA_iPKfiiiPfSD_PS3_PT2_iSC_SC_,comdat
.Lfunc_end1390:
	.size	_Z38paged_attention_ll4mi_QKV_mfma4_kernelI14__hip_bfloat16hLN4vllm18Fp8KVCacheDataTypeE1ES0_Li32ELi128ELi256ELb0ELi3EEvPKT_PKT0_S8_ifPKiSA_SA_iPKfiiiPfSD_PS3_PT2_iSC_SC_, .Lfunc_end1390-_Z38paged_attention_ll4mi_QKV_mfma4_kernelI14__hip_bfloat16hLN4vllm18Fp8KVCacheDataTypeE1ES0_Li32ELi128ELi256ELb0ELi3EEvPKT_PKT0_S8_ifPKiSA_SA_iPKfiiiPfSD_PS3_PT2_iSC_SC_
                                        ; -- End function
	.section	.AMDGPU.csdata,"",@progbits
; Kernel info:
; codeLenInByte = 5732
; NumSgprs: 48
; NumVgprs: 104
; NumAgprs: 4
; TotalNumVgprs: 108
; ScratchSize: 0
; MemoryBound: 0
; FloatMode: 240
; IeeeMode: 1
; LDSByteSize: 5280 bytes/workgroup (compile time only)
; SGPRBlocks: 5
; VGPRBlocks: 13
; NumSGPRsForWavesPerEU: 48
; NumVGPRsForWavesPerEU: 108
; AccumOffset: 104
; Occupancy: 4
; WaveLimiterHint : 1
; COMPUTE_PGM_RSRC2:SCRATCH_EN: 0
; COMPUTE_PGM_RSRC2:USER_SGPR: 2
; COMPUTE_PGM_RSRC2:TRAP_HANDLER: 0
; COMPUTE_PGM_RSRC2:TGID_X_EN: 1
; COMPUTE_PGM_RSRC2:TGID_Y_EN: 1
; COMPUTE_PGM_RSRC2:TGID_Z_EN: 1
; COMPUTE_PGM_RSRC2:TIDIG_COMP_CNT: 0
; COMPUTE_PGM_RSRC3_GFX90A:ACCUM_OFFSET: 25
; COMPUTE_PGM_RSRC3_GFX90A:TG_SPLIT: 0
	.section	.text._Z38paged_attention_ll4mi_QKV_mfma4_kernelI14__hip_bfloat16hLN4vllm18Fp8KVCacheDataTypeE1ES0_Li32ELi128ELi256ELb0ELi4EEvPKT_PKT0_S8_ifPKiSA_SA_iPKfiiiPfSD_PS3_PT2_iSC_SC_,"axG",@progbits,_Z38paged_attention_ll4mi_QKV_mfma4_kernelI14__hip_bfloat16hLN4vllm18Fp8KVCacheDataTypeE1ES0_Li32ELi128ELi256ELb0ELi4EEvPKT_PKT0_S8_ifPKiSA_SA_iPKfiiiPfSD_PS3_PT2_iSC_SC_,comdat
	.protected	_Z38paged_attention_ll4mi_QKV_mfma4_kernelI14__hip_bfloat16hLN4vllm18Fp8KVCacheDataTypeE1ES0_Li32ELi128ELi256ELb0ELi4EEvPKT_PKT0_S8_ifPKiSA_SA_iPKfiiiPfSD_PS3_PT2_iSC_SC_ ; -- Begin function _Z38paged_attention_ll4mi_QKV_mfma4_kernelI14__hip_bfloat16hLN4vllm18Fp8KVCacheDataTypeE1ES0_Li32ELi128ELi256ELb0ELi4EEvPKT_PKT0_S8_ifPKiSA_SA_iPKfiiiPfSD_PS3_PT2_iSC_SC_
	.globl	_Z38paged_attention_ll4mi_QKV_mfma4_kernelI14__hip_bfloat16hLN4vllm18Fp8KVCacheDataTypeE1ES0_Li32ELi128ELi256ELb0ELi4EEvPKT_PKT0_S8_ifPKiSA_SA_iPKfiiiPfSD_PS3_PT2_iSC_SC_
	.p2align	8
	.type	_Z38paged_attention_ll4mi_QKV_mfma4_kernelI14__hip_bfloat16hLN4vllm18Fp8KVCacheDataTypeE1ES0_Li32ELi128ELi256ELb0ELi4EEvPKT_PKT0_S8_ifPKiSA_SA_iPKfiiiPfSD_PS3_PT2_iSC_SC_,@function
_Z38paged_attention_ll4mi_QKV_mfma4_kernelI14__hip_bfloat16hLN4vllm18Fp8KVCacheDataTypeE1ES0_Li32ELi128ELi256ELb0ELi4EEvPKT_PKT0_S8_ifPKiSA_SA_iPKfiiiPfSD_PS3_PT2_iSC_SC_: ; @_Z38paged_attention_ll4mi_QKV_mfma4_kernelI14__hip_bfloat16hLN4vllm18Fp8KVCacheDataTypeE1ES0_Li32ELi128ELi256ELb0ELi4EEvPKT_PKT0_S8_ifPKiSA_SA_iPKfiiiPfSD_PS3_PT2_iSC_SC_
; %bb.0:
	s_load_dwordx2 s[8:9], s[0:1], 0x30
	s_mov_b32 s24, s3
	s_mov_b64 s[6:7], 0
	s_waitcnt lgkmcnt(0)
	s_cmp_lg_u64 s[8:9], 0
	s_cselect_b64 s[10:11], -1, 0
	s_and_b64 vcc, exec, s[10:11]
	s_cbranch_vccz .LBB1391_20
; %bb.1:
	s_add_i32 s12, s2, 1
	s_mov_b32 s13, 0
	s_lshl_b64 s[14:15], s[12:13], 2
	s_add_u32 s14, s8, s14
	s_mov_b32 s3, s13
	s_addc_u32 s15, s9, s15
	s_lshl_b64 s[12:13], s[2:3], 2
	s_add_u32 s12, s8, s12
	s_addc_u32 s13, s9, s13
	s_load_dword s5, s[14:15], 0x0
	s_load_dword s16, s[12:13], 0x0
	s_mov_b64 s[34:35], s[2:3]
	s_waitcnt lgkmcnt(0)
	s_sub_i32 s5, s5, s16
	s_cmp_eq_u32 s5, 1
	s_cselect_b64 s[12:13], -1, 0
	s_andn2_b64 vcc, exec, s[6:7]
	s_cbranch_vccnz .LBB1391_3
.LBB1391_2:
	s_mov_b32 s3, 0
	s_mov_b64 s[12:13], -1
	s_mov_b64 s[34:35], s[2:3]
.LBB1391_3:
	s_andn2_b64 vcc, exec, s[12:13]
	s_cbranch_vccnz .LBB1391_19
; %bb.4:
	s_load_dword s3, s[0:1], 0x9c
	s_load_dwordx2 s[6:7], s[0:1], 0x28
	s_add_u32 s28, s0, 0x90
	s_addc_u32 s29, s1, 0
	s_lshl_b64 s[40:41], s[34:35], 2
	s_waitcnt lgkmcnt(0)
	s_and_b32 s5, s3, 0xffff
	s_add_u32 s6, s6, s40
	s_addc_u32 s7, s7, s41
	s_load_dword s3, s[6:7], 0x0
	s_mul_i32 s20, s24, s5
	s_waitcnt lgkmcnt(0)
	s_cmp_ge_i32 s20, s3
	s_cbranch_scc1 .LBB1391_19
; %bb.5:
	v_and_b32_e32 v1, 0xc0, v0
	v_add_u32_e32 v4, s20, v1
	v_lshrrev_b32_e32 v40, 6, v0
	v_cmp_le_i32_e64 s[6:7], s3, v4
                                        ; implicit-def: $sgpr22
                                        ; implicit-def: $sgpr21
	s_and_saveexec_b64 s[12:13], s[6:7]
	s_xor_b64 s[12:13], exec, s[12:13]
	s_cbranch_execz .LBB1391_7
; %bb.6:
	v_mul_u32_u24_e32 v1, 20, v40
	v_or_b32_e32 v1, 0x1400, v1
	v_mov_b32_e32 v2, 0x1450
	v_mov_b32_e32 v3, 0xff7fffff
	v_mad_u32_u24 v2, v40, 20, v2
	ds_write2_b32 v1, v3, v3 offset1:1
	v_mov_b32_e32 v1, 0
	ds_write2_b32 v2, v1, v1 offset1:1
	v_mov_b32_e32 v2, 0x1408
	v_mov_b32_e32 v4, 0x1458
	s_mov_b32 s21, 0xff7fffff
	s_mov_b32 s22, 0
	v_mad_u32_u24 v2, v40, 20, v2
	v_mad_u32_u24 v4, v40, 20, v4
	ds_write2_b32 v2, v3, v3 offset1:1
	ds_write2_b32 v4, v1, v1 offset1:1
                                        ; implicit-def: $vgpr4
.LBB1391_7:
	s_or_saveexec_b64 s[30:31], s[12:13]
	s_load_dwordx2 s[26:27], s[0:1], 0x68
	s_load_dwordx4 s[16:19], s[0:1], 0x58
	s_load_dword s5, s[28:29], 0x4
	s_load_dwordx4 s[12:15], s[0:1], 0x80
	v_and_b32_e32 v1, 63, v0
	v_and_b32_e32 v38, 3, v0
	v_mov_b32_e32 v37, s22
	v_mov_b32_e32 v41, s21
	;; [unrolled: 1-line block ×5, first 2 shown]
                                        ; implicit-def: $vgpr30_vgpr31
                                        ; implicit-def: $vgpr26_vgpr27
                                        ; implicit-def: $vgpr22_vgpr23
                                        ; implicit-def: $vgpr18_vgpr19
                                        ; implicit-def: $vgpr14_vgpr15
                                        ; implicit-def: $vgpr6_vgpr7
                                        ; implicit-def: $vgpr10_vgpr11
                                        ; implicit-def: $vgpr2_vgpr3
	s_xor_b64 exec, exec, s[30:31]
	s_cbranch_execz .LBB1391_13
; %bb.8:
	s_load_dwordx2 s[22:23], s[0:1], 0x20
	s_load_dword s21, s[0:1], 0x38
	s_add_i32 s25, s3, 31
	s_ashr_i32 s33, s25, 31
	s_lshr_b32 s33, s33, 27
	v_add_u32_e32 v34, s20, v0
	s_add_i32 s25, s25, s33
	v_ashrrev_i32_e32 v2, 31, v34
	s_ashr_i32 s25, s25, 5
	v_lshrrev_b32_e32 v2, 27, v2
	s_add_i32 s25, s25, -1
	s_waitcnt lgkmcnt(0)
	s_mul_i32 s36, s2, s21
	s_mov_b32 s37, 0
	v_add_u32_e32 v2, v34, v2
	s_lshl_b64 s[38:39], s[36:37], 2
	v_ashrrev_i32_e32 v2, 5, v2
	v_mov_b32_e32 v3, s25
	v_cmp_gt_i32_e32 vcc, s3, v34
	s_add_u32 s22, s22, s38
	s_addc_u32 s23, s23, s39
	v_cndmask_b32_e32 v2, v3, v2, vcc
	v_ashrrev_i32_e32 v3, 31, v2
	v_lshl_add_u64 v[6:7], v[2:3], 2, s[22:23]
	v_ashrrev_i32_e32 v2, 31, v4
	v_lshrrev_b32_e32 v2, 27, v2
	v_add_u32_e32 v2, v4, v2
	v_ashrrev_i32_e32 v4, 5, v2
	v_min_i32_e32 v2, s25, v4
	v_ashrrev_i32_e32 v3, 31, v2
	v_lshl_add_u64 v[8:9], v[2:3], 2, s[22:23]
	v_add_u32_e32 v2, 1, v4
	v_min_i32_e32 v2, s25, v2
	v_ashrrev_i32_e32 v3, 31, v2
	v_lshl_add_u64 v[10:11], v[2:3], 2, s[22:23]
	global_load_dword v4, v[6:7], off
	global_load_dword v2, v[8:9], off
	;; [unrolled: 1-line block ×3, first 2 shown]
	s_load_dwordx4 s[20:23], s[0:1], 0x0
	s_load_dwordx2 s[38:39], s[0:1], 0x10
	s_andn2_b64 vcc, exec, s[10:11]
	s_cbranch_vccnz .LBB1391_10
; %bb.9:
	s_add_u32 s8, s8, s40
	s_addc_u32 s9, s9, s41
	s_load_dword s36, s[8:9], 0x0
	s_waitcnt lgkmcnt(0)
	s_mov_b64 s[34:35], s[36:37]
.LBB1391_10:
	s_load_dwordx4 s[8:11], s[0:1], 0x48
	s_waitcnt lgkmcnt(0)
	s_load_dword s11, s[0:1], 0x1c
                                        ; kill: killed $sgpr0 killed $sgpr1
	v_mov_b32_e32 v17, 0
	v_mov_b32_e32 v21, v17
	v_cmp_eq_u32_e32 vcc, 0, v38
	s_ashr_i32 s1, s8, 31
	s_mul_hi_u32 s25, s34, s8
	s_mul_i32 s1, s34, s1
	s_mul_i32 s33, s35, s8
	s_add_i32 s1, s25, s1
	s_mul_i32 s0, s34, s8
	s_add_i32 s1, s1, s33
	s_lshl_b64 s[0:1], s[0:1], 1
	s_add_u32 s8, s20, s0
	s_addc_u32 s20, s21, s1
	s_lshl_b32 s36, s4, 9
	s_lshl_b64 s[0:1], s[36:37], 1
	s_add_u32 s0, s8, s0
	s_addc_u32 s1, s20, s1
	s_mul_i32 s8, s4, s10
	s_add_u32 s20, s8, s22
	s_addc_u32 s21, 0, s23
	v_mov_b64_e32 v[6:7], s[20:21]
	s_waitcnt vmcnt(2)
	v_mad_i64_i32 v[4:5], s[20:21], v4, s9, v[6:7]
	v_lshlrev_b32_e32 v6, 4, v0
	v_and_b32_e32 v16, 0x1f0, v6
	v_lshl_add_u64 v[18:19], v[4:5], 0, v[16:17]
	global_load_dwordx4 v[4:7], v[18:19], off
	global_load_dwordx4 v[8:11], v[18:19], off offset:512
	global_load_dwordx4 v[12:15], v[18:19], off offset:1024
	v_lshlrev_b32_e32 v16, 2, v1
	v_and_b32_e32 v16, 0xf0, v16
	v_lshl_or_b32 v16, v38, 8, v16
	global_load_dwordx4 v[42:45], v16, s[0:1]
	global_load_dwordx4 v[46:49], v[18:19], off offset:1536
	global_load_dwordx4 v[50:53], v[18:19], off offset:2048
	global_load_dwordx4 v[54:57], v[18:19], off offset:2560
	global_load_dwordx4 v[58:61], v[18:19], off offset:3072
	global_load_dwordx4 v[62:65], v[18:19], off offset:3584
	s_waitcnt vmcnt(9)
	v_mul_hi_i32 v20, v3, s9
	v_mul_hi_i32 v16, v2, s9
	v_ashrrev_i32_e32 v20, 31, v20
	v_ashrrev_i32_e32 v16, 31, v16
	v_lshrrev_b32_e32 v20, 29, v20
	v_mad_i64_i32 v[20:21], s[20:21], v3, s9, v[20:21]
	v_lshrrev_b32_e32 v16, 29, v16
	s_add_u32 s20, s38, s8
	v_mad_i64_i32 v[2:3], s[8:9], v2, s9, v[16:17]
	v_and_b32_e32 v20, -8, v20
	s_addc_u32 s21, s39, 0
	v_and_b32_e32 v2, -8, v2
	v_lshl_add_u64 v[20:21], s[20:21], 0, v[20:21]
	v_lshlrev_b32_e32 v16, 5, v1
	v_lshl_add_u64 v[2:3], s[20:21], 0, v[2:3]
	v_lshl_add_u64 v[36:37], v[20:21], 0, v[16:17]
	v_lshl_add_u64 v[2:3], v[2:3], 0, v[16:17]
	s_mov_b32 s0, 0x7060302
	s_waitcnt lgkmcnt(0)
	v_mov_b32_e32 v35, s11
	v_mov_b32_e32 v41, 0xff7fffff
	s_waitcnt vmcnt(8)
	v_cvt_pk_f32_fp8_e32 v[16:17], v4
	v_cvt_pk_f32_fp8_sdwa v[20:21], v4 src0_sel:WORD_1
	v_cvt_pk_f32_fp8_e32 v[22:23], v5
	v_cvt_pk_f32_fp8_sdwa v[4:5], v5 src0_sel:WORD_1
	;; [unrolled: 2-line block ×3, first 2 shown]
	s_waitcnt vmcnt(6)
	v_cvt_pk_f32_fp8_e32 v[80:81], v14
	v_cvt_pk_f32_fp8_sdwa v[82:83], v14 src0_sel:WORD_1
	v_cvt_pk_f32_fp8_e32 v[84:85], v15
	v_cvt_pk_f32_fp8_sdwa v[86:87], v15 src0_sel:WORD_1
	v_perm_b32 v14, v17, v16, s0
	v_perm_b32 v15, v21, v20, s0
	v_cvt_pk_f32_fp8_e32 v[28:29], v7
	v_cvt_pk_f32_fp8_sdwa v[6:7], v7 src0_sel:WORD_1
	s_waitcnt vmcnt(5)
	v_mfma_f32_4x4x4_16b_bf16 a[0:3], v[42:43], v[14:15], 0 cbsz:4
	v_perm_b32 v16, v23, v22, s0
	v_perm_b32 v17, v5, v4, s0
	v_cvt_pk_f32_fp8_e32 v[30:31], v8
	v_cvt_pk_f32_fp8_sdwa v[32:33], v8 src0_sel:WORD_1
	v_mfma_f32_4x4x4_16b_bf16 a[0:3], v[44:45], v[16:17], a[0:3] cbsz:4
	v_perm_b32 v4, v25, v24, s0
	v_perm_b32 v5, v27, v26, s0
	v_cvt_pk_f32_fp8_e32 v[66:67], v9
	v_cvt_pk_f32_fp8_sdwa v[8:9], v9 src0_sel:WORD_1
	v_mfma_f32_4x4x4_16b_bf16 a[0:3], v[42:43], v[4:5], a[0:3] cbsz:4 abid:1
	v_perm_b32 v88, v29, v28, s0
	v_perm_b32 v89, v7, v6, s0
	v_cvt_pk_f32_fp8_e32 v[68:69], v10
	v_cvt_pk_f32_fp8_sdwa v[70:71], v10 src0_sel:WORD_1
	v_mfma_f32_4x4x4_16b_bf16 a[0:3], v[44:45], v[88:89], a[0:3] cbsz:4 abid:1
	;; [unrolled: 5-line block ×5, first 2 shown]
	v_perm_b32 v70, v73, v72, s0
	v_perm_b32 v71, v11, v10, s0
	;; [unrolled: 1-line block ×4, first 2 shown]
	v_mfma_f32_4x4x4_16b_bf16 a[0:3], v[44:45], v[70:71], a[0:3] cbsz:4 abid:3
	v_perm_b32 v66, v79, v78, s0
	v_perm_b32 v67, v13, v12, s0
	v_mfma_f32_4x4x4_16b_bf16 a[0:3], v[42:43], v[10:11], a[0:3] cbsz:4 abid:4
	v_perm_b32 v12, v81, v80, s0
	v_perm_b32 v13, v83, v82, s0
	v_mfma_f32_4x4x4_16b_bf16 a[0:3], v[44:45], v[66:67], a[0:3] cbsz:4 abid:4
	global_load_dwordx4 v[18:21], v[36:37], off offset:16
	global_load_dwordx4 v[22:25], v[36:37], off
	global_load_dwordx4 v[26:29], v[2:3], off offset:16
	global_load_dwordx4 v[30:33], v[2:3], off
	global_load_dwordx4 v[6:9], v[2:3], off offset:2064
	global_load_dwordx4 v[14:17], v[2:3], off offset:2048
	s_waitcnt vmcnt(10)
	v_cvt_pk_f32_fp8_e32 v[2:3], v46
	v_cvt_pk_f32_fp8_sdwa v[4:5], v46 src0_sel:WORD_1
	v_mfma_f32_4x4x4_16b_bf16 a[0:3], v[42:43], v[12:13], a[0:3] cbsz:4 abid:5
	v_perm_b32 v10, v85, v84, s0
	v_perm_b32 v11, v87, v86, s0
	v_cvt_pk_f32_fp8_e32 v[72:73], v47
	v_perm_b32 v2, v3, v2, s0
	v_mfma_f32_4x4x4_16b_bf16 a[0:3], v[44:45], v[10:11], a[0:3] cbsz:4 abid:5
	v_cvt_pk_f32_fp8_sdwa v[10:11], v47 src0_sel:WORD_1
	v_perm_b32 v3, v5, v4, s0
	v_cvt_pk_f32_fp8_e32 v[46:47], v48
	v_cvt_pk_f32_fp8_sdwa v[66:67], v48 src0_sel:WORD_1
	v_mfma_f32_4x4x4_16b_bf16 a[0:3], v[42:43], v[2:3], a[0:3] cbsz:4 abid:6
	v_perm_b32 v4, v73, v72, s0
	v_perm_b32 v5, v11, v10, s0
	v_cvt_pk_f32_fp8_e32 v[68:69], v49
	v_cvt_pk_f32_fp8_sdwa v[48:49], v49 src0_sel:WORD_1
	v_mfma_f32_4x4x4_16b_bf16 a[0:3], v[44:45], v[4:5], a[0:3] cbsz:4 abid:6
	global_load_dwordx4 v[2:5], v[36:37], off offset:2064
	global_load_dwordx4 v[10:13], v[36:37], off offset:2048
	v_perm_b32 v36, v47, v46, s0
	v_perm_b32 v37, v67, v66, s0
	;; [unrolled: 1-line block ×4, first 2 shown]
	v_mfma_f32_4x4x4_16b_bf16 a[0:3], v[42:43], v[36:37], a[0:3] cbsz:4 abid:7
	s_waitcnt vmcnt(11)
	v_cvt_pk_f32_fp8_e32 v[36:37], v50
	v_cvt_pk_f32_fp8_e32 v[48:49], v51
	v_mfma_f32_4x4x4_16b_bf16 a[0:3], v[44:45], v[46:47], a[0:3] cbsz:4 abid:7
	v_cvt_pk_f32_fp8_sdwa v[46:47], v50 src0_sel:WORD_1
	v_cvt_pk_f32_fp8_sdwa v[50:51], v51 src0_sel:WORD_1
	v_perm_b32 v36, v37, v36, s0
	v_perm_b32 v37, v47, v46, s0
	v_perm_b32 v46, v49, v48, s0
	s_nop 0
	v_mfma_f32_4x4x4_16b_bf16 a[0:3], v[42:43], v[36:37], a[0:3] cbsz:4 abid:8
	v_perm_b32 v47, v51, v50, s0
	v_cvt_pk_f32_fp8_e32 v[36:37], v52
	v_cvt_pk_f32_fp8_e32 v[48:49], v53
	v_mfma_f32_4x4x4_16b_bf16 a[0:3], v[44:45], v[46:47], a[0:3] cbsz:4 abid:8
	v_cvt_pk_f32_fp8_sdwa v[46:47], v52 src0_sel:WORD_1
	v_cvt_pk_f32_fp8_sdwa v[50:51], v53 src0_sel:WORD_1
	v_perm_b32 v36, v37, v36, s0
	v_perm_b32 v37, v47, v46, s0
	v_perm_b32 v46, v49, v48, s0
	s_nop 0
	v_mfma_f32_4x4x4_16b_bf16 a[0:3], v[42:43], v[36:37], a[0:3] cbsz:4 abid:9
	v_perm_b32 v47, v51, v50, s0
	s_waitcnt vmcnt(10)
	v_cvt_pk_f32_fp8_e32 v[36:37], v54
	v_cvt_pk_f32_fp8_e32 v[48:49], v55
	v_mfma_f32_4x4x4_16b_bf16 a[0:3], v[44:45], v[46:47], a[0:3] cbsz:4 abid:9
	v_cvt_pk_f32_fp8_sdwa v[46:47], v54 src0_sel:WORD_1
	v_cvt_pk_f32_fp8_sdwa v[50:51], v55 src0_sel:WORD_1
	v_perm_b32 v36, v37, v36, s0
	v_perm_b32 v37, v47, v46, s0
	v_perm_b32 v46, v49, v48, s0
	s_nop 0
	v_mfma_f32_4x4x4_16b_bf16 a[0:3], v[42:43], v[36:37], a[0:3] cbsz:4 abid:10
	v_perm_b32 v47, v51, v50, s0
	v_cvt_pk_f32_fp8_e32 v[36:37], v56
	v_cvt_pk_f32_fp8_e32 v[48:49], v57
	v_mfma_f32_4x4x4_16b_bf16 a[0:3], v[44:45], v[46:47], a[0:3] cbsz:4 abid:10
	v_cvt_pk_f32_fp8_sdwa v[46:47], v56 src0_sel:WORD_1
	v_cvt_pk_f32_fp8_sdwa v[50:51], v57 src0_sel:WORD_1
	v_perm_b32 v36, v37, v36, s0
	v_perm_b32 v37, v47, v46, s0
	v_perm_b32 v46, v49, v48, s0
	s_nop 0
	v_mfma_f32_4x4x4_16b_bf16 a[0:3], v[42:43], v[36:37], a[0:3] cbsz:4 abid:11
	v_perm_b32 v47, v51, v50, s0
	;; [unrolled: 23-line block ×3, first 2 shown]
	s_waitcnt vmcnt(8)
	v_cvt_pk_f32_fp8_e32 v[36:37], v62
	v_cvt_pk_f32_fp8_e32 v[48:49], v63
	v_mfma_f32_4x4x4_16b_bf16 a[0:3], v[44:45], v[46:47], a[0:3] cbsz:4 abid:13
	v_cvt_pk_f32_fp8_sdwa v[46:47], v62 src0_sel:WORD_1
	v_cvt_pk_f32_fp8_sdwa v[50:51], v63 src0_sel:WORD_1
	v_perm_b32 v36, v37, v36, s0
	v_perm_b32 v37, v47, v46, s0
	;; [unrolled: 1-line block ×3, first 2 shown]
	s_nop 0
	v_mfma_f32_4x4x4_16b_bf16 a[0:3], v[42:43], v[36:37], a[0:3] cbsz:4 abid:14
	v_perm_b32 v47, v51, v50, s0
	v_cvt_pk_f32_fp8_e32 v[36:37], v64
	v_cvt_pk_f32_fp8_e32 v[48:49], v65
	v_mfma_f32_4x4x4_16b_bf16 a[0:3], v[44:45], v[46:47], a[0:3] cbsz:4 abid:14
	v_cvt_pk_f32_fp8_sdwa v[46:47], v64 src0_sel:WORD_1
	v_cvt_pk_f32_fp8_sdwa v[50:51], v65 src0_sel:WORD_1
	v_perm_b32 v36, v37, v36, s0
	v_perm_b32 v37, v47, v46, s0
	;; [unrolled: 1-line block ×4, first 2 shown]
	v_mfma_f32_4x4x4_16b_bf16 a[0:3], v[42:43], v[36:37], a[0:3] cbsz:4 abid:15
	s_load_dword s0, s[12:13], 0x0
	s_waitcnt lgkmcnt(0)
	v_mul_f32_e32 v42, s0, v35
	v_mfma_f32_4x4x4_16b_bf16 a[0:3], v[44:45], v[46:47], a[0:3] cbsz:4 abid:15
	v_cndmask_b32_e64 v35, 0, 1.0, vcc
	v_cmp_eq_u32_e32 vcc, 1, v38
	s_nop 2
	v_accvgpr_read_b32 v45, a1
	v_accvgpr_read_b32 v44, a0
	v_pk_mul_f32 v[44:45], v[44:45], v[42:43] op_sel_hi:[1,0]
	v_accvgpr_read_b32 v37, a3
	v_accvgpr_read_b32 v36, a2
	v_pk_mul_f32 v[36:37], v[36:37], v[42:43] op_sel_hi:[1,0]
	v_mfma_f32_4x4x1_16b_f32 a[0:3], v44, v35, 0
	v_cndmask_b32_e64 v35, 0, 1.0, vcc
	v_cmp_eq_u32_e32 vcc, 2, v38
	s_nop 0
	v_mfma_f32_4x4x1_16b_f32 a[0:3], v45, v35, a[0:3]
	v_cndmask_b32_e64 v35, 0, 1.0, vcc
	v_cmp_eq_u32_e32 vcc, 3, v38
	s_nop 0
	v_mfma_f32_4x4x1_16b_f32 a[0:3], v36, v35, a[0:3]
	v_cndmask_b32_e64 v35, 0, 1.0, vcc
	v_lshlrev_b32_e32 v36, 2, v0
	v_and_or_b32 v36, v36, 48, v38
	v_mfma_f32_4x4x1_16b_f32 a[0:3], v37, v35, a[0:3]
	v_and_b32_e32 v35, -4, v34
	v_cmp_gt_i32_e32 vcc, s3, v35
	v_or_b32_e32 v34, 3, v34
	v_cmp_gt_i32_e64 s[10:11], s3, v34
	v_accvgpr_read_b32 v37, a0
	v_max_f32_e32 v39, v37, v37
	v_max_f32_e32 v39, 0xff7fffff, v39
	v_accvgpr_read_b32 v42, a1
	v_cndmask_b32_e32 v39, v41, v39, vcc
	v_or_b32_e32 v41, 1, v35
	v_max_f32_e32 v43, v42, v42
	v_max_f32_e32 v43, v39, v43
	v_cmp_gt_i32_e64 s[0:1], s3, v41
	v_or_b32_e32 v35, 2, v35
	v_cmp_gt_i32_e64 s[8:9], s3, v35
	v_cndmask_b32_e64 v39, v39, v43, s[0:1]
	v_accvgpr_read_b32 v43, a2
	v_max_f32_e32 v41, v43, v43
	v_max_f32_e32 v41, v39, v41
	v_cndmask_b32_e64 v35, v39, v41, s[8:9]
	v_accvgpr_read_b32 v39, a3
	v_max_f32_e32 v41, v39, v39
	v_max_f32_e32 v41, v35, v41
	v_cndmask_b32_e64 v34, v35, v41, s[10:11]
	;;#ASMSTART
	v_nop
 v_nop
 v_max_f32_dpp v34, v34, v34 row_ror:4
	;;#ASMEND
	v_lshlrev_b32_e32 v44, 2, v36
	;;#ASMSTART
	v_nop
 v_nop
 v_max_f32_dpp v34, v34, v34 row_ror:8
	;;#ASMEND
	ds_bpermute_b32 v34, v44, v34
	s_waitcnt lgkmcnt(0)
	;;#ASMSTART
	v_nop
 v_nop
 v_max_f32_dpp v34, v34, v34 row_ror:4
	;;#ASMEND
	s_nop 0
	;;#ASMSTART
	v_nop
 v_nop
 v_max_f32_dpp v41, v34, v34 row_ror:8
	;;#ASMEND
	s_nop 0
	v_sub_f32_e32 v34, v37, v41
	v_mul_f32_e32 v34, 0x3fb8aa3b, v34
	v_sub_f32_e32 v35, v42, v41
	v_exp_f32_e32 v34, v34
	v_mul_f32_e32 v35, 0x3fb8aa3b, v35
	v_sub_f32_e32 v37, v43, v41
	v_exp_f32_e32 v35, v35
	;; [unrolled: 3-line block ×3, first 2 shown]
	v_mul_f32_e32 v39, 0x3fb8aa3b, v39
	v_exp_f32_e32 v39, v39
	v_cndmask_b32_e32 v34, 0, v34, vcc
	v_add_f32_e32 v36, 0, v34
	v_cndmask_b32_e64 v35, 0, v35, s[0:1]
	v_add_f32_e32 v42, v36, v35
	v_cndmask_b32_e64 v36, 0, v37, s[8:9]
	;; [unrolled: 2-line block ×3, first 2 shown]
	v_add_f32_e32 v39, v42, v37
	;;#ASMSTART
	v_nop
 v_nop
 v_add_f32_dpp v39, v39, v39 row_ror:4
	;;#ASMEND
	v_cmp_gt_u32_e32 vcc, 4, v1
	;;#ASMSTART
	v_nop
 v_nop
 v_add_f32_dpp v39, v39, v39 row_ror:8
	;;#ASMEND
	ds_bpermute_b32 v39, v44, v39
	s_waitcnt lgkmcnt(0)
	;;#ASMSTART
	v_nop
 v_nop
 v_add_f32_dpp v39, v39, v39 row_ror:4
	;;#ASMEND
	s_nop 0
	;;#ASMSTART
	v_nop
 v_nop
 v_add_f32_dpp v39, v39, v39 row_ror:8
	;;#ASMEND
	s_and_saveexec_b64 s[0:1], vcc
	s_cbranch_execz .LBB1391_12
; %bb.11:
	v_mul_u32_u24_e32 v42, 20, v40
	v_lshl_add_u32 v42, v38, 2, v42
	v_add_u32_e32 v42, 0x1400, v42
	ds_write2_b32 v42, v41, v39 offset1:20
.LBB1391_12:
	s_or_b64 exec, exec, s[0:1]
.LBB1391_13:
	s_or_b64 exec, exec, s[30:31]
	v_lshlrev_b32_e32 v39, 2, v38
	v_add_u32_e32 v39, 0x1400, v39
	s_waitcnt lgkmcnt(0)
	s_barrier
	s_load_dword s0, s[28:29], 0x8
	ds_read2_b32 v[44:45], v39 offset1:5
	ds_read2_b32 v[46:47], v39 offset0:10 offset1:15
	s_mov_b32 s10, 0xff7fffff
	s_mul_i32 s1, s2, s5
	s_lshl_b32 s8, s4, 2
	s_waitcnt lgkmcnt(0)
	v_max3_f32 v42, v44, s10, v45
	s_mul_i32 s1, s1, s0
	v_max3_f32 v42, v42, v46, v47
	s_lshl_b32 s0, s1, 2
	s_mov_b32 s1, 0
	v_sub_f32_e32 v43, v44, v42
	v_sub_f32_e32 v44, v45, v42
	s_lshl_b64 s[2:3], s[0:1], 2
	ds_read2_b32 v[48:49], v39 offset0:20 offset1:25
	v_mul_f32_e32 v43, 0x3fb8aa3b, v43
	v_mul_f32_e32 v44, 0x3fb8aa3b, v44
	s_add_u32 s4, s16, s2
	v_exp_f32_e32 v43, v43
	v_exp_f32_e32 v50, v44
	ds_read2_b32 v[44:45], v39 offset0:30 offset1:35
	v_sub_f32_e32 v39, v46, v42
	s_addc_u32 s9, s17, s3
	v_mul_f32_e32 v39, 0x3fb8aa3b, v39
	v_sub_f32_e32 v46, v47, v42
	s_mov_b32 s25, s1
	s_add_u32 s10, s18, s2
	v_exp_f32_e32 v39, v39
	v_mul_f32_e32 v46, 0x3fb8aa3b, v46
	s_addc_u32 s11, s19, s3
	s_lshl_b64 s[2:3], s[24:25], 2
	v_exp_f32_e32 v46, v46
	s_add_u32 s10, s10, s2
	s_waitcnt lgkmcnt(1)
	v_fma_f32 v43, v43, v48, 0
	s_addc_u32 s11, s11, s3
	v_fmac_f32_e32 v43, v50, v49
	v_or_b32_e32 v38, s8, v38
	s_waitcnt lgkmcnt(0)
	v_fmac_f32_e32 v43, v39, v44
	s_add_u32 s2, s4, s2
	v_mul_lo_u32 v38, s5, v38
	v_mov_b32_e32 v39, 0
	v_fmac_f32_e32 v43, v46, v45
	s_addc_u32 s3, s9, s3
	v_lshlrev_b64 v[44:45], 2, v[38:39]
	v_lshl_add_u64 v[46:47], s[10:11], 0, v[44:45]
	v_lshl_add_u64 v[44:45], s[2:3], 0, v[44:45]
	v_lshlrev_b32_e32 v40, 3, v40
	global_store_dword v[46:47], v42, off
	global_store_dword v[44:45], v43, off
	s_and_saveexec_b64 s[2:3], s[6:7]
	s_xor_b64 s[2:3], exec, s[2:3]
	s_cbranch_execz .LBB1391_15
; %bb.14:
	s_waitcnt vmcnt(3)
	v_mad_u32_u24 v2, v1, 40, v40
	v_mov_b32_e32 v38, v39
	ds_write_b64 v2, v[38:39]
                                        ; implicit-def: $vgpr37
                                        ; implicit-def: $vgpr35
                                        ; implicit-def: $vgpr41
                                        ; implicit-def: $vgpr30_vgpr31
                                        ; implicit-def: $vgpr26_vgpr27
                                        ; implicit-def: $vgpr22_vgpr23
                                        ; implicit-def: $vgpr18_vgpr19
                                        ; implicit-def: $vgpr14_vgpr15
                                        ; implicit-def: $vgpr6_vgpr7
                                        ; implicit-def: $vgpr10_vgpr11
                                        ; implicit-def: $vgpr2_vgpr3
                                        ; implicit-def: $vgpr42
                                        ; implicit-def: $vgpr43
.LBB1391_15:
	s_or_saveexec_b64 s[2:3], s[2:3]
	v_mov_b32_e32 v38, s1
	v_mov_b32_e32 v39, s1
	s_xor_b64 exec, exec, s[2:3]
	s_cbranch_execz .LBB1391_17
; %bb.16:
	v_add_f32_e32 v38, 0x358637bd, v43
	v_div_scale_f32 v39, s[6:7], v38, v38, 1.0
	v_rcp_f32_e32 v43, v39
	v_sub_f32_e32 v41, v41, v42
	v_mul_f32_e32 v41, 0x3fb8aa3b, v41
	v_exp_f32_e32 v41, v41
	v_fma_f32 v42, -v39, v43, 1.0
	v_fmac_f32_e32 v43, v42, v43
	v_div_scale_f32 v42, vcc, 1.0, v38, 1.0
	v_mul_f32_e32 v44, v42, v43
	v_fma_f32 v45, -v39, v44, v42
	v_fmac_f32_e32 v44, v45, v43
	v_fma_f32 v39, -v39, v44, v42
	v_div_fmas_f32 v39, v39, v43, v44
	v_div_fixup_f32 v38, v39, v38, 1.0
	v_mul_f32_e32 v38, v41, v38
	v_pk_mul_f32 v[34:35], v[34:35], v[38:39] op_sel_hi:[1,0]
	v_pk_mul_f32 v[36:37], v[36:37], v[38:39] op_sel_hi:[1,0]
	v_bfe_u32 v38, v35, 16, 1
	v_bfe_u32 v39, v34, 16, 1
	s_movk_i32 s1, 0x7fff
	v_add3_u32 v34, v34, v39, s1
	v_add3_u32 v35, v35, v38, s1
	s_mov_b32 s6, 0x7060302
	v_perm_b32 v34, v35, v34, s6
	v_bfe_u32 v35, v37, 16, 1
	v_bfe_u32 v38, v36, 16, 1
	v_add3_u32 v36, v36, v38, s1
	v_add3_u32 v35, v37, v35, s1
	v_perm_b32 v35, v35, v36, s6
	s_waitcnt vmcnt(6)
	v_cvt_pk_f32_fp8_e32 v[36:37], v30
	v_cvt_pk_f32_fp8_sdwa v[38:39], v30 src0_sel:WORD_1
	v_cvt_pk_f32_fp8_e32 v[42:43], v31
	v_cvt_pk_f32_fp8_sdwa v[30:31], v31 src0_sel:WORD_1
	v_perm_b32 v36, v37, v36, s6
	v_perm_b32 v37, v39, v38, s6
	;; [unrolled: 1-line block ×4, first 2 shown]
	v_mfma_f32_4x4x4_16b_bf16 a[0:3], v[34:35], v[36:37], 0 cbsz:4
	v_cvt_pk_f32_fp8_e32 v[30:31], v32
	v_cvt_pk_f32_fp8_sdwa v[36:37], v32 src0_sel:WORD_1
	v_mfma_f32_4x4x4_16b_bf16 a[0:3], v[34:35], v[38:39], a[0:3] cbsz:4 abid:1
	v_cvt_pk_f32_fp8_e32 v[38:39], v33
	v_cvt_pk_f32_fp8_sdwa v[32:33], v33 src0_sel:WORD_1
	v_perm_b32 v30, v31, v30, s6
	v_perm_b32 v31, v37, v36, s6
	v_perm_b32 v36, v39, v38, s6
	v_perm_b32 v37, v33, v32, s6
	v_mfma_f32_4x4x4_16b_bf16 a[0:3], v[34:35], v[30:31], a[0:3] cbsz:4 abid:2
	v_cvt_pk_f32_fp8_e32 v[30:31], v26
	v_cvt_pk_f32_fp8_sdwa v[32:33], v26 src0_sel:WORD_1
	v_mfma_f32_4x4x4_16b_bf16 a[0:3], v[34:35], v[36:37], a[0:3] cbsz:4 abid:3
	v_cvt_pk_f32_fp8_e32 v[36:37], v27
	v_cvt_pk_f32_fp8_sdwa v[26:27], v27 src0_sel:WORD_1
	v_perm_b32 v30, v31, v30, s6
	v_perm_b32 v31, v33, v32, s6
	v_perm_b32 v32, v37, v36, s6
	v_perm_b32 v33, v27, v26, s6
	v_mfma_f32_4x4x4_16b_bf16 a[0:3], v[34:35], v[30:31], a[0:3] cbsz:4 abid:4
	;; [unrolled: 10-line block ×6, first 2 shown]
	v_cvt_pk_f32_fp8_e32 v[18:19], v20
	v_cvt_pk_f32_fp8_sdwa v[22:23], v20 src0_sel:WORD_1
	v_mfma_f32_4x4x4_16b_bf16 a[0:3], v[34:35], v[24:25], a[0:3] cbsz:4 abid:13
	v_cvt_pk_f32_fp8_e32 v[24:25], v21
	v_cvt_pk_f32_fp8_sdwa v[20:21], v21 src0_sel:WORD_1
	v_perm_b32 v18, v19, v18, s6
	v_perm_b32 v19, v23, v22, s6
	s_load_dword s4, s[14:15], 0x0
	v_perm_b32 v22, v25, v24, s6
	v_mfma_f32_4x4x4_16b_bf16 a[0:3], v[34:35], v[18:19], a[0:3] cbsz:4 abid:14
	v_perm_b32 v23, v21, v20, s6
	s_nop 1
	v_mfma_f32_4x4x4_16b_bf16 a[0:3], v[34:35], v[22:23], a[0:3] cbsz:4 abid:15
	s_nop 4
	v_accvgpr_read_b32 v21, a1
	v_accvgpr_read_b32 v20, a0
	s_waitcnt lgkmcnt(0)
	v_pk_mul_f32 v[20:21], v[20:21], s[4:5] op_sel_hi:[1,0]
	v_accvgpr_read_b32 v19, a3
	v_accvgpr_read_b32 v18, a2
	v_bfe_u32 v22, v21, 16, 1
	v_bfe_u32 v23, v20, 16, 1
	v_pk_mul_f32 v[18:19], v[18:19], s[4:5] op_sel_hi:[1,0]
	v_add3_u32 v20, v20, v23, s1
	v_add3_u32 v21, v21, v22, s1
	v_perm_b32 v20, v21, v20, s6
	v_bfe_u32 v21, v19, 16, 1
	v_bfe_u32 v22, v18, 16, 1
	v_add3_u32 v18, v18, v22, s1
	v_add3_u32 v19, v19, v21, s1
	v_perm_b32 v21, v19, v18, s6
	v_mad_u32_u24 v18, v1, 40, v40
	ds_write_b64 v18, v[20:21]
	s_waitcnt vmcnt(4)
	v_cvt_pk_f32_fp8_e32 v[18:19], v14
	v_cvt_pk_f32_fp8_sdwa v[20:21], v14 src0_sel:WORD_1
	v_cvt_pk_f32_fp8_e32 v[22:23], v15
	v_cvt_pk_f32_fp8_sdwa v[14:15], v15 src0_sel:WORD_1
	v_perm_b32 v18, v19, v18, s6
	v_perm_b32 v19, v21, v20, s6
	;; [unrolled: 1-line block ×4, first 2 shown]
	v_mfma_f32_4x4x4_16b_bf16 a[0:3], v[34:35], v[18:19], 0 cbsz:4
	v_cvt_pk_f32_fp8_e32 v[14:15], v16
	v_cvt_pk_f32_fp8_sdwa v[18:19], v16 src0_sel:WORD_1
	v_mfma_f32_4x4x4_16b_bf16 a[0:3], v[34:35], v[20:21], a[0:3] cbsz:4 abid:1
	v_cvt_pk_f32_fp8_e32 v[20:21], v17
	v_cvt_pk_f32_fp8_sdwa v[16:17], v17 src0_sel:WORD_1
	v_perm_b32 v14, v15, v14, s6
	v_perm_b32 v15, v19, v18, s6
	v_perm_b32 v18, v21, v20, s6
	v_perm_b32 v19, v17, v16, s6
	v_mfma_f32_4x4x4_16b_bf16 a[0:3], v[34:35], v[14:15], a[0:3] cbsz:4 abid:2
	v_cvt_pk_f32_fp8_e32 v[14:15], v6
	v_cvt_pk_f32_fp8_sdwa v[16:17], v6 src0_sel:WORD_1
	v_mfma_f32_4x4x4_16b_bf16 a[0:3], v[34:35], v[18:19], a[0:3] cbsz:4 abid:3
	v_cvt_pk_f32_fp8_e32 v[18:19], v7
	v_cvt_pk_f32_fp8_sdwa v[6:7], v7 src0_sel:WORD_1
	v_perm_b32 v14, v15, v14, s6
	v_perm_b32 v15, v17, v16, s6
	v_perm_b32 v16, v19, v18, s6
	v_perm_b32 v17, v7, v6, s6
	v_mfma_f32_4x4x4_16b_bf16 a[0:3], v[34:35], v[14:15], a[0:3] cbsz:4 abid:4
	;; [unrolled: 10-line block ×3, first 2 shown]
	s_waitcnt vmcnt(2)
	v_cvt_pk_f32_fp8_e32 v[6:7], v10
	v_cvt_pk_f32_fp8_sdwa v[8:9], v10 src0_sel:WORD_1
	v_mfma_f32_4x4x4_16b_bf16 a[0:3], v[34:35], v[14:15], a[0:3] cbsz:4 abid:7
	v_cvt_pk_f32_fp8_e32 v[14:15], v11
	v_cvt_pk_f32_fp8_sdwa v[10:11], v11 src0_sel:WORD_1
	v_perm_b32 v6, v7, v6, s6
	v_perm_b32 v7, v9, v8, s6
	;; [unrolled: 1-line block ×4, first 2 shown]
	v_mfma_f32_4x4x4_16b_bf16 a[0:3], v[34:35], v[6:7], a[0:3] cbsz:4 abid:8
	v_cvt_pk_f32_fp8_e32 v[6:7], v12
	v_cvt_pk_f32_fp8_e32 v[10:11], v13
	v_mfma_f32_4x4x4_16b_bf16 a[0:3], v[34:35], v[8:9], a[0:3] cbsz:4 abid:9
	v_cvt_pk_f32_fp8_sdwa v[8:9], v12 src0_sel:WORD_1
	v_cvt_pk_f32_fp8_sdwa v[12:13], v13 src0_sel:WORD_1
	v_perm_b32 v6, v7, v6, s6
	v_perm_b32 v7, v9, v8, s6
	;; [unrolled: 1-line block ×3, first 2 shown]
	s_nop 0
	v_mfma_f32_4x4x4_16b_bf16 a[0:3], v[34:35], v[6:7], a[0:3] cbsz:4 abid:10
	v_perm_b32 v9, v13, v12, s6
	v_cvt_pk_f32_fp8_e32 v[6:7], v2
	v_cvt_pk_f32_fp8_e32 v[10:11], v3
	v_mfma_f32_4x4x4_16b_bf16 a[0:3], v[34:35], v[8:9], a[0:3] cbsz:4 abid:11
	v_cvt_pk_f32_fp8_sdwa v[8:9], v2 src0_sel:WORD_1
	v_cvt_pk_f32_fp8_sdwa v[2:3], v3 src0_sel:WORD_1
	v_perm_b32 v6, v7, v6, s6
	v_perm_b32 v7, v9, v8, s6
	;; [unrolled: 1-line block ×3, first 2 shown]
	s_nop 0
	v_mfma_f32_4x4x4_16b_bf16 a[0:3], v[34:35], v[6:7], a[0:3] cbsz:4 abid:12
	v_cvt_pk_f32_fp8_e32 v[2:3], v4
	v_cvt_pk_f32_fp8_sdwa v[6:7], v4 src0_sel:WORD_1
	v_perm_b32 v8, v11, v10, s6
	v_perm_b32 v2, v3, v2, s6
	s_nop 0
	v_mfma_f32_4x4x4_16b_bf16 a[0:3], v[34:35], v[8:9], a[0:3] cbsz:4 abid:13
	v_cvt_pk_f32_fp8_e32 v[8:9], v5
	v_cvt_pk_f32_fp8_sdwa v[4:5], v5 src0_sel:WORD_1
	v_perm_b32 v3, v7, v6, s6
	v_perm_b32 v6, v9, v8, s6
	s_nop 0
	v_mfma_f32_4x4x4_16b_bf16 a[0:3], v[34:35], v[2:3], a[0:3] cbsz:4 abid:14
	v_perm_b32 v7, v5, v4, s6
	s_nop 1
	v_mfma_f32_4x4x4_16b_bf16 a[0:3], v[34:35], v[6:7], a[0:3] cbsz:4 abid:15
	s_nop 4
	v_accvgpr_read_b32 v5, a1
	v_accvgpr_read_b32 v4, a0
	;; [unrolled: 1-line block ×4, first 2 shown]
	v_pk_mul_f32 v[4:5], v[4:5], s[4:5] op_sel_hi:[1,0]
	v_pk_mul_f32 v[2:3], v[2:3], s[4:5] op_sel_hi:[1,0]
	v_bfe_u32 v6, v5, 16, 1
	v_bfe_u32 v7, v4, 16, 1
	v_add3_u32 v4, v4, v7, s1
	v_add3_u32 v5, v5, v6, s1
	v_bfe_u32 v6, v3, 16, 1
	v_bfe_u32 v7, v2, 16, 1
	v_add3_u32 v2, v2, v7, s1
	v_add3_u32 v3, v3, v6, s1
	v_perm_b32 v39, v3, v2, s6
	v_perm_b32 v38, v5, v4, s6
.LBB1391_17:
	s_or_b64 exec, exec, s[2:3]
	s_waitcnt vmcnt(3)
	v_mad_u32_u24 v2, v1, 40, v40
	v_cmp_gt_u32_e32 vcc, 64, v0
	ds_write_b64 v2, v[38:39] offset:2560
	s_waitcnt lgkmcnt(0)
	s_barrier
	s_and_saveexec_b64 s[2:3], vcc
	s_cbranch_execz .LBB1391_19
; %bb.18:
	v_mul_u32_u24_e32 v6, 40, v1
	ds_read2_b64 v[2:5], v6 offset1:1
	ds_read2_b64 v[6:9], v6 offset0:2 offset1:3
	s_mov_b32 s1, 0
	s_lshl_b32 s0, s0, 7
	s_lshl_b64 s[2:3], s[0:1], 1
	s_waitcnt vmcnt(2) lgkmcnt(1)
	v_lshlrev_b32_e32 v10, 16, v2
	v_and_b32_e32 v2, 0xffff0000, v2
	v_add_f32_e32 v2, 0, v2
	v_lshlrev_b32_e32 v11, 16, v3
	v_and_b32_e32 v3, 0xffff0000, v3
	v_and_b32_e32 v2, 0xffff0000, v2
	v_add_f32_e32 v11, 0, v11
	v_add_f32_e32 v3, 0, v3
	v_lshlrev_b32_e32 v12, 16, v4
	v_and_b32_e32 v4, 0xffff0000, v4
	v_add_f32_e32 v10, 0, v10
	v_and_b32_e32 v11, 0xffff0000, v11
	v_and_b32_e32 v3, 0xffff0000, v3
	v_add_f32_e32 v2, v2, v4
	v_lshlrev_b32_e32 v4, 16, v5
	v_and_b32_e32 v5, 0xffff0000, v5
	v_and_b32_e32 v10, 0xffff0000, v10
	;; [unrolled: 1-line block ×3, first 2 shown]
	v_add_f32_e32 v4, v11, v4
	v_add_f32_e32 v3, v3, v5
	s_waitcnt lgkmcnt(0)
	v_lshlrev_b32_e32 v5, 16, v6
	v_and_b32_e32 v6, 0xffff0000, v6
	v_add_f32_e32 v10, v10, v12
	v_and_b32_e32 v4, 0xffff0000, v4
	v_add_f32_e32 v2, v2, v6
	v_lshlrev_b32_e32 v6, 16, v7
	v_and_b32_e32 v10, 0xffff0000, v10
	v_and_b32_e32 v3, 0xffff0000, v3
	v_add_f32_e32 v4, v4, v6
	v_and_b32_e32 v6, 0xffff0000, v7
	v_add_f32_e32 v5, v10, v5
	v_add_f32_e32 v3, v3, v6
	v_and_b32_e32 v5, 0xffff0000, v5
	v_and_b32_e32 v6, 0xffff0000, v3
	v_lshlrev_b32_e32 v3, 16, v8
	v_and_b32_e32 v2, 0xffff0000, v2
	v_add_f32_e32 v10, v5, v3
	v_and_b32_e32 v3, 0xffff0000, v8
	v_and_b32_e32 v4, 0xffff0000, v4
	v_add_f32_e32 v11, v2, v3
	v_lshlrev_b32_e32 v2, 16, v9
	v_add_f32_e32 v12, v4, v2
	v_mov_b32_e32 v2, 0xa00
	v_mad_u32_u24 v2, v1, 40, v2
	ds_read2_b64 v[2:5], v2 offset1:1
	v_and_b32_e32 v7, 0xffff0000, v9
	v_add_f32_e32 v13, v6, v7
	v_mov_b32_e32 v6, 0xa10
	v_mad_u32_u24 v1, v1, 40, v6
	ds_read2_b64 v[6:9], v1 offset1:1
	s_waitcnt lgkmcnt(1)
	v_lshlrev_b32_e32 v1, 16, v2
	v_and_b32_e32 v2, 0xffff0000, v2
	v_add_f32_e32 v1, 0, v1
	v_add_f32_e32 v2, 0, v2
	v_lshlrev_b32_e32 v14, 16, v3
	v_and_b32_e32 v3, 0xffff0000, v3
	v_and_b32_e32 v1, 0xffff0000, v1
	;; [unrolled: 1-line block ×3, first 2 shown]
	v_add_f32_e32 v3, 0, v3
	v_lshlrev_b32_e32 v15, 16, v4
	v_and_b32_e32 v4, 0xffff0000, v4
	v_add_f32_e32 v14, 0, v14
	v_and_b32_e32 v3, 0xffff0000, v3
	v_add_f32_e32 v1, v1, v15
	v_add_f32_e32 v2, v2, v4
	v_lshlrev_b32_e32 v4, 16, v5
	v_and_b32_e32 v5, 0xffff0000, v5
	v_and_b32_e32 v14, 0xffff0000, v14
	;; [unrolled: 1-line block ×3, first 2 shown]
	v_add_f32_e32 v3, v3, v5
	s_waitcnt lgkmcnt(0)
	v_lshlrev_b32_e32 v5, 16, v6
	v_and_b32_e32 v2, 0xffff0000, v2
	v_add_f32_e32 v4, v14, v4
	v_add_f32_e32 v1, v1, v5
	v_and_b32_e32 v5, 0xffff0000, v6
	v_and_b32_e32 v4, 0xffff0000, v4
	v_add_f32_e32 v2, v2, v5
	v_lshlrev_b32_e32 v5, 16, v7
	s_add_u32 s2, s26, s2
	v_and_b32_e32 v3, 0xffff0000, v3
	v_add_f32_e32 v4, v4, v5
	v_and_b32_e32 v5, 0xffff0000, v7
	s_addc_u32 s3, s27, s3
	s_lshl_b32 s0, s24, 7
	v_and_b32_e32 v1, 0xffff0000, v1
	v_add_f32_e32 v3, v3, v5
	v_lshlrev_b32_e32 v5, 16, v8
	s_lshl_b64 s[0:1], s[0:1], 1
	v_and_b32_e32 v2, 0xffff0000, v2
	v_add_f32_e32 v14, v1, v5
	v_and_b32_e32 v1, 0xffff0000, v8
	s_add_u32 s0, s2, s0
	v_and_b32_e32 v4, 0xffff0000, v4
	v_add_f32_e32 v15, v2, v1
	v_lshlrev_b32_e32 v1, 16, v9
	s_addc_u32 s1, s3, s1
	s_lshl_b32 s2, s5, 7
	v_and_b32_e32 v3, 0xffff0000, v3
	v_add_f32_e32 v16, v4, v1
	v_and_b32_e32 v1, 0xffff0000, v9
	s_mul_i32 s3, s2, s8
	v_add_f32_e32 v17, v3, v1
	v_or_b32_e32 v2, s3, v0
	v_mov_b32_e32 v3, 0
	s_add_i32 s3, s3, s2
	v_lshl_add_u64 v[4:5], v[2:3], 1, s[0:1]
	v_or_b32_e32 v2, s3, v0
	s_add_i32 s3, s3, s2
	v_lshl_add_u64 v[6:7], v[2:3], 1, s[0:1]
	v_or_b32_e32 v2, s3, v0
	;; [unrolled: 3-line block ×3, first 2 shown]
	v_lshl_add_u64 v[0:1], v[2:3], 1, s[0:1]
	global_store_short_d16_hi v[4:5], v10, off
	global_store_short_d16_hi v[6:7], v11, off
	;; [unrolled: 1-line block ×4, first 2 shown]
	global_store_short_d16_hi v[4:5], v14, off offset:128
	global_store_short_d16_hi v[6:7], v15, off offset:128
	global_store_short_d16_hi v[8:9], v16, off offset:128
	global_store_short_d16_hi v[0:1], v17, off offset:128
.LBB1391_19:
	s_endpgm
.LBB1391_20:
	s_mov_b64 s[12:13], 0
                                        ; implicit-def: $sgpr34_sgpr35
	s_branch .LBB1391_2
	.section	.rodata,"a",@progbits
	.p2align	6, 0x0
	.amdhsa_kernel _Z38paged_attention_ll4mi_QKV_mfma4_kernelI14__hip_bfloat16hLN4vllm18Fp8KVCacheDataTypeE1ES0_Li32ELi128ELi256ELb0ELi4EEvPKT_PKT0_S8_ifPKiSA_SA_iPKfiiiPfSD_PS3_PT2_iSC_SC_
		.amdhsa_group_segment_fixed_size 5280
		.amdhsa_private_segment_fixed_size 0
		.amdhsa_kernarg_size 400
		.amdhsa_user_sgpr_count 2
		.amdhsa_user_sgpr_dispatch_ptr 0
		.amdhsa_user_sgpr_queue_ptr 0
		.amdhsa_user_sgpr_kernarg_segment_ptr 1
		.amdhsa_user_sgpr_dispatch_id 0
		.amdhsa_user_sgpr_kernarg_preload_length 0
		.amdhsa_user_sgpr_kernarg_preload_offset 0
		.amdhsa_user_sgpr_private_segment_size 0
		.amdhsa_uses_dynamic_stack 0
		.amdhsa_enable_private_segment 0
		.amdhsa_system_sgpr_workgroup_id_x 1
		.amdhsa_system_sgpr_workgroup_id_y 1
		.amdhsa_system_sgpr_workgroup_id_z 1
		.amdhsa_system_sgpr_workgroup_info 0
		.amdhsa_system_vgpr_workitem_id 0
		.amdhsa_next_free_vgpr 96
		.amdhsa_next_free_sgpr 42
		.amdhsa_accum_offset 92
		.amdhsa_reserve_vcc 1
		.amdhsa_float_round_mode_32 0
		.amdhsa_float_round_mode_16_64 0
		.amdhsa_float_denorm_mode_32 3
		.amdhsa_float_denorm_mode_16_64 3
		.amdhsa_dx10_clamp 1
		.amdhsa_ieee_mode 1
		.amdhsa_fp16_overflow 0
		.amdhsa_tg_split 0
		.amdhsa_exception_fp_ieee_invalid_op 0
		.amdhsa_exception_fp_denorm_src 0
		.amdhsa_exception_fp_ieee_div_zero 0
		.amdhsa_exception_fp_ieee_overflow 0
		.amdhsa_exception_fp_ieee_underflow 0
		.amdhsa_exception_fp_ieee_inexact 0
		.amdhsa_exception_int_div_zero 0
	.end_amdhsa_kernel
	.section	.text._Z38paged_attention_ll4mi_QKV_mfma4_kernelI14__hip_bfloat16hLN4vllm18Fp8KVCacheDataTypeE1ES0_Li32ELi128ELi256ELb0ELi4EEvPKT_PKT0_S8_ifPKiSA_SA_iPKfiiiPfSD_PS3_PT2_iSC_SC_,"axG",@progbits,_Z38paged_attention_ll4mi_QKV_mfma4_kernelI14__hip_bfloat16hLN4vllm18Fp8KVCacheDataTypeE1ES0_Li32ELi128ELi256ELb0ELi4EEvPKT_PKT0_S8_ifPKiSA_SA_iPKfiiiPfSD_PS3_PT2_iSC_SC_,comdat
.Lfunc_end1391:
	.size	_Z38paged_attention_ll4mi_QKV_mfma4_kernelI14__hip_bfloat16hLN4vllm18Fp8KVCacheDataTypeE1ES0_Li32ELi128ELi256ELb0ELi4EEvPKT_PKT0_S8_ifPKiSA_SA_iPKfiiiPfSD_PS3_PT2_iSC_SC_, .Lfunc_end1391-_Z38paged_attention_ll4mi_QKV_mfma4_kernelI14__hip_bfloat16hLN4vllm18Fp8KVCacheDataTypeE1ES0_Li32ELi128ELi256ELb0ELi4EEvPKT_PKT0_S8_ifPKiSA_SA_iPKfiiiPfSD_PS3_PT2_iSC_SC_
                                        ; -- End function
	.section	.AMDGPU.csdata,"",@progbits
; Kernel info:
; codeLenInByte = 5864
; NumSgprs: 48
; NumVgprs: 92
; NumAgprs: 4
; TotalNumVgprs: 96
; ScratchSize: 0
; MemoryBound: 0
; FloatMode: 240
; IeeeMode: 1
; LDSByteSize: 5280 bytes/workgroup (compile time only)
; SGPRBlocks: 5
; VGPRBlocks: 11
; NumSGPRsForWavesPerEU: 48
; NumVGPRsForWavesPerEU: 96
; AccumOffset: 92
; Occupancy: 5
; WaveLimiterHint : 1
; COMPUTE_PGM_RSRC2:SCRATCH_EN: 0
; COMPUTE_PGM_RSRC2:USER_SGPR: 2
; COMPUTE_PGM_RSRC2:TRAP_HANDLER: 0
; COMPUTE_PGM_RSRC2:TGID_X_EN: 1
; COMPUTE_PGM_RSRC2:TGID_Y_EN: 1
; COMPUTE_PGM_RSRC2:TGID_Z_EN: 1
; COMPUTE_PGM_RSRC2:TIDIG_COMP_CNT: 0
; COMPUTE_PGM_RSRC3_GFX90A:ACCUM_OFFSET: 22
; COMPUTE_PGM_RSRC3_GFX90A:TG_SPLIT: 0
	.section	.text._Z39paged_attention_ll4mi_QKV_mfma16_kernelI14__hip_bfloat16hLN4vllm18Fp8KVCacheDataTypeE1ES0_Li32ELi128ELi256ELb0ELi5EEvPKT_PKT0_S8_ifPKiSA_SA_iPKfiiiPfSD_PS3_PT2_iSC_SC_,"axG",@progbits,_Z39paged_attention_ll4mi_QKV_mfma16_kernelI14__hip_bfloat16hLN4vllm18Fp8KVCacheDataTypeE1ES0_Li32ELi128ELi256ELb0ELi5EEvPKT_PKT0_S8_ifPKiSA_SA_iPKfiiiPfSD_PS3_PT2_iSC_SC_,comdat
	.protected	_Z39paged_attention_ll4mi_QKV_mfma16_kernelI14__hip_bfloat16hLN4vllm18Fp8KVCacheDataTypeE1ES0_Li32ELi128ELi256ELb0ELi5EEvPKT_PKT0_S8_ifPKiSA_SA_iPKfiiiPfSD_PS3_PT2_iSC_SC_ ; -- Begin function _Z39paged_attention_ll4mi_QKV_mfma16_kernelI14__hip_bfloat16hLN4vllm18Fp8KVCacheDataTypeE1ES0_Li32ELi128ELi256ELb0ELi5EEvPKT_PKT0_S8_ifPKiSA_SA_iPKfiiiPfSD_PS3_PT2_iSC_SC_
	.globl	_Z39paged_attention_ll4mi_QKV_mfma16_kernelI14__hip_bfloat16hLN4vllm18Fp8KVCacheDataTypeE1ES0_Li32ELi128ELi256ELb0ELi5EEvPKT_PKT0_S8_ifPKiSA_SA_iPKfiiiPfSD_PS3_PT2_iSC_SC_
	.p2align	8
	.type	_Z39paged_attention_ll4mi_QKV_mfma16_kernelI14__hip_bfloat16hLN4vllm18Fp8KVCacheDataTypeE1ES0_Li32ELi128ELi256ELb0ELi5EEvPKT_PKT0_S8_ifPKiSA_SA_iPKfiiiPfSD_PS3_PT2_iSC_SC_,@function
_Z39paged_attention_ll4mi_QKV_mfma16_kernelI14__hip_bfloat16hLN4vllm18Fp8KVCacheDataTypeE1ES0_Li32ELi128ELi256ELb0ELi5EEvPKT_PKT0_S8_ifPKiSA_SA_iPKfiiiPfSD_PS3_PT2_iSC_SC_: ; @_Z39paged_attention_ll4mi_QKV_mfma16_kernelI14__hip_bfloat16hLN4vllm18Fp8KVCacheDataTypeE1ES0_Li32ELi128ELi256ELb0ELi5EEvPKT_PKT0_S8_ifPKiSA_SA_iPKfiiiPfSD_PS3_PT2_iSC_SC_
; %bb.0:
	s_load_dwordx2 s[12:13], s[0:1], 0x30
	s_mov_b32 s22, s3
	s_mov_b64 s[6:7], 0
	s_waitcnt lgkmcnt(0)
	s_cmp_lg_u64 s[12:13], 0
	s_cselect_b64 s[14:15], -1, 0
	s_and_b64 vcc, exec, s[14:15]
	s_cbranch_vccz .LBB1392_7
; %bb.1:
	s_add_i32 s8, s2, 1
	s_mov_b32 s9, 0
	s_lshl_b64 s[10:11], s[8:9], 2
	s_add_u32 s10, s12, s10
	s_mov_b32 s3, s9
	s_addc_u32 s11, s13, s11
	s_lshl_b64 s[8:9], s[2:3], 2
	s_add_u32 s8, s12, s8
	s_addc_u32 s9, s13, s9
	s_load_dword s5, s[10:11], 0x0
	s_load_dword s16, s[8:9], 0x0
	s_waitcnt lgkmcnt(0)
	s_sub_i32 s5, s5, s16
	s_cmp_eq_u32 s5, 1
	s_cselect_b64 s[8:9], -1, 0
	s_andn2_b64 vcc, exec, s[6:7]
	s_cbranch_vccnz .LBB1392_3
.LBB1392_2:
	s_mov_b32 s3, 0
	s_mov_b64 s[8:9], -1
.LBB1392_3:
	s_andn2_b64 vcc, exec, s[8:9]
	s_cbranch_vccnz .LBB1392_18
; %bb.4:
	s_load_dwordx2 s[6:7], s[0:1], 0x28
	s_lshl_b64 s[16:17], s[2:3], 2
	s_waitcnt lgkmcnt(0)
	s_add_u32 s6, s6, s16
	s_addc_u32 s7, s7, s17
	s_load_dword s5, s[6:7], 0x0
	s_lshl_b32 s18, s22, 8
	s_waitcnt lgkmcnt(0)
	s_cmp_ge_i32 s18, s5
	s_cbranch_scc1 .LBB1392_18
; %bb.5:
	s_load_dwordx2 s[6:7], s[0:1], 0x20
	s_load_dword s8, s[0:1], 0x38
	s_add_i32 s9, s5, 31
	s_ashr_i32 s10, s9, 31
	v_and_b32_e32 v1, 0xcf, v0
	s_lshr_b32 s10, s10, 27
	v_add_u32_e32 v1, s18, v1
	s_add_i32 s9, s9, s10
	v_ashrrev_i32_e32 v2, 31, v1
	s_ashr_i32 s19, s9, 5
	v_lshrrev_b32_e32 v10, 27, v2
	s_add_i32 s19, s19, -1
	s_waitcnt lgkmcnt(0)
	s_mul_i32 s8, s2, s8
	s_mov_b32 s9, 0
	v_add_u32_e32 v2, v1, v10
	s_lshl_b64 s[8:9], s[8:9], 2
	v_ashrrev_i32_e32 v2, 5, v2
	v_mov_b32_e32 v11, s19
	v_cmp_gt_i32_e32 vcc, s5, v1
	s_add_u32 s6, s6, s8
	s_addc_u32 s7, s7, s9
	v_cndmask_b32_e32 v2, v11, v2, vcc
	v_ashrrev_i32_e32 v3, 31, v2
	v_lshl_add_u64 v[4:5], v[2:3], 2, s[6:7]
	v_or_b32_e32 v2, 16, v1
	v_add_u32_e32 v3, v2, v10
	v_ashrrev_i32_e32 v3, 5, v3
	v_cmp_gt_i32_e32 vcc, s5, v2
	s_load_dwordx4 s[8:11], s[0:1], 0x8
	s_nop 0
	v_cndmask_b32_e32 v2, v11, v3, vcc
	v_ashrrev_i32_e32 v3, 31, v2
	v_lshl_add_u64 v[6:7], v[2:3], 2, s[6:7]
	v_or_b32_e32 v2, 32, v1
	v_add_u32_e32 v3, v2, v10
	v_ashrrev_i32_e32 v3, 5, v3
	v_cmp_gt_i32_e32 vcc, s5, v2
	v_or_b32_e32 v1, 48, v1
	s_nop 0
	v_cndmask_b32_e32 v2, v11, v3, vcc
	v_ashrrev_i32_e32 v3, 31, v2
	v_lshl_add_u64 v[8:9], v[2:3], 2, s[6:7]
	v_add_u32_e32 v2, v1, v10
	v_ashrrev_i32_e32 v2, 5, v2
	v_cmp_gt_i32_e32 vcc, s5, v1
	s_nop 1
	v_cndmask_b32_e32 v2, v11, v2, vcc
	v_ashrrev_i32_e32 v3, 31, v2
	v_lshl_add_u64 v[10:11], v[2:3], 2, s[6:7]
	global_load_dword v2, v[4:5], off
	global_load_dword v14, v[6:7], off
	global_load_dword v12, v[8:9], off
	global_load_dword v13, v[10:11], off
	s_andn2_b64 vcc, exec, s[14:15]
	s_cbranch_vccnz .LBB1392_8
; %bb.6:
	s_add_u32 s12, s12, s16
	s_addc_u32 s13, s13, s17
	s_load_dword s14, s[12:13], 0x0
	s_branch .LBB1392_9
.LBB1392_7:
	s_mov_b64 s[8:9], 0
	s_branch .LBB1392_2
.LBB1392_8:
	s_mov_b32 s14, s2
.LBB1392_9:
	s_load_dwordx4 s[44:47], s[0:1], 0x48
	v_lshrrev_b32_e32 v57, 6, v0
	v_bfe_u32 v58, v0, 4, 2
	v_and_b32_e32 v56, 15, v0
	v_lshl_or_b32 v3, v57, 2, v58
	v_lshlrev_b32_e32 v1, 3, v56
	v_and_b32_e32 v59, 63, v0
	s_mul_i32 s48, s4, 5
	v_cmp_gt_u32_e32 vcc, 5, v3
	v_lshlrev_b32_e32 v54, 1, v1
	v_lshlrev_b32_e32 v1, 4, v0
	s_and_saveexec_b64 s[12:13], vcc
	s_cbranch_execz .LBB1392_11
; %bb.10:
	s_load_dwordx2 s[16:17], s[0:1], 0x0
	s_waitcnt lgkmcnt(0)
	s_ashr_i32 s15, s44, 31
	s_mul_hi_u32 s20, s14, s44
	s_mul_i32 s15, s14, s15
	s_add_i32 s15, s20, s15
	s_mul_i32 s14, s14, s44
	s_lshl_b64 s[14:15], s[14:15], 1
	s_add_u32 s14, s16, s14
	v_add_lshl_u32 v4, v3, s48, 7
	s_addc_u32 s15, s17, s15
	v_ashrrev_i32_e32 v5, 31, v4
	v_lshl_add_u64 v[4:5], v[4:5], 1, s[14:15]
	v_mov_b32_e32 v55, 0
	v_lshl_add_u64 v[4:5], v[4:5], 0, v[54:55]
	global_load_dwordx4 v[4:7], v[4:5], off
	v_lshlrev_b32_e32 v9, 8, v0
	v_lshlrev_b32_e32 v8, 8, v56
	v_and_b32_e32 v9, 0x600, v9
	s_movk_i32 s14, 0x800
	v_and_or_b32 v8, v8, s14, v9
	v_lshlrev_b32_e32 v3, 5, v3
	v_and_b32_e32 v9, 16, v1
	v_or3_b32 v3, v8, v3, v9
	s_waitcnt vmcnt(0)
	ds_write_b128 v3, v[4:7]
.LBB1392_11:
	s_or_b64 exec, exec, s[12:13]
	s_waitcnt lgkmcnt(0)
	s_mul_i32 s12, s4, s46
	s_add_u32 s8, s8, s12
	s_addc_u32 s9, s9, 0
	v_mov_b32_e32 v51, 0
	v_mov_b64_e32 v[6:7], s[8:9]
	v_and_b32_e32 v15, 48, v0
	s_waitcnt vmcnt(3)
	v_mad_i64_i32 v[2:3], s[8:9], v2, s45, v[6:7]
	v_lshlrev_b32_e32 v10, 4, v56
	v_mov_b32_e32 v11, v51
	v_lshlrev_b32_e32 v50, 5, v15
	v_lshl_add_u64 v[2:3], v[2:3], 0, v[10:11]
	v_lshl_add_u64 v[8:9], v[2:3], 0, v[50:51]
	s_load_dword s23, s[0:1], 0x98
	s_load_dwordx4 s[40:43], s[0:1], 0x80
	s_waitcnt lgkmcnt(0)
	s_barrier
	global_load_dwordx4 v[2:5], v[8:9], off
	global_load_dwordx4 v[42:45], v[8:9], off offset:2048
	v_mul_lo_u16_e32 v16, 52, v56
	v_mov_b32_e32 v17, 5
	v_mul_lo_u16_sdwa v8, v16, v17 dst_sel:DWORD dst_unused:UNUSED_PAD src0_sel:BYTE_1 src1_sel:DWORD
	v_sub_u16_e32 v8, v56, v8
	s_ashr_i32 s8, s18, 31
	v_lshlrev_b32_sdwa v8, v17, v8 dst_sel:DWORD dst_unused:UNUSED_PAD src0_sel:DWORD src1_sel:BYTE_0
	v_or_b32_e32 v18, 0x100, v10
	v_mov_b32_e32 v19, v51
	s_lshr_b32 s13, s8, 27
	v_lshl_add_u32 v32, v58, 9, v8
	s_waitcnt vmcnt(4)
	v_mad_i64_i32 v[8:9], s[8:9], v14, s45, v[6:7]
	s_waitcnt vmcnt(3)
	v_mad_i64_i32 v[20:21], s[8:9], v12, s45, v[6:7]
	;; [unrolled: 2-line block ×3, first 2 shown]
	v_lshl_add_u64 v[6:7], v[8:9], 0, v[18:19]
	v_lshl_add_u64 v[22:23], v[6:7], 0, v[50:51]
	global_load_dwordx4 v[46:49], v[22:23], off
	v_or_b32_e32 v25, s18, v15
	v_or_b32_e32 v30, 64, v25
	v_add_u32_e32 v33, s13, v25
	v_mov_b32_e32 v24, s19
	v_or_b32_e32 v31, 0x80, v25
	v_add_u32_e32 v39, s13, v30
	v_lshl_add_u64 v[10:11], v[20:21], 0, v[10:11]
	v_ashrrev_i32_e32 v20, 5, v33
	v_cmp_gt_i32_e32 vcc, s5, v25
	v_add_u32_e32 v40, s13, v31
	v_ashrrev_i32_e32 v21, 5, v39
	v_cndmask_b32_e32 v52, v24, v20, vcc
	v_cmp_gt_i32_e32 vcc, s5, v30
	ds_read_b128 v[34:37], v32
	ds_read_b128 v[26:29], v32 offset:16
	ds_read_b128 v[14:17], v32 offset:2048
	;; [unrolled: 1-line block ×3, first 2 shown]
	v_ashrrev_i32_e32 v32, 5, v40
	v_cndmask_b32_e32 v60, v24, v21, vcc
	v_cmp_gt_i32_e32 vcc, s5, v31
	v_or_b32_e32 v38, 0xc0, v25
	v_add_u32_e32 v41, s13, v38
	v_cndmask_b32_e32 v62, v24, v32, vcc
	global_load_dwordx4 v[30:33], v[22:23], off offset:2048
	v_lshl_add_u64 v[12:13], v[12:13], 0, v[18:19]
	v_ashrrev_i32_e32 v39, 5, v41
	v_lshl_add_u64 v[10:11], v[10:11], 0, v[50:51]
	v_lshl_add_u64 v[18:19], v[12:13], 0, v[50:51]
	v_cmp_gt_i32_e32 vcc, s5, v38
	v_ashrrev_i32_e32 v63, 31, v62
	v_lshl_add_u64 v[66:67], v[62:63], 2, s[6:7]
	v_cndmask_b32_e32 v64, v24, v39, vcc
	global_load_dwordx4 v[22:25], v[10:11], off
	s_nop 0
	global_load_dwordx4 v[10:13], v[10:11], off offset:2048
	s_nop 0
	global_load_dwordx4 v[38:41], v[18:19], off
	s_nop 0
	global_load_dwordx4 v[18:21], v[18:19], off offset:2048
	s_mov_b32 s33, 0x7060302
	v_ashrrev_i32_e32 v53, 31, v52
	v_ashrrev_i32_e32 v61, 31, v60
	;; [unrolled: 1-line block ×3, first 2 shown]
	v_lshl_add_u64 v[52:53], v[52:53], 2, s[6:7]
	v_lshl_add_u64 v[60:61], v[60:61], 2, s[6:7]
	;; [unrolled: 1-line block ×3, first 2 shown]
	s_add_u32 s6, s10, s12
	s_addc_u32 s7, s11, 0
	v_and_b32_e32 v50, 16, v0
	v_lshl_or_b32 v55, v57, 4, v56
	s_load_dword s4, s[0:1], 0x1c
	s_waitcnt vmcnt(7)
	v_cvt_pk_f32_fp8_e32 v[62:63], v2
	v_cvt_pk_f32_fp8_sdwa v[68:69], v2 src0_sel:WORD_1
	v_cvt_pk_f32_fp8_e32 v[70:71], v3
	v_cvt_pk_f32_fp8_sdwa v[2:3], v3 src0_sel:WORD_1
	v_perm_b32 v72, v63, v62, s33
	v_perm_b32 v73, v69, v68, s33
	global_load_dword v63, v[52:53], off
	global_load_dword v62, v[60:61], off
	s_nop 0
	global_load_dword v60, v[66:67], off
	global_load_dword v61, v[64:65], off
	v_cvt_pk_f32_fp8_e32 v[52:53], v4
	v_perm_b32 v68, v71, v70, s33
	v_perm_b32 v69, v3, v2, s33
	v_cvt_pk_f32_fp8_sdwa v[2:3], v4 src0_sel:WORD_1
	s_waitcnt lgkmcnt(0)
	v_mfma_f32_16x16x16_bf16 v[64:67], v[72:73], v[34:35], 0
	v_cvt_pk_f32_fp8_e32 v[70:71], v5
	v_perm_b32 v52, v53, v52, s33
	v_perm_b32 v53, v3, v2, s33
	v_cvt_pk_f32_fp8_sdwa v[2:3], v5 src0_sel:WORD_1
	v_mfma_f32_16x16x16_bf16 v[64:67], v[68:69], v[36:37], v[64:67]
	v_perm_b32 v68, v71, v70, s33
	s_waitcnt vmcnt(10)
	v_cvt_pk_f32_fp8_e32 v[70:71], v42
	v_cvt_pk_f32_fp8_sdwa v[72:73], v42 src0_sel:WORD_1
	v_perm_b32 v69, v3, v2, s33
	v_mfma_f32_16x16x16_bf16 v[2:5], v[52:53], v[26:27], v[64:67]
	v_perm_b32 v52, v71, v70, s33
	v_perm_b32 v53, v73, v72, s33
	s_waitcnt vmcnt(6)
	v_cvt_pk_f32_fp8_e32 v[72:73], v11
	v_cvt_pk_f32_fp8_e32 v[64:65], v43
	v_cvt_pk_f32_fp8_sdwa v[42:43], v43 src0_sel:WORD_1
	v_mfma_f32_16x16x16_bf16 v[2:5], v[68:69], v[28:29], v[2:5]
	v_cvt_pk_f32_fp8_sdwa v[66:67], v46 src0_sel:WORD_1
	v_perm_b32 v64, v65, v64, s33
	v_perm_b32 v65, v43, v42, s33
	v_mfma_f32_16x16x16_bf16 v[2:5], v[52:53], v[14:15], v[2:5]
	v_cvt_pk_f32_fp8_e32 v[42:43], v44
	v_cvt_pk_f32_fp8_sdwa v[52:53], v44 src0_sel:WORD_1
	v_cvt_pk_f32_fp8_sdwa v[68:69], v30 src0_sel:WORD_1
	v_mfma_f32_16x16x16_bf16 v[2:5], v[64:65], v[16:17], v[2:5]
	v_cvt_pk_f32_fp8_e32 v[64:65], v45
	v_perm_b32 v42, v43, v42, s33
	v_perm_b32 v43, v53, v52, s33
	v_cvt_pk_f32_fp8_sdwa v[44:45], v45 src0_sel:WORD_1
	v_perm_b32 v52, v65, v64, s33
	v_cvt_pk_f32_fp8_e32 v[64:65], v46
	v_mfma_f32_16x16x16_bf16 v[2:5], v[42:43], v[6:7], v[2:5]
	v_perm_b32 v53, v45, v44, s33
	v_perm_b32 v64, v65, v64, s33
	v_perm_b32 v65, v67, v66, s33
	v_cvt_pk_f32_fp8_e32 v[66:67], v47
	v_cvt_pk_f32_fp8_sdwa v[46:47], v47 src0_sel:WORD_1
	v_mfma_f32_16x16x16_bf16 v[42:45], v[52:53], v[8:9], v[2:5]
	v_lshl_add_u64 v[52:53], s[6:7], 0, v[50:51]
	v_perm_b32 v66, v67, v66, s33
	v_perm_b32 v67, v47, v46, s33
	v_mfma_f32_16x16x16_bf16 v[2:5], v[64:65], v[34:35], 0
	v_cvt_pk_f32_fp8_e32 v[46:47], v48
	v_cvt_pk_f32_fp8_sdwa v[64:65], v48 src0_sel:WORD_1
	v_lshlrev_b32_e32 v50, 5, v55
	v_mfma_f32_16x16x16_bf16 v[2:5], v[66:67], v[36:37], v[2:5]
	v_cvt_pk_f32_fp8_e32 v[66:67], v49
	v_perm_b32 v46, v47, v46, s33
	v_perm_b32 v47, v65, v64, s33
	v_cvt_pk_f32_fp8_sdwa v[48:49], v49 src0_sel:WORD_1
	v_perm_b32 v64, v67, v66, s33
	v_cvt_pk_f32_fp8_e32 v[66:67], v30
	v_mfma_f32_16x16x16_bf16 v[2:5], v[46:47], v[26:27], v[2:5]
	v_perm_b32 v65, v49, v48, s33
	v_perm_b32 v46, v67, v66, s33
	;; [unrolled: 1-line block ×3, first 2 shown]
	v_cvt_pk_f32_fp8_e32 v[48:49], v31
	v_cvt_pk_f32_fp8_sdwa v[30:31], v31 src0_sel:WORD_1
	v_mfma_f32_16x16x16_bf16 v[2:5], v[64:65], v[28:29], v[2:5]
	v_cvt_pk_f32_fp8_sdwa v[64:65], v22 src0_sel:WORD_1
	v_perm_b32 v48, v49, v48, s33
	v_perm_b32 v49, v31, v30, s33
	v_mfma_f32_16x16x16_bf16 v[2:5], v[46:47], v[14:15], v[2:5]
	v_cvt_pk_f32_fp8_e32 v[30:31], v32
	v_cvt_pk_f32_fp8_sdwa v[46:47], v32 src0_sel:WORD_1
	v_cvt_pk_f32_fp8_sdwa v[78:79], v13 src0_sel:WORD_1
	v_mfma_f32_16x16x16_bf16 v[2:5], v[48:49], v[16:17], v[2:5]
	v_cvt_pk_f32_fp8_e32 v[48:49], v33
	v_perm_b32 v30, v31, v30, s33
	v_perm_b32 v31, v47, v46, s33
	v_cvt_pk_f32_fp8_sdwa v[32:33], v33 src0_sel:WORD_1
	v_perm_b32 v46, v49, v48, s33
	v_cvt_pk_f32_fp8_e32 v[48:49], v22
	v_mfma_f32_16x16x16_bf16 v[2:5], v[30:31], v[6:7], v[2:5]
	v_perm_b32 v47, v33, v32, s33
	v_perm_b32 v30, v49, v48, s33
	;; [unrolled: 1-line block ×3, first 2 shown]
	v_cvt_pk_f32_fp8_e32 v[32:33], v23
	v_cvt_pk_f32_fp8_sdwa v[22:23], v23 src0_sel:WORD_1
	v_mfma_f32_16x16x16_bf16 v[46:49], v[46:47], v[8:9], v[2:5]
	v_lshl_add_u64 v[64:65], v[52:53], 0, v[50:51]
	v_perm_b32 v32, v33, v32, s33
	v_perm_b32 v33, v23, v22, s33
	v_mfma_f32_16x16x16_bf16 v[2:5], v[30:31], v[34:35], 0
	v_cvt_pk_f32_fp8_e32 v[22:23], v24
	v_cvt_pk_f32_fp8_sdwa v[30:31], v24 src0_sel:WORD_1
	s_waitcnt vmcnt(3)
	v_mad_i64_i32 v[66:67], s[6:7], v63, s45, v[64:65]
	v_perm_b32 v22, v23, v22, s33
	v_perm_b32 v23, v31, v30, s33
	v_cvt_pk_f32_fp8_e32 v[30:31], v25
	v_cvt_pk_f32_fp8_sdwa v[24:25], v25 src0_sel:WORD_1
	v_mfma_f32_16x16x16_bf16 v[2:5], v[32:33], v[36:37], v[2:5]
	s_waitcnt vmcnt(2)
	v_mad_i64_i32 v[68:69], s[6:7], v62, s45, v[64:65]
	v_perm_b32 v70, v31, v30, s33
	v_perm_b32 v71, v25, v24, s33
	v_mfma_f32_16x16x16_bf16 v[2:5], v[22:23], v[26:27], v[2:5]
	global_load_dwordx4 v[30:33], v[66:67], off
	global_load_dwordx4 v[22:25], v[68:69], off
	v_cvt_pk_f32_fp8_e32 v[66:67], v10
	s_waitcnt vmcnt(3)
	v_mad_i64_i32 v[68:69], s[6:7], v60, s45, v[64:65]
	v_mfma_f32_16x16x16_bf16 v[2:5], v[70:71], v[28:29], v[2:5]
	v_cvt_pk_f32_fp8_sdwa v[70:71], v10 src0_sel:WORD_1
	v_cvt_pk_f32_fp8_sdwa v[10:11], v11 src0_sel:WORD_1
	v_perm_b32 v66, v67, v66, s33
	s_waitcnt vmcnt(2)
	v_mad_i64_i32 v[74:75], s[6:7], v61, s45, v[64:65]
	v_perm_b32 v67, v71, v70, s33
	v_perm_b32 v70, v73, v72, s33
	;; [unrolled: 1-line block ×3, first 2 shown]
	v_cvt_pk_f32_fp8_e32 v[10:11], v12
	v_cvt_pk_f32_fp8_sdwa v[72:73], v12 src0_sel:WORD_1
	v_mfma_f32_16x16x16_bf16 v[64:67], v[66:67], v[14:15], v[2:5]
	v_or_b32_e32 v50, 0x800, v50
	v_perm_b32 v76, v11, v10, s33
	v_perm_b32 v77, v73, v72, s33
	v_cvt_pk_f32_fp8_e32 v[72:73], v13
	v_mfma_f32_16x16x16_bf16 v[64:67], v[70:71], v[16:17], v[64:67]
	v_lshl_add_u64 v[50:51], v[52:53], 0, v[50:51]
	v_perm_b32 v53, v79, v78, s33
	v_perm_b32 v52, v73, v72, s33
	global_load_dwordx4 v[10:13], v[68:69], off
	global_load_dwordx4 v[2:5], v[74:75], off
	v_mfma_f32_16x16x16_bf16 v[64:67], v[76:77], v[6:7], v[64:67]
	v_cvt_pk_f32_fp8_e32 v[68:69], v38
	v_cvt_pk_f32_fp8_sdwa v[70:71], v38 src0_sel:WORD_1
	v_cvt_pk_f32_fp8_e32 v[72:73], v40
	v_mfma_f32_16x16x16_bf16 v[64:67], v[52:53], v[8:9], v[64:67]
	v_cvt_pk_f32_fp8_e32 v[52:53], v39
	v_perm_b32 v68, v69, v68, s33
	v_perm_b32 v69, v71, v70, s33
	v_cvt_pk_f32_fp8_sdwa v[38:39], v39 src0_sel:WORD_1
	v_perm_b32 v52, v53, v52, s33
	v_cvt_pk_f32_fp8_sdwa v[74:75], v40 src0_sel:WORD_1
	v_mfma_f32_16x16x16_bf16 v[68:71], v[68:69], v[34:35], 0
	v_perm_b32 v53, v39, v38, s33
	v_perm_b32 v38, v73, v72, s33
	;; [unrolled: 1-line block ×3, first 2 shown]
	v_cvt_pk_f32_fp8_e32 v[72:73], v41
	v_cvt_pk_f32_fp8_sdwa v[40:41], v41 src0_sel:WORD_1
	v_mfma_f32_16x16x16_bf16 v[34:37], v[52:53], v[36:37], v[68:71]
	s_load_dword s6, s[40:41], 0x0
	v_perm_b32 v52, v73, v72, s33
	v_perm_b32 v53, v41, v40, s33
	v_mfma_f32_16x16x16_bf16 v[68:71], v[38:39], v[26:27], v[34:37]
	v_cvt_pk_f32_fp8_sdwa v[40:41], v18 src0_sel:WORD_1
	v_mov_b32_e32 v74, s4
	s_waitcnt lgkmcnt(0)
	v_mul_f32_e32 v72, s6, v74
	v_cvt_pk_f32_fp8_e32 v[34:35], v18
	v_pk_mul_f32 v[36:37], v[72:73], v[42:43] op_sel_hi:[0,1]
	v_cvt_pk_f32_fp8_e32 v[42:43], v19
	v_cvt_pk_f32_fp8_sdwa v[18:19], v19 src0_sel:WORD_1
	v_perm_b32 v34, v35, v34, s33
	v_perm_b32 v35, v41, v40, s33
	v_mfma_f32_16x16x16_bf16 v[26:29], v[52:53], v[28:29], v[68:71]
	v_perm_b32 v40, v43, v42, s33
	v_perm_b32 v41, v19, v18, s33
	v_cvt_pk_f32_fp8_e32 v[18:19], v20
	v_cvt_pk_f32_fp8_sdwa v[42:43], v20 src0_sel:WORD_1
	v_mfma_f32_16x16x16_bf16 v[26:29], v[34:35], v[14:15], v[26:29]
	v_cvt_pk_f32_fp8_e32 v[34:35], v21
	v_perm_b32 v18, v19, v18, s33
	v_perm_b32 v19, v43, v42, s33
	v_cvt_pk_f32_fp8_sdwa v[20:21], v21 src0_sel:WORD_1
	v_mfma_f32_16x16x16_bf16 v[14:17], v[40:41], v[16:17], v[26:29]
	s_mov_b32 s40, 0xff7fffff
	v_pk_mul_f32 v[38:39], v[72:73], v[44:45] op_sel_hi:[0,1]
	v_pk_mul_f32 v[52:53], v[72:73], v[46:47] op_sel_hi:[0,1]
	v_perm_b32 v26, v35, v34, s33
	v_perm_b32 v27, v21, v20, s33
	v_mfma_f32_16x16x16_bf16 v[14:17], v[18:19], v[6:7], v[14:17]
	v_pk_mul_f32 v[48:49], v[72:73], v[48:49] op_sel_hi:[0,1]
	v_pk_mul_f32 v[40:41], v[72:73], v[64:65] op_sel_hi:[0,1]
	;; [unrolled: 1-line block ×3, first 2 shown]
	v_mfma_f32_16x16x16_bf16 v[6:9], v[26:27], v[8:9], v[14:17]
	v_mad_i64_i32 v[68:69], s[6:7], v63, s45, v[50:51]
	s_nop 5
	v_pk_mul_f32 v[42:43], v[72:73], v[6:7] op_sel_hi:[0,1]
	v_and_b32_e32 v6, 0xc0, v0
	v_add_u32_e32 v6, s18, v6
	v_lshl_or_b32 v6, v58, 2, v6
	v_pk_mul_f32 v[34:35], v[72:73], v[8:9] op_sel_hi:[0,1]
	v_or_b32_e32 v9, 1, v6
	v_mov_b32_e32 v7, 0xff7fffff
	v_cmp_gt_i32_e64 s[24:25], s5, v6
	v_cmp_gt_i32_e64 s[26:27], s5, v9
	v_or_b32_e32 v14, 3, v6
	v_cndmask_b32_e64 v8, v7, v36, s[24:25]
	v_cndmask_b32_e64 v9, v7, v37, s[26:27]
	v_max3_f32 v8, v8, s40, v9
	v_or_b32_e32 v9, 2, v6
	v_cmp_gt_i32_e64 s[28:29], s5, v9
	v_cmp_gt_i32_e64 s[30:31], s5, v14
	s_nop 0
	v_cndmask_b32_e64 v9, v7, v38, s[28:29]
	v_cndmask_b32_e64 v14, v7, v39, s[30:31]
	v_max3_f32 v8, v8, v9, v14
	v_or_b32_e32 v9, 16, v6
	v_or_b32_e32 v14, 17, v6
	v_cmp_gt_i32_e64 s[34:35], s5, v9
	v_cmp_gt_i32_e64 s[36:37], s5, v14
	s_nop 0
	v_cndmask_b32_e64 v9, v7, v52, s[34:35]
	v_cndmask_b32_e64 v14, v7, v53, s[36:37]
	v_max3_f32 v8, v8, v9, v14
	v_or_b32_e32 v9, 18, v6
	;; [unrolled: 8-line block ×6, first 2 shown]
	v_or_b32_e32 v6, 51, v6
	v_cmp_gt_i32_e32 vcc, s5, v9
	v_cmp_gt_i32_e64 s[4:5], s5, v6
	s_nop 0
	v_cndmask_b32_e32 v9, v7, v34, vcc
	v_cndmask_b32_e64 v6, v7, v35, s[4:5]
	v_max3_f32 v8, v8, v9, v6
	v_mbcnt_lo_u32_b32 v6, -1, 0
	v_mbcnt_hi_u32_b32 v9, -1, v6
	v_and_b32_e32 v6, 64, v9
	v_add_u32_e32 v14, 64, v6
	v_xor_b32_e32 v6, 32, v9
	v_cmp_lt_i32_e64 s[38:39], v6, v14
	s_nop 1
	v_cndmask_b32_e64 v6, v9, v6, s[38:39]
	v_lshlrev_b32_e32 v63, 2, v6
	ds_bpermute_b32 v15, v63, v8
	v_mad_i64_i32 v[6:7], s[38:39], v62, s45, v[50:51]
	global_load_dwordx4 v[26:29], v[68:69], off
	global_load_dwordx4 v[18:21], v[6:7], off
	s_waitcnt lgkmcnt(0)
	v_max_f32_e32 v6, v15, v15
	v_max_f32_e32 v15, v8, v6
	v_xor_b32_e32 v6, 16, v9
	v_cmp_lt_i32_e64 s[38:39], v6, v14
	s_nop 1
	v_cndmask_b32_e64 v6, v9, v6, s[38:39]
	v_lshlrev_b32_e32 v62, 2, v6
	ds_bpermute_b32 v14, v62, v15
	v_mad_i64_i32 v[6:7], s[38:39], v60, s45, v[50:51]
	v_mad_i64_i32 v[8:9], s[38:39], v61, s45, v[50:51]
	s_waitcnt lgkmcnt(0)
	v_max_f32_e32 v14, v14, v14
	v_max_f32_e32 v50, v15, v14
	v_sub_f32_e32 v14, v36, v50
	v_mul_f32_e32 v14, 0x3fb8aa3b, v14
	v_exp_f32_e32 v36, v14
	v_sub_f32_e32 v14, v37, v50
	v_mul_f32_e32 v14, 0x3fb8aa3b, v14
	v_exp_f32_e32 v37, v14
	global_load_dwordx4 v[14:17], v[6:7], off
	s_nop 0
	global_load_dwordx4 v[6:9], v[8:9], off
	v_sub_f32_e32 v38, v38, v50
	v_mul_f32_e32 v38, 0x3fb8aa3b, v38
	v_sub_f32_e32 v39, v39, v50
	v_exp_f32_e32 v38, v38
	v_mul_f32_e32 v39, 0x3fb8aa3b, v39
	v_exp_f32_e32 v39, v39
	v_cndmask_b32_e64 v36, 0, v36, s[24:25]
	v_add_f32_e32 v46, 0, v36
	v_cndmask_b32_e64 v37, 0, v37, s[26:27]
	v_add_f32_e32 v47, v46, v37
	;; [unrolled: 2-line block ×3, first 2 shown]
	v_cndmask_b32_e64 v47, 0, v39, s[30:31]
	v_sub_f32_e32 v39, v52, v50
	v_mul_f32_e32 v39, 0x3fb8aa3b, v39
	v_sub_f32_e32 v51, v53, v50
	v_exp_f32_e32 v39, v39
	v_mul_f32_e32 v51, 0x3fb8aa3b, v51
	v_sub_f32_e32 v48, v48, v50
	v_exp_f32_e32 v51, v51
	;; [unrolled: 3-line block ×4, first 2 shown]
	v_mul_f32_e32 v40, 0x3fb8aa3b, v40
	v_sub_f32_e32 v41, v41, v50
	v_add_f32_e32 v52, v38, v47
	v_cndmask_b32_e64 v38, 0, v39, s[34:35]
	v_exp_f32_e32 v40, v40
	v_mul_f32_e32 v41, 0x3fb8aa3b, v41
	v_sub_f32_e32 v44, v44, v50
	v_add_f32_e32 v52, v52, v38
	v_cndmask_b32_e64 v39, 0, v51, s[36:37]
	v_exp_f32_e32 v41, v41
	;; [unrolled: 5-line block ×7, first 2 shown]
	v_mul_f32_e32 v35, 0x3fb8aa3b, v35
	v_add_f32_e32 v51, v51, v44
	v_cndmask_b32_e64 v45, 0, v45, s[12:13]
	v_exp_f32_e32 v35, v35
	v_add_f32_e32 v51, v51, v45
	v_cndmask_b32_e64 v42, 0, v42, s[6:7]
	v_add_f32_e32 v51, v51, v42
	v_cndmask_b32_e64 v43, 0, v43, s[8:9]
	v_add_f32_e32 v51, v51, v43
	v_cndmask_b32_e32 v34, 0, v34, vcc
	v_add_f32_e32 v51, v51, v34
	v_cndmask_b32_e64 v35, 0, v35, s[4:5]
	v_add_f32_e32 v51, v51, v35
	ds_bpermute_b32 v52, v63, v51
	v_cmp_gt_u32_e64 s[4:5], 16, v59
	s_waitcnt lgkmcnt(0)
	s_barrier
	v_add_f32_e32 v51, v51, v52
	ds_bpermute_b32 v52, v62, v51
	s_and_saveexec_b64 s[6:7], s[4:5]
	s_cbranch_execz .LBB1392_13
; %bb.12:
	s_waitcnt lgkmcnt(0)
	v_add_f32_e32 v51, v51, v52
	v_lshlrev_b32_e32 v52, 2, v55
	ds_write2st64_b32 v52, v50, v51 offset1:1
.LBB1392_13:
	s_or_b64 exec, exec, s[6:7]
	v_lshlrev_b32_e32 v51, 2, v56
	s_load_dword s8, s[0:1], 0x94
	s_waitcnt lgkmcnt(0)
	s_barrier
	ds_read2_b32 v[52:53], v51 offset1:16
	ds_read2_b32 v[60:61], v51 offset0:32 offset1:48
	ds_read2_b32 v[62:63], v51 offset0:64 offset1:80
	s_movk_i32 s10, 0x7fff
	s_mul_i32 s9, s23, 5
	s_waitcnt lgkmcnt(2)
	v_max3_f32 v50, v52, s40, v53
	s_waitcnt lgkmcnt(1)
	v_max3_f32 v50, v50, v60, v61
	v_sub_f32_e32 v52, v52, v50
	v_mul_f32_e32 v52, 0x3fb8aa3b, v52
	v_exp_f32_e32 v55, v52
	v_sub_f32_e32 v52, v53, v50
	v_mul_f32_e32 v52, 0x3fb8aa3b, v52
	v_exp_f32_e32 v59, v52
	;; [unrolled: 3-line block ×3, first 2 shown]
	ds_read2_b32 v[52:53], v51 offset0:96 offset1:112
	v_sub_f32_e32 v51, v61, v50
	v_mul_f32_e32 v51, 0x3fb8aa3b, v51
	v_exp_f32_e32 v61, v51
	s_waitcnt lgkmcnt(1)
	v_fma_f32 v51, v55, v62, 0
	v_fmac_f32_e32 v51, v59, v63
	s_waitcnt lgkmcnt(0)
	v_fmac_f32_e32 v51, v60, v52
	v_fmac_f32_e32 v51, v61, v53
	v_add_f32_e32 v52, 0x358637bd, v51
	v_div_scale_f32 v53, s[6:7], v52, v52, 1.0
	v_rcp_f32_e32 v62, v53
	s_barrier
	v_fma_f32 v63, -v53, v62, 1.0
	v_fmac_f32_e32 v62, v63, v62
	v_div_scale_f32 v63, vcc, 1.0, v52, 1.0
	v_mul_f32_e32 v64, v63, v62
	v_fma_f32 v65, -v53, v64, v63
	v_fmac_f32_e32 v64, v65, v62
	v_fma_f32 v53, -v53, v64, v63
	v_div_fmas_f32 v53, v53, v62, v64
	v_cmp_eq_u32_e32 vcc, 1, v57
	v_div_fixup_f32 v52, v53, v52, 1.0
	s_nop 0
	v_cndmask_b32_e32 v53, v55, v59, vcc
	v_cmp_eq_u32_e32 vcc, 2, v57
	s_nop 1
	v_cndmask_b32_e32 v53, v53, v60, vcc
	v_cmp_eq_u32_e32 vcc, 3, v57
	s_nop 1
	v_cndmask_b32_e32 v53, v53, v61, vcc
	v_mul_f32_e32 v52, v53, v52
	v_pk_mul_f32 v[36:37], v[52:53], v[36:37] op_sel_hi:[0,1]
	v_pk_mul_f32 v[46:47], v[52:53], v[46:47] op_sel_hi:[0,1]
	v_bfe_u32 v53, v37, 16, 1
	v_bfe_u32 v55, v36, 16, 1
	v_add3_u32 v36, v36, v55, s10
	v_add3_u32 v37, v37, v53, s10
	v_perm_b32 v60, v37, v36, s33
	v_bfe_u32 v36, v47, 16, 1
	v_bfe_u32 v37, v46, 16, 1
	v_add3_u32 v37, v46, v37, s10
	v_add3_u32 v36, v47, v36, s10
	v_perm_b32 v61, v36, v37, s33
	v_lshlrev_b32_e32 v37, 3, v58
	v_lshlrev_b32_e32 v36, 5, v56
	;; [unrolled: 1-line block ×3, first 2 shown]
	v_pk_mul_f32 v[38:39], v[52:53], v[38:39] op_sel_hi:[0,1]
	v_or3_b32 v55, v46, v36, v37
	v_pk_mul_f32 v[46:47], v[52:53], v[48:49] op_sel_hi:[0,1]
	v_bfe_u32 v37, v39, 16, 1
	v_bfe_u32 v48, v38, 16, 1
	v_add3_u32 v38, v38, v48, s10
	v_add3_u32 v37, v39, v37, s10
	v_perm_b32 v38, v37, v38, s33
	v_bfe_u32 v37, v47, 16, 1
	v_bfe_u32 v39, v46, 16, 1
	v_add3_u32 v39, v46, v39, s10
	v_add3_u32 v37, v47, v37, s10
	v_perm_b32 v39, v37, v39, s33
	v_pk_mul_f32 v[40:41], v[52:53], v[40:41] op_sel_hi:[0,1]
	ds_write2st64_b64 v55, v[60:61], v[38:39] offset1:1
	v_pk_mul_f32 v[38:39], v[52:53], v[44:45] op_sel_hi:[0,1]
	v_bfe_u32 v37, v41, 16, 1
	v_bfe_u32 v44, v40, 16, 1
	v_add3_u32 v40, v40, v44, s10
	v_add3_u32 v37, v41, v37, s10
	v_perm_b32 v40, v37, v40, s33
	v_bfe_u32 v37, v39, 16, 1
	v_bfe_u32 v41, v38, 16, 1
	v_add3_u32 v38, v38, v41, s10
	v_add3_u32 v37, v39, v37, s10
	v_perm_b32 v41, v37, v38, s33
	v_pk_mul_f32 v[38:39], v[52:53], v[42:43] op_sel_hi:[0,1]
	v_bfe_u32 v37, v39, 16, 1
	v_bfe_u32 v42, v38, 16, 1
	v_pk_mul_f32 v[34:35], v[52:53], v[34:35] op_sel_hi:[0,1]
	v_add3_u32 v38, v38, v42, s10
	v_add3_u32 v37, v39, v37, s10
	v_perm_b32 v38, v37, v38, s33
	v_bfe_u32 v37, v35, 16, 1
	v_bfe_u32 v39, v34, 16, 1
	v_add3_u32 v34, v34, v39, s10
	v_add3_u32 v35, v35, v37, s10
	v_perm_b32 v39, v35, v34, s33
	v_cmp_gt_u32_e32 vcc, 5, v0
	ds_write2st64_b64 v55, v[40:41], v[38:39] offset0:2 offset1:3
	s_and_saveexec_b64 s[6:7], vcc
	s_cbranch_execz .LBB1392_15
; %bb.14:
	s_mov_b32 s49, 0
	v_mov_b32_e32 v57, 0
	v_lshl_add_u64 v[34:35], s[48:49], 0, v[56:57]
	v_mov_b32_e32 v37, s9
	v_mad_u64_u32 v[34:35], s[16:17], s2, v37, v[34:35]
	s_mul_i32 s3, s3, s9
	v_mov_b32_e32 v38, s22
	v_mov_b32_e32 v39, v57
	s_load_dwordx4 s[12:15], s[0:1], 0x58
	v_add_u32_e32 v37, s3, v35
	v_mad_u64_u32 v[34:35], s[16:17], v34, s8, v[38:39]
	v_mov_b32_e32 v38, v35
	v_mad_u64_u32 v[38:39], s[16:17], v37, s8, v[38:39]
	v_mov_b32_e32 v35, v38
	v_lshlrev_b64 v[34:35], 2, v[34:35]
	s_waitcnt lgkmcnt(0)
	v_lshl_add_u64 v[38:39], s[14:15], 0, v[34:35]
	v_lshl_add_u64 v[34:35], s[12:13], 0, v[34:35]
	global_store_dword v[38:39], v50, off
	global_store_dword v[34:35], v51, off
.LBB1392_15:
	s_or_b64 exec, exec, s[6:7]
	v_lshl_or_b32 v50, v58, 9, v36
	s_waitcnt vmcnt(7)
	v_cvt_pk_f32_fp8_e32 v[34:35], v30
	v_cvt_pk_f32_fp8_sdwa v[36:37], v30 src0_sel:WORD_1
	s_mov_b32 s7, 0x7060302
	s_waitcnt lgkmcnt(0)
	s_barrier
	v_cvt_pk_f32_fp8_e32 v[38:39], v31
	v_perm_b32 v30, v35, v34, s7
	v_cvt_pk_f32_fp8_sdwa v[40:41], v31 src0_sel:WORD_1
	v_perm_b32 v31, v37, v36, s7
	ds_read_b128 v[34:37], v50
	v_perm_b32 v46, v39, v38, s7
	v_perm_b32 v47, v41, v40, s7
	ds_read_b128 v[38:41], v50 offset:16
	v_cvt_pk_f32_fp8_e32 v[48:49], v32
	v_cvt_pk_f32_fp8_sdwa v[52:53], v32 src0_sel:WORD_1
	s_waitcnt lgkmcnt(1)
	v_mfma_f32_16x16x16_bf16 v[42:45], v[30:31], v[34:35], 0
	s_waitcnt vmcnt(6)
	v_cvt_pk_f32_fp8_e32 v[60:61], v24
	v_perm_b32 v30, v49, v48, s7
	v_perm_b32 v31, v53, v52, s7
	v_cvt_pk_f32_fp8_e32 v[48:49], v33
	v_mfma_f32_16x16x16_bf16 v[42:45], v[46:47], v[36:37], v[42:45]
	v_cvt_pk_f32_fp8_sdwa v[46:47], v33 src0_sel:WORD_1
	v_cvt_pk_f32_fp8_sdwa v[62:63], v24 src0_sel:WORD_1
	v_perm_b32 v48, v49, v48, s7
	s_waitcnt lgkmcnt(0)
	v_mfma_f32_16x16x16_bf16 v[30:33], v[30:31], v[38:39], v[42:45]
	v_perm_b32 v49, v47, v46, s7
	s_waitcnt vmcnt(5)
	v_cvt_pk_f32_fp8_e32 v[64:65], v12
	v_cvt_pk_f32_fp8_sdwa v[66:67], v12 src0_sel:WORD_1
	v_cvt_pk_f32_fp8_e32 v[42:43], v22
	v_mfma_f32_16x16x16_bf16 v[46:49], v[48:49], v[40:41], v[30:33]
	s_waitcnt vmcnt(4)
	v_cvt_pk_f32_fp8_sdwa v[68:69], v4 src0_sel:WORD_1
	s_load_dword s6, s[42:43], 0x0
	v_cvt_pk_f32_fp8_sdwa v[30:31], v22 src0_sel:WORD_1
	v_cvt_pk_f32_fp8_e32 v[32:33], v23
	v_perm_b32 v22, v43, v42, s7
	v_cvt_pk_f32_fp8_sdwa v[42:43], v23 src0_sel:WORD_1
	v_perm_b32 v23, v31, v30, s7
	v_perm_b32 v52, v33, v32, s7
	ds_read_b128 v[30:33], v50 offset:2048
	v_perm_b32 v53, v43, v42, s7
	ds_read_b128 v[42:45], v50 offset:2064
	s_waitcnt lgkmcnt(0)
	v_mfma_f32_16x16x16_bf16 v[46:49], v[22:23], v[30:31], v[46:49]
	v_perm_b32 v22, v61, v60, s7
	v_perm_b32 v23, v63, v62, s7
	v_cvt_pk_f32_fp8_e32 v[60:61], v25
	v_mfma_f32_16x16x16_bf16 v[46:49], v[52:53], v[32:33], v[46:49]
	v_cvt_pk_f32_fp8_sdwa v[52:53], v25 src0_sel:WORD_1
	s_waitcnt vmcnt(3)
	v_cvt_pk_f32_fp8_sdwa v[70:71], v28 src0_sel:WORD_1
	v_perm_b32 v60, v61, v60, s7
	v_mfma_f32_16x16x16_bf16 v[22:25], v[22:23], v[42:43], v[46:49]
	v_perm_b32 v61, v53, v52, s7
	s_mov_b32 s3, 0
	v_cmp_gt_u32_e32 vcc, 64, v0
	v_cvt_pk_f32_fp8_e32 v[46:47], v10
	v_mfma_f32_16x16x16_bf16 v[60:63], v[60:61], v[44:45], v[22:25]
	s_nop 2
	v_cvt_pk_f32_fp8_sdwa v[22:23], v10 src0_sel:WORD_1
	v_cvt_pk_f32_fp8_e32 v[24:25], v11
	v_perm_b32 v10, v47, v46, s7
	v_cvt_pk_f32_fp8_sdwa v[46:47], v11 src0_sel:WORD_1
	v_perm_b32 v11, v23, v22, s7
	v_perm_b32 v52, v25, v24, s7
	ds_read_b128 v[22:25], v50 offset:4096
	v_perm_b32 v53, v47, v46, s7
	ds_read_b128 v[46:49], v50 offset:4112
	s_waitcnt lgkmcnt(1)
	v_mfma_f32_16x16x16_bf16 v[60:63], v[10:11], v[22:23], v[60:63]
	v_perm_b32 v10, v65, v64, s7
	v_perm_b32 v11, v67, v66, s7
	v_cvt_pk_f32_fp8_e32 v[64:65], v13
	v_mfma_f32_16x16x16_bf16 v[60:63], v[52:53], v[24:25], v[60:63]
	v_cvt_pk_f32_fp8_sdwa v[52:53], v13 src0_sel:WORD_1
	v_cvt_pk_f32_fp8_e32 v[66:67], v4
	v_perm_b32 v64, v65, v64, s7
	s_waitcnt lgkmcnt(0)
	v_mfma_f32_16x16x16_bf16 v[10:13], v[10:11], v[46:47], v[60:63]
	v_perm_b32 v65, v53, v52, s7
	v_cvt_pk_f32_fp8_e32 v[52:53], v2
	s_nop 0
	v_mfma_f32_16x16x16_bf16 v[60:63], v[64:65], v[48:49], v[10:13]
	s_nop 2
	v_cvt_pk_f32_fp8_sdwa v[10:11], v2 src0_sel:WORD_1
	v_cvt_pk_f32_fp8_e32 v[12:13], v3
	v_perm_b32 v2, v53, v52, s7
	v_cvt_pk_f32_fp8_sdwa v[52:53], v3 src0_sel:WORD_1
	v_perm_b32 v3, v11, v10, s7
	v_perm_b32 v64, v13, v12, s7
	ds_read_b128 v[10:13], v50 offset:6144
	v_perm_b32 v65, v53, v52, s7
	s_waitcnt lgkmcnt(0)
	v_mfma_f32_16x16x16_bf16 v[60:63], v[2:3], v[10:11], v[60:63]
	ds_read_b128 v[50:53], v50 offset:6160
	v_perm_b32 v2, v67, v66, s7
	v_perm_b32 v3, v69, v68, s7
	v_cvt_pk_f32_fp8_e32 v[66:67], v5
	v_mfma_f32_16x16x16_bf16 v[60:63], v[64:65], v[12:13], v[60:63]
	v_cvt_pk_f32_fp8_sdwa v[64:65], v5 src0_sel:WORD_1
	v_cvt_pk_f32_fp8_e32 v[68:69], v28
	v_perm_b32 v66, v67, v66, s7
	s_waitcnt lgkmcnt(0)
	v_mfma_f32_16x16x16_bf16 v[2:5], v[2:3], v[50:51], v[60:63]
	v_perm_b32 v67, v65, v64, s7
	s_barrier
	s_nop 0
	v_mfma_f32_16x16x16_bf16 v[60:63], v[66:67], v[52:53], v[2:5]
	s_nop 2
	v_cvt_pk_f32_fp8_e32 v[4:5], v26
	v_perm_b32 v4, v5, v4, s7
	s_nop 1
	v_pk_mul_f32 v[2:3], v[62:63], s[6:7] op_sel_hi:[1,0]
	v_cvt_pk_f32_fp8_sdwa v[62:63], v26 src0_sel:WORD_1
	v_pk_mul_f32 v[64:65], v[60:61], s[6:7] op_sel_hi:[1,0]
	v_cvt_pk_f32_fp8_e32 v[60:61], v27
	v_cvt_pk_f32_fp8_sdwa v[26:27], v27 src0_sel:WORD_1
	v_perm_b32 v5, v63, v62, s7
	v_bfe_u32 v57, v65, 16, 1
	v_perm_b32 v66, v61, v60, s7
	v_perm_b32 v67, v27, v26, s7
	v_mfma_f32_16x16x16_bf16 v[60:63], v[4:5], v[34:35], 0
	v_perm_b32 v4, v69, v68, s7
	v_perm_b32 v5, v71, v70, s7
	v_cvt_pk_f32_fp8_e32 v[34:35], v29
	v_cvt_pk_f32_fp8_sdwa v[68:69], v29 src0_sel:WORD_1
	v_mfma_f32_16x16x16_bf16 v[26:29], v[66:67], v[36:37], v[60:63]
	s_waitcnt vmcnt(2)
	v_cvt_pk_f32_fp8_sdwa v[36:37], v18 src0_sel:WORD_1
	v_perm_b32 v34, v35, v34, s7
	v_perm_b32 v35, v69, v68, s7
	v_mfma_f32_16x16x16_bf16 v[26:29], v[4:5], v[38:39], v[26:29]
	v_cvt_pk_f32_fp8_e32 v[4:5], v18
	v_cvt_pk_f32_fp8_sdwa v[38:39], v20 src0_sel:WORD_1
	v_bfe_u32 v59, v64, 16, 1
	v_mfma_f32_16x16x16_bf16 v[26:29], v[34:35], v[40:41], v[26:29]
	v_cvt_pk_f32_fp8_e32 v[34:35], v19
	v_perm_b32 v4, v5, v4, s7
	v_perm_b32 v5, v37, v36, s7
	v_cvt_pk_f32_fp8_sdwa v[18:19], v19 src0_sel:WORD_1
	v_perm_b32 v34, v35, v34, s7
	v_cvt_pk_f32_fp8_e32 v[36:37], v20
	v_mfma_f32_16x16x16_bf16 v[26:29], v[4:5], v[30:31], v[26:29]
	v_perm_b32 v35, v19, v18, s7
	v_perm_b32 v4, v37, v36, s7
	;; [unrolled: 1-line block ×3, first 2 shown]
	v_cvt_pk_f32_fp8_e32 v[30:31], v21
	v_cvt_pk_f32_fp8_sdwa v[36:37], v21 src0_sel:WORD_1
	v_mfma_f32_16x16x16_bf16 v[18:21], v[34:35], v[32:33], v[26:29]
	v_add3_u32 v32, v64, v59, s10
	v_add3_u32 v33, v65, v57, s10
	s_nop 0
	v_perm_b32 v26, v31, v30, s7
	v_perm_b32 v27, v37, v36, s7
	v_mfma_f32_16x16x16_bf16 v[18:21], v[4:5], v[42:43], v[18:21]
	s_waitcnt vmcnt(1)
	v_cvt_pk_f32_fp8_e32 v[4:5], v14
	v_cvt_pk_f32_fp8_sdwa v[28:29], v14 src0_sel:WORD_1
	v_cvt_pk_f32_fp8_sdwa v[30:31], v16 src0_sel:WORD_1
	v_mfma_f32_16x16x16_bf16 v[18:21], v[26:27], v[44:45], v[18:21]
	v_cvt_pk_f32_fp8_e32 v[26:27], v15
	v_perm_b32 v4, v5, v4, s7
	v_perm_b32 v5, v29, v28, s7
	v_cvt_pk_f32_fp8_sdwa v[14:15], v15 src0_sel:WORD_1
	v_perm_b32 v26, v27, v26, s7
	v_cvt_pk_f32_fp8_e32 v[28:29], v16
	v_mfma_f32_16x16x16_bf16 v[18:21], v[4:5], v[22:23], v[18:21]
	v_perm_b32 v27, v15, v14, s7
	v_perm_b32 v4, v29, v28, s7
	;; [unrolled: 1-line block ×3, first 2 shown]
	v_cvt_pk_f32_fp8_e32 v[22:23], v17
	v_cvt_pk_f32_fp8_sdwa v[28:29], v17 src0_sel:WORD_1
	v_mfma_f32_16x16x16_bf16 v[14:17], v[26:27], v[24:25], v[18:21]
	s_waitcnt vmcnt(0)
	v_cvt_pk_f32_fp8_sdwa v[24:25], v8 src0_sel:WORD_1
	s_nop 0
	v_perm_b32 v20, v23, v22, s7
	v_perm_b32 v21, v29, v28, s7
	v_mfma_f32_16x16x16_bf16 v[14:17], v[4:5], v[46:47], v[14:17]
	v_cvt_pk_f32_fp8_e32 v[4:5], v6
	v_cvt_pk_f32_fp8_sdwa v[22:23], v6 src0_sel:WORD_1
	v_bfe_u32 v19, v3, 16, 1
	v_mfma_f32_16x16x16_bf16 v[14:17], v[20:21], v[48:49], v[14:17]
	v_cvt_pk_f32_fp8_e32 v[20:21], v7
	v_perm_b32 v4, v5, v4, s7
	v_perm_b32 v5, v23, v22, s7
	v_cvt_pk_f32_fp8_sdwa v[6:7], v7 src0_sel:WORD_1
	v_perm_b32 v20, v21, v20, s7
	v_cvt_pk_f32_fp8_e32 v[22:23], v8
	v_add3_u32 v3, v3, v19, s10
	v_perm_b32 v21, v7, v6, s7
	v_mfma_f32_16x16x16_bf16 v[4:7], v[4:5], v[10:11], v[14:17]
	v_perm_b32 v10, v23, v22, s7
	v_perm_b32 v11, v25, v24, s7
	;; [unrolled: 1-line block ×3, first 2 shown]
	v_cvt_pk_f32_fp8_e32 v[14:15], v9
	v_cvt_pk_f32_fp8_sdwa v[8:9], v9 src0_sel:WORD_1
	v_mfma_f32_16x16x16_bf16 v[4:7], v[20:21], v[12:13], v[4:7]
	v_bfe_u32 v16, v2, 16, 1
	v_perm_b32 v12, v15, v14, s7
	v_perm_b32 v13, v9, v8, s7
	v_mfma_f32_16x16x16_bf16 v[4:7], v[10:11], v[50:51], v[4:7]
	v_add3_u32 v2, v2, v16, s10
	v_perm_b32 v19, v3, v2, s7
	v_mfma_f32_16x16x16_bf16 v[2:5], v[12:13], v[52:53], v[4:7]
	s_nop 6
	v_pk_mul_f32 v[2:3], v[2:3], s[6:7] op_sel_hi:[1,0]
	v_pk_mul_f32 v[4:5], v[4:5], s[6:7] op_sel_hi:[1,0]
	v_bfe_u32 v6, v3, 16, 1
	v_bfe_u32 v7, v2, 16, 1
	v_add3_u32 v2, v2, v7, s10
	v_add3_u32 v3, v3, v6, s10
	v_perm_b32 v2, v3, v2, s7
	v_bfe_u32 v3, v5, 16, 1
	v_bfe_u32 v6, v4, 16, 1
	v_add3_u32 v4, v4, v6, s10
	v_add3_u32 v3, v5, v3, s10
	v_perm_b32 v3, v3, v4, s7
	ds_write2st64_b64 v55, v[18:19], v[2:3] offset1:1
	s_waitcnt lgkmcnt(0)
	s_barrier
	s_and_saveexec_b64 s[6:7], vcc
	s_cbranch_execz .LBB1392_18
; %bb.16:
	s_load_dwordx2 s[6:7], s[0:1], 0x68
	s_lshl_b32 s0, s8, 7
	s_mul_i32 s1, s9, s2
	v_lshlrev_b32_e32 v3, 6, v56
	s_mul_hi_u32 s9, s1, s0
	s_mul_i32 s8, s1, s0
	v_lshl_or_b32 v0, v0, 10, v3
	s_lshl_b64 s[8:9], s[8:9], 1
	v_lshlrev_b32_e32 v2, 5, v58
	v_and_b32_e32 v1, 16, v1
	v_and_b32_e32 v0, 0x1a00, v0
	s_waitcnt lgkmcnt(0)
	s_add_u32 s1, s6, s8
	v_or3_b32 v2, v0, v2, v1
	s_addc_u32 s6, s7, s9
	s_lshl_b32 s2, s22, 7
	s_lshl_b64 s[2:3], s[2:3], 1
	ds_read_b128 v[4:7], v2
	s_add_u32 s2, s1, s2
	s_addc_u32 s3, s6, s3
	v_mov_b32_e32 v55, 0
	v_add_u32_e32 v3, s48, v58
	v_lshl_add_u64 v[0:1], s[2:3], 0, v[54:55]
	v_mad_u64_u32 v[8:9], s[2:3], v3, s0, 0
	v_lshl_add_u64 v[8:9], v[8:9], 1, v[0:1]
	s_waitcnt lgkmcnt(0)
	global_store_dwordx4 v[8:9], v[4:7], off
	s_and_b64 exec, exec, s[4:5]
	s_cbranch_execz .LBB1392_18
; %bb.17:
	ds_read_b128 v[2:5], v2 offset:128
	v_add3_u32 v6, s48, v58, 4
	v_mad_u64_u32 v[6:7], s[0:1], v6, s0, 0
	v_lshl_add_u64 v[0:1], v[6:7], 1, v[0:1]
	s_waitcnt lgkmcnt(0)
	global_store_dwordx4 v[0:1], v[2:5], off
.LBB1392_18:
	s_endpgm
	.section	.rodata,"a",@progbits
	.p2align	6, 0x0
	.amdhsa_kernel _Z39paged_attention_ll4mi_QKV_mfma16_kernelI14__hip_bfloat16hLN4vllm18Fp8KVCacheDataTypeE1ES0_Li32ELi128ELi256ELb0ELi5EEvPKT_PKT0_S8_ifPKiSA_SA_iPKfiiiPfSD_PS3_PT2_iSC_SC_
		.amdhsa_group_segment_fixed_size 8192
		.amdhsa_private_segment_fixed_size 0
		.amdhsa_kernarg_size 400
		.amdhsa_user_sgpr_count 2
		.amdhsa_user_sgpr_dispatch_ptr 0
		.amdhsa_user_sgpr_queue_ptr 0
		.amdhsa_user_sgpr_kernarg_segment_ptr 1
		.amdhsa_user_sgpr_dispatch_id 0
		.amdhsa_user_sgpr_kernarg_preload_length 0
		.amdhsa_user_sgpr_kernarg_preload_offset 0
		.amdhsa_user_sgpr_private_segment_size 0
		.amdhsa_uses_dynamic_stack 0
		.amdhsa_enable_private_segment 0
		.amdhsa_system_sgpr_workgroup_id_x 1
		.amdhsa_system_sgpr_workgroup_id_y 1
		.amdhsa_system_sgpr_workgroup_id_z 1
		.amdhsa_system_sgpr_workgroup_info 0
		.amdhsa_system_vgpr_workitem_id 0
		.amdhsa_next_free_vgpr 80
		.amdhsa_next_free_sgpr 50
		.amdhsa_accum_offset 80
		.amdhsa_reserve_vcc 1
		.amdhsa_float_round_mode_32 0
		.amdhsa_float_round_mode_16_64 0
		.amdhsa_float_denorm_mode_32 3
		.amdhsa_float_denorm_mode_16_64 3
		.amdhsa_dx10_clamp 1
		.amdhsa_ieee_mode 1
		.amdhsa_fp16_overflow 0
		.amdhsa_tg_split 0
		.amdhsa_exception_fp_ieee_invalid_op 0
		.amdhsa_exception_fp_denorm_src 0
		.amdhsa_exception_fp_ieee_div_zero 0
		.amdhsa_exception_fp_ieee_overflow 0
		.amdhsa_exception_fp_ieee_underflow 0
		.amdhsa_exception_fp_ieee_inexact 0
		.amdhsa_exception_int_div_zero 0
	.end_amdhsa_kernel
	.section	.text._Z39paged_attention_ll4mi_QKV_mfma16_kernelI14__hip_bfloat16hLN4vllm18Fp8KVCacheDataTypeE1ES0_Li32ELi128ELi256ELb0ELi5EEvPKT_PKT0_S8_ifPKiSA_SA_iPKfiiiPfSD_PS3_PT2_iSC_SC_,"axG",@progbits,_Z39paged_attention_ll4mi_QKV_mfma16_kernelI14__hip_bfloat16hLN4vllm18Fp8KVCacheDataTypeE1ES0_Li32ELi128ELi256ELb0ELi5EEvPKT_PKT0_S8_ifPKiSA_SA_iPKfiiiPfSD_PS3_PT2_iSC_SC_,comdat
.Lfunc_end1392:
	.size	_Z39paged_attention_ll4mi_QKV_mfma16_kernelI14__hip_bfloat16hLN4vllm18Fp8KVCacheDataTypeE1ES0_Li32ELi128ELi256ELb0ELi5EEvPKT_PKT0_S8_ifPKiSA_SA_iPKfiiiPfSD_PS3_PT2_iSC_SC_, .Lfunc_end1392-_Z39paged_attention_ll4mi_QKV_mfma16_kernelI14__hip_bfloat16hLN4vllm18Fp8KVCacheDataTypeE1ES0_Li32ELi128ELi256ELb0ELi5EEvPKT_PKT0_S8_ifPKiSA_SA_iPKfiiiPfSD_PS3_PT2_iSC_SC_
                                        ; -- End function
	.section	.AMDGPU.csdata,"",@progbits
; Kernel info:
; codeLenInByte = 6376
; NumSgprs: 56
; NumVgprs: 80
; NumAgprs: 0
; TotalNumVgprs: 80
; ScratchSize: 0
; MemoryBound: 0
; FloatMode: 240
; IeeeMode: 1
; LDSByteSize: 8192 bytes/workgroup (compile time only)
; SGPRBlocks: 6
; VGPRBlocks: 9
; NumSGPRsForWavesPerEU: 56
; NumVGPRsForWavesPerEU: 80
; AccumOffset: 80
; Occupancy: 6
; WaveLimiterHint : 1
; COMPUTE_PGM_RSRC2:SCRATCH_EN: 0
; COMPUTE_PGM_RSRC2:USER_SGPR: 2
; COMPUTE_PGM_RSRC2:TRAP_HANDLER: 0
; COMPUTE_PGM_RSRC2:TGID_X_EN: 1
; COMPUTE_PGM_RSRC2:TGID_Y_EN: 1
; COMPUTE_PGM_RSRC2:TGID_Z_EN: 1
; COMPUTE_PGM_RSRC2:TIDIG_COMP_CNT: 0
; COMPUTE_PGM_RSRC3_GFX90A:ACCUM_OFFSET: 19
; COMPUTE_PGM_RSRC3_GFX90A:TG_SPLIT: 0
	.section	.text._Z39paged_attention_ll4mi_QKV_mfma16_kernelI14__hip_bfloat16hLN4vllm18Fp8KVCacheDataTypeE1ES0_Li32ELi128ELi256ELb0ELi6EEvPKT_PKT0_S8_ifPKiSA_SA_iPKfiiiPfSD_PS3_PT2_iSC_SC_,"axG",@progbits,_Z39paged_attention_ll4mi_QKV_mfma16_kernelI14__hip_bfloat16hLN4vllm18Fp8KVCacheDataTypeE1ES0_Li32ELi128ELi256ELb0ELi6EEvPKT_PKT0_S8_ifPKiSA_SA_iPKfiiiPfSD_PS3_PT2_iSC_SC_,comdat
	.protected	_Z39paged_attention_ll4mi_QKV_mfma16_kernelI14__hip_bfloat16hLN4vllm18Fp8KVCacheDataTypeE1ES0_Li32ELi128ELi256ELb0ELi6EEvPKT_PKT0_S8_ifPKiSA_SA_iPKfiiiPfSD_PS3_PT2_iSC_SC_ ; -- Begin function _Z39paged_attention_ll4mi_QKV_mfma16_kernelI14__hip_bfloat16hLN4vllm18Fp8KVCacheDataTypeE1ES0_Li32ELi128ELi256ELb0ELi6EEvPKT_PKT0_S8_ifPKiSA_SA_iPKfiiiPfSD_PS3_PT2_iSC_SC_
	.globl	_Z39paged_attention_ll4mi_QKV_mfma16_kernelI14__hip_bfloat16hLN4vllm18Fp8KVCacheDataTypeE1ES0_Li32ELi128ELi256ELb0ELi6EEvPKT_PKT0_S8_ifPKiSA_SA_iPKfiiiPfSD_PS3_PT2_iSC_SC_
	.p2align	8
	.type	_Z39paged_attention_ll4mi_QKV_mfma16_kernelI14__hip_bfloat16hLN4vllm18Fp8KVCacheDataTypeE1ES0_Li32ELi128ELi256ELb0ELi6EEvPKT_PKT0_S8_ifPKiSA_SA_iPKfiiiPfSD_PS3_PT2_iSC_SC_,@function
_Z39paged_attention_ll4mi_QKV_mfma16_kernelI14__hip_bfloat16hLN4vllm18Fp8KVCacheDataTypeE1ES0_Li32ELi128ELi256ELb0ELi6EEvPKT_PKT0_S8_ifPKiSA_SA_iPKfiiiPfSD_PS3_PT2_iSC_SC_: ; @_Z39paged_attention_ll4mi_QKV_mfma16_kernelI14__hip_bfloat16hLN4vllm18Fp8KVCacheDataTypeE1ES0_Li32ELi128ELi256ELb0ELi6EEvPKT_PKT0_S8_ifPKiSA_SA_iPKfiiiPfSD_PS3_PT2_iSC_SC_
; %bb.0:
	s_load_dwordx2 s[12:13], s[0:1], 0x30
	s_mov_b32 s22, s3
	s_mov_b64 s[6:7], 0
	s_waitcnt lgkmcnt(0)
	s_cmp_lg_u64 s[12:13], 0
	s_cselect_b64 s[14:15], -1, 0
	s_and_b64 vcc, exec, s[14:15]
	s_cbranch_vccz .LBB1393_7
; %bb.1:
	s_add_i32 s8, s2, 1
	s_mov_b32 s9, 0
	s_lshl_b64 s[10:11], s[8:9], 2
	s_add_u32 s10, s12, s10
	s_mov_b32 s3, s9
	s_addc_u32 s11, s13, s11
	s_lshl_b64 s[8:9], s[2:3], 2
	s_add_u32 s8, s12, s8
	s_addc_u32 s9, s13, s9
	s_load_dword s5, s[10:11], 0x0
	s_load_dword s16, s[8:9], 0x0
	s_waitcnt lgkmcnt(0)
	s_sub_i32 s5, s5, s16
	s_cmp_eq_u32 s5, 1
	s_cselect_b64 s[8:9], -1, 0
	s_andn2_b64 vcc, exec, s[6:7]
	s_cbranch_vccnz .LBB1393_3
.LBB1393_2:
	s_mov_b32 s3, 0
	s_mov_b64 s[8:9], -1
.LBB1393_3:
	s_andn2_b64 vcc, exec, s[8:9]
	s_cbranch_vccnz .LBB1393_18
; %bb.4:
	s_load_dwordx2 s[6:7], s[0:1], 0x28
	s_lshl_b64 s[16:17], s[2:3], 2
	s_waitcnt lgkmcnt(0)
	s_add_u32 s6, s6, s16
	s_addc_u32 s7, s7, s17
	s_load_dword s5, s[6:7], 0x0
	s_lshl_b32 s18, s22, 8
	s_waitcnt lgkmcnt(0)
	s_cmp_ge_i32 s18, s5
	s_cbranch_scc1 .LBB1393_18
; %bb.5:
	s_load_dwordx2 s[6:7], s[0:1], 0x20
	s_load_dword s8, s[0:1], 0x38
	s_add_i32 s9, s5, 31
	s_ashr_i32 s10, s9, 31
	v_and_b32_e32 v1, 0xcf, v0
	s_lshr_b32 s10, s10, 27
	v_add_u32_e32 v1, s18, v1
	s_add_i32 s9, s9, s10
	v_ashrrev_i32_e32 v2, 31, v1
	s_ashr_i32 s19, s9, 5
	v_lshrrev_b32_e32 v10, 27, v2
	s_add_i32 s19, s19, -1
	s_waitcnt lgkmcnt(0)
	s_mul_i32 s8, s2, s8
	s_mov_b32 s9, 0
	v_add_u32_e32 v2, v1, v10
	s_lshl_b64 s[8:9], s[8:9], 2
	v_ashrrev_i32_e32 v2, 5, v2
	v_mov_b32_e32 v11, s19
	v_cmp_gt_i32_e32 vcc, s5, v1
	s_add_u32 s6, s6, s8
	s_addc_u32 s7, s7, s9
	v_cndmask_b32_e32 v2, v11, v2, vcc
	v_ashrrev_i32_e32 v3, 31, v2
	v_lshl_add_u64 v[4:5], v[2:3], 2, s[6:7]
	v_or_b32_e32 v2, 16, v1
	v_add_u32_e32 v3, v2, v10
	v_ashrrev_i32_e32 v3, 5, v3
	v_cmp_gt_i32_e32 vcc, s5, v2
	s_load_dwordx4 s[8:11], s[0:1], 0x8
	s_nop 0
	v_cndmask_b32_e32 v2, v11, v3, vcc
	v_ashrrev_i32_e32 v3, 31, v2
	v_lshl_add_u64 v[6:7], v[2:3], 2, s[6:7]
	v_or_b32_e32 v2, 32, v1
	v_add_u32_e32 v3, v2, v10
	v_ashrrev_i32_e32 v3, 5, v3
	v_cmp_gt_i32_e32 vcc, s5, v2
	v_or_b32_e32 v1, 48, v1
	s_nop 0
	v_cndmask_b32_e32 v2, v11, v3, vcc
	v_ashrrev_i32_e32 v3, 31, v2
	v_lshl_add_u64 v[8:9], v[2:3], 2, s[6:7]
	v_add_u32_e32 v2, v1, v10
	v_ashrrev_i32_e32 v2, 5, v2
	v_cmp_gt_i32_e32 vcc, s5, v1
	s_nop 1
	v_cndmask_b32_e32 v2, v11, v2, vcc
	v_ashrrev_i32_e32 v3, 31, v2
	v_lshl_add_u64 v[10:11], v[2:3], 2, s[6:7]
	global_load_dword v2, v[4:5], off
	global_load_dword v14, v[6:7], off
	;; [unrolled: 1-line block ×4, first 2 shown]
	s_andn2_b64 vcc, exec, s[14:15]
	s_cbranch_vccnz .LBB1393_8
; %bb.6:
	s_add_u32 s12, s12, s16
	s_addc_u32 s13, s13, s17
	s_load_dword s14, s[12:13], 0x0
	s_branch .LBB1393_9
.LBB1393_7:
	s_mov_b64 s[8:9], 0
	s_branch .LBB1393_2
.LBB1393_8:
	s_mov_b32 s14, s2
.LBB1393_9:
	s_load_dwordx4 s[44:47], s[0:1], 0x48
	v_lshrrev_b32_e32 v57, 6, v0
	v_bfe_u32 v58, v0, 4, 2
	v_and_b32_e32 v56, 15, v0
	v_lshl_or_b32 v3, v57, 2, v58
	v_lshlrev_b32_e32 v1, 3, v56
	v_and_b32_e32 v59, 63, v0
	s_mul_i32 s48, s4, 6
	v_cmp_gt_u32_e32 vcc, 6, v3
	v_lshlrev_b32_e32 v54, 1, v1
	v_lshlrev_b32_e32 v1, 4, v0
	s_and_saveexec_b64 s[12:13], vcc
	s_cbranch_execz .LBB1393_11
; %bb.10:
	s_load_dwordx2 s[16:17], s[0:1], 0x0
	s_waitcnt lgkmcnt(0)
	s_ashr_i32 s15, s44, 31
	s_mul_hi_u32 s20, s14, s44
	s_mul_i32 s15, s14, s15
	s_add_i32 s15, s20, s15
	s_mul_i32 s14, s14, s44
	s_lshl_b64 s[14:15], s[14:15], 1
	s_add_u32 s14, s16, s14
	v_add_lshl_u32 v4, v3, s48, 7
	s_addc_u32 s15, s17, s15
	v_ashrrev_i32_e32 v5, 31, v4
	v_lshl_add_u64 v[4:5], v[4:5], 1, s[14:15]
	v_mov_b32_e32 v55, 0
	v_lshl_add_u64 v[4:5], v[4:5], 0, v[54:55]
	global_load_dwordx4 v[4:7], v[4:5], off
	v_lshlrev_b32_e32 v9, 8, v0
	v_lshlrev_b32_e32 v8, 8, v56
	v_and_b32_e32 v9, 0x600, v9
	s_movk_i32 s14, 0x800
	v_and_or_b32 v8, v8, s14, v9
	v_lshlrev_b32_e32 v3, 5, v3
	v_and_b32_e32 v9, 16, v1
	v_or3_b32 v3, v8, v3, v9
	s_waitcnt vmcnt(0)
	ds_write_b128 v3, v[4:7]
.LBB1393_11:
	s_or_b64 exec, exec, s[12:13]
	s_waitcnt lgkmcnt(0)
	s_mul_i32 s12, s4, s46
	s_add_u32 s8, s8, s12
	s_addc_u32 s9, s9, 0
	v_mov_b32_e32 v51, 0
	v_mov_b64_e32 v[6:7], s[8:9]
	v_and_b32_e32 v15, 48, v0
	s_waitcnt vmcnt(3)
	v_mad_i64_i32 v[2:3], s[8:9], v2, s45, v[6:7]
	v_lshlrev_b32_e32 v10, 4, v56
	v_mov_b32_e32 v11, v51
	v_lshlrev_b32_e32 v50, 5, v15
	v_lshl_add_u64 v[2:3], v[2:3], 0, v[10:11]
	v_lshl_add_u64 v[8:9], v[2:3], 0, v[50:51]
	s_load_dword s23, s[0:1], 0x98
	s_load_dwordx4 s[40:43], s[0:1], 0x80
	s_waitcnt lgkmcnt(0)
	s_barrier
	global_load_dwordx4 v[2:5], v[8:9], off
	global_load_dwordx4 v[42:45], v[8:9], off offset:2048
	v_mul_lo_u16_e32 v16, 43, v56
	v_mov_b32_e32 v17, 6
	v_mul_lo_u16_sdwa v8, v16, v17 dst_sel:DWORD dst_unused:UNUSED_PAD src0_sel:BYTE_1 src1_sel:DWORD
	v_mov_b32_e32 v20, 5
	v_sub_u16_e32 v8, v56, v8
	s_ashr_i32 s8, s18, 31
	v_lshlrev_b32_sdwa v8, v20, v8 dst_sel:DWORD dst_unused:UNUSED_PAD src0_sel:DWORD src1_sel:BYTE_0
	v_or_b32_e32 v18, 0x100, v10
	v_mov_b32_e32 v19, v51
	s_lshr_b32 s13, s8, 27
	v_lshl_add_u32 v32, v58, 9, v8
	s_waitcnt vmcnt(4)
	v_mad_i64_i32 v[8:9], s[8:9], v14, s45, v[6:7]
	s_waitcnt vmcnt(3)
	v_mad_i64_i32 v[20:21], s[8:9], v12, s45, v[6:7]
	;; [unrolled: 2-line block ×3, first 2 shown]
	v_lshl_add_u64 v[6:7], v[8:9], 0, v[18:19]
	v_lshl_add_u64 v[22:23], v[6:7], 0, v[50:51]
	global_load_dwordx4 v[46:49], v[22:23], off
	v_or_b32_e32 v25, s18, v15
	v_or_b32_e32 v30, 64, v25
	v_add_u32_e32 v33, s13, v25
	v_mov_b32_e32 v24, s19
	v_or_b32_e32 v31, 0x80, v25
	v_add_u32_e32 v39, s13, v30
	v_lshl_add_u64 v[10:11], v[20:21], 0, v[10:11]
	v_ashrrev_i32_e32 v20, 5, v33
	v_cmp_gt_i32_e32 vcc, s5, v25
	v_add_u32_e32 v40, s13, v31
	v_ashrrev_i32_e32 v21, 5, v39
	v_cndmask_b32_e32 v52, v24, v20, vcc
	v_cmp_gt_i32_e32 vcc, s5, v30
	ds_read_b128 v[34:37], v32
	ds_read_b128 v[26:29], v32 offset:16
	ds_read_b128 v[14:17], v32 offset:2048
	;; [unrolled: 1-line block ×3, first 2 shown]
	v_ashrrev_i32_e32 v32, 5, v40
	v_cndmask_b32_e32 v60, v24, v21, vcc
	v_cmp_gt_i32_e32 vcc, s5, v31
	v_or_b32_e32 v38, 0xc0, v25
	v_add_u32_e32 v41, s13, v38
	v_cndmask_b32_e32 v62, v24, v32, vcc
	global_load_dwordx4 v[30:33], v[22:23], off offset:2048
	v_lshl_add_u64 v[12:13], v[12:13], 0, v[18:19]
	v_ashrrev_i32_e32 v39, 5, v41
	v_lshl_add_u64 v[10:11], v[10:11], 0, v[50:51]
	v_lshl_add_u64 v[18:19], v[12:13], 0, v[50:51]
	v_cmp_gt_i32_e32 vcc, s5, v38
	v_ashrrev_i32_e32 v63, 31, v62
	v_lshl_add_u64 v[66:67], v[62:63], 2, s[6:7]
	v_cndmask_b32_e32 v64, v24, v39, vcc
	global_load_dwordx4 v[22:25], v[10:11], off
	s_nop 0
	global_load_dwordx4 v[10:13], v[10:11], off offset:2048
	s_nop 0
	global_load_dwordx4 v[38:41], v[18:19], off
	s_nop 0
	global_load_dwordx4 v[18:21], v[18:19], off offset:2048
	s_mov_b32 s33, 0x7060302
	v_ashrrev_i32_e32 v53, 31, v52
	v_ashrrev_i32_e32 v61, 31, v60
	;; [unrolled: 1-line block ×3, first 2 shown]
	v_lshl_add_u64 v[52:53], v[52:53], 2, s[6:7]
	v_lshl_add_u64 v[60:61], v[60:61], 2, s[6:7]
	;; [unrolled: 1-line block ×3, first 2 shown]
	s_add_u32 s6, s10, s12
	s_addc_u32 s7, s11, 0
	v_and_b32_e32 v50, 16, v0
	v_lshl_or_b32 v55, v57, 4, v56
	s_load_dword s4, s[0:1], 0x1c
	s_waitcnt vmcnt(7)
	v_cvt_pk_f32_fp8_e32 v[62:63], v2
	v_cvt_pk_f32_fp8_sdwa v[68:69], v2 src0_sel:WORD_1
	v_cvt_pk_f32_fp8_e32 v[70:71], v3
	v_cvt_pk_f32_fp8_sdwa v[2:3], v3 src0_sel:WORD_1
	v_perm_b32 v72, v63, v62, s33
	v_perm_b32 v73, v69, v68, s33
	global_load_dword v63, v[52:53], off
	global_load_dword v62, v[60:61], off
	s_nop 0
	global_load_dword v60, v[66:67], off
	global_load_dword v61, v[64:65], off
	v_perm_b32 v52, v71, v70, s33
	v_perm_b32 v53, v3, v2, s33
	v_cvt_pk_f32_fp8_e32 v[2:3], v4
	v_cvt_pk_f32_fp8_sdwa v[68:69], v4 src0_sel:WORD_1
	s_waitcnt lgkmcnt(0)
	v_mfma_f32_16x16x16_bf16 v[64:67], v[72:73], v[34:35], 0
	v_cvt_pk_f32_fp8_e32 v[70:71], v5
	v_perm_b32 v2, v3, v2, s33
	v_perm_b32 v3, v69, v68, s33
	v_cvt_pk_f32_fp8_sdwa v[4:5], v5 src0_sel:WORD_1
	v_mfma_f32_16x16x16_bf16 v[64:67], v[52:53], v[36:37], v[64:67]
	v_perm_b32 v52, v71, v70, s33
	s_waitcnt vmcnt(10)
	v_cvt_pk_f32_fp8_e32 v[68:69], v42
	v_cvt_pk_f32_fp8_sdwa v[70:71], v42 src0_sel:WORD_1
	v_perm_b32 v53, v5, v4, s33
	v_mfma_f32_16x16x16_bf16 v[2:5], v[2:3], v[26:27], v[64:67]
	s_waitcnt vmcnt(6)
	v_cvt_pk_f32_fp8_e32 v[72:73], v11
	s_nop 0
	v_perm_b32 v64, v69, v68, s33
	v_perm_b32 v65, v71, v70, s33
	v_cvt_pk_f32_fp8_e32 v[66:67], v43
	v_cvt_pk_f32_fp8_sdwa v[42:43], v43 src0_sel:WORD_1
	v_mfma_f32_16x16x16_bf16 v[2:5], v[52:53], v[28:29], v[2:5]
	v_cvt_pk_f32_fp8_sdwa v[68:69], v30 src0_sel:WORD_1
	v_perm_b32 v52, v67, v66, s33
	v_perm_b32 v53, v43, v42, s33
	v_mfma_f32_16x16x16_bf16 v[2:5], v[64:65], v[14:15], v[2:5]
	v_cvt_pk_f32_fp8_e32 v[42:43], v44
	v_cvt_pk_f32_fp8_sdwa v[64:65], v44 src0_sel:WORD_1
	v_cvt_pk_f32_fp8_sdwa v[66:67], v46 src0_sel:WORD_1
	v_mfma_f32_16x16x16_bf16 v[2:5], v[52:53], v[16:17], v[2:5]
	v_cvt_pk_f32_fp8_e32 v[52:53], v45
	v_perm_b32 v42, v43, v42, s33
	v_perm_b32 v43, v65, v64, s33
	v_cvt_pk_f32_fp8_sdwa v[44:45], v45 src0_sel:WORD_1
	v_cvt_pk_f32_fp8_e32 v[64:65], v46
	v_perm_b32 v52, v53, v52, s33
	v_mfma_f32_16x16x16_bf16 v[2:5], v[42:43], v[6:7], v[2:5]
	v_perm_b32 v53, v45, v44, s33
	v_perm_b32 v64, v65, v64, s33
	;; [unrolled: 1-line block ×3, first 2 shown]
	v_cvt_pk_f32_fp8_e32 v[66:67], v47
	v_cvt_pk_f32_fp8_sdwa v[46:47], v47 src0_sel:WORD_1
	v_mfma_f32_16x16x16_bf16 v[42:45], v[52:53], v[8:9], v[2:5]
	v_lshl_add_u64 v[52:53], s[6:7], 0, v[50:51]
	v_perm_b32 v66, v67, v66, s33
	v_perm_b32 v67, v47, v46, s33
	v_mfma_f32_16x16x16_bf16 v[2:5], v[64:65], v[34:35], 0
	v_cvt_pk_f32_fp8_e32 v[46:47], v48
	v_cvt_pk_f32_fp8_sdwa v[64:65], v48 src0_sel:WORD_1
	v_lshlrev_b32_e32 v50, 5, v55
	v_mfma_f32_16x16x16_bf16 v[2:5], v[66:67], v[36:37], v[2:5]
	v_cvt_pk_f32_fp8_e32 v[66:67], v49
	v_perm_b32 v46, v47, v46, s33
	v_perm_b32 v47, v65, v64, s33
	v_cvt_pk_f32_fp8_sdwa v[48:49], v49 src0_sel:WORD_1
	v_perm_b32 v64, v67, v66, s33
	v_cvt_pk_f32_fp8_e32 v[66:67], v30
	v_mfma_f32_16x16x16_bf16 v[2:5], v[46:47], v[26:27], v[2:5]
	v_perm_b32 v65, v49, v48, s33
	v_perm_b32 v46, v67, v66, s33
	;; [unrolled: 1-line block ×3, first 2 shown]
	v_cvt_pk_f32_fp8_e32 v[48:49], v31
	v_cvt_pk_f32_fp8_sdwa v[30:31], v31 src0_sel:WORD_1
	v_mfma_f32_16x16x16_bf16 v[2:5], v[64:65], v[28:29], v[2:5]
	v_cvt_pk_f32_fp8_sdwa v[64:65], v22 src0_sel:WORD_1
	v_perm_b32 v48, v49, v48, s33
	v_perm_b32 v49, v31, v30, s33
	v_mfma_f32_16x16x16_bf16 v[2:5], v[46:47], v[14:15], v[2:5]
	v_cvt_pk_f32_fp8_e32 v[30:31], v32
	v_cvt_pk_f32_fp8_sdwa v[46:47], v32 src0_sel:WORD_1
	v_cvt_pk_f32_fp8_sdwa v[78:79], v13 src0_sel:WORD_1
	v_mfma_f32_16x16x16_bf16 v[2:5], v[48:49], v[16:17], v[2:5]
	v_cvt_pk_f32_fp8_e32 v[48:49], v33
	v_perm_b32 v30, v31, v30, s33
	v_perm_b32 v31, v47, v46, s33
	v_cvt_pk_f32_fp8_sdwa v[32:33], v33 src0_sel:WORD_1
	v_perm_b32 v46, v49, v48, s33
	v_cvt_pk_f32_fp8_e32 v[48:49], v22
	v_mfma_f32_16x16x16_bf16 v[2:5], v[30:31], v[6:7], v[2:5]
	v_perm_b32 v47, v33, v32, s33
	v_perm_b32 v30, v49, v48, s33
	v_perm_b32 v31, v65, v64, s33
	v_cvt_pk_f32_fp8_e32 v[32:33], v23
	v_cvt_pk_f32_fp8_sdwa v[22:23], v23 src0_sel:WORD_1
	v_mfma_f32_16x16x16_bf16 v[46:49], v[46:47], v[8:9], v[2:5]
	v_lshl_add_u64 v[64:65], v[52:53], 0, v[50:51]
	v_perm_b32 v32, v33, v32, s33
	v_perm_b32 v33, v23, v22, s33
	v_mfma_f32_16x16x16_bf16 v[2:5], v[30:31], v[34:35], 0
	v_cvt_pk_f32_fp8_e32 v[22:23], v24
	v_cvt_pk_f32_fp8_sdwa v[30:31], v24 src0_sel:WORD_1
	s_waitcnt vmcnt(3)
	v_mad_i64_i32 v[66:67], s[6:7], v63, s45, v[64:65]
	v_perm_b32 v22, v23, v22, s33
	v_perm_b32 v23, v31, v30, s33
	v_cvt_pk_f32_fp8_e32 v[30:31], v25
	v_cvt_pk_f32_fp8_sdwa v[24:25], v25 src0_sel:WORD_1
	v_mfma_f32_16x16x16_bf16 v[2:5], v[32:33], v[36:37], v[2:5]
	s_waitcnt vmcnt(2)
	v_mad_i64_i32 v[68:69], s[6:7], v62, s45, v[64:65]
	v_perm_b32 v70, v31, v30, s33
	v_perm_b32 v71, v25, v24, s33
	v_mfma_f32_16x16x16_bf16 v[2:5], v[22:23], v[26:27], v[2:5]
	global_load_dwordx4 v[30:33], v[66:67], off
	global_load_dwordx4 v[22:25], v[68:69], off
	v_cvt_pk_f32_fp8_e32 v[66:67], v10
	s_waitcnt vmcnt(3)
	v_mad_i64_i32 v[68:69], s[6:7], v60, s45, v[64:65]
	v_mfma_f32_16x16x16_bf16 v[2:5], v[70:71], v[28:29], v[2:5]
	v_cvt_pk_f32_fp8_sdwa v[70:71], v10 src0_sel:WORD_1
	v_cvt_pk_f32_fp8_sdwa v[10:11], v11 src0_sel:WORD_1
	v_perm_b32 v66, v67, v66, s33
	s_waitcnt vmcnt(2)
	v_mad_i64_i32 v[74:75], s[6:7], v61, s45, v[64:65]
	v_perm_b32 v67, v71, v70, s33
	v_perm_b32 v70, v73, v72, s33
	;; [unrolled: 1-line block ×3, first 2 shown]
	v_cvt_pk_f32_fp8_e32 v[10:11], v12
	v_cvt_pk_f32_fp8_sdwa v[72:73], v12 src0_sel:WORD_1
	v_mfma_f32_16x16x16_bf16 v[64:67], v[66:67], v[14:15], v[2:5]
	v_or_b32_e32 v50, 0x800, v50
	v_perm_b32 v76, v11, v10, s33
	v_perm_b32 v77, v73, v72, s33
	v_cvt_pk_f32_fp8_e32 v[72:73], v13
	v_mfma_f32_16x16x16_bf16 v[64:67], v[70:71], v[16:17], v[64:67]
	v_lshl_add_u64 v[50:51], v[52:53], 0, v[50:51]
	v_perm_b32 v53, v79, v78, s33
	v_perm_b32 v52, v73, v72, s33
	global_load_dwordx4 v[10:13], v[68:69], off
	global_load_dwordx4 v[2:5], v[74:75], off
	v_mfma_f32_16x16x16_bf16 v[64:67], v[76:77], v[6:7], v[64:67]
	v_cvt_pk_f32_fp8_e32 v[68:69], v38
	v_cvt_pk_f32_fp8_sdwa v[70:71], v38 src0_sel:WORD_1
	v_cvt_pk_f32_fp8_e32 v[72:73], v40
	v_mfma_f32_16x16x16_bf16 v[64:67], v[52:53], v[8:9], v[64:67]
	v_cvt_pk_f32_fp8_e32 v[52:53], v39
	v_perm_b32 v68, v69, v68, s33
	v_perm_b32 v69, v71, v70, s33
	v_cvt_pk_f32_fp8_sdwa v[38:39], v39 src0_sel:WORD_1
	v_perm_b32 v52, v53, v52, s33
	v_cvt_pk_f32_fp8_sdwa v[74:75], v40 src0_sel:WORD_1
	v_mfma_f32_16x16x16_bf16 v[68:71], v[68:69], v[34:35], 0
	v_perm_b32 v53, v39, v38, s33
	v_perm_b32 v38, v73, v72, s33
	;; [unrolled: 1-line block ×3, first 2 shown]
	v_cvt_pk_f32_fp8_e32 v[72:73], v41
	v_cvt_pk_f32_fp8_sdwa v[40:41], v41 src0_sel:WORD_1
	v_mfma_f32_16x16x16_bf16 v[34:37], v[52:53], v[36:37], v[68:71]
	s_load_dword s6, s[40:41], 0x0
	v_perm_b32 v52, v73, v72, s33
	v_perm_b32 v53, v41, v40, s33
	v_mfma_f32_16x16x16_bf16 v[68:71], v[38:39], v[26:27], v[34:37]
	v_cvt_pk_f32_fp8_sdwa v[40:41], v18 src0_sel:WORD_1
	v_mov_b32_e32 v74, s4
	s_waitcnt lgkmcnt(0)
	v_mul_f32_e32 v72, s6, v74
	v_cvt_pk_f32_fp8_e32 v[34:35], v18
	v_pk_mul_f32 v[36:37], v[72:73], v[42:43] op_sel_hi:[0,1]
	v_cvt_pk_f32_fp8_e32 v[42:43], v19
	v_cvt_pk_f32_fp8_sdwa v[18:19], v19 src0_sel:WORD_1
	v_perm_b32 v34, v35, v34, s33
	v_perm_b32 v35, v41, v40, s33
	v_mfma_f32_16x16x16_bf16 v[26:29], v[52:53], v[28:29], v[68:71]
	v_perm_b32 v40, v43, v42, s33
	v_perm_b32 v41, v19, v18, s33
	v_cvt_pk_f32_fp8_e32 v[18:19], v20
	v_cvt_pk_f32_fp8_sdwa v[42:43], v20 src0_sel:WORD_1
	v_mfma_f32_16x16x16_bf16 v[26:29], v[34:35], v[14:15], v[26:29]
	v_cvt_pk_f32_fp8_e32 v[34:35], v21
	v_perm_b32 v18, v19, v18, s33
	v_perm_b32 v19, v43, v42, s33
	v_cvt_pk_f32_fp8_sdwa v[20:21], v21 src0_sel:WORD_1
	v_mfma_f32_16x16x16_bf16 v[14:17], v[40:41], v[16:17], v[26:29]
	s_mov_b32 s40, 0xff7fffff
	v_pk_mul_f32 v[38:39], v[72:73], v[44:45] op_sel_hi:[0,1]
	v_pk_mul_f32 v[52:53], v[72:73], v[46:47] op_sel_hi:[0,1]
	v_perm_b32 v26, v35, v34, s33
	v_perm_b32 v27, v21, v20, s33
	v_mfma_f32_16x16x16_bf16 v[14:17], v[18:19], v[6:7], v[14:17]
	v_pk_mul_f32 v[48:49], v[72:73], v[48:49] op_sel_hi:[0,1]
	v_pk_mul_f32 v[40:41], v[72:73], v[64:65] op_sel_hi:[0,1]
	v_pk_mul_f32 v[44:45], v[72:73], v[66:67] op_sel_hi:[0,1]
	v_mfma_f32_16x16x16_bf16 v[6:9], v[26:27], v[8:9], v[14:17]
	v_mad_i64_i32 v[68:69], s[6:7], v63, s45, v[50:51]
	s_nop 5
	v_pk_mul_f32 v[42:43], v[72:73], v[6:7] op_sel_hi:[0,1]
	v_and_b32_e32 v6, 0xc0, v0
	v_add_u32_e32 v6, s18, v6
	v_lshl_or_b32 v6, v58, 2, v6
	v_pk_mul_f32 v[34:35], v[72:73], v[8:9] op_sel_hi:[0,1]
	v_or_b32_e32 v9, 1, v6
	v_mov_b32_e32 v7, 0xff7fffff
	v_cmp_gt_i32_e64 s[24:25], s5, v6
	v_cmp_gt_i32_e64 s[26:27], s5, v9
	v_or_b32_e32 v14, 3, v6
	v_cndmask_b32_e64 v8, v7, v36, s[24:25]
	v_cndmask_b32_e64 v9, v7, v37, s[26:27]
	v_max3_f32 v8, v8, s40, v9
	v_or_b32_e32 v9, 2, v6
	v_cmp_gt_i32_e64 s[28:29], s5, v9
	v_cmp_gt_i32_e64 s[30:31], s5, v14
	s_nop 0
	v_cndmask_b32_e64 v9, v7, v38, s[28:29]
	v_cndmask_b32_e64 v14, v7, v39, s[30:31]
	v_max3_f32 v8, v8, v9, v14
	v_or_b32_e32 v9, 16, v6
	v_or_b32_e32 v14, 17, v6
	v_cmp_gt_i32_e64 s[34:35], s5, v9
	v_cmp_gt_i32_e64 s[36:37], s5, v14
	s_nop 0
	v_cndmask_b32_e64 v9, v7, v52, s[34:35]
	v_cndmask_b32_e64 v14, v7, v53, s[36:37]
	v_max3_f32 v8, v8, v9, v14
	v_or_b32_e32 v9, 18, v6
	;; [unrolled: 8-line block ×6, first 2 shown]
	v_or_b32_e32 v6, 51, v6
	v_cmp_gt_i32_e32 vcc, s5, v9
	v_cmp_gt_i32_e64 s[4:5], s5, v6
	s_nop 0
	v_cndmask_b32_e32 v9, v7, v34, vcc
	v_cndmask_b32_e64 v6, v7, v35, s[4:5]
	v_max3_f32 v8, v8, v9, v6
	v_mbcnt_lo_u32_b32 v6, -1, 0
	v_mbcnt_hi_u32_b32 v9, -1, v6
	v_and_b32_e32 v6, 64, v9
	v_add_u32_e32 v14, 64, v6
	v_xor_b32_e32 v6, 32, v9
	v_cmp_lt_i32_e64 s[38:39], v6, v14
	s_nop 1
	v_cndmask_b32_e64 v6, v9, v6, s[38:39]
	v_lshlrev_b32_e32 v63, 2, v6
	ds_bpermute_b32 v15, v63, v8
	v_mad_i64_i32 v[6:7], s[38:39], v62, s45, v[50:51]
	global_load_dwordx4 v[26:29], v[68:69], off
	global_load_dwordx4 v[18:21], v[6:7], off
	s_waitcnt lgkmcnt(0)
	v_max_f32_e32 v6, v15, v15
	v_max_f32_e32 v15, v8, v6
	v_xor_b32_e32 v6, 16, v9
	v_cmp_lt_i32_e64 s[38:39], v6, v14
	s_nop 1
	v_cndmask_b32_e64 v6, v9, v6, s[38:39]
	v_lshlrev_b32_e32 v62, 2, v6
	ds_bpermute_b32 v14, v62, v15
	v_mad_i64_i32 v[6:7], s[38:39], v60, s45, v[50:51]
	v_mad_i64_i32 v[8:9], s[38:39], v61, s45, v[50:51]
	s_waitcnt lgkmcnt(0)
	v_max_f32_e32 v14, v14, v14
	v_max_f32_e32 v50, v15, v14
	v_sub_f32_e32 v14, v36, v50
	v_mul_f32_e32 v14, 0x3fb8aa3b, v14
	v_exp_f32_e32 v36, v14
	v_sub_f32_e32 v14, v37, v50
	v_mul_f32_e32 v14, 0x3fb8aa3b, v14
	v_exp_f32_e32 v37, v14
	global_load_dwordx4 v[14:17], v[6:7], off
	s_nop 0
	global_load_dwordx4 v[6:9], v[8:9], off
	v_sub_f32_e32 v38, v38, v50
	v_mul_f32_e32 v38, 0x3fb8aa3b, v38
	v_sub_f32_e32 v39, v39, v50
	v_exp_f32_e32 v38, v38
	v_mul_f32_e32 v39, 0x3fb8aa3b, v39
	v_exp_f32_e32 v39, v39
	v_cndmask_b32_e64 v36, 0, v36, s[24:25]
	v_add_f32_e32 v46, 0, v36
	v_cndmask_b32_e64 v37, 0, v37, s[26:27]
	v_add_f32_e32 v47, v46, v37
	;; [unrolled: 2-line block ×3, first 2 shown]
	v_cndmask_b32_e64 v47, 0, v39, s[30:31]
	v_sub_f32_e32 v39, v52, v50
	v_mul_f32_e32 v39, 0x3fb8aa3b, v39
	v_sub_f32_e32 v51, v53, v50
	v_exp_f32_e32 v39, v39
	v_mul_f32_e32 v51, 0x3fb8aa3b, v51
	v_sub_f32_e32 v48, v48, v50
	v_exp_f32_e32 v51, v51
	;; [unrolled: 3-line block ×4, first 2 shown]
	v_mul_f32_e32 v40, 0x3fb8aa3b, v40
	v_sub_f32_e32 v41, v41, v50
	v_add_f32_e32 v52, v38, v47
	v_cndmask_b32_e64 v38, 0, v39, s[34:35]
	v_exp_f32_e32 v40, v40
	v_mul_f32_e32 v41, 0x3fb8aa3b, v41
	v_sub_f32_e32 v44, v44, v50
	v_add_f32_e32 v52, v52, v38
	v_cndmask_b32_e64 v39, 0, v51, s[36:37]
	v_exp_f32_e32 v41, v41
	;; [unrolled: 5-line block ×7, first 2 shown]
	v_mul_f32_e32 v35, 0x3fb8aa3b, v35
	v_add_f32_e32 v51, v51, v44
	v_cndmask_b32_e64 v45, 0, v45, s[12:13]
	v_exp_f32_e32 v35, v35
	v_add_f32_e32 v51, v51, v45
	v_cndmask_b32_e64 v42, 0, v42, s[6:7]
	v_add_f32_e32 v51, v51, v42
	v_cndmask_b32_e64 v43, 0, v43, s[8:9]
	v_add_f32_e32 v51, v51, v43
	v_cndmask_b32_e32 v34, 0, v34, vcc
	v_add_f32_e32 v51, v51, v34
	v_cndmask_b32_e64 v35, 0, v35, s[4:5]
	v_add_f32_e32 v51, v51, v35
	ds_bpermute_b32 v52, v63, v51
	v_cmp_gt_u32_e32 vcc, 16, v59
	s_waitcnt lgkmcnt(0)
	s_barrier
	v_add_f32_e32 v51, v51, v52
	ds_bpermute_b32 v52, v62, v51
	s_and_saveexec_b64 s[4:5], vcc
	s_cbranch_execz .LBB1393_13
; %bb.12:
	s_waitcnt lgkmcnt(0)
	v_add_f32_e32 v51, v51, v52
	v_lshlrev_b32_e32 v52, 2, v55
	ds_write2st64_b32 v52, v50, v51 offset1:1
.LBB1393_13:
	s_or_b64 exec, exec, s[4:5]
	v_lshlrev_b32_e32 v51, 2, v56
	s_load_dword s6, s[0:1], 0x94
	s_waitcnt lgkmcnt(0)
	s_barrier
	ds_read2_b32 v[52:53], v51 offset1:16
	ds_read2_b32 v[60:61], v51 offset0:32 offset1:48
	ds_read2_b32 v[62:63], v51 offset0:64 offset1:80
	s_movk_i32 s8, 0x7fff
	s_mul_i32 s7, s23, 6
	s_waitcnt lgkmcnt(2)
	v_max3_f32 v50, v52, s40, v53
	s_waitcnt lgkmcnt(1)
	v_max3_f32 v50, v50, v60, v61
	v_sub_f32_e32 v52, v52, v50
	v_mul_f32_e32 v52, 0x3fb8aa3b, v52
	v_exp_f32_e32 v55, v52
	v_sub_f32_e32 v52, v53, v50
	v_mul_f32_e32 v52, 0x3fb8aa3b, v52
	v_exp_f32_e32 v59, v52
	;; [unrolled: 3-line block ×3, first 2 shown]
	ds_read2_b32 v[52:53], v51 offset0:96 offset1:112
	v_sub_f32_e32 v51, v61, v50
	v_mul_f32_e32 v51, 0x3fb8aa3b, v51
	v_exp_f32_e32 v61, v51
	s_waitcnt lgkmcnt(1)
	v_fma_f32 v51, v55, v62, 0
	v_fmac_f32_e32 v51, v59, v63
	s_waitcnt lgkmcnt(0)
	v_fmac_f32_e32 v51, v60, v52
	v_fmac_f32_e32 v51, v61, v53
	v_add_f32_e32 v52, 0x358637bd, v51
	v_div_scale_f32 v53, s[4:5], v52, v52, 1.0
	v_rcp_f32_e32 v62, v53
	s_barrier
	v_fma_f32 v63, -v53, v62, 1.0
	v_fmac_f32_e32 v62, v63, v62
	v_div_scale_f32 v63, vcc, 1.0, v52, 1.0
	v_mul_f32_e32 v64, v63, v62
	v_fma_f32 v65, -v53, v64, v63
	v_fmac_f32_e32 v64, v65, v62
	v_fma_f32 v53, -v53, v64, v63
	v_div_fmas_f32 v53, v53, v62, v64
	v_cmp_eq_u32_e32 vcc, 1, v57
	v_div_fixup_f32 v52, v53, v52, 1.0
	s_nop 0
	v_cndmask_b32_e32 v53, v55, v59, vcc
	v_cmp_eq_u32_e32 vcc, 2, v57
	s_nop 1
	v_cndmask_b32_e32 v53, v53, v60, vcc
	v_cmp_eq_u32_e32 vcc, 3, v57
	s_nop 1
	v_cndmask_b32_e32 v53, v53, v61, vcc
	v_mul_f32_e32 v52, v53, v52
	v_pk_mul_f32 v[36:37], v[52:53], v[36:37] op_sel_hi:[0,1]
	v_pk_mul_f32 v[46:47], v[52:53], v[46:47] op_sel_hi:[0,1]
	v_bfe_u32 v53, v37, 16, 1
	v_bfe_u32 v55, v36, 16, 1
	v_add3_u32 v36, v36, v55, s8
	v_add3_u32 v37, v37, v53, s8
	v_perm_b32 v60, v37, v36, s33
	v_bfe_u32 v36, v47, 16, 1
	v_bfe_u32 v37, v46, 16, 1
	v_add3_u32 v37, v46, v37, s8
	v_add3_u32 v36, v47, v36, s8
	v_perm_b32 v61, v36, v37, s33
	v_lshlrev_b32_e32 v37, 3, v58
	v_lshlrev_b32_e32 v36, 5, v56
	;; [unrolled: 1-line block ×3, first 2 shown]
	v_pk_mul_f32 v[38:39], v[52:53], v[38:39] op_sel_hi:[0,1]
	v_or3_b32 v55, v46, v36, v37
	v_pk_mul_f32 v[46:47], v[52:53], v[48:49] op_sel_hi:[0,1]
	v_bfe_u32 v37, v39, 16, 1
	v_bfe_u32 v48, v38, 16, 1
	v_add3_u32 v38, v38, v48, s8
	v_add3_u32 v37, v39, v37, s8
	v_perm_b32 v38, v37, v38, s33
	v_bfe_u32 v37, v47, 16, 1
	v_bfe_u32 v39, v46, 16, 1
	v_add3_u32 v39, v46, v39, s8
	v_add3_u32 v37, v47, v37, s8
	v_perm_b32 v39, v37, v39, s33
	v_pk_mul_f32 v[40:41], v[52:53], v[40:41] op_sel_hi:[0,1]
	ds_write2st64_b64 v55, v[60:61], v[38:39] offset1:1
	v_pk_mul_f32 v[38:39], v[52:53], v[44:45] op_sel_hi:[0,1]
	v_bfe_u32 v37, v41, 16, 1
	v_bfe_u32 v44, v40, 16, 1
	v_add3_u32 v40, v40, v44, s8
	v_add3_u32 v37, v41, v37, s8
	v_perm_b32 v40, v37, v40, s33
	v_bfe_u32 v37, v39, 16, 1
	v_bfe_u32 v41, v38, 16, 1
	v_add3_u32 v38, v38, v41, s8
	v_add3_u32 v37, v39, v37, s8
	v_perm_b32 v41, v37, v38, s33
	v_pk_mul_f32 v[38:39], v[52:53], v[42:43] op_sel_hi:[0,1]
	v_bfe_u32 v37, v39, 16, 1
	v_bfe_u32 v42, v38, 16, 1
	v_pk_mul_f32 v[34:35], v[52:53], v[34:35] op_sel_hi:[0,1]
	v_add3_u32 v38, v38, v42, s8
	v_add3_u32 v37, v39, v37, s8
	v_perm_b32 v38, v37, v38, s33
	v_bfe_u32 v37, v35, 16, 1
	v_bfe_u32 v39, v34, 16, 1
	v_add3_u32 v34, v34, v39, s8
	v_add3_u32 v35, v35, v37, s8
	v_perm_b32 v39, v35, v34, s33
	v_cmp_gt_u32_e32 vcc, 6, v0
	ds_write2st64_b64 v55, v[40:41], v[38:39] offset0:2 offset1:3
	s_and_saveexec_b64 s[4:5], vcc
	s_cbranch_execz .LBB1393_15
; %bb.14:
	s_mov_b32 s49, 0
	v_mov_b32_e32 v57, 0
	v_lshl_add_u64 v[34:35], s[48:49], 0, v[56:57]
	v_mov_b32_e32 v37, s7
	v_mad_u64_u32 v[34:35], s[10:11], s2, v37, v[34:35]
	s_mul_i32 s3, s3, s7
	v_mov_b32_e32 v38, s22
	v_mov_b32_e32 v39, v57
	s_load_dwordx4 s[12:15], s[0:1], 0x58
	v_add_u32_e32 v37, s3, v35
	v_mad_u64_u32 v[34:35], s[10:11], v34, s6, v[38:39]
	v_mov_b32_e32 v38, v35
	v_mad_u64_u32 v[38:39], s[10:11], v37, s6, v[38:39]
	v_mov_b32_e32 v35, v38
	v_lshlrev_b64 v[34:35], 2, v[34:35]
	s_waitcnt lgkmcnt(0)
	v_lshl_add_u64 v[38:39], s[14:15], 0, v[34:35]
	v_lshl_add_u64 v[34:35], s[12:13], 0, v[34:35]
	global_store_dword v[38:39], v50, off
	global_store_dword v[34:35], v51, off
.LBB1393_15:
	s_or_b64 exec, exec, s[4:5]
	v_lshl_or_b32 v50, v58, 9, v36
	s_waitcnt vmcnt(7)
	v_cvt_pk_f32_fp8_e32 v[34:35], v30
	v_cvt_pk_f32_fp8_sdwa v[36:37], v30 src0_sel:WORD_1
	s_mov_b32 s5, 0x7060302
	s_waitcnt lgkmcnt(0)
	s_barrier
	v_cvt_pk_f32_fp8_e32 v[38:39], v31
	v_perm_b32 v30, v35, v34, s5
	v_cvt_pk_f32_fp8_sdwa v[40:41], v31 src0_sel:WORD_1
	v_perm_b32 v31, v37, v36, s5
	ds_read_b128 v[34:37], v50
	v_perm_b32 v46, v39, v38, s5
	v_perm_b32 v47, v41, v40, s5
	ds_read_b128 v[38:41], v50 offset:16
	v_cvt_pk_f32_fp8_e32 v[48:49], v32
	v_cvt_pk_f32_fp8_sdwa v[52:53], v32 src0_sel:WORD_1
	s_waitcnt lgkmcnt(1)
	v_mfma_f32_16x16x16_bf16 v[42:45], v[30:31], v[34:35], 0
	s_waitcnt vmcnt(6)
	v_cvt_pk_f32_fp8_e32 v[60:61], v24
	v_perm_b32 v30, v49, v48, s5
	v_perm_b32 v31, v53, v52, s5
	v_cvt_pk_f32_fp8_e32 v[48:49], v33
	v_mfma_f32_16x16x16_bf16 v[42:45], v[46:47], v[36:37], v[42:45]
	v_cvt_pk_f32_fp8_sdwa v[46:47], v33 src0_sel:WORD_1
	v_cvt_pk_f32_fp8_sdwa v[62:63], v24 src0_sel:WORD_1
	v_perm_b32 v48, v49, v48, s5
	s_waitcnt lgkmcnt(0)
	v_mfma_f32_16x16x16_bf16 v[30:33], v[30:31], v[38:39], v[42:45]
	v_perm_b32 v49, v47, v46, s5
	s_waitcnt vmcnt(5)
	v_cvt_pk_f32_fp8_e32 v[64:65], v12
	v_cvt_pk_f32_fp8_sdwa v[66:67], v12 src0_sel:WORD_1
	v_cvt_pk_f32_fp8_e32 v[42:43], v22
	v_mfma_f32_16x16x16_bf16 v[46:49], v[48:49], v[40:41], v[30:33]
	s_waitcnt vmcnt(4)
	v_cvt_pk_f32_fp8_sdwa v[68:69], v4 src0_sel:WORD_1
	s_load_dword s4, s[42:43], 0x0
	v_cvt_pk_f32_fp8_sdwa v[30:31], v22 src0_sel:WORD_1
	v_cvt_pk_f32_fp8_e32 v[32:33], v23
	v_perm_b32 v22, v43, v42, s5
	v_cvt_pk_f32_fp8_sdwa v[42:43], v23 src0_sel:WORD_1
	v_perm_b32 v23, v31, v30, s5
	v_perm_b32 v52, v33, v32, s5
	ds_read_b128 v[30:33], v50 offset:2048
	v_perm_b32 v53, v43, v42, s5
	ds_read_b128 v[42:45], v50 offset:2064
	s_waitcnt lgkmcnt(0)
	v_mfma_f32_16x16x16_bf16 v[46:49], v[22:23], v[30:31], v[46:49]
	v_perm_b32 v22, v61, v60, s5
	v_perm_b32 v23, v63, v62, s5
	v_cvt_pk_f32_fp8_e32 v[60:61], v25
	v_mfma_f32_16x16x16_bf16 v[46:49], v[52:53], v[32:33], v[46:49]
	v_cvt_pk_f32_fp8_sdwa v[52:53], v25 src0_sel:WORD_1
	s_waitcnt vmcnt(3)
	v_cvt_pk_f32_fp8_sdwa v[70:71], v28 src0_sel:WORD_1
	v_perm_b32 v60, v61, v60, s5
	v_mfma_f32_16x16x16_bf16 v[22:25], v[22:23], v[42:43], v[46:49]
	v_perm_b32 v61, v53, v52, s5
	s_mov_b32 s3, 0
	v_cmp_gt_u32_e32 vcc, 64, v0
	v_cvt_pk_f32_fp8_e32 v[46:47], v10
	v_mfma_f32_16x16x16_bf16 v[60:63], v[60:61], v[44:45], v[22:25]
	s_nop 2
	v_cvt_pk_f32_fp8_sdwa v[22:23], v10 src0_sel:WORD_1
	v_cvt_pk_f32_fp8_e32 v[24:25], v11
	v_perm_b32 v10, v47, v46, s5
	v_cvt_pk_f32_fp8_sdwa v[46:47], v11 src0_sel:WORD_1
	v_perm_b32 v11, v23, v22, s5
	v_perm_b32 v52, v25, v24, s5
	ds_read_b128 v[22:25], v50 offset:4096
	v_perm_b32 v53, v47, v46, s5
	ds_read_b128 v[46:49], v50 offset:4112
	s_waitcnt lgkmcnt(1)
	v_mfma_f32_16x16x16_bf16 v[60:63], v[10:11], v[22:23], v[60:63]
	v_perm_b32 v10, v65, v64, s5
	v_perm_b32 v11, v67, v66, s5
	v_cvt_pk_f32_fp8_e32 v[64:65], v13
	v_mfma_f32_16x16x16_bf16 v[60:63], v[52:53], v[24:25], v[60:63]
	v_cvt_pk_f32_fp8_sdwa v[52:53], v13 src0_sel:WORD_1
	v_cvt_pk_f32_fp8_e32 v[66:67], v4
	v_perm_b32 v64, v65, v64, s5
	s_waitcnt lgkmcnt(0)
	v_mfma_f32_16x16x16_bf16 v[10:13], v[10:11], v[46:47], v[60:63]
	v_perm_b32 v65, v53, v52, s5
	v_cvt_pk_f32_fp8_e32 v[52:53], v2
	s_nop 0
	v_mfma_f32_16x16x16_bf16 v[60:63], v[64:65], v[48:49], v[10:13]
	s_nop 2
	v_cvt_pk_f32_fp8_sdwa v[10:11], v2 src0_sel:WORD_1
	v_cvt_pk_f32_fp8_e32 v[12:13], v3
	v_perm_b32 v2, v53, v52, s5
	v_cvt_pk_f32_fp8_sdwa v[52:53], v3 src0_sel:WORD_1
	v_perm_b32 v3, v11, v10, s5
	v_perm_b32 v64, v13, v12, s5
	ds_read_b128 v[10:13], v50 offset:6144
	v_perm_b32 v65, v53, v52, s5
	s_waitcnt lgkmcnt(0)
	v_mfma_f32_16x16x16_bf16 v[60:63], v[2:3], v[10:11], v[60:63]
	ds_read_b128 v[50:53], v50 offset:6160
	v_perm_b32 v2, v67, v66, s5
	v_perm_b32 v3, v69, v68, s5
	v_cvt_pk_f32_fp8_e32 v[66:67], v5
	v_mfma_f32_16x16x16_bf16 v[60:63], v[64:65], v[12:13], v[60:63]
	v_cvt_pk_f32_fp8_sdwa v[64:65], v5 src0_sel:WORD_1
	v_cvt_pk_f32_fp8_e32 v[68:69], v28
	v_perm_b32 v66, v67, v66, s5
	s_waitcnt lgkmcnt(0)
	v_mfma_f32_16x16x16_bf16 v[2:5], v[2:3], v[50:51], v[60:63]
	v_perm_b32 v67, v65, v64, s5
	s_barrier
	s_nop 0
	v_mfma_f32_16x16x16_bf16 v[60:63], v[66:67], v[52:53], v[2:5]
	s_nop 2
	v_cvt_pk_f32_fp8_e32 v[4:5], v26
	v_perm_b32 v4, v5, v4, s5
	s_nop 1
	v_pk_mul_f32 v[2:3], v[62:63], s[4:5] op_sel_hi:[1,0]
	v_cvt_pk_f32_fp8_sdwa v[62:63], v26 src0_sel:WORD_1
	v_pk_mul_f32 v[64:65], v[60:61], s[4:5] op_sel_hi:[1,0]
	v_cvt_pk_f32_fp8_e32 v[60:61], v27
	v_cvt_pk_f32_fp8_sdwa v[26:27], v27 src0_sel:WORD_1
	v_perm_b32 v5, v63, v62, s5
	v_bfe_u32 v57, v65, 16, 1
	v_perm_b32 v66, v61, v60, s5
	v_perm_b32 v67, v27, v26, s5
	v_mfma_f32_16x16x16_bf16 v[60:63], v[4:5], v[34:35], 0
	v_perm_b32 v4, v69, v68, s5
	v_perm_b32 v5, v71, v70, s5
	v_cvt_pk_f32_fp8_e32 v[34:35], v29
	v_cvt_pk_f32_fp8_sdwa v[68:69], v29 src0_sel:WORD_1
	v_mfma_f32_16x16x16_bf16 v[26:29], v[66:67], v[36:37], v[60:63]
	s_waitcnt vmcnt(2)
	v_cvt_pk_f32_fp8_sdwa v[36:37], v18 src0_sel:WORD_1
	v_perm_b32 v34, v35, v34, s5
	v_perm_b32 v35, v69, v68, s5
	v_mfma_f32_16x16x16_bf16 v[26:29], v[4:5], v[38:39], v[26:29]
	v_cvt_pk_f32_fp8_e32 v[4:5], v18
	v_cvt_pk_f32_fp8_sdwa v[38:39], v20 src0_sel:WORD_1
	v_bfe_u32 v59, v64, 16, 1
	v_mfma_f32_16x16x16_bf16 v[26:29], v[34:35], v[40:41], v[26:29]
	v_cvt_pk_f32_fp8_e32 v[34:35], v19
	v_perm_b32 v4, v5, v4, s5
	v_perm_b32 v5, v37, v36, s5
	v_cvt_pk_f32_fp8_sdwa v[18:19], v19 src0_sel:WORD_1
	v_perm_b32 v34, v35, v34, s5
	v_cvt_pk_f32_fp8_e32 v[36:37], v20
	v_mfma_f32_16x16x16_bf16 v[26:29], v[4:5], v[30:31], v[26:29]
	v_perm_b32 v35, v19, v18, s5
	v_perm_b32 v4, v37, v36, s5
	;; [unrolled: 1-line block ×3, first 2 shown]
	v_cvt_pk_f32_fp8_e32 v[30:31], v21
	v_cvt_pk_f32_fp8_sdwa v[36:37], v21 src0_sel:WORD_1
	v_mfma_f32_16x16x16_bf16 v[18:21], v[34:35], v[32:33], v[26:29]
	v_add3_u32 v32, v64, v59, s8
	v_add3_u32 v33, v65, v57, s8
	s_nop 0
	v_perm_b32 v26, v31, v30, s5
	v_perm_b32 v27, v37, v36, s5
	v_mfma_f32_16x16x16_bf16 v[18:21], v[4:5], v[42:43], v[18:21]
	s_waitcnt vmcnt(1)
	v_cvt_pk_f32_fp8_e32 v[4:5], v14
	v_cvt_pk_f32_fp8_sdwa v[28:29], v14 src0_sel:WORD_1
	v_cvt_pk_f32_fp8_sdwa v[30:31], v16 src0_sel:WORD_1
	v_mfma_f32_16x16x16_bf16 v[18:21], v[26:27], v[44:45], v[18:21]
	v_cvt_pk_f32_fp8_e32 v[26:27], v15
	v_perm_b32 v4, v5, v4, s5
	v_perm_b32 v5, v29, v28, s5
	v_cvt_pk_f32_fp8_sdwa v[14:15], v15 src0_sel:WORD_1
	v_perm_b32 v26, v27, v26, s5
	v_cvt_pk_f32_fp8_e32 v[28:29], v16
	v_mfma_f32_16x16x16_bf16 v[18:21], v[4:5], v[22:23], v[18:21]
	v_perm_b32 v27, v15, v14, s5
	v_perm_b32 v4, v29, v28, s5
	;; [unrolled: 1-line block ×3, first 2 shown]
	v_cvt_pk_f32_fp8_e32 v[22:23], v17
	v_cvt_pk_f32_fp8_sdwa v[28:29], v17 src0_sel:WORD_1
	v_mfma_f32_16x16x16_bf16 v[14:17], v[26:27], v[24:25], v[18:21]
	s_waitcnt vmcnt(0)
	v_cvt_pk_f32_fp8_sdwa v[24:25], v8 src0_sel:WORD_1
	s_nop 0
	v_perm_b32 v20, v23, v22, s5
	v_perm_b32 v21, v29, v28, s5
	v_mfma_f32_16x16x16_bf16 v[14:17], v[4:5], v[46:47], v[14:17]
	v_cvt_pk_f32_fp8_e32 v[4:5], v6
	v_cvt_pk_f32_fp8_sdwa v[22:23], v6 src0_sel:WORD_1
	v_bfe_u32 v19, v3, 16, 1
	v_mfma_f32_16x16x16_bf16 v[14:17], v[20:21], v[48:49], v[14:17]
	v_cvt_pk_f32_fp8_e32 v[20:21], v7
	v_perm_b32 v4, v5, v4, s5
	v_perm_b32 v5, v23, v22, s5
	v_cvt_pk_f32_fp8_sdwa v[6:7], v7 src0_sel:WORD_1
	v_perm_b32 v20, v21, v20, s5
	v_cvt_pk_f32_fp8_e32 v[22:23], v8
	v_add3_u32 v3, v3, v19, s8
	v_perm_b32 v21, v7, v6, s5
	v_mfma_f32_16x16x16_bf16 v[4:7], v[4:5], v[10:11], v[14:17]
	v_perm_b32 v10, v23, v22, s5
	v_perm_b32 v11, v25, v24, s5
	;; [unrolled: 1-line block ×3, first 2 shown]
	v_cvt_pk_f32_fp8_e32 v[14:15], v9
	v_cvt_pk_f32_fp8_sdwa v[8:9], v9 src0_sel:WORD_1
	v_mfma_f32_16x16x16_bf16 v[4:7], v[20:21], v[12:13], v[4:7]
	v_bfe_u32 v16, v2, 16, 1
	v_perm_b32 v12, v15, v14, s5
	v_perm_b32 v13, v9, v8, s5
	v_mfma_f32_16x16x16_bf16 v[4:7], v[10:11], v[50:51], v[4:7]
	v_add3_u32 v2, v2, v16, s8
	v_perm_b32 v19, v3, v2, s5
	v_mfma_f32_16x16x16_bf16 v[2:5], v[12:13], v[52:53], v[4:7]
	s_nop 6
	v_pk_mul_f32 v[2:3], v[2:3], s[4:5] op_sel_hi:[1,0]
	v_pk_mul_f32 v[4:5], v[4:5], s[4:5] op_sel_hi:[1,0]
	v_bfe_u32 v6, v3, 16, 1
	v_bfe_u32 v7, v2, 16, 1
	v_add3_u32 v2, v2, v7, s8
	v_add3_u32 v3, v3, v6, s8
	v_perm_b32 v2, v3, v2, s5
	v_bfe_u32 v3, v5, 16, 1
	v_bfe_u32 v6, v4, 16, 1
	v_add3_u32 v4, v4, v6, s8
	v_add3_u32 v3, v5, v3, s8
	v_perm_b32 v3, v3, v4, s5
	ds_write2st64_b64 v55, v[18:19], v[2:3] offset1:1
	s_waitcnt lgkmcnt(0)
	s_barrier
	s_and_saveexec_b64 s[4:5], vcc
	s_cbranch_execz .LBB1393_18
; %bb.16:
	s_load_dwordx2 s[4:5], s[0:1], 0x68
	s_lshl_b32 s0, s6, 7
	s_mul_i32 s1, s7, s2
	v_lshlrev_b32_e32 v4, 6, v56
	s_mul_hi_u32 s7, s1, s0
	s_mul_i32 s6, s1, s0
	v_lshl_or_b32 v0, v0, 10, v4
	s_lshl_b64 s[6:7], s[6:7], 1
	v_lshlrev_b32_e32 v3, 5, v58
	v_and_b32_e32 v1, 16, v1
	v_and_b32_e32 v0, 0x1a00, v0
	s_waitcnt lgkmcnt(0)
	s_add_u32 s1, s4, s6
	v_or3_b32 v3, v0, v3, v1
	s_addc_u32 s4, s5, s7
	s_lshl_b32 s2, s22, 7
	s_lshl_b64 s[2:3], s[2:3], 1
	ds_read_b128 v[4:7], v3
	s_add_u32 s2, s1, s2
	s_addc_u32 s3, s4, s3
	v_mov_b32_e32 v55, 0
	v_add_u32_e32 v8, s48, v58
	v_or_b32_e32 v2, 4, v58
	v_lshl_add_u64 v[0:1], s[2:3], 0, v[54:55]
	v_mad_u64_u32 v[8:9], s[2:3], v8, s0, 0
	v_lshl_add_u64 v[8:9], v[8:9], 1, v[0:1]
	v_cmp_gt_u32_e32 vcc, 6, v2
	s_waitcnt lgkmcnt(0)
	global_store_dwordx4 v[8:9], v[4:7], off
	s_and_b64 exec, exec, vcc
	s_cbranch_execz .LBB1393_18
; %bb.17:
	ds_read_b128 v[4:7], v3 offset:128
	v_add_u32_e32 v2, s48, v2
	v_mad_u64_u32 v[2:3], s[0:1], v2, s0, 0
	v_lshl_add_u64 v[0:1], v[2:3], 1, v[0:1]
	s_waitcnt lgkmcnt(0)
	global_store_dwordx4 v[0:1], v[4:7], off
.LBB1393_18:
	s_endpgm
	.section	.rodata,"a",@progbits
	.p2align	6, 0x0
	.amdhsa_kernel _Z39paged_attention_ll4mi_QKV_mfma16_kernelI14__hip_bfloat16hLN4vllm18Fp8KVCacheDataTypeE1ES0_Li32ELi128ELi256ELb0ELi6EEvPKT_PKT0_S8_ifPKiSA_SA_iPKfiiiPfSD_PS3_PT2_iSC_SC_
		.amdhsa_group_segment_fixed_size 8192
		.amdhsa_private_segment_fixed_size 0
		.amdhsa_kernarg_size 400
		.amdhsa_user_sgpr_count 2
		.amdhsa_user_sgpr_dispatch_ptr 0
		.amdhsa_user_sgpr_queue_ptr 0
		.amdhsa_user_sgpr_kernarg_segment_ptr 1
		.amdhsa_user_sgpr_dispatch_id 0
		.amdhsa_user_sgpr_kernarg_preload_length 0
		.amdhsa_user_sgpr_kernarg_preload_offset 0
		.amdhsa_user_sgpr_private_segment_size 0
		.amdhsa_uses_dynamic_stack 0
		.amdhsa_enable_private_segment 0
		.amdhsa_system_sgpr_workgroup_id_x 1
		.amdhsa_system_sgpr_workgroup_id_y 1
		.amdhsa_system_sgpr_workgroup_id_z 1
		.amdhsa_system_sgpr_workgroup_info 0
		.amdhsa_system_vgpr_workitem_id 0
		.amdhsa_next_free_vgpr 80
		.amdhsa_next_free_sgpr 50
		.amdhsa_accum_offset 80
		.amdhsa_reserve_vcc 1
		.amdhsa_float_round_mode_32 0
		.amdhsa_float_round_mode_16_64 0
		.amdhsa_float_denorm_mode_32 3
		.amdhsa_float_denorm_mode_16_64 3
		.amdhsa_dx10_clamp 1
		.amdhsa_ieee_mode 1
		.amdhsa_fp16_overflow 0
		.amdhsa_tg_split 0
		.amdhsa_exception_fp_ieee_invalid_op 0
		.amdhsa_exception_fp_denorm_src 0
		.amdhsa_exception_fp_ieee_div_zero 0
		.amdhsa_exception_fp_ieee_overflow 0
		.amdhsa_exception_fp_ieee_underflow 0
		.amdhsa_exception_fp_ieee_inexact 0
		.amdhsa_exception_int_div_zero 0
	.end_amdhsa_kernel
	.section	.text._Z39paged_attention_ll4mi_QKV_mfma16_kernelI14__hip_bfloat16hLN4vllm18Fp8KVCacheDataTypeE1ES0_Li32ELi128ELi256ELb0ELi6EEvPKT_PKT0_S8_ifPKiSA_SA_iPKfiiiPfSD_PS3_PT2_iSC_SC_,"axG",@progbits,_Z39paged_attention_ll4mi_QKV_mfma16_kernelI14__hip_bfloat16hLN4vllm18Fp8KVCacheDataTypeE1ES0_Li32ELi128ELi256ELb0ELi6EEvPKT_PKT0_S8_ifPKiSA_SA_iPKfiiiPfSD_PS3_PT2_iSC_SC_,comdat
.Lfunc_end1393:
	.size	_Z39paged_attention_ll4mi_QKV_mfma16_kernelI14__hip_bfloat16hLN4vllm18Fp8KVCacheDataTypeE1ES0_Li32ELi128ELi256ELb0ELi6EEvPKT_PKT0_S8_ifPKiSA_SA_iPKfiiiPfSD_PS3_PT2_iSC_SC_, .Lfunc_end1393-_Z39paged_attention_ll4mi_QKV_mfma16_kernelI14__hip_bfloat16hLN4vllm18Fp8KVCacheDataTypeE1ES0_Li32ELi128ELi256ELb0ELi6EEvPKT_PKT0_S8_ifPKiSA_SA_iPKfiiiPfSD_PS3_PT2_iSC_SC_
                                        ; -- End function
	.section	.AMDGPU.csdata,"",@progbits
; Kernel info:
; codeLenInByte = 6384
; NumSgprs: 56
; NumVgprs: 80
; NumAgprs: 0
; TotalNumVgprs: 80
; ScratchSize: 0
; MemoryBound: 0
; FloatMode: 240
; IeeeMode: 1
; LDSByteSize: 8192 bytes/workgroup (compile time only)
; SGPRBlocks: 6
; VGPRBlocks: 9
; NumSGPRsForWavesPerEU: 56
; NumVGPRsForWavesPerEU: 80
; AccumOffset: 80
; Occupancy: 6
; WaveLimiterHint : 1
; COMPUTE_PGM_RSRC2:SCRATCH_EN: 0
; COMPUTE_PGM_RSRC2:USER_SGPR: 2
; COMPUTE_PGM_RSRC2:TRAP_HANDLER: 0
; COMPUTE_PGM_RSRC2:TGID_X_EN: 1
; COMPUTE_PGM_RSRC2:TGID_Y_EN: 1
; COMPUTE_PGM_RSRC2:TGID_Z_EN: 1
; COMPUTE_PGM_RSRC2:TIDIG_COMP_CNT: 0
; COMPUTE_PGM_RSRC3_GFX90A:ACCUM_OFFSET: 19
; COMPUTE_PGM_RSRC3_GFX90A:TG_SPLIT: 0
	.section	.text._Z39paged_attention_ll4mi_QKV_mfma16_kernelI14__hip_bfloat16hLN4vllm18Fp8KVCacheDataTypeE1ES0_Li32ELi128ELi256ELb0ELi7EEvPKT_PKT0_S8_ifPKiSA_SA_iPKfiiiPfSD_PS3_PT2_iSC_SC_,"axG",@progbits,_Z39paged_attention_ll4mi_QKV_mfma16_kernelI14__hip_bfloat16hLN4vllm18Fp8KVCacheDataTypeE1ES0_Li32ELi128ELi256ELb0ELi7EEvPKT_PKT0_S8_ifPKiSA_SA_iPKfiiiPfSD_PS3_PT2_iSC_SC_,comdat
	.protected	_Z39paged_attention_ll4mi_QKV_mfma16_kernelI14__hip_bfloat16hLN4vllm18Fp8KVCacheDataTypeE1ES0_Li32ELi128ELi256ELb0ELi7EEvPKT_PKT0_S8_ifPKiSA_SA_iPKfiiiPfSD_PS3_PT2_iSC_SC_ ; -- Begin function _Z39paged_attention_ll4mi_QKV_mfma16_kernelI14__hip_bfloat16hLN4vllm18Fp8KVCacheDataTypeE1ES0_Li32ELi128ELi256ELb0ELi7EEvPKT_PKT0_S8_ifPKiSA_SA_iPKfiiiPfSD_PS3_PT2_iSC_SC_
	.globl	_Z39paged_attention_ll4mi_QKV_mfma16_kernelI14__hip_bfloat16hLN4vllm18Fp8KVCacheDataTypeE1ES0_Li32ELi128ELi256ELb0ELi7EEvPKT_PKT0_S8_ifPKiSA_SA_iPKfiiiPfSD_PS3_PT2_iSC_SC_
	.p2align	8
	.type	_Z39paged_attention_ll4mi_QKV_mfma16_kernelI14__hip_bfloat16hLN4vllm18Fp8KVCacheDataTypeE1ES0_Li32ELi128ELi256ELb0ELi7EEvPKT_PKT0_S8_ifPKiSA_SA_iPKfiiiPfSD_PS3_PT2_iSC_SC_,@function
_Z39paged_attention_ll4mi_QKV_mfma16_kernelI14__hip_bfloat16hLN4vllm18Fp8KVCacheDataTypeE1ES0_Li32ELi128ELi256ELb0ELi7EEvPKT_PKT0_S8_ifPKiSA_SA_iPKfiiiPfSD_PS3_PT2_iSC_SC_: ; @_Z39paged_attention_ll4mi_QKV_mfma16_kernelI14__hip_bfloat16hLN4vllm18Fp8KVCacheDataTypeE1ES0_Li32ELi128ELi256ELb0ELi7EEvPKT_PKT0_S8_ifPKiSA_SA_iPKfiiiPfSD_PS3_PT2_iSC_SC_
; %bb.0:
	s_load_dwordx2 s[12:13], s[0:1], 0x30
	s_mov_b32 s22, s3
	s_mov_b64 s[6:7], 0
	s_waitcnt lgkmcnt(0)
	s_cmp_lg_u64 s[12:13], 0
	s_cselect_b64 s[14:15], -1, 0
	s_and_b64 vcc, exec, s[14:15]
	s_cbranch_vccz .LBB1394_7
; %bb.1:
	s_add_i32 s8, s2, 1
	s_mov_b32 s9, 0
	s_lshl_b64 s[10:11], s[8:9], 2
	s_add_u32 s10, s12, s10
	s_mov_b32 s3, s9
	s_addc_u32 s11, s13, s11
	s_lshl_b64 s[8:9], s[2:3], 2
	s_add_u32 s8, s12, s8
	s_addc_u32 s9, s13, s9
	s_load_dword s5, s[10:11], 0x0
	s_load_dword s16, s[8:9], 0x0
	s_waitcnt lgkmcnt(0)
	s_sub_i32 s5, s5, s16
	s_cmp_eq_u32 s5, 1
	s_cselect_b64 s[8:9], -1, 0
	s_andn2_b64 vcc, exec, s[6:7]
	s_cbranch_vccnz .LBB1394_3
.LBB1394_2:
	s_mov_b32 s3, 0
	s_mov_b64 s[8:9], -1
.LBB1394_3:
	s_andn2_b64 vcc, exec, s[8:9]
	s_cbranch_vccnz .LBB1394_18
; %bb.4:
	s_load_dwordx2 s[6:7], s[0:1], 0x28
	s_lshl_b64 s[16:17], s[2:3], 2
	s_waitcnt lgkmcnt(0)
	s_add_u32 s6, s6, s16
	s_addc_u32 s7, s7, s17
	s_load_dword s5, s[6:7], 0x0
	s_lshl_b32 s18, s22, 8
	s_waitcnt lgkmcnt(0)
	s_cmp_ge_i32 s18, s5
	s_cbranch_scc1 .LBB1394_18
; %bb.5:
	s_load_dwordx2 s[6:7], s[0:1], 0x20
	s_load_dword s8, s[0:1], 0x38
	s_add_i32 s9, s5, 31
	s_ashr_i32 s10, s9, 31
	v_and_b32_e32 v1, 0xcf, v0
	s_lshr_b32 s10, s10, 27
	v_add_u32_e32 v1, s18, v1
	s_add_i32 s9, s9, s10
	v_ashrrev_i32_e32 v2, 31, v1
	s_ashr_i32 s19, s9, 5
	v_lshrrev_b32_e32 v10, 27, v2
	s_add_i32 s19, s19, -1
	s_waitcnt lgkmcnt(0)
	s_mul_i32 s8, s2, s8
	s_mov_b32 s9, 0
	v_add_u32_e32 v2, v1, v10
	s_lshl_b64 s[8:9], s[8:9], 2
	v_ashrrev_i32_e32 v2, 5, v2
	v_mov_b32_e32 v11, s19
	v_cmp_gt_i32_e32 vcc, s5, v1
	s_add_u32 s6, s6, s8
	s_addc_u32 s7, s7, s9
	v_cndmask_b32_e32 v2, v11, v2, vcc
	v_ashrrev_i32_e32 v3, 31, v2
	v_lshl_add_u64 v[4:5], v[2:3], 2, s[6:7]
	v_or_b32_e32 v2, 16, v1
	v_add_u32_e32 v3, v2, v10
	v_ashrrev_i32_e32 v3, 5, v3
	v_cmp_gt_i32_e32 vcc, s5, v2
	s_load_dwordx4 s[8:11], s[0:1], 0x8
	s_nop 0
	v_cndmask_b32_e32 v2, v11, v3, vcc
	v_ashrrev_i32_e32 v3, 31, v2
	v_lshl_add_u64 v[6:7], v[2:3], 2, s[6:7]
	v_or_b32_e32 v2, 32, v1
	v_add_u32_e32 v3, v2, v10
	v_ashrrev_i32_e32 v3, 5, v3
	v_cmp_gt_i32_e32 vcc, s5, v2
	v_or_b32_e32 v1, 48, v1
	s_nop 0
	v_cndmask_b32_e32 v2, v11, v3, vcc
	v_ashrrev_i32_e32 v3, 31, v2
	v_lshl_add_u64 v[8:9], v[2:3], 2, s[6:7]
	v_add_u32_e32 v2, v1, v10
	v_ashrrev_i32_e32 v2, 5, v2
	v_cmp_gt_i32_e32 vcc, s5, v1
	s_nop 1
	v_cndmask_b32_e32 v2, v11, v2, vcc
	v_ashrrev_i32_e32 v3, 31, v2
	v_lshl_add_u64 v[10:11], v[2:3], 2, s[6:7]
	global_load_dword v2, v[4:5], off
	global_load_dword v14, v[6:7], off
	;; [unrolled: 1-line block ×4, first 2 shown]
	s_andn2_b64 vcc, exec, s[14:15]
	s_cbranch_vccnz .LBB1394_8
; %bb.6:
	s_add_u32 s12, s12, s16
	s_addc_u32 s13, s13, s17
	s_load_dword s14, s[12:13], 0x0
	s_branch .LBB1394_9
.LBB1394_7:
	s_mov_b64 s[8:9], 0
	s_branch .LBB1394_2
.LBB1394_8:
	s_mov_b32 s14, s2
.LBB1394_9:
	s_load_dwordx4 s[44:47], s[0:1], 0x48
	v_lshrrev_b32_e32 v57, 6, v0
	v_bfe_u32 v58, v0, 4, 2
	v_and_b32_e32 v56, 15, v0
	v_lshl_or_b32 v3, v57, 2, v58
	v_lshlrev_b32_e32 v1, 3, v56
	v_and_b32_e32 v59, 63, v0
	s_mul_i32 s48, s4, 7
	v_cmp_gt_u32_e32 vcc, 7, v3
	v_lshlrev_b32_e32 v54, 1, v1
	v_lshlrev_b32_e32 v1, 4, v0
	s_and_saveexec_b64 s[12:13], vcc
	s_cbranch_execz .LBB1394_11
; %bb.10:
	s_load_dwordx2 s[16:17], s[0:1], 0x0
	s_waitcnt lgkmcnt(0)
	s_ashr_i32 s15, s44, 31
	s_mul_hi_u32 s20, s14, s44
	s_mul_i32 s15, s14, s15
	s_add_i32 s15, s20, s15
	s_mul_i32 s14, s14, s44
	s_lshl_b64 s[14:15], s[14:15], 1
	s_add_u32 s14, s16, s14
	v_add_lshl_u32 v4, v3, s48, 7
	s_addc_u32 s15, s17, s15
	v_ashrrev_i32_e32 v5, 31, v4
	v_lshl_add_u64 v[4:5], v[4:5], 1, s[14:15]
	v_mov_b32_e32 v55, 0
	v_lshl_add_u64 v[4:5], v[4:5], 0, v[54:55]
	global_load_dwordx4 v[4:7], v[4:5], off
	v_lshlrev_b32_e32 v9, 8, v0
	v_lshlrev_b32_e32 v8, 8, v56
	v_and_b32_e32 v9, 0x600, v9
	s_movk_i32 s14, 0x800
	v_and_or_b32 v8, v8, s14, v9
	v_lshlrev_b32_e32 v3, 5, v3
	v_and_b32_e32 v9, 16, v1
	v_or3_b32 v3, v8, v3, v9
	s_waitcnt vmcnt(0)
	ds_write_b128 v3, v[4:7]
.LBB1394_11:
	s_or_b64 exec, exec, s[12:13]
	s_waitcnt lgkmcnt(0)
	s_mul_i32 s12, s4, s46
	s_add_u32 s8, s8, s12
	s_addc_u32 s9, s9, 0
	v_mov_b32_e32 v51, 0
	v_mov_b64_e32 v[6:7], s[8:9]
	v_and_b32_e32 v15, 48, v0
	s_waitcnt vmcnt(3)
	v_mad_i64_i32 v[2:3], s[8:9], v2, s45, v[6:7]
	v_lshlrev_b32_e32 v10, 4, v56
	v_mov_b32_e32 v11, v51
	v_lshlrev_b32_e32 v50, 5, v15
	v_lshl_add_u64 v[2:3], v[2:3], 0, v[10:11]
	v_lshl_add_u64 v[8:9], v[2:3], 0, v[50:51]
	s_load_dword s23, s[0:1], 0x98
	s_load_dwordx4 s[40:43], s[0:1], 0x80
	s_waitcnt lgkmcnt(0)
	s_barrier
	global_load_dwordx4 v[2:5], v[8:9], off
	global_load_dwordx4 v[42:45], v[8:9], off offset:2048
	v_mul_lo_u16_e32 v16, 37, v56
	v_mov_b32_e32 v17, 7
	v_mul_lo_u16_sdwa v8, v16, v17 dst_sel:DWORD dst_unused:UNUSED_PAD src0_sel:BYTE_1 src1_sel:DWORD
	v_mov_b32_e32 v20, 5
	v_sub_u16_e32 v8, v56, v8
	s_ashr_i32 s8, s18, 31
	v_lshlrev_b32_sdwa v8, v20, v8 dst_sel:DWORD dst_unused:UNUSED_PAD src0_sel:DWORD src1_sel:BYTE_0
	v_or_b32_e32 v18, 0x100, v10
	v_mov_b32_e32 v19, v51
	s_lshr_b32 s13, s8, 27
	v_lshl_add_u32 v32, v58, 9, v8
	s_waitcnt vmcnt(4)
	v_mad_i64_i32 v[8:9], s[8:9], v14, s45, v[6:7]
	s_waitcnt vmcnt(3)
	v_mad_i64_i32 v[20:21], s[8:9], v12, s45, v[6:7]
	;; [unrolled: 2-line block ×3, first 2 shown]
	v_lshl_add_u64 v[6:7], v[8:9], 0, v[18:19]
	v_lshl_add_u64 v[22:23], v[6:7], 0, v[50:51]
	global_load_dwordx4 v[46:49], v[22:23], off
	v_or_b32_e32 v25, s18, v15
	v_or_b32_e32 v30, 64, v25
	v_add_u32_e32 v33, s13, v25
	v_mov_b32_e32 v24, s19
	v_or_b32_e32 v31, 0x80, v25
	v_add_u32_e32 v39, s13, v30
	v_lshl_add_u64 v[10:11], v[20:21], 0, v[10:11]
	v_ashrrev_i32_e32 v20, 5, v33
	v_cmp_gt_i32_e32 vcc, s5, v25
	v_add_u32_e32 v40, s13, v31
	v_ashrrev_i32_e32 v21, 5, v39
	v_cndmask_b32_e32 v52, v24, v20, vcc
	v_cmp_gt_i32_e32 vcc, s5, v30
	ds_read_b128 v[34:37], v32
	ds_read_b128 v[26:29], v32 offset:16
	ds_read_b128 v[14:17], v32 offset:2048
	;; [unrolled: 1-line block ×3, first 2 shown]
	v_ashrrev_i32_e32 v32, 5, v40
	v_cndmask_b32_e32 v60, v24, v21, vcc
	v_cmp_gt_i32_e32 vcc, s5, v31
	v_or_b32_e32 v38, 0xc0, v25
	v_add_u32_e32 v41, s13, v38
	v_cndmask_b32_e32 v62, v24, v32, vcc
	global_load_dwordx4 v[30:33], v[22:23], off offset:2048
	v_lshl_add_u64 v[12:13], v[12:13], 0, v[18:19]
	v_ashrrev_i32_e32 v39, 5, v41
	v_lshl_add_u64 v[10:11], v[10:11], 0, v[50:51]
	v_lshl_add_u64 v[18:19], v[12:13], 0, v[50:51]
	v_cmp_gt_i32_e32 vcc, s5, v38
	v_ashrrev_i32_e32 v63, 31, v62
	v_lshl_add_u64 v[66:67], v[62:63], 2, s[6:7]
	v_cndmask_b32_e32 v64, v24, v39, vcc
	global_load_dwordx4 v[22:25], v[10:11], off
	s_nop 0
	global_load_dwordx4 v[10:13], v[10:11], off offset:2048
	s_nop 0
	global_load_dwordx4 v[38:41], v[18:19], off
	s_nop 0
	global_load_dwordx4 v[18:21], v[18:19], off offset:2048
	s_mov_b32 s33, 0x7060302
	v_ashrrev_i32_e32 v53, 31, v52
	v_ashrrev_i32_e32 v61, 31, v60
	;; [unrolled: 1-line block ×3, first 2 shown]
	v_lshl_add_u64 v[52:53], v[52:53], 2, s[6:7]
	v_lshl_add_u64 v[60:61], v[60:61], 2, s[6:7]
	;; [unrolled: 1-line block ×3, first 2 shown]
	s_add_u32 s6, s10, s12
	s_addc_u32 s7, s11, 0
	v_and_b32_e32 v50, 16, v0
	v_lshl_or_b32 v55, v57, 4, v56
	s_load_dword s4, s[0:1], 0x1c
	s_waitcnt vmcnt(7)
	v_cvt_pk_f32_fp8_e32 v[62:63], v2
	v_cvt_pk_f32_fp8_sdwa v[68:69], v2 src0_sel:WORD_1
	v_cvt_pk_f32_fp8_e32 v[70:71], v3
	v_cvt_pk_f32_fp8_sdwa v[2:3], v3 src0_sel:WORD_1
	v_perm_b32 v72, v63, v62, s33
	v_perm_b32 v73, v69, v68, s33
	global_load_dword v63, v[52:53], off
	global_load_dword v62, v[60:61], off
	s_nop 0
	global_load_dword v60, v[66:67], off
	global_load_dword v61, v[64:65], off
	v_perm_b32 v52, v71, v70, s33
	v_perm_b32 v53, v3, v2, s33
	v_cvt_pk_f32_fp8_e32 v[2:3], v4
	v_cvt_pk_f32_fp8_sdwa v[68:69], v4 src0_sel:WORD_1
	s_waitcnt lgkmcnt(0)
	v_mfma_f32_16x16x16_bf16 v[64:67], v[72:73], v[34:35], 0
	v_cvt_pk_f32_fp8_e32 v[70:71], v5
	v_perm_b32 v2, v3, v2, s33
	v_perm_b32 v3, v69, v68, s33
	v_cvt_pk_f32_fp8_sdwa v[4:5], v5 src0_sel:WORD_1
	v_mfma_f32_16x16x16_bf16 v[64:67], v[52:53], v[36:37], v[64:67]
	v_perm_b32 v52, v71, v70, s33
	s_waitcnt vmcnt(10)
	v_cvt_pk_f32_fp8_e32 v[68:69], v42
	v_cvt_pk_f32_fp8_sdwa v[70:71], v42 src0_sel:WORD_1
	v_perm_b32 v53, v5, v4, s33
	v_mfma_f32_16x16x16_bf16 v[2:5], v[2:3], v[26:27], v[64:67]
	s_waitcnt vmcnt(6)
	v_cvt_pk_f32_fp8_e32 v[72:73], v11
	s_nop 0
	v_perm_b32 v64, v69, v68, s33
	v_perm_b32 v65, v71, v70, s33
	v_cvt_pk_f32_fp8_e32 v[66:67], v43
	v_cvt_pk_f32_fp8_sdwa v[42:43], v43 src0_sel:WORD_1
	v_mfma_f32_16x16x16_bf16 v[2:5], v[52:53], v[28:29], v[2:5]
	v_cvt_pk_f32_fp8_sdwa v[68:69], v30 src0_sel:WORD_1
	v_perm_b32 v52, v67, v66, s33
	v_perm_b32 v53, v43, v42, s33
	v_mfma_f32_16x16x16_bf16 v[2:5], v[64:65], v[14:15], v[2:5]
	v_cvt_pk_f32_fp8_e32 v[42:43], v44
	v_cvt_pk_f32_fp8_sdwa v[64:65], v44 src0_sel:WORD_1
	v_cvt_pk_f32_fp8_sdwa v[66:67], v46 src0_sel:WORD_1
	v_mfma_f32_16x16x16_bf16 v[2:5], v[52:53], v[16:17], v[2:5]
	v_cvt_pk_f32_fp8_e32 v[52:53], v45
	v_perm_b32 v42, v43, v42, s33
	v_perm_b32 v43, v65, v64, s33
	v_cvt_pk_f32_fp8_sdwa v[44:45], v45 src0_sel:WORD_1
	v_cvt_pk_f32_fp8_e32 v[64:65], v46
	v_perm_b32 v52, v53, v52, s33
	v_mfma_f32_16x16x16_bf16 v[2:5], v[42:43], v[6:7], v[2:5]
	v_perm_b32 v53, v45, v44, s33
	v_perm_b32 v64, v65, v64, s33
	;; [unrolled: 1-line block ×3, first 2 shown]
	v_cvt_pk_f32_fp8_e32 v[66:67], v47
	v_cvt_pk_f32_fp8_sdwa v[46:47], v47 src0_sel:WORD_1
	v_mfma_f32_16x16x16_bf16 v[42:45], v[52:53], v[8:9], v[2:5]
	v_lshl_add_u64 v[52:53], s[6:7], 0, v[50:51]
	v_perm_b32 v66, v67, v66, s33
	v_perm_b32 v67, v47, v46, s33
	v_mfma_f32_16x16x16_bf16 v[2:5], v[64:65], v[34:35], 0
	v_cvt_pk_f32_fp8_e32 v[46:47], v48
	v_cvt_pk_f32_fp8_sdwa v[64:65], v48 src0_sel:WORD_1
	v_lshlrev_b32_e32 v50, 5, v55
	v_mfma_f32_16x16x16_bf16 v[2:5], v[66:67], v[36:37], v[2:5]
	v_cvt_pk_f32_fp8_e32 v[66:67], v49
	v_perm_b32 v46, v47, v46, s33
	v_perm_b32 v47, v65, v64, s33
	v_cvt_pk_f32_fp8_sdwa v[48:49], v49 src0_sel:WORD_1
	v_perm_b32 v64, v67, v66, s33
	v_cvt_pk_f32_fp8_e32 v[66:67], v30
	v_mfma_f32_16x16x16_bf16 v[2:5], v[46:47], v[26:27], v[2:5]
	v_perm_b32 v65, v49, v48, s33
	v_perm_b32 v46, v67, v66, s33
	;; [unrolled: 1-line block ×3, first 2 shown]
	v_cvt_pk_f32_fp8_e32 v[48:49], v31
	v_cvt_pk_f32_fp8_sdwa v[30:31], v31 src0_sel:WORD_1
	v_mfma_f32_16x16x16_bf16 v[2:5], v[64:65], v[28:29], v[2:5]
	v_cvt_pk_f32_fp8_sdwa v[64:65], v22 src0_sel:WORD_1
	v_perm_b32 v48, v49, v48, s33
	v_perm_b32 v49, v31, v30, s33
	v_mfma_f32_16x16x16_bf16 v[2:5], v[46:47], v[14:15], v[2:5]
	v_cvt_pk_f32_fp8_e32 v[30:31], v32
	v_cvt_pk_f32_fp8_sdwa v[46:47], v32 src0_sel:WORD_1
	v_cvt_pk_f32_fp8_sdwa v[78:79], v13 src0_sel:WORD_1
	v_mfma_f32_16x16x16_bf16 v[2:5], v[48:49], v[16:17], v[2:5]
	v_cvt_pk_f32_fp8_e32 v[48:49], v33
	v_perm_b32 v30, v31, v30, s33
	v_perm_b32 v31, v47, v46, s33
	v_cvt_pk_f32_fp8_sdwa v[32:33], v33 src0_sel:WORD_1
	v_perm_b32 v46, v49, v48, s33
	v_cvt_pk_f32_fp8_e32 v[48:49], v22
	v_mfma_f32_16x16x16_bf16 v[2:5], v[30:31], v[6:7], v[2:5]
	v_perm_b32 v47, v33, v32, s33
	v_perm_b32 v30, v49, v48, s33
	;; [unrolled: 1-line block ×3, first 2 shown]
	v_cvt_pk_f32_fp8_e32 v[32:33], v23
	v_cvt_pk_f32_fp8_sdwa v[22:23], v23 src0_sel:WORD_1
	v_mfma_f32_16x16x16_bf16 v[46:49], v[46:47], v[8:9], v[2:5]
	v_lshl_add_u64 v[64:65], v[52:53], 0, v[50:51]
	v_perm_b32 v32, v33, v32, s33
	v_perm_b32 v33, v23, v22, s33
	v_mfma_f32_16x16x16_bf16 v[2:5], v[30:31], v[34:35], 0
	v_cvt_pk_f32_fp8_e32 v[22:23], v24
	v_cvt_pk_f32_fp8_sdwa v[30:31], v24 src0_sel:WORD_1
	s_waitcnt vmcnt(3)
	v_mad_i64_i32 v[66:67], s[6:7], v63, s45, v[64:65]
	v_perm_b32 v22, v23, v22, s33
	v_perm_b32 v23, v31, v30, s33
	v_cvt_pk_f32_fp8_e32 v[30:31], v25
	v_cvt_pk_f32_fp8_sdwa v[24:25], v25 src0_sel:WORD_1
	v_mfma_f32_16x16x16_bf16 v[2:5], v[32:33], v[36:37], v[2:5]
	s_waitcnt vmcnt(2)
	v_mad_i64_i32 v[68:69], s[6:7], v62, s45, v[64:65]
	v_perm_b32 v70, v31, v30, s33
	v_perm_b32 v71, v25, v24, s33
	v_mfma_f32_16x16x16_bf16 v[2:5], v[22:23], v[26:27], v[2:5]
	global_load_dwordx4 v[30:33], v[66:67], off
	global_load_dwordx4 v[22:25], v[68:69], off
	v_cvt_pk_f32_fp8_e32 v[66:67], v10
	s_waitcnt vmcnt(3)
	v_mad_i64_i32 v[68:69], s[6:7], v60, s45, v[64:65]
	v_mfma_f32_16x16x16_bf16 v[2:5], v[70:71], v[28:29], v[2:5]
	v_cvt_pk_f32_fp8_sdwa v[70:71], v10 src0_sel:WORD_1
	v_cvt_pk_f32_fp8_sdwa v[10:11], v11 src0_sel:WORD_1
	v_perm_b32 v66, v67, v66, s33
	s_waitcnt vmcnt(2)
	v_mad_i64_i32 v[74:75], s[6:7], v61, s45, v[64:65]
	v_perm_b32 v67, v71, v70, s33
	v_perm_b32 v70, v73, v72, s33
	;; [unrolled: 1-line block ×3, first 2 shown]
	v_cvt_pk_f32_fp8_e32 v[10:11], v12
	v_cvt_pk_f32_fp8_sdwa v[72:73], v12 src0_sel:WORD_1
	v_mfma_f32_16x16x16_bf16 v[64:67], v[66:67], v[14:15], v[2:5]
	v_or_b32_e32 v50, 0x800, v50
	v_perm_b32 v76, v11, v10, s33
	v_perm_b32 v77, v73, v72, s33
	v_cvt_pk_f32_fp8_e32 v[72:73], v13
	v_mfma_f32_16x16x16_bf16 v[64:67], v[70:71], v[16:17], v[64:67]
	v_lshl_add_u64 v[50:51], v[52:53], 0, v[50:51]
	v_perm_b32 v53, v79, v78, s33
	v_perm_b32 v52, v73, v72, s33
	global_load_dwordx4 v[10:13], v[68:69], off
	global_load_dwordx4 v[2:5], v[74:75], off
	v_mfma_f32_16x16x16_bf16 v[64:67], v[76:77], v[6:7], v[64:67]
	v_cvt_pk_f32_fp8_e32 v[68:69], v38
	v_cvt_pk_f32_fp8_sdwa v[70:71], v38 src0_sel:WORD_1
	v_cvt_pk_f32_fp8_e32 v[72:73], v40
	v_mfma_f32_16x16x16_bf16 v[64:67], v[52:53], v[8:9], v[64:67]
	v_cvt_pk_f32_fp8_e32 v[52:53], v39
	v_perm_b32 v68, v69, v68, s33
	v_perm_b32 v69, v71, v70, s33
	v_cvt_pk_f32_fp8_sdwa v[38:39], v39 src0_sel:WORD_1
	v_perm_b32 v52, v53, v52, s33
	v_cvt_pk_f32_fp8_sdwa v[74:75], v40 src0_sel:WORD_1
	v_mfma_f32_16x16x16_bf16 v[68:71], v[68:69], v[34:35], 0
	v_perm_b32 v53, v39, v38, s33
	v_perm_b32 v38, v73, v72, s33
	v_perm_b32 v39, v75, v74, s33
	v_cvt_pk_f32_fp8_e32 v[72:73], v41
	v_cvt_pk_f32_fp8_sdwa v[40:41], v41 src0_sel:WORD_1
	v_mfma_f32_16x16x16_bf16 v[34:37], v[52:53], v[36:37], v[68:71]
	s_load_dword s6, s[40:41], 0x0
	v_perm_b32 v52, v73, v72, s33
	v_perm_b32 v53, v41, v40, s33
	v_mfma_f32_16x16x16_bf16 v[68:71], v[38:39], v[26:27], v[34:37]
	v_cvt_pk_f32_fp8_sdwa v[40:41], v18 src0_sel:WORD_1
	v_mov_b32_e32 v74, s4
	s_waitcnt lgkmcnt(0)
	v_mul_f32_e32 v72, s6, v74
	v_cvt_pk_f32_fp8_e32 v[34:35], v18
	v_pk_mul_f32 v[36:37], v[72:73], v[42:43] op_sel_hi:[0,1]
	v_cvt_pk_f32_fp8_e32 v[42:43], v19
	v_cvt_pk_f32_fp8_sdwa v[18:19], v19 src0_sel:WORD_1
	v_perm_b32 v34, v35, v34, s33
	v_perm_b32 v35, v41, v40, s33
	v_mfma_f32_16x16x16_bf16 v[26:29], v[52:53], v[28:29], v[68:71]
	v_perm_b32 v40, v43, v42, s33
	v_perm_b32 v41, v19, v18, s33
	v_cvt_pk_f32_fp8_e32 v[18:19], v20
	v_cvt_pk_f32_fp8_sdwa v[42:43], v20 src0_sel:WORD_1
	v_mfma_f32_16x16x16_bf16 v[26:29], v[34:35], v[14:15], v[26:29]
	v_cvt_pk_f32_fp8_e32 v[34:35], v21
	v_perm_b32 v18, v19, v18, s33
	v_perm_b32 v19, v43, v42, s33
	v_cvt_pk_f32_fp8_sdwa v[20:21], v21 src0_sel:WORD_1
	v_mfma_f32_16x16x16_bf16 v[14:17], v[40:41], v[16:17], v[26:29]
	s_mov_b32 s40, 0xff7fffff
	v_pk_mul_f32 v[38:39], v[72:73], v[44:45] op_sel_hi:[0,1]
	v_pk_mul_f32 v[52:53], v[72:73], v[46:47] op_sel_hi:[0,1]
	v_perm_b32 v26, v35, v34, s33
	v_perm_b32 v27, v21, v20, s33
	v_mfma_f32_16x16x16_bf16 v[14:17], v[18:19], v[6:7], v[14:17]
	v_pk_mul_f32 v[48:49], v[72:73], v[48:49] op_sel_hi:[0,1]
	v_pk_mul_f32 v[40:41], v[72:73], v[64:65] op_sel_hi:[0,1]
	;; [unrolled: 1-line block ×3, first 2 shown]
	v_mfma_f32_16x16x16_bf16 v[6:9], v[26:27], v[8:9], v[14:17]
	v_mad_i64_i32 v[68:69], s[6:7], v63, s45, v[50:51]
	s_nop 5
	v_pk_mul_f32 v[42:43], v[72:73], v[6:7] op_sel_hi:[0,1]
	v_and_b32_e32 v6, 0xc0, v0
	v_add_u32_e32 v6, s18, v6
	v_lshl_or_b32 v6, v58, 2, v6
	v_pk_mul_f32 v[34:35], v[72:73], v[8:9] op_sel_hi:[0,1]
	v_or_b32_e32 v9, 1, v6
	v_mov_b32_e32 v7, 0xff7fffff
	v_cmp_gt_i32_e64 s[24:25], s5, v6
	v_cmp_gt_i32_e64 s[26:27], s5, v9
	v_or_b32_e32 v14, 3, v6
	v_cndmask_b32_e64 v8, v7, v36, s[24:25]
	v_cndmask_b32_e64 v9, v7, v37, s[26:27]
	v_max3_f32 v8, v8, s40, v9
	v_or_b32_e32 v9, 2, v6
	v_cmp_gt_i32_e64 s[28:29], s5, v9
	v_cmp_gt_i32_e64 s[30:31], s5, v14
	s_nop 0
	v_cndmask_b32_e64 v9, v7, v38, s[28:29]
	v_cndmask_b32_e64 v14, v7, v39, s[30:31]
	v_max3_f32 v8, v8, v9, v14
	v_or_b32_e32 v9, 16, v6
	v_or_b32_e32 v14, 17, v6
	v_cmp_gt_i32_e64 s[34:35], s5, v9
	v_cmp_gt_i32_e64 s[36:37], s5, v14
	s_nop 0
	v_cndmask_b32_e64 v9, v7, v52, s[34:35]
	v_cndmask_b32_e64 v14, v7, v53, s[36:37]
	v_max3_f32 v8, v8, v9, v14
	v_or_b32_e32 v9, 18, v6
	;; [unrolled: 8-line block ×6, first 2 shown]
	v_or_b32_e32 v6, 51, v6
	v_cmp_gt_i32_e32 vcc, s5, v9
	v_cmp_gt_i32_e64 s[4:5], s5, v6
	s_nop 0
	v_cndmask_b32_e32 v9, v7, v34, vcc
	v_cndmask_b32_e64 v6, v7, v35, s[4:5]
	v_max3_f32 v8, v8, v9, v6
	v_mbcnt_lo_u32_b32 v6, -1, 0
	v_mbcnt_hi_u32_b32 v9, -1, v6
	v_and_b32_e32 v6, 64, v9
	v_add_u32_e32 v14, 64, v6
	v_xor_b32_e32 v6, 32, v9
	v_cmp_lt_i32_e64 s[38:39], v6, v14
	s_nop 1
	v_cndmask_b32_e64 v6, v9, v6, s[38:39]
	v_lshlrev_b32_e32 v63, 2, v6
	ds_bpermute_b32 v15, v63, v8
	v_mad_i64_i32 v[6:7], s[38:39], v62, s45, v[50:51]
	global_load_dwordx4 v[26:29], v[68:69], off
	global_load_dwordx4 v[18:21], v[6:7], off
	s_waitcnt lgkmcnt(0)
	v_max_f32_e32 v6, v15, v15
	v_max_f32_e32 v15, v8, v6
	v_xor_b32_e32 v6, 16, v9
	v_cmp_lt_i32_e64 s[38:39], v6, v14
	s_nop 1
	v_cndmask_b32_e64 v6, v9, v6, s[38:39]
	v_lshlrev_b32_e32 v62, 2, v6
	ds_bpermute_b32 v14, v62, v15
	v_mad_i64_i32 v[6:7], s[38:39], v60, s45, v[50:51]
	v_mad_i64_i32 v[8:9], s[38:39], v61, s45, v[50:51]
	s_waitcnt lgkmcnt(0)
	v_max_f32_e32 v14, v14, v14
	v_max_f32_e32 v50, v15, v14
	v_sub_f32_e32 v14, v36, v50
	v_mul_f32_e32 v14, 0x3fb8aa3b, v14
	v_exp_f32_e32 v36, v14
	v_sub_f32_e32 v14, v37, v50
	v_mul_f32_e32 v14, 0x3fb8aa3b, v14
	v_exp_f32_e32 v37, v14
	global_load_dwordx4 v[14:17], v[6:7], off
	s_nop 0
	global_load_dwordx4 v[6:9], v[8:9], off
	v_sub_f32_e32 v38, v38, v50
	v_mul_f32_e32 v38, 0x3fb8aa3b, v38
	v_sub_f32_e32 v39, v39, v50
	v_exp_f32_e32 v38, v38
	v_mul_f32_e32 v39, 0x3fb8aa3b, v39
	v_exp_f32_e32 v39, v39
	v_cndmask_b32_e64 v36, 0, v36, s[24:25]
	v_add_f32_e32 v46, 0, v36
	v_cndmask_b32_e64 v37, 0, v37, s[26:27]
	v_add_f32_e32 v47, v46, v37
	;; [unrolled: 2-line block ×3, first 2 shown]
	v_cndmask_b32_e64 v47, 0, v39, s[30:31]
	v_sub_f32_e32 v39, v52, v50
	v_mul_f32_e32 v39, 0x3fb8aa3b, v39
	v_sub_f32_e32 v51, v53, v50
	v_exp_f32_e32 v39, v39
	v_mul_f32_e32 v51, 0x3fb8aa3b, v51
	v_sub_f32_e32 v48, v48, v50
	v_exp_f32_e32 v51, v51
	;; [unrolled: 3-line block ×4, first 2 shown]
	v_mul_f32_e32 v40, 0x3fb8aa3b, v40
	v_sub_f32_e32 v41, v41, v50
	v_add_f32_e32 v52, v38, v47
	v_cndmask_b32_e64 v38, 0, v39, s[34:35]
	v_exp_f32_e32 v40, v40
	v_mul_f32_e32 v41, 0x3fb8aa3b, v41
	v_sub_f32_e32 v44, v44, v50
	v_add_f32_e32 v52, v52, v38
	v_cndmask_b32_e64 v39, 0, v51, s[36:37]
	v_exp_f32_e32 v41, v41
	;; [unrolled: 5-line block ×7, first 2 shown]
	v_mul_f32_e32 v35, 0x3fb8aa3b, v35
	v_add_f32_e32 v51, v51, v44
	v_cndmask_b32_e64 v45, 0, v45, s[12:13]
	v_exp_f32_e32 v35, v35
	v_add_f32_e32 v51, v51, v45
	v_cndmask_b32_e64 v42, 0, v42, s[6:7]
	v_add_f32_e32 v51, v51, v42
	v_cndmask_b32_e64 v43, 0, v43, s[8:9]
	v_add_f32_e32 v51, v51, v43
	v_cndmask_b32_e32 v34, 0, v34, vcc
	v_add_f32_e32 v51, v51, v34
	v_cndmask_b32_e64 v35, 0, v35, s[4:5]
	v_add_f32_e32 v51, v51, v35
	ds_bpermute_b32 v52, v63, v51
	v_cmp_gt_u32_e32 vcc, 16, v59
	s_waitcnt lgkmcnt(0)
	s_barrier
	v_add_f32_e32 v51, v51, v52
	ds_bpermute_b32 v52, v62, v51
	s_and_saveexec_b64 s[4:5], vcc
	s_cbranch_execz .LBB1394_13
; %bb.12:
	s_waitcnt lgkmcnt(0)
	v_add_f32_e32 v51, v51, v52
	v_lshlrev_b32_e32 v52, 2, v55
	ds_write2st64_b32 v52, v50, v51 offset1:1
.LBB1394_13:
	s_or_b64 exec, exec, s[4:5]
	v_lshlrev_b32_e32 v51, 2, v56
	s_load_dword s6, s[0:1], 0x94
	s_waitcnt lgkmcnt(0)
	s_barrier
	ds_read2_b32 v[52:53], v51 offset1:16
	ds_read2_b32 v[60:61], v51 offset0:32 offset1:48
	ds_read2_b32 v[62:63], v51 offset0:64 offset1:80
	s_movk_i32 s8, 0x7fff
	s_mul_i32 s7, s23, 7
	s_waitcnt lgkmcnt(2)
	v_max3_f32 v50, v52, s40, v53
	s_waitcnt lgkmcnt(1)
	v_max3_f32 v50, v50, v60, v61
	v_sub_f32_e32 v52, v52, v50
	v_mul_f32_e32 v52, 0x3fb8aa3b, v52
	v_exp_f32_e32 v55, v52
	v_sub_f32_e32 v52, v53, v50
	v_mul_f32_e32 v52, 0x3fb8aa3b, v52
	v_exp_f32_e32 v59, v52
	;; [unrolled: 3-line block ×3, first 2 shown]
	ds_read2_b32 v[52:53], v51 offset0:96 offset1:112
	v_sub_f32_e32 v51, v61, v50
	v_mul_f32_e32 v51, 0x3fb8aa3b, v51
	v_exp_f32_e32 v61, v51
	s_waitcnt lgkmcnt(1)
	v_fma_f32 v51, v55, v62, 0
	v_fmac_f32_e32 v51, v59, v63
	s_waitcnt lgkmcnt(0)
	v_fmac_f32_e32 v51, v60, v52
	v_fmac_f32_e32 v51, v61, v53
	v_add_f32_e32 v52, 0x358637bd, v51
	v_div_scale_f32 v53, s[4:5], v52, v52, 1.0
	v_rcp_f32_e32 v62, v53
	s_barrier
	v_fma_f32 v63, -v53, v62, 1.0
	v_fmac_f32_e32 v62, v63, v62
	v_div_scale_f32 v63, vcc, 1.0, v52, 1.0
	v_mul_f32_e32 v64, v63, v62
	v_fma_f32 v65, -v53, v64, v63
	v_fmac_f32_e32 v64, v65, v62
	v_fma_f32 v53, -v53, v64, v63
	v_div_fmas_f32 v53, v53, v62, v64
	v_cmp_eq_u32_e32 vcc, 1, v57
	v_div_fixup_f32 v52, v53, v52, 1.0
	s_nop 0
	v_cndmask_b32_e32 v53, v55, v59, vcc
	v_cmp_eq_u32_e32 vcc, 2, v57
	s_nop 1
	v_cndmask_b32_e32 v53, v53, v60, vcc
	v_cmp_eq_u32_e32 vcc, 3, v57
	s_nop 1
	v_cndmask_b32_e32 v53, v53, v61, vcc
	v_mul_f32_e32 v52, v53, v52
	v_pk_mul_f32 v[36:37], v[52:53], v[36:37] op_sel_hi:[0,1]
	v_pk_mul_f32 v[46:47], v[52:53], v[46:47] op_sel_hi:[0,1]
	v_bfe_u32 v53, v37, 16, 1
	v_bfe_u32 v55, v36, 16, 1
	v_add3_u32 v36, v36, v55, s8
	v_add3_u32 v37, v37, v53, s8
	v_perm_b32 v60, v37, v36, s33
	v_bfe_u32 v36, v47, 16, 1
	v_bfe_u32 v37, v46, 16, 1
	v_add3_u32 v37, v46, v37, s8
	v_add3_u32 v36, v47, v36, s8
	v_perm_b32 v61, v36, v37, s33
	v_lshlrev_b32_e32 v37, 3, v58
	v_lshlrev_b32_e32 v36, 5, v56
	;; [unrolled: 1-line block ×3, first 2 shown]
	v_pk_mul_f32 v[38:39], v[52:53], v[38:39] op_sel_hi:[0,1]
	v_or3_b32 v55, v46, v36, v37
	v_pk_mul_f32 v[46:47], v[52:53], v[48:49] op_sel_hi:[0,1]
	v_bfe_u32 v37, v39, 16, 1
	v_bfe_u32 v48, v38, 16, 1
	v_add3_u32 v38, v38, v48, s8
	v_add3_u32 v37, v39, v37, s8
	v_perm_b32 v38, v37, v38, s33
	v_bfe_u32 v37, v47, 16, 1
	v_bfe_u32 v39, v46, 16, 1
	v_add3_u32 v39, v46, v39, s8
	v_add3_u32 v37, v47, v37, s8
	v_perm_b32 v39, v37, v39, s33
	v_pk_mul_f32 v[40:41], v[52:53], v[40:41] op_sel_hi:[0,1]
	ds_write2st64_b64 v55, v[60:61], v[38:39] offset1:1
	v_pk_mul_f32 v[38:39], v[52:53], v[44:45] op_sel_hi:[0,1]
	v_bfe_u32 v37, v41, 16, 1
	v_bfe_u32 v44, v40, 16, 1
	v_add3_u32 v40, v40, v44, s8
	v_add3_u32 v37, v41, v37, s8
	v_perm_b32 v40, v37, v40, s33
	v_bfe_u32 v37, v39, 16, 1
	v_bfe_u32 v41, v38, 16, 1
	v_add3_u32 v38, v38, v41, s8
	v_add3_u32 v37, v39, v37, s8
	v_perm_b32 v41, v37, v38, s33
	v_pk_mul_f32 v[38:39], v[52:53], v[42:43] op_sel_hi:[0,1]
	v_bfe_u32 v37, v39, 16, 1
	v_bfe_u32 v42, v38, 16, 1
	v_pk_mul_f32 v[34:35], v[52:53], v[34:35] op_sel_hi:[0,1]
	v_add3_u32 v38, v38, v42, s8
	v_add3_u32 v37, v39, v37, s8
	v_perm_b32 v38, v37, v38, s33
	v_bfe_u32 v37, v35, 16, 1
	v_bfe_u32 v39, v34, 16, 1
	v_add3_u32 v34, v34, v39, s8
	v_add3_u32 v35, v35, v37, s8
	v_perm_b32 v39, v35, v34, s33
	v_cmp_gt_u32_e32 vcc, 7, v0
	ds_write2st64_b64 v55, v[40:41], v[38:39] offset0:2 offset1:3
	s_and_saveexec_b64 s[4:5], vcc
	s_cbranch_execz .LBB1394_15
; %bb.14:
	s_mov_b32 s49, 0
	v_mov_b32_e32 v57, 0
	v_lshl_add_u64 v[34:35], s[48:49], 0, v[56:57]
	v_mov_b32_e32 v37, s7
	v_mad_u64_u32 v[34:35], s[10:11], s2, v37, v[34:35]
	s_mul_i32 s3, s3, s7
	v_mov_b32_e32 v38, s22
	v_mov_b32_e32 v39, v57
	s_load_dwordx4 s[12:15], s[0:1], 0x58
	v_add_u32_e32 v37, s3, v35
	v_mad_u64_u32 v[34:35], s[10:11], v34, s6, v[38:39]
	v_mov_b32_e32 v38, v35
	v_mad_u64_u32 v[38:39], s[10:11], v37, s6, v[38:39]
	v_mov_b32_e32 v35, v38
	v_lshlrev_b64 v[34:35], 2, v[34:35]
	s_waitcnt lgkmcnt(0)
	v_lshl_add_u64 v[38:39], s[14:15], 0, v[34:35]
	v_lshl_add_u64 v[34:35], s[12:13], 0, v[34:35]
	global_store_dword v[38:39], v50, off
	global_store_dword v[34:35], v51, off
.LBB1394_15:
	s_or_b64 exec, exec, s[4:5]
	v_lshl_or_b32 v50, v58, 9, v36
	s_waitcnt vmcnt(7)
	v_cvt_pk_f32_fp8_e32 v[34:35], v30
	v_cvt_pk_f32_fp8_sdwa v[36:37], v30 src0_sel:WORD_1
	s_mov_b32 s5, 0x7060302
	s_waitcnt lgkmcnt(0)
	s_barrier
	v_cvt_pk_f32_fp8_e32 v[38:39], v31
	v_perm_b32 v30, v35, v34, s5
	v_cvt_pk_f32_fp8_sdwa v[40:41], v31 src0_sel:WORD_1
	v_perm_b32 v31, v37, v36, s5
	ds_read_b128 v[34:37], v50
	v_perm_b32 v46, v39, v38, s5
	v_perm_b32 v47, v41, v40, s5
	ds_read_b128 v[38:41], v50 offset:16
	v_cvt_pk_f32_fp8_e32 v[48:49], v32
	v_cvt_pk_f32_fp8_sdwa v[52:53], v32 src0_sel:WORD_1
	s_waitcnt lgkmcnt(1)
	v_mfma_f32_16x16x16_bf16 v[42:45], v[30:31], v[34:35], 0
	s_waitcnt vmcnt(6)
	v_cvt_pk_f32_fp8_e32 v[60:61], v24
	v_perm_b32 v30, v49, v48, s5
	v_perm_b32 v31, v53, v52, s5
	v_cvt_pk_f32_fp8_e32 v[48:49], v33
	v_mfma_f32_16x16x16_bf16 v[42:45], v[46:47], v[36:37], v[42:45]
	v_cvt_pk_f32_fp8_sdwa v[46:47], v33 src0_sel:WORD_1
	v_cvt_pk_f32_fp8_sdwa v[62:63], v24 src0_sel:WORD_1
	v_perm_b32 v48, v49, v48, s5
	s_waitcnt lgkmcnt(0)
	v_mfma_f32_16x16x16_bf16 v[30:33], v[30:31], v[38:39], v[42:45]
	v_perm_b32 v49, v47, v46, s5
	s_waitcnt vmcnt(5)
	v_cvt_pk_f32_fp8_e32 v[64:65], v12
	v_cvt_pk_f32_fp8_sdwa v[66:67], v12 src0_sel:WORD_1
	v_cvt_pk_f32_fp8_e32 v[42:43], v22
	v_mfma_f32_16x16x16_bf16 v[46:49], v[48:49], v[40:41], v[30:33]
	s_waitcnt vmcnt(4)
	v_cvt_pk_f32_fp8_sdwa v[68:69], v4 src0_sel:WORD_1
	s_load_dword s4, s[42:43], 0x0
	v_cvt_pk_f32_fp8_sdwa v[30:31], v22 src0_sel:WORD_1
	v_cvt_pk_f32_fp8_e32 v[32:33], v23
	v_perm_b32 v22, v43, v42, s5
	v_cvt_pk_f32_fp8_sdwa v[42:43], v23 src0_sel:WORD_1
	v_perm_b32 v23, v31, v30, s5
	v_perm_b32 v52, v33, v32, s5
	ds_read_b128 v[30:33], v50 offset:2048
	v_perm_b32 v53, v43, v42, s5
	ds_read_b128 v[42:45], v50 offset:2064
	s_waitcnt lgkmcnt(0)
	v_mfma_f32_16x16x16_bf16 v[46:49], v[22:23], v[30:31], v[46:49]
	v_perm_b32 v22, v61, v60, s5
	v_perm_b32 v23, v63, v62, s5
	v_cvt_pk_f32_fp8_e32 v[60:61], v25
	v_mfma_f32_16x16x16_bf16 v[46:49], v[52:53], v[32:33], v[46:49]
	v_cvt_pk_f32_fp8_sdwa v[52:53], v25 src0_sel:WORD_1
	s_waitcnt vmcnt(3)
	v_cvt_pk_f32_fp8_sdwa v[70:71], v28 src0_sel:WORD_1
	v_perm_b32 v60, v61, v60, s5
	v_mfma_f32_16x16x16_bf16 v[22:25], v[22:23], v[42:43], v[46:49]
	v_perm_b32 v61, v53, v52, s5
	s_mov_b32 s3, 0
	v_cmp_gt_u32_e32 vcc, 64, v0
	v_cvt_pk_f32_fp8_e32 v[46:47], v10
	v_mfma_f32_16x16x16_bf16 v[60:63], v[60:61], v[44:45], v[22:25]
	s_nop 2
	v_cvt_pk_f32_fp8_sdwa v[22:23], v10 src0_sel:WORD_1
	v_cvt_pk_f32_fp8_e32 v[24:25], v11
	v_perm_b32 v10, v47, v46, s5
	v_cvt_pk_f32_fp8_sdwa v[46:47], v11 src0_sel:WORD_1
	v_perm_b32 v11, v23, v22, s5
	v_perm_b32 v52, v25, v24, s5
	ds_read_b128 v[22:25], v50 offset:4096
	v_perm_b32 v53, v47, v46, s5
	ds_read_b128 v[46:49], v50 offset:4112
	s_waitcnt lgkmcnt(1)
	v_mfma_f32_16x16x16_bf16 v[60:63], v[10:11], v[22:23], v[60:63]
	v_perm_b32 v10, v65, v64, s5
	v_perm_b32 v11, v67, v66, s5
	v_cvt_pk_f32_fp8_e32 v[64:65], v13
	v_mfma_f32_16x16x16_bf16 v[60:63], v[52:53], v[24:25], v[60:63]
	v_cvt_pk_f32_fp8_sdwa v[52:53], v13 src0_sel:WORD_1
	v_cvt_pk_f32_fp8_e32 v[66:67], v4
	v_perm_b32 v64, v65, v64, s5
	s_waitcnt lgkmcnt(0)
	v_mfma_f32_16x16x16_bf16 v[10:13], v[10:11], v[46:47], v[60:63]
	v_perm_b32 v65, v53, v52, s5
	v_cvt_pk_f32_fp8_e32 v[52:53], v2
	s_nop 0
	v_mfma_f32_16x16x16_bf16 v[60:63], v[64:65], v[48:49], v[10:13]
	s_nop 2
	v_cvt_pk_f32_fp8_sdwa v[10:11], v2 src0_sel:WORD_1
	v_cvt_pk_f32_fp8_e32 v[12:13], v3
	v_perm_b32 v2, v53, v52, s5
	v_cvt_pk_f32_fp8_sdwa v[52:53], v3 src0_sel:WORD_1
	v_perm_b32 v3, v11, v10, s5
	v_perm_b32 v64, v13, v12, s5
	ds_read_b128 v[10:13], v50 offset:6144
	v_perm_b32 v65, v53, v52, s5
	s_waitcnt lgkmcnt(0)
	v_mfma_f32_16x16x16_bf16 v[60:63], v[2:3], v[10:11], v[60:63]
	ds_read_b128 v[50:53], v50 offset:6160
	v_perm_b32 v2, v67, v66, s5
	v_perm_b32 v3, v69, v68, s5
	v_cvt_pk_f32_fp8_e32 v[66:67], v5
	v_mfma_f32_16x16x16_bf16 v[60:63], v[64:65], v[12:13], v[60:63]
	v_cvt_pk_f32_fp8_sdwa v[64:65], v5 src0_sel:WORD_1
	v_cvt_pk_f32_fp8_e32 v[68:69], v28
	v_perm_b32 v66, v67, v66, s5
	s_waitcnt lgkmcnt(0)
	v_mfma_f32_16x16x16_bf16 v[2:5], v[2:3], v[50:51], v[60:63]
	v_perm_b32 v67, v65, v64, s5
	s_barrier
	s_nop 0
	v_mfma_f32_16x16x16_bf16 v[60:63], v[66:67], v[52:53], v[2:5]
	s_nop 2
	v_cvt_pk_f32_fp8_e32 v[4:5], v26
	v_perm_b32 v4, v5, v4, s5
	s_nop 1
	v_pk_mul_f32 v[2:3], v[62:63], s[4:5] op_sel_hi:[1,0]
	v_cvt_pk_f32_fp8_sdwa v[62:63], v26 src0_sel:WORD_1
	v_pk_mul_f32 v[64:65], v[60:61], s[4:5] op_sel_hi:[1,0]
	v_cvt_pk_f32_fp8_e32 v[60:61], v27
	v_cvt_pk_f32_fp8_sdwa v[26:27], v27 src0_sel:WORD_1
	v_perm_b32 v5, v63, v62, s5
	v_bfe_u32 v57, v65, 16, 1
	v_perm_b32 v66, v61, v60, s5
	v_perm_b32 v67, v27, v26, s5
	v_mfma_f32_16x16x16_bf16 v[60:63], v[4:5], v[34:35], 0
	v_perm_b32 v4, v69, v68, s5
	v_perm_b32 v5, v71, v70, s5
	v_cvt_pk_f32_fp8_e32 v[34:35], v29
	v_cvt_pk_f32_fp8_sdwa v[68:69], v29 src0_sel:WORD_1
	v_mfma_f32_16x16x16_bf16 v[26:29], v[66:67], v[36:37], v[60:63]
	s_waitcnt vmcnt(2)
	v_cvt_pk_f32_fp8_sdwa v[36:37], v18 src0_sel:WORD_1
	v_perm_b32 v34, v35, v34, s5
	v_perm_b32 v35, v69, v68, s5
	v_mfma_f32_16x16x16_bf16 v[26:29], v[4:5], v[38:39], v[26:29]
	v_cvt_pk_f32_fp8_e32 v[4:5], v18
	v_cvt_pk_f32_fp8_sdwa v[38:39], v20 src0_sel:WORD_1
	v_bfe_u32 v59, v64, 16, 1
	v_mfma_f32_16x16x16_bf16 v[26:29], v[34:35], v[40:41], v[26:29]
	v_cvt_pk_f32_fp8_e32 v[34:35], v19
	v_perm_b32 v4, v5, v4, s5
	v_perm_b32 v5, v37, v36, s5
	v_cvt_pk_f32_fp8_sdwa v[18:19], v19 src0_sel:WORD_1
	v_perm_b32 v34, v35, v34, s5
	v_cvt_pk_f32_fp8_e32 v[36:37], v20
	v_mfma_f32_16x16x16_bf16 v[26:29], v[4:5], v[30:31], v[26:29]
	v_perm_b32 v35, v19, v18, s5
	v_perm_b32 v4, v37, v36, s5
	;; [unrolled: 1-line block ×3, first 2 shown]
	v_cvt_pk_f32_fp8_e32 v[30:31], v21
	v_cvt_pk_f32_fp8_sdwa v[36:37], v21 src0_sel:WORD_1
	v_mfma_f32_16x16x16_bf16 v[18:21], v[34:35], v[32:33], v[26:29]
	v_add3_u32 v32, v64, v59, s8
	v_add3_u32 v33, v65, v57, s8
	s_nop 0
	v_perm_b32 v26, v31, v30, s5
	v_perm_b32 v27, v37, v36, s5
	v_mfma_f32_16x16x16_bf16 v[18:21], v[4:5], v[42:43], v[18:21]
	s_waitcnt vmcnt(1)
	v_cvt_pk_f32_fp8_e32 v[4:5], v14
	v_cvt_pk_f32_fp8_sdwa v[28:29], v14 src0_sel:WORD_1
	v_cvt_pk_f32_fp8_sdwa v[30:31], v16 src0_sel:WORD_1
	v_mfma_f32_16x16x16_bf16 v[18:21], v[26:27], v[44:45], v[18:21]
	v_cvt_pk_f32_fp8_e32 v[26:27], v15
	v_perm_b32 v4, v5, v4, s5
	v_perm_b32 v5, v29, v28, s5
	v_cvt_pk_f32_fp8_sdwa v[14:15], v15 src0_sel:WORD_1
	v_perm_b32 v26, v27, v26, s5
	v_cvt_pk_f32_fp8_e32 v[28:29], v16
	v_mfma_f32_16x16x16_bf16 v[18:21], v[4:5], v[22:23], v[18:21]
	v_perm_b32 v27, v15, v14, s5
	v_perm_b32 v4, v29, v28, s5
	;; [unrolled: 1-line block ×3, first 2 shown]
	v_cvt_pk_f32_fp8_e32 v[22:23], v17
	v_cvt_pk_f32_fp8_sdwa v[28:29], v17 src0_sel:WORD_1
	v_mfma_f32_16x16x16_bf16 v[14:17], v[26:27], v[24:25], v[18:21]
	s_waitcnt vmcnt(0)
	v_cvt_pk_f32_fp8_sdwa v[24:25], v8 src0_sel:WORD_1
	s_nop 0
	v_perm_b32 v20, v23, v22, s5
	v_perm_b32 v21, v29, v28, s5
	v_mfma_f32_16x16x16_bf16 v[14:17], v[4:5], v[46:47], v[14:17]
	v_cvt_pk_f32_fp8_e32 v[4:5], v6
	v_cvt_pk_f32_fp8_sdwa v[22:23], v6 src0_sel:WORD_1
	v_bfe_u32 v19, v3, 16, 1
	v_mfma_f32_16x16x16_bf16 v[14:17], v[20:21], v[48:49], v[14:17]
	v_cvt_pk_f32_fp8_e32 v[20:21], v7
	v_perm_b32 v4, v5, v4, s5
	v_perm_b32 v5, v23, v22, s5
	v_cvt_pk_f32_fp8_sdwa v[6:7], v7 src0_sel:WORD_1
	v_perm_b32 v20, v21, v20, s5
	v_cvt_pk_f32_fp8_e32 v[22:23], v8
	v_add3_u32 v3, v3, v19, s8
	v_perm_b32 v21, v7, v6, s5
	v_mfma_f32_16x16x16_bf16 v[4:7], v[4:5], v[10:11], v[14:17]
	v_perm_b32 v10, v23, v22, s5
	v_perm_b32 v11, v25, v24, s5
	;; [unrolled: 1-line block ×3, first 2 shown]
	v_cvt_pk_f32_fp8_e32 v[14:15], v9
	v_cvt_pk_f32_fp8_sdwa v[8:9], v9 src0_sel:WORD_1
	v_mfma_f32_16x16x16_bf16 v[4:7], v[20:21], v[12:13], v[4:7]
	v_bfe_u32 v16, v2, 16, 1
	v_perm_b32 v12, v15, v14, s5
	v_perm_b32 v13, v9, v8, s5
	v_mfma_f32_16x16x16_bf16 v[4:7], v[10:11], v[50:51], v[4:7]
	v_add3_u32 v2, v2, v16, s8
	v_perm_b32 v19, v3, v2, s5
	v_mfma_f32_16x16x16_bf16 v[2:5], v[12:13], v[52:53], v[4:7]
	s_nop 6
	v_pk_mul_f32 v[2:3], v[2:3], s[4:5] op_sel_hi:[1,0]
	v_pk_mul_f32 v[4:5], v[4:5], s[4:5] op_sel_hi:[1,0]
	v_bfe_u32 v6, v3, 16, 1
	v_bfe_u32 v7, v2, 16, 1
	v_add3_u32 v2, v2, v7, s8
	v_add3_u32 v3, v3, v6, s8
	v_perm_b32 v2, v3, v2, s5
	v_bfe_u32 v3, v5, 16, 1
	v_bfe_u32 v6, v4, 16, 1
	v_add3_u32 v4, v4, v6, s8
	v_add3_u32 v3, v5, v3, s8
	v_perm_b32 v3, v3, v4, s5
	ds_write2st64_b64 v55, v[18:19], v[2:3] offset1:1
	s_waitcnt lgkmcnt(0)
	s_barrier
	s_and_saveexec_b64 s[4:5], vcc
	s_cbranch_execz .LBB1394_18
; %bb.16:
	s_load_dwordx2 s[4:5], s[0:1], 0x68
	s_lshl_b32 s0, s6, 7
	s_mul_i32 s1, s7, s2
	v_lshlrev_b32_e32 v3, 6, v56
	s_mul_hi_u32 s7, s1, s0
	s_mul_i32 s6, s1, s0
	v_lshl_or_b32 v0, v0, 10, v3
	s_lshl_b64 s[6:7], s[6:7], 1
	v_lshlrev_b32_e32 v2, 5, v58
	v_and_b32_e32 v1, 16, v1
	v_and_b32_e32 v0, 0x1a00, v0
	s_waitcnt lgkmcnt(0)
	s_add_u32 s1, s4, s6
	v_or3_b32 v2, v0, v2, v1
	s_addc_u32 s4, s5, s7
	s_lshl_b32 s2, s22, 7
	s_lshl_b64 s[2:3], s[2:3], 1
	ds_read_b128 v[4:7], v2
	s_add_u32 s2, s1, s2
	s_addc_u32 s3, s4, s3
	v_mov_b32_e32 v55, 0
	v_add_u32_e32 v3, s48, v58
	v_lshl_add_u64 v[0:1], s[2:3], 0, v[54:55]
	v_mad_u64_u32 v[8:9], s[2:3], v3, s0, 0
	v_lshl_add_u64 v[8:9], v[8:9], 1, v[0:1]
	v_cmp_ne_u32_e32 vcc, 3, v58
	s_waitcnt lgkmcnt(0)
	global_store_dwordx4 v[8:9], v[4:7], off
	s_and_b64 exec, exec, vcc
	s_cbranch_execz .LBB1394_18
; %bb.17:
	ds_read_b128 v[2:5], v2 offset:128
	v_add3_u32 v6, s48, v58, 4
	v_mad_u64_u32 v[6:7], s[0:1], v6, s0, 0
	v_lshl_add_u64 v[0:1], v[6:7], 1, v[0:1]
	s_waitcnt lgkmcnt(0)
	global_store_dwordx4 v[0:1], v[2:5], off
.LBB1394_18:
	s_endpgm
	.section	.rodata,"a",@progbits
	.p2align	6, 0x0
	.amdhsa_kernel _Z39paged_attention_ll4mi_QKV_mfma16_kernelI14__hip_bfloat16hLN4vllm18Fp8KVCacheDataTypeE1ES0_Li32ELi128ELi256ELb0ELi7EEvPKT_PKT0_S8_ifPKiSA_SA_iPKfiiiPfSD_PS3_PT2_iSC_SC_
		.amdhsa_group_segment_fixed_size 8192
		.amdhsa_private_segment_fixed_size 0
		.amdhsa_kernarg_size 400
		.amdhsa_user_sgpr_count 2
		.amdhsa_user_sgpr_dispatch_ptr 0
		.amdhsa_user_sgpr_queue_ptr 0
		.amdhsa_user_sgpr_kernarg_segment_ptr 1
		.amdhsa_user_sgpr_dispatch_id 0
		.amdhsa_user_sgpr_kernarg_preload_length 0
		.amdhsa_user_sgpr_kernarg_preload_offset 0
		.amdhsa_user_sgpr_private_segment_size 0
		.amdhsa_uses_dynamic_stack 0
		.amdhsa_enable_private_segment 0
		.amdhsa_system_sgpr_workgroup_id_x 1
		.amdhsa_system_sgpr_workgroup_id_y 1
		.amdhsa_system_sgpr_workgroup_id_z 1
		.amdhsa_system_sgpr_workgroup_info 0
		.amdhsa_system_vgpr_workitem_id 0
		.amdhsa_next_free_vgpr 80
		.amdhsa_next_free_sgpr 50
		.amdhsa_accum_offset 80
		.amdhsa_reserve_vcc 1
		.amdhsa_float_round_mode_32 0
		.amdhsa_float_round_mode_16_64 0
		.amdhsa_float_denorm_mode_32 3
		.amdhsa_float_denorm_mode_16_64 3
		.amdhsa_dx10_clamp 1
		.amdhsa_ieee_mode 1
		.amdhsa_fp16_overflow 0
		.amdhsa_tg_split 0
		.amdhsa_exception_fp_ieee_invalid_op 0
		.amdhsa_exception_fp_denorm_src 0
		.amdhsa_exception_fp_ieee_div_zero 0
		.amdhsa_exception_fp_ieee_overflow 0
		.amdhsa_exception_fp_ieee_underflow 0
		.amdhsa_exception_fp_ieee_inexact 0
		.amdhsa_exception_int_div_zero 0
	.end_amdhsa_kernel
	.section	.text._Z39paged_attention_ll4mi_QKV_mfma16_kernelI14__hip_bfloat16hLN4vllm18Fp8KVCacheDataTypeE1ES0_Li32ELi128ELi256ELb0ELi7EEvPKT_PKT0_S8_ifPKiSA_SA_iPKfiiiPfSD_PS3_PT2_iSC_SC_,"axG",@progbits,_Z39paged_attention_ll4mi_QKV_mfma16_kernelI14__hip_bfloat16hLN4vllm18Fp8KVCacheDataTypeE1ES0_Li32ELi128ELi256ELb0ELi7EEvPKT_PKT0_S8_ifPKiSA_SA_iPKfiiiPfSD_PS3_PT2_iSC_SC_,comdat
.Lfunc_end1394:
	.size	_Z39paged_attention_ll4mi_QKV_mfma16_kernelI14__hip_bfloat16hLN4vllm18Fp8KVCacheDataTypeE1ES0_Li32ELi128ELi256ELb0ELi7EEvPKT_PKT0_S8_ifPKiSA_SA_iPKfiiiPfSD_PS3_PT2_iSC_SC_, .Lfunc_end1394-_Z39paged_attention_ll4mi_QKV_mfma16_kernelI14__hip_bfloat16hLN4vllm18Fp8KVCacheDataTypeE1ES0_Li32ELi128ELi256ELb0ELi7EEvPKT_PKT0_S8_ifPKiSA_SA_iPKfiiiPfSD_PS3_PT2_iSC_SC_
                                        ; -- End function
	.section	.AMDGPU.csdata,"",@progbits
; Kernel info:
; codeLenInByte = 6384
; NumSgprs: 56
; NumVgprs: 80
; NumAgprs: 0
; TotalNumVgprs: 80
; ScratchSize: 0
; MemoryBound: 0
; FloatMode: 240
; IeeeMode: 1
; LDSByteSize: 8192 bytes/workgroup (compile time only)
; SGPRBlocks: 6
; VGPRBlocks: 9
; NumSGPRsForWavesPerEU: 56
; NumVGPRsForWavesPerEU: 80
; AccumOffset: 80
; Occupancy: 6
; WaveLimiterHint : 1
; COMPUTE_PGM_RSRC2:SCRATCH_EN: 0
; COMPUTE_PGM_RSRC2:USER_SGPR: 2
; COMPUTE_PGM_RSRC2:TRAP_HANDLER: 0
; COMPUTE_PGM_RSRC2:TGID_X_EN: 1
; COMPUTE_PGM_RSRC2:TGID_Y_EN: 1
; COMPUTE_PGM_RSRC2:TGID_Z_EN: 1
; COMPUTE_PGM_RSRC2:TIDIG_COMP_CNT: 0
; COMPUTE_PGM_RSRC3_GFX90A:ACCUM_OFFSET: 19
; COMPUTE_PGM_RSRC3_GFX90A:TG_SPLIT: 0
	.section	.text._Z39paged_attention_ll4mi_QKV_mfma16_kernelI14__hip_bfloat16hLN4vllm18Fp8KVCacheDataTypeE1ES0_Li32ELi128ELi256ELb0ELi8EEvPKT_PKT0_S8_ifPKiSA_SA_iPKfiiiPfSD_PS3_PT2_iSC_SC_,"axG",@progbits,_Z39paged_attention_ll4mi_QKV_mfma16_kernelI14__hip_bfloat16hLN4vllm18Fp8KVCacheDataTypeE1ES0_Li32ELi128ELi256ELb0ELi8EEvPKT_PKT0_S8_ifPKiSA_SA_iPKfiiiPfSD_PS3_PT2_iSC_SC_,comdat
	.protected	_Z39paged_attention_ll4mi_QKV_mfma16_kernelI14__hip_bfloat16hLN4vllm18Fp8KVCacheDataTypeE1ES0_Li32ELi128ELi256ELb0ELi8EEvPKT_PKT0_S8_ifPKiSA_SA_iPKfiiiPfSD_PS3_PT2_iSC_SC_ ; -- Begin function _Z39paged_attention_ll4mi_QKV_mfma16_kernelI14__hip_bfloat16hLN4vllm18Fp8KVCacheDataTypeE1ES0_Li32ELi128ELi256ELb0ELi8EEvPKT_PKT0_S8_ifPKiSA_SA_iPKfiiiPfSD_PS3_PT2_iSC_SC_
	.globl	_Z39paged_attention_ll4mi_QKV_mfma16_kernelI14__hip_bfloat16hLN4vllm18Fp8KVCacheDataTypeE1ES0_Li32ELi128ELi256ELb0ELi8EEvPKT_PKT0_S8_ifPKiSA_SA_iPKfiiiPfSD_PS3_PT2_iSC_SC_
	.p2align	8
	.type	_Z39paged_attention_ll4mi_QKV_mfma16_kernelI14__hip_bfloat16hLN4vllm18Fp8KVCacheDataTypeE1ES0_Li32ELi128ELi256ELb0ELi8EEvPKT_PKT0_S8_ifPKiSA_SA_iPKfiiiPfSD_PS3_PT2_iSC_SC_,@function
_Z39paged_attention_ll4mi_QKV_mfma16_kernelI14__hip_bfloat16hLN4vllm18Fp8KVCacheDataTypeE1ES0_Li32ELi128ELi256ELb0ELi8EEvPKT_PKT0_S8_ifPKiSA_SA_iPKfiiiPfSD_PS3_PT2_iSC_SC_: ; @_Z39paged_attention_ll4mi_QKV_mfma16_kernelI14__hip_bfloat16hLN4vllm18Fp8KVCacheDataTypeE1ES0_Li32ELi128ELi256ELb0ELi8EEvPKT_PKT0_S8_ifPKiSA_SA_iPKfiiiPfSD_PS3_PT2_iSC_SC_
; %bb.0:
	s_load_dwordx2 s[12:13], s[0:1], 0x30
	s_mov_b32 s22, s3
	s_mov_b64 s[6:7], 0
	s_waitcnt lgkmcnt(0)
	s_cmp_lg_u64 s[12:13], 0
	s_cselect_b64 s[14:15], -1, 0
	s_and_b64 vcc, exec, s[14:15]
	s_cbranch_vccz .LBB1395_7
; %bb.1:
	s_add_i32 s8, s2, 1
	s_mov_b32 s9, 0
	s_lshl_b64 s[10:11], s[8:9], 2
	s_add_u32 s10, s12, s10
	s_mov_b32 s3, s9
	s_addc_u32 s11, s13, s11
	s_lshl_b64 s[8:9], s[2:3], 2
	s_add_u32 s8, s12, s8
	s_addc_u32 s9, s13, s9
	s_load_dword s5, s[10:11], 0x0
	s_load_dword s16, s[8:9], 0x0
	s_waitcnt lgkmcnt(0)
	s_sub_i32 s5, s5, s16
	s_cmp_eq_u32 s5, 1
	s_cselect_b64 s[8:9], -1, 0
	s_andn2_b64 vcc, exec, s[6:7]
	s_cbranch_vccnz .LBB1395_3
.LBB1395_2:
	s_mov_b32 s3, 0
	s_mov_b64 s[8:9], -1
.LBB1395_3:
	s_andn2_b64 vcc, exec, s[8:9]
	s_cbranch_vccnz .LBB1395_17
; %bb.4:
	s_load_dwordx2 s[6:7], s[0:1], 0x28
	s_lshl_b64 s[16:17], s[2:3], 2
	s_waitcnt lgkmcnt(0)
	s_add_u32 s6, s6, s16
	s_addc_u32 s7, s7, s17
	s_load_dword s38, s[6:7], 0x0
	s_lshl_b32 s18, s22, 8
	s_waitcnt lgkmcnt(0)
	s_cmp_ge_i32 s18, s38
	s_cbranch_scc1 .LBB1395_17
; %bb.5:
	s_load_dwordx2 s[6:7], s[0:1], 0x20
	s_load_dword s8, s[0:1], 0x38
	s_add_i32 s5, s38, 31
	s_ashr_i32 s9, s5, 31
	v_and_b32_e32 v1, 0xcf, v0
	s_lshr_b32 s9, s9, 27
	v_add_u32_e32 v1, s18, v1
	s_add_i32 s5, s5, s9
	v_ashrrev_i32_e32 v2, 31, v1
	s_ashr_i32 s5, s5, 5
	v_lshrrev_b32_e32 v10, 27, v2
	s_add_i32 s5, s5, -1
	s_waitcnt lgkmcnt(0)
	s_mul_i32 s8, s2, s8
	s_mov_b32 s9, 0
	v_add_u32_e32 v2, v1, v10
	s_lshl_b64 s[8:9], s[8:9], 2
	v_ashrrev_i32_e32 v2, 5, v2
	v_mov_b32_e32 v11, s5
	v_cmp_gt_i32_e32 vcc, s38, v1
	s_add_u32 s6, s6, s8
	s_addc_u32 s7, s7, s9
	v_cndmask_b32_e32 v2, v11, v2, vcc
	v_ashrrev_i32_e32 v3, 31, v2
	v_lshl_add_u64 v[4:5], v[2:3], 2, s[6:7]
	v_or_b32_e32 v2, 16, v1
	v_add_u32_e32 v3, v2, v10
	v_ashrrev_i32_e32 v3, 5, v3
	v_cmp_gt_i32_e32 vcc, s38, v2
	s_load_dwordx4 s[8:11], s[0:1], 0x8
	s_nop 0
	v_cndmask_b32_e32 v2, v11, v3, vcc
	v_ashrrev_i32_e32 v3, 31, v2
	v_lshl_add_u64 v[6:7], v[2:3], 2, s[6:7]
	v_or_b32_e32 v2, 32, v1
	v_add_u32_e32 v3, v2, v10
	v_ashrrev_i32_e32 v3, 5, v3
	v_cmp_gt_i32_e32 vcc, s38, v2
	v_or_b32_e32 v1, 48, v1
	s_nop 0
	v_cndmask_b32_e32 v2, v11, v3, vcc
	v_ashrrev_i32_e32 v3, 31, v2
	v_lshl_add_u64 v[8:9], v[2:3], 2, s[6:7]
	v_add_u32_e32 v2, v1, v10
	v_ashrrev_i32_e32 v2, 5, v2
	v_cmp_gt_i32_e32 vcc, s38, v1
	s_nop 1
	v_cndmask_b32_e32 v2, v11, v2, vcc
	v_ashrrev_i32_e32 v3, 31, v2
	v_lshl_add_u64 v[10:11], v[2:3], 2, s[6:7]
	global_load_dword v2, v[4:5], off
	global_load_dword v32, v[6:7], off
	;; [unrolled: 1-line block ×4, first 2 shown]
	s_andn2_b64 vcc, exec, s[14:15]
	s_cbranch_vccnz .LBB1395_8
; %bb.6:
	s_add_u32 s12, s12, s16
	s_addc_u32 s13, s13, s17
	s_load_dword s14, s[12:13], 0x0
	s_branch .LBB1395_9
.LBB1395_7:
	s_mov_b64 s[8:9], 0
	s_branch .LBB1395_2
.LBB1395_8:
	s_mov_b32 s14, s2
.LBB1395_9:
	s_load_dwordx4 s[44:47], s[0:1], 0x48
	v_and_b32_e32 v60, 15, v0
	v_lshlrev_b32_e32 v3, 3, v60
	s_movk_i32 s12, 0x80
	v_lshrrev_b32_e32 v62, 6, v0
	v_and_b32_e32 v63, 63, v0
	v_bfe_u32 v1, v0, 4, 2
	s_lshl_b32 s23, s4, 3
	v_cmp_gt_u32_e32 vcc, s12, v0
	v_lshlrev_b32_e32 v54, 1, v3
	v_lshlrev_b32_e32 v61, 4, v0
	s_and_saveexec_b64 s[12:13], vcc
	s_cbranch_execz .LBB1395_11
; %bb.10:
	s_load_dwordx2 s[16:17], s[0:1], 0x0
	s_waitcnt lgkmcnt(0)
	s_ashr_i32 s15, s44, 31
	s_mul_hi_u32 s19, s14, s44
	s_mul_i32 s15, s14, s15
	s_add_i32 s15, s19, s15
	s_mul_i32 s14, s14, s44
	v_lshl_or_b32 v3, v62, 2, v1
	s_lshl_b64 s[14:15], s[14:15], 1
	s_add_u32 s14, s16, s14
	v_add_lshl_u32 v4, v3, s23, 7
	s_addc_u32 s15, s17, s15
	v_ashrrev_i32_e32 v5, 31, v4
	v_lshl_add_u64 v[4:5], v[4:5], 1, s[14:15]
	v_mov_b32_e32 v55, 0
	v_lshl_add_u64 v[4:5], v[4:5], 0, v[54:55]
	global_load_dwordx4 v[4:7], v[4:5], off
	v_lshlrev_b32_e32 v9, 8, v0
	v_lshlrev_b32_e32 v8, 8, v60
	v_and_b32_e32 v9, 0x600, v9
	s_movk_i32 s14, 0x800
	v_and_or_b32 v8, v8, s14, v9
	v_lshlrev_b32_e32 v3, 5, v3
	v_and_b32_e32 v9, 16, v61
	v_or3_b32 v3, v8, v3, v9
	s_waitcnt vmcnt(0)
	ds_write_b128 v3, v[4:7]
.LBB1395_11:
	s_or_b64 exec, exec, s[12:13]
	s_waitcnt lgkmcnt(0)
	s_mul_i32 s4, s4, s46
	s_add_u32 s8, s8, s4
	s_addc_u32 s9, s9, 0
	v_mov_b32_e32 v57, 0
	v_mov_b64_e32 v[24:25], s[8:9]
	v_and_b32_e32 v6, 48, v0
	s_waitcnt vmcnt(3)
	v_mad_i64_i32 v[2:3], s[8:9], v2, s45, v[24:25]
	v_lshlrev_b32_e32 v22, 4, v60
	v_mov_b32_e32 v23, v57
	v_lshlrev_b32_e32 v56, 5, v6
	v_lshl_add_u64 v[2:3], v[2:3], 0, v[22:23]
	v_lshl_add_u64 v[2:3], v[2:3], 0, v[56:57]
	s_load_dword s33, s[0:1], 0x98
	s_load_dwordx4 s[40:43], s[0:1], 0x80
	s_waitcnt lgkmcnt(0)
	s_barrier
	global_load_dwordx4 v[10:13], v[2:3], off
	v_and_b32_e32 v7, 7, v0
	global_load_dwordx4 v[2:5], v[2:3], off offset:2048
	v_or_b32_e32 v34, 0x100, v22
	v_mov_b32_e32 v35, v57
	s_waitcnt vmcnt(4)
	v_mad_i64_i32 v[32:33], s[12:13], v32, s45, v[24:25]
	v_lshlrev_b32_e32 v7, 5, v7
	s_waitcnt vmcnt(3)
	v_mad_i64_i32 v[36:37], s[12:13], v30, s45, v[24:25]
	s_waitcnt vmcnt(2)
	v_mad_i64_i32 v[24:25], s[12:13], v31, s45, v[24:25]
	v_lshl_add_u64 v[30:31], v[32:33], 0, v[34:35]
	v_or_b32_e32 v39, s18, v6
	v_lshl_or_b32 v6, v1, 9, v7
	v_lshl_add_u64 v[30:31], v[30:31], 0, v[56:57]
	ds_read_b128 v[26:29], v6
	ds_read_b128 v[18:21], v6 offset:16
	ds_read_b128 v[14:17], v6 offset:2048
	;; [unrolled: 1-line block ×3, first 2 shown]
	global_load_dwordx4 v[50:53], v[30:31], off
	v_mov_b32_e32 v38, s5
	s_ashr_i32 s5, s18, 31
	s_lshr_b32 s5, s5, 27
	v_or_b32_e32 v40, 64, v39
	v_add_u32_e32 v32, s5, v39
	v_or_b32_e32 v41, 0x80, v39
	v_add_u32_e32 v33, s5, v40
	v_ashrrev_i32_e32 v32, 5, v32
	v_cmp_gt_i32_e32 vcc, s38, v39
	v_or_b32_e32 v42, 0xc0, v39
	v_add_u32_e32 v43, s5, v41
	v_ashrrev_i32_e32 v33, 5, v33
	v_cndmask_b32_e32 v46, v38, v32, vcc
	v_cmp_gt_i32_e32 vcc, s38, v40
	v_add_u32_e32 v44, s5, v42
	v_lshl_add_u64 v[22:23], v[36:37], 0, v[22:23]
	v_lshl_add_u64 v[24:25], v[24:25], 0, v[34:35]
	v_ashrrev_i32_e32 v43, 5, v43
	v_cndmask_b32_e32 v48, v38, v33, vcc
	v_cmp_gt_i32_e32 vcc, s38, v41
	v_ashrrev_i32_e32 v44, 5, v44
	v_lshl_add_u64 v[34:35], v[22:23], 0, v[56:57]
	v_lshl_add_u64 v[36:37], v[24:25], 0, v[56:57]
	v_cndmask_b32_e32 v58, v38, v43, vcc
	v_cmp_gt_i32_e32 vcc, s38, v42
	v_ashrrev_i32_e32 v47, 31, v46
	v_ashrrev_i32_e32 v49, 31, v48
	v_cndmask_b32_e32 v64, v38, v44, vcc
	global_load_dwordx4 v[30:33], v[30:31], off offset:2048
	s_nop 0
	global_load_dwordx4 v[22:25], v[34:35], off
	global_load_dwordx4 v[42:45], v[34:35], off offset:2048
	global_load_dwordx4 v[38:41], v[36:37], off
	s_nop 0
	global_load_dwordx4 v[34:37], v[36:37], off offset:2048
	v_ashrrev_i32_e32 v59, 31, v58
	v_ashrrev_i32_e32 v65, 31, v64
	v_lshl_add_u64 v[46:47], v[46:47], 2, s[6:7]
	v_lshl_add_u64 v[48:49], v[48:49], 2, s[6:7]
	v_lshl_add_u64 v[58:59], v[58:59], 2, s[6:7]
	v_lshl_add_u64 v[68:69], v[64:65], 2, s[6:7]
	global_load_dword v67, v[46:47], off
	global_load_dword v66, v[48:49], off
	;; [unrolled: 1-line block ×4, first 2 shown]
	s_mov_b32 s44, 0x7060302
	s_add_u32 s4, s10, s4
	s_addc_u32 s5, s11, 0
	v_and_b32_e32 v56, 16, v0
	v_lshl_or_b32 v55, v62, 4, v60
	s_load_dword s8, s[0:1], 0x1c
	s_waitcnt vmcnt(11)
	v_cvt_pk_f32_fp8_e32 v[46:47], v10
	v_cvt_pk_f32_fp8_sdwa v[48:49], v10 src0_sel:WORD_1
	v_cvt_pk_f32_fp8_e32 v[58:59], v11
	v_cvt_pk_f32_fp8_sdwa v[10:11], v11 src0_sel:WORD_1
	v_perm_b32 v46, v47, v46, s44
	v_perm_b32 v47, v49, v48, s44
	v_cvt_pk_f32_fp8_e32 v[68:69], v12
	v_cvt_pk_f32_fp8_sdwa v[70:71], v12 src0_sel:WORD_1
	v_perm_b32 v58, v59, v58, s44
	v_perm_b32 v59, v11, v10, s44
	s_waitcnt lgkmcnt(0)
	v_mfma_f32_16x16x16_bf16 v[46:49], v[46:47], v[26:27], 0
	v_cvt_pk_f32_fp8_e32 v[72:73], v13
	v_cvt_pk_f32_fp8_sdwa v[74:75], v13 src0_sel:WORD_1
	v_perm_b32 v68, v69, v68, s44
	v_perm_b32 v69, v71, v70, s44
	v_mfma_f32_16x16x16_bf16 v[10:13], v[58:59], v[28:29], v[46:49]
	s_waitcnt vmcnt(10)
	v_cvt_pk_f32_fp8_sdwa v[58:59], v2 src0_sel:WORD_1
	s_waitcnt vmcnt(6)
	v_cvt_pk_f32_fp8_sdwa v[78:79], v44 src0_sel:WORD_1
	v_cvt_pk_f32_fp8_e32 v[46:47], v2
	v_perm_b32 v48, v73, v72, s44
	v_perm_b32 v49, v75, v74, s44
	v_mfma_f32_16x16x16_bf16 v[10:13], v[68:69], v[18:19], v[10:13]
	v_cvt_pk_f32_fp8_e32 v[68:69], v3
	v_perm_b32 v46, v47, v46, s44
	v_perm_b32 v47, v59, v58, s44
	v_cvt_pk_f32_fp8_sdwa v[2:3], v3 src0_sel:WORD_1
	v_mfma_f32_16x16x16_bf16 v[10:13], v[48:49], v[20:21], v[10:13]
	v_perm_b32 v48, v69, v68, s44
	v_cvt_pk_f32_fp8_e32 v[58:59], v4
	v_cvt_pk_f32_fp8_sdwa v[68:69], v4 src0_sel:WORD_1
	v_perm_b32 v49, v3, v2, s44
	v_mfma_f32_16x16x16_bf16 v[10:13], v[46:47], v[14:15], v[10:13]
	v_perm_b32 v46, v59, v58, s44
	v_perm_b32 v47, v69, v68, s44
	v_cvt_pk_f32_fp8_e32 v[58:59], v5
	v_cvt_pk_f32_fp8_sdwa v[68:69], v5 src0_sel:WORD_1
	v_mfma_f32_16x16x16_bf16 v[2:5], v[48:49], v[16:17], v[10:13]
	v_cvt_pk_f32_fp8_e32 v[72:73], v25
	v_cvt_pk_f32_fp8_sdwa v[74:75], v25 src0_sel:WORD_1
	s_nop 0
	v_perm_b32 v10, v59, v58, s44
	v_perm_b32 v11, v69, v68, s44
	v_mfma_f32_16x16x16_bf16 v[2:5], v[46:47], v[6:7], v[2:5]
	v_cvt_pk_f32_fp8_e32 v[12:13], v50
	v_cvt_pk_f32_fp8_sdwa v[58:59], v50 src0_sel:WORD_1
	v_mfma_f32_16x16x16_bf16 v[46:49], v[10:11], v[8:9], v[2:5]
	v_cvt_pk_f32_fp8_sdwa v[10:11], v51 src0_sel:WORD_1
	s_nop 2
	v_cvt_pk_f32_fp8_e32 v[2:3], v51
	v_perm_b32 v4, v13, v12, s44
	v_perm_b32 v5, v59, v58, s44
	v_cvt_pk_f32_fp8_e32 v[50:51], v52
	v_perm_b32 v12, v3, v2, s44
	v_cvt_pk_f32_fp8_sdwa v[58:59], v52 src0_sel:WORD_1
	v_perm_b32 v13, v11, v10, s44
	v_mfma_f32_16x16x16_bf16 v[2:5], v[4:5], v[26:27], 0
	v_perm_b32 v10, v51, v50, s44
	v_perm_b32 v11, v59, v58, s44
	v_cvt_pk_f32_fp8_e32 v[50:51], v53
	v_cvt_pk_f32_fp8_sdwa v[52:53], v53 src0_sel:WORD_1
	v_mfma_f32_16x16x16_bf16 v[2:5], v[12:13], v[28:29], v[2:5]
	v_lshl_add_u64 v[58:59], s[4:5], 0, v[56:57]
	v_perm_b32 v12, v51, v50, s44
	v_perm_b32 v13, v53, v52, s44
	v_mfma_f32_16x16x16_bf16 v[2:5], v[10:11], v[18:19], v[2:5]
	v_cvt_pk_f32_fp8_e32 v[10:11], v30
	v_cvt_pk_f32_fp8_sdwa v[50:51], v30 src0_sel:WORD_1
	v_cvt_pk_f32_fp8_sdwa v[52:53], v32 src0_sel:WORD_1
	v_mfma_f32_16x16x16_bf16 v[2:5], v[12:13], v[20:21], v[2:5]
	v_cvt_pk_f32_fp8_e32 v[12:13], v31
	v_perm_b32 v10, v11, v10, s44
	v_perm_b32 v11, v51, v50, s44
	v_cvt_pk_f32_fp8_sdwa v[30:31], v31 src0_sel:WORD_1
	v_perm_b32 v12, v13, v12, s44
	v_cvt_pk_f32_fp8_e32 v[50:51], v32
	v_mfma_f32_16x16x16_bf16 v[2:5], v[10:11], v[14:15], v[2:5]
	v_perm_b32 v13, v31, v30, s44
	v_perm_b32 v10, v51, v50, s44
	;; [unrolled: 1-line block ×3, first 2 shown]
	v_cvt_pk_f32_fp8_e32 v[30:31], v33
	v_cvt_pk_f32_fp8_sdwa v[32:33], v33 src0_sel:WORD_1
	v_mfma_f32_16x16x16_bf16 v[2:5], v[12:13], v[16:17], v[2:5]
	v_lshlrev_b32_e32 v56, 5, v55
	v_perm_b32 v12, v31, v30, s44
	v_perm_b32 v13, v33, v32, s44
	v_mfma_f32_16x16x16_bf16 v[2:5], v[10:11], v[6:7], v[2:5]
	v_cvt_pk_f32_fp8_e32 v[10:11], v22
	v_cvt_pk_f32_fp8_sdwa v[30:31], v22 src0_sel:WORD_1
	v_lshl_add_u64 v[68:69], v[58:59], 0, v[56:57]
	v_mfma_f32_16x16x16_bf16 v[50:53], v[12:13], v[8:9], v[2:5]
	s_waitcnt vmcnt(3)
	v_mad_i64_i32 v[12:13], s[4:5], v67, s45, v[68:69]
	s_waitcnt vmcnt(2)
	v_mad_i64_i32 v[70:71], s[4:5], v66, s45, v[68:69]
	v_perm_b32 v2, v11, v10, s44
	v_perm_b32 v3, v31, v30, s44
	v_cvt_pk_f32_fp8_e32 v[4:5], v23
	v_cvt_pk_f32_fp8_sdwa v[10:11], v23 src0_sel:WORD_1
	v_cvt_pk_f32_fp8_sdwa v[30:31], v24 src0_sel:WORD_1
	v_or_b32_e32 v56, 0x800, v56
	v_perm_b32 v22, v5, v4, s44
	v_perm_b32 v23, v11, v10, s44
	v_cvt_pk_f32_fp8_e32 v[10:11], v24
	v_mfma_f32_16x16x16_bf16 v[2:5], v[2:3], v[26:27], 0
	v_perm_b32 v10, v11, v10, s44
	v_perm_b32 v11, v31, v30, s44
	v_mfma_f32_16x16x16_bf16 v[2:5], v[22:23], v[28:29], v[2:5]
	global_load_dwordx4 v[30:33], v[12:13], off
	global_load_dwordx4 v[22:25], v[70:71], off
	v_perm_b32 v12, v73, v72, s44
	v_perm_b32 v13, v75, v74, s44
	v_mfma_f32_16x16x16_bf16 v[2:5], v[10:11], v[18:19], v[2:5]
	v_cvt_pk_f32_fp8_e32 v[10:11], v42
	v_cvt_pk_f32_fp8_sdwa v[70:71], v42 src0_sel:WORD_1
	s_waitcnt vmcnt(3)
	v_mad_i64_i32 v[72:73], s[4:5], v64, s45, v[68:69]
	v_mfma_f32_16x16x16_bf16 v[2:5], v[12:13], v[20:21], v[2:5]
	v_perm_b32 v10, v11, v10, s44
	v_perm_b32 v11, v71, v70, s44
	v_cvt_pk_f32_fp8_e32 v[12:13], v43
	v_cvt_pk_f32_fp8_sdwa v[42:43], v43 src0_sel:WORD_1
	s_waitcnt vmcnt(2)
	v_mad_i64_i32 v[74:75], s[4:5], v65, s45, v[68:69]
	v_perm_b32 v76, v13, v12, s44
	v_perm_b32 v77, v43, v42, s44
	v_cvt_pk_f32_fp8_e32 v[42:43], v44
	v_mfma_f32_16x16x16_bf16 v[68:71], v[10:11], v[14:15], v[2:5]
	global_load_dwordx4 v[10:13], v[72:73], off
	s_nop 1
	global_load_dwordx4 v[2:5], v[74:75], off
	v_perm_b32 v73, v79, v78, s44
	v_perm_b32 v72, v43, v42, s44
	v_cvt_pk_f32_fp8_e32 v[74:75], v45
	v_cvt_pk_f32_fp8_sdwa v[44:45], v45 src0_sel:WORD_1
	v_mfma_f32_16x16x16_bf16 v[68:71], v[76:77], v[16:17], v[68:71]
	v_lshl_add_u64 v[42:43], v[58:59], 0, v[56:57]
	v_perm_b32 v74, v75, v74, s44
	v_perm_b32 v75, v45, v44, s44
	v_mfma_f32_16x16x16_bf16 v[56:59], v[72:73], v[6:7], v[68:71]
	v_cvt_pk_f32_fp8_e32 v[44:45], v38
	v_cvt_pk_f32_fp8_sdwa v[72:73], v38 src0_sel:WORD_1
	v_cvt_pk_f32_fp8_sdwa v[76:77], v40 src0_sel:WORD_1
	v_mfma_f32_16x16x16_bf16 v[68:71], v[74:75], v[8:9], v[56:59]
	v_perm_b32 v44, v45, v44, s44
	v_perm_b32 v45, v73, v72, s44
	v_cvt_pk_f32_fp8_e32 v[74:75], v40
	v_cvt_pk_f32_fp8_e32 v[56:57], v39
	v_cvt_pk_f32_fp8_sdwa v[38:39], v39 src0_sel:WORD_1
	s_load_dword s4, s[40:41], 0x0
	s_mov_b32 s40, 0xff7fffff
	v_perm_b32 v72, v57, v56, s44
	v_perm_b32 v73, v39, v38, s44
	v_mfma_f32_16x16x16_bf16 v[56:59], v[44:45], v[26:27], 0
	v_perm_b32 v38, v75, v74, s44
	v_perm_b32 v39, v77, v76, s44
	v_cvt_pk_f32_fp8_e32 v[44:45], v41
	v_cvt_pk_f32_fp8_sdwa v[40:41], v41 src0_sel:WORD_1
	v_mfma_f32_16x16x16_bf16 v[26:29], v[72:73], v[28:29], v[56:59]
	v_perm_b32 v44, v45, v44, s44
	v_perm_b32 v45, v41, v40, s44
	v_mfma_f32_16x16x16_bf16 v[26:29], v[38:39], v[18:19], v[26:29]
	v_cvt_pk_f32_fp8_e32 v[40:41], v35
	v_mov_b32_e32 v56, s8
	s_waitcnt lgkmcnt(0)
	v_mul_f32_e32 v58, s4, v56
	v_mfma_f32_16x16x16_bf16 v[18:21], v[44:45], v[20:21], v[26:29]
	v_pk_mul_f32 v[56:57], v[58:59], v[46:47] op_sel_hi:[0,1]
	v_pk_mul_f32 v[38:39], v[58:59], v[48:49] op_sel_hi:[0,1]
	;; [unrolled: 1-line block ×3, first 2 shown]
	v_cvt_pk_f32_fp8_e32 v[26:27], v34
	v_cvt_pk_f32_fp8_sdwa v[28:29], v34 src0_sel:WORD_1
	v_cvt_pk_f32_fp8_sdwa v[34:35], v35 src0_sel:WORD_1
	v_pk_mul_f32 v[48:49], v[58:59], v[52:53] op_sel_hi:[0,1]
	v_perm_b32 v26, v27, v26, s44
	v_perm_b32 v27, v29, v28, s44
	;; [unrolled: 1-line block ×4, first 2 shown]
	v_cvt_pk_f32_fp8_e32 v[34:35], v36
	v_cvt_pk_f32_fp8_sdwa v[40:41], v36 src0_sel:WORD_1
	v_mfma_f32_16x16x16_bf16 v[18:21], v[26:27], v[14:15], v[18:21]
	v_pk_mul_f32 v[46:47], v[58:59], v[70:71] op_sel_hi:[0,1]
	v_perm_b32 v26, v35, v34, s44
	v_perm_b32 v27, v41, v40, s44
	v_cvt_pk_f32_fp8_e32 v[34:35], v37
	v_cvt_pk_f32_fp8_sdwa v[36:37], v37 src0_sel:WORD_1
	v_mfma_f32_16x16x16_bf16 v[14:17], v[28:29], v[16:17], v[18:21]
	v_pk_mul_f32 v[40:41], v[58:59], v[68:69] op_sel_hi:[0,1]
	v_mad_i64_i32 v[72:73], s[4:5], v67, s45, v[42:43]
	s_nop 0
	v_perm_b32 v18, v35, v34, s44
	v_perm_b32 v19, v37, v36, s44
	v_mfma_f32_16x16x16_bf16 v[14:17], v[26:27], v[6:7], v[14:17]
	s_nop 0
	v_mfma_f32_16x16x16_bf16 v[6:9], v[18:19], v[8:9], v[14:17]
	s_nop 6
	v_pk_mul_f32 v[44:45], v[58:59], v[6:7] op_sel_hi:[0,1]
	v_and_b32_e32 v6, 0xc0, v0
	v_add_u32_e32 v6, s18, v6
	v_lshl_or_b32 v6, v1, 2, v6
	v_pk_mul_f32 v[34:35], v[58:59], v[8:9] op_sel_hi:[0,1]
	v_or_b32_e32 v9, 1, v6
	v_mov_b32_e32 v7, 0xff7fffff
	v_cmp_gt_i32_e64 s[24:25], s38, v6
	v_cmp_gt_i32_e64 s[26:27], s38, v9
	v_or_b32_e32 v14, 3, v6
	v_cndmask_b32_e64 v8, v7, v56, s[24:25]
	v_cndmask_b32_e64 v9, v7, v57, s[26:27]
	v_max3_f32 v8, v8, s40, v9
	v_or_b32_e32 v9, 2, v6
	v_cmp_gt_i32_e64 s[28:29], s38, v9
	v_cmp_gt_i32_e64 s[30:31], s38, v14
	s_nop 0
	v_cndmask_b32_e64 v9, v7, v38, s[28:29]
	v_cndmask_b32_e64 v14, v7, v39, s[30:31]
	v_max3_f32 v8, v8, v9, v14
	v_or_b32_e32 v9, 16, v6
	v_or_b32_e32 v14, 17, v6
	v_cmp_gt_i32_e64 s[34:35], s38, v9
	v_cmp_gt_i32_e64 s[36:37], s38, v14
	s_nop 0
	v_cndmask_b32_e64 v9, v7, v50, s[34:35]
	v_cndmask_b32_e64 v14, v7, v51, s[36:37]
	v_max3_f32 v8, v8, v9, v14
	v_or_b32_e32 v9, 18, v6
	;; [unrolled: 8-line block ×6, first 2 shown]
	v_or_b32_e32 v6, 51, v6
	v_cmp_gt_i32_e32 vcc, s38, v9
	v_cmp_gt_i32_e64 s[4:5], s38, v6
	s_nop 0
	v_cndmask_b32_e32 v9, v7, v34, vcc
	v_cndmask_b32_e64 v6, v7, v35, s[4:5]
	v_max3_f32 v8, v8, v9, v6
	v_mbcnt_lo_u32_b32 v6, -1, 0
	v_mbcnt_hi_u32_b32 v9, -1, v6
	v_and_b32_e32 v6, 64, v9
	v_add_u32_e32 v14, 64, v6
	v_xor_b32_e32 v6, 32, v9
	v_cmp_lt_i32_e64 s[38:39], v6, v14
	s_nop 1
	v_cndmask_b32_e64 v6, v9, v6, s[38:39]
	v_lshlrev_b32_e32 v53, 2, v6
	ds_bpermute_b32 v15, v53, v8
	v_mad_i64_i32 v[6:7], s[38:39], v66, s45, v[42:43]
	global_load_dwordx4 v[26:29], v[72:73], off
	global_load_dwordx4 v[18:21], v[6:7], off
	s_waitcnt lgkmcnt(0)
	v_max_f32_e32 v6, v15, v15
	v_max_f32_e32 v15, v8, v6
	v_xor_b32_e32 v6, 16, v9
	v_cmp_lt_i32_e64 s[38:39], v6, v14
	s_nop 1
	v_cndmask_b32_e64 v6, v9, v6, s[38:39]
	v_lshlrev_b32_e32 v58, 2, v6
	ds_bpermute_b32 v14, v58, v15
	v_mad_i64_i32 v[6:7], s[38:39], v64, s45, v[42:43]
	v_mad_i64_i32 v[8:9], s[38:39], v65, s45, v[42:43]
	s_waitcnt lgkmcnt(0)
	v_max_f32_e32 v14, v14, v14
	v_max_f32_e32 v52, v15, v14
	v_sub_f32_e32 v14, v56, v52
	v_mul_f32_e32 v14, 0x3fb8aa3b, v14
	v_exp_f32_e32 v36, v14
	v_sub_f32_e32 v14, v57, v52
	v_mul_f32_e32 v14, 0x3fb8aa3b, v14
	v_exp_f32_e32 v37, v14
	global_load_dwordx4 v[14:17], v[6:7], off
	s_nop 0
	global_load_dwordx4 v[6:9], v[8:9], off
	v_sub_f32_e32 v38, v38, v52
	v_mul_f32_e32 v38, 0x3fb8aa3b, v38
	v_sub_f32_e32 v39, v39, v52
	v_exp_f32_e32 v38, v38
	v_mul_f32_e32 v39, 0x3fb8aa3b, v39
	v_exp_f32_e32 v39, v39
	v_cndmask_b32_e64 v36, 0, v36, s[24:25]
	v_add_f32_e32 v42, 0, v36
	v_cndmask_b32_e64 v37, 0, v37, s[26:27]
	v_add_f32_e32 v43, v42, v37
	;; [unrolled: 2-line block ×3, first 2 shown]
	v_cndmask_b32_e64 v43, 0, v39, s[30:31]
	v_sub_f32_e32 v39, v50, v52
	v_mul_f32_e32 v39, 0x3fb8aa3b, v39
	v_sub_f32_e32 v50, v51, v52
	v_exp_f32_e32 v39, v39
	v_mul_f32_e32 v50, 0x3fb8aa3b, v50
	v_sub_f32_e32 v48, v48, v52
	v_exp_f32_e32 v50, v50
	;; [unrolled: 3-line block ×4, first 2 shown]
	v_mul_f32_e32 v40, 0x3fb8aa3b, v40
	v_sub_f32_e32 v41, v41, v52
	v_add_f32_e32 v51, v38, v43
	v_cndmask_b32_e64 v38, 0, v39, s[34:35]
	v_exp_f32_e32 v40, v40
	v_mul_f32_e32 v41, 0x3fb8aa3b, v41
	v_sub_f32_e32 v46, v46, v52
	v_add_f32_e32 v51, v51, v38
	v_cndmask_b32_e64 v39, 0, v50, s[36:37]
	v_exp_f32_e32 v41, v41
	;; [unrolled: 5-line block ×7, first 2 shown]
	v_mul_f32_e32 v35, 0x3fb8aa3b, v35
	v_add_f32_e32 v50, v50, v46
	v_cndmask_b32_e64 v47, 0, v47, s[12:13]
	v_exp_f32_e32 v35, v35
	v_add_f32_e32 v50, v50, v47
	v_cndmask_b32_e64 v44, 0, v44, s[6:7]
	v_add_f32_e32 v50, v50, v44
	v_cndmask_b32_e64 v45, 0, v45, s[8:9]
	v_add_f32_e32 v50, v50, v45
	v_cndmask_b32_e32 v34, 0, v34, vcc
	v_add_f32_e32 v50, v50, v34
	v_cndmask_b32_e64 v35, 0, v35, s[4:5]
	v_add_f32_e32 v50, v50, v35
	ds_bpermute_b32 v51, v53, v50
	v_cmp_gt_u32_e32 vcc, 16, v63
	s_waitcnt lgkmcnt(0)
	s_barrier
	v_add_f32_e32 v50, v50, v51
	ds_bpermute_b32 v51, v58, v50
	s_and_saveexec_b64 s[4:5], vcc
	s_cbranch_execz .LBB1395_13
; %bb.12:
	s_waitcnt lgkmcnt(0)
	v_add_f32_e32 v50, v50, v51
	v_lshlrev_b32_e32 v51, 2, v55
	ds_write2st64_b32 v51, v52, v50 offset1:1
.LBB1395_13:
	s_or_b64 exec, exec, s[4:5]
	s_waitcnt lgkmcnt(0)
	v_lshlrev_b32_e32 v51, 2, v60
	s_load_dword s6, s[0:1], 0x94
	s_waitcnt lgkmcnt(0)
	s_barrier
	ds_read2_b32 v[52:53], v51 offset1:16
	ds_read2_b32 v[56:57], v51 offset0:32 offset1:48
	ds_read2_b32 v[58:59], v51 offset0:64 offset1:80
	s_movk_i32 s8, 0x7fff
	s_lshl_b32 s7, s33, 3
	s_waitcnt lgkmcnt(2)
	v_max3_f32 v50, v52, s40, v53
	s_waitcnt lgkmcnt(1)
	v_max3_f32 v50, v50, v56, v57
	v_sub_f32_e32 v52, v52, v50
	v_mul_f32_e32 v52, 0x3fb8aa3b, v52
	v_exp_f32_e32 v55, v52
	v_sub_f32_e32 v52, v53, v50
	v_mul_f32_e32 v52, 0x3fb8aa3b, v52
	v_exp_f32_e32 v63, v52
	;; [unrolled: 3-line block ×3, first 2 shown]
	ds_read2_b32 v[52:53], v51 offset0:96 offset1:112
	v_sub_f32_e32 v51, v57, v50
	v_mul_f32_e32 v51, 0x3fb8aa3b, v51
	v_exp_f32_e32 v57, v51
	s_waitcnt lgkmcnt(1)
	v_fma_f32 v51, v55, v58, 0
	v_fmac_f32_e32 v51, v63, v59
	s_waitcnt lgkmcnt(0)
	v_fmac_f32_e32 v51, v56, v52
	v_fmac_f32_e32 v51, v57, v53
	v_add_f32_e32 v52, 0x358637bd, v51
	v_div_scale_f32 v53, s[4:5], v52, v52, 1.0
	v_rcp_f32_e32 v58, v53
	s_barrier
	v_fma_f32 v59, -v53, v58, 1.0
	v_fmac_f32_e32 v58, v59, v58
	v_div_scale_f32 v59, vcc, 1.0, v52, 1.0
	v_mul_f32_e32 v64, v59, v58
	v_fma_f32 v65, -v53, v64, v59
	v_fmac_f32_e32 v64, v65, v58
	v_fma_f32 v53, -v53, v64, v59
	v_div_fmas_f32 v53, v53, v58, v64
	v_cmp_eq_u32_e32 vcc, 1, v62
	v_div_fixup_f32 v52, v53, v52, 1.0
	s_nop 0
	v_cndmask_b32_e32 v53, v55, v63, vcc
	v_cmp_eq_u32_e32 vcc, 2, v62
	s_nop 1
	v_cndmask_b32_e32 v53, v53, v56, vcc
	v_cmp_eq_u32_e32 vcc, 3, v62
	s_nop 1
	v_cndmask_b32_e32 v53, v53, v57, vcc
	v_mul_f32_e32 v52, v53, v52
	v_pk_mul_f32 v[36:37], v[52:53], v[36:37] op_sel_hi:[0,1]
	v_pk_mul_f32 v[42:43], v[52:53], v[42:43] op_sel_hi:[0,1]
	v_bfe_u32 v53, v37, 16, 1
	v_bfe_u32 v55, v36, 16, 1
	v_add3_u32 v36, v36, v55, s8
	v_add3_u32 v37, v37, v53, s8
	v_perm_b32 v56, v37, v36, s44
	v_bfe_u32 v36, v43, 16, 1
	v_bfe_u32 v37, v42, 16, 1
	v_add3_u32 v37, v42, v37, s8
	v_add3_u32 v36, v43, v36, s8
	v_perm_b32 v57, v36, v37, s44
	v_lshlrev_b32_e32 v37, 3, v1
	v_lshlrev_b32_e32 v36, 5, v60
	;; [unrolled: 1-line block ×3, first 2 shown]
	v_pk_mul_f32 v[38:39], v[52:53], v[38:39] op_sel_hi:[0,1]
	v_or3_b32 v55, v42, v36, v37
	v_pk_mul_f32 v[42:43], v[52:53], v[48:49] op_sel_hi:[0,1]
	v_bfe_u32 v37, v39, 16, 1
	v_bfe_u32 v48, v38, 16, 1
	v_add3_u32 v38, v38, v48, s8
	v_add3_u32 v37, v39, v37, s8
	v_perm_b32 v38, v37, v38, s44
	v_bfe_u32 v37, v43, 16, 1
	v_bfe_u32 v39, v42, 16, 1
	v_add3_u32 v39, v42, v39, s8
	v_add3_u32 v37, v43, v37, s8
	v_pk_mul_f32 v[40:41], v[52:53], v[40:41] op_sel_hi:[0,1]
	v_perm_b32 v39, v37, v39, s44
	v_bfe_u32 v37, v41, 16, 1
	v_bfe_u32 v42, v40, 16, 1
	ds_write2st64_b64 v55, v[56:57], v[38:39] offset1:1
	v_pk_mul_f32 v[38:39], v[52:53], v[46:47] op_sel_hi:[0,1]
	v_add3_u32 v40, v40, v42, s8
	v_add3_u32 v37, v41, v37, s8
	v_perm_b32 v40, v37, v40, s44
	v_bfe_u32 v37, v39, 16, 1
	v_bfe_u32 v41, v38, 16, 1
	v_add3_u32 v38, v38, v41, s8
	v_add3_u32 v37, v39, v37, s8
	v_perm_b32 v41, v37, v38, s44
	v_pk_mul_f32 v[38:39], v[52:53], v[44:45] op_sel_hi:[0,1]
	v_bfe_u32 v37, v39, 16, 1
	v_bfe_u32 v42, v38, 16, 1
	v_pk_mul_f32 v[34:35], v[52:53], v[34:35] op_sel_hi:[0,1]
	v_add3_u32 v38, v38, v42, s8
	v_add3_u32 v37, v39, v37, s8
	v_perm_b32 v38, v37, v38, s44
	v_bfe_u32 v37, v35, 16, 1
	v_bfe_u32 v39, v34, 16, 1
	v_add3_u32 v34, v34, v39, s8
	v_add3_u32 v35, v35, v37, s8
	v_perm_b32 v39, v35, v34, s44
	v_cmp_gt_u32_e32 vcc, 8, v0
	ds_write2st64_b64 v55, v[40:41], v[38:39] offset0:2 offset1:3
	s_and_saveexec_b64 s[4:5], vcc
	s_cbranch_execz .LBB1395_15
; %bb.14:
	v_or_b32_e32 v34, s23, v0
	v_mov_b32_e32 v35, 0
	v_mov_b32_e32 v37, s7
	v_mad_u64_u32 v[38:39], s[10:11], s2, v37, v[34:35]
	v_mov_b32_e32 v34, s22
	s_load_dwordx4 s[12:15], s[0:1], 0x58
	s_mul_i32 s3, s3, s7
	v_mad_u64_u32 v[34:35], s[10:11], v38, s6, v[34:35]
	v_add_u32_e32 v37, s3, v39
	v_mov_b32_e32 v38, v35
	v_mad_u64_u32 v[38:39], s[10:11], v37, s6, v[38:39]
	v_mov_b32_e32 v35, v38
	v_lshlrev_b64 v[34:35], 2, v[34:35]
	s_waitcnt lgkmcnt(0)
	v_lshl_add_u64 v[38:39], s[14:15], 0, v[34:35]
	v_lshl_add_u64 v[34:35], s[12:13], 0, v[34:35]
	global_store_dword v[38:39], v50, off
	global_store_dword v[34:35], v51, off
.LBB1395_15:
	s_or_b64 exec, exec, s[4:5]
	v_lshl_or_b32 v50, v1, 9, v36
	s_waitcnt vmcnt(7)
	v_cvt_pk_f32_fp8_e32 v[34:35], v30
	v_cvt_pk_f32_fp8_sdwa v[36:37], v30 src0_sel:WORD_1
	s_mov_b32 s5, 0x7060302
	s_waitcnt lgkmcnt(0)
	s_barrier
	v_cvt_pk_f32_fp8_e32 v[38:39], v31
	v_perm_b32 v30, v35, v34, s5
	v_cvt_pk_f32_fp8_sdwa v[40:41], v31 src0_sel:WORD_1
	v_perm_b32 v31, v37, v36, s5
	ds_read_b128 v[34:37], v50
	v_perm_b32 v46, v39, v38, s5
	v_perm_b32 v47, v41, v40, s5
	ds_read_b128 v[38:41], v50 offset:16
	v_cvt_pk_f32_fp8_e32 v[48:49], v32
	v_cvt_pk_f32_fp8_sdwa v[52:53], v32 src0_sel:WORD_1
	s_waitcnt lgkmcnt(1)
	v_mfma_f32_16x16x16_bf16 v[42:45], v[30:31], v[34:35], 0
	s_waitcnt vmcnt(6)
	v_cvt_pk_f32_fp8_e32 v[56:57], v24
	v_perm_b32 v30, v49, v48, s5
	v_perm_b32 v31, v53, v52, s5
	v_cvt_pk_f32_fp8_e32 v[48:49], v33
	v_mfma_f32_16x16x16_bf16 v[42:45], v[46:47], v[36:37], v[42:45]
	v_cvt_pk_f32_fp8_sdwa v[46:47], v33 src0_sel:WORD_1
	v_cvt_pk_f32_fp8_sdwa v[58:59], v24 src0_sel:WORD_1
	v_perm_b32 v48, v49, v48, s5
	s_waitcnt lgkmcnt(0)
	v_mfma_f32_16x16x16_bf16 v[30:33], v[30:31], v[38:39], v[42:45]
	v_perm_b32 v49, v47, v46, s5
	s_waitcnt vmcnt(5)
	v_cvt_pk_f32_fp8_e32 v[62:63], v12
	v_cvt_pk_f32_fp8_sdwa v[64:65], v12 src0_sel:WORD_1
	v_cvt_pk_f32_fp8_e32 v[42:43], v22
	v_mfma_f32_16x16x16_bf16 v[46:49], v[48:49], v[40:41], v[30:33]
	s_waitcnt vmcnt(4)
	v_cvt_pk_f32_fp8_sdwa v[66:67], v4 src0_sel:WORD_1
	s_load_dword s4, s[42:43], 0x0
	v_cvt_pk_f32_fp8_sdwa v[30:31], v22 src0_sel:WORD_1
	v_cvt_pk_f32_fp8_e32 v[32:33], v23
	v_perm_b32 v22, v43, v42, s5
	v_cvt_pk_f32_fp8_sdwa v[42:43], v23 src0_sel:WORD_1
	v_perm_b32 v23, v31, v30, s5
	v_perm_b32 v52, v33, v32, s5
	ds_read_b128 v[30:33], v50 offset:2048
	v_perm_b32 v53, v43, v42, s5
	ds_read_b128 v[42:45], v50 offset:2064
	s_waitcnt lgkmcnt(0)
	v_mfma_f32_16x16x16_bf16 v[46:49], v[22:23], v[30:31], v[46:49]
	v_perm_b32 v22, v57, v56, s5
	v_perm_b32 v23, v59, v58, s5
	v_cvt_pk_f32_fp8_e32 v[56:57], v25
	v_mfma_f32_16x16x16_bf16 v[46:49], v[52:53], v[32:33], v[46:49]
	v_cvt_pk_f32_fp8_sdwa v[52:53], v25 src0_sel:WORD_1
	s_waitcnt vmcnt(3)
	v_cvt_pk_f32_fp8_sdwa v[68:69], v28 src0_sel:WORD_1
	v_perm_b32 v56, v57, v56, s5
	v_mfma_f32_16x16x16_bf16 v[22:25], v[22:23], v[42:43], v[46:49]
	v_perm_b32 v57, v53, v52, s5
	s_mov_b32 s3, 0
	v_cmp_gt_u32_e32 vcc, 64, v0
	v_cvt_pk_f32_fp8_e32 v[46:47], v10
	v_mfma_f32_16x16x16_bf16 v[56:59], v[56:57], v[44:45], v[22:25]
	s_nop 2
	v_cvt_pk_f32_fp8_sdwa v[22:23], v10 src0_sel:WORD_1
	v_cvt_pk_f32_fp8_e32 v[24:25], v11
	v_perm_b32 v10, v47, v46, s5
	v_cvt_pk_f32_fp8_sdwa v[46:47], v11 src0_sel:WORD_1
	v_perm_b32 v11, v23, v22, s5
	v_perm_b32 v52, v25, v24, s5
	ds_read_b128 v[22:25], v50 offset:4096
	v_perm_b32 v53, v47, v46, s5
	ds_read_b128 v[46:49], v50 offset:4112
	s_waitcnt lgkmcnt(1)
	v_mfma_f32_16x16x16_bf16 v[56:59], v[10:11], v[22:23], v[56:59]
	v_perm_b32 v10, v63, v62, s5
	v_perm_b32 v11, v65, v64, s5
	v_cvt_pk_f32_fp8_e32 v[62:63], v13
	v_mfma_f32_16x16x16_bf16 v[56:59], v[52:53], v[24:25], v[56:59]
	v_cvt_pk_f32_fp8_sdwa v[52:53], v13 src0_sel:WORD_1
	v_cvt_pk_f32_fp8_e32 v[64:65], v4
	v_perm_b32 v62, v63, v62, s5
	s_waitcnt lgkmcnt(0)
	v_mfma_f32_16x16x16_bf16 v[10:13], v[10:11], v[46:47], v[56:59]
	v_perm_b32 v63, v53, v52, s5
	v_cvt_pk_f32_fp8_e32 v[52:53], v2
	s_nop 0
	v_mfma_f32_16x16x16_bf16 v[56:59], v[62:63], v[48:49], v[10:13]
	s_nop 2
	v_cvt_pk_f32_fp8_sdwa v[10:11], v2 src0_sel:WORD_1
	v_cvt_pk_f32_fp8_e32 v[12:13], v3
	v_perm_b32 v2, v53, v52, s5
	v_cvt_pk_f32_fp8_sdwa v[52:53], v3 src0_sel:WORD_1
	v_perm_b32 v3, v11, v10, s5
	v_perm_b32 v62, v13, v12, s5
	ds_read_b128 v[10:13], v50 offset:6144
	v_perm_b32 v63, v53, v52, s5
	s_waitcnt lgkmcnt(0)
	v_mfma_f32_16x16x16_bf16 v[56:59], v[2:3], v[10:11], v[56:59]
	ds_read_b128 v[50:53], v50 offset:6160
	v_perm_b32 v2, v65, v64, s5
	v_perm_b32 v3, v67, v66, s5
	v_cvt_pk_f32_fp8_e32 v[64:65], v5
	v_mfma_f32_16x16x16_bf16 v[56:59], v[62:63], v[12:13], v[56:59]
	v_cvt_pk_f32_fp8_sdwa v[62:63], v5 src0_sel:WORD_1
	v_cvt_pk_f32_fp8_e32 v[66:67], v28
	v_perm_b32 v64, v65, v64, s5
	s_waitcnt lgkmcnt(0)
	v_mfma_f32_16x16x16_bf16 v[2:5], v[2:3], v[50:51], v[56:59]
	v_perm_b32 v65, v63, v62, s5
	s_barrier
	s_nop 0
	v_mfma_f32_16x16x16_bf16 v[56:59], v[64:65], v[52:53], v[2:5]
	s_nop 2
	v_cvt_pk_f32_fp8_e32 v[4:5], v26
	v_perm_b32 v4, v5, v4, s5
	s_nop 1
	v_pk_mul_f32 v[2:3], v[58:59], s[4:5] op_sel_hi:[1,0]
	v_cvt_pk_f32_fp8_sdwa v[58:59], v26 src0_sel:WORD_1
	v_pk_mul_f32 v[62:63], v[56:57], s[4:5] op_sel_hi:[1,0]
	v_cvt_pk_f32_fp8_e32 v[56:57], v27
	v_cvt_pk_f32_fp8_sdwa v[26:27], v27 src0_sel:WORD_1
	v_perm_b32 v5, v59, v58, s5
	v_perm_b32 v64, v57, v56, s5
	;; [unrolled: 1-line block ×3, first 2 shown]
	v_mfma_f32_16x16x16_bf16 v[56:59], v[4:5], v[34:35], 0
	v_perm_b32 v4, v67, v66, s5
	v_perm_b32 v5, v69, v68, s5
	v_cvt_pk_f32_fp8_e32 v[34:35], v29
	v_cvt_pk_f32_fp8_sdwa v[66:67], v29 src0_sel:WORD_1
	v_mfma_f32_16x16x16_bf16 v[26:29], v[64:65], v[36:37], v[56:59]
	s_waitcnt vmcnt(2)
	v_cvt_pk_f32_fp8_sdwa v[36:37], v18 src0_sel:WORD_1
	v_perm_b32 v34, v35, v34, s5
	v_perm_b32 v35, v67, v66, s5
	v_mfma_f32_16x16x16_bf16 v[26:29], v[4:5], v[38:39], v[26:29]
	v_cvt_pk_f32_fp8_e32 v[4:5], v18
	v_cvt_pk_f32_fp8_sdwa v[38:39], v20 src0_sel:WORD_1
	v_bfe_u32 v56, v63, 16, 1
	v_mfma_f32_16x16x16_bf16 v[26:29], v[34:35], v[40:41], v[26:29]
	v_cvt_pk_f32_fp8_e32 v[34:35], v19
	v_perm_b32 v4, v5, v4, s5
	v_perm_b32 v5, v37, v36, s5
	v_cvt_pk_f32_fp8_sdwa v[18:19], v19 src0_sel:WORD_1
	v_perm_b32 v34, v35, v34, s5
	v_cvt_pk_f32_fp8_e32 v[36:37], v20
	v_mfma_f32_16x16x16_bf16 v[26:29], v[4:5], v[30:31], v[26:29]
	v_perm_b32 v35, v19, v18, s5
	v_perm_b32 v4, v37, v36, s5
	;; [unrolled: 1-line block ×3, first 2 shown]
	v_cvt_pk_f32_fp8_e32 v[30:31], v21
	v_cvt_pk_f32_fp8_sdwa v[36:37], v21 src0_sel:WORD_1
	v_mfma_f32_16x16x16_bf16 v[18:21], v[34:35], v[32:33], v[26:29]
	v_bfe_u32 v57, v62, 16, 1
	v_add3_u32 v32, v62, v57, s8
	v_add3_u32 v33, v63, v56, s8
	v_perm_b32 v26, v31, v30, s5
	v_perm_b32 v27, v37, v36, s5
	v_mfma_f32_16x16x16_bf16 v[18:21], v[4:5], v[42:43], v[18:21]
	s_waitcnt vmcnt(1)
	v_cvt_pk_f32_fp8_e32 v[4:5], v14
	v_cvt_pk_f32_fp8_sdwa v[28:29], v14 src0_sel:WORD_1
	v_cvt_pk_f32_fp8_sdwa v[30:31], v16 src0_sel:WORD_1
	v_mfma_f32_16x16x16_bf16 v[18:21], v[26:27], v[44:45], v[18:21]
	v_cvt_pk_f32_fp8_e32 v[26:27], v15
	v_perm_b32 v4, v5, v4, s5
	v_perm_b32 v5, v29, v28, s5
	v_cvt_pk_f32_fp8_sdwa v[14:15], v15 src0_sel:WORD_1
	v_perm_b32 v26, v27, v26, s5
	v_cvt_pk_f32_fp8_e32 v[28:29], v16
	v_mfma_f32_16x16x16_bf16 v[18:21], v[4:5], v[22:23], v[18:21]
	v_perm_b32 v27, v15, v14, s5
	v_perm_b32 v4, v29, v28, s5
	v_perm_b32 v5, v31, v30, s5
	v_cvt_pk_f32_fp8_e32 v[22:23], v17
	v_cvt_pk_f32_fp8_sdwa v[28:29], v17 src0_sel:WORD_1
	v_mfma_f32_16x16x16_bf16 v[14:17], v[26:27], v[24:25], v[18:21]
	s_waitcnt vmcnt(0)
	v_cvt_pk_f32_fp8_sdwa v[24:25], v8 src0_sel:WORD_1
	s_nop 0
	v_perm_b32 v20, v23, v22, s5
	v_perm_b32 v21, v29, v28, s5
	v_mfma_f32_16x16x16_bf16 v[14:17], v[4:5], v[46:47], v[14:17]
	v_cvt_pk_f32_fp8_e32 v[4:5], v6
	v_cvt_pk_f32_fp8_sdwa v[22:23], v6 src0_sel:WORD_1
	v_bfe_u32 v19, v3, 16, 1
	v_mfma_f32_16x16x16_bf16 v[14:17], v[20:21], v[48:49], v[14:17]
	v_cvt_pk_f32_fp8_e32 v[20:21], v7
	v_perm_b32 v4, v5, v4, s5
	v_perm_b32 v5, v23, v22, s5
	v_cvt_pk_f32_fp8_sdwa v[6:7], v7 src0_sel:WORD_1
	v_perm_b32 v20, v21, v20, s5
	v_cvt_pk_f32_fp8_e32 v[22:23], v8
	v_add3_u32 v3, v3, v19, s8
	v_perm_b32 v21, v7, v6, s5
	v_mfma_f32_16x16x16_bf16 v[4:7], v[4:5], v[10:11], v[14:17]
	v_perm_b32 v10, v23, v22, s5
	v_perm_b32 v11, v25, v24, s5
	;; [unrolled: 1-line block ×3, first 2 shown]
	v_cvt_pk_f32_fp8_e32 v[14:15], v9
	v_cvt_pk_f32_fp8_sdwa v[8:9], v9 src0_sel:WORD_1
	v_mfma_f32_16x16x16_bf16 v[4:7], v[20:21], v[12:13], v[4:7]
	v_bfe_u32 v16, v2, 16, 1
	v_perm_b32 v12, v15, v14, s5
	v_perm_b32 v13, v9, v8, s5
	v_mfma_f32_16x16x16_bf16 v[4:7], v[10:11], v[50:51], v[4:7]
	v_add3_u32 v2, v2, v16, s8
	v_perm_b32 v19, v3, v2, s5
	v_mfma_f32_16x16x16_bf16 v[2:5], v[12:13], v[52:53], v[4:7]
	s_nop 6
	v_pk_mul_f32 v[2:3], v[2:3], s[4:5] op_sel_hi:[1,0]
	v_pk_mul_f32 v[4:5], v[4:5], s[4:5] op_sel_hi:[1,0]
	v_bfe_u32 v6, v3, 16, 1
	v_bfe_u32 v7, v2, 16, 1
	v_add3_u32 v2, v2, v7, s8
	v_add3_u32 v3, v3, v6, s8
	v_perm_b32 v2, v3, v2, s5
	v_bfe_u32 v3, v5, 16, 1
	v_bfe_u32 v6, v4, 16, 1
	v_add3_u32 v4, v4, v6, s8
	v_add3_u32 v3, v5, v3, s8
	v_perm_b32 v3, v3, v4, s5
	ds_write2st64_b64 v55, v[18:19], v[2:3] offset1:1
	s_waitcnt lgkmcnt(0)
	s_barrier
	s_and_saveexec_b64 s[4:5], vcc
	s_cbranch_execz .LBB1395_17
; %bb.16:
	s_load_dwordx2 s[0:1], s[0:1], 0x68
	s_lshl_b32 s6, s6, 7
	s_mul_i32 s2, s7, s2
	s_mul_hi_u32 s5, s2, s6
	s_mul_i32 s4, s2, s6
	v_lshlrev_b32_e32 v4, 6, v60
	s_lshl_b64 s[4:5], s[4:5], 1
	v_lshl_or_b32 v0, v0, 10, v4
	s_waitcnt lgkmcnt(0)
	s_add_u32 s4, s0, s4
	v_lshlrev_b32_e32 v2, 5, v1
	v_and_b32_e32 v3, 16, v61
	v_and_b32_e32 v0, 0x1a00, v0
	s_addc_u32 s5, s1, s5
	s_lshl_b32 s2, s22, 7
	v_or3_b32 v0, v0, v2, v3
	s_lshl_b64 s[0:1], s[2:3], 1
	ds_read_b128 v[2:5], v0
	ds_read_b128 v[6:9], v0 offset:128
	s_add_u32 s0, s4, s0
	s_addc_u32 s1, s5, s1
	v_mov_b32_e32 v55, 0
	v_or_b32_e32 v12, s23, v1
	v_lshl_add_u64 v[10:11], s[0:1], 0, v[54:55]
	v_mad_u64_u32 v[0:1], s[0:1], v12, s6, 0
	v_lshl_add_u64 v[0:1], v[0:1], 1, v[10:11]
	s_waitcnt lgkmcnt(1)
	global_store_dwordx4 v[0:1], v[2:5], off
	v_or_b32_e32 v0, 4, v12
	v_mad_u64_u32 v[0:1], s[0:1], v0, s6, 0
	v_lshl_add_u64 v[0:1], v[0:1], 1, v[10:11]
	s_waitcnt lgkmcnt(0)
	global_store_dwordx4 v[0:1], v[6:9], off
.LBB1395_17:
	s_endpgm
	.section	.rodata,"a",@progbits
	.p2align	6, 0x0
	.amdhsa_kernel _Z39paged_attention_ll4mi_QKV_mfma16_kernelI14__hip_bfloat16hLN4vllm18Fp8KVCacheDataTypeE1ES0_Li32ELi128ELi256ELb0ELi8EEvPKT_PKT0_S8_ifPKiSA_SA_iPKfiiiPfSD_PS3_PT2_iSC_SC_
		.amdhsa_group_segment_fixed_size 8192
		.amdhsa_private_segment_fixed_size 0
		.amdhsa_kernarg_size 400
		.amdhsa_user_sgpr_count 2
		.amdhsa_user_sgpr_dispatch_ptr 0
		.amdhsa_user_sgpr_queue_ptr 0
		.amdhsa_user_sgpr_kernarg_segment_ptr 1
		.amdhsa_user_sgpr_dispatch_id 0
		.amdhsa_user_sgpr_kernarg_preload_length 0
		.amdhsa_user_sgpr_kernarg_preload_offset 0
		.amdhsa_user_sgpr_private_segment_size 0
		.amdhsa_uses_dynamic_stack 0
		.amdhsa_enable_private_segment 0
		.amdhsa_system_sgpr_workgroup_id_x 1
		.amdhsa_system_sgpr_workgroup_id_y 1
		.amdhsa_system_sgpr_workgroup_id_z 1
		.amdhsa_system_sgpr_workgroup_info 0
		.amdhsa_system_vgpr_workitem_id 0
		.amdhsa_next_free_vgpr 80
		.amdhsa_next_free_sgpr 48
		.amdhsa_accum_offset 80
		.amdhsa_reserve_vcc 1
		.amdhsa_float_round_mode_32 0
		.amdhsa_float_round_mode_16_64 0
		.amdhsa_float_denorm_mode_32 3
		.amdhsa_float_denorm_mode_16_64 3
		.amdhsa_dx10_clamp 1
		.amdhsa_ieee_mode 1
		.amdhsa_fp16_overflow 0
		.amdhsa_tg_split 0
		.amdhsa_exception_fp_ieee_invalid_op 0
		.amdhsa_exception_fp_denorm_src 0
		.amdhsa_exception_fp_ieee_div_zero 0
		.amdhsa_exception_fp_ieee_overflow 0
		.amdhsa_exception_fp_ieee_underflow 0
		.amdhsa_exception_fp_ieee_inexact 0
		.amdhsa_exception_int_div_zero 0
	.end_amdhsa_kernel
	.section	.text._Z39paged_attention_ll4mi_QKV_mfma16_kernelI14__hip_bfloat16hLN4vllm18Fp8KVCacheDataTypeE1ES0_Li32ELi128ELi256ELb0ELi8EEvPKT_PKT0_S8_ifPKiSA_SA_iPKfiiiPfSD_PS3_PT2_iSC_SC_,"axG",@progbits,_Z39paged_attention_ll4mi_QKV_mfma16_kernelI14__hip_bfloat16hLN4vllm18Fp8KVCacheDataTypeE1ES0_Li32ELi128ELi256ELb0ELi8EEvPKT_PKT0_S8_ifPKiSA_SA_iPKfiiiPfSD_PS3_PT2_iSC_SC_,comdat
.Lfunc_end1395:
	.size	_Z39paged_attention_ll4mi_QKV_mfma16_kernelI14__hip_bfloat16hLN4vllm18Fp8KVCacheDataTypeE1ES0_Li32ELi128ELi256ELb0ELi8EEvPKT_PKT0_S8_ifPKiSA_SA_iPKfiiiPfSD_PS3_PT2_iSC_SC_, .Lfunc_end1395-_Z39paged_attention_ll4mi_QKV_mfma16_kernelI14__hip_bfloat16hLN4vllm18Fp8KVCacheDataTypeE1ES0_Li32ELi128ELi256ELb0ELi8EEvPKT_PKT0_S8_ifPKiSA_SA_iPKfiiiPfSD_PS3_PT2_iSC_SC_
                                        ; -- End function
	.section	.AMDGPU.csdata,"",@progbits
; Kernel info:
; codeLenInByte = 6344
; NumSgprs: 54
; NumVgprs: 80
; NumAgprs: 0
; TotalNumVgprs: 80
; ScratchSize: 0
; MemoryBound: 0
; FloatMode: 240
; IeeeMode: 1
; LDSByteSize: 8192 bytes/workgroup (compile time only)
; SGPRBlocks: 6
; VGPRBlocks: 9
; NumSGPRsForWavesPerEU: 54
; NumVGPRsForWavesPerEU: 80
; AccumOffset: 80
; Occupancy: 6
; WaveLimiterHint : 1
; COMPUTE_PGM_RSRC2:SCRATCH_EN: 0
; COMPUTE_PGM_RSRC2:USER_SGPR: 2
; COMPUTE_PGM_RSRC2:TRAP_HANDLER: 0
; COMPUTE_PGM_RSRC2:TGID_X_EN: 1
; COMPUTE_PGM_RSRC2:TGID_Y_EN: 1
; COMPUTE_PGM_RSRC2:TGID_Z_EN: 1
; COMPUTE_PGM_RSRC2:TIDIG_COMP_CNT: 0
; COMPUTE_PGM_RSRC3_GFX90A:ACCUM_OFFSET: 19
; COMPUTE_PGM_RSRC3_GFX90A:TG_SPLIT: 0
	.section	.text._Z39paged_attention_ll4mi_QKV_mfma16_kernelI14__hip_bfloat16hLN4vllm18Fp8KVCacheDataTypeE1ES0_Li32ELi128ELi256ELb0ELi9EEvPKT_PKT0_S8_ifPKiSA_SA_iPKfiiiPfSD_PS3_PT2_iSC_SC_,"axG",@progbits,_Z39paged_attention_ll4mi_QKV_mfma16_kernelI14__hip_bfloat16hLN4vllm18Fp8KVCacheDataTypeE1ES0_Li32ELi128ELi256ELb0ELi9EEvPKT_PKT0_S8_ifPKiSA_SA_iPKfiiiPfSD_PS3_PT2_iSC_SC_,comdat
	.protected	_Z39paged_attention_ll4mi_QKV_mfma16_kernelI14__hip_bfloat16hLN4vllm18Fp8KVCacheDataTypeE1ES0_Li32ELi128ELi256ELb0ELi9EEvPKT_PKT0_S8_ifPKiSA_SA_iPKfiiiPfSD_PS3_PT2_iSC_SC_ ; -- Begin function _Z39paged_attention_ll4mi_QKV_mfma16_kernelI14__hip_bfloat16hLN4vllm18Fp8KVCacheDataTypeE1ES0_Li32ELi128ELi256ELb0ELi9EEvPKT_PKT0_S8_ifPKiSA_SA_iPKfiiiPfSD_PS3_PT2_iSC_SC_
	.globl	_Z39paged_attention_ll4mi_QKV_mfma16_kernelI14__hip_bfloat16hLN4vllm18Fp8KVCacheDataTypeE1ES0_Li32ELi128ELi256ELb0ELi9EEvPKT_PKT0_S8_ifPKiSA_SA_iPKfiiiPfSD_PS3_PT2_iSC_SC_
	.p2align	8
	.type	_Z39paged_attention_ll4mi_QKV_mfma16_kernelI14__hip_bfloat16hLN4vllm18Fp8KVCacheDataTypeE1ES0_Li32ELi128ELi256ELb0ELi9EEvPKT_PKT0_S8_ifPKiSA_SA_iPKfiiiPfSD_PS3_PT2_iSC_SC_,@function
_Z39paged_attention_ll4mi_QKV_mfma16_kernelI14__hip_bfloat16hLN4vllm18Fp8KVCacheDataTypeE1ES0_Li32ELi128ELi256ELb0ELi9EEvPKT_PKT0_S8_ifPKiSA_SA_iPKfiiiPfSD_PS3_PT2_iSC_SC_: ; @_Z39paged_attention_ll4mi_QKV_mfma16_kernelI14__hip_bfloat16hLN4vllm18Fp8KVCacheDataTypeE1ES0_Li32ELi128ELi256ELb0ELi9EEvPKT_PKT0_S8_ifPKiSA_SA_iPKfiiiPfSD_PS3_PT2_iSC_SC_
; %bb.0:
	s_load_dwordx2 s[12:13], s[0:1], 0x30
	s_mov_b32 s22, s3
	s_mov_b64 s[6:7], 0
	s_waitcnt lgkmcnt(0)
	s_cmp_lg_u64 s[12:13], 0
	s_cselect_b64 s[14:15], -1, 0
	s_and_b64 vcc, exec, s[14:15]
	s_cbranch_vccz .LBB1396_7
; %bb.1:
	s_add_i32 s8, s2, 1
	s_mov_b32 s9, 0
	s_lshl_b64 s[10:11], s[8:9], 2
	s_add_u32 s10, s12, s10
	s_mov_b32 s3, s9
	s_addc_u32 s11, s13, s11
	s_lshl_b64 s[8:9], s[2:3], 2
	s_add_u32 s8, s12, s8
	s_addc_u32 s9, s13, s9
	s_load_dword s5, s[10:11], 0x0
	s_load_dword s16, s[8:9], 0x0
	s_waitcnt lgkmcnt(0)
	s_sub_i32 s5, s5, s16
	s_cmp_eq_u32 s5, 1
	s_cselect_b64 s[8:9], -1, 0
	s_andn2_b64 vcc, exec, s[6:7]
	s_cbranch_vccnz .LBB1396_3
.LBB1396_2:
	s_mov_b32 s3, 0
	s_mov_b64 s[8:9], -1
.LBB1396_3:
	s_andn2_b64 vcc, exec, s[8:9]
	s_cbranch_vccnz .LBB1396_18
; %bb.4:
	s_load_dwordx2 s[6:7], s[0:1], 0x28
	s_lshl_b64 s[16:17], s[2:3], 2
	s_waitcnt lgkmcnt(0)
	s_add_u32 s6, s6, s16
	s_addc_u32 s7, s7, s17
	s_load_dword s5, s[6:7], 0x0
	s_lshl_b32 s18, s22, 8
	s_waitcnt lgkmcnt(0)
	s_cmp_ge_i32 s18, s5
	s_cbranch_scc1 .LBB1396_18
; %bb.5:
	s_load_dwordx2 s[6:7], s[0:1], 0x20
	s_load_dword s8, s[0:1], 0x38
	s_add_i32 s9, s5, 31
	s_ashr_i32 s10, s9, 31
	v_and_b32_e32 v1, 0xcf, v0
	s_lshr_b32 s10, s10, 27
	v_add_u32_e32 v1, s18, v1
	s_add_i32 s9, s9, s10
	v_ashrrev_i32_e32 v2, 31, v1
	s_ashr_i32 s19, s9, 5
	v_lshrrev_b32_e32 v8, 27, v2
	s_add_i32 s19, s19, -1
	s_waitcnt lgkmcnt(0)
	s_mul_i32 s8, s2, s8
	s_mov_b32 s9, 0
	v_add_u32_e32 v2, v1, v8
	s_lshl_b64 s[8:9], s[8:9], 2
	v_ashrrev_i32_e32 v2, 5, v2
	v_mov_b32_e32 v9, s19
	v_cmp_gt_i32_e32 vcc, s5, v1
	s_add_u32 s6, s6, s8
	s_addc_u32 s7, s7, s9
	v_cndmask_b32_e32 v2, v9, v2, vcc
	v_ashrrev_i32_e32 v3, 31, v2
	v_lshl_add_u64 v[4:5], v[2:3], 2, s[6:7]
	v_or_b32_e32 v2, 16, v1
	v_add_u32_e32 v3, v2, v8
	v_ashrrev_i32_e32 v3, 5, v3
	v_cmp_gt_i32_e32 vcc, s5, v2
	s_load_dwordx4 s[8:11], s[0:1], 0x8
	s_nop 0
	v_cndmask_b32_e32 v2, v9, v3, vcc
	v_ashrrev_i32_e32 v3, 31, v2
	v_lshl_add_u64 v[6:7], v[2:3], 2, s[6:7]
	v_or_b32_e32 v2, 32, v1
	v_add_u32_e32 v3, v2, v8
	v_ashrrev_i32_e32 v3, 5, v3
	v_cmp_gt_i32_e32 vcc, s5, v2
	v_or_b32_e32 v1, 48, v1
	s_nop 0
	v_cndmask_b32_e32 v2, v9, v3, vcc
	v_ashrrev_i32_e32 v3, 31, v2
	v_lshl_add_u64 v[10:11], v[2:3], 2, s[6:7]
	v_add_u32_e32 v2, v1, v8
	v_ashrrev_i32_e32 v2, 5, v2
	v_cmp_gt_i32_e32 vcc, s5, v1
	s_nop 1
	v_cndmask_b32_e32 v2, v9, v2, vcc
	v_ashrrev_i32_e32 v3, 31, v2
	v_lshl_add_u64 v[12:13], v[2:3], 2, s[6:7]
	global_load_dword v2, v[4:5], off
	global_load_dword v8, v[6:7], off
	;; [unrolled: 1-line block ×4, first 2 shown]
	s_andn2_b64 vcc, exec, s[14:15]
	s_cbranch_vccnz .LBB1396_8
; %bb.6:
	s_add_u32 s12, s12, s16
	s_addc_u32 s13, s13, s17
	s_load_dword s14, s[12:13], 0x0
	s_branch .LBB1396_9
.LBB1396_7:
	s_mov_b64 s[8:9], 0
	s_branch .LBB1396_2
.LBB1396_8:
	s_mov_b32 s14, s2
.LBB1396_9:
	s_load_dwordx4 s[44:47], s[0:1], 0x48
	v_lshrrev_b32_e32 v57, 6, v0
	v_bfe_u32 v60, v0, 4, 2
	v_and_b32_e32 v56, 15, v0
	v_lshl_or_b32 v3, v57, 2, v60
	v_lshlrev_b32_e32 v1, 3, v56
	v_and_b32_e32 v61, 63, v0
	s_mul_i32 s48, s4, 9
	v_cmp_gt_u32_e32 vcc, 9, v3
	v_lshlrev_b32_e32 v54, 1, v1
	v_lshlrev_b32_e32 v1, 4, v0
	s_and_saveexec_b64 s[12:13], vcc
	s_cbranch_execz .LBB1396_11
; %bb.10:
	s_load_dwordx2 s[16:17], s[0:1], 0x0
	s_waitcnt lgkmcnt(0)
	s_ashr_i32 s15, s44, 31
	s_mul_hi_u32 s20, s14, s44
	s_mul_i32 s15, s14, s15
	s_add_i32 s15, s20, s15
	s_mul_i32 s14, s14, s44
	s_lshl_b64 s[14:15], s[14:15], 1
	s_add_u32 s14, s16, s14
	v_add_lshl_u32 v4, v3, s48, 7
	s_addc_u32 s15, s17, s15
	v_ashrrev_i32_e32 v5, 31, v4
	v_lshl_add_u64 v[4:5], v[4:5], 1, s[14:15]
	v_mov_b32_e32 v55, 0
	v_lshl_add_u64 v[4:5], v[4:5], 0, v[54:55]
	global_load_dwordx4 v[4:7], v[4:5], off
	v_lshlrev_b32_e32 v10, 8, v0
	v_lshlrev_b32_e32 v9, 8, v56
	v_and_b32_e32 v10, 0x600, v10
	s_movk_i32 s14, 0x800
	v_and_or_b32 v9, v9, s14, v10
	v_lshlrev_b32_e32 v3, 5, v3
	v_and_b32_e32 v10, 16, v1
	v_or3_b32 v3, v9, v3, v10
	s_waitcnt vmcnt(0)
	ds_write_b128 v3, v[4:7]
.LBB1396_11:
	s_or_b64 exec, exec, s[12:13]
	s_waitcnt lgkmcnt(0)
	s_mul_i32 s12, s4, s46
	s_add_u32 s8, s8, s12
	s_addc_u32 s9, s9, 0
	v_mov_b32_e32 v51, 0
	v_mov_b64_e32 v[12:13], s[8:9]
	v_and_b32_e32 v9, 48, v0
	s_waitcnt vmcnt(3)
	v_mad_i64_i32 v[2:3], s[8:9], v2, s45, v[12:13]
	v_lshlrev_b32_e32 v10, 4, v56
	v_mov_b32_e32 v11, v51
	v_lshlrev_b32_e32 v50, 5, v9
	v_lshl_add_u64 v[2:3], v[2:3], 0, v[10:11]
	v_lshl_add_u64 v[6:7], v[2:3], 0, v[50:51]
	s_load_dword s23, s[0:1], 0x98
	s_load_dwordx4 s[40:43], s[0:1], 0x80
	s_waitcnt lgkmcnt(0)
	s_barrier
	global_load_dwordx4 v[2:5], v[6:7], off
	global_load_dwordx4 v[42:45], v[6:7], off offset:2048
	v_add_u32_e32 v14, -9, v56
	v_cmp_gt_u32_e32 vcc, 9, v56
	s_ashr_i32 s8, s18, 31
	v_or_b32_e32 v24, 0x100, v10
	v_cndmask_b32_e32 v6, v14, v56, vcc
	v_mov_b32_e32 v25, v51
	s_lshr_b32 s13, s8, 27
	s_waitcnt vmcnt(4)
	v_mad_i64_i32 v[30:31], s[8:9], v8, s45, v[12:13]
	v_lshlrev_b32_e32 v6, 5, v6
	v_lshl_add_u64 v[30:31], v[30:31], 0, v[24:25]
	v_lshl_add_u32 v6, v60, 9, v6
	v_lshl_add_u64 v[30:31], v[30:31], 0, v[50:51]
	v_or_b32_e32 v37, s18, v9
	ds_read_b128 v[26:29], v6
	ds_read_b128 v[18:21], v6 offset:16
	ds_read_b128 v[14:17], v6 offset:2048
	;; [unrolled: 1-line block ×3, first 2 shown]
	global_load_dwordx4 v[46:49], v[30:31], off
	s_waitcnt vmcnt(4)
	v_mad_i64_i32 v[32:33], s[8:9], v22, s45, v[12:13]
	v_lshl_add_u64 v[10:11], v[32:33], 0, v[10:11]
	global_load_dwordx4 v[30:33], v[30:31], off offset:2048
	v_or_b32_e32 v38, 64, v37
	v_add_u32_e32 v22, s13, v37
	v_mov_b32_e32 v36, s19
	v_or_b32_e32 v39, 0x80, v37
	s_waitcnt vmcnt(4)
	v_mad_i64_i32 v[12:13], s[8:9], v23, s45, v[12:13]
	v_add_u32_e32 v23, s13, v38
	v_ashrrev_i32_e32 v22, 5, v22
	v_cmp_gt_i32_e32 vcc, s5, v37
	v_or_b32_e32 v40, 0xc0, v37
	v_add_u32_e32 v34, s13, v39
	v_ashrrev_i32_e32 v23, 5, v23
	v_cndmask_b32_e32 v52, v36, v22, vcc
	v_cmp_gt_i32_e32 vcc, s5, v38
	v_add_u32_e32 v35, s13, v40
	v_lshl_add_u64 v[12:13], v[12:13], 0, v[24:25]
	v_ashrrev_i32_e32 v24, 5, v34
	v_cndmask_b32_e32 v58, v36, v23, vcc
	v_cmp_gt_i32_e32 vcc, s5, v39
	v_ashrrev_i32_e32 v25, 5, v35
	v_lshl_add_u64 v[10:11], v[10:11], 0, v[50:51]
	v_lshl_add_u64 v[34:35], v[12:13], 0, v[50:51]
	v_cndmask_b32_e32 v62, v36, v24, vcc
	v_cmp_gt_i32_e32 vcc, s5, v40
	v_ashrrev_i32_e32 v53, 31, v52
	v_ashrrev_i32_e32 v59, 31, v58
	v_cndmask_b32_e32 v64, v36, v25, vcc
	global_load_dwordx4 v[22:25], v[10:11], off
	s_nop 0
	global_load_dwordx4 v[10:13], v[10:11], off offset:2048
	s_nop 0
	global_load_dwordx4 v[38:41], v[34:35], off
	s_nop 0
	global_load_dwordx4 v[34:37], v[34:35], off offset:2048
	v_ashrrev_i32_e32 v63, 31, v62
	v_ashrrev_i32_e32 v65, 31, v64
	v_lshl_add_u64 v[52:53], v[52:53], 2, s[6:7]
	v_lshl_add_u64 v[66:67], v[58:59], 2, s[6:7]
	;; [unrolled: 1-line block ×4, first 2 shown]
	global_load_dword v58, v[52:53], off
	global_load_dword v64, v[66:67], off
	;; [unrolled: 1-line block ×3, first 2 shown]
	s_nop 0
	global_load_dword v62, v[68:69], off
	s_mov_b32 s33, 0x7060302
	s_add_u32 s6, s10, s12
	s_addc_u32 s7, s11, 0
	v_and_b32_e32 v50, 16, v0
	v_lshl_or_b32 v63, v57, 4, v56
	s_load_dword s4, s[0:1], 0x1c
	s_waitcnt vmcnt(11)
	v_cvt_pk_f32_fp8_e32 v[52:53], v2
	v_cvt_pk_f32_fp8_sdwa v[66:67], v2 src0_sel:WORD_1
	v_cvt_pk_f32_fp8_e32 v[68:69], v3
	v_cvt_pk_f32_fp8_sdwa v[2:3], v3 src0_sel:WORD_1
	v_perm_b32 v52, v53, v52, s33
	v_perm_b32 v53, v67, v66, s33
	v_cvt_pk_f32_fp8_e32 v[70:71], v4
	v_cvt_pk_f32_fp8_sdwa v[72:73], v4 src0_sel:WORD_1
	v_perm_b32 v74, v69, v68, s33
	v_perm_b32 v75, v3, v2, s33
	s_waitcnt lgkmcnt(0)
	v_mfma_f32_16x16x16_bf16 v[66:69], v[52:53], v[26:27], 0
	v_cvt_pk_f32_fp8_e32 v[2:3], v5
	v_perm_b32 v52, v71, v70, s33
	v_perm_b32 v53, v73, v72, s33
	v_cvt_pk_f32_fp8_sdwa v[4:5], v5 src0_sel:WORD_1
	v_mfma_f32_16x16x16_bf16 v[66:69], v[74:75], v[28:29], v[66:69]
	v_perm_b32 v70, v3, v2, s33
	s_waitcnt vmcnt(10)
	v_cvt_pk_f32_fp8_e32 v[72:73], v42
	v_cvt_pk_f32_fp8_sdwa v[74:75], v42 src0_sel:WORD_1
	v_perm_b32 v71, v5, v4, s33
	v_mfma_f32_16x16x16_bf16 v[2:5], v[52:53], v[18:19], v[66:69]
	v_perm_b32 v52, v73, v72, s33
	v_perm_b32 v53, v75, v74, s33
	s_waitcnt vmcnt(6)
	v_cvt_pk_f32_fp8_e32 v[74:75], v11
	v_cvt_pk_f32_fp8_e32 v[66:67], v43
	v_cvt_pk_f32_fp8_sdwa v[42:43], v43 src0_sel:WORD_1
	v_mfma_f32_16x16x16_bf16 v[2:5], v[70:71], v[20:21], v[2:5]
	v_cvt_pk_f32_fp8_sdwa v[68:69], v46 src0_sel:WORD_1
	v_perm_b32 v66, v67, v66, s33
	v_perm_b32 v67, v43, v42, s33
	v_mfma_f32_16x16x16_bf16 v[2:5], v[52:53], v[14:15], v[2:5]
	v_cvt_pk_f32_fp8_e32 v[42:43], v44
	v_cvt_pk_f32_fp8_sdwa v[52:53], v44 src0_sel:WORD_1
	v_cvt_pk_f32_fp8_sdwa v[70:71], v30 src0_sel:WORD_1
	v_mfma_f32_16x16x16_bf16 v[2:5], v[66:67], v[16:17], v[2:5]
	v_cvt_pk_f32_fp8_e32 v[66:67], v45
	v_perm_b32 v42, v43, v42, s33
	v_perm_b32 v43, v53, v52, s33
	v_cvt_pk_f32_fp8_sdwa v[44:45], v45 src0_sel:WORD_1
	v_perm_b32 v52, v67, v66, s33
	v_cvt_pk_f32_fp8_e32 v[66:67], v46
	v_mfma_f32_16x16x16_bf16 v[2:5], v[42:43], v[6:7], v[2:5]
	v_perm_b32 v53, v45, v44, s33
	v_perm_b32 v66, v67, v66, s33
	;; [unrolled: 1-line block ×3, first 2 shown]
	v_cvt_pk_f32_fp8_e32 v[68:69], v47
	v_cvt_pk_f32_fp8_sdwa v[46:47], v47 src0_sel:WORD_1
	v_mfma_f32_16x16x16_bf16 v[42:45], v[52:53], v[8:9], v[2:5]
	v_lshl_add_u64 v[52:53], s[6:7], 0, v[50:51]
	v_perm_b32 v68, v69, v68, s33
	v_perm_b32 v69, v47, v46, s33
	v_mfma_f32_16x16x16_bf16 v[2:5], v[66:67], v[26:27], 0
	v_cvt_pk_f32_fp8_e32 v[46:47], v48
	v_cvt_pk_f32_fp8_sdwa v[66:67], v48 src0_sel:WORD_1
	v_lshlrev_b32_e32 v50, 5, v63
	v_mfma_f32_16x16x16_bf16 v[2:5], v[68:69], v[28:29], v[2:5]
	v_cvt_pk_f32_fp8_e32 v[68:69], v49
	v_perm_b32 v46, v47, v46, s33
	v_perm_b32 v47, v67, v66, s33
	v_cvt_pk_f32_fp8_sdwa v[48:49], v49 src0_sel:WORD_1
	v_perm_b32 v66, v69, v68, s33
	v_cvt_pk_f32_fp8_e32 v[68:69], v30
	v_mfma_f32_16x16x16_bf16 v[2:5], v[46:47], v[18:19], v[2:5]
	v_perm_b32 v67, v49, v48, s33
	v_perm_b32 v46, v69, v68, s33
	;; [unrolled: 1-line block ×3, first 2 shown]
	v_cvt_pk_f32_fp8_e32 v[48:49], v31
	v_cvt_pk_f32_fp8_sdwa v[30:31], v31 src0_sel:WORD_1
	v_mfma_f32_16x16x16_bf16 v[2:5], v[66:67], v[20:21], v[2:5]
	v_cvt_pk_f32_fp8_sdwa v[66:67], v22 src0_sel:WORD_1
	v_perm_b32 v48, v49, v48, s33
	v_perm_b32 v49, v31, v30, s33
	v_mfma_f32_16x16x16_bf16 v[2:5], v[46:47], v[14:15], v[2:5]
	v_cvt_pk_f32_fp8_e32 v[30:31], v32
	v_cvt_pk_f32_fp8_sdwa v[46:47], v32 src0_sel:WORD_1
	v_cvt_pk_f32_fp8_sdwa v[80:81], v13 src0_sel:WORD_1
	v_mfma_f32_16x16x16_bf16 v[2:5], v[48:49], v[16:17], v[2:5]
	v_cvt_pk_f32_fp8_e32 v[48:49], v33
	v_perm_b32 v30, v31, v30, s33
	v_perm_b32 v31, v47, v46, s33
	v_cvt_pk_f32_fp8_sdwa v[32:33], v33 src0_sel:WORD_1
	v_perm_b32 v46, v49, v48, s33
	v_cvt_pk_f32_fp8_e32 v[48:49], v22
	v_mfma_f32_16x16x16_bf16 v[2:5], v[30:31], v[6:7], v[2:5]
	v_perm_b32 v47, v33, v32, s33
	v_perm_b32 v30, v49, v48, s33
	;; [unrolled: 1-line block ×3, first 2 shown]
	v_cvt_pk_f32_fp8_e32 v[32:33], v23
	v_cvt_pk_f32_fp8_sdwa v[22:23], v23 src0_sel:WORD_1
	v_mfma_f32_16x16x16_bf16 v[46:49], v[46:47], v[8:9], v[2:5]
	v_lshl_add_u64 v[66:67], v[52:53], 0, v[50:51]
	v_perm_b32 v32, v33, v32, s33
	v_perm_b32 v33, v23, v22, s33
	v_mfma_f32_16x16x16_bf16 v[2:5], v[30:31], v[26:27], 0
	v_cvt_pk_f32_fp8_e32 v[22:23], v24
	v_cvt_pk_f32_fp8_sdwa v[30:31], v24 src0_sel:WORD_1
	s_waitcnt vmcnt(3)
	v_mad_i64_i32 v[68:69], s[6:7], v58, s45, v[66:67]
	v_perm_b32 v22, v23, v22, s33
	v_perm_b32 v23, v31, v30, s33
	v_cvt_pk_f32_fp8_e32 v[30:31], v25
	v_cvt_pk_f32_fp8_sdwa v[24:25], v25 src0_sel:WORD_1
	v_mfma_f32_16x16x16_bf16 v[2:5], v[32:33], v[28:29], v[2:5]
	s_waitcnt vmcnt(2)
	v_mad_i64_i32 v[70:71], s[6:7], v64, s45, v[66:67]
	v_perm_b32 v72, v31, v30, s33
	v_perm_b32 v73, v25, v24, s33
	v_mfma_f32_16x16x16_bf16 v[2:5], v[22:23], v[18:19], v[2:5]
	global_load_dwordx4 v[30:33], v[68:69], off
	global_load_dwordx4 v[22:25], v[70:71], off
	v_cvt_pk_f32_fp8_e32 v[68:69], v10
	s_waitcnt vmcnt(3)
	v_mad_i64_i32 v[70:71], s[6:7], v55, s45, v[66:67]
	v_mfma_f32_16x16x16_bf16 v[2:5], v[72:73], v[20:21], v[2:5]
	v_cvt_pk_f32_fp8_sdwa v[72:73], v10 src0_sel:WORD_1
	v_cvt_pk_f32_fp8_sdwa v[10:11], v11 src0_sel:WORD_1
	v_perm_b32 v68, v69, v68, s33
	s_waitcnt vmcnt(2)
	v_mad_i64_i32 v[76:77], s[6:7], v62, s45, v[66:67]
	v_perm_b32 v69, v73, v72, s33
	v_perm_b32 v72, v75, v74, s33
	;; [unrolled: 1-line block ×3, first 2 shown]
	v_cvt_pk_f32_fp8_e32 v[10:11], v12
	v_cvt_pk_f32_fp8_sdwa v[74:75], v12 src0_sel:WORD_1
	v_mfma_f32_16x16x16_bf16 v[66:69], v[68:69], v[14:15], v[2:5]
	v_or_b32_e32 v50, 0x800, v50
	v_perm_b32 v78, v11, v10, s33
	v_perm_b32 v79, v75, v74, s33
	v_cvt_pk_f32_fp8_e32 v[74:75], v13
	v_mfma_f32_16x16x16_bf16 v[66:69], v[72:73], v[16:17], v[66:69]
	v_lshl_add_u64 v[50:51], v[52:53], 0, v[50:51]
	v_perm_b32 v53, v81, v80, s33
	v_perm_b32 v52, v75, v74, s33
	global_load_dwordx4 v[10:13], v[70:71], off
	global_load_dwordx4 v[2:5], v[76:77], off
	v_mfma_f32_16x16x16_bf16 v[66:69], v[78:79], v[6:7], v[66:69]
	v_cvt_pk_f32_fp8_e32 v[70:71], v38
	v_cvt_pk_f32_fp8_sdwa v[72:73], v38 src0_sel:WORD_1
	v_cvt_pk_f32_fp8_e32 v[74:75], v40
	v_mfma_f32_16x16x16_bf16 v[66:69], v[52:53], v[8:9], v[66:69]
	v_cvt_pk_f32_fp8_e32 v[52:53], v39
	v_perm_b32 v70, v71, v70, s33
	v_perm_b32 v71, v73, v72, s33
	v_cvt_pk_f32_fp8_sdwa v[38:39], v39 src0_sel:WORD_1
	v_perm_b32 v52, v53, v52, s33
	v_cvt_pk_f32_fp8_sdwa v[76:77], v40 src0_sel:WORD_1
	v_mfma_f32_16x16x16_bf16 v[70:73], v[70:71], v[26:27], 0
	v_perm_b32 v53, v39, v38, s33
	v_perm_b32 v38, v75, v74, s33
	v_perm_b32 v39, v77, v76, s33
	v_cvt_pk_f32_fp8_e32 v[74:75], v41
	v_cvt_pk_f32_fp8_sdwa v[40:41], v41 src0_sel:WORD_1
	v_mfma_f32_16x16x16_bf16 v[26:29], v[52:53], v[28:29], v[70:73]
	s_load_dword s6, s[40:41], 0x0
	v_mov_b32_e32 v52, s4
	s_mov_b32 s40, 0xff7fffff
	v_perm_b32 v70, v75, v74, s33
	v_perm_b32 v71, v41, v40, s33
	v_mfma_f32_16x16x16_bf16 v[26:29], v[38:39], v[18:19], v[26:29]
	v_cvt_pk_f32_fp8_e32 v[40:41], v35
	s_waitcnt lgkmcnt(0)
	v_mul_f32_e32 v72, s6, v52
	v_pk_mul_f32 v[52:53], v[72:73], v[42:43] op_sel_hi:[0,1]
	v_mfma_f32_16x16x16_bf16 v[18:21], v[70:71], v[20:21], v[26:29]
	v_pk_mul_f32 v[38:39], v[72:73], v[44:45] op_sel_hi:[0,1]
	v_mad_i64_i32 v[70:71], s[6:7], v58, s45, v[50:51]
	s_nop 0
	v_cvt_pk_f32_fp8_e32 v[26:27], v34
	v_cvt_pk_f32_fp8_sdwa v[28:29], v34 src0_sel:WORD_1
	v_cvt_pk_f32_fp8_sdwa v[34:35], v35 src0_sel:WORD_1
	v_pk_mul_f32 v[58:59], v[72:73], v[46:47] op_sel_hi:[0,1]
	v_perm_b32 v26, v27, v26, s33
	v_perm_b32 v27, v29, v28, s33
	;; [unrolled: 1-line block ×4, first 2 shown]
	v_cvt_pk_f32_fp8_e32 v[34:35], v36
	v_cvt_pk_f32_fp8_sdwa v[40:41], v36 src0_sel:WORD_1
	v_mfma_f32_16x16x16_bf16 v[18:21], v[26:27], v[14:15], v[18:21]
	v_pk_mul_f32 v[48:49], v[72:73], v[48:49] op_sel_hi:[0,1]
	v_perm_b32 v26, v35, v34, s33
	v_perm_b32 v27, v41, v40, s33
	v_cvt_pk_f32_fp8_e32 v[34:35], v37
	v_cvt_pk_f32_fp8_sdwa v[36:37], v37 src0_sel:WORD_1
	v_mfma_f32_16x16x16_bf16 v[14:17], v[28:29], v[16:17], v[18:21]
	v_pk_mul_f32 v[40:41], v[72:73], v[66:67] op_sel_hi:[0,1]
	v_pk_mul_f32 v[44:45], v[72:73], v[68:69] op_sel_hi:[0,1]
	s_nop 0
	v_perm_b32 v18, v35, v34, s33
	v_perm_b32 v19, v37, v36, s33
	v_mfma_f32_16x16x16_bf16 v[14:17], v[26:27], v[6:7], v[14:17]
	s_nop 0
	v_mfma_f32_16x16x16_bf16 v[6:9], v[18:19], v[8:9], v[14:17]
	s_nop 6
	v_pk_mul_f32 v[42:43], v[72:73], v[6:7] op_sel_hi:[0,1]
	v_and_b32_e32 v6, 0xc0, v0
	v_add_u32_e32 v6, s18, v6
	v_lshl_or_b32 v6, v60, 2, v6
	v_pk_mul_f32 v[34:35], v[72:73], v[8:9] op_sel_hi:[0,1]
	v_or_b32_e32 v9, 1, v6
	v_mov_b32_e32 v7, 0xff7fffff
	v_cmp_gt_i32_e64 s[24:25], s5, v6
	v_cmp_gt_i32_e64 s[26:27], s5, v9
	v_or_b32_e32 v14, 3, v6
	v_cndmask_b32_e64 v8, v7, v52, s[24:25]
	v_cndmask_b32_e64 v9, v7, v53, s[26:27]
	v_max3_f32 v8, v8, s40, v9
	v_or_b32_e32 v9, 2, v6
	v_cmp_gt_i32_e64 s[28:29], s5, v9
	v_cmp_gt_i32_e64 s[30:31], s5, v14
	s_nop 0
	v_cndmask_b32_e64 v9, v7, v38, s[28:29]
	v_cndmask_b32_e64 v14, v7, v39, s[30:31]
	v_max3_f32 v8, v8, v9, v14
	v_or_b32_e32 v9, 16, v6
	v_or_b32_e32 v14, 17, v6
	v_cmp_gt_i32_e64 s[34:35], s5, v9
	v_cmp_gt_i32_e64 s[36:37], s5, v14
	s_nop 0
	v_cndmask_b32_e64 v9, v7, v58, s[34:35]
	v_cndmask_b32_e64 v14, v7, v59, s[36:37]
	v_max3_f32 v8, v8, v9, v14
	v_or_b32_e32 v9, 18, v6
	;; [unrolled: 8-line block ×6, first 2 shown]
	v_or_b32_e32 v6, 51, v6
	v_cmp_gt_i32_e32 vcc, s5, v9
	v_cmp_gt_i32_e64 s[4:5], s5, v6
	s_nop 0
	v_cndmask_b32_e32 v9, v7, v34, vcc
	v_cndmask_b32_e64 v6, v7, v35, s[4:5]
	v_max3_f32 v8, v8, v9, v6
	v_mbcnt_lo_u32_b32 v6, -1, 0
	v_mbcnt_hi_u32_b32 v9, -1, v6
	v_and_b32_e32 v6, 64, v9
	v_add_u32_e32 v14, 64, v6
	v_xor_b32_e32 v6, 32, v9
	v_cmp_lt_i32_e64 s[38:39], v6, v14
	s_nop 1
	v_cndmask_b32_e64 v6, v9, v6, s[38:39]
	v_lshlrev_b32_e32 v65, 2, v6
	ds_bpermute_b32 v15, v65, v8
	v_mad_i64_i32 v[6:7], s[38:39], v64, s45, v[50:51]
	global_load_dwordx4 v[26:29], v[70:71], off
	global_load_dwordx4 v[18:21], v[6:7], off
	s_waitcnt lgkmcnt(0)
	v_max_f32_e32 v6, v15, v15
	v_max_f32_e32 v15, v8, v6
	v_xor_b32_e32 v6, 16, v9
	v_cmp_lt_i32_e64 s[38:39], v6, v14
	s_nop 1
	v_cndmask_b32_e64 v6, v9, v6, s[38:39]
	v_lshlrev_b32_e32 v64, 2, v6
	ds_bpermute_b32 v14, v64, v15
	v_mad_i64_i32 v[6:7], s[38:39], v55, s45, v[50:51]
	v_mad_i64_i32 v[8:9], s[38:39], v62, s45, v[50:51]
	s_waitcnt lgkmcnt(0)
	v_max_f32_e32 v14, v14, v14
	v_max_f32_e32 v50, v15, v14
	v_sub_f32_e32 v14, v52, v50
	v_mul_f32_e32 v14, 0x3fb8aa3b, v14
	v_exp_f32_e32 v36, v14
	v_sub_f32_e32 v14, v53, v50
	v_mul_f32_e32 v14, 0x3fb8aa3b, v14
	v_exp_f32_e32 v37, v14
	global_load_dwordx4 v[14:17], v[6:7], off
	s_nop 0
	global_load_dwordx4 v[6:9], v[8:9], off
	v_sub_f32_e32 v38, v38, v50
	v_mul_f32_e32 v38, 0x3fb8aa3b, v38
	v_sub_f32_e32 v39, v39, v50
	v_exp_f32_e32 v38, v38
	v_mul_f32_e32 v39, 0x3fb8aa3b, v39
	v_exp_f32_e32 v39, v39
	v_cndmask_b32_e64 v36, 0, v36, s[24:25]
	v_add_f32_e32 v46, 0, v36
	v_cndmask_b32_e64 v37, 0, v37, s[26:27]
	v_add_f32_e32 v47, v46, v37
	;; [unrolled: 2-line block ×3, first 2 shown]
	v_cndmask_b32_e64 v47, 0, v39, s[30:31]
	v_sub_f32_e32 v39, v58, v50
	v_mul_f32_e32 v39, 0x3fb8aa3b, v39
	v_sub_f32_e32 v51, v59, v50
	v_exp_f32_e32 v39, v39
	v_mul_f32_e32 v51, 0x3fb8aa3b, v51
	v_sub_f32_e32 v48, v48, v50
	v_exp_f32_e32 v51, v51
	;; [unrolled: 3-line block ×4, first 2 shown]
	v_mul_f32_e32 v40, 0x3fb8aa3b, v40
	v_sub_f32_e32 v41, v41, v50
	v_add_f32_e32 v52, v38, v47
	v_cndmask_b32_e64 v38, 0, v39, s[34:35]
	v_exp_f32_e32 v40, v40
	v_mul_f32_e32 v41, 0x3fb8aa3b, v41
	v_sub_f32_e32 v44, v44, v50
	v_add_f32_e32 v52, v52, v38
	v_cndmask_b32_e64 v39, 0, v51, s[36:37]
	v_exp_f32_e32 v41, v41
	;; [unrolled: 5-line block ×7, first 2 shown]
	v_mul_f32_e32 v35, 0x3fb8aa3b, v35
	v_add_f32_e32 v51, v51, v44
	v_cndmask_b32_e64 v45, 0, v45, s[12:13]
	v_exp_f32_e32 v35, v35
	v_add_f32_e32 v51, v51, v45
	v_cndmask_b32_e64 v42, 0, v42, s[6:7]
	v_add_f32_e32 v51, v51, v42
	v_cndmask_b32_e64 v43, 0, v43, s[8:9]
	v_add_f32_e32 v51, v51, v43
	v_cndmask_b32_e32 v34, 0, v34, vcc
	v_add_f32_e32 v51, v51, v34
	v_cndmask_b32_e64 v35, 0, v35, s[4:5]
	v_add_f32_e32 v51, v51, v35
	ds_bpermute_b32 v52, v65, v51
	v_cmp_gt_u32_e64 s[4:5], 16, v61
	s_waitcnt lgkmcnt(0)
	s_barrier
	v_add_f32_e32 v51, v51, v52
	ds_bpermute_b32 v52, v64, v51
	s_and_saveexec_b64 s[6:7], s[4:5]
	s_cbranch_execz .LBB1396_13
; %bb.12:
	s_waitcnt lgkmcnt(0)
	v_add_f32_e32 v51, v51, v52
	v_lshlrev_b32_e32 v52, 2, v63
	ds_write2st64_b32 v52, v50, v51 offset1:1
.LBB1396_13:
	s_or_b64 exec, exec, s[6:7]
	v_lshlrev_b32_e32 v51, 2, v56
	s_load_dword s8, s[0:1], 0x94
	s_waitcnt lgkmcnt(0)
	s_barrier
	ds_read2_b32 v[52:53], v51 offset1:16
	ds_read2_b32 v[58:59], v51 offset0:32 offset1:48
	ds_read2_b32 v[62:63], v51 offset0:64 offset1:80
	s_movk_i32 s10, 0x7fff
	s_mul_i32 s9, s23, 9
	s_waitcnt lgkmcnt(2)
	v_max3_f32 v50, v52, s40, v53
	s_waitcnt lgkmcnt(1)
	v_max3_f32 v50, v50, v58, v59
	v_sub_f32_e32 v52, v52, v50
	v_mul_f32_e32 v52, 0x3fb8aa3b, v52
	v_exp_f32_e32 v55, v52
	v_sub_f32_e32 v52, v53, v50
	v_mul_f32_e32 v52, 0x3fb8aa3b, v52
	v_exp_f32_e32 v61, v52
	;; [unrolled: 3-line block ×3, first 2 shown]
	ds_read2_b32 v[52:53], v51 offset0:96 offset1:112
	v_sub_f32_e32 v51, v59, v50
	v_mul_f32_e32 v51, 0x3fb8aa3b, v51
	v_exp_f32_e32 v59, v51
	s_waitcnt lgkmcnt(1)
	v_fma_f32 v51, v55, v62, 0
	v_fmac_f32_e32 v51, v61, v63
	s_waitcnt lgkmcnt(0)
	v_fmac_f32_e32 v51, v58, v52
	v_fmac_f32_e32 v51, v59, v53
	v_add_f32_e32 v52, 0x358637bd, v51
	v_div_scale_f32 v53, s[6:7], v52, v52, 1.0
	v_rcp_f32_e32 v62, v53
	s_barrier
	v_fma_f32 v63, -v53, v62, 1.0
	v_fmac_f32_e32 v62, v63, v62
	v_div_scale_f32 v63, vcc, 1.0, v52, 1.0
	v_mul_f32_e32 v64, v63, v62
	v_fma_f32 v65, -v53, v64, v63
	v_fmac_f32_e32 v64, v65, v62
	v_fma_f32 v53, -v53, v64, v63
	v_div_fmas_f32 v53, v53, v62, v64
	v_cmp_eq_u32_e32 vcc, 1, v57
	v_div_fixup_f32 v52, v53, v52, 1.0
	s_nop 0
	v_cndmask_b32_e32 v53, v55, v61, vcc
	v_cmp_eq_u32_e32 vcc, 2, v57
	s_nop 1
	v_cndmask_b32_e32 v53, v53, v58, vcc
	v_cmp_eq_u32_e32 vcc, 3, v57
	s_nop 1
	v_cndmask_b32_e32 v53, v53, v59, vcc
	v_mul_f32_e32 v52, v53, v52
	v_pk_mul_f32 v[36:37], v[52:53], v[36:37] op_sel_hi:[0,1]
	v_pk_mul_f32 v[46:47], v[52:53], v[46:47] op_sel_hi:[0,1]
	v_bfe_u32 v53, v37, 16, 1
	v_bfe_u32 v55, v36, 16, 1
	v_add3_u32 v36, v36, v55, s10
	v_add3_u32 v37, v37, v53, s10
	v_perm_b32 v58, v37, v36, s33
	v_bfe_u32 v36, v47, 16, 1
	v_bfe_u32 v37, v46, 16, 1
	v_add3_u32 v37, v46, v37, s10
	v_add3_u32 v36, v47, v36, s10
	v_perm_b32 v59, v36, v37, s33
	v_lshlrev_b32_e32 v37, 3, v60
	v_lshlrev_b32_e32 v36, 5, v56
	v_lshlrev_b32_e32 v46, 11, v57
	v_pk_mul_f32 v[38:39], v[52:53], v[38:39] op_sel_hi:[0,1]
	v_or3_b32 v55, v46, v36, v37
	v_pk_mul_f32 v[46:47], v[52:53], v[48:49] op_sel_hi:[0,1]
	v_bfe_u32 v37, v39, 16, 1
	v_bfe_u32 v48, v38, 16, 1
	v_add3_u32 v38, v38, v48, s10
	v_add3_u32 v37, v39, v37, s10
	v_perm_b32 v38, v37, v38, s33
	v_bfe_u32 v37, v47, 16, 1
	v_bfe_u32 v39, v46, 16, 1
	v_add3_u32 v39, v46, v39, s10
	v_add3_u32 v37, v47, v37, s10
	v_perm_b32 v39, v37, v39, s33
	v_pk_mul_f32 v[40:41], v[52:53], v[40:41] op_sel_hi:[0,1]
	ds_write2st64_b64 v55, v[58:59], v[38:39] offset1:1
	v_pk_mul_f32 v[38:39], v[52:53], v[44:45] op_sel_hi:[0,1]
	v_bfe_u32 v37, v41, 16, 1
	v_bfe_u32 v44, v40, 16, 1
	v_add3_u32 v40, v40, v44, s10
	v_add3_u32 v37, v41, v37, s10
	v_perm_b32 v40, v37, v40, s33
	v_bfe_u32 v37, v39, 16, 1
	v_bfe_u32 v41, v38, 16, 1
	v_add3_u32 v38, v38, v41, s10
	v_add3_u32 v37, v39, v37, s10
	v_perm_b32 v41, v37, v38, s33
	v_pk_mul_f32 v[38:39], v[52:53], v[42:43] op_sel_hi:[0,1]
	v_bfe_u32 v37, v39, 16, 1
	v_bfe_u32 v42, v38, 16, 1
	v_pk_mul_f32 v[34:35], v[52:53], v[34:35] op_sel_hi:[0,1]
	v_add3_u32 v38, v38, v42, s10
	v_add3_u32 v37, v39, v37, s10
	v_perm_b32 v38, v37, v38, s33
	v_bfe_u32 v37, v35, 16, 1
	v_bfe_u32 v39, v34, 16, 1
	v_add3_u32 v34, v34, v39, s10
	v_add3_u32 v35, v35, v37, s10
	v_perm_b32 v39, v35, v34, s33
	v_cmp_gt_u32_e32 vcc, 9, v0
	ds_write2st64_b64 v55, v[40:41], v[38:39] offset0:2 offset1:3
	s_and_saveexec_b64 s[6:7], vcc
	s_cbranch_execz .LBB1396_15
; %bb.14:
	s_mov_b32 s49, 0
	v_mov_b32_e32 v57, 0
	v_lshl_add_u64 v[34:35], s[48:49], 0, v[56:57]
	v_mov_b32_e32 v37, s9
	v_mad_u64_u32 v[34:35], s[16:17], s2, v37, v[34:35]
	s_mul_i32 s3, s3, s9
	v_mov_b32_e32 v38, s22
	v_mov_b32_e32 v39, v57
	s_load_dwordx4 s[12:15], s[0:1], 0x58
	v_add_u32_e32 v37, s3, v35
	v_mad_u64_u32 v[34:35], s[16:17], v34, s8, v[38:39]
	v_mov_b32_e32 v38, v35
	v_mad_u64_u32 v[38:39], s[16:17], v37, s8, v[38:39]
	v_mov_b32_e32 v35, v38
	v_lshlrev_b64 v[34:35], 2, v[34:35]
	s_waitcnt lgkmcnt(0)
	v_lshl_add_u64 v[38:39], s[14:15], 0, v[34:35]
	v_lshl_add_u64 v[34:35], s[12:13], 0, v[34:35]
	global_store_dword v[38:39], v50, off
	global_store_dword v[34:35], v51, off
.LBB1396_15:
	s_or_b64 exec, exec, s[6:7]
	v_lshl_or_b32 v50, v60, 9, v36
	s_waitcnt vmcnt(7)
	v_cvt_pk_f32_fp8_e32 v[34:35], v30
	v_cvt_pk_f32_fp8_sdwa v[36:37], v30 src0_sel:WORD_1
	s_mov_b32 s7, 0x7060302
	s_waitcnt lgkmcnt(0)
	s_barrier
	v_cvt_pk_f32_fp8_e32 v[38:39], v31
	v_perm_b32 v30, v35, v34, s7
	v_cvt_pk_f32_fp8_sdwa v[40:41], v31 src0_sel:WORD_1
	v_perm_b32 v31, v37, v36, s7
	ds_read_b128 v[34:37], v50
	v_perm_b32 v46, v39, v38, s7
	v_perm_b32 v47, v41, v40, s7
	ds_read_b128 v[38:41], v50 offset:16
	v_cvt_pk_f32_fp8_e32 v[48:49], v32
	v_cvt_pk_f32_fp8_sdwa v[52:53], v32 src0_sel:WORD_1
	s_waitcnt lgkmcnt(1)
	v_mfma_f32_16x16x16_bf16 v[42:45], v[30:31], v[34:35], 0
	s_waitcnt vmcnt(6)
	v_cvt_pk_f32_fp8_e32 v[58:59], v24
	v_perm_b32 v30, v49, v48, s7
	v_perm_b32 v31, v53, v52, s7
	v_cvt_pk_f32_fp8_e32 v[48:49], v33
	v_mfma_f32_16x16x16_bf16 v[42:45], v[46:47], v[36:37], v[42:45]
	v_cvt_pk_f32_fp8_sdwa v[46:47], v33 src0_sel:WORD_1
	v_cvt_pk_f32_fp8_sdwa v[62:63], v24 src0_sel:WORD_1
	v_perm_b32 v48, v49, v48, s7
	s_waitcnt lgkmcnt(0)
	v_mfma_f32_16x16x16_bf16 v[30:33], v[30:31], v[38:39], v[42:45]
	v_perm_b32 v49, v47, v46, s7
	s_waitcnt vmcnt(5)
	v_cvt_pk_f32_fp8_sdwa v[66:67], v12 src0_sel:WORD_1
	s_waitcnt vmcnt(4)
	v_cvt_pk_f32_fp8_sdwa v[68:69], v4 src0_sel:WORD_1
	v_cvt_pk_f32_fp8_e32 v[42:43], v22
	v_mfma_f32_16x16x16_bf16 v[46:49], v[48:49], v[40:41], v[30:33]
	s_load_dword s6, s[42:43], 0x0
	s_waitcnt vmcnt(3)
	v_cvt_pk_f32_fp8_sdwa v[70:71], v28 src0_sel:WORD_1
	v_cvt_pk_f32_fp8_sdwa v[30:31], v22 src0_sel:WORD_1
	v_cvt_pk_f32_fp8_e32 v[32:33], v23
	v_perm_b32 v22, v43, v42, s7
	v_cvt_pk_f32_fp8_sdwa v[42:43], v23 src0_sel:WORD_1
	v_perm_b32 v23, v31, v30, s7
	v_perm_b32 v52, v33, v32, s7
	ds_read_b128 v[30:33], v50 offset:2048
	v_perm_b32 v53, v43, v42, s7
	ds_read_b128 v[42:45], v50 offset:2064
	s_waitcnt lgkmcnt(0)
	v_mfma_f32_16x16x16_bf16 v[46:49], v[22:23], v[30:31], v[46:49]
	v_perm_b32 v22, v59, v58, s7
	v_perm_b32 v23, v63, v62, s7
	v_cvt_pk_f32_fp8_e32 v[58:59], v25
	v_mfma_f32_16x16x16_bf16 v[46:49], v[52:53], v[32:33], v[46:49]
	v_cvt_pk_f32_fp8_sdwa v[52:53], v25 src0_sel:WORD_1
	s_mov_b32 s3, 0
	v_perm_b32 v58, v59, v58, s7
	v_mfma_f32_16x16x16_bf16 v[22:25], v[22:23], v[42:43], v[46:49]
	v_perm_b32 v59, v53, v52, s7
	v_cmp_gt_u32_e32 vcc, 64, v0
	s_nop 0
	v_cvt_pk_f32_fp8_e32 v[46:47], v10
	v_mfma_f32_16x16x16_bf16 v[62:65], v[58:59], v[44:45], v[22:25]
	v_cvt_pk_f32_fp8_e32 v[58:59], v12
	s_nop 1
	v_cvt_pk_f32_fp8_sdwa v[22:23], v10 src0_sel:WORD_1
	v_cvt_pk_f32_fp8_e32 v[24:25], v11
	v_perm_b32 v10, v47, v46, s7
	v_cvt_pk_f32_fp8_sdwa v[46:47], v11 src0_sel:WORD_1
	v_perm_b32 v11, v23, v22, s7
	v_perm_b32 v52, v25, v24, s7
	ds_read_b128 v[22:25], v50 offset:4096
	v_perm_b32 v53, v47, v46, s7
	ds_read_b128 v[46:49], v50 offset:4112
	s_waitcnt lgkmcnt(1)
	v_mfma_f32_16x16x16_bf16 v[62:65], v[10:11], v[22:23], v[62:65]
	v_perm_b32 v10, v59, v58, s7
	v_perm_b32 v11, v67, v66, s7
	v_cvt_pk_f32_fp8_e32 v[58:59], v13
	v_mfma_f32_16x16x16_bf16 v[62:65], v[52:53], v[24:25], v[62:65]
	v_cvt_pk_f32_fp8_sdwa v[52:53], v13 src0_sel:WORD_1
	v_cvt_pk_f32_fp8_e32 v[66:67], v4
	v_perm_b32 v58, v59, v58, s7
	s_waitcnt lgkmcnt(0)
	v_mfma_f32_16x16x16_bf16 v[10:13], v[10:11], v[46:47], v[62:65]
	v_perm_b32 v59, v53, v52, s7
	v_cvt_pk_f32_fp8_e32 v[52:53], v2
	s_nop 0
	v_mfma_f32_16x16x16_bf16 v[62:65], v[58:59], v[48:49], v[10:13]
	s_nop 2
	v_cvt_pk_f32_fp8_sdwa v[10:11], v2 src0_sel:WORD_1
	v_cvt_pk_f32_fp8_e32 v[12:13], v3
	v_perm_b32 v2, v53, v52, s7
	v_cvt_pk_f32_fp8_sdwa v[52:53], v3 src0_sel:WORD_1
	v_perm_b32 v3, v11, v10, s7
	v_perm_b32 v58, v13, v12, s7
	ds_read_b128 v[10:13], v50 offset:6144
	v_perm_b32 v59, v53, v52, s7
	s_waitcnt lgkmcnt(0)
	v_mfma_f32_16x16x16_bf16 v[62:65], v[2:3], v[10:11], v[62:65]
	ds_read_b128 v[50:53], v50 offset:6160
	v_perm_b32 v2, v67, v66, s7
	v_perm_b32 v3, v69, v68, s7
	v_cvt_pk_f32_fp8_e32 v[66:67], v5
	v_mfma_f32_16x16x16_bf16 v[62:65], v[58:59], v[12:13], v[62:65]
	v_cvt_pk_f32_fp8_sdwa v[58:59], v5 src0_sel:WORD_1
	v_cvt_pk_f32_fp8_e32 v[68:69], v28
	v_perm_b32 v66, v67, v66, s7
	s_waitcnt lgkmcnt(0)
	v_mfma_f32_16x16x16_bf16 v[2:5], v[2:3], v[50:51], v[62:65]
	v_perm_b32 v67, v59, v58, s7
	v_cvt_pk_f32_fp8_sdwa v[58:59], v26 src0_sel:WORD_1
	s_nop 0
	v_mfma_f32_16x16x16_bf16 v[62:65], v[66:67], v[52:53], v[2:5]
	s_barrier
	s_nop 1
	v_cvt_pk_f32_fp8_e32 v[4:5], v26
	s_nop 2
	v_pk_mul_f32 v[66:67], v[62:63], s[6:7] op_sel_hi:[1,0]
	v_cvt_pk_f32_fp8_e32 v[62:63], v27
	v_perm_b32 v4, v5, v4, s7
	v_perm_b32 v5, v59, v58, s7
	v_cvt_pk_f32_fp8_sdwa v[26:27], v27 src0_sel:WORD_1
	v_perm_b32 v58, v63, v62, s7
	v_pk_mul_f32 v[2:3], v[64:65], s[6:7] op_sel_hi:[1,0]
	v_mfma_f32_16x16x16_bf16 v[62:65], v[4:5], v[34:35], 0
	v_perm_b32 v59, v27, v26, s7
	v_perm_b32 v4, v69, v68, s7
	;; [unrolled: 1-line block ×3, first 2 shown]
	v_cvt_pk_f32_fp8_e32 v[34:35], v29
	v_cvt_pk_f32_fp8_sdwa v[68:69], v29 src0_sel:WORD_1
	v_mfma_f32_16x16x16_bf16 v[26:29], v[58:59], v[36:37], v[62:65]
	s_waitcnt vmcnt(2)
	v_cvt_pk_f32_fp8_sdwa v[36:37], v18 src0_sel:WORD_1
	v_perm_b32 v34, v35, v34, s7
	v_perm_b32 v35, v69, v68, s7
	v_mfma_f32_16x16x16_bf16 v[26:29], v[4:5], v[38:39], v[26:29]
	v_cvt_pk_f32_fp8_e32 v[4:5], v18
	v_cvt_pk_f32_fp8_sdwa v[38:39], v20 src0_sel:WORD_1
	v_bfe_u32 v57, v67, 16, 1
	v_mfma_f32_16x16x16_bf16 v[26:29], v[34:35], v[40:41], v[26:29]
	v_cvt_pk_f32_fp8_e32 v[34:35], v19
	v_perm_b32 v4, v5, v4, s7
	v_perm_b32 v5, v37, v36, s7
	v_cvt_pk_f32_fp8_sdwa v[18:19], v19 src0_sel:WORD_1
	v_perm_b32 v34, v35, v34, s7
	v_cvt_pk_f32_fp8_e32 v[36:37], v20
	v_mfma_f32_16x16x16_bf16 v[26:29], v[4:5], v[30:31], v[26:29]
	v_perm_b32 v35, v19, v18, s7
	v_perm_b32 v4, v37, v36, s7
	;; [unrolled: 1-line block ×3, first 2 shown]
	v_cvt_pk_f32_fp8_e32 v[30:31], v21
	v_cvt_pk_f32_fp8_sdwa v[36:37], v21 src0_sel:WORD_1
	v_mfma_f32_16x16x16_bf16 v[18:21], v[34:35], v[32:33], v[26:29]
	v_bfe_u32 v58, v66, 16, 1
	v_add3_u32 v32, v66, v58, s10
	v_add3_u32 v33, v67, v57, s10
	v_perm_b32 v26, v31, v30, s7
	v_perm_b32 v27, v37, v36, s7
	v_mfma_f32_16x16x16_bf16 v[18:21], v[4:5], v[42:43], v[18:21]
	s_waitcnt vmcnt(1)
	v_cvt_pk_f32_fp8_e32 v[4:5], v14
	v_cvt_pk_f32_fp8_sdwa v[28:29], v14 src0_sel:WORD_1
	v_cvt_pk_f32_fp8_sdwa v[30:31], v16 src0_sel:WORD_1
	v_mfma_f32_16x16x16_bf16 v[18:21], v[26:27], v[44:45], v[18:21]
	v_cvt_pk_f32_fp8_e32 v[26:27], v15
	v_perm_b32 v4, v5, v4, s7
	v_perm_b32 v5, v29, v28, s7
	v_cvt_pk_f32_fp8_sdwa v[14:15], v15 src0_sel:WORD_1
	v_perm_b32 v26, v27, v26, s7
	v_cvt_pk_f32_fp8_e32 v[28:29], v16
	v_mfma_f32_16x16x16_bf16 v[18:21], v[4:5], v[22:23], v[18:21]
	v_perm_b32 v27, v15, v14, s7
	v_perm_b32 v4, v29, v28, s7
	;; [unrolled: 1-line block ×3, first 2 shown]
	v_cvt_pk_f32_fp8_e32 v[22:23], v17
	v_cvt_pk_f32_fp8_sdwa v[28:29], v17 src0_sel:WORD_1
	v_mfma_f32_16x16x16_bf16 v[14:17], v[26:27], v[24:25], v[18:21]
	s_waitcnt vmcnt(0)
	v_cvt_pk_f32_fp8_sdwa v[24:25], v8 src0_sel:WORD_1
	s_nop 0
	v_perm_b32 v20, v23, v22, s7
	v_perm_b32 v21, v29, v28, s7
	v_mfma_f32_16x16x16_bf16 v[14:17], v[4:5], v[46:47], v[14:17]
	v_cvt_pk_f32_fp8_e32 v[4:5], v6
	v_cvt_pk_f32_fp8_sdwa v[22:23], v6 src0_sel:WORD_1
	v_bfe_u32 v19, v3, 16, 1
	v_mfma_f32_16x16x16_bf16 v[14:17], v[20:21], v[48:49], v[14:17]
	v_cvt_pk_f32_fp8_e32 v[20:21], v7
	v_perm_b32 v4, v5, v4, s7
	v_perm_b32 v5, v23, v22, s7
	v_cvt_pk_f32_fp8_sdwa v[6:7], v7 src0_sel:WORD_1
	v_perm_b32 v20, v21, v20, s7
	v_cvt_pk_f32_fp8_e32 v[22:23], v8
	v_add3_u32 v3, v3, v19, s10
	v_perm_b32 v21, v7, v6, s7
	v_mfma_f32_16x16x16_bf16 v[4:7], v[4:5], v[10:11], v[14:17]
	v_perm_b32 v10, v23, v22, s7
	v_perm_b32 v11, v25, v24, s7
	;; [unrolled: 1-line block ×3, first 2 shown]
	v_cvt_pk_f32_fp8_e32 v[14:15], v9
	v_cvt_pk_f32_fp8_sdwa v[8:9], v9 src0_sel:WORD_1
	v_mfma_f32_16x16x16_bf16 v[4:7], v[20:21], v[12:13], v[4:7]
	v_bfe_u32 v16, v2, 16, 1
	v_perm_b32 v12, v15, v14, s7
	v_perm_b32 v13, v9, v8, s7
	v_mfma_f32_16x16x16_bf16 v[4:7], v[10:11], v[50:51], v[4:7]
	v_add3_u32 v2, v2, v16, s10
	v_perm_b32 v19, v3, v2, s7
	v_mfma_f32_16x16x16_bf16 v[2:5], v[12:13], v[52:53], v[4:7]
	s_nop 6
	v_pk_mul_f32 v[2:3], v[2:3], s[6:7] op_sel_hi:[1,0]
	v_pk_mul_f32 v[4:5], v[4:5], s[6:7] op_sel_hi:[1,0]
	v_bfe_u32 v6, v3, 16, 1
	v_bfe_u32 v7, v2, 16, 1
	v_add3_u32 v2, v2, v7, s10
	v_add3_u32 v3, v3, v6, s10
	v_perm_b32 v2, v3, v2, s7
	v_bfe_u32 v3, v5, 16, 1
	v_bfe_u32 v6, v4, 16, 1
	v_add3_u32 v4, v4, v6, s10
	v_add3_u32 v3, v5, v3, s10
	v_perm_b32 v3, v3, v4, s7
	ds_write2st64_b64 v55, v[18:19], v[2:3] offset1:1
	s_waitcnt lgkmcnt(0)
	s_barrier
	s_and_saveexec_b64 s[6:7], vcc
	s_cbranch_execz .LBB1396_18
; %bb.16:
	s_load_dwordx2 s[6:7], s[0:1], 0x68
	s_lshl_b32 s0, s8, 7
	s_mul_i32 s1, s9, s2
	v_lshlrev_b32_e32 v3, 6, v56
	s_mul_hi_u32 s9, s1, s0
	s_mul_i32 s8, s1, s0
	v_lshl_or_b32 v0, v0, 10, v3
	s_lshl_b64 s[8:9], s[8:9], 1
	v_lshlrev_b32_e32 v2, 5, v60
	v_and_b32_e32 v1, 16, v1
	v_and_b32_e32 v0, 0x1a00, v0
	s_waitcnt lgkmcnt(0)
	s_add_u32 s1, s6, s8
	v_or3_b32 v2, v0, v2, v1
	s_addc_u32 s6, s7, s9
	s_lshl_b32 s2, s22, 7
	s_lshl_b64 s[2:3], s[2:3], 1
	ds_read_b128 v[4:7], v2 offset:128
	ds_read_b128 v[8:11], v2
	s_add_u32 s2, s1, s2
	s_addc_u32 s3, s6, s3
	v_mov_b32_e32 v55, 0
	v_add_u32_e32 v3, s48, v60
	v_lshl_add_u64 v[0:1], s[2:3], 0, v[54:55]
	v_mad_u64_u32 v[12:13], s[2:3], v3, s0, 0
	v_lshl_add_u64 v[12:13], v[12:13], 1, v[0:1]
	v_add_u32_e32 v3, 4, v3
	s_waitcnt lgkmcnt(0)
	global_store_dwordx4 v[12:13], v[8:11], off
	s_nop 1
	v_mad_u64_u32 v[8:9], s[2:3], v3, s0, 0
	v_lshl_add_u64 v[8:9], v[8:9], 1, v[0:1]
	global_store_dwordx4 v[8:9], v[4:7], off
	s_and_b64 exec, exec, s[4:5]
	s_cbranch_execz .LBB1396_18
; %bb.17:
	ds_read_b128 v[2:5], v2 offset:256
	v_add3_u32 v6, s48, v60, 8
	v_mad_u64_u32 v[6:7], s[0:1], v6, s0, 0
	v_lshl_add_u64 v[0:1], v[6:7], 1, v[0:1]
	s_waitcnt lgkmcnt(0)
	global_store_dwordx4 v[0:1], v[2:5], off
.LBB1396_18:
	s_endpgm
	.section	.rodata,"a",@progbits
	.p2align	6, 0x0
	.amdhsa_kernel _Z39paged_attention_ll4mi_QKV_mfma16_kernelI14__hip_bfloat16hLN4vllm18Fp8KVCacheDataTypeE1ES0_Li32ELi128ELi256ELb0ELi9EEvPKT_PKT0_S8_ifPKiSA_SA_iPKfiiiPfSD_PS3_PT2_iSC_SC_
		.amdhsa_group_segment_fixed_size 8192
		.amdhsa_private_segment_fixed_size 0
		.amdhsa_kernarg_size 400
		.amdhsa_user_sgpr_count 2
		.amdhsa_user_sgpr_dispatch_ptr 0
		.amdhsa_user_sgpr_queue_ptr 0
		.amdhsa_user_sgpr_kernarg_segment_ptr 1
		.amdhsa_user_sgpr_dispatch_id 0
		.amdhsa_user_sgpr_kernarg_preload_length 0
		.amdhsa_user_sgpr_kernarg_preload_offset 0
		.amdhsa_user_sgpr_private_segment_size 0
		.amdhsa_uses_dynamic_stack 0
		.amdhsa_enable_private_segment 0
		.amdhsa_system_sgpr_workgroup_id_x 1
		.amdhsa_system_sgpr_workgroup_id_y 1
		.amdhsa_system_sgpr_workgroup_id_z 1
		.amdhsa_system_sgpr_workgroup_info 0
		.amdhsa_system_vgpr_workitem_id 0
		.amdhsa_next_free_vgpr 82
		.amdhsa_next_free_sgpr 50
		.amdhsa_accum_offset 84
		.amdhsa_reserve_vcc 1
		.amdhsa_float_round_mode_32 0
		.amdhsa_float_round_mode_16_64 0
		.amdhsa_float_denorm_mode_32 3
		.amdhsa_float_denorm_mode_16_64 3
		.amdhsa_dx10_clamp 1
		.amdhsa_ieee_mode 1
		.amdhsa_fp16_overflow 0
		.amdhsa_tg_split 0
		.amdhsa_exception_fp_ieee_invalid_op 0
		.amdhsa_exception_fp_denorm_src 0
		.amdhsa_exception_fp_ieee_div_zero 0
		.amdhsa_exception_fp_ieee_overflow 0
		.amdhsa_exception_fp_ieee_underflow 0
		.amdhsa_exception_fp_ieee_inexact 0
		.amdhsa_exception_int_div_zero 0
	.end_amdhsa_kernel
	.section	.text._Z39paged_attention_ll4mi_QKV_mfma16_kernelI14__hip_bfloat16hLN4vllm18Fp8KVCacheDataTypeE1ES0_Li32ELi128ELi256ELb0ELi9EEvPKT_PKT0_S8_ifPKiSA_SA_iPKfiiiPfSD_PS3_PT2_iSC_SC_,"axG",@progbits,_Z39paged_attention_ll4mi_QKV_mfma16_kernelI14__hip_bfloat16hLN4vllm18Fp8KVCacheDataTypeE1ES0_Li32ELi128ELi256ELb0ELi9EEvPKT_PKT0_S8_ifPKiSA_SA_iPKfiiiPfSD_PS3_PT2_iSC_SC_,comdat
.Lfunc_end1396:
	.size	_Z39paged_attention_ll4mi_QKV_mfma16_kernelI14__hip_bfloat16hLN4vllm18Fp8KVCacheDataTypeE1ES0_Li32ELi128ELi256ELb0ELi9EEvPKT_PKT0_S8_ifPKiSA_SA_iPKfiiiPfSD_PS3_PT2_iSC_SC_, .Lfunc_end1396-_Z39paged_attention_ll4mi_QKV_mfma16_kernelI14__hip_bfloat16hLN4vllm18Fp8KVCacheDataTypeE1ES0_Li32ELi128ELi256ELb0ELi9EEvPKT_PKT0_S8_ifPKiSA_SA_iPKfiiiPfSD_PS3_PT2_iSC_SC_
                                        ; -- End function
	.section	.AMDGPU.csdata,"",@progbits
; Kernel info:
; codeLenInByte = 6416
; NumSgprs: 56
; NumVgprs: 82
; NumAgprs: 0
; TotalNumVgprs: 82
; ScratchSize: 0
; MemoryBound: 0
; FloatMode: 240
; IeeeMode: 1
; LDSByteSize: 8192 bytes/workgroup (compile time only)
; SGPRBlocks: 6
; VGPRBlocks: 10
; NumSGPRsForWavesPerEU: 56
; NumVGPRsForWavesPerEU: 82
; AccumOffset: 84
; Occupancy: 5
; WaveLimiterHint : 1
; COMPUTE_PGM_RSRC2:SCRATCH_EN: 0
; COMPUTE_PGM_RSRC2:USER_SGPR: 2
; COMPUTE_PGM_RSRC2:TRAP_HANDLER: 0
; COMPUTE_PGM_RSRC2:TGID_X_EN: 1
; COMPUTE_PGM_RSRC2:TGID_Y_EN: 1
; COMPUTE_PGM_RSRC2:TGID_Z_EN: 1
; COMPUTE_PGM_RSRC2:TIDIG_COMP_CNT: 0
; COMPUTE_PGM_RSRC3_GFX90A:ACCUM_OFFSET: 20
; COMPUTE_PGM_RSRC3_GFX90A:TG_SPLIT: 0
	.section	.text._Z39paged_attention_ll4mi_QKV_mfma16_kernelI14__hip_bfloat16hLN4vllm18Fp8KVCacheDataTypeE1ES0_Li32ELi128ELi256ELb0ELi10EEvPKT_PKT0_S8_ifPKiSA_SA_iPKfiiiPfSD_PS3_PT2_iSC_SC_,"axG",@progbits,_Z39paged_attention_ll4mi_QKV_mfma16_kernelI14__hip_bfloat16hLN4vllm18Fp8KVCacheDataTypeE1ES0_Li32ELi128ELi256ELb0ELi10EEvPKT_PKT0_S8_ifPKiSA_SA_iPKfiiiPfSD_PS3_PT2_iSC_SC_,comdat
	.protected	_Z39paged_attention_ll4mi_QKV_mfma16_kernelI14__hip_bfloat16hLN4vllm18Fp8KVCacheDataTypeE1ES0_Li32ELi128ELi256ELb0ELi10EEvPKT_PKT0_S8_ifPKiSA_SA_iPKfiiiPfSD_PS3_PT2_iSC_SC_ ; -- Begin function _Z39paged_attention_ll4mi_QKV_mfma16_kernelI14__hip_bfloat16hLN4vllm18Fp8KVCacheDataTypeE1ES0_Li32ELi128ELi256ELb0ELi10EEvPKT_PKT0_S8_ifPKiSA_SA_iPKfiiiPfSD_PS3_PT2_iSC_SC_
	.globl	_Z39paged_attention_ll4mi_QKV_mfma16_kernelI14__hip_bfloat16hLN4vllm18Fp8KVCacheDataTypeE1ES0_Li32ELi128ELi256ELb0ELi10EEvPKT_PKT0_S8_ifPKiSA_SA_iPKfiiiPfSD_PS3_PT2_iSC_SC_
	.p2align	8
	.type	_Z39paged_attention_ll4mi_QKV_mfma16_kernelI14__hip_bfloat16hLN4vllm18Fp8KVCacheDataTypeE1ES0_Li32ELi128ELi256ELb0ELi10EEvPKT_PKT0_S8_ifPKiSA_SA_iPKfiiiPfSD_PS3_PT2_iSC_SC_,@function
_Z39paged_attention_ll4mi_QKV_mfma16_kernelI14__hip_bfloat16hLN4vllm18Fp8KVCacheDataTypeE1ES0_Li32ELi128ELi256ELb0ELi10EEvPKT_PKT0_S8_ifPKiSA_SA_iPKfiiiPfSD_PS3_PT2_iSC_SC_: ; @_Z39paged_attention_ll4mi_QKV_mfma16_kernelI14__hip_bfloat16hLN4vllm18Fp8KVCacheDataTypeE1ES0_Li32ELi128ELi256ELb0ELi10EEvPKT_PKT0_S8_ifPKiSA_SA_iPKfiiiPfSD_PS3_PT2_iSC_SC_
; %bb.0:
	s_load_dwordx2 s[12:13], s[0:1], 0x30
	s_mov_b32 s22, s3
	s_mov_b64 s[6:7], 0
	s_waitcnt lgkmcnt(0)
	s_cmp_lg_u64 s[12:13], 0
	s_cselect_b64 s[14:15], -1, 0
	s_and_b64 vcc, exec, s[14:15]
	s_cbranch_vccz .LBB1397_7
; %bb.1:
	s_add_i32 s8, s2, 1
	s_mov_b32 s9, 0
	s_lshl_b64 s[10:11], s[8:9], 2
	s_add_u32 s10, s12, s10
	s_mov_b32 s3, s9
	s_addc_u32 s11, s13, s11
	s_lshl_b64 s[8:9], s[2:3], 2
	s_add_u32 s8, s12, s8
	s_addc_u32 s9, s13, s9
	s_load_dword s5, s[10:11], 0x0
	s_load_dword s16, s[8:9], 0x0
	s_waitcnt lgkmcnt(0)
	s_sub_i32 s5, s5, s16
	s_cmp_eq_u32 s5, 1
	s_cselect_b64 s[8:9], -1, 0
	s_andn2_b64 vcc, exec, s[6:7]
	s_cbranch_vccnz .LBB1397_3
.LBB1397_2:
	s_mov_b32 s3, 0
	s_mov_b64 s[8:9], -1
.LBB1397_3:
	s_andn2_b64 vcc, exec, s[8:9]
	s_cbranch_vccnz .LBB1397_18
; %bb.4:
	s_load_dwordx2 s[6:7], s[0:1], 0x28
	s_lshl_b64 s[16:17], s[2:3], 2
	s_waitcnt lgkmcnt(0)
	s_add_u32 s6, s6, s16
	s_addc_u32 s7, s7, s17
	s_load_dword s5, s[6:7], 0x0
	s_lshl_b32 s18, s22, 8
	s_waitcnt lgkmcnt(0)
	s_cmp_ge_i32 s18, s5
	s_cbranch_scc1 .LBB1397_18
; %bb.5:
	s_load_dwordx2 s[6:7], s[0:1], 0x20
	s_load_dword s8, s[0:1], 0x38
	s_add_i32 s9, s5, 31
	s_ashr_i32 s10, s9, 31
	v_and_b32_e32 v1, 0xcf, v0
	s_lshr_b32 s10, s10, 27
	v_add_u32_e32 v1, s18, v1
	s_add_i32 s9, s9, s10
	v_ashrrev_i32_e32 v2, 31, v1
	s_ashr_i32 s19, s9, 5
	v_lshrrev_b32_e32 v8, 27, v2
	s_add_i32 s19, s19, -1
	s_waitcnt lgkmcnt(0)
	s_mul_i32 s8, s2, s8
	s_mov_b32 s9, 0
	v_add_u32_e32 v2, v1, v8
	s_lshl_b64 s[8:9], s[8:9], 2
	v_ashrrev_i32_e32 v2, 5, v2
	v_mov_b32_e32 v9, s19
	v_cmp_gt_i32_e32 vcc, s5, v1
	s_add_u32 s6, s6, s8
	s_addc_u32 s7, s7, s9
	v_cndmask_b32_e32 v2, v9, v2, vcc
	v_ashrrev_i32_e32 v3, 31, v2
	v_lshl_add_u64 v[4:5], v[2:3], 2, s[6:7]
	v_or_b32_e32 v2, 16, v1
	v_add_u32_e32 v3, v2, v8
	v_ashrrev_i32_e32 v3, 5, v3
	v_cmp_gt_i32_e32 vcc, s5, v2
	s_load_dwordx4 s[8:11], s[0:1], 0x8
	s_nop 0
	v_cndmask_b32_e32 v2, v9, v3, vcc
	v_ashrrev_i32_e32 v3, 31, v2
	v_lshl_add_u64 v[6:7], v[2:3], 2, s[6:7]
	v_or_b32_e32 v2, 32, v1
	v_add_u32_e32 v3, v2, v8
	v_ashrrev_i32_e32 v3, 5, v3
	v_cmp_gt_i32_e32 vcc, s5, v2
	v_or_b32_e32 v1, 48, v1
	s_nop 0
	v_cndmask_b32_e32 v2, v9, v3, vcc
	v_ashrrev_i32_e32 v3, 31, v2
	v_lshl_add_u64 v[10:11], v[2:3], 2, s[6:7]
	v_add_u32_e32 v2, v1, v8
	v_ashrrev_i32_e32 v2, 5, v2
	v_cmp_gt_i32_e32 vcc, s5, v1
	s_nop 1
	v_cndmask_b32_e32 v2, v9, v2, vcc
	v_ashrrev_i32_e32 v3, 31, v2
	v_lshl_add_u64 v[12:13], v[2:3], 2, s[6:7]
	global_load_dword v2, v[4:5], off
	global_load_dword v8, v[6:7], off
	;; [unrolled: 1-line block ×4, first 2 shown]
	s_andn2_b64 vcc, exec, s[14:15]
	s_cbranch_vccnz .LBB1397_8
; %bb.6:
	s_add_u32 s12, s12, s16
	s_addc_u32 s13, s13, s17
	s_load_dword s14, s[12:13], 0x0
	s_branch .LBB1397_9
.LBB1397_7:
	s_mov_b64 s[8:9], 0
	s_branch .LBB1397_2
.LBB1397_8:
	s_mov_b32 s14, s2
.LBB1397_9:
	s_load_dwordx4 s[44:47], s[0:1], 0x48
	v_lshrrev_b32_e32 v57, 6, v0
	v_bfe_u32 v60, v0, 4, 2
	v_and_b32_e32 v56, 15, v0
	v_lshl_or_b32 v3, v57, 2, v60
	v_lshlrev_b32_e32 v1, 3, v56
	v_and_b32_e32 v61, 63, v0
	s_mul_i32 s48, s4, 10
	v_cmp_gt_u32_e32 vcc, 10, v3
	v_lshlrev_b32_e32 v54, 1, v1
	v_lshlrev_b32_e32 v1, 4, v0
	s_and_saveexec_b64 s[12:13], vcc
	s_cbranch_execz .LBB1397_11
; %bb.10:
	s_load_dwordx2 s[16:17], s[0:1], 0x0
	s_waitcnt lgkmcnt(0)
	s_ashr_i32 s15, s44, 31
	s_mul_hi_u32 s20, s14, s44
	s_mul_i32 s15, s14, s15
	s_add_i32 s15, s20, s15
	s_mul_i32 s14, s14, s44
	s_lshl_b64 s[14:15], s[14:15], 1
	s_add_u32 s14, s16, s14
	v_add_lshl_u32 v4, v3, s48, 7
	s_addc_u32 s15, s17, s15
	v_ashrrev_i32_e32 v5, 31, v4
	v_lshl_add_u64 v[4:5], v[4:5], 1, s[14:15]
	v_mov_b32_e32 v55, 0
	v_lshl_add_u64 v[4:5], v[4:5], 0, v[54:55]
	global_load_dwordx4 v[4:7], v[4:5], off
	v_lshlrev_b32_e32 v10, 8, v0
	v_lshlrev_b32_e32 v9, 8, v56
	v_and_b32_e32 v10, 0x600, v10
	s_movk_i32 s14, 0x800
	v_and_or_b32 v9, v9, s14, v10
	v_lshlrev_b32_e32 v3, 5, v3
	v_and_b32_e32 v10, 16, v1
	v_or3_b32 v3, v9, v3, v10
	s_waitcnt vmcnt(0)
	ds_write_b128 v3, v[4:7]
.LBB1397_11:
	s_or_b64 exec, exec, s[12:13]
	s_waitcnt lgkmcnt(0)
	s_mul_i32 s12, s4, s46
	s_add_u32 s8, s8, s12
	s_addc_u32 s9, s9, 0
	v_mov_b32_e32 v51, 0
	v_mov_b64_e32 v[12:13], s[8:9]
	v_and_b32_e32 v9, 48, v0
	s_waitcnt vmcnt(3)
	v_mad_i64_i32 v[2:3], s[8:9], v2, s45, v[12:13]
	v_lshlrev_b32_e32 v10, 4, v56
	v_mov_b32_e32 v11, v51
	v_lshlrev_b32_e32 v50, 5, v9
	v_lshl_add_u64 v[2:3], v[2:3], 0, v[10:11]
	v_lshl_add_u64 v[6:7], v[2:3], 0, v[50:51]
	s_load_dword s23, s[0:1], 0x98
	s_load_dwordx4 s[40:43], s[0:1], 0x80
	s_waitcnt lgkmcnt(0)
	s_barrier
	global_load_dwordx4 v[2:5], v[6:7], off
	global_load_dwordx4 v[42:45], v[6:7], off offset:2048
	v_add_u32_e32 v14, -10, v56
	v_cmp_gt_u32_e32 vcc, 10, v56
	s_ashr_i32 s8, s18, 31
	v_or_b32_e32 v24, 0x100, v10
	v_cndmask_b32_e32 v6, v14, v56, vcc
	v_mov_b32_e32 v25, v51
	s_lshr_b32 s13, s8, 27
	s_waitcnt vmcnt(4)
	v_mad_i64_i32 v[30:31], s[8:9], v8, s45, v[12:13]
	v_lshlrev_b32_e32 v6, 5, v6
	v_lshl_add_u64 v[30:31], v[30:31], 0, v[24:25]
	v_lshl_add_u32 v6, v60, 9, v6
	v_lshl_add_u64 v[30:31], v[30:31], 0, v[50:51]
	v_or_b32_e32 v37, s18, v9
	ds_read_b128 v[26:29], v6
	ds_read_b128 v[18:21], v6 offset:16
	ds_read_b128 v[14:17], v6 offset:2048
	;; [unrolled: 1-line block ×3, first 2 shown]
	global_load_dwordx4 v[46:49], v[30:31], off
	s_waitcnt vmcnt(4)
	v_mad_i64_i32 v[32:33], s[8:9], v22, s45, v[12:13]
	v_lshl_add_u64 v[10:11], v[32:33], 0, v[10:11]
	global_load_dwordx4 v[30:33], v[30:31], off offset:2048
	v_or_b32_e32 v38, 64, v37
	v_add_u32_e32 v22, s13, v37
	v_mov_b32_e32 v36, s19
	v_or_b32_e32 v39, 0x80, v37
	s_waitcnt vmcnt(4)
	v_mad_i64_i32 v[12:13], s[8:9], v23, s45, v[12:13]
	v_add_u32_e32 v23, s13, v38
	v_ashrrev_i32_e32 v22, 5, v22
	v_cmp_gt_i32_e32 vcc, s5, v37
	v_or_b32_e32 v40, 0xc0, v37
	v_add_u32_e32 v34, s13, v39
	v_ashrrev_i32_e32 v23, 5, v23
	v_cndmask_b32_e32 v52, v36, v22, vcc
	v_cmp_gt_i32_e32 vcc, s5, v38
	v_add_u32_e32 v35, s13, v40
	v_lshl_add_u64 v[12:13], v[12:13], 0, v[24:25]
	v_ashrrev_i32_e32 v24, 5, v34
	v_cndmask_b32_e32 v58, v36, v23, vcc
	v_cmp_gt_i32_e32 vcc, s5, v39
	v_ashrrev_i32_e32 v25, 5, v35
	v_lshl_add_u64 v[10:11], v[10:11], 0, v[50:51]
	v_lshl_add_u64 v[34:35], v[12:13], 0, v[50:51]
	v_cndmask_b32_e32 v62, v36, v24, vcc
	v_cmp_gt_i32_e32 vcc, s5, v40
	v_ashrrev_i32_e32 v53, 31, v52
	v_ashrrev_i32_e32 v59, 31, v58
	v_cndmask_b32_e32 v64, v36, v25, vcc
	global_load_dwordx4 v[22:25], v[10:11], off
	s_nop 0
	global_load_dwordx4 v[10:13], v[10:11], off offset:2048
	s_nop 0
	global_load_dwordx4 v[38:41], v[34:35], off
	s_nop 0
	global_load_dwordx4 v[34:37], v[34:35], off offset:2048
	v_ashrrev_i32_e32 v63, 31, v62
	v_ashrrev_i32_e32 v65, 31, v64
	v_lshl_add_u64 v[52:53], v[52:53], 2, s[6:7]
	v_lshl_add_u64 v[66:67], v[58:59], 2, s[6:7]
	;; [unrolled: 1-line block ×4, first 2 shown]
	global_load_dword v58, v[52:53], off
	global_load_dword v64, v[66:67], off
	;; [unrolled: 1-line block ×3, first 2 shown]
	s_nop 0
	global_load_dword v62, v[68:69], off
	s_mov_b32 s33, 0x7060302
	s_add_u32 s6, s10, s12
	s_addc_u32 s7, s11, 0
	v_and_b32_e32 v50, 16, v0
	v_lshl_or_b32 v63, v57, 4, v56
	s_load_dword s4, s[0:1], 0x1c
	s_waitcnt vmcnt(11)
	v_cvt_pk_f32_fp8_e32 v[52:53], v2
	v_cvt_pk_f32_fp8_sdwa v[66:67], v2 src0_sel:WORD_1
	v_cvt_pk_f32_fp8_e32 v[68:69], v3
	v_cvt_pk_f32_fp8_sdwa v[2:3], v3 src0_sel:WORD_1
	v_perm_b32 v52, v53, v52, s33
	v_perm_b32 v53, v67, v66, s33
	v_cvt_pk_f32_fp8_e32 v[70:71], v4
	v_cvt_pk_f32_fp8_sdwa v[72:73], v4 src0_sel:WORD_1
	v_perm_b32 v74, v69, v68, s33
	v_perm_b32 v75, v3, v2, s33
	s_waitcnt lgkmcnt(0)
	v_mfma_f32_16x16x16_bf16 v[66:69], v[52:53], v[26:27], 0
	v_cvt_pk_f32_fp8_e32 v[2:3], v5
	v_perm_b32 v52, v71, v70, s33
	v_perm_b32 v53, v73, v72, s33
	v_cvt_pk_f32_fp8_sdwa v[4:5], v5 src0_sel:WORD_1
	v_mfma_f32_16x16x16_bf16 v[66:69], v[74:75], v[28:29], v[66:69]
	v_perm_b32 v70, v3, v2, s33
	s_waitcnt vmcnt(10)
	v_cvt_pk_f32_fp8_e32 v[72:73], v42
	v_cvt_pk_f32_fp8_sdwa v[74:75], v42 src0_sel:WORD_1
	v_perm_b32 v71, v5, v4, s33
	v_mfma_f32_16x16x16_bf16 v[2:5], v[52:53], v[18:19], v[66:69]
	v_perm_b32 v52, v73, v72, s33
	v_perm_b32 v53, v75, v74, s33
	s_waitcnt vmcnt(6)
	v_cvt_pk_f32_fp8_e32 v[74:75], v11
	v_cvt_pk_f32_fp8_e32 v[66:67], v43
	v_cvt_pk_f32_fp8_sdwa v[42:43], v43 src0_sel:WORD_1
	v_mfma_f32_16x16x16_bf16 v[2:5], v[70:71], v[20:21], v[2:5]
	v_cvt_pk_f32_fp8_sdwa v[68:69], v46 src0_sel:WORD_1
	v_perm_b32 v66, v67, v66, s33
	v_perm_b32 v67, v43, v42, s33
	v_mfma_f32_16x16x16_bf16 v[2:5], v[52:53], v[14:15], v[2:5]
	v_cvt_pk_f32_fp8_e32 v[42:43], v44
	v_cvt_pk_f32_fp8_sdwa v[52:53], v44 src0_sel:WORD_1
	v_cvt_pk_f32_fp8_sdwa v[70:71], v30 src0_sel:WORD_1
	v_mfma_f32_16x16x16_bf16 v[2:5], v[66:67], v[16:17], v[2:5]
	v_cvt_pk_f32_fp8_e32 v[66:67], v45
	v_perm_b32 v42, v43, v42, s33
	v_perm_b32 v43, v53, v52, s33
	v_cvt_pk_f32_fp8_sdwa v[44:45], v45 src0_sel:WORD_1
	v_perm_b32 v52, v67, v66, s33
	v_cvt_pk_f32_fp8_e32 v[66:67], v46
	v_mfma_f32_16x16x16_bf16 v[2:5], v[42:43], v[6:7], v[2:5]
	v_perm_b32 v53, v45, v44, s33
	v_perm_b32 v66, v67, v66, s33
	;; [unrolled: 1-line block ×3, first 2 shown]
	v_cvt_pk_f32_fp8_e32 v[68:69], v47
	v_cvt_pk_f32_fp8_sdwa v[46:47], v47 src0_sel:WORD_1
	v_mfma_f32_16x16x16_bf16 v[42:45], v[52:53], v[8:9], v[2:5]
	v_lshl_add_u64 v[52:53], s[6:7], 0, v[50:51]
	v_perm_b32 v68, v69, v68, s33
	v_perm_b32 v69, v47, v46, s33
	v_mfma_f32_16x16x16_bf16 v[2:5], v[66:67], v[26:27], 0
	v_cvt_pk_f32_fp8_e32 v[46:47], v48
	v_cvt_pk_f32_fp8_sdwa v[66:67], v48 src0_sel:WORD_1
	v_lshlrev_b32_e32 v50, 5, v63
	v_mfma_f32_16x16x16_bf16 v[2:5], v[68:69], v[28:29], v[2:5]
	v_cvt_pk_f32_fp8_e32 v[68:69], v49
	v_perm_b32 v46, v47, v46, s33
	v_perm_b32 v47, v67, v66, s33
	v_cvt_pk_f32_fp8_sdwa v[48:49], v49 src0_sel:WORD_1
	v_perm_b32 v66, v69, v68, s33
	v_cvt_pk_f32_fp8_e32 v[68:69], v30
	v_mfma_f32_16x16x16_bf16 v[2:5], v[46:47], v[18:19], v[2:5]
	v_perm_b32 v67, v49, v48, s33
	v_perm_b32 v46, v69, v68, s33
	;; [unrolled: 1-line block ×3, first 2 shown]
	v_cvt_pk_f32_fp8_e32 v[48:49], v31
	v_cvt_pk_f32_fp8_sdwa v[30:31], v31 src0_sel:WORD_1
	v_mfma_f32_16x16x16_bf16 v[2:5], v[66:67], v[20:21], v[2:5]
	v_cvt_pk_f32_fp8_sdwa v[66:67], v22 src0_sel:WORD_1
	v_perm_b32 v48, v49, v48, s33
	v_perm_b32 v49, v31, v30, s33
	v_mfma_f32_16x16x16_bf16 v[2:5], v[46:47], v[14:15], v[2:5]
	v_cvt_pk_f32_fp8_e32 v[30:31], v32
	v_cvt_pk_f32_fp8_sdwa v[46:47], v32 src0_sel:WORD_1
	v_cvt_pk_f32_fp8_sdwa v[80:81], v13 src0_sel:WORD_1
	v_mfma_f32_16x16x16_bf16 v[2:5], v[48:49], v[16:17], v[2:5]
	v_cvt_pk_f32_fp8_e32 v[48:49], v33
	v_perm_b32 v30, v31, v30, s33
	v_perm_b32 v31, v47, v46, s33
	v_cvt_pk_f32_fp8_sdwa v[32:33], v33 src0_sel:WORD_1
	v_perm_b32 v46, v49, v48, s33
	v_cvt_pk_f32_fp8_e32 v[48:49], v22
	v_mfma_f32_16x16x16_bf16 v[2:5], v[30:31], v[6:7], v[2:5]
	v_perm_b32 v47, v33, v32, s33
	v_perm_b32 v30, v49, v48, s33
	;; [unrolled: 1-line block ×3, first 2 shown]
	v_cvt_pk_f32_fp8_e32 v[32:33], v23
	v_cvt_pk_f32_fp8_sdwa v[22:23], v23 src0_sel:WORD_1
	v_mfma_f32_16x16x16_bf16 v[46:49], v[46:47], v[8:9], v[2:5]
	v_lshl_add_u64 v[66:67], v[52:53], 0, v[50:51]
	v_perm_b32 v32, v33, v32, s33
	v_perm_b32 v33, v23, v22, s33
	v_mfma_f32_16x16x16_bf16 v[2:5], v[30:31], v[26:27], 0
	v_cvt_pk_f32_fp8_e32 v[22:23], v24
	v_cvt_pk_f32_fp8_sdwa v[30:31], v24 src0_sel:WORD_1
	s_waitcnt vmcnt(3)
	v_mad_i64_i32 v[68:69], s[6:7], v58, s45, v[66:67]
	v_perm_b32 v22, v23, v22, s33
	v_perm_b32 v23, v31, v30, s33
	v_cvt_pk_f32_fp8_e32 v[30:31], v25
	v_cvt_pk_f32_fp8_sdwa v[24:25], v25 src0_sel:WORD_1
	v_mfma_f32_16x16x16_bf16 v[2:5], v[32:33], v[28:29], v[2:5]
	s_waitcnt vmcnt(2)
	v_mad_i64_i32 v[70:71], s[6:7], v64, s45, v[66:67]
	v_perm_b32 v72, v31, v30, s33
	v_perm_b32 v73, v25, v24, s33
	v_mfma_f32_16x16x16_bf16 v[2:5], v[22:23], v[18:19], v[2:5]
	global_load_dwordx4 v[30:33], v[68:69], off
	global_load_dwordx4 v[22:25], v[70:71], off
	v_cvt_pk_f32_fp8_e32 v[68:69], v10
	s_waitcnt vmcnt(3)
	v_mad_i64_i32 v[70:71], s[6:7], v55, s45, v[66:67]
	v_mfma_f32_16x16x16_bf16 v[2:5], v[72:73], v[20:21], v[2:5]
	v_cvt_pk_f32_fp8_sdwa v[72:73], v10 src0_sel:WORD_1
	v_cvt_pk_f32_fp8_sdwa v[10:11], v11 src0_sel:WORD_1
	v_perm_b32 v68, v69, v68, s33
	s_waitcnt vmcnt(2)
	v_mad_i64_i32 v[76:77], s[6:7], v62, s45, v[66:67]
	v_perm_b32 v69, v73, v72, s33
	v_perm_b32 v72, v75, v74, s33
	;; [unrolled: 1-line block ×3, first 2 shown]
	v_cvt_pk_f32_fp8_e32 v[10:11], v12
	v_cvt_pk_f32_fp8_sdwa v[74:75], v12 src0_sel:WORD_1
	v_mfma_f32_16x16x16_bf16 v[66:69], v[68:69], v[14:15], v[2:5]
	v_or_b32_e32 v50, 0x800, v50
	v_perm_b32 v78, v11, v10, s33
	v_perm_b32 v79, v75, v74, s33
	v_cvt_pk_f32_fp8_e32 v[74:75], v13
	v_mfma_f32_16x16x16_bf16 v[66:69], v[72:73], v[16:17], v[66:69]
	v_lshl_add_u64 v[50:51], v[52:53], 0, v[50:51]
	v_perm_b32 v53, v81, v80, s33
	v_perm_b32 v52, v75, v74, s33
	global_load_dwordx4 v[10:13], v[70:71], off
	global_load_dwordx4 v[2:5], v[76:77], off
	v_mfma_f32_16x16x16_bf16 v[66:69], v[78:79], v[6:7], v[66:69]
	v_cvt_pk_f32_fp8_e32 v[70:71], v38
	v_cvt_pk_f32_fp8_sdwa v[72:73], v38 src0_sel:WORD_1
	v_cvt_pk_f32_fp8_e32 v[74:75], v40
	v_mfma_f32_16x16x16_bf16 v[66:69], v[52:53], v[8:9], v[66:69]
	v_cvt_pk_f32_fp8_e32 v[52:53], v39
	v_perm_b32 v70, v71, v70, s33
	v_perm_b32 v71, v73, v72, s33
	v_cvt_pk_f32_fp8_sdwa v[38:39], v39 src0_sel:WORD_1
	v_perm_b32 v52, v53, v52, s33
	v_cvt_pk_f32_fp8_sdwa v[76:77], v40 src0_sel:WORD_1
	v_mfma_f32_16x16x16_bf16 v[70:73], v[70:71], v[26:27], 0
	v_perm_b32 v53, v39, v38, s33
	v_perm_b32 v38, v75, v74, s33
	;; [unrolled: 1-line block ×3, first 2 shown]
	v_cvt_pk_f32_fp8_e32 v[74:75], v41
	v_cvt_pk_f32_fp8_sdwa v[40:41], v41 src0_sel:WORD_1
	v_mfma_f32_16x16x16_bf16 v[26:29], v[52:53], v[28:29], v[70:73]
	s_load_dword s6, s[40:41], 0x0
	v_mov_b32_e32 v52, s4
	s_mov_b32 s40, 0xff7fffff
	v_perm_b32 v70, v75, v74, s33
	v_perm_b32 v71, v41, v40, s33
	v_mfma_f32_16x16x16_bf16 v[26:29], v[38:39], v[18:19], v[26:29]
	v_cvt_pk_f32_fp8_e32 v[40:41], v35
	s_waitcnt lgkmcnt(0)
	v_mul_f32_e32 v72, s6, v52
	v_pk_mul_f32 v[52:53], v[72:73], v[42:43] op_sel_hi:[0,1]
	v_mfma_f32_16x16x16_bf16 v[18:21], v[70:71], v[20:21], v[26:29]
	v_pk_mul_f32 v[38:39], v[72:73], v[44:45] op_sel_hi:[0,1]
	v_mad_i64_i32 v[70:71], s[6:7], v58, s45, v[50:51]
	s_nop 0
	v_cvt_pk_f32_fp8_e32 v[26:27], v34
	v_cvt_pk_f32_fp8_sdwa v[28:29], v34 src0_sel:WORD_1
	v_cvt_pk_f32_fp8_sdwa v[34:35], v35 src0_sel:WORD_1
	v_pk_mul_f32 v[58:59], v[72:73], v[46:47] op_sel_hi:[0,1]
	v_perm_b32 v26, v27, v26, s33
	v_perm_b32 v27, v29, v28, s33
	;; [unrolled: 1-line block ×4, first 2 shown]
	v_cvt_pk_f32_fp8_e32 v[34:35], v36
	v_cvt_pk_f32_fp8_sdwa v[40:41], v36 src0_sel:WORD_1
	v_mfma_f32_16x16x16_bf16 v[18:21], v[26:27], v[14:15], v[18:21]
	v_pk_mul_f32 v[48:49], v[72:73], v[48:49] op_sel_hi:[0,1]
	v_perm_b32 v26, v35, v34, s33
	v_perm_b32 v27, v41, v40, s33
	v_cvt_pk_f32_fp8_e32 v[34:35], v37
	v_cvt_pk_f32_fp8_sdwa v[36:37], v37 src0_sel:WORD_1
	v_mfma_f32_16x16x16_bf16 v[14:17], v[28:29], v[16:17], v[18:21]
	v_pk_mul_f32 v[40:41], v[72:73], v[66:67] op_sel_hi:[0,1]
	v_pk_mul_f32 v[44:45], v[72:73], v[68:69] op_sel_hi:[0,1]
	s_nop 0
	v_perm_b32 v18, v35, v34, s33
	v_perm_b32 v19, v37, v36, s33
	v_mfma_f32_16x16x16_bf16 v[14:17], v[26:27], v[6:7], v[14:17]
	s_nop 0
	v_mfma_f32_16x16x16_bf16 v[6:9], v[18:19], v[8:9], v[14:17]
	s_nop 6
	v_pk_mul_f32 v[42:43], v[72:73], v[6:7] op_sel_hi:[0,1]
	v_and_b32_e32 v6, 0xc0, v0
	v_add_u32_e32 v6, s18, v6
	v_lshl_or_b32 v6, v60, 2, v6
	v_pk_mul_f32 v[34:35], v[72:73], v[8:9] op_sel_hi:[0,1]
	v_or_b32_e32 v9, 1, v6
	v_mov_b32_e32 v7, 0xff7fffff
	v_cmp_gt_i32_e64 s[24:25], s5, v6
	v_cmp_gt_i32_e64 s[26:27], s5, v9
	v_or_b32_e32 v14, 3, v6
	v_cndmask_b32_e64 v8, v7, v52, s[24:25]
	v_cndmask_b32_e64 v9, v7, v53, s[26:27]
	v_max3_f32 v8, v8, s40, v9
	v_or_b32_e32 v9, 2, v6
	v_cmp_gt_i32_e64 s[28:29], s5, v9
	v_cmp_gt_i32_e64 s[30:31], s5, v14
	s_nop 0
	v_cndmask_b32_e64 v9, v7, v38, s[28:29]
	v_cndmask_b32_e64 v14, v7, v39, s[30:31]
	v_max3_f32 v8, v8, v9, v14
	v_or_b32_e32 v9, 16, v6
	v_or_b32_e32 v14, 17, v6
	v_cmp_gt_i32_e64 s[34:35], s5, v9
	v_cmp_gt_i32_e64 s[36:37], s5, v14
	s_nop 0
	v_cndmask_b32_e64 v9, v7, v58, s[34:35]
	v_cndmask_b32_e64 v14, v7, v59, s[36:37]
	v_max3_f32 v8, v8, v9, v14
	v_or_b32_e32 v9, 18, v6
	;; [unrolled: 8-line block ×6, first 2 shown]
	v_or_b32_e32 v6, 51, v6
	v_cmp_gt_i32_e32 vcc, s5, v9
	v_cmp_gt_i32_e64 s[4:5], s5, v6
	s_nop 0
	v_cndmask_b32_e32 v9, v7, v34, vcc
	v_cndmask_b32_e64 v6, v7, v35, s[4:5]
	v_max3_f32 v8, v8, v9, v6
	v_mbcnt_lo_u32_b32 v6, -1, 0
	v_mbcnt_hi_u32_b32 v9, -1, v6
	v_and_b32_e32 v6, 64, v9
	v_add_u32_e32 v14, 64, v6
	v_xor_b32_e32 v6, 32, v9
	v_cmp_lt_i32_e64 s[38:39], v6, v14
	s_nop 1
	v_cndmask_b32_e64 v6, v9, v6, s[38:39]
	v_lshlrev_b32_e32 v65, 2, v6
	ds_bpermute_b32 v15, v65, v8
	v_mad_i64_i32 v[6:7], s[38:39], v64, s45, v[50:51]
	global_load_dwordx4 v[26:29], v[70:71], off
	global_load_dwordx4 v[18:21], v[6:7], off
	s_waitcnt lgkmcnt(0)
	v_max_f32_e32 v6, v15, v15
	v_max_f32_e32 v15, v8, v6
	v_xor_b32_e32 v6, 16, v9
	v_cmp_lt_i32_e64 s[38:39], v6, v14
	s_nop 1
	v_cndmask_b32_e64 v6, v9, v6, s[38:39]
	v_lshlrev_b32_e32 v64, 2, v6
	ds_bpermute_b32 v14, v64, v15
	v_mad_i64_i32 v[6:7], s[38:39], v55, s45, v[50:51]
	v_mad_i64_i32 v[8:9], s[38:39], v62, s45, v[50:51]
	s_waitcnt lgkmcnt(0)
	v_max_f32_e32 v14, v14, v14
	v_max_f32_e32 v50, v15, v14
	v_sub_f32_e32 v14, v52, v50
	v_mul_f32_e32 v14, 0x3fb8aa3b, v14
	v_exp_f32_e32 v36, v14
	v_sub_f32_e32 v14, v53, v50
	v_mul_f32_e32 v14, 0x3fb8aa3b, v14
	v_exp_f32_e32 v37, v14
	global_load_dwordx4 v[14:17], v[6:7], off
	s_nop 0
	global_load_dwordx4 v[6:9], v[8:9], off
	v_sub_f32_e32 v38, v38, v50
	v_mul_f32_e32 v38, 0x3fb8aa3b, v38
	v_sub_f32_e32 v39, v39, v50
	v_exp_f32_e32 v38, v38
	v_mul_f32_e32 v39, 0x3fb8aa3b, v39
	v_exp_f32_e32 v39, v39
	v_cndmask_b32_e64 v36, 0, v36, s[24:25]
	v_add_f32_e32 v46, 0, v36
	v_cndmask_b32_e64 v37, 0, v37, s[26:27]
	v_add_f32_e32 v47, v46, v37
	;; [unrolled: 2-line block ×3, first 2 shown]
	v_cndmask_b32_e64 v47, 0, v39, s[30:31]
	v_sub_f32_e32 v39, v58, v50
	v_mul_f32_e32 v39, 0x3fb8aa3b, v39
	v_sub_f32_e32 v51, v59, v50
	v_exp_f32_e32 v39, v39
	v_mul_f32_e32 v51, 0x3fb8aa3b, v51
	v_sub_f32_e32 v48, v48, v50
	v_exp_f32_e32 v51, v51
	;; [unrolled: 3-line block ×4, first 2 shown]
	v_mul_f32_e32 v40, 0x3fb8aa3b, v40
	v_sub_f32_e32 v41, v41, v50
	v_add_f32_e32 v52, v38, v47
	v_cndmask_b32_e64 v38, 0, v39, s[34:35]
	v_exp_f32_e32 v40, v40
	v_mul_f32_e32 v41, 0x3fb8aa3b, v41
	v_sub_f32_e32 v44, v44, v50
	v_add_f32_e32 v52, v52, v38
	v_cndmask_b32_e64 v39, 0, v51, s[36:37]
	v_exp_f32_e32 v41, v41
	;; [unrolled: 5-line block ×7, first 2 shown]
	v_mul_f32_e32 v35, 0x3fb8aa3b, v35
	v_add_f32_e32 v51, v51, v44
	v_cndmask_b32_e64 v45, 0, v45, s[12:13]
	v_exp_f32_e32 v35, v35
	v_add_f32_e32 v51, v51, v45
	v_cndmask_b32_e64 v42, 0, v42, s[6:7]
	v_add_f32_e32 v51, v51, v42
	v_cndmask_b32_e64 v43, 0, v43, s[8:9]
	v_add_f32_e32 v51, v51, v43
	v_cndmask_b32_e32 v34, 0, v34, vcc
	v_add_f32_e32 v51, v51, v34
	v_cndmask_b32_e64 v35, 0, v35, s[4:5]
	v_add_f32_e32 v51, v51, v35
	ds_bpermute_b32 v52, v65, v51
	v_cmp_gt_u32_e32 vcc, 16, v61
	s_waitcnt lgkmcnt(0)
	s_barrier
	v_add_f32_e32 v51, v51, v52
	ds_bpermute_b32 v52, v64, v51
	s_and_saveexec_b64 s[4:5], vcc
	s_cbranch_execz .LBB1397_13
; %bb.12:
	s_waitcnt lgkmcnt(0)
	v_add_f32_e32 v51, v51, v52
	v_lshlrev_b32_e32 v52, 2, v63
	ds_write2st64_b32 v52, v50, v51 offset1:1
.LBB1397_13:
	s_or_b64 exec, exec, s[4:5]
	v_lshlrev_b32_e32 v51, 2, v56
	s_load_dword s6, s[0:1], 0x94
	s_waitcnt lgkmcnt(0)
	s_barrier
	ds_read2_b32 v[52:53], v51 offset1:16
	ds_read2_b32 v[58:59], v51 offset0:32 offset1:48
	ds_read2_b32 v[62:63], v51 offset0:64 offset1:80
	s_movk_i32 s8, 0x7fff
	s_mul_i32 s7, s23, 10
	s_waitcnt lgkmcnt(2)
	v_max3_f32 v50, v52, s40, v53
	s_waitcnt lgkmcnt(1)
	v_max3_f32 v50, v50, v58, v59
	v_sub_f32_e32 v52, v52, v50
	v_mul_f32_e32 v52, 0x3fb8aa3b, v52
	v_exp_f32_e32 v55, v52
	v_sub_f32_e32 v52, v53, v50
	v_mul_f32_e32 v52, 0x3fb8aa3b, v52
	v_exp_f32_e32 v61, v52
	;; [unrolled: 3-line block ×3, first 2 shown]
	ds_read2_b32 v[52:53], v51 offset0:96 offset1:112
	v_sub_f32_e32 v51, v59, v50
	v_mul_f32_e32 v51, 0x3fb8aa3b, v51
	v_exp_f32_e32 v59, v51
	s_waitcnt lgkmcnt(1)
	v_fma_f32 v51, v55, v62, 0
	v_fmac_f32_e32 v51, v61, v63
	s_waitcnt lgkmcnt(0)
	v_fmac_f32_e32 v51, v58, v52
	v_fmac_f32_e32 v51, v59, v53
	v_add_f32_e32 v52, 0x358637bd, v51
	v_div_scale_f32 v53, s[4:5], v52, v52, 1.0
	v_rcp_f32_e32 v62, v53
	s_barrier
	v_fma_f32 v63, -v53, v62, 1.0
	v_fmac_f32_e32 v62, v63, v62
	v_div_scale_f32 v63, vcc, 1.0, v52, 1.0
	v_mul_f32_e32 v64, v63, v62
	v_fma_f32 v65, -v53, v64, v63
	v_fmac_f32_e32 v64, v65, v62
	v_fma_f32 v53, -v53, v64, v63
	v_div_fmas_f32 v53, v53, v62, v64
	v_cmp_eq_u32_e32 vcc, 1, v57
	v_div_fixup_f32 v52, v53, v52, 1.0
	s_nop 0
	v_cndmask_b32_e32 v53, v55, v61, vcc
	v_cmp_eq_u32_e32 vcc, 2, v57
	s_nop 1
	v_cndmask_b32_e32 v53, v53, v58, vcc
	v_cmp_eq_u32_e32 vcc, 3, v57
	s_nop 1
	v_cndmask_b32_e32 v53, v53, v59, vcc
	v_mul_f32_e32 v52, v53, v52
	v_pk_mul_f32 v[36:37], v[52:53], v[36:37] op_sel_hi:[0,1]
	v_pk_mul_f32 v[46:47], v[52:53], v[46:47] op_sel_hi:[0,1]
	v_bfe_u32 v53, v37, 16, 1
	v_bfe_u32 v55, v36, 16, 1
	v_add3_u32 v36, v36, v55, s8
	v_add3_u32 v37, v37, v53, s8
	v_perm_b32 v58, v37, v36, s33
	v_bfe_u32 v36, v47, 16, 1
	v_bfe_u32 v37, v46, 16, 1
	v_add3_u32 v37, v46, v37, s8
	v_add3_u32 v36, v47, v36, s8
	v_perm_b32 v59, v36, v37, s33
	v_lshlrev_b32_e32 v37, 3, v60
	v_lshlrev_b32_e32 v36, 5, v56
	;; [unrolled: 1-line block ×3, first 2 shown]
	v_pk_mul_f32 v[38:39], v[52:53], v[38:39] op_sel_hi:[0,1]
	v_or3_b32 v55, v46, v36, v37
	v_pk_mul_f32 v[46:47], v[52:53], v[48:49] op_sel_hi:[0,1]
	v_bfe_u32 v37, v39, 16, 1
	v_bfe_u32 v48, v38, 16, 1
	v_add3_u32 v38, v38, v48, s8
	v_add3_u32 v37, v39, v37, s8
	v_perm_b32 v38, v37, v38, s33
	v_bfe_u32 v37, v47, 16, 1
	v_bfe_u32 v39, v46, 16, 1
	v_add3_u32 v39, v46, v39, s8
	v_add3_u32 v37, v47, v37, s8
	v_perm_b32 v39, v37, v39, s33
	v_pk_mul_f32 v[40:41], v[52:53], v[40:41] op_sel_hi:[0,1]
	ds_write2st64_b64 v55, v[58:59], v[38:39] offset1:1
	v_pk_mul_f32 v[38:39], v[52:53], v[44:45] op_sel_hi:[0,1]
	v_bfe_u32 v37, v41, 16, 1
	v_bfe_u32 v44, v40, 16, 1
	v_add3_u32 v40, v40, v44, s8
	v_add3_u32 v37, v41, v37, s8
	v_perm_b32 v40, v37, v40, s33
	v_bfe_u32 v37, v39, 16, 1
	v_bfe_u32 v41, v38, 16, 1
	v_add3_u32 v38, v38, v41, s8
	v_add3_u32 v37, v39, v37, s8
	v_perm_b32 v41, v37, v38, s33
	v_pk_mul_f32 v[38:39], v[52:53], v[42:43] op_sel_hi:[0,1]
	v_bfe_u32 v37, v39, 16, 1
	v_bfe_u32 v42, v38, 16, 1
	v_pk_mul_f32 v[34:35], v[52:53], v[34:35] op_sel_hi:[0,1]
	v_add3_u32 v38, v38, v42, s8
	v_add3_u32 v37, v39, v37, s8
	v_perm_b32 v38, v37, v38, s33
	v_bfe_u32 v37, v35, 16, 1
	v_bfe_u32 v39, v34, 16, 1
	v_add3_u32 v34, v34, v39, s8
	v_add3_u32 v35, v35, v37, s8
	v_perm_b32 v39, v35, v34, s33
	v_cmp_gt_u32_e32 vcc, 10, v0
	ds_write2st64_b64 v55, v[40:41], v[38:39] offset0:2 offset1:3
	s_and_saveexec_b64 s[4:5], vcc
	s_cbranch_execz .LBB1397_15
; %bb.14:
	s_mov_b32 s49, 0
	v_mov_b32_e32 v57, 0
	v_lshl_add_u64 v[34:35], s[48:49], 0, v[56:57]
	v_mov_b32_e32 v37, s7
	v_mad_u64_u32 v[34:35], s[10:11], s2, v37, v[34:35]
	s_mul_i32 s3, s3, s7
	v_mov_b32_e32 v38, s22
	v_mov_b32_e32 v39, v57
	s_load_dwordx4 s[12:15], s[0:1], 0x58
	v_add_u32_e32 v37, s3, v35
	v_mad_u64_u32 v[34:35], s[10:11], v34, s6, v[38:39]
	v_mov_b32_e32 v38, v35
	v_mad_u64_u32 v[38:39], s[10:11], v37, s6, v[38:39]
	v_mov_b32_e32 v35, v38
	v_lshlrev_b64 v[34:35], 2, v[34:35]
	s_waitcnt lgkmcnt(0)
	v_lshl_add_u64 v[38:39], s[14:15], 0, v[34:35]
	v_lshl_add_u64 v[34:35], s[12:13], 0, v[34:35]
	global_store_dword v[38:39], v50, off
	global_store_dword v[34:35], v51, off
.LBB1397_15:
	s_or_b64 exec, exec, s[4:5]
	v_lshl_or_b32 v50, v60, 9, v36
	s_waitcnt vmcnt(7)
	v_cvt_pk_f32_fp8_e32 v[34:35], v30
	v_cvt_pk_f32_fp8_sdwa v[36:37], v30 src0_sel:WORD_1
	s_mov_b32 s5, 0x7060302
	s_waitcnt lgkmcnt(0)
	s_barrier
	v_cvt_pk_f32_fp8_e32 v[38:39], v31
	v_perm_b32 v30, v35, v34, s5
	v_cvt_pk_f32_fp8_sdwa v[40:41], v31 src0_sel:WORD_1
	v_perm_b32 v31, v37, v36, s5
	ds_read_b128 v[34:37], v50
	v_perm_b32 v46, v39, v38, s5
	v_perm_b32 v47, v41, v40, s5
	ds_read_b128 v[38:41], v50 offset:16
	v_cvt_pk_f32_fp8_e32 v[48:49], v32
	v_cvt_pk_f32_fp8_sdwa v[52:53], v32 src0_sel:WORD_1
	s_waitcnt lgkmcnt(1)
	v_mfma_f32_16x16x16_bf16 v[42:45], v[30:31], v[34:35], 0
	s_waitcnt vmcnt(6)
	v_cvt_pk_f32_fp8_e32 v[58:59], v24
	v_perm_b32 v30, v49, v48, s5
	v_perm_b32 v31, v53, v52, s5
	v_cvt_pk_f32_fp8_e32 v[48:49], v33
	v_mfma_f32_16x16x16_bf16 v[42:45], v[46:47], v[36:37], v[42:45]
	v_cvt_pk_f32_fp8_sdwa v[46:47], v33 src0_sel:WORD_1
	v_cvt_pk_f32_fp8_sdwa v[62:63], v24 src0_sel:WORD_1
	v_perm_b32 v48, v49, v48, s5
	s_waitcnt lgkmcnt(0)
	v_mfma_f32_16x16x16_bf16 v[30:33], v[30:31], v[38:39], v[42:45]
	v_perm_b32 v49, v47, v46, s5
	s_waitcnt vmcnt(5)
	v_cvt_pk_f32_fp8_sdwa v[66:67], v12 src0_sel:WORD_1
	s_waitcnt vmcnt(4)
	v_cvt_pk_f32_fp8_sdwa v[68:69], v4 src0_sel:WORD_1
	v_cvt_pk_f32_fp8_e32 v[42:43], v22
	v_mfma_f32_16x16x16_bf16 v[46:49], v[48:49], v[40:41], v[30:33]
	s_load_dword s4, s[42:43], 0x0
	s_waitcnt vmcnt(3)
	v_cvt_pk_f32_fp8_sdwa v[70:71], v28 src0_sel:WORD_1
	v_cvt_pk_f32_fp8_sdwa v[30:31], v22 src0_sel:WORD_1
	v_cvt_pk_f32_fp8_e32 v[32:33], v23
	v_perm_b32 v22, v43, v42, s5
	v_cvt_pk_f32_fp8_sdwa v[42:43], v23 src0_sel:WORD_1
	v_perm_b32 v23, v31, v30, s5
	v_perm_b32 v52, v33, v32, s5
	ds_read_b128 v[30:33], v50 offset:2048
	v_perm_b32 v53, v43, v42, s5
	ds_read_b128 v[42:45], v50 offset:2064
	s_waitcnt lgkmcnt(0)
	v_mfma_f32_16x16x16_bf16 v[46:49], v[22:23], v[30:31], v[46:49]
	v_perm_b32 v22, v59, v58, s5
	v_perm_b32 v23, v63, v62, s5
	v_cvt_pk_f32_fp8_e32 v[58:59], v25
	v_mfma_f32_16x16x16_bf16 v[46:49], v[52:53], v[32:33], v[46:49]
	v_cvt_pk_f32_fp8_sdwa v[52:53], v25 src0_sel:WORD_1
	s_mov_b32 s3, 0
	v_perm_b32 v58, v59, v58, s5
	v_mfma_f32_16x16x16_bf16 v[22:25], v[22:23], v[42:43], v[46:49]
	v_perm_b32 v59, v53, v52, s5
	v_cmp_gt_u32_e32 vcc, 64, v0
	s_nop 0
	v_cvt_pk_f32_fp8_e32 v[46:47], v10
	v_mfma_f32_16x16x16_bf16 v[62:65], v[58:59], v[44:45], v[22:25]
	v_cvt_pk_f32_fp8_e32 v[58:59], v12
	s_nop 1
	v_cvt_pk_f32_fp8_sdwa v[22:23], v10 src0_sel:WORD_1
	v_cvt_pk_f32_fp8_e32 v[24:25], v11
	v_perm_b32 v10, v47, v46, s5
	v_cvt_pk_f32_fp8_sdwa v[46:47], v11 src0_sel:WORD_1
	v_perm_b32 v11, v23, v22, s5
	v_perm_b32 v52, v25, v24, s5
	ds_read_b128 v[22:25], v50 offset:4096
	v_perm_b32 v53, v47, v46, s5
	ds_read_b128 v[46:49], v50 offset:4112
	s_waitcnt lgkmcnt(1)
	v_mfma_f32_16x16x16_bf16 v[62:65], v[10:11], v[22:23], v[62:65]
	v_perm_b32 v10, v59, v58, s5
	v_perm_b32 v11, v67, v66, s5
	v_cvt_pk_f32_fp8_e32 v[58:59], v13
	v_mfma_f32_16x16x16_bf16 v[62:65], v[52:53], v[24:25], v[62:65]
	v_cvt_pk_f32_fp8_sdwa v[52:53], v13 src0_sel:WORD_1
	v_cvt_pk_f32_fp8_e32 v[66:67], v4
	v_perm_b32 v58, v59, v58, s5
	s_waitcnt lgkmcnt(0)
	v_mfma_f32_16x16x16_bf16 v[10:13], v[10:11], v[46:47], v[62:65]
	v_perm_b32 v59, v53, v52, s5
	v_cvt_pk_f32_fp8_e32 v[52:53], v2
	s_nop 0
	v_mfma_f32_16x16x16_bf16 v[62:65], v[58:59], v[48:49], v[10:13]
	s_nop 2
	v_cvt_pk_f32_fp8_sdwa v[10:11], v2 src0_sel:WORD_1
	v_cvt_pk_f32_fp8_e32 v[12:13], v3
	v_perm_b32 v2, v53, v52, s5
	v_cvt_pk_f32_fp8_sdwa v[52:53], v3 src0_sel:WORD_1
	v_perm_b32 v3, v11, v10, s5
	v_perm_b32 v58, v13, v12, s5
	ds_read_b128 v[10:13], v50 offset:6144
	v_perm_b32 v59, v53, v52, s5
	s_waitcnt lgkmcnt(0)
	v_mfma_f32_16x16x16_bf16 v[62:65], v[2:3], v[10:11], v[62:65]
	ds_read_b128 v[50:53], v50 offset:6160
	v_perm_b32 v2, v67, v66, s5
	v_perm_b32 v3, v69, v68, s5
	v_cvt_pk_f32_fp8_e32 v[66:67], v5
	v_mfma_f32_16x16x16_bf16 v[62:65], v[58:59], v[12:13], v[62:65]
	v_cvt_pk_f32_fp8_sdwa v[58:59], v5 src0_sel:WORD_1
	v_cvt_pk_f32_fp8_e32 v[68:69], v28
	v_perm_b32 v66, v67, v66, s5
	s_waitcnt lgkmcnt(0)
	v_mfma_f32_16x16x16_bf16 v[2:5], v[2:3], v[50:51], v[62:65]
	v_perm_b32 v67, v59, v58, s5
	v_cvt_pk_f32_fp8_sdwa v[58:59], v26 src0_sel:WORD_1
	s_nop 0
	v_mfma_f32_16x16x16_bf16 v[62:65], v[66:67], v[52:53], v[2:5]
	s_barrier
	s_nop 1
	v_cvt_pk_f32_fp8_e32 v[4:5], v26
	s_nop 2
	v_pk_mul_f32 v[66:67], v[62:63], s[4:5] op_sel_hi:[1,0]
	v_cvt_pk_f32_fp8_e32 v[62:63], v27
	v_perm_b32 v4, v5, v4, s5
	v_perm_b32 v5, v59, v58, s5
	v_cvt_pk_f32_fp8_sdwa v[26:27], v27 src0_sel:WORD_1
	v_perm_b32 v58, v63, v62, s5
	v_pk_mul_f32 v[2:3], v[64:65], s[4:5] op_sel_hi:[1,0]
	v_mfma_f32_16x16x16_bf16 v[62:65], v[4:5], v[34:35], 0
	v_perm_b32 v59, v27, v26, s5
	v_perm_b32 v4, v69, v68, s5
	;; [unrolled: 1-line block ×3, first 2 shown]
	v_cvt_pk_f32_fp8_e32 v[34:35], v29
	v_cvt_pk_f32_fp8_sdwa v[68:69], v29 src0_sel:WORD_1
	v_mfma_f32_16x16x16_bf16 v[26:29], v[58:59], v[36:37], v[62:65]
	s_waitcnt vmcnt(2)
	v_cvt_pk_f32_fp8_sdwa v[36:37], v18 src0_sel:WORD_1
	v_perm_b32 v34, v35, v34, s5
	v_perm_b32 v35, v69, v68, s5
	v_mfma_f32_16x16x16_bf16 v[26:29], v[4:5], v[38:39], v[26:29]
	v_cvt_pk_f32_fp8_e32 v[4:5], v18
	v_cvt_pk_f32_fp8_sdwa v[38:39], v20 src0_sel:WORD_1
	v_bfe_u32 v57, v67, 16, 1
	v_mfma_f32_16x16x16_bf16 v[26:29], v[34:35], v[40:41], v[26:29]
	v_cvt_pk_f32_fp8_e32 v[34:35], v19
	v_perm_b32 v4, v5, v4, s5
	v_perm_b32 v5, v37, v36, s5
	v_cvt_pk_f32_fp8_sdwa v[18:19], v19 src0_sel:WORD_1
	v_perm_b32 v34, v35, v34, s5
	v_cvt_pk_f32_fp8_e32 v[36:37], v20
	v_mfma_f32_16x16x16_bf16 v[26:29], v[4:5], v[30:31], v[26:29]
	v_perm_b32 v35, v19, v18, s5
	v_perm_b32 v4, v37, v36, s5
	;; [unrolled: 1-line block ×3, first 2 shown]
	v_cvt_pk_f32_fp8_e32 v[30:31], v21
	v_cvt_pk_f32_fp8_sdwa v[36:37], v21 src0_sel:WORD_1
	v_mfma_f32_16x16x16_bf16 v[18:21], v[34:35], v[32:33], v[26:29]
	v_bfe_u32 v58, v66, 16, 1
	v_add3_u32 v32, v66, v58, s8
	v_add3_u32 v33, v67, v57, s8
	v_perm_b32 v26, v31, v30, s5
	v_perm_b32 v27, v37, v36, s5
	v_mfma_f32_16x16x16_bf16 v[18:21], v[4:5], v[42:43], v[18:21]
	s_waitcnt vmcnt(1)
	v_cvt_pk_f32_fp8_e32 v[4:5], v14
	v_cvt_pk_f32_fp8_sdwa v[28:29], v14 src0_sel:WORD_1
	v_cvt_pk_f32_fp8_sdwa v[30:31], v16 src0_sel:WORD_1
	v_mfma_f32_16x16x16_bf16 v[18:21], v[26:27], v[44:45], v[18:21]
	v_cvt_pk_f32_fp8_e32 v[26:27], v15
	v_perm_b32 v4, v5, v4, s5
	v_perm_b32 v5, v29, v28, s5
	v_cvt_pk_f32_fp8_sdwa v[14:15], v15 src0_sel:WORD_1
	v_perm_b32 v26, v27, v26, s5
	v_cvt_pk_f32_fp8_e32 v[28:29], v16
	v_mfma_f32_16x16x16_bf16 v[18:21], v[4:5], v[22:23], v[18:21]
	v_perm_b32 v27, v15, v14, s5
	v_perm_b32 v4, v29, v28, s5
	;; [unrolled: 1-line block ×3, first 2 shown]
	v_cvt_pk_f32_fp8_e32 v[22:23], v17
	v_cvt_pk_f32_fp8_sdwa v[28:29], v17 src0_sel:WORD_1
	v_mfma_f32_16x16x16_bf16 v[14:17], v[26:27], v[24:25], v[18:21]
	s_waitcnt vmcnt(0)
	v_cvt_pk_f32_fp8_sdwa v[24:25], v8 src0_sel:WORD_1
	s_nop 0
	v_perm_b32 v20, v23, v22, s5
	v_perm_b32 v21, v29, v28, s5
	v_mfma_f32_16x16x16_bf16 v[14:17], v[4:5], v[46:47], v[14:17]
	v_cvt_pk_f32_fp8_e32 v[4:5], v6
	v_cvt_pk_f32_fp8_sdwa v[22:23], v6 src0_sel:WORD_1
	v_bfe_u32 v19, v3, 16, 1
	v_mfma_f32_16x16x16_bf16 v[14:17], v[20:21], v[48:49], v[14:17]
	v_cvt_pk_f32_fp8_e32 v[20:21], v7
	v_perm_b32 v4, v5, v4, s5
	v_perm_b32 v5, v23, v22, s5
	v_cvt_pk_f32_fp8_sdwa v[6:7], v7 src0_sel:WORD_1
	v_perm_b32 v20, v21, v20, s5
	v_cvt_pk_f32_fp8_e32 v[22:23], v8
	v_add3_u32 v3, v3, v19, s8
	v_perm_b32 v21, v7, v6, s5
	v_mfma_f32_16x16x16_bf16 v[4:7], v[4:5], v[10:11], v[14:17]
	v_perm_b32 v10, v23, v22, s5
	v_perm_b32 v11, v25, v24, s5
	;; [unrolled: 1-line block ×3, first 2 shown]
	v_cvt_pk_f32_fp8_e32 v[14:15], v9
	v_cvt_pk_f32_fp8_sdwa v[8:9], v9 src0_sel:WORD_1
	v_mfma_f32_16x16x16_bf16 v[4:7], v[20:21], v[12:13], v[4:7]
	v_bfe_u32 v16, v2, 16, 1
	v_perm_b32 v12, v15, v14, s5
	v_perm_b32 v13, v9, v8, s5
	v_mfma_f32_16x16x16_bf16 v[4:7], v[10:11], v[50:51], v[4:7]
	v_add3_u32 v2, v2, v16, s8
	v_perm_b32 v19, v3, v2, s5
	v_mfma_f32_16x16x16_bf16 v[2:5], v[12:13], v[52:53], v[4:7]
	s_nop 6
	v_pk_mul_f32 v[2:3], v[2:3], s[4:5] op_sel_hi:[1,0]
	v_pk_mul_f32 v[4:5], v[4:5], s[4:5] op_sel_hi:[1,0]
	v_bfe_u32 v6, v3, 16, 1
	v_bfe_u32 v7, v2, 16, 1
	v_add3_u32 v2, v2, v7, s8
	v_add3_u32 v3, v3, v6, s8
	v_perm_b32 v2, v3, v2, s5
	v_bfe_u32 v3, v5, 16, 1
	v_bfe_u32 v6, v4, 16, 1
	v_add3_u32 v4, v4, v6, s8
	v_add3_u32 v3, v5, v3, s8
	v_perm_b32 v3, v3, v4, s5
	ds_write2st64_b64 v55, v[18:19], v[2:3] offset1:1
	s_waitcnt lgkmcnt(0)
	s_barrier
	s_and_saveexec_b64 s[4:5], vcc
	s_cbranch_execz .LBB1397_18
; %bb.16:
	s_load_dwordx2 s[4:5], s[0:1], 0x68
	s_lshl_b32 s0, s6, 7
	s_mul_i32 s1, s7, s2
	v_lshlrev_b32_e32 v3, 6, v56
	s_mul_hi_u32 s7, s1, s0
	s_mul_i32 s6, s1, s0
	v_lshl_or_b32 v0, v0, 10, v3
	s_lshl_b64 s[6:7], s[6:7], 1
	v_lshlrev_b32_e32 v2, 5, v60
	v_and_b32_e32 v1, 16, v1
	v_and_b32_e32 v0, 0x1a00, v0
	s_waitcnt lgkmcnt(0)
	s_add_u32 s1, s4, s6
	v_or3_b32 v2, v0, v2, v1
	s_addc_u32 s4, s5, s7
	s_lshl_b32 s2, s22, 7
	s_lshl_b64 s[2:3], s[2:3], 1
	ds_read_b128 v[4:7], v2 offset:128
	ds_read_b128 v[8:11], v2
	s_add_u32 s2, s1, s2
	s_addc_u32 s3, s4, s3
	v_mov_b32_e32 v55, 0
	v_add_u32_e32 v14, s48, v60
	v_lshl_add_u64 v[0:1], s[2:3], 0, v[54:55]
	v_mad_u64_u32 v[12:13], s[2:3], v14, s0, 0
	v_lshl_add_u64 v[12:13], v[12:13], 1, v[0:1]
	s_waitcnt lgkmcnt(0)
	global_store_dwordx4 v[12:13], v[8:11], off
	v_or_b32_e32 v3, 8, v60
	v_cmp_gt_u32_e32 vcc, 10, v3
	v_add_u32_e32 v8, 4, v14
	v_mad_u64_u32 v[8:9], s[2:3], v8, s0, 0
	v_lshl_add_u64 v[8:9], v[8:9], 1, v[0:1]
	global_store_dwordx4 v[8:9], v[4:7], off
	s_and_b64 exec, exec, vcc
	s_cbranch_execz .LBB1397_18
; %bb.17:
	ds_read_b128 v[4:7], v2 offset:256
	v_add_u32_e32 v2, s48, v3
	v_mad_u64_u32 v[2:3], s[0:1], v2, s0, 0
	v_lshl_add_u64 v[0:1], v[2:3], 1, v[0:1]
	s_waitcnt lgkmcnt(0)
	global_store_dwordx4 v[0:1], v[4:7], off
.LBB1397_18:
	s_endpgm
	.section	.rodata,"a",@progbits
	.p2align	6, 0x0
	.amdhsa_kernel _Z39paged_attention_ll4mi_QKV_mfma16_kernelI14__hip_bfloat16hLN4vllm18Fp8KVCacheDataTypeE1ES0_Li32ELi128ELi256ELb0ELi10EEvPKT_PKT0_S8_ifPKiSA_SA_iPKfiiiPfSD_PS3_PT2_iSC_SC_
		.amdhsa_group_segment_fixed_size 8192
		.amdhsa_private_segment_fixed_size 0
		.amdhsa_kernarg_size 400
		.amdhsa_user_sgpr_count 2
		.amdhsa_user_sgpr_dispatch_ptr 0
		.amdhsa_user_sgpr_queue_ptr 0
		.amdhsa_user_sgpr_kernarg_segment_ptr 1
		.amdhsa_user_sgpr_dispatch_id 0
		.amdhsa_user_sgpr_kernarg_preload_length 0
		.amdhsa_user_sgpr_kernarg_preload_offset 0
		.amdhsa_user_sgpr_private_segment_size 0
		.amdhsa_uses_dynamic_stack 0
		.amdhsa_enable_private_segment 0
		.amdhsa_system_sgpr_workgroup_id_x 1
		.amdhsa_system_sgpr_workgroup_id_y 1
		.amdhsa_system_sgpr_workgroup_id_z 1
		.amdhsa_system_sgpr_workgroup_info 0
		.amdhsa_system_vgpr_workitem_id 0
		.amdhsa_next_free_vgpr 82
		.amdhsa_next_free_sgpr 50
		.amdhsa_accum_offset 84
		.amdhsa_reserve_vcc 1
		.amdhsa_float_round_mode_32 0
		.amdhsa_float_round_mode_16_64 0
		.amdhsa_float_denorm_mode_32 3
		.amdhsa_float_denorm_mode_16_64 3
		.amdhsa_dx10_clamp 1
		.amdhsa_ieee_mode 1
		.amdhsa_fp16_overflow 0
		.amdhsa_tg_split 0
		.amdhsa_exception_fp_ieee_invalid_op 0
		.amdhsa_exception_fp_denorm_src 0
		.amdhsa_exception_fp_ieee_div_zero 0
		.amdhsa_exception_fp_ieee_overflow 0
		.amdhsa_exception_fp_ieee_underflow 0
		.amdhsa_exception_fp_ieee_inexact 0
		.amdhsa_exception_int_div_zero 0
	.end_amdhsa_kernel
	.section	.text._Z39paged_attention_ll4mi_QKV_mfma16_kernelI14__hip_bfloat16hLN4vllm18Fp8KVCacheDataTypeE1ES0_Li32ELi128ELi256ELb0ELi10EEvPKT_PKT0_S8_ifPKiSA_SA_iPKfiiiPfSD_PS3_PT2_iSC_SC_,"axG",@progbits,_Z39paged_attention_ll4mi_QKV_mfma16_kernelI14__hip_bfloat16hLN4vllm18Fp8KVCacheDataTypeE1ES0_Li32ELi128ELi256ELb0ELi10EEvPKT_PKT0_S8_ifPKiSA_SA_iPKfiiiPfSD_PS3_PT2_iSC_SC_,comdat
.Lfunc_end1397:
	.size	_Z39paged_attention_ll4mi_QKV_mfma16_kernelI14__hip_bfloat16hLN4vllm18Fp8KVCacheDataTypeE1ES0_Li32ELi128ELi256ELb0ELi10EEvPKT_PKT0_S8_ifPKiSA_SA_iPKfiiiPfSD_PS3_PT2_iSC_SC_, .Lfunc_end1397-_Z39paged_attention_ll4mi_QKV_mfma16_kernelI14__hip_bfloat16hLN4vllm18Fp8KVCacheDataTypeE1ES0_Li32ELi128ELi256ELb0ELi10EEvPKT_PKT0_S8_ifPKiSA_SA_iPKfiiiPfSD_PS3_PT2_iSC_SC_
                                        ; -- End function
	.section	.AMDGPU.csdata,"",@progbits
; Kernel info:
; codeLenInByte = 6412
; NumSgprs: 56
; NumVgprs: 82
; NumAgprs: 0
; TotalNumVgprs: 82
; ScratchSize: 0
; MemoryBound: 0
; FloatMode: 240
; IeeeMode: 1
; LDSByteSize: 8192 bytes/workgroup (compile time only)
; SGPRBlocks: 6
; VGPRBlocks: 10
; NumSGPRsForWavesPerEU: 56
; NumVGPRsForWavesPerEU: 82
; AccumOffset: 84
; Occupancy: 5
; WaveLimiterHint : 1
; COMPUTE_PGM_RSRC2:SCRATCH_EN: 0
; COMPUTE_PGM_RSRC2:USER_SGPR: 2
; COMPUTE_PGM_RSRC2:TRAP_HANDLER: 0
; COMPUTE_PGM_RSRC2:TGID_X_EN: 1
; COMPUTE_PGM_RSRC2:TGID_Y_EN: 1
; COMPUTE_PGM_RSRC2:TGID_Z_EN: 1
; COMPUTE_PGM_RSRC2:TIDIG_COMP_CNT: 0
; COMPUTE_PGM_RSRC3_GFX90A:ACCUM_OFFSET: 20
; COMPUTE_PGM_RSRC3_GFX90A:TG_SPLIT: 0
	.section	.text._Z39paged_attention_ll4mi_QKV_mfma16_kernelI14__hip_bfloat16hLN4vllm18Fp8KVCacheDataTypeE1ES0_Li32ELi128ELi256ELb0ELi11EEvPKT_PKT0_S8_ifPKiSA_SA_iPKfiiiPfSD_PS3_PT2_iSC_SC_,"axG",@progbits,_Z39paged_attention_ll4mi_QKV_mfma16_kernelI14__hip_bfloat16hLN4vllm18Fp8KVCacheDataTypeE1ES0_Li32ELi128ELi256ELb0ELi11EEvPKT_PKT0_S8_ifPKiSA_SA_iPKfiiiPfSD_PS3_PT2_iSC_SC_,comdat
	.protected	_Z39paged_attention_ll4mi_QKV_mfma16_kernelI14__hip_bfloat16hLN4vllm18Fp8KVCacheDataTypeE1ES0_Li32ELi128ELi256ELb0ELi11EEvPKT_PKT0_S8_ifPKiSA_SA_iPKfiiiPfSD_PS3_PT2_iSC_SC_ ; -- Begin function _Z39paged_attention_ll4mi_QKV_mfma16_kernelI14__hip_bfloat16hLN4vllm18Fp8KVCacheDataTypeE1ES0_Li32ELi128ELi256ELb0ELi11EEvPKT_PKT0_S8_ifPKiSA_SA_iPKfiiiPfSD_PS3_PT2_iSC_SC_
	.globl	_Z39paged_attention_ll4mi_QKV_mfma16_kernelI14__hip_bfloat16hLN4vllm18Fp8KVCacheDataTypeE1ES0_Li32ELi128ELi256ELb0ELi11EEvPKT_PKT0_S8_ifPKiSA_SA_iPKfiiiPfSD_PS3_PT2_iSC_SC_
	.p2align	8
	.type	_Z39paged_attention_ll4mi_QKV_mfma16_kernelI14__hip_bfloat16hLN4vllm18Fp8KVCacheDataTypeE1ES0_Li32ELi128ELi256ELb0ELi11EEvPKT_PKT0_S8_ifPKiSA_SA_iPKfiiiPfSD_PS3_PT2_iSC_SC_,@function
_Z39paged_attention_ll4mi_QKV_mfma16_kernelI14__hip_bfloat16hLN4vllm18Fp8KVCacheDataTypeE1ES0_Li32ELi128ELi256ELb0ELi11EEvPKT_PKT0_S8_ifPKiSA_SA_iPKfiiiPfSD_PS3_PT2_iSC_SC_: ; @_Z39paged_attention_ll4mi_QKV_mfma16_kernelI14__hip_bfloat16hLN4vllm18Fp8KVCacheDataTypeE1ES0_Li32ELi128ELi256ELb0ELi11EEvPKT_PKT0_S8_ifPKiSA_SA_iPKfiiiPfSD_PS3_PT2_iSC_SC_
; %bb.0:
	s_load_dwordx2 s[12:13], s[0:1], 0x30
	s_mov_b32 s22, s3
	s_mov_b64 s[6:7], 0
	s_waitcnt lgkmcnt(0)
	s_cmp_lg_u64 s[12:13], 0
	s_cselect_b64 s[14:15], -1, 0
	s_and_b64 vcc, exec, s[14:15]
	s_cbranch_vccz .LBB1398_7
; %bb.1:
	s_add_i32 s8, s2, 1
	s_mov_b32 s9, 0
	s_lshl_b64 s[10:11], s[8:9], 2
	s_add_u32 s10, s12, s10
	s_mov_b32 s3, s9
	s_addc_u32 s11, s13, s11
	s_lshl_b64 s[8:9], s[2:3], 2
	s_add_u32 s8, s12, s8
	s_addc_u32 s9, s13, s9
	s_load_dword s5, s[10:11], 0x0
	s_load_dword s16, s[8:9], 0x0
	s_waitcnt lgkmcnt(0)
	s_sub_i32 s5, s5, s16
	s_cmp_eq_u32 s5, 1
	s_cselect_b64 s[8:9], -1, 0
	s_andn2_b64 vcc, exec, s[6:7]
	s_cbranch_vccnz .LBB1398_3
.LBB1398_2:
	s_mov_b32 s3, 0
	s_mov_b64 s[8:9], -1
.LBB1398_3:
	s_andn2_b64 vcc, exec, s[8:9]
	s_cbranch_vccnz .LBB1398_18
; %bb.4:
	s_load_dwordx2 s[6:7], s[0:1], 0x28
	s_lshl_b64 s[16:17], s[2:3], 2
	s_waitcnt lgkmcnt(0)
	s_add_u32 s6, s6, s16
	s_addc_u32 s7, s7, s17
	s_load_dword s5, s[6:7], 0x0
	s_lshl_b32 s18, s22, 8
	s_waitcnt lgkmcnt(0)
	s_cmp_ge_i32 s18, s5
	s_cbranch_scc1 .LBB1398_18
; %bb.5:
	s_load_dwordx2 s[6:7], s[0:1], 0x20
	s_load_dword s8, s[0:1], 0x38
	s_add_i32 s9, s5, 31
	s_ashr_i32 s10, s9, 31
	v_and_b32_e32 v1, 0xcf, v0
	s_lshr_b32 s10, s10, 27
	v_add_u32_e32 v1, s18, v1
	s_add_i32 s9, s9, s10
	v_ashrrev_i32_e32 v2, 31, v1
	s_ashr_i32 s19, s9, 5
	v_lshrrev_b32_e32 v8, 27, v2
	s_add_i32 s19, s19, -1
	s_waitcnt lgkmcnt(0)
	s_mul_i32 s8, s2, s8
	s_mov_b32 s9, 0
	v_add_u32_e32 v2, v1, v8
	s_lshl_b64 s[8:9], s[8:9], 2
	v_ashrrev_i32_e32 v2, 5, v2
	v_mov_b32_e32 v9, s19
	v_cmp_gt_i32_e32 vcc, s5, v1
	s_add_u32 s6, s6, s8
	s_addc_u32 s7, s7, s9
	v_cndmask_b32_e32 v2, v9, v2, vcc
	v_ashrrev_i32_e32 v3, 31, v2
	v_lshl_add_u64 v[4:5], v[2:3], 2, s[6:7]
	v_or_b32_e32 v2, 16, v1
	v_add_u32_e32 v3, v2, v8
	v_ashrrev_i32_e32 v3, 5, v3
	v_cmp_gt_i32_e32 vcc, s5, v2
	s_load_dwordx4 s[8:11], s[0:1], 0x8
	s_nop 0
	v_cndmask_b32_e32 v2, v9, v3, vcc
	v_ashrrev_i32_e32 v3, 31, v2
	v_lshl_add_u64 v[6:7], v[2:3], 2, s[6:7]
	v_or_b32_e32 v2, 32, v1
	v_add_u32_e32 v3, v2, v8
	v_ashrrev_i32_e32 v3, 5, v3
	v_cmp_gt_i32_e32 vcc, s5, v2
	v_or_b32_e32 v1, 48, v1
	s_nop 0
	v_cndmask_b32_e32 v2, v9, v3, vcc
	v_ashrrev_i32_e32 v3, 31, v2
	v_lshl_add_u64 v[10:11], v[2:3], 2, s[6:7]
	v_add_u32_e32 v2, v1, v8
	v_ashrrev_i32_e32 v2, 5, v2
	v_cmp_gt_i32_e32 vcc, s5, v1
	s_nop 1
	v_cndmask_b32_e32 v2, v9, v2, vcc
	v_ashrrev_i32_e32 v3, 31, v2
	v_lshl_add_u64 v[12:13], v[2:3], 2, s[6:7]
	global_load_dword v2, v[4:5], off
	global_load_dword v8, v[6:7], off
	;; [unrolled: 1-line block ×4, first 2 shown]
	s_andn2_b64 vcc, exec, s[14:15]
	s_cbranch_vccnz .LBB1398_8
; %bb.6:
	s_add_u32 s12, s12, s16
	s_addc_u32 s13, s13, s17
	s_load_dword s14, s[12:13], 0x0
	s_branch .LBB1398_9
.LBB1398_7:
	s_mov_b64 s[8:9], 0
	s_branch .LBB1398_2
.LBB1398_8:
	s_mov_b32 s14, s2
.LBB1398_9:
	s_load_dwordx4 s[44:47], s[0:1], 0x48
	v_lshrrev_b32_e32 v57, 6, v0
	v_bfe_u32 v60, v0, 4, 2
	v_and_b32_e32 v56, 15, v0
	v_lshl_or_b32 v3, v57, 2, v60
	v_lshlrev_b32_e32 v1, 3, v56
	v_and_b32_e32 v61, 63, v0
	s_mul_i32 s48, s4, 11
	v_cmp_gt_u32_e32 vcc, 11, v3
	v_lshlrev_b32_e32 v54, 1, v1
	v_lshlrev_b32_e32 v1, 4, v0
	s_and_saveexec_b64 s[12:13], vcc
	s_cbranch_execz .LBB1398_11
; %bb.10:
	s_load_dwordx2 s[16:17], s[0:1], 0x0
	s_waitcnt lgkmcnt(0)
	s_ashr_i32 s15, s44, 31
	s_mul_hi_u32 s20, s14, s44
	s_mul_i32 s15, s14, s15
	s_add_i32 s15, s20, s15
	s_mul_i32 s14, s14, s44
	s_lshl_b64 s[14:15], s[14:15], 1
	s_add_u32 s14, s16, s14
	v_add_lshl_u32 v4, v3, s48, 7
	s_addc_u32 s15, s17, s15
	v_ashrrev_i32_e32 v5, 31, v4
	v_lshl_add_u64 v[4:5], v[4:5], 1, s[14:15]
	v_mov_b32_e32 v55, 0
	v_lshl_add_u64 v[4:5], v[4:5], 0, v[54:55]
	global_load_dwordx4 v[4:7], v[4:5], off
	v_lshlrev_b32_e32 v10, 8, v0
	v_lshlrev_b32_e32 v9, 8, v56
	v_and_b32_e32 v10, 0x600, v10
	s_movk_i32 s14, 0x800
	v_and_or_b32 v9, v9, s14, v10
	v_lshlrev_b32_e32 v3, 5, v3
	v_and_b32_e32 v10, 16, v1
	v_or3_b32 v3, v9, v3, v10
	s_waitcnt vmcnt(0)
	ds_write_b128 v3, v[4:7]
.LBB1398_11:
	s_or_b64 exec, exec, s[12:13]
	s_waitcnt lgkmcnt(0)
	s_mul_i32 s12, s4, s46
	s_add_u32 s8, s8, s12
	s_addc_u32 s9, s9, 0
	v_mov_b32_e32 v51, 0
	v_mov_b64_e32 v[12:13], s[8:9]
	v_and_b32_e32 v9, 48, v0
	s_waitcnt vmcnt(3)
	v_mad_i64_i32 v[2:3], s[8:9], v2, s45, v[12:13]
	v_lshlrev_b32_e32 v10, 4, v56
	v_mov_b32_e32 v11, v51
	v_lshlrev_b32_e32 v50, 5, v9
	v_lshl_add_u64 v[2:3], v[2:3], 0, v[10:11]
	v_lshl_add_u64 v[6:7], v[2:3], 0, v[50:51]
	s_load_dword s23, s[0:1], 0x98
	s_load_dwordx4 s[40:43], s[0:1], 0x80
	s_waitcnt lgkmcnt(0)
	s_barrier
	global_load_dwordx4 v[2:5], v[6:7], off
	global_load_dwordx4 v[42:45], v[6:7], off offset:2048
	v_add_u32_e32 v14, -11, v56
	v_cmp_gt_u32_e32 vcc, 11, v56
	s_ashr_i32 s8, s18, 31
	v_or_b32_e32 v24, 0x100, v10
	v_cndmask_b32_e32 v6, v14, v56, vcc
	v_mov_b32_e32 v25, v51
	s_lshr_b32 s13, s8, 27
	s_waitcnt vmcnt(4)
	v_mad_i64_i32 v[30:31], s[8:9], v8, s45, v[12:13]
	v_lshlrev_b32_e32 v6, 5, v6
	v_lshl_add_u64 v[30:31], v[30:31], 0, v[24:25]
	v_lshl_add_u32 v6, v60, 9, v6
	v_lshl_add_u64 v[30:31], v[30:31], 0, v[50:51]
	v_or_b32_e32 v37, s18, v9
	ds_read_b128 v[26:29], v6
	ds_read_b128 v[18:21], v6 offset:16
	ds_read_b128 v[14:17], v6 offset:2048
	;; [unrolled: 1-line block ×3, first 2 shown]
	global_load_dwordx4 v[46:49], v[30:31], off
	s_waitcnt vmcnt(4)
	v_mad_i64_i32 v[32:33], s[8:9], v22, s45, v[12:13]
	v_lshl_add_u64 v[10:11], v[32:33], 0, v[10:11]
	global_load_dwordx4 v[30:33], v[30:31], off offset:2048
	v_or_b32_e32 v38, 64, v37
	v_add_u32_e32 v22, s13, v37
	v_mov_b32_e32 v36, s19
	v_or_b32_e32 v39, 0x80, v37
	s_waitcnt vmcnt(4)
	v_mad_i64_i32 v[12:13], s[8:9], v23, s45, v[12:13]
	v_add_u32_e32 v23, s13, v38
	v_ashrrev_i32_e32 v22, 5, v22
	v_cmp_gt_i32_e32 vcc, s5, v37
	v_or_b32_e32 v40, 0xc0, v37
	v_add_u32_e32 v34, s13, v39
	v_ashrrev_i32_e32 v23, 5, v23
	v_cndmask_b32_e32 v52, v36, v22, vcc
	v_cmp_gt_i32_e32 vcc, s5, v38
	v_add_u32_e32 v35, s13, v40
	v_lshl_add_u64 v[12:13], v[12:13], 0, v[24:25]
	v_ashrrev_i32_e32 v24, 5, v34
	v_cndmask_b32_e32 v58, v36, v23, vcc
	v_cmp_gt_i32_e32 vcc, s5, v39
	v_ashrrev_i32_e32 v25, 5, v35
	v_lshl_add_u64 v[10:11], v[10:11], 0, v[50:51]
	v_lshl_add_u64 v[34:35], v[12:13], 0, v[50:51]
	v_cndmask_b32_e32 v62, v36, v24, vcc
	v_cmp_gt_i32_e32 vcc, s5, v40
	v_ashrrev_i32_e32 v53, 31, v52
	v_ashrrev_i32_e32 v59, 31, v58
	v_cndmask_b32_e32 v64, v36, v25, vcc
	global_load_dwordx4 v[22:25], v[10:11], off
	s_nop 0
	global_load_dwordx4 v[10:13], v[10:11], off offset:2048
	s_nop 0
	global_load_dwordx4 v[38:41], v[34:35], off
	s_nop 0
	global_load_dwordx4 v[34:37], v[34:35], off offset:2048
	v_ashrrev_i32_e32 v63, 31, v62
	v_ashrrev_i32_e32 v65, 31, v64
	v_lshl_add_u64 v[52:53], v[52:53], 2, s[6:7]
	v_lshl_add_u64 v[66:67], v[58:59], 2, s[6:7]
	;; [unrolled: 1-line block ×4, first 2 shown]
	global_load_dword v58, v[52:53], off
	global_load_dword v64, v[66:67], off
	;; [unrolled: 1-line block ×3, first 2 shown]
	s_nop 0
	global_load_dword v62, v[68:69], off
	s_mov_b32 s33, 0x7060302
	s_add_u32 s6, s10, s12
	s_addc_u32 s7, s11, 0
	v_and_b32_e32 v50, 16, v0
	v_lshl_or_b32 v63, v57, 4, v56
	s_load_dword s4, s[0:1], 0x1c
	s_waitcnt vmcnt(11)
	v_cvt_pk_f32_fp8_e32 v[52:53], v2
	v_cvt_pk_f32_fp8_sdwa v[66:67], v2 src0_sel:WORD_1
	v_cvt_pk_f32_fp8_e32 v[68:69], v3
	v_cvt_pk_f32_fp8_sdwa v[2:3], v3 src0_sel:WORD_1
	v_perm_b32 v52, v53, v52, s33
	v_perm_b32 v53, v67, v66, s33
	v_cvt_pk_f32_fp8_e32 v[70:71], v4
	v_cvt_pk_f32_fp8_sdwa v[72:73], v4 src0_sel:WORD_1
	v_perm_b32 v74, v69, v68, s33
	v_perm_b32 v75, v3, v2, s33
	s_waitcnt lgkmcnt(0)
	v_mfma_f32_16x16x16_bf16 v[66:69], v[52:53], v[26:27], 0
	v_cvt_pk_f32_fp8_e32 v[2:3], v5
	v_perm_b32 v52, v71, v70, s33
	v_perm_b32 v53, v73, v72, s33
	v_cvt_pk_f32_fp8_sdwa v[4:5], v5 src0_sel:WORD_1
	v_mfma_f32_16x16x16_bf16 v[66:69], v[74:75], v[28:29], v[66:69]
	v_perm_b32 v70, v3, v2, s33
	s_waitcnt vmcnt(10)
	v_cvt_pk_f32_fp8_e32 v[72:73], v42
	v_cvt_pk_f32_fp8_sdwa v[74:75], v42 src0_sel:WORD_1
	v_perm_b32 v71, v5, v4, s33
	v_mfma_f32_16x16x16_bf16 v[2:5], v[52:53], v[18:19], v[66:69]
	v_perm_b32 v52, v73, v72, s33
	v_perm_b32 v53, v75, v74, s33
	s_waitcnt vmcnt(6)
	v_cvt_pk_f32_fp8_e32 v[74:75], v11
	v_cvt_pk_f32_fp8_e32 v[66:67], v43
	v_cvt_pk_f32_fp8_sdwa v[42:43], v43 src0_sel:WORD_1
	v_mfma_f32_16x16x16_bf16 v[2:5], v[70:71], v[20:21], v[2:5]
	v_cvt_pk_f32_fp8_sdwa v[68:69], v46 src0_sel:WORD_1
	v_perm_b32 v66, v67, v66, s33
	v_perm_b32 v67, v43, v42, s33
	v_mfma_f32_16x16x16_bf16 v[2:5], v[52:53], v[14:15], v[2:5]
	v_cvt_pk_f32_fp8_e32 v[42:43], v44
	v_cvt_pk_f32_fp8_sdwa v[52:53], v44 src0_sel:WORD_1
	v_cvt_pk_f32_fp8_sdwa v[70:71], v30 src0_sel:WORD_1
	v_mfma_f32_16x16x16_bf16 v[2:5], v[66:67], v[16:17], v[2:5]
	v_cvt_pk_f32_fp8_e32 v[66:67], v45
	v_perm_b32 v42, v43, v42, s33
	v_perm_b32 v43, v53, v52, s33
	v_cvt_pk_f32_fp8_sdwa v[44:45], v45 src0_sel:WORD_1
	v_perm_b32 v52, v67, v66, s33
	v_cvt_pk_f32_fp8_e32 v[66:67], v46
	v_mfma_f32_16x16x16_bf16 v[2:5], v[42:43], v[6:7], v[2:5]
	v_perm_b32 v53, v45, v44, s33
	v_perm_b32 v66, v67, v66, s33
	;; [unrolled: 1-line block ×3, first 2 shown]
	v_cvt_pk_f32_fp8_e32 v[68:69], v47
	v_cvt_pk_f32_fp8_sdwa v[46:47], v47 src0_sel:WORD_1
	v_mfma_f32_16x16x16_bf16 v[42:45], v[52:53], v[8:9], v[2:5]
	v_lshl_add_u64 v[52:53], s[6:7], 0, v[50:51]
	v_perm_b32 v68, v69, v68, s33
	v_perm_b32 v69, v47, v46, s33
	v_mfma_f32_16x16x16_bf16 v[2:5], v[66:67], v[26:27], 0
	v_cvt_pk_f32_fp8_e32 v[46:47], v48
	v_cvt_pk_f32_fp8_sdwa v[66:67], v48 src0_sel:WORD_1
	v_lshlrev_b32_e32 v50, 5, v63
	v_mfma_f32_16x16x16_bf16 v[2:5], v[68:69], v[28:29], v[2:5]
	v_cvt_pk_f32_fp8_e32 v[68:69], v49
	v_perm_b32 v46, v47, v46, s33
	v_perm_b32 v47, v67, v66, s33
	v_cvt_pk_f32_fp8_sdwa v[48:49], v49 src0_sel:WORD_1
	v_perm_b32 v66, v69, v68, s33
	v_cvt_pk_f32_fp8_e32 v[68:69], v30
	v_mfma_f32_16x16x16_bf16 v[2:5], v[46:47], v[18:19], v[2:5]
	v_perm_b32 v67, v49, v48, s33
	v_perm_b32 v46, v69, v68, s33
	v_perm_b32 v47, v71, v70, s33
	v_cvt_pk_f32_fp8_e32 v[48:49], v31
	v_cvt_pk_f32_fp8_sdwa v[30:31], v31 src0_sel:WORD_1
	v_mfma_f32_16x16x16_bf16 v[2:5], v[66:67], v[20:21], v[2:5]
	v_cvt_pk_f32_fp8_sdwa v[66:67], v22 src0_sel:WORD_1
	v_perm_b32 v48, v49, v48, s33
	v_perm_b32 v49, v31, v30, s33
	v_mfma_f32_16x16x16_bf16 v[2:5], v[46:47], v[14:15], v[2:5]
	v_cvt_pk_f32_fp8_e32 v[30:31], v32
	v_cvt_pk_f32_fp8_sdwa v[46:47], v32 src0_sel:WORD_1
	v_cvt_pk_f32_fp8_sdwa v[80:81], v13 src0_sel:WORD_1
	v_mfma_f32_16x16x16_bf16 v[2:5], v[48:49], v[16:17], v[2:5]
	v_cvt_pk_f32_fp8_e32 v[48:49], v33
	v_perm_b32 v30, v31, v30, s33
	v_perm_b32 v31, v47, v46, s33
	v_cvt_pk_f32_fp8_sdwa v[32:33], v33 src0_sel:WORD_1
	v_perm_b32 v46, v49, v48, s33
	v_cvt_pk_f32_fp8_e32 v[48:49], v22
	v_mfma_f32_16x16x16_bf16 v[2:5], v[30:31], v[6:7], v[2:5]
	v_perm_b32 v47, v33, v32, s33
	v_perm_b32 v30, v49, v48, s33
	v_perm_b32 v31, v67, v66, s33
	v_cvt_pk_f32_fp8_e32 v[32:33], v23
	v_cvt_pk_f32_fp8_sdwa v[22:23], v23 src0_sel:WORD_1
	v_mfma_f32_16x16x16_bf16 v[46:49], v[46:47], v[8:9], v[2:5]
	v_lshl_add_u64 v[66:67], v[52:53], 0, v[50:51]
	v_perm_b32 v32, v33, v32, s33
	v_perm_b32 v33, v23, v22, s33
	v_mfma_f32_16x16x16_bf16 v[2:5], v[30:31], v[26:27], 0
	v_cvt_pk_f32_fp8_e32 v[22:23], v24
	v_cvt_pk_f32_fp8_sdwa v[30:31], v24 src0_sel:WORD_1
	s_waitcnt vmcnt(3)
	v_mad_i64_i32 v[68:69], s[6:7], v58, s45, v[66:67]
	v_perm_b32 v22, v23, v22, s33
	v_perm_b32 v23, v31, v30, s33
	v_cvt_pk_f32_fp8_e32 v[30:31], v25
	v_cvt_pk_f32_fp8_sdwa v[24:25], v25 src0_sel:WORD_1
	v_mfma_f32_16x16x16_bf16 v[2:5], v[32:33], v[28:29], v[2:5]
	s_waitcnt vmcnt(2)
	v_mad_i64_i32 v[70:71], s[6:7], v64, s45, v[66:67]
	v_perm_b32 v72, v31, v30, s33
	v_perm_b32 v73, v25, v24, s33
	v_mfma_f32_16x16x16_bf16 v[2:5], v[22:23], v[18:19], v[2:5]
	global_load_dwordx4 v[30:33], v[68:69], off
	global_load_dwordx4 v[22:25], v[70:71], off
	v_cvt_pk_f32_fp8_e32 v[68:69], v10
	s_waitcnt vmcnt(3)
	v_mad_i64_i32 v[70:71], s[6:7], v55, s45, v[66:67]
	v_mfma_f32_16x16x16_bf16 v[2:5], v[72:73], v[20:21], v[2:5]
	v_cvt_pk_f32_fp8_sdwa v[72:73], v10 src0_sel:WORD_1
	v_cvt_pk_f32_fp8_sdwa v[10:11], v11 src0_sel:WORD_1
	v_perm_b32 v68, v69, v68, s33
	s_waitcnt vmcnt(2)
	v_mad_i64_i32 v[76:77], s[6:7], v62, s45, v[66:67]
	v_perm_b32 v69, v73, v72, s33
	v_perm_b32 v72, v75, v74, s33
	v_perm_b32 v73, v11, v10, s33
	v_cvt_pk_f32_fp8_e32 v[10:11], v12
	v_cvt_pk_f32_fp8_sdwa v[74:75], v12 src0_sel:WORD_1
	v_mfma_f32_16x16x16_bf16 v[66:69], v[68:69], v[14:15], v[2:5]
	v_or_b32_e32 v50, 0x800, v50
	v_perm_b32 v78, v11, v10, s33
	v_perm_b32 v79, v75, v74, s33
	v_cvt_pk_f32_fp8_e32 v[74:75], v13
	v_mfma_f32_16x16x16_bf16 v[66:69], v[72:73], v[16:17], v[66:69]
	v_lshl_add_u64 v[50:51], v[52:53], 0, v[50:51]
	v_perm_b32 v53, v81, v80, s33
	v_perm_b32 v52, v75, v74, s33
	global_load_dwordx4 v[10:13], v[70:71], off
	global_load_dwordx4 v[2:5], v[76:77], off
	v_mfma_f32_16x16x16_bf16 v[66:69], v[78:79], v[6:7], v[66:69]
	v_cvt_pk_f32_fp8_e32 v[70:71], v38
	v_cvt_pk_f32_fp8_sdwa v[72:73], v38 src0_sel:WORD_1
	v_cvt_pk_f32_fp8_e32 v[74:75], v40
	v_mfma_f32_16x16x16_bf16 v[66:69], v[52:53], v[8:9], v[66:69]
	v_cvt_pk_f32_fp8_e32 v[52:53], v39
	v_perm_b32 v70, v71, v70, s33
	v_perm_b32 v71, v73, v72, s33
	v_cvt_pk_f32_fp8_sdwa v[38:39], v39 src0_sel:WORD_1
	v_perm_b32 v52, v53, v52, s33
	v_cvt_pk_f32_fp8_sdwa v[76:77], v40 src0_sel:WORD_1
	v_mfma_f32_16x16x16_bf16 v[70:73], v[70:71], v[26:27], 0
	v_perm_b32 v53, v39, v38, s33
	v_perm_b32 v38, v75, v74, s33
	;; [unrolled: 1-line block ×3, first 2 shown]
	v_cvt_pk_f32_fp8_e32 v[74:75], v41
	v_cvt_pk_f32_fp8_sdwa v[40:41], v41 src0_sel:WORD_1
	v_mfma_f32_16x16x16_bf16 v[26:29], v[52:53], v[28:29], v[70:73]
	s_load_dword s6, s[40:41], 0x0
	v_mov_b32_e32 v52, s4
	s_mov_b32 s40, 0xff7fffff
	v_perm_b32 v70, v75, v74, s33
	v_perm_b32 v71, v41, v40, s33
	v_mfma_f32_16x16x16_bf16 v[26:29], v[38:39], v[18:19], v[26:29]
	v_cvt_pk_f32_fp8_e32 v[40:41], v35
	s_waitcnt lgkmcnt(0)
	v_mul_f32_e32 v72, s6, v52
	v_pk_mul_f32 v[52:53], v[72:73], v[42:43] op_sel_hi:[0,1]
	v_mfma_f32_16x16x16_bf16 v[18:21], v[70:71], v[20:21], v[26:29]
	v_pk_mul_f32 v[38:39], v[72:73], v[44:45] op_sel_hi:[0,1]
	v_mad_i64_i32 v[70:71], s[6:7], v58, s45, v[50:51]
	s_nop 0
	v_cvt_pk_f32_fp8_e32 v[26:27], v34
	v_cvt_pk_f32_fp8_sdwa v[28:29], v34 src0_sel:WORD_1
	v_cvt_pk_f32_fp8_sdwa v[34:35], v35 src0_sel:WORD_1
	v_pk_mul_f32 v[58:59], v[72:73], v[46:47] op_sel_hi:[0,1]
	v_perm_b32 v26, v27, v26, s33
	v_perm_b32 v27, v29, v28, s33
	;; [unrolled: 1-line block ×4, first 2 shown]
	v_cvt_pk_f32_fp8_e32 v[34:35], v36
	v_cvt_pk_f32_fp8_sdwa v[40:41], v36 src0_sel:WORD_1
	v_mfma_f32_16x16x16_bf16 v[18:21], v[26:27], v[14:15], v[18:21]
	v_pk_mul_f32 v[48:49], v[72:73], v[48:49] op_sel_hi:[0,1]
	v_perm_b32 v26, v35, v34, s33
	v_perm_b32 v27, v41, v40, s33
	v_cvt_pk_f32_fp8_e32 v[34:35], v37
	v_cvt_pk_f32_fp8_sdwa v[36:37], v37 src0_sel:WORD_1
	v_mfma_f32_16x16x16_bf16 v[14:17], v[28:29], v[16:17], v[18:21]
	v_pk_mul_f32 v[40:41], v[72:73], v[66:67] op_sel_hi:[0,1]
	v_pk_mul_f32 v[44:45], v[72:73], v[68:69] op_sel_hi:[0,1]
	s_nop 0
	v_perm_b32 v18, v35, v34, s33
	v_perm_b32 v19, v37, v36, s33
	v_mfma_f32_16x16x16_bf16 v[14:17], v[26:27], v[6:7], v[14:17]
	s_nop 0
	v_mfma_f32_16x16x16_bf16 v[6:9], v[18:19], v[8:9], v[14:17]
	s_nop 6
	v_pk_mul_f32 v[42:43], v[72:73], v[6:7] op_sel_hi:[0,1]
	v_and_b32_e32 v6, 0xc0, v0
	v_add_u32_e32 v6, s18, v6
	v_lshl_or_b32 v6, v60, 2, v6
	v_pk_mul_f32 v[34:35], v[72:73], v[8:9] op_sel_hi:[0,1]
	v_or_b32_e32 v9, 1, v6
	v_mov_b32_e32 v7, 0xff7fffff
	v_cmp_gt_i32_e64 s[24:25], s5, v6
	v_cmp_gt_i32_e64 s[26:27], s5, v9
	v_or_b32_e32 v14, 3, v6
	v_cndmask_b32_e64 v8, v7, v52, s[24:25]
	v_cndmask_b32_e64 v9, v7, v53, s[26:27]
	v_max3_f32 v8, v8, s40, v9
	v_or_b32_e32 v9, 2, v6
	v_cmp_gt_i32_e64 s[28:29], s5, v9
	v_cmp_gt_i32_e64 s[30:31], s5, v14
	s_nop 0
	v_cndmask_b32_e64 v9, v7, v38, s[28:29]
	v_cndmask_b32_e64 v14, v7, v39, s[30:31]
	v_max3_f32 v8, v8, v9, v14
	v_or_b32_e32 v9, 16, v6
	v_or_b32_e32 v14, 17, v6
	v_cmp_gt_i32_e64 s[34:35], s5, v9
	v_cmp_gt_i32_e64 s[36:37], s5, v14
	s_nop 0
	v_cndmask_b32_e64 v9, v7, v58, s[34:35]
	v_cndmask_b32_e64 v14, v7, v59, s[36:37]
	v_max3_f32 v8, v8, v9, v14
	v_or_b32_e32 v9, 18, v6
	;; [unrolled: 8-line block ×6, first 2 shown]
	v_or_b32_e32 v6, 51, v6
	v_cmp_gt_i32_e32 vcc, s5, v9
	v_cmp_gt_i32_e64 s[4:5], s5, v6
	s_nop 0
	v_cndmask_b32_e32 v9, v7, v34, vcc
	v_cndmask_b32_e64 v6, v7, v35, s[4:5]
	v_max3_f32 v8, v8, v9, v6
	v_mbcnt_lo_u32_b32 v6, -1, 0
	v_mbcnt_hi_u32_b32 v9, -1, v6
	v_and_b32_e32 v6, 64, v9
	v_add_u32_e32 v14, 64, v6
	v_xor_b32_e32 v6, 32, v9
	v_cmp_lt_i32_e64 s[38:39], v6, v14
	s_nop 1
	v_cndmask_b32_e64 v6, v9, v6, s[38:39]
	v_lshlrev_b32_e32 v65, 2, v6
	ds_bpermute_b32 v15, v65, v8
	v_mad_i64_i32 v[6:7], s[38:39], v64, s45, v[50:51]
	global_load_dwordx4 v[26:29], v[70:71], off
	global_load_dwordx4 v[18:21], v[6:7], off
	s_waitcnt lgkmcnt(0)
	v_max_f32_e32 v6, v15, v15
	v_max_f32_e32 v15, v8, v6
	v_xor_b32_e32 v6, 16, v9
	v_cmp_lt_i32_e64 s[38:39], v6, v14
	s_nop 1
	v_cndmask_b32_e64 v6, v9, v6, s[38:39]
	v_lshlrev_b32_e32 v64, 2, v6
	ds_bpermute_b32 v14, v64, v15
	v_mad_i64_i32 v[6:7], s[38:39], v55, s45, v[50:51]
	v_mad_i64_i32 v[8:9], s[38:39], v62, s45, v[50:51]
	s_waitcnt lgkmcnt(0)
	v_max_f32_e32 v14, v14, v14
	v_max_f32_e32 v50, v15, v14
	v_sub_f32_e32 v14, v52, v50
	v_mul_f32_e32 v14, 0x3fb8aa3b, v14
	v_exp_f32_e32 v36, v14
	v_sub_f32_e32 v14, v53, v50
	v_mul_f32_e32 v14, 0x3fb8aa3b, v14
	v_exp_f32_e32 v37, v14
	global_load_dwordx4 v[14:17], v[6:7], off
	s_nop 0
	global_load_dwordx4 v[6:9], v[8:9], off
	v_sub_f32_e32 v38, v38, v50
	v_mul_f32_e32 v38, 0x3fb8aa3b, v38
	v_sub_f32_e32 v39, v39, v50
	v_exp_f32_e32 v38, v38
	v_mul_f32_e32 v39, 0x3fb8aa3b, v39
	v_exp_f32_e32 v39, v39
	v_cndmask_b32_e64 v36, 0, v36, s[24:25]
	v_add_f32_e32 v46, 0, v36
	v_cndmask_b32_e64 v37, 0, v37, s[26:27]
	v_add_f32_e32 v47, v46, v37
	v_cndmask_b32_e64 v46, 0, v38, s[28:29]
	v_add_f32_e32 v38, v47, v46
	v_cndmask_b32_e64 v47, 0, v39, s[30:31]
	v_sub_f32_e32 v39, v58, v50
	v_mul_f32_e32 v39, 0x3fb8aa3b, v39
	v_sub_f32_e32 v51, v59, v50
	v_exp_f32_e32 v39, v39
	v_mul_f32_e32 v51, 0x3fb8aa3b, v51
	v_sub_f32_e32 v48, v48, v50
	v_exp_f32_e32 v51, v51
	;; [unrolled: 3-line block ×4, first 2 shown]
	v_mul_f32_e32 v40, 0x3fb8aa3b, v40
	v_sub_f32_e32 v41, v41, v50
	v_add_f32_e32 v52, v38, v47
	v_cndmask_b32_e64 v38, 0, v39, s[34:35]
	v_exp_f32_e32 v40, v40
	v_mul_f32_e32 v41, 0x3fb8aa3b, v41
	v_sub_f32_e32 v44, v44, v50
	v_add_f32_e32 v52, v52, v38
	v_cndmask_b32_e64 v39, 0, v51, s[36:37]
	v_exp_f32_e32 v41, v41
	v_mul_f32_e32 v44, 0x3fb8aa3b, v44
	v_sub_f32_e32 v45, v45, v50
	v_add_f32_e32 v51, v52, v39
	v_cndmask_b32_e64 v48, 0, v48, s[18:19]
	v_exp_f32_e32 v44, v44
	v_mul_f32_e32 v45, 0x3fb8aa3b, v45
	v_sub_f32_e32 v42, v42, v50
	v_add_f32_e32 v51, v51, v48
	v_cndmask_b32_e64 v49, 0, v49, s[20:21]
	v_exp_f32_e32 v45, v45
	v_mul_f32_e32 v42, 0x3fb8aa3b, v42
	v_sub_f32_e32 v43, v43, v50
	v_add_f32_e32 v51, v51, v49
	v_cndmask_b32_e64 v40, 0, v40, s[14:15]
	v_exp_f32_e32 v42, v42
	v_mul_f32_e32 v43, 0x3fb8aa3b, v43
	v_sub_f32_e32 v34, v34, v50
	v_add_f32_e32 v51, v51, v40
	v_cndmask_b32_e64 v41, 0, v41, s[16:17]
	v_exp_f32_e32 v43, v43
	v_mul_f32_e32 v34, 0x3fb8aa3b, v34
	v_sub_f32_e32 v35, v35, v50
	v_add_f32_e32 v51, v51, v41
	v_cndmask_b32_e64 v44, 0, v44, s[10:11]
	v_exp_f32_e32 v34, v34
	v_mul_f32_e32 v35, 0x3fb8aa3b, v35
	v_add_f32_e32 v51, v51, v44
	v_cndmask_b32_e64 v45, 0, v45, s[12:13]
	v_exp_f32_e32 v35, v35
	v_add_f32_e32 v51, v51, v45
	v_cndmask_b32_e64 v42, 0, v42, s[6:7]
	v_add_f32_e32 v51, v51, v42
	v_cndmask_b32_e64 v43, 0, v43, s[8:9]
	v_add_f32_e32 v51, v51, v43
	v_cndmask_b32_e32 v34, 0, v34, vcc
	v_add_f32_e32 v51, v51, v34
	v_cndmask_b32_e64 v35, 0, v35, s[4:5]
	v_add_f32_e32 v51, v51, v35
	ds_bpermute_b32 v52, v65, v51
	v_cmp_gt_u32_e32 vcc, 16, v61
	s_waitcnt lgkmcnt(0)
	s_barrier
	v_add_f32_e32 v51, v51, v52
	ds_bpermute_b32 v52, v64, v51
	s_and_saveexec_b64 s[4:5], vcc
	s_cbranch_execz .LBB1398_13
; %bb.12:
	s_waitcnt lgkmcnt(0)
	v_add_f32_e32 v51, v51, v52
	v_lshlrev_b32_e32 v52, 2, v63
	ds_write2st64_b32 v52, v50, v51 offset1:1
.LBB1398_13:
	s_or_b64 exec, exec, s[4:5]
	v_lshlrev_b32_e32 v51, 2, v56
	s_load_dword s6, s[0:1], 0x94
	s_waitcnt lgkmcnt(0)
	s_barrier
	ds_read2_b32 v[52:53], v51 offset1:16
	ds_read2_b32 v[58:59], v51 offset0:32 offset1:48
	ds_read2_b32 v[62:63], v51 offset0:64 offset1:80
	s_movk_i32 s8, 0x7fff
	s_mul_i32 s7, s23, 11
	s_waitcnt lgkmcnt(2)
	v_max3_f32 v50, v52, s40, v53
	s_waitcnt lgkmcnt(1)
	v_max3_f32 v50, v50, v58, v59
	v_sub_f32_e32 v52, v52, v50
	v_mul_f32_e32 v52, 0x3fb8aa3b, v52
	v_exp_f32_e32 v55, v52
	v_sub_f32_e32 v52, v53, v50
	v_mul_f32_e32 v52, 0x3fb8aa3b, v52
	v_exp_f32_e32 v61, v52
	;; [unrolled: 3-line block ×3, first 2 shown]
	ds_read2_b32 v[52:53], v51 offset0:96 offset1:112
	v_sub_f32_e32 v51, v59, v50
	v_mul_f32_e32 v51, 0x3fb8aa3b, v51
	v_exp_f32_e32 v59, v51
	s_waitcnt lgkmcnt(1)
	v_fma_f32 v51, v55, v62, 0
	v_fmac_f32_e32 v51, v61, v63
	s_waitcnt lgkmcnt(0)
	v_fmac_f32_e32 v51, v58, v52
	v_fmac_f32_e32 v51, v59, v53
	v_add_f32_e32 v52, 0x358637bd, v51
	v_div_scale_f32 v53, s[4:5], v52, v52, 1.0
	v_rcp_f32_e32 v62, v53
	s_barrier
	v_fma_f32 v63, -v53, v62, 1.0
	v_fmac_f32_e32 v62, v63, v62
	v_div_scale_f32 v63, vcc, 1.0, v52, 1.0
	v_mul_f32_e32 v64, v63, v62
	v_fma_f32 v65, -v53, v64, v63
	v_fmac_f32_e32 v64, v65, v62
	v_fma_f32 v53, -v53, v64, v63
	v_div_fmas_f32 v53, v53, v62, v64
	v_cmp_eq_u32_e32 vcc, 1, v57
	v_div_fixup_f32 v52, v53, v52, 1.0
	s_nop 0
	v_cndmask_b32_e32 v53, v55, v61, vcc
	v_cmp_eq_u32_e32 vcc, 2, v57
	s_nop 1
	v_cndmask_b32_e32 v53, v53, v58, vcc
	v_cmp_eq_u32_e32 vcc, 3, v57
	s_nop 1
	v_cndmask_b32_e32 v53, v53, v59, vcc
	v_mul_f32_e32 v52, v53, v52
	v_pk_mul_f32 v[36:37], v[52:53], v[36:37] op_sel_hi:[0,1]
	v_pk_mul_f32 v[46:47], v[52:53], v[46:47] op_sel_hi:[0,1]
	v_bfe_u32 v53, v37, 16, 1
	v_bfe_u32 v55, v36, 16, 1
	v_add3_u32 v36, v36, v55, s8
	v_add3_u32 v37, v37, v53, s8
	v_perm_b32 v58, v37, v36, s33
	v_bfe_u32 v36, v47, 16, 1
	v_bfe_u32 v37, v46, 16, 1
	v_add3_u32 v37, v46, v37, s8
	v_add3_u32 v36, v47, v36, s8
	v_perm_b32 v59, v36, v37, s33
	v_lshlrev_b32_e32 v37, 3, v60
	v_lshlrev_b32_e32 v36, 5, v56
	;; [unrolled: 1-line block ×3, first 2 shown]
	v_pk_mul_f32 v[38:39], v[52:53], v[38:39] op_sel_hi:[0,1]
	v_or3_b32 v55, v46, v36, v37
	v_pk_mul_f32 v[46:47], v[52:53], v[48:49] op_sel_hi:[0,1]
	v_bfe_u32 v37, v39, 16, 1
	v_bfe_u32 v48, v38, 16, 1
	v_add3_u32 v38, v38, v48, s8
	v_add3_u32 v37, v39, v37, s8
	v_perm_b32 v38, v37, v38, s33
	v_bfe_u32 v37, v47, 16, 1
	v_bfe_u32 v39, v46, 16, 1
	v_add3_u32 v39, v46, v39, s8
	v_add3_u32 v37, v47, v37, s8
	v_perm_b32 v39, v37, v39, s33
	v_pk_mul_f32 v[40:41], v[52:53], v[40:41] op_sel_hi:[0,1]
	ds_write2st64_b64 v55, v[58:59], v[38:39] offset1:1
	v_pk_mul_f32 v[38:39], v[52:53], v[44:45] op_sel_hi:[0,1]
	v_bfe_u32 v37, v41, 16, 1
	v_bfe_u32 v44, v40, 16, 1
	v_add3_u32 v40, v40, v44, s8
	v_add3_u32 v37, v41, v37, s8
	v_perm_b32 v40, v37, v40, s33
	v_bfe_u32 v37, v39, 16, 1
	v_bfe_u32 v41, v38, 16, 1
	v_add3_u32 v38, v38, v41, s8
	v_add3_u32 v37, v39, v37, s8
	v_perm_b32 v41, v37, v38, s33
	v_pk_mul_f32 v[38:39], v[52:53], v[42:43] op_sel_hi:[0,1]
	v_bfe_u32 v37, v39, 16, 1
	v_bfe_u32 v42, v38, 16, 1
	v_pk_mul_f32 v[34:35], v[52:53], v[34:35] op_sel_hi:[0,1]
	v_add3_u32 v38, v38, v42, s8
	v_add3_u32 v37, v39, v37, s8
	v_perm_b32 v38, v37, v38, s33
	v_bfe_u32 v37, v35, 16, 1
	v_bfe_u32 v39, v34, 16, 1
	v_add3_u32 v34, v34, v39, s8
	v_add3_u32 v35, v35, v37, s8
	v_perm_b32 v39, v35, v34, s33
	v_cmp_gt_u32_e32 vcc, 11, v0
	ds_write2st64_b64 v55, v[40:41], v[38:39] offset0:2 offset1:3
	s_and_saveexec_b64 s[4:5], vcc
	s_cbranch_execz .LBB1398_15
; %bb.14:
	s_mov_b32 s49, 0
	v_mov_b32_e32 v57, 0
	v_lshl_add_u64 v[34:35], s[48:49], 0, v[56:57]
	v_mov_b32_e32 v37, s7
	v_mad_u64_u32 v[34:35], s[10:11], s2, v37, v[34:35]
	s_mul_i32 s3, s3, s7
	v_mov_b32_e32 v38, s22
	v_mov_b32_e32 v39, v57
	s_load_dwordx4 s[12:15], s[0:1], 0x58
	v_add_u32_e32 v37, s3, v35
	v_mad_u64_u32 v[34:35], s[10:11], v34, s6, v[38:39]
	v_mov_b32_e32 v38, v35
	v_mad_u64_u32 v[38:39], s[10:11], v37, s6, v[38:39]
	v_mov_b32_e32 v35, v38
	v_lshlrev_b64 v[34:35], 2, v[34:35]
	s_waitcnt lgkmcnt(0)
	v_lshl_add_u64 v[38:39], s[14:15], 0, v[34:35]
	v_lshl_add_u64 v[34:35], s[12:13], 0, v[34:35]
	global_store_dword v[38:39], v50, off
	global_store_dword v[34:35], v51, off
.LBB1398_15:
	s_or_b64 exec, exec, s[4:5]
	v_lshl_or_b32 v50, v60, 9, v36
	s_waitcnt vmcnt(7)
	v_cvt_pk_f32_fp8_e32 v[34:35], v30
	v_cvt_pk_f32_fp8_sdwa v[36:37], v30 src0_sel:WORD_1
	s_mov_b32 s5, 0x7060302
	s_waitcnt lgkmcnt(0)
	s_barrier
	v_cvt_pk_f32_fp8_e32 v[38:39], v31
	v_perm_b32 v30, v35, v34, s5
	v_cvt_pk_f32_fp8_sdwa v[40:41], v31 src0_sel:WORD_1
	v_perm_b32 v31, v37, v36, s5
	ds_read_b128 v[34:37], v50
	v_perm_b32 v46, v39, v38, s5
	v_perm_b32 v47, v41, v40, s5
	ds_read_b128 v[38:41], v50 offset:16
	v_cvt_pk_f32_fp8_e32 v[48:49], v32
	v_cvt_pk_f32_fp8_sdwa v[52:53], v32 src0_sel:WORD_1
	s_waitcnt lgkmcnt(1)
	v_mfma_f32_16x16x16_bf16 v[42:45], v[30:31], v[34:35], 0
	s_waitcnt vmcnt(6)
	v_cvt_pk_f32_fp8_e32 v[58:59], v24
	v_perm_b32 v30, v49, v48, s5
	v_perm_b32 v31, v53, v52, s5
	v_cvt_pk_f32_fp8_e32 v[48:49], v33
	v_mfma_f32_16x16x16_bf16 v[42:45], v[46:47], v[36:37], v[42:45]
	v_cvt_pk_f32_fp8_sdwa v[46:47], v33 src0_sel:WORD_1
	v_cvt_pk_f32_fp8_sdwa v[62:63], v24 src0_sel:WORD_1
	v_perm_b32 v48, v49, v48, s5
	s_waitcnt lgkmcnt(0)
	v_mfma_f32_16x16x16_bf16 v[30:33], v[30:31], v[38:39], v[42:45]
	v_perm_b32 v49, v47, v46, s5
	s_waitcnt vmcnt(5)
	v_cvt_pk_f32_fp8_sdwa v[66:67], v12 src0_sel:WORD_1
	s_waitcnt vmcnt(4)
	v_cvt_pk_f32_fp8_sdwa v[68:69], v4 src0_sel:WORD_1
	v_cvt_pk_f32_fp8_e32 v[42:43], v22
	v_mfma_f32_16x16x16_bf16 v[46:49], v[48:49], v[40:41], v[30:33]
	s_load_dword s4, s[42:43], 0x0
	s_waitcnt vmcnt(3)
	v_cvt_pk_f32_fp8_sdwa v[70:71], v28 src0_sel:WORD_1
	v_cvt_pk_f32_fp8_sdwa v[30:31], v22 src0_sel:WORD_1
	v_cvt_pk_f32_fp8_e32 v[32:33], v23
	v_perm_b32 v22, v43, v42, s5
	v_cvt_pk_f32_fp8_sdwa v[42:43], v23 src0_sel:WORD_1
	v_perm_b32 v23, v31, v30, s5
	v_perm_b32 v52, v33, v32, s5
	ds_read_b128 v[30:33], v50 offset:2048
	v_perm_b32 v53, v43, v42, s5
	ds_read_b128 v[42:45], v50 offset:2064
	s_waitcnt lgkmcnt(0)
	v_mfma_f32_16x16x16_bf16 v[46:49], v[22:23], v[30:31], v[46:49]
	v_perm_b32 v22, v59, v58, s5
	v_perm_b32 v23, v63, v62, s5
	v_cvt_pk_f32_fp8_e32 v[58:59], v25
	v_mfma_f32_16x16x16_bf16 v[46:49], v[52:53], v[32:33], v[46:49]
	v_cvt_pk_f32_fp8_sdwa v[52:53], v25 src0_sel:WORD_1
	s_mov_b32 s3, 0
	v_perm_b32 v58, v59, v58, s5
	v_mfma_f32_16x16x16_bf16 v[22:25], v[22:23], v[42:43], v[46:49]
	v_perm_b32 v59, v53, v52, s5
	v_cmp_gt_u32_e32 vcc, 64, v0
	s_nop 0
	v_cvt_pk_f32_fp8_e32 v[46:47], v10
	v_mfma_f32_16x16x16_bf16 v[62:65], v[58:59], v[44:45], v[22:25]
	v_cvt_pk_f32_fp8_e32 v[58:59], v12
	s_nop 1
	v_cvt_pk_f32_fp8_sdwa v[22:23], v10 src0_sel:WORD_1
	v_cvt_pk_f32_fp8_e32 v[24:25], v11
	v_perm_b32 v10, v47, v46, s5
	v_cvt_pk_f32_fp8_sdwa v[46:47], v11 src0_sel:WORD_1
	v_perm_b32 v11, v23, v22, s5
	v_perm_b32 v52, v25, v24, s5
	ds_read_b128 v[22:25], v50 offset:4096
	v_perm_b32 v53, v47, v46, s5
	ds_read_b128 v[46:49], v50 offset:4112
	s_waitcnt lgkmcnt(1)
	v_mfma_f32_16x16x16_bf16 v[62:65], v[10:11], v[22:23], v[62:65]
	v_perm_b32 v10, v59, v58, s5
	v_perm_b32 v11, v67, v66, s5
	v_cvt_pk_f32_fp8_e32 v[58:59], v13
	v_mfma_f32_16x16x16_bf16 v[62:65], v[52:53], v[24:25], v[62:65]
	v_cvt_pk_f32_fp8_sdwa v[52:53], v13 src0_sel:WORD_1
	v_cvt_pk_f32_fp8_e32 v[66:67], v4
	v_perm_b32 v58, v59, v58, s5
	s_waitcnt lgkmcnt(0)
	v_mfma_f32_16x16x16_bf16 v[10:13], v[10:11], v[46:47], v[62:65]
	v_perm_b32 v59, v53, v52, s5
	v_cvt_pk_f32_fp8_e32 v[52:53], v2
	s_nop 0
	v_mfma_f32_16x16x16_bf16 v[62:65], v[58:59], v[48:49], v[10:13]
	s_nop 2
	v_cvt_pk_f32_fp8_sdwa v[10:11], v2 src0_sel:WORD_1
	v_cvt_pk_f32_fp8_e32 v[12:13], v3
	v_perm_b32 v2, v53, v52, s5
	v_cvt_pk_f32_fp8_sdwa v[52:53], v3 src0_sel:WORD_1
	v_perm_b32 v3, v11, v10, s5
	v_perm_b32 v58, v13, v12, s5
	ds_read_b128 v[10:13], v50 offset:6144
	v_perm_b32 v59, v53, v52, s5
	s_waitcnt lgkmcnt(0)
	v_mfma_f32_16x16x16_bf16 v[62:65], v[2:3], v[10:11], v[62:65]
	ds_read_b128 v[50:53], v50 offset:6160
	v_perm_b32 v2, v67, v66, s5
	v_perm_b32 v3, v69, v68, s5
	v_cvt_pk_f32_fp8_e32 v[66:67], v5
	v_mfma_f32_16x16x16_bf16 v[62:65], v[58:59], v[12:13], v[62:65]
	v_cvt_pk_f32_fp8_sdwa v[58:59], v5 src0_sel:WORD_1
	v_cvt_pk_f32_fp8_e32 v[68:69], v28
	v_perm_b32 v66, v67, v66, s5
	s_waitcnt lgkmcnt(0)
	v_mfma_f32_16x16x16_bf16 v[2:5], v[2:3], v[50:51], v[62:65]
	v_perm_b32 v67, v59, v58, s5
	v_cvt_pk_f32_fp8_sdwa v[58:59], v26 src0_sel:WORD_1
	s_nop 0
	v_mfma_f32_16x16x16_bf16 v[62:65], v[66:67], v[52:53], v[2:5]
	s_barrier
	s_nop 1
	v_cvt_pk_f32_fp8_e32 v[4:5], v26
	s_nop 2
	v_pk_mul_f32 v[66:67], v[62:63], s[4:5] op_sel_hi:[1,0]
	v_cvt_pk_f32_fp8_e32 v[62:63], v27
	v_perm_b32 v4, v5, v4, s5
	v_perm_b32 v5, v59, v58, s5
	v_cvt_pk_f32_fp8_sdwa v[26:27], v27 src0_sel:WORD_1
	v_perm_b32 v58, v63, v62, s5
	v_pk_mul_f32 v[2:3], v[64:65], s[4:5] op_sel_hi:[1,0]
	v_mfma_f32_16x16x16_bf16 v[62:65], v[4:5], v[34:35], 0
	v_perm_b32 v59, v27, v26, s5
	v_perm_b32 v4, v69, v68, s5
	;; [unrolled: 1-line block ×3, first 2 shown]
	v_cvt_pk_f32_fp8_e32 v[34:35], v29
	v_cvt_pk_f32_fp8_sdwa v[68:69], v29 src0_sel:WORD_1
	v_mfma_f32_16x16x16_bf16 v[26:29], v[58:59], v[36:37], v[62:65]
	s_waitcnt vmcnt(2)
	v_cvt_pk_f32_fp8_sdwa v[36:37], v18 src0_sel:WORD_1
	v_perm_b32 v34, v35, v34, s5
	v_perm_b32 v35, v69, v68, s5
	v_mfma_f32_16x16x16_bf16 v[26:29], v[4:5], v[38:39], v[26:29]
	v_cvt_pk_f32_fp8_e32 v[4:5], v18
	v_cvt_pk_f32_fp8_sdwa v[38:39], v20 src0_sel:WORD_1
	v_bfe_u32 v57, v67, 16, 1
	v_mfma_f32_16x16x16_bf16 v[26:29], v[34:35], v[40:41], v[26:29]
	v_cvt_pk_f32_fp8_e32 v[34:35], v19
	v_perm_b32 v4, v5, v4, s5
	v_perm_b32 v5, v37, v36, s5
	v_cvt_pk_f32_fp8_sdwa v[18:19], v19 src0_sel:WORD_1
	v_perm_b32 v34, v35, v34, s5
	v_cvt_pk_f32_fp8_e32 v[36:37], v20
	v_mfma_f32_16x16x16_bf16 v[26:29], v[4:5], v[30:31], v[26:29]
	v_perm_b32 v35, v19, v18, s5
	v_perm_b32 v4, v37, v36, s5
	;; [unrolled: 1-line block ×3, first 2 shown]
	v_cvt_pk_f32_fp8_e32 v[30:31], v21
	v_cvt_pk_f32_fp8_sdwa v[36:37], v21 src0_sel:WORD_1
	v_mfma_f32_16x16x16_bf16 v[18:21], v[34:35], v[32:33], v[26:29]
	v_bfe_u32 v58, v66, 16, 1
	v_add3_u32 v32, v66, v58, s8
	v_add3_u32 v33, v67, v57, s8
	v_perm_b32 v26, v31, v30, s5
	v_perm_b32 v27, v37, v36, s5
	v_mfma_f32_16x16x16_bf16 v[18:21], v[4:5], v[42:43], v[18:21]
	s_waitcnt vmcnt(1)
	v_cvt_pk_f32_fp8_e32 v[4:5], v14
	v_cvt_pk_f32_fp8_sdwa v[28:29], v14 src0_sel:WORD_1
	v_cvt_pk_f32_fp8_sdwa v[30:31], v16 src0_sel:WORD_1
	v_mfma_f32_16x16x16_bf16 v[18:21], v[26:27], v[44:45], v[18:21]
	v_cvt_pk_f32_fp8_e32 v[26:27], v15
	v_perm_b32 v4, v5, v4, s5
	v_perm_b32 v5, v29, v28, s5
	v_cvt_pk_f32_fp8_sdwa v[14:15], v15 src0_sel:WORD_1
	v_perm_b32 v26, v27, v26, s5
	v_cvt_pk_f32_fp8_e32 v[28:29], v16
	v_mfma_f32_16x16x16_bf16 v[18:21], v[4:5], v[22:23], v[18:21]
	v_perm_b32 v27, v15, v14, s5
	v_perm_b32 v4, v29, v28, s5
	v_perm_b32 v5, v31, v30, s5
	v_cvt_pk_f32_fp8_e32 v[22:23], v17
	v_cvt_pk_f32_fp8_sdwa v[28:29], v17 src0_sel:WORD_1
	v_mfma_f32_16x16x16_bf16 v[14:17], v[26:27], v[24:25], v[18:21]
	s_waitcnt vmcnt(0)
	v_cvt_pk_f32_fp8_sdwa v[24:25], v8 src0_sel:WORD_1
	s_nop 0
	v_perm_b32 v20, v23, v22, s5
	v_perm_b32 v21, v29, v28, s5
	v_mfma_f32_16x16x16_bf16 v[14:17], v[4:5], v[46:47], v[14:17]
	v_cvt_pk_f32_fp8_e32 v[4:5], v6
	v_cvt_pk_f32_fp8_sdwa v[22:23], v6 src0_sel:WORD_1
	v_bfe_u32 v19, v3, 16, 1
	v_mfma_f32_16x16x16_bf16 v[14:17], v[20:21], v[48:49], v[14:17]
	v_cvt_pk_f32_fp8_e32 v[20:21], v7
	v_perm_b32 v4, v5, v4, s5
	v_perm_b32 v5, v23, v22, s5
	v_cvt_pk_f32_fp8_sdwa v[6:7], v7 src0_sel:WORD_1
	v_perm_b32 v20, v21, v20, s5
	v_cvt_pk_f32_fp8_e32 v[22:23], v8
	v_add3_u32 v3, v3, v19, s8
	v_perm_b32 v21, v7, v6, s5
	v_mfma_f32_16x16x16_bf16 v[4:7], v[4:5], v[10:11], v[14:17]
	v_perm_b32 v10, v23, v22, s5
	v_perm_b32 v11, v25, v24, s5
	;; [unrolled: 1-line block ×3, first 2 shown]
	v_cvt_pk_f32_fp8_e32 v[14:15], v9
	v_cvt_pk_f32_fp8_sdwa v[8:9], v9 src0_sel:WORD_1
	v_mfma_f32_16x16x16_bf16 v[4:7], v[20:21], v[12:13], v[4:7]
	v_bfe_u32 v16, v2, 16, 1
	v_perm_b32 v12, v15, v14, s5
	v_perm_b32 v13, v9, v8, s5
	v_mfma_f32_16x16x16_bf16 v[4:7], v[10:11], v[50:51], v[4:7]
	v_add3_u32 v2, v2, v16, s8
	v_perm_b32 v19, v3, v2, s5
	v_mfma_f32_16x16x16_bf16 v[2:5], v[12:13], v[52:53], v[4:7]
	s_nop 6
	v_pk_mul_f32 v[2:3], v[2:3], s[4:5] op_sel_hi:[1,0]
	v_pk_mul_f32 v[4:5], v[4:5], s[4:5] op_sel_hi:[1,0]
	v_bfe_u32 v6, v3, 16, 1
	v_bfe_u32 v7, v2, 16, 1
	v_add3_u32 v2, v2, v7, s8
	v_add3_u32 v3, v3, v6, s8
	v_perm_b32 v2, v3, v2, s5
	v_bfe_u32 v3, v5, 16, 1
	v_bfe_u32 v6, v4, 16, 1
	v_add3_u32 v4, v4, v6, s8
	v_add3_u32 v3, v5, v3, s8
	v_perm_b32 v3, v3, v4, s5
	ds_write2st64_b64 v55, v[18:19], v[2:3] offset1:1
	s_waitcnt lgkmcnt(0)
	s_barrier
	s_and_saveexec_b64 s[4:5], vcc
	s_cbranch_execz .LBB1398_18
; %bb.16:
	s_load_dwordx2 s[4:5], s[0:1], 0x68
	s_lshl_b32 s0, s6, 7
	s_mul_i32 s1, s7, s2
	v_lshlrev_b32_e32 v3, 6, v56
	s_mul_hi_u32 s7, s1, s0
	s_mul_i32 s6, s1, s0
	v_lshl_or_b32 v0, v0, 10, v3
	s_lshl_b64 s[6:7], s[6:7], 1
	v_lshlrev_b32_e32 v2, 5, v60
	v_and_b32_e32 v1, 16, v1
	v_and_b32_e32 v0, 0x1a00, v0
	s_waitcnt lgkmcnt(0)
	s_add_u32 s1, s4, s6
	v_or3_b32 v2, v0, v2, v1
	s_addc_u32 s4, s5, s7
	s_lshl_b32 s2, s22, 7
	s_lshl_b64 s[2:3], s[2:3], 1
	ds_read_b128 v[4:7], v2 offset:128
	ds_read_b128 v[8:11], v2
	s_add_u32 s2, s1, s2
	s_addc_u32 s3, s4, s3
	v_mov_b32_e32 v55, 0
	v_add_u32_e32 v3, s48, v60
	v_lshl_add_u64 v[0:1], s[2:3], 0, v[54:55]
	v_mad_u64_u32 v[12:13], s[2:3], v3, s0, 0
	v_lshl_add_u64 v[12:13], v[12:13], 1, v[0:1]
	v_add_u32_e32 v3, 4, v3
	s_waitcnt lgkmcnt(0)
	global_store_dwordx4 v[12:13], v[8:11], off
	v_cmp_ne_u32_e32 vcc, 3, v60
	s_nop 0
	v_mad_u64_u32 v[8:9], s[2:3], v3, s0, 0
	v_lshl_add_u64 v[8:9], v[8:9], 1, v[0:1]
	global_store_dwordx4 v[8:9], v[4:7], off
	s_and_b64 exec, exec, vcc
	s_cbranch_execz .LBB1398_18
; %bb.17:
	ds_read_b128 v[2:5], v2 offset:256
	v_add3_u32 v6, s48, v60, 8
	v_mad_u64_u32 v[6:7], s[0:1], v6, s0, 0
	v_lshl_add_u64 v[0:1], v[6:7], 1, v[0:1]
	s_waitcnt lgkmcnt(0)
	global_store_dwordx4 v[0:1], v[2:5], off
.LBB1398_18:
	s_endpgm
	.section	.rodata,"a",@progbits
	.p2align	6, 0x0
	.amdhsa_kernel _Z39paged_attention_ll4mi_QKV_mfma16_kernelI14__hip_bfloat16hLN4vllm18Fp8KVCacheDataTypeE1ES0_Li32ELi128ELi256ELb0ELi11EEvPKT_PKT0_S8_ifPKiSA_SA_iPKfiiiPfSD_PS3_PT2_iSC_SC_
		.amdhsa_group_segment_fixed_size 8192
		.amdhsa_private_segment_fixed_size 0
		.amdhsa_kernarg_size 400
		.amdhsa_user_sgpr_count 2
		.amdhsa_user_sgpr_dispatch_ptr 0
		.amdhsa_user_sgpr_queue_ptr 0
		.amdhsa_user_sgpr_kernarg_segment_ptr 1
		.amdhsa_user_sgpr_dispatch_id 0
		.amdhsa_user_sgpr_kernarg_preload_length 0
		.amdhsa_user_sgpr_kernarg_preload_offset 0
		.amdhsa_user_sgpr_private_segment_size 0
		.amdhsa_uses_dynamic_stack 0
		.amdhsa_enable_private_segment 0
		.amdhsa_system_sgpr_workgroup_id_x 1
		.amdhsa_system_sgpr_workgroup_id_y 1
		.amdhsa_system_sgpr_workgroup_id_z 1
		.amdhsa_system_sgpr_workgroup_info 0
		.amdhsa_system_vgpr_workitem_id 0
		.amdhsa_next_free_vgpr 82
		.amdhsa_next_free_sgpr 50
		.amdhsa_accum_offset 84
		.amdhsa_reserve_vcc 1
		.amdhsa_float_round_mode_32 0
		.amdhsa_float_round_mode_16_64 0
		.amdhsa_float_denorm_mode_32 3
		.amdhsa_float_denorm_mode_16_64 3
		.amdhsa_dx10_clamp 1
		.amdhsa_ieee_mode 1
		.amdhsa_fp16_overflow 0
		.amdhsa_tg_split 0
		.amdhsa_exception_fp_ieee_invalid_op 0
		.amdhsa_exception_fp_denorm_src 0
		.amdhsa_exception_fp_ieee_div_zero 0
		.amdhsa_exception_fp_ieee_overflow 0
		.amdhsa_exception_fp_ieee_underflow 0
		.amdhsa_exception_fp_ieee_inexact 0
		.amdhsa_exception_int_div_zero 0
	.end_amdhsa_kernel
	.section	.text._Z39paged_attention_ll4mi_QKV_mfma16_kernelI14__hip_bfloat16hLN4vllm18Fp8KVCacheDataTypeE1ES0_Li32ELi128ELi256ELb0ELi11EEvPKT_PKT0_S8_ifPKiSA_SA_iPKfiiiPfSD_PS3_PT2_iSC_SC_,"axG",@progbits,_Z39paged_attention_ll4mi_QKV_mfma16_kernelI14__hip_bfloat16hLN4vllm18Fp8KVCacheDataTypeE1ES0_Li32ELi128ELi256ELb0ELi11EEvPKT_PKT0_S8_ifPKiSA_SA_iPKfiiiPfSD_PS3_PT2_iSC_SC_,comdat
.Lfunc_end1398:
	.size	_Z39paged_attention_ll4mi_QKV_mfma16_kernelI14__hip_bfloat16hLN4vllm18Fp8KVCacheDataTypeE1ES0_Li32ELi128ELi256ELb0ELi11EEvPKT_PKT0_S8_ifPKiSA_SA_iPKfiiiPfSD_PS3_PT2_iSC_SC_, .Lfunc_end1398-_Z39paged_attention_ll4mi_QKV_mfma16_kernelI14__hip_bfloat16hLN4vllm18Fp8KVCacheDataTypeE1ES0_Li32ELi128ELi256ELb0ELi11EEvPKT_PKT0_S8_ifPKiSA_SA_iPKfiiiPfSD_PS3_PT2_iSC_SC_
                                        ; -- End function
	.section	.AMDGPU.csdata,"",@progbits
; Kernel info:
; codeLenInByte = 6416
; NumSgprs: 56
; NumVgprs: 82
; NumAgprs: 0
; TotalNumVgprs: 82
; ScratchSize: 0
; MemoryBound: 0
; FloatMode: 240
; IeeeMode: 1
; LDSByteSize: 8192 bytes/workgroup (compile time only)
; SGPRBlocks: 6
; VGPRBlocks: 10
; NumSGPRsForWavesPerEU: 56
; NumVGPRsForWavesPerEU: 82
; AccumOffset: 84
; Occupancy: 5
; WaveLimiterHint : 1
; COMPUTE_PGM_RSRC2:SCRATCH_EN: 0
; COMPUTE_PGM_RSRC2:USER_SGPR: 2
; COMPUTE_PGM_RSRC2:TRAP_HANDLER: 0
; COMPUTE_PGM_RSRC2:TGID_X_EN: 1
; COMPUTE_PGM_RSRC2:TGID_Y_EN: 1
; COMPUTE_PGM_RSRC2:TGID_Z_EN: 1
; COMPUTE_PGM_RSRC2:TIDIG_COMP_CNT: 0
; COMPUTE_PGM_RSRC3_GFX90A:ACCUM_OFFSET: 20
; COMPUTE_PGM_RSRC3_GFX90A:TG_SPLIT: 0
	.section	.text._Z39paged_attention_ll4mi_QKV_mfma16_kernelI14__hip_bfloat16hLN4vllm18Fp8KVCacheDataTypeE1ES0_Li32ELi128ELi256ELb0ELi12EEvPKT_PKT0_S8_ifPKiSA_SA_iPKfiiiPfSD_PS3_PT2_iSC_SC_,"axG",@progbits,_Z39paged_attention_ll4mi_QKV_mfma16_kernelI14__hip_bfloat16hLN4vllm18Fp8KVCacheDataTypeE1ES0_Li32ELi128ELi256ELb0ELi12EEvPKT_PKT0_S8_ifPKiSA_SA_iPKfiiiPfSD_PS3_PT2_iSC_SC_,comdat
	.protected	_Z39paged_attention_ll4mi_QKV_mfma16_kernelI14__hip_bfloat16hLN4vllm18Fp8KVCacheDataTypeE1ES0_Li32ELi128ELi256ELb0ELi12EEvPKT_PKT0_S8_ifPKiSA_SA_iPKfiiiPfSD_PS3_PT2_iSC_SC_ ; -- Begin function _Z39paged_attention_ll4mi_QKV_mfma16_kernelI14__hip_bfloat16hLN4vllm18Fp8KVCacheDataTypeE1ES0_Li32ELi128ELi256ELb0ELi12EEvPKT_PKT0_S8_ifPKiSA_SA_iPKfiiiPfSD_PS3_PT2_iSC_SC_
	.globl	_Z39paged_attention_ll4mi_QKV_mfma16_kernelI14__hip_bfloat16hLN4vllm18Fp8KVCacheDataTypeE1ES0_Li32ELi128ELi256ELb0ELi12EEvPKT_PKT0_S8_ifPKiSA_SA_iPKfiiiPfSD_PS3_PT2_iSC_SC_
	.p2align	8
	.type	_Z39paged_attention_ll4mi_QKV_mfma16_kernelI14__hip_bfloat16hLN4vllm18Fp8KVCacheDataTypeE1ES0_Li32ELi128ELi256ELb0ELi12EEvPKT_PKT0_S8_ifPKiSA_SA_iPKfiiiPfSD_PS3_PT2_iSC_SC_,@function
_Z39paged_attention_ll4mi_QKV_mfma16_kernelI14__hip_bfloat16hLN4vllm18Fp8KVCacheDataTypeE1ES0_Li32ELi128ELi256ELb0ELi12EEvPKT_PKT0_S8_ifPKiSA_SA_iPKfiiiPfSD_PS3_PT2_iSC_SC_: ; @_Z39paged_attention_ll4mi_QKV_mfma16_kernelI14__hip_bfloat16hLN4vllm18Fp8KVCacheDataTypeE1ES0_Li32ELi128ELi256ELb0ELi12EEvPKT_PKT0_S8_ifPKiSA_SA_iPKfiiiPfSD_PS3_PT2_iSC_SC_
; %bb.0:
	s_load_dwordx2 s[12:13], s[0:1], 0x30
	s_mov_b32 s22, s3
	s_mov_b64 s[6:7], 0
	s_waitcnt lgkmcnt(0)
	s_cmp_lg_u64 s[12:13], 0
	s_cselect_b64 s[14:15], -1, 0
	s_and_b64 vcc, exec, s[14:15]
	s_cbranch_vccz .LBB1399_7
; %bb.1:
	s_add_i32 s8, s2, 1
	s_mov_b32 s9, 0
	s_lshl_b64 s[10:11], s[8:9], 2
	s_add_u32 s10, s12, s10
	s_mov_b32 s3, s9
	s_addc_u32 s11, s13, s11
	s_lshl_b64 s[8:9], s[2:3], 2
	s_add_u32 s8, s12, s8
	s_addc_u32 s9, s13, s9
	s_load_dword s5, s[10:11], 0x0
	s_load_dword s16, s[8:9], 0x0
	s_waitcnt lgkmcnt(0)
	s_sub_i32 s5, s5, s16
	s_cmp_eq_u32 s5, 1
	s_cselect_b64 s[8:9], -1, 0
	s_andn2_b64 vcc, exec, s[6:7]
	s_cbranch_vccnz .LBB1399_3
.LBB1399_2:
	s_mov_b32 s3, 0
	s_mov_b64 s[8:9], -1
.LBB1399_3:
	s_andn2_b64 vcc, exec, s[8:9]
	s_cbranch_vccnz .LBB1399_17
; %bb.4:
	s_load_dwordx2 s[6:7], s[0:1], 0x28
	s_lshl_b64 s[16:17], s[2:3], 2
	s_waitcnt lgkmcnt(0)
	s_add_u32 s6, s6, s16
	s_addc_u32 s7, s7, s17
	s_load_dword s5, s[6:7], 0x0
	s_lshl_b32 s18, s22, 8
	s_waitcnt lgkmcnt(0)
	s_cmp_ge_i32 s18, s5
	s_cbranch_scc1 .LBB1399_17
; %bb.5:
	s_load_dwordx2 s[6:7], s[0:1], 0x20
	s_load_dword s8, s[0:1], 0x38
	s_add_i32 s9, s5, 31
	s_ashr_i32 s10, s9, 31
	v_and_b32_e32 v1, 0xcf, v0
	s_lshr_b32 s10, s10, 27
	v_add_u32_e32 v1, s18, v1
	s_add_i32 s9, s9, s10
	v_ashrrev_i32_e32 v2, 31, v1
	s_ashr_i32 s19, s9, 5
	v_lshrrev_b32_e32 v8, 27, v2
	s_add_i32 s19, s19, -1
	s_waitcnt lgkmcnt(0)
	s_mul_i32 s8, s2, s8
	s_mov_b32 s9, 0
	v_add_u32_e32 v2, v1, v8
	s_lshl_b64 s[8:9], s[8:9], 2
	v_ashrrev_i32_e32 v2, 5, v2
	v_mov_b32_e32 v9, s19
	v_cmp_gt_i32_e32 vcc, s5, v1
	s_add_u32 s6, s6, s8
	s_addc_u32 s7, s7, s9
	v_cndmask_b32_e32 v2, v9, v2, vcc
	v_ashrrev_i32_e32 v3, 31, v2
	v_lshl_add_u64 v[4:5], v[2:3], 2, s[6:7]
	v_or_b32_e32 v2, 16, v1
	v_add_u32_e32 v3, v2, v8
	v_ashrrev_i32_e32 v3, 5, v3
	v_cmp_gt_i32_e32 vcc, s5, v2
	s_load_dwordx4 s[8:11], s[0:1], 0x8
	s_nop 0
	v_cndmask_b32_e32 v2, v9, v3, vcc
	v_ashrrev_i32_e32 v3, 31, v2
	v_lshl_add_u64 v[6:7], v[2:3], 2, s[6:7]
	v_or_b32_e32 v2, 32, v1
	v_add_u32_e32 v3, v2, v8
	v_ashrrev_i32_e32 v3, 5, v3
	v_cmp_gt_i32_e32 vcc, s5, v2
	v_or_b32_e32 v1, 48, v1
	s_nop 0
	v_cndmask_b32_e32 v2, v9, v3, vcc
	v_ashrrev_i32_e32 v3, 31, v2
	v_lshl_add_u64 v[10:11], v[2:3], 2, s[6:7]
	v_add_u32_e32 v2, v1, v8
	v_ashrrev_i32_e32 v2, 5, v2
	v_cmp_gt_i32_e32 vcc, s5, v1
	s_nop 1
	v_cndmask_b32_e32 v2, v9, v2, vcc
	v_ashrrev_i32_e32 v3, 31, v2
	v_lshl_add_u64 v[12:13], v[2:3], 2, s[6:7]
	global_load_dword v2, v[4:5], off
	global_load_dword v8, v[6:7], off
	;; [unrolled: 1-line block ×4, first 2 shown]
	s_andn2_b64 vcc, exec, s[14:15]
	s_cbranch_vccnz .LBB1399_8
; %bb.6:
	s_add_u32 s12, s12, s16
	s_addc_u32 s13, s13, s17
	s_load_dword s14, s[12:13], 0x0
	s_branch .LBB1399_9
.LBB1399_7:
	s_mov_b64 s[8:9], 0
	s_branch .LBB1399_2
.LBB1399_8:
	s_mov_b32 s14, s2
.LBB1399_9:
	s_load_dwordx4 s[44:47], s[0:1], 0x48
	v_and_b32_e32 v56, 15, v0
	v_lshlrev_b32_e32 v3, 3, v56
	s_movk_i32 s12, 0xc0
	v_lshrrev_b32_e32 v57, 6, v0
	v_and_b32_e32 v61, 63, v0
	v_bfe_u32 v1, v0, 4, 2
	s_mul_i32 s48, s4, 12
	v_cmp_gt_u32_e32 vcc, s12, v0
	v_lshlrev_b32_e32 v54, 1, v3
	v_lshlrev_b32_e32 v60, 4, v0
	s_and_saveexec_b64 s[12:13], vcc
	s_cbranch_execz .LBB1399_11
; %bb.10:
	s_load_dwordx2 s[16:17], s[0:1], 0x0
	s_waitcnt lgkmcnt(0)
	s_ashr_i32 s15, s44, 31
	s_mul_hi_u32 s20, s14, s44
	s_mul_i32 s15, s14, s15
	s_add_i32 s15, s20, s15
	s_mul_i32 s14, s14, s44
	v_lshl_or_b32 v3, v57, 2, v1
	s_lshl_b64 s[14:15], s[14:15], 1
	s_add_u32 s14, s16, s14
	v_add_lshl_u32 v4, v3, s48, 7
	s_addc_u32 s15, s17, s15
	v_ashrrev_i32_e32 v5, 31, v4
	v_lshl_add_u64 v[4:5], v[4:5], 1, s[14:15]
	v_mov_b32_e32 v55, 0
	v_lshl_add_u64 v[4:5], v[4:5], 0, v[54:55]
	global_load_dwordx4 v[4:7], v[4:5], off
	v_lshlrev_b32_e32 v10, 8, v0
	v_lshlrev_b32_e32 v9, 8, v56
	v_and_b32_e32 v10, 0x600, v10
	s_movk_i32 s14, 0x800
	v_and_or_b32 v9, v9, s14, v10
	v_lshlrev_b32_e32 v3, 5, v3
	v_and_b32_e32 v10, 16, v60
	v_or3_b32 v3, v9, v3, v10
	s_waitcnt vmcnt(0)
	ds_write_b128 v3, v[4:7]
.LBB1399_11:
	s_or_b64 exec, exec, s[12:13]
	s_waitcnt lgkmcnt(0)
	s_mul_i32 s12, s4, s46
	s_add_u32 s8, s8, s12
	s_addc_u32 s9, s9, 0
	v_mov_b32_e32 v51, 0
	v_mov_b64_e32 v[12:13], s[8:9]
	v_and_b32_e32 v9, 48, v0
	s_waitcnt vmcnt(3)
	v_mad_i64_i32 v[2:3], s[8:9], v2, s45, v[12:13]
	v_lshlrev_b32_e32 v10, 4, v56
	v_mov_b32_e32 v11, v51
	v_lshlrev_b32_e32 v50, 5, v9
	v_lshl_add_u64 v[2:3], v[2:3], 0, v[10:11]
	v_lshl_add_u64 v[6:7], v[2:3], 0, v[50:51]
	s_load_dword s23, s[0:1], 0x98
	s_load_dwordx4 s[40:43], s[0:1], 0x80
	s_waitcnt lgkmcnt(0)
	s_barrier
	global_load_dwordx4 v[2:5], v[6:7], off
	global_load_dwordx4 v[42:45], v[6:7], off offset:2048
	v_add_u32_e32 v14, -12, v56
	v_cmp_gt_u32_e32 vcc, 12, v56
	s_ashr_i32 s8, s18, 31
	v_or_b32_e32 v24, 0x100, v10
	v_cndmask_b32_e32 v6, v14, v56, vcc
	v_mov_b32_e32 v25, v51
	s_lshr_b32 s13, s8, 27
	s_waitcnt vmcnt(4)
	v_mad_i64_i32 v[30:31], s[8:9], v8, s45, v[12:13]
	v_lshlrev_b32_e32 v6, 5, v6
	v_lshl_add_u64 v[30:31], v[30:31], 0, v[24:25]
	v_lshl_add_u32 v6, v1, 9, v6
	v_lshl_add_u64 v[30:31], v[30:31], 0, v[50:51]
	v_or_b32_e32 v37, s18, v9
	ds_read_b128 v[26:29], v6
	ds_read_b128 v[18:21], v6 offset:16
	ds_read_b128 v[14:17], v6 offset:2048
	;; [unrolled: 1-line block ×3, first 2 shown]
	global_load_dwordx4 v[46:49], v[30:31], off
	s_waitcnt vmcnt(4)
	v_mad_i64_i32 v[32:33], s[8:9], v22, s45, v[12:13]
	v_lshl_add_u64 v[10:11], v[32:33], 0, v[10:11]
	global_load_dwordx4 v[30:33], v[30:31], off offset:2048
	v_or_b32_e32 v38, 64, v37
	v_add_u32_e32 v22, s13, v37
	v_mov_b32_e32 v36, s19
	v_or_b32_e32 v39, 0x80, v37
	s_waitcnt vmcnt(4)
	v_mad_i64_i32 v[12:13], s[8:9], v23, s45, v[12:13]
	v_add_u32_e32 v23, s13, v38
	v_ashrrev_i32_e32 v22, 5, v22
	v_cmp_gt_i32_e32 vcc, s5, v37
	v_or_b32_e32 v40, 0xc0, v37
	v_add_u32_e32 v34, s13, v39
	v_ashrrev_i32_e32 v23, 5, v23
	v_cndmask_b32_e32 v52, v36, v22, vcc
	v_cmp_gt_i32_e32 vcc, s5, v38
	v_add_u32_e32 v35, s13, v40
	v_lshl_add_u64 v[12:13], v[12:13], 0, v[24:25]
	v_ashrrev_i32_e32 v24, 5, v34
	v_cndmask_b32_e32 v58, v36, v23, vcc
	v_cmp_gt_i32_e32 vcc, s5, v39
	v_ashrrev_i32_e32 v25, 5, v35
	v_lshl_add_u64 v[10:11], v[10:11], 0, v[50:51]
	v_lshl_add_u64 v[34:35], v[12:13], 0, v[50:51]
	v_cndmask_b32_e32 v62, v36, v24, vcc
	v_cmp_gt_i32_e32 vcc, s5, v40
	v_ashrrev_i32_e32 v53, 31, v52
	v_ashrrev_i32_e32 v59, 31, v58
	v_cndmask_b32_e32 v64, v36, v25, vcc
	global_load_dwordx4 v[22:25], v[10:11], off
	s_nop 0
	global_load_dwordx4 v[10:13], v[10:11], off offset:2048
	s_nop 0
	global_load_dwordx4 v[38:41], v[34:35], off
	s_nop 0
	global_load_dwordx4 v[34:37], v[34:35], off offset:2048
	v_ashrrev_i32_e32 v63, 31, v62
	v_ashrrev_i32_e32 v65, 31, v64
	v_lshl_add_u64 v[52:53], v[52:53], 2, s[6:7]
	v_lshl_add_u64 v[66:67], v[58:59], 2, s[6:7]
	;; [unrolled: 1-line block ×4, first 2 shown]
	global_load_dword v58, v[52:53], off
	global_load_dword v64, v[66:67], off
	;; [unrolled: 1-line block ×3, first 2 shown]
	s_nop 0
	global_load_dword v62, v[68:69], off
	s_mov_b32 s33, 0x7060302
	s_add_u32 s6, s10, s12
	s_addc_u32 s7, s11, 0
	v_and_b32_e32 v50, 16, v0
	v_lshl_or_b32 v63, v57, 4, v56
	s_load_dword s4, s[0:1], 0x1c
	s_waitcnt vmcnt(11)
	v_cvt_pk_f32_fp8_e32 v[52:53], v2
	v_cvt_pk_f32_fp8_sdwa v[66:67], v2 src0_sel:WORD_1
	v_cvt_pk_f32_fp8_e32 v[68:69], v3
	v_cvt_pk_f32_fp8_sdwa v[2:3], v3 src0_sel:WORD_1
	v_perm_b32 v52, v53, v52, s33
	v_perm_b32 v53, v67, v66, s33
	v_cvt_pk_f32_fp8_e32 v[70:71], v4
	v_cvt_pk_f32_fp8_sdwa v[72:73], v4 src0_sel:WORD_1
	v_perm_b32 v74, v69, v68, s33
	v_perm_b32 v75, v3, v2, s33
	s_waitcnt lgkmcnt(0)
	v_mfma_f32_16x16x16_bf16 v[66:69], v[52:53], v[26:27], 0
	v_cvt_pk_f32_fp8_e32 v[2:3], v5
	v_perm_b32 v52, v71, v70, s33
	v_perm_b32 v53, v73, v72, s33
	v_cvt_pk_f32_fp8_sdwa v[4:5], v5 src0_sel:WORD_1
	v_mfma_f32_16x16x16_bf16 v[66:69], v[74:75], v[28:29], v[66:69]
	v_perm_b32 v70, v3, v2, s33
	s_waitcnt vmcnt(10)
	v_cvt_pk_f32_fp8_e32 v[72:73], v42
	v_cvt_pk_f32_fp8_sdwa v[74:75], v42 src0_sel:WORD_1
	v_perm_b32 v71, v5, v4, s33
	v_mfma_f32_16x16x16_bf16 v[2:5], v[52:53], v[18:19], v[66:69]
	v_perm_b32 v52, v73, v72, s33
	v_perm_b32 v53, v75, v74, s33
	s_waitcnt vmcnt(6)
	v_cvt_pk_f32_fp8_e32 v[74:75], v11
	v_cvt_pk_f32_fp8_e32 v[66:67], v43
	v_cvt_pk_f32_fp8_sdwa v[42:43], v43 src0_sel:WORD_1
	v_mfma_f32_16x16x16_bf16 v[2:5], v[70:71], v[20:21], v[2:5]
	v_cvt_pk_f32_fp8_sdwa v[68:69], v46 src0_sel:WORD_1
	v_perm_b32 v66, v67, v66, s33
	v_perm_b32 v67, v43, v42, s33
	v_mfma_f32_16x16x16_bf16 v[2:5], v[52:53], v[14:15], v[2:5]
	v_cvt_pk_f32_fp8_e32 v[42:43], v44
	v_cvt_pk_f32_fp8_sdwa v[52:53], v44 src0_sel:WORD_1
	v_cvt_pk_f32_fp8_sdwa v[70:71], v30 src0_sel:WORD_1
	v_mfma_f32_16x16x16_bf16 v[2:5], v[66:67], v[16:17], v[2:5]
	v_cvt_pk_f32_fp8_e32 v[66:67], v45
	v_perm_b32 v42, v43, v42, s33
	v_perm_b32 v43, v53, v52, s33
	v_cvt_pk_f32_fp8_sdwa v[44:45], v45 src0_sel:WORD_1
	v_perm_b32 v52, v67, v66, s33
	v_cvt_pk_f32_fp8_e32 v[66:67], v46
	v_mfma_f32_16x16x16_bf16 v[2:5], v[42:43], v[6:7], v[2:5]
	v_perm_b32 v53, v45, v44, s33
	v_perm_b32 v66, v67, v66, s33
	;; [unrolled: 1-line block ×3, first 2 shown]
	v_cvt_pk_f32_fp8_e32 v[68:69], v47
	v_cvt_pk_f32_fp8_sdwa v[46:47], v47 src0_sel:WORD_1
	v_mfma_f32_16x16x16_bf16 v[42:45], v[52:53], v[8:9], v[2:5]
	v_lshl_add_u64 v[52:53], s[6:7], 0, v[50:51]
	v_perm_b32 v68, v69, v68, s33
	v_perm_b32 v69, v47, v46, s33
	v_mfma_f32_16x16x16_bf16 v[2:5], v[66:67], v[26:27], 0
	v_cvt_pk_f32_fp8_e32 v[46:47], v48
	v_cvt_pk_f32_fp8_sdwa v[66:67], v48 src0_sel:WORD_1
	v_lshlrev_b32_e32 v50, 5, v63
	v_mfma_f32_16x16x16_bf16 v[2:5], v[68:69], v[28:29], v[2:5]
	v_cvt_pk_f32_fp8_e32 v[68:69], v49
	v_perm_b32 v46, v47, v46, s33
	v_perm_b32 v47, v67, v66, s33
	v_cvt_pk_f32_fp8_sdwa v[48:49], v49 src0_sel:WORD_1
	v_perm_b32 v66, v69, v68, s33
	v_cvt_pk_f32_fp8_e32 v[68:69], v30
	v_mfma_f32_16x16x16_bf16 v[2:5], v[46:47], v[18:19], v[2:5]
	v_perm_b32 v67, v49, v48, s33
	v_perm_b32 v46, v69, v68, s33
	;; [unrolled: 1-line block ×3, first 2 shown]
	v_cvt_pk_f32_fp8_e32 v[48:49], v31
	v_cvt_pk_f32_fp8_sdwa v[30:31], v31 src0_sel:WORD_1
	v_mfma_f32_16x16x16_bf16 v[2:5], v[66:67], v[20:21], v[2:5]
	v_cvt_pk_f32_fp8_sdwa v[66:67], v22 src0_sel:WORD_1
	v_perm_b32 v48, v49, v48, s33
	v_perm_b32 v49, v31, v30, s33
	v_mfma_f32_16x16x16_bf16 v[2:5], v[46:47], v[14:15], v[2:5]
	v_cvt_pk_f32_fp8_e32 v[30:31], v32
	v_cvt_pk_f32_fp8_sdwa v[46:47], v32 src0_sel:WORD_1
	v_cvt_pk_f32_fp8_sdwa v[80:81], v13 src0_sel:WORD_1
	v_mfma_f32_16x16x16_bf16 v[2:5], v[48:49], v[16:17], v[2:5]
	v_cvt_pk_f32_fp8_e32 v[48:49], v33
	v_perm_b32 v30, v31, v30, s33
	v_perm_b32 v31, v47, v46, s33
	v_cvt_pk_f32_fp8_sdwa v[32:33], v33 src0_sel:WORD_1
	v_perm_b32 v46, v49, v48, s33
	v_cvt_pk_f32_fp8_e32 v[48:49], v22
	v_mfma_f32_16x16x16_bf16 v[2:5], v[30:31], v[6:7], v[2:5]
	v_perm_b32 v47, v33, v32, s33
	v_perm_b32 v30, v49, v48, s33
	;; [unrolled: 1-line block ×3, first 2 shown]
	v_cvt_pk_f32_fp8_e32 v[32:33], v23
	v_cvt_pk_f32_fp8_sdwa v[22:23], v23 src0_sel:WORD_1
	v_mfma_f32_16x16x16_bf16 v[46:49], v[46:47], v[8:9], v[2:5]
	v_lshl_add_u64 v[66:67], v[52:53], 0, v[50:51]
	v_perm_b32 v32, v33, v32, s33
	v_perm_b32 v33, v23, v22, s33
	v_mfma_f32_16x16x16_bf16 v[2:5], v[30:31], v[26:27], 0
	v_cvt_pk_f32_fp8_e32 v[22:23], v24
	v_cvt_pk_f32_fp8_sdwa v[30:31], v24 src0_sel:WORD_1
	s_waitcnt vmcnt(3)
	v_mad_i64_i32 v[68:69], s[6:7], v58, s45, v[66:67]
	v_perm_b32 v22, v23, v22, s33
	v_perm_b32 v23, v31, v30, s33
	v_cvt_pk_f32_fp8_e32 v[30:31], v25
	v_cvt_pk_f32_fp8_sdwa v[24:25], v25 src0_sel:WORD_1
	v_mfma_f32_16x16x16_bf16 v[2:5], v[32:33], v[28:29], v[2:5]
	s_waitcnt vmcnt(2)
	v_mad_i64_i32 v[70:71], s[6:7], v64, s45, v[66:67]
	v_perm_b32 v72, v31, v30, s33
	v_perm_b32 v73, v25, v24, s33
	v_mfma_f32_16x16x16_bf16 v[2:5], v[22:23], v[18:19], v[2:5]
	global_load_dwordx4 v[30:33], v[68:69], off
	global_load_dwordx4 v[22:25], v[70:71], off
	v_cvt_pk_f32_fp8_e32 v[68:69], v10
	s_waitcnt vmcnt(3)
	v_mad_i64_i32 v[70:71], s[6:7], v55, s45, v[66:67]
	v_mfma_f32_16x16x16_bf16 v[2:5], v[72:73], v[20:21], v[2:5]
	v_cvt_pk_f32_fp8_sdwa v[72:73], v10 src0_sel:WORD_1
	v_cvt_pk_f32_fp8_sdwa v[10:11], v11 src0_sel:WORD_1
	v_perm_b32 v68, v69, v68, s33
	s_waitcnt vmcnt(2)
	v_mad_i64_i32 v[76:77], s[6:7], v62, s45, v[66:67]
	v_perm_b32 v69, v73, v72, s33
	v_perm_b32 v72, v75, v74, s33
	;; [unrolled: 1-line block ×3, first 2 shown]
	v_cvt_pk_f32_fp8_e32 v[10:11], v12
	v_cvt_pk_f32_fp8_sdwa v[74:75], v12 src0_sel:WORD_1
	v_mfma_f32_16x16x16_bf16 v[66:69], v[68:69], v[14:15], v[2:5]
	v_or_b32_e32 v50, 0x800, v50
	v_perm_b32 v78, v11, v10, s33
	v_perm_b32 v79, v75, v74, s33
	v_cvt_pk_f32_fp8_e32 v[74:75], v13
	v_mfma_f32_16x16x16_bf16 v[66:69], v[72:73], v[16:17], v[66:69]
	v_lshl_add_u64 v[50:51], v[52:53], 0, v[50:51]
	v_perm_b32 v53, v81, v80, s33
	v_perm_b32 v52, v75, v74, s33
	global_load_dwordx4 v[10:13], v[70:71], off
	global_load_dwordx4 v[2:5], v[76:77], off
	v_mfma_f32_16x16x16_bf16 v[66:69], v[78:79], v[6:7], v[66:69]
	v_cvt_pk_f32_fp8_e32 v[70:71], v38
	v_cvt_pk_f32_fp8_sdwa v[72:73], v38 src0_sel:WORD_1
	v_cvt_pk_f32_fp8_e32 v[74:75], v40
	v_mfma_f32_16x16x16_bf16 v[66:69], v[52:53], v[8:9], v[66:69]
	v_cvt_pk_f32_fp8_e32 v[52:53], v39
	v_perm_b32 v70, v71, v70, s33
	v_perm_b32 v71, v73, v72, s33
	v_cvt_pk_f32_fp8_sdwa v[38:39], v39 src0_sel:WORD_1
	v_perm_b32 v52, v53, v52, s33
	v_cvt_pk_f32_fp8_sdwa v[76:77], v40 src0_sel:WORD_1
	v_mfma_f32_16x16x16_bf16 v[70:73], v[70:71], v[26:27], 0
	v_perm_b32 v53, v39, v38, s33
	v_perm_b32 v38, v75, v74, s33
	;; [unrolled: 1-line block ×3, first 2 shown]
	v_cvt_pk_f32_fp8_e32 v[74:75], v41
	v_cvt_pk_f32_fp8_sdwa v[40:41], v41 src0_sel:WORD_1
	v_mfma_f32_16x16x16_bf16 v[26:29], v[52:53], v[28:29], v[70:73]
	s_load_dword s6, s[40:41], 0x0
	v_mov_b32_e32 v52, s4
	s_mov_b32 s40, 0xff7fffff
	v_perm_b32 v70, v75, v74, s33
	v_perm_b32 v71, v41, v40, s33
	v_mfma_f32_16x16x16_bf16 v[26:29], v[38:39], v[18:19], v[26:29]
	v_cvt_pk_f32_fp8_e32 v[40:41], v35
	s_waitcnt lgkmcnt(0)
	v_mul_f32_e32 v72, s6, v52
	v_pk_mul_f32 v[52:53], v[72:73], v[42:43] op_sel_hi:[0,1]
	v_mfma_f32_16x16x16_bf16 v[18:21], v[70:71], v[20:21], v[26:29]
	v_pk_mul_f32 v[38:39], v[72:73], v[44:45] op_sel_hi:[0,1]
	v_mad_i64_i32 v[70:71], s[6:7], v58, s45, v[50:51]
	s_nop 0
	v_cvt_pk_f32_fp8_e32 v[26:27], v34
	v_cvt_pk_f32_fp8_sdwa v[28:29], v34 src0_sel:WORD_1
	v_cvt_pk_f32_fp8_sdwa v[34:35], v35 src0_sel:WORD_1
	v_pk_mul_f32 v[58:59], v[72:73], v[46:47] op_sel_hi:[0,1]
	v_perm_b32 v26, v27, v26, s33
	v_perm_b32 v27, v29, v28, s33
	;; [unrolled: 1-line block ×4, first 2 shown]
	v_cvt_pk_f32_fp8_e32 v[34:35], v36
	v_cvt_pk_f32_fp8_sdwa v[40:41], v36 src0_sel:WORD_1
	v_mfma_f32_16x16x16_bf16 v[18:21], v[26:27], v[14:15], v[18:21]
	v_pk_mul_f32 v[48:49], v[72:73], v[48:49] op_sel_hi:[0,1]
	v_perm_b32 v26, v35, v34, s33
	v_perm_b32 v27, v41, v40, s33
	v_cvt_pk_f32_fp8_e32 v[34:35], v37
	v_cvt_pk_f32_fp8_sdwa v[36:37], v37 src0_sel:WORD_1
	v_mfma_f32_16x16x16_bf16 v[14:17], v[28:29], v[16:17], v[18:21]
	v_pk_mul_f32 v[40:41], v[72:73], v[66:67] op_sel_hi:[0,1]
	v_pk_mul_f32 v[44:45], v[72:73], v[68:69] op_sel_hi:[0,1]
	s_nop 0
	v_perm_b32 v18, v35, v34, s33
	v_perm_b32 v19, v37, v36, s33
	v_mfma_f32_16x16x16_bf16 v[14:17], v[26:27], v[6:7], v[14:17]
	s_nop 0
	v_mfma_f32_16x16x16_bf16 v[6:9], v[18:19], v[8:9], v[14:17]
	s_nop 6
	v_pk_mul_f32 v[42:43], v[72:73], v[6:7] op_sel_hi:[0,1]
	v_and_b32_e32 v6, 0xc0, v0
	v_add_u32_e32 v6, s18, v6
	v_lshl_or_b32 v6, v1, 2, v6
	v_pk_mul_f32 v[34:35], v[72:73], v[8:9] op_sel_hi:[0,1]
	v_or_b32_e32 v9, 1, v6
	v_mov_b32_e32 v7, 0xff7fffff
	v_cmp_gt_i32_e64 s[24:25], s5, v6
	v_cmp_gt_i32_e64 s[26:27], s5, v9
	v_or_b32_e32 v14, 3, v6
	v_cndmask_b32_e64 v8, v7, v52, s[24:25]
	v_cndmask_b32_e64 v9, v7, v53, s[26:27]
	v_max3_f32 v8, v8, s40, v9
	v_or_b32_e32 v9, 2, v6
	v_cmp_gt_i32_e64 s[28:29], s5, v9
	v_cmp_gt_i32_e64 s[30:31], s5, v14
	s_nop 0
	v_cndmask_b32_e64 v9, v7, v38, s[28:29]
	v_cndmask_b32_e64 v14, v7, v39, s[30:31]
	v_max3_f32 v8, v8, v9, v14
	v_or_b32_e32 v9, 16, v6
	v_or_b32_e32 v14, 17, v6
	v_cmp_gt_i32_e64 s[34:35], s5, v9
	v_cmp_gt_i32_e64 s[36:37], s5, v14
	s_nop 0
	v_cndmask_b32_e64 v9, v7, v58, s[34:35]
	v_cndmask_b32_e64 v14, v7, v59, s[36:37]
	v_max3_f32 v8, v8, v9, v14
	v_or_b32_e32 v9, 18, v6
	;; [unrolled: 8-line block ×6, first 2 shown]
	v_or_b32_e32 v6, 51, v6
	v_cmp_gt_i32_e32 vcc, s5, v9
	v_cmp_gt_i32_e64 s[4:5], s5, v6
	s_nop 0
	v_cndmask_b32_e32 v9, v7, v34, vcc
	v_cndmask_b32_e64 v6, v7, v35, s[4:5]
	v_max3_f32 v8, v8, v9, v6
	v_mbcnt_lo_u32_b32 v6, -1, 0
	v_mbcnt_hi_u32_b32 v9, -1, v6
	v_and_b32_e32 v6, 64, v9
	v_add_u32_e32 v14, 64, v6
	v_xor_b32_e32 v6, 32, v9
	v_cmp_lt_i32_e64 s[38:39], v6, v14
	s_nop 1
	v_cndmask_b32_e64 v6, v9, v6, s[38:39]
	v_lshlrev_b32_e32 v65, 2, v6
	ds_bpermute_b32 v15, v65, v8
	v_mad_i64_i32 v[6:7], s[38:39], v64, s45, v[50:51]
	global_load_dwordx4 v[26:29], v[70:71], off
	global_load_dwordx4 v[18:21], v[6:7], off
	s_waitcnt lgkmcnt(0)
	v_max_f32_e32 v6, v15, v15
	v_max_f32_e32 v15, v8, v6
	v_xor_b32_e32 v6, 16, v9
	v_cmp_lt_i32_e64 s[38:39], v6, v14
	s_nop 1
	v_cndmask_b32_e64 v6, v9, v6, s[38:39]
	v_lshlrev_b32_e32 v64, 2, v6
	ds_bpermute_b32 v14, v64, v15
	v_mad_i64_i32 v[6:7], s[38:39], v55, s45, v[50:51]
	v_mad_i64_i32 v[8:9], s[38:39], v62, s45, v[50:51]
	s_waitcnt lgkmcnt(0)
	v_max_f32_e32 v14, v14, v14
	v_max_f32_e32 v50, v15, v14
	v_sub_f32_e32 v14, v52, v50
	v_mul_f32_e32 v14, 0x3fb8aa3b, v14
	v_exp_f32_e32 v36, v14
	v_sub_f32_e32 v14, v53, v50
	v_mul_f32_e32 v14, 0x3fb8aa3b, v14
	v_exp_f32_e32 v37, v14
	global_load_dwordx4 v[14:17], v[6:7], off
	s_nop 0
	global_load_dwordx4 v[6:9], v[8:9], off
	v_sub_f32_e32 v38, v38, v50
	v_mul_f32_e32 v38, 0x3fb8aa3b, v38
	v_sub_f32_e32 v39, v39, v50
	v_exp_f32_e32 v38, v38
	v_mul_f32_e32 v39, 0x3fb8aa3b, v39
	v_exp_f32_e32 v39, v39
	v_cndmask_b32_e64 v36, 0, v36, s[24:25]
	v_add_f32_e32 v46, 0, v36
	v_cndmask_b32_e64 v37, 0, v37, s[26:27]
	v_add_f32_e32 v47, v46, v37
	;; [unrolled: 2-line block ×3, first 2 shown]
	v_cndmask_b32_e64 v47, 0, v39, s[30:31]
	v_sub_f32_e32 v39, v58, v50
	v_mul_f32_e32 v39, 0x3fb8aa3b, v39
	v_sub_f32_e32 v51, v59, v50
	v_exp_f32_e32 v39, v39
	v_mul_f32_e32 v51, 0x3fb8aa3b, v51
	v_sub_f32_e32 v48, v48, v50
	v_exp_f32_e32 v51, v51
	v_mul_f32_e32 v48, 0x3fb8aa3b, v48
	v_sub_f32_e32 v49, v49, v50
	v_exp_f32_e32 v48, v48
	v_mul_f32_e32 v49, 0x3fb8aa3b, v49
	v_sub_f32_e32 v40, v40, v50
	v_exp_f32_e32 v49, v49
	v_mul_f32_e32 v40, 0x3fb8aa3b, v40
	v_sub_f32_e32 v41, v41, v50
	v_add_f32_e32 v52, v38, v47
	v_cndmask_b32_e64 v38, 0, v39, s[34:35]
	v_exp_f32_e32 v40, v40
	v_mul_f32_e32 v41, 0x3fb8aa3b, v41
	v_sub_f32_e32 v44, v44, v50
	v_add_f32_e32 v52, v52, v38
	v_cndmask_b32_e64 v39, 0, v51, s[36:37]
	v_exp_f32_e32 v41, v41
	;; [unrolled: 5-line block ×7, first 2 shown]
	v_mul_f32_e32 v35, 0x3fb8aa3b, v35
	v_add_f32_e32 v51, v51, v44
	v_cndmask_b32_e64 v45, 0, v45, s[12:13]
	v_exp_f32_e32 v35, v35
	v_add_f32_e32 v51, v51, v45
	v_cndmask_b32_e64 v42, 0, v42, s[6:7]
	v_add_f32_e32 v51, v51, v42
	v_cndmask_b32_e64 v43, 0, v43, s[8:9]
	v_add_f32_e32 v51, v51, v43
	v_cndmask_b32_e32 v34, 0, v34, vcc
	v_add_f32_e32 v51, v51, v34
	v_cndmask_b32_e64 v35, 0, v35, s[4:5]
	v_add_f32_e32 v51, v51, v35
	ds_bpermute_b32 v52, v65, v51
	v_cmp_gt_u32_e32 vcc, 16, v61
	s_waitcnt lgkmcnt(0)
	s_barrier
	v_add_f32_e32 v51, v51, v52
	ds_bpermute_b32 v52, v64, v51
	s_and_saveexec_b64 s[4:5], vcc
	s_cbranch_execz .LBB1399_13
; %bb.12:
	s_waitcnt lgkmcnt(0)
	v_add_f32_e32 v51, v51, v52
	v_lshlrev_b32_e32 v52, 2, v63
	ds_write2st64_b32 v52, v50, v51 offset1:1
.LBB1399_13:
	s_or_b64 exec, exec, s[4:5]
	v_lshlrev_b32_e32 v51, 2, v56
	s_load_dword s6, s[0:1], 0x94
	s_waitcnt lgkmcnt(0)
	s_barrier
	ds_read2_b32 v[52:53], v51 offset1:16
	ds_read2_b32 v[58:59], v51 offset0:32 offset1:48
	ds_read2_b32 v[62:63], v51 offset0:64 offset1:80
	s_movk_i32 s8, 0x7fff
	s_mul_i32 s7, s23, 12
	s_waitcnt lgkmcnt(2)
	v_max3_f32 v50, v52, s40, v53
	s_waitcnt lgkmcnt(1)
	v_max3_f32 v50, v50, v58, v59
	v_sub_f32_e32 v52, v52, v50
	v_mul_f32_e32 v52, 0x3fb8aa3b, v52
	v_exp_f32_e32 v55, v52
	v_sub_f32_e32 v52, v53, v50
	v_mul_f32_e32 v52, 0x3fb8aa3b, v52
	v_exp_f32_e32 v61, v52
	;; [unrolled: 3-line block ×3, first 2 shown]
	ds_read2_b32 v[52:53], v51 offset0:96 offset1:112
	v_sub_f32_e32 v51, v59, v50
	v_mul_f32_e32 v51, 0x3fb8aa3b, v51
	v_exp_f32_e32 v59, v51
	s_waitcnt lgkmcnt(1)
	v_fma_f32 v51, v55, v62, 0
	v_fmac_f32_e32 v51, v61, v63
	s_waitcnt lgkmcnt(0)
	v_fmac_f32_e32 v51, v58, v52
	v_fmac_f32_e32 v51, v59, v53
	v_add_f32_e32 v52, 0x358637bd, v51
	v_div_scale_f32 v53, s[4:5], v52, v52, 1.0
	v_rcp_f32_e32 v62, v53
	s_barrier
	v_fma_f32 v63, -v53, v62, 1.0
	v_fmac_f32_e32 v62, v63, v62
	v_div_scale_f32 v63, vcc, 1.0, v52, 1.0
	v_mul_f32_e32 v64, v63, v62
	v_fma_f32 v65, -v53, v64, v63
	v_fmac_f32_e32 v64, v65, v62
	v_fma_f32 v53, -v53, v64, v63
	v_div_fmas_f32 v53, v53, v62, v64
	v_cmp_eq_u32_e32 vcc, 1, v57
	v_div_fixup_f32 v52, v53, v52, 1.0
	s_nop 0
	v_cndmask_b32_e32 v53, v55, v61, vcc
	v_cmp_eq_u32_e32 vcc, 2, v57
	s_nop 1
	v_cndmask_b32_e32 v53, v53, v58, vcc
	v_cmp_eq_u32_e32 vcc, 3, v57
	s_nop 1
	v_cndmask_b32_e32 v53, v53, v59, vcc
	v_mul_f32_e32 v52, v53, v52
	v_pk_mul_f32 v[36:37], v[52:53], v[36:37] op_sel_hi:[0,1]
	v_pk_mul_f32 v[46:47], v[52:53], v[46:47] op_sel_hi:[0,1]
	v_bfe_u32 v53, v37, 16, 1
	v_bfe_u32 v55, v36, 16, 1
	v_add3_u32 v36, v36, v55, s8
	v_add3_u32 v37, v37, v53, s8
	v_perm_b32 v58, v37, v36, s33
	v_bfe_u32 v36, v47, 16, 1
	v_bfe_u32 v37, v46, 16, 1
	v_add3_u32 v37, v46, v37, s8
	v_add3_u32 v36, v47, v36, s8
	v_perm_b32 v59, v36, v37, s33
	v_lshlrev_b32_e32 v37, 3, v1
	v_lshlrev_b32_e32 v36, 5, v56
	;; [unrolled: 1-line block ×3, first 2 shown]
	v_pk_mul_f32 v[38:39], v[52:53], v[38:39] op_sel_hi:[0,1]
	v_or3_b32 v55, v46, v36, v37
	v_pk_mul_f32 v[46:47], v[52:53], v[48:49] op_sel_hi:[0,1]
	v_bfe_u32 v37, v39, 16, 1
	v_bfe_u32 v48, v38, 16, 1
	v_add3_u32 v38, v38, v48, s8
	v_add3_u32 v37, v39, v37, s8
	v_perm_b32 v38, v37, v38, s33
	v_bfe_u32 v37, v47, 16, 1
	v_bfe_u32 v39, v46, 16, 1
	v_add3_u32 v39, v46, v39, s8
	v_add3_u32 v37, v47, v37, s8
	v_perm_b32 v39, v37, v39, s33
	v_pk_mul_f32 v[40:41], v[52:53], v[40:41] op_sel_hi:[0,1]
	ds_write2st64_b64 v55, v[58:59], v[38:39] offset1:1
	v_pk_mul_f32 v[38:39], v[52:53], v[44:45] op_sel_hi:[0,1]
	v_bfe_u32 v37, v41, 16, 1
	v_bfe_u32 v44, v40, 16, 1
	v_add3_u32 v40, v40, v44, s8
	v_add3_u32 v37, v41, v37, s8
	v_perm_b32 v40, v37, v40, s33
	v_bfe_u32 v37, v39, 16, 1
	v_bfe_u32 v41, v38, 16, 1
	v_add3_u32 v38, v38, v41, s8
	v_add3_u32 v37, v39, v37, s8
	v_perm_b32 v41, v37, v38, s33
	v_pk_mul_f32 v[38:39], v[52:53], v[42:43] op_sel_hi:[0,1]
	v_bfe_u32 v37, v39, 16, 1
	v_bfe_u32 v42, v38, 16, 1
	v_pk_mul_f32 v[34:35], v[52:53], v[34:35] op_sel_hi:[0,1]
	v_add3_u32 v38, v38, v42, s8
	v_add3_u32 v37, v39, v37, s8
	v_perm_b32 v38, v37, v38, s33
	v_bfe_u32 v37, v35, 16, 1
	v_bfe_u32 v39, v34, 16, 1
	v_add3_u32 v34, v34, v39, s8
	v_add3_u32 v35, v35, v37, s8
	v_perm_b32 v39, v35, v34, s33
	v_cmp_gt_u32_e32 vcc, 12, v0
	ds_write2st64_b64 v55, v[40:41], v[38:39] offset0:2 offset1:3
	s_and_saveexec_b64 s[4:5], vcc
	s_cbranch_execz .LBB1399_15
; %bb.14:
	s_mov_b32 s49, 0
	v_mov_b32_e32 v57, 0
	v_lshl_add_u64 v[34:35], s[48:49], 0, v[56:57]
	v_mov_b32_e32 v37, s7
	v_mad_u64_u32 v[34:35], s[10:11], s2, v37, v[34:35]
	s_mul_i32 s3, s3, s7
	v_mov_b32_e32 v38, s22
	v_mov_b32_e32 v39, v57
	s_load_dwordx4 s[12:15], s[0:1], 0x58
	v_add_u32_e32 v37, s3, v35
	v_mad_u64_u32 v[34:35], s[10:11], v34, s6, v[38:39]
	v_mov_b32_e32 v38, v35
	v_mad_u64_u32 v[38:39], s[10:11], v37, s6, v[38:39]
	v_mov_b32_e32 v35, v38
	v_lshlrev_b64 v[34:35], 2, v[34:35]
	s_waitcnt lgkmcnt(0)
	v_lshl_add_u64 v[38:39], s[14:15], 0, v[34:35]
	v_lshl_add_u64 v[34:35], s[12:13], 0, v[34:35]
	global_store_dword v[38:39], v50, off
	global_store_dword v[34:35], v51, off
.LBB1399_15:
	s_or_b64 exec, exec, s[4:5]
	v_lshl_or_b32 v50, v1, 9, v36
	s_waitcnt vmcnt(7)
	v_cvt_pk_f32_fp8_e32 v[34:35], v30
	v_cvt_pk_f32_fp8_sdwa v[36:37], v30 src0_sel:WORD_1
	s_mov_b32 s5, 0x7060302
	s_waitcnt lgkmcnt(0)
	s_barrier
	v_cvt_pk_f32_fp8_e32 v[38:39], v31
	v_perm_b32 v30, v35, v34, s5
	v_cvt_pk_f32_fp8_sdwa v[40:41], v31 src0_sel:WORD_1
	v_perm_b32 v31, v37, v36, s5
	ds_read_b128 v[34:37], v50
	v_perm_b32 v46, v39, v38, s5
	v_perm_b32 v47, v41, v40, s5
	ds_read_b128 v[38:41], v50 offset:16
	v_cvt_pk_f32_fp8_e32 v[48:49], v32
	v_cvt_pk_f32_fp8_sdwa v[52:53], v32 src0_sel:WORD_1
	s_waitcnt lgkmcnt(1)
	v_mfma_f32_16x16x16_bf16 v[42:45], v[30:31], v[34:35], 0
	s_waitcnt vmcnt(6)
	v_cvt_pk_f32_fp8_e32 v[58:59], v24
	v_perm_b32 v30, v49, v48, s5
	v_perm_b32 v31, v53, v52, s5
	v_cvt_pk_f32_fp8_e32 v[48:49], v33
	v_mfma_f32_16x16x16_bf16 v[42:45], v[46:47], v[36:37], v[42:45]
	v_cvt_pk_f32_fp8_sdwa v[46:47], v33 src0_sel:WORD_1
	v_cvt_pk_f32_fp8_sdwa v[62:63], v24 src0_sel:WORD_1
	v_perm_b32 v48, v49, v48, s5
	s_waitcnt lgkmcnt(0)
	v_mfma_f32_16x16x16_bf16 v[30:33], v[30:31], v[38:39], v[42:45]
	v_perm_b32 v49, v47, v46, s5
	s_waitcnt vmcnt(5)
	v_cvt_pk_f32_fp8_sdwa v[66:67], v12 src0_sel:WORD_1
	s_waitcnt vmcnt(4)
	v_cvt_pk_f32_fp8_sdwa v[68:69], v4 src0_sel:WORD_1
	v_cvt_pk_f32_fp8_e32 v[42:43], v22
	v_mfma_f32_16x16x16_bf16 v[46:49], v[48:49], v[40:41], v[30:33]
	s_load_dword s4, s[42:43], 0x0
	s_waitcnt vmcnt(3)
	v_cvt_pk_f32_fp8_sdwa v[70:71], v28 src0_sel:WORD_1
	v_cvt_pk_f32_fp8_sdwa v[30:31], v22 src0_sel:WORD_1
	v_cvt_pk_f32_fp8_e32 v[32:33], v23
	v_perm_b32 v22, v43, v42, s5
	v_cvt_pk_f32_fp8_sdwa v[42:43], v23 src0_sel:WORD_1
	v_perm_b32 v23, v31, v30, s5
	v_perm_b32 v52, v33, v32, s5
	ds_read_b128 v[30:33], v50 offset:2048
	v_perm_b32 v53, v43, v42, s5
	ds_read_b128 v[42:45], v50 offset:2064
	s_waitcnt lgkmcnt(0)
	v_mfma_f32_16x16x16_bf16 v[46:49], v[22:23], v[30:31], v[46:49]
	v_perm_b32 v22, v59, v58, s5
	v_perm_b32 v23, v63, v62, s5
	v_cvt_pk_f32_fp8_e32 v[58:59], v25
	v_mfma_f32_16x16x16_bf16 v[46:49], v[52:53], v[32:33], v[46:49]
	v_cvt_pk_f32_fp8_sdwa v[52:53], v25 src0_sel:WORD_1
	s_mov_b32 s3, 0
	v_perm_b32 v58, v59, v58, s5
	v_mfma_f32_16x16x16_bf16 v[22:25], v[22:23], v[42:43], v[46:49]
	v_perm_b32 v59, v53, v52, s5
	v_cmp_gt_u32_e32 vcc, 64, v0
	s_nop 0
	v_cvt_pk_f32_fp8_e32 v[46:47], v10
	v_mfma_f32_16x16x16_bf16 v[62:65], v[58:59], v[44:45], v[22:25]
	v_cvt_pk_f32_fp8_e32 v[58:59], v12
	s_nop 1
	v_cvt_pk_f32_fp8_sdwa v[22:23], v10 src0_sel:WORD_1
	v_cvt_pk_f32_fp8_e32 v[24:25], v11
	v_perm_b32 v10, v47, v46, s5
	v_cvt_pk_f32_fp8_sdwa v[46:47], v11 src0_sel:WORD_1
	v_perm_b32 v11, v23, v22, s5
	v_perm_b32 v52, v25, v24, s5
	ds_read_b128 v[22:25], v50 offset:4096
	v_perm_b32 v53, v47, v46, s5
	ds_read_b128 v[46:49], v50 offset:4112
	s_waitcnt lgkmcnt(1)
	v_mfma_f32_16x16x16_bf16 v[62:65], v[10:11], v[22:23], v[62:65]
	v_perm_b32 v10, v59, v58, s5
	v_perm_b32 v11, v67, v66, s5
	v_cvt_pk_f32_fp8_e32 v[58:59], v13
	v_mfma_f32_16x16x16_bf16 v[62:65], v[52:53], v[24:25], v[62:65]
	v_cvt_pk_f32_fp8_sdwa v[52:53], v13 src0_sel:WORD_1
	v_cvt_pk_f32_fp8_e32 v[66:67], v4
	v_perm_b32 v58, v59, v58, s5
	s_waitcnt lgkmcnt(0)
	v_mfma_f32_16x16x16_bf16 v[10:13], v[10:11], v[46:47], v[62:65]
	v_perm_b32 v59, v53, v52, s5
	v_cvt_pk_f32_fp8_e32 v[52:53], v2
	s_nop 0
	v_mfma_f32_16x16x16_bf16 v[62:65], v[58:59], v[48:49], v[10:13]
	s_nop 2
	v_cvt_pk_f32_fp8_sdwa v[10:11], v2 src0_sel:WORD_1
	v_cvt_pk_f32_fp8_e32 v[12:13], v3
	v_perm_b32 v2, v53, v52, s5
	v_cvt_pk_f32_fp8_sdwa v[52:53], v3 src0_sel:WORD_1
	v_perm_b32 v3, v11, v10, s5
	v_perm_b32 v58, v13, v12, s5
	ds_read_b128 v[10:13], v50 offset:6144
	v_perm_b32 v59, v53, v52, s5
	s_waitcnt lgkmcnt(0)
	v_mfma_f32_16x16x16_bf16 v[62:65], v[2:3], v[10:11], v[62:65]
	ds_read_b128 v[50:53], v50 offset:6160
	v_perm_b32 v2, v67, v66, s5
	v_perm_b32 v3, v69, v68, s5
	v_cvt_pk_f32_fp8_e32 v[66:67], v5
	v_mfma_f32_16x16x16_bf16 v[62:65], v[58:59], v[12:13], v[62:65]
	v_cvt_pk_f32_fp8_sdwa v[58:59], v5 src0_sel:WORD_1
	v_cvt_pk_f32_fp8_e32 v[68:69], v28
	v_perm_b32 v66, v67, v66, s5
	s_waitcnt lgkmcnt(0)
	v_mfma_f32_16x16x16_bf16 v[2:5], v[2:3], v[50:51], v[62:65]
	v_perm_b32 v67, v59, v58, s5
	v_cvt_pk_f32_fp8_sdwa v[58:59], v26 src0_sel:WORD_1
	s_nop 0
	v_mfma_f32_16x16x16_bf16 v[62:65], v[66:67], v[52:53], v[2:5]
	s_barrier
	s_nop 1
	v_cvt_pk_f32_fp8_e32 v[4:5], v26
	s_nop 2
	v_pk_mul_f32 v[66:67], v[62:63], s[4:5] op_sel_hi:[1,0]
	v_cvt_pk_f32_fp8_e32 v[62:63], v27
	v_perm_b32 v4, v5, v4, s5
	v_perm_b32 v5, v59, v58, s5
	v_cvt_pk_f32_fp8_sdwa v[26:27], v27 src0_sel:WORD_1
	v_perm_b32 v58, v63, v62, s5
	v_pk_mul_f32 v[2:3], v[64:65], s[4:5] op_sel_hi:[1,0]
	v_mfma_f32_16x16x16_bf16 v[62:65], v[4:5], v[34:35], 0
	v_perm_b32 v59, v27, v26, s5
	v_perm_b32 v4, v69, v68, s5
	;; [unrolled: 1-line block ×3, first 2 shown]
	v_cvt_pk_f32_fp8_e32 v[34:35], v29
	v_cvt_pk_f32_fp8_sdwa v[68:69], v29 src0_sel:WORD_1
	v_mfma_f32_16x16x16_bf16 v[26:29], v[58:59], v[36:37], v[62:65]
	s_waitcnt vmcnt(2)
	v_cvt_pk_f32_fp8_sdwa v[36:37], v18 src0_sel:WORD_1
	v_perm_b32 v34, v35, v34, s5
	v_perm_b32 v35, v69, v68, s5
	v_mfma_f32_16x16x16_bf16 v[26:29], v[4:5], v[38:39], v[26:29]
	v_cvt_pk_f32_fp8_e32 v[4:5], v18
	v_cvt_pk_f32_fp8_sdwa v[38:39], v20 src0_sel:WORD_1
	v_bfe_u32 v57, v67, 16, 1
	v_mfma_f32_16x16x16_bf16 v[26:29], v[34:35], v[40:41], v[26:29]
	v_cvt_pk_f32_fp8_e32 v[34:35], v19
	v_perm_b32 v4, v5, v4, s5
	v_perm_b32 v5, v37, v36, s5
	v_cvt_pk_f32_fp8_sdwa v[18:19], v19 src0_sel:WORD_1
	v_perm_b32 v34, v35, v34, s5
	v_cvt_pk_f32_fp8_e32 v[36:37], v20
	v_mfma_f32_16x16x16_bf16 v[26:29], v[4:5], v[30:31], v[26:29]
	v_perm_b32 v35, v19, v18, s5
	v_perm_b32 v4, v37, v36, s5
	;; [unrolled: 1-line block ×3, first 2 shown]
	v_cvt_pk_f32_fp8_e32 v[30:31], v21
	v_cvt_pk_f32_fp8_sdwa v[36:37], v21 src0_sel:WORD_1
	v_mfma_f32_16x16x16_bf16 v[18:21], v[34:35], v[32:33], v[26:29]
	v_bfe_u32 v58, v66, 16, 1
	v_add3_u32 v32, v66, v58, s8
	v_add3_u32 v33, v67, v57, s8
	v_perm_b32 v26, v31, v30, s5
	v_perm_b32 v27, v37, v36, s5
	v_mfma_f32_16x16x16_bf16 v[18:21], v[4:5], v[42:43], v[18:21]
	s_waitcnt vmcnt(1)
	v_cvt_pk_f32_fp8_e32 v[4:5], v14
	v_cvt_pk_f32_fp8_sdwa v[28:29], v14 src0_sel:WORD_1
	v_cvt_pk_f32_fp8_sdwa v[30:31], v16 src0_sel:WORD_1
	v_mfma_f32_16x16x16_bf16 v[18:21], v[26:27], v[44:45], v[18:21]
	v_cvt_pk_f32_fp8_e32 v[26:27], v15
	v_perm_b32 v4, v5, v4, s5
	v_perm_b32 v5, v29, v28, s5
	v_cvt_pk_f32_fp8_sdwa v[14:15], v15 src0_sel:WORD_1
	v_perm_b32 v26, v27, v26, s5
	v_cvt_pk_f32_fp8_e32 v[28:29], v16
	v_mfma_f32_16x16x16_bf16 v[18:21], v[4:5], v[22:23], v[18:21]
	v_perm_b32 v27, v15, v14, s5
	v_perm_b32 v4, v29, v28, s5
	;; [unrolled: 1-line block ×3, first 2 shown]
	v_cvt_pk_f32_fp8_e32 v[22:23], v17
	v_cvt_pk_f32_fp8_sdwa v[28:29], v17 src0_sel:WORD_1
	v_mfma_f32_16x16x16_bf16 v[14:17], v[26:27], v[24:25], v[18:21]
	s_waitcnt vmcnt(0)
	v_cvt_pk_f32_fp8_sdwa v[24:25], v8 src0_sel:WORD_1
	s_nop 0
	v_perm_b32 v20, v23, v22, s5
	v_perm_b32 v21, v29, v28, s5
	v_mfma_f32_16x16x16_bf16 v[14:17], v[4:5], v[46:47], v[14:17]
	v_cvt_pk_f32_fp8_e32 v[4:5], v6
	v_cvt_pk_f32_fp8_sdwa v[22:23], v6 src0_sel:WORD_1
	v_bfe_u32 v19, v3, 16, 1
	v_mfma_f32_16x16x16_bf16 v[14:17], v[20:21], v[48:49], v[14:17]
	v_cvt_pk_f32_fp8_e32 v[20:21], v7
	v_perm_b32 v4, v5, v4, s5
	v_perm_b32 v5, v23, v22, s5
	v_cvt_pk_f32_fp8_sdwa v[6:7], v7 src0_sel:WORD_1
	v_perm_b32 v20, v21, v20, s5
	v_cvt_pk_f32_fp8_e32 v[22:23], v8
	v_add3_u32 v3, v3, v19, s8
	v_perm_b32 v21, v7, v6, s5
	v_mfma_f32_16x16x16_bf16 v[4:7], v[4:5], v[10:11], v[14:17]
	v_perm_b32 v10, v23, v22, s5
	v_perm_b32 v11, v25, v24, s5
	v_perm_b32 v18, v33, v32, s5
	v_cvt_pk_f32_fp8_e32 v[14:15], v9
	v_cvt_pk_f32_fp8_sdwa v[8:9], v9 src0_sel:WORD_1
	v_mfma_f32_16x16x16_bf16 v[4:7], v[20:21], v[12:13], v[4:7]
	v_bfe_u32 v16, v2, 16, 1
	v_perm_b32 v12, v15, v14, s5
	v_perm_b32 v13, v9, v8, s5
	v_mfma_f32_16x16x16_bf16 v[4:7], v[10:11], v[50:51], v[4:7]
	v_add3_u32 v2, v2, v16, s8
	v_perm_b32 v19, v3, v2, s5
	v_mfma_f32_16x16x16_bf16 v[2:5], v[12:13], v[52:53], v[4:7]
	s_nop 6
	v_pk_mul_f32 v[2:3], v[2:3], s[4:5] op_sel_hi:[1,0]
	v_pk_mul_f32 v[4:5], v[4:5], s[4:5] op_sel_hi:[1,0]
	v_bfe_u32 v6, v3, 16, 1
	v_bfe_u32 v7, v2, 16, 1
	v_add3_u32 v2, v2, v7, s8
	v_add3_u32 v3, v3, v6, s8
	v_perm_b32 v2, v3, v2, s5
	v_bfe_u32 v3, v5, 16, 1
	v_bfe_u32 v6, v4, 16, 1
	v_add3_u32 v4, v4, v6, s8
	v_add3_u32 v3, v5, v3, s8
	v_perm_b32 v3, v3, v4, s5
	ds_write2st64_b64 v55, v[18:19], v[2:3] offset1:1
	s_waitcnt lgkmcnt(0)
	s_barrier
	s_and_saveexec_b64 s[4:5], vcc
	s_cbranch_execz .LBB1399_17
; %bb.16:
	s_load_dwordx2 s[0:1], s[0:1], 0x68
	s_lshl_b32 s6, s6, 7
	s_mul_i32 s2, s7, s2
	s_mul_hi_u32 s5, s2, s6
	s_mul_i32 s4, s2, s6
	s_lshl_b64 s[4:5], s[4:5], 1
	v_lshlrev_b32_e32 v4, 6, v56
	s_waitcnt lgkmcnt(0)
	s_add_u32 s4, s0, s4
	v_lshl_or_b32 v0, v0, 10, v4
	s_addc_u32 s5, s1, s5
	s_lshl_b32 s2, s22, 7
	v_lshlrev_b32_e32 v2, 5, v1
	v_and_b32_e32 v3, 16, v60
	v_and_b32_e32 v0, 0x1a00, v0
	s_lshl_b64 s[0:1], s[2:3], 1
	v_or3_b32 v0, v0, v2, v3
	s_add_u32 s0, s4, s0
	ds_read_b128 v[2:5], v0
	ds_read_b128 v[6:9], v0 offset:128
	ds_read_b128 v[10:13], v0 offset:256
	s_addc_u32 s1, s5, s1
	v_or_b32_e32 v16, s48, v1
	v_mov_b32_e32 v55, 0
	v_lshl_add_u64 v[0:1], s[0:1], 0, v[54:55]
	v_mad_u64_u32 v[14:15], s[0:1], v16, s6, 0
	v_lshl_add_u64 v[14:15], v[14:15], 1, v[0:1]
	s_waitcnt lgkmcnt(2)
	global_store_dwordx4 v[14:15], v[2:5], off
	s_nop 1
	v_add_u32_e32 v2, 4, v16
	v_mad_u64_u32 v[2:3], s[0:1], v2, s6, 0
	v_lshl_add_u64 v[2:3], v[2:3], 1, v[0:1]
	s_waitcnt lgkmcnt(1)
	global_store_dwordx4 v[2:3], v[6:9], off
	v_add_u32_e32 v2, 8, v16
	v_mad_u64_u32 v[2:3], s[0:1], v2, s6, 0
	v_lshl_add_u64 v[0:1], v[2:3], 1, v[0:1]
	s_waitcnt lgkmcnt(0)
	global_store_dwordx4 v[0:1], v[10:13], off
.LBB1399_17:
	s_endpgm
	.section	.rodata,"a",@progbits
	.p2align	6, 0x0
	.amdhsa_kernel _Z39paged_attention_ll4mi_QKV_mfma16_kernelI14__hip_bfloat16hLN4vllm18Fp8KVCacheDataTypeE1ES0_Li32ELi128ELi256ELb0ELi12EEvPKT_PKT0_S8_ifPKiSA_SA_iPKfiiiPfSD_PS3_PT2_iSC_SC_
		.amdhsa_group_segment_fixed_size 8192
		.amdhsa_private_segment_fixed_size 0
		.amdhsa_kernarg_size 400
		.amdhsa_user_sgpr_count 2
		.amdhsa_user_sgpr_dispatch_ptr 0
		.amdhsa_user_sgpr_queue_ptr 0
		.amdhsa_user_sgpr_kernarg_segment_ptr 1
		.amdhsa_user_sgpr_dispatch_id 0
		.amdhsa_user_sgpr_kernarg_preload_length 0
		.amdhsa_user_sgpr_kernarg_preload_offset 0
		.amdhsa_user_sgpr_private_segment_size 0
		.amdhsa_uses_dynamic_stack 0
		.amdhsa_enable_private_segment 0
		.amdhsa_system_sgpr_workgroup_id_x 1
		.amdhsa_system_sgpr_workgroup_id_y 1
		.amdhsa_system_sgpr_workgroup_id_z 1
		.amdhsa_system_sgpr_workgroup_info 0
		.amdhsa_system_vgpr_workitem_id 0
		.amdhsa_next_free_vgpr 82
		.amdhsa_next_free_sgpr 50
		.amdhsa_accum_offset 84
		.amdhsa_reserve_vcc 1
		.amdhsa_float_round_mode_32 0
		.amdhsa_float_round_mode_16_64 0
		.amdhsa_float_denorm_mode_32 3
		.amdhsa_float_denorm_mode_16_64 3
		.amdhsa_dx10_clamp 1
		.amdhsa_ieee_mode 1
		.amdhsa_fp16_overflow 0
		.amdhsa_tg_split 0
		.amdhsa_exception_fp_ieee_invalid_op 0
		.amdhsa_exception_fp_denorm_src 0
		.amdhsa_exception_fp_ieee_div_zero 0
		.amdhsa_exception_fp_ieee_overflow 0
		.amdhsa_exception_fp_ieee_underflow 0
		.amdhsa_exception_fp_ieee_inexact 0
		.amdhsa_exception_int_div_zero 0
	.end_amdhsa_kernel
	.section	.text._Z39paged_attention_ll4mi_QKV_mfma16_kernelI14__hip_bfloat16hLN4vllm18Fp8KVCacheDataTypeE1ES0_Li32ELi128ELi256ELb0ELi12EEvPKT_PKT0_S8_ifPKiSA_SA_iPKfiiiPfSD_PS3_PT2_iSC_SC_,"axG",@progbits,_Z39paged_attention_ll4mi_QKV_mfma16_kernelI14__hip_bfloat16hLN4vllm18Fp8KVCacheDataTypeE1ES0_Li32ELi128ELi256ELb0ELi12EEvPKT_PKT0_S8_ifPKiSA_SA_iPKfiiiPfSD_PS3_PT2_iSC_SC_,comdat
.Lfunc_end1399:
	.size	_Z39paged_attention_ll4mi_QKV_mfma16_kernelI14__hip_bfloat16hLN4vllm18Fp8KVCacheDataTypeE1ES0_Li32ELi128ELi256ELb0ELi12EEvPKT_PKT0_S8_ifPKiSA_SA_iPKfiiiPfSD_PS3_PT2_iSC_SC_, .Lfunc_end1399-_Z39paged_attention_ll4mi_QKV_mfma16_kernelI14__hip_bfloat16hLN4vllm18Fp8KVCacheDataTypeE1ES0_Li32ELi128ELi256ELb0ELi12EEvPKT_PKT0_S8_ifPKiSA_SA_iPKfiiiPfSD_PS3_PT2_iSC_SC_
                                        ; -- End function
	.section	.AMDGPU.csdata,"",@progbits
; Kernel info:
; codeLenInByte = 6408
; NumSgprs: 56
; NumVgprs: 82
; NumAgprs: 0
; TotalNumVgprs: 82
; ScratchSize: 0
; MemoryBound: 0
; FloatMode: 240
; IeeeMode: 1
; LDSByteSize: 8192 bytes/workgroup (compile time only)
; SGPRBlocks: 6
; VGPRBlocks: 10
; NumSGPRsForWavesPerEU: 56
; NumVGPRsForWavesPerEU: 82
; AccumOffset: 84
; Occupancy: 5
; WaveLimiterHint : 1
; COMPUTE_PGM_RSRC2:SCRATCH_EN: 0
; COMPUTE_PGM_RSRC2:USER_SGPR: 2
; COMPUTE_PGM_RSRC2:TRAP_HANDLER: 0
; COMPUTE_PGM_RSRC2:TGID_X_EN: 1
; COMPUTE_PGM_RSRC2:TGID_Y_EN: 1
; COMPUTE_PGM_RSRC2:TGID_Z_EN: 1
; COMPUTE_PGM_RSRC2:TIDIG_COMP_CNT: 0
; COMPUTE_PGM_RSRC3_GFX90A:ACCUM_OFFSET: 20
; COMPUTE_PGM_RSRC3_GFX90A:TG_SPLIT: 0
	.section	.text._Z39paged_attention_ll4mi_QKV_mfma16_kernelI14__hip_bfloat16hLN4vllm18Fp8KVCacheDataTypeE1ES0_Li32ELi128ELi256ELb0ELi13EEvPKT_PKT0_S8_ifPKiSA_SA_iPKfiiiPfSD_PS3_PT2_iSC_SC_,"axG",@progbits,_Z39paged_attention_ll4mi_QKV_mfma16_kernelI14__hip_bfloat16hLN4vllm18Fp8KVCacheDataTypeE1ES0_Li32ELi128ELi256ELb0ELi13EEvPKT_PKT0_S8_ifPKiSA_SA_iPKfiiiPfSD_PS3_PT2_iSC_SC_,comdat
	.protected	_Z39paged_attention_ll4mi_QKV_mfma16_kernelI14__hip_bfloat16hLN4vllm18Fp8KVCacheDataTypeE1ES0_Li32ELi128ELi256ELb0ELi13EEvPKT_PKT0_S8_ifPKiSA_SA_iPKfiiiPfSD_PS3_PT2_iSC_SC_ ; -- Begin function _Z39paged_attention_ll4mi_QKV_mfma16_kernelI14__hip_bfloat16hLN4vllm18Fp8KVCacheDataTypeE1ES0_Li32ELi128ELi256ELb0ELi13EEvPKT_PKT0_S8_ifPKiSA_SA_iPKfiiiPfSD_PS3_PT2_iSC_SC_
	.globl	_Z39paged_attention_ll4mi_QKV_mfma16_kernelI14__hip_bfloat16hLN4vllm18Fp8KVCacheDataTypeE1ES0_Li32ELi128ELi256ELb0ELi13EEvPKT_PKT0_S8_ifPKiSA_SA_iPKfiiiPfSD_PS3_PT2_iSC_SC_
	.p2align	8
	.type	_Z39paged_attention_ll4mi_QKV_mfma16_kernelI14__hip_bfloat16hLN4vllm18Fp8KVCacheDataTypeE1ES0_Li32ELi128ELi256ELb0ELi13EEvPKT_PKT0_S8_ifPKiSA_SA_iPKfiiiPfSD_PS3_PT2_iSC_SC_,@function
_Z39paged_attention_ll4mi_QKV_mfma16_kernelI14__hip_bfloat16hLN4vllm18Fp8KVCacheDataTypeE1ES0_Li32ELi128ELi256ELb0ELi13EEvPKT_PKT0_S8_ifPKiSA_SA_iPKfiiiPfSD_PS3_PT2_iSC_SC_: ; @_Z39paged_attention_ll4mi_QKV_mfma16_kernelI14__hip_bfloat16hLN4vllm18Fp8KVCacheDataTypeE1ES0_Li32ELi128ELi256ELb0ELi13EEvPKT_PKT0_S8_ifPKiSA_SA_iPKfiiiPfSD_PS3_PT2_iSC_SC_
; %bb.0:
	s_load_dwordx2 s[12:13], s[0:1], 0x30
	s_mov_b32 s22, s3
	s_mov_b64 s[6:7], 0
	s_waitcnt lgkmcnt(0)
	s_cmp_lg_u64 s[12:13], 0
	s_cselect_b64 s[14:15], -1, 0
	s_and_b64 vcc, exec, s[14:15]
	s_cbranch_vccz .LBB1400_7
; %bb.1:
	s_add_i32 s8, s2, 1
	s_mov_b32 s9, 0
	s_lshl_b64 s[10:11], s[8:9], 2
	s_add_u32 s10, s12, s10
	s_mov_b32 s3, s9
	s_addc_u32 s11, s13, s11
	s_lshl_b64 s[8:9], s[2:3], 2
	s_add_u32 s8, s12, s8
	s_addc_u32 s9, s13, s9
	s_load_dword s5, s[10:11], 0x0
	s_load_dword s16, s[8:9], 0x0
	s_waitcnt lgkmcnt(0)
	s_sub_i32 s5, s5, s16
	s_cmp_eq_u32 s5, 1
	s_cselect_b64 s[8:9], -1, 0
	s_andn2_b64 vcc, exec, s[6:7]
	s_cbranch_vccnz .LBB1400_3
.LBB1400_2:
	s_mov_b32 s3, 0
	s_mov_b64 s[8:9], -1
.LBB1400_3:
	s_andn2_b64 vcc, exec, s[8:9]
	s_cbranch_vccnz .LBB1400_18
; %bb.4:
	s_load_dwordx2 s[6:7], s[0:1], 0x28
	s_lshl_b64 s[16:17], s[2:3], 2
	s_waitcnt lgkmcnt(0)
	s_add_u32 s6, s6, s16
	s_addc_u32 s7, s7, s17
	s_load_dword s5, s[6:7], 0x0
	s_lshl_b32 s18, s22, 8
	s_waitcnt lgkmcnt(0)
	s_cmp_ge_i32 s18, s5
	s_cbranch_scc1 .LBB1400_18
; %bb.5:
	s_load_dwordx2 s[6:7], s[0:1], 0x20
	s_load_dword s8, s[0:1], 0x38
	s_add_i32 s9, s5, 31
	s_ashr_i32 s10, s9, 31
	v_and_b32_e32 v1, 0xcf, v0
	s_lshr_b32 s10, s10, 27
	v_add_u32_e32 v1, s18, v1
	s_add_i32 s9, s9, s10
	v_ashrrev_i32_e32 v2, 31, v1
	s_ashr_i32 s19, s9, 5
	v_lshrrev_b32_e32 v8, 27, v2
	s_add_i32 s19, s19, -1
	s_waitcnt lgkmcnt(0)
	s_mul_i32 s8, s2, s8
	s_mov_b32 s9, 0
	v_add_u32_e32 v2, v1, v8
	s_lshl_b64 s[8:9], s[8:9], 2
	v_ashrrev_i32_e32 v2, 5, v2
	v_mov_b32_e32 v9, s19
	v_cmp_gt_i32_e32 vcc, s5, v1
	s_add_u32 s6, s6, s8
	s_addc_u32 s7, s7, s9
	v_cndmask_b32_e32 v2, v9, v2, vcc
	v_ashrrev_i32_e32 v3, 31, v2
	v_lshl_add_u64 v[4:5], v[2:3], 2, s[6:7]
	v_or_b32_e32 v2, 16, v1
	v_add_u32_e32 v3, v2, v8
	v_ashrrev_i32_e32 v3, 5, v3
	v_cmp_gt_i32_e32 vcc, s5, v2
	s_load_dwordx4 s[8:11], s[0:1], 0x8
	s_nop 0
	v_cndmask_b32_e32 v2, v9, v3, vcc
	v_ashrrev_i32_e32 v3, 31, v2
	v_lshl_add_u64 v[6:7], v[2:3], 2, s[6:7]
	v_or_b32_e32 v2, 32, v1
	v_add_u32_e32 v3, v2, v8
	v_ashrrev_i32_e32 v3, 5, v3
	v_cmp_gt_i32_e32 vcc, s5, v2
	v_or_b32_e32 v1, 48, v1
	s_nop 0
	v_cndmask_b32_e32 v2, v9, v3, vcc
	v_ashrrev_i32_e32 v3, 31, v2
	v_lshl_add_u64 v[10:11], v[2:3], 2, s[6:7]
	v_add_u32_e32 v2, v1, v8
	v_ashrrev_i32_e32 v2, 5, v2
	v_cmp_gt_i32_e32 vcc, s5, v1
	s_nop 1
	v_cndmask_b32_e32 v2, v9, v2, vcc
	v_ashrrev_i32_e32 v3, 31, v2
	v_lshl_add_u64 v[12:13], v[2:3], 2, s[6:7]
	global_load_dword v2, v[4:5], off
	global_load_dword v8, v[6:7], off
	global_load_dword v22, v[10:11], off
	global_load_dword v23, v[12:13], off
	s_andn2_b64 vcc, exec, s[14:15]
	s_cbranch_vccnz .LBB1400_8
; %bb.6:
	s_add_u32 s12, s12, s16
	s_addc_u32 s13, s13, s17
	s_load_dword s14, s[12:13], 0x0
	s_branch .LBB1400_9
.LBB1400_7:
	s_mov_b64 s[8:9], 0
	s_branch .LBB1400_2
.LBB1400_8:
	s_mov_b32 s14, s2
.LBB1400_9:
	s_load_dwordx4 s[44:47], s[0:1], 0x48
	v_lshrrev_b32_e32 v57, 6, v0
	v_bfe_u32 v60, v0, 4, 2
	v_and_b32_e32 v56, 15, v0
	v_lshl_or_b32 v3, v57, 2, v60
	v_lshlrev_b32_e32 v1, 3, v56
	v_and_b32_e32 v61, 63, v0
	s_mul_i32 s48, s4, 13
	v_cmp_gt_u32_e32 vcc, 13, v3
	v_lshlrev_b32_e32 v54, 1, v1
	v_lshlrev_b32_e32 v1, 4, v0
	s_and_saveexec_b64 s[12:13], vcc
	s_cbranch_execz .LBB1400_11
; %bb.10:
	s_load_dwordx2 s[16:17], s[0:1], 0x0
	s_waitcnt lgkmcnt(0)
	s_ashr_i32 s15, s44, 31
	s_mul_hi_u32 s20, s14, s44
	s_mul_i32 s15, s14, s15
	s_add_i32 s15, s20, s15
	s_mul_i32 s14, s14, s44
	s_lshl_b64 s[14:15], s[14:15], 1
	s_add_u32 s14, s16, s14
	v_add_lshl_u32 v4, v3, s48, 7
	s_addc_u32 s15, s17, s15
	v_ashrrev_i32_e32 v5, 31, v4
	v_lshl_add_u64 v[4:5], v[4:5], 1, s[14:15]
	v_mov_b32_e32 v55, 0
	v_lshl_add_u64 v[4:5], v[4:5], 0, v[54:55]
	global_load_dwordx4 v[4:7], v[4:5], off
	v_lshlrev_b32_e32 v10, 8, v0
	v_lshlrev_b32_e32 v9, 8, v56
	v_and_b32_e32 v10, 0x600, v10
	s_movk_i32 s14, 0x800
	v_and_or_b32 v9, v9, s14, v10
	v_lshlrev_b32_e32 v3, 5, v3
	v_and_b32_e32 v10, 16, v1
	v_or3_b32 v3, v9, v3, v10
	s_waitcnt vmcnt(0)
	ds_write_b128 v3, v[4:7]
.LBB1400_11:
	s_or_b64 exec, exec, s[12:13]
	s_waitcnt lgkmcnt(0)
	s_mul_i32 s12, s4, s46
	s_add_u32 s8, s8, s12
	s_addc_u32 s9, s9, 0
	v_mov_b32_e32 v51, 0
	v_mov_b64_e32 v[12:13], s[8:9]
	v_and_b32_e32 v9, 48, v0
	s_waitcnt vmcnt(3)
	v_mad_i64_i32 v[2:3], s[8:9], v2, s45, v[12:13]
	v_lshlrev_b32_e32 v10, 4, v56
	v_mov_b32_e32 v11, v51
	v_lshlrev_b32_e32 v50, 5, v9
	v_lshl_add_u64 v[2:3], v[2:3], 0, v[10:11]
	v_lshl_add_u64 v[6:7], v[2:3], 0, v[50:51]
	s_load_dword s23, s[0:1], 0x98
	s_load_dwordx4 s[40:43], s[0:1], 0x80
	s_waitcnt lgkmcnt(0)
	s_barrier
	global_load_dwordx4 v[2:5], v[6:7], off
	global_load_dwordx4 v[42:45], v[6:7], off offset:2048
	v_add_u32_e32 v14, -13, v56
	v_cmp_gt_u32_e32 vcc, 13, v56
	s_ashr_i32 s8, s18, 31
	v_or_b32_e32 v24, 0x100, v10
	v_cndmask_b32_e32 v6, v14, v56, vcc
	v_mov_b32_e32 v25, v51
	s_lshr_b32 s13, s8, 27
	s_waitcnt vmcnt(4)
	v_mad_i64_i32 v[30:31], s[8:9], v8, s45, v[12:13]
	v_lshlrev_b32_e32 v6, 5, v6
	v_lshl_add_u64 v[30:31], v[30:31], 0, v[24:25]
	v_lshl_add_u32 v6, v60, 9, v6
	v_lshl_add_u64 v[30:31], v[30:31], 0, v[50:51]
	v_or_b32_e32 v37, s18, v9
	ds_read_b128 v[26:29], v6
	ds_read_b128 v[18:21], v6 offset:16
	ds_read_b128 v[14:17], v6 offset:2048
	;; [unrolled: 1-line block ×3, first 2 shown]
	global_load_dwordx4 v[46:49], v[30:31], off
	s_waitcnt vmcnt(4)
	v_mad_i64_i32 v[32:33], s[8:9], v22, s45, v[12:13]
	v_lshl_add_u64 v[10:11], v[32:33], 0, v[10:11]
	global_load_dwordx4 v[30:33], v[30:31], off offset:2048
	v_or_b32_e32 v38, 64, v37
	v_add_u32_e32 v22, s13, v37
	v_mov_b32_e32 v36, s19
	v_or_b32_e32 v39, 0x80, v37
	s_waitcnt vmcnt(4)
	v_mad_i64_i32 v[12:13], s[8:9], v23, s45, v[12:13]
	v_add_u32_e32 v23, s13, v38
	v_ashrrev_i32_e32 v22, 5, v22
	v_cmp_gt_i32_e32 vcc, s5, v37
	v_or_b32_e32 v40, 0xc0, v37
	v_add_u32_e32 v34, s13, v39
	v_ashrrev_i32_e32 v23, 5, v23
	v_cndmask_b32_e32 v52, v36, v22, vcc
	v_cmp_gt_i32_e32 vcc, s5, v38
	v_add_u32_e32 v35, s13, v40
	v_lshl_add_u64 v[12:13], v[12:13], 0, v[24:25]
	v_ashrrev_i32_e32 v24, 5, v34
	v_cndmask_b32_e32 v58, v36, v23, vcc
	v_cmp_gt_i32_e32 vcc, s5, v39
	v_ashrrev_i32_e32 v25, 5, v35
	v_lshl_add_u64 v[10:11], v[10:11], 0, v[50:51]
	v_lshl_add_u64 v[34:35], v[12:13], 0, v[50:51]
	v_cndmask_b32_e32 v62, v36, v24, vcc
	v_cmp_gt_i32_e32 vcc, s5, v40
	v_ashrrev_i32_e32 v53, 31, v52
	v_ashrrev_i32_e32 v59, 31, v58
	v_cndmask_b32_e32 v64, v36, v25, vcc
	global_load_dwordx4 v[22:25], v[10:11], off
	s_nop 0
	global_load_dwordx4 v[10:13], v[10:11], off offset:2048
	s_nop 0
	global_load_dwordx4 v[38:41], v[34:35], off
	s_nop 0
	global_load_dwordx4 v[34:37], v[34:35], off offset:2048
	v_ashrrev_i32_e32 v63, 31, v62
	v_ashrrev_i32_e32 v65, 31, v64
	v_lshl_add_u64 v[52:53], v[52:53], 2, s[6:7]
	v_lshl_add_u64 v[66:67], v[58:59], 2, s[6:7]
	;; [unrolled: 1-line block ×4, first 2 shown]
	global_load_dword v58, v[52:53], off
	global_load_dword v64, v[66:67], off
	;; [unrolled: 1-line block ×3, first 2 shown]
	s_nop 0
	global_load_dword v62, v[68:69], off
	s_mov_b32 s33, 0x7060302
	s_add_u32 s6, s10, s12
	s_addc_u32 s7, s11, 0
	v_and_b32_e32 v50, 16, v0
	v_lshl_or_b32 v63, v57, 4, v56
	s_load_dword s4, s[0:1], 0x1c
	s_waitcnt vmcnt(11)
	v_cvt_pk_f32_fp8_e32 v[52:53], v2
	v_cvt_pk_f32_fp8_sdwa v[66:67], v2 src0_sel:WORD_1
	v_cvt_pk_f32_fp8_e32 v[68:69], v3
	v_cvt_pk_f32_fp8_sdwa v[2:3], v3 src0_sel:WORD_1
	v_perm_b32 v52, v53, v52, s33
	v_perm_b32 v53, v67, v66, s33
	v_cvt_pk_f32_fp8_e32 v[70:71], v4
	v_cvt_pk_f32_fp8_sdwa v[72:73], v4 src0_sel:WORD_1
	v_perm_b32 v74, v69, v68, s33
	v_perm_b32 v75, v3, v2, s33
	s_waitcnt lgkmcnt(0)
	v_mfma_f32_16x16x16_bf16 v[66:69], v[52:53], v[26:27], 0
	v_cvt_pk_f32_fp8_e32 v[2:3], v5
	v_perm_b32 v52, v71, v70, s33
	v_perm_b32 v53, v73, v72, s33
	v_cvt_pk_f32_fp8_sdwa v[4:5], v5 src0_sel:WORD_1
	v_mfma_f32_16x16x16_bf16 v[66:69], v[74:75], v[28:29], v[66:69]
	v_perm_b32 v70, v3, v2, s33
	s_waitcnt vmcnt(10)
	v_cvt_pk_f32_fp8_e32 v[72:73], v42
	v_cvt_pk_f32_fp8_sdwa v[74:75], v42 src0_sel:WORD_1
	v_perm_b32 v71, v5, v4, s33
	v_mfma_f32_16x16x16_bf16 v[2:5], v[52:53], v[18:19], v[66:69]
	v_perm_b32 v52, v73, v72, s33
	v_perm_b32 v53, v75, v74, s33
	s_waitcnt vmcnt(6)
	v_cvt_pk_f32_fp8_e32 v[74:75], v11
	v_cvt_pk_f32_fp8_e32 v[66:67], v43
	v_cvt_pk_f32_fp8_sdwa v[42:43], v43 src0_sel:WORD_1
	v_mfma_f32_16x16x16_bf16 v[2:5], v[70:71], v[20:21], v[2:5]
	v_cvt_pk_f32_fp8_sdwa v[68:69], v46 src0_sel:WORD_1
	v_perm_b32 v66, v67, v66, s33
	v_perm_b32 v67, v43, v42, s33
	v_mfma_f32_16x16x16_bf16 v[2:5], v[52:53], v[14:15], v[2:5]
	v_cvt_pk_f32_fp8_e32 v[42:43], v44
	v_cvt_pk_f32_fp8_sdwa v[52:53], v44 src0_sel:WORD_1
	v_cvt_pk_f32_fp8_sdwa v[70:71], v30 src0_sel:WORD_1
	v_mfma_f32_16x16x16_bf16 v[2:5], v[66:67], v[16:17], v[2:5]
	v_cvt_pk_f32_fp8_e32 v[66:67], v45
	v_perm_b32 v42, v43, v42, s33
	v_perm_b32 v43, v53, v52, s33
	v_cvt_pk_f32_fp8_sdwa v[44:45], v45 src0_sel:WORD_1
	v_perm_b32 v52, v67, v66, s33
	v_cvt_pk_f32_fp8_e32 v[66:67], v46
	v_mfma_f32_16x16x16_bf16 v[2:5], v[42:43], v[6:7], v[2:5]
	v_perm_b32 v53, v45, v44, s33
	v_perm_b32 v66, v67, v66, s33
	;; [unrolled: 1-line block ×3, first 2 shown]
	v_cvt_pk_f32_fp8_e32 v[68:69], v47
	v_cvt_pk_f32_fp8_sdwa v[46:47], v47 src0_sel:WORD_1
	v_mfma_f32_16x16x16_bf16 v[42:45], v[52:53], v[8:9], v[2:5]
	v_lshl_add_u64 v[52:53], s[6:7], 0, v[50:51]
	v_perm_b32 v68, v69, v68, s33
	v_perm_b32 v69, v47, v46, s33
	v_mfma_f32_16x16x16_bf16 v[2:5], v[66:67], v[26:27], 0
	v_cvt_pk_f32_fp8_e32 v[46:47], v48
	v_cvt_pk_f32_fp8_sdwa v[66:67], v48 src0_sel:WORD_1
	v_lshlrev_b32_e32 v50, 5, v63
	v_mfma_f32_16x16x16_bf16 v[2:5], v[68:69], v[28:29], v[2:5]
	v_cvt_pk_f32_fp8_e32 v[68:69], v49
	v_perm_b32 v46, v47, v46, s33
	v_perm_b32 v47, v67, v66, s33
	v_cvt_pk_f32_fp8_sdwa v[48:49], v49 src0_sel:WORD_1
	v_perm_b32 v66, v69, v68, s33
	v_cvt_pk_f32_fp8_e32 v[68:69], v30
	v_mfma_f32_16x16x16_bf16 v[2:5], v[46:47], v[18:19], v[2:5]
	v_perm_b32 v67, v49, v48, s33
	v_perm_b32 v46, v69, v68, s33
	;; [unrolled: 1-line block ×3, first 2 shown]
	v_cvt_pk_f32_fp8_e32 v[48:49], v31
	v_cvt_pk_f32_fp8_sdwa v[30:31], v31 src0_sel:WORD_1
	v_mfma_f32_16x16x16_bf16 v[2:5], v[66:67], v[20:21], v[2:5]
	v_cvt_pk_f32_fp8_sdwa v[66:67], v22 src0_sel:WORD_1
	v_perm_b32 v48, v49, v48, s33
	v_perm_b32 v49, v31, v30, s33
	v_mfma_f32_16x16x16_bf16 v[2:5], v[46:47], v[14:15], v[2:5]
	v_cvt_pk_f32_fp8_e32 v[30:31], v32
	v_cvt_pk_f32_fp8_sdwa v[46:47], v32 src0_sel:WORD_1
	v_cvt_pk_f32_fp8_sdwa v[80:81], v13 src0_sel:WORD_1
	v_mfma_f32_16x16x16_bf16 v[2:5], v[48:49], v[16:17], v[2:5]
	v_cvt_pk_f32_fp8_e32 v[48:49], v33
	v_perm_b32 v30, v31, v30, s33
	v_perm_b32 v31, v47, v46, s33
	v_cvt_pk_f32_fp8_sdwa v[32:33], v33 src0_sel:WORD_1
	v_perm_b32 v46, v49, v48, s33
	v_cvt_pk_f32_fp8_e32 v[48:49], v22
	v_mfma_f32_16x16x16_bf16 v[2:5], v[30:31], v[6:7], v[2:5]
	v_perm_b32 v47, v33, v32, s33
	v_perm_b32 v30, v49, v48, s33
	;; [unrolled: 1-line block ×3, first 2 shown]
	v_cvt_pk_f32_fp8_e32 v[32:33], v23
	v_cvt_pk_f32_fp8_sdwa v[22:23], v23 src0_sel:WORD_1
	v_mfma_f32_16x16x16_bf16 v[46:49], v[46:47], v[8:9], v[2:5]
	v_lshl_add_u64 v[66:67], v[52:53], 0, v[50:51]
	v_perm_b32 v32, v33, v32, s33
	v_perm_b32 v33, v23, v22, s33
	v_mfma_f32_16x16x16_bf16 v[2:5], v[30:31], v[26:27], 0
	v_cvt_pk_f32_fp8_e32 v[22:23], v24
	v_cvt_pk_f32_fp8_sdwa v[30:31], v24 src0_sel:WORD_1
	s_waitcnt vmcnt(3)
	v_mad_i64_i32 v[68:69], s[6:7], v58, s45, v[66:67]
	v_perm_b32 v22, v23, v22, s33
	v_perm_b32 v23, v31, v30, s33
	v_cvt_pk_f32_fp8_e32 v[30:31], v25
	v_cvt_pk_f32_fp8_sdwa v[24:25], v25 src0_sel:WORD_1
	v_mfma_f32_16x16x16_bf16 v[2:5], v[32:33], v[28:29], v[2:5]
	s_waitcnt vmcnt(2)
	v_mad_i64_i32 v[70:71], s[6:7], v64, s45, v[66:67]
	v_perm_b32 v72, v31, v30, s33
	v_perm_b32 v73, v25, v24, s33
	v_mfma_f32_16x16x16_bf16 v[2:5], v[22:23], v[18:19], v[2:5]
	global_load_dwordx4 v[30:33], v[68:69], off
	global_load_dwordx4 v[22:25], v[70:71], off
	v_cvt_pk_f32_fp8_e32 v[68:69], v10
	s_waitcnt vmcnt(3)
	v_mad_i64_i32 v[70:71], s[6:7], v55, s45, v[66:67]
	v_mfma_f32_16x16x16_bf16 v[2:5], v[72:73], v[20:21], v[2:5]
	v_cvt_pk_f32_fp8_sdwa v[72:73], v10 src0_sel:WORD_1
	v_cvt_pk_f32_fp8_sdwa v[10:11], v11 src0_sel:WORD_1
	v_perm_b32 v68, v69, v68, s33
	s_waitcnt vmcnt(2)
	v_mad_i64_i32 v[76:77], s[6:7], v62, s45, v[66:67]
	v_perm_b32 v69, v73, v72, s33
	v_perm_b32 v72, v75, v74, s33
	;; [unrolled: 1-line block ×3, first 2 shown]
	v_cvt_pk_f32_fp8_e32 v[10:11], v12
	v_cvt_pk_f32_fp8_sdwa v[74:75], v12 src0_sel:WORD_1
	v_mfma_f32_16x16x16_bf16 v[66:69], v[68:69], v[14:15], v[2:5]
	v_or_b32_e32 v50, 0x800, v50
	v_perm_b32 v78, v11, v10, s33
	v_perm_b32 v79, v75, v74, s33
	v_cvt_pk_f32_fp8_e32 v[74:75], v13
	v_mfma_f32_16x16x16_bf16 v[66:69], v[72:73], v[16:17], v[66:69]
	v_lshl_add_u64 v[50:51], v[52:53], 0, v[50:51]
	v_perm_b32 v53, v81, v80, s33
	v_perm_b32 v52, v75, v74, s33
	global_load_dwordx4 v[10:13], v[70:71], off
	global_load_dwordx4 v[2:5], v[76:77], off
	v_mfma_f32_16x16x16_bf16 v[66:69], v[78:79], v[6:7], v[66:69]
	v_cvt_pk_f32_fp8_e32 v[70:71], v38
	v_cvt_pk_f32_fp8_sdwa v[72:73], v38 src0_sel:WORD_1
	v_cvt_pk_f32_fp8_e32 v[74:75], v40
	v_mfma_f32_16x16x16_bf16 v[66:69], v[52:53], v[8:9], v[66:69]
	v_cvt_pk_f32_fp8_e32 v[52:53], v39
	v_perm_b32 v70, v71, v70, s33
	v_perm_b32 v71, v73, v72, s33
	v_cvt_pk_f32_fp8_sdwa v[38:39], v39 src0_sel:WORD_1
	v_perm_b32 v52, v53, v52, s33
	v_cvt_pk_f32_fp8_sdwa v[76:77], v40 src0_sel:WORD_1
	v_mfma_f32_16x16x16_bf16 v[70:73], v[70:71], v[26:27], 0
	v_perm_b32 v53, v39, v38, s33
	v_perm_b32 v38, v75, v74, s33
	;; [unrolled: 1-line block ×3, first 2 shown]
	v_cvt_pk_f32_fp8_e32 v[74:75], v41
	v_cvt_pk_f32_fp8_sdwa v[40:41], v41 src0_sel:WORD_1
	v_mfma_f32_16x16x16_bf16 v[26:29], v[52:53], v[28:29], v[70:73]
	s_load_dword s6, s[40:41], 0x0
	v_mov_b32_e32 v52, s4
	s_mov_b32 s40, 0xff7fffff
	v_perm_b32 v70, v75, v74, s33
	v_perm_b32 v71, v41, v40, s33
	v_mfma_f32_16x16x16_bf16 v[26:29], v[38:39], v[18:19], v[26:29]
	v_cvt_pk_f32_fp8_e32 v[40:41], v35
	s_waitcnt lgkmcnt(0)
	v_mul_f32_e32 v72, s6, v52
	v_pk_mul_f32 v[52:53], v[72:73], v[42:43] op_sel_hi:[0,1]
	v_mfma_f32_16x16x16_bf16 v[18:21], v[70:71], v[20:21], v[26:29]
	v_pk_mul_f32 v[38:39], v[72:73], v[44:45] op_sel_hi:[0,1]
	v_mad_i64_i32 v[70:71], s[6:7], v58, s45, v[50:51]
	s_nop 0
	v_cvt_pk_f32_fp8_e32 v[26:27], v34
	v_cvt_pk_f32_fp8_sdwa v[28:29], v34 src0_sel:WORD_1
	v_cvt_pk_f32_fp8_sdwa v[34:35], v35 src0_sel:WORD_1
	v_pk_mul_f32 v[58:59], v[72:73], v[46:47] op_sel_hi:[0,1]
	v_perm_b32 v26, v27, v26, s33
	v_perm_b32 v27, v29, v28, s33
	;; [unrolled: 1-line block ×4, first 2 shown]
	v_cvt_pk_f32_fp8_e32 v[34:35], v36
	v_cvt_pk_f32_fp8_sdwa v[40:41], v36 src0_sel:WORD_1
	v_mfma_f32_16x16x16_bf16 v[18:21], v[26:27], v[14:15], v[18:21]
	v_pk_mul_f32 v[48:49], v[72:73], v[48:49] op_sel_hi:[0,1]
	v_perm_b32 v26, v35, v34, s33
	v_perm_b32 v27, v41, v40, s33
	v_cvt_pk_f32_fp8_e32 v[34:35], v37
	v_cvt_pk_f32_fp8_sdwa v[36:37], v37 src0_sel:WORD_1
	v_mfma_f32_16x16x16_bf16 v[14:17], v[28:29], v[16:17], v[18:21]
	v_pk_mul_f32 v[40:41], v[72:73], v[66:67] op_sel_hi:[0,1]
	v_pk_mul_f32 v[44:45], v[72:73], v[68:69] op_sel_hi:[0,1]
	s_nop 0
	v_perm_b32 v18, v35, v34, s33
	v_perm_b32 v19, v37, v36, s33
	v_mfma_f32_16x16x16_bf16 v[14:17], v[26:27], v[6:7], v[14:17]
	s_nop 0
	v_mfma_f32_16x16x16_bf16 v[6:9], v[18:19], v[8:9], v[14:17]
	s_nop 6
	v_pk_mul_f32 v[42:43], v[72:73], v[6:7] op_sel_hi:[0,1]
	v_and_b32_e32 v6, 0xc0, v0
	v_add_u32_e32 v6, s18, v6
	v_lshl_or_b32 v6, v60, 2, v6
	v_pk_mul_f32 v[34:35], v[72:73], v[8:9] op_sel_hi:[0,1]
	v_or_b32_e32 v9, 1, v6
	v_mov_b32_e32 v7, 0xff7fffff
	v_cmp_gt_i32_e64 s[24:25], s5, v6
	v_cmp_gt_i32_e64 s[26:27], s5, v9
	v_or_b32_e32 v14, 3, v6
	v_cndmask_b32_e64 v8, v7, v52, s[24:25]
	v_cndmask_b32_e64 v9, v7, v53, s[26:27]
	v_max3_f32 v8, v8, s40, v9
	v_or_b32_e32 v9, 2, v6
	v_cmp_gt_i32_e64 s[28:29], s5, v9
	v_cmp_gt_i32_e64 s[30:31], s5, v14
	s_nop 0
	v_cndmask_b32_e64 v9, v7, v38, s[28:29]
	v_cndmask_b32_e64 v14, v7, v39, s[30:31]
	v_max3_f32 v8, v8, v9, v14
	v_or_b32_e32 v9, 16, v6
	v_or_b32_e32 v14, 17, v6
	v_cmp_gt_i32_e64 s[34:35], s5, v9
	v_cmp_gt_i32_e64 s[36:37], s5, v14
	s_nop 0
	v_cndmask_b32_e64 v9, v7, v58, s[34:35]
	v_cndmask_b32_e64 v14, v7, v59, s[36:37]
	v_max3_f32 v8, v8, v9, v14
	v_or_b32_e32 v9, 18, v6
	;; [unrolled: 8-line block ×6, first 2 shown]
	v_or_b32_e32 v6, 51, v6
	v_cmp_gt_i32_e32 vcc, s5, v9
	v_cmp_gt_i32_e64 s[4:5], s5, v6
	s_nop 0
	v_cndmask_b32_e32 v9, v7, v34, vcc
	v_cndmask_b32_e64 v6, v7, v35, s[4:5]
	v_max3_f32 v8, v8, v9, v6
	v_mbcnt_lo_u32_b32 v6, -1, 0
	v_mbcnt_hi_u32_b32 v9, -1, v6
	v_and_b32_e32 v6, 64, v9
	v_add_u32_e32 v14, 64, v6
	v_xor_b32_e32 v6, 32, v9
	v_cmp_lt_i32_e64 s[38:39], v6, v14
	s_nop 1
	v_cndmask_b32_e64 v6, v9, v6, s[38:39]
	v_lshlrev_b32_e32 v65, 2, v6
	ds_bpermute_b32 v15, v65, v8
	v_mad_i64_i32 v[6:7], s[38:39], v64, s45, v[50:51]
	global_load_dwordx4 v[26:29], v[70:71], off
	global_load_dwordx4 v[18:21], v[6:7], off
	s_waitcnt lgkmcnt(0)
	v_max_f32_e32 v6, v15, v15
	v_max_f32_e32 v15, v8, v6
	v_xor_b32_e32 v6, 16, v9
	v_cmp_lt_i32_e64 s[38:39], v6, v14
	s_nop 1
	v_cndmask_b32_e64 v6, v9, v6, s[38:39]
	v_lshlrev_b32_e32 v64, 2, v6
	ds_bpermute_b32 v14, v64, v15
	v_mad_i64_i32 v[6:7], s[38:39], v55, s45, v[50:51]
	v_mad_i64_i32 v[8:9], s[38:39], v62, s45, v[50:51]
	s_waitcnt lgkmcnt(0)
	v_max_f32_e32 v14, v14, v14
	v_max_f32_e32 v50, v15, v14
	v_sub_f32_e32 v14, v52, v50
	v_mul_f32_e32 v14, 0x3fb8aa3b, v14
	v_exp_f32_e32 v36, v14
	v_sub_f32_e32 v14, v53, v50
	v_mul_f32_e32 v14, 0x3fb8aa3b, v14
	v_exp_f32_e32 v37, v14
	global_load_dwordx4 v[14:17], v[6:7], off
	s_nop 0
	global_load_dwordx4 v[6:9], v[8:9], off
	v_sub_f32_e32 v38, v38, v50
	v_mul_f32_e32 v38, 0x3fb8aa3b, v38
	v_sub_f32_e32 v39, v39, v50
	v_exp_f32_e32 v38, v38
	v_mul_f32_e32 v39, 0x3fb8aa3b, v39
	v_exp_f32_e32 v39, v39
	v_cndmask_b32_e64 v36, 0, v36, s[24:25]
	v_add_f32_e32 v46, 0, v36
	v_cndmask_b32_e64 v37, 0, v37, s[26:27]
	v_add_f32_e32 v47, v46, v37
	v_cndmask_b32_e64 v46, 0, v38, s[28:29]
	v_add_f32_e32 v38, v47, v46
	v_cndmask_b32_e64 v47, 0, v39, s[30:31]
	v_sub_f32_e32 v39, v58, v50
	v_mul_f32_e32 v39, 0x3fb8aa3b, v39
	v_sub_f32_e32 v51, v59, v50
	v_exp_f32_e32 v39, v39
	v_mul_f32_e32 v51, 0x3fb8aa3b, v51
	v_sub_f32_e32 v48, v48, v50
	v_exp_f32_e32 v51, v51
	;; [unrolled: 3-line block ×4, first 2 shown]
	v_mul_f32_e32 v40, 0x3fb8aa3b, v40
	v_sub_f32_e32 v41, v41, v50
	v_add_f32_e32 v52, v38, v47
	v_cndmask_b32_e64 v38, 0, v39, s[34:35]
	v_exp_f32_e32 v40, v40
	v_mul_f32_e32 v41, 0x3fb8aa3b, v41
	v_sub_f32_e32 v44, v44, v50
	v_add_f32_e32 v52, v52, v38
	v_cndmask_b32_e64 v39, 0, v51, s[36:37]
	v_exp_f32_e32 v41, v41
	;; [unrolled: 5-line block ×7, first 2 shown]
	v_mul_f32_e32 v35, 0x3fb8aa3b, v35
	v_add_f32_e32 v51, v51, v44
	v_cndmask_b32_e64 v45, 0, v45, s[12:13]
	v_exp_f32_e32 v35, v35
	v_add_f32_e32 v51, v51, v45
	v_cndmask_b32_e64 v42, 0, v42, s[6:7]
	v_add_f32_e32 v51, v51, v42
	v_cndmask_b32_e64 v43, 0, v43, s[8:9]
	v_add_f32_e32 v51, v51, v43
	v_cndmask_b32_e32 v34, 0, v34, vcc
	v_add_f32_e32 v51, v51, v34
	v_cndmask_b32_e64 v35, 0, v35, s[4:5]
	v_add_f32_e32 v51, v51, v35
	ds_bpermute_b32 v52, v65, v51
	v_cmp_gt_u32_e64 s[4:5], 16, v61
	s_waitcnt lgkmcnt(0)
	s_barrier
	v_add_f32_e32 v51, v51, v52
	ds_bpermute_b32 v52, v64, v51
	s_and_saveexec_b64 s[6:7], s[4:5]
	s_cbranch_execz .LBB1400_13
; %bb.12:
	s_waitcnt lgkmcnt(0)
	v_add_f32_e32 v51, v51, v52
	v_lshlrev_b32_e32 v52, 2, v63
	ds_write2st64_b32 v52, v50, v51 offset1:1
.LBB1400_13:
	s_or_b64 exec, exec, s[6:7]
	v_lshlrev_b32_e32 v51, 2, v56
	s_load_dword s8, s[0:1], 0x94
	s_waitcnt lgkmcnt(0)
	s_barrier
	ds_read2_b32 v[52:53], v51 offset1:16
	ds_read2_b32 v[58:59], v51 offset0:32 offset1:48
	ds_read2_b32 v[62:63], v51 offset0:64 offset1:80
	s_movk_i32 s10, 0x7fff
	s_mul_i32 s9, s23, 13
	s_waitcnt lgkmcnt(2)
	v_max3_f32 v50, v52, s40, v53
	s_waitcnt lgkmcnt(1)
	v_max3_f32 v50, v50, v58, v59
	v_sub_f32_e32 v52, v52, v50
	v_mul_f32_e32 v52, 0x3fb8aa3b, v52
	v_exp_f32_e32 v55, v52
	v_sub_f32_e32 v52, v53, v50
	v_mul_f32_e32 v52, 0x3fb8aa3b, v52
	v_exp_f32_e32 v61, v52
	;; [unrolled: 3-line block ×3, first 2 shown]
	ds_read2_b32 v[52:53], v51 offset0:96 offset1:112
	v_sub_f32_e32 v51, v59, v50
	v_mul_f32_e32 v51, 0x3fb8aa3b, v51
	v_exp_f32_e32 v59, v51
	s_waitcnt lgkmcnt(1)
	v_fma_f32 v51, v55, v62, 0
	v_fmac_f32_e32 v51, v61, v63
	s_waitcnt lgkmcnt(0)
	v_fmac_f32_e32 v51, v58, v52
	v_fmac_f32_e32 v51, v59, v53
	v_add_f32_e32 v52, 0x358637bd, v51
	v_div_scale_f32 v53, s[6:7], v52, v52, 1.0
	v_rcp_f32_e32 v62, v53
	s_barrier
	v_fma_f32 v63, -v53, v62, 1.0
	v_fmac_f32_e32 v62, v63, v62
	v_div_scale_f32 v63, vcc, 1.0, v52, 1.0
	v_mul_f32_e32 v64, v63, v62
	v_fma_f32 v65, -v53, v64, v63
	v_fmac_f32_e32 v64, v65, v62
	v_fma_f32 v53, -v53, v64, v63
	v_div_fmas_f32 v53, v53, v62, v64
	v_cmp_eq_u32_e32 vcc, 1, v57
	v_div_fixup_f32 v52, v53, v52, 1.0
	s_nop 0
	v_cndmask_b32_e32 v53, v55, v61, vcc
	v_cmp_eq_u32_e32 vcc, 2, v57
	s_nop 1
	v_cndmask_b32_e32 v53, v53, v58, vcc
	v_cmp_eq_u32_e32 vcc, 3, v57
	s_nop 1
	v_cndmask_b32_e32 v53, v53, v59, vcc
	v_mul_f32_e32 v52, v53, v52
	v_pk_mul_f32 v[36:37], v[52:53], v[36:37] op_sel_hi:[0,1]
	v_pk_mul_f32 v[46:47], v[52:53], v[46:47] op_sel_hi:[0,1]
	v_bfe_u32 v53, v37, 16, 1
	v_bfe_u32 v55, v36, 16, 1
	v_add3_u32 v36, v36, v55, s10
	v_add3_u32 v37, v37, v53, s10
	v_perm_b32 v58, v37, v36, s33
	v_bfe_u32 v36, v47, 16, 1
	v_bfe_u32 v37, v46, 16, 1
	v_add3_u32 v37, v46, v37, s10
	v_add3_u32 v36, v47, v36, s10
	v_perm_b32 v59, v36, v37, s33
	v_lshlrev_b32_e32 v37, 3, v60
	v_lshlrev_b32_e32 v36, 5, v56
	;; [unrolled: 1-line block ×3, first 2 shown]
	v_pk_mul_f32 v[38:39], v[52:53], v[38:39] op_sel_hi:[0,1]
	v_or3_b32 v55, v46, v36, v37
	v_pk_mul_f32 v[46:47], v[52:53], v[48:49] op_sel_hi:[0,1]
	v_bfe_u32 v37, v39, 16, 1
	v_bfe_u32 v48, v38, 16, 1
	v_add3_u32 v38, v38, v48, s10
	v_add3_u32 v37, v39, v37, s10
	v_perm_b32 v38, v37, v38, s33
	v_bfe_u32 v37, v47, 16, 1
	v_bfe_u32 v39, v46, 16, 1
	v_add3_u32 v39, v46, v39, s10
	v_add3_u32 v37, v47, v37, s10
	v_perm_b32 v39, v37, v39, s33
	v_pk_mul_f32 v[40:41], v[52:53], v[40:41] op_sel_hi:[0,1]
	ds_write2st64_b64 v55, v[58:59], v[38:39] offset1:1
	v_pk_mul_f32 v[38:39], v[52:53], v[44:45] op_sel_hi:[0,1]
	v_bfe_u32 v37, v41, 16, 1
	v_bfe_u32 v44, v40, 16, 1
	v_add3_u32 v40, v40, v44, s10
	v_add3_u32 v37, v41, v37, s10
	v_perm_b32 v40, v37, v40, s33
	v_bfe_u32 v37, v39, 16, 1
	v_bfe_u32 v41, v38, 16, 1
	v_add3_u32 v38, v38, v41, s10
	v_add3_u32 v37, v39, v37, s10
	v_perm_b32 v41, v37, v38, s33
	v_pk_mul_f32 v[38:39], v[52:53], v[42:43] op_sel_hi:[0,1]
	v_bfe_u32 v37, v39, 16, 1
	v_bfe_u32 v42, v38, 16, 1
	v_pk_mul_f32 v[34:35], v[52:53], v[34:35] op_sel_hi:[0,1]
	v_add3_u32 v38, v38, v42, s10
	v_add3_u32 v37, v39, v37, s10
	v_perm_b32 v38, v37, v38, s33
	v_bfe_u32 v37, v35, 16, 1
	v_bfe_u32 v39, v34, 16, 1
	v_add3_u32 v34, v34, v39, s10
	v_add3_u32 v35, v35, v37, s10
	v_perm_b32 v39, v35, v34, s33
	v_cmp_gt_u32_e32 vcc, 13, v0
	ds_write2st64_b64 v55, v[40:41], v[38:39] offset0:2 offset1:3
	s_and_saveexec_b64 s[6:7], vcc
	s_cbranch_execz .LBB1400_15
; %bb.14:
	s_mov_b32 s49, 0
	v_mov_b32_e32 v57, 0
	v_lshl_add_u64 v[34:35], s[48:49], 0, v[56:57]
	v_mov_b32_e32 v37, s9
	v_mad_u64_u32 v[34:35], s[16:17], s2, v37, v[34:35]
	s_mul_i32 s3, s3, s9
	v_mov_b32_e32 v38, s22
	v_mov_b32_e32 v39, v57
	s_load_dwordx4 s[12:15], s[0:1], 0x58
	v_add_u32_e32 v37, s3, v35
	v_mad_u64_u32 v[34:35], s[16:17], v34, s8, v[38:39]
	v_mov_b32_e32 v38, v35
	v_mad_u64_u32 v[38:39], s[16:17], v37, s8, v[38:39]
	v_mov_b32_e32 v35, v38
	v_lshlrev_b64 v[34:35], 2, v[34:35]
	s_waitcnt lgkmcnt(0)
	v_lshl_add_u64 v[38:39], s[14:15], 0, v[34:35]
	v_lshl_add_u64 v[34:35], s[12:13], 0, v[34:35]
	global_store_dword v[38:39], v50, off
	global_store_dword v[34:35], v51, off
.LBB1400_15:
	s_or_b64 exec, exec, s[6:7]
	v_lshl_or_b32 v50, v60, 9, v36
	s_waitcnt vmcnt(7)
	v_cvt_pk_f32_fp8_e32 v[34:35], v30
	v_cvt_pk_f32_fp8_sdwa v[36:37], v30 src0_sel:WORD_1
	s_mov_b32 s7, 0x7060302
	s_waitcnt lgkmcnt(0)
	s_barrier
	v_cvt_pk_f32_fp8_e32 v[38:39], v31
	v_perm_b32 v30, v35, v34, s7
	v_cvt_pk_f32_fp8_sdwa v[40:41], v31 src0_sel:WORD_1
	v_perm_b32 v31, v37, v36, s7
	ds_read_b128 v[34:37], v50
	v_perm_b32 v46, v39, v38, s7
	v_perm_b32 v47, v41, v40, s7
	ds_read_b128 v[38:41], v50 offset:16
	v_cvt_pk_f32_fp8_e32 v[48:49], v32
	v_cvt_pk_f32_fp8_sdwa v[52:53], v32 src0_sel:WORD_1
	s_waitcnt lgkmcnt(1)
	v_mfma_f32_16x16x16_bf16 v[42:45], v[30:31], v[34:35], 0
	s_waitcnt vmcnt(6)
	v_cvt_pk_f32_fp8_e32 v[58:59], v24
	v_perm_b32 v30, v49, v48, s7
	v_perm_b32 v31, v53, v52, s7
	v_cvt_pk_f32_fp8_e32 v[48:49], v33
	v_mfma_f32_16x16x16_bf16 v[42:45], v[46:47], v[36:37], v[42:45]
	v_cvt_pk_f32_fp8_sdwa v[46:47], v33 src0_sel:WORD_1
	v_cvt_pk_f32_fp8_sdwa v[62:63], v24 src0_sel:WORD_1
	v_perm_b32 v48, v49, v48, s7
	s_waitcnt lgkmcnt(0)
	v_mfma_f32_16x16x16_bf16 v[30:33], v[30:31], v[38:39], v[42:45]
	v_perm_b32 v49, v47, v46, s7
	s_waitcnt vmcnt(5)
	v_cvt_pk_f32_fp8_sdwa v[66:67], v12 src0_sel:WORD_1
	s_waitcnt vmcnt(4)
	v_cvt_pk_f32_fp8_sdwa v[68:69], v4 src0_sel:WORD_1
	v_cvt_pk_f32_fp8_e32 v[42:43], v22
	v_mfma_f32_16x16x16_bf16 v[46:49], v[48:49], v[40:41], v[30:33]
	s_load_dword s6, s[42:43], 0x0
	s_waitcnt vmcnt(3)
	v_cvt_pk_f32_fp8_sdwa v[70:71], v28 src0_sel:WORD_1
	v_cvt_pk_f32_fp8_sdwa v[30:31], v22 src0_sel:WORD_1
	v_cvt_pk_f32_fp8_e32 v[32:33], v23
	v_perm_b32 v22, v43, v42, s7
	v_cvt_pk_f32_fp8_sdwa v[42:43], v23 src0_sel:WORD_1
	v_perm_b32 v23, v31, v30, s7
	v_perm_b32 v52, v33, v32, s7
	ds_read_b128 v[30:33], v50 offset:2048
	v_perm_b32 v53, v43, v42, s7
	ds_read_b128 v[42:45], v50 offset:2064
	s_waitcnt lgkmcnt(0)
	v_mfma_f32_16x16x16_bf16 v[46:49], v[22:23], v[30:31], v[46:49]
	v_perm_b32 v22, v59, v58, s7
	v_perm_b32 v23, v63, v62, s7
	v_cvt_pk_f32_fp8_e32 v[58:59], v25
	v_mfma_f32_16x16x16_bf16 v[46:49], v[52:53], v[32:33], v[46:49]
	v_cvt_pk_f32_fp8_sdwa v[52:53], v25 src0_sel:WORD_1
	s_mov_b32 s3, 0
	v_perm_b32 v58, v59, v58, s7
	v_mfma_f32_16x16x16_bf16 v[22:25], v[22:23], v[42:43], v[46:49]
	v_perm_b32 v59, v53, v52, s7
	v_cmp_gt_u32_e32 vcc, 64, v0
	s_nop 0
	v_cvt_pk_f32_fp8_e32 v[46:47], v10
	v_mfma_f32_16x16x16_bf16 v[62:65], v[58:59], v[44:45], v[22:25]
	v_cvt_pk_f32_fp8_e32 v[58:59], v12
	s_nop 1
	v_cvt_pk_f32_fp8_sdwa v[22:23], v10 src0_sel:WORD_1
	v_cvt_pk_f32_fp8_e32 v[24:25], v11
	v_perm_b32 v10, v47, v46, s7
	v_cvt_pk_f32_fp8_sdwa v[46:47], v11 src0_sel:WORD_1
	v_perm_b32 v11, v23, v22, s7
	v_perm_b32 v52, v25, v24, s7
	ds_read_b128 v[22:25], v50 offset:4096
	v_perm_b32 v53, v47, v46, s7
	ds_read_b128 v[46:49], v50 offset:4112
	s_waitcnt lgkmcnt(1)
	v_mfma_f32_16x16x16_bf16 v[62:65], v[10:11], v[22:23], v[62:65]
	v_perm_b32 v10, v59, v58, s7
	v_perm_b32 v11, v67, v66, s7
	v_cvt_pk_f32_fp8_e32 v[58:59], v13
	v_mfma_f32_16x16x16_bf16 v[62:65], v[52:53], v[24:25], v[62:65]
	v_cvt_pk_f32_fp8_sdwa v[52:53], v13 src0_sel:WORD_1
	v_cvt_pk_f32_fp8_e32 v[66:67], v4
	v_perm_b32 v58, v59, v58, s7
	s_waitcnt lgkmcnt(0)
	v_mfma_f32_16x16x16_bf16 v[10:13], v[10:11], v[46:47], v[62:65]
	v_perm_b32 v59, v53, v52, s7
	v_cvt_pk_f32_fp8_e32 v[52:53], v2
	s_nop 0
	v_mfma_f32_16x16x16_bf16 v[62:65], v[58:59], v[48:49], v[10:13]
	s_nop 2
	v_cvt_pk_f32_fp8_sdwa v[10:11], v2 src0_sel:WORD_1
	v_cvt_pk_f32_fp8_e32 v[12:13], v3
	v_perm_b32 v2, v53, v52, s7
	v_cvt_pk_f32_fp8_sdwa v[52:53], v3 src0_sel:WORD_1
	v_perm_b32 v3, v11, v10, s7
	v_perm_b32 v58, v13, v12, s7
	ds_read_b128 v[10:13], v50 offset:6144
	v_perm_b32 v59, v53, v52, s7
	s_waitcnt lgkmcnt(0)
	v_mfma_f32_16x16x16_bf16 v[62:65], v[2:3], v[10:11], v[62:65]
	ds_read_b128 v[50:53], v50 offset:6160
	v_perm_b32 v2, v67, v66, s7
	v_perm_b32 v3, v69, v68, s7
	v_cvt_pk_f32_fp8_e32 v[66:67], v5
	v_mfma_f32_16x16x16_bf16 v[62:65], v[58:59], v[12:13], v[62:65]
	v_cvt_pk_f32_fp8_sdwa v[58:59], v5 src0_sel:WORD_1
	v_cvt_pk_f32_fp8_e32 v[68:69], v28
	v_perm_b32 v66, v67, v66, s7
	s_waitcnt lgkmcnt(0)
	v_mfma_f32_16x16x16_bf16 v[2:5], v[2:3], v[50:51], v[62:65]
	v_perm_b32 v67, v59, v58, s7
	v_cvt_pk_f32_fp8_sdwa v[58:59], v26 src0_sel:WORD_1
	s_nop 0
	v_mfma_f32_16x16x16_bf16 v[62:65], v[66:67], v[52:53], v[2:5]
	s_barrier
	s_nop 1
	v_cvt_pk_f32_fp8_e32 v[4:5], v26
	s_nop 2
	v_pk_mul_f32 v[66:67], v[62:63], s[6:7] op_sel_hi:[1,0]
	v_cvt_pk_f32_fp8_e32 v[62:63], v27
	v_perm_b32 v4, v5, v4, s7
	v_perm_b32 v5, v59, v58, s7
	v_cvt_pk_f32_fp8_sdwa v[26:27], v27 src0_sel:WORD_1
	v_perm_b32 v58, v63, v62, s7
	v_pk_mul_f32 v[2:3], v[64:65], s[6:7] op_sel_hi:[1,0]
	v_mfma_f32_16x16x16_bf16 v[62:65], v[4:5], v[34:35], 0
	v_perm_b32 v59, v27, v26, s7
	v_perm_b32 v4, v69, v68, s7
	;; [unrolled: 1-line block ×3, first 2 shown]
	v_cvt_pk_f32_fp8_e32 v[34:35], v29
	v_cvt_pk_f32_fp8_sdwa v[68:69], v29 src0_sel:WORD_1
	v_mfma_f32_16x16x16_bf16 v[26:29], v[58:59], v[36:37], v[62:65]
	s_waitcnt vmcnt(2)
	v_cvt_pk_f32_fp8_sdwa v[36:37], v18 src0_sel:WORD_1
	v_perm_b32 v34, v35, v34, s7
	v_perm_b32 v35, v69, v68, s7
	v_mfma_f32_16x16x16_bf16 v[26:29], v[4:5], v[38:39], v[26:29]
	v_cvt_pk_f32_fp8_e32 v[4:5], v18
	v_cvt_pk_f32_fp8_sdwa v[38:39], v20 src0_sel:WORD_1
	v_bfe_u32 v57, v67, 16, 1
	v_mfma_f32_16x16x16_bf16 v[26:29], v[34:35], v[40:41], v[26:29]
	v_cvt_pk_f32_fp8_e32 v[34:35], v19
	v_perm_b32 v4, v5, v4, s7
	v_perm_b32 v5, v37, v36, s7
	v_cvt_pk_f32_fp8_sdwa v[18:19], v19 src0_sel:WORD_1
	v_perm_b32 v34, v35, v34, s7
	v_cvt_pk_f32_fp8_e32 v[36:37], v20
	v_mfma_f32_16x16x16_bf16 v[26:29], v[4:5], v[30:31], v[26:29]
	v_perm_b32 v35, v19, v18, s7
	v_perm_b32 v4, v37, v36, s7
	;; [unrolled: 1-line block ×3, first 2 shown]
	v_cvt_pk_f32_fp8_e32 v[30:31], v21
	v_cvt_pk_f32_fp8_sdwa v[36:37], v21 src0_sel:WORD_1
	v_mfma_f32_16x16x16_bf16 v[18:21], v[34:35], v[32:33], v[26:29]
	v_bfe_u32 v58, v66, 16, 1
	v_add3_u32 v32, v66, v58, s10
	v_add3_u32 v33, v67, v57, s10
	v_perm_b32 v26, v31, v30, s7
	v_perm_b32 v27, v37, v36, s7
	v_mfma_f32_16x16x16_bf16 v[18:21], v[4:5], v[42:43], v[18:21]
	s_waitcnt vmcnt(1)
	v_cvt_pk_f32_fp8_e32 v[4:5], v14
	v_cvt_pk_f32_fp8_sdwa v[28:29], v14 src0_sel:WORD_1
	v_cvt_pk_f32_fp8_sdwa v[30:31], v16 src0_sel:WORD_1
	v_mfma_f32_16x16x16_bf16 v[18:21], v[26:27], v[44:45], v[18:21]
	v_cvt_pk_f32_fp8_e32 v[26:27], v15
	v_perm_b32 v4, v5, v4, s7
	v_perm_b32 v5, v29, v28, s7
	v_cvt_pk_f32_fp8_sdwa v[14:15], v15 src0_sel:WORD_1
	v_perm_b32 v26, v27, v26, s7
	v_cvt_pk_f32_fp8_e32 v[28:29], v16
	v_mfma_f32_16x16x16_bf16 v[18:21], v[4:5], v[22:23], v[18:21]
	v_perm_b32 v27, v15, v14, s7
	v_perm_b32 v4, v29, v28, s7
	v_perm_b32 v5, v31, v30, s7
	v_cvt_pk_f32_fp8_e32 v[22:23], v17
	v_cvt_pk_f32_fp8_sdwa v[28:29], v17 src0_sel:WORD_1
	v_mfma_f32_16x16x16_bf16 v[14:17], v[26:27], v[24:25], v[18:21]
	s_waitcnt vmcnt(0)
	v_cvt_pk_f32_fp8_sdwa v[24:25], v8 src0_sel:WORD_1
	s_nop 0
	v_perm_b32 v20, v23, v22, s7
	v_perm_b32 v21, v29, v28, s7
	v_mfma_f32_16x16x16_bf16 v[14:17], v[4:5], v[46:47], v[14:17]
	v_cvt_pk_f32_fp8_e32 v[4:5], v6
	v_cvt_pk_f32_fp8_sdwa v[22:23], v6 src0_sel:WORD_1
	v_bfe_u32 v19, v3, 16, 1
	v_mfma_f32_16x16x16_bf16 v[14:17], v[20:21], v[48:49], v[14:17]
	v_cvt_pk_f32_fp8_e32 v[20:21], v7
	v_perm_b32 v4, v5, v4, s7
	v_perm_b32 v5, v23, v22, s7
	v_cvt_pk_f32_fp8_sdwa v[6:7], v7 src0_sel:WORD_1
	v_perm_b32 v20, v21, v20, s7
	v_cvt_pk_f32_fp8_e32 v[22:23], v8
	v_add3_u32 v3, v3, v19, s10
	v_perm_b32 v21, v7, v6, s7
	v_mfma_f32_16x16x16_bf16 v[4:7], v[4:5], v[10:11], v[14:17]
	v_perm_b32 v10, v23, v22, s7
	v_perm_b32 v11, v25, v24, s7
	;; [unrolled: 1-line block ×3, first 2 shown]
	v_cvt_pk_f32_fp8_e32 v[14:15], v9
	v_cvt_pk_f32_fp8_sdwa v[8:9], v9 src0_sel:WORD_1
	v_mfma_f32_16x16x16_bf16 v[4:7], v[20:21], v[12:13], v[4:7]
	v_bfe_u32 v16, v2, 16, 1
	v_perm_b32 v12, v15, v14, s7
	v_perm_b32 v13, v9, v8, s7
	v_mfma_f32_16x16x16_bf16 v[4:7], v[10:11], v[50:51], v[4:7]
	v_add3_u32 v2, v2, v16, s10
	v_perm_b32 v19, v3, v2, s7
	v_mfma_f32_16x16x16_bf16 v[2:5], v[12:13], v[52:53], v[4:7]
	s_nop 6
	v_pk_mul_f32 v[2:3], v[2:3], s[6:7] op_sel_hi:[1,0]
	v_pk_mul_f32 v[4:5], v[4:5], s[6:7] op_sel_hi:[1,0]
	v_bfe_u32 v6, v3, 16, 1
	v_bfe_u32 v7, v2, 16, 1
	v_add3_u32 v2, v2, v7, s10
	v_add3_u32 v3, v3, v6, s10
	v_perm_b32 v2, v3, v2, s7
	v_bfe_u32 v3, v5, 16, 1
	v_bfe_u32 v6, v4, 16, 1
	v_add3_u32 v4, v4, v6, s10
	v_add3_u32 v3, v5, v3, s10
	v_perm_b32 v3, v3, v4, s7
	ds_write2st64_b64 v55, v[18:19], v[2:3] offset1:1
	s_waitcnt lgkmcnt(0)
	s_barrier
	s_and_saveexec_b64 s[6:7], vcc
	s_cbranch_execz .LBB1400_18
; %bb.16:
	s_load_dwordx2 s[6:7], s[0:1], 0x68
	s_lshl_b32 s0, s8, 7
	s_mul_i32 s1, s9, s2
	v_lshlrev_b32_e32 v3, 6, v56
	s_mul_hi_u32 s9, s1, s0
	s_mul_i32 s8, s1, s0
	v_lshl_or_b32 v0, v0, 10, v3
	s_lshl_b64 s[8:9], s[8:9], 1
	v_lshlrev_b32_e32 v2, 5, v60
	v_and_b32_e32 v1, 16, v1
	v_and_b32_e32 v0, 0x1a00, v0
	s_waitcnt lgkmcnt(0)
	s_add_u32 s1, s6, s8
	v_or3_b32 v2, v0, v2, v1
	s_addc_u32 s6, s7, s9
	s_lshl_b32 s2, s22, 7
	ds_read_b128 v[4:7], v2 offset:256
	s_lshl_b64 s[2:3], s[2:3], 1
	ds_read_b128 v[8:11], v2 offset:128
	ds_read_b128 v[12:15], v2
	s_add_u32 s2, s1, s2
	s_addc_u32 s3, s6, s3
	v_mov_b32_e32 v55, 0
	v_add_u32_e32 v3, s48, v60
	v_lshl_add_u64 v[0:1], s[2:3], 0, v[54:55]
	v_mad_u64_u32 v[16:17], s[2:3], v3, s0, 0
	v_lshl_add_u64 v[16:17], v[16:17], 1, v[0:1]
	s_waitcnt lgkmcnt(0)
	global_store_dwordx4 v[16:17], v[12:15], off
	s_nop 1
	v_add_u32_e32 v12, 4, v3
	v_mad_u64_u32 v[12:13], s[2:3], v12, s0, 0
	v_lshl_add_u64 v[12:13], v[12:13], 1, v[0:1]
	v_add_u32_e32 v3, 8, v3
	global_store_dwordx4 v[12:13], v[8:11], off
	s_nop 1
	v_mad_u64_u32 v[8:9], s[2:3], v3, s0, 0
	v_lshl_add_u64 v[8:9], v[8:9], 1, v[0:1]
	global_store_dwordx4 v[8:9], v[4:7], off
	s_and_b64 exec, exec, s[4:5]
	s_cbranch_execz .LBB1400_18
; %bb.17:
	ds_read_b128 v[2:5], v2 offset:384
	v_add3_u32 v6, s48, v60, 12
	v_mad_u64_u32 v[6:7], s[0:1], v6, s0, 0
	v_lshl_add_u64 v[0:1], v[6:7], 1, v[0:1]
	s_waitcnt lgkmcnt(0)
	global_store_dwordx4 v[0:1], v[2:5], off
.LBB1400_18:
	s_endpgm
	.section	.rodata,"a",@progbits
	.p2align	6, 0x0
	.amdhsa_kernel _Z39paged_attention_ll4mi_QKV_mfma16_kernelI14__hip_bfloat16hLN4vllm18Fp8KVCacheDataTypeE1ES0_Li32ELi128ELi256ELb0ELi13EEvPKT_PKT0_S8_ifPKiSA_SA_iPKfiiiPfSD_PS3_PT2_iSC_SC_
		.amdhsa_group_segment_fixed_size 8192
		.amdhsa_private_segment_fixed_size 0
		.amdhsa_kernarg_size 400
		.amdhsa_user_sgpr_count 2
		.amdhsa_user_sgpr_dispatch_ptr 0
		.amdhsa_user_sgpr_queue_ptr 0
		.amdhsa_user_sgpr_kernarg_segment_ptr 1
		.amdhsa_user_sgpr_dispatch_id 0
		.amdhsa_user_sgpr_kernarg_preload_length 0
		.amdhsa_user_sgpr_kernarg_preload_offset 0
		.amdhsa_user_sgpr_private_segment_size 0
		.amdhsa_uses_dynamic_stack 0
		.amdhsa_enable_private_segment 0
		.amdhsa_system_sgpr_workgroup_id_x 1
		.amdhsa_system_sgpr_workgroup_id_y 1
		.amdhsa_system_sgpr_workgroup_id_z 1
		.amdhsa_system_sgpr_workgroup_info 0
		.amdhsa_system_vgpr_workitem_id 0
		.amdhsa_next_free_vgpr 82
		.amdhsa_next_free_sgpr 50
		.amdhsa_accum_offset 84
		.amdhsa_reserve_vcc 1
		.amdhsa_float_round_mode_32 0
		.amdhsa_float_round_mode_16_64 0
		.amdhsa_float_denorm_mode_32 3
		.amdhsa_float_denorm_mode_16_64 3
		.amdhsa_dx10_clamp 1
		.amdhsa_ieee_mode 1
		.amdhsa_fp16_overflow 0
		.amdhsa_tg_split 0
		.amdhsa_exception_fp_ieee_invalid_op 0
		.amdhsa_exception_fp_denorm_src 0
		.amdhsa_exception_fp_ieee_div_zero 0
		.amdhsa_exception_fp_ieee_overflow 0
		.amdhsa_exception_fp_ieee_underflow 0
		.amdhsa_exception_fp_ieee_inexact 0
		.amdhsa_exception_int_div_zero 0
	.end_amdhsa_kernel
	.section	.text._Z39paged_attention_ll4mi_QKV_mfma16_kernelI14__hip_bfloat16hLN4vllm18Fp8KVCacheDataTypeE1ES0_Li32ELi128ELi256ELb0ELi13EEvPKT_PKT0_S8_ifPKiSA_SA_iPKfiiiPfSD_PS3_PT2_iSC_SC_,"axG",@progbits,_Z39paged_attention_ll4mi_QKV_mfma16_kernelI14__hip_bfloat16hLN4vllm18Fp8KVCacheDataTypeE1ES0_Li32ELi128ELi256ELb0ELi13EEvPKT_PKT0_S8_ifPKiSA_SA_iPKfiiiPfSD_PS3_PT2_iSC_SC_,comdat
.Lfunc_end1400:
	.size	_Z39paged_attention_ll4mi_QKV_mfma16_kernelI14__hip_bfloat16hLN4vllm18Fp8KVCacheDataTypeE1ES0_Li32ELi128ELi256ELb0ELi13EEvPKT_PKT0_S8_ifPKiSA_SA_iPKfiiiPfSD_PS3_PT2_iSC_SC_, .Lfunc_end1400-_Z39paged_attention_ll4mi_QKV_mfma16_kernelI14__hip_bfloat16hLN4vllm18Fp8KVCacheDataTypeE1ES0_Li32ELi128ELi256ELb0ELi13EEvPKT_PKT0_S8_ifPKiSA_SA_iPKfiiiPfSD_PS3_PT2_iSC_SC_
                                        ; -- End function
	.section	.AMDGPU.csdata,"",@progbits
; Kernel info:
; codeLenInByte = 6456
; NumSgprs: 56
; NumVgprs: 82
; NumAgprs: 0
; TotalNumVgprs: 82
; ScratchSize: 0
; MemoryBound: 0
; FloatMode: 240
; IeeeMode: 1
; LDSByteSize: 8192 bytes/workgroup (compile time only)
; SGPRBlocks: 6
; VGPRBlocks: 10
; NumSGPRsForWavesPerEU: 56
; NumVGPRsForWavesPerEU: 82
; AccumOffset: 84
; Occupancy: 5
; WaveLimiterHint : 1
; COMPUTE_PGM_RSRC2:SCRATCH_EN: 0
; COMPUTE_PGM_RSRC2:USER_SGPR: 2
; COMPUTE_PGM_RSRC2:TRAP_HANDLER: 0
; COMPUTE_PGM_RSRC2:TGID_X_EN: 1
; COMPUTE_PGM_RSRC2:TGID_Y_EN: 1
; COMPUTE_PGM_RSRC2:TGID_Z_EN: 1
; COMPUTE_PGM_RSRC2:TIDIG_COMP_CNT: 0
; COMPUTE_PGM_RSRC3_GFX90A:ACCUM_OFFSET: 20
; COMPUTE_PGM_RSRC3_GFX90A:TG_SPLIT: 0
	.section	.text._Z39paged_attention_ll4mi_QKV_mfma16_kernelI14__hip_bfloat16hLN4vllm18Fp8KVCacheDataTypeE1ES0_Li32ELi128ELi256ELb0ELi14EEvPKT_PKT0_S8_ifPKiSA_SA_iPKfiiiPfSD_PS3_PT2_iSC_SC_,"axG",@progbits,_Z39paged_attention_ll4mi_QKV_mfma16_kernelI14__hip_bfloat16hLN4vllm18Fp8KVCacheDataTypeE1ES0_Li32ELi128ELi256ELb0ELi14EEvPKT_PKT0_S8_ifPKiSA_SA_iPKfiiiPfSD_PS3_PT2_iSC_SC_,comdat
	.protected	_Z39paged_attention_ll4mi_QKV_mfma16_kernelI14__hip_bfloat16hLN4vllm18Fp8KVCacheDataTypeE1ES0_Li32ELi128ELi256ELb0ELi14EEvPKT_PKT0_S8_ifPKiSA_SA_iPKfiiiPfSD_PS3_PT2_iSC_SC_ ; -- Begin function _Z39paged_attention_ll4mi_QKV_mfma16_kernelI14__hip_bfloat16hLN4vllm18Fp8KVCacheDataTypeE1ES0_Li32ELi128ELi256ELb0ELi14EEvPKT_PKT0_S8_ifPKiSA_SA_iPKfiiiPfSD_PS3_PT2_iSC_SC_
	.globl	_Z39paged_attention_ll4mi_QKV_mfma16_kernelI14__hip_bfloat16hLN4vllm18Fp8KVCacheDataTypeE1ES0_Li32ELi128ELi256ELb0ELi14EEvPKT_PKT0_S8_ifPKiSA_SA_iPKfiiiPfSD_PS3_PT2_iSC_SC_
	.p2align	8
	.type	_Z39paged_attention_ll4mi_QKV_mfma16_kernelI14__hip_bfloat16hLN4vllm18Fp8KVCacheDataTypeE1ES0_Li32ELi128ELi256ELb0ELi14EEvPKT_PKT0_S8_ifPKiSA_SA_iPKfiiiPfSD_PS3_PT2_iSC_SC_,@function
_Z39paged_attention_ll4mi_QKV_mfma16_kernelI14__hip_bfloat16hLN4vllm18Fp8KVCacheDataTypeE1ES0_Li32ELi128ELi256ELb0ELi14EEvPKT_PKT0_S8_ifPKiSA_SA_iPKfiiiPfSD_PS3_PT2_iSC_SC_: ; @_Z39paged_attention_ll4mi_QKV_mfma16_kernelI14__hip_bfloat16hLN4vllm18Fp8KVCacheDataTypeE1ES0_Li32ELi128ELi256ELb0ELi14EEvPKT_PKT0_S8_ifPKiSA_SA_iPKfiiiPfSD_PS3_PT2_iSC_SC_
; %bb.0:
	s_load_dwordx2 s[12:13], s[0:1], 0x30
	s_mov_b32 s22, s3
	s_mov_b64 s[6:7], 0
	s_waitcnt lgkmcnt(0)
	s_cmp_lg_u64 s[12:13], 0
	s_cselect_b64 s[14:15], -1, 0
	s_and_b64 vcc, exec, s[14:15]
	s_cbranch_vccz .LBB1401_7
; %bb.1:
	s_add_i32 s8, s2, 1
	s_mov_b32 s9, 0
	s_lshl_b64 s[10:11], s[8:9], 2
	s_add_u32 s10, s12, s10
	s_mov_b32 s3, s9
	s_addc_u32 s11, s13, s11
	s_lshl_b64 s[8:9], s[2:3], 2
	s_add_u32 s8, s12, s8
	s_addc_u32 s9, s13, s9
	s_load_dword s5, s[10:11], 0x0
	s_load_dword s16, s[8:9], 0x0
	s_waitcnt lgkmcnt(0)
	s_sub_i32 s5, s5, s16
	s_cmp_eq_u32 s5, 1
	s_cselect_b64 s[8:9], -1, 0
	s_andn2_b64 vcc, exec, s[6:7]
	s_cbranch_vccnz .LBB1401_3
.LBB1401_2:
	s_mov_b32 s3, 0
	s_mov_b64 s[8:9], -1
.LBB1401_3:
	s_andn2_b64 vcc, exec, s[8:9]
	s_cbranch_vccnz .LBB1401_18
; %bb.4:
	s_load_dwordx2 s[6:7], s[0:1], 0x28
	s_lshl_b64 s[16:17], s[2:3], 2
	s_waitcnt lgkmcnt(0)
	s_add_u32 s6, s6, s16
	s_addc_u32 s7, s7, s17
	s_load_dword s5, s[6:7], 0x0
	s_lshl_b32 s18, s22, 8
	s_waitcnt lgkmcnt(0)
	s_cmp_ge_i32 s18, s5
	s_cbranch_scc1 .LBB1401_18
; %bb.5:
	s_load_dwordx2 s[6:7], s[0:1], 0x20
	s_load_dword s8, s[0:1], 0x38
	s_add_i32 s9, s5, 31
	s_ashr_i32 s10, s9, 31
	v_and_b32_e32 v1, 0xcf, v0
	s_lshr_b32 s10, s10, 27
	v_add_u32_e32 v1, s18, v1
	s_add_i32 s9, s9, s10
	v_ashrrev_i32_e32 v2, 31, v1
	s_ashr_i32 s19, s9, 5
	v_lshrrev_b32_e32 v8, 27, v2
	s_add_i32 s19, s19, -1
	s_waitcnt lgkmcnt(0)
	s_mul_i32 s8, s2, s8
	s_mov_b32 s9, 0
	v_add_u32_e32 v2, v1, v8
	s_lshl_b64 s[8:9], s[8:9], 2
	v_ashrrev_i32_e32 v2, 5, v2
	v_mov_b32_e32 v9, s19
	v_cmp_gt_i32_e32 vcc, s5, v1
	s_add_u32 s6, s6, s8
	s_addc_u32 s7, s7, s9
	v_cndmask_b32_e32 v2, v9, v2, vcc
	v_ashrrev_i32_e32 v3, 31, v2
	v_lshl_add_u64 v[4:5], v[2:3], 2, s[6:7]
	v_or_b32_e32 v2, 16, v1
	v_add_u32_e32 v3, v2, v8
	v_ashrrev_i32_e32 v3, 5, v3
	v_cmp_gt_i32_e32 vcc, s5, v2
	s_load_dwordx4 s[8:11], s[0:1], 0x8
	s_nop 0
	v_cndmask_b32_e32 v2, v9, v3, vcc
	v_ashrrev_i32_e32 v3, 31, v2
	v_lshl_add_u64 v[6:7], v[2:3], 2, s[6:7]
	v_or_b32_e32 v2, 32, v1
	v_add_u32_e32 v3, v2, v8
	v_ashrrev_i32_e32 v3, 5, v3
	v_cmp_gt_i32_e32 vcc, s5, v2
	v_or_b32_e32 v1, 48, v1
	s_nop 0
	v_cndmask_b32_e32 v2, v9, v3, vcc
	v_ashrrev_i32_e32 v3, 31, v2
	v_lshl_add_u64 v[10:11], v[2:3], 2, s[6:7]
	v_add_u32_e32 v2, v1, v8
	v_ashrrev_i32_e32 v2, 5, v2
	v_cmp_gt_i32_e32 vcc, s5, v1
	s_nop 1
	v_cndmask_b32_e32 v2, v9, v2, vcc
	v_ashrrev_i32_e32 v3, 31, v2
	v_lshl_add_u64 v[12:13], v[2:3], 2, s[6:7]
	global_load_dword v2, v[4:5], off
	global_load_dword v8, v[6:7], off
	;; [unrolled: 1-line block ×4, first 2 shown]
	s_andn2_b64 vcc, exec, s[14:15]
	s_cbranch_vccnz .LBB1401_8
; %bb.6:
	s_add_u32 s12, s12, s16
	s_addc_u32 s13, s13, s17
	s_load_dword s14, s[12:13], 0x0
	s_branch .LBB1401_9
.LBB1401_7:
	s_mov_b64 s[8:9], 0
	s_branch .LBB1401_2
.LBB1401_8:
	s_mov_b32 s14, s2
.LBB1401_9:
	s_load_dwordx4 s[44:47], s[0:1], 0x48
	v_lshrrev_b32_e32 v57, 6, v0
	v_bfe_u32 v60, v0, 4, 2
	v_and_b32_e32 v56, 15, v0
	v_lshl_or_b32 v3, v57, 2, v60
	v_lshlrev_b32_e32 v1, 3, v56
	v_and_b32_e32 v61, 63, v0
	s_mul_i32 s48, s4, 14
	v_cmp_gt_u32_e32 vcc, 14, v3
	v_lshlrev_b32_e32 v54, 1, v1
	v_lshlrev_b32_e32 v1, 4, v0
	s_and_saveexec_b64 s[12:13], vcc
	s_cbranch_execz .LBB1401_11
; %bb.10:
	s_load_dwordx2 s[16:17], s[0:1], 0x0
	s_waitcnt lgkmcnt(0)
	s_ashr_i32 s15, s44, 31
	s_mul_hi_u32 s20, s14, s44
	s_mul_i32 s15, s14, s15
	s_add_i32 s15, s20, s15
	s_mul_i32 s14, s14, s44
	s_lshl_b64 s[14:15], s[14:15], 1
	s_add_u32 s14, s16, s14
	v_add_lshl_u32 v4, v3, s48, 7
	s_addc_u32 s15, s17, s15
	v_ashrrev_i32_e32 v5, 31, v4
	v_lshl_add_u64 v[4:5], v[4:5], 1, s[14:15]
	v_mov_b32_e32 v55, 0
	v_lshl_add_u64 v[4:5], v[4:5], 0, v[54:55]
	global_load_dwordx4 v[4:7], v[4:5], off
	v_lshlrev_b32_e32 v10, 8, v0
	v_lshlrev_b32_e32 v9, 8, v56
	v_and_b32_e32 v10, 0x600, v10
	s_movk_i32 s14, 0x800
	v_and_or_b32 v9, v9, s14, v10
	v_lshlrev_b32_e32 v3, 5, v3
	v_and_b32_e32 v10, 16, v1
	v_or3_b32 v3, v9, v3, v10
	s_waitcnt vmcnt(0)
	ds_write_b128 v3, v[4:7]
.LBB1401_11:
	s_or_b64 exec, exec, s[12:13]
	s_waitcnt lgkmcnt(0)
	s_mul_i32 s12, s4, s46
	s_add_u32 s8, s8, s12
	s_addc_u32 s9, s9, 0
	v_mov_b32_e32 v51, 0
	v_mov_b64_e32 v[12:13], s[8:9]
	v_and_b32_e32 v9, 48, v0
	s_waitcnt vmcnt(3)
	v_mad_i64_i32 v[2:3], s[8:9], v2, s45, v[12:13]
	v_lshlrev_b32_e32 v10, 4, v56
	v_mov_b32_e32 v11, v51
	v_lshlrev_b32_e32 v50, 5, v9
	v_lshl_add_u64 v[2:3], v[2:3], 0, v[10:11]
	v_lshl_add_u64 v[6:7], v[2:3], 0, v[50:51]
	s_load_dword s23, s[0:1], 0x98
	s_load_dwordx4 s[40:43], s[0:1], 0x80
	s_waitcnt lgkmcnt(0)
	s_barrier
	global_load_dwordx4 v[2:5], v[6:7], off
	global_load_dwordx4 v[42:45], v[6:7], off offset:2048
	v_add_u32_e32 v14, -14, v56
	v_cmp_gt_u32_e32 vcc, 14, v56
	s_ashr_i32 s8, s18, 31
	v_or_b32_e32 v24, 0x100, v10
	v_cndmask_b32_e32 v6, v14, v56, vcc
	v_mov_b32_e32 v25, v51
	s_lshr_b32 s13, s8, 27
	s_waitcnt vmcnt(4)
	v_mad_i64_i32 v[30:31], s[8:9], v8, s45, v[12:13]
	v_lshlrev_b32_e32 v6, 5, v6
	v_lshl_add_u64 v[30:31], v[30:31], 0, v[24:25]
	v_lshl_add_u32 v6, v60, 9, v6
	v_lshl_add_u64 v[30:31], v[30:31], 0, v[50:51]
	v_or_b32_e32 v37, s18, v9
	ds_read_b128 v[26:29], v6
	ds_read_b128 v[18:21], v6 offset:16
	ds_read_b128 v[14:17], v6 offset:2048
	;; [unrolled: 1-line block ×3, first 2 shown]
	global_load_dwordx4 v[46:49], v[30:31], off
	s_waitcnt vmcnt(4)
	v_mad_i64_i32 v[32:33], s[8:9], v22, s45, v[12:13]
	v_lshl_add_u64 v[10:11], v[32:33], 0, v[10:11]
	global_load_dwordx4 v[30:33], v[30:31], off offset:2048
	v_or_b32_e32 v38, 64, v37
	v_add_u32_e32 v22, s13, v37
	v_mov_b32_e32 v36, s19
	v_or_b32_e32 v39, 0x80, v37
	s_waitcnt vmcnt(4)
	v_mad_i64_i32 v[12:13], s[8:9], v23, s45, v[12:13]
	v_add_u32_e32 v23, s13, v38
	v_ashrrev_i32_e32 v22, 5, v22
	v_cmp_gt_i32_e32 vcc, s5, v37
	v_or_b32_e32 v40, 0xc0, v37
	v_add_u32_e32 v34, s13, v39
	v_ashrrev_i32_e32 v23, 5, v23
	v_cndmask_b32_e32 v52, v36, v22, vcc
	v_cmp_gt_i32_e32 vcc, s5, v38
	v_add_u32_e32 v35, s13, v40
	v_lshl_add_u64 v[12:13], v[12:13], 0, v[24:25]
	v_ashrrev_i32_e32 v24, 5, v34
	v_cndmask_b32_e32 v58, v36, v23, vcc
	v_cmp_gt_i32_e32 vcc, s5, v39
	v_ashrrev_i32_e32 v25, 5, v35
	v_lshl_add_u64 v[10:11], v[10:11], 0, v[50:51]
	v_lshl_add_u64 v[34:35], v[12:13], 0, v[50:51]
	v_cndmask_b32_e32 v62, v36, v24, vcc
	v_cmp_gt_i32_e32 vcc, s5, v40
	v_ashrrev_i32_e32 v53, 31, v52
	v_ashrrev_i32_e32 v59, 31, v58
	v_cndmask_b32_e32 v64, v36, v25, vcc
	global_load_dwordx4 v[22:25], v[10:11], off
	s_nop 0
	global_load_dwordx4 v[10:13], v[10:11], off offset:2048
	s_nop 0
	global_load_dwordx4 v[38:41], v[34:35], off
	s_nop 0
	global_load_dwordx4 v[34:37], v[34:35], off offset:2048
	v_ashrrev_i32_e32 v63, 31, v62
	v_ashrrev_i32_e32 v65, 31, v64
	v_lshl_add_u64 v[52:53], v[52:53], 2, s[6:7]
	v_lshl_add_u64 v[66:67], v[58:59], 2, s[6:7]
	;; [unrolled: 1-line block ×4, first 2 shown]
	global_load_dword v58, v[52:53], off
	global_load_dword v64, v[66:67], off
	global_load_dword v55, v[62:63], off
	s_nop 0
	global_load_dword v62, v[68:69], off
	s_mov_b32 s33, 0x7060302
	s_add_u32 s6, s10, s12
	s_addc_u32 s7, s11, 0
	v_and_b32_e32 v50, 16, v0
	v_lshl_or_b32 v63, v57, 4, v56
	s_load_dword s4, s[0:1], 0x1c
	s_waitcnt vmcnt(11)
	v_cvt_pk_f32_fp8_e32 v[52:53], v2
	v_cvt_pk_f32_fp8_sdwa v[66:67], v2 src0_sel:WORD_1
	v_cvt_pk_f32_fp8_e32 v[68:69], v3
	v_cvt_pk_f32_fp8_sdwa v[2:3], v3 src0_sel:WORD_1
	v_perm_b32 v52, v53, v52, s33
	v_perm_b32 v53, v67, v66, s33
	v_cvt_pk_f32_fp8_e32 v[70:71], v4
	v_cvt_pk_f32_fp8_sdwa v[72:73], v4 src0_sel:WORD_1
	v_perm_b32 v74, v69, v68, s33
	v_perm_b32 v75, v3, v2, s33
	s_waitcnt lgkmcnt(0)
	v_mfma_f32_16x16x16_bf16 v[66:69], v[52:53], v[26:27], 0
	v_cvt_pk_f32_fp8_e32 v[2:3], v5
	v_perm_b32 v52, v71, v70, s33
	v_perm_b32 v53, v73, v72, s33
	v_cvt_pk_f32_fp8_sdwa v[4:5], v5 src0_sel:WORD_1
	v_mfma_f32_16x16x16_bf16 v[66:69], v[74:75], v[28:29], v[66:69]
	v_perm_b32 v70, v3, v2, s33
	s_waitcnt vmcnt(10)
	v_cvt_pk_f32_fp8_e32 v[72:73], v42
	v_cvt_pk_f32_fp8_sdwa v[74:75], v42 src0_sel:WORD_1
	v_perm_b32 v71, v5, v4, s33
	v_mfma_f32_16x16x16_bf16 v[2:5], v[52:53], v[18:19], v[66:69]
	v_perm_b32 v52, v73, v72, s33
	v_perm_b32 v53, v75, v74, s33
	s_waitcnt vmcnt(6)
	v_cvt_pk_f32_fp8_e32 v[74:75], v11
	v_cvt_pk_f32_fp8_e32 v[66:67], v43
	v_cvt_pk_f32_fp8_sdwa v[42:43], v43 src0_sel:WORD_1
	v_mfma_f32_16x16x16_bf16 v[2:5], v[70:71], v[20:21], v[2:5]
	v_cvt_pk_f32_fp8_sdwa v[68:69], v46 src0_sel:WORD_1
	v_perm_b32 v66, v67, v66, s33
	v_perm_b32 v67, v43, v42, s33
	v_mfma_f32_16x16x16_bf16 v[2:5], v[52:53], v[14:15], v[2:5]
	v_cvt_pk_f32_fp8_e32 v[42:43], v44
	v_cvt_pk_f32_fp8_sdwa v[52:53], v44 src0_sel:WORD_1
	v_cvt_pk_f32_fp8_sdwa v[70:71], v30 src0_sel:WORD_1
	v_mfma_f32_16x16x16_bf16 v[2:5], v[66:67], v[16:17], v[2:5]
	v_cvt_pk_f32_fp8_e32 v[66:67], v45
	v_perm_b32 v42, v43, v42, s33
	v_perm_b32 v43, v53, v52, s33
	v_cvt_pk_f32_fp8_sdwa v[44:45], v45 src0_sel:WORD_1
	v_perm_b32 v52, v67, v66, s33
	v_cvt_pk_f32_fp8_e32 v[66:67], v46
	v_mfma_f32_16x16x16_bf16 v[2:5], v[42:43], v[6:7], v[2:5]
	v_perm_b32 v53, v45, v44, s33
	v_perm_b32 v66, v67, v66, s33
	;; [unrolled: 1-line block ×3, first 2 shown]
	v_cvt_pk_f32_fp8_e32 v[68:69], v47
	v_cvt_pk_f32_fp8_sdwa v[46:47], v47 src0_sel:WORD_1
	v_mfma_f32_16x16x16_bf16 v[42:45], v[52:53], v[8:9], v[2:5]
	v_lshl_add_u64 v[52:53], s[6:7], 0, v[50:51]
	v_perm_b32 v68, v69, v68, s33
	v_perm_b32 v69, v47, v46, s33
	v_mfma_f32_16x16x16_bf16 v[2:5], v[66:67], v[26:27], 0
	v_cvt_pk_f32_fp8_e32 v[46:47], v48
	v_cvt_pk_f32_fp8_sdwa v[66:67], v48 src0_sel:WORD_1
	v_lshlrev_b32_e32 v50, 5, v63
	v_mfma_f32_16x16x16_bf16 v[2:5], v[68:69], v[28:29], v[2:5]
	v_cvt_pk_f32_fp8_e32 v[68:69], v49
	v_perm_b32 v46, v47, v46, s33
	v_perm_b32 v47, v67, v66, s33
	v_cvt_pk_f32_fp8_sdwa v[48:49], v49 src0_sel:WORD_1
	v_perm_b32 v66, v69, v68, s33
	v_cvt_pk_f32_fp8_e32 v[68:69], v30
	v_mfma_f32_16x16x16_bf16 v[2:5], v[46:47], v[18:19], v[2:5]
	v_perm_b32 v67, v49, v48, s33
	v_perm_b32 v46, v69, v68, s33
	;; [unrolled: 1-line block ×3, first 2 shown]
	v_cvt_pk_f32_fp8_e32 v[48:49], v31
	v_cvt_pk_f32_fp8_sdwa v[30:31], v31 src0_sel:WORD_1
	v_mfma_f32_16x16x16_bf16 v[2:5], v[66:67], v[20:21], v[2:5]
	v_cvt_pk_f32_fp8_sdwa v[66:67], v22 src0_sel:WORD_1
	v_perm_b32 v48, v49, v48, s33
	v_perm_b32 v49, v31, v30, s33
	v_mfma_f32_16x16x16_bf16 v[2:5], v[46:47], v[14:15], v[2:5]
	v_cvt_pk_f32_fp8_e32 v[30:31], v32
	v_cvt_pk_f32_fp8_sdwa v[46:47], v32 src0_sel:WORD_1
	v_cvt_pk_f32_fp8_sdwa v[80:81], v13 src0_sel:WORD_1
	v_mfma_f32_16x16x16_bf16 v[2:5], v[48:49], v[16:17], v[2:5]
	v_cvt_pk_f32_fp8_e32 v[48:49], v33
	v_perm_b32 v30, v31, v30, s33
	v_perm_b32 v31, v47, v46, s33
	v_cvt_pk_f32_fp8_sdwa v[32:33], v33 src0_sel:WORD_1
	v_perm_b32 v46, v49, v48, s33
	v_cvt_pk_f32_fp8_e32 v[48:49], v22
	v_mfma_f32_16x16x16_bf16 v[2:5], v[30:31], v[6:7], v[2:5]
	v_perm_b32 v47, v33, v32, s33
	v_perm_b32 v30, v49, v48, s33
	;; [unrolled: 1-line block ×3, first 2 shown]
	v_cvt_pk_f32_fp8_e32 v[32:33], v23
	v_cvt_pk_f32_fp8_sdwa v[22:23], v23 src0_sel:WORD_1
	v_mfma_f32_16x16x16_bf16 v[46:49], v[46:47], v[8:9], v[2:5]
	v_lshl_add_u64 v[66:67], v[52:53], 0, v[50:51]
	v_perm_b32 v32, v33, v32, s33
	v_perm_b32 v33, v23, v22, s33
	v_mfma_f32_16x16x16_bf16 v[2:5], v[30:31], v[26:27], 0
	v_cvt_pk_f32_fp8_e32 v[22:23], v24
	v_cvt_pk_f32_fp8_sdwa v[30:31], v24 src0_sel:WORD_1
	s_waitcnt vmcnt(3)
	v_mad_i64_i32 v[68:69], s[6:7], v58, s45, v[66:67]
	v_perm_b32 v22, v23, v22, s33
	v_perm_b32 v23, v31, v30, s33
	v_cvt_pk_f32_fp8_e32 v[30:31], v25
	v_cvt_pk_f32_fp8_sdwa v[24:25], v25 src0_sel:WORD_1
	v_mfma_f32_16x16x16_bf16 v[2:5], v[32:33], v[28:29], v[2:5]
	s_waitcnt vmcnt(2)
	v_mad_i64_i32 v[70:71], s[6:7], v64, s45, v[66:67]
	v_perm_b32 v72, v31, v30, s33
	v_perm_b32 v73, v25, v24, s33
	v_mfma_f32_16x16x16_bf16 v[2:5], v[22:23], v[18:19], v[2:5]
	global_load_dwordx4 v[30:33], v[68:69], off
	global_load_dwordx4 v[22:25], v[70:71], off
	v_cvt_pk_f32_fp8_e32 v[68:69], v10
	s_waitcnt vmcnt(3)
	v_mad_i64_i32 v[70:71], s[6:7], v55, s45, v[66:67]
	v_mfma_f32_16x16x16_bf16 v[2:5], v[72:73], v[20:21], v[2:5]
	v_cvt_pk_f32_fp8_sdwa v[72:73], v10 src0_sel:WORD_1
	v_cvt_pk_f32_fp8_sdwa v[10:11], v11 src0_sel:WORD_1
	v_perm_b32 v68, v69, v68, s33
	s_waitcnt vmcnt(2)
	v_mad_i64_i32 v[76:77], s[6:7], v62, s45, v[66:67]
	v_perm_b32 v69, v73, v72, s33
	v_perm_b32 v72, v75, v74, s33
	;; [unrolled: 1-line block ×3, first 2 shown]
	v_cvt_pk_f32_fp8_e32 v[10:11], v12
	v_cvt_pk_f32_fp8_sdwa v[74:75], v12 src0_sel:WORD_1
	v_mfma_f32_16x16x16_bf16 v[66:69], v[68:69], v[14:15], v[2:5]
	v_or_b32_e32 v50, 0x800, v50
	v_perm_b32 v78, v11, v10, s33
	v_perm_b32 v79, v75, v74, s33
	v_cvt_pk_f32_fp8_e32 v[74:75], v13
	v_mfma_f32_16x16x16_bf16 v[66:69], v[72:73], v[16:17], v[66:69]
	v_lshl_add_u64 v[50:51], v[52:53], 0, v[50:51]
	v_perm_b32 v53, v81, v80, s33
	v_perm_b32 v52, v75, v74, s33
	global_load_dwordx4 v[10:13], v[70:71], off
	global_load_dwordx4 v[2:5], v[76:77], off
	v_mfma_f32_16x16x16_bf16 v[66:69], v[78:79], v[6:7], v[66:69]
	v_cvt_pk_f32_fp8_e32 v[70:71], v38
	v_cvt_pk_f32_fp8_sdwa v[72:73], v38 src0_sel:WORD_1
	v_cvt_pk_f32_fp8_e32 v[74:75], v40
	v_mfma_f32_16x16x16_bf16 v[66:69], v[52:53], v[8:9], v[66:69]
	v_cvt_pk_f32_fp8_e32 v[52:53], v39
	v_perm_b32 v70, v71, v70, s33
	v_perm_b32 v71, v73, v72, s33
	v_cvt_pk_f32_fp8_sdwa v[38:39], v39 src0_sel:WORD_1
	v_perm_b32 v52, v53, v52, s33
	v_cvt_pk_f32_fp8_sdwa v[76:77], v40 src0_sel:WORD_1
	v_mfma_f32_16x16x16_bf16 v[70:73], v[70:71], v[26:27], 0
	v_perm_b32 v53, v39, v38, s33
	v_perm_b32 v38, v75, v74, s33
	;; [unrolled: 1-line block ×3, first 2 shown]
	v_cvt_pk_f32_fp8_e32 v[74:75], v41
	v_cvt_pk_f32_fp8_sdwa v[40:41], v41 src0_sel:WORD_1
	v_mfma_f32_16x16x16_bf16 v[26:29], v[52:53], v[28:29], v[70:73]
	s_load_dword s6, s[40:41], 0x0
	v_mov_b32_e32 v52, s4
	s_mov_b32 s40, 0xff7fffff
	v_perm_b32 v70, v75, v74, s33
	v_perm_b32 v71, v41, v40, s33
	v_mfma_f32_16x16x16_bf16 v[26:29], v[38:39], v[18:19], v[26:29]
	v_cvt_pk_f32_fp8_e32 v[40:41], v35
	s_waitcnt lgkmcnt(0)
	v_mul_f32_e32 v72, s6, v52
	v_pk_mul_f32 v[52:53], v[72:73], v[42:43] op_sel_hi:[0,1]
	v_mfma_f32_16x16x16_bf16 v[18:21], v[70:71], v[20:21], v[26:29]
	v_pk_mul_f32 v[38:39], v[72:73], v[44:45] op_sel_hi:[0,1]
	v_mad_i64_i32 v[70:71], s[6:7], v58, s45, v[50:51]
	s_nop 0
	v_cvt_pk_f32_fp8_e32 v[26:27], v34
	v_cvt_pk_f32_fp8_sdwa v[28:29], v34 src0_sel:WORD_1
	v_cvt_pk_f32_fp8_sdwa v[34:35], v35 src0_sel:WORD_1
	v_pk_mul_f32 v[58:59], v[72:73], v[46:47] op_sel_hi:[0,1]
	v_perm_b32 v26, v27, v26, s33
	v_perm_b32 v27, v29, v28, s33
	;; [unrolled: 1-line block ×4, first 2 shown]
	v_cvt_pk_f32_fp8_e32 v[34:35], v36
	v_cvt_pk_f32_fp8_sdwa v[40:41], v36 src0_sel:WORD_1
	v_mfma_f32_16x16x16_bf16 v[18:21], v[26:27], v[14:15], v[18:21]
	v_pk_mul_f32 v[48:49], v[72:73], v[48:49] op_sel_hi:[0,1]
	v_perm_b32 v26, v35, v34, s33
	v_perm_b32 v27, v41, v40, s33
	v_cvt_pk_f32_fp8_e32 v[34:35], v37
	v_cvt_pk_f32_fp8_sdwa v[36:37], v37 src0_sel:WORD_1
	v_mfma_f32_16x16x16_bf16 v[14:17], v[28:29], v[16:17], v[18:21]
	v_pk_mul_f32 v[40:41], v[72:73], v[66:67] op_sel_hi:[0,1]
	v_pk_mul_f32 v[44:45], v[72:73], v[68:69] op_sel_hi:[0,1]
	s_nop 0
	v_perm_b32 v18, v35, v34, s33
	v_perm_b32 v19, v37, v36, s33
	v_mfma_f32_16x16x16_bf16 v[14:17], v[26:27], v[6:7], v[14:17]
	s_nop 0
	v_mfma_f32_16x16x16_bf16 v[6:9], v[18:19], v[8:9], v[14:17]
	s_nop 6
	v_pk_mul_f32 v[42:43], v[72:73], v[6:7] op_sel_hi:[0,1]
	v_and_b32_e32 v6, 0xc0, v0
	v_add_u32_e32 v6, s18, v6
	v_lshl_or_b32 v6, v60, 2, v6
	v_pk_mul_f32 v[34:35], v[72:73], v[8:9] op_sel_hi:[0,1]
	v_or_b32_e32 v9, 1, v6
	v_mov_b32_e32 v7, 0xff7fffff
	v_cmp_gt_i32_e64 s[24:25], s5, v6
	v_cmp_gt_i32_e64 s[26:27], s5, v9
	v_or_b32_e32 v14, 3, v6
	v_cndmask_b32_e64 v8, v7, v52, s[24:25]
	v_cndmask_b32_e64 v9, v7, v53, s[26:27]
	v_max3_f32 v8, v8, s40, v9
	v_or_b32_e32 v9, 2, v6
	v_cmp_gt_i32_e64 s[28:29], s5, v9
	v_cmp_gt_i32_e64 s[30:31], s5, v14
	s_nop 0
	v_cndmask_b32_e64 v9, v7, v38, s[28:29]
	v_cndmask_b32_e64 v14, v7, v39, s[30:31]
	v_max3_f32 v8, v8, v9, v14
	v_or_b32_e32 v9, 16, v6
	v_or_b32_e32 v14, 17, v6
	v_cmp_gt_i32_e64 s[34:35], s5, v9
	v_cmp_gt_i32_e64 s[36:37], s5, v14
	s_nop 0
	v_cndmask_b32_e64 v9, v7, v58, s[34:35]
	v_cndmask_b32_e64 v14, v7, v59, s[36:37]
	v_max3_f32 v8, v8, v9, v14
	v_or_b32_e32 v9, 18, v6
	;; [unrolled: 8-line block ×6, first 2 shown]
	v_or_b32_e32 v6, 51, v6
	v_cmp_gt_i32_e32 vcc, s5, v9
	v_cmp_gt_i32_e64 s[4:5], s5, v6
	s_nop 0
	v_cndmask_b32_e32 v9, v7, v34, vcc
	v_cndmask_b32_e64 v6, v7, v35, s[4:5]
	v_max3_f32 v8, v8, v9, v6
	v_mbcnt_lo_u32_b32 v6, -1, 0
	v_mbcnt_hi_u32_b32 v9, -1, v6
	v_and_b32_e32 v6, 64, v9
	v_add_u32_e32 v14, 64, v6
	v_xor_b32_e32 v6, 32, v9
	v_cmp_lt_i32_e64 s[38:39], v6, v14
	s_nop 1
	v_cndmask_b32_e64 v6, v9, v6, s[38:39]
	v_lshlrev_b32_e32 v65, 2, v6
	ds_bpermute_b32 v15, v65, v8
	v_mad_i64_i32 v[6:7], s[38:39], v64, s45, v[50:51]
	global_load_dwordx4 v[26:29], v[70:71], off
	global_load_dwordx4 v[18:21], v[6:7], off
	s_waitcnt lgkmcnt(0)
	v_max_f32_e32 v6, v15, v15
	v_max_f32_e32 v15, v8, v6
	v_xor_b32_e32 v6, 16, v9
	v_cmp_lt_i32_e64 s[38:39], v6, v14
	s_nop 1
	v_cndmask_b32_e64 v6, v9, v6, s[38:39]
	v_lshlrev_b32_e32 v64, 2, v6
	ds_bpermute_b32 v14, v64, v15
	v_mad_i64_i32 v[6:7], s[38:39], v55, s45, v[50:51]
	v_mad_i64_i32 v[8:9], s[38:39], v62, s45, v[50:51]
	s_waitcnt lgkmcnt(0)
	v_max_f32_e32 v14, v14, v14
	v_max_f32_e32 v50, v15, v14
	v_sub_f32_e32 v14, v52, v50
	v_mul_f32_e32 v14, 0x3fb8aa3b, v14
	v_exp_f32_e32 v36, v14
	v_sub_f32_e32 v14, v53, v50
	v_mul_f32_e32 v14, 0x3fb8aa3b, v14
	v_exp_f32_e32 v37, v14
	global_load_dwordx4 v[14:17], v[6:7], off
	s_nop 0
	global_load_dwordx4 v[6:9], v[8:9], off
	v_sub_f32_e32 v38, v38, v50
	v_mul_f32_e32 v38, 0x3fb8aa3b, v38
	v_sub_f32_e32 v39, v39, v50
	v_exp_f32_e32 v38, v38
	v_mul_f32_e32 v39, 0x3fb8aa3b, v39
	v_exp_f32_e32 v39, v39
	v_cndmask_b32_e64 v36, 0, v36, s[24:25]
	v_add_f32_e32 v46, 0, v36
	v_cndmask_b32_e64 v37, 0, v37, s[26:27]
	v_add_f32_e32 v47, v46, v37
	;; [unrolled: 2-line block ×3, first 2 shown]
	v_cndmask_b32_e64 v47, 0, v39, s[30:31]
	v_sub_f32_e32 v39, v58, v50
	v_mul_f32_e32 v39, 0x3fb8aa3b, v39
	v_sub_f32_e32 v51, v59, v50
	v_exp_f32_e32 v39, v39
	v_mul_f32_e32 v51, 0x3fb8aa3b, v51
	v_sub_f32_e32 v48, v48, v50
	v_exp_f32_e32 v51, v51
	;; [unrolled: 3-line block ×4, first 2 shown]
	v_mul_f32_e32 v40, 0x3fb8aa3b, v40
	v_sub_f32_e32 v41, v41, v50
	v_add_f32_e32 v52, v38, v47
	v_cndmask_b32_e64 v38, 0, v39, s[34:35]
	v_exp_f32_e32 v40, v40
	v_mul_f32_e32 v41, 0x3fb8aa3b, v41
	v_sub_f32_e32 v44, v44, v50
	v_add_f32_e32 v52, v52, v38
	v_cndmask_b32_e64 v39, 0, v51, s[36:37]
	v_exp_f32_e32 v41, v41
	;; [unrolled: 5-line block ×7, first 2 shown]
	v_mul_f32_e32 v35, 0x3fb8aa3b, v35
	v_add_f32_e32 v51, v51, v44
	v_cndmask_b32_e64 v45, 0, v45, s[12:13]
	v_exp_f32_e32 v35, v35
	v_add_f32_e32 v51, v51, v45
	v_cndmask_b32_e64 v42, 0, v42, s[6:7]
	v_add_f32_e32 v51, v51, v42
	v_cndmask_b32_e64 v43, 0, v43, s[8:9]
	v_add_f32_e32 v51, v51, v43
	v_cndmask_b32_e32 v34, 0, v34, vcc
	v_add_f32_e32 v51, v51, v34
	v_cndmask_b32_e64 v35, 0, v35, s[4:5]
	v_add_f32_e32 v51, v51, v35
	ds_bpermute_b32 v52, v65, v51
	v_cmp_gt_u32_e32 vcc, 16, v61
	s_waitcnt lgkmcnt(0)
	s_barrier
	v_add_f32_e32 v51, v51, v52
	ds_bpermute_b32 v52, v64, v51
	s_and_saveexec_b64 s[4:5], vcc
	s_cbranch_execz .LBB1401_13
; %bb.12:
	s_waitcnt lgkmcnt(0)
	v_add_f32_e32 v51, v51, v52
	v_lshlrev_b32_e32 v52, 2, v63
	ds_write2st64_b32 v52, v50, v51 offset1:1
.LBB1401_13:
	s_or_b64 exec, exec, s[4:5]
	v_lshlrev_b32_e32 v51, 2, v56
	s_load_dword s6, s[0:1], 0x94
	s_waitcnt lgkmcnt(0)
	s_barrier
	ds_read2_b32 v[52:53], v51 offset1:16
	ds_read2_b32 v[58:59], v51 offset0:32 offset1:48
	ds_read2_b32 v[62:63], v51 offset0:64 offset1:80
	s_movk_i32 s8, 0x7fff
	s_mul_i32 s7, s23, 14
	s_waitcnt lgkmcnt(2)
	v_max3_f32 v50, v52, s40, v53
	s_waitcnt lgkmcnt(1)
	v_max3_f32 v50, v50, v58, v59
	v_sub_f32_e32 v52, v52, v50
	v_mul_f32_e32 v52, 0x3fb8aa3b, v52
	v_exp_f32_e32 v55, v52
	v_sub_f32_e32 v52, v53, v50
	v_mul_f32_e32 v52, 0x3fb8aa3b, v52
	v_exp_f32_e32 v61, v52
	;; [unrolled: 3-line block ×3, first 2 shown]
	ds_read2_b32 v[52:53], v51 offset0:96 offset1:112
	v_sub_f32_e32 v51, v59, v50
	v_mul_f32_e32 v51, 0x3fb8aa3b, v51
	v_exp_f32_e32 v59, v51
	s_waitcnt lgkmcnt(1)
	v_fma_f32 v51, v55, v62, 0
	v_fmac_f32_e32 v51, v61, v63
	s_waitcnt lgkmcnt(0)
	v_fmac_f32_e32 v51, v58, v52
	v_fmac_f32_e32 v51, v59, v53
	v_add_f32_e32 v52, 0x358637bd, v51
	v_div_scale_f32 v53, s[4:5], v52, v52, 1.0
	v_rcp_f32_e32 v62, v53
	s_barrier
	v_fma_f32 v63, -v53, v62, 1.0
	v_fmac_f32_e32 v62, v63, v62
	v_div_scale_f32 v63, vcc, 1.0, v52, 1.0
	v_mul_f32_e32 v64, v63, v62
	v_fma_f32 v65, -v53, v64, v63
	v_fmac_f32_e32 v64, v65, v62
	v_fma_f32 v53, -v53, v64, v63
	v_div_fmas_f32 v53, v53, v62, v64
	v_cmp_eq_u32_e32 vcc, 1, v57
	v_div_fixup_f32 v52, v53, v52, 1.0
	s_nop 0
	v_cndmask_b32_e32 v53, v55, v61, vcc
	v_cmp_eq_u32_e32 vcc, 2, v57
	s_nop 1
	v_cndmask_b32_e32 v53, v53, v58, vcc
	v_cmp_eq_u32_e32 vcc, 3, v57
	s_nop 1
	v_cndmask_b32_e32 v53, v53, v59, vcc
	v_mul_f32_e32 v52, v53, v52
	v_pk_mul_f32 v[36:37], v[52:53], v[36:37] op_sel_hi:[0,1]
	v_pk_mul_f32 v[46:47], v[52:53], v[46:47] op_sel_hi:[0,1]
	v_bfe_u32 v53, v37, 16, 1
	v_bfe_u32 v55, v36, 16, 1
	v_add3_u32 v36, v36, v55, s8
	v_add3_u32 v37, v37, v53, s8
	v_perm_b32 v58, v37, v36, s33
	v_bfe_u32 v36, v47, 16, 1
	v_bfe_u32 v37, v46, 16, 1
	v_add3_u32 v37, v46, v37, s8
	v_add3_u32 v36, v47, v36, s8
	v_perm_b32 v59, v36, v37, s33
	v_lshlrev_b32_e32 v37, 3, v60
	v_lshlrev_b32_e32 v36, 5, v56
	;; [unrolled: 1-line block ×3, first 2 shown]
	v_pk_mul_f32 v[38:39], v[52:53], v[38:39] op_sel_hi:[0,1]
	v_or3_b32 v55, v46, v36, v37
	v_pk_mul_f32 v[46:47], v[52:53], v[48:49] op_sel_hi:[0,1]
	v_bfe_u32 v37, v39, 16, 1
	v_bfe_u32 v48, v38, 16, 1
	v_add3_u32 v38, v38, v48, s8
	v_add3_u32 v37, v39, v37, s8
	v_perm_b32 v38, v37, v38, s33
	v_bfe_u32 v37, v47, 16, 1
	v_bfe_u32 v39, v46, 16, 1
	v_add3_u32 v39, v46, v39, s8
	v_add3_u32 v37, v47, v37, s8
	v_perm_b32 v39, v37, v39, s33
	v_pk_mul_f32 v[40:41], v[52:53], v[40:41] op_sel_hi:[0,1]
	ds_write2st64_b64 v55, v[58:59], v[38:39] offset1:1
	v_pk_mul_f32 v[38:39], v[52:53], v[44:45] op_sel_hi:[0,1]
	v_bfe_u32 v37, v41, 16, 1
	v_bfe_u32 v44, v40, 16, 1
	v_add3_u32 v40, v40, v44, s8
	v_add3_u32 v37, v41, v37, s8
	v_perm_b32 v40, v37, v40, s33
	v_bfe_u32 v37, v39, 16, 1
	v_bfe_u32 v41, v38, 16, 1
	v_add3_u32 v38, v38, v41, s8
	v_add3_u32 v37, v39, v37, s8
	v_perm_b32 v41, v37, v38, s33
	v_pk_mul_f32 v[38:39], v[52:53], v[42:43] op_sel_hi:[0,1]
	v_bfe_u32 v37, v39, 16, 1
	v_bfe_u32 v42, v38, 16, 1
	v_pk_mul_f32 v[34:35], v[52:53], v[34:35] op_sel_hi:[0,1]
	v_add3_u32 v38, v38, v42, s8
	v_add3_u32 v37, v39, v37, s8
	v_perm_b32 v38, v37, v38, s33
	v_bfe_u32 v37, v35, 16, 1
	v_bfe_u32 v39, v34, 16, 1
	v_add3_u32 v34, v34, v39, s8
	v_add3_u32 v35, v35, v37, s8
	v_perm_b32 v39, v35, v34, s33
	v_cmp_gt_u32_e32 vcc, 14, v0
	ds_write2st64_b64 v55, v[40:41], v[38:39] offset0:2 offset1:3
	s_and_saveexec_b64 s[4:5], vcc
	s_cbranch_execz .LBB1401_15
; %bb.14:
	s_mov_b32 s49, 0
	v_mov_b32_e32 v57, 0
	v_lshl_add_u64 v[34:35], s[48:49], 0, v[56:57]
	v_mov_b32_e32 v37, s7
	v_mad_u64_u32 v[34:35], s[10:11], s2, v37, v[34:35]
	s_mul_i32 s3, s3, s7
	v_mov_b32_e32 v38, s22
	v_mov_b32_e32 v39, v57
	s_load_dwordx4 s[12:15], s[0:1], 0x58
	v_add_u32_e32 v37, s3, v35
	v_mad_u64_u32 v[34:35], s[10:11], v34, s6, v[38:39]
	v_mov_b32_e32 v38, v35
	v_mad_u64_u32 v[38:39], s[10:11], v37, s6, v[38:39]
	v_mov_b32_e32 v35, v38
	v_lshlrev_b64 v[34:35], 2, v[34:35]
	s_waitcnt lgkmcnt(0)
	v_lshl_add_u64 v[38:39], s[14:15], 0, v[34:35]
	v_lshl_add_u64 v[34:35], s[12:13], 0, v[34:35]
	global_store_dword v[38:39], v50, off
	global_store_dword v[34:35], v51, off
.LBB1401_15:
	s_or_b64 exec, exec, s[4:5]
	v_lshl_or_b32 v50, v60, 9, v36
	s_waitcnt vmcnt(7)
	v_cvt_pk_f32_fp8_e32 v[34:35], v30
	v_cvt_pk_f32_fp8_sdwa v[36:37], v30 src0_sel:WORD_1
	s_mov_b32 s5, 0x7060302
	s_waitcnt lgkmcnt(0)
	s_barrier
	v_cvt_pk_f32_fp8_e32 v[38:39], v31
	v_perm_b32 v30, v35, v34, s5
	v_cvt_pk_f32_fp8_sdwa v[40:41], v31 src0_sel:WORD_1
	v_perm_b32 v31, v37, v36, s5
	ds_read_b128 v[34:37], v50
	v_perm_b32 v46, v39, v38, s5
	v_perm_b32 v47, v41, v40, s5
	ds_read_b128 v[38:41], v50 offset:16
	v_cvt_pk_f32_fp8_e32 v[48:49], v32
	v_cvt_pk_f32_fp8_sdwa v[52:53], v32 src0_sel:WORD_1
	s_waitcnt lgkmcnt(1)
	v_mfma_f32_16x16x16_bf16 v[42:45], v[30:31], v[34:35], 0
	s_waitcnt vmcnt(6)
	v_cvt_pk_f32_fp8_e32 v[58:59], v24
	v_perm_b32 v30, v49, v48, s5
	v_perm_b32 v31, v53, v52, s5
	v_cvt_pk_f32_fp8_e32 v[48:49], v33
	v_mfma_f32_16x16x16_bf16 v[42:45], v[46:47], v[36:37], v[42:45]
	v_cvt_pk_f32_fp8_sdwa v[46:47], v33 src0_sel:WORD_1
	v_cvt_pk_f32_fp8_sdwa v[62:63], v24 src0_sel:WORD_1
	v_perm_b32 v48, v49, v48, s5
	s_waitcnt lgkmcnt(0)
	v_mfma_f32_16x16x16_bf16 v[30:33], v[30:31], v[38:39], v[42:45]
	v_perm_b32 v49, v47, v46, s5
	s_waitcnt vmcnt(5)
	v_cvt_pk_f32_fp8_sdwa v[66:67], v12 src0_sel:WORD_1
	s_waitcnt vmcnt(4)
	v_cvt_pk_f32_fp8_sdwa v[68:69], v4 src0_sel:WORD_1
	v_cvt_pk_f32_fp8_e32 v[42:43], v22
	v_mfma_f32_16x16x16_bf16 v[46:49], v[48:49], v[40:41], v[30:33]
	s_load_dword s4, s[42:43], 0x0
	s_waitcnt vmcnt(3)
	v_cvt_pk_f32_fp8_sdwa v[70:71], v28 src0_sel:WORD_1
	v_cvt_pk_f32_fp8_sdwa v[30:31], v22 src0_sel:WORD_1
	v_cvt_pk_f32_fp8_e32 v[32:33], v23
	v_perm_b32 v22, v43, v42, s5
	v_cvt_pk_f32_fp8_sdwa v[42:43], v23 src0_sel:WORD_1
	v_perm_b32 v23, v31, v30, s5
	v_perm_b32 v52, v33, v32, s5
	ds_read_b128 v[30:33], v50 offset:2048
	v_perm_b32 v53, v43, v42, s5
	ds_read_b128 v[42:45], v50 offset:2064
	s_waitcnt lgkmcnt(0)
	v_mfma_f32_16x16x16_bf16 v[46:49], v[22:23], v[30:31], v[46:49]
	v_perm_b32 v22, v59, v58, s5
	v_perm_b32 v23, v63, v62, s5
	v_cvt_pk_f32_fp8_e32 v[58:59], v25
	v_mfma_f32_16x16x16_bf16 v[46:49], v[52:53], v[32:33], v[46:49]
	v_cvt_pk_f32_fp8_sdwa v[52:53], v25 src0_sel:WORD_1
	s_mov_b32 s3, 0
	v_perm_b32 v58, v59, v58, s5
	v_mfma_f32_16x16x16_bf16 v[22:25], v[22:23], v[42:43], v[46:49]
	v_perm_b32 v59, v53, v52, s5
	v_cmp_gt_u32_e32 vcc, 64, v0
	s_nop 0
	v_cvt_pk_f32_fp8_e32 v[46:47], v10
	v_mfma_f32_16x16x16_bf16 v[62:65], v[58:59], v[44:45], v[22:25]
	v_cvt_pk_f32_fp8_e32 v[58:59], v12
	s_nop 1
	v_cvt_pk_f32_fp8_sdwa v[22:23], v10 src0_sel:WORD_1
	v_cvt_pk_f32_fp8_e32 v[24:25], v11
	v_perm_b32 v10, v47, v46, s5
	v_cvt_pk_f32_fp8_sdwa v[46:47], v11 src0_sel:WORD_1
	v_perm_b32 v11, v23, v22, s5
	v_perm_b32 v52, v25, v24, s5
	ds_read_b128 v[22:25], v50 offset:4096
	v_perm_b32 v53, v47, v46, s5
	ds_read_b128 v[46:49], v50 offset:4112
	s_waitcnt lgkmcnt(1)
	v_mfma_f32_16x16x16_bf16 v[62:65], v[10:11], v[22:23], v[62:65]
	v_perm_b32 v10, v59, v58, s5
	v_perm_b32 v11, v67, v66, s5
	v_cvt_pk_f32_fp8_e32 v[58:59], v13
	v_mfma_f32_16x16x16_bf16 v[62:65], v[52:53], v[24:25], v[62:65]
	v_cvt_pk_f32_fp8_sdwa v[52:53], v13 src0_sel:WORD_1
	v_cvt_pk_f32_fp8_e32 v[66:67], v4
	v_perm_b32 v58, v59, v58, s5
	s_waitcnt lgkmcnt(0)
	v_mfma_f32_16x16x16_bf16 v[10:13], v[10:11], v[46:47], v[62:65]
	v_perm_b32 v59, v53, v52, s5
	v_cvt_pk_f32_fp8_e32 v[52:53], v2
	s_nop 0
	v_mfma_f32_16x16x16_bf16 v[62:65], v[58:59], v[48:49], v[10:13]
	s_nop 2
	v_cvt_pk_f32_fp8_sdwa v[10:11], v2 src0_sel:WORD_1
	v_cvt_pk_f32_fp8_e32 v[12:13], v3
	v_perm_b32 v2, v53, v52, s5
	v_cvt_pk_f32_fp8_sdwa v[52:53], v3 src0_sel:WORD_1
	v_perm_b32 v3, v11, v10, s5
	v_perm_b32 v58, v13, v12, s5
	ds_read_b128 v[10:13], v50 offset:6144
	v_perm_b32 v59, v53, v52, s5
	s_waitcnt lgkmcnt(0)
	v_mfma_f32_16x16x16_bf16 v[62:65], v[2:3], v[10:11], v[62:65]
	ds_read_b128 v[50:53], v50 offset:6160
	v_perm_b32 v2, v67, v66, s5
	v_perm_b32 v3, v69, v68, s5
	v_cvt_pk_f32_fp8_e32 v[66:67], v5
	v_mfma_f32_16x16x16_bf16 v[62:65], v[58:59], v[12:13], v[62:65]
	v_cvt_pk_f32_fp8_sdwa v[58:59], v5 src0_sel:WORD_1
	v_cvt_pk_f32_fp8_e32 v[68:69], v28
	v_perm_b32 v66, v67, v66, s5
	s_waitcnt lgkmcnt(0)
	v_mfma_f32_16x16x16_bf16 v[2:5], v[2:3], v[50:51], v[62:65]
	v_perm_b32 v67, v59, v58, s5
	v_cvt_pk_f32_fp8_sdwa v[58:59], v26 src0_sel:WORD_1
	s_nop 0
	v_mfma_f32_16x16x16_bf16 v[62:65], v[66:67], v[52:53], v[2:5]
	s_barrier
	s_nop 1
	v_cvt_pk_f32_fp8_e32 v[4:5], v26
	s_nop 2
	v_pk_mul_f32 v[66:67], v[62:63], s[4:5] op_sel_hi:[1,0]
	v_cvt_pk_f32_fp8_e32 v[62:63], v27
	v_perm_b32 v4, v5, v4, s5
	v_perm_b32 v5, v59, v58, s5
	v_cvt_pk_f32_fp8_sdwa v[26:27], v27 src0_sel:WORD_1
	v_perm_b32 v58, v63, v62, s5
	v_pk_mul_f32 v[2:3], v[64:65], s[4:5] op_sel_hi:[1,0]
	v_mfma_f32_16x16x16_bf16 v[62:65], v[4:5], v[34:35], 0
	v_perm_b32 v59, v27, v26, s5
	v_perm_b32 v4, v69, v68, s5
	;; [unrolled: 1-line block ×3, first 2 shown]
	v_cvt_pk_f32_fp8_e32 v[34:35], v29
	v_cvt_pk_f32_fp8_sdwa v[68:69], v29 src0_sel:WORD_1
	v_mfma_f32_16x16x16_bf16 v[26:29], v[58:59], v[36:37], v[62:65]
	s_waitcnt vmcnt(2)
	v_cvt_pk_f32_fp8_sdwa v[36:37], v18 src0_sel:WORD_1
	v_perm_b32 v34, v35, v34, s5
	v_perm_b32 v35, v69, v68, s5
	v_mfma_f32_16x16x16_bf16 v[26:29], v[4:5], v[38:39], v[26:29]
	v_cvt_pk_f32_fp8_e32 v[4:5], v18
	v_cvt_pk_f32_fp8_sdwa v[38:39], v20 src0_sel:WORD_1
	v_bfe_u32 v57, v67, 16, 1
	v_mfma_f32_16x16x16_bf16 v[26:29], v[34:35], v[40:41], v[26:29]
	v_cvt_pk_f32_fp8_e32 v[34:35], v19
	v_perm_b32 v4, v5, v4, s5
	v_perm_b32 v5, v37, v36, s5
	v_cvt_pk_f32_fp8_sdwa v[18:19], v19 src0_sel:WORD_1
	v_perm_b32 v34, v35, v34, s5
	v_cvt_pk_f32_fp8_e32 v[36:37], v20
	v_mfma_f32_16x16x16_bf16 v[26:29], v[4:5], v[30:31], v[26:29]
	v_perm_b32 v35, v19, v18, s5
	v_perm_b32 v4, v37, v36, s5
	;; [unrolled: 1-line block ×3, first 2 shown]
	v_cvt_pk_f32_fp8_e32 v[30:31], v21
	v_cvt_pk_f32_fp8_sdwa v[36:37], v21 src0_sel:WORD_1
	v_mfma_f32_16x16x16_bf16 v[18:21], v[34:35], v[32:33], v[26:29]
	v_bfe_u32 v58, v66, 16, 1
	v_add3_u32 v32, v66, v58, s8
	v_add3_u32 v33, v67, v57, s8
	v_perm_b32 v26, v31, v30, s5
	v_perm_b32 v27, v37, v36, s5
	v_mfma_f32_16x16x16_bf16 v[18:21], v[4:5], v[42:43], v[18:21]
	s_waitcnt vmcnt(1)
	v_cvt_pk_f32_fp8_e32 v[4:5], v14
	v_cvt_pk_f32_fp8_sdwa v[28:29], v14 src0_sel:WORD_1
	v_cvt_pk_f32_fp8_sdwa v[30:31], v16 src0_sel:WORD_1
	v_mfma_f32_16x16x16_bf16 v[18:21], v[26:27], v[44:45], v[18:21]
	v_cvt_pk_f32_fp8_e32 v[26:27], v15
	v_perm_b32 v4, v5, v4, s5
	v_perm_b32 v5, v29, v28, s5
	v_cvt_pk_f32_fp8_sdwa v[14:15], v15 src0_sel:WORD_1
	v_perm_b32 v26, v27, v26, s5
	v_cvt_pk_f32_fp8_e32 v[28:29], v16
	v_mfma_f32_16x16x16_bf16 v[18:21], v[4:5], v[22:23], v[18:21]
	v_perm_b32 v27, v15, v14, s5
	v_perm_b32 v4, v29, v28, s5
	v_perm_b32 v5, v31, v30, s5
	v_cvt_pk_f32_fp8_e32 v[22:23], v17
	v_cvt_pk_f32_fp8_sdwa v[28:29], v17 src0_sel:WORD_1
	v_mfma_f32_16x16x16_bf16 v[14:17], v[26:27], v[24:25], v[18:21]
	s_waitcnt vmcnt(0)
	v_cvt_pk_f32_fp8_sdwa v[24:25], v8 src0_sel:WORD_1
	s_nop 0
	v_perm_b32 v20, v23, v22, s5
	v_perm_b32 v21, v29, v28, s5
	v_mfma_f32_16x16x16_bf16 v[14:17], v[4:5], v[46:47], v[14:17]
	v_cvt_pk_f32_fp8_e32 v[4:5], v6
	v_cvt_pk_f32_fp8_sdwa v[22:23], v6 src0_sel:WORD_1
	v_bfe_u32 v19, v3, 16, 1
	v_mfma_f32_16x16x16_bf16 v[14:17], v[20:21], v[48:49], v[14:17]
	v_cvt_pk_f32_fp8_e32 v[20:21], v7
	v_perm_b32 v4, v5, v4, s5
	v_perm_b32 v5, v23, v22, s5
	v_cvt_pk_f32_fp8_sdwa v[6:7], v7 src0_sel:WORD_1
	v_perm_b32 v20, v21, v20, s5
	v_cvt_pk_f32_fp8_e32 v[22:23], v8
	v_add3_u32 v3, v3, v19, s8
	v_perm_b32 v21, v7, v6, s5
	v_mfma_f32_16x16x16_bf16 v[4:7], v[4:5], v[10:11], v[14:17]
	v_perm_b32 v10, v23, v22, s5
	v_perm_b32 v11, v25, v24, s5
	;; [unrolled: 1-line block ×3, first 2 shown]
	v_cvt_pk_f32_fp8_e32 v[14:15], v9
	v_cvt_pk_f32_fp8_sdwa v[8:9], v9 src0_sel:WORD_1
	v_mfma_f32_16x16x16_bf16 v[4:7], v[20:21], v[12:13], v[4:7]
	v_bfe_u32 v16, v2, 16, 1
	v_perm_b32 v12, v15, v14, s5
	v_perm_b32 v13, v9, v8, s5
	v_mfma_f32_16x16x16_bf16 v[4:7], v[10:11], v[50:51], v[4:7]
	v_add3_u32 v2, v2, v16, s8
	v_perm_b32 v19, v3, v2, s5
	v_mfma_f32_16x16x16_bf16 v[2:5], v[12:13], v[52:53], v[4:7]
	s_nop 6
	v_pk_mul_f32 v[2:3], v[2:3], s[4:5] op_sel_hi:[1,0]
	v_pk_mul_f32 v[4:5], v[4:5], s[4:5] op_sel_hi:[1,0]
	v_bfe_u32 v6, v3, 16, 1
	v_bfe_u32 v7, v2, 16, 1
	v_add3_u32 v2, v2, v7, s8
	v_add3_u32 v3, v3, v6, s8
	v_perm_b32 v2, v3, v2, s5
	v_bfe_u32 v3, v5, 16, 1
	v_bfe_u32 v6, v4, 16, 1
	v_add3_u32 v4, v4, v6, s8
	v_add3_u32 v3, v5, v3, s8
	v_perm_b32 v3, v3, v4, s5
	ds_write2st64_b64 v55, v[18:19], v[2:3] offset1:1
	s_waitcnt lgkmcnt(0)
	s_barrier
	s_and_saveexec_b64 s[4:5], vcc
	s_cbranch_execz .LBB1401_18
; %bb.16:
	s_load_dwordx2 s[4:5], s[0:1], 0x68
	s_lshl_b32 s0, s6, 7
	s_mul_i32 s1, s7, s2
	v_lshlrev_b32_e32 v3, 6, v56
	s_mul_hi_u32 s7, s1, s0
	s_mul_i32 s6, s1, s0
	v_lshl_or_b32 v0, v0, 10, v3
	s_lshl_b64 s[6:7], s[6:7], 1
	v_lshlrev_b32_e32 v2, 5, v60
	v_and_b32_e32 v1, 16, v1
	v_and_b32_e32 v0, 0x1a00, v0
	s_waitcnt lgkmcnt(0)
	s_add_u32 s1, s4, s6
	v_or3_b32 v2, v0, v2, v1
	s_addc_u32 s4, s5, s7
	s_lshl_b32 s2, s22, 7
	ds_read_b128 v[4:7], v2 offset:256
	s_lshl_b64 s[2:3], s[2:3], 1
	ds_read_b128 v[8:11], v2 offset:128
	ds_read_b128 v[12:15], v2
	s_add_u32 s2, s1, s2
	s_addc_u32 s3, s4, s3
	v_mov_b32_e32 v55, 0
	v_add_u32_e32 v18, s48, v60
	v_lshl_add_u64 v[0:1], s[2:3], 0, v[54:55]
	v_mad_u64_u32 v[16:17], s[2:3], v18, s0, 0
	v_lshl_add_u64 v[16:17], v[16:17], 1, v[0:1]
	s_waitcnt lgkmcnt(0)
	global_store_dwordx4 v[16:17], v[12:15], off
	v_or_b32_e32 v3, 12, v60
	v_cmp_gt_u32_e32 vcc, 14, v3
	v_add_u32_e32 v12, 4, v18
	v_mad_u64_u32 v[12:13], s[2:3], v12, s0, 0
	v_lshl_add_u64 v[12:13], v[12:13], 1, v[0:1]
	global_store_dwordx4 v[12:13], v[8:11], off
	s_nop 1
	v_add_u32_e32 v8, 8, v18
	v_mad_u64_u32 v[8:9], s[2:3], v8, s0, 0
	v_lshl_add_u64 v[8:9], v[8:9], 1, v[0:1]
	global_store_dwordx4 v[8:9], v[4:7], off
	s_and_b64 exec, exec, vcc
	s_cbranch_execz .LBB1401_18
; %bb.17:
	ds_read_b128 v[4:7], v2 offset:384
	v_add_u32_e32 v2, s48, v3
	v_mad_u64_u32 v[2:3], s[0:1], v2, s0, 0
	v_lshl_add_u64 v[0:1], v[2:3], 1, v[0:1]
	s_waitcnt lgkmcnt(0)
	global_store_dwordx4 v[0:1], v[4:7], off
.LBB1401_18:
	s_endpgm
	.section	.rodata,"a",@progbits
	.p2align	6, 0x0
	.amdhsa_kernel _Z39paged_attention_ll4mi_QKV_mfma16_kernelI14__hip_bfloat16hLN4vllm18Fp8KVCacheDataTypeE1ES0_Li32ELi128ELi256ELb0ELi14EEvPKT_PKT0_S8_ifPKiSA_SA_iPKfiiiPfSD_PS3_PT2_iSC_SC_
		.amdhsa_group_segment_fixed_size 8192
		.amdhsa_private_segment_fixed_size 0
		.amdhsa_kernarg_size 400
		.amdhsa_user_sgpr_count 2
		.amdhsa_user_sgpr_dispatch_ptr 0
		.amdhsa_user_sgpr_queue_ptr 0
		.amdhsa_user_sgpr_kernarg_segment_ptr 1
		.amdhsa_user_sgpr_dispatch_id 0
		.amdhsa_user_sgpr_kernarg_preload_length 0
		.amdhsa_user_sgpr_kernarg_preload_offset 0
		.amdhsa_user_sgpr_private_segment_size 0
		.amdhsa_uses_dynamic_stack 0
		.amdhsa_enable_private_segment 0
		.amdhsa_system_sgpr_workgroup_id_x 1
		.amdhsa_system_sgpr_workgroup_id_y 1
		.amdhsa_system_sgpr_workgroup_id_z 1
		.amdhsa_system_sgpr_workgroup_info 0
		.amdhsa_system_vgpr_workitem_id 0
		.amdhsa_next_free_vgpr 82
		.amdhsa_next_free_sgpr 50
		.amdhsa_accum_offset 84
		.amdhsa_reserve_vcc 1
		.amdhsa_float_round_mode_32 0
		.amdhsa_float_round_mode_16_64 0
		.amdhsa_float_denorm_mode_32 3
		.amdhsa_float_denorm_mode_16_64 3
		.amdhsa_dx10_clamp 1
		.amdhsa_ieee_mode 1
		.amdhsa_fp16_overflow 0
		.amdhsa_tg_split 0
		.amdhsa_exception_fp_ieee_invalid_op 0
		.amdhsa_exception_fp_denorm_src 0
		.amdhsa_exception_fp_ieee_div_zero 0
		.amdhsa_exception_fp_ieee_overflow 0
		.amdhsa_exception_fp_ieee_underflow 0
		.amdhsa_exception_fp_ieee_inexact 0
		.amdhsa_exception_int_div_zero 0
	.end_amdhsa_kernel
	.section	.text._Z39paged_attention_ll4mi_QKV_mfma16_kernelI14__hip_bfloat16hLN4vllm18Fp8KVCacheDataTypeE1ES0_Li32ELi128ELi256ELb0ELi14EEvPKT_PKT0_S8_ifPKiSA_SA_iPKfiiiPfSD_PS3_PT2_iSC_SC_,"axG",@progbits,_Z39paged_attention_ll4mi_QKV_mfma16_kernelI14__hip_bfloat16hLN4vllm18Fp8KVCacheDataTypeE1ES0_Li32ELi128ELi256ELb0ELi14EEvPKT_PKT0_S8_ifPKiSA_SA_iPKfiiiPfSD_PS3_PT2_iSC_SC_,comdat
.Lfunc_end1401:
	.size	_Z39paged_attention_ll4mi_QKV_mfma16_kernelI14__hip_bfloat16hLN4vllm18Fp8KVCacheDataTypeE1ES0_Li32ELi128ELi256ELb0ELi14EEvPKT_PKT0_S8_ifPKiSA_SA_iPKfiiiPfSD_PS3_PT2_iSC_SC_, .Lfunc_end1401-_Z39paged_attention_ll4mi_QKV_mfma16_kernelI14__hip_bfloat16hLN4vllm18Fp8KVCacheDataTypeE1ES0_Li32ELi128ELi256ELb0ELi14EEvPKT_PKT0_S8_ifPKiSA_SA_iPKfiiiPfSD_PS3_PT2_iSC_SC_
                                        ; -- End function
	.section	.AMDGPU.csdata,"",@progbits
; Kernel info:
; codeLenInByte = 6452
; NumSgprs: 56
; NumVgprs: 82
; NumAgprs: 0
; TotalNumVgprs: 82
; ScratchSize: 0
; MemoryBound: 0
; FloatMode: 240
; IeeeMode: 1
; LDSByteSize: 8192 bytes/workgroup (compile time only)
; SGPRBlocks: 6
; VGPRBlocks: 10
; NumSGPRsForWavesPerEU: 56
; NumVGPRsForWavesPerEU: 82
; AccumOffset: 84
; Occupancy: 5
; WaveLimiterHint : 1
; COMPUTE_PGM_RSRC2:SCRATCH_EN: 0
; COMPUTE_PGM_RSRC2:USER_SGPR: 2
; COMPUTE_PGM_RSRC2:TRAP_HANDLER: 0
; COMPUTE_PGM_RSRC2:TGID_X_EN: 1
; COMPUTE_PGM_RSRC2:TGID_Y_EN: 1
; COMPUTE_PGM_RSRC2:TGID_Z_EN: 1
; COMPUTE_PGM_RSRC2:TIDIG_COMP_CNT: 0
; COMPUTE_PGM_RSRC3_GFX90A:ACCUM_OFFSET: 20
; COMPUTE_PGM_RSRC3_GFX90A:TG_SPLIT: 0
	.section	.text._Z39paged_attention_ll4mi_QKV_mfma16_kernelI14__hip_bfloat16hLN4vllm18Fp8KVCacheDataTypeE1ES0_Li32ELi128ELi256ELb0ELi15EEvPKT_PKT0_S8_ifPKiSA_SA_iPKfiiiPfSD_PS3_PT2_iSC_SC_,"axG",@progbits,_Z39paged_attention_ll4mi_QKV_mfma16_kernelI14__hip_bfloat16hLN4vllm18Fp8KVCacheDataTypeE1ES0_Li32ELi128ELi256ELb0ELi15EEvPKT_PKT0_S8_ifPKiSA_SA_iPKfiiiPfSD_PS3_PT2_iSC_SC_,comdat
	.protected	_Z39paged_attention_ll4mi_QKV_mfma16_kernelI14__hip_bfloat16hLN4vllm18Fp8KVCacheDataTypeE1ES0_Li32ELi128ELi256ELb0ELi15EEvPKT_PKT0_S8_ifPKiSA_SA_iPKfiiiPfSD_PS3_PT2_iSC_SC_ ; -- Begin function _Z39paged_attention_ll4mi_QKV_mfma16_kernelI14__hip_bfloat16hLN4vllm18Fp8KVCacheDataTypeE1ES0_Li32ELi128ELi256ELb0ELi15EEvPKT_PKT0_S8_ifPKiSA_SA_iPKfiiiPfSD_PS3_PT2_iSC_SC_
	.globl	_Z39paged_attention_ll4mi_QKV_mfma16_kernelI14__hip_bfloat16hLN4vllm18Fp8KVCacheDataTypeE1ES0_Li32ELi128ELi256ELb0ELi15EEvPKT_PKT0_S8_ifPKiSA_SA_iPKfiiiPfSD_PS3_PT2_iSC_SC_
	.p2align	8
	.type	_Z39paged_attention_ll4mi_QKV_mfma16_kernelI14__hip_bfloat16hLN4vllm18Fp8KVCacheDataTypeE1ES0_Li32ELi128ELi256ELb0ELi15EEvPKT_PKT0_S8_ifPKiSA_SA_iPKfiiiPfSD_PS3_PT2_iSC_SC_,@function
_Z39paged_attention_ll4mi_QKV_mfma16_kernelI14__hip_bfloat16hLN4vllm18Fp8KVCacheDataTypeE1ES0_Li32ELi128ELi256ELb0ELi15EEvPKT_PKT0_S8_ifPKiSA_SA_iPKfiiiPfSD_PS3_PT2_iSC_SC_: ; @_Z39paged_attention_ll4mi_QKV_mfma16_kernelI14__hip_bfloat16hLN4vllm18Fp8KVCacheDataTypeE1ES0_Li32ELi128ELi256ELb0ELi15EEvPKT_PKT0_S8_ifPKiSA_SA_iPKfiiiPfSD_PS3_PT2_iSC_SC_
; %bb.0:
	s_load_dwordx2 s[12:13], s[0:1], 0x30
	s_mov_b32 s22, s3
	s_mov_b64 s[6:7], 0
	s_waitcnt lgkmcnt(0)
	s_cmp_lg_u64 s[12:13], 0
	s_cselect_b64 s[14:15], -1, 0
	s_and_b64 vcc, exec, s[14:15]
	s_cbranch_vccz .LBB1402_7
; %bb.1:
	s_add_i32 s8, s2, 1
	s_mov_b32 s9, 0
	s_lshl_b64 s[10:11], s[8:9], 2
	s_add_u32 s10, s12, s10
	s_mov_b32 s3, s9
	s_addc_u32 s11, s13, s11
	s_lshl_b64 s[8:9], s[2:3], 2
	s_add_u32 s8, s12, s8
	s_addc_u32 s9, s13, s9
	s_load_dword s5, s[10:11], 0x0
	s_load_dword s16, s[8:9], 0x0
	s_waitcnt lgkmcnt(0)
	s_sub_i32 s5, s5, s16
	s_cmp_eq_u32 s5, 1
	s_cselect_b64 s[8:9], -1, 0
	s_andn2_b64 vcc, exec, s[6:7]
	s_cbranch_vccnz .LBB1402_3
.LBB1402_2:
	s_mov_b32 s3, 0
	s_mov_b64 s[8:9], -1
.LBB1402_3:
	s_andn2_b64 vcc, exec, s[8:9]
	s_cbranch_vccnz .LBB1402_18
; %bb.4:
	s_load_dwordx2 s[6:7], s[0:1], 0x28
	s_lshl_b64 s[16:17], s[2:3], 2
	s_waitcnt lgkmcnt(0)
	s_add_u32 s6, s6, s16
	s_addc_u32 s7, s7, s17
	s_load_dword s5, s[6:7], 0x0
	s_lshl_b32 s18, s22, 8
	s_waitcnt lgkmcnt(0)
	s_cmp_ge_i32 s18, s5
	s_cbranch_scc1 .LBB1402_18
; %bb.5:
	s_load_dwordx2 s[6:7], s[0:1], 0x20
	s_load_dword s8, s[0:1], 0x38
	s_add_i32 s9, s5, 31
	s_ashr_i32 s10, s9, 31
	v_and_b32_e32 v1, 0xcf, v0
	s_lshr_b32 s10, s10, 27
	v_add_u32_e32 v1, s18, v1
	s_add_i32 s9, s9, s10
	v_ashrrev_i32_e32 v2, 31, v1
	s_ashr_i32 s19, s9, 5
	v_lshrrev_b32_e32 v10, 27, v2
	s_add_i32 s19, s19, -1
	s_waitcnt lgkmcnt(0)
	s_mul_i32 s8, s2, s8
	s_mov_b32 s9, 0
	v_add_u32_e32 v2, v1, v10
	s_lshl_b64 s[8:9], s[8:9], 2
	v_ashrrev_i32_e32 v2, 5, v2
	v_mov_b32_e32 v11, s19
	v_cmp_gt_i32_e32 vcc, s5, v1
	s_add_u32 s6, s6, s8
	s_addc_u32 s7, s7, s9
	v_cndmask_b32_e32 v2, v11, v2, vcc
	v_ashrrev_i32_e32 v3, 31, v2
	v_lshl_add_u64 v[4:5], v[2:3], 2, s[6:7]
	v_or_b32_e32 v2, 16, v1
	v_add_u32_e32 v3, v2, v10
	v_ashrrev_i32_e32 v3, 5, v3
	v_cmp_gt_i32_e32 vcc, s5, v2
	s_load_dwordx4 s[8:11], s[0:1], 0x8
	s_nop 0
	v_cndmask_b32_e32 v2, v11, v3, vcc
	v_ashrrev_i32_e32 v3, 31, v2
	v_lshl_add_u64 v[6:7], v[2:3], 2, s[6:7]
	v_or_b32_e32 v2, 32, v1
	v_add_u32_e32 v3, v2, v10
	v_ashrrev_i32_e32 v3, 5, v3
	v_cmp_gt_i32_e32 vcc, s5, v2
	v_or_b32_e32 v1, 48, v1
	s_nop 0
	v_cndmask_b32_e32 v2, v11, v3, vcc
	v_ashrrev_i32_e32 v3, 31, v2
	v_lshl_add_u64 v[8:9], v[2:3], 2, s[6:7]
	v_add_u32_e32 v2, v1, v10
	v_ashrrev_i32_e32 v2, 5, v2
	v_cmp_gt_i32_e32 vcc, s5, v1
	s_nop 1
	v_cndmask_b32_e32 v2, v11, v2, vcc
	v_ashrrev_i32_e32 v3, 31, v2
	v_lshl_add_u64 v[10:11], v[2:3], 2, s[6:7]
	global_load_dword v2, v[4:5], off
	global_load_dword v24, v[6:7], off
	;; [unrolled: 1-line block ×4, first 2 shown]
	s_andn2_b64 vcc, exec, s[14:15]
	s_cbranch_vccnz .LBB1402_8
; %bb.6:
	s_add_u32 s12, s12, s16
	s_addc_u32 s13, s13, s17
	s_load_dword s14, s[12:13], 0x0
	s_branch .LBB1402_9
.LBB1402_7:
	s_mov_b64 s[8:9], 0
	s_branch .LBB1402_2
.LBB1402_8:
	s_mov_b32 s14, s2
.LBB1402_9:
	s_load_dwordx4 s[44:47], s[0:1], 0x48
	v_lshrrev_b32_e32 v57, 6, v0
	v_bfe_u32 v60, v0, 4, 2
	v_and_b32_e32 v56, 15, v0
	v_lshl_or_b32 v3, v57, 2, v60
	v_lshlrev_b32_e32 v1, 3, v56
	v_and_b32_e32 v61, 63, v0
	s_mul_i32 s48, s4, 15
	v_cmp_gt_u32_e32 vcc, 15, v3
	v_lshlrev_b32_e32 v54, 1, v1
	v_lshlrev_b32_e32 v1, 4, v0
	s_and_saveexec_b64 s[12:13], vcc
	s_cbranch_execz .LBB1402_11
; %bb.10:
	s_load_dwordx2 s[16:17], s[0:1], 0x0
	s_waitcnt lgkmcnt(0)
	s_ashr_i32 s15, s44, 31
	s_mul_hi_u32 s20, s14, s44
	s_mul_i32 s15, s14, s15
	s_add_i32 s15, s20, s15
	s_mul_i32 s14, s14, s44
	s_lshl_b64 s[14:15], s[14:15], 1
	s_add_u32 s14, s16, s14
	v_add_lshl_u32 v4, v3, s48, 7
	s_addc_u32 s15, s17, s15
	v_ashrrev_i32_e32 v5, 31, v4
	v_lshl_add_u64 v[4:5], v[4:5], 1, s[14:15]
	v_mov_b32_e32 v55, 0
	v_lshl_add_u64 v[4:5], v[4:5], 0, v[54:55]
	global_load_dwordx4 v[4:7], v[4:5], off
	v_lshlrev_b32_e32 v9, 8, v0
	v_lshlrev_b32_e32 v8, 8, v56
	v_and_b32_e32 v9, 0x600, v9
	s_movk_i32 s14, 0x800
	v_and_or_b32 v8, v8, s14, v9
	v_lshlrev_b32_e32 v3, 5, v3
	v_and_b32_e32 v9, 16, v1
	v_or3_b32 v3, v8, v3, v9
	s_waitcnt vmcnt(0)
	ds_write_b128 v3, v[4:7]
.LBB1402_11:
	s_or_b64 exec, exec, s[12:13]
	s_waitcnt lgkmcnt(0)
	s_mul_i32 s12, s4, s46
	s_add_u32 s8, s8, s12
	s_addc_u32 s9, s9, 0
	v_mov_b32_e32 v59, 0
	v_mov_b64_e32 v[12:13], s[8:9]
	v_and_b32_e32 v8, 48, v0
	s_waitcnt vmcnt(3)
	v_mad_i64_i32 v[2:3], s[8:9], v2, s45, v[12:13]
	v_lshlrev_b32_e32 v10, 4, v56
	v_mov_b32_e32 v11, v59
	v_lshlrev_b32_e32 v58, 5, v8
	v_lshl_add_u64 v[2:3], v[2:3], 0, v[10:11]
	v_lshl_add_u64 v[6:7], v[2:3], 0, v[58:59]
	s_load_dword s23, s[0:1], 0x98
	s_load_dwordx4 s[40:43], s[0:1], 0x80
	s_waitcnt lgkmcnt(0)
	s_barrier
	global_load_dwordx4 v[2:5], v[6:7], off
	global_load_dwordx4 v[30:33], v[6:7], off offset:2048
	v_cmp_ne_u32_e32 vcc, 15, v56
	s_ashr_i32 s8, s18, 31
	v_or_b32_e32 v34, 0x100, v10
	v_cndmask_b32_e32 v6, 0, v56, vcc
	v_mov_b32_e32 v35, v59
	s_lshr_b32 s13, s8, 27
	s_waitcnt vmcnt(4)
	v_mad_i64_i32 v[24:25], s[8:9], v24, s45, v[12:13]
	v_lshlrev_b32_e32 v6, 5, v6
	v_lshl_add_u64 v[24:25], v[24:25], 0, v[34:35]
	v_lshl_or_b32 v6, v60, 9, v6
	v_lshl_add_u64 v[24:25], v[24:25], 0, v[58:59]
	v_or_b32_e32 v39, s18, v8
	ds_read_b128 v[26:29], v6
	ds_read_b128 v[18:21], v6 offset:16
	ds_read_b128 v[14:17], v6 offset:2048
	;; [unrolled: 1-line block ×3, first 2 shown]
	global_load_dwordx4 v[50:53], v[24:25], off
	global_load_dwordx4 v[46:49], v[24:25], off offset:2048
	v_or_b32_e32 v40, 64, v39
	v_or_b32_e32 v41, 0x80, v39
	s_waitcnt vmcnt(5)
	v_mad_i64_i32 v[36:37], s[8:9], v22, s45, v[12:13]
	v_add_u32_e32 v22, s13, v39
	v_mov_b32_e32 v38, s19
	v_or_b32_e32 v43, 0xc0, v39
	s_waitcnt vmcnt(4)
	v_mad_i64_i32 v[12:13], s[8:9], v23, s45, v[12:13]
	v_add_u32_e32 v23, s13, v40
	v_add_u32_e32 v42, s13, v41
	v_ashrrev_i32_e32 v22, 5, v22
	v_cmp_gt_i32_e32 vcc, s5, v39
	v_add_u32_e32 v44, s13, v43
	v_lshl_add_u64 v[10:11], v[36:37], 0, v[10:11]
	v_ashrrev_i32_e32 v23, 5, v23
	v_ashrrev_i32_e32 v36, 5, v42
	v_cndmask_b32_e32 v42, v38, v22, vcc
	v_cmp_gt_i32_e32 vcc, s5, v40
	v_lshl_add_u64 v[12:13], v[12:13], 0, v[34:35]
	v_ashrrev_i32_e32 v37, 5, v44
	v_cndmask_b32_e32 v44, v38, v23, vcc
	v_cmp_gt_i32_e32 vcc, s5, v41
	v_lshl_add_u64 v[10:11], v[10:11], 0, v[58:59]
	v_lshl_add_u64 v[34:35], v[12:13], 0, v[58:59]
	v_cndmask_b32_e32 v62, v38, v36, vcc
	v_cmp_gt_i32_e32 vcc, s5, v43
	v_ashrrev_i32_e32 v43, 31, v42
	v_ashrrev_i32_e32 v45, 31, v44
	v_cndmask_b32_e32 v64, v38, v37, vcc
	global_load_dwordx4 v[22:25], v[10:11], off
	s_nop 0
	global_load_dwordx4 v[10:13], v[10:11], off offset:2048
	s_nop 0
	global_load_dwordx4 v[38:41], v[34:35], off
	s_nop 0
	global_load_dwordx4 v[34:37], v[34:35], off offset:2048
	v_ashrrev_i32_e32 v63, 31, v62
	v_ashrrev_i32_e32 v65, 31, v64
	v_lshl_add_u64 v[42:43], v[42:43], 2, s[6:7]
	v_lshl_add_u64 v[44:45], v[44:45], 2, s[6:7]
	;; [unrolled: 1-line block ×4, first 2 shown]
	global_load_dword v65, v[42:43], off
	global_load_dword v64, v[44:45], off
	;; [unrolled: 1-line block ×3, first 2 shown]
	s_nop 0
	global_load_dword v62, v[66:67], off
	s_mov_b32 s33, 0x7060302
	s_add_u32 s6, s10, s12
	s_addc_u32 s7, s11, 0
	v_and_b32_e32 v58, 16, v0
	v_lshl_or_b32 v63, v57, 4, v56
	s_load_dword s4, s[0:1], 0x1c
	s_waitcnt vmcnt(11)
	v_cvt_pk_f32_fp8_e32 v[42:43], v2
	v_cvt_pk_f32_fp8_sdwa v[44:45], v2 src0_sel:WORD_1
	v_cvt_pk_f32_fp8_e32 v[66:67], v3
	v_cvt_pk_f32_fp8_sdwa v[2:3], v3 src0_sel:WORD_1
	v_perm_b32 v42, v43, v42, s33
	v_perm_b32 v43, v45, v44, s33
	v_cvt_pk_f32_fp8_e32 v[68:69], v4
	v_cvt_pk_f32_fp8_sdwa v[70:71], v4 src0_sel:WORD_1
	v_perm_b32 v66, v67, v66, s33
	v_perm_b32 v67, v3, v2, s33
	s_waitcnt lgkmcnt(0)
	v_mfma_f32_16x16x16_bf16 v[42:45], v[42:43], v[26:27], 0
	v_cvt_pk_f32_fp8_e32 v[72:73], v5
	v_cvt_pk_f32_fp8_sdwa v[74:75], v5 src0_sel:WORD_1
	v_perm_b32 v68, v69, v68, s33
	v_perm_b32 v69, v71, v70, s33
	v_mfma_f32_16x16x16_bf16 v[2:5], v[66:67], v[28:29], v[42:45]
	s_waitcnt vmcnt(10)
	v_cvt_pk_f32_fp8_sdwa v[66:67], v30 src0_sel:WORD_1
	s_waitcnt vmcnt(6)
	v_cvt_pk_f32_fp8_sdwa v[78:79], v13 src0_sel:WORD_1
	v_perm_b32 v42, v73, v72, s33
	v_cvt_pk_f32_fp8_e32 v[44:45], v30
	v_perm_b32 v43, v75, v74, s33
	v_mfma_f32_16x16x16_bf16 v[2:5], v[68:69], v[18:19], v[2:5]
	v_cvt_pk_f32_fp8_sdwa v[68:69], v46 src0_sel:WORD_1
	v_perm_b32 v44, v45, v44, s33
	v_perm_b32 v45, v67, v66, s33
	v_cvt_pk_f32_fp8_e32 v[66:67], v31
	v_cvt_pk_f32_fp8_sdwa v[30:31], v31 src0_sel:WORD_1
	v_mfma_f32_16x16x16_bf16 v[2:5], v[42:43], v[20:21], v[2:5]
	v_cvt_pk_f32_fp8_e32 v[72:73], v11
	v_perm_b32 v42, v67, v66, s33
	v_perm_b32 v43, v31, v30, s33
	v_mfma_f32_16x16x16_bf16 v[2:5], v[44:45], v[14:15], v[2:5]
	v_cvt_pk_f32_fp8_e32 v[30:31], v32
	v_cvt_pk_f32_fp8_sdwa v[44:45], v32 src0_sel:WORD_1
	v_cvt_pk_f32_fp8_sdwa v[66:67], v50 src0_sel:WORD_1
	v_mfma_f32_16x16x16_bf16 v[2:5], v[42:43], v[16:17], v[2:5]
	v_perm_b32 v30, v31, v30, s33
	v_perm_b32 v31, v45, v44, s33
	v_cvt_pk_f32_fp8_e32 v[42:43], v33
	v_cvt_pk_f32_fp8_sdwa v[32:33], v33 src0_sel:WORD_1
	v_cvt_pk_f32_fp8_e32 v[44:45], v50
	v_mfma_f32_16x16x16_bf16 v[2:5], v[30:31], v[6:7], v[2:5]
	v_perm_b32 v42, v43, v42, s33
	v_perm_b32 v43, v33, v32, s33
	;; [unrolled: 1-line block ×4, first 2 shown]
	v_cvt_pk_f32_fp8_e32 v[32:33], v51
	v_cvt_pk_f32_fp8_sdwa v[50:51], v51 src0_sel:WORD_1
	v_mfma_f32_16x16x16_bf16 v[42:45], v[42:43], v[8:9], v[2:5]
	v_cvt_pk_f32_fp8_sdwa v[66:67], v52 src0_sel:WORD_1
	v_perm_b32 v32, v33, v32, s33
	v_perm_b32 v33, v51, v50, s33
	v_mfma_f32_16x16x16_bf16 v[2:5], v[30:31], v[26:27], 0
	v_cvt_pk_f32_fp8_e32 v[30:31], v52
	v_lshl_add_u64 v[50:51], s[6:7], 0, v[58:59]
	v_lshlrev_b32_e32 v58, 5, v63
	v_mfma_f32_16x16x16_bf16 v[2:5], v[32:33], v[28:29], v[2:5]
	v_cvt_pk_f32_fp8_e32 v[32:33], v53
	v_perm_b32 v30, v31, v30, s33
	v_perm_b32 v31, v67, v66, s33
	v_cvt_pk_f32_fp8_sdwa v[52:53], v53 src0_sel:WORD_1
	v_perm_b32 v32, v33, v32, s33
	v_cvt_pk_f32_fp8_e32 v[66:67], v46
	v_mfma_f32_16x16x16_bf16 v[2:5], v[30:31], v[18:19], v[2:5]
	v_perm_b32 v33, v53, v52, s33
	v_perm_b32 v30, v67, v66, s33
	;; [unrolled: 1-line block ×3, first 2 shown]
	v_cvt_pk_f32_fp8_e32 v[52:53], v47
	v_cvt_pk_f32_fp8_sdwa v[46:47], v47 src0_sel:WORD_1
	v_mfma_f32_16x16x16_bf16 v[2:5], v[32:33], v[20:21], v[2:5]
	v_lshl_add_u64 v[66:67], v[50:51], 0, v[58:59]
	v_perm_b32 v32, v53, v52, s33
	v_perm_b32 v33, v47, v46, s33
	v_mfma_f32_16x16x16_bf16 v[2:5], v[30:31], v[14:15], v[2:5]
	v_cvt_pk_f32_fp8_e32 v[30:31], v48
	v_cvt_pk_f32_fp8_sdwa v[46:47], v48 src0_sel:WORD_1
	v_cvt_pk_f32_fp8_sdwa v[52:53], v22 src0_sel:WORD_1
	v_mfma_f32_16x16x16_bf16 v[2:5], v[32:33], v[16:17], v[2:5]
	v_perm_b32 v30, v31, v30, s33
	v_perm_b32 v31, v47, v46, s33
	v_cvt_pk_f32_fp8_e32 v[32:33], v49
	v_cvt_pk_f32_fp8_sdwa v[46:47], v49 src0_sel:WORD_1
	v_cvt_pk_f32_fp8_e32 v[48:49], v22
	v_mfma_f32_16x16x16_bf16 v[2:5], v[30:31], v[6:7], v[2:5]
	v_perm_b32 v32, v33, v32, s33
	v_perm_b32 v33, v47, v46, s33
	;; [unrolled: 1-line block ×4, first 2 shown]
	v_cvt_pk_f32_fp8_e32 v[52:53], v23
	v_cvt_pk_f32_fp8_sdwa v[22:23], v23 src0_sel:WORD_1
	v_mfma_f32_16x16x16_bf16 v[46:49], v[32:33], v[8:9], v[2:5]
	s_waitcnt vmcnt(2)
	v_mad_i64_i32 v[68:69], s[6:7], v64, s45, v[66:67]
	v_perm_b32 v32, v53, v52, s33
	v_perm_b32 v33, v23, v22, s33
	v_mfma_f32_16x16x16_bf16 v[2:5], v[30:31], v[26:27], 0
	v_cvt_pk_f32_fp8_e32 v[22:23], v24
	v_cvt_pk_f32_fp8_sdwa v[30:31], v24 src0_sel:WORD_1
	v_mad_i64_i32 v[52:53], s[6:7], v65, s45, v[66:67]
	v_perm_b32 v22, v23, v22, s33
	v_perm_b32 v23, v31, v30, s33
	v_cvt_pk_f32_fp8_e32 v[30:31], v25
	v_cvt_pk_f32_fp8_sdwa v[24:25], v25 src0_sel:WORD_1
	v_mfma_f32_16x16x16_bf16 v[2:5], v[32:33], v[28:29], v[2:5]
	s_waitcnt vmcnt(0)
	v_mad_i64_i32 v[74:75], s[6:7], v62, s45, v[66:67]
	v_perm_b32 v70, v31, v30, s33
	v_perm_b32 v71, v25, v24, s33
	v_mfma_f32_16x16x16_bf16 v[2:5], v[22:23], v[18:19], v[2:5]
	global_load_dwordx4 v[30:33], v[52:53], off
	global_load_dwordx4 v[22:25], v[68:69], off
	v_cvt_pk_f32_fp8_e32 v[68:69], v10
	v_mad_i64_i32 v[52:53], s[6:7], v55, s45, v[66:67]
	v_mfma_f32_16x16x16_bf16 v[2:5], v[70:71], v[20:21], v[2:5]
	v_cvt_pk_f32_fp8_sdwa v[70:71], v10 src0_sel:WORD_1
	v_cvt_pk_f32_fp8_sdwa v[10:11], v11 src0_sel:WORD_1
	v_perm_b32 v68, v69, v68, s33
	v_or_b32_e32 v58, 0x800, v58
	v_perm_b32 v69, v71, v70, s33
	v_perm_b32 v70, v73, v72, s33
	;; [unrolled: 1-line block ×3, first 2 shown]
	v_cvt_pk_f32_fp8_e32 v[10:11], v12
	v_cvt_pk_f32_fp8_sdwa v[72:73], v12 src0_sel:WORD_1
	v_mfma_f32_16x16x16_bf16 v[66:69], v[68:69], v[14:15], v[2:5]
	v_lshl_add_u64 v[50:51], v[50:51], 0, v[58:59]
	v_perm_b32 v76, v11, v10, s33
	v_perm_b32 v77, v73, v72, s33
	v_cvt_pk_f32_fp8_e32 v[72:73], v13
	v_mfma_f32_16x16x16_bf16 v[66:69], v[70:71], v[16:17], v[66:69]
	global_load_dwordx4 v[10:13], v[52:53], off
	global_load_dwordx4 v[2:5], v[74:75], off
	v_perm_b32 v53, v79, v78, s33
	v_perm_b32 v52, v73, v72, s33
	v_mfma_f32_16x16x16_bf16 v[66:69], v[76:77], v[6:7], v[66:69]
	v_cvt_pk_f32_fp8_e32 v[58:59], v38
	v_cvt_pk_f32_fp8_sdwa v[70:71], v38 src0_sel:WORD_1
	v_cvt_pk_f32_fp8_e32 v[74:75], v40
	v_mfma_f32_16x16x16_bf16 v[66:69], v[52:53], v[8:9], v[66:69]
	v_cvt_pk_f32_fp8_e32 v[52:53], v39
	v_perm_b32 v58, v59, v58, s33
	v_perm_b32 v59, v71, v70, s33
	v_cvt_pk_f32_fp8_sdwa v[38:39], v39 src0_sel:WORD_1
	v_perm_b32 v52, v53, v52, s33
	v_cvt_pk_f32_fp8_sdwa v[76:77], v40 src0_sel:WORD_1
	v_mfma_f32_16x16x16_bf16 v[70:73], v[58:59], v[26:27], 0
	v_perm_b32 v53, v39, v38, s33
	v_perm_b32 v38, v75, v74, s33
	;; [unrolled: 1-line block ×3, first 2 shown]
	v_cvt_pk_f32_fp8_e32 v[58:59], v41
	v_cvt_pk_f32_fp8_sdwa v[40:41], v41 src0_sel:WORD_1
	v_mfma_f32_16x16x16_bf16 v[26:29], v[52:53], v[28:29], v[70:73]
	s_load_dword s6, s[40:41], 0x0
	v_perm_b32 v58, v59, v58, s33
	v_perm_b32 v59, v41, v40, s33
	v_mfma_f32_16x16x16_bf16 v[26:29], v[38:39], v[18:19], v[26:29]
	v_cvt_pk_f32_fp8_e32 v[40:41], v35
	v_mov_b32_e32 v52, s4
	s_waitcnt lgkmcnt(0)
	v_mul_f32_e32 v70, s6, v52
	v_mfma_f32_16x16x16_bf16 v[18:21], v[58:59], v[20:21], v[26:29]
	v_pk_mul_f32 v[52:53], v[70:71], v[42:43] op_sel_hi:[0,1]
	s_mov_b32 s40, 0xff7fffff
	v_pk_mul_f32 v[38:39], v[70:71], v[44:45] op_sel_hi:[0,1]
	v_cvt_pk_f32_fp8_e32 v[26:27], v34
	v_cvt_pk_f32_fp8_sdwa v[28:29], v34 src0_sel:WORD_1
	v_cvt_pk_f32_fp8_sdwa v[34:35], v35 src0_sel:WORD_1
	v_pk_mul_f32 v[58:59], v[70:71], v[46:47] op_sel_hi:[0,1]
	v_perm_b32 v26, v27, v26, s33
	v_perm_b32 v27, v29, v28, s33
	v_perm_b32 v28, v41, v40, s33
	v_perm_b32 v29, v35, v34, s33
	v_cvt_pk_f32_fp8_e32 v[34:35], v36
	v_cvt_pk_f32_fp8_sdwa v[40:41], v36 src0_sel:WORD_1
	v_mfma_f32_16x16x16_bf16 v[18:21], v[26:27], v[14:15], v[18:21]
	v_pk_mul_f32 v[48:49], v[70:71], v[48:49] op_sel_hi:[0,1]
	v_perm_b32 v26, v35, v34, s33
	v_perm_b32 v27, v41, v40, s33
	v_cvt_pk_f32_fp8_e32 v[34:35], v37
	v_cvt_pk_f32_fp8_sdwa v[36:37], v37 src0_sel:WORD_1
	v_mfma_f32_16x16x16_bf16 v[14:17], v[28:29], v[16:17], v[18:21]
	v_pk_mul_f32 v[40:41], v[70:71], v[66:67] op_sel_hi:[0,1]
	v_pk_mul_f32 v[44:45], v[70:71], v[68:69] op_sel_hi:[0,1]
	v_mad_i64_i32 v[72:73], s[6:7], v65, s45, v[50:51]
	v_perm_b32 v18, v35, v34, s33
	v_perm_b32 v19, v37, v36, s33
	v_mfma_f32_16x16x16_bf16 v[14:17], v[26:27], v[6:7], v[14:17]
	s_nop 0
	v_mfma_f32_16x16x16_bf16 v[6:9], v[18:19], v[8:9], v[14:17]
	s_nop 6
	v_pk_mul_f32 v[42:43], v[70:71], v[6:7] op_sel_hi:[0,1]
	v_and_b32_e32 v6, 0xc0, v0
	v_add_u32_e32 v6, s18, v6
	v_lshl_or_b32 v6, v60, 2, v6
	v_pk_mul_f32 v[34:35], v[70:71], v[8:9] op_sel_hi:[0,1]
	v_or_b32_e32 v9, 1, v6
	v_mov_b32_e32 v7, 0xff7fffff
	v_cmp_gt_i32_e64 s[24:25], s5, v6
	v_cmp_gt_i32_e64 s[26:27], s5, v9
	v_or_b32_e32 v14, 3, v6
	v_cndmask_b32_e64 v8, v7, v52, s[24:25]
	v_cndmask_b32_e64 v9, v7, v53, s[26:27]
	v_max3_f32 v8, v8, s40, v9
	v_or_b32_e32 v9, 2, v6
	v_cmp_gt_i32_e64 s[28:29], s5, v9
	v_cmp_gt_i32_e64 s[30:31], s5, v14
	s_nop 0
	v_cndmask_b32_e64 v9, v7, v38, s[28:29]
	v_cndmask_b32_e64 v14, v7, v39, s[30:31]
	v_max3_f32 v8, v8, v9, v14
	v_or_b32_e32 v9, 16, v6
	v_or_b32_e32 v14, 17, v6
	v_cmp_gt_i32_e64 s[34:35], s5, v9
	v_cmp_gt_i32_e64 s[36:37], s5, v14
	s_nop 0
	v_cndmask_b32_e64 v9, v7, v58, s[34:35]
	v_cndmask_b32_e64 v14, v7, v59, s[36:37]
	v_max3_f32 v8, v8, v9, v14
	v_or_b32_e32 v9, 18, v6
	;; [unrolled: 8-line block ×6, first 2 shown]
	v_or_b32_e32 v6, 51, v6
	v_cmp_gt_i32_e32 vcc, s5, v9
	v_cmp_gt_i32_e64 s[4:5], s5, v6
	s_nop 0
	v_cndmask_b32_e32 v9, v7, v34, vcc
	v_cndmask_b32_e64 v6, v7, v35, s[4:5]
	v_max3_f32 v8, v8, v9, v6
	v_mbcnt_lo_u32_b32 v6, -1, 0
	v_mbcnt_hi_u32_b32 v9, -1, v6
	v_and_b32_e32 v6, 64, v9
	v_add_u32_e32 v14, 64, v6
	v_xor_b32_e32 v6, 32, v9
	v_cmp_lt_i32_e64 s[38:39], v6, v14
	s_nop 1
	v_cndmask_b32_e64 v6, v9, v6, s[38:39]
	v_lshlrev_b32_e32 v65, 2, v6
	ds_bpermute_b32 v15, v65, v8
	v_mad_i64_i32 v[6:7], s[38:39], v64, s45, v[50:51]
	global_load_dwordx4 v[26:29], v[72:73], off
	global_load_dwordx4 v[18:21], v[6:7], off
	s_waitcnt lgkmcnt(0)
	v_max_f32_e32 v6, v15, v15
	v_max_f32_e32 v15, v8, v6
	v_xor_b32_e32 v6, 16, v9
	v_cmp_lt_i32_e64 s[38:39], v6, v14
	s_nop 1
	v_cndmask_b32_e64 v6, v9, v6, s[38:39]
	v_lshlrev_b32_e32 v64, 2, v6
	ds_bpermute_b32 v14, v64, v15
	v_mad_i64_i32 v[6:7], s[38:39], v55, s45, v[50:51]
	v_mad_i64_i32 v[8:9], s[38:39], v62, s45, v[50:51]
	s_waitcnt lgkmcnt(0)
	v_max_f32_e32 v14, v14, v14
	v_max_f32_e32 v50, v15, v14
	v_sub_f32_e32 v14, v52, v50
	v_mul_f32_e32 v14, 0x3fb8aa3b, v14
	v_exp_f32_e32 v36, v14
	v_sub_f32_e32 v14, v53, v50
	v_mul_f32_e32 v14, 0x3fb8aa3b, v14
	v_exp_f32_e32 v37, v14
	global_load_dwordx4 v[14:17], v[6:7], off
	s_nop 0
	global_load_dwordx4 v[6:9], v[8:9], off
	v_sub_f32_e32 v38, v38, v50
	v_mul_f32_e32 v38, 0x3fb8aa3b, v38
	v_sub_f32_e32 v39, v39, v50
	v_exp_f32_e32 v38, v38
	v_mul_f32_e32 v39, 0x3fb8aa3b, v39
	v_exp_f32_e32 v39, v39
	v_cndmask_b32_e64 v36, 0, v36, s[24:25]
	v_add_f32_e32 v46, 0, v36
	v_cndmask_b32_e64 v37, 0, v37, s[26:27]
	v_add_f32_e32 v47, v46, v37
	;; [unrolled: 2-line block ×3, first 2 shown]
	v_cndmask_b32_e64 v47, 0, v39, s[30:31]
	v_sub_f32_e32 v39, v58, v50
	v_mul_f32_e32 v39, 0x3fb8aa3b, v39
	v_sub_f32_e32 v51, v59, v50
	v_exp_f32_e32 v39, v39
	v_mul_f32_e32 v51, 0x3fb8aa3b, v51
	v_sub_f32_e32 v48, v48, v50
	v_exp_f32_e32 v51, v51
	;; [unrolled: 3-line block ×4, first 2 shown]
	v_mul_f32_e32 v40, 0x3fb8aa3b, v40
	v_sub_f32_e32 v41, v41, v50
	v_add_f32_e32 v52, v38, v47
	v_cndmask_b32_e64 v38, 0, v39, s[34:35]
	v_exp_f32_e32 v40, v40
	v_mul_f32_e32 v41, 0x3fb8aa3b, v41
	v_sub_f32_e32 v44, v44, v50
	v_add_f32_e32 v52, v52, v38
	v_cndmask_b32_e64 v39, 0, v51, s[36:37]
	v_exp_f32_e32 v41, v41
	;; [unrolled: 5-line block ×7, first 2 shown]
	v_mul_f32_e32 v35, 0x3fb8aa3b, v35
	v_add_f32_e32 v51, v51, v44
	v_cndmask_b32_e64 v45, 0, v45, s[12:13]
	v_exp_f32_e32 v35, v35
	v_add_f32_e32 v51, v51, v45
	v_cndmask_b32_e64 v42, 0, v42, s[6:7]
	v_add_f32_e32 v51, v51, v42
	v_cndmask_b32_e64 v43, 0, v43, s[8:9]
	v_add_f32_e32 v51, v51, v43
	v_cndmask_b32_e32 v34, 0, v34, vcc
	v_add_f32_e32 v51, v51, v34
	v_cndmask_b32_e64 v35, 0, v35, s[4:5]
	v_add_f32_e32 v51, v51, v35
	ds_bpermute_b32 v52, v65, v51
	v_cmp_gt_u32_e32 vcc, 16, v61
	s_waitcnt lgkmcnt(0)
	s_barrier
	v_add_f32_e32 v51, v51, v52
	ds_bpermute_b32 v52, v64, v51
	s_and_saveexec_b64 s[4:5], vcc
	s_cbranch_execz .LBB1402_13
; %bb.12:
	s_waitcnt lgkmcnt(0)
	v_add_f32_e32 v51, v51, v52
	v_lshlrev_b32_e32 v52, 2, v63
	ds_write2st64_b32 v52, v50, v51 offset1:1
.LBB1402_13:
	s_or_b64 exec, exec, s[4:5]
	v_lshlrev_b32_e32 v51, 2, v56
	s_load_dword s6, s[0:1], 0x94
	s_waitcnt lgkmcnt(0)
	s_barrier
	ds_read2_b32 v[52:53], v51 offset1:16
	ds_read2_b32 v[58:59], v51 offset0:32 offset1:48
	ds_read2_b32 v[62:63], v51 offset0:64 offset1:80
	s_movk_i32 s8, 0x7fff
	s_mul_i32 s7, s23, 15
	s_waitcnt lgkmcnt(2)
	v_max3_f32 v50, v52, s40, v53
	s_waitcnt lgkmcnt(1)
	v_max3_f32 v50, v50, v58, v59
	v_sub_f32_e32 v52, v52, v50
	v_mul_f32_e32 v52, 0x3fb8aa3b, v52
	v_exp_f32_e32 v55, v52
	v_sub_f32_e32 v52, v53, v50
	v_mul_f32_e32 v52, 0x3fb8aa3b, v52
	v_exp_f32_e32 v61, v52
	;; [unrolled: 3-line block ×3, first 2 shown]
	ds_read2_b32 v[52:53], v51 offset0:96 offset1:112
	v_sub_f32_e32 v51, v59, v50
	v_mul_f32_e32 v51, 0x3fb8aa3b, v51
	v_exp_f32_e32 v59, v51
	s_waitcnt lgkmcnt(1)
	v_fma_f32 v51, v55, v62, 0
	v_fmac_f32_e32 v51, v61, v63
	s_waitcnt lgkmcnt(0)
	v_fmac_f32_e32 v51, v58, v52
	v_fmac_f32_e32 v51, v59, v53
	v_add_f32_e32 v52, 0x358637bd, v51
	v_div_scale_f32 v53, s[4:5], v52, v52, 1.0
	v_rcp_f32_e32 v62, v53
	s_barrier
	v_fma_f32 v63, -v53, v62, 1.0
	v_fmac_f32_e32 v62, v63, v62
	v_div_scale_f32 v63, vcc, 1.0, v52, 1.0
	v_mul_f32_e32 v64, v63, v62
	v_fma_f32 v65, -v53, v64, v63
	v_fmac_f32_e32 v64, v65, v62
	v_fma_f32 v53, -v53, v64, v63
	v_div_fmas_f32 v53, v53, v62, v64
	v_cmp_eq_u32_e32 vcc, 1, v57
	v_div_fixup_f32 v52, v53, v52, 1.0
	s_nop 0
	v_cndmask_b32_e32 v53, v55, v61, vcc
	v_cmp_eq_u32_e32 vcc, 2, v57
	s_nop 1
	v_cndmask_b32_e32 v53, v53, v58, vcc
	v_cmp_eq_u32_e32 vcc, 3, v57
	s_nop 1
	v_cndmask_b32_e32 v53, v53, v59, vcc
	v_mul_f32_e32 v52, v53, v52
	v_pk_mul_f32 v[36:37], v[52:53], v[36:37] op_sel_hi:[0,1]
	v_pk_mul_f32 v[46:47], v[52:53], v[46:47] op_sel_hi:[0,1]
	v_bfe_u32 v53, v37, 16, 1
	v_bfe_u32 v55, v36, 16, 1
	v_add3_u32 v36, v36, v55, s8
	v_add3_u32 v37, v37, v53, s8
	v_perm_b32 v58, v37, v36, s33
	v_bfe_u32 v36, v47, 16, 1
	v_bfe_u32 v37, v46, 16, 1
	v_add3_u32 v37, v46, v37, s8
	v_add3_u32 v36, v47, v36, s8
	v_perm_b32 v59, v36, v37, s33
	v_lshlrev_b32_e32 v37, 3, v60
	v_lshlrev_b32_e32 v36, 5, v56
	;; [unrolled: 1-line block ×3, first 2 shown]
	v_pk_mul_f32 v[38:39], v[52:53], v[38:39] op_sel_hi:[0,1]
	v_or3_b32 v55, v46, v36, v37
	v_pk_mul_f32 v[46:47], v[52:53], v[48:49] op_sel_hi:[0,1]
	v_bfe_u32 v37, v39, 16, 1
	v_bfe_u32 v48, v38, 16, 1
	v_add3_u32 v38, v38, v48, s8
	v_add3_u32 v37, v39, v37, s8
	v_perm_b32 v38, v37, v38, s33
	v_bfe_u32 v37, v47, 16, 1
	v_bfe_u32 v39, v46, 16, 1
	v_add3_u32 v39, v46, v39, s8
	v_add3_u32 v37, v47, v37, s8
	v_perm_b32 v39, v37, v39, s33
	v_pk_mul_f32 v[40:41], v[52:53], v[40:41] op_sel_hi:[0,1]
	ds_write2st64_b64 v55, v[58:59], v[38:39] offset1:1
	v_pk_mul_f32 v[38:39], v[52:53], v[44:45] op_sel_hi:[0,1]
	v_bfe_u32 v37, v41, 16, 1
	v_bfe_u32 v44, v40, 16, 1
	v_add3_u32 v40, v40, v44, s8
	v_add3_u32 v37, v41, v37, s8
	v_perm_b32 v40, v37, v40, s33
	v_bfe_u32 v37, v39, 16, 1
	v_bfe_u32 v41, v38, 16, 1
	v_add3_u32 v38, v38, v41, s8
	v_add3_u32 v37, v39, v37, s8
	v_perm_b32 v41, v37, v38, s33
	v_pk_mul_f32 v[38:39], v[52:53], v[42:43] op_sel_hi:[0,1]
	v_bfe_u32 v37, v39, 16, 1
	v_bfe_u32 v42, v38, 16, 1
	v_pk_mul_f32 v[34:35], v[52:53], v[34:35] op_sel_hi:[0,1]
	v_add3_u32 v38, v38, v42, s8
	v_add3_u32 v37, v39, v37, s8
	v_perm_b32 v38, v37, v38, s33
	v_bfe_u32 v37, v35, 16, 1
	v_bfe_u32 v39, v34, 16, 1
	v_add3_u32 v34, v34, v39, s8
	v_add3_u32 v35, v35, v37, s8
	v_perm_b32 v39, v35, v34, s33
	v_cmp_gt_u32_e32 vcc, 15, v0
	ds_write2st64_b64 v55, v[40:41], v[38:39] offset0:2 offset1:3
	s_and_saveexec_b64 s[4:5], vcc
	s_cbranch_execz .LBB1402_15
; %bb.14:
	s_mov_b32 s49, 0
	v_mov_b32_e32 v57, 0
	v_lshl_add_u64 v[34:35], s[48:49], 0, v[56:57]
	v_mov_b32_e32 v37, s7
	v_mad_u64_u32 v[34:35], s[10:11], s2, v37, v[34:35]
	s_mul_i32 s3, s3, s7
	v_mov_b32_e32 v38, s22
	v_mov_b32_e32 v39, v57
	s_load_dwordx4 s[12:15], s[0:1], 0x58
	v_add_u32_e32 v37, s3, v35
	v_mad_u64_u32 v[34:35], s[10:11], v34, s6, v[38:39]
	v_mov_b32_e32 v38, v35
	v_mad_u64_u32 v[38:39], s[10:11], v37, s6, v[38:39]
	v_mov_b32_e32 v35, v38
	v_lshlrev_b64 v[34:35], 2, v[34:35]
	s_waitcnt lgkmcnt(0)
	v_lshl_add_u64 v[38:39], s[14:15], 0, v[34:35]
	v_lshl_add_u64 v[34:35], s[12:13], 0, v[34:35]
	global_store_dword v[38:39], v50, off
	global_store_dword v[34:35], v51, off
.LBB1402_15:
	s_or_b64 exec, exec, s[4:5]
	v_lshl_or_b32 v50, v60, 9, v36
	s_waitcnt vmcnt(7)
	v_cvt_pk_f32_fp8_e32 v[34:35], v30
	v_cvt_pk_f32_fp8_sdwa v[36:37], v30 src0_sel:WORD_1
	s_mov_b32 s5, 0x7060302
	s_waitcnt lgkmcnt(0)
	s_barrier
	v_cvt_pk_f32_fp8_e32 v[38:39], v31
	v_perm_b32 v30, v35, v34, s5
	v_cvt_pk_f32_fp8_sdwa v[40:41], v31 src0_sel:WORD_1
	v_perm_b32 v31, v37, v36, s5
	ds_read_b128 v[34:37], v50
	v_perm_b32 v46, v39, v38, s5
	v_perm_b32 v47, v41, v40, s5
	ds_read_b128 v[38:41], v50 offset:16
	v_cvt_pk_f32_fp8_e32 v[48:49], v32
	v_cvt_pk_f32_fp8_sdwa v[52:53], v32 src0_sel:WORD_1
	s_waitcnt lgkmcnt(1)
	v_mfma_f32_16x16x16_bf16 v[42:45], v[30:31], v[34:35], 0
	s_waitcnt vmcnt(6)
	v_cvt_pk_f32_fp8_e32 v[58:59], v24
	v_perm_b32 v30, v49, v48, s5
	v_perm_b32 v31, v53, v52, s5
	v_cvt_pk_f32_fp8_e32 v[48:49], v33
	v_mfma_f32_16x16x16_bf16 v[42:45], v[46:47], v[36:37], v[42:45]
	v_cvt_pk_f32_fp8_sdwa v[46:47], v33 src0_sel:WORD_1
	v_cvt_pk_f32_fp8_sdwa v[62:63], v24 src0_sel:WORD_1
	v_perm_b32 v48, v49, v48, s5
	s_waitcnt lgkmcnt(0)
	v_mfma_f32_16x16x16_bf16 v[30:33], v[30:31], v[38:39], v[42:45]
	v_perm_b32 v49, v47, v46, s5
	s_waitcnt vmcnt(5)
	v_cvt_pk_f32_fp8_sdwa v[66:67], v12 src0_sel:WORD_1
	s_waitcnt vmcnt(4)
	v_cvt_pk_f32_fp8_sdwa v[68:69], v4 src0_sel:WORD_1
	v_cvt_pk_f32_fp8_e32 v[42:43], v22
	v_mfma_f32_16x16x16_bf16 v[46:49], v[48:49], v[40:41], v[30:33]
	s_load_dword s4, s[42:43], 0x0
	s_waitcnt vmcnt(3)
	v_cvt_pk_f32_fp8_sdwa v[70:71], v28 src0_sel:WORD_1
	v_cvt_pk_f32_fp8_sdwa v[30:31], v22 src0_sel:WORD_1
	v_cvt_pk_f32_fp8_e32 v[32:33], v23
	v_perm_b32 v22, v43, v42, s5
	v_cvt_pk_f32_fp8_sdwa v[42:43], v23 src0_sel:WORD_1
	v_perm_b32 v23, v31, v30, s5
	v_perm_b32 v52, v33, v32, s5
	ds_read_b128 v[30:33], v50 offset:2048
	v_perm_b32 v53, v43, v42, s5
	ds_read_b128 v[42:45], v50 offset:2064
	s_waitcnt lgkmcnt(0)
	v_mfma_f32_16x16x16_bf16 v[46:49], v[22:23], v[30:31], v[46:49]
	v_perm_b32 v22, v59, v58, s5
	v_perm_b32 v23, v63, v62, s5
	v_cvt_pk_f32_fp8_e32 v[58:59], v25
	v_mfma_f32_16x16x16_bf16 v[46:49], v[52:53], v[32:33], v[46:49]
	v_cvt_pk_f32_fp8_sdwa v[52:53], v25 src0_sel:WORD_1
	s_mov_b32 s3, 0
	v_perm_b32 v58, v59, v58, s5
	v_mfma_f32_16x16x16_bf16 v[22:25], v[22:23], v[42:43], v[46:49]
	v_perm_b32 v59, v53, v52, s5
	v_cmp_gt_u32_e32 vcc, 64, v0
	s_nop 0
	v_cvt_pk_f32_fp8_e32 v[46:47], v10
	v_mfma_f32_16x16x16_bf16 v[62:65], v[58:59], v[44:45], v[22:25]
	v_cvt_pk_f32_fp8_e32 v[58:59], v12
	s_nop 1
	v_cvt_pk_f32_fp8_sdwa v[22:23], v10 src0_sel:WORD_1
	v_cvt_pk_f32_fp8_e32 v[24:25], v11
	v_perm_b32 v10, v47, v46, s5
	v_cvt_pk_f32_fp8_sdwa v[46:47], v11 src0_sel:WORD_1
	v_perm_b32 v11, v23, v22, s5
	v_perm_b32 v52, v25, v24, s5
	ds_read_b128 v[22:25], v50 offset:4096
	v_perm_b32 v53, v47, v46, s5
	ds_read_b128 v[46:49], v50 offset:4112
	s_waitcnt lgkmcnt(1)
	v_mfma_f32_16x16x16_bf16 v[62:65], v[10:11], v[22:23], v[62:65]
	v_perm_b32 v10, v59, v58, s5
	v_perm_b32 v11, v67, v66, s5
	v_cvt_pk_f32_fp8_e32 v[58:59], v13
	v_mfma_f32_16x16x16_bf16 v[62:65], v[52:53], v[24:25], v[62:65]
	v_cvt_pk_f32_fp8_sdwa v[52:53], v13 src0_sel:WORD_1
	v_cvt_pk_f32_fp8_e32 v[66:67], v4
	v_perm_b32 v58, v59, v58, s5
	s_waitcnt lgkmcnt(0)
	v_mfma_f32_16x16x16_bf16 v[10:13], v[10:11], v[46:47], v[62:65]
	v_perm_b32 v59, v53, v52, s5
	v_cvt_pk_f32_fp8_e32 v[52:53], v2
	s_nop 0
	v_mfma_f32_16x16x16_bf16 v[62:65], v[58:59], v[48:49], v[10:13]
	s_nop 2
	v_cvt_pk_f32_fp8_sdwa v[10:11], v2 src0_sel:WORD_1
	v_cvt_pk_f32_fp8_e32 v[12:13], v3
	v_perm_b32 v2, v53, v52, s5
	v_cvt_pk_f32_fp8_sdwa v[52:53], v3 src0_sel:WORD_1
	v_perm_b32 v3, v11, v10, s5
	v_perm_b32 v58, v13, v12, s5
	ds_read_b128 v[10:13], v50 offset:6144
	v_perm_b32 v59, v53, v52, s5
	s_waitcnt lgkmcnt(0)
	v_mfma_f32_16x16x16_bf16 v[62:65], v[2:3], v[10:11], v[62:65]
	ds_read_b128 v[50:53], v50 offset:6160
	v_perm_b32 v2, v67, v66, s5
	v_perm_b32 v3, v69, v68, s5
	v_cvt_pk_f32_fp8_e32 v[66:67], v5
	v_mfma_f32_16x16x16_bf16 v[62:65], v[58:59], v[12:13], v[62:65]
	v_cvt_pk_f32_fp8_sdwa v[58:59], v5 src0_sel:WORD_1
	v_cvt_pk_f32_fp8_e32 v[68:69], v28
	v_perm_b32 v66, v67, v66, s5
	s_waitcnt lgkmcnt(0)
	v_mfma_f32_16x16x16_bf16 v[2:5], v[2:3], v[50:51], v[62:65]
	v_perm_b32 v67, v59, v58, s5
	v_cvt_pk_f32_fp8_sdwa v[58:59], v26 src0_sel:WORD_1
	s_nop 0
	v_mfma_f32_16x16x16_bf16 v[62:65], v[66:67], v[52:53], v[2:5]
	s_barrier
	s_nop 1
	v_cvt_pk_f32_fp8_e32 v[4:5], v26
	s_nop 2
	v_pk_mul_f32 v[66:67], v[62:63], s[4:5] op_sel_hi:[1,0]
	v_cvt_pk_f32_fp8_e32 v[62:63], v27
	v_perm_b32 v4, v5, v4, s5
	v_perm_b32 v5, v59, v58, s5
	v_cvt_pk_f32_fp8_sdwa v[26:27], v27 src0_sel:WORD_1
	v_perm_b32 v58, v63, v62, s5
	v_pk_mul_f32 v[2:3], v[64:65], s[4:5] op_sel_hi:[1,0]
	v_mfma_f32_16x16x16_bf16 v[62:65], v[4:5], v[34:35], 0
	v_perm_b32 v59, v27, v26, s5
	v_perm_b32 v4, v69, v68, s5
	v_perm_b32 v5, v71, v70, s5
	v_cvt_pk_f32_fp8_e32 v[34:35], v29
	v_cvt_pk_f32_fp8_sdwa v[68:69], v29 src0_sel:WORD_1
	v_mfma_f32_16x16x16_bf16 v[26:29], v[58:59], v[36:37], v[62:65]
	s_waitcnt vmcnt(2)
	v_cvt_pk_f32_fp8_sdwa v[36:37], v18 src0_sel:WORD_1
	v_perm_b32 v34, v35, v34, s5
	v_perm_b32 v35, v69, v68, s5
	v_mfma_f32_16x16x16_bf16 v[26:29], v[4:5], v[38:39], v[26:29]
	v_cvt_pk_f32_fp8_e32 v[4:5], v18
	v_cvt_pk_f32_fp8_sdwa v[38:39], v20 src0_sel:WORD_1
	v_bfe_u32 v57, v67, 16, 1
	v_mfma_f32_16x16x16_bf16 v[26:29], v[34:35], v[40:41], v[26:29]
	v_cvt_pk_f32_fp8_e32 v[34:35], v19
	v_perm_b32 v4, v5, v4, s5
	v_perm_b32 v5, v37, v36, s5
	v_cvt_pk_f32_fp8_sdwa v[18:19], v19 src0_sel:WORD_1
	v_perm_b32 v34, v35, v34, s5
	v_cvt_pk_f32_fp8_e32 v[36:37], v20
	v_mfma_f32_16x16x16_bf16 v[26:29], v[4:5], v[30:31], v[26:29]
	v_perm_b32 v35, v19, v18, s5
	v_perm_b32 v4, v37, v36, s5
	;; [unrolled: 1-line block ×3, first 2 shown]
	v_cvt_pk_f32_fp8_e32 v[30:31], v21
	v_cvt_pk_f32_fp8_sdwa v[36:37], v21 src0_sel:WORD_1
	v_mfma_f32_16x16x16_bf16 v[18:21], v[34:35], v[32:33], v[26:29]
	v_bfe_u32 v58, v66, 16, 1
	v_add3_u32 v32, v66, v58, s8
	v_add3_u32 v33, v67, v57, s8
	v_perm_b32 v26, v31, v30, s5
	v_perm_b32 v27, v37, v36, s5
	v_mfma_f32_16x16x16_bf16 v[18:21], v[4:5], v[42:43], v[18:21]
	s_waitcnt vmcnt(1)
	v_cvt_pk_f32_fp8_e32 v[4:5], v14
	v_cvt_pk_f32_fp8_sdwa v[28:29], v14 src0_sel:WORD_1
	v_cvt_pk_f32_fp8_sdwa v[30:31], v16 src0_sel:WORD_1
	v_mfma_f32_16x16x16_bf16 v[18:21], v[26:27], v[44:45], v[18:21]
	v_cvt_pk_f32_fp8_e32 v[26:27], v15
	v_perm_b32 v4, v5, v4, s5
	v_perm_b32 v5, v29, v28, s5
	v_cvt_pk_f32_fp8_sdwa v[14:15], v15 src0_sel:WORD_1
	v_perm_b32 v26, v27, v26, s5
	v_cvt_pk_f32_fp8_e32 v[28:29], v16
	v_mfma_f32_16x16x16_bf16 v[18:21], v[4:5], v[22:23], v[18:21]
	v_perm_b32 v27, v15, v14, s5
	v_perm_b32 v4, v29, v28, s5
	;; [unrolled: 1-line block ×3, first 2 shown]
	v_cvt_pk_f32_fp8_e32 v[22:23], v17
	v_cvt_pk_f32_fp8_sdwa v[28:29], v17 src0_sel:WORD_1
	v_mfma_f32_16x16x16_bf16 v[14:17], v[26:27], v[24:25], v[18:21]
	s_waitcnt vmcnt(0)
	v_cvt_pk_f32_fp8_sdwa v[24:25], v8 src0_sel:WORD_1
	s_nop 0
	v_perm_b32 v20, v23, v22, s5
	v_perm_b32 v21, v29, v28, s5
	v_mfma_f32_16x16x16_bf16 v[14:17], v[4:5], v[46:47], v[14:17]
	v_cvt_pk_f32_fp8_e32 v[4:5], v6
	v_cvt_pk_f32_fp8_sdwa v[22:23], v6 src0_sel:WORD_1
	v_bfe_u32 v19, v3, 16, 1
	v_mfma_f32_16x16x16_bf16 v[14:17], v[20:21], v[48:49], v[14:17]
	v_cvt_pk_f32_fp8_e32 v[20:21], v7
	v_perm_b32 v4, v5, v4, s5
	v_perm_b32 v5, v23, v22, s5
	v_cvt_pk_f32_fp8_sdwa v[6:7], v7 src0_sel:WORD_1
	v_perm_b32 v20, v21, v20, s5
	v_cvt_pk_f32_fp8_e32 v[22:23], v8
	v_add3_u32 v3, v3, v19, s8
	v_perm_b32 v21, v7, v6, s5
	v_mfma_f32_16x16x16_bf16 v[4:7], v[4:5], v[10:11], v[14:17]
	v_perm_b32 v10, v23, v22, s5
	v_perm_b32 v11, v25, v24, s5
	;; [unrolled: 1-line block ×3, first 2 shown]
	v_cvt_pk_f32_fp8_e32 v[14:15], v9
	v_cvt_pk_f32_fp8_sdwa v[8:9], v9 src0_sel:WORD_1
	v_mfma_f32_16x16x16_bf16 v[4:7], v[20:21], v[12:13], v[4:7]
	v_bfe_u32 v16, v2, 16, 1
	v_perm_b32 v12, v15, v14, s5
	v_perm_b32 v13, v9, v8, s5
	v_mfma_f32_16x16x16_bf16 v[4:7], v[10:11], v[50:51], v[4:7]
	v_add3_u32 v2, v2, v16, s8
	v_perm_b32 v19, v3, v2, s5
	v_mfma_f32_16x16x16_bf16 v[2:5], v[12:13], v[52:53], v[4:7]
	s_nop 6
	v_pk_mul_f32 v[2:3], v[2:3], s[4:5] op_sel_hi:[1,0]
	v_pk_mul_f32 v[4:5], v[4:5], s[4:5] op_sel_hi:[1,0]
	v_bfe_u32 v6, v3, 16, 1
	v_bfe_u32 v7, v2, 16, 1
	v_add3_u32 v2, v2, v7, s8
	v_add3_u32 v3, v3, v6, s8
	v_perm_b32 v2, v3, v2, s5
	v_bfe_u32 v3, v5, 16, 1
	v_bfe_u32 v6, v4, 16, 1
	v_add3_u32 v4, v4, v6, s8
	v_add3_u32 v3, v5, v3, s8
	v_perm_b32 v3, v3, v4, s5
	ds_write2st64_b64 v55, v[18:19], v[2:3] offset1:1
	s_waitcnt lgkmcnt(0)
	s_barrier
	s_and_saveexec_b64 s[4:5], vcc
	s_cbranch_execz .LBB1402_18
; %bb.16:
	s_load_dwordx2 s[4:5], s[0:1], 0x68
	s_lshl_b32 s0, s6, 7
	s_mul_i32 s1, s7, s2
	v_lshlrev_b32_e32 v3, 6, v56
	s_mul_hi_u32 s7, s1, s0
	s_mul_i32 s6, s1, s0
	v_lshl_or_b32 v0, v0, 10, v3
	s_lshl_b64 s[6:7], s[6:7], 1
	v_lshlrev_b32_e32 v2, 5, v60
	v_and_b32_e32 v1, 16, v1
	v_and_b32_e32 v0, 0x1a00, v0
	s_waitcnt lgkmcnt(0)
	s_add_u32 s1, s4, s6
	v_or3_b32 v2, v0, v2, v1
	s_addc_u32 s4, s5, s7
	s_lshl_b32 s2, s22, 7
	ds_read_b128 v[4:7], v2 offset:256
	s_lshl_b64 s[2:3], s[2:3], 1
	ds_read_b128 v[8:11], v2 offset:128
	ds_read_b128 v[12:15], v2
	s_add_u32 s2, s1, s2
	s_addc_u32 s3, s4, s3
	v_mov_b32_e32 v55, 0
	v_add_u32_e32 v3, s48, v60
	v_lshl_add_u64 v[0:1], s[2:3], 0, v[54:55]
	v_mad_u64_u32 v[16:17], s[2:3], v3, s0, 0
	v_lshl_add_u64 v[16:17], v[16:17], 1, v[0:1]
	s_waitcnt lgkmcnt(0)
	global_store_dwordx4 v[16:17], v[12:15], off
	v_cmp_ne_u32_e32 vcc, 3, v60
	s_nop 0
	v_add_u32_e32 v12, 4, v3
	v_mad_u64_u32 v[12:13], s[2:3], v12, s0, 0
	v_lshl_add_u64 v[12:13], v[12:13], 1, v[0:1]
	v_add_u32_e32 v3, 8, v3
	global_store_dwordx4 v[12:13], v[8:11], off
	s_nop 1
	v_mad_u64_u32 v[8:9], s[2:3], v3, s0, 0
	v_lshl_add_u64 v[8:9], v[8:9], 1, v[0:1]
	global_store_dwordx4 v[8:9], v[4:7], off
	s_and_b64 exec, exec, vcc
	s_cbranch_execz .LBB1402_18
; %bb.17:
	ds_read_b128 v[2:5], v2 offset:384
	v_add3_u32 v6, s48, v60, 12
	v_mad_u64_u32 v[6:7], s[0:1], v6, s0, 0
	v_lshl_add_u64 v[0:1], v[6:7], 1, v[0:1]
	s_waitcnt lgkmcnt(0)
	global_store_dwordx4 v[0:1], v[2:5], off
.LBB1402_18:
	s_endpgm
	.section	.rodata,"a",@progbits
	.p2align	6, 0x0
	.amdhsa_kernel _Z39paged_attention_ll4mi_QKV_mfma16_kernelI14__hip_bfloat16hLN4vllm18Fp8KVCacheDataTypeE1ES0_Li32ELi128ELi256ELb0ELi15EEvPKT_PKT0_S8_ifPKiSA_SA_iPKfiiiPfSD_PS3_PT2_iSC_SC_
		.amdhsa_group_segment_fixed_size 8192
		.amdhsa_private_segment_fixed_size 0
		.amdhsa_kernarg_size 400
		.amdhsa_user_sgpr_count 2
		.amdhsa_user_sgpr_dispatch_ptr 0
		.amdhsa_user_sgpr_queue_ptr 0
		.amdhsa_user_sgpr_kernarg_segment_ptr 1
		.amdhsa_user_sgpr_dispatch_id 0
		.amdhsa_user_sgpr_kernarg_preload_length 0
		.amdhsa_user_sgpr_kernarg_preload_offset 0
		.amdhsa_user_sgpr_private_segment_size 0
		.amdhsa_uses_dynamic_stack 0
		.amdhsa_enable_private_segment 0
		.amdhsa_system_sgpr_workgroup_id_x 1
		.amdhsa_system_sgpr_workgroup_id_y 1
		.amdhsa_system_sgpr_workgroup_id_z 1
		.amdhsa_system_sgpr_workgroup_info 0
		.amdhsa_system_vgpr_workitem_id 0
		.amdhsa_next_free_vgpr 80
		.amdhsa_next_free_sgpr 50
		.amdhsa_accum_offset 80
		.amdhsa_reserve_vcc 1
		.amdhsa_float_round_mode_32 0
		.amdhsa_float_round_mode_16_64 0
		.amdhsa_float_denorm_mode_32 3
		.amdhsa_float_denorm_mode_16_64 3
		.amdhsa_dx10_clamp 1
		.amdhsa_ieee_mode 1
		.amdhsa_fp16_overflow 0
		.amdhsa_tg_split 0
		.amdhsa_exception_fp_ieee_invalid_op 0
		.amdhsa_exception_fp_denorm_src 0
		.amdhsa_exception_fp_ieee_div_zero 0
		.amdhsa_exception_fp_ieee_overflow 0
		.amdhsa_exception_fp_ieee_underflow 0
		.amdhsa_exception_fp_ieee_inexact 0
		.amdhsa_exception_int_div_zero 0
	.end_amdhsa_kernel
	.section	.text._Z39paged_attention_ll4mi_QKV_mfma16_kernelI14__hip_bfloat16hLN4vllm18Fp8KVCacheDataTypeE1ES0_Li32ELi128ELi256ELb0ELi15EEvPKT_PKT0_S8_ifPKiSA_SA_iPKfiiiPfSD_PS3_PT2_iSC_SC_,"axG",@progbits,_Z39paged_attention_ll4mi_QKV_mfma16_kernelI14__hip_bfloat16hLN4vllm18Fp8KVCacheDataTypeE1ES0_Li32ELi128ELi256ELb0ELi15EEvPKT_PKT0_S8_ifPKiSA_SA_iPKfiiiPfSD_PS3_PT2_iSC_SC_,comdat
.Lfunc_end1402:
	.size	_Z39paged_attention_ll4mi_QKV_mfma16_kernelI14__hip_bfloat16hLN4vllm18Fp8KVCacheDataTypeE1ES0_Li32ELi128ELi256ELb0ELi15EEvPKT_PKT0_S8_ifPKiSA_SA_iPKfiiiPfSD_PS3_PT2_iSC_SC_, .Lfunc_end1402-_Z39paged_attention_ll4mi_QKV_mfma16_kernelI14__hip_bfloat16hLN4vllm18Fp8KVCacheDataTypeE1ES0_Li32ELi128ELi256ELb0ELi15EEvPKT_PKT0_S8_ifPKiSA_SA_iPKfiiiPfSD_PS3_PT2_iSC_SC_
                                        ; -- End function
	.section	.AMDGPU.csdata,"",@progbits
; Kernel info:
; codeLenInByte = 6436
; NumSgprs: 56
; NumVgprs: 80
; NumAgprs: 0
; TotalNumVgprs: 80
; ScratchSize: 0
; MemoryBound: 0
; FloatMode: 240
; IeeeMode: 1
; LDSByteSize: 8192 bytes/workgroup (compile time only)
; SGPRBlocks: 6
; VGPRBlocks: 9
; NumSGPRsForWavesPerEU: 56
; NumVGPRsForWavesPerEU: 80
; AccumOffset: 80
; Occupancy: 6
; WaveLimiterHint : 1
; COMPUTE_PGM_RSRC2:SCRATCH_EN: 0
; COMPUTE_PGM_RSRC2:USER_SGPR: 2
; COMPUTE_PGM_RSRC2:TRAP_HANDLER: 0
; COMPUTE_PGM_RSRC2:TGID_X_EN: 1
; COMPUTE_PGM_RSRC2:TGID_Y_EN: 1
; COMPUTE_PGM_RSRC2:TGID_Z_EN: 1
; COMPUTE_PGM_RSRC2:TIDIG_COMP_CNT: 0
; COMPUTE_PGM_RSRC3_GFX90A:ACCUM_OFFSET: 19
; COMPUTE_PGM_RSRC3_GFX90A:TG_SPLIT: 0
	.section	.text._Z39paged_attention_ll4mi_QKV_mfma16_kernelI14__hip_bfloat16hLN4vllm18Fp8KVCacheDataTypeE1ES0_Li32ELi128ELi256ELb0ELi16EEvPKT_PKT0_S8_ifPKiSA_SA_iPKfiiiPfSD_PS3_PT2_iSC_SC_,"axG",@progbits,_Z39paged_attention_ll4mi_QKV_mfma16_kernelI14__hip_bfloat16hLN4vllm18Fp8KVCacheDataTypeE1ES0_Li32ELi128ELi256ELb0ELi16EEvPKT_PKT0_S8_ifPKiSA_SA_iPKfiiiPfSD_PS3_PT2_iSC_SC_,comdat
	.protected	_Z39paged_attention_ll4mi_QKV_mfma16_kernelI14__hip_bfloat16hLN4vllm18Fp8KVCacheDataTypeE1ES0_Li32ELi128ELi256ELb0ELi16EEvPKT_PKT0_S8_ifPKiSA_SA_iPKfiiiPfSD_PS3_PT2_iSC_SC_ ; -- Begin function _Z39paged_attention_ll4mi_QKV_mfma16_kernelI14__hip_bfloat16hLN4vllm18Fp8KVCacheDataTypeE1ES0_Li32ELi128ELi256ELb0ELi16EEvPKT_PKT0_S8_ifPKiSA_SA_iPKfiiiPfSD_PS3_PT2_iSC_SC_
	.globl	_Z39paged_attention_ll4mi_QKV_mfma16_kernelI14__hip_bfloat16hLN4vllm18Fp8KVCacheDataTypeE1ES0_Li32ELi128ELi256ELb0ELi16EEvPKT_PKT0_S8_ifPKiSA_SA_iPKfiiiPfSD_PS3_PT2_iSC_SC_
	.p2align	8
	.type	_Z39paged_attention_ll4mi_QKV_mfma16_kernelI14__hip_bfloat16hLN4vllm18Fp8KVCacheDataTypeE1ES0_Li32ELi128ELi256ELb0ELi16EEvPKT_PKT0_S8_ifPKiSA_SA_iPKfiiiPfSD_PS3_PT2_iSC_SC_,@function
_Z39paged_attention_ll4mi_QKV_mfma16_kernelI14__hip_bfloat16hLN4vllm18Fp8KVCacheDataTypeE1ES0_Li32ELi128ELi256ELb0ELi16EEvPKT_PKT0_S8_ifPKiSA_SA_iPKfiiiPfSD_PS3_PT2_iSC_SC_: ; @_Z39paged_attention_ll4mi_QKV_mfma16_kernelI14__hip_bfloat16hLN4vllm18Fp8KVCacheDataTypeE1ES0_Li32ELi128ELi256ELb0ELi16EEvPKT_PKT0_S8_ifPKiSA_SA_iPKfiiiPfSD_PS3_PT2_iSC_SC_
; %bb.0:
	s_load_dwordx2 s[12:13], s[0:1], 0x30
	s_mov_b32 s24, s3
	s_mov_b64 s[6:7], 0
	s_waitcnt lgkmcnt(0)
	s_cmp_lg_u64 s[12:13], 0
	s_cselect_b64 s[14:15], -1, 0
	s_and_b64 vcc, exec, s[14:15]
	s_cbranch_vccz .LBB1403_7
; %bb.1:
	s_add_i32 s8, s2, 1
	s_mov_b32 s9, 0
	s_lshl_b64 s[10:11], s[8:9], 2
	s_add_u32 s10, s12, s10
	s_mov_b32 s3, s9
	s_addc_u32 s11, s13, s11
	s_lshl_b64 s[8:9], s[2:3], 2
	s_add_u32 s8, s12, s8
	s_addc_u32 s9, s13, s9
	s_load_dword s5, s[10:11], 0x0
	s_load_dword s16, s[8:9], 0x0
	s_waitcnt lgkmcnt(0)
	s_sub_i32 s5, s5, s16
	s_cmp_eq_u32 s5, 1
	s_cselect_b64 s[8:9], -1, 0
	s_andn2_b64 vcc, exec, s[6:7]
	s_cbranch_vccnz .LBB1403_3
.LBB1403_2:
	s_mov_b32 s3, 0
	s_mov_b64 s[8:9], -1
.LBB1403_3:
	s_andn2_b64 vcc, exec, s[8:9]
	s_cbranch_vccnz .LBB1403_17
; %bb.4:
	s_load_dwordx2 s[6:7], s[0:1], 0x28
	s_lshl_b64 s[16:17], s[2:3], 2
	s_waitcnt lgkmcnt(0)
	s_add_u32 s6, s6, s16
	s_addc_u32 s7, s7, s17
	s_load_dword s38, s[6:7], 0x0
	s_lshl_b32 s18, s24, 8
	s_waitcnt lgkmcnt(0)
	s_cmp_ge_i32 s18, s38
	s_cbranch_scc1 .LBB1403_17
; %bb.5:
	s_load_dwordx2 s[6:7], s[0:1], 0x20
	s_load_dword s8, s[0:1], 0x38
	s_add_i32 s5, s38, 31
	s_ashr_i32 s9, s5, 31
	v_and_b32_e32 v1, 0xcf, v0
	s_lshr_b32 s9, s9, 27
	v_add_u32_e32 v1, s18, v1
	s_add_i32 s5, s5, s9
	v_ashrrev_i32_e32 v2, 31, v1
	s_ashr_i32 s5, s5, 5
	v_lshrrev_b32_e32 v10, 27, v2
	s_add_i32 s5, s5, -1
	s_waitcnt lgkmcnt(0)
	s_mul_i32 s8, s2, s8
	s_mov_b32 s9, 0
	v_add_u32_e32 v2, v1, v10
	s_lshl_b64 s[8:9], s[8:9], 2
	v_ashrrev_i32_e32 v2, 5, v2
	v_mov_b32_e32 v11, s5
	v_cmp_gt_i32_e32 vcc, s38, v1
	s_add_u32 s6, s6, s8
	s_addc_u32 s7, s7, s9
	v_cndmask_b32_e32 v2, v11, v2, vcc
	v_ashrrev_i32_e32 v3, 31, v2
	v_lshl_add_u64 v[4:5], v[2:3], 2, s[6:7]
	v_or_b32_e32 v2, 16, v1
	v_add_u32_e32 v3, v2, v10
	v_ashrrev_i32_e32 v3, 5, v3
	v_cmp_gt_i32_e32 vcc, s38, v2
	s_load_dwordx4 s[8:11], s[0:1], 0x8
	s_nop 0
	v_cndmask_b32_e32 v2, v11, v3, vcc
	v_ashrrev_i32_e32 v3, 31, v2
	v_lshl_add_u64 v[6:7], v[2:3], 2, s[6:7]
	v_or_b32_e32 v2, 32, v1
	v_add_u32_e32 v3, v2, v10
	v_ashrrev_i32_e32 v3, 5, v3
	v_cmp_gt_i32_e32 vcc, s38, v2
	v_or_b32_e32 v1, 48, v1
	s_nop 0
	v_cndmask_b32_e32 v2, v11, v3, vcc
	v_ashrrev_i32_e32 v3, 31, v2
	v_lshl_add_u64 v[8:9], v[2:3], 2, s[6:7]
	v_add_u32_e32 v2, v1, v10
	v_ashrrev_i32_e32 v2, 5, v2
	v_cmp_gt_i32_e32 vcc, s38, v1
	s_nop 1
	v_cndmask_b32_e32 v2, v11, v2, vcc
	v_ashrrev_i32_e32 v3, 31, v2
	v_lshl_add_u64 v[10:11], v[2:3], 2, s[6:7]
	global_load_dword v2, v[4:5], off
	global_load_dword v32, v[6:7], off
	;; [unrolled: 1-line block ×4, first 2 shown]
	s_andn2_b64 vcc, exec, s[14:15]
	s_cbranch_vccnz .LBB1403_8
; %bb.6:
	s_add_u32 s12, s12, s16
	s_addc_u32 s13, s13, s17
	s_load_dword s14, s[12:13], 0x0
	s_branch .LBB1403_9
.LBB1403_7:
	s_mov_b64 s[8:9], 0
	s_branch .LBB1403_2
.LBB1403_8:
	s_mov_b32 s14, s2
.LBB1403_9:
	s_load_dwordx4 s[44:47], s[0:1], 0x48
	v_and_b32_e32 v60, 15, v0
	v_lshlrev_b32_e32 v3, 3, v60
	s_movk_i32 s12, 0x100
	v_lshrrev_b32_e32 v62, 6, v0
	v_and_b32_e32 v63, 63, v0
	v_bfe_u32 v1, v0, 4, 2
	s_lshl_b32 s25, s4, 4
	v_cmp_gt_u32_e32 vcc, s12, v0
	v_lshlrev_b32_e32 v54, 1, v3
	v_lshlrev_b32_e32 v61, 4, v0
	s_and_saveexec_b64 s[12:13], vcc
	s_cbranch_execz .LBB1403_11
; %bb.10:
	s_load_dwordx2 s[16:17], s[0:1], 0x0
	s_waitcnt lgkmcnt(0)
	s_ashr_i32 s15, s44, 31
	s_mul_hi_u32 s19, s14, s44
	s_mul_i32 s15, s14, s15
	s_add_i32 s15, s19, s15
	s_mul_i32 s14, s14, s44
	v_lshl_or_b32 v3, v62, 2, v1
	s_lshl_b64 s[14:15], s[14:15], 1
	s_add_u32 s14, s16, s14
	v_add_lshl_u32 v4, v3, s25, 7
	s_addc_u32 s15, s17, s15
	v_ashrrev_i32_e32 v5, 31, v4
	v_lshl_add_u64 v[4:5], v[4:5], 1, s[14:15]
	v_mov_b32_e32 v55, 0
	v_lshl_add_u64 v[4:5], v[4:5], 0, v[54:55]
	global_load_dwordx4 v[4:7], v[4:5], off
	v_lshlrev_b32_e32 v9, 8, v0
	v_lshlrev_b32_e32 v8, 8, v60
	v_and_b32_e32 v9, 0x600, v9
	s_movk_i32 s14, 0x800
	v_and_or_b32 v8, v8, s14, v9
	v_lshlrev_b32_e32 v3, 5, v3
	v_and_b32_e32 v9, 16, v61
	v_or3_b32 v3, v8, v3, v9
	s_waitcnt vmcnt(0)
	ds_write_b128 v3, v[4:7]
.LBB1403_11:
	s_or_b64 exec, exec, s[12:13]
	s_waitcnt lgkmcnt(0)
	s_mul_i32 s12, s4, s46
	s_add_u32 s8, s8, s12
	s_addc_u32 s9, s9, 0
	v_mov_b32_e32 v57, 0
	v_mov_b64_e32 v[24:25], s[8:9]
	v_and_b32_e32 v8, 48, v0
	s_waitcnt vmcnt(3)
	v_mad_i64_i32 v[2:3], s[8:9], v2, s45, v[24:25]
	v_lshlrev_b32_e32 v22, 4, v60
	v_mov_b32_e32 v23, v57
	v_lshlrev_b32_e32 v56, 5, v8
	v_lshl_add_u64 v[2:3], v[2:3], 0, v[22:23]
	v_lshl_add_u64 v[6:7], v[2:3], 0, v[56:57]
	s_load_dword s33, s[0:1], 0x98
	s_load_dwordx4 s[40:43], s[0:1], 0x80
	s_waitcnt lgkmcnt(0)
	s_barrier
	global_load_dwordx4 v[14:17], v[6:7], off
	global_load_dwordx4 v[2:5], v[6:7], off offset:2048
	s_ashr_i32 s4, s18, 31
	v_mov_b32_e32 v38, s5
	v_or_b32_e32 v34, 0x100, v22
	v_mov_b32_e32 v35, v57
	s_lshr_b32 s9, s4, 27
	s_waitcnt vmcnt(4)
	v_mad_i64_i32 v[32:33], s[4:5], v32, s45, v[24:25]
	v_lshlrev_b32_e32 v64, 5, v60
	v_lshl_add_u64 v[32:33], v[32:33], 0, v[34:35]
	v_lshl_or_b32 v55, v1, 9, v64
	v_lshl_add_u64 v[32:33], v[32:33], 0, v[56:57]
	v_or_b32_e32 v39, s18, v8
	ds_read_b128 v[26:29], v55
	ds_read_b128 v[18:21], v55 offset:16
	ds_read_b128 v[10:13], v55 offset:2048
	;; [unrolled: 1-line block ×3, first 2 shown]
	global_load_dwordx4 v[46:49], v[32:33], off
	v_or_b32_e32 v40, 64, v39
	s_waitcnt vmcnt(4)
	v_mad_i64_i32 v[36:37], s[4:5], v30, s45, v[24:25]
	v_add_u32_e32 v30, s9, v39
	s_waitcnt vmcnt(3)
	v_mad_i64_i32 v[24:25], s[4:5], v31, s45, v[24:25]
	v_add_u32_e32 v31, s9, v40
	v_ashrrev_i32_e32 v30, 5, v30
	v_cmp_gt_i32_e32 vcc, s38, v39
	v_ashrrev_i32_e32 v31, 5, v31
	v_or_b32_e32 v41, 0x80, v39
	v_cndmask_b32_e32 v50, v38, v30, vcc
	v_cmp_gt_i32_e32 vcc, s38, v40
	v_or_b32_e32 v42, 0xc0, v39
	v_add_u32_e32 v43, s9, v41
	v_cndmask_b32_e32 v52, v38, v31, vcc
	global_load_dwordx4 v[30:33], v[32:33], off offset:2048
	v_add_u32_e32 v44, s9, v42
	v_lshl_add_u64 v[22:23], v[36:37], 0, v[22:23]
	v_lshl_add_u64 v[24:25], v[24:25], 0, v[34:35]
	v_ashrrev_i32_e32 v43, 5, v43
	v_cmp_gt_i32_e32 vcc, s38, v41
	v_ashrrev_i32_e32 v44, 5, v44
	v_lshl_add_u64 v[34:35], v[22:23], 0, v[56:57]
	v_lshl_add_u64 v[36:37], v[24:25], 0, v[56:57]
	v_cndmask_b32_e32 v58, v38, v43, vcc
	v_cmp_gt_i32_e32 vcc, s38, v42
	s_mov_b32 s44, 0x7060302
	v_ashrrev_i32_e32 v51, 31, v50
	v_cndmask_b32_e32 v66, v38, v44, vcc
	global_load_dwordx4 v[22:25], v[34:35], off
	global_load_dwordx4 v[42:45], v[34:35], off offset:2048
	global_load_dwordx4 v[38:41], v[36:37], off
	s_nop 0
	global_load_dwordx4 v[34:37], v[36:37], off offset:2048
	v_ashrrev_i32_e32 v67, 31, v66
	v_lshl_add_u64 v[70:71], v[66:67], 2, s[6:7]
	v_ashrrev_i32_e32 v53, 31, v52
	v_lshl_add_u64 v[50:51], v[50:51], 2, s[6:7]
	v_lshl_add_u64 v[52:53], v[52:53], 2, s[6:7]
	v_ashrrev_i32_e32 v59, 31, v58
	v_lshl_add_u64 v[58:59], v[58:59], 2, s[6:7]
	s_add_u32 s4, s10, s12
	s_addc_u32 s5, s11, 0
	v_and_b32_e32 v56, 16, v0
	v_lshl_or_b32 v65, v62, 4, v60
	s_load_dword s8, s[0:1], 0x1c
	s_waitcnt vmcnt(7)
	v_cvt_pk_f32_fp8_e32 v[66:67], v14
	v_cvt_pk_f32_fp8_sdwa v[68:69], v14 src0_sel:WORD_1
	v_cvt_pk_f32_fp8_e32 v[72:73], v15
	v_cvt_pk_f32_fp8_sdwa v[14:15], v15 src0_sel:WORD_1
	;; [unrolled: 2-line block ×4, first 2 shown]
	v_perm_b32 v16, v67, v66, s44
	v_perm_b32 v17, v69, v68, s44
	;; [unrolled: 1-line block ×4, first 2 shown]
	s_waitcnt lgkmcnt(0)
	v_mfma_f32_16x16x16_bf16 v[14:17], v[16:17], v[26:27], 0
	v_perm_b32 v74, v75, v74, s44
	v_perm_b32 v75, v77, v76, s44
	s_waitcnt vmcnt(6)
	v_cvt_pk_f32_fp8_e32 v[66:67], v2
	v_mfma_f32_16x16x16_bf16 v[14:17], v[68:69], v[28:29], v[14:17]
	global_load_dword v68, v[50:51], off
	global_load_dword v69, v[52:53], off
	v_cvt_pk_f32_fp8_sdwa v[82:83], v2 src0_sel:WORD_1
	v_perm_b32 v76, v79, v78, s44
	v_perm_b32 v77, v81, v80, s44
	v_mfma_f32_16x16x16_bf16 v[14:17], v[74:75], v[18:19], v[14:17]
	v_perm_b32 v50, v67, v66, s44
	v_perm_b32 v51, v83, v82, s44
	v_cvt_pk_f32_fp8_e32 v[72:73], v3
	v_cvt_pk_f32_fp8_sdwa v[2:3], v3 src0_sel:WORD_1
	v_mfma_f32_16x16x16_bf16 v[14:17], v[76:77], v[20:21], v[14:17]
	v_cvt_pk_f32_fp8_e32 v[52:53], v5
	v_perm_b32 v72, v73, v72, s44
	v_perm_b32 v73, v3, v2, s44
	v_mfma_f32_16x16x16_bf16 v[14:17], v[50:51], v[10:11], v[14:17]
	v_cvt_pk_f32_fp8_e32 v[2:3], v4
	v_cvt_pk_f32_fp8_sdwa v[50:51], v4 src0_sel:WORD_1
	global_load_dword v67, v[58:59], off
	global_load_dword v66, v[70:71], off
	v_mfma_f32_16x16x16_bf16 v[14:17], v[72:73], v[12:13], v[14:17]
	v_perm_b32 v2, v3, v2, s44
	v_perm_b32 v3, v51, v50, s44
	v_cvt_pk_f32_fp8_sdwa v[4:5], v5 src0_sel:WORD_1
	v_perm_b32 v50, v53, v52, s44
	s_waitcnt vmcnt(9)
	v_cvt_pk_f32_fp8_e32 v[52:53], v46
	v_cvt_pk_f32_fp8_sdwa v[58:59], v46 src0_sel:WORD_1
	v_perm_b32 v51, v5, v4, s44
	v_mfma_f32_16x16x16_bf16 v[2:5], v[2:3], v[6:7], v[14:17]
	s_waitcnt vmcnt(8)
	v_cvt_pk_f32_fp8_sdwa v[70:71], v30 src0_sel:WORD_1
	s_waitcnt vmcnt(6)
	v_cvt_pk_f32_fp8_e32 v[74:75], v43
	v_cvt_pk_f32_fp8_sdwa v[76:77], v44 src0_sel:WORD_1
	v_perm_b32 v14, v53, v52, s44
	v_perm_b32 v15, v59, v58, s44
	v_cvt_pk_f32_fp8_e32 v[16:17], v47
	v_cvt_pk_f32_fp8_sdwa v[46:47], v47 src0_sel:WORD_1
	v_mfma_f32_16x16x16_bf16 v[50:53], v[50:51], v[8:9], v[2:5]
	v_lshl_add_u64 v[58:59], s[4:5], 0, v[56:57]
	v_perm_b32 v16, v17, v16, s44
	v_perm_b32 v17, v47, v46, s44
	v_mfma_f32_16x16x16_bf16 v[2:5], v[14:15], v[26:27], 0
	v_cvt_pk_f32_fp8_e32 v[14:15], v48
	v_cvt_pk_f32_fp8_sdwa v[46:47], v48 src0_sel:WORD_1
	v_lshlrev_b32_e32 v56, 5, v65
	v_mfma_f32_16x16x16_bf16 v[2:5], v[16:17], v[28:29], v[2:5]
	v_cvt_pk_f32_fp8_e32 v[16:17], v49
	v_perm_b32 v14, v15, v14, s44
	v_perm_b32 v15, v47, v46, s44
	v_cvt_pk_f32_fp8_sdwa v[46:47], v49 src0_sel:WORD_1
	v_perm_b32 v16, v17, v16, s44
	v_cvt_pk_f32_fp8_e32 v[48:49], v30
	v_mfma_f32_16x16x16_bf16 v[2:5], v[14:15], v[18:19], v[2:5]
	v_perm_b32 v17, v47, v46, s44
	v_perm_b32 v14, v49, v48, s44
	;; [unrolled: 1-line block ×3, first 2 shown]
	v_cvt_pk_f32_fp8_e32 v[46:47], v31
	v_cvt_pk_f32_fp8_sdwa v[30:31], v31 src0_sel:WORD_1
	v_mfma_f32_16x16x16_bf16 v[2:5], v[16:17], v[20:21], v[2:5]
	v_perm_b32 v74, v75, v74, s44
	v_perm_b32 v16, v47, v46, s44
	;; [unrolled: 1-line block ×3, first 2 shown]
	v_mfma_f32_16x16x16_bf16 v[2:5], v[14:15], v[10:11], v[2:5]
	v_cvt_pk_f32_fp8_e32 v[14:15], v32
	v_cvt_pk_f32_fp8_sdwa v[30:31], v32 src0_sel:WORD_1
	v_cvt_pk_f32_fp8_sdwa v[46:47], v22 src0_sel:WORD_1
	v_mfma_f32_16x16x16_bf16 v[2:5], v[16:17], v[12:13], v[2:5]
	v_perm_b32 v14, v15, v14, s44
	v_perm_b32 v15, v31, v30, s44
	v_cvt_pk_f32_fp8_e32 v[16:17], v33
	v_cvt_pk_f32_fp8_sdwa v[30:31], v33 src0_sel:WORD_1
	v_cvt_pk_f32_fp8_e32 v[32:33], v22
	v_mfma_f32_16x16x16_bf16 v[2:5], v[14:15], v[6:7], v[2:5]
	v_perm_b32 v16, v17, v16, s44
	v_perm_b32 v17, v31, v30, s44
	;; [unrolled: 1-line block ×4, first 2 shown]
	v_cvt_pk_f32_fp8_e32 v[30:31], v23
	v_cvt_pk_f32_fp8_sdwa v[22:23], v23 src0_sel:WORD_1
	v_mfma_f32_16x16x16_bf16 v[46:49], v[16:17], v[8:9], v[2:5]
	v_lshl_add_u64 v[16:17], v[58:59], 0, v[56:57]
	v_perm_b32 v30, v31, v30, s44
	v_perm_b32 v31, v23, v22, s44
	v_mfma_f32_16x16x16_bf16 v[2:5], v[14:15], v[26:27], 0
	v_cvt_pk_f32_fp8_e32 v[14:15], v24
	v_cvt_pk_f32_fp8_sdwa v[22:23], v24 src0_sel:WORD_1
	s_waitcnt vmcnt(3)
	v_mad_i64_i32 v[32:33], s[4:5], v68, s45, v[16:17]
	v_perm_b32 v14, v15, v14, s44
	v_perm_b32 v15, v23, v22, s44
	v_cvt_pk_f32_fp8_e32 v[22:23], v25
	v_cvt_pk_f32_fp8_sdwa v[24:25], v25 src0_sel:WORD_1
	v_mfma_f32_16x16x16_bf16 v[2:5], v[30:31], v[28:29], v[2:5]
	s_waitcnt vmcnt(2)
	v_mad_i64_i32 v[70:71], s[4:5], v69, s45, v[16:17]
	v_perm_b32 v72, v23, v22, s44
	v_perm_b32 v73, v25, v24, s44
	v_mfma_f32_16x16x16_bf16 v[2:5], v[14:15], v[18:19], v[2:5]
	global_load_dwordx4 v[30:33], v[32:33], off
	s_nop 0
	global_load_dwordx4 v[22:25], v[70:71], off
	v_cvt_pk_f32_fp8_e32 v[70:71], v42
	v_perm_b32 v81, v77, v76, s44
	v_mfma_f32_16x16x16_bf16 v[2:5], v[72:73], v[20:21], v[2:5]
	v_cvt_pk_f32_fp8_sdwa v[72:73], v42 src0_sel:WORD_1
	v_cvt_pk_f32_fp8_sdwa v[42:43], v43 src0_sel:WORD_1
	v_perm_b32 v70, v71, v70, s44
	v_cvt_pk_f32_fp8_e32 v[76:77], v45
	v_perm_b32 v71, v73, v72, s44
	v_perm_b32 v75, v43, v42, s44
	v_cvt_pk_f32_fp8_e32 v[42:43], v44
	v_mfma_f32_16x16x16_bf16 v[70:73], v[70:71], v[10:11], v[2:5]
	v_perm_b32 v80, v43, v42, s44
	v_cvt_pk_f32_fp8_sdwa v[44:45], v45 src0_sel:WORD_1
	v_or_b32_e32 v56, 0x800, v56
	v_mfma_f32_16x16x16_bf16 v[70:73], v[74:75], v[12:13], v[70:73]
	v_lshl_add_u64 v[42:43], v[58:59], 0, v[56:57]
	v_perm_b32 v75, v45, v44, s44
	v_cvt_pk_f32_fp8_e32 v[44:45], v38
	v_mfma_f32_16x16x16_bf16 v[56:59], v[80:81], v[6:7], v[70:73]
	v_perm_b32 v74, v77, v76, s44
	s_waitcnt vmcnt(3)
	v_mad_i64_i32 v[14:15], s[4:5], v67, s45, v[16:17]
	v_cvt_pk_f32_fp8_sdwa v[70:71], v38 src0_sel:WORD_1
	v_cvt_pk_f32_fp8_e32 v[72:73], v39
	v_perm_b32 v44, v45, v44, s44
	v_cvt_pk_f32_fp8_sdwa v[38:39], v39 src0_sel:WORD_1
	v_perm_b32 v45, v71, v70, s44
	s_waitcnt vmcnt(2)
	v_mad_i64_i32 v[78:79], s[4:5], v66, s45, v[16:17]
	global_load_dwordx4 v[14:17], v[14:15], off
	s_nop 0
	global_load_dwordx4 v[2:5], v[78:79], off
	s_load_dword s4, s[40:41], 0x0
	v_mfma_f32_16x16x16_bf16 v[56:59], v[74:75], v[8:9], v[56:59]
	v_perm_b32 v74, v73, v72, s44
	v_cvt_pk_f32_fp8_e32 v[76:77], v40
	v_cvt_pk_f32_fp8_sdwa v[78:79], v40 src0_sel:WORD_1
	v_perm_b32 v75, v39, v38, s44
	v_mfma_f32_16x16x16_bf16 v[70:73], v[44:45], v[26:27], 0
	v_perm_b32 v38, v77, v76, s44
	v_perm_b32 v39, v79, v78, s44
	v_cvt_pk_f32_fp8_e32 v[76:77], v41
	v_cvt_pk_f32_fp8_sdwa v[40:41], v41 src0_sel:WORD_1
	v_mov_b32_e32 v26, s8
	s_waitcnt lgkmcnt(0)
	v_mul_f32_e32 v78, s4, v26
	v_mfma_f32_16x16x16_bf16 v[26:29], v[74:75], v[28:29], v[70:73]
	v_pk_mul_f32 v[44:45], v[78:79], v[52:53] op_sel_hi:[0,1]
	v_perm_b32 v52, v77, v76, s44
	v_perm_b32 v53, v41, v40, s44
	v_mfma_f32_16x16x16_bf16 v[26:29], v[38:39], v[18:19], v[26:29]
	v_cvt_pk_f32_fp8_e32 v[18:19], v34
	v_cvt_pk_f32_fp8_sdwa v[38:39], v34 src0_sel:WORD_1
	v_pk_mul_f32 v[50:51], v[78:79], v[50:51] op_sel_hi:[0,1]
	v_mfma_f32_16x16x16_bf16 v[26:29], v[52:53], v[20:21], v[26:29]
	v_perm_b32 v20, v19, v18, s44
	v_perm_b32 v21, v39, v38, s44
	v_cvt_pk_f32_fp8_e32 v[38:39], v35
	v_cvt_pk_f32_fp8_sdwa v[34:35], v35 src0_sel:WORD_1
	v_mfma_f32_16x16x16_bf16 v[26:29], v[20:21], v[10:11], v[26:29]
	v_perm_b32 v38, v39, v38, s44
	v_perm_b32 v39, v35, v34, s44
	v_cvt_pk_f32_fp8_e32 v[10:11], v36
	v_cvt_pk_f32_fp8_sdwa v[20:21], v36 src0_sel:WORD_1
	v_cvt_pk_f32_fp8_sdwa v[52:53], v37 src0_sel:WORD_1
	s_mov_b32 s40, 0xff7fffff
	v_perm_b32 v40, v11, v10, s44
	v_perm_b32 v41, v21, v20, s44
	v_cvt_pk_f32_fp8_e32 v[20:21], v37
	v_mfma_f32_16x16x16_bf16 v[10:13], v[38:39], v[12:13], v[26:29]
	v_pk_mul_f32 v[36:37], v[78:79], v[48:49] op_sel_hi:[0,1]
	v_mad_i64_i32 v[18:19], s[4:5], v68, s45, v[42:43]
	v_perm_b32 v20, v21, v20, s44
	v_perm_b32 v21, v53, v52, s44
	v_mfma_f32_16x16x16_bf16 v[10:13], v[40:41], v[6:7], v[10:13]
	v_pk_mul_f32 v[52:53], v[78:79], v[46:47] op_sel_hi:[0,1]
	v_pk_mul_f32 v[46:47], v[78:79], v[56:57] op_sel_hi:[0,1]
	;; [unrolled: 1-line block ×3, first 2 shown]
	v_mfma_f32_16x16x16_bf16 v[6:9], v[20:21], v[8:9], v[10:13]
	v_mad_i64_i32 v[34:35], s[4:5], v69, s45, v[42:43]
	global_load_dwordx4 v[26:29], v[18:19], off
	s_nop 0
	global_load_dwordx4 v[18:21], v[34:35], off
	s_nop 2
	v_pk_mul_f32 v[48:49], v[78:79], v[6:7] op_sel_hi:[0,1]
	v_and_b32_e32 v6, 0xc0, v0
	v_add_u32_e32 v6, s18, v6
	v_lshl_or_b32 v6, v1, 2, v6
	v_pk_mul_f32 v[38:39], v[78:79], v[8:9] op_sel_hi:[0,1]
	v_or_b32_e32 v9, 1, v6
	v_mov_b32_e32 v7, 0xff7fffff
	v_cmp_gt_i32_e64 s[26:27], s38, v6
	v_cmp_gt_i32_e64 s[28:29], s38, v9
	v_or_b32_e32 v10, 3, v6
	v_cndmask_b32_e64 v8, v7, v50, s[26:27]
	v_cndmask_b32_e64 v9, v7, v51, s[28:29]
	v_max3_f32 v8, v8, s40, v9
	v_or_b32_e32 v9, 2, v6
	v_cmp_gt_i32_e64 s[30:31], s38, v9
	v_cmp_gt_i32_e64 s[34:35], s38, v10
	s_nop 0
	v_cndmask_b32_e64 v9, v7, v44, s[30:31]
	v_cndmask_b32_e64 v10, v7, v45, s[34:35]
	v_max3_f32 v8, v8, v9, v10
	v_or_b32_e32 v9, 16, v6
	v_or_b32_e32 v10, 17, v6
	v_cmp_gt_i32_e64 s[18:19], s38, v9
	v_cmp_gt_i32_e64 s[20:21], s38, v10
	s_nop 0
	v_cndmask_b32_e64 v9, v7, v52, s[18:19]
	v_cndmask_b32_e64 v10, v7, v53, s[20:21]
	v_max3_f32 v8, v8, v9, v10
	v_or_b32_e32 v9, 18, v6
	;; [unrolled: 8-line block ×5, first 2 shown]
	v_or_b32_e32 v10, 49, v6
	v_cmp_gt_i32_e32 vcc, s38, v9
	v_cmp_gt_i32_e64 s[4:5], s38, v10
	s_nop 0
	v_cndmask_b32_e32 v9, v7, v48, vcc
	v_cndmask_b32_e64 v10, v7, v49, s[4:5]
	v_max3_f32 v8, v8, v9, v10
	v_or_b32_e32 v9, 50, v6
	v_or_b32_e32 v6, 51, v6
	v_cmp_gt_i32_e64 s[6:7], s38, v9
	v_cmp_gt_i32_e64 s[8:9], s38, v6
	s_nop 0
	v_cndmask_b32_e64 v9, v7, v38, s[6:7]
	v_cndmask_b32_e64 v6, v7, v39, s[8:9]
	v_max3_f32 v8, v8, v9, v6
	v_mbcnt_lo_u32_b32 v6, -1, 0
	v_mbcnt_hi_u32_b32 v9, -1, v6
	v_and_b32_e32 v6, 64, v9
	v_add_u32_e32 v10, 64, v6
	v_xor_b32_e32 v6, 32, v9
	v_cmp_lt_i32_e64 s[38:39], v6, v10
	s_nop 1
	v_cndmask_b32_e64 v6, v9, v6, s[38:39]
	v_lshlrev_b32_e32 v57, 2, v6
	ds_bpermute_b32 v11, v57, v8
	v_mad_i64_i32 v[6:7], s[38:39], v67, s45, v[42:43]
	s_waitcnt lgkmcnt(0)
	v_max_f32_e32 v11, v11, v11
	v_max_f32_e32 v34, v8, v11
	v_xor_b32_e32 v8, 16, v9
	v_cmp_lt_i32_e64 s[38:39], v8, v10
	s_nop 1
	v_cndmask_b32_e64 v8, v9, v8, s[38:39]
	v_lshlrev_b32_e32 v58, 2, v8
	v_mad_i64_i32 v[8:9], s[38:39], v66, s45, v[42:43]
	global_load_dwordx4 v[10:13], v[6:7], off
	s_nop 0
	global_load_dwordx4 v[6:9], v[8:9], off
	ds_bpermute_b32 v35, v58, v34
	s_waitcnt lgkmcnt(0)
	s_barrier
	v_max_f32_e32 v35, v35, v35
	v_max_f32_e32 v56, v34, v35
	v_sub_f32_e32 v42, v44, v56
	v_sub_f32_e32 v44, v52, v56
	;; [unrolled: 1-line block ×3, first 2 shown]
	v_mul_f32_e32 v44, 0x3fb8aa3b, v44
	v_mul_f32_e32 v36, 0x3fb8aa3b, v36
	v_sub_f32_e32 v34, v50, v56
	v_exp_f32_e32 v44, v44
	v_exp_f32_e32 v50, v36
	v_sub_f32_e32 v43, v45, v56
	v_sub_f32_e32 v45, v53, v56
	;; [unrolled: 1-line block ×5, first 2 shown]
	v_mul_f32_e32 v45, 0x3fb8aa3b, v45
	v_mul_f32_e32 v36, 0x3fb8aa3b, v36
	;; [unrolled: 1-line block ×4, first 2 shown]
	v_sub_f32_e32 v35, v51, v56
	v_exp_f32_e32 v45, v45
	v_exp_f32_e32 v51, v36
	v_cndmask_b32_e64 v36, 0, v44, s[18:19]
	v_cndmask_b32_e64 v44, 0, v50, s[22:23]
	v_exp_f32_e32 v46, v46
	v_exp_f32_e32 v50, v40
	v_mul_f32_e32 v34, 0x3fb8aa3b, v34
	v_sub_f32_e32 v47, v47, v56
	v_sub_f32_e32 v40, v41, v56
	;; [unrolled: 1-line block ×4, first 2 shown]
	v_exp_f32_e32 v34, v34
	v_mul_f32_e32 v35, 0x3fb8aa3b, v35
	v_mul_f32_e32 v47, 0x3fb8aa3b, v47
	;; [unrolled: 1-line block ×5, first 2 shown]
	v_exp_f32_e32 v35, v35
	v_mul_f32_e32 v42, 0x3fb8aa3b, v42
	v_cndmask_b32_e64 v37, 0, v45, s[20:21]
	v_cndmask_b32_e64 v45, 0, v51, s[36:37]
	v_exp_f32_e32 v47, v47
	v_exp_f32_e32 v51, v40
	v_cndmask_b32_e64 v40, 0, v46, s[10:11]
	v_cndmask_b32_e64 v46, 0, v50, s[14:15]
	v_exp_f32_e32 v48, v48
	v_exp_f32_e32 v50, v38
	;; [unrolled: 1-line block ×3, first 2 shown]
	v_mul_f32_e32 v43, 0x3fb8aa3b, v43
	v_exp_f32_e32 v43, v43
	v_sub_f32_e32 v38, v39, v56
	v_cndmask_b32_e64 v34, 0, v34, s[26:27]
	v_mul_f32_e32 v38, 0x3fb8aa3b, v38
	v_cndmask_b32_e64 v35, 0, v35, s[28:29]
	v_cndmask_b32_e64 v41, 0, v47, s[12:13]
	;; [unrolled: 1-line block ×3, first 2 shown]
	v_exp_f32_e32 v51, v38
	v_cndmask_b32_e32 v38, 0, v48, vcc
	v_cndmask_b32_e64 v48, 0, v50, s[6:7]
	v_add_f32_e32 v50, 0, v34
	v_cndmask_b32_e64 v42, 0, v42, s[30:31]
	v_add_f32_e32 v50, v50, v35
	;; [unrolled: 2-line block ×3, first 2 shown]
	v_add_f32_e32 v50, v50, v43
	v_add_f32_e32 v50, v50, v36
	;; [unrolled: 1-line block ×3, first 2 shown]
	v_sub_f32_e32 v49, v49, v56
	v_add_f32_e32 v50, v50, v44
	v_mul_f32_e32 v49, 0x3fb8aa3b, v49
	v_add_f32_e32 v50, v50, v45
	v_exp_f32_e32 v49, v49
	v_add_f32_e32 v50, v50, v40
	v_add_f32_e32 v50, v50, v41
	v_add_f32_e32 v50, v50, v46
	v_add_f32_e32 v50, v50, v47
	v_cndmask_b32_e64 v39, 0, v49, s[4:5]
	v_add_f32_e32 v50, v50, v38
	v_add_f32_e32 v50, v50, v39
	v_cndmask_b32_e64 v49, 0, v51, s[8:9]
	v_add_f32_e32 v50, v50, v48
	v_add_f32_e32 v50, v50, v49
	ds_bpermute_b32 v51, v57, v50
	v_cmp_gt_u32_e32 vcc, 16, v63
	s_waitcnt lgkmcnt(0)
	v_add_f32_e32 v50, v50, v51
	ds_bpermute_b32 v51, v58, v50
	s_and_saveexec_b64 s[4:5], vcc
	s_cbranch_execz .LBB1403_13
; %bb.12:
	s_waitcnt lgkmcnt(0)
	v_add_f32_e32 v50, v50, v51
	v_lshlrev_b32_e32 v51, 2, v65
	ds_write2st64_b32 v51, v56, v50 offset1:1
.LBB1403_13:
	s_or_b64 exec, exec, s[4:5]
	s_waitcnt lgkmcnt(0)
	v_lshlrev_b32_e32 v51, 2, v60
	s_load_dword s6, s[0:1], 0x94
	s_waitcnt lgkmcnt(0)
	s_barrier
	ds_read2_b32 v[52:53], v51 offset1:16
	ds_read2_b32 v[56:57], v51 offset0:32 offset1:48
	ds_read2_b32 v[58:59], v51 offset0:64 offset1:80
	s_movk_i32 s8, 0x7fff
	s_lshl_b32 s7, s33, 4
	s_waitcnt lgkmcnt(2)
	v_max3_f32 v50, v52, s40, v53
	s_waitcnt lgkmcnt(1)
	v_max3_f32 v50, v50, v56, v57
	v_sub_f32_e32 v52, v52, v50
	v_mul_f32_e32 v52, 0x3fb8aa3b, v52
	v_exp_f32_e32 v63, v52
	v_sub_f32_e32 v52, v53, v50
	v_mul_f32_e32 v52, 0x3fb8aa3b, v52
	v_exp_f32_e32 v65, v52
	;; [unrolled: 3-line block ×3, first 2 shown]
	ds_read2_b32 v[52:53], v51 offset0:96 offset1:112
	v_sub_f32_e32 v51, v57, v50
	v_mul_f32_e32 v51, 0x3fb8aa3b, v51
	v_exp_f32_e32 v57, v51
	s_waitcnt lgkmcnt(1)
	v_fma_f32 v51, v63, v58, 0
	v_fmac_f32_e32 v51, v65, v59
	s_waitcnt lgkmcnt(0)
	v_fmac_f32_e32 v51, v56, v52
	v_fmac_f32_e32 v51, v57, v53
	v_add_f32_e32 v52, 0x358637bd, v51
	v_div_scale_f32 v53, s[4:5], v52, v52, 1.0
	v_rcp_f32_e32 v58, v53
	s_barrier
	v_fma_f32 v59, -v53, v58, 1.0
	v_fmac_f32_e32 v58, v59, v58
	v_div_scale_f32 v59, vcc, 1.0, v52, 1.0
	v_mul_f32_e32 v66, v59, v58
	v_fma_f32 v67, -v53, v66, v59
	v_fmac_f32_e32 v66, v67, v58
	v_fma_f32 v53, -v53, v66, v59
	v_div_fmas_f32 v53, v53, v58, v66
	v_cmp_eq_u32_e32 vcc, 1, v62
	v_div_fixup_f32 v52, v53, v52, 1.0
	s_nop 0
	v_cndmask_b32_e32 v53, v63, v65, vcc
	v_cmp_eq_u32_e32 vcc, 2, v62
	s_nop 1
	v_cndmask_b32_e32 v53, v53, v56, vcc
	v_cmp_eq_u32_e32 vcc, 3, v62
	s_nop 1
	v_cndmask_b32_e32 v53, v53, v57, vcc
	v_mul_f32_e32 v52, v53, v52
	v_pk_mul_f32 v[34:35], v[52:53], v[34:35] op_sel_hi:[0,1]
	v_pk_mul_f32 v[42:43], v[52:53], v[42:43] op_sel_hi:[0,1]
	v_bfe_u32 v53, v35, 16, 1
	v_bfe_u32 v56, v34, 16, 1
	v_add3_u32 v34, v34, v56, s8
	v_add3_u32 v35, v35, v53, s8
	v_perm_b32 v34, v35, v34, s44
	v_bfe_u32 v35, v43, 16, 1
	v_bfe_u32 v53, v42, 16, 1
	v_add3_u32 v42, v42, v53, s8
	v_add3_u32 v35, v43, v35, s8
	v_perm_b32 v35, v35, v42, s44
	v_lshlrev_b32_e32 v42, 3, v1
	v_lshlrev_b32_e32 v43, 11, v62
	v_pk_mul_f32 v[36:37], v[52:53], v[36:37] op_sel_hi:[0,1]
	v_or3_b32 v56, v43, v64, v42
	v_pk_mul_f32 v[42:43], v[52:53], v[44:45] op_sel_hi:[0,1]
	v_bfe_u32 v44, v37, 16, 1
	v_bfe_u32 v45, v36, 16, 1
	v_add3_u32 v36, v36, v45, s8
	v_add3_u32 v37, v37, v44, s8
	v_perm_b32 v36, v37, v36, s44
	v_bfe_u32 v37, v43, 16, 1
	v_bfe_u32 v44, v42, 16, 1
	v_add3_u32 v42, v42, v44, s8
	v_add3_u32 v37, v43, v37, s8
	v_perm_b32 v37, v37, v42, s44
	ds_write2st64_b64 v56, v[34:35], v[36:37] offset1:1
	v_pk_mul_f32 v[36:37], v[52:53], v[40:41] op_sel_hi:[0,1]
	v_bfe_u32 v40, v37, 16, 1
	v_bfe_u32 v41, v36, 16, 1
	v_pk_mul_f32 v[34:35], v[52:53], v[46:47] op_sel_hi:[0,1]
	v_add3_u32 v36, v36, v41, s8
	v_add3_u32 v37, v37, v40, s8
	v_perm_b32 v36, v37, v36, s44
	v_bfe_u32 v37, v35, 16, 1
	v_bfe_u32 v40, v34, 16, 1
	v_pk_mul_f32 v[38:39], v[52:53], v[38:39] op_sel_hi:[0,1]
	v_add3_u32 v34, v34, v40, s8
	v_add3_u32 v35, v35, v37, s8
	v_bfe_u32 v40, v39, 16, 1
	v_bfe_u32 v41, v38, 16, 1
	v_perm_b32 v37, v35, v34, s44
	v_pk_mul_f32 v[34:35], v[52:53], v[48:49] op_sel_hi:[0,1]
	v_add3_u32 v38, v38, v41, s8
	v_add3_u32 v39, v39, v40, s8
	v_perm_b32 v38, v39, v38, s44
	v_bfe_u32 v39, v35, 16, 1
	v_bfe_u32 v40, v34, 16, 1
	v_add3_u32 v34, v34, v40, s8
	v_add3_u32 v35, v35, v39, s8
	v_perm_b32 v39, v35, v34, s44
	v_cmp_gt_u32_e32 vcc, 16, v0
	ds_write2st64_b64 v56, v[36:37], v[38:39] offset0:2 offset1:3
	s_and_saveexec_b64 s[4:5], vcc
	s_cbranch_execz .LBB1403_15
; %bb.14:
	v_or_b32_e32 v34, s25, v0
	v_mov_b32_e32 v35, 0
	v_mov_b32_e32 v36, s7
	v_mad_u64_u32 v[36:37], s[10:11], s2, v36, v[34:35]
	v_mov_b32_e32 v34, s24
	s_load_dwordx4 s[12:15], s[0:1], 0x58
	s_mul_i32 s3, s3, s7
	v_mad_u64_u32 v[34:35], s[10:11], v36, s6, v[34:35]
	v_add_u32_e32 v37, s3, v37
	v_mov_b32_e32 v36, v35
	v_mad_u64_u32 v[36:37], s[10:11], v37, s6, v[36:37]
	v_mov_b32_e32 v35, v36
	v_lshlrev_b64 v[34:35], 2, v[34:35]
	s_waitcnt lgkmcnt(0)
	v_lshl_add_u64 v[36:37], s[14:15], 0, v[34:35]
	v_lshl_add_u64 v[34:35], s[12:13], 0, v[34:35]
	global_store_dword v[36:37], v50, off
	global_store_dword v[34:35], v51, off
.LBB1403_15:
	s_or_b64 exec, exec, s[4:5]
	s_waitcnt vmcnt(7)
	v_cvt_pk_f32_fp8_e32 v[34:35], v30
	v_cvt_pk_f32_fp8_sdwa v[36:37], v30 src0_sel:WORD_1
	s_mov_b32 s5, 0x7060302
	s_waitcnt lgkmcnt(0)
	s_barrier
	v_cvt_pk_f32_fp8_e32 v[38:39], v31
	v_perm_b32 v30, v35, v34, s5
	v_cvt_pk_f32_fp8_sdwa v[40:41], v31 src0_sel:WORD_1
	v_perm_b32 v31, v37, v36, s5
	ds_read_b128 v[34:37], v55
	v_perm_b32 v46, v39, v38, s5
	v_perm_b32 v47, v41, v40, s5
	ds_read_b128 v[38:41], v55 offset:16
	v_cvt_pk_f32_fp8_e32 v[48:49], v32
	v_cvt_pk_f32_fp8_sdwa v[50:51], v32 src0_sel:WORD_1
	s_waitcnt lgkmcnt(1)
	v_mfma_f32_16x16x16_bf16 v[42:45], v[30:31], v[34:35], 0
	s_waitcnt vmcnt(6)
	v_cvt_pk_f32_fp8_e32 v[52:53], v24
	v_perm_b32 v30, v49, v48, s5
	v_perm_b32 v31, v51, v50, s5
	v_cvt_pk_f32_fp8_e32 v[48:49], v33
	v_mfma_f32_16x16x16_bf16 v[42:45], v[46:47], v[36:37], v[42:45]
	v_cvt_pk_f32_fp8_sdwa v[46:47], v33 src0_sel:WORD_1
	v_cvt_pk_f32_fp8_sdwa v[58:59], v24 src0_sel:WORD_1
	v_perm_b32 v48, v49, v48, s5
	s_waitcnt lgkmcnt(0)
	v_mfma_f32_16x16x16_bf16 v[30:33], v[30:31], v[38:39], v[42:45]
	v_perm_b32 v49, v47, v46, s5
	s_waitcnt vmcnt(5)
	v_cvt_pk_f32_fp8_e32 v[62:63], v16
	v_cvt_pk_f32_fp8_sdwa v[64:65], v16 src0_sel:WORD_1
	v_cvt_pk_f32_fp8_e32 v[42:43], v22
	v_mfma_f32_16x16x16_bf16 v[46:49], v[48:49], v[40:41], v[30:33]
	s_waitcnt vmcnt(4)
	v_cvt_pk_f32_fp8_e32 v[66:67], v4
	v_cvt_pk_f32_fp8_sdwa v[68:69], v4 src0_sel:WORD_1
	v_cvt_pk_f32_fp8_sdwa v[30:31], v22 src0_sel:WORD_1
	v_cvt_pk_f32_fp8_e32 v[32:33], v23
	v_perm_b32 v22, v43, v42, s5
	v_cvt_pk_f32_fp8_sdwa v[42:43], v23 src0_sel:WORD_1
	v_perm_b32 v23, v31, v30, s5
	v_perm_b32 v50, v33, v32, s5
	ds_read_b128 v[30:33], v55 offset:2048
	v_perm_b32 v51, v43, v42, s5
	ds_read_b128 v[42:45], v55 offset:2064
	s_waitcnt lgkmcnt(1)
	v_mfma_f32_16x16x16_bf16 v[46:49], v[22:23], v[30:31], v[46:49]
	v_perm_b32 v22, v53, v52, s5
	v_perm_b32 v23, v59, v58, s5
	v_cvt_pk_f32_fp8_e32 v[52:53], v25
	v_mfma_f32_16x16x16_bf16 v[46:49], v[50:51], v[32:33], v[46:49]
	v_cvt_pk_f32_fp8_sdwa v[50:51], v25 src0_sel:WORD_1
	s_load_dword s4, s[42:43], 0x0
	v_perm_b32 v52, v53, v52, s5
	s_waitcnt lgkmcnt(0)
	v_mfma_f32_16x16x16_bf16 v[22:25], v[22:23], v[42:43], v[46:49]
	v_perm_b32 v53, v51, v50, s5
	s_waitcnt vmcnt(3)
	v_cvt_pk_f32_fp8_sdwa v[70:71], v28 src0_sel:WORD_1
	s_mov_b32 s3, 0
	v_cvt_pk_f32_fp8_e32 v[46:47], v14
	v_mfma_f32_16x16x16_bf16 v[50:53], v[52:53], v[44:45], v[22:25]
	v_cmp_gt_u32_e32 vcc, 64, v0
	s_nop 1
	v_cvt_pk_f32_fp8_sdwa v[22:23], v14 src0_sel:WORD_1
	v_cvt_pk_f32_fp8_e32 v[24:25], v15
	v_perm_b32 v14, v47, v46, s5
	v_cvt_pk_f32_fp8_sdwa v[46:47], v15 src0_sel:WORD_1
	v_perm_b32 v15, v23, v22, s5
	v_perm_b32 v58, v25, v24, s5
	ds_read_b128 v[22:25], v55 offset:4096
	v_perm_b32 v59, v47, v46, s5
	ds_read_b128 v[46:49], v55 offset:4112
	s_waitcnt lgkmcnt(1)
	v_mfma_f32_16x16x16_bf16 v[50:53], v[14:15], v[22:23], v[50:53]
	v_perm_b32 v14, v63, v62, s5
	v_perm_b32 v15, v65, v64, s5
	v_cvt_pk_f32_fp8_e32 v[62:63], v17
	v_mfma_f32_16x16x16_bf16 v[50:53], v[58:59], v[24:25], v[50:53]
	v_cvt_pk_f32_fp8_sdwa v[58:59], v17 src0_sel:WORD_1
	v_perm_b32 v62, v63, v62, s5
	s_waitcnt lgkmcnt(0)
	v_mfma_f32_16x16x16_bf16 v[14:17], v[14:15], v[46:47], v[50:53]
	v_perm_b32 v63, v59, v58, s5
	s_nop 1
	v_cvt_pk_f32_fp8_e32 v[50:51], v2
	v_mfma_f32_16x16x16_bf16 v[62:65], v[62:63], v[48:49], v[14:17]
	s_nop 2
	v_cvt_pk_f32_fp8_sdwa v[14:15], v2 src0_sel:WORD_1
	v_cvt_pk_f32_fp8_e32 v[16:17], v3
	v_perm_b32 v2, v51, v50, s5
	v_cvt_pk_f32_fp8_sdwa v[50:51], v3 src0_sel:WORD_1
	v_perm_b32 v3, v15, v14, s5
	v_perm_b32 v58, v17, v16, s5
	ds_read_b128 v[14:17], v55 offset:6144
	v_perm_b32 v59, v51, v50, s5
	ds_read_b128 v[50:53], v55 offset:6160
	s_waitcnt lgkmcnt(1)
	v_mfma_f32_16x16x16_bf16 v[62:65], v[2:3], v[14:15], v[62:65]
	v_perm_b32 v2, v67, v66, s5
	v_perm_b32 v3, v69, v68, s5
	v_cvt_pk_f32_fp8_e32 v[66:67], v5
	v_mfma_f32_16x16x16_bf16 v[62:65], v[58:59], v[16:17], v[62:65]
	v_cvt_pk_f32_fp8_sdwa v[58:59], v5 src0_sel:WORD_1
	v_cvt_pk_f32_fp8_e32 v[68:69], v28
	v_perm_b32 v66, v67, v66, s5
	s_waitcnt lgkmcnt(0)
	v_mfma_f32_16x16x16_bf16 v[2:5], v[2:3], v[50:51], v[62:65]
	v_perm_b32 v67, v59, v58, s5
	v_cvt_pk_f32_fp8_sdwa v[58:59], v26 src0_sel:WORD_1
	s_nop 0
	v_mfma_f32_16x16x16_bf16 v[62:65], v[66:67], v[52:53], v[2:5]
	s_barrier
	s_nop 1
	v_cvt_pk_f32_fp8_e32 v[4:5], v26
	s_nop 2
	v_pk_mul_f32 v[66:67], v[62:63], s[4:5] op_sel_hi:[1,0]
	v_cvt_pk_f32_fp8_e32 v[62:63], v27
	v_perm_b32 v4, v5, v4, s5
	v_perm_b32 v5, v59, v58, s5
	v_cvt_pk_f32_fp8_sdwa v[26:27], v27 src0_sel:WORD_1
	v_perm_b32 v58, v63, v62, s5
	v_pk_mul_f32 v[2:3], v[64:65], s[4:5] op_sel_hi:[1,0]
	v_mfma_f32_16x16x16_bf16 v[62:65], v[4:5], v[34:35], 0
	v_perm_b32 v59, v27, v26, s5
	v_perm_b32 v4, v69, v68, s5
	;; [unrolled: 1-line block ×3, first 2 shown]
	v_cvt_pk_f32_fp8_e32 v[34:35], v29
	v_cvt_pk_f32_fp8_sdwa v[68:69], v29 src0_sel:WORD_1
	v_mfma_f32_16x16x16_bf16 v[26:29], v[58:59], v[36:37], v[62:65]
	s_waitcnt vmcnt(2)
	v_cvt_pk_f32_fp8_sdwa v[36:37], v18 src0_sel:WORD_1
	v_perm_b32 v34, v35, v34, s5
	v_perm_b32 v35, v69, v68, s5
	v_mfma_f32_16x16x16_bf16 v[26:29], v[4:5], v[38:39], v[26:29]
	v_cvt_pk_f32_fp8_e32 v[4:5], v18
	v_cvt_pk_f32_fp8_sdwa v[38:39], v20 src0_sel:WORD_1
	v_bfe_u32 v55, v67, 16, 1
	v_mfma_f32_16x16x16_bf16 v[26:29], v[34:35], v[40:41], v[26:29]
	v_cvt_pk_f32_fp8_e32 v[34:35], v19
	v_perm_b32 v4, v5, v4, s5
	v_perm_b32 v5, v37, v36, s5
	v_cvt_pk_f32_fp8_sdwa v[18:19], v19 src0_sel:WORD_1
	v_perm_b32 v34, v35, v34, s5
	v_cvt_pk_f32_fp8_e32 v[36:37], v20
	v_mfma_f32_16x16x16_bf16 v[26:29], v[4:5], v[30:31], v[26:29]
	v_perm_b32 v35, v19, v18, s5
	v_perm_b32 v4, v37, v36, s5
	;; [unrolled: 1-line block ×3, first 2 shown]
	v_cvt_pk_f32_fp8_e32 v[30:31], v21
	v_cvt_pk_f32_fp8_sdwa v[36:37], v21 src0_sel:WORD_1
	v_mfma_f32_16x16x16_bf16 v[18:21], v[34:35], v[32:33], v[26:29]
	v_bfe_u32 v57, v66, 16, 1
	v_add3_u32 v32, v66, v57, s8
	v_add3_u32 v33, v67, v55, s8
	v_perm_b32 v26, v31, v30, s5
	v_perm_b32 v27, v37, v36, s5
	v_mfma_f32_16x16x16_bf16 v[18:21], v[4:5], v[42:43], v[18:21]
	s_waitcnt vmcnt(1)
	v_cvt_pk_f32_fp8_e32 v[4:5], v10
	v_cvt_pk_f32_fp8_sdwa v[28:29], v10 src0_sel:WORD_1
	v_cvt_pk_f32_fp8_sdwa v[30:31], v12 src0_sel:WORD_1
	v_mfma_f32_16x16x16_bf16 v[18:21], v[26:27], v[44:45], v[18:21]
	v_cvt_pk_f32_fp8_e32 v[26:27], v11
	v_perm_b32 v4, v5, v4, s5
	v_perm_b32 v5, v29, v28, s5
	v_cvt_pk_f32_fp8_sdwa v[10:11], v11 src0_sel:WORD_1
	v_perm_b32 v26, v27, v26, s5
	v_cvt_pk_f32_fp8_e32 v[28:29], v12
	v_mfma_f32_16x16x16_bf16 v[18:21], v[4:5], v[22:23], v[18:21]
	v_perm_b32 v27, v11, v10, s5
	v_perm_b32 v4, v29, v28, s5
	;; [unrolled: 1-line block ×3, first 2 shown]
	v_cvt_pk_f32_fp8_e32 v[22:23], v13
	v_cvt_pk_f32_fp8_sdwa v[28:29], v13 src0_sel:WORD_1
	v_mfma_f32_16x16x16_bf16 v[10:13], v[26:27], v[24:25], v[18:21]
	s_waitcnt vmcnt(0)
	v_cvt_pk_f32_fp8_sdwa v[24:25], v8 src0_sel:WORD_1
	s_nop 0
	v_perm_b32 v20, v23, v22, s5
	v_perm_b32 v21, v29, v28, s5
	v_mfma_f32_16x16x16_bf16 v[10:13], v[4:5], v[46:47], v[10:13]
	v_cvt_pk_f32_fp8_e32 v[4:5], v6
	v_cvt_pk_f32_fp8_sdwa v[22:23], v6 src0_sel:WORD_1
	v_bfe_u32 v19, v3, 16, 1
	v_mfma_f32_16x16x16_bf16 v[10:13], v[20:21], v[48:49], v[10:13]
	v_cvt_pk_f32_fp8_e32 v[20:21], v7
	v_perm_b32 v4, v5, v4, s5
	v_perm_b32 v5, v23, v22, s5
	v_cvt_pk_f32_fp8_sdwa v[6:7], v7 src0_sel:WORD_1
	v_perm_b32 v20, v21, v20, s5
	v_cvt_pk_f32_fp8_e32 v[22:23], v8
	v_add3_u32 v3, v3, v19, s8
	v_perm_b32 v21, v7, v6, s5
	v_mfma_f32_16x16x16_bf16 v[4:7], v[4:5], v[14:15], v[10:13]
	v_bfe_u32 v14, v2, 16, 1
	v_add3_u32 v2, v2, v14, s8
	v_perm_b32 v19, v3, v2, s5
	v_perm_b32 v10, v23, v22, s5
	;; [unrolled: 1-line block ×3, first 2 shown]
	v_cvt_pk_f32_fp8_e32 v[12:13], v9
	v_cvt_pk_f32_fp8_sdwa v[8:9], v9 src0_sel:WORD_1
	v_mfma_f32_16x16x16_bf16 v[4:7], v[20:21], v[16:17], v[4:7]
	v_perm_b32 v18, v33, v32, s5
	v_perm_b32 v12, v13, v12, s5
	;; [unrolled: 1-line block ×3, first 2 shown]
	v_mfma_f32_16x16x16_bf16 v[4:7], v[10:11], v[50:51], v[4:7]
	s_nop 0
	v_mfma_f32_16x16x16_bf16 v[2:5], v[12:13], v[52:53], v[4:7]
	s_nop 6
	v_pk_mul_f32 v[2:3], v[2:3], s[4:5] op_sel_hi:[1,0]
	v_pk_mul_f32 v[4:5], v[4:5], s[4:5] op_sel_hi:[1,0]
	v_bfe_u32 v6, v3, 16, 1
	v_bfe_u32 v7, v2, 16, 1
	v_add3_u32 v2, v2, v7, s8
	v_add3_u32 v3, v3, v6, s8
	v_perm_b32 v2, v3, v2, s5
	v_bfe_u32 v3, v5, 16, 1
	v_bfe_u32 v6, v4, 16, 1
	v_add3_u32 v4, v4, v6, s8
	v_add3_u32 v3, v5, v3, s8
	v_perm_b32 v3, v3, v4, s5
	ds_write2st64_b64 v56, v[18:19], v[2:3] offset1:1
	s_waitcnt lgkmcnt(0)
	s_barrier
	s_and_saveexec_b64 s[4:5], vcc
	s_cbranch_execz .LBB1403_17
; %bb.16:
	s_load_dwordx2 s[0:1], s[0:1], 0x68
	s_lshl_b32 s6, s6, 7
	s_mul_i32 s2, s7, s2
	s_mul_hi_u32 s5, s2, s6
	s_mul_i32 s4, s2, s6
	s_lshl_b64 s[4:5], s[4:5], 1
	s_waitcnt lgkmcnt(0)
	s_add_u32 s4, s0, s4
	v_lshlrev_b32_e32 v4, 6, v60
	s_addc_u32 s5, s1, s5
	s_lshl_b32 s2, s24, 7
	v_lshl_or_b32 v0, v0, 10, v4
	s_lshl_b64 s[0:1], s[2:3], 1
	v_lshlrev_b32_e32 v2, 5, v1
	v_and_b32_e32 v3, 16, v61
	v_and_b32_e32 v0, 0x1a00, v0
	s_add_u32 s0, s4, s0
	v_or3_b32 v0, v0, v2, v3
	s_addc_u32 s1, s5, s1
	v_mov_b32_e32 v55, 0
	v_or_b32_e32 v20, s25, v1
	ds_read_b128 v[2:5], v0
	ds_read_b128 v[6:9], v0 offset:128
	ds_read_b128 v[10:13], v0 offset:256
	;; [unrolled: 1-line block ×3, first 2 shown]
	v_lshl_add_u64 v[18:19], s[0:1], 0, v[54:55]
	v_mad_u64_u32 v[0:1], s[0:1], v20, s6, 0
	v_lshl_add_u64 v[0:1], v[0:1], 1, v[18:19]
	s_waitcnt lgkmcnt(3)
	global_store_dwordx4 v[0:1], v[2:5], off
	v_or_b32_e32 v0, 4, v20
	v_mad_u64_u32 v[0:1], s[0:1], v0, s6, 0
	v_lshl_add_u64 v[0:1], v[0:1], 1, v[18:19]
	s_waitcnt lgkmcnt(2)
	global_store_dwordx4 v[0:1], v[6:9], off
	v_or_b32_e32 v0, 8, v20
	;; [unrolled: 5-line block ×3, first 2 shown]
	v_mad_u64_u32 v[0:1], s[0:1], v0, s6, 0
	v_lshl_add_u64 v[0:1], v[0:1], 1, v[18:19]
	s_waitcnt lgkmcnt(0)
	global_store_dwordx4 v[0:1], v[14:17], off
.LBB1403_17:
	s_endpgm
	.section	.rodata,"a",@progbits
	.p2align	6, 0x0
	.amdhsa_kernel _Z39paged_attention_ll4mi_QKV_mfma16_kernelI14__hip_bfloat16hLN4vllm18Fp8KVCacheDataTypeE1ES0_Li32ELi128ELi256ELb0ELi16EEvPKT_PKT0_S8_ifPKiSA_SA_iPKfiiiPfSD_PS3_PT2_iSC_SC_
		.amdhsa_group_segment_fixed_size 8192
		.amdhsa_private_segment_fixed_size 0
		.amdhsa_kernarg_size 400
		.amdhsa_user_sgpr_count 2
		.amdhsa_user_sgpr_dispatch_ptr 0
		.amdhsa_user_sgpr_queue_ptr 0
		.amdhsa_user_sgpr_kernarg_segment_ptr 1
		.amdhsa_user_sgpr_dispatch_id 0
		.amdhsa_user_sgpr_kernarg_preload_length 0
		.amdhsa_user_sgpr_kernarg_preload_offset 0
		.amdhsa_user_sgpr_private_segment_size 0
		.amdhsa_uses_dynamic_stack 0
		.amdhsa_enable_private_segment 0
		.amdhsa_system_sgpr_workgroup_id_x 1
		.amdhsa_system_sgpr_workgroup_id_y 1
		.amdhsa_system_sgpr_workgroup_id_z 1
		.amdhsa_system_sgpr_workgroup_info 0
		.amdhsa_system_vgpr_workitem_id 0
		.amdhsa_next_free_vgpr 84
		.amdhsa_next_free_sgpr 48
		.amdhsa_accum_offset 84
		.amdhsa_reserve_vcc 1
		.amdhsa_float_round_mode_32 0
		.amdhsa_float_round_mode_16_64 0
		.amdhsa_float_denorm_mode_32 3
		.amdhsa_float_denorm_mode_16_64 3
		.amdhsa_dx10_clamp 1
		.amdhsa_ieee_mode 1
		.amdhsa_fp16_overflow 0
		.amdhsa_tg_split 0
		.amdhsa_exception_fp_ieee_invalid_op 0
		.amdhsa_exception_fp_denorm_src 0
		.amdhsa_exception_fp_ieee_div_zero 0
		.amdhsa_exception_fp_ieee_overflow 0
		.amdhsa_exception_fp_ieee_underflow 0
		.amdhsa_exception_fp_ieee_inexact 0
		.amdhsa_exception_int_div_zero 0
	.end_amdhsa_kernel
	.section	.text._Z39paged_attention_ll4mi_QKV_mfma16_kernelI14__hip_bfloat16hLN4vllm18Fp8KVCacheDataTypeE1ES0_Li32ELi128ELi256ELb0ELi16EEvPKT_PKT0_S8_ifPKiSA_SA_iPKfiiiPfSD_PS3_PT2_iSC_SC_,"axG",@progbits,_Z39paged_attention_ll4mi_QKV_mfma16_kernelI14__hip_bfloat16hLN4vllm18Fp8KVCacheDataTypeE1ES0_Li32ELi128ELi256ELb0ELi16EEvPKT_PKT0_S8_ifPKiSA_SA_iPKfiiiPfSD_PS3_PT2_iSC_SC_,comdat
.Lfunc_end1403:
	.size	_Z39paged_attention_ll4mi_QKV_mfma16_kernelI14__hip_bfloat16hLN4vllm18Fp8KVCacheDataTypeE1ES0_Li32ELi128ELi256ELb0ELi16EEvPKT_PKT0_S8_ifPKiSA_SA_iPKfiiiPfSD_PS3_PT2_iSC_SC_, .Lfunc_end1403-_Z39paged_attention_ll4mi_QKV_mfma16_kernelI14__hip_bfloat16hLN4vllm18Fp8KVCacheDataTypeE1ES0_Li32ELi128ELi256ELb0ELi16EEvPKT_PKT0_S8_ifPKiSA_SA_iPKfiiiPfSD_PS3_PT2_iSC_SC_
                                        ; -- End function
	.section	.AMDGPU.csdata,"",@progbits
; Kernel info:
; codeLenInByte = 6412
; NumSgprs: 54
; NumVgprs: 84
; NumAgprs: 0
; TotalNumVgprs: 84
; ScratchSize: 0
; MemoryBound: 0
; FloatMode: 240
; IeeeMode: 1
; LDSByteSize: 8192 bytes/workgroup (compile time only)
; SGPRBlocks: 6
; VGPRBlocks: 10
; NumSGPRsForWavesPerEU: 54
; NumVGPRsForWavesPerEU: 84
; AccumOffset: 84
; Occupancy: 5
; WaveLimiterHint : 1
; COMPUTE_PGM_RSRC2:SCRATCH_EN: 0
; COMPUTE_PGM_RSRC2:USER_SGPR: 2
; COMPUTE_PGM_RSRC2:TRAP_HANDLER: 0
; COMPUTE_PGM_RSRC2:TGID_X_EN: 1
; COMPUTE_PGM_RSRC2:TGID_Y_EN: 1
; COMPUTE_PGM_RSRC2:TGID_Z_EN: 1
; COMPUTE_PGM_RSRC2:TIDIG_COMP_CNT: 0
; COMPUTE_PGM_RSRC3_GFX90A:ACCUM_OFFSET: 20
; COMPUTE_PGM_RSRC3_GFX90A:TG_SPLIT: 0
	.section	.text._Z39paged_attention_ll4mi_QKV_mfma16_kernelI14__hip_bfloat16hLN4vllm18Fp8KVCacheDataTypeE1ES0_Li32ELi128ELi256ELb0ELi1EEvPKT_PKT0_S8_ifPKiSA_SA_iPKfiiiPfSD_PS3_PT2_iSC_SC_,"axG",@progbits,_Z39paged_attention_ll4mi_QKV_mfma16_kernelI14__hip_bfloat16hLN4vllm18Fp8KVCacheDataTypeE1ES0_Li32ELi128ELi256ELb0ELi1EEvPKT_PKT0_S8_ifPKiSA_SA_iPKfiiiPfSD_PS3_PT2_iSC_SC_,comdat
	.protected	_Z39paged_attention_ll4mi_QKV_mfma16_kernelI14__hip_bfloat16hLN4vllm18Fp8KVCacheDataTypeE1ES0_Li32ELi128ELi256ELb0ELi1EEvPKT_PKT0_S8_ifPKiSA_SA_iPKfiiiPfSD_PS3_PT2_iSC_SC_ ; -- Begin function _Z39paged_attention_ll4mi_QKV_mfma16_kernelI14__hip_bfloat16hLN4vllm18Fp8KVCacheDataTypeE1ES0_Li32ELi128ELi256ELb0ELi1EEvPKT_PKT0_S8_ifPKiSA_SA_iPKfiiiPfSD_PS3_PT2_iSC_SC_
	.globl	_Z39paged_attention_ll4mi_QKV_mfma16_kernelI14__hip_bfloat16hLN4vllm18Fp8KVCacheDataTypeE1ES0_Li32ELi128ELi256ELb0ELi1EEvPKT_PKT0_S8_ifPKiSA_SA_iPKfiiiPfSD_PS3_PT2_iSC_SC_
	.p2align	8
	.type	_Z39paged_attention_ll4mi_QKV_mfma16_kernelI14__hip_bfloat16hLN4vllm18Fp8KVCacheDataTypeE1ES0_Li32ELi128ELi256ELb0ELi1EEvPKT_PKT0_S8_ifPKiSA_SA_iPKfiiiPfSD_PS3_PT2_iSC_SC_,@function
_Z39paged_attention_ll4mi_QKV_mfma16_kernelI14__hip_bfloat16hLN4vllm18Fp8KVCacheDataTypeE1ES0_Li32ELi128ELi256ELb0ELi1EEvPKT_PKT0_S8_ifPKiSA_SA_iPKfiiiPfSD_PS3_PT2_iSC_SC_: ; @_Z39paged_attention_ll4mi_QKV_mfma16_kernelI14__hip_bfloat16hLN4vllm18Fp8KVCacheDataTypeE1ES0_Li32ELi128ELi256ELb0ELi1EEvPKT_PKT0_S8_ifPKiSA_SA_iPKfiiiPfSD_PS3_PT2_iSC_SC_
; %bb.0:
	s_load_dwordx2 s[12:13], s[0:1], 0x30
	s_mov_b32 s5, s3
	s_mov_b64 s[6:7], 0
	s_waitcnt lgkmcnt(0)
	s_cmp_lg_u64 s[12:13], 0
	s_cselect_b64 s[14:15], -1, 0
	s_and_b64 vcc, exec, s[14:15]
	s_cbranch_vccz .LBB1404_7
; %bb.1:
	s_add_i32 s8, s2, 1
	s_mov_b32 s9, 0
	s_lshl_b64 s[10:11], s[8:9], 2
	s_add_u32 s10, s12, s10
	s_mov_b32 s3, s9
	s_addc_u32 s11, s13, s11
	s_lshl_b64 s[8:9], s[2:3], 2
	s_add_u32 s8, s12, s8
	s_addc_u32 s9, s13, s9
	s_load_dword s16, s[10:11], 0x0
	s_load_dword s17, s[8:9], 0x0
	s_waitcnt lgkmcnt(0)
	s_sub_i32 s8, s16, s17
	s_cmp_eq_u32 s8, 1
	s_cselect_b64 s[8:9], -1, 0
	s_andn2_b64 vcc, exec, s[6:7]
	s_cbranch_vccnz .LBB1404_3
.LBB1404_2:
	s_mov_b32 s3, 0
	s_mov_b64 s[8:9], -1
.LBB1404_3:
	s_andn2_b64 vcc, exec, s[8:9]
	s_cbranch_vccnz .LBB1404_17
; %bb.4:
	s_load_dwordx2 s[6:7], s[0:1], 0x28
	s_lshl_b64 s[16:17], s[2:3], 2
	s_waitcnt lgkmcnt(0)
	s_add_u32 s6, s6, s16
	s_addc_u32 s7, s7, s17
	s_load_dword s33, s[6:7], 0x0
	s_lshl_b32 s18, s5, 8
	s_waitcnt lgkmcnt(0)
	s_cmp_ge_i32 s18, s33
	s_cbranch_scc1 .LBB1404_17
; %bb.5:
	s_load_dwordx2 s[6:7], s[0:1], 0x20
	s_load_dword s8, s[0:1], 0x38
	s_add_i32 s9, s33, 31
	s_ashr_i32 s10, s9, 31
	v_and_b32_e32 v1, 0xcf, v0
	s_lshr_b32 s10, s10, 27
	v_add_u32_e32 v1, s18, v1
	s_add_i32 s9, s9, s10
	v_ashrrev_i32_e32 v2, 31, v1
	s_ashr_i32 s19, s9, 5
	v_lshrrev_b32_e32 v10, 27, v2
	s_add_i32 s19, s19, -1
	s_waitcnt lgkmcnt(0)
	s_mul_i32 s8, s2, s8
	s_mov_b32 s9, 0
	v_add_u32_e32 v2, v1, v10
	s_lshl_b64 s[8:9], s[8:9], 2
	v_ashrrev_i32_e32 v2, 5, v2
	v_mov_b32_e32 v11, s19
	v_cmp_gt_i32_e32 vcc, s33, v1
	s_add_u32 s6, s6, s8
	s_addc_u32 s7, s7, s9
	v_cndmask_b32_e32 v2, v11, v2, vcc
	v_ashrrev_i32_e32 v3, 31, v2
	v_lshl_add_u64 v[4:5], v[2:3], 2, s[6:7]
	v_or_b32_e32 v2, 16, v1
	v_add_u32_e32 v3, v2, v10
	v_ashrrev_i32_e32 v3, 5, v3
	v_cmp_gt_i32_e32 vcc, s33, v2
	s_load_dwordx4 s[8:11], s[0:1], 0x8
	s_nop 0
	v_cndmask_b32_e32 v2, v11, v3, vcc
	v_ashrrev_i32_e32 v3, 31, v2
	v_lshl_add_u64 v[6:7], v[2:3], 2, s[6:7]
	v_or_b32_e32 v2, 32, v1
	v_add_u32_e32 v3, v2, v10
	v_ashrrev_i32_e32 v3, 5, v3
	v_cmp_gt_i32_e32 vcc, s33, v2
	v_or_b32_e32 v1, 48, v1
	s_nop 0
	v_cndmask_b32_e32 v2, v11, v3, vcc
	v_ashrrev_i32_e32 v3, 31, v2
	v_lshl_add_u64 v[8:9], v[2:3], 2, s[6:7]
	v_add_u32_e32 v2, v1, v10
	v_ashrrev_i32_e32 v2, 5, v2
	v_cmp_gt_i32_e32 vcc, s33, v1
	s_nop 1
	v_cndmask_b32_e32 v2, v11, v2, vcc
	v_ashrrev_i32_e32 v3, 31, v2
	v_lshl_add_u64 v[10:11], v[2:3], 2, s[6:7]
	global_load_dword v2, v[4:5], off
	global_load_dword v32, v[6:7], off
	;; [unrolled: 1-line block ×4, first 2 shown]
	s_andn2_b64 vcc, exec, s[14:15]
	s_cbranch_vccnz .LBB1404_8
; %bb.6:
	s_add_u32 s12, s12, s16
	s_addc_u32 s13, s13, s17
	s_load_dword s14, s[12:13], 0x0
	s_branch .LBB1404_9
.LBB1404_7:
	s_mov_b64 s[8:9], 0
	s_branch .LBB1404_2
.LBB1404_8:
	s_mov_b32 s14, s2
.LBB1404_9:
	s_load_dwordx4 s[44:47], s[0:1], 0x48
	v_lshrrev_b32_e32 v61, 6, v0
	v_bfe_u32 v58, v0, 4, 2
	v_and_b32_e32 v59, 15, v0
	v_lshl_or_b32 v1, v61, 2, v58
	v_lshlrev_b32_e32 v3, 3, v59
	v_and_b32_e32 v62, 63, v0
	v_cmp_eq_u32_e32 vcc, 0, v1
	v_lshlrev_b32_e32 v1, 1, v3
	v_lshlrev_b32_e32 v60, 4, v0
	s_and_saveexec_b64 s[12:13], vcc
	s_cbranch_execz .LBB1404_11
; %bb.10:
	s_load_dwordx2 s[16:17], s[0:1], 0x0
	s_waitcnt lgkmcnt(0)
	s_ashr_i32 s15, s44, 31
	s_mul_hi_u32 s20, s14, s44
	s_mul_i32 s15, s14, s15
	s_add_i32 s15, s20, s15
	s_mul_i32 s14, s14, s44
	s_lshl_b64 s[14:15], s[14:15], 1
	s_add_u32 s16, s16, s14
	s_addc_u32 s17, s17, s15
	s_lshl_b32 s14, s4, 7
	s_ashr_i32 s15, s14, 31
	s_lshl_b64 s[14:15], s[14:15], 1
	s_add_u32 s14, s16, s14
	s_addc_u32 s15, s17, s15
	global_load_dwordx4 v[4:7], v1, s[14:15]
	v_lshlrev_b32_e32 v3, 8, v0
	v_lshlrev_b32_e32 v8, 8, v59
	v_and_b32_e32 v3, 0x600, v3
	v_and_b32_e32 v8, 0x800, v8
	;; [unrolled: 1-line block ×3, first 2 shown]
	v_or3_b32 v3, v8, v3, v9
	s_waitcnt vmcnt(0)
	ds_write_b128 v3, v[4:7]
.LBB1404_11:
	s_or_b64 exec, exec, s[12:13]
	s_waitcnt lgkmcnt(0)
	s_mul_i32 s13, s4, s46
	s_add_u32 s8, s8, s13
	s_addc_u32 s9, s9, 0
	v_mov_b32_e32 v55, 0
	v_mov_b64_e32 v[24:25], s[8:9]
	v_and_b32_e32 v33, 48, v0
	s_waitcnt vmcnt(3)
	v_mad_i64_i32 v[2:3], s[8:9], v2, s45, v[24:25]
	v_lshlrev_b32_e32 v22, 4, v59
	v_mov_b32_e32 v23, v55
	v_lshlrev_b32_e32 v54, 5, v33
	v_lshl_add_u64 v[2:3], v[2:3], 0, v[22:23]
	v_lshl_add_u64 v[6:7], v[2:3], 0, v[54:55]
	s_barrier
	global_load_dwordx4 v[14:17], v[6:7], off
	global_load_dwordx4 v[2:5], v[6:7], off offset:2048
	s_ashr_i32 s8, s18, 31
	v_or_b32_e32 v34, 0x100, v22
	v_mov_b32_e32 v35, v55
	v_or_b32_e32 v39, s18, v33
	s_lshr_b32 s14, s8, 27
	s_waitcnt vmcnt(4)
	v_mad_i64_i32 v[32:33], s[8:9], v32, s45, v[24:25]
	s_waitcnt vmcnt(3)
	v_mad_i64_i32 v[36:37], s[8:9], v30, s45, v[24:25]
	;; [unrolled: 2-line block ×3, first 2 shown]
	v_lshl_add_u64 v[30:31], v[32:33], 0, v[34:35]
	v_lshlrev_b32_e32 v6, 9, v58
	v_lshl_add_u64 v[30:31], v[30:31], 0, v[54:55]
	s_load_dword s12, s[0:1], 0x1c
	s_load_dwordx4 s[40:43], s[0:1], 0x80
	ds_read_b128 v[26:29], v6
	ds_read_b128 v[18:21], v6 offset:16
	ds_read_b128 v[10:13], v6 offset:2048
	;; [unrolled: 1-line block ×3, first 2 shown]
	global_load_dwordx4 v[50:53], v[30:31], off
	v_or_b32_e32 v40, 64, v39
	v_add_u32_e32 v32, s14, v39
	v_mov_b32_e32 v38, s19
	v_or_b32_e32 v41, 0x80, v39
	v_add_u32_e32 v33, s14, v40
	v_ashrrev_i32_e32 v32, 5, v32
	v_cmp_gt_i32_e32 vcc, s33, v39
	v_or_b32_e32 v42, 0xc0, v39
	v_add_u32_e32 v43, s14, v41
	v_ashrrev_i32_e32 v33, 5, v33
	v_cndmask_b32_e32 v46, v38, v32, vcc
	v_cmp_gt_i32_e32 vcc, s33, v40
	v_add_u32_e32 v44, s14, v42
	v_lshl_add_u64 v[22:23], v[36:37], 0, v[22:23]
	v_lshl_add_u64 v[24:25], v[24:25], 0, v[34:35]
	v_ashrrev_i32_e32 v43, 5, v43
	v_cndmask_b32_e32 v48, v38, v33, vcc
	v_cmp_gt_i32_e32 vcc, s33, v41
	v_ashrrev_i32_e32 v44, 5, v44
	v_lshl_add_u64 v[34:35], v[22:23], 0, v[54:55]
	v_lshl_add_u64 v[36:37], v[24:25], 0, v[54:55]
	v_cndmask_b32_e32 v56, v38, v43, vcc
	v_cmp_gt_i32_e32 vcc, s33, v42
	v_ashrrev_i32_e32 v47, 31, v46
	v_ashrrev_i32_e32 v49, 31, v48
	v_cndmask_b32_e32 v64, v38, v44, vcc
	global_load_dwordx4 v[30:33], v[30:31], off offset:2048
	s_nop 0
	global_load_dwordx4 v[22:25], v[34:35], off
	global_load_dwordx4 v[42:45], v[34:35], off offset:2048
	global_load_dwordx4 v[38:41], v[36:37], off
	s_nop 0
	global_load_dwordx4 v[34:37], v[36:37], off offset:2048
	v_ashrrev_i32_e32 v57, 31, v56
	v_ashrrev_i32_e32 v65, 31, v64
	v_lshl_add_u64 v[46:47], v[46:47], 2, s[6:7]
	v_lshl_add_u64 v[48:49], v[48:49], 2, s[6:7]
	;; [unrolled: 1-line block ×4, first 2 shown]
	global_load_dword v67, v[46:47], off
	global_load_dword v66, v[48:49], off
	;; [unrolled: 1-line block ×4, first 2 shown]
	s_mov_b32 s44, 0x7060302
	s_add_u32 s8, s10, s13
	s_addc_u32 s9, s11, 0
	v_and_b32_e32 v54, 16, v0
	v_lshl_or_b32 v63, v61, 4, v59
	s_waitcnt vmcnt(11)
	v_cvt_pk_f32_fp8_e32 v[46:47], v14
	v_cvt_pk_f32_fp8_sdwa v[48:49], v14 src0_sel:WORD_1
	v_cvt_pk_f32_fp8_e32 v[56:57], v15
	v_cvt_pk_f32_fp8_sdwa v[14:15], v15 src0_sel:WORD_1
	;; [unrolled: 2-line block ×4, first 2 shown]
	v_perm_b32 v16, v47, v46, s44
	v_perm_b32 v17, v49, v48, s44
	;; [unrolled: 1-line block ×4, first 2 shown]
	s_waitcnt lgkmcnt(0)
	v_mfma_f32_16x16x16_bf16 v[14:17], v[16:17], v[26:27], 0
	v_perm_b32 v68, v69, v68, s44
	v_perm_b32 v69, v71, v70, s44
	s_waitcnt vmcnt(10)
	v_cvt_pk_f32_fp8_e32 v[46:47], v2
	v_mfma_f32_16x16x16_bf16 v[14:17], v[56:57], v[28:29], v[14:17]
	v_cvt_pk_f32_fp8_sdwa v[48:49], v2 src0_sel:WORD_1
	v_perm_b32 v56, v73, v72, s44
	v_perm_b32 v57, v75, v74, s44
	v_mfma_f32_16x16x16_bf16 v[14:17], v[68:69], v[18:19], v[14:17]
	v_cvt_pk_f32_fp8_e32 v[76:77], v3
	v_cvt_pk_f32_fp8_sdwa v[2:3], v3 src0_sel:WORD_1
	v_perm_b32 v46, v47, v46, s44
	v_perm_b32 v47, v49, v48, s44
	v_mfma_f32_16x16x16_bf16 v[14:17], v[56:57], v[20:21], v[14:17]
	v_cvt_pk_f32_fp8_e32 v[68:69], v4
	v_cvt_pk_f32_fp8_sdwa v[48:49], v4 src0_sel:WORD_1
	v_perm_b32 v56, v77, v76, s44
	v_perm_b32 v57, v3, v2, s44
	v_mfma_f32_16x16x16_bf16 v[14:17], v[46:47], v[10:11], v[14:17]
	v_perm_b32 v46, v69, v68, s44
	v_perm_b32 v47, v49, v48, s44
	v_cvt_pk_f32_fp8_e32 v[48:49], v5
	v_cvt_pk_f32_fp8_sdwa v[68:69], v5 src0_sel:WORD_1
	v_mfma_f32_16x16x16_bf16 v[2:5], v[56:57], v[12:13], v[14:17]
	s_waitcnt vmcnt(9)
	v_cvt_pk_f32_fp8_sdwa v[56:57], v50 src0_sel:WORD_1
	s_waitcnt vmcnt(7)
	v_cvt_pk_f32_fp8_e32 v[72:73], v25
	v_perm_b32 v14, v49, v48, s44
	v_perm_b32 v15, v69, v68, s44
	v_mfma_f32_16x16x16_bf16 v[2:5], v[46:47], v[6:7], v[2:5]
	v_cvt_pk_f32_fp8_e32 v[16:17], v50
	v_cvt_pk_f32_fp8_sdwa v[74:75], v25 src0_sel:WORD_1
	s_waitcnt vmcnt(6)
	v_cvt_pk_f32_fp8_sdwa v[78:79], v44 src0_sel:WORD_1
	v_mfma_f32_16x16x16_bf16 v[46:49], v[14:15], v[8:9], v[2:5]
	v_cvt_pk_f32_fp8_sdwa v[14:15], v51 src0_sel:WORD_1
	s_nop 1
	v_cvt_pk_f32_fp8_e32 v[2:3], v51
	v_perm_b32 v4, v17, v16, s44
	v_perm_b32 v5, v57, v56, s44
	v_cvt_pk_f32_fp8_e32 v[50:51], v52
	v_perm_b32 v16, v3, v2, s44
	v_cvt_pk_f32_fp8_sdwa v[56:57], v52 src0_sel:WORD_1
	v_perm_b32 v17, v15, v14, s44
	v_mfma_f32_16x16x16_bf16 v[2:5], v[4:5], v[26:27], 0
	v_perm_b32 v14, v51, v50, s44
	v_perm_b32 v15, v57, v56, s44
	v_cvt_pk_f32_fp8_e32 v[50:51], v53
	v_cvt_pk_f32_fp8_sdwa v[52:53], v53 src0_sel:WORD_1
	v_mfma_f32_16x16x16_bf16 v[2:5], v[16:17], v[28:29], v[2:5]
	v_lshl_add_u64 v[56:57], s[8:9], 0, v[54:55]
	v_perm_b32 v16, v51, v50, s44
	v_perm_b32 v17, v53, v52, s44
	v_mfma_f32_16x16x16_bf16 v[2:5], v[14:15], v[18:19], v[2:5]
	v_cvt_pk_f32_fp8_e32 v[14:15], v30
	v_cvt_pk_f32_fp8_sdwa v[50:51], v30 src0_sel:WORD_1
	v_cvt_pk_f32_fp8_sdwa v[52:53], v32 src0_sel:WORD_1
	v_mfma_f32_16x16x16_bf16 v[2:5], v[16:17], v[20:21], v[2:5]
	v_cvt_pk_f32_fp8_e32 v[16:17], v31
	v_perm_b32 v14, v15, v14, s44
	v_perm_b32 v15, v51, v50, s44
	v_cvt_pk_f32_fp8_sdwa v[30:31], v31 src0_sel:WORD_1
	v_perm_b32 v16, v17, v16, s44
	v_cvt_pk_f32_fp8_e32 v[50:51], v32
	v_mfma_f32_16x16x16_bf16 v[2:5], v[14:15], v[10:11], v[2:5]
	v_perm_b32 v17, v31, v30, s44
	v_perm_b32 v14, v51, v50, s44
	;; [unrolled: 1-line block ×3, first 2 shown]
	v_cvt_pk_f32_fp8_e32 v[30:31], v33
	v_cvt_pk_f32_fp8_sdwa v[32:33], v33 src0_sel:WORD_1
	v_mfma_f32_16x16x16_bf16 v[2:5], v[16:17], v[12:13], v[2:5]
	v_lshlrev_b32_e32 v54, 5, v63
	v_perm_b32 v16, v31, v30, s44
	v_perm_b32 v17, v33, v32, s44
	v_mfma_f32_16x16x16_bf16 v[2:5], v[14:15], v[6:7], v[2:5]
	v_cvt_pk_f32_fp8_e32 v[14:15], v22
	v_cvt_pk_f32_fp8_sdwa v[30:31], v22 src0_sel:WORD_1
	v_lshl_add_u64 v[68:69], v[56:57], 0, v[54:55]
	v_mfma_f32_16x16x16_bf16 v[50:53], v[16:17], v[8:9], v[2:5]
	s_waitcnt vmcnt(3)
	v_mad_i64_i32 v[16:17], s[6:7], v67, s45, v[68:69]
	s_waitcnt vmcnt(2)
	v_mad_i64_i32 v[70:71], s[6:7], v66, s45, v[68:69]
	v_perm_b32 v2, v15, v14, s44
	v_perm_b32 v3, v31, v30, s44
	v_cvt_pk_f32_fp8_e32 v[4:5], v23
	v_cvt_pk_f32_fp8_sdwa v[14:15], v23 src0_sel:WORD_1
	v_cvt_pk_f32_fp8_sdwa v[30:31], v24 src0_sel:WORD_1
	v_or_b32_e32 v54, 0x800, v54
	v_perm_b32 v22, v5, v4, s44
	v_perm_b32 v23, v15, v14, s44
	v_cvt_pk_f32_fp8_e32 v[14:15], v24
	v_mfma_f32_16x16x16_bf16 v[2:5], v[2:3], v[26:27], 0
	v_perm_b32 v14, v15, v14, s44
	v_perm_b32 v15, v31, v30, s44
	v_mfma_f32_16x16x16_bf16 v[2:5], v[22:23], v[28:29], v[2:5]
	global_load_dwordx4 v[30:33], v[16:17], off
	global_load_dwordx4 v[22:25], v[70:71], off
	v_perm_b32 v16, v73, v72, s44
	v_perm_b32 v17, v75, v74, s44
	v_mfma_f32_16x16x16_bf16 v[2:5], v[14:15], v[18:19], v[2:5]
	v_cvt_pk_f32_fp8_e32 v[14:15], v42
	v_cvt_pk_f32_fp8_sdwa v[70:71], v42 src0_sel:WORD_1
	s_waitcnt vmcnt(3)
	v_mad_i64_i32 v[72:73], s[6:7], v65, s45, v[68:69]
	v_mfma_f32_16x16x16_bf16 v[2:5], v[16:17], v[20:21], v[2:5]
	v_perm_b32 v14, v15, v14, s44
	v_perm_b32 v15, v71, v70, s44
	v_cvt_pk_f32_fp8_e32 v[16:17], v43
	v_cvt_pk_f32_fp8_sdwa v[42:43], v43 src0_sel:WORD_1
	s_waitcnt vmcnt(2)
	v_mad_i64_i32 v[74:75], s[6:7], v64, s45, v[68:69]
	v_perm_b32 v76, v17, v16, s44
	v_perm_b32 v77, v43, v42, s44
	v_cvt_pk_f32_fp8_e32 v[42:43], v44
	v_mfma_f32_16x16x16_bf16 v[68:71], v[14:15], v[10:11], v[2:5]
	global_load_dwordx4 v[14:17], v[72:73], off
	s_nop 1
	global_load_dwordx4 v[2:5], v[74:75], off
	v_perm_b32 v73, v79, v78, s44
	v_perm_b32 v72, v43, v42, s44
	v_cvt_pk_f32_fp8_e32 v[74:75], v45
	v_cvt_pk_f32_fp8_sdwa v[44:45], v45 src0_sel:WORD_1
	v_mfma_f32_16x16x16_bf16 v[68:71], v[76:77], v[12:13], v[68:71]
	v_lshl_add_u64 v[42:43], v[56:57], 0, v[54:55]
	v_perm_b32 v56, v75, v74, s44
	v_perm_b32 v57, v45, v44, s44
	v_mfma_f32_16x16x16_bf16 v[68:71], v[72:73], v[6:7], v[68:71]
	v_cvt_pk_f32_fp8_e32 v[44:45], v38
	v_cvt_pk_f32_fp8_sdwa v[72:73], v38 src0_sel:WORD_1
	s_load_dword s6, s[40:41], 0x0
	v_mfma_f32_16x16x16_bf16 v[68:71], v[56:57], v[8:9], v[68:71]
	v_cvt_pk_f32_fp8_e32 v[56:57], v39
	v_perm_b32 v44, v45, v44, s44
	v_perm_b32 v45, v73, v72, s44
	v_cvt_pk_f32_fp8_sdwa v[38:39], v39 src0_sel:WORD_1
	v_perm_b32 v56, v57, v56, s44
	v_cvt_pk_f32_fp8_e32 v[76:77], v40
	v_cvt_pk_f32_fp8_sdwa v[78:79], v40 src0_sel:WORD_1
	v_perm_b32 v57, v39, v38, s44
	v_mfma_f32_16x16x16_bf16 v[72:75], v[44:45], v[26:27], 0
	v_perm_b32 v38, v77, v76, s44
	v_perm_b32 v39, v79, v78, s44
	v_cvt_pk_f32_fp8_e32 v[76:77], v41
	v_cvt_pk_f32_fp8_sdwa v[40:41], v41 src0_sel:WORD_1
	v_mov_b32_e32 v26, s12
	s_waitcnt lgkmcnt(0)
	v_mul_f32_e32 v54, s6, v26
	v_mfma_f32_16x16x16_bf16 v[26:29], v[56:57], v[28:29], v[72:75]
	v_pk_mul_f32 v[44:45], v[54:55], v[48:49] op_sel_hi:[0,1]
	v_perm_b32 v48, v77, v76, s44
	v_perm_b32 v49, v41, v40, s44
	v_mfma_f32_16x16x16_bf16 v[26:29], v[38:39], v[18:19], v[26:29]
	v_cvt_pk_f32_fp8_e32 v[18:19], v34
	v_cvt_pk_f32_fp8_sdwa v[38:39], v34 src0_sel:WORD_1
	v_pk_mul_f32 v[56:57], v[54:55], v[46:47] op_sel_hi:[0,1]
	v_mfma_f32_16x16x16_bf16 v[26:29], v[48:49], v[20:21], v[26:29]
	v_perm_b32 v20, v19, v18, s44
	v_perm_b32 v21, v39, v38, s44
	v_cvt_pk_f32_fp8_e32 v[38:39], v35
	v_cvt_pk_f32_fp8_sdwa v[34:35], v35 src0_sel:WORD_1
	v_mfma_f32_16x16x16_bf16 v[26:29], v[20:21], v[10:11], v[26:29]
	v_perm_b32 v38, v39, v38, s44
	v_perm_b32 v39, v35, v34, s44
	v_cvt_pk_f32_fp8_e32 v[10:11], v36
	v_cvt_pk_f32_fp8_sdwa v[20:21], v36 src0_sel:WORD_1
	s_mov_b32 s40, 0xff7fffff
	v_pk_mul_f32 v[50:51], v[54:55], v[50:51] op_sel_hi:[0,1]
	v_perm_b32 v40, v11, v10, s44
	v_perm_b32 v41, v21, v20, s44
	v_cvt_pk_f32_fp8_e32 v[20:21], v37
	v_cvt_pk_f32_fp8_sdwa v[36:37], v37 src0_sel:WORD_1
	v_mfma_f32_16x16x16_bf16 v[10:13], v[38:39], v[12:13], v[26:29]
	v_pk_mul_f32 v[34:35], v[54:55], v[52:53] op_sel_hi:[0,1]
	v_perm_b32 v20, v21, v20, s44
	v_perm_b32 v21, v37, v36, s44
	v_mfma_f32_16x16x16_bf16 v[10:13], v[40:41], v[6:7], v[10:13]
	v_pk_mul_f32 v[46:47], v[54:55], v[68:69] op_sel_hi:[0,1]
	v_pk_mul_f32 v[40:41], v[54:55], v[70:71] op_sel_hi:[0,1]
	v_mad_i64_i32 v[18:19], s[6:7], v67, s45, v[42:43]
	v_mfma_f32_16x16x16_bf16 v[6:9], v[20:21], v[8:9], v[10:13]
	v_mad_i64_i32 v[66:67], s[6:7], v66, s45, v[42:43]
	global_load_dwordx4 v[26:29], v[18:19], off
	s_nop 0
	global_load_dwordx4 v[18:21], v[66:67], off
	s_nop 2
	v_pk_mul_f32 v[48:49], v[54:55], v[6:7] op_sel_hi:[0,1]
	v_and_b32_e32 v6, 0xc0, v0
	v_add_u32_e32 v6, s18, v6
	v_lshl_or_b32 v6, v58, 2, v6
	v_pk_mul_f32 v[38:39], v[54:55], v[8:9] op_sel_hi:[0,1]
	v_or_b32_e32 v9, 1, v6
	v_mov_b32_e32 v7, 0xff7fffff
	v_cmp_gt_i32_e64 s[26:27], s33, v6
	v_cmp_gt_i32_e64 s[28:29], s33, v9
	v_or_b32_e32 v10, 3, v6
	v_cndmask_b32_e64 v8, v7, v56, s[26:27]
	v_cndmask_b32_e64 v9, v7, v57, s[28:29]
	v_max3_f32 v8, v8, s40, v9
	v_or_b32_e32 v9, 2, v6
	v_cmp_gt_i32_e64 s[30:31], s33, v9
	v_cmp_gt_i32_e64 s[34:35], s33, v10
	s_nop 0
	v_cndmask_b32_e64 v9, v7, v44, s[30:31]
	v_cndmask_b32_e64 v10, v7, v45, s[34:35]
	v_max3_f32 v8, v8, v9, v10
	v_or_b32_e32 v9, 16, v6
	v_or_b32_e32 v10, 17, v6
	v_cmp_gt_i32_e64 s[18:19], s33, v9
	v_cmp_gt_i32_e64 s[20:21], s33, v10
	s_nop 0
	v_cndmask_b32_e64 v9, v7, v50, s[18:19]
	v_cndmask_b32_e64 v10, v7, v51, s[20:21]
	v_max3_f32 v8, v8, v9, v10
	v_or_b32_e32 v9, 18, v6
	;; [unrolled: 8-line block ×5, first 2 shown]
	v_or_b32_e32 v10, 49, v6
	v_cmp_gt_i32_e32 vcc, s33, v9
	v_cmp_gt_i32_e64 s[24:25], s33, v10
	s_nop 0
	v_cndmask_b32_e32 v9, v7, v48, vcc
	v_cndmask_b32_e64 v10, v7, v49, s[24:25]
	v_max3_f32 v8, v8, v9, v10
	v_or_b32_e32 v9, 50, v6
	v_or_b32_e32 v6, 51, v6
	v_cmp_gt_i32_e64 s[6:7], s33, v9
	v_cmp_gt_i32_e64 s[8:9], s33, v6
	s_nop 0
	v_cndmask_b32_e64 v9, v7, v38, s[6:7]
	v_cndmask_b32_e64 v6, v7, v39, s[8:9]
	v_max3_f32 v8, v8, v9, v6
	v_mbcnt_lo_u32_b32 v6, -1, 0
	v_mbcnt_hi_u32_b32 v9, -1, v6
	v_and_b32_e32 v6, 64, v9
	v_add_u32_e32 v10, 64, v6
	v_xor_b32_e32 v6, 32, v9
	v_cmp_lt_i32_e64 s[38:39], v6, v10
	s_nop 1
	v_cndmask_b32_e64 v6, v9, v6, s[38:39]
	v_lshlrev_b32_e32 v53, 2, v6
	ds_bpermute_b32 v11, v53, v8
	v_mad_i64_i32 v[6:7], s[38:39], v65, s45, v[42:43]
	s_waitcnt lgkmcnt(0)
	v_max_f32_e32 v11, v11, v11
	v_max_f32_e32 v36, v8, v11
	v_xor_b32_e32 v8, 16, v9
	v_cmp_lt_i32_e64 s[38:39], v8, v10
	s_nop 1
	v_cndmask_b32_e64 v8, v9, v8, s[38:39]
	v_lshlrev_b32_e32 v54, 2, v8
	v_mad_i64_i32 v[8:9], s[38:39], v64, s45, v[42:43]
	global_load_dwordx4 v[10:13], v[6:7], off
	s_nop 0
	global_load_dwordx4 v[6:9], v[8:9], off
	ds_bpermute_b32 v37, v54, v36
	s_waitcnt lgkmcnt(0)
	s_barrier
	v_max_f32_e32 v37, v37, v37
	v_max_f32_e32 v52, v36, v37
	v_sub_f32_e32 v42, v44, v52
	v_mul_f32_e32 v42, 0x3fb8aa3b, v42
	v_exp_f32_e32 v42, v42
	v_sub_f32_e32 v43, v45, v52
	v_mul_f32_e32 v43, 0x3fb8aa3b, v43
	v_exp_f32_e32 v43, v43
	v_cndmask_b32_e64 v44, 0, v42, s[30:31]
	v_sub_f32_e32 v42, v50, v52
	v_sub_f32_e32 v34, v34, v52
	v_mul_f32_e32 v42, 0x3fb8aa3b, v42
	v_mul_f32_e32 v34, 0x3fb8aa3b, v34
	v_exp_f32_e32 v42, v42
	v_exp_f32_e32 v50, v34
	v_cndmask_b32_e64 v45, 0, v43, s[34:35]
	v_sub_f32_e32 v43, v51, v52
	v_sub_f32_e32 v34, v35, v52
	;; [unrolled: 1-line block ×4, first 2 shown]
	v_mul_f32_e32 v43, 0x3fb8aa3b, v43
	v_mul_f32_e32 v34, 0x3fb8aa3b, v34
	;; [unrolled: 1-line block ×4, first 2 shown]
	v_exp_f32_e32 v43, v43
	v_exp_f32_e32 v51, v34
	v_cndmask_b32_e64 v34, 0, v42, s[18:19]
	v_cndmask_b32_e64 v42, 0, v50, s[22:23]
	v_exp_f32_e32 v46, v46
	v_exp_f32_e32 v50, v40
	v_sub_f32_e32 v36, v56, v52
	v_mul_f32_e32 v36, 0x3fb8aa3b, v36
	v_sub_f32_e32 v37, v57, v52
	v_sub_f32_e32 v47, v47, v52
	;; [unrolled: 1-line block ×5, first 2 shown]
	v_exp_f32_e32 v36, v36
	v_mul_f32_e32 v37, 0x3fb8aa3b, v37
	v_mul_f32_e32 v47, 0x3fb8aa3b, v47
	;; [unrolled: 1-line block ×5, first 2 shown]
	v_exp_f32_e32 v37, v37
	v_cndmask_b32_e64 v35, 0, v43, s[20:21]
	v_cndmask_b32_e64 v43, 0, v51, s[36:37]
	v_exp_f32_e32 v47, v47
	v_exp_f32_e32 v51, v40
	v_cndmask_b32_e64 v40, 0, v46, s[10:11]
	v_cndmask_b32_e64 v46, 0, v50, s[14:15]
	v_exp_f32_e32 v48, v48
	v_exp_f32_e32 v50, v38
	v_sub_f32_e32 v38, v39, v52
	v_cndmask_b32_e64 v36, 0, v36, s[26:27]
	v_mul_f32_e32 v38, 0x3fb8aa3b, v38
	v_cndmask_b32_e64 v37, 0, v37, s[28:29]
	v_cndmask_b32_e64 v41, 0, v47, s[12:13]
	;; [unrolled: 1-line block ×3, first 2 shown]
	v_exp_f32_e32 v51, v38
	v_cndmask_b32_e32 v38, 0, v48, vcc
	v_cndmask_b32_e64 v48, 0, v50, s[6:7]
	v_add_f32_e32 v50, 0, v36
	v_add_f32_e32 v50, v50, v37
	;; [unrolled: 1-line block ×6, first 2 shown]
	v_sub_f32_e32 v49, v49, v52
	v_add_f32_e32 v50, v50, v42
	v_mul_f32_e32 v49, 0x3fb8aa3b, v49
	v_add_f32_e32 v50, v50, v43
	v_exp_f32_e32 v49, v49
	v_add_f32_e32 v50, v50, v40
	v_add_f32_e32 v50, v50, v41
	v_add_f32_e32 v50, v50, v46
	v_add_f32_e32 v50, v50, v47
	v_cndmask_b32_e64 v39, 0, v49, s[24:25]
	v_add_f32_e32 v50, v50, v38
	v_add_f32_e32 v50, v50, v39
	v_cndmask_b32_e64 v49, 0, v51, s[8:9]
	v_add_f32_e32 v50, v50, v48
	v_add_f32_e32 v50, v50, v49
	ds_bpermute_b32 v51, v53, v50
	v_cmp_lt_u32_e64 s[6:7], 15, v62
	v_cmp_gt_u32_e32 vcc, 16, v62
	s_waitcnt lgkmcnt(0)
	v_add_f32_e32 v50, v50, v51
	ds_bpermute_b32 v51, v54, v50
	s_and_saveexec_b64 s[8:9], vcc
	s_cbranch_execz .LBB1404_13
; %bb.12:
	s_waitcnt lgkmcnt(0)
	v_add_f32_e32 v50, v50, v51
	v_lshlrev_b32_e32 v51, 2, v63
	ds_write2st64_b32 v51, v52, v50 offset1:1
.LBB1404_13:
	s_or_b64 exec, exec, s[8:9]
	s_waitcnt lgkmcnt(0)
	v_lshlrev_b32_e32 v51, 2, v59
	s_load_dwordx2 s[8:9], s[0:1], 0x94
	s_waitcnt lgkmcnt(0)
	s_barrier
	ds_read2_b32 v[52:53], v51 offset1:16
	ds_read2_b32 v[56:57], v51 offset0:32 offset1:48
	ds_read2_b32 v[62:63], v51 offset0:64 offset1:80
	s_movk_i32 s12, 0x7fff
	s_waitcnt lgkmcnt(2)
	v_max3_f32 v50, v52, s40, v53
	s_waitcnt lgkmcnt(1)
	v_max3_f32 v50, v50, v56, v57
	v_sub_f32_e32 v52, v52, v50
	v_mul_f32_e32 v52, 0x3fb8aa3b, v52
	v_exp_f32_e32 v54, v52
	v_sub_f32_e32 v52, v53, v50
	v_mul_f32_e32 v52, 0x3fb8aa3b, v52
	v_exp_f32_e32 v64, v52
	;; [unrolled: 3-line block ×3, first 2 shown]
	ds_read2_b32 v[52:53], v51 offset0:96 offset1:112
	v_sub_f32_e32 v51, v57, v50
	v_mul_f32_e32 v51, 0x3fb8aa3b, v51
	v_exp_f32_e32 v57, v51
	s_waitcnt lgkmcnt(1)
	v_fma_f32 v51, v54, v62, 0
	v_fmac_f32_e32 v51, v64, v63
	s_waitcnt lgkmcnt(0)
	v_fmac_f32_e32 v51, v56, v52
	v_fmac_f32_e32 v51, v57, v53
	v_add_f32_e32 v52, 0x358637bd, v51
	v_div_scale_f32 v53, s[10:11], v52, v52, 1.0
	v_rcp_f32_e32 v62, v53
	s_barrier
	v_fma_f32 v63, -v53, v62, 1.0
	v_fmac_f32_e32 v62, v63, v62
	v_div_scale_f32 v63, vcc, 1.0, v52, 1.0
	v_mul_f32_e32 v65, v63, v62
	v_fma_f32 v66, -v53, v65, v63
	v_fmac_f32_e32 v65, v66, v62
	v_fma_f32 v53, -v53, v65, v63
	v_div_fmas_f32 v53, v53, v62, v65
	v_cmp_eq_u32_e32 vcc, 1, v61
	v_div_fixup_f32 v52, v53, v52, 1.0
	s_nop 0
	v_cndmask_b32_e32 v53, v54, v64, vcc
	v_cmp_eq_u32_e32 vcc, 2, v61
	s_nop 1
	v_cndmask_b32_e32 v53, v53, v56, vcc
	v_cmp_eq_u32_e32 vcc, 3, v61
	s_nop 1
	v_cndmask_b32_e32 v53, v53, v57, vcc
	v_mul_f32_e32 v52, v53, v52
	v_pk_mul_f32 v[36:37], v[52:53], v[36:37] op_sel_hi:[0,1]
	v_pk_mul_f32 v[44:45], v[52:53], v[44:45] op_sel_hi:[0,1]
	v_bfe_u32 v53, v37, 16, 1
	v_bfe_u32 v54, v36, 16, 1
	v_add3_u32 v36, v36, v54, s12
	v_add3_u32 v37, v37, v53, s12
	v_perm_b32 v56, v37, v36, s44
	v_bfe_u32 v36, v45, 16, 1
	v_bfe_u32 v37, v44, 16, 1
	v_add3_u32 v37, v44, v37, s12
	v_add3_u32 v36, v45, v36, s12
	v_perm_b32 v57, v36, v37, s44
	v_lshlrev_b32_e32 v37, 3, v58
	v_lshlrev_b32_e32 v36, 5, v59
	v_lshlrev_b32_e32 v44, 11, v61
	v_pk_mul_f32 v[34:35], v[52:53], v[34:35] op_sel_hi:[0,1]
	v_or3_b32 v54, v44, v36, v37
	v_bfe_u32 v37, v35, 16, 1
	v_bfe_u32 v44, v34, 16, 1
	v_pk_mul_f32 v[42:43], v[52:53], v[42:43] op_sel_hi:[0,1]
	v_add3_u32 v34, v34, v44, s12
	v_add3_u32 v35, v35, v37, s12
	v_perm_b32 v34, v35, v34, s44
	v_bfe_u32 v35, v43, 16, 1
	v_bfe_u32 v37, v42, 16, 1
	v_add3_u32 v37, v42, v37, s12
	v_add3_u32 v35, v43, v35, s12
	v_pk_mul_f32 v[40:41], v[52:53], v[40:41] op_sel_hi:[0,1]
	v_perm_b32 v35, v35, v37, s44
	v_bfe_u32 v37, v41, 16, 1
	v_bfe_u32 v42, v40, 16, 1
	ds_write2st64_b64 v54, v[56:57], v[34:35] offset1:1
	v_pk_mul_f32 v[34:35], v[52:53], v[46:47] op_sel_hi:[0,1]
	v_add3_u32 v40, v40, v42, s12
	v_add3_u32 v37, v41, v37, s12
	v_perm_b32 v40, v37, v40, s44
	v_bfe_u32 v37, v35, 16, 1
	v_bfe_u32 v41, v34, 16, 1
	v_pk_mul_f32 v[38:39], v[52:53], v[38:39] op_sel_hi:[0,1]
	v_add3_u32 v34, v34, v41, s12
	v_add3_u32 v35, v35, v37, s12
	v_bfe_u32 v37, v39, 16, 1
	v_bfe_u32 v42, v38, 16, 1
	v_perm_b32 v41, v35, v34, s44
	v_pk_mul_f32 v[34:35], v[52:53], v[48:49] op_sel_hi:[0,1]
	v_add3_u32 v38, v38, v42, s12
	v_add3_u32 v37, v39, v37, s12
	v_perm_b32 v38, v37, v38, s44
	v_bfe_u32 v37, v35, 16, 1
	v_bfe_u32 v39, v34, 16, 1
	v_add3_u32 v34, v34, v39, s12
	v_add3_u32 v35, v35, v37, s12
	v_perm_b32 v39, v35, v34, s44
	v_cmp_eq_u32_e32 vcc, 0, v0
	ds_write2st64_b64 v54, v[40:41], v[38:39] offset0:2 offset1:3
	s_and_saveexec_b64 s[10:11], vcc
	s_cbranch_execz .LBB1404_15
; %bb.14:
	s_mul_i32 s3, s3, s9
	s_mul_hi_u32 s13, s2, s9
	s_add_i32 s13, s13, s3
	s_mul_i32 s3, s2, s9
	s_add_u32 s3, s3, s4
	s_addc_u32 s13, s13, 0
	s_load_dwordx4 s[16:19], s[0:1], 0x58
	s_mul_i32 s13, s13, s8
	s_mul_hi_u32 s14, s3, s8
	s_add_i32 s13, s14, s13
	s_mul_i32 s3, s3, s8
	s_add_u32 s14, s3, s5
	s_addc_u32 s15, s13, 0
	s_lshl_b64 s[14:15], s[14:15], 2
	s_waitcnt lgkmcnt(0)
	s_add_u32 s18, s18, s14
	s_addc_u32 s19, s19, s15
	s_add_u32 s14, s16, s14
	s_addc_u32 s15, s17, s15
	global_store_dword v55, v50, s[18:19]
	global_store_dword v55, v51, s[14:15]
.LBB1404_15:
	s_or_b64 exec, exec, s[10:11]
	v_lshl_or_b32 v50, v58, 9, v36
	s_waitcnt vmcnt(7)
	v_cvt_pk_f32_fp8_e32 v[34:35], v30
	v_cvt_pk_f32_fp8_sdwa v[36:37], v30 src0_sel:WORD_1
	s_mov_b32 s11, 0x7060302
	s_waitcnt lgkmcnt(0)
	s_barrier
	v_cvt_pk_f32_fp8_e32 v[38:39], v31
	v_perm_b32 v30, v35, v34, s11
	v_cvt_pk_f32_fp8_sdwa v[40:41], v31 src0_sel:WORD_1
	v_perm_b32 v31, v37, v36, s11
	ds_read_b128 v[34:37], v50
	v_perm_b32 v46, v39, v38, s11
	v_perm_b32 v47, v41, v40, s11
	ds_read_b128 v[38:41], v50 offset:16
	v_cvt_pk_f32_fp8_e32 v[48:49], v32
	v_cvt_pk_f32_fp8_sdwa v[52:53], v32 src0_sel:WORD_1
	s_waitcnt lgkmcnt(1)
	v_mfma_f32_16x16x16_bf16 v[42:45], v[30:31], v[34:35], 0
	s_waitcnt vmcnt(6)
	v_cvt_pk_f32_fp8_e32 v[56:57], v24
	v_perm_b32 v30, v49, v48, s11
	v_perm_b32 v31, v53, v52, s11
	v_cvt_pk_f32_fp8_e32 v[48:49], v33
	v_mfma_f32_16x16x16_bf16 v[42:45], v[46:47], v[36:37], v[42:45]
	v_cvt_pk_f32_fp8_sdwa v[46:47], v33 src0_sel:WORD_1
	v_cvt_pk_f32_fp8_sdwa v[62:63], v24 src0_sel:WORD_1
	v_perm_b32 v48, v49, v48, s11
	s_waitcnt lgkmcnt(0)
	v_mfma_f32_16x16x16_bf16 v[30:33], v[30:31], v[38:39], v[42:45]
	v_perm_b32 v49, v47, v46, s11
	s_waitcnt vmcnt(5)
	v_cvt_pk_f32_fp8_sdwa v[66:67], v16 src0_sel:WORD_1
	s_waitcnt vmcnt(4)
	v_cvt_pk_f32_fp8_sdwa v[68:69], v4 src0_sel:WORD_1
	v_cvt_pk_f32_fp8_e32 v[42:43], v22
	v_mfma_f32_16x16x16_bf16 v[46:49], v[48:49], v[40:41], v[30:33]
	s_load_dword s10, s[42:43], 0x0
	s_waitcnt vmcnt(3)
	v_cvt_pk_f32_fp8_sdwa v[70:71], v28 src0_sel:WORD_1
	v_cvt_pk_f32_fp8_sdwa v[30:31], v22 src0_sel:WORD_1
	v_cvt_pk_f32_fp8_e32 v[32:33], v23
	v_perm_b32 v22, v43, v42, s11
	v_cvt_pk_f32_fp8_sdwa v[42:43], v23 src0_sel:WORD_1
	v_perm_b32 v23, v31, v30, s11
	v_perm_b32 v52, v33, v32, s11
	ds_read_b128 v[30:33], v50 offset:2048
	v_perm_b32 v53, v43, v42, s11
	ds_read_b128 v[42:45], v50 offset:2064
	s_waitcnt lgkmcnt(0)
	v_mfma_f32_16x16x16_bf16 v[46:49], v[22:23], v[30:31], v[46:49]
	v_perm_b32 v22, v57, v56, s11
	v_perm_b32 v23, v63, v62, s11
	v_cvt_pk_f32_fp8_e32 v[56:57], v25
	v_mfma_f32_16x16x16_bf16 v[46:49], v[52:53], v[32:33], v[46:49]
	v_cvt_pk_f32_fp8_sdwa v[52:53], v25 src0_sel:WORD_1
	v_cmp_gt_u32_e32 vcc, 64, v0
	v_perm_b32 v56, v57, v56, s11
	v_mfma_f32_16x16x16_bf16 v[22:25], v[22:23], v[42:43], v[46:49]
	v_perm_b32 v57, v53, v52, s11
	s_xor_b64 s[6:7], s[6:7], -1
	s_mov_b32 s3, 0
	v_cvt_pk_f32_fp8_e32 v[46:47], v14
	v_mfma_f32_16x16x16_bf16 v[62:65], v[56:57], v[44:45], v[22:25]
	v_cvt_pk_f32_fp8_e32 v[56:57], v16
	s_and_b64 s[6:7], vcc, s[6:7]
	s_nop 0
	v_cvt_pk_f32_fp8_sdwa v[22:23], v14 src0_sel:WORD_1
	v_cvt_pk_f32_fp8_e32 v[24:25], v15
	v_perm_b32 v14, v47, v46, s11
	v_cvt_pk_f32_fp8_sdwa v[46:47], v15 src0_sel:WORD_1
	v_perm_b32 v15, v23, v22, s11
	v_perm_b32 v52, v25, v24, s11
	ds_read_b128 v[22:25], v50 offset:4096
	v_perm_b32 v53, v47, v46, s11
	ds_read_b128 v[46:49], v50 offset:4112
	s_waitcnt lgkmcnt(1)
	v_mfma_f32_16x16x16_bf16 v[62:65], v[14:15], v[22:23], v[62:65]
	v_perm_b32 v14, v57, v56, s11
	v_perm_b32 v15, v67, v66, s11
	v_cvt_pk_f32_fp8_e32 v[56:57], v17
	v_mfma_f32_16x16x16_bf16 v[62:65], v[52:53], v[24:25], v[62:65]
	v_cvt_pk_f32_fp8_sdwa v[52:53], v17 src0_sel:WORD_1
	v_cvt_pk_f32_fp8_e32 v[66:67], v4
	v_perm_b32 v56, v57, v56, s11
	s_waitcnt lgkmcnt(0)
	v_mfma_f32_16x16x16_bf16 v[14:17], v[14:15], v[46:47], v[62:65]
	v_perm_b32 v57, v53, v52, s11
	v_cvt_pk_f32_fp8_e32 v[52:53], v2
	s_nop 0
	v_mfma_f32_16x16x16_bf16 v[62:65], v[56:57], v[48:49], v[14:17]
	s_nop 2
	v_cvt_pk_f32_fp8_sdwa v[14:15], v2 src0_sel:WORD_1
	v_cvt_pk_f32_fp8_e32 v[16:17], v3
	v_perm_b32 v2, v53, v52, s11
	v_cvt_pk_f32_fp8_sdwa v[52:53], v3 src0_sel:WORD_1
	v_perm_b32 v3, v15, v14, s11
	v_perm_b32 v56, v17, v16, s11
	ds_read_b128 v[14:17], v50 offset:6144
	v_perm_b32 v57, v53, v52, s11
	s_waitcnt lgkmcnt(0)
	v_mfma_f32_16x16x16_bf16 v[62:65], v[2:3], v[14:15], v[62:65]
	ds_read_b128 v[50:53], v50 offset:6160
	v_perm_b32 v2, v67, v66, s11
	v_perm_b32 v3, v69, v68, s11
	v_cvt_pk_f32_fp8_e32 v[66:67], v5
	v_mfma_f32_16x16x16_bf16 v[62:65], v[56:57], v[16:17], v[62:65]
	v_cvt_pk_f32_fp8_sdwa v[56:57], v5 src0_sel:WORD_1
	v_cvt_pk_f32_fp8_e32 v[68:69], v28
	v_perm_b32 v66, v67, v66, s11
	s_waitcnt lgkmcnt(0)
	v_mfma_f32_16x16x16_bf16 v[2:5], v[2:3], v[50:51], v[62:65]
	v_perm_b32 v67, v57, v56, s11
	v_cvt_pk_f32_fp8_sdwa v[56:57], v26 src0_sel:WORD_1
	s_nop 0
	v_mfma_f32_16x16x16_bf16 v[62:65], v[66:67], v[52:53], v[2:5]
	s_barrier
	s_nop 1
	v_cvt_pk_f32_fp8_e32 v[4:5], v26
	s_nop 2
	v_pk_mul_f32 v[66:67], v[62:63], s[10:11] op_sel_hi:[1,0]
	v_cvt_pk_f32_fp8_e32 v[62:63], v27
	v_perm_b32 v4, v5, v4, s11
	v_perm_b32 v5, v57, v56, s11
	v_cvt_pk_f32_fp8_sdwa v[26:27], v27 src0_sel:WORD_1
	v_perm_b32 v56, v63, v62, s11
	v_pk_mul_f32 v[2:3], v[64:65], s[10:11] op_sel_hi:[1,0]
	v_mfma_f32_16x16x16_bf16 v[62:65], v[4:5], v[34:35], 0
	v_perm_b32 v57, v27, v26, s11
	v_perm_b32 v4, v69, v68, s11
	;; [unrolled: 1-line block ×3, first 2 shown]
	v_cvt_pk_f32_fp8_e32 v[34:35], v29
	v_cvt_pk_f32_fp8_sdwa v[68:69], v29 src0_sel:WORD_1
	v_mfma_f32_16x16x16_bf16 v[26:29], v[56:57], v[36:37], v[62:65]
	s_waitcnt vmcnt(2)
	v_cvt_pk_f32_fp8_sdwa v[36:37], v18 src0_sel:WORD_1
	v_perm_b32 v34, v35, v34, s11
	v_perm_b32 v35, v69, v68, s11
	v_mfma_f32_16x16x16_bf16 v[26:29], v[4:5], v[38:39], v[26:29]
	v_cvt_pk_f32_fp8_e32 v[4:5], v18
	v_cvt_pk_f32_fp8_sdwa v[38:39], v20 src0_sel:WORD_1
	v_bfe_u32 v55, v67, 16, 1
	v_mfma_f32_16x16x16_bf16 v[26:29], v[34:35], v[40:41], v[26:29]
	v_cvt_pk_f32_fp8_e32 v[34:35], v19
	v_perm_b32 v4, v5, v4, s11
	v_perm_b32 v5, v37, v36, s11
	v_cvt_pk_f32_fp8_sdwa v[18:19], v19 src0_sel:WORD_1
	v_perm_b32 v34, v35, v34, s11
	v_cvt_pk_f32_fp8_e32 v[36:37], v20
	v_mfma_f32_16x16x16_bf16 v[26:29], v[4:5], v[30:31], v[26:29]
	v_perm_b32 v35, v19, v18, s11
	v_perm_b32 v4, v37, v36, s11
	;; [unrolled: 1-line block ×3, first 2 shown]
	v_cvt_pk_f32_fp8_e32 v[30:31], v21
	v_cvt_pk_f32_fp8_sdwa v[36:37], v21 src0_sel:WORD_1
	v_mfma_f32_16x16x16_bf16 v[18:21], v[34:35], v[32:33], v[26:29]
	v_bfe_u32 v56, v66, 16, 1
	v_add3_u32 v32, v66, v56, s12
	v_add3_u32 v33, v67, v55, s12
	v_perm_b32 v26, v31, v30, s11
	v_perm_b32 v27, v37, v36, s11
	v_mfma_f32_16x16x16_bf16 v[18:21], v[4:5], v[42:43], v[18:21]
	s_waitcnt vmcnt(1)
	v_cvt_pk_f32_fp8_e32 v[4:5], v10
	v_cvt_pk_f32_fp8_sdwa v[28:29], v10 src0_sel:WORD_1
	v_cvt_pk_f32_fp8_sdwa v[30:31], v12 src0_sel:WORD_1
	v_mfma_f32_16x16x16_bf16 v[18:21], v[26:27], v[44:45], v[18:21]
	v_cvt_pk_f32_fp8_e32 v[26:27], v11
	v_perm_b32 v4, v5, v4, s11
	v_perm_b32 v5, v29, v28, s11
	v_cvt_pk_f32_fp8_sdwa v[10:11], v11 src0_sel:WORD_1
	v_perm_b32 v26, v27, v26, s11
	v_cvt_pk_f32_fp8_e32 v[28:29], v12
	v_mfma_f32_16x16x16_bf16 v[18:21], v[4:5], v[22:23], v[18:21]
	v_perm_b32 v27, v11, v10, s11
	v_perm_b32 v4, v29, v28, s11
	;; [unrolled: 1-line block ×3, first 2 shown]
	v_cvt_pk_f32_fp8_e32 v[22:23], v13
	v_cvt_pk_f32_fp8_sdwa v[28:29], v13 src0_sel:WORD_1
	v_mfma_f32_16x16x16_bf16 v[10:13], v[26:27], v[24:25], v[18:21]
	s_waitcnt vmcnt(0)
	v_cvt_pk_f32_fp8_sdwa v[24:25], v8 src0_sel:WORD_1
	s_nop 0
	v_perm_b32 v20, v23, v22, s11
	v_perm_b32 v21, v29, v28, s11
	v_mfma_f32_16x16x16_bf16 v[10:13], v[4:5], v[46:47], v[10:13]
	v_cvt_pk_f32_fp8_e32 v[4:5], v6
	v_cvt_pk_f32_fp8_sdwa v[22:23], v6 src0_sel:WORD_1
	v_bfe_u32 v19, v3, 16, 1
	v_mfma_f32_16x16x16_bf16 v[10:13], v[20:21], v[48:49], v[10:13]
	v_cvt_pk_f32_fp8_e32 v[20:21], v7
	v_perm_b32 v4, v5, v4, s11
	v_perm_b32 v5, v23, v22, s11
	v_cvt_pk_f32_fp8_sdwa v[6:7], v7 src0_sel:WORD_1
	v_perm_b32 v20, v21, v20, s11
	v_cvt_pk_f32_fp8_e32 v[22:23], v8
	v_add3_u32 v3, v3, v19, s12
	v_perm_b32 v21, v7, v6, s11
	v_mfma_f32_16x16x16_bf16 v[4:7], v[4:5], v[14:15], v[10:13]
	v_bfe_u32 v14, v2, 16, 1
	v_add3_u32 v2, v2, v14, s12
	v_perm_b32 v19, v3, v2, s11
	v_perm_b32 v10, v23, v22, s11
	;; [unrolled: 1-line block ×3, first 2 shown]
	v_cvt_pk_f32_fp8_e32 v[12:13], v9
	v_cvt_pk_f32_fp8_sdwa v[8:9], v9 src0_sel:WORD_1
	v_mfma_f32_16x16x16_bf16 v[4:7], v[20:21], v[16:17], v[4:7]
	v_perm_b32 v18, v33, v32, s11
	v_perm_b32 v12, v13, v12, s11
	;; [unrolled: 1-line block ×3, first 2 shown]
	v_mfma_f32_16x16x16_bf16 v[4:7], v[10:11], v[50:51], v[4:7]
	s_nop 0
	v_mfma_f32_16x16x16_bf16 v[2:5], v[12:13], v[52:53], v[4:7]
	s_nop 6
	v_pk_mul_f32 v[2:3], v[2:3], s[10:11] op_sel_hi:[1,0]
	v_pk_mul_f32 v[4:5], v[4:5], s[10:11] op_sel_hi:[1,0]
	v_bfe_u32 v6, v3, 16, 1
	v_bfe_u32 v7, v2, 16, 1
	v_add3_u32 v2, v2, v7, s12
	v_add3_u32 v3, v3, v6, s12
	v_perm_b32 v2, v3, v2, s11
	v_bfe_u32 v3, v5, 16, 1
	v_bfe_u32 v6, v4, 16, 1
	v_add3_u32 v4, v4, v6, s12
	v_add3_u32 v3, v5, v3, s12
	v_perm_b32 v3, v3, v4, s11
	ds_write2st64_b64 v54, v[18:19], v[2:3] offset1:1
	s_waitcnt lgkmcnt(0)
	s_barrier
	s_and_saveexec_b64 s[10:11], s[6:7]
	s_cbranch_execz .LBB1404_17
; %bb.16:
	s_load_dwordx2 s[0:1], s[0:1], 0x68
	s_mul_i32 s2, s9, s2
	s_lshl_b32 s8, s8, 7
	s_mul_hi_u32 s7, s2, s8
	s_mul_i32 s6, s2, s8
	v_lshlrev_b32_e32 v4, 6, v59
	s_lshl_b64 s[6:7], s[6:7], 1
	v_lshl_or_b32 v0, v0, 10, v4
	s_waitcnt lgkmcnt(0)
	s_add_u32 s6, s0, s6
	v_lshlrev_b32_e32 v2, 5, v58
	v_and_b32_e32 v3, 16, v60
	v_and_b32_e32 v0, 0x1a00, v0
	s_addc_u32 s7, s1, s7
	s_lshl_b32 s2, s5, 7
	v_or3_b32 v0, v0, v2, v3
	s_lshl_b64 s[0:1], s[2:3], 1
	ds_read_b128 v[2:5], v0
	s_add_u32 s2, s6, s0
	s_addc_u32 s3, s7, s1
	s_mul_hi_u32 s1, s8, s4
	s_mul_i32 s0, s8, s4
	s_lshl_b64 s[0:1], s[0:1], 1
	s_add_u32 s0, s2, s0
	s_addc_u32 s1, s3, s1
	s_waitcnt lgkmcnt(0)
	global_store_dwordx4 v1, v[2:5], s[0:1]
.LBB1404_17:
	s_endpgm
	.section	.rodata,"a",@progbits
	.p2align	6, 0x0
	.amdhsa_kernel _Z39paged_attention_ll4mi_QKV_mfma16_kernelI14__hip_bfloat16hLN4vllm18Fp8KVCacheDataTypeE1ES0_Li32ELi128ELi256ELb0ELi1EEvPKT_PKT0_S8_ifPKiSA_SA_iPKfiiiPfSD_PS3_PT2_iSC_SC_
		.amdhsa_group_segment_fixed_size 8192
		.amdhsa_private_segment_fixed_size 0
		.amdhsa_kernarg_size 400
		.amdhsa_user_sgpr_count 2
		.amdhsa_user_sgpr_dispatch_ptr 0
		.amdhsa_user_sgpr_queue_ptr 0
		.amdhsa_user_sgpr_kernarg_segment_ptr 1
		.amdhsa_user_sgpr_dispatch_id 0
		.amdhsa_user_sgpr_kernarg_preload_length 0
		.amdhsa_user_sgpr_kernarg_preload_offset 0
		.amdhsa_user_sgpr_private_segment_size 0
		.amdhsa_uses_dynamic_stack 0
		.amdhsa_enable_private_segment 0
		.amdhsa_system_sgpr_workgroup_id_x 1
		.amdhsa_system_sgpr_workgroup_id_y 1
		.amdhsa_system_sgpr_workgroup_id_z 1
		.amdhsa_system_sgpr_workgroup_info 0
		.amdhsa_system_vgpr_workitem_id 0
		.amdhsa_next_free_vgpr 80
		.amdhsa_next_free_sgpr 48
		.amdhsa_accum_offset 80
		.amdhsa_reserve_vcc 1
		.amdhsa_float_round_mode_32 0
		.amdhsa_float_round_mode_16_64 0
		.amdhsa_float_denorm_mode_32 3
		.amdhsa_float_denorm_mode_16_64 3
		.amdhsa_dx10_clamp 1
		.amdhsa_ieee_mode 1
		.amdhsa_fp16_overflow 0
		.amdhsa_tg_split 0
		.amdhsa_exception_fp_ieee_invalid_op 0
		.amdhsa_exception_fp_denorm_src 0
		.amdhsa_exception_fp_ieee_div_zero 0
		.amdhsa_exception_fp_ieee_overflow 0
		.amdhsa_exception_fp_ieee_underflow 0
		.amdhsa_exception_fp_ieee_inexact 0
		.amdhsa_exception_int_div_zero 0
	.end_amdhsa_kernel
	.section	.text._Z39paged_attention_ll4mi_QKV_mfma16_kernelI14__hip_bfloat16hLN4vllm18Fp8KVCacheDataTypeE1ES0_Li32ELi128ELi256ELb0ELi1EEvPKT_PKT0_S8_ifPKiSA_SA_iPKfiiiPfSD_PS3_PT2_iSC_SC_,"axG",@progbits,_Z39paged_attention_ll4mi_QKV_mfma16_kernelI14__hip_bfloat16hLN4vllm18Fp8KVCacheDataTypeE1ES0_Li32ELi128ELi256ELb0ELi1EEvPKT_PKT0_S8_ifPKiSA_SA_iPKfiiiPfSD_PS3_PT2_iSC_SC_,comdat
.Lfunc_end1404:
	.size	_Z39paged_attention_ll4mi_QKV_mfma16_kernelI14__hip_bfloat16hLN4vllm18Fp8KVCacheDataTypeE1ES0_Li32ELi128ELi256ELb0ELi1EEvPKT_PKT0_S8_ifPKiSA_SA_iPKfiiiPfSD_PS3_PT2_iSC_SC_, .Lfunc_end1404-_Z39paged_attention_ll4mi_QKV_mfma16_kernelI14__hip_bfloat16hLN4vllm18Fp8KVCacheDataTypeE1ES0_Li32ELi128ELi256ELb0ELi1EEvPKT_PKT0_S8_ifPKiSA_SA_iPKfiiiPfSD_PS3_PT2_iSC_SC_
                                        ; -- End function
	.section	.AMDGPU.csdata,"",@progbits
; Kernel info:
; codeLenInByte = 6244
; NumSgprs: 54
; NumVgprs: 80
; NumAgprs: 0
; TotalNumVgprs: 80
; ScratchSize: 0
; MemoryBound: 0
; FloatMode: 240
; IeeeMode: 1
; LDSByteSize: 8192 bytes/workgroup (compile time only)
; SGPRBlocks: 6
; VGPRBlocks: 9
; NumSGPRsForWavesPerEU: 54
; NumVGPRsForWavesPerEU: 80
; AccumOffset: 80
; Occupancy: 6
; WaveLimiterHint : 1
; COMPUTE_PGM_RSRC2:SCRATCH_EN: 0
; COMPUTE_PGM_RSRC2:USER_SGPR: 2
; COMPUTE_PGM_RSRC2:TRAP_HANDLER: 0
; COMPUTE_PGM_RSRC2:TGID_X_EN: 1
; COMPUTE_PGM_RSRC2:TGID_Y_EN: 1
; COMPUTE_PGM_RSRC2:TGID_Z_EN: 1
; COMPUTE_PGM_RSRC2:TIDIG_COMP_CNT: 0
; COMPUTE_PGM_RSRC3_GFX90A:ACCUM_OFFSET: 19
; COMPUTE_PGM_RSRC3_GFX90A:TG_SPLIT: 0
	.section	.text._Z39paged_attention_ll4mi_QKV_mfma16_kernelI14__hip_bfloat16hLN4vllm18Fp8KVCacheDataTypeE1ES0_Li32ELi128ELi256ELb0ELi2EEvPKT_PKT0_S8_ifPKiSA_SA_iPKfiiiPfSD_PS3_PT2_iSC_SC_,"axG",@progbits,_Z39paged_attention_ll4mi_QKV_mfma16_kernelI14__hip_bfloat16hLN4vllm18Fp8KVCacheDataTypeE1ES0_Li32ELi128ELi256ELb0ELi2EEvPKT_PKT0_S8_ifPKiSA_SA_iPKfiiiPfSD_PS3_PT2_iSC_SC_,comdat
	.protected	_Z39paged_attention_ll4mi_QKV_mfma16_kernelI14__hip_bfloat16hLN4vllm18Fp8KVCacheDataTypeE1ES0_Li32ELi128ELi256ELb0ELi2EEvPKT_PKT0_S8_ifPKiSA_SA_iPKfiiiPfSD_PS3_PT2_iSC_SC_ ; -- Begin function _Z39paged_attention_ll4mi_QKV_mfma16_kernelI14__hip_bfloat16hLN4vllm18Fp8KVCacheDataTypeE1ES0_Li32ELi128ELi256ELb0ELi2EEvPKT_PKT0_S8_ifPKiSA_SA_iPKfiiiPfSD_PS3_PT2_iSC_SC_
	.globl	_Z39paged_attention_ll4mi_QKV_mfma16_kernelI14__hip_bfloat16hLN4vllm18Fp8KVCacheDataTypeE1ES0_Li32ELi128ELi256ELb0ELi2EEvPKT_PKT0_S8_ifPKiSA_SA_iPKfiiiPfSD_PS3_PT2_iSC_SC_
	.p2align	8
	.type	_Z39paged_attention_ll4mi_QKV_mfma16_kernelI14__hip_bfloat16hLN4vllm18Fp8KVCacheDataTypeE1ES0_Li32ELi128ELi256ELb0ELi2EEvPKT_PKT0_S8_ifPKiSA_SA_iPKfiiiPfSD_PS3_PT2_iSC_SC_,@function
_Z39paged_attention_ll4mi_QKV_mfma16_kernelI14__hip_bfloat16hLN4vllm18Fp8KVCacheDataTypeE1ES0_Li32ELi128ELi256ELb0ELi2EEvPKT_PKT0_S8_ifPKiSA_SA_iPKfiiiPfSD_PS3_PT2_iSC_SC_: ; @_Z39paged_attention_ll4mi_QKV_mfma16_kernelI14__hip_bfloat16hLN4vllm18Fp8KVCacheDataTypeE1ES0_Li32ELi128ELi256ELb0ELi2EEvPKT_PKT0_S8_ifPKiSA_SA_iPKfiiiPfSD_PS3_PT2_iSC_SC_
; %bb.0:
	s_load_dwordx2 s[12:13], s[0:1], 0x30
	s_mov_b32 s22, s3
	s_mov_b64 s[6:7], 0
	s_waitcnt lgkmcnt(0)
	s_cmp_lg_u64 s[12:13], 0
	s_cselect_b64 s[14:15], -1, 0
	s_and_b64 vcc, exec, s[14:15]
	s_cbranch_vccz .LBB1405_7
; %bb.1:
	s_add_i32 s8, s2, 1
	s_mov_b32 s9, 0
	s_lshl_b64 s[10:11], s[8:9], 2
	s_add_u32 s10, s12, s10
	s_mov_b32 s3, s9
	s_addc_u32 s11, s13, s11
	s_lshl_b64 s[8:9], s[2:3], 2
	s_add_u32 s8, s12, s8
	s_addc_u32 s9, s13, s9
	s_load_dword s5, s[10:11], 0x0
	s_load_dword s16, s[8:9], 0x0
	s_waitcnt lgkmcnt(0)
	s_sub_i32 s5, s5, s16
	s_cmp_eq_u32 s5, 1
	s_cselect_b64 s[8:9], -1, 0
	s_andn2_b64 vcc, exec, s[6:7]
	s_cbranch_vccnz .LBB1405_3
.LBB1405_2:
	s_mov_b32 s3, 0
	s_mov_b64 s[8:9], -1
.LBB1405_3:
	s_andn2_b64 vcc, exec, s[8:9]
	s_cbranch_vccnz .LBB1405_17
; %bb.4:
	s_load_dwordx2 s[6:7], s[0:1], 0x28
	s_lshl_b64 s[16:17], s[2:3], 2
	s_waitcnt lgkmcnt(0)
	s_add_u32 s6, s6, s16
	s_addc_u32 s7, s7, s17
	s_load_dword s38, s[6:7], 0x0
	s_lshl_b32 s18, s22, 8
	s_waitcnt lgkmcnt(0)
	s_cmp_ge_i32 s18, s38
	s_cbranch_scc1 .LBB1405_17
; %bb.5:
	s_load_dwordx2 s[6:7], s[0:1], 0x20
	s_load_dword s8, s[0:1], 0x38
	s_add_i32 s5, s38, 31
	s_ashr_i32 s9, s5, 31
	v_and_b32_e32 v1, 0xcf, v0
	s_lshr_b32 s9, s9, 27
	v_add_u32_e32 v1, s18, v1
	s_add_i32 s5, s5, s9
	v_ashrrev_i32_e32 v2, 31, v1
	s_ashr_i32 s5, s5, 5
	v_lshrrev_b32_e32 v10, 27, v2
	s_add_i32 s5, s5, -1
	s_waitcnt lgkmcnt(0)
	s_mul_i32 s8, s2, s8
	s_mov_b32 s9, 0
	v_add_u32_e32 v2, v1, v10
	s_lshl_b64 s[8:9], s[8:9], 2
	v_ashrrev_i32_e32 v2, 5, v2
	v_mov_b32_e32 v11, s5
	v_cmp_gt_i32_e32 vcc, s38, v1
	s_add_u32 s6, s6, s8
	s_addc_u32 s7, s7, s9
	v_cndmask_b32_e32 v2, v11, v2, vcc
	v_ashrrev_i32_e32 v3, 31, v2
	v_lshl_add_u64 v[4:5], v[2:3], 2, s[6:7]
	v_or_b32_e32 v2, 16, v1
	v_add_u32_e32 v3, v2, v10
	v_ashrrev_i32_e32 v3, 5, v3
	v_cmp_gt_i32_e32 vcc, s38, v2
	s_load_dwordx4 s[8:11], s[0:1], 0x8
	s_nop 0
	v_cndmask_b32_e32 v2, v11, v3, vcc
	v_ashrrev_i32_e32 v3, 31, v2
	v_lshl_add_u64 v[6:7], v[2:3], 2, s[6:7]
	v_or_b32_e32 v2, 32, v1
	v_add_u32_e32 v3, v2, v10
	v_ashrrev_i32_e32 v3, 5, v3
	v_cmp_gt_i32_e32 vcc, s38, v2
	v_or_b32_e32 v1, 48, v1
	s_nop 0
	v_cndmask_b32_e32 v2, v11, v3, vcc
	v_ashrrev_i32_e32 v3, 31, v2
	v_lshl_add_u64 v[8:9], v[2:3], 2, s[6:7]
	v_add_u32_e32 v2, v1, v10
	v_ashrrev_i32_e32 v2, 5, v2
	v_cmp_gt_i32_e32 vcc, s38, v1
	s_nop 1
	v_cndmask_b32_e32 v2, v11, v2, vcc
	v_ashrrev_i32_e32 v3, 31, v2
	v_lshl_add_u64 v[10:11], v[2:3], 2, s[6:7]
	global_load_dword v2, v[4:5], off
	global_load_dword v32, v[6:7], off
	;; [unrolled: 1-line block ×4, first 2 shown]
	s_andn2_b64 vcc, exec, s[14:15]
	s_cbranch_vccnz .LBB1405_8
; %bb.6:
	s_add_u32 s12, s12, s16
	s_addc_u32 s13, s13, s17
	s_load_dword s14, s[12:13], 0x0
	s_branch .LBB1405_9
.LBB1405_7:
	s_mov_b64 s[8:9], 0
	s_branch .LBB1405_2
.LBB1405_8:
	s_mov_b32 s14, s2
.LBB1405_9:
	s_load_dwordx4 s[44:47], s[0:1], 0x48
	v_lshrrev_b32_e32 v63, 6, v0
	v_bfe_u32 v1, v0, 4, 2
	v_and_b32_e32 v60, 15, v0
	v_lshl_or_b32 v3, v63, 2, v1
	v_lshlrev_b32_e32 v4, 3, v60
	v_and_b32_e32 v62, 63, v0
	s_lshl_b32 s23, s4, 1
	v_cmp_gt_u32_e32 vcc, 2, v3
	v_lshlrev_b32_e32 v54, 1, v4
	v_lshlrev_b32_e32 v61, 4, v0
	s_and_saveexec_b64 s[12:13], vcc
	s_cbranch_execz .LBB1405_11
; %bb.10:
	s_load_dwordx2 s[16:17], s[0:1], 0x0
	s_waitcnt lgkmcnt(0)
	s_ashr_i32 s15, s44, 31
	s_mul_hi_u32 s19, s14, s44
	s_mul_i32 s15, s14, s15
	s_add_i32 s15, s19, s15
	s_mul_i32 s14, s14, s44
	s_lshl_b64 s[14:15], s[14:15], 1
	s_add_u32 s14, s16, s14
	v_add_lshl_u32 v4, v1, s23, 7
	s_addc_u32 s15, s17, s15
	v_ashrrev_i32_e32 v5, 31, v4
	v_lshl_add_u64 v[4:5], v[4:5], 1, s[14:15]
	v_mov_b32_e32 v55, 0
	v_lshl_add_u64 v[4:5], v[4:5], 0, v[54:55]
	global_load_dwordx4 v[4:7], v[4:5], off
	v_lshlrev_b32_e32 v9, 8, v0
	v_lshlrev_b32_e32 v8, 8, v60
	v_and_b32_e32 v9, 0x600, v9
	s_movk_i32 s14, 0x800
	v_and_or_b32 v8, v8, s14, v9
	v_lshlrev_b32_e32 v3, 5, v3
	v_and_b32_e32 v9, 16, v61
	v_or3_b32 v3, v8, v3, v9
	s_waitcnt vmcnt(0)
	ds_write_b128 v3, v[4:7]
.LBB1405_11:
	s_or_b64 exec, exec, s[12:13]
	s_waitcnt lgkmcnt(0)
	s_mul_i32 s4, s4, s46
	s_add_u32 s8, s8, s4
	s_addc_u32 s9, s9, 0
	v_mov_b32_e32 v57, 0
	v_mov_b64_e32 v[24:25], s[8:9]
	v_and_b32_e32 v6, 48, v0
	s_waitcnt vmcnt(3)
	v_mad_i64_i32 v[2:3], s[8:9], v2, s45, v[24:25]
	v_lshlrev_b32_e32 v22, 4, v60
	v_mov_b32_e32 v23, v57
	v_lshlrev_b32_e32 v56, 5, v6
	v_lshl_add_u64 v[2:3], v[2:3], 0, v[22:23]
	v_lshl_add_u64 v[2:3], v[2:3], 0, v[56:57]
	s_load_dword s33, s[0:1], 0x98
	s_load_dwordx4 s[40:43], s[0:1], 0x80
	s_waitcnt lgkmcnt(0)
	s_barrier
	global_load_dwordx4 v[10:13], v[2:3], off
	v_and_b32_e32 v7, 1, v0
	global_load_dwordx4 v[2:5], v[2:3], off offset:2048
	v_or_b32_e32 v34, 0x100, v22
	v_mov_b32_e32 v35, v57
	s_waitcnt vmcnt(4)
	v_mad_i64_i32 v[32:33], s[12:13], v32, s45, v[24:25]
	v_lshlrev_b32_e32 v7, 5, v7
	s_waitcnt vmcnt(3)
	v_mad_i64_i32 v[36:37], s[12:13], v30, s45, v[24:25]
	s_waitcnt vmcnt(2)
	v_mad_i64_i32 v[24:25], s[12:13], v31, s45, v[24:25]
	v_lshl_add_u64 v[30:31], v[32:33], 0, v[34:35]
	v_or_b32_e32 v39, s18, v6
	v_lshl_or_b32 v6, v1, 9, v7
	v_lshl_add_u64 v[30:31], v[30:31], 0, v[56:57]
	ds_read_b128 v[26:29], v6
	ds_read_b128 v[18:21], v6 offset:16
	ds_read_b128 v[14:17], v6 offset:2048
	;; [unrolled: 1-line block ×3, first 2 shown]
	global_load_dwordx4 v[50:53], v[30:31], off
	v_mov_b32_e32 v38, s5
	s_ashr_i32 s5, s18, 31
	s_lshr_b32 s5, s5, 27
	v_or_b32_e32 v40, 64, v39
	v_add_u32_e32 v32, s5, v39
	v_or_b32_e32 v41, 0x80, v39
	v_add_u32_e32 v33, s5, v40
	v_ashrrev_i32_e32 v32, 5, v32
	v_cmp_gt_i32_e32 vcc, s38, v39
	v_or_b32_e32 v42, 0xc0, v39
	v_add_u32_e32 v43, s5, v41
	v_ashrrev_i32_e32 v33, 5, v33
	v_cndmask_b32_e32 v46, v38, v32, vcc
	v_cmp_gt_i32_e32 vcc, s38, v40
	v_add_u32_e32 v44, s5, v42
	v_lshl_add_u64 v[22:23], v[36:37], 0, v[22:23]
	v_lshl_add_u64 v[24:25], v[24:25], 0, v[34:35]
	v_ashrrev_i32_e32 v43, 5, v43
	v_cndmask_b32_e32 v48, v38, v33, vcc
	v_cmp_gt_i32_e32 vcc, s38, v41
	v_ashrrev_i32_e32 v44, 5, v44
	v_lshl_add_u64 v[34:35], v[22:23], 0, v[56:57]
	v_lshl_add_u64 v[36:37], v[24:25], 0, v[56:57]
	v_cndmask_b32_e32 v58, v38, v43, vcc
	v_cmp_gt_i32_e32 vcc, s38, v42
	v_ashrrev_i32_e32 v47, 31, v46
	v_ashrrev_i32_e32 v49, 31, v48
	v_cndmask_b32_e32 v64, v38, v44, vcc
	global_load_dwordx4 v[30:33], v[30:31], off offset:2048
	s_nop 0
	global_load_dwordx4 v[22:25], v[34:35], off
	global_load_dwordx4 v[42:45], v[34:35], off offset:2048
	global_load_dwordx4 v[38:41], v[36:37], off
	s_nop 0
	global_load_dwordx4 v[34:37], v[36:37], off offset:2048
	v_ashrrev_i32_e32 v59, 31, v58
	v_ashrrev_i32_e32 v65, 31, v64
	v_lshl_add_u64 v[46:47], v[46:47], 2, s[6:7]
	v_lshl_add_u64 v[48:49], v[48:49], 2, s[6:7]
	;; [unrolled: 1-line block ×4, first 2 shown]
	global_load_dword v67, v[46:47], off
	global_load_dword v66, v[48:49], off
	;; [unrolled: 1-line block ×4, first 2 shown]
	s_mov_b32 s44, 0x7060302
	s_add_u32 s4, s10, s4
	s_addc_u32 s5, s11, 0
	v_and_b32_e32 v56, 16, v0
	v_lshl_or_b32 v55, v63, 4, v60
	s_load_dword s8, s[0:1], 0x1c
	s_waitcnt vmcnt(11)
	v_cvt_pk_f32_fp8_e32 v[46:47], v10
	v_cvt_pk_f32_fp8_sdwa v[48:49], v10 src0_sel:WORD_1
	v_cvt_pk_f32_fp8_e32 v[58:59], v11
	v_cvt_pk_f32_fp8_sdwa v[10:11], v11 src0_sel:WORD_1
	v_perm_b32 v46, v47, v46, s44
	v_perm_b32 v47, v49, v48, s44
	v_cvt_pk_f32_fp8_e32 v[68:69], v12
	v_cvt_pk_f32_fp8_sdwa v[70:71], v12 src0_sel:WORD_1
	v_perm_b32 v58, v59, v58, s44
	v_perm_b32 v59, v11, v10, s44
	s_waitcnt lgkmcnt(0)
	v_mfma_f32_16x16x16_bf16 v[46:49], v[46:47], v[26:27], 0
	v_cvt_pk_f32_fp8_e32 v[72:73], v13
	v_cvt_pk_f32_fp8_sdwa v[74:75], v13 src0_sel:WORD_1
	v_perm_b32 v68, v69, v68, s44
	v_perm_b32 v69, v71, v70, s44
	v_mfma_f32_16x16x16_bf16 v[10:13], v[58:59], v[28:29], v[46:49]
	s_waitcnt vmcnt(10)
	v_cvt_pk_f32_fp8_sdwa v[58:59], v2 src0_sel:WORD_1
	s_waitcnt vmcnt(6)
	v_cvt_pk_f32_fp8_sdwa v[78:79], v44 src0_sel:WORD_1
	v_cvt_pk_f32_fp8_e32 v[46:47], v2
	v_perm_b32 v48, v73, v72, s44
	v_perm_b32 v49, v75, v74, s44
	v_mfma_f32_16x16x16_bf16 v[10:13], v[68:69], v[18:19], v[10:13]
	v_cvt_pk_f32_fp8_e32 v[68:69], v3
	v_perm_b32 v46, v47, v46, s44
	v_perm_b32 v47, v59, v58, s44
	v_cvt_pk_f32_fp8_sdwa v[2:3], v3 src0_sel:WORD_1
	v_mfma_f32_16x16x16_bf16 v[10:13], v[48:49], v[20:21], v[10:13]
	v_perm_b32 v48, v69, v68, s44
	v_cvt_pk_f32_fp8_e32 v[58:59], v4
	v_cvt_pk_f32_fp8_sdwa v[68:69], v4 src0_sel:WORD_1
	v_perm_b32 v49, v3, v2, s44
	v_mfma_f32_16x16x16_bf16 v[10:13], v[46:47], v[14:15], v[10:13]
	v_perm_b32 v46, v59, v58, s44
	v_perm_b32 v47, v69, v68, s44
	v_cvt_pk_f32_fp8_e32 v[58:59], v5
	v_cvt_pk_f32_fp8_sdwa v[68:69], v5 src0_sel:WORD_1
	v_mfma_f32_16x16x16_bf16 v[2:5], v[48:49], v[16:17], v[10:13]
	v_cvt_pk_f32_fp8_e32 v[72:73], v25
	v_cvt_pk_f32_fp8_sdwa v[74:75], v25 src0_sel:WORD_1
	s_nop 0
	v_perm_b32 v10, v59, v58, s44
	v_perm_b32 v11, v69, v68, s44
	v_mfma_f32_16x16x16_bf16 v[2:5], v[46:47], v[6:7], v[2:5]
	v_cvt_pk_f32_fp8_e32 v[12:13], v50
	v_cvt_pk_f32_fp8_sdwa v[58:59], v50 src0_sel:WORD_1
	v_mfma_f32_16x16x16_bf16 v[46:49], v[10:11], v[8:9], v[2:5]
	v_cvt_pk_f32_fp8_sdwa v[10:11], v51 src0_sel:WORD_1
	s_nop 2
	v_cvt_pk_f32_fp8_e32 v[2:3], v51
	v_perm_b32 v4, v13, v12, s44
	v_perm_b32 v5, v59, v58, s44
	v_cvt_pk_f32_fp8_e32 v[50:51], v52
	v_perm_b32 v12, v3, v2, s44
	v_cvt_pk_f32_fp8_sdwa v[58:59], v52 src0_sel:WORD_1
	v_perm_b32 v13, v11, v10, s44
	v_mfma_f32_16x16x16_bf16 v[2:5], v[4:5], v[26:27], 0
	v_perm_b32 v10, v51, v50, s44
	v_perm_b32 v11, v59, v58, s44
	v_cvt_pk_f32_fp8_e32 v[50:51], v53
	v_cvt_pk_f32_fp8_sdwa v[52:53], v53 src0_sel:WORD_1
	v_mfma_f32_16x16x16_bf16 v[2:5], v[12:13], v[28:29], v[2:5]
	v_lshl_add_u64 v[58:59], s[4:5], 0, v[56:57]
	v_perm_b32 v12, v51, v50, s44
	v_perm_b32 v13, v53, v52, s44
	v_mfma_f32_16x16x16_bf16 v[2:5], v[10:11], v[18:19], v[2:5]
	v_cvt_pk_f32_fp8_e32 v[10:11], v30
	v_cvt_pk_f32_fp8_sdwa v[50:51], v30 src0_sel:WORD_1
	v_cvt_pk_f32_fp8_sdwa v[52:53], v32 src0_sel:WORD_1
	v_mfma_f32_16x16x16_bf16 v[2:5], v[12:13], v[20:21], v[2:5]
	v_cvt_pk_f32_fp8_e32 v[12:13], v31
	v_perm_b32 v10, v11, v10, s44
	v_perm_b32 v11, v51, v50, s44
	v_cvt_pk_f32_fp8_sdwa v[30:31], v31 src0_sel:WORD_1
	v_perm_b32 v12, v13, v12, s44
	v_cvt_pk_f32_fp8_e32 v[50:51], v32
	v_mfma_f32_16x16x16_bf16 v[2:5], v[10:11], v[14:15], v[2:5]
	v_perm_b32 v13, v31, v30, s44
	v_perm_b32 v10, v51, v50, s44
	;; [unrolled: 1-line block ×3, first 2 shown]
	v_cvt_pk_f32_fp8_e32 v[30:31], v33
	v_cvt_pk_f32_fp8_sdwa v[32:33], v33 src0_sel:WORD_1
	v_mfma_f32_16x16x16_bf16 v[2:5], v[12:13], v[16:17], v[2:5]
	v_lshlrev_b32_e32 v56, 5, v55
	v_perm_b32 v12, v31, v30, s44
	v_perm_b32 v13, v33, v32, s44
	v_mfma_f32_16x16x16_bf16 v[2:5], v[10:11], v[6:7], v[2:5]
	v_cvt_pk_f32_fp8_e32 v[10:11], v22
	v_cvt_pk_f32_fp8_sdwa v[30:31], v22 src0_sel:WORD_1
	v_lshl_add_u64 v[68:69], v[58:59], 0, v[56:57]
	v_mfma_f32_16x16x16_bf16 v[50:53], v[12:13], v[8:9], v[2:5]
	s_waitcnt vmcnt(3)
	v_mad_i64_i32 v[12:13], s[4:5], v67, s45, v[68:69]
	s_waitcnt vmcnt(2)
	v_mad_i64_i32 v[70:71], s[4:5], v66, s45, v[68:69]
	v_perm_b32 v2, v11, v10, s44
	v_perm_b32 v3, v31, v30, s44
	v_cvt_pk_f32_fp8_e32 v[4:5], v23
	v_cvt_pk_f32_fp8_sdwa v[10:11], v23 src0_sel:WORD_1
	v_cvt_pk_f32_fp8_sdwa v[30:31], v24 src0_sel:WORD_1
	v_or_b32_e32 v56, 0x800, v56
	v_perm_b32 v22, v5, v4, s44
	v_perm_b32 v23, v11, v10, s44
	v_cvt_pk_f32_fp8_e32 v[10:11], v24
	v_mfma_f32_16x16x16_bf16 v[2:5], v[2:3], v[26:27], 0
	v_perm_b32 v10, v11, v10, s44
	v_perm_b32 v11, v31, v30, s44
	v_mfma_f32_16x16x16_bf16 v[2:5], v[22:23], v[28:29], v[2:5]
	global_load_dwordx4 v[30:33], v[12:13], off
	global_load_dwordx4 v[22:25], v[70:71], off
	v_perm_b32 v12, v73, v72, s44
	v_perm_b32 v13, v75, v74, s44
	v_mfma_f32_16x16x16_bf16 v[2:5], v[10:11], v[18:19], v[2:5]
	v_cvt_pk_f32_fp8_e32 v[10:11], v42
	v_cvt_pk_f32_fp8_sdwa v[70:71], v42 src0_sel:WORD_1
	s_waitcnt vmcnt(3)
	v_mad_i64_i32 v[72:73], s[4:5], v64, s45, v[68:69]
	v_mfma_f32_16x16x16_bf16 v[2:5], v[12:13], v[20:21], v[2:5]
	v_perm_b32 v10, v11, v10, s44
	v_perm_b32 v11, v71, v70, s44
	v_cvt_pk_f32_fp8_e32 v[12:13], v43
	v_cvt_pk_f32_fp8_sdwa v[42:43], v43 src0_sel:WORD_1
	s_waitcnt vmcnt(2)
	v_mad_i64_i32 v[74:75], s[4:5], v65, s45, v[68:69]
	v_perm_b32 v76, v13, v12, s44
	v_perm_b32 v77, v43, v42, s44
	v_cvt_pk_f32_fp8_e32 v[42:43], v44
	v_mfma_f32_16x16x16_bf16 v[68:71], v[10:11], v[14:15], v[2:5]
	global_load_dwordx4 v[10:13], v[72:73], off
	s_nop 1
	global_load_dwordx4 v[2:5], v[74:75], off
	v_perm_b32 v73, v79, v78, s44
	v_perm_b32 v72, v43, v42, s44
	v_cvt_pk_f32_fp8_e32 v[74:75], v45
	v_cvt_pk_f32_fp8_sdwa v[44:45], v45 src0_sel:WORD_1
	v_mfma_f32_16x16x16_bf16 v[68:71], v[76:77], v[16:17], v[68:71]
	v_lshl_add_u64 v[42:43], v[58:59], 0, v[56:57]
	v_perm_b32 v74, v75, v74, s44
	v_perm_b32 v75, v45, v44, s44
	v_mfma_f32_16x16x16_bf16 v[56:59], v[72:73], v[6:7], v[68:71]
	v_cvt_pk_f32_fp8_e32 v[44:45], v38
	v_cvt_pk_f32_fp8_sdwa v[72:73], v38 src0_sel:WORD_1
	v_cvt_pk_f32_fp8_sdwa v[76:77], v40 src0_sel:WORD_1
	v_mfma_f32_16x16x16_bf16 v[68:71], v[74:75], v[8:9], v[56:59]
	v_perm_b32 v44, v45, v44, s44
	v_perm_b32 v45, v73, v72, s44
	v_cvt_pk_f32_fp8_e32 v[74:75], v40
	v_cvt_pk_f32_fp8_e32 v[56:57], v39
	v_cvt_pk_f32_fp8_sdwa v[38:39], v39 src0_sel:WORD_1
	s_load_dword s4, s[40:41], 0x0
	s_mov_b32 s40, 0xff7fffff
	v_perm_b32 v72, v57, v56, s44
	v_perm_b32 v73, v39, v38, s44
	v_mfma_f32_16x16x16_bf16 v[56:59], v[44:45], v[26:27], 0
	v_perm_b32 v38, v75, v74, s44
	v_perm_b32 v39, v77, v76, s44
	v_cvt_pk_f32_fp8_e32 v[44:45], v41
	v_cvt_pk_f32_fp8_sdwa v[40:41], v41 src0_sel:WORD_1
	v_mfma_f32_16x16x16_bf16 v[26:29], v[72:73], v[28:29], v[56:59]
	v_perm_b32 v44, v45, v44, s44
	v_perm_b32 v45, v41, v40, s44
	v_mfma_f32_16x16x16_bf16 v[26:29], v[38:39], v[18:19], v[26:29]
	v_cvt_pk_f32_fp8_e32 v[40:41], v35
	v_mov_b32_e32 v56, s8
	s_waitcnt lgkmcnt(0)
	v_mul_f32_e32 v58, s4, v56
	v_mfma_f32_16x16x16_bf16 v[18:21], v[44:45], v[20:21], v[26:29]
	v_pk_mul_f32 v[56:57], v[58:59], v[46:47] op_sel_hi:[0,1]
	v_pk_mul_f32 v[38:39], v[58:59], v[48:49] op_sel_hi:[0,1]
	;; [unrolled: 1-line block ×3, first 2 shown]
	v_cvt_pk_f32_fp8_e32 v[26:27], v34
	v_cvt_pk_f32_fp8_sdwa v[28:29], v34 src0_sel:WORD_1
	v_cvt_pk_f32_fp8_sdwa v[34:35], v35 src0_sel:WORD_1
	v_pk_mul_f32 v[48:49], v[58:59], v[52:53] op_sel_hi:[0,1]
	v_perm_b32 v26, v27, v26, s44
	v_perm_b32 v27, v29, v28, s44
	;; [unrolled: 1-line block ×4, first 2 shown]
	v_cvt_pk_f32_fp8_e32 v[34:35], v36
	v_cvt_pk_f32_fp8_sdwa v[40:41], v36 src0_sel:WORD_1
	v_mfma_f32_16x16x16_bf16 v[18:21], v[26:27], v[14:15], v[18:21]
	v_pk_mul_f32 v[46:47], v[58:59], v[70:71] op_sel_hi:[0,1]
	v_perm_b32 v26, v35, v34, s44
	v_perm_b32 v27, v41, v40, s44
	v_cvt_pk_f32_fp8_e32 v[34:35], v37
	v_cvt_pk_f32_fp8_sdwa v[36:37], v37 src0_sel:WORD_1
	v_mfma_f32_16x16x16_bf16 v[14:17], v[28:29], v[16:17], v[18:21]
	v_pk_mul_f32 v[40:41], v[58:59], v[68:69] op_sel_hi:[0,1]
	v_mad_i64_i32 v[72:73], s[4:5], v67, s45, v[42:43]
	s_nop 0
	v_perm_b32 v18, v35, v34, s44
	v_perm_b32 v19, v37, v36, s44
	v_mfma_f32_16x16x16_bf16 v[14:17], v[26:27], v[6:7], v[14:17]
	s_nop 0
	v_mfma_f32_16x16x16_bf16 v[6:9], v[18:19], v[8:9], v[14:17]
	s_nop 6
	v_pk_mul_f32 v[44:45], v[58:59], v[6:7] op_sel_hi:[0,1]
	v_and_b32_e32 v6, 0xc0, v0
	v_add_u32_e32 v6, s18, v6
	v_lshl_or_b32 v6, v1, 2, v6
	v_pk_mul_f32 v[34:35], v[58:59], v[8:9] op_sel_hi:[0,1]
	v_or_b32_e32 v9, 1, v6
	v_mov_b32_e32 v7, 0xff7fffff
	v_cmp_gt_i32_e64 s[24:25], s38, v6
	v_cmp_gt_i32_e64 s[26:27], s38, v9
	v_or_b32_e32 v14, 3, v6
	v_cndmask_b32_e64 v8, v7, v56, s[24:25]
	v_cndmask_b32_e64 v9, v7, v57, s[26:27]
	v_max3_f32 v8, v8, s40, v9
	v_or_b32_e32 v9, 2, v6
	v_cmp_gt_i32_e64 s[28:29], s38, v9
	v_cmp_gt_i32_e64 s[30:31], s38, v14
	s_nop 0
	v_cndmask_b32_e64 v9, v7, v38, s[28:29]
	v_cndmask_b32_e64 v14, v7, v39, s[30:31]
	v_max3_f32 v8, v8, v9, v14
	v_or_b32_e32 v9, 16, v6
	v_or_b32_e32 v14, 17, v6
	v_cmp_gt_i32_e64 s[34:35], s38, v9
	v_cmp_gt_i32_e64 s[36:37], s38, v14
	s_nop 0
	v_cndmask_b32_e64 v9, v7, v50, s[34:35]
	v_cndmask_b32_e64 v14, v7, v51, s[36:37]
	v_max3_f32 v8, v8, v9, v14
	v_or_b32_e32 v9, 18, v6
	;; [unrolled: 8-line block ×6, first 2 shown]
	v_or_b32_e32 v6, 51, v6
	v_cmp_gt_i32_e32 vcc, s38, v9
	v_cmp_gt_i32_e64 s[4:5], s38, v6
	s_nop 0
	v_cndmask_b32_e32 v9, v7, v34, vcc
	v_cndmask_b32_e64 v6, v7, v35, s[4:5]
	v_max3_f32 v8, v8, v9, v6
	v_mbcnt_lo_u32_b32 v6, -1, 0
	v_mbcnt_hi_u32_b32 v9, -1, v6
	v_and_b32_e32 v6, 64, v9
	v_add_u32_e32 v14, 64, v6
	v_xor_b32_e32 v6, 32, v9
	v_cmp_lt_i32_e64 s[38:39], v6, v14
	s_nop 1
	v_cndmask_b32_e64 v6, v9, v6, s[38:39]
	v_lshlrev_b32_e32 v53, 2, v6
	ds_bpermute_b32 v15, v53, v8
	v_mad_i64_i32 v[6:7], s[38:39], v66, s45, v[42:43]
	global_load_dwordx4 v[26:29], v[72:73], off
	global_load_dwordx4 v[18:21], v[6:7], off
	s_waitcnt lgkmcnt(0)
	v_max_f32_e32 v6, v15, v15
	v_max_f32_e32 v15, v8, v6
	v_xor_b32_e32 v6, 16, v9
	v_cmp_lt_i32_e64 s[38:39], v6, v14
	s_nop 1
	v_cndmask_b32_e64 v6, v9, v6, s[38:39]
	v_lshlrev_b32_e32 v58, 2, v6
	ds_bpermute_b32 v14, v58, v15
	v_mad_i64_i32 v[6:7], s[38:39], v64, s45, v[42:43]
	v_mad_i64_i32 v[8:9], s[38:39], v65, s45, v[42:43]
	s_waitcnt lgkmcnt(0)
	v_max_f32_e32 v14, v14, v14
	v_max_f32_e32 v52, v15, v14
	v_sub_f32_e32 v14, v56, v52
	v_mul_f32_e32 v14, 0x3fb8aa3b, v14
	v_exp_f32_e32 v36, v14
	v_sub_f32_e32 v14, v57, v52
	v_mul_f32_e32 v14, 0x3fb8aa3b, v14
	v_exp_f32_e32 v37, v14
	global_load_dwordx4 v[14:17], v[6:7], off
	s_nop 0
	global_load_dwordx4 v[6:9], v[8:9], off
	v_sub_f32_e32 v38, v38, v52
	v_mul_f32_e32 v38, 0x3fb8aa3b, v38
	v_sub_f32_e32 v39, v39, v52
	v_exp_f32_e32 v38, v38
	v_mul_f32_e32 v39, 0x3fb8aa3b, v39
	v_exp_f32_e32 v39, v39
	v_cndmask_b32_e64 v36, 0, v36, s[24:25]
	v_add_f32_e32 v42, 0, v36
	v_cndmask_b32_e64 v37, 0, v37, s[26:27]
	v_add_f32_e32 v43, v42, v37
	;; [unrolled: 2-line block ×3, first 2 shown]
	v_cndmask_b32_e64 v43, 0, v39, s[30:31]
	v_sub_f32_e32 v39, v50, v52
	v_mul_f32_e32 v39, 0x3fb8aa3b, v39
	v_sub_f32_e32 v50, v51, v52
	v_exp_f32_e32 v39, v39
	v_mul_f32_e32 v50, 0x3fb8aa3b, v50
	v_sub_f32_e32 v48, v48, v52
	v_exp_f32_e32 v50, v50
	;; [unrolled: 3-line block ×4, first 2 shown]
	v_mul_f32_e32 v40, 0x3fb8aa3b, v40
	v_sub_f32_e32 v41, v41, v52
	v_add_f32_e32 v51, v38, v43
	v_cndmask_b32_e64 v38, 0, v39, s[34:35]
	v_exp_f32_e32 v40, v40
	v_mul_f32_e32 v41, 0x3fb8aa3b, v41
	v_sub_f32_e32 v46, v46, v52
	v_add_f32_e32 v51, v51, v38
	v_cndmask_b32_e64 v39, 0, v50, s[36:37]
	v_exp_f32_e32 v41, v41
	;; [unrolled: 5-line block ×7, first 2 shown]
	v_mul_f32_e32 v35, 0x3fb8aa3b, v35
	v_add_f32_e32 v50, v50, v46
	v_cndmask_b32_e64 v47, 0, v47, s[12:13]
	v_exp_f32_e32 v35, v35
	v_add_f32_e32 v50, v50, v47
	v_cndmask_b32_e64 v44, 0, v44, s[6:7]
	v_add_f32_e32 v50, v50, v44
	v_cndmask_b32_e64 v45, 0, v45, s[8:9]
	v_add_f32_e32 v50, v50, v45
	v_cndmask_b32_e32 v34, 0, v34, vcc
	v_add_f32_e32 v50, v50, v34
	v_cndmask_b32_e64 v35, 0, v35, s[4:5]
	v_add_f32_e32 v50, v50, v35
	ds_bpermute_b32 v51, v53, v50
	v_cmp_gt_u32_e32 vcc, 16, v62
	s_waitcnt lgkmcnt(0)
	s_barrier
	v_add_f32_e32 v50, v50, v51
	ds_bpermute_b32 v51, v58, v50
	s_and_saveexec_b64 s[4:5], vcc
	s_cbranch_execz .LBB1405_13
; %bb.12:
	s_waitcnt lgkmcnt(0)
	v_add_f32_e32 v50, v50, v51
	v_lshlrev_b32_e32 v51, 2, v55
	ds_write2st64_b32 v51, v52, v50 offset1:1
.LBB1405_13:
	s_or_b64 exec, exec, s[4:5]
	s_waitcnt lgkmcnt(0)
	v_lshlrev_b32_e32 v51, 2, v60
	s_load_dword s6, s[0:1], 0x94
	s_waitcnt lgkmcnt(0)
	s_barrier
	ds_read2_b32 v[52:53], v51 offset1:16
	ds_read2_b32 v[56:57], v51 offset0:32 offset1:48
	ds_read2_b32 v[58:59], v51 offset0:64 offset1:80
	s_movk_i32 s8, 0x7fff
	s_lshl_b32 s7, s33, 1
	s_waitcnt lgkmcnt(2)
	v_max3_f32 v50, v52, s40, v53
	s_waitcnt lgkmcnt(1)
	v_max3_f32 v50, v50, v56, v57
	v_sub_f32_e32 v52, v52, v50
	v_mul_f32_e32 v52, 0x3fb8aa3b, v52
	v_exp_f32_e32 v55, v52
	v_sub_f32_e32 v52, v53, v50
	v_mul_f32_e32 v52, 0x3fb8aa3b, v52
	v_exp_f32_e32 v64, v52
	;; [unrolled: 3-line block ×3, first 2 shown]
	ds_read2_b32 v[52:53], v51 offset0:96 offset1:112
	v_sub_f32_e32 v51, v57, v50
	v_mul_f32_e32 v51, 0x3fb8aa3b, v51
	v_exp_f32_e32 v57, v51
	s_waitcnt lgkmcnt(1)
	v_fma_f32 v51, v55, v58, 0
	v_fmac_f32_e32 v51, v64, v59
	s_waitcnt lgkmcnt(0)
	v_fmac_f32_e32 v51, v56, v52
	v_fmac_f32_e32 v51, v57, v53
	v_add_f32_e32 v52, 0x358637bd, v51
	v_div_scale_f32 v53, s[4:5], v52, v52, 1.0
	v_rcp_f32_e32 v58, v53
	s_barrier
	v_fma_f32 v59, -v53, v58, 1.0
	v_fmac_f32_e32 v58, v59, v58
	v_div_scale_f32 v59, vcc, 1.0, v52, 1.0
	v_mul_f32_e32 v65, v59, v58
	v_fma_f32 v66, -v53, v65, v59
	v_fmac_f32_e32 v65, v66, v58
	v_fma_f32 v53, -v53, v65, v59
	v_div_fmas_f32 v53, v53, v58, v65
	v_cmp_eq_u32_e32 vcc, 1, v63
	v_div_fixup_f32 v52, v53, v52, 1.0
	s_nop 0
	v_cndmask_b32_e32 v53, v55, v64, vcc
	v_cmp_eq_u32_e32 vcc, 2, v63
	s_nop 1
	v_cndmask_b32_e32 v53, v53, v56, vcc
	v_cmp_eq_u32_e32 vcc, 3, v63
	s_nop 1
	v_cndmask_b32_e32 v53, v53, v57, vcc
	v_mul_f32_e32 v52, v53, v52
	v_pk_mul_f32 v[36:37], v[52:53], v[36:37] op_sel_hi:[0,1]
	v_pk_mul_f32 v[42:43], v[52:53], v[42:43] op_sel_hi:[0,1]
	v_bfe_u32 v53, v37, 16, 1
	v_bfe_u32 v55, v36, 16, 1
	v_add3_u32 v36, v36, v55, s8
	v_add3_u32 v37, v37, v53, s8
	v_perm_b32 v56, v37, v36, s44
	v_bfe_u32 v36, v43, 16, 1
	v_bfe_u32 v37, v42, 16, 1
	v_add3_u32 v37, v42, v37, s8
	v_add3_u32 v36, v43, v36, s8
	v_perm_b32 v57, v36, v37, s44
	v_lshlrev_b32_e32 v37, 3, v1
	v_lshlrev_b32_e32 v36, 5, v60
	;; [unrolled: 1-line block ×3, first 2 shown]
	v_pk_mul_f32 v[38:39], v[52:53], v[38:39] op_sel_hi:[0,1]
	v_or3_b32 v55, v42, v36, v37
	v_pk_mul_f32 v[42:43], v[52:53], v[48:49] op_sel_hi:[0,1]
	v_bfe_u32 v37, v39, 16, 1
	v_bfe_u32 v48, v38, 16, 1
	v_add3_u32 v38, v38, v48, s8
	v_add3_u32 v37, v39, v37, s8
	v_perm_b32 v38, v37, v38, s44
	v_bfe_u32 v37, v43, 16, 1
	v_bfe_u32 v39, v42, 16, 1
	v_add3_u32 v39, v42, v39, s8
	v_add3_u32 v37, v43, v37, s8
	v_pk_mul_f32 v[40:41], v[52:53], v[40:41] op_sel_hi:[0,1]
	v_perm_b32 v39, v37, v39, s44
	v_bfe_u32 v37, v41, 16, 1
	v_bfe_u32 v42, v40, 16, 1
	ds_write2st64_b64 v55, v[56:57], v[38:39] offset1:1
	v_pk_mul_f32 v[38:39], v[52:53], v[46:47] op_sel_hi:[0,1]
	v_add3_u32 v40, v40, v42, s8
	v_add3_u32 v37, v41, v37, s8
	v_perm_b32 v40, v37, v40, s44
	v_bfe_u32 v37, v39, 16, 1
	v_bfe_u32 v41, v38, 16, 1
	v_add3_u32 v38, v38, v41, s8
	v_add3_u32 v37, v39, v37, s8
	v_perm_b32 v41, v37, v38, s44
	v_pk_mul_f32 v[38:39], v[52:53], v[44:45] op_sel_hi:[0,1]
	v_bfe_u32 v37, v39, 16, 1
	v_bfe_u32 v42, v38, 16, 1
	v_pk_mul_f32 v[34:35], v[52:53], v[34:35] op_sel_hi:[0,1]
	v_add3_u32 v38, v38, v42, s8
	v_add3_u32 v37, v39, v37, s8
	v_perm_b32 v38, v37, v38, s44
	v_bfe_u32 v37, v35, 16, 1
	v_bfe_u32 v39, v34, 16, 1
	v_add3_u32 v34, v34, v39, s8
	v_add3_u32 v35, v35, v37, s8
	v_perm_b32 v39, v35, v34, s44
	v_cmp_gt_u32_e32 vcc, 2, v0
	ds_write2st64_b64 v55, v[40:41], v[38:39] offset0:2 offset1:3
	s_and_saveexec_b64 s[4:5], vcc
	s_cbranch_execz .LBB1405_15
; %bb.14:
	v_or_b32_e32 v34, s23, v0
	v_mov_b32_e32 v35, 0
	v_mov_b32_e32 v37, s7
	v_mad_u64_u32 v[38:39], s[10:11], s2, v37, v[34:35]
	v_mov_b32_e32 v34, s22
	s_load_dwordx4 s[12:15], s[0:1], 0x58
	s_mul_i32 s3, s3, s7
	v_mad_u64_u32 v[34:35], s[10:11], v38, s6, v[34:35]
	v_add_u32_e32 v37, s3, v39
	v_mov_b32_e32 v38, v35
	v_mad_u64_u32 v[38:39], s[10:11], v37, s6, v[38:39]
	v_mov_b32_e32 v35, v38
	v_lshlrev_b64 v[34:35], 2, v[34:35]
	s_waitcnt lgkmcnt(0)
	v_lshl_add_u64 v[38:39], s[14:15], 0, v[34:35]
	v_lshl_add_u64 v[34:35], s[12:13], 0, v[34:35]
	global_store_dword v[38:39], v50, off
	global_store_dword v[34:35], v51, off
.LBB1405_15:
	s_or_b64 exec, exec, s[4:5]
	v_lshl_or_b32 v50, v1, 9, v36
	s_waitcnt vmcnt(7)
	v_cvt_pk_f32_fp8_e32 v[34:35], v30
	v_cvt_pk_f32_fp8_sdwa v[36:37], v30 src0_sel:WORD_1
	s_mov_b32 s5, 0x7060302
	s_waitcnt lgkmcnt(0)
	s_barrier
	v_cvt_pk_f32_fp8_e32 v[38:39], v31
	v_perm_b32 v30, v35, v34, s5
	v_cvt_pk_f32_fp8_sdwa v[40:41], v31 src0_sel:WORD_1
	v_perm_b32 v31, v37, v36, s5
	ds_read_b128 v[34:37], v50
	v_perm_b32 v46, v39, v38, s5
	v_perm_b32 v47, v41, v40, s5
	ds_read_b128 v[38:41], v50 offset:16
	v_cvt_pk_f32_fp8_e32 v[48:49], v32
	v_cvt_pk_f32_fp8_sdwa v[52:53], v32 src0_sel:WORD_1
	s_waitcnt lgkmcnt(1)
	v_mfma_f32_16x16x16_bf16 v[42:45], v[30:31], v[34:35], 0
	s_waitcnt vmcnt(6)
	v_cvt_pk_f32_fp8_e32 v[56:57], v24
	v_perm_b32 v30, v49, v48, s5
	v_perm_b32 v31, v53, v52, s5
	v_cvt_pk_f32_fp8_e32 v[48:49], v33
	v_mfma_f32_16x16x16_bf16 v[42:45], v[46:47], v[36:37], v[42:45]
	v_cvt_pk_f32_fp8_sdwa v[46:47], v33 src0_sel:WORD_1
	v_cvt_pk_f32_fp8_sdwa v[58:59], v24 src0_sel:WORD_1
	v_perm_b32 v48, v49, v48, s5
	s_waitcnt lgkmcnt(0)
	v_mfma_f32_16x16x16_bf16 v[30:33], v[30:31], v[38:39], v[42:45]
	v_perm_b32 v49, v47, v46, s5
	s_waitcnt vmcnt(5)
	v_cvt_pk_f32_fp8_e32 v[64:65], v12
	v_cvt_pk_f32_fp8_sdwa v[66:67], v12 src0_sel:WORD_1
	v_cvt_pk_f32_fp8_e32 v[42:43], v22
	v_mfma_f32_16x16x16_bf16 v[46:49], v[48:49], v[40:41], v[30:33]
	s_waitcnt vmcnt(4)
	v_cvt_pk_f32_fp8_sdwa v[68:69], v4 src0_sel:WORD_1
	s_load_dword s4, s[42:43], 0x0
	v_cvt_pk_f32_fp8_sdwa v[30:31], v22 src0_sel:WORD_1
	v_cvt_pk_f32_fp8_e32 v[32:33], v23
	v_perm_b32 v22, v43, v42, s5
	v_cvt_pk_f32_fp8_sdwa v[42:43], v23 src0_sel:WORD_1
	v_perm_b32 v23, v31, v30, s5
	v_perm_b32 v52, v33, v32, s5
	ds_read_b128 v[30:33], v50 offset:2048
	v_perm_b32 v53, v43, v42, s5
	ds_read_b128 v[42:45], v50 offset:2064
	s_waitcnt lgkmcnt(0)
	v_mfma_f32_16x16x16_bf16 v[46:49], v[22:23], v[30:31], v[46:49]
	v_perm_b32 v22, v57, v56, s5
	v_perm_b32 v23, v59, v58, s5
	v_cvt_pk_f32_fp8_e32 v[56:57], v25
	v_mfma_f32_16x16x16_bf16 v[46:49], v[52:53], v[32:33], v[46:49]
	v_cvt_pk_f32_fp8_sdwa v[52:53], v25 src0_sel:WORD_1
	s_waitcnt vmcnt(3)
	v_cvt_pk_f32_fp8_sdwa v[70:71], v28 src0_sel:WORD_1
	v_perm_b32 v56, v57, v56, s5
	v_mfma_f32_16x16x16_bf16 v[22:25], v[22:23], v[42:43], v[46:49]
	v_perm_b32 v57, v53, v52, s5
	v_cmp_gt_u32_e32 vcc, 64, v0
	s_mov_b32 s3, 0
	v_cvt_pk_f32_fp8_e32 v[46:47], v10
	v_mfma_f32_16x16x16_bf16 v[56:59], v[56:57], v[44:45], v[22:25]
	s_nop 2
	v_cvt_pk_f32_fp8_sdwa v[22:23], v10 src0_sel:WORD_1
	v_cvt_pk_f32_fp8_e32 v[24:25], v11
	v_perm_b32 v10, v47, v46, s5
	v_cvt_pk_f32_fp8_sdwa v[46:47], v11 src0_sel:WORD_1
	v_perm_b32 v11, v23, v22, s5
	v_perm_b32 v52, v25, v24, s5
	ds_read_b128 v[22:25], v50 offset:4096
	v_perm_b32 v53, v47, v46, s5
	ds_read_b128 v[46:49], v50 offset:4112
	s_waitcnt lgkmcnt(1)
	v_mfma_f32_16x16x16_bf16 v[56:59], v[10:11], v[22:23], v[56:59]
	v_perm_b32 v10, v65, v64, s5
	v_perm_b32 v11, v67, v66, s5
	v_cvt_pk_f32_fp8_e32 v[64:65], v13
	v_mfma_f32_16x16x16_bf16 v[56:59], v[52:53], v[24:25], v[56:59]
	v_cvt_pk_f32_fp8_sdwa v[52:53], v13 src0_sel:WORD_1
	v_cvt_pk_f32_fp8_e32 v[66:67], v4
	v_perm_b32 v64, v65, v64, s5
	s_waitcnt lgkmcnt(0)
	v_mfma_f32_16x16x16_bf16 v[10:13], v[10:11], v[46:47], v[56:59]
	v_perm_b32 v65, v53, v52, s5
	v_cvt_pk_f32_fp8_e32 v[52:53], v2
	s_nop 0
	v_mfma_f32_16x16x16_bf16 v[56:59], v[64:65], v[48:49], v[10:13]
	s_nop 2
	v_cvt_pk_f32_fp8_sdwa v[10:11], v2 src0_sel:WORD_1
	v_cvt_pk_f32_fp8_e32 v[12:13], v3
	v_perm_b32 v2, v53, v52, s5
	v_cvt_pk_f32_fp8_sdwa v[52:53], v3 src0_sel:WORD_1
	v_perm_b32 v3, v11, v10, s5
	v_perm_b32 v64, v13, v12, s5
	ds_read_b128 v[10:13], v50 offset:6144
	v_perm_b32 v65, v53, v52, s5
	s_waitcnt lgkmcnt(0)
	v_mfma_f32_16x16x16_bf16 v[56:59], v[2:3], v[10:11], v[56:59]
	ds_read_b128 v[50:53], v50 offset:6160
	v_perm_b32 v2, v67, v66, s5
	v_perm_b32 v3, v69, v68, s5
	v_cvt_pk_f32_fp8_e32 v[66:67], v5
	v_mfma_f32_16x16x16_bf16 v[56:59], v[64:65], v[12:13], v[56:59]
	v_cvt_pk_f32_fp8_sdwa v[64:65], v5 src0_sel:WORD_1
	v_cvt_pk_f32_fp8_e32 v[68:69], v28
	v_perm_b32 v66, v67, v66, s5
	s_waitcnt lgkmcnt(0)
	v_mfma_f32_16x16x16_bf16 v[2:5], v[2:3], v[50:51], v[56:59]
	v_perm_b32 v67, v65, v64, s5
	s_barrier
	s_nop 0
	v_mfma_f32_16x16x16_bf16 v[56:59], v[66:67], v[52:53], v[2:5]
	s_nop 2
	v_cvt_pk_f32_fp8_e32 v[4:5], v26
	v_perm_b32 v4, v5, v4, s5
	s_nop 1
	v_pk_mul_f32 v[2:3], v[58:59], s[4:5] op_sel_hi:[1,0]
	v_cvt_pk_f32_fp8_sdwa v[58:59], v26 src0_sel:WORD_1
	v_pk_mul_f32 v[64:65], v[56:57], s[4:5] op_sel_hi:[1,0]
	v_cvt_pk_f32_fp8_e32 v[56:57], v27
	v_cvt_pk_f32_fp8_sdwa v[26:27], v27 src0_sel:WORD_1
	v_perm_b32 v5, v59, v58, s5
	v_perm_b32 v66, v57, v56, s5
	v_perm_b32 v67, v27, v26, s5
	v_mfma_f32_16x16x16_bf16 v[56:59], v[4:5], v[34:35], 0
	v_perm_b32 v4, v69, v68, s5
	v_perm_b32 v5, v71, v70, s5
	v_cvt_pk_f32_fp8_e32 v[34:35], v29
	v_cvt_pk_f32_fp8_sdwa v[68:69], v29 src0_sel:WORD_1
	v_mfma_f32_16x16x16_bf16 v[26:29], v[66:67], v[36:37], v[56:59]
	s_waitcnt vmcnt(2)
	v_cvt_pk_f32_fp8_sdwa v[36:37], v18 src0_sel:WORD_1
	v_perm_b32 v34, v35, v34, s5
	v_perm_b32 v35, v69, v68, s5
	v_mfma_f32_16x16x16_bf16 v[26:29], v[4:5], v[38:39], v[26:29]
	v_cvt_pk_f32_fp8_e32 v[4:5], v18
	v_cvt_pk_f32_fp8_sdwa v[38:39], v20 src0_sel:WORD_1
	v_bfe_u32 v56, v65, 16, 1
	v_mfma_f32_16x16x16_bf16 v[26:29], v[34:35], v[40:41], v[26:29]
	v_cvt_pk_f32_fp8_e32 v[34:35], v19
	v_perm_b32 v4, v5, v4, s5
	v_perm_b32 v5, v37, v36, s5
	v_cvt_pk_f32_fp8_sdwa v[18:19], v19 src0_sel:WORD_1
	v_perm_b32 v34, v35, v34, s5
	v_cvt_pk_f32_fp8_e32 v[36:37], v20
	v_mfma_f32_16x16x16_bf16 v[26:29], v[4:5], v[30:31], v[26:29]
	v_perm_b32 v35, v19, v18, s5
	v_perm_b32 v4, v37, v36, s5
	;; [unrolled: 1-line block ×3, first 2 shown]
	v_cvt_pk_f32_fp8_e32 v[30:31], v21
	v_cvt_pk_f32_fp8_sdwa v[36:37], v21 src0_sel:WORD_1
	v_mfma_f32_16x16x16_bf16 v[18:21], v[34:35], v[32:33], v[26:29]
	v_bfe_u32 v57, v64, 16, 1
	v_add3_u32 v32, v64, v57, s8
	v_add3_u32 v33, v65, v56, s8
	v_perm_b32 v26, v31, v30, s5
	v_perm_b32 v27, v37, v36, s5
	v_mfma_f32_16x16x16_bf16 v[18:21], v[4:5], v[42:43], v[18:21]
	s_waitcnt vmcnt(1)
	v_cvt_pk_f32_fp8_e32 v[4:5], v14
	v_cvt_pk_f32_fp8_sdwa v[28:29], v14 src0_sel:WORD_1
	v_cvt_pk_f32_fp8_sdwa v[30:31], v16 src0_sel:WORD_1
	v_mfma_f32_16x16x16_bf16 v[18:21], v[26:27], v[44:45], v[18:21]
	v_cvt_pk_f32_fp8_e32 v[26:27], v15
	v_perm_b32 v4, v5, v4, s5
	v_perm_b32 v5, v29, v28, s5
	v_cvt_pk_f32_fp8_sdwa v[14:15], v15 src0_sel:WORD_1
	v_perm_b32 v26, v27, v26, s5
	v_cvt_pk_f32_fp8_e32 v[28:29], v16
	v_mfma_f32_16x16x16_bf16 v[18:21], v[4:5], v[22:23], v[18:21]
	v_perm_b32 v27, v15, v14, s5
	v_perm_b32 v4, v29, v28, s5
	;; [unrolled: 1-line block ×3, first 2 shown]
	v_cvt_pk_f32_fp8_e32 v[22:23], v17
	v_cvt_pk_f32_fp8_sdwa v[28:29], v17 src0_sel:WORD_1
	v_mfma_f32_16x16x16_bf16 v[14:17], v[26:27], v[24:25], v[18:21]
	s_waitcnt vmcnt(0)
	v_cvt_pk_f32_fp8_sdwa v[24:25], v8 src0_sel:WORD_1
	s_nop 0
	v_perm_b32 v20, v23, v22, s5
	v_perm_b32 v21, v29, v28, s5
	v_mfma_f32_16x16x16_bf16 v[14:17], v[4:5], v[46:47], v[14:17]
	v_cvt_pk_f32_fp8_e32 v[4:5], v6
	v_cvt_pk_f32_fp8_sdwa v[22:23], v6 src0_sel:WORD_1
	v_bfe_u32 v19, v3, 16, 1
	v_mfma_f32_16x16x16_bf16 v[14:17], v[20:21], v[48:49], v[14:17]
	v_cvt_pk_f32_fp8_e32 v[20:21], v7
	v_perm_b32 v4, v5, v4, s5
	v_perm_b32 v5, v23, v22, s5
	v_cvt_pk_f32_fp8_sdwa v[6:7], v7 src0_sel:WORD_1
	v_perm_b32 v20, v21, v20, s5
	v_cvt_pk_f32_fp8_e32 v[22:23], v8
	v_add3_u32 v3, v3, v19, s8
	v_perm_b32 v21, v7, v6, s5
	v_mfma_f32_16x16x16_bf16 v[4:7], v[4:5], v[10:11], v[14:17]
	v_perm_b32 v10, v23, v22, s5
	v_perm_b32 v11, v25, v24, s5
	;; [unrolled: 1-line block ×3, first 2 shown]
	v_cvt_pk_f32_fp8_e32 v[14:15], v9
	v_cvt_pk_f32_fp8_sdwa v[8:9], v9 src0_sel:WORD_1
	v_mfma_f32_16x16x16_bf16 v[4:7], v[20:21], v[12:13], v[4:7]
	v_bfe_u32 v16, v2, 16, 1
	v_perm_b32 v12, v15, v14, s5
	v_perm_b32 v13, v9, v8, s5
	v_mfma_f32_16x16x16_bf16 v[4:7], v[10:11], v[50:51], v[4:7]
	v_add3_u32 v2, v2, v16, s8
	v_perm_b32 v19, v3, v2, s5
	v_mfma_f32_16x16x16_bf16 v[2:5], v[12:13], v[52:53], v[4:7]
	s_nop 6
	v_pk_mul_f32 v[2:3], v[2:3], s[4:5] op_sel_hi:[1,0]
	v_pk_mul_f32 v[4:5], v[4:5], s[4:5] op_sel_hi:[1,0]
	v_bfe_u32 v6, v3, 16, 1
	v_bfe_u32 v7, v2, 16, 1
	v_add3_u32 v2, v2, v7, s8
	v_add3_u32 v3, v3, v6, s8
	v_perm_b32 v2, v3, v2, s5
	v_bfe_u32 v3, v5, 16, 1
	v_bfe_u32 v6, v4, 16, 1
	v_add3_u32 v4, v4, v6, s8
	v_add3_u32 v3, v5, v3, s8
	v_perm_b32 v3, v3, v4, s5
	v_cmp_gt_u32_e64 s[4:5], 32, v62
	s_and_b64 s[4:5], vcc, s[4:5]
	ds_write2st64_b64 v55, v[18:19], v[2:3] offset1:1
	s_waitcnt lgkmcnt(0)
	s_barrier
	s_and_saveexec_b64 s[8:9], s[4:5]
	s_cbranch_execz .LBB1405_17
; %bb.16:
	s_load_dwordx2 s[0:1], s[0:1], 0x68
	s_mul_i32 s2, s7, s2
	s_lshl_b32 s6, s6, 7
	v_lshlrev_b32_e32 v4, 6, v60
	s_mul_hi_u32 s5, s2, s6
	s_mul_i32 s4, s2, s6
	v_lshl_or_b32 v0, v0, 10, v4
	s_lshl_b64 s[4:5], s[4:5], 1
	v_lshlrev_b32_e32 v2, 5, v1
	v_and_b32_e32 v3, 16, v61
	v_and_b32_e32 v0, 0x1a00, v0
	s_waitcnt lgkmcnt(0)
	s_add_u32 s4, s0, s4
	v_or3_b32 v0, v0, v2, v3
	s_addc_u32 s5, s1, s5
	s_lshl_b32 s2, s22, 7
	ds_read_b128 v[2:5], v0
	s_lshl_b64 s[0:1], s[2:3], 1
	s_add_u32 s0, s4, s0
	v_or_b32_e32 v0, s23, v1
	s_addc_u32 s1, s5, s1
	v_mad_u64_u32 v[0:1], s[2:3], s6, v0, 0
	v_lshl_add_u64 v[0:1], v[0:1], 1, s[0:1]
	v_mov_b32_e32 v55, 0
	v_lshl_add_u64 v[0:1], v[0:1], 0, v[54:55]
	s_waitcnt lgkmcnt(0)
	global_store_dwordx4 v[0:1], v[2:5], off
.LBB1405_17:
	s_endpgm
	.section	.rodata,"a",@progbits
	.p2align	6, 0x0
	.amdhsa_kernel _Z39paged_attention_ll4mi_QKV_mfma16_kernelI14__hip_bfloat16hLN4vllm18Fp8KVCacheDataTypeE1ES0_Li32ELi128ELi256ELb0ELi2EEvPKT_PKT0_S8_ifPKiSA_SA_iPKfiiiPfSD_PS3_PT2_iSC_SC_
		.amdhsa_group_segment_fixed_size 8192
		.amdhsa_private_segment_fixed_size 0
		.amdhsa_kernarg_size 400
		.amdhsa_user_sgpr_count 2
		.amdhsa_user_sgpr_dispatch_ptr 0
		.amdhsa_user_sgpr_queue_ptr 0
		.amdhsa_user_sgpr_kernarg_segment_ptr 1
		.amdhsa_user_sgpr_dispatch_id 0
		.amdhsa_user_sgpr_kernarg_preload_length 0
		.amdhsa_user_sgpr_kernarg_preload_offset 0
		.amdhsa_user_sgpr_private_segment_size 0
		.amdhsa_uses_dynamic_stack 0
		.amdhsa_enable_private_segment 0
		.amdhsa_system_sgpr_workgroup_id_x 1
		.amdhsa_system_sgpr_workgroup_id_y 1
		.amdhsa_system_sgpr_workgroup_id_z 1
		.amdhsa_system_sgpr_workgroup_info 0
		.amdhsa_system_vgpr_workitem_id 0
		.amdhsa_next_free_vgpr 80
		.amdhsa_next_free_sgpr 48
		.amdhsa_accum_offset 80
		.amdhsa_reserve_vcc 1
		.amdhsa_float_round_mode_32 0
		.amdhsa_float_round_mode_16_64 0
		.amdhsa_float_denorm_mode_32 3
		.amdhsa_float_denorm_mode_16_64 3
		.amdhsa_dx10_clamp 1
		.amdhsa_ieee_mode 1
		.amdhsa_fp16_overflow 0
		.amdhsa_tg_split 0
		.amdhsa_exception_fp_ieee_invalid_op 0
		.amdhsa_exception_fp_denorm_src 0
		.amdhsa_exception_fp_ieee_div_zero 0
		.amdhsa_exception_fp_ieee_overflow 0
		.amdhsa_exception_fp_ieee_underflow 0
		.amdhsa_exception_fp_ieee_inexact 0
		.amdhsa_exception_int_div_zero 0
	.end_amdhsa_kernel
	.section	.text._Z39paged_attention_ll4mi_QKV_mfma16_kernelI14__hip_bfloat16hLN4vllm18Fp8KVCacheDataTypeE1ES0_Li32ELi128ELi256ELb0ELi2EEvPKT_PKT0_S8_ifPKiSA_SA_iPKfiiiPfSD_PS3_PT2_iSC_SC_,"axG",@progbits,_Z39paged_attention_ll4mi_QKV_mfma16_kernelI14__hip_bfloat16hLN4vllm18Fp8KVCacheDataTypeE1ES0_Li32ELi128ELi256ELb0ELi2EEvPKT_PKT0_S8_ifPKiSA_SA_iPKfiiiPfSD_PS3_PT2_iSC_SC_,comdat
.Lfunc_end1405:
	.size	_Z39paged_attention_ll4mi_QKV_mfma16_kernelI14__hip_bfloat16hLN4vllm18Fp8KVCacheDataTypeE1ES0_Li32ELi128ELi256ELb0ELi2EEvPKT_PKT0_S8_ifPKiSA_SA_iPKfiiiPfSD_PS3_PT2_iSC_SC_, .Lfunc_end1405-_Z39paged_attention_ll4mi_QKV_mfma16_kernelI14__hip_bfloat16hLN4vllm18Fp8KVCacheDataTypeE1ES0_Li32ELi128ELi256ELb0ELi2EEvPKT_PKT0_S8_ifPKiSA_SA_iPKfiiiPfSD_PS3_PT2_iSC_SC_
                                        ; -- End function
	.section	.AMDGPU.csdata,"",@progbits
; Kernel info:
; codeLenInByte = 6312
; NumSgprs: 54
; NumVgprs: 80
; NumAgprs: 0
; TotalNumVgprs: 80
; ScratchSize: 0
; MemoryBound: 0
; FloatMode: 240
; IeeeMode: 1
; LDSByteSize: 8192 bytes/workgroup (compile time only)
; SGPRBlocks: 6
; VGPRBlocks: 9
; NumSGPRsForWavesPerEU: 54
; NumVGPRsForWavesPerEU: 80
; AccumOffset: 80
; Occupancy: 6
; WaveLimiterHint : 1
; COMPUTE_PGM_RSRC2:SCRATCH_EN: 0
; COMPUTE_PGM_RSRC2:USER_SGPR: 2
; COMPUTE_PGM_RSRC2:TRAP_HANDLER: 0
; COMPUTE_PGM_RSRC2:TGID_X_EN: 1
; COMPUTE_PGM_RSRC2:TGID_Y_EN: 1
; COMPUTE_PGM_RSRC2:TGID_Z_EN: 1
; COMPUTE_PGM_RSRC2:TIDIG_COMP_CNT: 0
; COMPUTE_PGM_RSRC3_GFX90A:ACCUM_OFFSET: 19
; COMPUTE_PGM_RSRC3_GFX90A:TG_SPLIT: 0
	.section	.text._Z39paged_attention_ll4mi_QKV_mfma16_kernelI14__hip_bfloat16hLN4vllm18Fp8KVCacheDataTypeE1ES0_Li32ELi128ELi256ELb0ELi3EEvPKT_PKT0_S8_ifPKiSA_SA_iPKfiiiPfSD_PS3_PT2_iSC_SC_,"axG",@progbits,_Z39paged_attention_ll4mi_QKV_mfma16_kernelI14__hip_bfloat16hLN4vllm18Fp8KVCacheDataTypeE1ES0_Li32ELi128ELi256ELb0ELi3EEvPKT_PKT0_S8_ifPKiSA_SA_iPKfiiiPfSD_PS3_PT2_iSC_SC_,comdat
	.protected	_Z39paged_attention_ll4mi_QKV_mfma16_kernelI14__hip_bfloat16hLN4vllm18Fp8KVCacheDataTypeE1ES0_Li32ELi128ELi256ELb0ELi3EEvPKT_PKT0_S8_ifPKiSA_SA_iPKfiiiPfSD_PS3_PT2_iSC_SC_ ; -- Begin function _Z39paged_attention_ll4mi_QKV_mfma16_kernelI14__hip_bfloat16hLN4vllm18Fp8KVCacheDataTypeE1ES0_Li32ELi128ELi256ELb0ELi3EEvPKT_PKT0_S8_ifPKiSA_SA_iPKfiiiPfSD_PS3_PT2_iSC_SC_
	.globl	_Z39paged_attention_ll4mi_QKV_mfma16_kernelI14__hip_bfloat16hLN4vllm18Fp8KVCacheDataTypeE1ES0_Li32ELi128ELi256ELb0ELi3EEvPKT_PKT0_S8_ifPKiSA_SA_iPKfiiiPfSD_PS3_PT2_iSC_SC_
	.p2align	8
	.type	_Z39paged_attention_ll4mi_QKV_mfma16_kernelI14__hip_bfloat16hLN4vllm18Fp8KVCacheDataTypeE1ES0_Li32ELi128ELi256ELb0ELi3EEvPKT_PKT0_S8_ifPKiSA_SA_iPKfiiiPfSD_PS3_PT2_iSC_SC_,@function
_Z39paged_attention_ll4mi_QKV_mfma16_kernelI14__hip_bfloat16hLN4vllm18Fp8KVCacheDataTypeE1ES0_Li32ELi128ELi256ELb0ELi3EEvPKT_PKT0_S8_ifPKiSA_SA_iPKfiiiPfSD_PS3_PT2_iSC_SC_: ; @_Z39paged_attention_ll4mi_QKV_mfma16_kernelI14__hip_bfloat16hLN4vllm18Fp8KVCacheDataTypeE1ES0_Li32ELi128ELi256ELb0ELi3EEvPKT_PKT0_S8_ifPKiSA_SA_iPKfiiiPfSD_PS3_PT2_iSC_SC_
; %bb.0:
	s_load_dwordx2 s[12:13], s[0:1], 0x30
	s_mov_b32 s22, s3
	s_mov_b64 s[6:7], 0
	s_waitcnt lgkmcnt(0)
	s_cmp_lg_u64 s[12:13], 0
	s_cselect_b64 s[14:15], -1, 0
	s_and_b64 vcc, exec, s[14:15]
	s_cbranch_vccz .LBB1406_7
; %bb.1:
	s_add_i32 s8, s2, 1
	s_mov_b32 s9, 0
	s_lshl_b64 s[10:11], s[8:9], 2
	s_add_u32 s10, s12, s10
	s_mov_b32 s3, s9
	s_addc_u32 s11, s13, s11
	s_lshl_b64 s[8:9], s[2:3], 2
	s_add_u32 s8, s12, s8
	s_addc_u32 s9, s13, s9
	s_load_dword s5, s[10:11], 0x0
	s_load_dword s16, s[8:9], 0x0
	s_waitcnt lgkmcnt(0)
	s_sub_i32 s5, s5, s16
	s_cmp_eq_u32 s5, 1
	s_cselect_b64 s[8:9], -1, 0
	s_andn2_b64 vcc, exec, s[6:7]
	s_cbranch_vccnz .LBB1406_3
.LBB1406_2:
	s_mov_b32 s3, 0
	s_mov_b64 s[8:9], -1
.LBB1406_3:
	s_andn2_b64 vcc, exec, s[8:9]
	s_cbranch_vccnz .LBB1406_17
; %bb.4:
	s_load_dwordx2 s[6:7], s[0:1], 0x28
	s_lshl_b64 s[16:17], s[2:3], 2
	s_waitcnt lgkmcnt(0)
	s_add_u32 s6, s6, s16
	s_addc_u32 s7, s7, s17
	s_load_dword s5, s[6:7], 0x0
	s_lshl_b32 s18, s22, 8
	s_waitcnt lgkmcnt(0)
	s_cmp_ge_i32 s18, s5
	s_cbranch_scc1 .LBB1406_17
; %bb.5:
	s_load_dwordx2 s[6:7], s[0:1], 0x20
	s_load_dword s8, s[0:1], 0x38
	s_add_i32 s9, s5, 31
	s_ashr_i32 s10, s9, 31
	v_and_b32_e32 v1, 0xcf, v0
	s_lshr_b32 s10, s10, 27
	v_add_u32_e32 v1, s18, v1
	s_add_i32 s9, s9, s10
	v_ashrrev_i32_e32 v2, 31, v1
	s_ashr_i32 s19, s9, 5
	v_lshrrev_b32_e32 v10, 27, v2
	s_add_i32 s19, s19, -1
	s_waitcnt lgkmcnt(0)
	s_mul_i32 s8, s2, s8
	s_mov_b32 s9, 0
	v_add_u32_e32 v2, v1, v10
	s_lshl_b64 s[8:9], s[8:9], 2
	v_ashrrev_i32_e32 v2, 5, v2
	v_mov_b32_e32 v11, s19
	v_cmp_gt_i32_e32 vcc, s5, v1
	s_add_u32 s6, s6, s8
	s_addc_u32 s7, s7, s9
	v_cndmask_b32_e32 v2, v11, v2, vcc
	v_ashrrev_i32_e32 v3, 31, v2
	v_lshl_add_u64 v[4:5], v[2:3], 2, s[6:7]
	v_or_b32_e32 v2, 16, v1
	v_add_u32_e32 v3, v2, v10
	v_ashrrev_i32_e32 v3, 5, v3
	v_cmp_gt_i32_e32 vcc, s5, v2
	s_load_dwordx4 s[8:11], s[0:1], 0x8
	s_nop 0
	v_cndmask_b32_e32 v2, v11, v3, vcc
	v_ashrrev_i32_e32 v3, 31, v2
	v_lshl_add_u64 v[6:7], v[2:3], 2, s[6:7]
	v_or_b32_e32 v2, 32, v1
	v_add_u32_e32 v3, v2, v10
	v_ashrrev_i32_e32 v3, 5, v3
	v_cmp_gt_i32_e32 vcc, s5, v2
	v_or_b32_e32 v1, 48, v1
	s_nop 0
	v_cndmask_b32_e32 v2, v11, v3, vcc
	v_ashrrev_i32_e32 v3, 31, v2
	v_lshl_add_u64 v[8:9], v[2:3], 2, s[6:7]
	v_add_u32_e32 v2, v1, v10
	v_ashrrev_i32_e32 v2, 5, v2
	v_cmp_gt_i32_e32 vcc, s5, v1
	s_nop 1
	v_cndmask_b32_e32 v2, v11, v2, vcc
	v_ashrrev_i32_e32 v3, 31, v2
	v_lshl_add_u64 v[10:11], v[2:3], 2, s[6:7]
	global_load_dword v2, v[4:5], off
	global_load_dword v14, v[6:7], off
	;; [unrolled: 1-line block ×4, first 2 shown]
	s_andn2_b64 vcc, exec, s[14:15]
	s_cbranch_vccnz .LBB1406_8
; %bb.6:
	s_add_u32 s12, s12, s16
	s_addc_u32 s13, s13, s17
	s_load_dword s14, s[12:13], 0x0
	s_branch .LBB1406_9
.LBB1406_7:
	s_mov_b64 s[8:9], 0
	s_branch .LBB1406_2
.LBB1406_8:
	s_mov_b32 s14, s2
.LBB1406_9:
	s_load_dwordx4 s[44:47], s[0:1], 0x48
	v_lshrrev_b32_e32 v57, 6, v0
	v_bfe_u32 v58, v0, 4, 2
	v_and_b32_e32 v56, 15, v0
	s_mul_i32 s48, s4, 3
	v_lshl_or_b32 v3, v57, 2, v58
	v_lshlrev_b32_e32 v4, 3, v56
	v_and_b32_e32 v60, 63, v0
	v_add_u32_e32 v1, s48, v58
	v_cmp_gt_u32_e32 vcc, 3, v3
	v_lshlrev_b32_e32 v54, 1, v4
	v_lshlrev_b32_e32 v59, 4, v0
	s_and_saveexec_b64 s[12:13], vcc
	s_cbranch_execz .LBB1406_11
; %bb.10:
	s_load_dwordx2 s[16:17], s[0:1], 0x0
	s_waitcnt lgkmcnt(0)
	s_ashr_i32 s15, s44, 31
	s_mul_hi_u32 s20, s14, s44
	s_mul_i32 s15, s14, s15
	s_add_i32 s15, s20, s15
	s_mul_i32 s14, s14, s44
	s_lshl_b64 s[14:15], s[14:15], 1
	s_add_u32 s14, s16, s14
	v_lshlrev_b32_e32 v4, 7, v1
	s_addc_u32 s15, s17, s15
	v_ashrrev_i32_e32 v5, 31, v4
	v_lshl_add_u64 v[4:5], v[4:5], 1, s[14:15]
	v_mov_b32_e32 v55, 0
	v_lshl_add_u64 v[4:5], v[4:5], 0, v[54:55]
	global_load_dwordx4 v[4:7], v[4:5], off
	v_lshlrev_b32_e32 v9, 8, v0
	v_lshlrev_b32_e32 v8, 8, v56
	v_and_b32_e32 v9, 0x600, v9
	s_movk_i32 s14, 0x800
	v_and_or_b32 v8, v8, s14, v9
	v_lshlrev_b32_e32 v3, 5, v3
	v_and_b32_e32 v9, 16, v59
	v_or3_b32 v3, v8, v3, v9
	s_waitcnt vmcnt(0)
	ds_write_b128 v3, v[4:7]
.LBB1406_11:
	s_or_b64 exec, exec, s[12:13]
	s_waitcnt lgkmcnt(0)
	s_mul_i32 s12, s4, s46
	s_add_u32 s8, s8, s12
	s_addc_u32 s9, s9, 0
	v_mov_b32_e32 v51, 0
	v_mov_b64_e32 v[6:7], s[8:9]
	v_and_b32_e32 v15, 48, v0
	s_waitcnt vmcnt(3)
	v_mad_i64_i32 v[2:3], s[8:9], v2, s45, v[6:7]
	v_lshlrev_b32_e32 v10, 4, v56
	v_mov_b32_e32 v11, v51
	v_lshlrev_b32_e32 v50, 5, v15
	v_lshl_add_u64 v[2:3], v[2:3], 0, v[10:11]
	v_lshl_add_u64 v[8:9], v[2:3], 0, v[50:51]
	s_load_dword s23, s[0:1], 0x98
	s_load_dwordx4 s[40:43], s[0:1], 0x80
	s_waitcnt lgkmcnt(0)
	s_barrier
	global_load_dwordx4 v[2:5], v[8:9], off
	global_load_dwordx4 v[42:45], v[8:9], off offset:2048
	v_mul_lo_u16_e32 v16, 0x56, v56
	v_mov_b32_e32 v17, 3
	v_mul_lo_u16_sdwa v8, v16, v17 dst_sel:DWORD dst_unused:UNUSED_PAD src0_sel:BYTE_1 src1_sel:DWORD
	v_mov_b32_e32 v20, 5
	v_sub_u16_e32 v8, v56, v8
	s_ashr_i32 s8, s18, 31
	v_lshlrev_b32_sdwa v8, v20, v8 dst_sel:DWORD dst_unused:UNUSED_PAD src0_sel:DWORD src1_sel:BYTE_0
	v_or_b32_e32 v18, 0x100, v10
	v_mov_b32_e32 v19, v51
	s_lshr_b32 s13, s8, 27
	v_lshl_add_u32 v32, v58, 9, v8
	s_waitcnt vmcnt(4)
	v_mad_i64_i32 v[8:9], s[8:9], v14, s45, v[6:7]
	s_waitcnt vmcnt(3)
	v_mad_i64_i32 v[20:21], s[8:9], v12, s45, v[6:7]
	;; [unrolled: 2-line block ×3, first 2 shown]
	v_lshl_add_u64 v[6:7], v[8:9], 0, v[18:19]
	v_lshl_add_u64 v[22:23], v[6:7], 0, v[50:51]
	global_load_dwordx4 v[46:49], v[22:23], off
	v_or_b32_e32 v25, s18, v15
	v_or_b32_e32 v30, 64, v25
	v_add_u32_e32 v33, s13, v25
	v_mov_b32_e32 v24, s19
	v_or_b32_e32 v31, 0x80, v25
	v_add_u32_e32 v39, s13, v30
	v_lshl_add_u64 v[10:11], v[20:21], 0, v[10:11]
	v_ashrrev_i32_e32 v20, 5, v33
	v_cmp_gt_i32_e32 vcc, s5, v25
	v_add_u32_e32 v40, s13, v31
	v_ashrrev_i32_e32 v21, 5, v39
	v_cndmask_b32_e32 v52, v24, v20, vcc
	v_cmp_gt_i32_e32 vcc, s5, v30
	ds_read_b128 v[34:37], v32
	ds_read_b128 v[26:29], v32 offset:16
	ds_read_b128 v[14:17], v32 offset:2048
	;; [unrolled: 1-line block ×3, first 2 shown]
	v_ashrrev_i32_e32 v32, 5, v40
	v_cndmask_b32_e32 v62, v24, v21, vcc
	v_cmp_gt_i32_e32 vcc, s5, v31
	v_or_b32_e32 v38, 0xc0, v25
	v_add_u32_e32 v41, s13, v38
	v_cndmask_b32_e32 v64, v24, v32, vcc
	global_load_dwordx4 v[30:33], v[22:23], off offset:2048
	v_lshl_add_u64 v[12:13], v[12:13], 0, v[18:19]
	v_ashrrev_i32_e32 v39, 5, v41
	v_lshl_add_u64 v[10:11], v[10:11], 0, v[50:51]
	v_lshl_add_u64 v[18:19], v[12:13], 0, v[50:51]
	v_cmp_gt_i32_e32 vcc, s5, v38
	v_ashrrev_i32_e32 v65, 31, v64
	v_lshl_add_u64 v[68:69], v[64:65], 2, s[6:7]
	v_cndmask_b32_e32 v66, v24, v39, vcc
	global_load_dwordx4 v[22:25], v[10:11], off
	s_nop 0
	global_load_dwordx4 v[10:13], v[10:11], off offset:2048
	s_nop 0
	global_load_dwordx4 v[38:41], v[18:19], off
	s_nop 0
	global_load_dwordx4 v[18:21], v[18:19], off offset:2048
	s_mov_b32 s33, 0x7060302
	v_ashrrev_i32_e32 v53, 31, v52
	v_ashrrev_i32_e32 v63, 31, v62
	v_ashrrev_i32_e32 v67, 31, v66
	v_lshl_add_u64 v[52:53], v[52:53], 2, s[6:7]
	v_lshl_add_u64 v[62:63], v[62:63], 2, s[6:7]
	;; [unrolled: 1-line block ×3, first 2 shown]
	s_add_u32 s6, s10, s12
	s_addc_u32 s7, s11, 0
	v_and_b32_e32 v50, 16, v0
	v_lshl_or_b32 v55, v57, 4, v56
	s_load_dword s4, s[0:1], 0x1c
	s_waitcnt vmcnt(7)
	v_cvt_pk_f32_fp8_e32 v[64:65], v2
	v_cvt_pk_f32_fp8_sdwa v[70:71], v2 src0_sel:WORD_1
	v_cvt_pk_f32_fp8_e32 v[72:73], v3
	v_cvt_pk_f32_fp8_sdwa v[2:3], v3 src0_sel:WORD_1
	v_perm_b32 v74, v65, v64, s33
	v_perm_b32 v75, v71, v70, s33
	global_load_dword v64, v[52:53], off
	s_nop 0
	global_load_dword v63, v[62:63], off
	s_nop 0
	global_load_dword v61, v[68:69], off
	global_load_dword v62, v[66:67], off
	v_perm_b32 v52, v73, v72, s33
	v_perm_b32 v53, v3, v2, s33
	v_cvt_pk_f32_fp8_e32 v[2:3], v4
	v_cvt_pk_f32_fp8_sdwa v[70:71], v4 src0_sel:WORD_1
	s_waitcnt lgkmcnt(0)
	v_mfma_f32_16x16x16_bf16 v[66:69], v[74:75], v[34:35], 0
	v_cvt_pk_f32_fp8_e32 v[72:73], v5
	v_perm_b32 v2, v3, v2, s33
	v_perm_b32 v3, v71, v70, s33
	v_cvt_pk_f32_fp8_sdwa v[4:5], v5 src0_sel:WORD_1
	v_mfma_f32_16x16x16_bf16 v[66:69], v[52:53], v[36:37], v[66:69]
	v_perm_b32 v52, v73, v72, s33
	s_waitcnt vmcnt(10)
	v_cvt_pk_f32_fp8_e32 v[70:71], v42
	v_cvt_pk_f32_fp8_sdwa v[72:73], v42 src0_sel:WORD_1
	v_perm_b32 v53, v5, v4, s33
	v_mfma_f32_16x16x16_bf16 v[2:5], v[2:3], v[26:27], v[66:69]
	v_mov_b32_e32 v65, s4
	s_waitcnt vmcnt(6)
	v_cvt_pk_f32_fp8_e32 v[74:75], v11
	v_perm_b32 v66, v71, v70, s33
	v_perm_b32 v67, v73, v72, s33
	v_cvt_pk_f32_fp8_e32 v[68:69], v43
	v_cvt_pk_f32_fp8_sdwa v[42:43], v43 src0_sel:WORD_1
	v_mfma_f32_16x16x16_bf16 v[2:5], v[52:53], v[28:29], v[2:5]
	v_cvt_pk_f32_fp8_sdwa v[70:71], v30 src0_sel:WORD_1
	v_perm_b32 v52, v69, v68, s33
	v_perm_b32 v53, v43, v42, s33
	v_mfma_f32_16x16x16_bf16 v[2:5], v[66:67], v[14:15], v[2:5]
	v_cvt_pk_f32_fp8_e32 v[42:43], v44
	v_cvt_pk_f32_fp8_sdwa v[66:67], v44 src0_sel:WORD_1
	v_cvt_pk_f32_fp8_sdwa v[68:69], v46 src0_sel:WORD_1
	v_mfma_f32_16x16x16_bf16 v[2:5], v[52:53], v[16:17], v[2:5]
	v_cvt_pk_f32_fp8_e32 v[52:53], v45
	v_perm_b32 v42, v43, v42, s33
	v_perm_b32 v43, v67, v66, s33
	v_cvt_pk_f32_fp8_sdwa v[44:45], v45 src0_sel:WORD_1
	v_cvt_pk_f32_fp8_e32 v[66:67], v46
	v_perm_b32 v52, v53, v52, s33
	v_mfma_f32_16x16x16_bf16 v[2:5], v[42:43], v[6:7], v[2:5]
	v_perm_b32 v53, v45, v44, s33
	v_perm_b32 v66, v67, v66, s33
	;; [unrolled: 1-line block ×3, first 2 shown]
	v_cvt_pk_f32_fp8_e32 v[68:69], v47
	v_cvt_pk_f32_fp8_sdwa v[46:47], v47 src0_sel:WORD_1
	v_mfma_f32_16x16x16_bf16 v[42:45], v[52:53], v[8:9], v[2:5]
	v_lshl_add_u64 v[52:53], s[6:7], 0, v[50:51]
	v_perm_b32 v68, v69, v68, s33
	v_perm_b32 v69, v47, v46, s33
	v_mfma_f32_16x16x16_bf16 v[2:5], v[66:67], v[34:35], 0
	v_cvt_pk_f32_fp8_e32 v[46:47], v48
	v_cvt_pk_f32_fp8_sdwa v[66:67], v48 src0_sel:WORD_1
	v_lshlrev_b32_e32 v50, 5, v55
	v_mfma_f32_16x16x16_bf16 v[2:5], v[68:69], v[36:37], v[2:5]
	v_cvt_pk_f32_fp8_e32 v[68:69], v49
	v_perm_b32 v46, v47, v46, s33
	v_perm_b32 v47, v67, v66, s33
	v_cvt_pk_f32_fp8_sdwa v[48:49], v49 src0_sel:WORD_1
	v_perm_b32 v66, v69, v68, s33
	v_cvt_pk_f32_fp8_e32 v[68:69], v30
	v_mfma_f32_16x16x16_bf16 v[2:5], v[46:47], v[26:27], v[2:5]
	v_perm_b32 v67, v49, v48, s33
	v_perm_b32 v46, v69, v68, s33
	;; [unrolled: 1-line block ×3, first 2 shown]
	v_cvt_pk_f32_fp8_e32 v[48:49], v31
	v_cvt_pk_f32_fp8_sdwa v[30:31], v31 src0_sel:WORD_1
	v_mfma_f32_16x16x16_bf16 v[2:5], v[66:67], v[28:29], v[2:5]
	v_cvt_pk_f32_fp8_sdwa v[66:67], v22 src0_sel:WORD_1
	v_perm_b32 v48, v49, v48, s33
	v_perm_b32 v49, v31, v30, s33
	v_mfma_f32_16x16x16_bf16 v[2:5], v[46:47], v[14:15], v[2:5]
	v_cvt_pk_f32_fp8_e32 v[30:31], v32
	v_cvt_pk_f32_fp8_sdwa v[46:47], v32 src0_sel:WORD_1
	v_cvt_pk_f32_fp8_sdwa v[80:81], v13 src0_sel:WORD_1
	v_mfma_f32_16x16x16_bf16 v[2:5], v[48:49], v[16:17], v[2:5]
	v_cvt_pk_f32_fp8_e32 v[48:49], v33
	v_perm_b32 v30, v31, v30, s33
	v_perm_b32 v31, v47, v46, s33
	v_cvt_pk_f32_fp8_sdwa v[32:33], v33 src0_sel:WORD_1
	v_perm_b32 v46, v49, v48, s33
	v_cvt_pk_f32_fp8_e32 v[48:49], v22
	v_mfma_f32_16x16x16_bf16 v[2:5], v[30:31], v[6:7], v[2:5]
	v_perm_b32 v47, v33, v32, s33
	v_perm_b32 v30, v49, v48, s33
	;; [unrolled: 1-line block ×3, first 2 shown]
	v_cvt_pk_f32_fp8_e32 v[32:33], v23
	v_cvt_pk_f32_fp8_sdwa v[22:23], v23 src0_sel:WORD_1
	v_mfma_f32_16x16x16_bf16 v[46:49], v[46:47], v[8:9], v[2:5]
	v_lshl_add_u64 v[66:67], v[52:53], 0, v[50:51]
	v_perm_b32 v32, v33, v32, s33
	v_perm_b32 v33, v23, v22, s33
	v_mfma_f32_16x16x16_bf16 v[2:5], v[30:31], v[34:35], 0
	v_cvt_pk_f32_fp8_e32 v[22:23], v24
	v_cvt_pk_f32_fp8_sdwa v[30:31], v24 src0_sel:WORD_1
	s_waitcnt vmcnt(3)
	v_mad_i64_i32 v[68:69], s[6:7], v64, s45, v[66:67]
	v_perm_b32 v22, v23, v22, s33
	v_perm_b32 v23, v31, v30, s33
	v_cvt_pk_f32_fp8_e32 v[30:31], v25
	v_cvt_pk_f32_fp8_sdwa v[24:25], v25 src0_sel:WORD_1
	v_mfma_f32_16x16x16_bf16 v[2:5], v[32:33], v[36:37], v[2:5]
	s_waitcnt vmcnt(2)
	v_mad_i64_i32 v[70:71], s[6:7], v63, s45, v[66:67]
	v_perm_b32 v72, v31, v30, s33
	v_perm_b32 v73, v25, v24, s33
	v_mfma_f32_16x16x16_bf16 v[2:5], v[22:23], v[26:27], v[2:5]
	global_load_dwordx4 v[30:33], v[68:69], off
	global_load_dwordx4 v[22:25], v[70:71], off
	v_cvt_pk_f32_fp8_e32 v[68:69], v10
	s_waitcnt vmcnt(3)
	v_mad_i64_i32 v[70:71], s[6:7], v61, s45, v[66:67]
	v_mfma_f32_16x16x16_bf16 v[2:5], v[72:73], v[28:29], v[2:5]
	v_cvt_pk_f32_fp8_sdwa v[72:73], v10 src0_sel:WORD_1
	v_cvt_pk_f32_fp8_sdwa v[10:11], v11 src0_sel:WORD_1
	v_perm_b32 v68, v69, v68, s33
	s_waitcnt vmcnt(2)
	v_mad_i64_i32 v[76:77], s[6:7], v62, s45, v[66:67]
	v_perm_b32 v69, v73, v72, s33
	v_perm_b32 v72, v75, v74, s33
	;; [unrolled: 1-line block ×3, first 2 shown]
	v_cvt_pk_f32_fp8_e32 v[10:11], v12
	v_cvt_pk_f32_fp8_sdwa v[74:75], v12 src0_sel:WORD_1
	v_mfma_f32_16x16x16_bf16 v[66:69], v[68:69], v[14:15], v[2:5]
	v_or_b32_e32 v50, 0x800, v50
	v_perm_b32 v78, v11, v10, s33
	v_perm_b32 v79, v75, v74, s33
	v_cvt_pk_f32_fp8_e32 v[74:75], v13
	v_mfma_f32_16x16x16_bf16 v[66:69], v[72:73], v[16:17], v[66:69]
	v_lshl_add_u64 v[50:51], v[52:53], 0, v[50:51]
	v_perm_b32 v53, v81, v80, s33
	v_perm_b32 v52, v75, v74, s33
	global_load_dwordx4 v[10:13], v[70:71], off
	global_load_dwordx4 v[2:5], v[76:77], off
	v_mfma_f32_16x16x16_bf16 v[66:69], v[78:79], v[6:7], v[66:69]
	v_cvt_pk_f32_fp8_e32 v[70:71], v38
	v_cvt_pk_f32_fp8_sdwa v[72:73], v38 src0_sel:WORD_1
	v_cvt_pk_f32_fp8_e32 v[74:75], v40
	v_mfma_f32_16x16x16_bf16 v[66:69], v[52:53], v[8:9], v[66:69]
	v_cvt_pk_f32_fp8_e32 v[52:53], v39
	v_perm_b32 v70, v71, v70, s33
	v_perm_b32 v71, v73, v72, s33
	v_cvt_pk_f32_fp8_sdwa v[38:39], v39 src0_sel:WORD_1
	v_perm_b32 v52, v53, v52, s33
	v_cvt_pk_f32_fp8_sdwa v[76:77], v40 src0_sel:WORD_1
	v_mfma_f32_16x16x16_bf16 v[70:73], v[70:71], v[34:35], 0
	v_perm_b32 v53, v39, v38, s33
	v_perm_b32 v38, v75, v74, s33
	;; [unrolled: 1-line block ×3, first 2 shown]
	v_cvt_pk_f32_fp8_e32 v[74:75], v41
	v_cvt_pk_f32_fp8_sdwa v[40:41], v41 src0_sel:WORD_1
	v_mfma_f32_16x16x16_bf16 v[34:37], v[52:53], v[36:37], v[70:73]
	s_load_dword s6, s[40:41], 0x0
	v_perm_b32 v52, v75, v74, s33
	v_perm_b32 v53, v41, v40, s33
	v_mfma_f32_16x16x16_bf16 v[70:73], v[38:39], v[26:27], v[34:37]
	v_cvt_pk_f32_fp8_sdwa v[40:41], v18 src0_sel:WORD_1
	s_waitcnt lgkmcnt(0)
	v_mul_f32_e32 v74, s6, v65
	s_mov_b32 s40, 0xff7fffff
	v_cvt_pk_f32_fp8_e32 v[34:35], v18
	v_pk_mul_f32 v[36:37], v[74:75], v[42:43] op_sel_hi:[0,1]
	v_cvt_pk_f32_fp8_e32 v[42:43], v19
	v_cvt_pk_f32_fp8_sdwa v[18:19], v19 src0_sel:WORD_1
	v_perm_b32 v34, v35, v34, s33
	v_perm_b32 v35, v41, v40, s33
	v_mfma_f32_16x16x16_bf16 v[26:29], v[52:53], v[28:29], v[70:73]
	v_perm_b32 v40, v43, v42, s33
	v_perm_b32 v41, v19, v18, s33
	v_cvt_pk_f32_fp8_e32 v[18:19], v20
	v_cvt_pk_f32_fp8_sdwa v[42:43], v20 src0_sel:WORD_1
	v_mfma_f32_16x16x16_bf16 v[26:29], v[34:35], v[14:15], v[26:29]
	v_cvt_pk_f32_fp8_e32 v[34:35], v21
	v_perm_b32 v18, v19, v18, s33
	v_perm_b32 v19, v43, v42, s33
	v_cvt_pk_f32_fp8_sdwa v[20:21], v21 src0_sel:WORD_1
	v_mfma_f32_16x16x16_bf16 v[14:17], v[40:41], v[16:17], v[26:29]
	v_pk_mul_f32 v[38:39], v[74:75], v[44:45] op_sel_hi:[0,1]
	v_pk_mul_f32 v[52:53], v[74:75], v[46:47] op_sel_hi:[0,1]
	;; [unrolled: 1-line block ×3, first 2 shown]
	v_perm_b32 v26, v35, v34, s33
	v_perm_b32 v27, v21, v20, s33
	v_mfma_f32_16x16x16_bf16 v[14:17], v[18:19], v[6:7], v[14:17]
	v_pk_mul_f32 v[40:41], v[74:75], v[66:67] op_sel_hi:[0,1]
	v_pk_mul_f32 v[44:45], v[74:75], v[68:69] op_sel_hi:[0,1]
	v_mad_i64_i32 v[64:65], s[6:7], v64, s45, v[50:51]
	v_mfma_f32_16x16x16_bf16 v[6:9], v[26:27], v[8:9], v[14:17]
	s_nop 6
	v_pk_mul_f32 v[42:43], v[74:75], v[6:7] op_sel_hi:[0,1]
	v_and_b32_e32 v6, 0xc0, v0
	v_add_u32_e32 v6, s18, v6
	v_lshl_or_b32 v6, v58, 2, v6
	v_pk_mul_f32 v[34:35], v[74:75], v[8:9] op_sel_hi:[0,1]
	v_or_b32_e32 v9, 1, v6
	v_mov_b32_e32 v7, 0xff7fffff
	v_cmp_gt_i32_e64 s[24:25], s5, v6
	v_cmp_gt_i32_e64 s[26:27], s5, v9
	v_or_b32_e32 v14, 3, v6
	v_cndmask_b32_e64 v8, v7, v36, s[24:25]
	v_cndmask_b32_e64 v9, v7, v37, s[26:27]
	v_max3_f32 v8, v8, s40, v9
	v_or_b32_e32 v9, 2, v6
	v_cmp_gt_i32_e64 s[28:29], s5, v9
	v_cmp_gt_i32_e64 s[30:31], s5, v14
	s_nop 0
	v_cndmask_b32_e64 v9, v7, v38, s[28:29]
	v_cndmask_b32_e64 v14, v7, v39, s[30:31]
	v_max3_f32 v8, v8, v9, v14
	v_or_b32_e32 v9, 16, v6
	v_or_b32_e32 v14, 17, v6
	v_cmp_gt_i32_e64 s[34:35], s5, v9
	v_cmp_gt_i32_e64 s[36:37], s5, v14
	s_nop 0
	v_cndmask_b32_e64 v9, v7, v52, s[34:35]
	v_cndmask_b32_e64 v14, v7, v53, s[36:37]
	v_max3_f32 v8, v8, v9, v14
	v_or_b32_e32 v9, 18, v6
	;; [unrolled: 8-line block ×6, first 2 shown]
	v_or_b32_e32 v6, 51, v6
	v_cmp_gt_i32_e32 vcc, s5, v9
	v_cmp_gt_i32_e64 s[4:5], s5, v6
	s_nop 0
	v_cndmask_b32_e32 v9, v7, v34, vcc
	v_cndmask_b32_e64 v6, v7, v35, s[4:5]
	v_max3_f32 v8, v8, v9, v6
	v_mbcnt_lo_u32_b32 v6, -1, 0
	v_mbcnt_hi_u32_b32 v9, -1, v6
	v_and_b32_e32 v6, 64, v9
	v_add_u32_e32 v14, 64, v6
	v_xor_b32_e32 v6, 32, v9
	v_cmp_lt_i32_e64 s[38:39], v6, v14
	s_nop 1
	v_cndmask_b32_e64 v6, v9, v6, s[38:39]
	v_lshlrev_b32_e32 v66, 2, v6
	ds_bpermute_b32 v15, v66, v8
	v_mad_i64_i32 v[6:7], s[38:39], v63, s45, v[50:51]
	global_load_dwordx4 v[26:29], v[64:65], off
	global_load_dwordx4 v[18:21], v[6:7], off
	s_waitcnt lgkmcnt(0)
	v_max_f32_e32 v6, v15, v15
	v_max_f32_e32 v15, v8, v6
	v_xor_b32_e32 v6, 16, v9
	v_cmp_lt_i32_e64 s[38:39], v6, v14
	s_nop 1
	v_cndmask_b32_e64 v6, v9, v6, s[38:39]
	v_lshlrev_b32_e32 v63, 2, v6
	ds_bpermute_b32 v14, v63, v15
	v_mad_i64_i32 v[6:7], s[38:39], v61, s45, v[50:51]
	v_mad_i64_i32 v[8:9], s[38:39], v62, s45, v[50:51]
	s_waitcnt lgkmcnt(0)
	v_max_f32_e32 v14, v14, v14
	v_max_f32_e32 v50, v15, v14
	v_sub_f32_e32 v14, v36, v50
	v_mul_f32_e32 v14, 0x3fb8aa3b, v14
	v_exp_f32_e32 v36, v14
	v_sub_f32_e32 v14, v37, v50
	v_mul_f32_e32 v14, 0x3fb8aa3b, v14
	v_exp_f32_e32 v37, v14
	global_load_dwordx4 v[14:17], v[6:7], off
	s_nop 0
	global_load_dwordx4 v[6:9], v[8:9], off
	v_sub_f32_e32 v38, v38, v50
	v_mul_f32_e32 v38, 0x3fb8aa3b, v38
	v_sub_f32_e32 v39, v39, v50
	v_exp_f32_e32 v38, v38
	v_mul_f32_e32 v39, 0x3fb8aa3b, v39
	v_exp_f32_e32 v39, v39
	v_cndmask_b32_e64 v36, 0, v36, s[24:25]
	v_add_f32_e32 v46, 0, v36
	v_cndmask_b32_e64 v37, 0, v37, s[26:27]
	v_add_f32_e32 v47, v46, v37
	;; [unrolled: 2-line block ×3, first 2 shown]
	v_cndmask_b32_e64 v47, 0, v39, s[30:31]
	v_sub_f32_e32 v39, v52, v50
	v_mul_f32_e32 v39, 0x3fb8aa3b, v39
	v_sub_f32_e32 v51, v53, v50
	v_exp_f32_e32 v39, v39
	v_mul_f32_e32 v51, 0x3fb8aa3b, v51
	v_sub_f32_e32 v48, v48, v50
	v_exp_f32_e32 v51, v51
	v_mul_f32_e32 v48, 0x3fb8aa3b, v48
	v_sub_f32_e32 v49, v49, v50
	v_exp_f32_e32 v48, v48
	v_mul_f32_e32 v49, 0x3fb8aa3b, v49
	v_sub_f32_e32 v40, v40, v50
	v_exp_f32_e32 v49, v49
	v_mul_f32_e32 v40, 0x3fb8aa3b, v40
	v_sub_f32_e32 v41, v41, v50
	v_add_f32_e32 v52, v38, v47
	v_cndmask_b32_e64 v38, 0, v39, s[34:35]
	v_exp_f32_e32 v40, v40
	v_mul_f32_e32 v41, 0x3fb8aa3b, v41
	v_sub_f32_e32 v44, v44, v50
	v_add_f32_e32 v52, v52, v38
	v_cndmask_b32_e64 v39, 0, v51, s[36:37]
	v_exp_f32_e32 v41, v41
	;; [unrolled: 5-line block ×7, first 2 shown]
	v_mul_f32_e32 v35, 0x3fb8aa3b, v35
	v_add_f32_e32 v51, v51, v44
	v_cndmask_b32_e64 v45, 0, v45, s[12:13]
	v_exp_f32_e32 v35, v35
	v_add_f32_e32 v51, v51, v45
	v_cndmask_b32_e64 v42, 0, v42, s[6:7]
	v_add_f32_e32 v51, v51, v42
	v_cndmask_b32_e64 v43, 0, v43, s[8:9]
	v_add_f32_e32 v51, v51, v43
	v_cndmask_b32_e32 v34, 0, v34, vcc
	v_add_f32_e32 v51, v51, v34
	v_cndmask_b32_e64 v35, 0, v35, s[4:5]
	v_add_f32_e32 v51, v51, v35
	ds_bpermute_b32 v52, v66, v51
	v_cmp_gt_u32_e32 vcc, 16, v60
	s_waitcnt lgkmcnt(0)
	s_barrier
	v_add_f32_e32 v51, v51, v52
	ds_bpermute_b32 v52, v63, v51
	s_and_saveexec_b64 s[4:5], vcc
	s_cbranch_execz .LBB1406_13
; %bb.12:
	s_waitcnt lgkmcnt(0)
	v_add_f32_e32 v51, v51, v52
	v_lshlrev_b32_e32 v52, 2, v55
	ds_write2st64_b32 v52, v50, v51 offset1:1
.LBB1406_13:
	s_or_b64 exec, exec, s[4:5]
	v_lshlrev_b32_e32 v51, 2, v56
	s_load_dword s6, s[0:1], 0x94
	s_waitcnt lgkmcnt(0)
	s_barrier
	ds_read2_b32 v[52:53], v51 offset1:16
	ds_read2_b32 v[60:61], v51 offset0:32 offset1:48
	ds_read2_b32 v[62:63], v51 offset0:64 offset1:80
	s_movk_i32 s8, 0x7fff
	s_mul_i32 s7, s23, 3
	s_waitcnt lgkmcnt(2)
	v_max3_f32 v50, v52, s40, v53
	s_waitcnt lgkmcnt(1)
	v_max3_f32 v50, v50, v60, v61
	v_sub_f32_e32 v52, v52, v50
	v_mul_f32_e32 v52, 0x3fb8aa3b, v52
	v_exp_f32_e32 v55, v52
	v_sub_f32_e32 v52, v53, v50
	v_mul_f32_e32 v52, 0x3fb8aa3b, v52
	v_exp_f32_e32 v64, v52
	v_sub_f32_e32 v52, v60, v50
	v_mul_f32_e32 v52, 0x3fb8aa3b, v52
	v_exp_f32_e32 v60, v52
	ds_read2_b32 v[52:53], v51 offset0:96 offset1:112
	v_sub_f32_e32 v51, v61, v50
	v_mul_f32_e32 v51, 0x3fb8aa3b, v51
	v_exp_f32_e32 v61, v51
	s_waitcnt lgkmcnt(1)
	v_fma_f32 v51, v55, v62, 0
	v_fmac_f32_e32 v51, v64, v63
	s_waitcnt lgkmcnt(0)
	v_fmac_f32_e32 v51, v60, v52
	v_fmac_f32_e32 v51, v61, v53
	v_add_f32_e32 v52, 0x358637bd, v51
	v_div_scale_f32 v53, s[4:5], v52, v52, 1.0
	v_rcp_f32_e32 v62, v53
	s_barrier
	v_fma_f32 v63, -v53, v62, 1.0
	v_fmac_f32_e32 v62, v63, v62
	v_div_scale_f32 v63, vcc, 1.0, v52, 1.0
	v_mul_f32_e32 v65, v63, v62
	v_fma_f32 v66, -v53, v65, v63
	v_fmac_f32_e32 v65, v66, v62
	v_fma_f32 v53, -v53, v65, v63
	v_div_fmas_f32 v53, v53, v62, v65
	v_cmp_eq_u32_e32 vcc, 1, v57
	v_div_fixup_f32 v52, v53, v52, 1.0
	s_nop 0
	v_cndmask_b32_e32 v53, v55, v64, vcc
	v_cmp_eq_u32_e32 vcc, 2, v57
	s_nop 1
	v_cndmask_b32_e32 v53, v53, v60, vcc
	v_cmp_eq_u32_e32 vcc, 3, v57
	s_nop 1
	v_cndmask_b32_e32 v53, v53, v61, vcc
	v_mul_f32_e32 v52, v53, v52
	v_pk_mul_f32 v[36:37], v[52:53], v[36:37] op_sel_hi:[0,1]
	v_pk_mul_f32 v[46:47], v[52:53], v[46:47] op_sel_hi:[0,1]
	v_bfe_u32 v53, v37, 16, 1
	v_bfe_u32 v55, v36, 16, 1
	v_add3_u32 v36, v36, v55, s8
	v_add3_u32 v37, v37, v53, s8
	v_perm_b32 v60, v37, v36, s33
	v_bfe_u32 v36, v47, 16, 1
	v_bfe_u32 v37, v46, 16, 1
	v_add3_u32 v37, v46, v37, s8
	v_add3_u32 v36, v47, v36, s8
	v_perm_b32 v61, v36, v37, s33
	v_lshlrev_b32_e32 v37, 3, v58
	v_lshlrev_b32_e32 v36, 5, v56
	;; [unrolled: 1-line block ×3, first 2 shown]
	v_pk_mul_f32 v[38:39], v[52:53], v[38:39] op_sel_hi:[0,1]
	v_or3_b32 v55, v46, v36, v37
	v_pk_mul_f32 v[46:47], v[52:53], v[48:49] op_sel_hi:[0,1]
	v_bfe_u32 v37, v39, 16, 1
	v_bfe_u32 v48, v38, 16, 1
	v_add3_u32 v38, v38, v48, s8
	v_add3_u32 v37, v39, v37, s8
	v_perm_b32 v38, v37, v38, s33
	v_bfe_u32 v37, v47, 16, 1
	v_bfe_u32 v39, v46, 16, 1
	v_add3_u32 v39, v46, v39, s8
	v_add3_u32 v37, v47, v37, s8
	v_perm_b32 v39, v37, v39, s33
	v_pk_mul_f32 v[40:41], v[52:53], v[40:41] op_sel_hi:[0,1]
	ds_write2st64_b64 v55, v[60:61], v[38:39] offset1:1
	v_pk_mul_f32 v[38:39], v[52:53], v[44:45] op_sel_hi:[0,1]
	v_bfe_u32 v37, v41, 16, 1
	v_bfe_u32 v44, v40, 16, 1
	v_add3_u32 v40, v40, v44, s8
	v_add3_u32 v37, v41, v37, s8
	v_perm_b32 v40, v37, v40, s33
	v_bfe_u32 v37, v39, 16, 1
	v_bfe_u32 v41, v38, 16, 1
	v_add3_u32 v38, v38, v41, s8
	v_add3_u32 v37, v39, v37, s8
	v_perm_b32 v41, v37, v38, s33
	v_pk_mul_f32 v[38:39], v[52:53], v[42:43] op_sel_hi:[0,1]
	v_bfe_u32 v37, v39, 16, 1
	v_bfe_u32 v42, v38, 16, 1
	v_pk_mul_f32 v[34:35], v[52:53], v[34:35] op_sel_hi:[0,1]
	v_add3_u32 v38, v38, v42, s8
	v_add3_u32 v37, v39, v37, s8
	v_perm_b32 v38, v37, v38, s33
	v_bfe_u32 v37, v35, 16, 1
	v_bfe_u32 v39, v34, 16, 1
	v_add3_u32 v34, v34, v39, s8
	v_add3_u32 v35, v35, v37, s8
	v_perm_b32 v39, v35, v34, s33
	v_cmp_gt_u32_e32 vcc, 3, v0
	ds_write2st64_b64 v55, v[40:41], v[38:39] offset0:2 offset1:3
	s_and_saveexec_b64 s[4:5], vcc
	s_cbranch_execz .LBB1406_15
; %bb.14:
	s_mov_b32 s49, 0
	v_mov_b32_e32 v57, 0
	v_lshl_add_u64 v[34:35], s[48:49], 0, v[56:57]
	v_mov_b32_e32 v37, s7
	v_mad_u64_u32 v[34:35], s[10:11], s2, v37, v[34:35]
	s_mul_i32 s3, s3, s7
	v_mov_b32_e32 v38, s22
	v_mov_b32_e32 v39, v57
	s_load_dwordx4 s[12:15], s[0:1], 0x58
	v_add_u32_e32 v37, s3, v35
	v_mad_u64_u32 v[34:35], s[10:11], v34, s6, v[38:39]
	v_mov_b32_e32 v38, v35
	v_mad_u64_u32 v[38:39], s[10:11], v37, s6, v[38:39]
	v_mov_b32_e32 v35, v38
	v_lshlrev_b64 v[34:35], 2, v[34:35]
	s_waitcnt lgkmcnt(0)
	v_lshl_add_u64 v[38:39], s[14:15], 0, v[34:35]
	v_lshl_add_u64 v[34:35], s[12:13], 0, v[34:35]
	global_store_dword v[38:39], v50, off
	global_store_dword v[34:35], v51, off
.LBB1406_15:
	s_or_b64 exec, exec, s[4:5]
	v_lshl_or_b32 v50, v58, 9, v36
	s_waitcnt vmcnt(7)
	v_cvt_pk_f32_fp8_e32 v[34:35], v30
	v_cvt_pk_f32_fp8_sdwa v[36:37], v30 src0_sel:WORD_1
	s_mov_b32 s5, 0x7060302
	s_waitcnt lgkmcnt(0)
	s_barrier
	v_cvt_pk_f32_fp8_e32 v[38:39], v31
	v_perm_b32 v30, v35, v34, s5
	v_cvt_pk_f32_fp8_sdwa v[40:41], v31 src0_sel:WORD_1
	v_perm_b32 v31, v37, v36, s5
	ds_read_b128 v[34:37], v50
	v_perm_b32 v46, v39, v38, s5
	v_perm_b32 v47, v41, v40, s5
	ds_read_b128 v[38:41], v50 offset:16
	v_cvt_pk_f32_fp8_e32 v[48:49], v32
	v_cvt_pk_f32_fp8_sdwa v[52:53], v32 src0_sel:WORD_1
	s_waitcnt lgkmcnt(1)
	v_mfma_f32_16x16x16_bf16 v[42:45], v[30:31], v[34:35], 0
	s_waitcnt vmcnt(6)
	v_cvt_pk_f32_fp8_e32 v[60:61], v24
	v_perm_b32 v30, v49, v48, s5
	v_perm_b32 v31, v53, v52, s5
	v_cvt_pk_f32_fp8_e32 v[48:49], v33
	v_mfma_f32_16x16x16_bf16 v[42:45], v[46:47], v[36:37], v[42:45]
	v_cvt_pk_f32_fp8_sdwa v[46:47], v33 src0_sel:WORD_1
	v_cvt_pk_f32_fp8_sdwa v[62:63], v24 src0_sel:WORD_1
	v_perm_b32 v48, v49, v48, s5
	s_waitcnt lgkmcnt(0)
	v_mfma_f32_16x16x16_bf16 v[30:33], v[30:31], v[38:39], v[42:45]
	v_perm_b32 v49, v47, v46, s5
	s_waitcnt vmcnt(5)
	v_cvt_pk_f32_fp8_e32 v[64:65], v12
	v_cvt_pk_f32_fp8_sdwa v[66:67], v12 src0_sel:WORD_1
	v_cvt_pk_f32_fp8_e32 v[42:43], v22
	v_mfma_f32_16x16x16_bf16 v[46:49], v[48:49], v[40:41], v[30:33]
	s_waitcnt vmcnt(4)
	v_cvt_pk_f32_fp8_sdwa v[68:69], v4 src0_sel:WORD_1
	s_load_dword s4, s[42:43], 0x0
	v_cvt_pk_f32_fp8_sdwa v[30:31], v22 src0_sel:WORD_1
	v_cvt_pk_f32_fp8_e32 v[32:33], v23
	v_perm_b32 v22, v43, v42, s5
	v_cvt_pk_f32_fp8_sdwa v[42:43], v23 src0_sel:WORD_1
	v_perm_b32 v23, v31, v30, s5
	v_perm_b32 v52, v33, v32, s5
	ds_read_b128 v[30:33], v50 offset:2048
	v_perm_b32 v53, v43, v42, s5
	ds_read_b128 v[42:45], v50 offset:2064
	s_waitcnt lgkmcnt(0)
	v_mfma_f32_16x16x16_bf16 v[46:49], v[22:23], v[30:31], v[46:49]
	v_perm_b32 v22, v61, v60, s5
	v_perm_b32 v23, v63, v62, s5
	v_cvt_pk_f32_fp8_e32 v[60:61], v25
	v_mfma_f32_16x16x16_bf16 v[46:49], v[52:53], v[32:33], v[46:49]
	v_cvt_pk_f32_fp8_sdwa v[52:53], v25 src0_sel:WORD_1
	s_waitcnt vmcnt(3)
	v_cvt_pk_f32_fp8_sdwa v[70:71], v28 src0_sel:WORD_1
	v_perm_b32 v60, v61, v60, s5
	v_mfma_f32_16x16x16_bf16 v[22:25], v[22:23], v[42:43], v[46:49]
	v_perm_b32 v61, v53, v52, s5
	v_cmp_gt_u32_e32 vcc, 64, v0
	s_mov_b32 s3, 0
	v_cvt_pk_f32_fp8_e32 v[46:47], v10
	v_mfma_f32_16x16x16_bf16 v[60:63], v[60:61], v[44:45], v[22:25]
	s_nop 2
	v_cvt_pk_f32_fp8_sdwa v[22:23], v10 src0_sel:WORD_1
	v_cvt_pk_f32_fp8_e32 v[24:25], v11
	v_perm_b32 v10, v47, v46, s5
	v_cvt_pk_f32_fp8_sdwa v[46:47], v11 src0_sel:WORD_1
	v_perm_b32 v11, v23, v22, s5
	v_perm_b32 v52, v25, v24, s5
	ds_read_b128 v[22:25], v50 offset:4096
	v_perm_b32 v53, v47, v46, s5
	ds_read_b128 v[46:49], v50 offset:4112
	s_waitcnt lgkmcnt(1)
	v_mfma_f32_16x16x16_bf16 v[60:63], v[10:11], v[22:23], v[60:63]
	v_perm_b32 v10, v65, v64, s5
	v_perm_b32 v11, v67, v66, s5
	v_cvt_pk_f32_fp8_e32 v[64:65], v13
	v_mfma_f32_16x16x16_bf16 v[60:63], v[52:53], v[24:25], v[60:63]
	v_cvt_pk_f32_fp8_sdwa v[52:53], v13 src0_sel:WORD_1
	v_cvt_pk_f32_fp8_e32 v[66:67], v4
	v_perm_b32 v64, v65, v64, s5
	s_waitcnt lgkmcnt(0)
	v_mfma_f32_16x16x16_bf16 v[10:13], v[10:11], v[46:47], v[60:63]
	v_perm_b32 v65, v53, v52, s5
	v_cvt_pk_f32_fp8_e32 v[52:53], v2
	s_nop 0
	v_mfma_f32_16x16x16_bf16 v[60:63], v[64:65], v[48:49], v[10:13]
	s_nop 2
	v_cvt_pk_f32_fp8_sdwa v[10:11], v2 src0_sel:WORD_1
	v_cvt_pk_f32_fp8_e32 v[12:13], v3
	v_perm_b32 v2, v53, v52, s5
	v_cvt_pk_f32_fp8_sdwa v[52:53], v3 src0_sel:WORD_1
	v_perm_b32 v3, v11, v10, s5
	v_perm_b32 v64, v13, v12, s5
	ds_read_b128 v[10:13], v50 offset:6144
	v_perm_b32 v65, v53, v52, s5
	s_waitcnt lgkmcnt(0)
	v_mfma_f32_16x16x16_bf16 v[60:63], v[2:3], v[10:11], v[60:63]
	ds_read_b128 v[50:53], v50 offset:6160
	v_perm_b32 v2, v67, v66, s5
	v_perm_b32 v3, v69, v68, s5
	v_cvt_pk_f32_fp8_e32 v[66:67], v5
	v_mfma_f32_16x16x16_bf16 v[60:63], v[64:65], v[12:13], v[60:63]
	v_cvt_pk_f32_fp8_sdwa v[64:65], v5 src0_sel:WORD_1
	v_cvt_pk_f32_fp8_e32 v[68:69], v28
	v_perm_b32 v66, v67, v66, s5
	s_waitcnt lgkmcnt(0)
	v_mfma_f32_16x16x16_bf16 v[2:5], v[2:3], v[50:51], v[60:63]
	v_perm_b32 v67, v65, v64, s5
	s_barrier
	s_nop 0
	v_mfma_f32_16x16x16_bf16 v[60:63], v[66:67], v[52:53], v[2:5]
	s_nop 2
	v_cvt_pk_f32_fp8_e32 v[4:5], v26
	v_perm_b32 v4, v5, v4, s5
	s_nop 1
	v_pk_mul_f32 v[2:3], v[62:63], s[4:5] op_sel_hi:[1,0]
	v_cvt_pk_f32_fp8_sdwa v[62:63], v26 src0_sel:WORD_1
	v_pk_mul_f32 v[64:65], v[60:61], s[4:5] op_sel_hi:[1,0]
	v_cvt_pk_f32_fp8_e32 v[60:61], v27
	v_cvt_pk_f32_fp8_sdwa v[26:27], v27 src0_sel:WORD_1
	v_perm_b32 v5, v63, v62, s5
	v_bfe_u32 v57, v65, 16, 1
	v_perm_b32 v66, v61, v60, s5
	v_perm_b32 v67, v27, v26, s5
	v_mfma_f32_16x16x16_bf16 v[60:63], v[4:5], v[34:35], 0
	v_perm_b32 v4, v69, v68, s5
	v_perm_b32 v5, v71, v70, s5
	v_cvt_pk_f32_fp8_e32 v[34:35], v29
	v_cvt_pk_f32_fp8_sdwa v[68:69], v29 src0_sel:WORD_1
	v_mfma_f32_16x16x16_bf16 v[26:29], v[66:67], v[36:37], v[60:63]
	s_waitcnt vmcnt(2)
	v_cvt_pk_f32_fp8_sdwa v[36:37], v18 src0_sel:WORD_1
	v_perm_b32 v34, v35, v34, s5
	v_perm_b32 v35, v69, v68, s5
	v_mfma_f32_16x16x16_bf16 v[26:29], v[4:5], v[38:39], v[26:29]
	v_cvt_pk_f32_fp8_e32 v[4:5], v18
	v_cvt_pk_f32_fp8_sdwa v[38:39], v20 src0_sel:WORD_1
	v_bfe_u32 v60, v64, 16, 1
	v_mfma_f32_16x16x16_bf16 v[26:29], v[34:35], v[40:41], v[26:29]
	v_cvt_pk_f32_fp8_e32 v[34:35], v19
	v_perm_b32 v4, v5, v4, s5
	v_perm_b32 v5, v37, v36, s5
	v_cvt_pk_f32_fp8_sdwa v[18:19], v19 src0_sel:WORD_1
	v_perm_b32 v34, v35, v34, s5
	v_cvt_pk_f32_fp8_e32 v[36:37], v20
	v_mfma_f32_16x16x16_bf16 v[26:29], v[4:5], v[30:31], v[26:29]
	v_perm_b32 v35, v19, v18, s5
	v_perm_b32 v4, v37, v36, s5
	;; [unrolled: 1-line block ×3, first 2 shown]
	v_cvt_pk_f32_fp8_e32 v[30:31], v21
	v_cvt_pk_f32_fp8_sdwa v[36:37], v21 src0_sel:WORD_1
	v_mfma_f32_16x16x16_bf16 v[18:21], v[34:35], v[32:33], v[26:29]
	v_add3_u32 v32, v64, v60, s8
	v_add3_u32 v33, v65, v57, s8
	s_nop 0
	v_perm_b32 v26, v31, v30, s5
	v_perm_b32 v27, v37, v36, s5
	v_mfma_f32_16x16x16_bf16 v[18:21], v[4:5], v[42:43], v[18:21]
	s_waitcnt vmcnt(1)
	v_cvt_pk_f32_fp8_e32 v[4:5], v14
	v_cvt_pk_f32_fp8_sdwa v[28:29], v14 src0_sel:WORD_1
	v_cvt_pk_f32_fp8_sdwa v[30:31], v16 src0_sel:WORD_1
	v_mfma_f32_16x16x16_bf16 v[18:21], v[26:27], v[44:45], v[18:21]
	v_cvt_pk_f32_fp8_e32 v[26:27], v15
	v_perm_b32 v4, v5, v4, s5
	v_perm_b32 v5, v29, v28, s5
	v_cvt_pk_f32_fp8_sdwa v[14:15], v15 src0_sel:WORD_1
	v_perm_b32 v26, v27, v26, s5
	v_cvt_pk_f32_fp8_e32 v[28:29], v16
	v_mfma_f32_16x16x16_bf16 v[18:21], v[4:5], v[22:23], v[18:21]
	v_perm_b32 v27, v15, v14, s5
	v_perm_b32 v4, v29, v28, s5
	;; [unrolled: 1-line block ×3, first 2 shown]
	v_cvt_pk_f32_fp8_e32 v[22:23], v17
	v_cvt_pk_f32_fp8_sdwa v[28:29], v17 src0_sel:WORD_1
	v_mfma_f32_16x16x16_bf16 v[14:17], v[26:27], v[24:25], v[18:21]
	s_waitcnt vmcnt(0)
	v_cvt_pk_f32_fp8_sdwa v[24:25], v8 src0_sel:WORD_1
	s_nop 0
	v_perm_b32 v20, v23, v22, s5
	v_perm_b32 v21, v29, v28, s5
	v_mfma_f32_16x16x16_bf16 v[14:17], v[4:5], v[46:47], v[14:17]
	v_cvt_pk_f32_fp8_e32 v[4:5], v6
	v_cvt_pk_f32_fp8_sdwa v[22:23], v6 src0_sel:WORD_1
	v_bfe_u32 v19, v3, 16, 1
	v_mfma_f32_16x16x16_bf16 v[14:17], v[20:21], v[48:49], v[14:17]
	v_cvt_pk_f32_fp8_e32 v[20:21], v7
	v_perm_b32 v4, v5, v4, s5
	v_perm_b32 v5, v23, v22, s5
	v_cvt_pk_f32_fp8_sdwa v[6:7], v7 src0_sel:WORD_1
	v_perm_b32 v20, v21, v20, s5
	v_cvt_pk_f32_fp8_e32 v[22:23], v8
	v_add3_u32 v3, v3, v19, s8
	v_perm_b32 v21, v7, v6, s5
	v_mfma_f32_16x16x16_bf16 v[4:7], v[4:5], v[10:11], v[14:17]
	v_perm_b32 v10, v23, v22, s5
	v_perm_b32 v11, v25, v24, s5
	;; [unrolled: 1-line block ×3, first 2 shown]
	v_cvt_pk_f32_fp8_e32 v[14:15], v9
	v_cvt_pk_f32_fp8_sdwa v[8:9], v9 src0_sel:WORD_1
	v_mfma_f32_16x16x16_bf16 v[4:7], v[20:21], v[12:13], v[4:7]
	v_bfe_u32 v16, v2, 16, 1
	v_perm_b32 v12, v15, v14, s5
	v_perm_b32 v13, v9, v8, s5
	v_mfma_f32_16x16x16_bf16 v[4:7], v[10:11], v[50:51], v[4:7]
	v_add3_u32 v2, v2, v16, s8
	v_perm_b32 v19, v3, v2, s5
	v_mfma_f32_16x16x16_bf16 v[2:5], v[12:13], v[52:53], v[4:7]
	s_nop 6
	v_pk_mul_f32 v[2:3], v[2:3], s[4:5] op_sel_hi:[1,0]
	v_pk_mul_f32 v[4:5], v[4:5], s[4:5] op_sel_hi:[1,0]
	v_bfe_u32 v6, v3, 16, 1
	v_bfe_u32 v7, v2, 16, 1
	v_add3_u32 v2, v2, v7, s8
	v_add3_u32 v3, v3, v6, s8
	v_perm_b32 v2, v3, v2, s5
	v_bfe_u32 v3, v5, 16, 1
	v_bfe_u32 v6, v4, 16, 1
	v_add3_u32 v4, v4, v6, s8
	v_add3_u32 v3, v5, v3, s8
	v_perm_b32 v3, v3, v4, s5
	v_cmp_ne_u32_e64 s[4:5], 3, v58
	s_and_b64 s[4:5], vcc, s[4:5]
	ds_write2st64_b64 v55, v[18:19], v[2:3] offset1:1
	s_waitcnt lgkmcnt(0)
	s_barrier
	s_and_saveexec_b64 s[8:9], s[4:5]
	s_cbranch_execz .LBB1406_17
; %bb.16:
	s_load_dwordx2 s[0:1], s[0:1], 0x68
	s_mul_i32 s2, s7, s2
	s_lshl_b32 s6, s6, 7
	v_lshlrev_b32_e32 v4, 6, v56
	s_mul_hi_u32 s5, s2, s6
	s_mul_i32 s4, s2, s6
	v_lshl_or_b32 v0, v0, 10, v4
	s_lshl_b64 s[4:5], s[4:5], 1
	v_lshlrev_b32_e32 v2, 5, v58
	v_and_b32_e32 v3, 16, v59
	v_and_b32_e32 v0, 0x1a00, v0
	s_waitcnt lgkmcnt(0)
	s_add_u32 s4, s0, s4
	v_or3_b32 v0, v0, v2, v3
	s_addc_u32 s5, s1, s5
	s_lshl_b32 s2, s22, 7
	ds_read_b128 v[2:5], v0
	s_lshl_b64 s[0:1], s[2:3], 1
	s_add_u32 s0, s4, s0
	s_addc_u32 s1, s5, s1
	v_mad_u64_u32 v[0:1], s[2:3], s6, v1, 0
	v_lshl_add_u64 v[0:1], v[0:1], 1, s[0:1]
	v_mov_b32_e32 v55, 0
	v_lshl_add_u64 v[0:1], v[0:1], 0, v[54:55]
	s_waitcnt lgkmcnt(0)
	global_store_dwordx4 v[0:1], v[2:5], off
.LBB1406_17:
	s_endpgm
	.section	.rodata,"a",@progbits
	.p2align	6, 0x0
	.amdhsa_kernel _Z39paged_attention_ll4mi_QKV_mfma16_kernelI14__hip_bfloat16hLN4vllm18Fp8KVCacheDataTypeE1ES0_Li32ELi128ELi256ELb0ELi3EEvPKT_PKT0_S8_ifPKiSA_SA_iPKfiiiPfSD_PS3_PT2_iSC_SC_
		.amdhsa_group_segment_fixed_size 8192
		.amdhsa_private_segment_fixed_size 0
		.amdhsa_kernarg_size 400
		.amdhsa_user_sgpr_count 2
		.amdhsa_user_sgpr_dispatch_ptr 0
		.amdhsa_user_sgpr_queue_ptr 0
		.amdhsa_user_sgpr_kernarg_segment_ptr 1
		.amdhsa_user_sgpr_dispatch_id 0
		.amdhsa_user_sgpr_kernarg_preload_length 0
		.amdhsa_user_sgpr_kernarg_preload_offset 0
		.amdhsa_user_sgpr_private_segment_size 0
		.amdhsa_uses_dynamic_stack 0
		.amdhsa_enable_private_segment 0
		.amdhsa_system_sgpr_workgroup_id_x 1
		.amdhsa_system_sgpr_workgroup_id_y 1
		.amdhsa_system_sgpr_workgroup_id_z 1
		.amdhsa_system_sgpr_workgroup_info 0
		.amdhsa_system_vgpr_workitem_id 0
		.amdhsa_next_free_vgpr 82
		.amdhsa_next_free_sgpr 50
		.amdhsa_accum_offset 84
		.amdhsa_reserve_vcc 1
		.amdhsa_float_round_mode_32 0
		.amdhsa_float_round_mode_16_64 0
		.amdhsa_float_denorm_mode_32 3
		.amdhsa_float_denorm_mode_16_64 3
		.amdhsa_dx10_clamp 1
		.amdhsa_ieee_mode 1
		.amdhsa_fp16_overflow 0
		.amdhsa_tg_split 0
		.amdhsa_exception_fp_ieee_invalid_op 0
		.amdhsa_exception_fp_denorm_src 0
		.amdhsa_exception_fp_ieee_div_zero 0
		.amdhsa_exception_fp_ieee_overflow 0
		.amdhsa_exception_fp_ieee_underflow 0
		.amdhsa_exception_fp_ieee_inexact 0
		.amdhsa_exception_int_div_zero 0
	.end_amdhsa_kernel
	.section	.text._Z39paged_attention_ll4mi_QKV_mfma16_kernelI14__hip_bfloat16hLN4vllm18Fp8KVCacheDataTypeE1ES0_Li32ELi128ELi256ELb0ELi3EEvPKT_PKT0_S8_ifPKiSA_SA_iPKfiiiPfSD_PS3_PT2_iSC_SC_,"axG",@progbits,_Z39paged_attention_ll4mi_QKV_mfma16_kernelI14__hip_bfloat16hLN4vllm18Fp8KVCacheDataTypeE1ES0_Li32ELi128ELi256ELb0ELi3EEvPKT_PKT0_S8_ifPKiSA_SA_iPKfiiiPfSD_PS3_PT2_iSC_SC_,comdat
.Lfunc_end1406:
	.size	_Z39paged_attention_ll4mi_QKV_mfma16_kernelI14__hip_bfloat16hLN4vllm18Fp8KVCacheDataTypeE1ES0_Li32ELi128ELi256ELb0ELi3EEvPKT_PKT0_S8_ifPKiSA_SA_iPKfiiiPfSD_PS3_PT2_iSC_SC_, .Lfunc_end1406-_Z39paged_attention_ll4mi_QKV_mfma16_kernelI14__hip_bfloat16hLN4vllm18Fp8KVCacheDataTypeE1ES0_Li32ELi128ELi256ELb0ELi3EEvPKT_PKT0_S8_ifPKiSA_SA_iPKfiiiPfSD_PS3_PT2_iSC_SC_
                                        ; -- End function
	.section	.AMDGPU.csdata,"",@progbits
; Kernel info:
; codeLenInByte = 6340
; NumSgprs: 56
; NumVgprs: 82
; NumAgprs: 0
; TotalNumVgprs: 82
; ScratchSize: 0
; MemoryBound: 0
; FloatMode: 240
; IeeeMode: 1
; LDSByteSize: 8192 bytes/workgroup (compile time only)
; SGPRBlocks: 6
; VGPRBlocks: 10
; NumSGPRsForWavesPerEU: 56
; NumVGPRsForWavesPerEU: 82
; AccumOffset: 84
; Occupancy: 5
; WaveLimiterHint : 1
; COMPUTE_PGM_RSRC2:SCRATCH_EN: 0
; COMPUTE_PGM_RSRC2:USER_SGPR: 2
; COMPUTE_PGM_RSRC2:TRAP_HANDLER: 0
; COMPUTE_PGM_RSRC2:TGID_X_EN: 1
; COMPUTE_PGM_RSRC2:TGID_Y_EN: 1
; COMPUTE_PGM_RSRC2:TGID_Z_EN: 1
; COMPUTE_PGM_RSRC2:TIDIG_COMP_CNT: 0
; COMPUTE_PGM_RSRC3_GFX90A:ACCUM_OFFSET: 20
; COMPUTE_PGM_RSRC3_GFX90A:TG_SPLIT: 0
	.section	.text._Z39paged_attention_ll4mi_QKV_mfma16_kernelI14__hip_bfloat16hLN4vllm18Fp8KVCacheDataTypeE1ES0_Li32ELi128ELi256ELb0ELi4EEvPKT_PKT0_S8_ifPKiSA_SA_iPKfiiiPfSD_PS3_PT2_iSC_SC_,"axG",@progbits,_Z39paged_attention_ll4mi_QKV_mfma16_kernelI14__hip_bfloat16hLN4vllm18Fp8KVCacheDataTypeE1ES0_Li32ELi128ELi256ELb0ELi4EEvPKT_PKT0_S8_ifPKiSA_SA_iPKfiiiPfSD_PS3_PT2_iSC_SC_,comdat
	.protected	_Z39paged_attention_ll4mi_QKV_mfma16_kernelI14__hip_bfloat16hLN4vllm18Fp8KVCacheDataTypeE1ES0_Li32ELi128ELi256ELb0ELi4EEvPKT_PKT0_S8_ifPKiSA_SA_iPKfiiiPfSD_PS3_PT2_iSC_SC_ ; -- Begin function _Z39paged_attention_ll4mi_QKV_mfma16_kernelI14__hip_bfloat16hLN4vllm18Fp8KVCacheDataTypeE1ES0_Li32ELi128ELi256ELb0ELi4EEvPKT_PKT0_S8_ifPKiSA_SA_iPKfiiiPfSD_PS3_PT2_iSC_SC_
	.globl	_Z39paged_attention_ll4mi_QKV_mfma16_kernelI14__hip_bfloat16hLN4vllm18Fp8KVCacheDataTypeE1ES0_Li32ELi128ELi256ELb0ELi4EEvPKT_PKT0_S8_ifPKiSA_SA_iPKfiiiPfSD_PS3_PT2_iSC_SC_
	.p2align	8
	.type	_Z39paged_attention_ll4mi_QKV_mfma16_kernelI14__hip_bfloat16hLN4vllm18Fp8KVCacheDataTypeE1ES0_Li32ELi128ELi256ELb0ELi4EEvPKT_PKT0_S8_ifPKiSA_SA_iPKfiiiPfSD_PS3_PT2_iSC_SC_,@function
_Z39paged_attention_ll4mi_QKV_mfma16_kernelI14__hip_bfloat16hLN4vllm18Fp8KVCacheDataTypeE1ES0_Li32ELi128ELi256ELb0ELi4EEvPKT_PKT0_S8_ifPKiSA_SA_iPKfiiiPfSD_PS3_PT2_iSC_SC_: ; @_Z39paged_attention_ll4mi_QKV_mfma16_kernelI14__hip_bfloat16hLN4vllm18Fp8KVCacheDataTypeE1ES0_Li32ELi128ELi256ELb0ELi4EEvPKT_PKT0_S8_ifPKiSA_SA_iPKfiiiPfSD_PS3_PT2_iSC_SC_
; %bb.0:
	s_load_dwordx2 s[12:13], s[0:1], 0x30
	s_mov_b32 s24, s3
	s_mov_b64 s[6:7], 0
	s_waitcnt lgkmcnt(0)
	s_cmp_lg_u64 s[12:13], 0
	s_cselect_b64 s[14:15], -1, 0
	s_and_b64 vcc, exec, s[14:15]
	s_cbranch_vccz .LBB1407_7
; %bb.1:
	s_add_i32 s8, s2, 1
	s_mov_b32 s9, 0
	s_lshl_b64 s[10:11], s[8:9], 2
	s_add_u32 s10, s12, s10
	s_mov_b32 s3, s9
	s_addc_u32 s11, s13, s11
	s_lshl_b64 s[8:9], s[2:3], 2
	s_add_u32 s8, s12, s8
	s_addc_u32 s9, s13, s9
	s_load_dword s5, s[10:11], 0x0
	s_load_dword s16, s[8:9], 0x0
	s_waitcnt lgkmcnt(0)
	s_sub_i32 s5, s5, s16
	s_cmp_eq_u32 s5, 1
	s_cselect_b64 s[8:9], -1, 0
	s_andn2_b64 vcc, exec, s[6:7]
	s_cbranch_vccnz .LBB1407_3
.LBB1407_2:
	s_mov_b32 s3, 0
	s_mov_b64 s[8:9], -1
.LBB1407_3:
	s_andn2_b64 vcc, exec, s[8:9]
	s_cbranch_vccnz .LBB1407_17
; %bb.4:
	s_load_dwordx2 s[6:7], s[0:1], 0x28
	s_lshl_b64 s[16:17], s[2:3], 2
	s_waitcnt lgkmcnt(0)
	s_add_u32 s6, s6, s16
	s_addc_u32 s7, s7, s17
	s_load_dword s48, s[6:7], 0x0
	s_lshl_b32 s18, s24, 8
	s_waitcnt lgkmcnt(0)
	s_cmp_ge_i32 s18, s48
	s_cbranch_scc1 .LBB1407_17
; %bb.5:
	s_load_dwordx2 s[6:7], s[0:1], 0x20
	s_load_dword s8, s[0:1], 0x38
	s_add_i32 s5, s48, 31
	s_ashr_i32 s9, s5, 31
	v_and_b32_e32 v1, 0xcf, v0
	s_lshr_b32 s9, s9, 27
	v_add_u32_e32 v1, s18, v1
	s_add_i32 s5, s5, s9
	v_ashrrev_i32_e32 v2, 31, v1
	s_ashr_i32 s5, s5, 5
	v_lshrrev_b32_e32 v10, 27, v2
	s_add_i32 s5, s5, -1
	s_waitcnt lgkmcnt(0)
	s_mul_i32 s8, s2, s8
	s_mov_b32 s9, 0
	v_add_u32_e32 v2, v1, v10
	s_lshl_b64 s[8:9], s[8:9], 2
	v_ashrrev_i32_e32 v2, 5, v2
	v_mov_b32_e32 v11, s5
	v_cmp_gt_i32_e32 vcc, s48, v1
	s_add_u32 s6, s6, s8
	s_addc_u32 s7, s7, s9
	v_cndmask_b32_e32 v2, v11, v2, vcc
	v_ashrrev_i32_e32 v3, 31, v2
	v_lshl_add_u64 v[4:5], v[2:3], 2, s[6:7]
	v_or_b32_e32 v2, 16, v1
	v_add_u32_e32 v3, v2, v10
	v_ashrrev_i32_e32 v3, 5, v3
	v_cmp_gt_i32_e32 vcc, s48, v2
	s_load_dwordx4 s[8:11], s[0:1], 0x8
	s_nop 0
	v_cndmask_b32_e32 v2, v11, v3, vcc
	v_ashrrev_i32_e32 v3, 31, v2
	v_lshl_add_u64 v[6:7], v[2:3], 2, s[6:7]
	v_or_b32_e32 v2, 32, v1
	v_add_u32_e32 v3, v2, v10
	v_ashrrev_i32_e32 v3, 5, v3
	v_cmp_gt_i32_e32 vcc, s48, v2
	v_or_b32_e32 v1, 48, v1
	s_nop 0
	v_cndmask_b32_e32 v2, v11, v3, vcc
	v_ashrrev_i32_e32 v3, 31, v2
	v_lshl_add_u64 v[8:9], v[2:3], 2, s[6:7]
	v_add_u32_e32 v2, v1, v10
	v_ashrrev_i32_e32 v2, 5, v2
	v_cmp_gt_i32_e32 vcc, s48, v1
	s_nop 1
	v_cndmask_b32_e32 v2, v11, v2, vcc
	v_ashrrev_i32_e32 v3, 31, v2
	v_lshl_add_u64 v[10:11], v[2:3], 2, s[6:7]
	global_load_dword v2, v[4:5], off
	global_load_dword v32, v[6:7], off
	;; [unrolled: 1-line block ×4, first 2 shown]
	s_andn2_b64 vcc, exec, s[14:15]
	s_cbranch_vccnz .LBB1407_8
; %bb.6:
	s_add_u32 s12, s12, s16
	s_addc_u32 s13, s13, s17
	s_load_dword s14, s[12:13], 0x0
	s_branch .LBB1407_9
.LBB1407_7:
	s_mov_b64 s[8:9], 0
	s_branch .LBB1407_2
.LBB1407_8:
	s_mov_b32 s14, s2
.LBB1407_9:
	s_load_dwordx4 s[44:47], s[0:1], 0x48
	v_and_b32_e32 v60, 15, v0
	v_bfe_u32 v63, v0, 4, 2
	s_lshl_b32 s25, s4, 2
	v_lshlrev_b32_e32 v3, 3, v60
	v_lshrrev_b32_e32 v64, 6, v0
	v_and_b32_e32 v65, 63, v0
	v_or_b32_e32 v1, s25, v63
	v_cmp_gt_u32_e64 s[26:27], 64, v0
	v_lshlrev_b32_e32 v54, 1, v3
	v_lshlrev_b32_e32 v61, 5, v63
	;; [unrolled: 1-line block ×3, first 2 shown]
	s_and_saveexec_b64 s[12:13], s[26:27]
	s_cbranch_execz .LBB1407_11
; %bb.10:
	s_load_dwordx2 s[16:17], s[0:1], 0x0
	s_waitcnt lgkmcnt(0)
	s_ashr_i32 s15, s44, 31
	s_mul_hi_u32 s19, s14, s44
	s_mul_i32 s15, s14, s15
	s_add_i32 s15, s19, s15
	s_mul_i32 s14, s14, s44
	s_lshl_b64 s[14:15], s[14:15], 1
	s_add_u32 s14, s16, s14
	v_lshlrev_b32_e32 v4, 7, v1
	s_addc_u32 s15, s17, s15
	v_ashrrev_i32_e32 v5, 31, v4
	v_lshl_add_u64 v[4:5], v[4:5], 1, s[14:15]
	v_mov_b32_e32 v55, 0
	v_lshl_add_u64 v[4:5], v[4:5], 0, v[54:55]
	global_load_dwordx4 v[4:7], v[4:5], off
	v_lshlrev_b32_e32 v8, 8, v0
	v_lshlrev_b32_e32 v3, 8, v60
	v_and_b32_e32 v8, 0x600, v8
	s_movk_i32 s14, 0x800
	v_and_or_b32 v3, v3, s14, v8
	v_lshl_or_b32 v8, v64, 7, v61
	v_and_b32_e32 v9, 16, v62
	v_or3_b32 v3, v3, v8, v9
	s_waitcnt vmcnt(0)
	ds_write_b128 v3, v[4:7]
.LBB1407_11:
	s_or_b64 exec, exec, s[12:13]
	s_waitcnt lgkmcnt(0)
	s_mul_i32 s4, s4, s46
	s_add_u32 s8, s8, s4
	s_addc_u32 s9, s9, 0
	v_mov_b32_e32 v57, 0
	v_mov_b64_e32 v[24:25], s[8:9]
	v_and_b32_e32 v6, 48, v0
	s_waitcnt vmcnt(3)
	v_mad_i64_i32 v[2:3], s[8:9], v2, s45, v[24:25]
	v_lshlrev_b32_e32 v22, 4, v60
	v_mov_b32_e32 v23, v57
	v_lshlrev_b32_e32 v56, 5, v6
	v_lshl_add_u64 v[2:3], v[2:3], 0, v[22:23]
	v_lshl_add_u64 v[2:3], v[2:3], 0, v[56:57]
	s_load_dword s33, s[0:1], 0x98
	s_load_dwordx4 s[40:43], s[0:1], 0x80
	s_waitcnt lgkmcnt(0)
	s_barrier
	global_load_dwordx4 v[10:13], v[2:3], off
	v_and_b32_e32 v7, 3, v0
	global_load_dwordx4 v[2:5], v[2:3], off offset:2048
	v_or_b32_e32 v34, 0x100, v22
	v_mov_b32_e32 v35, v57
	s_waitcnt vmcnt(4)
	v_mad_i64_i32 v[32:33], s[12:13], v32, s45, v[24:25]
	v_lshlrev_b32_e32 v7, 5, v7
	s_waitcnt vmcnt(3)
	v_mad_i64_i32 v[36:37], s[12:13], v30, s45, v[24:25]
	s_waitcnt vmcnt(2)
	v_mad_i64_i32 v[24:25], s[12:13], v31, s45, v[24:25]
	v_lshl_add_u64 v[30:31], v[32:33], 0, v[34:35]
	v_or_b32_e32 v39, s18, v6
	v_lshl_or_b32 v6, v63, 9, v7
	v_lshl_add_u64 v[30:31], v[30:31], 0, v[56:57]
	ds_read_b128 v[26:29], v6
	ds_read_b128 v[18:21], v6 offset:16
	ds_read_b128 v[14:17], v6 offset:2048
	;; [unrolled: 1-line block ×3, first 2 shown]
	global_load_dwordx4 v[50:53], v[30:31], off
	v_mov_b32_e32 v38, s5
	s_ashr_i32 s5, s18, 31
	s_lshr_b32 s5, s5, 27
	v_or_b32_e32 v40, 64, v39
	v_add_u32_e32 v32, s5, v39
	v_or_b32_e32 v41, 0x80, v39
	v_add_u32_e32 v33, s5, v40
	v_ashrrev_i32_e32 v32, 5, v32
	v_cmp_gt_i32_e32 vcc, s48, v39
	v_or_b32_e32 v42, 0xc0, v39
	v_add_u32_e32 v43, s5, v41
	v_ashrrev_i32_e32 v33, 5, v33
	v_cndmask_b32_e32 v46, v38, v32, vcc
	v_cmp_gt_i32_e32 vcc, s48, v40
	v_add_u32_e32 v44, s5, v42
	v_lshl_add_u64 v[22:23], v[36:37], 0, v[22:23]
	v_lshl_add_u64 v[24:25], v[24:25], 0, v[34:35]
	v_ashrrev_i32_e32 v43, 5, v43
	v_cndmask_b32_e32 v48, v38, v33, vcc
	v_cmp_gt_i32_e32 vcc, s48, v41
	v_ashrrev_i32_e32 v44, 5, v44
	v_lshl_add_u64 v[34:35], v[22:23], 0, v[56:57]
	v_lshl_add_u64 v[36:37], v[24:25], 0, v[56:57]
	v_cndmask_b32_e32 v58, v38, v43, vcc
	v_cmp_gt_i32_e32 vcc, s48, v42
	v_ashrrev_i32_e32 v47, 31, v46
	v_ashrrev_i32_e32 v49, 31, v48
	v_cndmask_b32_e32 v66, v38, v44, vcc
	global_load_dwordx4 v[30:33], v[30:31], off offset:2048
	s_nop 0
	global_load_dwordx4 v[22:25], v[34:35], off
	global_load_dwordx4 v[42:45], v[34:35], off offset:2048
	global_load_dwordx4 v[38:41], v[36:37], off
	s_nop 0
	global_load_dwordx4 v[34:37], v[36:37], off offset:2048
	v_ashrrev_i32_e32 v59, 31, v58
	v_ashrrev_i32_e32 v67, 31, v66
	v_lshl_add_u64 v[46:47], v[46:47], 2, s[6:7]
	v_lshl_add_u64 v[48:49], v[48:49], 2, s[6:7]
	;; [unrolled: 1-line block ×4, first 2 shown]
	global_load_dword v69, v[46:47], off
	global_load_dword v68, v[48:49], off
	;; [unrolled: 1-line block ×4, first 2 shown]
	s_mov_b32 s44, 0x7060302
	s_add_u32 s4, s10, s4
	s_addc_u32 s5, s11, 0
	v_and_b32_e32 v56, 16, v0
	v_lshl_or_b32 v55, v64, 4, v60
	s_load_dword s8, s[0:1], 0x1c
	s_mov_b32 s46, 0xff7fffff
	s_waitcnt vmcnt(11)
	v_cvt_pk_f32_fp8_e32 v[46:47], v10
	v_cvt_pk_f32_fp8_sdwa v[48:49], v10 src0_sel:WORD_1
	v_cvt_pk_f32_fp8_e32 v[58:59], v11
	v_cvt_pk_f32_fp8_sdwa v[10:11], v11 src0_sel:WORD_1
	v_perm_b32 v46, v47, v46, s44
	v_perm_b32 v47, v49, v48, s44
	v_cvt_pk_f32_fp8_e32 v[70:71], v12
	v_cvt_pk_f32_fp8_sdwa v[72:73], v12 src0_sel:WORD_1
	v_perm_b32 v58, v59, v58, s44
	v_perm_b32 v59, v11, v10, s44
	s_waitcnt lgkmcnt(0)
	v_mfma_f32_16x16x16_bf16 v[46:49], v[46:47], v[26:27], 0
	v_cvt_pk_f32_fp8_e32 v[74:75], v13
	v_cvt_pk_f32_fp8_sdwa v[76:77], v13 src0_sel:WORD_1
	v_perm_b32 v70, v71, v70, s44
	v_perm_b32 v71, v73, v72, s44
	v_mfma_f32_16x16x16_bf16 v[10:13], v[58:59], v[28:29], v[46:49]
	s_waitcnt vmcnt(10)
	v_cvt_pk_f32_fp8_sdwa v[58:59], v2 src0_sel:WORD_1
	s_waitcnt vmcnt(6)
	v_cvt_pk_f32_fp8_sdwa v[80:81], v44 src0_sel:WORD_1
	v_cvt_pk_f32_fp8_e32 v[46:47], v2
	v_perm_b32 v48, v75, v74, s44
	v_perm_b32 v49, v77, v76, s44
	v_mfma_f32_16x16x16_bf16 v[10:13], v[70:71], v[18:19], v[10:13]
	v_cvt_pk_f32_fp8_e32 v[70:71], v3
	v_perm_b32 v46, v47, v46, s44
	v_perm_b32 v47, v59, v58, s44
	v_cvt_pk_f32_fp8_sdwa v[2:3], v3 src0_sel:WORD_1
	v_mfma_f32_16x16x16_bf16 v[10:13], v[48:49], v[20:21], v[10:13]
	v_perm_b32 v48, v71, v70, s44
	v_cvt_pk_f32_fp8_e32 v[58:59], v4
	v_cvt_pk_f32_fp8_sdwa v[70:71], v4 src0_sel:WORD_1
	v_perm_b32 v49, v3, v2, s44
	v_mfma_f32_16x16x16_bf16 v[10:13], v[46:47], v[14:15], v[10:13]
	v_perm_b32 v46, v59, v58, s44
	v_perm_b32 v47, v71, v70, s44
	v_cvt_pk_f32_fp8_e32 v[58:59], v5
	v_cvt_pk_f32_fp8_sdwa v[70:71], v5 src0_sel:WORD_1
	v_mfma_f32_16x16x16_bf16 v[2:5], v[48:49], v[16:17], v[10:13]
	v_cvt_pk_f32_fp8_e32 v[74:75], v25
	v_cvt_pk_f32_fp8_sdwa v[76:77], v25 src0_sel:WORD_1
	s_nop 0
	v_perm_b32 v10, v59, v58, s44
	v_perm_b32 v11, v71, v70, s44
	v_mfma_f32_16x16x16_bf16 v[2:5], v[46:47], v[6:7], v[2:5]
	v_cvt_pk_f32_fp8_e32 v[12:13], v50
	v_cvt_pk_f32_fp8_sdwa v[58:59], v50 src0_sel:WORD_1
	v_mfma_f32_16x16x16_bf16 v[46:49], v[10:11], v[8:9], v[2:5]
	v_cvt_pk_f32_fp8_sdwa v[10:11], v51 src0_sel:WORD_1
	s_nop 2
	v_cvt_pk_f32_fp8_e32 v[2:3], v51
	v_perm_b32 v4, v13, v12, s44
	v_perm_b32 v5, v59, v58, s44
	v_cvt_pk_f32_fp8_e32 v[50:51], v52
	v_perm_b32 v12, v3, v2, s44
	v_cvt_pk_f32_fp8_sdwa v[58:59], v52 src0_sel:WORD_1
	v_perm_b32 v13, v11, v10, s44
	v_mfma_f32_16x16x16_bf16 v[2:5], v[4:5], v[26:27], 0
	v_perm_b32 v10, v51, v50, s44
	v_perm_b32 v11, v59, v58, s44
	v_cvt_pk_f32_fp8_e32 v[50:51], v53
	v_cvt_pk_f32_fp8_sdwa v[52:53], v53 src0_sel:WORD_1
	v_mfma_f32_16x16x16_bf16 v[2:5], v[12:13], v[28:29], v[2:5]
	v_lshl_add_u64 v[58:59], s[4:5], 0, v[56:57]
	v_perm_b32 v12, v51, v50, s44
	v_perm_b32 v13, v53, v52, s44
	v_mfma_f32_16x16x16_bf16 v[2:5], v[10:11], v[18:19], v[2:5]
	v_cvt_pk_f32_fp8_e32 v[10:11], v30
	v_cvt_pk_f32_fp8_sdwa v[50:51], v30 src0_sel:WORD_1
	v_cvt_pk_f32_fp8_sdwa v[52:53], v32 src0_sel:WORD_1
	v_mfma_f32_16x16x16_bf16 v[2:5], v[12:13], v[20:21], v[2:5]
	v_cvt_pk_f32_fp8_e32 v[12:13], v31
	v_perm_b32 v10, v11, v10, s44
	v_perm_b32 v11, v51, v50, s44
	v_cvt_pk_f32_fp8_sdwa v[30:31], v31 src0_sel:WORD_1
	v_perm_b32 v12, v13, v12, s44
	v_cvt_pk_f32_fp8_e32 v[50:51], v32
	v_mfma_f32_16x16x16_bf16 v[2:5], v[10:11], v[14:15], v[2:5]
	v_perm_b32 v13, v31, v30, s44
	v_perm_b32 v10, v51, v50, s44
	;; [unrolled: 1-line block ×3, first 2 shown]
	v_cvt_pk_f32_fp8_e32 v[30:31], v33
	v_cvt_pk_f32_fp8_sdwa v[32:33], v33 src0_sel:WORD_1
	v_mfma_f32_16x16x16_bf16 v[2:5], v[12:13], v[16:17], v[2:5]
	v_lshlrev_b32_e32 v56, 5, v55
	v_perm_b32 v12, v31, v30, s44
	v_perm_b32 v13, v33, v32, s44
	v_mfma_f32_16x16x16_bf16 v[2:5], v[10:11], v[6:7], v[2:5]
	v_cvt_pk_f32_fp8_e32 v[10:11], v22
	v_cvt_pk_f32_fp8_sdwa v[30:31], v22 src0_sel:WORD_1
	v_lshl_add_u64 v[70:71], v[58:59], 0, v[56:57]
	v_mfma_f32_16x16x16_bf16 v[50:53], v[12:13], v[8:9], v[2:5]
	s_waitcnt vmcnt(3)
	v_mad_i64_i32 v[12:13], s[4:5], v69, s45, v[70:71]
	s_waitcnt vmcnt(2)
	v_mad_i64_i32 v[72:73], s[4:5], v68, s45, v[70:71]
	v_perm_b32 v2, v11, v10, s44
	v_perm_b32 v3, v31, v30, s44
	v_cvt_pk_f32_fp8_e32 v[4:5], v23
	v_cvt_pk_f32_fp8_sdwa v[10:11], v23 src0_sel:WORD_1
	v_cvt_pk_f32_fp8_sdwa v[30:31], v24 src0_sel:WORD_1
	v_or_b32_e32 v56, 0x800, v56
	v_perm_b32 v22, v5, v4, s44
	v_perm_b32 v23, v11, v10, s44
	v_cvt_pk_f32_fp8_e32 v[10:11], v24
	v_mfma_f32_16x16x16_bf16 v[2:5], v[2:3], v[26:27], 0
	v_perm_b32 v10, v11, v10, s44
	v_perm_b32 v11, v31, v30, s44
	v_mfma_f32_16x16x16_bf16 v[2:5], v[22:23], v[28:29], v[2:5]
	global_load_dwordx4 v[30:33], v[12:13], off
	global_load_dwordx4 v[22:25], v[72:73], off
	v_perm_b32 v12, v75, v74, s44
	v_perm_b32 v13, v77, v76, s44
	v_mfma_f32_16x16x16_bf16 v[2:5], v[10:11], v[18:19], v[2:5]
	v_cvt_pk_f32_fp8_e32 v[10:11], v42
	v_cvt_pk_f32_fp8_sdwa v[72:73], v42 src0_sel:WORD_1
	s_waitcnt vmcnt(3)
	v_mad_i64_i32 v[74:75], s[4:5], v66, s45, v[70:71]
	v_mfma_f32_16x16x16_bf16 v[2:5], v[12:13], v[20:21], v[2:5]
	v_perm_b32 v10, v11, v10, s44
	v_perm_b32 v11, v73, v72, s44
	v_cvt_pk_f32_fp8_e32 v[12:13], v43
	v_cvt_pk_f32_fp8_sdwa v[42:43], v43 src0_sel:WORD_1
	s_waitcnt vmcnt(2)
	v_mad_i64_i32 v[76:77], s[4:5], v67, s45, v[70:71]
	v_perm_b32 v78, v13, v12, s44
	v_perm_b32 v79, v43, v42, s44
	v_cvt_pk_f32_fp8_e32 v[42:43], v44
	v_mfma_f32_16x16x16_bf16 v[70:73], v[10:11], v[14:15], v[2:5]
	global_load_dwordx4 v[10:13], v[74:75], off
	s_nop 1
	global_load_dwordx4 v[2:5], v[76:77], off
	v_perm_b32 v75, v81, v80, s44
	v_perm_b32 v74, v43, v42, s44
	v_cvt_pk_f32_fp8_e32 v[76:77], v45
	v_cvt_pk_f32_fp8_sdwa v[44:45], v45 src0_sel:WORD_1
	v_mfma_f32_16x16x16_bf16 v[70:73], v[78:79], v[16:17], v[70:73]
	v_lshl_add_u64 v[42:43], v[58:59], 0, v[56:57]
	v_perm_b32 v76, v77, v76, s44
	v_perm_b32 v77, v45, v44, s44
	v_mfma_f32_16x16x16_bf16 v[56:59], v[74:75], v[6:7], v[70:73]
	v_cvt_pk_f32_fp8_e32 v[44:45], v38
	v_cvt_pk_f32_fp8_sdwa v[74:75], v38 src0_sel:WORD_1
	v_cvt_pk_f32_fp8_sdwa v[78:79], v40 src0_sel:WORD_1
	v_mfma_f32_16x16x16_bf16 v[70:73], v[76:77], v[8:9], v[56:59]
	v_perm_b32 v44, v45, v44, s44
	v_perm_b32 v45, v75, v74, s44
	v_cvt_pk_f32_fp8_e32 v[76:77], v40
	v_cvt_pk_f32_fp8_e32 v[56:57], v39
	v_cvt_pk_f32_fp8_sdwa v[38:39], v39 src0_sel:WORD_1
	s_load_dword s4, s[40:41], 0x0
	v_perm_b32 v74, v57, v56, s44
	v_perm_b32 v75, v39, v38, s44
	v_mfma_f32_16x16x16_bf16 v[56:59], v[44:45], v[26:27], 0
	v_perm_b32 v38, v77, v76, s44
	v_perm_b32 v39, v79, v78, s44
	v_cvt_pk_f32_fp8_e32 v[44:45], v41
	v_cvt_pk_f32_fp8_sdwa v[40:41], v41 src0_sel:WORD_1
	v_mfma_f32_16x16x16_bf16 v[26:29], v[74:75], v[28:29], v[56:59]
	v_perm_b32 v44, v45, v44, s44
	v_perm_b32 v45, v41, v40, s44
	v_mfma_f32_16x16x16_bf16 v[26:29], v[38:39], v[18:19], v[26:29]
	v_cvt_pk_f32_fp8_e32 v[40:41], v35
	v_mov_b32_e32 v56, s8
	s_waitcnt lgkmcnt(0)
	v_mul_f32_e32 v58, s4, v56
	v_mfma_f32_16x16x16_bf16 v[18:21], v[44:45], v[20:21], v[26:29]
	v_mad_i64_i32 v[74:75], s[4:5], v69, s45, v[42:43]
	v_pk_mul_f32 v[56:57], v[58:59], v[46:47] op_sel_hi:[0,1]
	s_nop 0
	v_cvt_pk_f32_fp8_e32 v[26:27], v34
	v_cvt_pk_f32_fp8_sdwa v[28:29], v34 src0_sel:WORD_1
	v_cvt_pk_f32_fp8_sdwa v[34:35], v35 src0_sel:WORD_1
	v_pk_mul_f32 v[38:39], v[58:59], v[48:49] op_sel_hi:[0,1]
	v_perm_b32 v26, v27, v26, s44
	v_perm_b32 v27, v29, v28, s44
	;; [unrolled: 1-line block ×4, first 2 shown]
	v_cvt_pk_f32_fp8_e32 v[34:35], v36
	v_cvt_pk_f32_fp8_sdwa v[40:41], v36 src0_sel:WORD_1
	v_mfma_f32_16x16x16_bf16 v[18:21], v[26:27], v[14:15], v[18:21]
	v_pk_mul_f32 v[50:51], v[58:59], v[50:51] op_sel_hi:[0,1]
	v_perm_b32 v26, v35, v34, s44
	v_perm_b32 v27, v41, v40, s44
	v_cvt_pk_f32_fp8_e32 v[34:35], v37
	v_cvt_pk_f32_fp8_sdwa v[36:37], v37 src0_sel:WORD_1
	v_mfma_f32_16x16x16_bf16 v[14:17], v[28:29], v[16:17], v[18:21]
	v_pk_mul_f32 v[48:49], v[58:59], v[52:53] op_sel_hi:[0,1]
	v_pk_mul_f32 v[40:41], v[58:59], v[70:71] op_sel_hi:[0,1]
	;; [unrolled: 1-line block ×3, first 2 shown]
	v_perm_b32 v18, v35, v34, s44
	v_perm_b32 v19, v37, v36, s44
	v_mfma_f32_16x16x16_bf16 v[14:17], v[26:27], v[6:7], v[14:17]
	s_nop 0
	v_mfma_f32_16x16x16_bf16 v[6:9], v[18:19], v[8:9], v[14:17]
	s_nop 6
	v_pk_mul_f32 v[44:45], v[58:59], v[6:7] op_sel_hi:[0,1]
	v_and_b32_e32 v6, 0xc0, v0
	v_add_u32_e32 v6, s18, v6
	v_lshl_or_b32 v6, v63, 2, v6
	v_pk_mul_f32 v[34:35], v[58:59], v[8:9] op_sel_hi:[0,1]
	v_or_b32_e32 v9, 1, v6
	v_mov_b32_e32 v7, 0xff7fffff
	v_cmp_gt_i32_e64 s[4:5], s48, v6
	v_cmp_gt_i32_e64 s[28:29], s48, v9
	v_or_b32_e32 v14, 3, v6
	v_cndmask_b32_e64 v8, v7, v56, s[4:5]
	v_cndmask_b32_e64 v9, v7, v57, s[28:29]
	v_max3_f32 v8, v8, s46, v9
	v_or_b32_e32 v9, 2, v6
	v_cmp_gt_i32_e64 s[30:31], s48, v9
	v_cmp_gt_i32_e64 s[34:35], s48, v14
	s_nop 0
	v_cndmask_b32_e64 v9, v7, v38, s[30:31]
	v_cndmask_b32_e64 v14, v7, v39, s[34:35]
	v_max3_f32 v8, v8, v9, v14
	v_or_b32_e32 v9, 16, v6
	v_or_b32_e32 v14, 17, v6
	v_cmp_gt_i32_e64 s[36:37], s48, v9
	v_cmp_gt_i32_e64 s[38:39], s48, v14
	s_nop 0
	v_cndmask_b32_e64 v9, v7, v50, s[36:37]
	v_cndmask_b32_e64 v14, v7, v51, s[38:39]
	v_max3_f32 v8, v8, v9, v14
	v_or_b32_e32 v9, 18, v6
	;; [unrolled: 8-line block ×6, first 2 shown]
	v_or_b32_e32 v6, 51, v6
	v_cmp_gt_i32_e32 vcc, s48, v9
	v_cmp_gt_i32_e64 s[6:7], s48, v6
	s_nop 0
	v_cndmask_b32_e32 v9, v7, v34, vcc
	v_cndmask_b32_e64 v6, v7, v35, s[6:7]
	v_max3_f32 v8, v8, v9, v6
	v_mbcnt_lo_u32_b32 v6, -1, 0
	v_mbcnt_hi_u32_b32 v9, -1, v6
	v_and_b32_e32 v6, 64, v9
	v_add_u32_e32 v14, 64, v6
	v_xor_b32_e32 v6, 32, v9
	v_cmp_lt_i32_e64 s[40:41], v6, v14
	s_nop 1
	v_cndmask_b32_e64 v6, v9, v6, s[40:41]
	v_lshlrev_b32_e32 v53, 2, v6
	ds_bpermute_b32 v15, v53, v8
	v_mad_i64_i32 v[6:7], s[40:41], v68, s45, v[42:43]
	global_load_dwordx4 v[26:29], v[74:75], off
	global_load_dwordx4 v[18:21], v[6:7], off
	s_waitcnt lgkmcnt(0)
	v_max_f32_e32 v6, v15, v15
	v_max_f32_e32 v15, v8, v6
	v_xor_b32_e32 v6, 16, v9
	v_cmp_lt_i32_e64 s[40:41], v6, v14
	s_nop 1
	v_cndmask_b32_e64 v6, v9, v6, s[40:41]
	v_lshlrev_b32_e32 v58, 2, v6
	ds_bpermute_b32 v14, v58, v15
	v_mad_i64_i32 v[6:7], s[40:41], v66, s45, v[42:43]
	v_mad_i64_i32 v[8:9], s[40:41], v67, s45, v[42:43]
	s_waitcnt lgkmcnt(0)
	v_max_f32_e32 v14, v14, v14
	v_max_f32_e32 v52, v15, v14
	v_sub_f32_e32 v14, v56, v52
	v_mul_f32_e32 v14, 0x3fb8aa3b, v14
	v_exp_f32_e32 v36, v14
	v_sub_f32_e32 v14, v57, v52
	v_mul_f32_e32 v14, 0x3fb8aa3b, v14
	v_exp_f32_e32 v37, v14
	global_load_dwordx4 v[14:17], v[6:7], off
	s_nop 0
	global_load_dwordx4 v[6:9], v[8:9], off
	v_sub_f32_e32 v38, v38, v52
	v_mul_f32_e32 v38, 0x3fb8aa3b, v38
	v_sub_f32_e32 v39, v39, v52
	v_exp_f32_e32 v38, v38
	v_mul_f32_e32 v39, 0x3fb8aa3b, v39
	v_exp_f32_e32 v39, v39
	v_cndmask_b32_e64 v36, 0, v36, s[4:5]
	v_add_f32_e32 v42, 0, v36
	v_cndmask_b32_e64 v37, 0, v37, s[28:29]
	v_add_f32_e32 v43, v42, v37
	;; [unrolled: 2-line block ×3, first 2 shown]
	v_cndmask_b32_e64 v43, 0, v39, s[34:35]
	v_sub_f32_e32 v39, v50, v52
	v_mul_f32_e32 v39, 0x3fb8aa3b, v39
	v_sub_f32_e32 v50, v51, v52
	v_exp_f32_e32 v39, v39
	v_mul_f32_e32 v50, 0x3fb8aa3b, v50
	v_sub_f32_e32 v48, v48, v52
	v_exp_f32_e32 v50, v50
	;; [unrolled: 3-line block ×4, first 2 shown]
	v_mul_f32_e32 v40, 0x3fb8aa3b, v40
	v_sub_f32_e32 v41, v41, v52
	v_add_f32_e32 v51, v38, v43
	v_cndmask_b32_e64 v38, 0, v39, s[36:37]
	v_exp_f32_e32 v40, v40
	v_mul_f32_e32 v41, 0x3fb8aa3b, v41
	v_sub_f32_e32 v46, v46, v52
	v_add_f32_e32 v51, v51, v38
	v_cndmask_b32_e64 v39, 0, v50, s[38:39]
	v_exp_f32_e32 v41, v41
	;; [unrolled: 5-line block ×7, first 2 shown]
	v_mul_f32_e32 v35, 0x3fb8aa3b, v35
	v_add_f32_e32 v50, v50, v46
	v_cndmask_b32_e64 v47, 0, v47, s[14:15]
	v_exp_f32_e32 v35, v35
	v_add_f32_e32 v50, v50, v47
	v_cndmask_b32_e64 v44, 0, v44, s[8:9]
	v_add_f32_e32 v50, v50, v44
	v_cndmask_b32_e64 v45, 0, v45, s[10:11]
	v_add_f32_e32 v50, v50, v45
	v_cndmask_b32_e32 v34, 0, v34, vcc
	v_add_f32_e32 v50, v50, v34
	v_cndmask_b32_e64 v35, 0, v35, s[6:7]
	v_add_f32_e32 v50, v50, v35
	ds_bpermute_b32 v51, v53, v50
	v_cmp_gt_u32_e32 vcc, 16, v65
	s_waitcnt lgkmcnt(0)
	s_barrier
	v_add_f32_e32 v50, v50, v51
	ds_bpermute_b32 v51, v58, v50
	s_and_saveexec_b64 s[4:5], vcc
	s_cbranch_execz .LBB1407_13
; %bb.12:
	s_waitcnt lgkmcnt(0)
	v_add_f32_e32 v50, v50, v51
	v_lshlrev_b32_e32 v51, 2, v55
	ds_write2st64_b32 v51, v52, v50 offset1:1
.LBB1407_13:
	s_or_b64 exec, exec, s[4:5]
	s_waitcnt lgkmcnt(0)
	v_lshlrev_b32_e32 v51, 2, v60
	s_load_dword s6, s[0:1], 0x94
	s_waitcnt lgkmcnt(0)
	s_barrier
	ds_read2_b32 v[52:53], v51 offset1:16
	ds_read2_b32 v[56:57], v51 offset0:32 offset1:48
	ds_read2_b32 v[58:59], v51 offset0:64 offset1:80
	s_movk_i32 s8, 0x7fff
	s_lshl_b32 s7, s33, 2
	s_waitcnt lgkmcnt(2)
	v_max3_f32 v50, v52, s46, v53
	s_waitcnt lgkmcnt(1)
	v_max3_f32 v50, v50, v56, v57
	v_sub_f32_e32 v52, v52, v50
	v_mul_f32_e32 v52, 0x3fb8aa3b, v52
	v_exp_f32_e32 v55, v52
	v_sub_f32_e32 v52, v53, v50
	v_mul_f32_e32 v52, 0x3fb8aa3b, v52
	v_exp_f32_e32 v65, v52
	;; [unrolled: 3-line block ×3, first 2 shown]
	ds_read2_b32 v[52:53], v51 offset0:96 offset1:112
	v_sub_f32_e32 v51, v57, v50
	v_mul_f32_e32 v51, 0x3fb8aa3b, v51
	v_exp_f32_e32 v57, v51
	s_waitcnt lgkmcnt(1)
	v_fma_f32 v51, v55, v58, 0
	v_fmac_f32_e32 v51, v65, v59
	s_waitcnt lgkmcnt(0)
	v_fmac_f32_e32 v51, v56, v52
	v_fmac_f32_e32 v51, v57, v53
	v_add_f32_e32 v52, 0x358637bd, v51
	v_div_scale_f32 v53, s[4:5], v52, v52, 1.0
	v_rcp_f32_e32 v58, v53
	s_barrier
	v_fma_f32 v59, -v53, v58, 1.0
	v_fmac_f32_e32 v58, v59, v58
	v_div_scale_f32 v59, vcc, 1.0, v52, 1.0
	v_mul_f32_e32 v66, v59, v58
	v_fma_f32 v67, -v53, v66, v59
	v_fmac_f32_e32 v66, v67, v58
	v_fma_f32 v53, -v53, v66, v59
	v_div_fmas_f32 v53, v53, v58, v66
	v_cmp_eq_u32_e32 vcc, 1, v64
	v_div_fixup_f32 v52, v53, v52, 1.0
	s_nop 0
	v_cndmask_b32_e32 v53, v55, v65, vcc
	v_cmp_eq_u32_e32 vcc, 2, v64
	s_nop 1
	v_cndmask_b32_e32 v53, v53, v56, vcc
	v_cmp_eq_u32_e32 vcc, 3, v64
	s_nop 1
	v_cndmask_b32_e32 v53, v53, v57, vcc
	v_mul_f32_e32 v52, v53, v52
	v_pk_mul_f32 v[36:37], v[52:53], v[36:37] op_sel_hi:[0,1]
	v_pk_mul_f32 v[42:43], v[52:53], v[42:43] op_sel_hi:[0,1]
	v_bfe_u32 v53, v37, 16, 1
	v_bfe_u32 v55, v36, 16, 1
	v_add3_u32 v36, v36, v55, s8
	v_add3_u32 v37, v37, v53, s8
	v_perm_b32 v56, v37, v36, s44
	v_bfe_u32 v36, v43, 16, 1
	v_bfe_u32 v37, v42, 16, 1
	v_add3_u32 v37, v42, v37, s8
	v_add3_u32 v36, v43, v36, s8
	v_perm_b32 v57, v36, v37, s44
	v_lshlrev_b32_e32 v37, 3, v63
	v_lshlrev_b32_e32 v36, 5, v60
	;; [unrolled: 1-line block ×3, first 2 shown]
	v_pk_mul_f32 v[38:39], v[52:53], v[38:39] op_sel_hi:[0,1]
	v_or3_b32 v55, v42, v36, v37
	v_pk_mul_f32 v[42:43], v[52:53], v[48:49] op_sel_hi:[0,1]
	v_bfe_u32 v37, v39, 16, 1
	v_bfe_u32 v48, v38, 16, 1
	v_add3_u32 v38, v38, v48, s8
	v_add3_u32 v37, v39, v37, s8
	v_perm_b32 v38, v37, v38, s44
	v_bfe_u32 v37, v43, 16, 1
	v_bfe_u32 v39, v42, 16, 1
	v_add3_u32 v39, v42, v39, s8
	v_add3_u32 v37, v43, v37, s8
	v_pk_mul_f32 v[40:41], v[52:53], v[40:41] op_sel_hi:[0,1]
	v_perm_b32 v39, v37, v39, s44
	v_bfe_u32 v37, v41, 16, 1
	v_bfe_u32 v42, v40, 16, 1
	ds_write2st64_b64 v55, v[56:57], v[38:39] offset1:1
	v_pk_mul_f32 v[38:39], v[52:53], v[46:47] op_sel_hi:[0,1]
	v_add3_u32 v40, v40, v42, s8
	v_add3_u32 v37, v41, v37, s8
	v_perm_b32 v40, v37, v40, s44
	v_bfe_u32 v37, v39, 16, 1
	v_bfe_u32 v41, v38, 16, 1
	v_add3_u32 v38, v38, v41, s8
	v_add3_u32 v37, v39, v37, s8
	v_perm_b32 v41, v37, v38, s44
	v_pk_mul_f32 v[38:39], v[52:53], v[44:45] op_sel_hi:[0,1]
	v_bfe_u32 v37, v39, 16, 1
	v_bfe_u32 v42, v38, 16, 1
	v_pk_mul_f32 v[34:35], v[52:53], v[34:35] op_sel_hi:[0,1]
	v_add3_u32 v38, v38, v42, s8
	v_add3_u32 v37, v39, v37, s8
	v_perm_b32 v38, v37, v38, s44
	v_bfe_u32 v37, v35, 16, 1
	v_bfe_u32 v39, v34, 16, 1
	v_add3_u32 v34, v34, v39, s8
	v_add3_u32 v35, v35, v37, s8
	v_perm_b32 v39, v35, v34, s44
	v_cmp_gt_u32_e32 vcc, 4, v0
	ds_write2st64_b64 v55, v[40:41], v[38:39] offset0:2 offset1:3
	s_and_saveexec_b64 s[4:5], vcc
	s_cbranch_execz .LBB1407_15
; %bb.14:
	v_or_b32_e32 v34, s25, v0
	v_mov_b32_e32 v35, 0
	v_mov_b32_e32 v37, s7
	v_mad_u64_u32 v[38:39], s[10:11], s2, v37, v[34:35]
	v_mov_b32_e32 v34, s24
	s_load_dwordx4 s[12:15], s[0:1], 0x58
	s_mul_i32 s3, s3, s7
	v_mad_u64_u32 v[34:35], s[10:11], v38, s6, v[34:35]
	v_add_u32_e32 v37, s3, v39
	v_mov_b32_e32 v38, v35
	v_mad_u64_u32 v[38:39], s[10:11], v37, s6, v[38:39]
	v_mov_b32_e32 v35, v38
	v_lshlrev_b64 v[34:35], 2, v[34:35]
	s_waitcnt lgkmcnt(0)
	v_lshl_add_u64 v[38:39], s[14:15], 0, v[34:35]
	v_lshl_add_u64 v[34:35], s[12:13], 0, v[34:35]
	global_store_dword v[38:39], v50, off
	global_store_dword v[34:35], v51, off
.LBB1407_15:
	s_or_b64 exec, exec, s[4:5]
	v_lshl_or_b32 v50, v63, 9, v36
	s_waitcnt vmcnt(7)
	v_cvt_pk_f32_fp8_e32 v[34:35], v30
	v_cvt_pk_f32_fp8_sdwa v[36:37], v30 src0_sel:WORD_1
	s_mov_b32 s5, 0x7060302
	s_waitcnt lgkmcnt(0)
	s_barrier
	v_cvt_pk_f32_fp8_e32 v[38:39], v31
	v_perm_b32 v30, v35, v34, s5
	v_cvt_pk_f32_fp8_sdwa v[40:41], v31 src0_sel:WORD_1
	v_perm_b32 v31, v37, v36, s5
	ds_read_b128 v[34:37], v50
	v_perm_b32 v46, v39, v38, s5
	v_perm_b32 v47, v41, v40, s5
	ds_read_b128 v[38:41], v50 offset:16
	v_cvt_pk_f32_fp8_e32 v[48:49], v32
	v_cvt_pk_f32_fp8_sdwa v[52:53], v32 src0_sel:WORD_1
	s_waitcnt lgkmcnt(1)
	v_mfma_f32_16x16x16_bf16 v[42:45], v[30:31], v[34:35], 0
	s_waitcnt vmcnt(6)
	v_cvt_pk_f32_fp8_e32 v[56:57], v24
	v_perm_b32 v30, v49, v48, s5
	v_perm_b32 v31, v53, v52, s5
	v_cvt_pk_f32_fp8_e32 v[48:49], v33
	v_mfma_f32_16x16x16_bf16 v[42:45], v[46:47], v[36:37], v[42:45]
	v_cvt_pk_f32_fp8_sdwa v[46:47], v33 src0_sel:WORD_1
	v_cvt_pk_f32_fp8_sdwa v[58:59], v24 src0_sel:WORD_1
	v_perm_b32 v48, v49, v48, s5
	s_waitcnt lgkmcnt(0)
	v_mfma_f32_16x16x16_bf16 v[30:33], v[30:31], v[38:39], v[42:45]
	v_perm_b32 v49, v47, v46, s5
	s_waitcnt vmcnt(5)
	v_cvt_pk_f32_fp8_e32 v[64:65], v12
	v_cvt_pk_f32_fp8_sdwa v[66:67], v12 src0_sel:WORD_1
	v_cvt_pk_f32_fp8_e32 v[42:43], v22
	v_mfma_f32_16x16x16_bf16 v[46:49], v[48:49], v[40:41], v[30:33]
	s_waitcnt vmcnt(4)
	v_cvt_pk_f32_fp8_sdwa v[68:69], v4 src0_sel:WORD_1
	s_load_dword s4, s[42:43], 0x0
	v_cvt_pk_f32_fp8_sdwa v[30:31], v22 src0_sel:WORD_1
	v_cvt_pk_f32_fp8_e32 v[32:33], v23
	v_perm_b32 v22, v43, v42, s5
	v_cvt_pk_f32_fp8_sdwa v[42:43], v23 src0_sel:WORD_1
	v_perm_b32 v23, v31, v30, s5
	v_perm_b32 v52, v33, v32, s5
	ds_read_b128 v[30:33], v50 offset:2048
	v_perm_b32 v53, v43, v42, s5
	ds_read_b128 v[42:45], v50 offset:2064
	s_waitcnt lgkmcnt(0)
	v_mfma_f32_16x16x16_bf16 v[46:49], v[22:23], v[30:31], v[46:49]
	v_perm_b32 v22, v57, v56, s5
	v_perm_b32 v23, v59, v58, s5
	v_cvt_pk_f32_fp8_e32 v[56:57], v25
	v_mfma_f32_16x16x16_bf16 v[46:49], v[52:53], v[32:33], v[46:49]
	v_cvt_pk_f32_fp8_sdwa v[52:53], v25 src0_sel:WORD_1
	s_waitcnt vmcnt(3)
	v_cvt_pk_f32_fp8_sdwa v[70:71], v28 src0_sel:WORD_1
	v_perm_b32 v56, v57, v56, s5
	v_mfma_f32_16x16x16_bf16 v[22:25], v[22:23], v[42:43], v[46:49]
	v_perm_b32 v57, v53, v52, s5
	s_mov_b32 s3, 0
	s_nop 0
	v_cvt_pk_f32_fp8_e32 v[46:47], v10
	v_mfma_f32_16x16x16_bf16 v[56:59], v[56:57], v[44:45], v[22:25]
	s_nop 2
	v_cvt_pk_f32_fp8_sdwa v[22:23], v10 src0_sel:WORD_1
	v_cvt_pk_f32_fp8_e32 v[24:25], v11
	v_perm_b32 v10, v47, v46, s5
	v_cvt_pk_f32_fp8_sdwa v[46:47], v11 src0_sel:WORD_1
	v_perm_b32 v11, v23, v22, s5
	v_perm_b32 v52, v25, v24, s5
	ds_read_b128 v[22:25], v50 offset:4096
	v_perm_b32 v53, v47, v46, s5
	ds_read_b128 v[46:49], v50 offset:4112
	s_waitcnt lgkmcnt(1)
	v_mfma_f32_16x16x16_bf16 v[56:59], v[10:11], v[22:23], v[56:59]
	v_perm_b32 v10, v65, v64, s5
	v_perm_b32 v11, v67, v66, s5
	v_cvt_pk_f32_fp8_e32 v[64:65], v13
	v_mfma_f32_16x16x16_bf16 v[56:59], v[52:53], v[24:25], v[56:59]
	v_cvt_pk_f32_fp8_sdwa v[52:53], v13 src0_sel:WORD_1
	v_cvt_pk_f32_fp8_e32 v[66:67], v4
	v_perm_b32 v64, v65, v64, s5
	s_waitcnt lgkmcnt(0)
	v_mfma_f32_16x16x16_bf16 v[10:13], v[10:11], v[46:47], v[56:59]
	v_perm_b32 v65, v53, v52, s5
	v_cvt_pk_f32_fp8_e32 v[52:53], v2
	s_nop 0
	v_mfma_f32_16x16x16_bf16 v[56:59], v[64:65], v[48:49], v[10:13]
	s_nop 2
	v_cvt_pk_f32_fp8_sdwa v[10:11], v2 src0_sel:WORD_1
	v_cvt_pk_f32_fp8_e32 v[12:13], v3
	v_perm_b32 v2, v53, v52, s5
	v_cvt_pk_f32_fp8_sdwa v[52:53], v3 src0_sel:WORD_1
	v_perm_b32 v3, v11, v10, s5
	v_perm_b32 v64, v13, v12, s5
	ds_read_b128 v[10:13], v50 offset:6144
	v_perm_b32 v65, v53, v52, s5
	s_waitcnt lgkmcnt(0)
	v_mfma_f32_16x16x16_bf16 v[56:59], v[2:3], v[10:11], v[56:59]
	ds_read_b128 v[50:53], v50 offset:6160
	v_perm_b32 v2, v67, v66, s5
	v_perm_b32 v3, v69, v68, s5
	v_cvt_pk_f32_fp8_e32 v[66:67], v5
	v_mfma_f32_16x16x16_bf16 v[56:59], v[64:65], v[12:13], v[56:59]
	v_cvt_pk_f32_fp8_sdwa v[64:65], v5 src0_sel:WORD_1
	v_cvt_pk_f32_fp8_e32 v[68:69], v28
	v_perm_b32 v66, v67, v66, s5
	s_waitcnt lgkmcnt(0)
	v_mfma_f32_16x16x16_bf16 v[2:5], v[2:3], v[50:51], v[56:59]
	v_perm_b32 v67, v65, v64, s5
	s_barrier
	s_nop 0
	v_mfma_f32_16x16x16_bf16 v[56:59], v[66:67], v[52:53], v[2:5]
	s_nop 2
	v_cvt_pk_f32_fp8_e32 v[4:5], v26
	v_perm_b32 v4, v5, v4, s5
	s_nop 1
	v_pk_mul_f32 v[2:3], v[58:59], s[4:5] op_sel_hi:[1,0]
	v_cvt_pk_f32_fp8_sdwa v[58:59], v26 src0_sel:WORD_1
	v_pk_mul_f32 v[64:65], v[56:57], s[4:5] op_sel_hi:[1,0]
	v_cvt_pk_f32_fp8_e32 v[56:57], v27
	v_cvt_pk_f32_fp8_sdwa v[26:27], v27 src0_sel:WORD_1
	v_perm_b32 v5, v59, v58, s5
	v_perm_b32 v66, v57, v56, s5
	;; [unrolled: 1-line block ×3, first 2 shown]
	v_mfma_f32_16x16x16_bf16 v[56:59], v[4:5], v[34:35], 0
	v_perm_b32 v4, v69, v68, s5
	v_perm_b32 v5, v71, v70, s5
	v_cvt_pk_f32_fp8_e32 v[34:35], v29
	v_cvt_pk_f32_fp8_sdwa v[68:69], v29 src0_sel:WORD_1
	v_mfma_f32_16x16x16_bf16 v[26:29], v[66:67], v[36:37], v[56:59]
	s_waitcnt vmcnt(2)
	v_cvt_pk_f32_fp8_sdwa v[36:37], v18 src0_sel:WORD_1
	v_perm_b32 v34, v35, v34, s5
	v_perm_b32 v35, v69, v68, s5
	v_mfma_f32_16x16x16_bf16 v[26:29], v[4:5], v[38:39], v[26:29]
	v_cvt_pk_f32_fp8_e32 v[4:5], v18
	v_cvt_pk_f32_fp8_sdwa v[38:39], v20 src0_sel:WORD_1
	v_bfe_u32 v56, v65, 16, 1
	v_mfma_f32_16x16x16_bf16 v[26:29], v[34:35], v[40:41], v[26:29]
	v_cvt_pk_f32_fp8_e32 v[34:35], v19
	v_perm_b32 v4, v5, v4, s5
	v_perm_b32 v5, v37, v36, s5
	v_cvt_pk_f32_fp8_sdwa v[18:19], v19 src0_sel:WORD_1
	v_perm_b32 v34, v35, v34, s5
	v_cvt_pk_f32_fp8_e32 v[36:37], v20
	v_mfma_f32_16x16x16_bf16 v[26:29], v[4:5], v[30:31], v[26:29]
	v_perm_b32 v35, v19, v18, s5
	v_perm_b32 v4, v37, v36, s5
	;; [unrolled: 1-line block ×3, first 2 shown]
	v_cvt_pk_f32_fp8_e32 v[30:31], v21
	v_cvt_pk_f32_fp8_sdwa v[36:37], v21 src0_sel:WORD_1
	v_mfma_f32_16x16x16_bf16 v[18:21], v[34:35], v[32:33], v[26:29]
	v_bfe_u32 v57, v64, 16, 1
	v_add3_u32 v32, v64, v57, s8
	v_add3_u32 v33, v65, v56, s8
	v_perm_b32 v26, v31, v30, s5
	v_perm_b32 v27, v37, v36, s5
	v_mfma_f32_16x16x16_bf16 v[18:21], v[4:5], v[42:43], v[18:21]
	s_waitcnt vmcnt(1)
	v_cvt_pk_f32_fp8_e32 v[4:5], v14
	v_cvt_pk_f32_fp8_sdwa v[28:29], v14 src0_sel:WORD_1
	v_cvt_pk_f32_fp8_sdwa v[30:31], v16 src0_sel:WORD_1
	v_mfma_f32_16x16x16_bf16 v[18:21], v[26:27], v[44:45], v[18:21]
	v_cvt_pk_f32_fp8_e32 v[26:27], v15
	v_perm_b32 v4, v5, v4, s5
	v_perm_b32 v5, v29, v28, s5
	v_cvt_pk_f32_fp8_sdwa v[14:15], v15 src0_sel:WORD_1
	v_perm_b32 v26, v27, v26, s5
	v_cvt_pk_f32_fp8_e32 v[28:29], v16
	v_mfma_f32_16x16x16_bf16 v[18:21], v[4:5], v[22:23], v[18:21]
	v_perm_b32 v27, v15, v14, s5
	v_perm_b32 v4, v29, v28, s5
	;; [unrolled: 1-line block ×3, first 2 shown]
	v_cvt_pk_f32_fp8_e32 v[22:23], v17
	v_cvt_pk_f32_fp8_sdwa v[28:29], v17 src0_sel:WORD_1
	v_mfma_f32_16x16x16_bf16 v[14:17], v[26:27], v[24:25], v[18:21]
	s_waitcnt vmcnt(0)
	v_cvt_pk_f32_fp8_sdwa v[24:25], v8 src0_sel:WORD_1
	s_nop 0
	v_perm_b32 v20, v23, v22, s5
	v_perm_b32 v21, v29, v28, s5
	v_mfma_f32_16x16x16_bf16 v[14:17], v[4:5], v[46:47], v[14:17]
	v_cvt_pk_f32_fp8_e32 v[4:5], v6
	v_cvt_pk_f32_fp8_sdwa v[22:23], v6 src0_sel:WORD_1
	v_bfe_u32 v19, v3, 16, 1
	v_mfma_f32_16x16x16_bf16 v[14:17], v[20:21], v[48:49], v[14:17]
	v_cvt_pk_f32_fp8_e32 v[20:21], v7
	v_perm_b32 v4, v5, v4, s5
	v_perm_b32 v5, v23, v22, s5
	v_cvt_pk_f32_fp8_sdwa v[6:7], v7 src0_sel:WORD_1
	v_perm_b32 v20, v21, v20, s5
	v_cvt_pk_f32_fp8_e32 v[22:23], v8
	v_add3_u32 v3, v3, v19, s8
	v_perm_b32 v21, v7, v6, s5
	v_mfma_f32_16x16x16_bf16 v[4:7], v[4:5], v[10:11], v[14:17]
	v_perm_b32 v10, v23, v22, s5
	v_perm_b32 v11, v25, v24, s5
	;; [unrolled: 1-line block ×3, first 2 shown]
	v_cvt_pk_f32_fp8_e32 v[14:15], v9
	v_cvt_pk_f32_fp8_sdwa v[8:9], v9 src0_sel:WORD_1
	v_mfma_f32_16x16x16_bf16 v[4:7], v[20:21], v[12:13], v[4:7]
	v_bfe_u32 v16, v2, 16, 1
	v_perm_b32 v12, v15, v14, s5
	v_perm_b32 v13, v9, v8, s5
	v_mfma_f32_16x16x16_bf16 v[4:7], v[10:11], v[50:51], v[4:7]
	v_add3_u32 v2, v2, v16, s8
	v_perm_b32 v19, v3, v2, s5
	v_mfma_f32_16x16x16_bf16 v[2:5], v[12:13], v[52:53], v[4:7]
	s_nop 6
	v_pk_mul_f32 v[2:3], v[2:3], s[4:5] op_sel_hi:[1,0]
	v_pk_mul_f32 v[4:5], v[4:5], s[4:5] op_sel_hi:[1,0]
	v_bfe_u32 v6, v3, 16, 1
	v_bfe_u32 v7, v2, 16, 1
	v_add3_u32 v2, v2, v7, s8
	v_add3_u32 v3, v3, v6, s8
	v_perm_b32 v2, v3, v2, s5
	v_bfe_u32 v3, v5, 16, 1
	v_bfe_u32 v6, v4, 16, 1
	v_add3_u32 v4, v4, v6, s8
	v_add3_u32 v3, v5, v3, s8
	v_perm_b32 v3, v3, v4, s5
	ds_write2st64_b64 v55, v[18:19], v[2:3] offset1:1
	s_waitcnt lgkmcnt(0)
	s_barrier
	s_and_saveexec_b64 s[4:5], s[26:27]
	s_cbranch_execz .LBB1407_17
; %bb.16:
	s_load_dwordx2 s[0:1], s[0:1], 0x68
	s_lshl_b32 s6, s6, 7
	s_mul_i32 s2, s7, s2
	v_lshlrev_b32_e32 v3, 6, v60
	s_mul_hi_u32 s5, s2, s6
	s_mul_i32 s4, s2, s6
	v_lshl_or_b32 v0, v0, 10, v3
	s_lshl_b64 s[4:5], s[4:5], 1
	v_and_b32_e32 v2, 16, v62
	v_and_b32_e32 v0, 0x1a00, v0
	s_waitcnt lgkmcnt(0)
	s_add_u32 s4, s0, s4
	v_or3_b32 v0, v0, v61, v2
	s_addc_u32 s5, s1, s5
	s_lshl_b32 s2, s24, 7
	ds_read_b128 v[2:5], v0
	s_lshl_b64 s[0:1], s[2:3], 1
	s_add_u32 s0, s4, s0
	s_addc_u32 s1, s5, s1
	v_mad_u64_u32 v[0:1], s[2:3], s6, v1, 0
	v_lshl_add_u64 v[0:1], v[0:1], 1, s[0:1]
	v_mov_b32_e32 v55, 0
	v_lshl_add_u64 v[0:1], v[0:1], 0, v[54:55]
	s_waitcnt lgkmcnt(0)
	global_store_dwordx4 v[0:1], v[2:5], off
.LBB1407_17:
	s_endpgm
	.section	.rodata,"a",@progbits
	.p2align	6, 0x0
	.amdhsa_kernel _Z39paged_attention_ll4mi_QKV_mfma16_kernelI14__hip_bfloat16hLN4vllm18Fp8KVCacheDataTypeE1ES0_Li32ELi128ELi256ELb0ELi4EEvPKT_PKT0_S8_ifPKiSA_SA_iPKfiiiPfSD_PS3_PT2_iSC_SC_
		.amdhsa_group_segment_fixed_size 8192
		.amdhsa_private_segment_fixed_size 0
		.amdhsa_kernarg_size 400
		.amdhsa_user_sgpr_count 2
		.amdhsa_user_sgpr_dispatch_ptr 0
		.amdhsa_user_sgpr_queue_ptr 0
		.amdhsa_user_sgpr_kernarg_segment_ptr 1
		.amdhsa_user_sgpr_dispatch_id 0
		.amdhsa_user_sgpr_kernarg_preload_length 0
		.amdhsa_user_sgpr_kernarg_preload_offset 0
		.amdhsa_user_sgpr_private_segment_size 0
		.amdhsa_uses_dynamic_stack 0
		.amdhsa_enable_private_segment 0
		.amdhsa_system_sgpr_workgroup_id_x 1
		.amdhsa_system_sgpr_workgroup_id_y 1
		.amdhsa_system_sgpr_workgroup_id_z 1
		.amdhsa_system_sgpr_workgroup_info 0
		.amdhsa_system_vgpr_workitem_id 0
		.amdhsa_next_free_vgpr 82
		.amdhsa_next_free_sgpr 49
		.amdhsa_accum_offset 84
		.amdhsa_reserve_vcc 1
		.amdhsa_float_round_mode_32 0
		.amdhsa_float_round_mode_16_64 0
		.amdhsa_float_denorm_mode_32 3
		.amdhsa_float_denorm_mode_16_64 3
		.amdhsa_dx10_clamp 1
		.amdhsa_ieee_mode 1
		.amdhsa_fp16_overflow 0
		.amdhsa_tg_split 0
		.amdhsa_exception_fp_ieee_invalid_op 0
		.amdhsa_exception_fp_denorm_src 0
		.amdhsa_exception_fp_ieee_div_zero 0
		.amdhsa_exception_fp_ieee_overflow 0
		.amdhsa_exception_fp_ieee_underflow 0
		.amdhsa_exception_fp_ieee_inexact 0
		.amdhsa_exception_int_div_zero 0
	.end_amdhsa_kernel
	.section	.text._Z39paged_attention_ll4mi_QKV_mfma16_kernelI14__hip_bfloat16hLN4vllm18Fp8KVCacheDataTypeE1ES0_Li32ELi128ELi256ELb0ELi4EEvPKT_PKT0_S8_ifPKiSA_SA_iPKfiiiPfSD_PS3_PT2_iSC_SC_,"axG",@progbits,_Z39paged_attention_ll4mi_QKV_mfma16_kernelI14__hip_bfloat16hLN4vllm18Fp8KVCacheDataTypeE1ES0_Li32ELi128ELi256ELb0ELi4EEvPKT_PKT0_S8_ifPKiSA_SA_iPKfiiiPfSD_PS3_PT2_iSC_SC_,comdat
.Lfunc_end1407:
	.size	_Z39paged_attention_ll4mi_QKV_mfma16_kernelI14__hip_bfloat16hLN4vllm18Fp8KVCacheDataTypeE1ES0_Li32ELi128ELi256ELb0ELi4EEvPKT_PKT0_S8_ifPKiSA_SA_iPKfiiiPfSD_PS3_PT2_iSC_SC_, .Lfunc_end1407-_Z39paged_attention_ll4mi_QKV_mfma16_kernelI14__hip_bfloat16hLN4vllm18Fp8KVCacheDataTypeE1ES0_Li32ELi128ELi256ELb0ELi4EEvPKT_PKT0_S8_ifPKiSA_SA_iPKfiiiPfSD_PS3_PT2_iSC_SC_
                                        ; -- End function
	.section	.AMDGPU.csdata,"",@progbits
; Kernel info:
; codeLenInByte = 6296
; NumSgprs: 55
; NumVgprs: 82
; NumAgprs: 0
; TotalNumVgprs: 82
; ScratchSize: 0
; MemoryBound: 0
; FloatMode: 240
; IeeeMode: 1
; LDSByteSize: 8192 bytes/workgroup (compile time only)
; SGPRBlocks: 6
; VGPRBlocks: 10
; NumSGPRsForWavesPerEU: 55
; NumVGPRsForWavesPerEU: 82
; AccumOffset: 84
; Occupancy: 5
; WaveLimiterHint : 1
; COMPUTE_PGM_RSRC2:SCRATCH_EN: 0
; COMPUTE_PGM_RSRC2:USER_SGPR: 2
; COMPUTE_PGM_RSRC2:TRAP_HANDLER: 0
; COMPUTE_PGM_RSRC2:TGID_X_EN: 1
; COMPUTE_PGM_RSRC2:TGID_Y_EN: 1
; COMPUTE_PGM_RSRC2:TGID_Z_EN: 1
; COMPUTE_PGM_RSRC2:TIDIG_COMP_CNT: 0
; COMPUTE_PGM_RSRC3_GFX90A:ACCUM_OFFSET: 20
; COMPUTE_PGM_RSRC3_GFX90A:TG_SPLIT: 0
	.text
	.p2alignl 6, 3212836864
	.fill 256, 4, 3212836864
	.type	__hip_cuid_8e0861322d9b8396,@object ; @__hip_cuid_8e0861322d9b8396
	.section	.bss,"aw",@nobits
	.globl	__hip_cuid_8e0861322d9b8396
__hip_cuid_8e0861322d9b8396:
	.byte	0                               ; 0x0
	.size	__hip_cuid_8e0861322d9b8396, 1

	.ident	"AMD clang version 19.0.0git (https://github.com/RadeonOpenCompute/llvm-project roc-6.4.0 25133 c7fe45cf4b819c5991fe208aaa96edf142730f1d)"
	.section	".note.GNU-stack","",@progbits
	.addrsig
	.addrsig_sym __hip_cuid_8e0861322d9b8396
	.amdgpu_metadata
---
amdhsa.kernels:
  - .agpr_count:     4
    .args:
      - .actual_access:  read_only
        .address_space:  global
        .offset:         0
        .size:           8
        .value_kind:     global_buffer
      - .actual_access:  read_only
        .address_space:  global
        .offset:         8
        .size:           8
        .value_kind:     global_buffer
      - .actual_access:  read_only
        .address_space:  global
        .offset:         16
        .size:           8
        .value_kind:     global_buffer
      - .offset:         24
        .size:           4
        .value_kind:     by_value
      - .offset:         28
        .size:           4
        .value_kind:     by_value
      - .actual_access:  read_only
        .address_space:  global
        .offset:         32
        .size:           8
        .value_kind:     global_buffer
      - .actual_access:  read_only
        .address_space:  global
        .offset:         40
        .size:           8
        .value_kind:     global_buffer
      - .actual_access:  read_only
        .address_space:  global
        .offset:         48
        .size:           8
        .value_kind:     global_buffer
      - .offset:         56
        .size:           4
        .value_kind:     by_value
      - .actual_access:  read_only
        .address_space:  global
        .offset:         64
        .size:           8
        .value_kind:     global_buffer
      - .offset:         72
        .size:           4
        .value_kind:     by_value
      - .offset:         76
        .size:           4
        .value_kind:     by_value
      - .offset:         80
        .size:           4
        .value_kind:     by_value
      - .actual_access:  write_only
        .address_space:  global
        .offset:         88
        .size:           8
        .value_kind:     global_buffer
      - .actual_access:  write_only
        .address_space:  global
        .offset:         96
        .size:           8
        .value_kind:     global_buffer
      - .actual_access:  write_only
        .address_space:  global
        .offset:         104
        .size:           8
        .value_kind:     global_buffer
      - .actual_access:  read_only
        .address_space:  global
        .offset:         112
        .size:           8
        .value_kind:     global_buffer
      - .offset:         120
        .size:           4
        .value_kind:     by_value
      - .address_space:  global
        .offset:         128
        .size:           8
        .value_kind:     global_buffer
      - .address_space:  global
        .offset:         136
        .size:           8
        .value_kind:     global_buffer
      - .offset:         144
        .size:           4
        .value_kind:     hidden_block_count_x
      - .offset:         148
        .size:           4
        .value_kind:     hidden_block_count_y
      - .offset:         152
        .size:           4
        .value_kind:     hidden_block_count_z
      - .offset:         156
        .size:           2
        .value_kind:     hidden_group_size_x
      - .offset:         158
        .size:           2
        .value_kind:     hidden_group_size_y
      - .offset:         160
        .size:           2
        .value_kind:     hidden_group_size_z
      - .offset:         162
        .size:           2
        .value_kind:     hidden_remainder_x
      - .offset:         164
        .size:           2
        .value_kind:     hidden_remainder_y
      - .offset:         166
        .size:           2
        .value_kind:     hidden_remainder_z
      - .offset:         184
        .size:           8
        .value_kind:     hidden_global_offset_x
      - .offset:         192
        .size:           8
        .value_kind:     hidden_global_offset_y
      - .offset:         200
        .size:           8
        .value_kind:     hidden_global_offset_z
      - .offset:         208
        .size:           2
        .value_kind:     hidden_grid_dims
    .group_segment_fixed_size: 2720
    .kernarg_segment_align: 8
    .kernarg_segment_size: 400
    .language:       OpenCL C
    .language_version:
      - 2
      - 0
    .max_flat_workgroup_size: 256
    .name:           _Z38paged_attention_ll4mi_QKV_mfma4_kernelIDF16_DF16_LN4vllm18Fp8KVCacheDataTypeE0EhLi16ELi64ELi256ELb1ELi1EEvPKT_PKT0_S7_ifPKiS9_S9_iPKfiiiPfSC_PS2_PT2_iSB_SB_
    .private_segment_fixed_size: 0
    .sgpr_count:     44
    .sgpr_spill_count: 0
    .symbol:         _Z38paged_attention_ll4mi_QKV_mfma4_kernelIDF16_DF16_LN4vllm18Fp8KVCacheDataTypeE0EhLi16ELi64ELi256ELb1ELi1EEvPKT_PKT0_S7_ifPKiS9_S9_iPKfiiiPfSC_PS2_PT2_iSB_SB_.kd
    .uniform_work_group_size: 1
    .uses_dynamic_stack: false
    .vgpr_count:     72
    .vgpr_spill_count: 0
    .wavefront_size: 64
  - .agpr_count:     4
    .args:
      - .actual_access:  read_only
        .address_space:  global
        .offset:         0
        .size:           8
        .value_kind:     global_buffer
      - .actual_access:  read_only
        .address_space:  global
        .offset:         8
        .size:           8
        .value_kind:     global_buffer
      - .actual_access:  read_only
        .address_space:  global
        .offset:         16
        .size:           8
        .value_kind:     global_buffer
      - .offset:         24
        .size:           4
        .value_kind:     by_value
      - .offset:         28
        .size:           4
        .value_kind:     by_value
      - .actual_access:  read_only
        .address_space:  global
        .offset:         32
        .size:           8
        .value_kind:     global_buffer
      - .actual_access:  read_only
        .address_space:  global
        .offset:         40
        .size:           8
        .value_kind:     global_buffer
      - .actual_access:  read_only
        .address_space:  global
        .offset:         48
        .size:           8
        .value_kind:     global_buffer
      - .offset:         56
        .size:           4
        .value_kind:     by_value
      - .actual_access:  read_only
        .address_space:  global
        .offset:         64
        .size:           8
        .value_kind:     global_buffer
      - .offset:         72
        .size:           4
        .value_kind:     by_value
      - .offset:         76
        .size:           4
        .value_kind:     by_value
      - .offset:         80
        .size:           4
        .value_kind:     by_value
      - .actual_access:  write_only
        .address_space:  global
        .offset:         88
        .size:           8
        .value_kind:     global_buffer
      - .actual_access:  write_only
        .address_space:  global
        .offset:         96
        .size:           8
        .value_kind:     global_buffer
      - .actual_access:  write_only
        .address_space:  global
        .offset:         104
        .size:           8
        .value_kind:     global_buffer
      - .actual_access:  read_only
        .address_space:  global
        .offset:         112
        .size:           8
        .value_kind:     global_buffer
      - .offset:         120
        .size:           4
        .value_kind:     by_value
      - .address_space:  global
        .offset:         128
        .size:           8
        .value_kind:     global_buffer
      - .address_space:  global
        .offset:         136
        .size:           8
        .value_kind:     global_buffer
      - .offset:         144
        .size:           4
        .value_kind:     hidden_block_count_x
      - .offset:         148
        .size:           4
        .value_kind:     hidden_block_count_y
      - .offset:         152
        .size:           4
        .value_kind:     hidden_block_count_z
      - .offset:         156
        .size:           2
        .value_kind:     hidden_group_size_x
      - .offset:         158
        .size:           2
        .value_kind:     hidden_group_size_y
      - .offset:         160
        .size:           2
        .value_kind:     hidden_group_size_z
      - .offset:         162
        .size:           2
        .value_kind:     hidden_remainder_x
      - .offset:         164
        .size:           2
        .value_kind:     hidden_remainder_y
      - .offset:         166
        .size:           2
        .value_kind:     hidden_remainder_z
      - .offset:         184
        .size:           8
        .value_kind:     hidden_global_offset_x
      - .offset:         192
        .size:           8
        .value_kind:     hidden_global_offset_y
      - .offset:         200
        .size:           8
        .value_kind:     hidden_global_offset_z
      - .offset:         208
        .size:           2
        .value_kind:     hidden_grid_dims
    .group_segment_fixed_size: 2720
    .kernarg_segment_align: 8
    .kernarg_segment_size: 400
    .language:       OpenCL C
    .language_version:
      - 2
      - 0
    .max_flat_workgroup_size: 256
    .name:           _Z38paged_attention_ll4mi_QKV_mfma4_kernelIDF16_DF16_LN4vllm18Fp8KVCacheDataTypeE0EhLi16ELi64ELi256ELb1ELi2EEvPKT_PKT0_S7_ifPKiS9_S9_iPKfiiiPfSC_PS2_PT2_iSB_SB_
    .private_segment_fixed_size: 0
    .sgpr_count:     46
    .sgpr_spill_count: 0
    .symbol:         _Z38paged_attention_ll4mi_QKV_mfma4_kernelIDF16_DF16_LN4vllm18Fp8KVCacheDataTypeE0EhLi16ELi64ELi256ELb1ELi2EEvPKT_PKT0_S7_ifPKiS9_S9_iPKfiiiPfSC_PS2_PT2_iSB_SB_.kd
    .uniform_work_group_size: 1
    .uses_dynamic_stack: false
    .vgpr_count:     72
    .vgpr_spill_count: 0
    .wavefront_size: 64
  - .agpr_count:     4
    .args:
      - .actual_access:  read_only
        .address_space:  global
        .offset:         0
        .size:           8
        .value_kind:     global_buffer
      - .actual_access:  read_only
        .address_space:  global
        .offset:         8
        .size:           8
        .value_kind:     global_buffer
      - .actual_access:  read_only
        .address_space:  global
        .offset:         16
        .size:           8
        .value_kind:     global_buffer
      - .offset:         24
        .size:           4
        .value_kind:     by_value
      - .offset:         28
        .size:           4
        .value_kind:     by_value
      - .actual_access:  read_only
        .address_space:  global
        .offset:         32
        .size:           8
        .value_kind:     global_buffer
      - .actual_access:  read_only
        .address_space:  global
        .offset:         40
        .size:           8
        .value_kind:     global_buffer
      - .actual_access:  read_only
        .address_space:  global
        .offset:         48
        .size:           8
        .value_kind:     global_buffer
      - .offset:         56
        .size:           4
        .value_kind:     by_value
      - .actual_access:  read_only
        .address_space:  global
        .offset:         64
        .size:           8
        .value_kind:     global_buffer
      - .offset:         72
        .size:           4
        .value_kind:     by_value
      - .offset:         76
        .size:           4
        .value_kind:     by_value
      - .offset:         80
        .size:           4
        .value_kind:     by_value
      - .actual_access:  write_only
        .address_space:  global
        .offset:         88
        .size:           8
        .value_kind:     global_buffer
      - .actual_access:  write_only
        .address_space:  global
        .offset:         96
        .size:           8
        .value_kind:     global_buffer
      - .actual_access:  write_only
        .address_space:  global
        .offset:         104
        .size:           8
        .value_kind:     global_buffer
      - .actual_access:  read_only
        .address_space:  global
        .offset:         112
        .size:           8
        .value_kind:     global_buffer
      - .offset:         120
        .size:           4
        .value_kind:     by_value
      - .address_space:  global
        .offset:         128
        .size:           8
        .value_kind:     global_buffer
      - .address_space:  global
        .offset:         136
        .size:           8
        .value_kind:     global_buffer
      - .offset:         144
        .size:           4
        .value_kind:     hidden_block_count_x
      - .offset:         148
        .size:           4
        .value_kind:     hidden_block_count_y
      - .offset:         152
        .size:           4
        .value_kind:     hidden_block_count_z
      - .offset:         156
        .size:           2
        .value_kind:     hidden_group_size_x
      - .offset:         158
        .size:           2
        .value_kind:     hidden_group_size_y
      - .offset:         160
        .size:           2
        .value_kind:     hidden_group_size_z
      - .offset:         162
        .size:           2
        .value_kind:     hidden_remainder_x
      - .offset:         164
        .size:           2
        .value_kind:     hidden_remainder_y
      - .offset:         166
        .size:           2
        .value_kind:     hidden_remainder_z
      - .offset:         184
        .size:           8
        .value_kind:     hidden_global_offset_x
      - .offset:         192
        .size:           8
        .value_kind:     hidden_global_offset_y
      - .offset:         200
        .size:           8
        .value_kind:     hidden_global_offset_z
      - .offset:         208
        .size:           2
        .value_kind:     hidden_grid_dims
    .group_segment_fixed_size: 2720
    .kernarg_segment_align: 8
    .kernarg_segment_size: 400
    .language:       OpenCL C
    .language_version:
      - 2
      - 0
    .max_flat_workgroup_size: 256
    .name:           _Z38paged_attention_ll4mi_QKV_mfma4_kernelIDF16_DF16_LN4vllm18Fp8KVCacheDataTypeE0EhLi16ELi64ELi256ELb1ELi3EEvPKT_PKT0_S7_ifPKiS9_S9_iPKfiiiPfSC_PS2_PT2_iSB_SB_
    .private_segment_fixed_size: 0
    .sgpr_count:     46
    .sgpr_spill_count: 0
    .symbol:         _Z38paged_attention_ll4mi_QKV_mfma4_kernelIDF16_DF16_LN4vllm18Fp8KVCacheDataTypeE0EhLi16ELi64ELi256ELb1ELi3EEvPKT_PKT0_S7_ifPKiS9_S9_iPKfiiiPfSC_PS2_PT2_iSB_SB_.kd
    .uniform_work_group_size: 1
    .uses_dynamic_stack: false
    .vgpr_count:     72
    .vgpr_spill_count: 0
    .wavefront_size: 64
  - .agpr_count:     4
    .args:
      - .actual_access:  read_only
        .address_space:  global
        .offset:         0
        .size:           8
        .value_kind:     global_buffer
      - .actual_access:  read_only
        .address_space:  global
        .offset:         8
        .size:           8
        .value_kind:     global_buffer
      - .actual_access:  read_only
        .address_space:  global
        .offset:         16
        .size:           8
        .value_kind:     global_buffer
      - .offset:         24
        .size:           4
        .value_kind:     by_value
      - .offset:         28
        .size:           4
        .value_kind:     by_value
      - .actual_access:  read_only
        .address_space:  global
        .offset:         32
        .size:           8
        .value_kind:     global_buffer
      - .actual_access:  read_only
        .address_space:  global
        .offset:         40
        .size:           8
        .value_kind:     global_buffer
      - .actual_access:  read_only
        .address_space:  global
        .offset:         48
        .size:           8
        .value_kind:     global_buffer
      - .offset:         56
        .size:           4
        .value_kind:     by_value
      - .actual_access:  read_only
        .address_space:  global
        .offset:         64
        .size:           8
        .value_kind:     global_buffer
      - .offset:         72
        .size:           4
        .value_kind:     by_value
      - .offset:         76
        .size:           4
        .value_kind:     by_value
      - .offset:         80
        .size:           4
        .value_kind:     by_value
      - .actual_access:  write_only
        .address_space:  global
        .offset:         88
        .size:           8
        .value_kind:     global_buffer
      - .actual_access:  write_only
        .address_space:  global
        .offset:         96
        .size:           8
        .value_kind:     global_buffer
      - .actual_access:  write_only
        .address_space:  global
        .offset:         104
        .size:           8
        .value_kind:     global_buffer
      - .actual_access:  read_only
        .address_space:  global
        .offset:         112
        .size:           8
        .value_kind:     global_buffer
      - .offset:         120
        .size:           4
        .value_kind:     by_value
      - .address_space:  global
        .offset:         128
        .size:           8
        .value_kind:     global_buffer
      - .address_space:  global
        .offset:         136
        .size:           8
        .value_kind:     global_buffer
      - .offset:         144
        .size:           4
        .value_kind:     hidden_block_count_x
      - .offset:         148
        .size:           4
        .value_kind:     hidden_block_count_y
      - .offset:         152
        .size:           4
        .value_kind:     hidden_block_count_z
      - .offset:         156
        .size:           2
        .value_kind:     hidden_group_size_x
      - .offset:         158
        .size:           2
        .value_kind:     hidden_group_size_y
      - .offset:         160
        .size:           2
        .value_kind:     hidden_group_size_z
      - .offset:         162
        .size:           2
        .value_kind:     hidden_remainder_x
      - .offset:         164
        .size:           2
        .value_kind:     hidden_remainder_y
      - .offset:         166
        .size:           2
        .value_kind:     hidden_remainder_z
      - .offset:         184
        .size:           8
        .value_kind:     hidden_global_offset_x
      - .offset:         192
        .size:           8
        .value_kind:     hidden_global_offset_y
      - .offset:         200
        .size:           8
        .value_kind:     hidden_global_offset_z
      - .offset:         208
        .size:           2
        .value_kind:     hidden_grid_dims
    .group_segment_fixed_size: 2720
    .kernarg_segment_align: 8
    .kernarg_segment_size: 400
    .language:       OpenCL C
    .language_version:
      - 2
      - 0
    .max_flat_workgroup_size: 256
    .name:           _Z38paged_attention_ll4mi_QKV_mfma4_kernelIDF16_DF16_LN4vllm18Fp8KVCacheDataTypeE0EhLi16ELi64ELi256ELb1ELi4EEvPKT_PKT0_S7_ifPKiS9_S9_iPKfiiiPfSC_PS2_PT2_iSB_SB_
    .private_segment_fixed_size: 0
    .sgpr_count:     47
    .sgpr_spill_count: 0
    .symbol:         _Z38paged_attention_ll4mi_QKV_mfma4_kernelIDF16_DF16_LN4vllm18Fp8KVCacheDataTypeE0EhLi16ELi64ELi256ELb1ELi4EEvPKT_PKT0_S7_ifPKiS9_S9_iPKfiiiPfSC_PS2_PT2_iSB_SB_.kd
    .uniform_work_group_size: 1
    .uses_dynamic_stack: false
    .vgpr_count:     76
    .vgpr_spill_count: 0
    .wavefront_size: 64
  - .agpr_count:     0
    .args:
      - .actual_access:  read_only
        .address_space:  global
        .offset:         0
        .size:           8
        .value_kind:     global_buffer
      - .actual_access:  read_only
        .address_space:  global
        .offset:         8
        .size:           8
        .value_kind:     global_buffer
      - .actual_access:  read_only
        .address_space:  global
        .offset:         16
        .size:           8
        .value_kind:     global_buffer
      - .offset:         24
        .size:           4
        .value_kind:     by_value
      - .offset:         28
        .size:           4
        .value_kind:     by_value
      - .actual_access:  read_only
        .address_space:  global
        .offset:         32
        .size:           8
        .value_kind:     global_buffer
      - .actual_access:  read_only
        .address_space:  global
        .offset:         40
        .size:           8
        .value_kind:     global_buffer
      - .actual_access:  read_only
        .address_space:  global
        .offset:         48
        .size:           8
        .value_kind:     global_buffer
      - .offset:         56
        .size:           4
        .value_kind:     by_value
      - .actual_access:  read_only
        .address_space:  global
        .offset:         64
        .size:           8
        .value_kind:     global_buffer
      - .offset:         72
        .size:           4
        .value_kind:     by_value
      - .offset:         76
        .size:           4
        .value_kind:     by_value
      - .offset:         80
        .size:           4
        .value_kind:     by_value
      - .actual_access:  write_only
        .address_space:  global
        .offset:         88
        .size:           8
        .value_kind:     global_buffer
      - .actual_access:  write_only
        .address_space:  global
        .offset:         96
        .size:           8
        .value_kind:     global_buffer
      - .actual_access:  write_only
        .address_space:  global
        .offset:         104
        .size:           8
        .value_kind:     global_buffer
      - .actual_access:  read_only
        .address_space:  global
        .offset:         112
        .size:           8
        .value_kind:     global_buffer
      - .offset:         120
        .size:           4
        .value_kind:     by_value
      - .address_space:  global
        .offset:         128
        .size:           8
        .value_kind:     global_buffer
      - .address_space:  global
        .offset:         136
        .size:           8
        .value_kind:     global_buffer
      - .offset:         144
        .size:           4
        .value_kind:     hidden_block_count_x
      - .offset:         148
        .size:           4
        .value_kind:     hidden_block_count_y
      - .offset:         152
        .size:           4
        .value_kind:     hidden_block_count_z
      - .offset:         156
        .size:           2
        .value_kind:     hidden_group_size_x
      - .offset:         158
        .size:           2
        .value_kind:     hidden_group_size_y
      - .offset:         160
        .size:           2
        .value_kind:     hidden_group_size_z
      - .offset:         162
        .size:           2
        .value_kind:     hidden_remainder_x
      - .offset:         164
        .size:           2
        .value_kind:     hidden_remainder_y
      - .offset:         166
        .size:           2
        .value_kind:     hidden_remainder_z
      - .offset:         184
        .size:           8
        .value_kind:     hidden_global_offset_x
      - .offset:         192
        .size:           8
        .value_kind:     hidden_global_offset_y
      - .offset:         200
        .size:           8
        .value_kind:     hidden_global_offset_z
      - .offset:         208
        .size:           2
        .value_kind:     hidden_grid_dims
    .group_segment_fixed_size: 8192
    .kernarg_segment_align: 8
    .kernarg_segment_size: 400
    .language:       OpenCL C
    .language_version:
      - 2
      - 0
    .max_flat_workgroup_size: 256
    .name:           _Z39paged_attention_ll4mi_QKV_mfma16_kernelIDF16_DF16_LN4vllm18Fp8KVCacheDataTypeE0EhLi16ELi64ELi256ELb1ELi5EEvPKT_PKT0_S7_ifPKiS9_S9_iPKfiiiPfSC_PS2_PT2_iSB_SB_
    .private_segment_fixed_size: 0
    .sgpr_count:     54
    .sgpr_spill_count: 0
    .symbol:         _Z39paged_attention_ll4mi_QKV_mfma16_kernelIDF16_DF16_LN4vllm18Fp8KVCacheDataTypeE0EhLi16ELi64ELi256ELb1ELi5EEvPKT_PKT0_S7_ifPKiS9_S9_iPKfiiiPfSC_PS2_PT2_iSB_SB_.kd
    .uniform_work_group_size: 1
    .uses_dynamic_stack: false
    .vgpr_count:     72
    .vgpr_spill_count: 0
    .wavefront_size: 64
  - .agpr_count:     0
    .args:
      - .actual_access:  read_only
        .address_space:  global
        .offset:         0
        .size:           8
        .value_kind:     global_buffer
      - .actual_access:  read_only
        .address_space:  global
        .offset:         8
        .size:           8
        .value_kind:     global_buffer
      - .actual_access:  read_only
        .address_space:  global
        .offset:         16
        .size:           8
        .value_kind:     global_buffer
      - .offset:         24
        .size:           4
        .value_kind:     by_value
      - .offset:         28
        .size:           4
        .value_kind:     by_value
      - .actual_access:  read_only
        .address_space:  global
        .offset:         32
        .size:           8
        .value_kind:     global_buffer
      - .actual_access:  read_only
        .address_space:  global
        .offset:         40
        .size:           8
        .value_kind:     global_buffer
      - .actual_access:  read_only
        .address_space:  global
        .offset:         48
        .size:           8
        .value_kind:     global_buffer
      - .offset:         56
        .size:           4
        .value_kind:     by_value
      - .actual_access:  read_only
        .address_space:  global
        .offset:         64
        .size:           8
        .value_kind:     global_buffer
      - .offset:         72
        .size:           4
        .value_kind:     by_value
      - .offset:         76
        .size:           4
        .value_kind:     by_value
      - .offset:         80
        .size:           4
        .value_kind:     by_value
      - .actual_access:  write_only
        .address_space:  global
        .offset:         88
        .size:           8
        .value_kind:     global_buffer
      - .actual_access:  write_only
        .address_space:  global
        .offset:         96
        .size:           8
        .value_kind:     global_buffer
      - .actual_access:  write_only
        .address_space:  global
        .offset:         104
        .size:           8
        .value_kind:     global_buffer
      - .actual_access:  read_only
        .address_space:  global
        .offset:         112
        .size:           8
        .value_kind:     global_buffer
      - .offset:         120
        .size:           4
        .value_kind:     by_value
      - .address_space:  global
        .offset:         128
        .size:           8
        .value_kind:     global_buffer
      - .address_space:  global
        .offset:         136
        .size:           8
        .value_kind:     global_buffer
      - .offset:         144
        .size:           4
        .value_kind:     hidden_block_count_x
      - .offset:         148
        .size:           4
        .value_kind:     hidden_block_count_y
      - .offset:         152
        .size:           4
        .value_kind:     hidden_block_count_z
      - .offset:         156
        .size:           2
        .value_kind:     hidden_group_size_x
      - .offset:         158
        .size:           2
        .value_kind:     hidden_group_size_y
      - .offset:         160
        .size:           2
        .value_kind:     hidden_group_size_z
      - .offset:         162
        .size:           2
        .value_kind:     hidden_remainder_x
      - .offset:         164
        .size:           2
        .value_kind:     hidden_remainder_y
      - .offset:         166
        .size:           2
        .value_kind:     hidden_remainder_z
      - .offset:         184
        .size:           8
        .value_kind:     hidden_global_offset_x
      - .offset:         192
        .size:           8
        .value_kind:     hidden_global_offset_y
      - .offset:         200
        .size:           8
        .value_kind:     hidden_global_offset_z
      - .offset:         208
        .size:           2
        .value_kind:     hidden_grid_dims
    .group_segment_fixed_size: 8192
    .kernarg_segment_align: 8
    .kernarg_segment_size: 400
    .language:       OpenCL C
    .language_version:
      - 2
      - 0
    .max_flat_workgroup_size: 256
    .name:           _Z39paged_attention_ll4mi_QKV_mfma16_kernelIDF16_DF16_LN4vllm18Fp8KVCacheDataTypeE0EhLi16ELi64ELi256ELb1ELi6EEvPKT_PKT0_S7_ifPKiS9_S9_iPKfiiiPfSC_PS2_PT2_iSB_SB_
    .private_segment_fixed_size: 0
    .sgpr_count:     54
    .sgpr_spill_count: 0
    .symbol:         _Z39paged_attention_ll4mi_QKV_mfma16_kernelIDF16_DF16_LN4vllm18Fp8KVCacheDataTypeE0EhLi16ELi64ELi256ELb1ELi6EEvPKT_PKT0_S7_ifPKiS9_S9_iPKfiiiPfSC_PS2_PT2_iSB_SB_.kd
    .uniform_work_group_size: 1
    .uses_dynamic_stack: false
    .vgpr_count:     72
    .vgpr_spill_count: 0
    .wavefront_size: 64
  - .agpr_count:     0
    .args:
      - .actual_access:  read_only
        .address_space:  global
        .offset:         0
        .size:           8
        .value_kind:     global_buffer
      - .actual_access:  read_only
        .address_space:  global
        .offset:         8
        .size:           8
        .value_kind:     global_buffer
      - .actual_access:  read_only
        .address_space:  global
        .offset:         16
        .size:           8
        .value_kind:     global_buffer
      - .offset:         24
        .size:           4
        .value_kind:     by_value
      - .offset:         28
        .size:           4
        .value_kind:     by_value
      - .actual_access:  read_only
        .address_space:  global
        .offset:         32
        .size:           8
        .value_kind:     global_buffer
      - .actual_access:  read_only
        .address_space:  global
        .offset:         40
        .size:           8
        .value_kind:     global_buffer
      - .actual_access:  read_only
        .address_space:  global
        .offset:         48
        .size:           8
        .value_kind:     global_buffer
      - .offset:         56
        .size:           4
        .value_kind:     by_value
      - .actual_access:  read_only
        .address_space:  global
        .offset:         64
        .size:           8
        .value_kind:     global_buffer
      - .offset:         72
        .size:           4
        .value_kind:     by_value
      - .offset:         76
        .size:           4
        .value_kind:     by_value
      - .offset:         80
        .size:           4
        .value_kind:     by_value
      - .actual_access:  write_only
        .address_space:  global
        .offset:         88
        .size:           8
        .value_kind:     global_buffer
      - .actual_access:  write_only
        .address_space:  global
        .offset:         96
        .size:           8
        .value_kind:     global_buffer
      - .actual_access:  write_only
        .address_space:  global
        .offset:         104
        .size:           8
        .value_kind:     global_buffer
      - .actual_access:  read_only
        .address_space:  global
        .offset:         112
        .size:           8
        .value_kind:     global_buffer
      - .offset:         120
        .size:           4
        .value_kind:     by_value
      - .address_space:  global
        .offset:         128
        .size:           8
        .value_kind:     global_buffer
      - .address_space:  global
        .offset:         136
        .size:           8
        .value_kind:     global_buffer
      - .offset:         144
        .size:           4
        .value_kind:     hidden_block_count_x
      - .offset:         148
        .size:           4
        .value_kind:     hidden_block_count_y
      - .offset:         152
        .size:           4
        .value_kind:     hidden_block_count_z
      - .offset:         156
        .size:           2
        .value_kind:     hidden_group_size_x
      - .offset:         158
        .size:           2
        .value_kind:     hidden_group_size_y
      - .offset:         160
        .size:           2
        .value_kind:     hidden_group_size_z
      - .offset:         162
        .size:           2
        .value_kind:     hidden_remainder_x
      - .offset:         164
        .size:           2
        .value_kind:     hidden_remainder_y
      - .offset:         166
        .size:           2
        .value_kind:     hidden_remainder_z
      - .offset:         184
        .size:           8
        .value_kind:     hidden_global_offset_x
      - .offset:         192
        .size:           8
        .value_kind:     hidden_global_offset_y
      - .offset:         200
        .size:           8
        .value_kind:     hidden_global_offset_z
      - .offset:         208
        .size:           2
        .value_kind:     hidden_grid_dims
    .group_segment_fixed_size: 8192
    .kernarg_segment_align: 8
    .kernarg_segment_size: 400
    .language:       OpenCL C
    .language_version:
      - 2
      - 0
    .max_flat_workgroup_size: 256
    .name:           _Z39paged_attention_ll4mi_QKV_mfma16_kernelIDF16_DF16_LN4vllm18Fp8KVCacheDataTypeE0EhLi16ELi64ELi256ELb1ELi7EEvPKT_PKT0_S7_ifPKiS9_S9_iPKfiiiPfSC_PS2_PT2_iSB_SB_
    .private_segment_fixed_size: 0
    .sgpr_count:     54
    .sgpr_spill_count: 0
    .symbol:         _Z39paged_attention_ll4mi_QKV_mfma16_kernelIDF16_DF16_LN4vllm18Fp8KVCacheDataTypeE0EhLi16ELi64ELi256ELb1ELi7EEvPKT_PKT0_S7_ifPKiS9_S9_iPKfiiiPfSC_PS2_PT2_iSB_SB_.kd
    .uniform_work_group_size: 1
    .uses_dynamic_stack: false
    .vgpr_count:     72
    .vgpr_spill_count: 0
    .wavefront_size: 64
  - .agpr_count:     0
    .args:
      - .actual_access:  read_only
        .address_space:  global
        .offset:         0
        .size:           8
        .value_kind:     global_buffer
      - .actual_access:  read_only
        .address_space:  global
        .offset:         8
        .size:           8
        .value_kind:     global_buffer
      - .actual_access:  read_only
        .address_space:  global
        .offset:         16
        .size:           8
        .value_kind:     global_buffer
      - .offset:         24
        .size:           4
        .value_kind:     by_value
      - .offset:         28
        .size:           4
        .value_kind:     by_value
      - .actual_access:  read_only
        .address_space:  global
        .offset:         32
        .size:           8
        .value_kind:     global_buffer
      - .actual_access:  read_only
        .address_space:  global
        .offset:         40
        .size:           8
        .value_kind:     global_buffer
      - .actual_access:  read_only
        .address_space:  global
        .offset:         48
        .size:           8
        .value_kind:     global_buffer
      - .offset:         56
        .size:           4
        .value_kind:     by_value
      - .actual_access:  read_only
        .address_space:  global
        .offset:         64
        .size:           8
        .value_kind:     global_buffer
      - .offset:         72
        .size:           4
        .value_kind:     by_value
      - .offset:         76
        .size:           4
        .value_kind:     by_value
      - .offset:         80
        .size:           4
        .value_kind:     by_value
      - .actual_access:  write_only
        .address_space:  global
        .offset:         88
        .size:           8
        .value_kind:     global_buffer
      - .actual_access:  write_only
        .address_space:  global
        .offset:         96
        .size:           8
        .value_kind:     global_buffer
      - .actual_access:  write_only
        .address_space:  global
        .offset:         104
        .size:           8
        .value_kind:     global_buffer
      - .actual_access:  read_only
        .address_space:  global
        .offset:         112
        .size:           8
        .value_kind:     global_buffer
      - .offset:         120
        .size:           4
        .value_kind:     by_value
      - .address_space:  global
        .offset:         128
        .size:           8
        .value_kind:     global_buffer
      - .address_space:  global
        .offset:         136
        .size:           8
        .value_kind:     global_buffer
      - .offset:         144
        .size:           4
        .value_kind:     hidden_block_count_x
      - .offset:         148
        .size:           4
        .value_kind:     hidden_block_count_y
      - .offset:         152
        .size:           4
        .value_kind:     hidden_block_count_z
      - .offset:         156
        .size:           2
        .value_kind:     hidden_group_size_x
      - .offset:         158
        .size:           2
        .value_kind:     hidden_group_size_y
      - .offset:         160
        .size:           2
        .value_kind:     hidden_group_size_z
      - .offset:         162
        .size:           2
        .value_kind:     hidden_remainder_x
      - .offset:         164
        .size:           2
        .value_kind:     hidden_remainder_y
      - .offset:         166
        .size:           2
        .value_kind:     hidden_remainder_z
      - .offset:         184
        .size:           8
        .value_kind:     hidden_global_offset_x
      - .offset:         192
        .size:           8
        .value_kind:     hidden_global_offset_y
      - .offset:         200
        .size:           8
        .value_kind:     hidden_global_offset_z
      - .offset:         208
        .size:           2
        .value_kind:     hidden_grid_dims
    .group_segment_fixed_size: 8192
    .kernarg_segment_align: 8
    .kernarg_segment_size: 400
    .language:       OpenCL C
    .language_version:
      - 2
      - 0
    .max_flat_workgroup_size: 256
    .name:           _Z39paged_attention_ll4mi_QKV_mfma16_kernelIDF16_DF16_LN4vllm18Fp8KVCacheDataTypeE0EhLi16ELi64ELi256ELb1ELi8EEvPKT_PKT0_S7_ifPKiS9_S9_iPKfiiiPfSC_PS2_PT2_iSB_SB_
    .private_segment_fixed_size: 0
    .sgpr_count:     54
    .sgpr_spill_count: 0
    .symbol:         _Z39paged_attention_ll4mi_QKV_mfma16_kernelIDF16_DF16_LN4vllm18Fp8KVCacheDataTypeE0EhLi16ELi64ELi256ELb1ELi8EEvPKT_PKT0_S7_ifPKiS9_S9_iPKfiiiPfSC_PS2_PT2_iSB_SB_.kd
    .uniform_work_group_size: 1
    .uses_dynamic_stack: false
    .vgpr_count:     72
    .vgpr_spill_count: 0
    .wavefront_size: 64
  - .agpr_count:     0
    .args:
      - .actual_access:  read_only
        .address_space:  global
        .offset:         0
        .size:           8
        .value_kind:     global_buffer
      - .actual_access:  read_only
        .address_space:  global
        .offset:         8
        .size:           8
        .value_kind:     global_buffer
      - .actual_access:  read_only
        .address_space:  global
        .offset:         16
        .size:           8
        .value_kind:     global_buffer
      - .offset:         24
        .size:           4
        .value_kind:     by_value
      - .offset:         28
        .size:           4
        .value_kind:     by_value
      - .actual_access:  read_only
        .address_space:  global
        .offset:         32
        .size:           8
        .value_kind:     global_buffer
      - .actual_access:  read_only
        .address_space:  global
        .offset:         40
        .size:           8
        .value_kind:     global_buffer
      - .actual_access:  read_only
        .address_space:  global
        .offset:         48
        .size:           8
        .value_kind:     global_buffer
      - .offset:         56
        .size:           4
        .value_kind:     by_value
      - .actual_access:  read_only
        .address_space:  global
        .offset:         64
        .size:           8
        .value_kind:     global_buffer
      - .offset:         72
        .size:           4
        .value_kind:     by_value
      - .offset:         76
        .size:           4
        .value_kind:     by_value
      - .offset:         80
        .size:           4
        .value_kind:     by_value
      - .actual_access:  write_only
        .address_space:  global
        .offset:         88
        .size:           8
        .value_kind:     global_buffer
      - .actual_access:  write_only
        .address_space:  global
        .offset:         96
        .size:           8
        .value_kind:     global_buffer
      - .actual_access:  write_only
        .address_space:  global
        .offset:         104
        .size:           8
        .value_kind:     global_buffer
      - .actual_access:  read_only
        .address_space:  global
        .offset:         112
        .size:           8
        .value_kind:     global_buffer
      - .offset:         120
        .size:           4
        .value_kind:     by_value
      - .address_space:  global
        .offset:         128
        .size:           8
        .value_kind:     global_buffer
      - .address_space:  global
        .offset:         136
        .size:           8
        .value_kind:     global_buffer
      - .offset:         144
        .size:           4
        .value_kind:     hidden_block_count_x
      - .offset:         148
        .size:           4
        .value_kind:     hidden_block_count_y
      - .offset:         152
        .size:           4
        .value_kind:     hidden_block_count_z
      - .offset:         156
        .size:           2
        .value_kind:     hidden_group_size_x
      - .offset:         158
        .size:           2
        .value_kind:     hidden_group_size_y
      - .offset:         160
        .size:           2
        .value_kind:     hidden_group_size_z
      - .offset:         162
        .size:           2
        .value_kind:     hidden_remainder_x
      - .offset:         164
        .size:           2
        .value_kind:     hidden_remainder_y
      - .offset:         166
        .size:           2
        .value_kind:     hidden_remainder_z
      - .offset:         184
        .size:           8
        .value_kind:     hidden_global_offset_x
      - .offset:         192
        .size:           8
        .value_kind:     hidden_global_offset_y
      - .offset:         200
        .size:           8
        .value_kind:     hidden_global_offset_z
      - .offset:         208
        .size:           2
        .value_kind:     hidden_grid_dims
    .group_segment_fixed_size: 8192
    .kernarg_segment_align: 8
    .kernarg_segment_size: 400
    .language:       OpenCL C
    .language_version:
      - 2
      - 0
    .max_flat_workgroup_size: 256
    .name:           _Z39paged_attention_ll4mi_QKV_mfma16_kernelIDF16_DF16_LN4vllm18Fp8KVCacheDataTypeE0EhLi16ELi64ELi256ELb1ELi9EEvPKT_PKT0_S7_ifPKiS9_S9_iPKfiiiPfSC_PS2_PT2_iSB_SB_
    .private_segment_fixed_size: 0
    .sgpr_count:     54
    .sgpr_spill_count: 0
    .symbol:         _Z39paged_attention_ll4mi_QKV_mfma16_kernelIDF16_DF16_LN4vllm18Fp8KVCacheDataTypeE0EhLi16ELi64ELi256ELb1ELi9EEvPKT_PKT0_S7_ifPKiS9_S9_iPKfiiiPfSC_PS2_PT2_iSB_SB_.kd
    .uniform_work_group_size: 1
    .uses_dynamic_stack: false
    .vgpr_count:     72
    .vgpr_spill_count: 0
    .wavefront_size: 64
  - .agpr_count:     0
    .args:
      - .actual_access:  read_only
        .address_space:  global
        .offset:         0
        .size:           8
        .value_kind:     global_buffer
      - .actual_access:  read_only
        .address_space:  global
        .offset:         8
        .size:           8
        .value_kind:     global_buffer
      - .actual_access:  read_only
        .address_space:  global
        .offset:         16
        .size:           8
        .value_kind:     global_buffer
      - .offset:         24
        .size:           4
        .value_kind:     by_value
      - .offset:         28
        .size:           4
        .value_kind:     by_value
      - .actual_access:  read_only
        .address_space:  global
        .offset:         32
        .size:           8
        .value_kind:     global_buffer
      - .actual_access:  read_only
        .address_space:  global
        .offset:         40
        .size:           8
        .value_kind:     global_buffer
      - .actual_access:  read_only
        .address_space:  global
        .offset:         48
        .size:           8
        .value_kind:     global_buffer
      - .offset:         56
        .size:           4
        .value_kind:     by_value
      - .actual_access:  read_only
        .address_space:  global
        .offset:         64
        .size:           8
        .value_kind:     global_buffer
      - .offset:         72
        .size:           4
        .value_kind:     by_value
      - .offset:         76
        .size:           4
        .value_kind:     by_value
      - .offset:         80
        .size:           4
        .value_kind:     by_value
      - .actual_access:  write_only
        .address_space:  global
        .offset:         88
        .size:           8
        .value_kind:     global_buffer
      - .actual_access:  write_only
        .address_space:  global
        .offset:         96
        .size:           8
        .value_kind:     global_buffer
      - .actual_access:  write_only
        .address_space:  global
        .offset:         104
        .size:           8
        .value_kind:     global_buffer
      - .actual_access:  read_only
        .address_space:  global
        .offset:         112
        .size:           8
        .value_kind:     global_buffer
      - .offset:         120
        .size:           4
        .value_kind:     by_value
      - .address_space:  global
        .offset:         128
        .size:           8
        .value_kind:     global_buffer
      - .address_space:  global
        .offset:         136
        .size:           8
        .value_kind:     global_buffer
      - .offset:         144
        .size:           4
        .value_kind:     hidden_block_count_x
      - .offset:         148
        .size:           4
        .value_kind:     hidden_block_count_y
      - .offset:         152
        .size:           4
        .value_kind:     hidden_block_count_z
      - .offset:         156
        .size:           2
        .value_kind:     hidden_group_size_x
      - .offset:         158
        .size:           2
        .value_kind:     hidden_group_size_y
      - .offset:         160
        .size:           2
        .value_kind:     hidden_group_size_z
      - .offset:         162
        .size:           2
        .value_kind:     hidden_remainder_x
      - .offset:         164
        .size:           2
        .value_kind:     hidden_remainder_y
      - .offset:         166
        .size:           2
        .value_kind:     hidden_remainder_z
      - .offset:         184
        .size:           8
        .value_kind:     hidden_global_offset_x
      - .offset:         192
        .size:           8
        .value_kind:     hidden_global_offset_y
      - .offset:         200
        .size:           8
        .value_kind:     hidden_global_offset_z
      - .offset:         208
        .size:           2
        .value_kind:     hidden_grid_dims
    .group_segment_fixed_size: 8192
    .kernarg_segment_align: 8
    .kernarg_segment_size: 400
    .language:       OpenCL C
    .language_version:
      - 2
      - 0
    .max_flat_workgroup_size: 256
    .name:           _Z39paged_attention_ll4mi_QKV_mfma16_kernelIDF16_DF16_LN4vllm18Fp8KVCacheDataTypeE0EhLi16ELi64ELi256ELb1ELi10EEvPKT_PKT0_S7_ifPKiS9_S9_iPKfiiiPfSC_PS2_PT2_iSB_SB_
    .private_segment_fixed_size: 0
    .sgpr_count:     54
    .sgpr_spill_count: 0
    .symbol:         _Z39paged_attention_ll4mi_QKV_mfma16_kernelIDF16_DF16_LN4vllm18Fp8KVCacheDataTypeE0EhLi16ELi64ELi256ELb1ELi10EEvPKT_PKT0_S7_ifPKiS9_S9_iPKfiiiPfSC_PS2_PT2_iSB_SB_.kd
    .uniform_work_group_size: 1
    .uses_dynamic_stack: false
    .vgpr_count:     72
    .vgpr_spill_count: 0
    .wavefront_size: 64
  - .agpr_count:     0
    .args:
      - .actual_access:  read_only
        .address_space:  global
        .offset:         0
        .size:           8
        .value_kind:     global_buffer
      - .actual_access:  read_only
        .address_space:  global
        .offset:         8
        .size:           8
        .value_kind:     global_buffer
      - .actual_access:  read_only
        .address_space:  global
        .offset:         16
        .size:           8
        .value_kind:     global_buffer
      - .offset:         24
        .size:           4
        .value_kind:     by_value
      - .offset:         28
        .size:           4
        .value_kind:     by_value
      - .actual_access:  read_only
        .address_space:  global
        .offset:         32
        .size:           8
        .value_kind:     global_buffer
      - .actual_access:  read_only
        .address_space:  global
        .offset:         40
        .size:           8
        .value_kind:     global_buffer
      - .actual_access:  read_only
        .address_space:  global
        .offset:         48
        .size:           8
        .value_kind:     global_buffer
      - .offset:         56
        .size:           4
        .value_kind:     by_value
      - .actual_access:  read_only
        .address_space:  global
        .offset:         64
        .size:           8
        .value_kind:     global_buffer
      - .offset:         72
        .size:           4
        .value_kind:     by_value
      - .offset:         76
        .size:           4
        .value_kind:     by_value
      - .offset:         80
        .size:           4
        .value_kind:     by_value
      - .actual_access:  write_only
        .address_space:  global
        .offset:         88
        .size:           8
        .value_kind:     global_buffer
      - .actual_access:  write_only
        .address_space:  global
        .offset:         96
        .size:           8
        .value_kind:     global_buffer
      - .actual_access:  write_only
        .address_space:  global
        .offset:         104
        .size:           8
        .value_kind:     global_buffer
      - .actual_access:  read_only
        .address_space:  global
        .offset:         112
        .size:           8
        .value_kind:     global_buffer
      - .offset:         120
        .size:           4
        .value_kind:     by_value
      - .address_space:  global
        .offset:         128
        .size:           8
        .value_kind:     global_buffer
      - .address_space:  global
        .offset:         136
        .size:           8
        .value_kind:     global_buffer
      - .offset:         144
        .size:           4
        .value_kind:     hidden_block_count_x
      - .offset:         148
        .size:           4
        .value_kind:     hidden_block_count_y
      - .offset:         152
        .size:           4
        .value_kind:     hidden_block_count_z
      - .offset:         156
        .size:           2
        .value_kind:     hidden_group_size_x
      - .offset:         158
        .size:           2
        .value_kind:     hidden_group_size_y
      - .offset:         160
        .size:           2
        .value_kind:     hidden_group_size_z
      - .offset:         162
        .size:           2
        .value_kind:     hidden_remainder_x
      - .offset:         164
        .size:           2
        .value_kind:     hidden_remainder_y
      - .offset:         166
        .size:           2
        .value_kind:     hidden_remainder_z
      - .offset:         184
        .size:           8
        .value_kind:     hidden_global_offset_x
      - .offset:         192
        .size:           8
        .value_kind:     hidden_global_offset_y
      - .offset:         200
        .size:           8
        .value_kind:     hidden_global_offset_z
      - .offset:         208
        .size:           2
        .value_kind:     hidden_grid_dims
    .group_segment_fixed_size: 8192
    .kernarg_segment_align: 8
    .kernarg_segment_size: 400
    .language:       OpenCL C
    .language_version:
      - 2
      - 0
    .max_flat_workgroup_size: 256
    .name:           _Z39paged_attention_ll4mi_QKV_mfma16_kernelIDF16_DF16_LN4vllm18Fp8KVCacheDataTypeE0EhLi16ELi64ELi256ELb1ELi11EEvPKT_PKT0_S7_ifPKiS9_S9_iPKfiiiPfSC_PS2_PT2_iSB_SB_
    .private_segment_fixed_size: 0
    .sgpr_count:     54
    .sgpr_spill_count: 0
    .symbol:         _Z39paged_attention_ll4mi_QKV_mfma16_kernelIDF16_DF16_LN4vllm18Fp8KVCacheDataTypeE0EhLi16ELi64ELi256ELb1ELi11EEvPKT_PKT0_S7_ifPKiS9_S9_iPKfiiiPfSC_PS2_PT2_iSB_SB_.kd
    .uniform_work_group_size: 1
    .uses_dynamic_stack: false
    .vgpr_count:     72
    .vgpr_spill_count: 0
    .wavefront_size: 64
  - .agpr_count:     0
    .args:
      - .actual_access:  read_only
        .address_space:  global
        .offset:         0
        .size:           8
        .value_kind:     global_buffer
      - .actual_access:  read_only
        .address_space:  global
        .offset:         8
        .size:           8
        .value_kind:     global_buffer
      - .actual_access:  read_only
        .address_space:  global
        .offset:         16
        .size:           8
        .value_kind:     global_buffer
      - .offset:         24
        .size:           4
        .value_kind:     by_value
      - .offset:         28
        .size:           4
        .value_kind:     by_value
      - .actual_access:  read_only
        .address_space:  global
        .offset:         32
        .size:           8
        .value_kind:     global_buffer
      - .actual_access:  read_only
        .address_space:  global
        .offset:         40
        .size:           8
        .value_kind:     global_buffer
      - .actual_access:  read_only
        .address_space:  global
        .offset:         48
        .size:           8
        .value_kind:     global_buffer
      - .offset:         56
        .size:           4
        .value_kind:     by_value
      - .actual_access:  read_only
        .address_space:  global
        .offset:         64
        .size:           8
        .value_kind:     global_buffer
      - .offset:         72
        .size:           4
        .value_kind:     by_value
      - .offset:         76
        .size:           4
        .value_kind:     by_value
      - .offset:         80
        .size:           4
        .value_kind:     by_value
      - .actual_access:  write_only
        .address_space:  global
        .offset:         88
        .size:           8
        .value_kind:     global_buffer
      - .actual_access:  write_only
        .address_space:  global
        .offset:         96
        .size:           8
        .value_kind:     global_buffer
      - .actual_access:  write_only
        .address_space:  global
        .offset:         104
        .size:           8
        .value_kind:     global_buffer
      - .actual_access:  read_only
        .address_space:  global
        .offset:         112
        .size:           8
        .value_kind:     global_buffer
      - .offset:         120
        .size:           4
        .value_kind:     by_value
      - .address_space:  global
        .offset:         128
        .size:           8
        .value_kind:     global_buffer
      - .address_space:  global
        .offset:         136
        .size:           8
        .value_kind:     global_buffer
      - .offset:         144
        .size:           4
        .value_kind:     hidden_block_count_x
      - .offset:         148
        .size:           4
        .value_kind:     hidden_block_count_y
      - .offset:         152
        .size:           4
        .value_kind:     hidden_block_count_z
      - .offset:         156
        .size:           2
        .value_kind:     hidden_group_size_x
      - .offset:         158
        .size:           2
        .value_kind:     hidden_group_size_y
      - .offset:         160
        .size:           2
        .value_kind:     hidden_group_size_z
      - .offset:         162
        .size:           2
        .value_kind:     hidden_remainder_x
      - .offset:         164
        .size:           2
        .value_kind:     hidden_remainder_y
      - .offset:         166
        .size:           2
        .value_kind:     hidden_remainder_z
      - .offset:         184
        .size:           8
        .value_kind:     hidden_global_offset_x
      - .offset:         192
        .size:           8
        .value_kind:     hidden_global_offset_y
      - .offset:         200
        .size:           8
        .value_kind:     hidden_global_offset_z
      - .offset:         208
        .size:           2
        .value_kind:     hidden_grid_dims
    .group_segment_fixed_size: 8192
    .kernarg_segment_align: 8
    .kernarg_segment_size: 400
    .language:       OpenCL C
    .language_version:
      - 2
      - 0
    .max_flat_workgroup_size: 256
    .name:           _Z39paged_attention_ll4mi_QKV_mfma16_kernelIDF16_DF16_LN4vllm18Fp8KVCacheDataTypeE0EhLi16ELi64ELi256ELb1ELi12EEvPKT_PKT0_S7_ifPKiS9_S9_iPKfiiiPfSC_PS2_PT2_iSB_SB_
    .private_segment_fixed_size: 0
    .sgpr_count:     54
    .sgpr_spill_count: 0
    .symbol:         _Z39paged_attention_ll4mi_QKV_mfma16_kernelIDF16_DF16_LN4vllm18Fp8KVCacheDataTypeE0EhLi16ELi64ELi256ELb1ELi12EEvPKT_PKT0_S7_ifPKiS9_S9_iPKfiiiPfSC_PS2_PT2_iSB_SB_.kd
    .uniform_work_group_size: 1
    .uses_dynamic_stack: false
    .vgpr_count:     72
    .vgpr_spill_count: 0
    .wavefront_size: 64
  - .agpr_count:     0
    .args:
      - .actual_access:  read_only
        .address_space:  global
        .offset:         0
        .size:           8
        .value_kind:     global_buffer
      - .actual_access:  read_only
        .address_space:  global
        .offset:         8
        .size:           8
        .value_kind:     global_buffer
      - .actual_access:  read_only
        .address_space:  global
        .offset:         16
        .size:           8
        .value_kind:     global_buffer
      - .offset:         24
        .size:           4
        .value_kind:     by_value
      - .offset:         28
        .size:           4
        .value_kind:     by_value
      - .actual_access:  read_only
        .address_space:  global
        .offset:         32
        .size:           8
        .value_kind:     global_buffer
      - .actual_access:  read_only
        .address_space:  global
        .offset:         40
        .size:           8
        .value_kind:     global_buffer
      - .actual_access:  read_only
        .address_space:  global
        .offset:         48
        .size:           8
        .value_kind:     global_buffer
      - .offset:         56
        .size:           4
        .value_kind:     by_value
      - .actual_access:  read_only
        .address_space:  global
        .offset:         64
        .size:           8
        .value_kind:     global_buffer
      - .offset:         72
        .size:           4
        .value_kind:     by_value
      - .offset:         76
        .size:           4
        .value_kind:     by_value
      - .offset:         80
        .size:           4
        .value_kind:     by_value
      - .actual_access:  write_only
        .address_space:  global
        .offset:         88
        .size:           8
        .value_kind:     global_buffer
      - .actual_access:  write_only
        .address_space:  global
        .offset:         96
        .size:           8
        .value_kind:     global_buffer
      - .actual_access:  write_only
        .address_space:  global
        .offset:         104
        .size:           8
        .value_kind:     global_buffer
      - .actual_access:  read_only
        .address_space:  global
        .offset:         112
        .size:           8
        .value_kind:     global_buffer
      - .offset:         120
        .size:           4
        .value_kind:     by_value
      - .address_space:  global
        .offset:         128
        .size:           8
        .value_kind:     global_buffer
      - .address_space:  global
        .offset:         136
        .size:           8
        .value_kind:     global_buffer
      - .offset:         144
        .size:           4
        .value_kind:     hidden_block_count_x
      - .offset:         148
        .size:           4
        .value_kind:     hidden_block_count_y
      - .offset:         152
        .size:           4
        .value_kind:     hidden_block_count_z
      - .offset:         156
        .size:           2
        .value_kind:     hidden_group_size_x
      - .offset:         158
        .size:           2
        .value_kind:     hidden_group_size_y
      - .offset:         160
        .size:           2
        .value_kind:     hidden_group_size_z
      - .offset:         162
        .size:           2
        .value_kind:     hidden_remainder_x
      - .offset:         164
        .size:           2
        .value_kind:     hidden_remainder_y
      - .offset:         166
        .size:           2
        .value_kind:     hidden_remainder_z
      - .offset:         184
        .size:           8
        .value_kind:     hidden_global_offset_x
      - .offset:         192
        .size:           8
        .value_kind:     hidden_global_offset_y
      - .offset:         200
        .size:           8
        .value_kind:     hidden_global_offset_z
      - .offset:         208
        .size:           2
        .value_kind:     hidden_grid_dims
    .group_segment_fixed_size: 8192
    .kernarg_segment_align: 8
    .kernarg_segment_size: 400
    .language:       OpenCL C
    .language_version:
      - 2
      - 0
    .max_flat_workgroup_size: 256
    .name:           _Z39paged_attention_ll4mi_QKV_mfma16_kernelIDF16_DF16_LN4vllm18Fp8KVCacheDataTypeE0EhLi16ELi64ELi256ELb1ELi13EEvPKT_PKT0_S7_ifPKiS9_S9_iPKfiiiPfSC_PS2_PT2_iSB_SB_
    .private_segment_fixed_size: 0
    .sgpr_count:     54
    .sgpr_spill_count: 0
    .symbol:         _Z39paged_attention_ll4mi_QKV_mfma16_kernelIDF16_DF16_LN4vllm18Fp8KVCacheDataTypeE0EhLi16ELi64ELi256ELb1ELi13EEvPKT_PKT0_S7_ifPKiS9_S9_iPKfiiiPfSC_PS2_PT2_iSB_SB_.kd
    .uniform_work_group_size: 1
    .uses_dynamic_stack: false
    .vgpr_count:     72
    .vgpr_spill_count: 0
    .wavefront_size: 64
  - .agpr_count:     0
    .args:
      - .actual_access:  read_only
        .address_space:  global
        .offset:         0
        .size:           8
        .value_kind:     global_buffer
      - .actual_access:  read_only
        .address_space:  global
        .offset:         8
        .size:           8
        .value_kind:     global_buffer
      - .actual_access:  read_only
        .address_space:  global
        .offset:         16
        .size:           8
        .value_kind:     global_buffer
      - .offset:         24
        .size:           4
        .value_kind:     by_value
      - .offset:         28
        .size:           4
        .value_kind:     by_value
      - .actual_access:  read_only
        .address_space:  global
        .offset:         32
        .size:           8
        .value_kind:     global_buffer
      - .actual_access:  read_only
        .address_space:  global
        .offset:         40
        .size:           8
        .value_kind:     global_buffer
      - .actual_access:  read_only
        .address_space:  global
        .offset:         48
        .size:           8
        .value_kind:     global_buffer
      - .offset:         56
        .size:           4
        .value_kind:     by_value
      - .actual_access:  read_only
        .address_space:  global
        .offset:         64
        .size:           8
        .value_kind:     global_buffer
      - .offset:         72
        .size:           4
        .value_kind:     by_value
      - .offset:         76
        .size:           4
        .value_kind:     by_value
      - .offset:         80
        .size:           4
        .value_kind:     by_value
      - .actual_access:  write_only
        .address_space:  global
        .offset:         88
        .size:           8
        .value_kind:     global_buffer
      - .actual_access:  write_only
        .address_space:  global
        .offset:         96
        .size:           8
        .value_kind:     global_buffer
      - .actual_access:  write_only
        .address_space:  global
        .offset:         104
        .size:           8
        .value_kind:     global_buffer
      - .actual_access:  read_only
        .address_space:  global
        .offset:         112
        .size:           8
        .value_kind:     global_buffer
      - .offset:         120
        .size:           4
        .value_kind:     by_value
      - .address_space:  global
        .offset:         128
        .size:           8
        .value_kind:     global_buffer
      - .address_space:  global
        .offset:         136
        .size:           8
        .value_kind:     global_buffer
      - .offset:         144
        .size:           4
        .value_kind:     hidden_block_count_x
      - .offset:         148
        .size:           4
        .value_kind:     hidden_block_count_y
      - .offset:         152
        .size:           4
        .value_kind:     hidden_block_count_z
      - .offset:         156
        .size:           2
        .value_kind:     hidden_group_size_x
      - .offset:         158
        .size:           2
        .value_kind:     hidden_group_size_y
      - .offset:         160
        .size:           2
        .value_kind:     hidden_group_size_z
      - .offset:         162
        .size:           2
        .value_kind:     hidden_remainder_x
      - .offset:         164
        .size:           2
        .value_kind:     hidden_remainder_y
      - .offset:         166
        .size:           2
        .value_kind:     hidden_remainder_z
      - .offset:         184
        .size:           8
        .value_kind:     hidden_global_offset_x
      - .offset:         192
        .size:           8
        .value_kind:     hidden_global_offset_y
      - .offset:         200
        .size:           8
        .value_kind:     hidden_global_offset_z
      - .offset:         208
        .size:           2
        .value_kind:     hidden_grid_dims
    .group_segment_fixed_size: 8192
    .kernarg_segment_align: 8
    .kernarg_segment_size: 400
    .language:       OpenCL C
    .language_version:
      - 2
      - 0
    .max_flat_workgroup_size: 256
    .name:           _Z39paged_attention_ll4mi_QKV_mfma16_kernelIDF16_DF16_LN4vllm18Fp8KVCacheDataTypeE0EhLi16ELi64ELi256ELb1ELi14EEvPKT_PKT0_S7_ifPKiS9_S9_iPKfiiiPfSC_PS2_PT2_iSB_SB_
    .private_segment_fixed_size: 0
    .sgpr_count:     54
    .sgpr_spill_count: 0
    .symbol:         _Z39paged_attention_ll4mi_QKV_mfma16_kernelIDF16_DF16_LN4vllm18Fp8KVCacheDataTypeE0EhLi16ELi64ELi256ELb1ELi14EEvPKT_PKT0_S7_ifPKiS9_S9_iPKfiiiPfSC_PS2_PT2_iSB_SB_.kd
    .uniform_work_group_size: 1
    .uses_dynamic_stack: false
    .vgpr_count:     72
    .vgpr_spill_count: 0
    .wavefront_size: 64
  - .agpr_count:     0
    .args:
      - .actual_access:  read_only
        .address_space:  global
        .offset:         0
        .size:           8
        .value_kind:     global_buffer
      - .actual_access:  read_only
        .address_space:  global
        .offset:         8
        .size:           8
        .value_kind:     global_buffer
      - .actual_access:  read_only
        .address_space:  global
        .offset:         16
        .size:           8
        .value_kind:     global_buffer
      - .offset:         24
        .size:           4
        .value_kind:     by_value
      - .offset:         28
        .size:           4
        .value_kind:     by_value
      - .actual_access:  read_only
        .address_space:  global
        .offset:         32
        .size:           8
        .value_kind:     global_buffer
      - .actual_access:  read_only
        .address_space:  global
        .offset:         40
        .size:           8
        .value_kind:     global_buffer
      - .actual_access:  read_only
        .address_space:  global
        .offset:         48
        .size:           8
        .value_kind:     global_buffer
      - .offset:         56
        .size:           4
        .value_kind:     by_value
      - .actual_access:  read_only
        .address_space:  global
        .offset:         64
        .size:           8
        .value_kind:     global_buffer
      - .offset:         72
        .size:           4
        .value_kind:     by_value
      - .offset:         76
        .size:           4
        .value_kind:     by_value
      - .offset:         80
        .size:           4
        .value_kind:     by_value
      - .actual_access:  write_only
        .address_space:  global
        .offset:         88
        .size:           8
        .value_kind:     global_buffer
      - .actual_access:  write_only
        .address_space:  global
        .offset:         96
        .size:           8
        .value_kind:     global_buffer
      - .actual_access:  write_only
        .address_space:  global
        .offset:         104
        .size:           8
        .value_kind:     global_buffer
      - .actual_access:  read_only
        .address_space:  global
        .offset:         112
        .size:           8
        .value_kind:     global_buffer
      - .offset:         120
        .size:           4
        .value_kind:     by_value
      - .address_space:  global
        .offset:         128
        .size:           8
        .value_kind:     global_buffer
      - .address_space:  global
        .offset:         136
        .size:           8
        .value_kind:     global_buffer
      - .offset:         144
        .size:           4
        .value_kind:     hidden_block_count_x
      - .offset:         148
        .size:           4
        .value_kind:     hidden_block_count_y
      - .offset:         152
        .size:           4
        .value_kind:     hidden_block_count_z
      - .offset:         156
        .size:           2
        .value_kind:     hidden_group_size_x
      - .offset:         158
        .size:           2
        .value_kind:     hidden_group_size_y
      - .offset:         160
        .size:           2
        .value_kind:     hidden_group_size_z
      - .offset:         162
        .size:           2
        .value_kind:     hidden_remainder_x
      - .offset:         164
        .size:           2
        .value_kind:     hidden_remainder_y
      - .offset:         166
        .size:           2
        .value_kind:     hidden_remainder_z
      - .offset:         184
        .size:           8
        .value_kind:     hidden_global_offset_x
      - .offset:         192
        .size:           8
        .value_kind:     hidden_global_offset_y
      - .offset:         200
        .size:           8
        .value_kind:     hidden_global_offset_z
      - .offset:         208
        .size:           2
        .value_kind:     hidden_grid_dims
    .group_segment_fixed_size: 8192
    .kernarg_segment_align: 8
    .kernarg_segment_size: 400
    .language:       OpenCL C
    .language_version:
      - 2
      - 0
    .max_flat_workgroup_size: 256
    .name:           _Z39paged_attention_ll4mi_QKV_mfma16_kernelIDF16_DF16_LN4vllm18Fp8KVCacheDataTypeE0EhLi16ELi64ELi256ELb1ELi15EEvPKT_PKT0_S7_ifPKiS9_S9_iPKfiiiPfSC_PS2_PT2_iSB_SB_
    .private_segment_fixed_size: 0
    .sgpr_count:     54
    .sgpr_spill_count: 0
    .symbol:         _Z39paged_attention_ll4mi_QKV_mfma16_kernelIDF16_DF16_LN4vllm18Fp8KVCacheDataTypeE0EhLi16ELi64ELi256ELb1ELi15EEvPKT_PKT0_S7_ifPKiS9_S9_iPKfiiiPfSC_PS2_PT2_iSB_SB_.kd
    .uniform_work_group_size: 1
    .uses_dynamic_stack: false
    .vgpr_count:     72
    .vgpr_spill_count: 0
    .wavefront_size: 64
  - .agpr_count:     0
    .args:
      - .actual_access:  read_only
        .address_space:  global
        .offset:         0
        .size:           8
        .value_kind:     global_buffer
      - .actual_access:  read_only
        .address_space:  global
        .offset:         8
        .size:           8
        .value_kind:     global_buffer
      - .actual_access:  read_only
        .address_space:  global
        .offset:         16
        .size:           8
        .value_kind:     global_buffer
      - .offset:         24
        .size:           4
        .value_kind:     by_value
      - .offset:         28
        .size:           4
        .value_kind:     by_value
      - .actual_access:  read_only
        .address_space:  global
        .offset:         32
        .size:           8
        .value_kind:     global_buffer
      - .actual_access:  read_only
        .address_space:  global
        .offset:         40
        .size:           8
        .value_kind:     global_buffer
      - .actual_access:  read_only
        .address_space:  global
        .offset:         48
        .size:           8
        .value_kind:     global_buffer
      - .offset:         56
        .size:           4
        .value_kind:     by_value
      - .actual_access:  read_only
        .address_space:  global
        .offset:         64
        .size:           8
        .value_kind:     global_buffer
      - .offset:         72
        .size:           4
        .value_kind:     by_value
      - .offset:         76
        .size:           4
        .value_kind:     by_value
      - .offset:         80
        .size:           4
        .value_kind:     by_value
      - .actual_access:  write_only
        .address_space:  global
        .offset:         88
        .size:           8
        .value_kind:     global_buffer
      - .actual_access:  write_only
        .address_space:  global
        .offset:         96
        .size:           8
        .value_kind:     global_buffer
      - .actual_access:  write_only
        .address_space:  global
        .offset:         104
        .size:           8
        .value_kind:     global_buffer
      - .actual_access:  read_only
        .address_space:  global
        .offset:         112
        .size:           8
        .value_kind:     global_buffer
      - .offset:         120
        .size:           4
        .value_kind:     by_value
      - .address_space:  global
        .offset:         128
        .size:           8
        .value_kind:     global_buffer
      - .address_space:  global
        .offset:         136
        .size:           8
        .value_kind:     global_buffer
      - .offset:         144
        .size:           4
        .value_kind:     hidden_block_count_x
      - .offset:         148
        .size:           4
        .value_kind:     hidden_block_count_y
      - .offset:         152
        .size:           4
        .value_kind:     hidden_block_count_z
      - .offset:         156
        .size:           2
        .value_kind:     hidden_group_size_x
      - .offset:         158
        .size:           2
        .value_kind:     hidden_group_size_y
      - .offset:         160
        .size:           2
        .value_kind:     hidden_group_size_z
      - .offset:         162
        .size:           2
        .value_kind:     hidden_remainder_x
      - .offset:         164
        .size:           2
        .value_kind:     hidden_remainder_y
      - .offset:         166
        .size:           2
        .value_kind:     hidden_remainder_z
      - .offset:         184
        .size:           8
        .value_kind:     hidden_global_offset_x
      - .offset:         192
        .size:           8
        .value_kind:     hidden_global_offset_y
      - .offset:         200
        .size:           8
        .value_kind:     hidden_global_offset_z
      - .offset:         208
        .size:           2
        .value_kind:     hidden_grid_dims
    .group_segment_fixed_size: 8192
    .kernarg_segment_align: 8
    .kernarg_segment_size: 400
    .language:       OpenCL C
    .language_version:
      - 2
      - 0
    .max_flat_workgroup_size: 256
    .name:           _Z39paged_attention_ll4mi_QKV_mfma16_kernelIDF16_DF16_LN4vllm18Fp8KVCacheDataTypeE0EhLi16ELi64ELi256ELb1ELi16EEvPKT_PKT0_S7_ifPKiS9_S9_iPKfiiiPfSC_PS2_PT2_iSB_SB_
    .private_segment_fixed_size: 0
    .sgpr_count:     54
    .sgpr_spill_count: 0
    .symbol:         _Z39paged_attention_ll4mi_QKV_mfma16_kernelIDF16_DF16_LN4vllm18Fp8KVCacheDataTypeE0EhLi16ELi64ELi256ELb1ELi16EEvPKT_PKT0_S7_ifPKiS9_S9_iPKfiiiPfSC_PS2_PT2_iSB_SB_.kd
    .uniform_work_group_size: 1
    .uses_dynamic_stack: false
    .vgpr_count:     72
    .vgpr_spill_count: 0
    .wavefront_size: 64
  - .agpr_count:     0
    .args:
      - .actual_access:  write_only
        .address_space:  global
        .offset:         0
        .size:           8
        .value_kind:     global_buffer
      - .actual_access:  read_only
        .address_space:  global
        .offset:         8
        .size:           8
        .value_kind:     global_buffer
      - .actual_access:  read_only
        .address_space:  global
        .offset:         16
        .size:           8
        .value_kind:     global_buffer
      - .actual_access:  read_only
        .address_space:  global
        .offset:         24
        .size:           8
        .value_kind:     global_buffer
      - .actual_access:  read_only
        .address_space:  global
        .offset:         32
        .size:           8
        .value_kind:     global_buffer
      - .actual_access:  read_only
        .address_space:  global
        .offset:         40
        .size:           8
        .value_kind:     global_buffer
      - .offset:         48
        .size:           4
        .value_kind:     by_value
      - .actual_access:  read_only
        .address_space:  global
        .offset:         56
        .size:           8
        .value_kind:     global_buffer
      - .offset:         64
        .size:           4
        .value_kind:     hidden_block_count_x
      - .offset:         68
        .size:           4
        .value_kind:     hidden_block_count_y
      - .offset:         72
        .size:           4
        .value_kind:     hidden_block_count_z
      - .offset:         76
        .size:           2
        .value_kind:     hidden_group_size_x
      - .offset:         78
        .size:           2
        .value_kind:     hidden_group_size_y
      - .offset:         80
        .size:           2
        .value_kind:     hidden_group_size_z
      - .offset:         82
        .size:           2
        .value_kind:     hidden_remainder_x
      - .offset:         84
        .size:           2
        .value_kind:     hidden_remainder_y
      - .offset:         86
        .size:           2
        .value_kind:     hidden_remainder_z
      - .offset:         104
        .size:           8
        .value_kind:     hidden_global_offset_x
      - .offset:         112
        .size:           8
        .value_kind:     hidden_global_offset_y
      - .offset:         120
        .size:           8
        .value_kind:     hidden_global_offset_z
      - .offset:         128
        .size:           2
        .value_kind:     hidden_grid_dims
    .group_segment_fixed_size: 260
    .kernarg_segment_align: 8
    .kernarg_segment_size: 320
    .language:       OpenCL C
    .language_version:
      - 2
      - 0
    .max_flat_workgroup_size: 64
    .name:           _Z35paged_attention_ll4mi_reduce_kernelIDF16_hLi64ELi64ELi256ELi1EEvPT0_PKfS3_PKT_PKiS8_iS3_
    .private_segment_fixed_size: 0
    .sgpr_count:     36
    .sgpr_spill_count: 0
    .symbol:         _Z35paged_attention_ll4mi_reduce_kernelIDF16_hLi64ELi64ELi256ELi1EEvPT0_PKfS3_PKT_PKiS8_iS3_.kd
    .uniform_work_group_size: 1
    .uses_dynamic_stack: false
    .vgpr_count:     92
    .vgpr_spill_count: 0
    .wavefront_size: 64
  - .agpr_count:     0
    .args:
      - .actual_access:  write_only
        .address_space:  global
        .offset:         0
        .size:           8
        .value_kind:     global_buffer
      - .actual_access:  read_only
        .address_space:  global
        .offset:         8
        .size:           8
        .value_kind:     global_buffer
      - .actual_access:  read_only
        .address_space:  global
        .offset:         16
        .size:           8
        .value_kind:     global_buffer
      - .actual_access:  read_only
        .address_space:  global
        .offset:         24
        .size:           8
        .value_kind:     global_buffer
      - .actual_access:  read_only
        .address_space:  global
        .offset:         32
        .size:           8
        .value_kind:     global_buffer
      - .actual_access:  read_only
        .address_space:  global
        .offset:         40
        .size:           8
        .value_kind:     global_buffer
      - .offset:         48
        .size:           4
        .value_kind:     by_value
      - .actual_access:  read_only
        .address_space:  global
        .offset:         56
        .size:           8
        .value_kind:     global_buffer
      - .offset:         64
        .size:           4
        .value_kind:     hidden_block_count_x
      - .offset:         68
        .size:           4
        .value_kind:     hidden_block_count_y
      - .offset:         72
        .size:           4
        .value_kind:     hidden_block_count_z
      - .offset:         76
        .size:           2
        .value_kind:     hidden_group_size_x
      - .offset:         78
        .size:           2
        .value_kind:     hidden_group_size_y
      - .offset:         80
        .size:           2
        .value_kind:     hidden_group_size_z
      - .offset:         82
        .size:           2
        .value_kind:     hidden_remainder_x
      - .offset:         84
        .size:           2
        .value_kind:     hidden_remainder_y
      - .offset:         86
        .size:           2
        .value_kind:     hidden_remainder_z
      - .offset:         104
        .size:           8
        .value_kind:     hidden_global_offset_x
      - .offset:         112
        .size:           8
        .value_kind:     hidden_global_offset_y
      - .offset:         120
        .size:           8
        .value_kind:     hidden_global_offset_z
      - .offset:         128
        .size:           2
        .value_kind:     hidden_grid_dims
    .group_segment_fixed_size: 516
    .kernarg_segment_align: 8
    .kernarg_segment_size: 320
    .language:       OpenCL C
    .language_version:
      - 2
      - 0
    .max_flat_workgroup_size: 64
    .name:           _Z35paged_attention_ll4mi_reduce_kernelIDF16_hLi64ELi64ELi256ELi2EEvPT0_PKfS3_PKT_PKiS8_iS3_
    .private_segment_fixed_size: 0
    .sgpr_count:     38
    .sgpr_spill_count: 0
    .symbol:         _Z35paged_attention_ll4mi_reduce_kernelIDF16_hLi64ELi64ELi256ELi2EEvPT0_PKfS3_PKT_PKiS8_iS3_.kd
    .uniform_work_group_size: 1
    .uses_dynamic_stack: false
    .vgpr_count:     92
    .vgpr_spill_count: 0
    .wavefront_size: 64
  - .agpr_count:     0
    .args:
      - .actual_access:  write_only
        .address_space:  global
        .offset:         0
        .size:           8
        .value_kind:     global_buffer
      - .actual_access:  read_only
        .address_space:  global
        .offset:         8
        .size:           8
        .value_kind:     global_buffer
      - .actual_access:  read_only
        .address_space:  global
        .offset:         16
        .size:           8
        .value_kind:     global_buffer
      - .actual_access:  read_only
        .address_space:  global
        .offset:         24
        .size:           8
        .value_kind:     global_buffer
      - .actual_access:  read_only
        .address_space:  global
        .offset:         32
        .size:           8
        .value_kind:     global_buffer
      - .actual_access:  read_only
        .address_space:  global
        .offset:         40
        .size:           8
        .value_kind:     global_buffer
      - .offset:         48
        .size:           4
        .value_kind:     by_value
      - .actual_access:  read_only
        .address_space:  global
        .offset:         56
        .size:           8
        .value_kind:     global_buffer
      - .offset:         64
        .size:           4
        .value_kind:     hidden_block_count_x
      - .offset:         68
        .size:           4
        .value_kind:     hidden_block_count_y
      - .offset:         72
        .size:           4
        .value_kind:     hidden_block_count_z
      - .offset:         76
        .size:           2
        .value_kind:     hidden_group_size_x
      - .offset:         78
        .size:           2
        .value_kind:     hidden_group_size_y
      - .offset:         80
        .size:           2
        .value_kind:     hidden_group_size_z
      - .offset:         82
        .size:           2
        .value_kind:     hidden_remainder_x
      - .offset:         84
        .size:           2
        .value_kind:     hidden_remainder_y
      - .offset:         86
        .size:           2
        .value_kind:     hidden_remainder_z
      - .offset:         104
        .size:           8
        .value_kind:     hidden_global_offset_x
      - .offset:         112
        .size:           8
        .value_kind:     hidden_global_offset_y
      - .offset:         120
        .size:           8
        .value_kind:     hidden_global_offset_z
      - .offset:         128
        .size:           2
        .value_kind:     hidden_grid_dims
    .group_segment_fixed_size: 772
    .kernarg_segment_align: 8
    .kernarg_segment_size: 320
    .language:       OpenCL C
    .language_version:
      - 2
      - 0
    .max_flat_workgroup_size: 64
    .name:           _Z35paged_attention_ll4mi_reduce_kernelIDF16_hLi64ELi64ELi256ELi3EEvPT0_PKfS3_PKT_PKiS8_iS3_
    .private_segment_fixed_size: 0
    .sgpr_count:     42
    .sgpr_spill_count: 0
    .symbol:         _Z35paged_attention_ll4mi_reduce_kernelIDF16_hLi64ELi64ELi256ELi3EEvPT0_PKfS3_PKT_PKiS8_iS3_.kd
    .uniform_work_group_size: 1
    .uses_dynamic_stack: false
    .vgpr_count:     92
    .vgpr_spill_count: 0
    .wavefront_size: 64
  - .agpr_count:     0
    .args:
      - .actual_access:  write_only
        .address_space:  global
        .offset:         0
        .size:           8
        .value_kind:     global_buffer
      - .actual_access:  read_only
        .address_space:  global
        .offset:         8
        .size:           8
        .value_kind:     global_buffer
      - .actual_access:  read_only
        .address_space:  global
        .offset:         16
        .size:           8
        .value_kind:     global_buffer
      - .actual_access:  read_only
        .address_space:  global
        .offset:         24
        .size:           8
        .value_kind:     global_buffer
      - .actual_access:  read_only
        .address_space:  global
        .offset:         32
        .size:           8
        .value_kind:     global_buffer
      - .actual_access:  read_only
        .address_space:  global
        .offset:         40
        .size:           8
        .value_kind:     global_buffer
      - .offset:         48
        .size:           4
        .value_kind:     by_value
      - .actual_access:  read_only
        .address_space:  global
        .offset:         56
        .size:           8
        .value_kind:     global_buffer
      - .offset:         64
        .size:           4
        .value_kind:     hidden_block_count_x
      - .offset:         68
        .size:           4
        .value_kind:     hidden_block_count_y
      - .offset:         72
        .size:           4
        .value_kind:     hidden_block_count_z
      - .offset:         76
        .size:           2
        .value_kind:     hidden_group_size_x
      - .offset:         78
        .size:           2
        .value_kind:     hidden_group_size_y
      - .offset:         80
        .size:           2
        .value_kind:     hidden_group_size_z
      - .offset:         82
        .size:           2
        .value_kind:     hidden_remainder_x
      - .offset:         84
        .size:           2
        .value_kind:     hidden_remainder_y
      - .offset:         86
        .size:           2
        .value_kind:     hidden_remainder_z
      - .offset:         104
        .size:           8
        .value_kind:     hidden_global_offset_x
      - .offset:         112
        .size:           8
        .value_kind:     hidden_global_offset_y
      - .offset:         120
        .size:           8
        .value_kind:     hidden_global_offset_z
      - .offset:         128
        .size:           2
        .value_kind:     hidden_grid_dims
    .group_segment_fixed_size: 1028
    .kernarg_segment_align: 8
    .kernarg_segment_size: 320
    .language:       OpenCL C
    .language_version:
      - 2
      - 0
    .max_flat_workgroup_size: 64
    .name:           _Z35paged_attention_ll4mi_reduce_kernelIDF16_hLi64ELi64ELi256ELi4EEvPT0_PKfS3_PKT_PKiS8_iS3_
    .private_segment_fixed_size: 0
    .sgpr_count:     44
    .sgpr_spill_count: 0
    .symbol:         _Z35paged_attention_ll4mi_reduce_kernelIDF16_hLi64ELi64ELi256ELi4EEvPT0_PKfS3_PKT_PKiS8_iS3_.kd
    .uniform_work_group_size: 1
    .uses_dynamic_stack: false
    .vgpr_count:     92
    .vgpr_spill_count: 0
    .wavefront_size: 64
  - .agpr_count:     0
    .args:
      - .actual_access:  write_only
        .address_space:  global
        .offset:         0
        .size:           8
        .value_kind:     global_buffer
      - .actual_access:  read_only
        .address_space:  global
        .offset:         8
        .size:           8
        .value_kind:     global_buffer
      - .actual_access:  read_only
        .address_space:  global
        .offset:         16
        .size:           8
        .value_kind:     global_buffer
      - .actual_access:  read_only
        .address_space:  global
        .offset:         24
        .size:           8
        .value_kind:     global_buffer
      - .actual_access:  read_only
        .address_space:  global
        .offset:         32
        .size:           8
        .value_kind:     global_buffer
      - .actual_access:  read_only
        .address_space:  global
        .offset:         40
        .size:           8
        .value_kind:     global_buffer
      - .offset:         48
        .size:           4
        .value_kind:     by_value
      - .actual_access:  read_only
        .address_space:  global
        .offset:         56
        .size:           8
        .value_kind:     global_buffer
      - .offset:         64
        .size:           4
        .value_kind:     hidden_block_count_x
      - .offset:         68
        .size:           4
        .value_kind:     hidden_block_count_y
      - .offset:         72
        .size:           4
        .value_kind:     hidden_block_count_z
      - .offset:         76
        .size:           2
        .value_kind:     hidden_group_size_x
      - .offset:         78
        .size:           2
        .value_kind:     hidden_group_size_y
      - .offset:         80
        .size:           2
        .value_kind:     hidden_group_size_z
      - .offset:         82
        .size:           2
        .value_kind:     hidden_remainder_x
      - .offset:         84
        .size:           2
        .value_kind:     hidden_remainder_y
      - .offset:         86
        .size:           2
        .value_kind:     hidden_remainder_z
      - .offset:         104
        .size:           8
        .value_kind:     hidden_global_offset_x
      - .offset:         112
        .size:           8
        .value_kind:     hidden_global_offset_y
      - .offset:         120
        .size:           8
        .value_kind:     hidden_global_offset_z
      - .offset:         128
        .size:           2
        .value_kind:     hidden_grid_dims
    .group_segment_fixed_size: 1284
    .kernarg_segment_align: 8
    .kernarg_segment_size: 320
    .language:       OpenCL C
    .language_version:
      - 2
      - 0
    .max_flat_workgroup_size: 64
    .name:           _Z35paged_attention_ll4mi_reduce_kernelIDF16_hLi64ELi64ELi256ELi5EEvPT0_PKfS3_PKT_PKiS8_iS3_
    .private_segment_fixed_size: 0
    .sgpr_count:     46
    .sgpr_spill_count: 0
    .symbol:         _Z35paged_attention_ll4mi_reduce_kernelIDF16_hLi64ELi64ELi256ELi5EEvPT0_PKfS3_PKT_PKiS8_iS3_.kd
    .uniform_work_group_size: 1
    .uses_dynamic_stack: false
    .vgpr_count:     92
    .vgpr_spill_count: 0
    .wavefront_size: 64
  - .agpr_count:     0
    .args:
      - .actual_access:  write_only
        .address_space:  global
        .offset:         0
        .size:           8
        .value_kind:     global_buffer
      - .actual_access:  read_only
        .address_space:  global
        .offset:         8
        .size:           8
        .value_kind:     global_buffer
      - .actual_access:  read_only
        .address_space:  global
        .offset:         16
        .size:           8
        .value_kind:     global_buffer
      - .actual_access:  read_only
        .address_space:  global
        .offset:         24
        .size:           8
        .value_kind:     global_buffer
      - .actual_access:  read_only
        .address_space:  global
        .offset:         32
        .size:           8
        .value_kind:     global_buffer
      - .actual_access:  read_only
        .address_space:  global
        .offset:         40
        .size:           8
        .value_kind:     global_buffer
      - .offset:         48
        .size:           4
        .value_kind:     by_value
      - .actual_access:  read_only
        .address_space:  global
        .offset:         56
        .size:           8
        .value_kind:     global_buffer
      - .offset:         64
        .size:           4
        .value_kind:     hidden_block_count_x
      - .offset:         68
        .size:           4
        .value_kind:     hidden_block_count_y
      - .offset:         72
        .size:           4
        .value_kind:     hidden_block_count_z
      - .offset:         76
        .size:           2
        .value_kind:     hidden_group_size_x
      - .offset:         78
        .size:           2
        .value_kind:     hidden_group_size_y
      - .offset:         80
        .size:           2
        .value_kind:     hidden_group_size_z
      - .offset:         82
        .size:           2
        .value_kind:     hidden_remainder_x
      - .offset:         84
        .size:           2
        .value_kind:     hidden_remainder_y
      - .offset:         86
        .size:           2
        .value_kind:     hidden_remainder_z
      - .offset:         104
        .size:           8
        .value_kind:     hidden_global_offset_x
      - .offset:         112
        .size:           8
        .value_kind:     hidden_global_offset_y
      - .offset:         120
        .size:           8
        .value_kind:     hidden_global_offset_z
      - .offset:         128
        .size:           2
        .value_kind:     hidden_grid_dims
    .group_segment_fixed_size: 1540
    .kernarg_segment_align: 8
    .kernarg_segment_size: 320
    .language:       OpenCL C
    .language_version:
      - 2
      - 0
    .max_flat_workgroup_size: 64
    .name:           _Z35paged_attention_ll4mi_reduce_kernelIDF16_hLi64ELi64ELi256ELi6EEvPT0_PKfS3_PKT_PKiS8_iS3_
    .private_segment_fixed_size: 0
    .sgpr_count:     48
    .sgpr_spill_count: 0
    .symbol:         _Z35paged_attention_ll4mi_reduce_kernelIDF16_hLi64ELi64ELi256ELi6EEvPT0_PKfS3_PKT_PKiS8_iS3_.kd
    .uniform_work_group_size: 1
    .uses_dynamic_stack: false
    .vgpr_count:     92
    .vgpr_spill_count: 0
    .wavefront_size: 64
  - .agpr_count:     0
    .args:
      - .actual_access:  write_only
        .address_space:  global
        .offset:         0
        .size:           8
        .value_kind:     global_buffer
      - .actual_access:  read_only
        .address_space:  global
        .offset:         8
        .size:           8
        .value_kind:     global_buffer
      - .actual_access:  read_only
        .address_space:  global
        .offset:         16
        .size:           8
        .value_kind:     global_buffer
      - .actual_access:  read_only
        .address_space:  global
        .offset:         24
        .size:           8
        .value_kind:     global_buffer
      - .actual_access:  read_only
        .address_space:  global
        .offset:         32
        .size:           8
        .value_kind:     global_buffer
      - .actual_access:  read_only
        .address_space:  global
        .offset:         40
        .size:           8
        .value_kind:     global_buffer
      - .offset:         48
        .size:           4
        .value_kind:     by_value
      - .actual_access:  read_only
        .address_space:  global
        .offset:         56
        .size:           8
        .value_kind:     global_buffer
      - .offset:         64
        .size:           4
        .value_kind:     hidden_block_count_x
      - .offset:         68
        .size:           4
        .value_kind:     hidden_block_count_y
      - .offset:         72
        .size:           4
        .value_kind:     hidden_block_count_z
      - .offset:         76
        .size:           2
        .value_kind:     hidden_group_size_x
      - .offset:         78
        .size:           2
        .value_kind:     hidden_group_size_y
      - .offset:         80
        .size:           2
        .value_kind:     hidden_group_size_z
      - .offset:         82
        .size:           2
        .value_kind:     hidden_remainder_x
      - .offset:         84
        .size:           2
        .value_kind:     hidden_remainder_y
      - .offset:         86
        .size:           2
        .value_kind:     hidden_remainder_z
      - .offset:         104
        .size:           8
        .value_kind:     hidden_global_offset_x
      - .offset:         112
        .size:           8
        .value_kind:     hidden_global_offset_y
      - .offset:         120
        .size:           8
        .value_kind:     hidden_global_offset_z
      - .offset:         128
        .size:           2
        .value_kind:     hidden_grid_dims
    .group_segment_fixed_size: 1796
    .kernarg_segment_align: 8
    .kernarg_segment_size: 320
    .language:       OpenCL C
    .language_version:
      - 2
      - 0
    .max_flat_workgroup_size: 64
    .name:           _Z35paged_attention_ll4mi_reduce_kernelIDF16_hLi64ELi64ELi256ELi7EEvPT0_PKfS3_PKT_PKiS8_iS3_
    .private_segment_fixed_size: 0
    .sgpr_count:     50
    .sgpr_spill_count: 0
    .symbol:         _Z35paged_attention_ll4mi_reduce_kernelIDF16_hLi64ELi64ELi256ELi7EEvPT0_PKfS3_PKT_PKiS8_iS3_.kd
    .uniform_work_group_size: 1
    .uses_dynamic_stack: false
    .vgpr_count:     92
    .vgpr_spill_count: 0
    .wavefront_size: 64
  - .agpr_count:     0
    .args:
      - .actual_access:  write_only
        .address_space:  global
        .offset:         0
        .size:           8
        .value_kind:     global_buffer
      - .actual_access:  read_only
        .address_space:  global
        .offset:         8
        .size:           8
        .value_kind:     global_buffer
      - .actual_access:  read_only
        .address_space:  global
        .offset:         16
        .size:           8
        .value_kind:     global_buffer
      - .actual_access:  read_only
        .address_space:  global
        .offset:         24
        .size:           8
        .value_kind:     global_buffer
      - .actual_access:  read_only
        .address_space:  global
        .offset:         32
        .size:           8
        .value_kind:     global_buffer
      - .actual_access:  read_only
        .address_space:  global
        .offset:         40
        .size:           8
        .value_kind:     global_buffer
      - .offset:         48
        .size:           4
        .value_kind:     by_value
      - .actual_access:  read_only
        .address_space:  global
        .offset:         56
        .size:           8
        .value_kind:     global_buffer
      - .offset:         64
        .size:           4
        .value_kind:     hidden_block_count_x
      - .offset:         68
        .size:           4
        .value_kind:     hidden_block_count_y
      - .offset:         72
        .size:           4
        .value_kind:     hidden_block_count_z
      - .offset:         76
        .size:           2
        .value_kind:     hidden_group_size_x
      - .offset:         78
        .size:           2
        .value_kind:     hidden_group_size_y
      - .offset:         80
        .size:           2
        .value_kind:     hidden_group_size_z
      - .offset:         82
        .size:           2
        .value_kind:     hidden_remainder_x
      - .offset:         84
        .size:           2
        .value_kind:     hidden_remainder_y
      - .offset:         86
        .size:           2
        .value_kind:     hidden_remainder_z
      - .offset:         104
        .size:           8
        .value_kind:     hidden_global_offset_x
      - .offset:         112
        .size:           8
        .value_kind:     hidden_global_offset_y
      - .offset:         120
        .size:           8
        .value_kind:     hidden_global_offset_z
      - .offset:         128
        .size:           2
        .value_kind:     hidden_grid_dims
    .group_segment_fixed_size: 2052
    .kernarg_segment_align: 8
    .kernarg_segment_size: 320
    .language:       OpenCL C
    .language_version:
      - 2
      - 0
    .max_flat_workgroup_size: 64
    .name:           _Z35paged_attention_ll4mi_reduce_kernelIDF16_hLi64ELi64ELi256ELi8EEvPT0_PKfS3_PKT_PKiS8_iS3_
    .private_segment_fixed_size: 0
    .sgpr_count:     51
    .sgpr_spill_count: 0
    .symbol:         _Z35paged_attention_ll4mi_reduce_kernelIDF16_hLi64ELi64ELi256ELi8EEvPT0_PKfS3_PKT_PKiS8_iS3_.kd
    .uniform_work_group_size: 1
    .uses_dynamic_stack: false
    .vgpr_count:     92
    .vgpr_spill_count: 0
    .wavefront_size: 64
  - .agpr_count:     0
    .args:
      - .actual_access:  read_only
        .address_space:  global
        .offset:         0
        .size:           8
        .value_kind:     global_buffer
      - .actual_access:  read_only
        .address_space:  global
        .offset:         8
        .size:           8
        .value_kind:     global_buffer
      - .actual_access:  read_only
        .address_space:  global
        .offset:         16
        .size:           8
        .value_kind:     global_buffer
      - .offset:         24
        .size:           4
        .value_kind:     by_value
      - .offset:         28
        .size:           4
        .value_kind:     by_value
      - .actual_access:  read_only
        .address_space:  global
        .offset:         32
        .size:           8
        .value_kind:     global_buffer
      - .actual_access:  read_only
        .address_space:  global
        .offset:         40
        .size:           8
        .value_kind:     global_buffer
      - .actual_access:  read_only
        .address_space:  global
        .offset:         48
        .size:           8
        .value_kind:     global_buffer
      - .offset:         56
        .size:           4
        .value_kind:     by_value
      - .actual_access:  read_only
        .address_space:  global
        .offset:         64
        .size:           8
        .value_kind:     global_buffer
      - .offset:         72
        .size:           4
        .value_kind:     by_value
      - .offset:         76
        .size:           4
        .value_kind:     by_value
      - .offset:         80
        .size:           4
        .value_kind:     by_value
      - .actual_access:  write_only
        .address_space:  global
        .offset:         88
        .size:           8
        .value_kind:     global_buffer
      - .actual_access:  write_only
        .address_space:  global
        .offset:         96
        .size:           8
        .value_kind:     global_buffer
      - .actual_access:  write_only
        .address_space:  global
        .offset:         104
        .size:           8
        .value_kind:     global_buffer
      - .actual_access:  read_only
        .address_space:  global
        .offset:         112
        .size:           8
        .value_kind:     global_buffer
      - .offset:         120
        .size:           4
        .value_kind:     by_value
      - .address_space:  global
        .offset:         128
        .size:           8
        .value_kind:     global_buffer
      - .address_space:  global
        .offset:         136
        .size:           8
        .value_kind:     global_buffer
      - .offset:         144
        .size:           4
        .value_kind:     hidden_block_count_x
      - .offset:         148
        .size:           4
        .value_kind:     hidden_block_count_y
      - .offset:         152
        .size:           4
        .value_kind:     hidden_block_count_z
      - .offset:         156
        .size:           2
        .value_kind:     hidden_group_size_x
      - .offset:         158
        .size:           2
        .value_kind:     hidden_group_size_y
      - .offset:         160
        .size:           2
        .value_kind:     hidden_group_size_z
      - .offset:         162
        .size:           2
        .value_kind:     hidden_remainder_x
      - .offset:         164
        .size:           2
        .value_kind:     hidden_remainder_y
      - .offset:         166
        .size:           2
        .value_kind:     hidden_remainder_z
      - .offset:         184
        .size:           8
        .value_kind:     hidden_global_offset_x
      - .offset:         192
        .size:           8
        .value_kind:     hidden_global_offset_y
      - .offset:         200
        .size:           8
        .value_kind:     hidden_global_offset_z
      - .offset:         208
        .size:           2
        .value_kind:     hidden_grid_dims
    .group_segment_fixed_size: 8192
    .kernarg_segment_align: 8
    .kernarg_segment_size: 400
    .language:       OpenCL C
    .language_version:
      - 2
      - 0
    .max_flat_workgroup_size: 256
    .name:           _Z39paged_attention_ll4mi_QKV_mfma16_kernelIDF16_DF16_LN4vllm18Fp8KVCacheDataTypeE0EhLi16ELi64ELi256ELb1ELi1EEvPKT_PKT0_S7_ifPKiS9_S9_iPKfiiiPfSC_PS2_PT2_iSB_SB_
    .private_segment_fixed_size: 0
    .sgpr_count:     54
    .sgpr_spill_count: 0
    .symbol:         _Z39paged_attention_ll4mi_QKV_mfma16_kernelIDF16_DF16_LN4vllm18Fp8KVCacheDataTypeE0EhLi16ELi64ELi256ELb1ELi1EEvPKT_PKT0_S7_ifPKiS9_S9_iPKfiiiPfSC_PS2_PT2_iSB_SB_.kd
    .uniform_work_group_size: 1
    .uses_dynamic_stack: false
    .vgpr_count:     72
    .vgpr_spill_count: 0
    .wavefront_size: 64
  - .agpr_count:     0
    .args:
      - .actual_access:  read_only
        .address_space:  global
        .offset:         0
        .size:           8
        .value_kind:     global_buffer
      - .actual_access:  read_only
        .address_space:  global
        .offset:         8
        .size:           8
        .value_kind:     global_buffer
      - .actual_access:  read_only
        .address_space:  global
        .offset:         16
        .size:           8
        .value_kind:     global_buffer
      - .offset:         24
        .size:           4
        .value_kind:     by_value
      - .offset:         28
        .size:           4
        .value_kind:     by_value
      - .actual_access:  read_only
        .address_space:  global
        .offset:         32
        .size:           8
        .value_kind:     global_buffer
      - .actual_access:  read_only
        .address_space:  global
        .offset:         40
        .size:           8
        .value_kind:     global_buffer
      - .actual_access:  read_only
        .address_space:  global
        .offset:         48
        .size:           8
        .value_kind:     global_buffer
      - .offset:         56
        .size:           4
        .value_kind:     by_value
      - .actual_access:  read_only
        .address_space:  global
        .offset:         64
        .size:           8
        .value_kind:     global_buffer
      - .offset:         72
        .size:           4
        .value_kind:     by_value
      - .offset:         76
        .size:           4
        .value_kind:     by_value
      - .offset:         80
        .size:           4
        .value_kind:     by_value
      - .actual_access:  write_only
        .address_space:  global
        .offset:         88
        .size:           8
        .value_kind:     global_buffer
      - .actual_access:  write_only
        .address_space:  global
        .offset:         96
        .size:           8
        .value_kind:     global_buffer
      - .actual_access:  write_only
        .address_space:  global
        .offset:         104
        .size:           8
        .value_kind:     global_buffer
      - .actual_access:  read_only
        .address_space:  global
        .offset:         112
        .size:           8
        .value_kind:     global_buffer
      - .offset:         120
        .size:           4
        .value_kind:     by_value
      - .address_space:  global
        .offset:         128
        .size:           8
        .value_kind:     global_buffer
      - .address_space:  global
        .offset:         136
        .size:           8
        .value_kind:     global_buffer
      - .offset:         144
        .size:           4
        .value_kind:     hidden_block_count_x
      - .offset:         148
        .size:           4
        .value_kind:     hidden_block_count_y
      - .offset:         152
        .size:           4
        .value_kind:     hidden_block_count_z
      - .offset:         156
        .size:           2
        .value_kind:     hidden_group_size_x
      - .offset:         158
        .size:           2
        .value_kind:     hidden_group_size_y
      - .offset:         160
        .size:           2
        .value_kind:     hidden_group_size_z
      - .offset:         162
        .size:           2
        .value_kind:     hidden_remainder_x
      - .offset:         164
        .size:           2
        .value_kind:     hidden_remainder_y
      - .offset:         166
        .size:           2
        .value_kind:     hidden_remainder_z
      - .offset:         184
        .size:           8
        .value_kind:     hidden_global_offset_x
      - .offset:         192
        .size:           8
        .value_kind:     hidden_global_offset_y
      - .offset:         200
        .size:           8
        .value_kind:     hidden_global_offset_z
      - .offset:         208
        .size:           2
        .value_kind:     hidden_grid_dims
    .group_segment_fixed_size: 8192
    .kernarg_segment_align: 8
    .kernarg_segment_size: 400
    .language:       OpenCL C
    .language_version:
      - 2
      - 0
    .max_flat_workgroup_size: 256
    .name:           _Z39paged_attention_ll4mi_QKV_mfma16_kernelIDF16_DF16_LN4vllm18Fp8KVCacheDataTypeE0EhLi16ELi64ELi256ELb1ELi2EEvPKT_PKT0_S7_ifPKiS9_S9_iPKfiiiPfSC_PS2_PT2_iSB_SB_
    .private_segment_fixed_size: 0
    .sgpr_count:     54
    .sgpr_spill_count: 0
    .symbol:         _Z39paged_attention_ll4mi_QKV_mfma16_kernelIDF16_DF16_LN4vllm18Fp8KVCacheDataTypeE0EhLi16ELi64ELi256ELb1ELi2EEvPKT_PKT0_S7_ifPKiS9_S9_iPKfiiiPfSC_PS2_PT2_iSB_SB_.kd
    .uniform_work_group_size: 1
    .uses_dynamic_stack: false
    .vgpr_count:     72
    .vgpr_spill_count: 0
    .wavefront_size: 64
  - .agpr_count:     0
    .args:
      - .actual_access:  read_only
        .address_space:  global
        .offset:         0
        .size:           8
        .value_kind:     global_buffer
      - .actual_access:  read_only
        .address_space:  global
        .offset:         8
        .size:           8
        .value_kind:     global_buffer
      - .actual_access:  read_only
        .address_space:  global
        .offset:         16
        .size:           8
        .value_kind:     global_buffer
      - .offset:         24
        .size:           4
        .value_kind:     by_value
      - .offset:         28
        .size:           4
        .value_kind:     by_value
      - .actual_access:  read_only
        .address_space:  global
        .offset:         32
        .size:           8
        .value_kind:     global_buffer
      - .actual_access:  read_only
        .address_space:  global
        .offset:         40
        .size:           8
        .value_kind:     global_buffer
      - .actual_access:  read_only
        .address_space:  global
        .offset:         48
        .size:           8
        .value_kind:     global_buffer
      - .offset:         56
        .size:           4
        .value_kind:     by_value
      - .actual_access:  read_only
        .address_space:  global
        .offset:         64
        .size:           8
        .value_kind:     global_buffer
      - .offset:         72
        .size:           4
        .value_kind:     by_value
      - .offset:         76
        .size:           4
        .value_kind:     by_value
      - .offset:         80
        .size:           4
        .value_kind:     by_value
      - .actual_access:  write_only
        .address_space:  global
        .offset:         88
        .size:           8
        .value_kind:     global_buffer
      - .actual_access:  write_only
        .address_space:  global
        .offset:         96
        .size:           8
        .value_kind:     global_buffer
      - .actual_access:  write_only
        .address_space:  global
        .offset:         104
        .size:           8
        .value_kind:     global_buffer
      - .actual_access:  read_only
        .address_space:  global
        .offset:         112
        .size:           8
        .value_kind:     global_buffer
      - .offset:         120
        .size:           4
        .value_kind:     by_value
      - .address_space:  global
        .offset:         128
        .size:           8
        .value_kind:     global_buffer
      - .address_space:  global
        .offset:         136
        .size:           8
        .value_kind:     global_buffer
      - .offset:         144
        .size:           4
        .value_kind:     hidden_block_count_x
      - .offset:         148
        .size:           4
        .value_kind:     hidden_block_count_y
      - .offset:         152
        .size:           4
        .value_kind:     hidden_block_count_z
      - .offset:         156
        .size:           2
        .value_kind:     hidden_group_size_x
      - .offset:         158
        .size:           2
        .value_kind:     hidden_group_size_y
      - .offset:         160
        .size:           2
        .value_kind:     hidden_group_size_z
      - .offset:         162
        .size:           2
        .value_kind:     hidden_remainder_x
      - .offset:         164
        .size:           2
        .value_kind:     hidden_remainder_y
      - .offset:         166
        .size:           2
        .value_kind:     hidden_remainder_z
      - .offset:         184
        .size:           8
        .value_kind:     hidden_global_offset_x
      - .offset:         192
        .size:           8
        .value_kind:     hidden_global_offset_y
      - .offset:         200
        .size:           8
        .value_kind:     hidden_global_offset_z
      - .offset:         208
        .size:           2
        .value_kind:     hidden_grid_dims
    .group_segment_fixed_size: 8192
    .kernarg_segment_align: 8
    .kernarg_segment_size: 400
    .language:       OpenCL C
    .language_version:
      - 2
      - 0
    .max_flat_workgroup_size: 256
    .name:           _Z39paged_attention_ll4mi_QKV_mfma16_kernelIDF16_DF16_LN4vllm18Fp8KVCacheDataTypeE0EhLi16ELi64ELi256ELb1ELi3EEvPKT_PKT0_S7_ifPKiS9_S9_iPKfiiiPfSC_PS2_PT2_iSB_SB_
    .private_segment_fixed_size: 0
    .sgpr_count:     54
    .sgpr_spill_count: 0
    .symbol:         _Z39paged_attention_ll4mi_QKV_mfma16_kernelIDF16_DF16_LN4vllm18Fp8KVCacheDataTypeE0EhLi16ELi64ELi256ELb1ELi3EEvPKT_PKT0_S7_ifPKiS9_S9_iPKfiiiPfSC_PS2_PT2_iSB_SB_.kd
    .uniform_work_group_size: 1
    .uses_dynamic_stack: false
    .vgpr_count:     73
    .vgpr_spill_count: 0
    .wavefront_size: 64
  - .agpr_count:     0
    .args:
      - .actual_access:  read_only
        .address_space:  global
        .offset:         0
        .size:           8
        .value_kind:     global_buffer
      - .actual_access:  read_only
        .address_space:  global
        .offset:         8
        .size:           8
        .value_kind:     global_buffer
      - .actual_access:  read_only
        .address_space:  global
        .offset:         16
        .size:           8
        .value_kind:     global_buffer
      - .offset:         24
        .size:           4
        .value_kind:     by_value
      - .offset:         28
        .size:           4
        .value_kind:     by_value
      - .actual_access:  read_only
        .address_space:  global
        .offset:         32
        .size:           8
        .value_kind:     global_buffer
      - .actual_access:  read_only
        .address_space:  global
        .offset:         40
        .size:           8
        .value_kind:     global_buffer
      - .actual_access:  read_only
        .address_space:  global
        .offset:         48
        .size:           8
        .value_kind:     global_buffer
      - .offset:         56
        .size:           4
        .value_kind:     by_value
      - .actual_access:  read_only
        .address_space:  global
        .offset:         64
        .size:           8
        .value_kind:     global_buffer
      - .offset:         72
        .size:           4
        .value_kind:     by_value
      - .offset:         76
        .size:           4
        .value_kind:     by_value
      - .offset:         80
        .size:           4
        .value_kind:     by_value
      - .actual_access:  write_only
        .address_space:  global
        .offset:         88
        .size:           8
        .value_kind:     global_buffer
      - .actual_access:  write_only
        .address_space:  global
        .offset:         96
        .size:           8
        .value_kind:     global_buffer
      - .actual_access:  write_only
        .address_space:  global
        .offset:         104
        .size:           8
        .value_kind:     global_buffer
      - .actual_access:  read_only
        .address_space:  global
        .offset:         112
        .size:           8
        .value_kind:     global_buffer
      - .offset:         120
        .size:           4
        .value_kind:     by_value
      - .address_space:  global
        .offset:         128
        .size:           8
        .value_kind:     global_buffer
      - .address_space:  global
        .offset:         136
        .size:           8
        .value_kind:     global_buffer
      - .offset:         144
        .size:           4
        .value_kind:     hidden_block_count_x
      - .offset:         148
        .size:           4
        .value_kind:     hidden_block_count_y
      - .offset:         152
        .size:           4
        .value_kind:     hidden_block_count_z
      - .offset:         156
        .size:           2
        .value_kind:     hidden_group_size_x
      - .offset:         158
        .size:           2
        .value_kind:     hidden_group_size_y
      - .offset:         160
        .size:           2
        .value_kind:     hidden_group_size_z
      - .offset:         162
        .size:           2
        .value_kind:     hidden_remainder_x
      - .offset:         164
        .size:           2
        .value_kind:     hidden_remainder_y
      - .offset:         166
        .size:           2
        .value_kind:     hidden_remainder_z
      - .offset:         184
        .size:           8
        .value_kind:     hidden_global_offset_x
      - .offset:         192
        .size:           8
        .value_kind:     hidden_global_offset_y
      - .offset:         200
        .size:           8
        .value_kind:     hidden_global_offset_z
      - .offset:         208
        .size:           2
        .value_kind:     hidden_grid_dims
    .group_segment_fixed_size: 8192
    .kernarg_segment_align: 8
    .kernarg_segment_size: 400
    .language:       OpenCL C
    .language_version:
      - 2
      - 0
    .max_flat_workgroup_size: 256
    .name:           _Z39paged_attention_ll4mi_QKV_mfma16_kernelIDF16_DF16_LN4vllm18Fp8KVCacheDataTypeE0EhLi16ELi64ELi256ELb1ELi4EEvPKT_PKT0_S7_ifPKiS9_S9_iPKfiiiPfSC_PS2_PT2_iSB_SB_
    .private_segment_fixed_size: 0
    .sgpr_count:     52
    .sgpr_spill_count: 0
    .symbol:         _Z39paged_attention_ll4mi_QKV_mfma16_kernelIDF16_DF16_LN4vllm18Fp8KVCacheDataTypeE0EhLi16ELi64ELi256ELb1ELi4EEvPKT_PKT0_S7_ifPKiS9_S9_iPKfiiiPfSC_PS2_PT2_iSB_SB_.kd
    .uniform_work_group_size: 1
    .uses_dynamic_stack: false
    .vgpr_count:     74
    .vgpr_spill_count: 0
    .wavefront_size: 64
  - .agpr_count:     0
    .args:
      - .actual_access:  write_only
        .address_space:  global
        .offset:         0
        .size:           8
        .value_kind:     global_buffer
      - .actual_access:  read_only
        .address_space:  global
        .offset:         8
        .size:           8
        .value_kind:     global_buffer
      - .actual_access:  read_only
        .address_space:  global
        .offset:         16
        .size:           8
        .value_kind:     global_buffer
      - .actual_access:  read_only
        .address_space:  global
        .offset:         24
        .size:           8
        .value_kind:     global_buffer
      - .actual_access:  read_only
        .address_space:  global
        .offset:         32
        .size:           8
        .value_kind:     global_buffer
      - .actual_access:  read_only
        .address_space:  global
        .offset:         40
        .size:           8
        .value_kind:     global_buffer
      - .offset:         48
        .size:           4
        .value_kind:     by_value
      - .actual_access:  read_only
        .address_space:  global
        .offset:         56
        .size:           8
        .value_kind:     global_buffer
      - .offset:         64
        .size:           4
        .value_kind:     hidden_block_count_x
      - .offset:         68
        .size:           4
        .value_kind:     hidden_block_count_y
      - .offset:         72
        .size:           4
        .value_kind:     hidden_block_count_z
      - .offset:         76
        .size:           2
        .value_kind:     hidden_group_size_x
      - .offset:         78
        .size:           2
        .value_kind:     hidden_group_size_y
      - .offset:         80
        .size:           2
        .value_kind:     hidden_group_size_z
      - .offset:         82
        .size:           2
        .value_kind:     hidden_remainder_x
      - .offset:         84
        .size:           2
        .value_kind:     hidden_remainder_y
      - .offset:         86
        .size:           2
        .value_kind:     hidden_remainder_z
      - .offset:         104
        .size:           8
        .value_kind:     hidden_global_offset_x
      - .offset:         112
        .size:           8
        .value_kind:     hidden_global_offset_y
      - .offset:         120
        .size:           8
        .value_kind:     hidden_global_offset_z
      - .offset:         128
        .size:           2
        .value_kind:     hidden_grid_dims
    .group_segment_fixed_size: 2308
    .kernarg_segment_align: 8
    .kernarg_segment_size: 320
    .language:       OpenCL C
    .language_version:
      - 2
      - 0
    .max_flat_workgroup_size: 64
    .name:           _Z35paged_attention_ll4mi_reduce_kernelIDF16_hLi64ELi64ELi256ELi9EEvPT0_PKfS3_PKT_PKiS8_iS3_
    .private_segment_fixed_size: 0
    .sgpr_count:     53
    .sgpr_spill_count: 0
    .symbol:         _Z35paged_attention_ll4mi_reduce_kernelIDF16_hLi64ELi64ELi256ELi9EEvPT0_PKfS3_PKT_PKiS8_iS3_.kd
    .uniform_work_group_size: 1
    .uses_dynamic_stack: false
    .vgpr_count:     92
    .vgpr_spill_count: 0
    .wavefront_size: 64
  - .agpr_count:     0
    .args:
      - .actual_access:  write_only
        .address_space:  global
        .offset:         0
        .size:           8
        .value_kind:     global_buffer
      - .actual_access:  read_only
        .address_space:  global
        .offset:         8
        .size:           8
        .value_kind:     global_buffer
      - .actual_access:  read_only
        .address_space:  global
        .offset:         16
        .size:           8
        .value_kind:     global_buffer
      - .actual_access:  read_only
        .address_space:  global
        .offset:         24
        .size:           8
        .value_kind:     global_buffer
      - .actual_access:  read_only
        .address_space:  global
        .offset:         32
        .size:           8
        .value_kind:     global_buffer
      - .actual_access:  read_only
        .address_space:  global
        .offset:         40
        .size:           8
        .value_kind:     global_buffer
      - .offset:         48
        .size:           4
        .value_kind:     by_value
      - .actual_access:  read_only
        .address_space:  global
        .offset:         56
        .size:           8
        .value_kind:     global_buffer
      - .offset:         64
        .size:           4
        .value_kind:     hidden_block_count_x
      - .offset:         68
        .size:           4
        .value_kind:     hidden_block_count_y
      - .offset:         72
        .size:           4
        .value_kind:     hidden_block_count_z
      - .offset:         76
        .size:           2
        .value_kind:     hidden_group_size_x
      - .offset:         78
        .size:           2
        .value_kind:     hidden_group_size_y
      - .offset:         80
        .size:           2
        .value_kind:     hidden_group_size_z
      - .offset:         82
        .size:           2
        .value_kind:     hidden_remainder_x
      - .offset:         84
        .size:           2
        .value_kind:     hidden_remainder_y
      - .offset:         86
        .size:           2
        .value_kind:     hidden_remainder_z
      - .offset:         104
        .size:           8
        .value_kind:     hidden_global_offset_x
      - .offset:         112
        .size:           8
        .value_kind:     hidden_global_offset_y
      - .offset:         120
        .size:           8
        .value_kind:     hidden_global_offset_z
      - .offset:         128
        .size:           2
        .value_kind:     hidden_grid_dims
    .group_segment_fixed_size: 2564
    .kernarg_segment_align: 8
    .kernarg_segment_size: 320
    .language:       OpenCL C
    .language_version:
      - 2
      - 0
    .max_flat_workgroup_size: 64
    .name:           _Z35paged_attention_ll4mi_reduce_kernelIDF16_hLi64ELi64ELi256ELi10EEvPT0_PKfS3_PKT_PKiS8_iS3_
    .private_segment_fixed_size: 0
    .sgpr_count:     55
    .sgpr_spill_count: 0
    .symbol:         _Z35paged_attention_ll4mi_reduce_kernelIDF16_hLi64ELi64ELi256ELi10EEvPT0_PKfS3_PKT_PKiS8_iS3_.kd
    .uniform_work_group_size: 1
    .uses_dynamic_stack: false
    .vgpr_count:     92
    .vgpr_spill_count: 0
    .wavefront_size: 64
  - .agpr_count:     0
    .args:
      - .actual_access:  write_only
        .address_space:  global
        .offset:         0
        .size:           8
        .value_kind:     global_buffer
      - .actual_access:  read_only
        .address_space:  global
        .offset:         8
        .size:           8
        .value_kind:     global_buffer
      - .actual_access:  read_only
        .address_space:  global
        .offset:         16
        .size:           8
        .value_kind:     global_buffer
      - .actual_access:  read_only
        .address_space:  global
        .offset:         24
        .size:           8
        .value_kind:     global_buffer
      - .actual_access:  read_only
        .address_space:  global
        .offset:         32
        .size:           8
        .value_kind:     global_buffer
      - .actual_access:  read_only
        .address_space:  global
        .offset:         40
        .size:           8
        .value_kind:     global_buffer
      - .offset:         48
        .size:           4
        .value_kind:     by_value
      - .actual_access:  read_only
        .address_space:  global
        .offset:         56
        .size:           8
        .value_kind:     global_buffer
      - .offset:         64
        .size:           4
        .value_kind:     hidden_block_count_x
      - .offset:         68
        .size:           4
        .value_kind:     hidden_block_count_y
      - .offset:         72
        .size:           4
        .value_kind:     hidden_block_count_z
      - .offset:         76
        .size:           2
        .value_kind:     hidden_group_size_x
      - .offset:         78
        .size:           2
        .value_kind:     hidden_group_size_y
      - .offset:         80
        .size:           2
        .value_kind:     hidden_group_size_z
      - .offset:         82
        .size:           2
        .value_kind:     hidden_remainder_x
      - .offset:         84
        .size:           2
        .value_kind:     hidden_remainder_y
      - .offset:         86
        .size:           2
        .value_kind:     hidden_remainder_z
      - .offset:         104
        .size:           8
        .value_kind:     hidden_global_offset_x
      - .offset:         112
        .size:           8
        .value_kind:     hidden_global_offset_y
      - .offset:         120
        .size:           8
        .value_kind:     hidden_global_offset_z
      - .offset:         128
        .size:           2
        .value_kind:     hidden_grid_dims
    .group_segment_fixed_size: 2820
    .kernarg_segment_align: 8
    .kernarg_segment_size: 320
    .language:       OpenCL C
    .language_version:
      - 2
      - 0
    .max_flat_workgroup_size: 64
    .name:           _Z35paged_attention_ll4mi_reduce_kernelIDF16_hLi64ELi64ELi256ELi11EEvPT0_PKfS3_PKT_PKiS8_iS3_
    .private_segment_fixed_size: 0
    .sgpr_count:     57
    .sgpr_spill_count: 0
    .symbol:         _Z35paged_attention_ll4mi_reduce_kernelIDF16_hLi64ELi64ELi256ELi11EEvPT0_PKfS3_PKT_PKiS8_iS3_.kd
    .uniform_work_group_size: 1
    .uses_dynamic_stack: false
    .vgpr_count:     92
    .vgpr_spill_count: 0
    .wavefront_size: 64
  - .agpr_count:     0
    .args:
      - .actual_access:  write_only
        .address_space:  global
        .offset:         0
        .size:           8
        .value_kind:     global_buffer
      - .actual_access:  read_only
        .address_space:  global
        .offset:         8
        .size:           8
        .value_kind:     global_buffer
      - .actual_access:  read_only
        .address_space:  global
        .offset:         16
        .size:           8
        .value_kind:     global_buffer
      - .actual_access:  read_only
        .address_space:  global
        .offset:         24
        .size:           8
        .value_kind:     global_buffer
      - .actual_access:  read_only
        .address_space:  global
        .offset:         32
        .size:           8
        .value_kind:     global_buffer
      - .actual_access:  read_only
        .address_space:  global
        .offset:         40
        .size:           8
        .value_kind:     global_buffer
      - .offset:         48
        .size:           4
        .value_kind:     by_value
      - .actual_access:  read_only
        .address_space:  global
        .offset:         56
        .size:           8
        .value_kind:     global_buffer
      - .offset:         64
        .size:           4
        .value_kind:     hidden_block_count_x
      - .offset:         68
        .size:           4
        .value_kind:     hidden_block_count_y
      - .offset:         72
        .size:           4
        .value_kind:     hidden_block_count_z
      - .offset:         76
        .size:           2
        .value_kind:     hidden_group_size_x
      - .offset:         78
        .size:           2
        .value_kind:     hidden_group_size_y
      - .offset:         80
        .size:           2
        .value_kind:     hidden_group_size_z
      - .offset:         82
        .size:           2
        .value_kind:     hidden_remainder_x
      - .offset:         84
        .size:           2
        .value_kind:     hidden_remainder_y
      - .offset:         86
        .size:           2
        .value_kind:     hidden_remainder_z
      - .offset:         104
        .size:           8
        .value_kind:     hidden_global_offset_x
      - .offset:         112
        .size:           8
        .value_kind:     hidden_global_offset_y
      - .offset:         120
        .size:           8
        .value_kind:     hidden_global_offset_z
      - .offset:         128
        .size:           2
        .value_kind:     hidden_grid_dims
    .group_segment_fixed_size: 3076
    .kernarg_segment_align: 8
    .kernarg_segment_size: 320
    .language:       OpenCL C
    .language_version:
      - 2
      - 0
    .max_flat_workgroup_size: 64
    .name:           _Z35paged_attention_ll4mi_reduce_kernelIDF16_hLi64ELi64ELi256ELi12EEvPT0_PKfS3_PKT_PKiS8_iS3_
    .private_segment_fixed_size: 0
    .sgpr_count:     59
    .sgpr_spill_count: 0
    .symbol:         _Z35paged_attention_ll4mi_reduce_kernelIDF16_hLi64ELi64ELi256ELi12EEvPT0_PKfS3_PKT_PKiS8_iS3_.kd
    .uniform_work_group_size: 1
    .uses_dynamic_stack: false
    .vgpr_count:     92
    .vgpr_spill_count: 0
    .wavefront_size: 64
  - .agpr_count:     0
    .args:
      - .actual_access:  write_only
        .address_space:  global
        .offset:         0
        .size:           8
        .value_kind:     global_buffer
      - .actual_access:  read_only
        .address_space:  global
        .offset:         8
        .size:           8
        .value_kind:     global_buffer
      - .actual_access:  read_only
        .address_space:  global
        .offset:         16
        .size:           8
        .value_kind:     global_buffer
      - .actual_access:  read_only
        .address_space:  global
        .offset:         24
        .size:           8
        .value_kind:     global_buffer
      - .actual_access:  read_only
        .address_space:  global
        .offset:         32
        .size:           8
        .value_kind:     global_buffer
      - .actual_access:  read_only
        .address_space:  global
        .offset:         40
        .size:           8
        .value_kind:     global_buffer
      - .offset:         48
        .size:           4
        .value_kind:     by_value
      - .actual_access:  read_only
        .address_space:  global
        .offset:         56
        .size:           8
        .value_kind:     global_buffer
      - .offset:         64
        .size:           4
        .value_kind:     hidden_block_count_x
      - .offset:         68
        .size:           4
        .value_kind:     hidden_block_count_y
      - .offset:         72
        .size:           4
        .value_kind:     hidden_block_count_z
      - .offset:         76
        .size:           2
        .value_kind:     hidden_group_size_x
      - .offset:         78
        .size:           2
        .value_kind:     hidden_group_size_y
      - .offset:         80
        .size:           2
        .value_kind:     hidden_group_size_z
      - .offset:         82
        .size:           2
        .value_kind:     hidden_remainder_x
      - .offset:         84
        .size:           2
        .value_kind:     hidden_remainder_y
      - .offset:         86
        .size:           2
        .value_kind:     hidden_remainder_z
      - .offset:         104
        .size:           8
        .value_kind:     hidden_global_offset_x
      - .offset:         112
        .size:           8
        .value_kind:     hidden_global_offset_y
      - .offset:         120
        .size:           8
        .value_kind:     hidden_global_offset_z
      - .offset:         128
        .size:           2
        .value_kind:     hidden_grid_dims
    .group_segment_fixed_size: 3332
    .kernarg_segment_align: 8
    .kernarg_segment_size: 320
    .language:       OpenCL C
    .language_version:
      - 2
      - 0
    .max_flat_workgroup_size: 64
    .name:           _Z35paged_attention_ll4mi_reduce_kernelIDF16_hLi64ELi64ELi256ELi13EEvPT0_PKfS3_PKT_PKiS8_iS3_
    .private_segment_fixed_size: 0
    .sgpr_count:     61
    .sgpr_spill_count: 0
    .symbol:         _Z35paged_attention_ll4mi_reduce_kernelIDF16_hLi64ELi64ELi256ELi13EEvPT0_PKfS3_PKT_PKiS8_iS3_.kd
    .uniform_work_group_size: 1
    .uses_dynamic_stack: false
    .vgpr_count:     92
    .vgpr_spill_count: 0
    .wavefront_size: 64
  - .agpr_count:     0
    .args:
      - .actual_access:  write_only
        .address_space:  global
        .offset:         0
        .size:           8
        .value_kind:     global_buffer
      - .actual_access:  read_only
        .address_space:  global
        .offset:         8
        .size:           8
        .value_kind:     global_buffer
      - .actual_access:  read_only
        .address_space:  global
        .offset:         16
        .size:           8
        .value_kind:     global_buffer
      - .actual_access:  read_only
        .address_space:  global
        .offset:         24
        .size:           8
        .value_kind:     global_buffer
      - .actual_access:  read_only
        .address_space:  global
        .offset:         32
        .size:           8
        .value_kind:     global_buffer
      - .actual_access:  read_only
        .address_space:  global
        .offset:         40
        .size:           8
        .value_kind:     global_buffer
      - .offset:         48
        .size:           4
        .value_kind:     by_value
      - .actual_access:  read_only
        .address_space:  global
        .offset:         56
        .size:           8
        .value_kind:     global_buffer
      - .offset:         64
        .size:           4
        .value_kind:     hidden_block_count_x
      - .offset:         68
        .size:           4
        .value_kind:     hidden_block_count_y
      - .offset:         72
        .size:           4
        .value_kind:     hidden_block_count_z
      - .offset:         76
        .size:           2
        .value_kind:     hidden_group_size_x
      - .offset:         78
        .size:           2
        .value_kind:     hidden_group_size_y
      - .offset:         80
        .size:           2
        .value_kind:     hidden_group_size_z
      - .offset:         82
        .size:           2
        .value_kind:     hidden_remainder_x
      - .offset:         84
        .size:           2
        .value_kind:     hidden_remainder_y
      - .offset:         86
        .size:           2
        .value_kind:     hidden_remainder_z
      - .offset:         104
        .size:           8
        .value_kind:     hidden_global_offset_x
      - .offset:         112
        .size:           8
        .value_kind:     hidden_global_offset_y
      - .offset:         120
        .size:           8
        .value_kind:     hidden_global_offset_z
      - .offset:         128
        .size:           2
        .value_kind:     hidden_grid_dims
    .group_segment_fixed_size: 3588
    .kernarg_segment_align: 8
    .kernarg_segment_size: 320
    .language:       OpenCL C
    .language_version:
      - 2
      - 0
    .max_flat_workgroup_size: 64
    .name:           _Z35paged_attention_ll4mi_reduce_kernelIDF16_hLi64ELi64ELi256ELi14EEvPT0_PKfS3_PKT_PKiS8_iS3_
    .private_segment_fixed_size: 0
    .sgpr_count:     63
    .sgpr_spill_count: 0
    .symbol:         _Z35paged_attention_ll4mi_reduce_kernelIDF16_hLi64ELi64ELi256ELi14EEvPT0_PKfS3_PKT_PKiS8_iS3_.kd
    .uniform_work_group_size: 1
    .uses_dynamic_stack: false
    .vgpr_count:     92
    .vgpr_spill_count: 0
    .wavefront_size: 64
  - .agpr_count:     0
    .args:
      - .actual_access:  write_only
        .address_space:  global
        .offset:         0
        .size:           8
        .value_kind:     global_buffer
      - .actual_access:  read_only
        .address_space:  global
        .offset:         8
        .size:           8
        .value_kind:     global_buffer
      - .actual_access:  read_only
        .address_space:  global
        .offset:         16
        .size:           8
        .value_kind:     global_buffer
      - .actual_access:  read_only
        .address_space:  global
        .offset:         24
        .size:           8
        .value_kind:     global_buffer
      - .actual_access:  read_only
        .address_space:  global
        .offset:         32
        .size:           8
        .value_kind:     global_buffer
      - .actual_access:  read_only
        .address_space:  global
        .offset:         40
        .size:           8
        .value_kind:     global_buffer
      - .offset:         48
        .size:           4
        .value_kind:     by_value
      - .actual_access:  read_only
        .address_space:  global
        .offset:         56
        .size:           8
        .value_kind:     global_buffer
      - .offset:         64
        .size:           4
        .value_kind:     hidden_block_count_x
      - .offset:         68
        .size:           4
        .value_kind:     hidden_block_count_y
      - .offset:         72
        .size:           4
        .value_kind:     hidden_block_count_z
      - .offset:         76
        .size:           2
        .value_kind:     hidden_group_size_x
      - .offset:         78
        .size:           2
        .value_kind:     hidden_group_size_y
      - .offset:         80
        .size:           2
        .value_kind:     hidden_group_size_z
      - .offset:         82
        .size:           2
        .value_kind:     hidden_remainder_x
      - .offset:         84
        .size:           2
        .value_kind:     hidden_remainder_y
      - .offset:         86
        .size:           2
        .value_kind:     hidden_remainder_z
      - .offset:         104
        .size:           8
        .value_kind:     hidden_global_offset_x
      - .offset:         112
        .size:           8
        .value_kind:     hidden_global_offset_y
      - .offset:         120
        .size:           8
        .value_kind:     hidden_global_offset_z
      - .offset:         128
        .size:           2
        .value_kind:     hidden_grid_dims
    .group_segment_fixed_size: 3844
    .kernarg_segment_align: 8
    .kernarg_segment_size: 320
    .language:       OpenCL C
    .language_version:
      - 2
      - 0
    .max_flat_workgroup_size: 64
    .name:           _Z35paged_attention_ll4mi_reduce_kernelIDF16_hLi64ELi64ELi256ELi15EEvPT0_PKfS3_PKT_PKiS8_iS3_
    .private_segment_fixed_size: 0
    .sgpr_count:     65
    .sgpr_spill_count: 0
    .symbol:         _Z35paged_attention_ll4mi_reduce_kernelIDF16_hLi64ELi64ELi256ELi15EEvPT0_PKfS3_PKT_PKiS8_iS3_.kd
    .uniform_work_group_size: 1
    .uses_dynamic_stack: false
    .vgpr_count:     92
    .vgpr_spill_count: 0
    .wavefront_size: 64
  - .agpr_count:     0
    .args:
      - .actual_access:  write_only
        .address_space:  global
        .offset:         0
        .size:           8
        .value_kind:     global_buffer
      - .actual_access:  read_only
        .address_space:  global
        .offset:         8
        .size:           8
        .value_kind:     global_buffer
      - .actual_access:  read_only
        .address_space:  global
        .offset:         16
        .size:           8
        .value_kind:     global_buffer
      - .actual_access:  read_only
        .address_space:  global
        .offset:         24
        .size:           8
        .value_kind:     global_buffer
      - .actual_access:  read_only
        .address_space:  global
        .offset:         32
        .size:           8
        .value_kind:     global_buffer
      - .actual_access:  read_only
        .address_space:  global
        .offset:         40
        .size:           8
        .value_kind:     global_buffer
      - .offset:         48
        .size:           4
        .value_kind:     by_value
      - .actual_access:  read_only
        .address_space:  global
        .offset:         56
        .size:           8
        .value_kind:     global_buffer
      - .offset:         64
        .size:           4
        .value_kind:     hidden_block_count_x
      - .offset:         68
        .size:           4
        .value_kind:     hidden_block_count_y
      - .offset:         72
        .size:           4
        .value_kind:     hidden_block_count_z
      - .offset:         76
        .size:           2
        .value_kind:     hidden_group_size_x
      - .offset:         78
        .size:           2
        .value_kind:     hidden_group_size_y
      - .offset:         80
        .size:           2
        .value_kind:     hidden_group_size_z
      - .offset:         82
        .size:           2
        .value_kind:     hidden_remainder_x
      - .offset:         84
        .size:           2
        .value_kind:     hidden_remainder_y
      - .offset:         86
        .size:           2
        .value_kind:     hidden_remainder_z
      - .offset:         104
        .size:           8
        .value_kind:     hidden_global_offset_x
      - .offset:         112
        .size:           8
        .value_kind:     hidden_global_offset_y
      - .offset:         120
        .size:           8
        .value_kind:     hidden_global_offset_z
      - .offset:         128
        .size:           2
        .value_kind:     hidden_grid_dims
    .group_segment_fixed_size: 4100
    .kernarg_segment_align: 8
    .kernarg_segment_size: 320
    .language:       OpenCL C
    .language_version:
      - 2
      - 0
    .max_flat_workgroup_size: 64
    .name:           _Z35paged_attention_ll4mi_reduce_kernelIDF16_hLi64ELi64ELi256ELi16EEvPT0_PKfS3_PKT_PKiS8_iS3_
    .private_segment_fixed_size: 0
    .sgpr_count:     67
    .sgpr_spill_count: 0
    .symbol:         _Z35paged_attention_ll4mi_reduce_kernelIDF16_hLi64ELi64ELi256ELi16EEvPT0_PKfS3_PKT_PKiS8_iS3_.kd
    .uniform_work_group_size: 1
    .uses_dynamic_stack: false
    .vgpr_count:     92
    .vgpr_spill_count: 0
    .wavefront_size: 64
  - .agpr_count:     4
    .args:
      - .actual_access:  read_only
        .address_space:  global
        .offset:         0
        .size:           8
        .value_kind:     global_buffer
      - .actual_access:  read_only
        .address_space:  global
        .offset:         8
        .size:           8
        .value_kind:     global_buffer
      - .actual_access:  read_only
        .address_space:  global
        .offset:         16
        .size:           8
        .value_kind:     global_buffer
      - .offset:         24
        .size:           4
        .value_kind:     by_value
      - .offset:         28
        .size:           4
        .value_kind:     by_value
      - .actual_access:  read_only
        .address_space:  global
        .offset:         32
        .size:           8
        .value_kind:     global_buffer
      - .actual_access:  read_only
        .address_space:  global
        .offset:         40
        .size:           8
        .value_kind:     global_buffer
      - .actual_access:  read_only
        .address_space:  global
        .offset:         48
        .size:           8
        .value_kind:     global_buffer
      - .offset:         56
        .size:           4
        .value_kind:     by_value
      - .actual_access:  read_only
        .address_space:  global
        .offset:         64
        .size:           8
        .value_kind:     global_buffer
      - .offset:         72
        .size:           4
        .value_kind:     by_value
      - .offset:         76
        .size:           4
        .value_kind:     by_value
      - .offset:         80
        .size:           4
        .value_kind:     by_value
      - .actual_access:  write_only
        .address_space:  global
        .offset:         88
        .size:           8
        .value_kind:     global_buffer
      - .actual_access:  write_only
        .address_space:  global
        .offset:         96
        .size:           8
        .value_kind:     global_buffer
      - .actual_access:  write_only
        .address_space:  global
        .offset:         104
        .size:           8
        .value_kind:     global_buffer
      - .actual_access:  read_only
        .address_space:  global
        .offset:         112
        .size:           8
        .value_kind:     global_buffer
      - .offset:         120
        .size:           4
        .value_kind:     by_value
      - .address_space:  global
        .offset:         128
        .size:           8
        .value_kind:     global_buffer
      - .address_space:  global
        .offset:         136
        .size:           8
        .value_kind:     global_buffer
      - .offset:         144
        .size:           4
        .value_kind:     hidden_block_count_x
      - .offset:         148
        .size:           4
        .value_kind:     hidden_block_count_y
      - .offset:         152
        .size:           4
        .value_kind:     hidden_block_count_z
      - .offset:         156
        .size:           2
        .value_kind:     hidden_group_size_x
      - .offset:         158
        .size:           2
        .value_kind:     hidden_group_size_y
      - .offset:         160
        .size:           2
        .value_kind:     hidden_group_size_z
      - .offset:         162
        .size:           2
        .value_kind:     hidden_remainder_x
      - .offset:         164
        .size:           2
        .value_kind:     hidden_remainder_y
      - .offset:         166
        .size:           2
        .value_kind:     hidden_remainder_z
      - .offset:         184
        .size:           8
        .value_kind:     hidden_global_offset_x
      - .offset:         192
        .size:           8
        .value_kind:     hidden_global_offset_y
      - .offset:         200
        .size:           8
        .value_kind:     hidden_global_offset_z
      - .offset:         208
        .size:           2
        .value_kind:     hidden_grid_dims
    .group_segment_fixed_size: 2720
    .kernarg_segment_align: 8
    .kernarg_segment_size: 400
    .language:       OpenCL C
    .language_version:
      - 2
      - 0
    .max_flat_workgroup_size: 256
    .name:           _Z38paged_attention_ll4mi_QKV_mfma4_kernelIDF16_DF16_LN4vllm18Fp8KVCacheDataTypeE0EhLi16ELi64ELi256ELb0ELi1EEvPKT_PKT0_S7_ifPKiS9_S9_iPKfiiiPfSC_PS2_PT2_iSB_SB_
    .private_segment_fixed_size: 0
    .sgpr_count:     44
    .sgpr_spill_count: 0
    .symbol:         _Z38paged_attention_ll4mi_QKV_mfma4_kernelIDF16_DF16_LN4vllm18Fp8KVCacheDataTypeE0EhLi16ELi64ELi256ELb0ELi1EEvPKT_PKT0_S7_ifPKiS9_S9_iPKfiiiPfSC_PS2_PT2_iSB_SB_.kd
    .uniform_work_group_size: 1
    .uses_dynamic_stack: false
    .vgpr_count:     68
    .vgpr_spill_count: 0
    .wavefront_size: 64
  - .agpr_count:     4
    .args:
      - .actual_access:  read_only
        .address_space:  global
        .offset:         0
        .size:           8
        .value_kind:     global_buffer
      - .actual_access:  read_only
        .address_space:  global
        .offset:         8
        .size:           8
        .value_kind:     global_buffer
      - .actual_access:  read_only
        .address_space:  global
        .offset:         16
        .size:           8
        .value_kind:     global_buffer
      - .offset:         24
        .size:           4
        .value_kind:     by_value
      - .offset:         28
        .size:           4
        .value_kind:     by_value
      - .actual_access:  read_only
        .address_space:  global
        .offset:         32
        .size:           8
        .value_kind:     global_buffer
      - .actual_access:  read_only
        .address_space:  global
        .offset:         40
        .size:           8
        .value_kind:     global_buffer
      - .actual_access:  read_only
        .address_space:  global
        .offset:         48
        .size:           8
        .value_kind:     global_buffer
      - .offset:         56
        .size:           4
        .value_kind:     by_value
      - .actual_access:  read_only
        .address_space:  global
        .offset:         64
        .size:           8
        .value_kind:     global_buffer
      - .offset:         72
        .size:           4
        .value_kind:     by_value
      - .offset:         76
        .size:           4
        .value_kind:     by_value
      - .offset:         80
        .size:           4
        .value_kind:     by_value
      - .actual_access:  write_only
        .address_space:  global
        .offset:         88
        .size:           8
        .value_kind:     global_buffer
      - .actual_access:  write_only
        .address_space:  global
        .offset:         96
        .size:           8
        .value_kind:     global_buffer
      - .actual_access:  write_only
        .address_space:  global
        .offset:         104
        .size:           8
        .value_kind:     global_buffer
      - .actual_access:  read_only
        .address_space:  global
        .offset:         112
        .size:           8
        .value_kind:     global_buffer
      - .offset:         120
        .size:           4
        .value_kind:     by_value
      - .address_space:  global
        .offset:         128
        .size:           8
        .value_kind:     global_buffer
      - .address_space:  global
        .offset:         136
        .size:           8
        .value_kind:     global_buffer
      - .offset:         144
        .size:           4
        .value_kind:     hidden_block_count_x
      - .offset:         148
        .size:           4
        .value_kind:     hidden_block_count_y
      - .offset:         152
        .size:           4
        .value_kind:     hidden_block_count_z
      - .offset:         156
        .size:           2
        .value_kind:     hidden_group_size_x
      - .offset:         158
        .size:           2
        .value_kind:     hidden_group_size_y
      - .offset:         160
        .size:           2
        .value_kind:     hidden_group_size_z
      - .offset:         162
        .size:           2
        .value_kind:     hidden_remainder_x
      - .offset:         164
        .size:           2
        .value_kind:     hidden_remainder_y
      - .offset:         166
        .size:           2
        .value_kind:     hidden_remainder_z
      - .offset:         184
        .size:           8
        .value_kind:     hidden_global_offset_x
      - .offset:         192
        .size:           8
        .value_kind:     hidden_global_offset_y
      - .offset:         200
        .size:           8
        .value_kind:     hidden_global_offset_z
      - .offset:         208
        .size:           2
        .value_kind:     hidden_grid_dims
    .group_segment_fixed_size: 2720
    .kernarg_segment_align: 8
    .kernarg_segment_size: 400
    .language:       OpenCL C
    .language_version:
      - 2
      - 0
    .max_flat_workgroup_size: 256
    .name:           _Z38paged_attention_ll4mi_QKV_mfma4_kernelIDF16_DF16_LN4vllm18Fp8KVCacheDataTypeE0EhLi16ELi64ELi256ELb0ELi2EEvPKT_PKT0_S7_ifPKiS9_S9_iPKfiiiPfSC_PS2_PT2_iSB_SB_
    .private_segment_fixed_size: 0
    .sgpr_count:     44
    .sgpr_spill_count: 0
    .symbol:         _Z38paged_attention_ll4mi_QKV_mfma4_kernelIDF16_DF16_LN4vllm18Fp8KVCacheDataTypeE0EhLi16ELi64ELi256ELb0ELi2EEvPKT_PKT0_S7_ifPKiS9_S9_iPKfiiiPfSC_PS2_PT2_iSB_SB_.kd
    .uniform_work_group_size: 1
    .uses_dynamic_stack: false
    .vgpr_count:     68
    .vgpr_spill_count: 0
    .wavefront_size: 64
  - .agpr_count:     4
    .args:
      - .actual_access:  read_only
        .address_space:  global
        .offset:         0
        .size:           8
        .value_kind:     global_buffer
      - .actual_access:  read_only
        .address_space:  global
        .offset:         8
        .size:           8
        .value_kind:     global_buffer
      - .actual_access:  read_only
        .address_space:  global
        .offset:         16
        .size:           8
        .value_kind:     global_buffer
      - .offset:         24
        .size:           4
        .value_kind:     by_value
      - .offset:         28
        .size:           4
        .value_kind:     by_value
      - .actual_access:  read_only
        .address_space:  global
        .offset:         32
        .size:           8
        .value_kind:     global_buffer
      - .actual_access:  read_only
        .address_space:  global
        .offset:         40
        .size:           8
        .value_kind:     global_buffer
      - .actual_access:  read_only
        .address_space:  global
        .offset:         48
        .size:           8
        .value_kind:     global_buffer
      - .offset:         56
        .size:           4
        .value_kind:     by_value
      - .actual_access:  read_only
        .address_space:  global
        .offset:         64
        .size:           8
        .value_kind:     global_buffer
      - .offset:         72
        .size:           4
        .value_kind:     by_value
      - .offset:         76
        .size:           4
        .value_kind:     by_value
      - .offset:         80
        .size:           4
        .value_kind:     by_value
      - .actual_access:  write_only
        .address_space:  global
        .offset:         88
        .size:           8
        .value_kind:     global_buffer
      - .actual_access:  write_only
        .address_space:  global
        .offset:         96
        .size:           8
        .value_kind:     global_buffer
      - .actual_access:  write_only
        .address_space:  global
        .offset:         104
        .size:           8
        .value_kind:     global_buffer
      - .actual_access:  read_only
        .address_space:  global
        .offset:         112
        .size:           8
        .value_kind:     global_buffer
      - .offset:         120
        .size:           4
        .value_kind:     by_value
      - .address_space:  global
        .offset:         128
        .size:           8
        .value_kind:     global_buffer
      - .address_space:  global
        .offset:         136
        .size:           8
        .value_kind:     global_buffer
      - .offset:         144
        .size:           4
        .value_kind:     hidden_block_count_x
      - .offset:         148
        .size:           4
        .value_kind:     hidden_block_count_y
      - .offset:         152
        .size:           4
        .value_kind:     hidden_block_count_z
      - .offset:         156
        .size:           2
        .value_kind:     hidden_group_size_x
      - .offset:         158
        .size:           2
        .value_kind:     hidden_group_size_y
      - .offset:         160
        .size:           2
        .value_kind:     hidden_group_size_z
      - .offset:         162
        .size:           2
        .value_kind:     hidden_remainder_x
      - .offset:         164
        .size:           2
        .value_kind:     hidden_remainder_y
      - .offset:         166
        .size:           2
        .value_kind:     hidden_remainder_z
      - .offset:         184
        .size:           8
        .value_kind:     hidden_global_offset_x
      - .offset:         192
        .size:           8
        .value_kind:     hidden_global_offset_y
      - .offset:         200
        .size:           8
        .value_kind:     hidden_global_offset_z
      - .offset:         208
        .size:           2
        .value_kind:     hidden_grid_dims
    .group_segment_fixed_size: 2720
    .kernarg_segment_align: 8
    .kernarg_segment_size: 400
    .language:       OpenCL C
    .language_version:
      - 2
      - 0
    .max_flat_workgroup_size: 256
    .name:           _Z38paged_attention_ll4mi_QKV_mfma4_kernelIDF16_DF16_LN4vllm18Fp8KVCacheDataTypeE0EhLi16ELi64ELi256ELb0ELi3EEvPKT_PKT0_S7_ifPKiS9_S9_iPKfiiiPfSC_PS2_PT2_iSB_SB_
    .private_segment_fixed_size: 0
    .sgpr_count:     44
    .sgpr_spill_count: 0
    .symbol:         _Z38paged_attention_ll4mi_QKV_mfma4_kernelIDF16_DF16_LN4vllm18Fp8KVCacheDataTypeE0EhLi16ELi64ELi256ELb0ELi3EEvPKT_PKT0_S7_ifPKiS9_S9_iPKfiiiPfSC_PS2_PT2_iSB_SB_.kd
    .uniform_work_group_size: 1
    .uses_dynamic_stack: false
    .vgpr_count:     68
    .vgpr_spill_count: 0
    .wavefront_size: 64
  - .agpr_count:     4
    .args:
      - .actual_access:  read_only
        .address_space:  global
        .offset:         0
        .size:           8
        .value_kind:     global_buffer
      - .actual_access:  read_only
        .address_space:  global
        .offset:         8
        .size:           8
        .value_kind:     global_buffer
      - .actual_access:  read_only
        .address_space:  global
        .offset:         16
        .size:           8
        .value_kind:     global_buffer
      - .offset:         24
        .size:           4
        .value_kind:     by_value
      - .offset:         28
        .size:           4
        .value_kind:     by_value
      - .actual_access:  read_only
        .address_space:  global
        .offset:         32
        .size:           8
        .value_kind:     global_buffer
      - .actual_access:  read_only
        .address_space:  global
        .offset:         40
        .size:           8
        .value_kind:     global_buffer
      - .actual_access:  read_only
        .address_space:  global
        .offset:         48
        .size:           8
        .value_kind:     global_buffer
      - .offset:         56
        .size:           4
        .value_kind:     by_value
      - .actual_access:  read_only
        .address_space:  global
        .offset:         64
        .size:           8
        .value_kind:     global_buffer
      - .offset:         72
        .size:           4
        .value_kind:     by_value
      - .offset:         76
        .size:           4
        .value_kind:     by_value
      - .offset:         80
        .size:           4
        .value_kind:     by_value
      - .actual_access:  write_only
        .address_space:  global
        .offset:         88
        .size:           8
        .value_kind:     global_buffer
      - .actual_access:  write_only
        .address_space:  global
        .offset:         96
        .size:           8
        .value_kind:     global_buffer
      - .actual_access:  write_only
        .address_space:  global
        .offset:         104
        .size:           8
        .value_kind:     global_buffer
      - .actual_access:  read_only
        .address_space:  global
        .offset:         112
        .size:           8
        .value_kind:     global_buffer
      - .offset:         120
        .size:           4
        .value_kind:     by_value
      - .address_space:  global
        .offset:         128
        .size:           8
        .value_kind:     global_buffer
      - .address_space:  global
        .offset:         136
        .size:           8
        .value_kind:     global_buffer
      - .offset:         144
        .size:           4
        .value_kind:     hidden_block_count_x
      - .offset:         148
        .size:           4
        .value_kind:     hidden_block_count_y
      - .offset:         152
        .size:           4
        .value_kind:     hidden_block_count_z
      - .offset:         156
        .size:           2
        .value_kind:     hidden_group_size_x
      - .offset:         158
        .size:           2
        .value_kind:     hidden_group_size_y
      - .offset:         160
        .size:           2
        .value_kind:     hidden_group_size_z
      - .offset:         162
        .size:           2
        .value_kind:     hidden_remainder_x
      - .offset:         164
        .size:           2
        .value_kind:     hidden_remainder_y
      - .offset:         166
        .size:           2
        .value_kind:     hidden_remainder_z
      - .offset:         184
        .size:           8
        .value_kind:     hidden_global_offset_x
      - .offset:         192
        .size:           8
        .value_kind:     hidden_global_offset_y
      - .offset:         200
        .size:           8
        .value_kind:     hidden_global_offset_z
      - .offset:         208
        .size:           2
        .value_kind:     hidden_grid_dims
    .group_segment_fixed_size: 2720
    .kernarg_segment_align: 8
    .kernarg_segment_size: 400
    .language:       OpenCL C
    .language_version:
      - 2
      - 0
    .max_flat_workgroup_size: 256
    .name:           _Z38paged_attention_ll4mi_QKV_mfma4_kernelIDF16_DF16_LN4vllm18Fp8KVCacheDataTypeE0EhLi16ELi64ELi256ELb0ELi4EEvPKT_PKT0_S7_ifPKiS9_S9_iPKfiiiPfSC_PS2_PT2_iSB_SB_
    .private_segment_fixed_size: 0
    .sgpr_count:     44
    .sgpr_spill_count: 0
    .symbol:         _Z38paged_attention_ll4mi_QKV_mfma4_kernelIDF16_DF16_LN4vllm18Fp8KVCacheDataTypeE0EhLi16ELi64ELi256ELb0ELi4EEvPKT_PKT0_S7_ifPKiS9_S9_iPKfiiiPfSC_PS2_PT2_iSB_SB_.kd
    .uniform_work_group_size: 1
    .uses_dynamic_stack: false
    .vgpr_count:     68
    .vgpr_spill_count: 0
    .wavefront_size: 64
  - .agpr_count:     0
    .args:
      - .actual_access:  read_only
        .address_space:  global
        .offset:         0
        .size:           8
        .value_kind:     global_buffer
      - .actual_access:  read_only
        .address_space:  global
        .offset:         8
        .size:           8
        .value_kind:     global_buffer
      - .actual_access:  read_only
        .address_space:  global
        .offset:         16
        .size:           8
        .value_kind:     global_buffer
      - .offset:         24
        .size:           4
        .value_kind:     by_value
      - .offset:         28
        .size:           4
        .value_kind:     by_value
      - .actual_access:  read_only
        .address_space:  global
        .offset:         32
        .size:           8
        .value_kind:     global_buffer
      - .actual_access:  read_only
        .address_space:  global
        .offset:         40
        .size:           8
        .value_kind:     global_buffer
      - .actual_access:  read_only
        .address_space:  global
        .offset:         48
        .size:           8
        .value_kind:     global_buffer
      - .offset:         56
        .size:           4
        .value_kind:     by_value
      - .actual_access:  read_only
        .address_space:  global
        .offset:         64
        .size:           8
        .value_kind:     global_buffer
      - .offset:         72
        .size:           4
        .value_kind:     by_value
      - .offset:         76
        .size:           4
        .value_kind:     by_value
      - .offset:         80
        .size:           4
        .value_kind:     by_value
      - .actual_access:  write_only
        .address_space:  global
        .offset:         88
        .size:           8
        .value_kind:     global_buffer
      - .actual_access:  write_only
        .address_space:  global
        .offset:         96
        .size:           8
        .value_kind:     global_buffer
      - .actual_access:  write_only
        .address_space:  global
        .offset:         104
        .size:           8
        .value_kind:     global_buffer
      - .actual_access:  read_only
        .address_space:  global
        .offset:         112
        .size:           8
        .value_kind:     global_buffer
      - .offset:         120
        .size:           4
        .value_kind:     by_value
      - .address_space:  global
        .offset:         128
        .size:           8
        .value_kind:     global_buffer
      - .address_space:  global
        .offset:         136
        .size:           8
        .value_kind:     global_buffer
      - .offset:         144
        .size:           4
        .value_kind:     hidden_block_count_x
      - .offset:         148
        .size:           4
        .value_kind:     hidden_block_count_y
      - .offset:         152
        .size:           4
        .value_kind:     hidden_block_count_z
      - .offset:         156
        .size:           2
        .value_kind:     hidden_group_size_x
      - .offset:         158
        .size:           2
        .value_kind:     hidden_group_size_y
      - .offset:         160
        .size:           2
        .value_kind:     hidden_group_size_z
      - .offset:         162
        .size:           2
        .value_kind:     hidden_remainder_x
      - .offset:         164
        .size:           2
        .value_kind:     hidden_remainder_y
      - .offset:         166
        .size:           2
        .value_kind:     hidden_remainder_z
      - .offset:         184
        .size:           8
        .value_kind:     hidden_global_offset_x
      - .offset:         192
        .size:           8
        .value_kind:     hidden_global_offset_y
      - .offset:         200
        .size:           8
        .value_kind:     hidden_global_offset_z
      - .offset:         208
        .size:           2
        .value_kind:     hidden_grid_dims
    .group_segment_fixed_size: 8192
    .kernarg_segment_align: 8
    .kernarg_segment_size: 400
    .language:       OpenCL C
    .language_version:
      - 2
      - 0
    .max_flat_workgroup_size: 256
    .name:           _Z39paged_attention_ll4mi_QKV_mfma16_kernelIDF16_DF16_LN4vllm18Fp8KVCacheDataTypeE0EhLi16ELi64ELi256ELb0ELi5EEvPKT_PKT0_S7_ifPKiS9_S9_iPKfiiiPfSC_PS2_PT2_iSB_SB_
    .private_segment_fixed_size: 0
    .sgpr_count:     54
    .sgpr_spill_count: 0
    .symbol:         _Z39paged_attention_ll4mi_QKV_mfma16_kernelIDF16_DF16_LN4vllm18Fp8KVCacheDataTypeE0EhLi16ELi64ELi256ELb0ELi5EEvPKT_PKT0_S7_ifPKiS9_S9_iPKfiiiPfSC_PS2_PT2_iSB_SB_.kd
    .uniform_work_group_size: 1
    .uses_dynamic_stack: false
    .vgpr_count:     69
    .vgpr_spill_count: 0
    .wavefront_size: 64
  - .agpr_count:     0
    .args:
      - .actual_access:  read_only
        .address_space:  global
        .offset:         0
        .size:           8
        .value_kind:     global_buffer
      - .actual_access:  read_only
        .address_space:  global
        .offset:         8
        .size:           8
        .value_kind:     global_buffer
      - .actual_access:  read_only
        .address_space:  global
        .offset:         16
        .size:           8
        .value_kind:     global_buffer
      - .offset:         24
        .size:           4
        .value_kind:     by_value
      - .offset:         28
        .size:           4
        .value_kind:     by_value
      - .actual_access:  read_only
        .address_space:  global
        .offset:         32
        .size:           8
        .value_kind:     global_buffer
      - .actual_access:  read_only
        .address_space:  global
        .offset:         40
        .size:           8
        .value_kind:     global_buffer
      - .actual_access:  read_only
        .address_space:  global
        .offset:         48
        .size:           8
        .value_kind:     global_buffer
      - .offset:         56
        .size:           4
        .value_kind:     by_value
      - .actual_access:  read_only
        .address_space:  global
        .offset:         64
        .size:           8
        .value_kind:     global_buffer
      - .offset:         72
        .size:           4
        .value_kind:     by_value
      - .offset:         76
        .size:           4
        .value_kind:     by_value
      - .offset:         80
        .size:           4
        .value_kind:     by_value
      - .actual_access:  write_only
        .address_space:  global
        .offset:         88
        .size:           8
        .value_kind:     global_buffer
      - .actual_access:  write_only
        .address_space:  global
        .offset:         96
        .size:           8
        .value_kind:     global_buffer
      - .actual_access:  write_only
        .address_space:  global
        .offset:         104
        .size:           8
        .value_kind:     global_buffer
      - .actual_access:  read_only
        .address_space:  global
        .offset:         112
        .size:           8
        .value_kind:     global_buffer
      - .offset:         120
        .size:           4
        .value_kind:     by_value
      - .address_space:  global
        .offset:         128
        .size:           8
        .value_kind:     global_buffer
      - .address_space:  global
        .offset:         136
        .size:           8
        .value_kind:     global_buffer
      - .offset:         144
        .size:           4
        .value_kind:     hidden_block_count_x
      - .offset:         148
        .size:           4
        .value_kind:     hidden_block_count_y
      - .offset:         152
        .size:           4
        .value_kind:     hidden_block_count_z
      - .offset:         156
        .size:           2
        .value_kind:     hidden_group_size_x
      - .offset:         158
        .size:           2
        .value_kind:     hidden_group_size_y
      - .offset:         160
        .size:           2
        .value_kind:     hidden_group_size_z
      - .offset:         162
        .size:           2
        .value_kind:     hidden_remainder_x
      - .offset:         164
        .size:           2
        .value_kind:     hidden_remainder_y
      - .offset:         166
        .size:           2
        .value_kind:     hidden_remainder_z
      - .offset:         184
        .size:           8
        .value_kind:     hidden_global_offset_x
      - .offset:         192
        .size:           8
        .value_kind:     hidden_global_offset_y
      - .offset:         200
        .size:           8
        .value_kind:     hidden_global_offset_z
      - .offset:         208
        .size:           2
        .value_kind:     hidden_grid_dims
    .group_segment_fixed_size: 8192
    .kernarg_segment_align: 8
    .kernarg_segment_size: 400
    .language:       OpenCL C
    .language_version:
      - 2
      - 0
    .max_flat_workgroup_size: 256
    .name:           _Z39paged_attention_ll4mi_QKV_mfma16_kernelIDF16_DF16_LN4vllm18Fp8KVCacheDataTypeE0EhLi16ELi64ELi256ELb0ELi6EEvPKT_PKT0_S7_ifPKiS9_S9_iPKfiiiPfSC_PS2_PT2_iSB_SB_
    .private_segment_fixed_size: 0
    .sgpr_count:     54
    .sgpr_spill_count: 0
    .symbol:         _Z39paged_attention_ll4mi_QKV_mfma16_kernelIDF16_DF16_LN4vllm18Fp8KVCacheDataTypeE0EhLi16ELi64ELi256ELb0ELi6EEvPKT_PKT0_S7_ifPKiS9_S9_iPKfiiiPfSC_PS2_PT2_iSB_SB_.kd
    .uniform_work_group_size: 1
    .uses_dynamic_stack: false
    .vgpr_count:     69
    .vgpr_spill_count: 0
    .wavefront_size: 64
  - .agpr_count:     0
    .args:
      - .actual_access:  read_only
        .address_space:  global
        .offset:         0
        .size:           8
        .value_kind:     global_buffer
      - .actual_access:  read_only
        .address_space:  global
        .offset:         8
        .size:           8
        .value_kind:     global_buffer
      - .actual_access:  read_only
        .address_space:  global
        .offset:         16
        .size:           8
        .value_kind:     global_buffer
      - .offset:         24
        .size:           4
        .value_kind:     by_value
      - .offset:         28
        .size:           4
        .value_kind:     by_value
      - .actual_access:  read_only
        .address_space:  global
        .offset:         32
        .size:           8
        .value_kind:     global_buffer
      - .actual_access:  read_only
        .address_space:  global
        .offset:         40
        .size:           8
        .value_kind:     global_buffer
      - .actual_access:  read_only
        .address_space:  global
        .offset:         48
        .size:           8
        .value_kind:     global_buffer
      - .offset:         56
        .size:           4
        .value_kind:     by_value
      - .actual_access:  read_only
        .address_space:  global
        .offset:         64
        .size:           8
        .value_kind:     global_buffer
      - .offset:         72
        .size:           4
        .value_kind:     by_value
      - .offset:         76
        .size:           4
        .value_kind:     by_value
      - .offset:         80
        .size:           4
        .value_kind:     by_value
      - .actual_access:  write_only
        .address_space:  global
        .offset:         88
        .size:           8
        .value_kind:     global_buffer
      - .actual_access:  write_only
        .address_space:  global
        .offset:         96
        .size:           8
        .value_kind:     global_buffer
      - .actual_access:  write_only
        .address_space:  global
        .offset:         104
        .size:           8
        .value_kind:     global_buffer
      - .actual_access:  read_only
        .address_space:  global
        .offset:         112
        .size:           8
        .value_kind:     global_buffer
      - .offset:         120
        .size:           4
        .value_kind:     by_value
      - .address_space:  global
        .offset:         128
        .size:           8
        .value_kind:     global_buffer
      - .address_space:  global
        .offset:         136
        .size:           8
        .value_kind:     global_buffer
      - .offset:         144
        .size:           4
        .value_kind:     hidden_block_count_x
      - .offset:         148
        .size:           4
        .value_kind:     hidden_block_count_y
      - .offset:         152
        .size:           4
        .value_kind:     hidden_block_count_z
      - .offset:         156
        .size:           2
        .value_kind:     hidden_group_size_x
      - .offset:         158
        .size:           2
        .value_kind:     hidden_group_size_y
      - .offset:         160
        .size:           2
        .value_kind:     hidden_group_size_z
      - .offset:         162
        .size:           2
        .value_kind:     hidden_remainder_x
      - .offset:         164
        .size:           2
        .value_kind:     hidden_remainder_y
      - .offset:         166
        .size:           2
        .value_kind:     hidden_remainder_z
      - .offset:         184
        .size:           8
        .value_kind:     hidden_global_offset_x
      - .offset:         192
        .size:           8
        .value_kind:     hidden_global_offset_y
      - .offset:         200
        .size:           8
        .value_kind:     hidden_global_offset_z
      - .offset:         208
        .size:           2
        .value_kind:     hidden_grid_dims
    .group_segment_fixed_size: 8192
    .kernarg_segment_align: 8
    .kernarg_segment_size: 400
    .language:       OpenCL C
    .language_version:
      - 2
      - 0
    .max_flat_workgroup_size: 256
    .name:           _Z39paged_attention_ll4mi_QKV_mfma16_kernelIDF16_DF16_LN4vllm18Fp8KVCacheDataTypeE0EhLi16ELi64ELi256ELb0ELi7EEvPKT_PKT0_S7_ifPKiS9_S9_iPKfiiiPfSC_PS2_PT2_iSB_SB_
    .private_segment_fixed_size: 0
    .sgpr_count:     54
    .sgpr_spill_count: 0
    .symbol:         _Z39paged_attention_ll4mi_QKV_mfma16_kernelIDF16_DF16_LN4vllm18Fp8KVCacheDataTypeE0EhLi16ELi64ELi256ELb0ELi7EEvPKT_PKT0_S7_ifPKiS9_S9_iPKfiiiPfSC_PS2_PT2_iSB_SB_.kd
    .uniform_work_group_size: 1
    .uses_dynamic_stack: false
    .vgpr_count:     69
    .vgpr_spill_count: 0
    .wavefront_size: 64
  - .agpr_count:     0
    .args:
      - .actual_access:  read_only
        .address_space:  global
        .offset:         0
        .size:           8
        .value_kind:     global_buffer
      - .actual_access:  read_only
        .address_space:  global
        .offset:         8
        .size:           8
        .value_kind:     global_buffer
      - .actual_access:  read_only
        .address_space:  global
        .offset:         16
        .size:           8
        .value_kind:     global_buffer
      - .offset:         24
        .size:           4
        .value_kind:     by_value
      - .offset:         28
        .size:           4
        .value_kind:     by_value
      - .actual_access:  read_only
        .address_space:  global
        .offset:         32
        .size:           8
        .value_kind:     global_buffer
      - .actual_access:  read_only
        .address_space:  global
        .offset:         40
        .size:           8
        .value_kind:     global_buffer
      - .actual_access:  read_only
        .address_space:  global
        .offset:         48
        .size:           8
        .value_kind:     global_buffer
      - .offset:         56
        .size:           4
        .value_kind:     by_value
      - .actual_access:  read_only
        .address_space:  global
        .offset:         64
        .size:           8
        .value_kind:     global_buffer
      - .offset:         72
        .size:           4
        .value_kind:     by_value
      - .offset:         76
        .size:           4
        .value_kind:     by_value
      - .offset:         80
        .size:           4
        .value_kind:     by_value
      - .actual_access:  write_only
        .address_space:  global
        .offset:         88
        .size:           8
        .value_kind:     global_buffer
      - .actual_access:  write_only
        .address_space:  global
        .offset:         96
        .size:           8
        .value_kind:     global_buffer
      - .actual_access:  write_only
        .address_space:  global
        .offset:         104
        .size:           8
        .value_kind:     global_buffer
      - .actual_access:  read_only
        .address_space:  global
        .offset:         112
        .size:           8
        .value_kind:     global_buffer
      - .offset:         120
        .size:           4
        .value_kind:     by_value
      - .address_space:  global
        .offset:         128
        .size:           8
        .value_kind:     global_buffer
      - .address_space:  global
        .offset:         136
        .size:           8
        .value_kind:     global_buffer
      - .offset:         144
        .size:           4
        .value_kind:     hidden_block_count_x
      - .offset:         148
        .size:           4
        .value_kind:     hidden_block_count_y
      - .offset:         152
        .size:           4
        .value_kind:     hidden_block_count_z
      - .offset:         156
        .size:           2
        .value_kind:     hidden_group_size_x
      - .offset:         158
        .size:           2
        .value_kind:     hidden_group_size_y
      - .offset:         160
        .size:           2
        .value_kind:     hidden_group_size_z
      - .offset:         162
        .size:           2
        .value_kind:     hidden_remainder_x
      - .offset:         164
        .size:           2
        .value_kind:     hidden_remainder_y
      - .offset:         166
        .size:           2
        .value_kind:     hidden_remainder_z
      - .offset:         184
        .size:           8
        .value_kind:     hidden_global_offset_x
      - .offset:         192
        .size:           8
        .value_kind:     hidden_global_offset_y
      - .offset:         200
        .size:           8
        .value_kind:     hidden_global_offset_z
      - .offset:         208
        .size:           2
        .value_kind:     hidden_grid_dims
    .group_segment_fixed_size: 8192
    .kernarg_segment_align: 8
    .kernarg_segment_size: 400
    .language:       OpenCL C
    .language_version:
      - 2
      - 0
    .max_flat_workgroup_size: 256
    .name:           _Z39paged_attention_ll4mi_QKV_mfma16_kernelIDF16_DF16_LN4vllm18Fp8KVCacheDataTypeE0EhLi16ELi64ELi256ELb0ELi8EEvPKT_PKT0_S7_ifPKiS9_S9_iPKfiiiPfSC_PS2_PT2_iSB_SB_
    .private_segment_fixed_size: 0
    .sgpr_count:     54
    .sgpr_spill_count: 0
    .symbol:         _Z39paged_attention_ll4mi_QKV_mfma16_kernelIDF16_DF16_LN4vllm18Fp8KVCacheDataTypeE0EhLi16ELi64ELi256ELb0ELi8EEvPKT_PKT0_S7_ifPKiS9_S9_iPKfiiiPfSC_PS2_PT2_iSB_SB_.kd
    .uniform_work_group_size: 1
    .uses_dynamic_stack: false
    .vgpr_count:     69
    .vgpr_spill_count: 0
    .wavefront_size: 64
  - .agpr_count:     0
    .args:
      - .actual_access:  read_only
        .address_space:  global
        .offset:         0
        .size:           8
        .value_kind:     global_buffer
      - .actual_access:  read_only
        .address_space:  global
        .offset:         8
        .size:           8
        .value_kind:     global_buffer
      - .actual_access:  read_only
        .address_space:  global
        .offset:         16
        .size:           8
        .value_kind:     global_buffer
      - .offset:         24
        .size:           4
        .value_kind:     by_value
      - .offset:         28
        .size:           4
        .value_kind:     by_value
      - .actual_access:  read_only
        .address_space:  global
        .offset:         32
        .size:           8
        .value_kind:     global_buffer
      - .actual_access:  read_only
        .address_space:  global
        .offset:         40
        .size:           8
        .value_kind:     global_buffer
      - .actual_access:  read_only
        .address_space:  global
        .offset:         48
        .size:           8
        .value_kind:     global_buffer
      - .offset:         56
        .size:           4
        .value_kind:     by_value
      - .actual_access:  read_only
        .address_space:  global
        .offset:         64
        .size:           8
        .value_kind:     global_buffer
      - .offset:         72
        .size:           4
        .value_kind:     by_value
      - .offset:         76
        .size:           4
        .value_kind:     by_value
      - .offset:         80
        .size:           4
        .value_kind:     by_value
      - .actual_access:  write_only
        .address_space:  global
        .offset:         88
        .size:           8
        .value_kind:     global_buffer
      - .actual_access:  write_only
        .address_space:  global
        .offset:         96
        .size:           8
        .value_kind:     global_buffer
      - .actual_access:  write_only
        .address_space:  global
        .offset:         104
        .size:           8
        .value_kind:     global_buffer
      - .actual_access:  read_only
        .address_space:  global
        .offset:         112
        .size:           8
        .value_kind:     global_buffer
      - .offset:         120
        .size:           4
        .value_kind:     by_value
      - .address_space:  global
        .offset:         128
        .size:           8
        .value_kind:     global_buffer
      - .address_space:  global
        .offset:         136
        .size:           8
        .value_kind:     global_buffer
      - .offset:         144
        .size:           4
        .value_kind:     hidden_block_count_x
      - .offset:         148
        .size:           4
        .value_kind:     hidden_block_count_y
      - .offset:         152
        .size:           4
        .value_kind:     hidden_block_count_z
      - .offset:         156
        .size:           2
        .value_kind:     hidden_group_size_x
      - .offset:         158
        .size:           2
        .value_kind:     hidden_group_size_y
      - .offset:         160
        .size:           2
        .value_kind:     hidden_group_size_z
      - .offset:         162
        .size:           2
        .value_kind:     hidden_remainder_x
      - .offset:         164
        .size:           2
        .value_kind:     hidden_remainder_y
      - .offset:         166
        .size:           2
        .value_kind:     hidden_remainder_z
      - .offset:         184
        .size:           8
        .value_kind:     hidden_global_offset_x
      - .offset:         192
        .size:           8
        .value_kind:     hidden_global_offset_y
      - .offset:         200
        .size:           8
        .value_kind:     hidden_global_offset_z
      - .offset:         208
        .size:           2
        .value_kind:     hidden_grid_dims
    .group_segment_fixed_size: 8192
    .kernarg_segment_align: 8
    .kernarg_segment_size: 400
    .language:       OpenCL C
    .language_version:
      - 2
      - 0
    .max_flat_workgroup_size: 256
    .name:           _Z39paged_attention_ll4mi_QKV_mfma16_kernelIDF16_DF16_LN4vllm18Fp8KVCacheDataTypeE0EhLi16ELi64ELi256ELb0ELi9EEvPKT_PKT0_S7_ifPKiS9_S9_iPKfiiiPfSC_PS2_PT2_iSB_SB_
    .private_segment_fixed_size: 0
    .sgpr_count:     54
    .sgpr_spill_count: 0
    .symbol:         _Z39paged_attention_ll4mi_QKV_mfma16_kernelIDF16_DF16_LN4vllm18Fp8KVCacheDataTypeE0EhLi16ELi64ELi256ELb0ELi9EEvPKT_PKT0_S7_ifPKiS9_S9_iPKfiiiPfSC_PS2_PT2_iSB_SB_.kd
    .uniform_work_group_size: 1
    .uses_dynamic_stack: false
    .vgpr_count:     69
    .vgpr_spill_count: 0
    .wavefront_size: 64
  - .agpr_count:     0
    .args:
      - .actual_access:  read_only
        .address_space:  global
        .offset:         0
        .size:           8
        .value_kind:     global_buffer
      - .actual_access:  read_only
        .address_space:  global
        .offset:         8
        .size:           8
        .value_kind:     global_buffer
      - .actual_access:  read_only
        .address_space:  global
        .offset:         16
        .size:           8
        .value_kind:     global_buffer
      - .offset:         24
        .size:           4
        .value_kind:     by_value
      - .offset:         28
        .size:           4
        .value_kind:     by_value
      - .actual_access:  read_only
        .address_space:  global
        .offset:         32
        .size:           8
        .value_kind:     global_buffer
      - .actual_access:  read_only
        .address_space:  global
        .offset:         40
        .size:           8
        .value_kind:     global_buffer
      - .actual_access:  read_only
        .address_space:  global
        .offset:         48
        .size:           8
        .value_kind:     global_buffer
      - .offset:         56
        .size:           4
        .value_kind:     by_value
      - .actual_access:  read_only
        .address_space:  global
        .offset:         64
        .size:           8
        .value_kind:     global_buffer
      - .offset:         72
        .size:           4
        .value_kind:     by_value
      - .offset:         76
        .size:           4
        .value_kind:     by_value
      - .offset:         80
        .size:           4
        .value_kind:     by_value
      - .actual_access:  write_only
        .address_space:  global
        .offset:         88
        .size:           8
        .value_kind:     global_buffer
      - .actual_access:  write_only
        .address_space:  global
        .offset:         96
        .size:           8
        .value_kind:     global_buffer
      - .actual_access:  write_only
        .address_space:  global
        .offset:         104
        .size:           8
        .value_kind:     global_buffer
      - .actual_access:  read_only
        .address_space:  global
        .offset:         112
        .size:           8
        .value_kind:     global_buffer
      - .offset:         120
        .size:           4
        .value_kind:     by_value
      - .address_space:  global
        .offset:         128
        .size:           8
        .value_kind:     global_buffer
      - .address_space:  global
        .offset:         136
        .size:           8
        .value_kind:     global_buffer
      - .offset:         144
        .size:           4
        .value_kind:     hidden_block_count_x
      - .offset:         148
        .size:           4
        .value_kind:     hidden_block_count_y
      - .offset:         152
        .size:           4
        .value_kind:     hidden_block_count_z
      - .offset:         156
        .size:           2
        .value_kind:     hidden_group_size_x
      - .offset:         158
        .size:           2
        .value_kind:     hidden_group_size_y
      - .offset:         160
        .size:           2
        .value_kind:     hidden_group_size_z
      - .offset:         162
        .size:           2
        .value_kind:     hidden_remainder_x
      - .offset:         164
        .size:           2
        .value_kind:     hidden_remainder_y
      - .offset:         166
        .size:           2
        .value_kind:     hidden_remainder_z
      - .offset:         184
        .size:           8
        .value_kind:     hidden_global_offset_x
      - .offset:         192
        .size:           8
        .value_kind:     hidden_global_offset_y
      - .offset:         200
        .size:           8
        .value_kind:     hidden_global_offset_z
      - .offset:         208
        .size:           2
        .value_kind:     hidden_grid_dims
    .group_segment_fixed_size: 8192
    .kernarg_segment_align: 8
    .kernarg_segment_size: 400
    .language:       OpenCL C
    .language_version:
      - 2
      - 0
    .max_flat_workgroup_size: 256
    .name:           _Z39paged_attention_ll4mi_QKV_mfma16_kernelIDF16_DF16_LN4vllm18Fp8KVCacheDataTypeE0EhLi16ELi64ELi256ELb0ELi10EEvPKT_PKT0_S7_ifPKiS9_S9_iPKfiiiPfSC_PS2_PT2_iSB_SB_
    .private_segment_fixed_size: 0
    .sgpr_count:     54
    .sgpr_spill_count: 0
    .symbol:         _Z39paged_attention_ll4mi_QKV_mfma16_kernelIDF16_DF16_LN4vllm18Fp8KVCacheDataTypeE0EhLi16ELi64ELi256ELb0ELi10EEvPKT_PKT0_S7_ifPKiS9_S9_iPKfiiiPfSC_PS2_PT2_iSB_SB_.kd
    .uniform_work_group_size: 1
    .uses_dynamic_stack: false
    .vgpr_count:     69
    .vgpr_spill_count: 0
    .wavefront_size: 64
  - .agpr_count:     0
    .args:
      - .actual_access:  read_only
        .address_space:  global
        .offset:         0
        .size:           8
        .value_kind:     global_buffer
      - .actual_access:  read_only
        .address_space:  global
        .offset:         8
        .size:           8
        .value_kind:     global_buffer
      - .actual_access:  read_only
        .address_space:  global
        .offset:         16
        .size:           8
        .value_kind:     global_buffer
      - .offset:         24
        .size:           4
        .value_kind:     by_value
      - .offset:         28
        .size:           4
        .value_kind:     by_value
      - .actual_access:  read_only
        .address_space:  global
        .offset:         32
        .size:           8
        .value_kind:     global_buffer
      - .actual_access:  read_only
        .address_space:  global
        .offset:         40
        .size:           8
        .value_kind:     global_buffer
      - .actual_access:  read_only
        .address_space:  global
        .offset:         48
        .size:           8
        .value_kind:     global_buffer
      - .offset:         56
        .size:           4
        .value_kind:     by_value
      - .actual_access:  read_only
        .address_space:  global
        .offset:         64
        .size:           8
        .value_kind:     global_buffer
      - .offset:         72
        .size:           4
        .value_kind:     by_value
      - .offset:         76
        .size:           4
        .value_kind:     by_value
      - .offset:         80
        .size:           4
        .value_kind:     by_value
      - .actual_access:  write_only
        .address_space:  global
        .offset:         88
        .size:           8
        .value_kind:     global_buffer
      - .actual_access:  write_only
        .address_space:  global
        .offset:         96
        .size:           8
        .value_kind:     global_buffer
      - .actual_access:  write_only
        .address_space:  global
        .offset:         104
        .size:           8
        .value_kind:     global_buffer
      - .actual_access:  read_only
        .address_space:  global
        .offset:         112
        .size:           8
        .value_kind:     global_buffer
      - .offset:         120
        .size:           4
        .value_kind:     by_value
      - .address_space:  global
        .offset:         128
        .size:           8
        .value_kind:     global_buffer
      - .address_space:  global
        .offset:         136
        .size:           8
        .value_kind:     global_buffer
      - .offset:         144
        .size:           4
        .value_kind:     hidden_block_count_x
      - .offset:         148
        .size:           4
        .value_kind:     hidden_block_count_y
      - .offset:         152
        .size:           4
        .value_kind:     hidden_block_count_z
      - .offset:         156
        .size:           2
        .value_kind:     hidden_group_size_x
      - .offset:         158
        .size:           2
        .value_kind:     hidden_group_size_y
      - .offset:         160
        .size:           2
        .value_kind:     hidden_group_size_z
      - .offset:         162
        .size:           2
        .value_kind:     hidden_remainder_x
      - .offset:         164
        .size:           2
        .value_kind:     hidden_remainder_y
      - .offset:         166
        .size:           2
        .value_kind:     hidden_remainder_z
      - .offset:         184
        .size:           8
        .value_kind:     hidden_global_offset_x
      - .offset:         192
        .size:           8
        .value_kind:     hidden_global_offset_y
      - .offset:         200
        .size:           8
        .value_kind:     hidden_global_offset_z
      - .offset:         208
        .size:           2
        .value_kind:     hidden_grid_dims
    .group_segment_fixed_size: 8192
    .kernarg_segment_align: 8
    .kernarg_segment_size: 400
    .language:       OpenCL C
    .language_version:
      - 2
      - 0
    .max_flat_workgroup_size: 256
    .name:           _Z39paged_attention_ll4mi_QKV_mfma16_kernelIDF16_DF16_LN4vllm18Fp8KVCacheDataTypeE0EhLi16ELi64ELi256ELb0ELi11EEvPKT_PKT0_S7_ifPKiS9_S9_iPKfiiiPfSC_PS2_PT2_iSB_SB_
    .private_segment_fixed_size: 0
    .sgpr_count:     54
    .sgpr_spill_count: 0
    .symbol:         _Z39paged_attention_ll4mi_QKV_mfma16_kernelIDF16_DF16_LN4vllm18Fp8KVCacheDataTypeE0EhLi16ELi64ELi256ELb0ELi11EEvPKT_PKT0_S7_ifPKiS9_S9_iPKfiiiPfSC_PS2_PT2_iSB_SB_.kd
    .uniform_work_group_size: 1
    .uses_dynamic_stack: false
    .vgpr_count:     69
    .vgpr_spill_count: 0
    .wavefront_size: 64
  - .agpr_count:     0
    .args:
      - .actual_access:  read_only
        .address_space:  global
        .offset:         0
        .size:           8
        .value_kind:     global_buffer
      - .actual_access:  read_only
        .address_space:  global
        .offset:         8
        .size:           8
        .value_kind:     global_buffer
      - .actual_access:  read_only
        .address_space:  global
        .offset:         16
        .size:           8
        .value_kind:     global_buffer
      - .offset:         24
        .size:           4
        .value_kind:     by_value
      - .offset:         28
        .size:           4
        .value_kind:     by_value
      - .actual_access:  read_only
        .address_space:  global
        .offset:         32
        .size:           8
        .value_kind:     global_buffer
      - .actual_access:  read_only
        .address_space:  global
        .offset:         40
        .size:           8
        .value_kind:     global_buffer
      - .actual_access:  read_only
        .address_space:  global
        .offset:         48
        .size:           8
        .value_kind:     global_buffer
      - .offset:         56
        .size:           4
        .value_kind:     by_value
      - .actual_access:  read_only
        .address_space:  global
        .offset:         64
        .size:           8
        .value_kind:     global_buffer
      - .offset:         72
        .size:           4
        .value_kind:     by_value
      - .offset:         76
        .size:           4
        .value_kind:     by_value
      - .offset:         80
        .size:           4
        .value_kind:     by_value
      - .actual_access:  write_only
        .address_space:  global
        .offset:         88
        .size:           8
        .value_kind:     global_buffer
      - .actual_access:  write_only
        .address_space:  global
        .offset:         96
        .size:           8
        .value_kind:     global_buffer
      - .actual_access:  write_only
        .address_space:  global
        .offset:         104
        .size:           8
        .value_kind:     global_buffer
      - .actual_access:  read_only
        .address_space:  global
        .offset:         112
        .size:           8
        .value_kind:     global_buffer
      - .offset:         120
        .size:           4
        .value_kind:     by_value
      - .address_space:  global
        .offset:         128
        .size:           8
        .value_kind:     global_buffer
      - .address_space:  global
        .offset:         136
        .size:           8
        .value_kind:     global_buffer
      - .offset:         144
        .size:           4
        .value_kind:     hidden_block_count_x
      - .offset:         148
        .size:           4
        .value_kind:     hidden_block_count_y
      - .offset:         152
        .size:           4
        .value_kind:     hidden_block_count_z
      - .offset:         156
        .size:           2
        .value_kind:     hidden_group_size_x
      - .offset:         158
        .size:           2
        .value_kind:     hidden_group_size_y
      - .offset:         160
        .size:           2
        .value_kind:     hidden_group_size_z
      - .offset:         162
        .size:           2
        .value_kind:     hidden_remainder_x
      - .offset:         164
        .size:           2
        .value_kind:     hidden_remainder_y
      - .offset:         166
        .size:           2
        .value_kind:     hidden_remainder_z
      - .offset:         184
        .size:           8
        .value_kind:     hidden_global_offset_x
      - .offset:         192
        .size:           8
        .value_kind:     hidden_global_offset_y
      - .offset:         200
        .size:           8
        .value_kind:     hidden_global_offset_z
      - .offset:         208
        .size:           2
        .value_kind:     hidden_grid_dims
    .group_segment_fixed_size: 8192
    .kernarg_segment_align: 8
    .kernarg_segment_size: 400
    .language:       OpenCL C
    .language_version:
      - 2
      - 0
    .max_flat_workgroup_size: 256
    .name:           _Z39paged_attention_ll4mi_QKV_mfma16_kernelIDF16_DF16_LN4vllm18Fp8KVCacheDataTypeE0EhLi16ELi64ELi256ELb0ELi12EEvPKT_PKT0_S7_ifPKiS9_S9_iPKfiiiPfSC_PS2_PT2_iSB_SB_
    .private_segment_fixed_size: 0
    .sgpr_count:     54
    .sgpr_spill_count: 0
    .symbol:         _Z39paged_attention_ll4mi_QKV_mfma16_kernelIDF16_DF16_LN4vllm18Fp8KVCacheDataTypeE0EhLi16ELi64ELi256ELb0ELi12EEvPKT_PKT0_S7_ifPKiS9_S9_iPKfiiiPfSC_PS2_PT2_iSB_SB_.kd
    .uniform_work_group_size: 1
    .uses_dynamic_stack: false
    .vgpr_count:     69
    .vgpr_spill_count: 0
    .wavefront_size: 64
  - .agpr_count:     0
    .args:
      - .actual_access:  read_only
        .address_space:  global
        .offset:         0
        .size:           8
        .value_kind:     global_buffer
      - .actual_access:  read_only
        .address_space:  global
        .offset:         8
        .size:           8
        .value_kind:     global_buffer
      - .actual_access:  read_only
        .address_space:  global
        .offset:         16
        .size:           8
        .value_kind:     global_buffer
      - .offset:         24
        .size:           4
        .value_kind:     by_value
      - .offset:         28
        .size:           4
        .value_kind:     by_value
      - .actual_access:  read_only
        .address_space:  global
        .offset:         32
        .size:           8
        .value_kind:     global_buffer
      - .actual_access:  read_only
        .address_space:  global
        .offset:         40
        .size:           8
        .value_kind:     global_buffer
      - .actual_access:  read_only
        .address_space:  global
        .offset:         48
        .size:           8
        .value_kind:     global_buffer
      - .offset:         56
        .size:           4
        .value_kind:     by_value
      - .actual_access:  read_only
        .address_space:  global
        .offset:         64
        .size:           8
        .value_kind:     global_buffer
      - .offset:         72
        .size:           4
        .value_kind:     by_value
      - .offset:         76
        .size:           4
        .value_kind:     by_value
      - .offset:         80
        .size:           4
        .value_kind:     by_value
      - .actual_access:  write_only
        .address_space:  global
        .offset:         88
        .size:           8
        .value_kind:     global_buffer
      - .actual_access:  write_only
        .address_space:  global
        .offset:         96
        .size:           8
        .value_kind:     global_buffer
      - .actual_access:  write_only
        .address_space:  global
        .offset:         104
        .size:           8
        .value_kind:     global_buffer
      - .actual_access:  read_only
        .address_space:  global
        .offset:         112
        .size:           8
        .value_kind:     global_buffer
      - .offset:         120
        .size:           4
        .value_kind:     by_value
      - .address_space:  global
        .offset:         128
        .size:           8
        .value_kind:     global_buffer
      - .address_space:  global
        .offset:         136
        .size:           8
        .value_kind:     global_buffer
      - .offset:         144
        .size:           4
        .value_kind:     hidden_block_count_x
      - .offset:         148
        .size:           4
        .value_kind:     hidden_block_count_y
      - .offset:         152
        .size:           4
        .value_kind:     hidden_block_count_z
      - .offset:         156
        .size:           2
        .value_kind:     hidden_group_size_x
      - .offset:         158
        .size:           2
        .value_kind:     hidden_group_size_y
      - .offset:         160
        .size:           2
        .value_kind:     hidden_group_size_z
      - .offset:         162
        .size:           2
        .value_kind:     hidden_remainder_x
      - .offset:         164
        .size:           2
        .value_kind:     hidden_remainder_y
      - .offset:         166
        .size:           2
        .value_kind:     hidden_remainder_z
      - .offset:         184
        .size:           8
        .value_kind:     hidden_global_offset_x
      - .offset:         192
        .size:           8
        .value_kind:     hidden_global_offset_y
      - .offset:         200
        .size:           8
        .value_kind:     hidden_global_offset_z
      - .offset:         208
        .size:           2
        .value_kind:     hidden_grid_dims
    .group_segment_fixed_size: 8192
    .kernarg_segment_align: 8
    .kernarg_segment_size: 400
    .language:       OpenCL C
    .language_version:
      - 2
      - 0
    .max_flat_workgroup_size: 256
    .name:           _Z39paged_attention_ll4mi_QKV_mfma16_kernelIDF16_DF16_LN4vllm18Fp8KVCacheDataTypeE0EhLi16ELi64ELi256ELb0ELi13EEvPKT_PKT0_S7_ifPKiS9_S9_iPKfiiiPfSC_PS2_PT2_iSB_SB_
    .private_segment_fixed_size: 0
    .sgpr_count:     54
    .sgpr_spill_count: 0
    .symbol:         _Z39paged_attention_ll4mi_QKV_mfma16_kernelIDF16_DF16_LN4vllm18Fp8KVCacheDataTypeE0EhLi16ELi64ELi256ELb0ELi13EEvPKT_PKT0_S7_ifPKiS9_S9_iPKfiiiPfSC_PS2_PT2_iSB_SB_.kd
    .uniform_work_group_size: 1
    .uses_dynamic_stack: false
    .vgpr_count:     69
    .vgpr_spill_count: 0
    .wavefront_size: 64
  - .agpr_count:     0
    .args:
      - .actual_access:  read_only
        .address_space:  global
        .offset:         0
        .size:           8
        .value_kind:     global_buffer
      - .actual_access:  read_only
        .address_space:  global
        .offset:         8
        .size:           8
        .value_kind:     global_buffer
      - .actual_access:  read_only
        .address_space:  global
        .offset:         16
        .size:           8
        .value_kind:     global_buffer
      - .offset:         24
        .size:           4
        .value_kind:     by_value
      - .offset:         28
        .size:           4
        .value_kind:     by_value
      - .actual_access:  read_only
        .address_space:  global
        .offset:         32
        .size:           8
        .value_kind:     global_buffer
      - .actual_access:  read_only
        .address_space:  global
        .offset:         40
        .size:           8
        .value_kind:     global_buffer
      - .actual_access:  read_only
        .address_space:  global
        .offset:         48
        .size:           8
        .value_kind:     global_buffer
      - .offset:         56
        .size:           4
        .value_kind:     by_value
      - .actual_access:  read_only
        .address_space:  global
        .offset:         64
        .size:           8
        .value_kind:     global_buffer
      - .offset:         72
        .size:           4
        .value_kind:     by_value
      - .offset:         76
        .size:           4
        .value_kind:     by_value
      - .offset:         80
        .size:           4
        .value_kind:     by_value
      - .actual_access:  write_only
        .address_space:  global
        .offset:         88
        .size:           8
        .value_kind:     global_buffer
      - .actual_access:  write_only
        .address_space:  global
        .offset:         96
        .size:           8
        .value_kind:     global_buffer
      - .actual_access:  write_only
        .address_space:  global
        .offset:         104
        .size:           8
        .value_kind:     global_buffer
      - .actual_access:  read_only
        .address_space:  global
        .offset:         112
        .size:           8
        .value_kind:     global_buffer
      - .offset:         120
        .size:           4
        .value_kind:     by_value
      - .address_space:  global
        .offset:         128
        .size:           8
        .value_kind:     global_buffer
      - .address_space:  global
        .offset:         136
        .size:           8
        .value_kind:     global_buffer
      - .offset:         144
        .size:           4
        .value_kind:     hidden_block_count_x
      - .offset:         148
        .size:           4
        .value_kind:     hidden_block_count_y
      - .offset:         152
        .size:           4
        .value_kind:     hidden_block_count_z
      - .offset:         156
        .size:           2
        .value_kind:     hidden_group_size_x
      - .offset:         158
        .size:           2
        .value_kind:     hidden_group_size_y
      - .offset:         160
        .size:           2
        .value_kind:     hidden_group_size_z
      - .offset:         162
        .size:           2
        .value_kind:     hidden_remainder_x
      - .offset:         164
        .size:           2
        .value_kind:     hidden_remainder_y
      - .offset:         166
        .size:           2
        .value_kind:     hidden_remainder_z
      - .offset:         184
        .size:           8
        .value_kind:     hidden_global_offset_x
      - .offset:         192
        .size:           8
        .value_kind:     hidden_global_offset_y
      - .offset:         200
        .size:           8
        .value_kind:     hidden_global_offset_z
      - .offset:         208
        .size:           2
        .value_kind:     hidden_grid_dims
    .group_segment_fixed_size: 8192
    .kernarg_segment_align: 8
    .kernarg_segment_size: 400
    .language:       OpenCL C
    .language_version:
      - 2
      - 0
    .max_flat_workgroup_size: 256
    .name:           _Z39paged_attention_ll4mi_QKV_mfma16_kernelIDF16_DF16_LN4vllm18Fp8KVCacheDataTypeE0EhLi16ELi64ELi256ELb0ELi14EEvPKT_PKT0_S7_ifPKiS9_S9_iPKfiiiPfSC_PS2_PT2_iSB_SB_
    .private_segment_fixed_size: 0
    .sgpr_count:     54
    .sgpr_spill_count: 0
    .symbol:         _Z39paged_attention_ll4mi_QKV_mfma16_kernelIDF16_DF16_LN4vllm18Fp8KVCacheDataTypeE0EhLi16ELi64ELi256ELb0ELi14EEvPKT_PKT0_S7_ifPKiS9_S9_iPKfiiiPfSC_PS2_PT2_iSB_SB_.kd
    .uniform_work_group_size: 1
    .uses_dynamic_stack: false
    .vgpr_count:     69
    .vgpr_spill_count: 0
    .wavefront_size: 64
  - .agpr_count:     0
    .args:
      - .actual_access:  read_only
        .address_space:  global
        .offset:         0
        .size:           8
        .value_kind:     global_buffer
      - .actual_access:  read_only
        .address_space:  global
        .offset:         8
        .size:           8
        .value_kind:     global_buffer
      - .actual_access:  read_only
        .address_space:  global
        .offset:         16
        .size:           8
        .value_kind:     global_buffer
      - .offset:         24
        .size:           4
        .value_kind:     by_value
      - .offset:         28
        .size:           4
        .value_kind:     by_value
      - .actual_access:  read_only
        .address_space:  global
        .offset:         32
        .size:           8
        .value_kind:     global_buffer
      - .actual_access:  read_only
        .address_space:  global
        .offset:         40
        .size:           8
        .value_kind:     global_buffer
      - .actual_access:  read_only
        .address_space:  global
        .offset:         48
        .size:           8
        .value_kind:     global_buffer
      - .offset:         56
        .size:           4
        .value_kind:     by_value
      - .actual_access:  read_only
        .address_space:  global
        .offset:         64
        .size:           8
        .value_kind:     global_buffer
      - .offset:         72
        .size:           4
        .value_kind:     by_value
      - .offset:         76
        .size:           4
        .value_kind:     by_value
      - .offset:         80
        .size:           4
        .value_kind:     by_value
      - .actual_access:  write_only
        .address_space:  global
        .offset:         88
        .size:           8
        .value_kind:     global_buffer
      - .actual_access:  write_only
        .address_space:  global
        .offset:         96
        .size:           8
        .value_kind:     global_buffer
      - .actual_access:  write_only
        .address_space:  global
        .offset:         104
        .size:           8
        .value_kind:     global_buffer
      - .actual_access:  read_only
        .address_space:  global
        .offset:         112
        .size:           8
        .value_kind:     global_buffer
      - .offset:         120
        .size:           4
        .value_kind:     by_value
      - .address_space:  global
        .offset:         128
        .size:           8
        .value_kind:     global_buffer
      - .address_space:  global
        .offset:         136
        .size:           8
        .value_kind:     global_buffer
      - .offset:         144
        .size:           4
        .value_kind:     hidden_block_count_x
      - .offset:         148
        .size:           4
        .value_kind:     hidden_block_count_y
      - .offset:         152
        .size:           4
        .value_kind:     hidden_block_count_z
      - .offset:         156
        .size:           2
        .value_kind:     hidden_group_size_x
      - .offset:         158
        .size:           2
        .value_kind:     hidden_group_size_y
      - .offset:         160
        .size:           2
        .value_kind:     hidden_group_size_z
      - .offset:         162
        .size:           2
        .value_kind:     hidden_remainder_x
      - .offset:         164
        .size:           2
        .value_kind:     hidden_remainder_y
      - .offset:         166
        .size:           2
        .value_kind:     hidden_remainder_z
      - .offset:         184
        .size:           8
        .value_kind:     hidden_global_offset_x
      - .offset:         192
        .size:           8
        .value_kind:     hidden_global_offset_y
      - .offset:         200
        .size:           8
        .value_kind:     hidden_global_offset_z
      - .offset:         208
        .size:           2
        .value_kind:     hidden_grid_dims
    .group_segment_fixed_size: 8192
    .kernarg_segment_align: 8
    .kernarg_segment_size: 400
    .language:       OpenCL C
    .language_version:
      - 2
      - 0
    .max_flat_workgroup_size: 256
    .name:           _Z39paged_attention_ll4mi_QKV_mfma16_kernelIDF16_DF16_LN4vllm18Fp8KVCacheDataTypeE0EhLi16ELi64ELi256ELb0ELi15EEvPKT_PKT0_S7_ifPKiS9_S9_iPKfiiiPfSC_PS2_PT2_iSB_SB_
    .private_segment_fixed_size: 0
    .sgpr_count:     54
    .sgpr_spill_count: 0
    .symbol:         _Z39paged_attention_ll4mi_QKV_mfma16_kernelIDF16_DF16_LN4vllm18Fp8KVCacheDataTypeE0EhLi16ELi64ELi256ELb0ELi15EEvPKT_PKT0_S7_ifPKiS9_S9_iPKfiiiPfSC_PS2_PT2_iSB_SB_.kd
    .uniform_work_group_size: 1
    .uses_dynamic_stack: false
    .vgpr_count:     69
    .vgpr_spill_count: 0
    .wavefront_size: 64
  - .agpr_count:     0
    .args:
      - .actual_access:  read_only
        .address_space:  global
        .offset:         0
        .size:           8
        .value_kind:     global_buffer
      - .actual_access:  read_only
        .address_space:  global
        .offset:         8
        .size:           8
        .value_kind:     global_buffer
      - .actual_access:  read_only
        .address_space:  global
        .offset:         16
        .size:           8
        .value_kind:     global_buffer
      - .offset:         24
        .size:           4
        .value_kind:     by_value
      - .offset:         28
        .size:           4
        .value_kind:     by_value
      - .actual_access:  read_only
        .address_space:  global
        .offset:         32
        .size:           8
        .value_kind:     global_buffer
      - .actual_access:  read_only
        .address_space:  global
        .offset:         40
        .size:           8
        .value_kind:     global_buffer
      - .actual_access:  read_only
        .address_space:  global
        .offset:         48
        .size:           8
        .value_kind:     global_buffer
      - .offset:         56
        .size:           4
        .value_kind:     by_value
      - .actual_access:  read_only
        .address_space:  global
        .offset:         64
        .size:           8
        .value_kind:     global_buffer
      - .offset:         72
        .size:           4
        .value_kind:     by_value
      - .offset:         76
        .size:           4
        .value_kind:     by_value
      - .offset:         80
        .size:           4
        .value_kind:     by_value
      - .actual_access:  write_only
        .address_space:  global
        .offset:         88
        .size:           8
        .value_kind:     global_buffer
      - .actual_access:  write_only
        .address_space:  global
        .offset:         96
        .size:           8
        .value_kind:     global_buffer
      - .actual_access:  write_only
        .address_space:  global
        .offset:         104
        .size:           8
        .value_kind:     global_buffer
      - .actual_access:  read_only
        .address_space:  global
        .offset:         112
        .size:           8
        .value_kind:     global_buffer
      - .offset:         120
        .size:           4
        .value_kind:     by_value
      - .address_space:  global
        .offset:         128
        .size:           8
        .value_kind:     global_buffer
      - .address_space:  global
        .offset:         136
        .size:           8
        .value_kind:     global_buffer
      - .offset:         144
        .size:           4
        .value_kind:     hidden_block_count_x
      - .offset:         148
        .size:           4
        .value_kind:     hidden_block_count_y
      - .offset:         152
        .size:           4
        .value_kind:     hidden_block_count_z
      - .offset:         156
        .size:           2
        .value_kind:     hidden_group_size_x
      - .offset:         158
        .size:           2
        .value_kind:     hidden_group_size_y
      - .offset:         160
        .size:           2
        .value_kind:     hidden_group_size_z
      - .offset:         162
        .size:           2
        .value_kind:     hidden_remainder_x
      - .offset:         164
        .size:           2
        .value_kind:     hidden_remainder_y
      - .offset:         166
        .size:           2
        .value_kind:     hidden_remainder_z
      - .offset:         184
        .size:           8
        .value_kind:     hidden_global_offset_x
      - .offset:         192
        .size:           8
        .value_kind:     hidden_global_offset_y
      - .offset:         200
        .size:           8
        .value_kind:     hidden_global_offset_z
      - .offset:         208
        .size:           2
        .value_kind:     hidden_grid_dims
    .group_segment_fixed_size: 8192
    .kernarg_segment_align: 8
    .kernarg_segment_size: 400
    .language:       OpenCL C
    .language_version:
      - 2
      - 0
    .max_flat_workgroup_size: 256
    .name:           _Z39paged_attention_ll4mi_QKV_mfma16_kernelIDF16_DF16_LN4vllm18Fp8KVCacheDataTypeE0EhLi16ELi64ELi256ELb0ELi16EEvPKT_PKT0_S7_ifPKiS9_S9_iPKfiiiPfSC_PS2_PT2_iSB_SB_
    .private_segment_fixed_size: 0
    .sgpr_count:     54
    .sgpr_spill_count: 0
    .symbol:         _Z39paged_attention_ll4mi_QKV_mfma16_kernelIDF16_DF16_LN4vllm18Fp8KVCacheDataTypeE0EhLi16ELi64ELi256ELb0ELi16EEvPKT_PKT0_S7_ifPKiS9_S9_iPKfiiiPfSC_PS2_PT2_iSB_SB_.kd
    .uniform_work_group_size: 1
    .uses_dynamic_stack: false
    .vgpr_count:     70
    .vgpr_spill_count: 0
    .wavefront_size: 64
  - .agpr_count:     0
    .args:
      - .actual_access:  read_only
        .address_space:  global
        .offset:         0
        .size:           8
        .value_kind:     global_buffer
      - .actual_access:  read_only
        .address_space:  global
        .offset:         8
        .size:           8
        .value_kind:     global_buffer
      - .actual_access:  read_only
        .address_space:  global
        .offset:         16
        .size:           8
        .value_kind:     global_buffer
      - .offset:         24
        .size:           4
        .value_kind:     by_value
      - .offset:         28
        .size:           4
        .value_kind:     by_value
      - .actual_access:  read_only
        .address_space:  global
        .offset:         32
        .size:           8
        .value_kind:     global_buffer
      - .actual_access:  read_only
        .address_space:  global
        .offset:         40
        .size:           8
        .value_kind:     global_buffer
      - .actual_access:  read_only
        .address_space:  global
        .offset:         48
        .size:           8
        .value_kind:     global_buffer
      - .offset:         56
        .size:           4
        .value_kind:     by_value
      - .actual_access:  read_only
        .address_space:  global
        .offset:         64
        .size:           8
        .value_kind:     global_buffer
      - .offset:         72
        .size:           4
        .value_kind:     by_value
      - .offset:         76
        .size:           4
        .value_kind:     by_value
      - .offset:         80
        .size:           4
        .value_kind:     by_value
      - .actual_access:  write_only
        .address_space:  global
        .offset:         88
        .size:           8
        .value_kind:     global_buffer
      - .actual_access:  write_only
        .address_space:  global
        .offset:         96
        .size:           8
        .value_kind:     global_buffer
      - .actual_access:  write_only
        .address_space:  global
        .offset:         104
        .size:           8
        .value_kind:     global_buffer
      - .actual_access:  read_only
        .address_space:  global
        .offset:         112
        .size:           8
        .value_kind:     global_buffer
      - .offset:         120
        .size:           4
        .value_kind:     by_value
      - .address_space:  global
        .offset:         128
        .size:           8
        .value_kind:     global_buffer
      - .address_space:  global
        .offset:         136
        .size:           8
        .value_kind:     global_buffer
      - .offset:         144
        .size:           4
        .value_kind:     hidden_block_count_x
      - .offset:         148
        .size:           4
        .value_kind:     hidden_block_count_y
      - .offset:         152
        .size:           4
        .value_kind:     hidden_block_count_z
      - .offset:         156
        .size:           2
        .value_kind:     hidden_group_size_x
      - .offset:         158
        .size:           2
        .value_kind:     hidden_group_size_y
      - .offset:         160
        .size:           2
        .value_kind:     hidden_group_size_z
      - .offset:         162
        .size:           2
        .value_kind:     hidden_remainder_x
      - .offset:         164
        .size:           2
        .value_kind:     hidden_remainder_y
      - .offset:         166
        .size:           2
        .value_kind:     hidden_remainder_z
      - .offset:         184
        .size:           8
        .value_kind:     hidden_global_offset_x
      - .offset:         192
        .size:           8
        .value_kind:     hidden_global_offset_y
      - .offset:         200
        .size:           8
        .value_kind:     hidden_global_offset_z
      - .offset:         208
        .size:           2
        .value_kind:     hidden_grid_dims
    .group_segment_fixed_size: 8192
    .kernarg_segment_align: 8
    .kernarg_segment_size: 400
    .language:       OpenCL C
    .language_version:
      - 2
      - 0
    .max_flat_workgroup_size: 256
    .name:           _Z39paged_attention_ll4mi_QKV_mfma16_kernelIDF16_DF16_LN4vllm18Fp8KVCacheDataTypeE0EhLi16ELi64ELi256ELb0ELi1EEvPKT_PKT0_S7_ifPKiS9_S9_iPKfiiiPfSC_PS2_PT2_iSB_SB_
    .private_segment_fixed_size: 0
    .sgpr_count:     54
    .sgpr_spill_count: 0
    .symbol:         _Z39paged_attention_ll4mi_QKV_mfma16_kernelIDF16_DF16_LN4vllm18Fp8KVCacheDataTypeE0EhLi16ELi64ELi256ELb0ELi1EEvPKT_PKT0_S7_ifPKiS9_S9_iPKfiiiPfSC_PS2_PT2_iSB_SB_.kd
    .uniform_work_group_size: 1
    .uses_dynamic_stack: false
    .vgpr_count:     67
    .vgpr_spill_count: 0
    .wavefront_size: 64
  - .agpr_count:     0
    .args:
      - .actual_access:  read_only
        .address_space:  global
        .offset:         0
        .size:           8
        .value_kind:     global_buffer
      - .actual_access:  read_only
        .address_space:  global
        .offset:         8
        .size:           8
        .value_kind:     global_buffer
      - .actual_access:  read_only
        .address_space:  global
        .offset:         16
        .size:           8
        .value_kind:     global_buffer
      - .offset:         24
        .size:           4
        .value_kind:     by_value
      - .offset:         28
        .size:           4
        .value_kind:     by_value
      - .actual_access:  read_only
        .address_space:  global
        .offset:         32
        .size:           8
        .value_kind:     global_buffer
      - .actual_access:  read_only
        .address_space:  global
        .offset:         40
        .size:           8
        .value_kind:     global_buffer
      - .actual_access:  read_only
        .address_space:  global
        .offset:         48
        .size:           8
        .value_kind:     global_buffer
      - .offset:         56
        .size:           4
        .value_kind:     by_value
      - .actual_access:  read_only
        .address_space:  global
        .offset:         64
        .size:           8
        .value_kind:     global_buffer
      - .offset:         72
        .size:           4
        .value_kind:     by_value
      - .offset:         76
        .size:           4
        .value_kind:     by_value
      - .offset:         80
        .size:           4
        .value_kind:     by_value
      - .actual_access:  write_only
        .address_space:  global
        .offset:         88
        .size:           8
        .value_kind:     global_buffer
      - .actual_access:  write_only
        .address_space:  global
        .offset:         96
        .size:           8
        .value_kind:     global_buffer
      - .actual_access:  write_only
        .address_space:  global
        .offset:         104
        .size:           8
        .value_kind:     global_buffer
      - .actual_access:  read_only
        .address_space:  global
        .offset:         112
        .size:           8
        .value_kind:     global_buffer
      - .offset:         120
        .size:           4
        .value_kind:     by_value
      - .address_space:  global
        .offset:         128
        .size:           8
        .value_kind:     global_buffer
      - .address_space:  global
        .offset:         136
        .size:           8
        .value_kind:     global_buffer
      - .offset:         144
        .size:           4
        .value_kind:     hidden_block_count_x
      - .offset:         148
        .size:           4
        .value_kind:     hidden_block_count_y
      - .offset:         152
        .size:           4
        .value_kind:     hidden_block_count_z
      - .offset:         156
        .size:           2
        .value_kind:     hidden_group_size_x
      - .offset:         158
        .size:           2
        .value_kind:     hidden_group_size_y
      - .offset:         160
        .size:           2
        .value_kind:     hidden_group_size_z
      - .offset:         162
        .size:           2
        .value_kind:     hidden_remainder_x
      - .offset:         164
        .size:           2
        .value_kind:     hidden_remainder_y
      - .offset:         166
        .size:           2
        .value_kind:     hidden_remainder_z
      - .offset:         184
        .size:           8
        .value_kind:     hidden_global_offset_x
      - .offset:         192
        .size:           8
        .value_kind:     hidden_global_offset_y
      - .offset:         200
        .size:           8
        .value_kind:     hidden_global_offset_z
      - .offset:         208
        .size:           2
        .value_kind:     hidden_grid_dims
    .group_segment_fixed_size: 8192
    .kernarg_segment_align: 8
    .kernarg_segment_size: 400
    .language:       OpenCL C
    .language_version:
      - 2
      - 0
    .max_flat_workgroup_size: 256
    .name:           _Z39paged_attention_ll4mi_QKV_mfma16_kernelIDF16_DF16_LN4vllm18Fp8KVCacheDataTypeE0EhLi16ELi64ELi256ELb0ELi2EEvPKT_PKT0_S7_ifPKiS9_S9_iPKfiiiPfSC_PS2_PT2_iSB_SB_
    .private_segment_fixed_size: 0
    .sgpr_count:     54
    .sgpr_spill_count: 0
    .symbol:         _Z39paged_attention_ll4mi_QKV_mfma16_kernelIDF16_DF16_LN4vllm18Fp8KVCacheDataTypeE0EhLi16ELi64ELi256ELb0ELi2EEvPKT_PKT0_S7_ifPKiS9_S9_iPKfiiiPfSC_PS2_PT2_iSB_SB_.kd
    .uniform_work_group_size: 1
    .uses_dynamic_stack: false
    .vgpr_count:     69
    .vgpr_spill_count: 0
    .wavefront_size: 64
  - .agpr_count:     0
    .args:
      - .actual_access:  read_only
        .address_space:  global
        .offset:         0
        .size:           8
        .value_kind:     global_buffer
      - .actual_access:  read_only
        .address_space:  global
        .offset:         8
        .size:           8
        .value_kind:     global_buffer
      - .actual_access:  read_only
        .address_space:  global
        .offset:         16
        .size:           8
        .value_kind:     global_buffer
      - .offset:         24
        .size:           4
        .value_kind:     by_value
      - .offset:         28
        .size:           4
        .value_kind:     by_value
      - .actual_access:  read_only
        .address_space:  global
        .offset:         32
        .size:           8
        .value_kind:     global_buffer
      - .actual_access:  read_only
        .address_space:  global
        .offset:         40
        .size:           8
        .value_kind:     global_buffer
      - .actual_access:  read_only
        .address_space:  global
        .offset:         48
        .size:           8
        .value_kind:     global_buffer
      - .offset:         56
        .size:           4
        .value_kind:     by_value
      - .actual_access:  read_only
        .address_space:  global
        .offset:         64
        .size:           8
        .value_kind:     global_buffer
      - .offset:         72
        .size:           4
        .value_kind:     by_value
      - .offset:         76
        .size:           4
        .value_kind:     by_value
      - .offset:         80
        .size:           4
        .value_kind:     by_value
      - .actual_access:  write_only
        .address_space:  global
        .offset:         88
        .size:           8
        .value_kind:     global_buffer
      - .actual_access:  write_only
        .address_space:  global
        .offset:         96
        .size:           8
        .value_kind:     global_buffer
      - .actual_access:  write_only
        .address_space:  global
        .offset:         104
        .size:           8
        .value_kind:     global_buffer
      - .actual_access:  read_only
        .address_space:  global
        .offset:         112
        .size:           8
        .value_kind:     global_buffer
      - .offset:         120
        .size:           4
        .value_kind:     by_value
      - .address_space:  global
        .offset:         128
        .size:           8
        .value_kind:     global_buffer
      - .address_space:  global
        .offset:         136
        .size:           8
        .value_kind:     global_buffer
      - .offset:         144
        .size:           4
        .value_kind:     hidden_block_count_x
      - .offset:         148
        .size:           4
        .value_kind:     hidden_block_count_y
      - .offset:         152
        .size:           4
        .value_kind:     hidden_block_count_z
      - .offset:         156
        .size:           2
        .value_kind:     hidden_group_size_x
      - .offset:         158
        .size:           2
        .value_kind:     hidden_group_size_y
      - .offset:         160
        .size:           2
        .value_kind:     hidden_group_size_z
      - .offset:         162
        .size:           2
        .value_kind:     hidden_remainder_x
      - .offset:         164
        .size:           2
        .value_kind:     hidden_remainder_y
      - .offset:         166
        .size:           2
        .value_kind:     hidden_remainder_z
      - .offset:         184
        .size:           8
        .value_kind:     hidden_global_offset_x
      - .offset:         192
        .size:           8
        .value_kind:     hidden_global_offset_y
      - .offset:         200
        .size:           8
        .value_kind:     hidden_global_offset_z
      - .offset:         208
        .size:           2
        .value_kind:     hidden_grid_dims
    .group_segment_fixed_size: 8192
    .kernarg_segment_align: 8
    .kernarg_segment_size: 400
    .language:       OpenCL C
    .language_version:
      - 2
      - 0
    .max_flat_workgroup_size: 256
    .name:           _Z39paged_attention_ll4mi_QKV_mfma16_kernelIDF16_DF16_LN4vllm18Fp8KVCacheDataTypeE0EhLi16ELi64ELi256ELb0ELi3EEvPKT_PKT0_S7_ifPKiS9_S9_iPKfiiiPfSC_PS2_PT2_iSB_SB_
    .private_segment_fixed_size: 0
    .sgpr_count:     54
    .sgpr_spill_count: 0
    .symbol:         _Z39paged_attention_ll4mi_QKV_mfma16_kernelIDF16_DF16_LN4vllm18Fp8KVCacheDataTypeE0EhLi16ELi64ELi256ELb0ELi3EEvPKT_PKT0_S7_ifPKiS9_S9_iPKfiiiPfSC_PS2_PT2_iSB_SB_.kd
    .uniform_work_group_size: 1
    .uses_dynamic_stack: false
    .vgpr_count:     70
    .vgpr_spill_count: 0
    .wavefront_size: 64
  - .agpr_count:     0
    .args:
      - .actual_access:  read_only
        .address_space:  global
        .offset:         0
        .size:           8
        .value_kind:     global_buffer
      - .actual_access:  read_only
        .address_space:  global
        .offset:         8
        .size:           8
        .value_kind:     global_buffer
      - .actual_access:  read_only
        .address_space:  global
        .offset:         16
        .size:           8
        .value_kind:     global_buffer
      - .offset:         24
        .size:           4
        .value_kind:     by_value
      - .offset:         28
        .size:           4
        .value_kind:     by_value
      - .actual_access:  read_only
        .address_space:  global
        .offset:         32
        .size:           8
        .value_kind:     global_buffer
      - .actual_access:  read_only
        .address_space:  global
        .offset:         40
        .size:           8
        .value_kind:     global_buffer
      - .actual_access:  read_only
        .address_space:  global
        .offset:         48
        .size:           8
        .value_kind:     global_buffer
      - .offset:         56
        .size:           4
        .value_kind:     by_value
      - .actual_access:  read_only
        .address_space:  global
        .offset:         64
        .size:           8
        .value_kind:     global_buffer
      - .offset:         72
        .size:           4
        .value_kind:     by_value
      - .offset:         76
        .size:           4
        .value_kind:     by_value
      - .offset:         80
        .size:           4
        .value_kind:     by_value
      - .actual_access:  write_only
        .address_space:  global
        .offset:         88
        .size:           8
        .value_kind:     global_buffer
      - .actual_access:  write_only
        .address_space:  global
        .offset:         96
        .size:           8
        .value_kind:     global_buffer
      - .actual_access:  write_only
        .address_space:  global
        .offset:         104
        .size:           8
        .value_kind:     global_buffer
      - .actual_access:  read_only
        .address_space:  global
        .offset:         112
        .size:           8
        .value_kind:     global_buffer
      - .offset:         120
        .size:           4
        .value_kind:     by_value
      - .address_space:  global
        .offset:         128
        .size:           8
        .value_kind:     global_buffer
      - .address_space:  global
        .offset:         136
        .size:           8
        .value_kind:     global_buffer
      - .offset:         144
        .size:           4
        .value_kind:     hidden_block_count_x
      - .offset:         148
        .size:           4
        .value_kind:     hidden_block_count_y
      - .offset:         152
        .size:           4
        .value_kind:     hidden_block_count_z
      - .offset:         156
        .size:           2
        .value_kind:     hidden_group_size_x
      - .offset:         158
        .size:           2
        .value_kind:     hidden_group_size_y
      - .offset:         160
        .size:           2
        .value_kind:     hidden_group_size_z
      - .offset:         162
        .size:           2
        .value_kind:     hidden_remainder_x
      - .offset:         164
        .size:           2
        .value_kind:     hidden_remainder_y
      - .offset:         166
        .size:           2
        .value_kind:     hidden_remainder_z
      - .offset:         184
        .size:           8
        .value_kind:     hidden_global_offset_x
      - .offset:         192
        .size:           8
        .value_kind:     hidden_global_offset_y
      - .offset:         200
        .size:           8
        .value_kind:     hidden_global_offset_z
      - .offset:         208
        .size:           2
        .value_kind:     hidden_grid_dims
    .group_segment_fixed_size: 8192
    .kernarg_segment_align: 8
    .kernarg_segment_size: 400
    .language:       OpenCL C
    .language_version:
      - 2
      - 0
    .max_flat_workgroup_size: 256
    .name:           _Z39paged_attention_ll4mi_QKV_mfma16_kernelIDF16_DF16_LN4vllm18Fp8KVCacheDataTypeE0EhLi16ELi64ELi256ELb0ELi4EEvPKT_PKT0_S7_ifPKiS9_S9_iPKfiiiPfSC_PS2_PT2_iSB_SB_
    .private_segment_fixed_size: 0
    .sgpr_count:     52
    .sgpr_spill_count: 0
    .symbol:         _Z39paged_attention_ll4mi_QKV_mfma16_kernelIDF16_DF16_LN4vllm18Fp8KVCacheDataTypeE0EhLi16ELi64ELi256ELb0ELi4EEvPKT_PKT0_S7_ifPKiS9_S9_iPKfiiiPfSC_PS2_PT2_iSB_SB_.kd
    .uniform_work_group_size: 1
    .uses_dynamic_stack: false
    .vgpr_count:     71
    .vgpr_spill_count: 0
    .wavefront_size: 64
  - .agpr_count:     4
    .args:
      - .actual_access:  read_only
        .address_space:  global
        .offset:         0
        .size:           8
        .value_kind:     global_buffer
      - .actual_access:  read_only
        .address_space:  global
        .offset:         8
        .size:           8
        .value_kind:     global_buffer
      - .actual_access:  read_only
        .address_space:  global
        .offset:         16
        .size:           8
        .value_kind:     global_buffer
      - .offset:         24
        .size:           4
        .value_kind:     by_value
      - .offset:         28
        .size:           4
        .value_kind:     by_value
      - .actual_access:  read_only
        .address_space:  global
        .offset:         32
        .size:           8
        .value_kind:     global_buffer
      - .actual_access:  read_only
        .address_space:  global
        .offset:         40
        .size:           8
        .value_kind:     global_buffer
      - .actual_access:  read_only
        .address_space:  global
        .offset:         48
        .size:           8
        .value_kind:     global_buffer
      - .offset:         56
        .size:           4
        .value_kind:     by_value
      - .actual_access:  read_only
        .address_space:  global
        .offset:         64
        .size:           8
        .value_kind:     global_buffer
      - .offset:         72
        .size:           4
        .value_kind:     by_value
      - .offset:         76
        .size:           4
        .value_kind:     by_value
      - .offset:         80
        .size:           4
        .value_kind:     by_value
      - .actual_access:  write_only
        .address_space:  global
        .offset:         88
        .size:           8
        .value_kind:     global_buffer
      - .actual_access:  write_only
        .address_space:  global
        .offset:         96
        .size:           8
        .value_kind:     global_buffer
      - .actual_access:  write_only
        .address_space:  global
        .offset:         104
        .size:           8
        .value_kind:     global_buffer
      - .actual_access:  read_only
        .address_space:  global
        .offset:         112
        .size:           8
        .value_kind:     global_buffer
      - .offset:         120
        .size:           4
        .value_kind:     by_value
      - .address_space:  global
        .offset:         128
        .size:           8
        .value_kind:     global_buffer
      - .address_space:  global
        .offset:         136
        .size:           8
        .value_kind:     global_buffer
      - .offset:         144
        .size:           4
        .value_kind:     hidden_block_count_x
      - .offset:         148
        .size:           4
        .value_kind:     hidden_block_count_y
      - .offset:         152
        .size:           4
        .value_kind:     hidden_block_count_z
      - .offset:         156
        .size:           2
        .value_kind:     hidden_group_size_x
      - .offset:         158
        .size:           2
        .value_kind:     hidden_group_size_y
      - .offset:         160
        .size:           2
        .value_kind:     hidden_group_size_z
      - .offset:         162
        .size:           2
        .value_kind:     hidden_remainder_x
      - .offset:         164
        .size:           2
        .value_kind:     hidden_remainder_y
      - .offset:         166
        .size:           2
        .value_kind:     hidden_remainder_z
      - .offset:         184
        .size:           8
        .value_kind:     hidden_global_offset_x
      - .offset:         192
        .size:           8
        .value_kind:     hidden_global_offset_y
      - .offset:         200
        .size:           8
        .value_kind:     hidden_global_offset_z
      - .offset:         208
        .size:           2
        .value_kind:     hidden_grid_dims
    .group_segment_fixed_size: 2720
    .kernarg_segment_align: 8
    .kernarg_segment_size: 400
    .language:       OpenCL C
    .language_version:
      - 2
      - 0
    .max_flat_workgroup_size: 256
    .name:           _Z38paged_attention_ll4mi_QKV_mfma4_kernelIDF16_DF16_LN4vllm18Fp8KVCacheDataTypeE0EDF16_Li16ELi64ELi256ELb1ELi1EEvPKT_PKT0_S7_ifPKiS9_S9_iPKfiiiPfSC_PS2_PT2_iSB_SB_
    .private_segment_fixed_size: 0
    .sgpr_count:     44
    .sgpr_spill_count: 0
    .symbol:         _Z38paged_attention_ll4mi_QKV_mfma4_kernelIDF16_DF16_LN4vllm18Fp8KVCacheDataTypeE0EDF16_Li16ELi64ELi256ELb1ELi1EEvPKT_PKT0_S7_ifPKiS9_S9_iPKfiiiPfSC_PS2_PT2_iSB_SB_.kd
    .uniform_work_group_size: 1
    .uses_dynamic_stack: false
    .vgpr_count:     72
    .vgpr_spill_count: 0
    .wavefront_size: 64
  - .agpr_count:     4
    .args:
      - .actual_access:  read_only
        .address_space:  global
        .offset:         0
        .size:           8
        .value_kind:     global_buffer
      - .actual_access:  read_only
        .address_space:  global
        .offset:         8
        .size:           8
        .value_kind:     global_buffer
      - .actual_access:  read_only
        .address_space:  global
        .offset:         16
        .size:           8
        .value_kind:     global_buffer
      - .offset:         24
        .size:           4
        .value_kind:     by_value
      - .offset:         28
        .size:           4
        .value_kind:     by_value
      - .actual_access:  read_only
        .address_space:  global
        .offset:         32
        .size:           8
        .value_kind:     global_buffer
      - .actual_access:  read_only
        .address_space:  global
        .offset:         40
        .size:           8
        .value_kind:     global_buffer
      - .actual_access:  read_only
        .address_space:  global
        .offset:         48
        .size:           8
        .value_kind:     global_buffer
      - .offset:         56
        .size:           4
        .value_kind:     by_value
      - .actual_access:  read_only
        .address_space:  global
        .offset:         64
        .size:           8
        .value_kind:     global_buffer
      - .offset:         72
        .size:           4
        .value_kind:     by_value
      - .offset:         76
        .size:           4
        .value_kind:     by_value
      - .offset:         80
        .size:           4
        .value_kind:     by_value
      - .actual_access:  write_only
        .address_space:  global
        .offset:         88
        .size:           8
        .value_kind:     global_buffer
      - .actual_access:  write_only
        .address_space:  global
        .offset:         96
        .size:           8
        .value_kind:     global_buffer
      - .actual_access:  write_only
        .address_space:  global
        .offset:         104
        .size:           8
        .value_kind:     global_buffer
      - .actual_access:  read_only
        .address_space:  global
        .offset:         112
        .size:           8
        .value_kind:     global_buffer
      - .offset:         120
        .size:           4
        .value_kind:     by_value
      - .address_space:  global
        .offset:         128
        .size:           8
        .value_kind:     global_buffer
      - .address_space:  global
        .offset:         136
        .size:           8
        .value_kind:     global_buffer
      - .offset:         144
        .size:           4
        .value_kind:     hidden_block_count_x
      - .offset:         148
        .size:           4
        .value_kind:     hidden_block_count_y
      - .offset:         152
        .size:           4
        .value_kind:     hidden_block_count_z
      - .offset:         156
        .size:           2
        .value_kind:     hidden_group_size_x
      - .offset:         158
        .size:           2
        .value_kind:     hidden_group_size_y
      - .offset:         160
        .size:           2
        .value_kind:     hidden_group_size_z
      - .offset:         162
        .size:           2
        .value_kind:     hidden_remainder_x
      - .offset:         164
        .size:           2
        .value_kind:     hidden_remainder_y
      - .offset:         166
        .size:           2
        .value_kind:     hidden_remainder_z
      - .offset:         184
        .size:           8
        .value_kind:     hidden_global_offset_x
      - .offset:         192
        .size:           8
        .value_kind:     hidden_global_offset_y
      - .offset:         200
        .size:           8
        .value_kind:     hidden_global_offset_z
      - .offset:         208
        .size:           2
        .value_kind:     hidden_grid_dims
    .group_segment_fixed_size: 2720
    .kernarg_segment_align: 8
    .kernarg_segment_size: 400
    .language:       OpenCL C
    .language_version:
      - 2
      - 0
    .max_flat_workgroup_size: 256
    .name:           _Z38paged_attention_ll4mi_QKV_mfma4_kernelIDF16_DF16_LN4vllm18Fp8KVCacheDataTypeE0EDF16_Li16ELi64ELi256ELb1ELi2EEvPKT_PKT0_S7_ifPKiS9_S9_iPKfiiiPfSC_PS2_PT2_iSB_SB_
    .private_segment_fixed_size: 0
    .sgpr_count:     46
    .sgpr_spill_count: 0
    .symbol:         _Z38paged_attention_ll4mi_QKV_mfma4_kernelIDF16_DF16_LN4vllm18Fp8KVCacheDataTypeE0EDF16_Li16ELi64ELi256ELb1ELi2EEvPKT_PKT0_S7_ifPKiS9_S9_iPKfiiiPfSC_PS2_PT2_iSB_SB_.kd
    .uniform_work_group_size: 1
    .uses_dynamic_stack: false
    .vgpr_count:     72
    .vgpr_spill_count: 0
    .wavefront_size: 64
  - .agpr_count:     4
    .args:
      - .actual_access:  read_only
        .address_space:  global
        .offset:         0
        .size:           8
        .value_kind:     global_buffer
      - .actual_access:  read_only
        .address_space:  global
        .offset:         8
        .size:           8
        .value_kind:     global_buffer
      - .actual_access:  read_only
        .address_space:  global
        .offset:         16
        .size:           8
        .value_kind:     global_buffer
      - .offset:         24
        .size:           4
        .value_kind:     by_value
      - .offset:         28
        .size:           4
        .value_kind:     by_value
      - .actual_access:  read_only
        .address_space:  global
        .offset:         32
        .size:           8
        .value_kind:     global_buffer
      - .actual_access:  read_only
        .address_space:  global
        .offset:         40
        .size:           8
        .value_kind:     global_buffer
      - .actual_access:  read_only
        .address_space:  global
        .offset:         48
        .size:           8
        .value_kind:     global_buffer
      - .offset:         56
        .size:           4
        .value_kind:     by_value
      - .actual_access:  read_only
        .address_space:  global
        .offset:         64
        .size:           8
        .value_kind:     global_buffer
      - .offset:         72
        .size:           4
        .value_kind:     by_value
      - .offset:         76
        .size:           4
        .value_kind:     by_value
      - .offset:         80
        .size:           4
        .value_kind:     by_value
      - .actual_access:  write_only
        .address_space:  global
        .offset:         88
        .size:           8
        .value_kind:     global_buffer
      - .actual_access:  write_only
        .address_space:  global
        .offset:         96
        .size:           8
        .value_kind:     global_buffer
      - .actual_access:  write_only
        .address_space:  global
        .offset:         104
        .size:           8
        .value_kind:     global_buffer
      - .actual_access:  read_only
        .address_space:  global
        .offset:         112
        .size:           8
        .value_kind:     global_buffer
      - .offset:         120
        .size:           4
        .value_kind:     by_value
      - .address_space:  global
        .offset:         128
        .size:           8
        .value_kind:     global_buffer
      - .address_space:  global
        .offset:         136
        .size:           8
        .value_kind:     global_buffer
      - .offset:         144
        .size:           4
        .value_kind:     hidden_block_count_x
      - .offset:         148
        .size:           4
        .value_kind:     hidden_block_count_y
      - .offset:         152
        .size:           4
        .value_kind:     hidden_block_count_z
      - .offset:         156
        .size:           2
        .value_kind:     hidden_group_size_x
      - .offset:         158
        .size:           2
        .value_kind:     hidden_group_size_y
      - .offset:         160
        .size:           2
        .value_kind:     hidden_group_size_z
      - .offset:         162
        .size:           2
        .value_kind:     hidden_remainder_x
      - .offset:         164
        .size:           2
        .value_kind:     hidden_remainder_y
      - .offset:         166
        .size:           2
        .value_kind:     hidden_remainder_z
      - .offset:         184
        .size:           8
        .value_kind:     hidden_global_offset_x
      - .offset:         192
        .size:           8
        .value_kind:     hidden_global_offset_y
      - .offset:         200
        .size:           8
        .value_kind:     hidden_global_offset_z
      - .offset:         208
        .size:           2
        .value_kind:     hidden_grid_dims
    .group_segment_fixed_size: 2720
    .kernarg_segment_align: 8
    .kernarg_segment_size: 400
    .language:       OpenCL C
    .language_version:
      - 2
      - 0
    .max_flat_workgroup_size: 256
    .name:           _Z38paged_attention_ll4mi_QKV_mfma4_kernelIDF16_DF16_LN4vllm18Fp8KVCacheDataTypeE0EDF16_Li16ELi64ELi256ELb1ELi3EEvPKT_PKT0_S7_ifPKiS9_S9_iPKfiiiPfSC_PS2_PT2_iSB_SB_
    .private_segment_fixed_size: 0
    .sgpr_count:     46
    .sgpr_spill_count: 0
    .symbol:         _Z38paged_attention_ll4mi_QKV_mfma4_kernelIDF16_DF16_LN4vllm18Fp8KVCacheDataTypeE0EDF16_Li16ELi64ELi256ELb1ELi3EEvPKT_PKT0_S7_ifPKiS9_S9_iPKfiiiPfSC_PS2_PT2_iSB_SB_.kd
    .uniform_work_group_size: 1
    .uses_dynamic_stack: false
    .vgpr_count:     72
    .vgpr_spill_count: 0
    .wavefront_size: 64
  - .agpr_count:     4
    .args:
      - .actual_access:  read_only
        .address_space:  global
        .offset:         0
        .size:           8
        .value_kind:     global_buffer
      - .actual_access:  read_only
        .address_space:  global
        .offset:         8
        .size:           8
        .value_kind:     global_buffer
      - .actual_access:  read_only
        .address_space:  global
        .offset:         16
        .size:           8
        .value_kind:     global_buffer
      - .offset:         24
        .size:           4
        .value_kind:     by_value
      - .offset:         28
        .size:           4
        .value_kind:     by_value
      - .actual_access:  read_only
        .address_space:  global
        .offset:         32
        .size:           8
        .value_kind:     global_buffer
      - .actual_access:  read_only
        .address_space:  global
        .offset:         40
        .size:           8
        .value_kind:     global_buffer
      - .actual_access:  read_only
        .address_space:  global
        .offset:         48
        .size:           8
        .value_kind:     global_buffer
      - .offset:         56
        .size:           4
        .value_kind:     by_value
      - .actual_access:  read_only
        .address_space:  global
        .offset:         64
        .size:           8
        .value_kind:     global_buffer
      - .offset:         72
        .size:           4
        .value_kind:     by_value
      - .offset:         76
        .size:           4
        .value_kind:     by_value
      - .offset:         80
        .size:           4
        .value_kind:     by_value
      - .actual_access:  write_only
        .address_space:  global
        .offset:         88
        .size:           8
        .value_kind:     global_buffer
      - .actual_access:  write_only
        .address_space:  global
        .offset:         96
        .size:           8
        .value_kind:     global_buffer
      - .actual_access:  write_only
        .address_space:  global
        .offset:         104
        .size:           8
        .value_kind:     global_buffer
      - .actual_access:  read_only
        .address_space:  global
        .offset:         112
        .size:           8
        .value_kind:     global_buffer
      - .offset:         120
        .size:           4
        .value_kind:     by_value
      - .address_space:  global
        .offset:         128
        .size:           8
        .value_kind:     global_buffer
      - .address_space:  global
        .offset:         136
        .size:           8
        .value_kind:     global_buffer
      - .offset:         144
        .size:           4
        .value_kind:     hidden_block_count_x
      - .offset:         148
        .size:           4
        .value_kind:     hidden_block_count_y
      - .offset:         152
        .size:           4
        .value_kind:     hidden_block_count_z
      - .offset:         156
        .size:           2
        .value_kind:     hidden_group_size_x
      - .offset:         158
        .size:           2
        .value_kind:     hidden_group_size_y
      - .offset:         160
        .size:           2
        .value_kind:     hidden_group_size_z
      - .offset:         162
        .size:           2
        .value_kind:     hidden_remainder_x
      - .offset:         164
        .size:           2
        .value_kind:     hidden_remainder_y
      - .offset:         166
        .size:           2
        .value_kind:     hidden_remainder_z
      - .offset:         184
        .size:           8
        .value_kind:     hidden_global_offset_x
      - .offset:         192
        .size:           8
        .value_kind:     hidden_global_offset_y
      - .offset:         200
        .size:           8
        .value_kind:     hidden_global_offset_z
      - .offset:         208
        .size:           2
        .value_kind:     hidden_grid_dims
    .group_segment_fixed_size: 2720
    .kernarg_segment_align: 8
    .kernarg_segment_size: 400
    .language:       OpenCL C
    .language_version:
      - 2
      - 0
    .max_flat_workgroup_size: 256
    .name:           _Z38paged_attention_ll4mi_QKV_mfma4_kernelIDF16_DF16_LN4vllm18Fp8KVCacheDataTypeE0EDF16_Li16ELi64ELi256ELb1ELi4EEvPKT_PKT0_S7_ifPKiS9_S9_iPKfiiiPfSC_PS2_PT2_iSB_SB_
    .private_segment_fixed_size: 0
    .sgpr_count:     47
    .sgpr_spill_count: 0
    .symbol:         _Z38paged_attention_ll4mi_QKV_mfma4_kernelIDF16_DF16_LN4vllm18Fp8KVCacheDataTypeE0EDF16_Li16ELi64ELi256ELb1ELi4EEvPKT_PKT0_S7_ifPKiS9_S9_iPKfiiiPfSC_PS2_PT2_iSB_SB_.kd
    .uniform_work_group_size: 1
    .uses_dynamic_stack: false
    .vgpr_count:     76
    .vgpr_spill_count: 0
    .wavefront_size: 64
  - .agpr_count:     0
    .args:
      - .actual_access:  read_only
        .address_space:  global
        .offset:         0
        .size:           8
        .value_kind:     global_buffer
      - .actual_access:  read_only
        .address_space:  global
        .offset:         8
        .size:           8
        .value_kind:     global_buffer
      - .actual_access:  read_only
        .address_space:  global
        .offset:         16
        .size:           8
        .value_kind:     global_buffer
      - .offset:         24
        .size:           4
        .value_kind:     by_value
      - .offset:         28
        .size:           4
        .value_kind:     by_value
      - .actual_access:  read_only
        .address_space:  global
        .offset:         32
        .size:           8
        .value_kind:     global_buffer
      - .actual_access:  read_only
        .address_space:  global
        .offset:         40
        .size:           8
        .value_kind:     global_buffer
      - .actual_access:  read_only
        .address_space:  global
        .offset:         48
        .size:           8
        .value_kind:     global_buffer
      - .offset:         56
        .size:           4
        .value_kind:     by_value
      - .actual_access:  read_only
        .address_space:  global
        .offset:         64
        .size:           8
        .value_kind:     global_buffer
      - .offset:         72
        .size:           4
        .value_kind:     by_value
      - .offset:         76
        .size:           4
        .value_kind:     by_value
      - .offset:         80
        .size:           4
        .value_kind:     by_value
      - .actual_access:  write_only
        .address_space:  global
        .offset:         88
        .size:           8
        .value_kind:     global_buffer
      - .actual_access:  write_only
        .address_space:  global
        .offset:         96
        .size:           8
        .value_kind:     global_buffer
      - .actual_access:  write_only
        .address_space:  global
        .offset:         104
        .size:           8
        .value_kind:     global_buffer
      - .actual_access:  read_only
        .address_space:  global
        .offset:         112
        .size:           8
        .value_kind:     global_buffer
      - .offset:         120
        .size:           4
        .value_kind:     by_value
      - .address_space:  global
        .offset:         128
        .size:           8
        .value_kind:     global_buffer
      - .address_space:  global
        .offset:         136
        .size:           8
        .value_kind:     global_buffer
      - .offset:         144
        .size:           4
        .value_kind:     hidden_block_count_x
      - .offset:         148
        .size:           4
        .value_kind:     hidden_block_count_y
      - .offset:         152
        .size:           4
        .value_kind:     hidden_block_count_z
      - .offset:         156
        .size:           2
        .value_kind:     hidden_group_size_x
      - .offset:         158
        .size:           2
        .value_kind:     hidden_group_size_y
      - .offset:         160
        .size:           2
        .value_kind:     hidden_group_size_z
      - .offset:         162
        .size:           2
        .value_kind:     hidden_remainder_x
      - .offset:         164
        .size:           2
        .value_kind:     hidden_remainder_y
      - .offset:         166
        .size:           2
        .value_kind:     hidden_remainder_z
      - .offset:         184
        .size:           8
        .value_kind:     hidden_global_offset_x
      - .offset:         192
        .size:           8
        .value_kind:     hidden_global_offset_y
      - .offset:         200
        .size:           8
        .value_kind:     hidden_global_offset_z
      - .offset:         208
        .size:           2
        .value_kind:     hidden_grid_dims
    .group_segment_fixed_size: 8192
    .kernarg_segment_align: 8
    .kernarg_segment_size: 400
    .language:       OpenCL C
    .language_version:
      - 2
      - 0
    .max_flat_workgroup_size: 256
    .name:           _Z39paged_attention_ll4mi_QKV_mfma16_kernelIDF16_DF16_LN4vllm18Fp8KVCacheDataTypeE0EDF16_Li16ELi64ELi256ELb1ELi5EEvPKT_PKT0_S7_ifPKiS9_S9_iPKfiiiPfSC_PS2_PT2_iSB_SB_
    .private_segment_fixed_size: 0
    .sgpr_count:     54
    .sgpr_spill_count: 0
    .symbol:         _Z39paged_attention_ll4mi_QKV_mfma16_kernelIDF16_DF16_LN4vllm18Fp8KVCacheDataTypeE0EDF16_Li16ELi64ELi256ELb1ELi5EEvPKT_PKT0_S7_ifPKiS9_S9_iPKfiiiPfSC_PS2_PT2_iSB_SB_.kd
    .uniform_work_group_size: 1
    .uses_dynamic_stack: false
    .vgpr_count:     72
    .vgpr_spill_count: 0
    .wavefront_size: 64
  - .agpr_count:     0
    .args:
      - .actual_access:  read_only
        .address_space:  global
        .offset:         0
        .size:           8
        .value_kind:     global_buffer
      - .actual_access:  read_only
        .address_space:  global
        .offset:         8
        .size:           8
        .value_kind:     global_buffer
      - .actual_access:  read_only
        .address_space:  global
        .offset:         16
        .size:           8
        .value_kind:     global_buffer
      - .offset:         24
        .size:           4
        .value_kind:     by_value
      - .offset:         28
        .size:           4
        .value_kind:     by_value
      - .actual_access:  read_only
        .address_space:  global
        .offset:         32
        .size:           8
        .value_kind:     global_buffer
      - .actual_access:  read_only
        .address_space:  global
        .offset:         40
        .size:           8
        .value_kind:     global_buffer
      - .actual_access:  read_only
        .address_space:  global
        .offset:         48
        .size:           8
        .value_kind:     global_buffer
      - .offset:         56
        .size:           4
        .value_kind:     by_value
      - .actual_access:  read_only
        .address_space:  global
        .offset:         64
        .size:           8
        .value_kind:     global_buffer
      - .offset:         72
        .size:           4
        .value_kind:     by_value
      - .offset:         76
        .size:           4
        .value_kind:     by_value
      - .offset:         80
        .size:           4
        .value_kind:     by_value
      - .actual_access:  write_only
        .address_space:  global
        .offset:         88
        .size:           8
        .value_kind:     global_buffer
      - .actual_access:  write_only
        .address_space:  global
        .offset:         96
        .size:           8
        .value_kind:     global_buffer
      - .actual_access:  write_only
        .address_space:  global
        .offset:         104
        .size:           8
        .value_kind:     global_buffer
      - .actual_access:  read_only
        .address_space:  global
        .offset:         112
        .size:           8
        .value_kind:     global_buffer
      - .offset:         120
        .size:           4
        .value_kind:     by_value
      - .address_space:  global
        .offset:         128
        .size:           8
        .value_kind:     global_buffer
      - .address_space:  global
        .offset:         136
        .size:           8
        .value_kind:     global_buffer
      - .offset:         144
        .size:           4
        .value_kind:     hidden_block_count_x
      - .offset:         148
        .size:           4
        .value_kind:     hidden_block_count_y
      - .offset:         152
        .size:           4
        .value_kind:     hidden_block_count_z
      - .offset:         156
        .size:           2
        .value_kind:     hidden_group_size_x
      - .offset:         158
        .size:           2
        .value_kind:     hidden_group_size_y
      - .offset:         160
        .size:           2
        .value_kind:     hidden_group_size_z
      - .offset:         162
        .size:           2
        .value_kind:     hidden_remainder_x
      - .offset:         164
        .size:           2
        .value_kind:     hidden_remainder_y
      - .offset:         166
        .size:           2
        .value_kind:     hidden_remainder_z
      - .offset:         184
        .size:           8
        .value_kind:     hidden_global_offset_x
      - .offset:         192
        .size:           8
        .value_kind:     hidden_global_offset_y
      - .offset:         200
        .size:           8
        .value_kind:     hidden_global_offset_z
      - .offset:         208
        .size:           2
        .value_kind:     hidden_grid_dims
    .group_segment_fixed_size: 8192
    .kernarg_segment_align: 8
    .kernarg_segment_size: 400
    .language:       OpenCL C
    .language_version:
      - 2
      - 0
    .max_flat_workgroup_size: 256
    .name:           _Z39paged_attention_ll4mi_QKV_mfma16_kernelIDF16_DF16_LN4vllm18Fp8KVCacheDataTypeE0EDF16_Li16ELi64ELi256ELb1ELi6EEvPKT_PKT0_S7_ifPKiS9_S9_iPKfiiiPfSC_PS2_PT2_iSB_SB_
    .private_segment_fixed_size: 0
    .sgpr_count:     54
    .sgpr_spill_count: 0
    .symbol:         _Z39paged_attention_ll4mi_QKV_mfma16_kernelIDF16_DF16_LN4vllm18Fp8KVCacheDataTypeE0EDF16_Li16ELi64ELi256ELb1ELi6EEvPKT_PKT0_S7_ifPKiS9_S9_iPKfiiiPfSC_PS2_PT2_iSB_SB_.kd
    .uniform_work_group_size: 1
    .uses_dynamic_stack: false
    .vgpr_count:     72
    .vgpr_spill_count: 0
    .wavefront_size: 64
  - .agpr_count:     0
    .args:
      - .actual_access:  read_only
        .address_space:  global
        .offset:         0
        .size:           8
        .value_kind:     global_buffer
      - .actual_access:  read_only
        .address_space:  global
        .offset:         8
        .size:           8
        .value_kind:     global_buffer
      - .actual_access:  read_only
        .address_space:  global
        .offset:         16
        .size:           8
        .value_kind:     global_buffer
      - .offset:         24
        .size:           4
        .value_kind:     by_value
      - .offset:         28
        .size:           4
        .value_kind:     by_value
      - .actual_access:  read_only
        .address_space:  global
        .offset:         32
        .size:           8
        .value_kind:     global_buffer
      - .actual_access:  read_only
        .address_space:  global
        .offset:         40
        .size:           8
        .value_kind:     global_buffer
      - .actual_access:  read_only
        .address_space:  global
        .offset:         48
        .size:           8
        .value_kind:     global_buffer
      - .offset:         56
        .size:           4
        .value_kind:     by_value
      - .actual_access:  read_only
        .address_space:  global
        .offset:         64
        .size:           8
        .value_kind:     global_buffer
      - .offset:         72
        .size:           4
        .value_kind:     by_value
      - .offset:         76
        .size:           4
        .value_kind:     by_value
      - .offset:         80
        .size:           4
        .value_kind:     by_value
      - .actual_access:  write_only
        .address_space:  global
        .offset:         88
        .size:           8
        .value_kind:     global_buffer
      - .actual_access:  write_only
        .address_space:  global
        .offset:         96
        .size:           8
        .value_kind:     global_buffer
      - .actual_access:  write_only
        .address_space:  global
        .offset:         104
        .size:           8
        .value_kind:     global_buffer
      - .actual_access:  read_only
        .address_space:  global
        .offset:         112
        .size:           8
        .value_kind:     global_buffer
      - .offset:         120
        .size:           4
        .value_kind:     by_value
      - .address_space:  global
        .offset:         128
        .size:           8
        .value_kind:     global_buffer
      - .address_space:  global
        .offset:         136
        .size:           8
        .value_kind:     global_buffer
      - .offset:         144
        .size:           4
        .value_kind:     hidden_block_count_x
      - .offset:         148
        .size:           4
        .value_kind:     hidden_block_count_y
      - .offset:         152
        .size:           4
        .value_kind:     hidden_block_count_z
      - .offset:         156
        .size:           2
        .value_kind:     hidden_group_size_x
      - .offset:         158
        .size:           2
        .value_kind:     hidden_group_size_y
      - .offset:         160
        .size:           2
        .value_kind:     hidden_group_size_z
      - .offset:         162
        .size:           2
        .value_kind:     hidden_remainder_x
      - .offset:         164
        .size:           2
        .value_kind:     hidden_remainder_y
      - .offset:         166
        .size:           2
        .value_kind:     hidden_remainder_z
      - .offset:         184
        .size:           8
        .value_kind:     hidden_global_offset_x
      - .offset:         192
        .size:           8
        .value_kind:     hidden_global_offset_y
      - .offset:         200
        .size:           8
        .value_kind:     hidden_global_offset_z
      - .offset:         208
        .size:           2
        .value_kind:     hidden_grid_dims
    .group_segment_fixed_size: 8192
    .kernarg_segment_align: 8
    .kernarg_segment_size: 400
    .language:       OpenCL C
    .language_version:
      - 2
      - 0
    .max_flat_workgroup_size: 256
    .name:           _Z39paged_attention_ll4mi_QKV_mfma16_kernelIDF16_DF16_LN4vllm18Fp8KVCacheDataTypeE0EDF16_Li16ELi64ELi256ELb1ELi7EEvPKT_PKT0_S7_ifPKiS9_S9_iPKfiiiPfSC_PS2_PT2_iSB_SB_
    .private_segment_fixed_size: 0
    .sgpr_count:     54
    .sgpr_spill_count: 0
    .symbol:         _Z39paged_attention_ll4mi_QKV_mfma16_kernelIDF16_DF16_LN4vllm18Fp8KVCacheDataTypeE0EDF16_Li16ELi64ELi256ELb1ELi7EEvPKT_PKT0_S7_ifPKiS9_S9_iPKfiiiPfSC_PS2_PT2_iSB_SB_.kd
    .uniform_work_group_size: 1
    .uses_dynamic_stack: false
    .vgpr_count:     72
    .vgpr_spill_count: 0
    .wavefront_size: 64
  - .agpr_count:     0
    .args:
      - .actual_access:  read_only
        .address_space:  global
        .offset:         0
        .size:           8
        .value_kind:     global_buffer
      - .actual_access:  read_only
        .address_space:  global
        .offset:         8
        .size:           8
        .value_kind:     global_buffer
      - .actual_access:  read_only
        .address_space:  global
        .offset:         16
        .size:           8
        .value_kind:     global_buffer
      - .offset:         24
        .size:           4
        .value_kind:     by_value
      - .offset:         28
        .size:           4
        .value_kind:     by_value
      - .actual_access:  read_only
        .address_space:  global
        .offset:         32
        .size:           8
        .value_kind:     global_buffer
      - .actual_access:  read_only
        .address_space:  global
        .offset:         40
        .size:           8
        .value_kind:     global_buffer
      - .actual_access:  read_only
        .address_space:  global
        .offset:         48
        .size:           8
        .value_kind:     global_buffer
      - .offset:         56
        .size:           4
        .value_kind:     by_value
      - .actual_access:  read_only
        .address_space:  global
        .offset:         64
        .size:           8
        .value_kind:     global_buffer
      - .offset:         72
        .size:           4
        .value_kind:     by_value
      - .offset:         76
        .size:           4
        .value_kind:     by_value
      - .offset:         80
        .size:           4
        .value_kind:     by_value
      - .actual_access:  write_only
        .address_space:  global
        .offset:         88
        .size:           8
        .value_kind:     global_buffer
      - .actual_access:  write_only
        .address_space:  global
        .offset:         96
        .size:           8
        .value_kind:     global_buffer
      - .actual_access:  write_only
        .address_space:  global
        .offset:         104
        .size:           8
        .value_kind:     global_buffer
      - .actual_access:  read_only
        .address_space:  global
        .offset:         112
        .size:           8
        .value_kind:     global_buffer
      - .offset:         120
        .size:           4
        .value_kind:     by_value
      - .address_space:  global
        .offset:         128
        .size:           8
        .value_kind:     global_buffer
      - .address_space:  global
        .offset:         136
        .size:           8
        .value_kind:     global_buffer
      - .offset:         144
        .size:           4
        .value_kind:     hidden_block_count_x
      - .offset:         148
        .size:           4
        .value_kind:     hidden_block_count_y
      - .offset:         152
        .size:           4
        .value_kind:     hidden_block_count_z
      - .offset:         156
        .size:           2
        .value_kind:     hidden_group_size_x
      - .offset:         158
        .size:           2
        .value_kind:     hidden_group_size_y
      - .offset:         160
        .size:           2
        .value_kind:     hidden_group_size_z
      - .offset:         162
        .size:           2
        .value_kind:     hidden_remainder_x
      - .offset:         164
        .size:           2
        .value_kind:     hidden_remainder_y
      - .offset:         166
        .size:           2
        .value_kind:     hidden_remainder_z
      - .offset:         184
        .size:           8
        .value_kind:     hidden_global_offset_x
      - .offset:         192
        .size:           8
        .value_kind:     hidden_global_offset_y
      - .offset:         200
        .size:           8
        .value_kind:     hidden_global_offset_z
      - .offset:         208
        .size:           2
        .value_kind:     hidden_grid_dims
    .group_segment_fixed_size: 8192
    .kernarg_segment_align: 8
    .kernarg_segment_size: 400
    .language:       OpenCL C
    .language_version:
      - 2
      - 0
    .max_flat_workgroup_size: 256
    .name:           _Z39paged_attention_ll4mi_QKV_mfma16_kernelIDF16_DF16_LN4vllm18Fp8KVCacheDataTypeE0EDF16_Li16ELi64ELi256ELb1ELi8EEvPKT_PKT0_S7_ifPKiS9_S9_iPKfiiiPfSC_PS2_PT2_iSB_SB_
    .private_segment_fixed_size: 0
    .sgpr_count:     54
    .sgpr_spill_count: 0
    .symbol:         _Z39paged_attention_ll4mi_QKV_mfma16_kernelIDF16_DF16_LN4vllm18Fp8KVCacheDataTypeE0EDF16_Li16ELi64ELi256ELb1ELi8EEvPKT_PKT0_S7_ifPKiS9_S9_iPKfiiiPfSC_PS2_PT2_iSB_SB_.kd
    .uniform_work_group_size: 1
    .uses_dynamic_stack: false
    .vgpr_count:     72
    .vgpr_spill_count: 0
    .wavefront_size: 64
  - .agpr_count:     0
    .args:
      - .actual_access:  read_only
        .address_space:  global
        .offset:         0
        .size:           8
        .value_kind:     global_buffer
      - .actual_access:  read_only
        .address_space:  global
        .offset:         8
        .size:           8
        .value_kind:     global_buffer
      - .actual_access:  read_only
        .address_space:  global
        .offset:         16
        .size:           8
        .value_kind:     global_buffer
      - .offset:         24
        .size:           4
        .value_kind:     by_value
      - .offset:         28
        .size:           4
        .value_kind:     by_value
      - .actual_access:  read_only
        .address_space:  global
        .offset:         32
        .size:           8
        .value_kind:     global_buffer
      - .actual_access:  read_only
        .address_space:  global
        .offset:         40
        .size:           8
        .value_kind:     global_buffer
      - .actual_access:  read_only
        .address_space:  global
        .offset:         48
        .size:           8
        .value_kind:     global_buffer
      - .offset:         56
        .size:           4
        .value_kind:     by_value
      - .actual_access:  read_only
        .address_space:  global
        .offset:         64
        .size:           8
        .value_kind:     global_buffer
      - .offset:         72
        .size:           4
        .value_kind:     by_value
      - .offset:         76
        .size:           4
        .value_kind:     by_value
      - .offset:         80
        .size:           4
        .value_kind:     by_value
      - .actual_access:  write_only
        .address_space:  global
        .offset:         88
        .size:           8
        .value_kind:     global_buffer
      - .actual_access:  write_only
        .address_space:  global
        .offset:         96
        .size:           8
        .value_kind:     global_buffer
      - .actual_access:  write_only
        .address_space:  global
        .offset:         104
        .size:           8
        .value_kind:     global_buffer
      - .actual_access:  read_only
        .address_space:  global
        .offset:         112
        .size:           8
        .value_kind:     global_buffer
      - .offset:         120
        .size:           4
        .value_kind:     by_value
      - .address_space:  global
        .offset:         128
        .size:           8
        .value_kind:     global_buffer
      - .address_space:  global
        .offset:         136
        .size:           8
        .value_kind:     global_buffer
      - .offset:         144
        .size:           4
        .value_kind:     hidden_block_count_x
      - .offset:         148
        .size:           4
        .value_kind:     hidden_block_count_y
      - .offset:         152
        .size:           4
        .value_kind:     hidden_block_count_z
      - .offset:         156
        .size:           2
        .value_kind:     hidden_group_size_x
      - .offset:         158
        .size:           2
        .value_kind:     hidden_group_size_y
      - .offset:         160
        .size:           2
        .value_kind:     hidden_group_size_z
      - .offset:         162
        .size:           2
        .value_kind:     hidden_remainder_x
      - .offset:         164
        .size:           2
        .value_kind:     hidden_remainder_y
      - .offset:         166
        .size:           2
        .value_kind:     hidden_remainder_z
      - .offset:         184
        .size:           8
        .value_kind:     hidden_global_offset_x
      - .offset:         192
        .size:           8
        .value_kind:     hidden_global_offset_y
      - .offset:         200
        .size:           8
        .value_kind:     hidden_global_offset_z
      - .offset:         208
        .size:           2
        .value_kind:     hidden_grid_dims
    .group_segment_fixed_size: 8192
    .kernarg_segment_align: 8
    .kernarg_segment_size: 400
    .language:       OpenCL C
    .language_version:
      - 2
      - 0
    .max_flat_workgroup_size: 256
    .name:           _Z39paged_attention_ll4mi_QKV_mfma16_kernelIDF16_DF16_LN4vllm18Fp8KVCacheDataTypeE0EDF16_Li16ELi64ELi256ELb1ELi9EEvPKT_PKT0_S7_ifPKiS9_S9_iPKfiiiPfSC_PS2_PT2_iSB_SB_
    .private_segment_fixed_size: 0
    .sgpr_count:     54
    .sgpr_spill_count: 0
    .symbol:         _Z39paged_attention_ll4mi_QKV_mfma16_kernelIDF16_DF16_LN4vllm18Fp8KVCacheDataTypeE0EDF16_Li16ELi64ELi256ELb1ELi9EEvPKT_PKT0_S7_ifPKiS9_S9_iPKfiiiPfSC_PS2_PT2_iSB_SB_.kd
    .uniform_work_group_size: 1
    .uses_dynamic_stack: false
    .vgpr_count:     72
    .vgpr_spill_count: 0
    .wavefront_size: 64
  - .agpr_count:     0
    .args:
      - .actual_access:  read_only
        .address_space:  global
        .offset:         0
        .size:           8
        .value_kind:     global_buffer
      - .actual_access:  read_only
        .address_space:  global
        .offset:         8
        .size:           8
        .value_kind:     global_buffer
      - .actual_access:  read_only
        .address_space:  global
        .offset:         16
        .size:           8
        .value_kind:     global_buffer
      - .offset:         24
        .size:           4
        .value_kind:     by_value
      - .offset:         28
        .size:           4
        .value_kind:     by_value
      - .actual_access:  read_only
        .address_space:  global
        .offset:         32
        .size:           8
        .value_kind:     global_buffer
      - .actual_access:  read_only
        .address_space:  global
        .offset:         40
        .size:           8
        .value_kind:     global_buffer
      - .actual_access:  read_only
        .address_space:  global
        .offset:         48
        .size:           8
        .value_kind:     global_buffer
      - .offset:         56
        .size:           4
        .value_kind:     by_value
      - .actual_access:  read_only
        .address_space:  global
        .offset:         64
        .size:           8
        .value_kind:     global_buffer
      - .offset:         72
        .size:           4
        .value_kind:     by_value
      - .offset:         76
        .size:           4
        .value_kind:     by_value
      - .offset:         80
        .size:           4
        .value_kind:     by_value
      - .actual_access:  write_only
        .address_space:  global
        .offset:         88
        .size:           8
        .value_kind:     global_buffer
      - .actual_access:  write_only
        .address_space:  global
        .offset:         96
        .size:           8
        .value_kind:     global_buffer
      - .actual_access:  write_only
        .address_space:  global
        .offset:         104
        .size:           8
        .value_kind:     global_buffer
      - .actual_access:  read_only
        .address_space:  global
        .offset:         112
        .size:           8
        .value_kind:     global_buffer
      - .offset:         120
        .size:           4
        .value_kind:     by_value
      - .address_space:  global
        .offset:         128
        .size:           8
        .value_kind:     global_buffer
      - .address_space:  global
        .offset:         136
        .size:           8
        .value_kind:     global_buffer
      - .offset:         144
        .size:           4
        .value_kind:     hidden_block_count_x
      - .offset:         148
        .size:           4
        .value_kind:     hidden_block_count_y
      - .offset:         152
        .size:           4
        .value_kind:     hidden_block_count_z
      - .offset:         156
        .size:           2
        .value_kind:     hidden_group_size_x
      - .offset:         158
        .size:           2
        .value_kind:     hidden_group_size_y
      - .offset:         160
        .size:           2
        .value_kind:     hidden_group_size_z
      - .offset:         162
        .size:           2
        .value_kind:     hidden_remainder_x
      - .offset:         164
        .size:           2
        .value_kind:     hidden_remainder_y
      - .offset:         166
        .size:           2
        .value_kind:     hidden_remainder_z
      - .offset:         184
        .size:           8
        .value_kind:     hidden_global_offset_x
      - .offset:         192
        .size:           8
        .value_kind:     hidden_global_offset_y
      - .offset:         200
        .size:           8
        .value_kind:     hidden_global_offset_z
      - .offset:         208
        .size:           2
        .value_kind:     hidden_grid_dims
    .group_segment_fixed_size: 8192
    .kernarg_segment_align: 8
    .kernarg_segment_size: 400
    .language:       OpenCL C
    .language_version:
      - 2
      - 0
    .max_flat_workgroup_size: 256
    .name:           _Z39paged_attention_ll4mi_QKV_mfma16_kernelIDF16_DF16_LN4vllm18Fp8KVCacheDataTypeE0EDF16_Li16ELi64ELi256ELb1ELi10EEvPKT_PKT0_S7_ifPKiS9_S9_iPKfiiiPfSC_PS2_PT2_iSB_SB_
    .private_segment_fixed_size: 0
    .sgpr_count:     54
    .sgpr_spill_count: 0
    .symbol:         _Z39paged_attention_ll4mi_QKV_mfma16_kernelIDF16_DF16_LN4vllm18Fp8KVCacheDataTypeE0EDF16_Li16ELi64ELi256ELb1ELi10EEvPKT_PKT0_S7_ifPKiS9_S9_iPKfiiiPfSC_PS2_PT2_iSB_SB_.kd
    .uniform_work_group_size: 1
    .uses_dynamic_stack: false
    .vgpr_count:     72
    .vgpr_spill_count: 0
    .wavefront_size: 64
  - .agpr_count:     0
    .args:
      - .actual_access:  read_only
        .address_space:  global
        .offset:         0
        .size:           8
        .value_kind:     global_buffer
      - .actual_access:  read_only
        .address_space:  global
        .offset:         8
        .size:           8
        .value_kind:     global_buffer
      - .actual_access:  read_only
        .address_space:  global
        .offset:         16
        .size:           8
        .value_kind:     global_buffer
      - .offset:         24
        .size:           4
        .value_kind:     by_value
      - .offset:         28
        .size:           4
        .value_kind:     by_value
      - .actual_access:  read_only
        .address_space:  global
        .offset:         32
        .size:           8
        .value_kind:     global_buffer
      - .actual_access:  read_only
        .address_space:  global
        .offset:         40
        .size:           8
        .value_kind:     global_buffer
      - .actual_access:  read_only
        .address_space:  global
        .offset:         48
        .size:           8
        .value_kind:     global_buffer
      - .offset:         56
        .size:           4
        .value_kind:     by_value
      - .actual_access:  read_only
        .address_space:  global
        .offset:         64
        .size:           8
        .value_kind:     global_buffer
      - .offset:         72
        .size:           4
        .value_kind:     by_value
      - .offset:         76
        .size:           4
        .value_kind:     by_value
      - .offset:         80
        .size:           4
        .value_kind:     by_value
      - .actual_access:  write_only
        .address_space:  global
        .offset:         88
        .size:           8
        .value_kind:     global_buffer
      - .actual_access:  write_only
        .address_space:  global
        .offset:         96
        .size:           8
        .value_kind:     global_buffer
      - .actual_access:  write_only
        .address_space:  global
        .offset:         104
        .size:           8
        .value_kind:     global_buffer
      - .actual_access:  read_only
        .address_space:  global
        .offset:         112
        .size:           8
        .value_kind:     global_buffer
      - .offset:         120
        .size:           4
        .value_kind:     by_value
      - .address_space:  global
        .offset:         128
        .size:           8
        .value_kind:     global_buffer
      - .address_space:  global
        .offset:         136
        .size:           8
        .value_kind:     global_buffer
      - .offset:         144
        .size:           4
        .value_kind:     hidden_block_count_x
      - .offset:         148
        .size:           4
        .value_kind:     hidden_block_count_y
      - .offset:         152
        .size:           4
        .value_kind:     hidden_block_count_z
      - .offset:         156
        .size:           2
        .value_kind:     hidden_group_size_x
      - .offset:         158
        .size:           2
        .value_kind:     hidden_group_size_y
      - .offset:         160
        .size:           2
        .value_kind:     hidden_group_size_z
      - .offset:         162
        .size:           2
        .value_kind:     hidden_remainder_x
      - .offset:         164
        .size:           2
        .value_kind:     hidden_remainder_y
      - .offset:         166
        .size:           2
        .value_kind:     hidden_remainder_z
      - .offset:         184
        .size:           8
        .value_kind:     hidden_global_offset_x
      - .offset:         192
        .size:           8
        .value_kind:     hidden_global_offset_y
      - .offset:         200
        .size:           8
        .value_kind:     hidden_global_offset_z
      - .offset:         208
        .size:           2
        .value_kind:     hidden_grid_dims
    .group_segment_fixed_size: 8192
    .kernarg_segment_align: 8
    .kernarg_segment_size: 400
    .language:       OpenCL C
    .language_version:
      - 2
      - 0
    .max_flat_workgroup_size: 256
    .name:           _Z39paged_attention_ll4mi_QKV_mfma16_kernelIDF16_DF16_LN4vllm18Fp8KVCacheDataTypeE0EDF16_Li16ELi64ELi256ELb1ELi11EEvPKT_PKT0_S7_ifPKiS9_S9_iPKfiiiPfSC_PS2_PT2_iSB_SB_
    .private_segment_fixed_size: 0
    .sgpr_count:     54
    .sgpr_spill_count: 0
    .symbol:         _Z39paged_attention_ll4mi_QKV_mfma16_kernelIDF16_DF16_LN4vllm18Fp8KVCacheDataTypeE0EDF16_Li16ELi64ELi256ELb1ELi11EEvPKT_PKT0_S7_ifPKiS9_S9_iPKfiiiPfSC_PS2_PT2_iSB_SB_.kd
    .uniform_work_group_size: 1
    .uses_dynamic_stack: false
    .vgpr_count:     72
    .vgpr_spill_count: 0
    .wavefront_size: 64
  - .agpr_count:     0
    .args:
      - .actual_access:  read_only
        .address_space:  global
        .offset:         0
        .size:           8
        .value_kind:     global_buffer
      - .actual_access:  read_only
        .address_space:  global
        .offset:         8
        .size:           8
        .value_kind:     global_buffer
      - .actual_access:  read_only
        .address_space:  global
        .offset:         16
        .size:           8
        .value_kind:     global_buffer
      - .offset:         24
        .size:           4
        .value_kind:     by_value
      - .offset:         28
        .size:           4
        .value_kind:     by_value
      - .actual_access:  read_only
        .address_space:  global
        .offset:         32
        .size:           8
        .value_kind:     global_buffer
      - .actual_access:  read_only
        .address_space:  global
        .offset:         40
        .size:           8
        .value_kind:     global_buffer
      - .actual_access:  read_only
        .address_space:  global
        .offset:         48
        .size:           8
        .value_kind:     global_buffer
      - .offset:         56
        .size:           4
        .value_kind:     by_value
      - .actual_access:  read_only
        .address_space:  global
        .offset:         64
        .size:           8
        .value_kind:     global_buffer
      - .offset:         72
        .size:           4
        .value_kind:     by_value
      - .offset:         76
        .size:           4
        .value_kind:     by_value
      - .offset:         80
        .size:           4
        .value_kind:     by_value
      - .actual_access:  write_only
        .address_space:  global
        .offset:         88
        .size:           8
        .value_kind:     global_buffer
      - .actual_access:  write_only
        .address_space:  global
        .offset:         96
        .size:           8
        .value_kind:     global_buffer
      - .actual_access:  write_only
        .address_space:  global
        .offset:         104
        .size:           8
        .value_kind:     global_buffer
      - .actual_access:  read_only
        .address_space:  global
        .offset:         112
        .size:           8
        .value_kind:     global_buffer
      - .offset:         120
        .size:           4
        .value_kind:     by_value
      - .address_space:  global
        .offset:         128
        .size:           8
        .value_kind:     global_buffer
      - .address_space:  global
        .offset:         136
        .size:           8
        .value_kind:     global_buffer
      - .offset:         144
        .size:           4
        .value_kind:     hidden_block_count_x
      - .offset:         148
        .size:           4
        .value_kind:     hidden_block_count_y
      - .offset:         152
        .size:           4
        .value_kind:     hidden_block_count_z
      - .offset:         156
        .size:           2
        .value_kind:     hidden_group_size_x
      - .offset:         158
        .size:           2
        .value_kind:     hidden_group_size_y
      - .offset:         160
        .size:           2
        .value_kind:     hidden_group_size_z
      - .offset:         162
        .size:           2
        .value_kind:     hidden_remainder_x
      - .offset:         164
        .size:           2
        .value_kind:     hidden_remainder_y
      - .offset:         166
        .size:           2
        .value_kind:     hidden_remainder_z
      - .offset:         184
        .size:           8
        .value_kind:     hidden_global_offset_x
      - .offset:         192
        .size:           8
        .value_kind:     hidden_global_offset_y
      - .offset:         200
        .size:           8
        .value_kind:     hidden_global_offset_z
      - .offset:         208
        .size:           2
        .value_kind:     hidden_grid_dims
    .group_segment_fixed_size: 8192
    .kernarg_segment_align: 8
    .kernarg_segment_size: 400
    .language:       OpenCL C
    .language_version:
      - 2
      - 0
    .max_flat_workgroup_size: 256
    .name:           _Z39paged_attention_ll4mi_QKV_mfma16_kernelIDF16_DF16_LN4vllm18Fp8KVCacheDataTypeE0EDF16_Li16ELi64ELi256ELb1ELi12EEvPKT_PKT0_S7_ifPKiS9_S9_iPKfiiiPfSC_PS2_PT2_iSB_SB_
    .private_segment_fixed_size: 0
    .sgpr_count:     54
    .sgpr_spill_count: 0
    .symbol:         _Z39paged_attention_ll4mi_QKV_mfma16_kernelIDF16_DF16_LN4vllm18Fp8KVCacheDataTypeE0EDF16_Li16ELi64ELi256ELb1ELi12EEvPKT_PKT0_S7_ifPKiS9_S9_iPKfiiiPfSC_PS2_PT2_iSB_SB_.kd
    .uniform_work_group_size: 1
    .uses_dynamic_stack: false
    .vgpr_count:     72
    .vgpr_spill_count: 0
    .wavefront_size: 64
  - .agpr_count:     0
    .args:
      - .actual_access:  read_only
        .address_space:  global
        .offset:         0
        .size:           8
        .value_kind:     global_buffer
      - .actual_access:  read_only
        .address_space:  global
        .offset:         8
        .size:           8
        .value_kind:     global_buffer
      - .actual_access:  read_only
        .address_space:  global
        .offset:         16
        .size:           8
        .value_kind:     global_buffer
      - .offset:         24
        .size:           4
        .value_kind:     by_value
      - .offset:         28
        .size:           4
        .value_kind:     by_value
      - .actual_access:  read_only
        .address_space:  global
        .offset:         32
        .size:           8
        .value_kind:     global_buffer
      - .actual_access:  read_only
        .address_space:  global
        .offset:         40
        .size:           8
        .value_kind:     global_buffer
      - .actual_access:  read_only
        .address_space:  global
        .offset:         48
        .size:           8
        .value_kind:     global_buffer
      - .offset:         56
        .size:           4
        .value_kind:     by_value
      - .actual_access:  read_only
        .address_space:  global
        .offset:         64
        .size:           8
        .value_kind:     global_buffer
      - .offset:         72
        .size:           4
        .value_kind:     by_value
      - .offset:         76
        .size:           4
        .value_kind:     by_value
      - .offset:         80
        .size:           4
        .value_kind:     by_value
      - .actual_access:  write_only
        .address_space:  global
        .offset:         88
        .size:           8
        .value_kind:     global_buffer
      - .actual_access:  write_only
        .address_space:  global
        .offset:         96
        .size:           8
        .value_kind:     global_buffer
      - .actual_access:  write_only
        .address_space:  global
        .offset:         104
        .size:           8
        .value_kind:     global_buffer
      - .actual_access:  read_only
        .address_space:  global
        .offset:         112
        .size:           8
        .value_kind:     global_buffer
      - .offset:         120
        .size:           4
        .value_kind:     by_value
      - .address_space:  global
        .offset:         128
        .size:           8
        .value_kind:     global_buffer
      - .address_space:  global
        .offset:         136
        .size:           8
        .value_kind:     global_buffer
      - .offset:         144
        .size:           4
        .value_kind:     hidden_block_count_x
      - .offset:         148
        .size:           4
        .value_kind:     hidden_block_count_y
      - .offset:         152
        .size:           4
        .value_kind:     hidden_block_count_z
      - .offset:         156
        .size:           2
        .value_kind:     hidden_group_size_x
      - .offset:         158
        .size:           2
        .value_kind:     hidden_group_size_y
      - .offset:         160
        .size:           2
        .value_kind:     hidden_group_size_z
      - .offset:         162
        .size:           2
        .value_kind:     hidden_remainder_x
      - .offset:         164
        .size:           2
        .value_kind:     hidden_remainder_y
      - .offset:         166
        .size:           2
        .value_kind:     hidden_remainder_z
      - .offset:         184
        .size:           8
        .value_kind:     hidden_global_offset_x
      - .offset:         192
        .size:           8
        .value_kind:     hidden_global_offset_y
      - .offset:         200
        .size:           8
        .value_kind:     hidden_global_offset_z
      - .offset:         208
        .size:           2
        .value_kind:     hidden_grid_dims
    .group_segment_fixed_size: 8192
    .kernarg_segment_align: 8
    .kernarg_segment_size: 400
    .language:       OpenCL C
    .language_version:
      - 2
      - 0
    .max_flat_workgroup_size: 256
    .name:           _Z39paged_attention_ll4mi_QKV_mfma16_kernelIDF16_DF16_LN4vllm18Fp8KVCacheDataTypeE0EDF16_Li16ELi64ELi256ELb1ELi13EEvPKT_PKT0_S7_ifPKiS9_S9_iPKfiiiPfSC_PS2_PT2_iSB_SB_
    .private_segment_fixed_size: 0
    .sgpr_count:     54
    .sgpr_spill_count: 0
    .symbol:         _Z39paged_attention_ll4mi_QKV_mfma16_kernelIDF16_DF16_LN4vllm18Fp8KVCacheDataTypeE0EDF16_Li16ELi64ELi256ELb1ELi13EEvPKT_PKT0_S7_ifPKiS9_S9_iPKfiiiPfSC_PS2_PT2_iSB_SB_.kd
    .uniform_work_group_size: 1
    .uses_dynamic_stack: false
    .vgpr_count:     72
    .vgpr_spill_count: 0
    .wavefront_size: 64
  - .agpr_count:     0
    .args:
      - .actual_access:  read_only
        .address_space:  global
        .offset:         0
        .size:           8
        .value_kind:     global_buffer
      - .actual_access:  read_only
        .address_space:  global
        .offset:         8
        .size:           8
        .value_kind:     global_buffer
      - .actual_access:  read_only
        .address_space:  global
        .offset:         16
        .size:           8
        .value_kind:     global_buffer
      - .offset:         24
        .size:           4
        .value_kind:     by_value
      - .offset:         28
        .size:           4
        .value_kind:     by_value
      - .actual_access:  read_only
        .address_space:  global
        .offset:         32
        .size:           8
        .value_kind:     global_buffer
      - .actual_access:  read_only
        .address_space:  global
        .offset:         40
        .size:           8
        .value_kind:     global_buffer
      - .actual_access:  read_only
        .address_space:  global
        .offset:         48
        .size:           8
        .value_kind:     global_buffer
      - .offset:         56
        .size:           4
        .value_kind:     by_value
      - .actual_access:  read_only
        .address_space:  global
        .offset:         64
        .size:           8
        .value_kind:     global_buffer
      - .offset:         72
        .size:           4
        .value_kind:     by_value
      - .offset:         76
        .size:           4
        .value_kind:     by_value
      - .offset:         80
        .size:           4
        .value_kind:     by_value
      - .actual_access:  write_only
        .address_space:  global
        .offset:         88
        .size:           8
        .value_kind:     global_buffer
      - .actual_access:  write_only
        .address_space:  global
        .offset:         96
        .size:           8
        .value_kind:     global_buffer
      - .actual_access:  write_only
        .address_space:  global
        .offset:         104
        .size:           8
        .value_kind:     global_buffer
      - .actual_access:  read_only
        .address_space:  global
        .offset:         112
        .size:           8
        .value_kind:     global_buffer
      - .offset:         120
        .size:           4
        .value_kind:     by_value
      - .address_space:  global
        .offset:         128
        .size:           8
        .value_kind:     global_buffer
      - .address_space:  global
        .offset:         136
        .size:           8
        .value_kind:     global_buffer
      - .offset:         144
        .size:           4
        .value_kind:     hidden_block_count_x
      - .offset:         148
        .size:           4
        .value_kind:     hidden_block_count_y
      - .offset:         152
        .size:           4
        .value_kind:     hidden_block_count_z
      - .offset:         156
        .size:           2
        .value_kind:     hidden_group_size_x
      - .offset:         158
        .size:           2
        .value_kind:     hidden_group_size_y
      - .offset:         160
        .size:           2
        .value_kind:     hidden_group_size_z
      - .offset:         162
        .size:           2
        .value_kind:     hidden_remainder_x
      - .offset:         164
        .size:           2
        .value_kind:     hidden_remainder_y
      - .offset:         166
        .size:           2
        .value_kind:     hidden_remainder_z
      - .offset:         184
        .size:           8
        .value_kind:     hidden_global_offset_x
      - .offset:         192
        .size:           8
        .value_kind:     hidden_global_offset_y
      - .offset:         200
        .size:           8
        .value_kind:     hidden_global_offset_z
      - .offset:         208
        .size:           2
        .value_kind:     hidden_grid_dims
    .group_segment_fixed_size: 8192
    .kernarg_segment_align: 8
    .kernarg_segment_size: 400
    .language:       OpenCL C
    .language_version:
      - 2
      - 0
    .max_flat_workgroup_size: 256
    .name:           _Z39paged_attention_ll4mi_QKV_mfma16_kernelIDF16_DF16_LN4vllm18Fp8KVCacheDataTypeE0EDF16_Li16ELi64ELi256ELb1ELi14EEvPKT_PKT0_S7_ifPKiS9_S9_iPKfiiiPfSC_PS2_PT2_iSB_SB_
    .private_segment_fixed_size: 0
    .sgpr_count:     54
    .sgpr_spill_count: 0
    .symbol:         _Z39paged_attention_ll4mi_QKV_mfma16_kernelIDF16_DF16_LN4vllm18Fp8KVCacheDataTypeE0EDF16_Li16ELi64ELi256ELb1ELi14EEvPKT_PKT0_S7_ifPKiS9_S9_iPKfiiiPfSC_PS2_PT2_iSB_SB_.kd
    .uniform_work_group_size: 1
    .uses_dynamic_stack: false
    .vgpr_count:     72
    .vgpr_spill_count: 0
    .wavefront_size: 64
  - .agpr_count:     0
    .args:
      - .actual_access:  read_only
        .address_space:  global
        .offset:         0
        .size:           8
        .value_kind:     global_buffer
      - .actual_access:  read_only
        .address_space:  global
        .offset:         8
        .size:           8
        .value_kind:     global_buffer
      - .actual_access:  read_only
        .address_space:  global
        .offset:         16
        .size:           8
        .value_kind:     global_buffer
      - .offset:         24
        .size:           4
        .value_kind:     by_value
      - .offset:         28
        .size:           4
        .value_kind:     by_value
      - .actual_access:  read_only
        .address_space:  global
        .offset:         32
        .size:           8
        .value_kind:     global_buffer
      - .actual_access:  read_only
        .address_space:  global
        .offset:         40
        .size:           8
        .value_kind:     global_buffer
      - .actual_access:  read_only
        .address_space:  global
        .offset:         48
        .size:           8
        .value_kind:     global_buffer
      - .offset:         56
        .size:           4
        .value_kind:     by_value
      - .actual_access:  read_only
        .address_space:  global
        .offset:         64
        .size:           8
        .value_kind:     global_buffer
      - .offset:         72
        .size:           4
        .value_kind:     by_value
      - .offset:         76
        .size:           4
        .value_kind:     by_value
      - .offset:         80
        .size:           4
        .value_kind:     by_value
      - .actual_access:  write_only
        .address_space:  global
        .offset:         88
        .size:           8
        .value_kind:     global_buffer
      - .actual_access:  write_only
        .address_space:  global
        .offset:         96
        .size:           8
        .value_kind:     global_buffer
      - .actual_access:  write_only
        .address_space:  global
        .offset:         104
        .size:           8
        .value_kind:     global_buffer
      - .actual_access:  read_only
        .address_space:  global
        .offset:         112
        .size:           8
        .value_kind:     global_buffer
      - .offset:         120
        .size:           4
        .value_kind:     by_value
      - .address_space:  global
        .offset:         128
        .size:           8
        .value_kind:     global_buffer
      - .address_space:  global
        .offset:         136
        .size:           8
        .value_kind:     global_buffer
      - .offset:         144
        .size:           4
        .value_kind:     hidden_block_count_x
      - .offset:         148
        .size:           4
        .value_kind:     hidden_block_count_y
      - .offset:         152
        .size:           4
        .value_kind:     hidden_block_count_z
      - .offset:         156
        .size:           2
        .value_kind:     hidden_group_size_x
      - .offset:         158
        .size:           2
        .value_kind:     hidden_group_size_y
      - .offset:         160
        .size:           2
        .value_kind:     hidden_group_size_z
      - .offset:         162
        .size:           2
        .value_kind:     hidden_remainder_x
      - .offset:         164
        .size:           2
        .value_kind:     hidden_remainder_y
      - .offset:         166
        .size:           2
        .value_kind:     hidden_remainder_z
      - .offset:         184
        .size:           8
        .value_kind:     hidden_global_offset_x
      - .offset:         192
        .size:           8
        .value_kind:     hidden_global_offset_y
      - .offset:         200
        .size:           8
        .value_kind:     hidden_global_offset_z
      - .offset:         208
        .size:           2
        .value_kind:     hidden_grid_dims
    .group_segment_fixed_size: 8192
    .kernarg_segment_align: 8
    .kernarg_segment_size: 400
    .language:       OpenCL C
    .language_version:
      - 2
      - 0
    .max_flat_workgroup_size: 256
    .name:           _Z39paged_attention_ll4mi_QKV_mfma16_kernelIDF16_DF16_LN4vllm18Fp8KVCacheDataTypeE0EDF16_Li16ELi64ELi256ELb1ELi15EEvPKT_PKT0_S7_ifPKiS9_S9_iPKfiiiPfSC_PS2_PT2_iSB_SB_
    .private_segment_fixed_size: 0
    .sgpr_count:     54
    .sgpr_spill_count: 0
    .symbol:         _Z39paged_attention_ll4mi_QKV_mfma16_kernelIDF16_DF16_LN4vllm18Fp8KVCacheDataTypeE0EDF16_Li16ELi64ELi256ELb1ELi15EEvPKT_PKT0_S7_ifPKiS9_S9_iPKfiiiPfSC_PS2_PT2_iSB_SB_.kd
    .uniform_work_group_size: 1
    .uses_dynamic_stack: false
    .vgpr_count:     72
    .vgpr_spill_count: 0
    .wavefront_size: 64
  - .agpr_count:     0
    .args:
      - .actual_access:  read_only
        .address_space:  global
        .offset:         0
        .size:           8
        .value_kind:     global_buffer
      - .actual_access:  read_only
        .address_space:  global
        .offset:         8
        .size:           8
        .value_kind:     global_buffer
      - .actual_access:  read_only
        .address_space:  global
        .offset:         16
        .size:           8
        .value_kind:     global_buffer
      - .offset:         24
        .size:           4
        .value_kind:     by_value
      - .offset:         28
        .size:           4
        .value_kind:     by_value
      - .actual_access:  read_only
        .address_space:  global
        .offset:         32
        .size:           8
        .value_kind:     global_buffer
      - .actual_access:  read_only
        .address_space:  global
        .offset:         40
        .size:           8
        .value_kind:     global_buffer
      - .actual_access:  read_only
        .address_space:  global
        .offset:         48
        .size:           8
        .value_kind:     global_buffer
      - .offset:         56
        .size:           4
        .value_kind:     by_value
      - .actual_access:  read_only
        .address_space:  global
        .offset:         64
        .size:           8
        .value_kind:     global_buffer
      - .offset:         72
        .size:           4
        .value_kind:     by_value
      - .offset:         76
        .size:           4
        .value_kind:     by_value
      - .offset:         80
        .size:           4
        .value_kind:     by_value
      - .actual_access:  write_only
        .address_space:  global
        .offset:         88
        .size:           8
        .value_kind:     global_buffer
      - .actual_access:  write_only
        .address_space:  global
        .offset:         96
        .size:           8
        .value_kind:     global_buffer
      - .actual_access:  write_only
        .address_space:  global
        .offset:         104
        .size:           8
        .value_kind:     global_buffer
      - .actual_access:  read_only
        .address_space:  global
        .offset:         112
        .size:           8
        .value_kind:     global_buffer
      - .offset:         120
        .size:           4
        .value_kind:     by_value
      - .address_space:  global
        .offset:         128
        .size:           8
        .value_kind:     global_buffer
      - .address_space:  global
        .offset:         136
        .size:           8
        .value_kind:     global_buffer
      - .offset:         144
        .size:           4
        .value_kind:     hidden_block_count_x
      - .offset:         148
        .size:           4
        .value_kind:     hidden_block_count_y
      - .offset:         152
        .size:           4
        .value_kind:     hidden_block_count_z
      - .offset:         156
        .size:           2
        .value_kind:     hidden_group_size_x
      - .offset:         158
        .size:           2
        .value_kind:     hidden_group_size_y
      - .offset:         160
        .size:           2
        .value_kind:     hidden_group_size_z
      - .offset:         162
        .size:           2
        .value_kind:     hidden_remainder_x
      - .offset:         164
        .size:           2
        .value_kind:     hidden_remainder_y
      - .offset:         166
        .size:           2
        .value_kind:     hidden_remainder_z
      - .offset:         184
        .size:           8
        .value_kind:     hidden_global_offset_x
      - .offset:         192
        .size:           8
        .value_kind:     hidden_global_offset_y
      - .offset:         200
        .size:           8
        .value_kind:     hidden_global_offset_z
      - .offset:         208
        .size:           2
        .value_kind:     hidden_grid_dims
    .group_segment_fixed_size: 8192
    .kernarg_segment_align: 8
    .kernarg_segment_size: 400
    .language:       OpenCL C
    .language_version:
      - 2
      - 0
    .max_flat_workgroup_size: 256
    .name:           _Z39paged_attention_ll4mi_QKV_mfma16_kernelIDF16_DF16_LN4vllm18Fp8KVCacheDataTypeE0EDF16_Li16ELi64ELi256ELb1ELi16EEvPKT_PKT0_S7_ifPKiS9_S9_iPKfiiiPfSC_PS2_PT2_iSB_SB_
    .private_segment_fixed_size: 0
    .sgpr_count:     54
    .sgpr_spill_count: 0
    .symbol:         _Z39paged_attention_ll4mi_QKV_mfma16_kernelIDF16_DF16_LN4vllm18Fp8KVCacheDataTypeE0EDF16_Li16ELi64ELi256ELb1ELi16EEvPKT_PKT0_S7_ifPKiS9_S9_iPKfiiiPfSC_PS2_PT2_iSB_SB_.kd
    .uniform_work_group_size: 1
    .uses_dynamic_stack: false
    .vgpr_count:     72
    .vgpr_spill_count: 0
    .wavefront_size: 64
  - .agpr_count:     0
    .args:
      - .actual_access:  write_only
        .address_space:  global
        .offset:         0
        .size:           8
        .value_kind:     global_buffer
      - .actual_access:  read_only
        .address_space:  global
        .offset:         8
        .size:           8
        .value_kind:     global_buffer
      - .actual_access:  read_only
        .address_space:  global
        .offset:         16
        .size:           8
        .value_kind:     global_buffer
      - .actual_access:  read_only
        .address_space:  global
        .offset:         24
        .size:           8
        .value_kind:     global_buffer
      - .actual_access:  read_only
        .address_space:  global
        .offset:         32
        .size:           8
        .value_kind:     global_buffer
      - .actual_access:  read_only
        .address_space:  global
        .offset:         40
        .size:           8
        .value_kind:     global_buffer
      - .offset:         48
        .size:           4
        .value_kind:     by_value
      - .actual_access:  read_only
        .address_space:  global
        .offset:         56
        .size:           8
        .value_kind:     global_buffer
      - .offset:         64
        .size:           4
        .value_kind:     hidden_block_count_x
      - .offset:         68
        .size:           4
        .value_kind:     hidden_block_count_y
      - .offset:         72
        .size:           4
        .value_kind:     hidden_block_count_z
      - .offset:         76
        .size:           2
        .value_kind:     hidden_group_size_x
      - .offset:         78
        .size:           2
        .value_kind:     hidden_group_size_y
      - .offset:         80
        .size:           2
        .value_kind:     hidden_group_size_z
      - .offset:         82
        .size:           2
        .value_kind:     hidden_remainder_x
      - .offset:         84
        .size:           2
        .value_kind:     hidden_remainder_y
      - .offset:         86
        .size:           2
        .value_kind:     hidden_remainder_z
      - .offset:         104
        .size:           8
        .value_kind:     hidden_global_offset_x
      - .offset:         112
        .size:           8
        .value_kind:     hidden_global_offset_y
      - .offset:         120
        .size:           8
        .value_kind:     hidden_global_offset_z
      - .offset:         128
        .size:           2
        .value_kind:     hidden_grid_dims
    .group_segment_fixed_size: 260
    .kernarg_segment_align: 8
    .kernarg_segment_size: 320
    .language:       OpenCL C
    .language_version:
      - 2
      - 0
    .max_flat_workgroup_size: 64
    .name:           _Z35paged_attention_ll4mi_reduce_kernelIDF16_DF16_Li64ELi64ELi256ELi1EEvPT0_PKfS3_PKT_PKiS8_iS3_
    .private_segment_fixed_size: 0
    .sgpr_count:     36
    .sgpr_spill_count: 0
    .symbol:         _Z35paged_attention_ll4mi_reduce_kernelIDF16_DF16_Li64ELi64ELi256ELi1EEvPT0_PKfS3_PKT_PKiS8_iS3_.kd
    .uniform_work_group_size: 1
    .uses_dynamic_stack: false
    .vgpr_count:     92
    .vgpr_spill_count: 0
    .wavefront_size: 64
  - .agpr_count:     0
    .args:
      - .actual_access:  write_only
        .address_space:  global
        .offset:         0
        .size:           8
        .value_kind:     global_buffer
      - .actual_access:  read_only
        .address_space:  global
        .offset:         8
        .size:           8
        .value_kind:     global_buffer
      - .actual_access:  read_only
        .address_space:  global
        .offset:         16
        .size:           8
        .value_kind:     global_buffer
      - .actual_access:  read_only
        .address_space:  global
        .offset:         24
        .size:           8
        .value_kind:     global_buffer
      - .actual_access:  read_only
        .address_space:  global
        .offset:         32
        .size:           8
        .value_kind:     global_buffer
      - .actual_access:  read_only
        .address_space:  global
        .offset:         40
        .size:           8
        .value_kind:     global_buffer
      - .offset:         48
        .size:           4
        .value_kind:     by_value
      - .actual_access:  read_only
        .address_space:  global
        .offset:         56
        .size:           8
        .value_kind:     global_buffer
      - .offset:         64
        .size:           4
        .value_kind:     hidden_block_count_x
      - .offset:         68
        .size:           4
        .value_kind:     hidden_block_count_y
      - .offset:         72
        .size:           4
        .value_kind:     hidden_block_count_z
      - .offset:         76
        .size:           2
        .value_kind:     hidden_group_size_x
      - .offset:         78
        .size:           2
        .value_kind:     hidden_group_size_y
      - .offset:         80
        .size:           2
        .value_kind:     hidden_group_size_z
      - .offset:         82
        .size:           2
        .value_kind:     hidden_remainder_x
      - .offset:         84
        .size:           2
        .value_kind:     hidden_remainder_y
      - .offset:         86
        .size:           2
        .value_kind:     hidden_remainder_z
      - .offset:         104
        .size:           8
        .value_kind:     hidden_global_offset_x
      - .offset:         112
        .size:           8
        .value_kind:     hidden_global_offset_y
      - .offset:         120
        .size:           8
        .value_kind:     hidden_global_offset_z
      - .offset:         128
        .size:           2
        .value_kind:     hidden_grid_dims
    .group_segment_fixed_size: 516
    .kernarg_segment_align: 8
    .kernarg_segment_size: 320
    .language:       OpenCL C
    .language_version:
      - 2
      - 0
    .max_flat_workgroup_size: 64
    .name:           _Z35paged_attention_ll4mi_reduce_kernelIDF16_DF16_Li64ELi64ELi256ELi2EEvPT0_PKfS3_PKT_PKiS8_iS3_
    .private_segment_fixed_size: 0
    .sgpr_count:     38
    .sgpr_spill_count: 0
    .symbol:         _Z35paged_attention_ll4mi_reduce_kernelIDF16_DF16_Li64ELi64ELi256ELi2EEvPT0_PKfS3_PKT_PKiS8_iS3_.kd
    .uniform_work_group_size: 1
    .uses_dynamic_stack: false
    .vgpr_count:     92
    .vgpr_spill_count: 0
    .wavefront_size: 64
  - .agpr_count:     0
    .args:
      - .actual_access:  write_only
        .address_space:  global
        .offset:         0
        .size:           8
        .value_kind:     global_buffer
      - .actual_access:  read_only
        .address_space:  global
        .offset:         8
        .size:           8
        .value_kind:     global_buffer
      - .actual_access:  read_only
        .address_space:  global
        .offset:         16
        .size:           8
        .value_kind:     global_buffer
      - .actual_access:  read_only
        .address_space:  global
        .offset:         24
        .size:           8
        .value_kind:     global_buffer
      - .actual_access:  read_only
        .address_space:  global
        .offset:         32
        .size:           8
        .value_kind:     global_buffer
      - .actual_access:  read_only
        .address_space:  global
        .offset:         40
        .size:           8
        .value_kind:     global_buffer
      - .offset:         48
        .size:           4
        .value_kind:     by_value
      - .actual_access:  read_only
        .address_space:  global
        .offset:         56
        .size:           8
        .value_kind:     global_buffer
      - .offset:         64
        .size:           4
        .value_kind:     hidden_block_count_x
      - .offset:         68
        .size:           4
        .value_kind:     hidden_block_count_y
      - .offset:         72
        .size:           4
        .value_kind:     hidden_block_count_z
      - .offset:         76
        .size:           2
        .value_kind:     hidden_group_size_x
      - .offset:         78
        .size:           2
        .value_kind:     hidden_group_size_y
      - .offset:         80
        .size:           2
        .value_kind:     hidden_group_size_z
      - .offset:         82
        .size:           2
        .value_kind:     hidden_remainder_x
      - .offset:         84
        .size:           2
        .value_kind:     hidden_remainder_y
      - .offset:         86
        .size:           2
        .value_kind:     hidden_remainder_z
      - .offset:         104
        .size:           8
        .value_kind:     hidden_global_offset_x
      - .offset:         112
        .size:           8
        .value_kind:     hidden_global_offset_y
      - .offset:         120
        .size:           8
        .value_kind:     hidden_global_offset_z
      - .offset:         128
        .size:           2
        .value_kind:     hidden_grid_dims
    .group_segment_fixed_size: 772
    .kernarg_segment_align: 8
    .kernarg_segment_size: 320
    .language:       OpenCL C
    .language_version:
      - 2
      - 0
    .max_flat_workgroup_size: 64
    .name:           _Z35paged_attention_ll4mi_reduce_kernelIDF16_DF16_Li64ELi64ELi256ELi3EEvPT0_PKfS3_PKT_PKiS8_iS3_
    .private_segment_fixed_size: 0
    .sgpr_count:     42
    .sgpr_spill_count: 0
    .symbol:         _Z35paged_attention_ll4mi_reduce_kernelIDF16_DF16_Li64ELi64ELi256ELi3EEvPT0_PKfS3_PKT_PKiS8_iS3_.kd
    .uniform_work_group_size: 1
    .uses_dynamic_stack: false
    .vgpr_count:     92
    .vgpr_spill_count: 0
    .wavefront_size: 64
  - .agpr_count:     0
    .args:
      - .actual_access:  write_only
        .address_space:  global
        .offset:         0
        .size:           8
        .value_kind:     global_buffer
      - .actual_access:  read_only
        .address_space:  global
        .offset:         8
        .size:           8
        .value_kind:     global_buffer
      - .actual_access:  read_only
        .address_space:  global
        .offset:         16
        .size:           8
        .value_kind:     global_buffer
      - .actual_access:  read_only
        .address_space:  global
        .offset:         24
        .size:           8
        .value_kind:     global_buffer
      - .actual_access:  read_only
        .address_space:  global
        .offset:         32
        .size:           8
        .value_kind:     global_buffer
      - .actual_access:  read_only
        .address_space:  global
        .offset:         40
        .size:           8
        .value_kind:     global_buffer
      - .offset:         48
        .size:           4
        .value_kind:     by_value
      - .actual_access:  read_only
        .address_space:  global
        .offset:         56
        .size:           8
        .value_kind:     global_buffer
      - .offset:         64
        .size:           4
        .value_kind:     hidden_block_count_x
      - .offset:         68
        .size:           4
        .value_kind:     hidden_block_count_y
      - .offset:         72
        .size:           4
        .value_kind:     hidden_block_count_z
      - .offset:         76
        .size:           2
        .value_kind:     hidden_group_size_x
      - .offset:         78
        .size:           2
        .value_kind:     hidden_group_size_y
      - .offset:         80
        .size:           2
        .value_kind:     hidden_group_size_z
      - .offset:         82
        .size:           2
        .value_kind:     hidden_remainder_x
      - .offset:         84
        .size:           2
        .value_kind:     hidden_remainder_y
      - .offset:         86
        .size:           2
        .value_kind:     hidden_remainder_z
      - .offset:         104
        .size:           8
        .value_kind:     hidden_global_offset_x
      - .offset:         112
        .size:           8
        .value_kind:     hidden_global_offset_y
      - .offset:         120
        .size:           8
        .value_kind:     hidden_global_offset_z
      - .offset:         128
        .size:           2
        .value_kind:     hidden_grid_dims
    .group_segment_fixed_size: 1028
    .kernarg_segment_align: 8
    .kernarg_segment_size: 320
    .language:       OpenCL C
    .language_version:
      - 2
      - 0
    .max_flat_workgroup_size: 64
    .name:           _Z35paged_attention_ll4mi_reduce_kernelIDF16_DF16_Li64ELi64ELi256ELi4EEvPT0_PKfS3_PKT_PKiS8_iS3_
    .private_segment_fixed_size: 0
    .sgpr_count:     44
    .sgpr_spill_count: 0
    .symbol:         _Z35paged_attention_ll4mi_reduce_kernelIDF16_DF16_Li64ELi64ELi256ELi4EEvPT0_PKfS3_PKT_PKiS8_iS3_.kd
    .uniform_work_group_size: 1
    .uses_dynamic_stack: false
    .vgpr_count:     92
    .vgpr_spill_count: 0
    .wavefront_size: 64
  - .agpr_count:     0
    .args:
      - .actual_access:  write_only
        .address_space:  global
        .offset:         0
        .size:           8
        .value_kind:     global_buffer
      - .actual_access:  read_only
        .address_space:  global
        .offset:         8
        .size:           8
        .value_kind:     global_buffer
      - .actual_access:  read_only
        .address_space:  global
        .offset:         16
        .size:           8
        .value_kind:     global_buffer
      - .actual_access:  read_only
        .address_space:  global
        .offset:         24
        .size:           8
        .value_kind:     global_buffer
      - .actual_access:  read_only
        .address_space:  global
        .offset:         32
        .size:           8
        .value_kind:     global_buffer
      - .actual_access:  read_only
        .address_space:  global
        .offset:         40
        .size:           8
        .value_kind:     global_buffer
      - .offset:         48
        .size:           4
        .value_kind:     by_value
      - .actual_access:  read_only
        .address_space:  global
        .offset:         56
        .size:           8
        .value_kind:     global_buffer
      - .offset:         64
        .size:           4
        .value_kind:     hidden_block_count_x
      - .offset:         68
        .size:           4
        .value_kind:     hidden_block_count_y
      - .offset:         72
        .size:           4
        .value_kind:     hidden_block_count_z
      - .offset:         76
        .size:           2
        .value_kind:     hidden_group_size_x
      - .offset:         78
        .size:           2
        .value_kind:     hidden_group_size_y
      - .offset:         80
        .size:           2
        .value_kind:     hidden_group_size_z
      - .offset:         82
        .size:           2
        .value_kind:     hidden_remainder_x
      - .offset:         84
        .size:           2
        .value_kind:     hidden_remainder_y
      - .offset:         86
        .size:           2
        .value_kind:     hidden_remainder_z
      - .offset:         104
        .size:           8
        .value_kind:     hidden_global_offset_x
      - .offset:         112
        .size:           8
        .value_kind:     hidden_global_offset_y
      - .offset:         120
        .size:           8
        .value_kind:     hidden_global_offset_z
      - .offset:         128
        .size:           2
        .value_kind:     hidden_grid_dims
    .group_segment_fixed_size: 1284
    .kernarg_segment_align: 8
    .kernarg_segment_size: 320
    .language:       OpenCL C
    .language_version:
      - 2
      - 0
    .max_flat_workgroup_size: 64
    .name:           _Z35paged_attention_ll4mi_reduce_kernelIDF16_DF16_Li64ELi64ELi256ELi5EEvPT0_PKfS3_PKT_PKiS8_iS3_
    .private_segment_fixed_size: 0
    .sgpr_count:     46
    .sgpr_spill_count: 0
    .symbol:         _Z35paged_attention_ll4mi_reduce_kernelIDF16_DF16_Li64ELi64ELi256ELi5EEvPT0_PKfS3_PKT_PKiS8_iS3_.kd
    .uniform_work_group_size: 1
    .uses_dynamic_stack: false
    .vgpr_count:     92
    .vgpr_spill_count: 0
    .wavefront_size: 64
  - .agpr_count:     0
    .args:
      - .actual_access:  write_only
        .address_space:  global
        .offset:         0
        .size:           8
        .value_kind:     global_buffer
      - .actual_access:  read_only
        .address_space:  global
        .offset:         8
        .size:           8
        .value_kind:     global_buffer
      - .actual_access:  read_only
        .address_space:  global
        .offset:         16
        .size:           8
        .value_kind:     global_buffer
      - .actual_access:  read_only
        .address_space:  global
        .offset:         24
        .size:           8
        .value_kind:     global_buffer
      - .actual_access:  read_only
        .address_space:  global
        .offset:         32
        .size:           8
        .value_kind:     global_buffer
      - .actual_access:  read_only
        .address_space:  global
        .offset:         40
        .size:           8
        .value_kind:     global_buffer
      - .offset:         48
        .size:           4
        .value_kind:     by_value
      - .actual_access:  read_only
        .address_space:  global
        .offset:         56
        .size:           8
        .value_kind:     global_buffer
      - .offset:         64
        .size:           4
        .value_kind:     hidden_block_count_x
      - .offset:         68
        .size:           4
        .value_kind:     hidden_block_count_y
      - .offset:         72
        .size:           4
        .value_kind:     hidden_block_count_z
      - .offset:         76
        .size:           2
        .value_kind:     hidden_group_size_x
      - .offset:         78
        .size:           2
        .value_kind:     hidden_group_size_y
      - .offset:         80
        .size:           2
        .value_kind:     hidden_group_size_z
      - .offset:         82
        .size:           2
        .value_kind:     hidden_remainder_x
      - .offset:         84
        .size:           2
        .value_kind:     hidden_remainder_y
      - .offset:         86
        .size:           2
        .value_kind:     hidden_remainder_z
      - .offset:         104
        .size:           8
        .value_kind:     hidden_global_offset_x
      - .offset:         112
        .size:           8
        .value_kind:     hidden_global_offset_y
      - .offset:         120
        .size:           8
        .value_kind:     hidden_global_offset_z
      - .offset:         128
        .size:           2
        .value_kind:     hidden_grid_dims
    .group_segment_fixed_size: 1540
    .kernarg_segment_align: 8
    .kernarg_segment_size: 320
    .language:       OpenCL C
    .language_version:
      - 2
      - 0
    .max_flat_workgroup_size: 64
    .name:           _Z35paged_attention_ll4mi_reduce_kernelIDF16_DF16_Li64ELi64ELi256ELi6EEvPT0_PKfS3_PKT_PKiS8_iS3_
    .private_segment_fixed_size: 0
    .sgpr_count:     48
    .sgpr_spill_count: 0
    .symbol:         _Z35paged_attention_ll4mi_reduce_kernelIDF16_DF16_Li64ELi64ELi256ELi6EEvPT0_PKfS3_PKT_PKiS8_iS3_.kd
    .uniform_work_group_size: 1
    .uses_dynamic_stack: false
    .vgpr_count:     92
    .vgpr_spill_count: 0
    .wavefront_size: 64
  - .agpr_count:     0
    .args:
      - .actual_access:  write_only
        .address_space:  global
        .offset:         0
        .size:           8
        .value_kind:     global_buffer
      - .actual_access:  read_only
        .address_space:  global
        .offset:         8
        .size:           8
        .value_kind:     global_buffer
      - .actual_access:  read_only
        .address_space:  global
        .offset:         16
        .size:           8
        .value_kind:     global_buffer
      - .actual_access:  read_only
        .address_space:  global
        .offset:         24
        .size:           8
        .value_kind:     global_buffer
      - .actual_access:  read_only
        .address_space:  global
        .offset:         32
        .size:           8
        .value_kind:     global_buffer
      - .actual_access:  read_only
        .address_space:  global
        .offset:         40
        .size:           8
        .value_kind:     global_buffer
      - .offset:         48
        .size:           4
        .value_kind:     by_value
      - .actual_access:  read_only
        .address_space:  global
        .offset:         56
        .size:           8
        .value_kind:     global_buffer
      - .offset:         64
        .size:           4
        .value_kind:     hidden_block_count_x
      - .offset:         68
        .size:           4
        .value_kind:     hidden_block_count_y
      - .offset:         72
        .size:           4
        .value_kind:     hidden_block_count_z
      - .offset:         76
        .size:           2
        .value_kind:     hidden_group_size_x
      - .offset:         78
        .size:           2
        .value_kind:     hidden_group_size_y
      - .offset:         80
        .size:           2
        .value_kind:     hidden_group_size_z
      - .offset:         82
        .size:           2
        .value_kind:     hidden_remainder_x
      - .offset:         84
        .size:           2
        .value_kind:     hidden_remainder_y
      - .offset:         86
        .size:           2
        .value_kind:     hidden_remainder_z
      - .offset:         104
        .size:           8
        .value_kind:     hidden_global_offset_x
      - .offset:         112
        .size:           8
        .value_kind:     hidden_global_offset_y
      - .offset:         120
        .size:           8
        .value_kind:     hidden_global_offset_z
      - .offset:         128
        .size:           2
        .value_kind:     hidden_grid_dims
    .group_segment_fixed_size: 1796
    .kernarg_segment_align: 8
    .kernarg_segment_size: 320
    .language:       OpenCL C
    .language_version:
      - 2
      - 0
    .max_flat_workgroup_size: 64
    .name:           _Z35paged_attention_ll4mi_reduce_kernelIDF16_DF16_Li64ELi64ELi256ELi7EEvPT0_PKfS3_PKT_PKiS8_iS3_
    .private_segment_fixed_size: 0
    .sgpr_count:     50
    .sgpr_spill_count: 0
    .symbol:         _Z35paged_attention_ll4mi_reduce_kernelIDF16_DF16_Li64ELi64ELi256ELi7EEvPT0_PKfS3_PKT_PKiS8_iS3_.kd
    .uniform_work_group_size: 1
    .uses_dynamic_stack: false
    .vgpr_count:     92
    .vgpr_spill_count: 0
    .wavefront_size: 64
  - .agpr_count:     0
    .args:
      - .actual_access:  write_only
        .address_space:  global
        .offset:         0
        .size:           8
        .value_kind:     global_buffer
      - .actual_access:  read_only
        .address_space:  global
        .offset:         8
        .size:           8
        .value_kind:     global_buffer
      - .actual_access:  read_only
        .address_space:  global
        .offset:         16
        .size:           8
        .value_kind:     global_buffer
      - .actual_access:  read_only
        .address_space:  global
        .offset:         24
        .size:           8
        .value_kind:     global_buffer
      - .actual_access:  read_only
        .address_space:  global
        .offset:         32
        .size:           8
        .value_kind:     global_buffer
      - .actual_access:  read_only
        .address_space:  global
        .offset:         40
        .size:           8
        .value_kind:     global_buffer
      - .offset:         48
        .size:           4
        .value_kind:     by_value
      - .actual_access:  read_only
        .address_space:  global
        .offset:         56
        .size:           8
        .value_kind:     global_buffer
      - .offset:         64
        .size:           4
        .value_kind:     hidden_block_count_x
      - .offset:         68
        .size:           4
        .value_kind:     hidden_block_count_y
      - .offset:         72
        .size:           4
        .value_kind:     hidden_block_count_z
      - .offset:         76
        .size:           2
        .value_kind:     hidden_group_size_x
      - .offset:         78
        .size:           2
        .value_kind:     hidden_group_size_y
      - .offset:         80
        .size:           2
        .value_kind:     hidden_group_size_z
      - .offset:         82
        .size:           2
        .value_kind:     hidden_remainder_x
      - .offset:         84
        .size:           2
        .value_kind:     hidden_remainder_y
      - .offset:         86
        .size:           2
        .value_kind:     hidden_remainder_z
      - .offset:         104
        .size:           8
        .value_kind:     hidden_global_offset_x
      - .offset:         112
        .size:           8
        .value_kind:     hidden_global_offset_y
      - .offset:         120
        .size:           8
        .value_kind:     hidden_global_offset_z
      - .offset:         128
        .size:           2
        .value_kind:     hidden_grid_dims
    .group_segment_fixed_size: 2052
    .kernarg_segment_align: 8
    .kernarg_segment_size: 320
    .language:       OpenCL C
    .language_version:
      - 2
      - 0
    .max_flat_workgroup_size: 64
    .name:           _Z35paged_attention_ll4mi_reduce_kernelIDF16_DF16_Li64ELi64ELi256ELi8EEvPT0_PKfS3_PKT_PKiS8_iS3_
    .private_segment_fixed_size: 0
    .sgpr_count:     51
    .sgpr_spill_count: 0
    .symbol:         _Z35paged_attention_ll4mi_reduce_kernelIDF16_DF16_Li64ELi64ELi256ELi8EEvPT0_PKfS3_PKT_PKiS8_iS3_.kd
    .uniform_work_group_size: 1
    .uses_dynamic_stack: false
    .vgpr_count:     92
    .vgpr_spill_count: 0
    .wavefront_size: 64
  - .agpr_count:     0
    .args:
      - .actual_access:  read_only
        .address_space:  global
        .offset:         0
        .size:           8
        .value_kind:     global_buffer
      - .actual_access:  read_only
        .address_space:  global
        .offset:         8
        .size:           8
        .value_kind:     global_buffer
      - .actual_access:  read_only
        .address_space:  global
        .offset:         16
        .size:           8
        .value_kind:     global_buffer
      - .offset:         24
        .size:           4
        .value_kind:     by_value
      - .offset:         28
        .size:           4
        .value_kind:     by_value
      - .actual_access:  read_only
        .address_space:  global
        .offset:         32
        .size:           8
        .value_kind:     global_buffer
      - .actual_access:  read_only
        .address_space:  global
        .offset:         40
        .size:           8
        .value_kind:     global_buffer
      - .actual_access:  read_only
        .address_space:  global
        .offset:         48
        .size:           8
        .value_kind:     global_buffer
      - .offset:         56
        .size:           4
        .value_kind:     by_value
      - .actual_access:  read_only
        .address_space:  global
        .offset:         64
        .size:           8
        .value_kind:     global_buffer
      - .offset:         72
        .size:           4
        .value_kind:     by_value
      - .offset:         76
        .size:           4
        .value_kind:     by_value
      - .offset:         80
        .size:           4
        .value_kind:     by_value
      - .actual_access:  write_only
        .address_space:  global
        .offset:         88
        .size:           8
        .value_kind:     global_buffer
      - .actual_access:  write_only
        .address_space:  global
        .offset:         96
        .size:           8
        .value_kind:     global_buffer
      - .actual_access:  write_only
        .address_space:  global
        .offset:         104
        .size:           8
        .value_kind:     global_buffer
      - .actual_access:  read_only
        .address_space:  global
        .offset:         112
        .size:           8
        .value_kind:     global_buffer
      - .offset:         120
        .size:           4
        .value_kind:     by_value
      - .address_space:  global
        .offset:         128
        .size:           8
        .value_kind:     global_buffer
      - .address_space:  global
        .offset:         136
        .size:           8
        .value_kind:     global_buffer
      - .offset:         144
        .size:           4
        .value_kind:     hidden_block_count_x
      - .offset:         148
        .size:           4
        .value_kind:     hidden_block_count_y
      - .offset:         152
        .size:           4
        .value_kind:     hidden_block_count_z
      - .offset:         156
        .size:           2
        .value_kind:     hidden_group_size_x
      - .offset:         158
        .size:           2
        .value_kind:     hidden_group_size_y
      - .offset:         160
        .size:           2
        .value_kind:     hidden_group_size_z
      - .offset:         162
        .size:           2
        .value_kind:     hidden_remainder_x
      - .offset:         164
        .size:           2
        .value_kind:     hidden_remainder_y
      - .offset:         166
        .size:           2
        .value_kind:     hidden_remainder_z
      - .offset:         184
        .size:           8
        .value_kind:     hidden_global_offset_x
      - .offset:         192
        .size:           8
        .value_kind:     hidden_global_offset_y
      - .offset:         200
        .size:           8
        .value_kind:     hidden_global_offset_z
      - .offset:         208
        .size:           2
        .value_kind:     hidden_grid_dims
    .group_segment_fixed_size: 8192
    .kernarg_segment_align: 8
    .kernarg_segment_size: 400
    .language:       OpenCL C
    .language_version:
      - 2
      - 0
    .max_flat_workgroup_size: 256
    .name:           _Z39paged_attention_ll4mi_QKV_mfma16_kernelIDF16_DF16_LN4vllm18Fp8KVCacheDataTypeE0EDF16_Li16ELi64ELi256ELb1ELi1EEvPKT_PKT0_S7_ifPKiS9_S9_iPKfiiiPfSC_PS2_PT2_iSB_SB_
    .private_segment_fixed_size: 0
    .sgpr_count:     54
    .sgpr_spill_count: 0
    .symbol:         _Z39paged_attention_ll4mi_QKV_mfma16_kernelIDF16_DF16_LN4vllm18Fp8KVCacheDataTypeE0EDF16_Li16ELi64ELi256ELb1ELi1EEvPKT_PKT0_S7_ifPKiS9_S9_iPKfiiiPfSC_PS2_PT2_iSB_SB_.kd
    .uniform_work_group_size: 1
    .uses_dynamic_stack: false
    .vgpr_count:     72
    .vgpr_spill_count: 0
    .wavefront_size: 64
  - .agpr_count:     0
    .args:
      - .actual_access:  read_only
        .address_space:  global
        .offset:         0
        .size:           8
        .value_kind:     global_buffer
      - .actual_access:  read_only
        .address_space:  global
        .offset:         8
        .size:           8
        .value_kind:     global_buffer
      - .actual_access:  read_only
        .address_space:  global
        .offset:         16
        .size:           8
        .value_kind:     global_buffer
      - .offset:         24
        .size:           4
        .value_kind:     by_value
      - .offset:         28
        .size:           4
        .value_kind:     by_value
      - .actual_access:  read_only
        .address_space:  global
        .offset:         32
        .size:           8
        .value_kind:     global_buffer
      - .actual_access:  read_only
        .address_space:  global
        .offset:         40
        .size:           8
        .value_kind:     global_buffer
      - .actual_access:  read_only
        .address_space:  global
        .offset:         48
        .size:           8
        .value_kind:     global_buffer
      - .offset:         56
        .size:           4
        .value_kind:     by_value
      - .actual_access:  read_only
        .address_space:  global
        .offset:         64
        .size:           8
        .value_kind:     global_buffer
      - .offset:         72
        .size:           4
        .value_kind:     by_value
      - .offset:         76
        .size:           4
        .value_kind:     by_value
      - .offset:         80
        .size:           4
        .value_kind:     by_value
      - .actual_access:  write_only
        .address_space:  global
        .offset:         88
        .size:           8
        .value_kind:     global_buffer
      - .actual_access:  write_only
        .address_space:  global
        .offset:         96
        .size:           8
        .value_kind:     global_buffer
      - .actual_access:  write_only
        .address_space:  global
        .offset:         104
        .size:           8
        .value_kind:     global_buffer
      - .actual_access:  read_only
        .address_space:  global
        .offset:         112
        .size:           8
        .value_kind:     global_buffer
      - .offset:         120
        .size:           4
        .value_kind:     by_value
      - .address_space:  global
        .offset:         128
        .size:           8
        .value_kind:     global_buffer
      - .address_space:  global
        .offset:         136
        .size:           8
        .value_kind:     global_buffer
      - .offset:         144
        .size:           4
        .value_kind:     hidden_block_count_x
      - .offset:         148
        .size:           4
        .value_kind:     hidden_block_count_y
      - .offset:         152
        .size:           4
        .value_kind:     hidden_block_count_z
      - .offset:         156
        .size:           2
        .value_kind:     hidden_group_size_x
      - .offset:         158
        .size:           2
        .value_kind:     hidden_group_size_y
      - .offset:         160
        .size:           2
        .value_kind:     hidden_group_size_z
      - .offset:         162
        .size:           2
        .value_kind:     hidden_remainder_x
      - .offset:         164
        .size:           2
        .value_kind:     hidden_remainder_y
      - .offset:         166
        .size:           2
        .value_kind:     hidden_remainder_z
      - .offset:         184
        .size:           8
        .value_kind:     hidden_global_offset_x
      - .offset:         192
        .size:           8
        .value_kind:     hidden_global_offset_y
      - .offset:         200
        .size:           8
        .value_kind:     hidden_global_offset_z
      - .offset:         208
        .size:           2
        .value_kind:     hidden_grid_dims
    .group_segment_fixed_size: 8192
    .kernarg_segment_align: 8
    .kernarg_segment_size: 400
    .language:       OpenCL C
    .language_version:
      - 2
      - 0
    .max_flat_workgroup_size: 256
    .name:           _Z39paged_attention_ll4mi_QKV_mfma16_kernelIDF16_DF16_LN4vllm18Fp8KVCacheDataTypeE0EDF16_Li16ELi64ELi256ELb1ELi2EEvPKT_PKT0_S7_ifPKiS9_S9_iPKfiiiPfSC_PS2_PT2_iSB_SB_
    .private_segment_fixed_size: 0
    .sgpr_count:     54
    .sgpr_spill_count: 0
    .symbol:         _Z39paged_attention_ll4mi_QKV_mfma16_kernelIDF16_DF16_LN4vllm18Fp8KVCacheDataTypeE0EDF16_Li16ELi64ELi256ELb1ELi2EEvPKT_PKT0_S7_ifPKiS9_S9_iPKfiiiPfSC_PS2_PT2_iSB_SB_.kd
    .uniform_work_group_size: 1
    .uses_dynamic_stack: false
    .vgpr_count:     72
    .vgpr_spill_count: 0
    .wavefront_size: 64
  - .agpr_count:     0
    .args:
      - .actual_access:  read_only
        .address_space:  global
        .offset:         0
        .size:           8
        .value_kind:     global_buffer
      - .actual_access:  read_only
        .address_space:  global
        .offset:         8
        .size:           8
        .value_kind:     global_buffer
      - .actual_access:  read_only
        .address_space:  global
        .offset:         16
        .size:           8
        .value_kind:     global_buffer
      - .offset:         24
        .size:           4
        .value_kind:     by_value
      - .offset:         28
        .size:           4
        .value_kind:     by_value
      - .actual_access:  read_only
        .address_space:  global
        .offset:         32
        .size:           8
        .value_kind:     global_buffer
      - .actual_access:  read_only
        .address_space:  global
        .offset:         40
        .size:           8
        .value_kind:     global_buffer
      - .actual_access:  read_only
        .address_space:  global
        .offset:         48
        .size:           8
        .value_kind:     global_buffer
      - .offset:         56
        .size:           4
        .value_kind:     by_value
      - .actual_access:  read_only
        .address_space:  global
        .offset:         64
        .size:           8
        .value_kind:     global_buffer
      - .offset:         72
        .size:           4
        .value_kind:     by_value
      - .offset:         76
        .size:           4
        .value_kind:     by_value
      - .offset:         80
        .size:           4
        .value_kind:     by_value
      - .actual_access:  write_only
        .address_space:  global
        .offset:         88
        .size:           8
        .value_kind:     global_buffer
      - .actual_access:  write_only
        .address_space:  global
        .offset:         96
        .size:           8
        .value_kind:     global_buffer
      - .actual_access:  write_only
        .address_space:  global
        .offset:         104
        .size:           8
        .value_kind:     global_buffer
      - .actual_access:  read_only
        .address_space:  global
        .offset:         112
        .size:           8
        .value_kind:     global_buffer
      - .offset:         120
        .size:           4
        .value_kind:     by_value
      - .address_space:  global
        .offset:         128
        .size:           8
        .value_kind:     global_buffer
      - .address_space:  global
        .offset:         136
        .size:           8
        .value_kind:     global_buffer
      - .offset:         144
        .size:           4
        .value_kind:     hidden_block_count_x
      - .offset:         148
        .size:           4
        .value_kind:     hidden_block_count_y
      - .offset:         152
        .size:           4
        .value_kind:     hidden_block_count_z
      - .offset:         156
        .size:           2
        .value_kind:     hidden_group_size_x
      - .offset:         158
        .size:           2
        .value_kind:     hidden_group_size_y
      - .offset:         160
        .size:           2
        .value_kind:     hidden_group_size_z
      - .offset:         162
        .size:           2
        .value_kind:     hidden_remainder_x
      - .offset:         164
        .size:           2
        .value_kind:     hidden_remainder_y
      - .offset:         166
        .size:           2
        .value_kind:     hidden_remainder_z
      - .offset:         184
        .size:           8
        .value_kind:     hidden_global_offset_x
      - .offset:         192
        .size:           8
        .value_kind:     hidden_global_offset_y
      - .offset:         200
        .size:           8
        .value_kind:     hidden_global_offset_z
      - .offset:         208
        .size:           2
        .value_kind:     hidden_grid_dims
    .group_segment_fixed_size: 8192
    .kernarg_segment_align: 8
    .kernarg_segment_size: 400
    .language:       OpenCL C
    .language_version:
      - 2
      - 0
    .max_flat_workgroup_size: 256
    .name:           _Z39paged_attention_ll4mi_QKV_mfma16_kernelIDF16_DF16_LN4vllm18Fp8KVCacheDataTypeE0EDF16_Li16ELi64ELi256ELb1ELi3EEvPKT_PKT0_S7_ifPKiS9_S9_iPKfiiiPfSC_PS2_PT2_iSB_SB_
    .private_segment_fixed_size: 0
    .sgpr_count:     54
    .sgpr_spill_count: 0
    .symbol:         _Z39paged_attention_ll4mi_QKV_mfma16_kernelIDF16_DF16_LN4vllm18Fp8KVCacheDataTypeE0EDF16_Li16ELi64ELi256ELb1ELi3EEvPKT_PKT0_S7_ifPKiS9_S9_iPKfiiiPfSC_PS2_PT2_iSB_SB_.kd
    .uniform_work_group_size: 1
    .uses_dynamic_stack: false
    .vgpr_count:     73
    .vgpr_spill_count: 0
    .wavefront_size: 64
  - .agpr_count:     0
    .args:
      - .actual_access:  read_only
        .address_space:  global
        .offset:         0
        .size:           8
        .value_kind:     global_buffer
      - .actual_access:  read_only
        .address_space:  global
        .offset:         8
        .size:           8
        .value_kind:     global_buffer
      - .actual_access:  read_only
        .address_space:  global
        .offset:         16
        .size:           8
        .value_kind:     global_buffer
      - .offset:         24
        .size:           4
        .value_kind:     by_value
      - .offset:         28
        .size:           4
        .value_kind:     by_value
      - .actual_access:  read_only
        .address_space:  global
        .offset:         32
        .size:           8
        .value_kind:     global_buffer
      - .actual_access:  read_only
        .address_space:  global
        .offset:         40
        .size:           8
        .value_kind:     global_buffer
      - .actual_access:  read_only
        .address_space:  global
        .offset:         48
        .size:           8
        .value_kind:     global_buffer
      - .offset:         56
        .size:           4
        .value_kind:     by_value
      - .actual_access:  read_only
        .address_space:  global
        .offset:         64
        .size:           8
        .value_kind:     global_buffer
      - .offset:         72
        .size:           4
        .value_kind:     by_value
      - .offset:         76
        .size:           4
        .value_kind:     by_value
      - .offset:         80
        .size:           4
        .value_kind:     by_value
      - .actual_access:  write_only
        .address_space:  global
        .offset:         88
        .size:           8
        .value_kind:     global_buffer
      - .actual_access:  write_only
        .address_space:  global
        .offset:         96
        .size:           8
        .value_kind:     global_buffer
      - .actual_access:  write_only
        .address_space:  global
        .offset:         104
        .size:           8
        .value_kind:     global_buffer
      - .actual_access:  read_only
        .address_space:  global
        .offset:         112
        .size:           8
        .value_kind:     global_buffer
      - .offset:         120
        .size:           4
        .value_kind:     by_value
      - .address_space:  global
        .offset:         128
        .size:           8
        .value_kind:     global_buffer
      - .address_space:  global
        .offset:         136
        .size:           8
        .value_kind:     global_buffer
      - .offset:         144
        .size:           4
        .value_kind:     hidden_block_count_x
      - .offset:         148
        .size:           4
        .value_kind:     hidden_block_count_y
      - .offset:         152
        .size:           4
        .value_kind:     hidden_block_count_z
      - .offset:         156
        .size:           2
        .value_kind:     hidden_group_size_x
      - .offset:         158
        .size:           2
        .value_kind:     hidden_group_size_y
      - .offset:         160
        .size:           2
        .value_kind:     hidden_group_size_z
      - .offset:         162
        .size:           2
        .value_kind:     hidden_remainder_x
      - .offset:         164
        .size:           2
        .value_kind:     hidden_remainder_y
      - .offset:         166
        .size:           2
        .value_kind:     hidden_remainder_z
      - .offset:         184
        .size:           8
        .value_kind:     hidden_global_offset_x
      - .offset:         192
        .size:           8
        .value_kind:     hidden_global_offset_y
      - .offset:         200
        .size:           8
        .value_kind:     hidden_global_offset_z
      - .offset:         208
        .size:           2
        .value_kind:     hidden_grid_dims
    .group_segment_fixed_size: 8192
    .kernarg_segment_align: 8
    .kernarg_segment_size: 400
    .language:       OpenCL C
    .language_version:
      - 2
      - 0
    .max_flat_workgroup_size: 256
    .name:           _Z39paged_attention_ll4mi_QKV_mfma16_kernelIDF16_DF16_LN4vllm18Fp8KVCacheDataTypeE0EDF16_Li16ELi64ELi256ELb1ELi4EEvPKT_PKT0_S7_ifPKiS9_S9_iPKfiiiPfSC_PS2_PT2_iSB_SB_
    .private_segment_fixed_size: 0
    .sgpr_count:     52
    .sgpr_spill_count: 0
    .symbol:         _Z39paged_attention_ll4mi_QKV_mfma16_kernelIDF16_DF16_LN4vllm18Fp8KVCacheDataTypeE0EDF16_Li16ELi64ELi256ELb1ELi4EEvPKT_PKT0_S7_ifPKiS9_S9_iPKfiiiPfSC_PS2_PT2_iSB_SB_.kd
    .uniform_work_group_size: 1
    .uses_dynamic_stack: false
    .vgpr_count:     74
    .vgpr_spill_count: 0
    .wavefront_size: 64
  - .agpr_count:     0
    .args:
      - .actual_access:  write_only
        .address_space:  global
        .offset:         0
        .size:           8
        .value_kind:     global_buffer
      - .actual_access:  read_only
        .address_space:  global
        .offset:         8
        .size:           8
        .value_kind:     global_buffer
      - .actual_access:  read_only
        .address_space:  global
        .offset:         16
        .size:           8
        .value_kind:     global_buffer
      - .actual_access:  read_only
        .address_space:  global
        .offset:         24
        .size:           8
        .value_kind:     global_buffer
      - .actual_access:  read_only
        .address_space:  global
        .offset:         32
        .size:           8
        .value_kind:     global_buffer
      - .actual_access:  read_only
        .address_space:  global
        .offset:         40
        .size:           8
        .value_kind:     global_buffer
      - .offset:         48
        .size:           4
        .value_kind:     by_value
      - .actual_access:  read_only
        .address_space:  global
        .offset:         56
        .size:           8
        .value_kind:     global_buffer
      - .offset:         64
        .size:           4
        .value_kind:     hidden_block_count_x
      - .offset:         68
        .size:           4
        .value_kind:     hidden_block_count_y
      - .offset:         72
        .size:           4
        .value_kind:     hidden_block_count_z
      - .offset:         76
        .size:           2
        .value_kind:     hidden_group_size_x
      - .offset:         78
        .size:           2
        .value_kind:     hidden_group_size_y
      - .offset:         80
        .size:           2
        .value_kind:     hidden_group_size_z
      - .offset:         82
        .size:           2
        .value_kind:     hidden_remainder_x
      - .offset:         84
        .size:           2
        .value_kind:     hidden_remainder_y
      - .offset:         86
        .size:           2
        .value_kind:     hidden_remainder_z
      - .offset:         104
        .size:           8
        .value_kind:     hidden_global_offset_x
      - .offset:         112
        .size:           8
        .value_kind:     hidden_global_offset_y
      - .offset:         120
        .size:           8
        .value_kind:     hidden_global_offset_z
      - .offset:         128
        .size:           2
        .value_kind:     hidden_grid_dims
    .group_segment_fixed_size: 2308
    .kernarg_segment_align: 8
    .kernarg_segment_size: 320
    .language:       OpenCL C
    .language_version:
      - 2
      - 0
    .max_flat_workgroup_size: 64
    .name:           _Z35paged_attention_ll4mi_reduce_kernelIDF16_DF16_Li64ELi64ELi256ELi9EEvPT0_PKfS3_PKT_PKiS8_iS3_
    .private_segment_fixed_size: 0
    .sgpr_count:     53
    .sgpr_spill_count: 0
    .symbol:         _Z35paged_attention_ll4mi_reduce_kernelIDF16_DF16_Li64ELi64ELi256ELi9EEvPT0_PKfS3_PKT_PKiS8_iS3_.kd
    .uniform_work_group_size: 1
    .uses_dynamic_stack: false
    .vgpr_count:     92
    .vgpr_spill_count: 0
    .wavefront_size: 64
  - .agpr_count:     0
    .args:
      - .actual_access:  write_only
        .address_space:  global
        .offset:         0
        .size:           8
        .value_kind:     global_buffer
      - .actual_access:  read_only
        .address_space:  global
        .offset:         8
        .size:           8
        .value_kind:     global_buffer
      - .actual_access:  read_only
        .address_space:  global
        .offset:         16
        .size:           8
        .value_kind:     global_buffer
      - .actual_access:  read_only
        .address_space:  global
        .offset:         24
        .size:           8
        .value_kind:     global_buffer
      - .actual_access:  read_only
        .address_space:  global
        .offset:         32
        .size:           8
        .value_kind:     global_buffer
      - .actual_access:  read_only
        .address_space:  global
        .offset:         40
        .size:           8
        .value_kind:     global_buffer
      - .offset:         48
        .size:           4
        .value_kind:     by_value
      - .actual_access:  read_only
        .address_space:  global
        .offset:         56
        .size:           8
        .value_kind:     global_buffer
      - .offset:         64
        .size:           4
        .value_kind:     hidden_block_count_x
      - .offset:         68
        .size:           4
        .value_kind:     hidden_block_count_y
      - .offset:         72
        .size:           4
        .value_kind:     hidden_block_count_z
      - .offset:         76
        .size:           2
        .value_kind:     hidden_group_size_x
      - .offset:         78
        .size:           2
        .value_kind:     hidden_group_size_y
      - .offset:         80
        .size:           2
        .value_kind:     hidden_group_size_z
      - .offset:         82
        .size:           2
        .value_kind:     hidden_remainder_x
      - .offset:         84
        .size:           2
        .value_kind:     hidden_remainder_y
      - .offset:         86
        .size:           2
        .value_kind:     hidden_remainder_z
      - .offset:         104
        .size:           8
        .value_kind:     hidden_global_offset_x
      - .offset:         112
        .size:           8
        .value_kind:     hidden_global_offset_y
      - .offset:         120
        .size:           8
        .value_kind:     hidden_global_offset_z
      - .offset:         128
        .size:           2
        .value_kind:     hidden_grid_dims
    .group_segment_fixed_size: 2564
    .kernarg_segment_align: 8
    .kernarg_segment_size: 320
    .language:       OpenCL C
    .language_version:
      - 2
      - 0
    .max_flat_workgroup_size: 64
    .name:           _Z35paged_attention_ll4mi_reduce_kernelIDF16_DF16_Li64ELi64ELi256ELi10EEvPT0_PKfS3_PKT_PKiS8_iS3_
    .private_segment_fixed_size: 0
    .sgpr_count:     55
    .sgpr_spill_count: 0
    .symbol:         _Z35paged_attention_ll4mi_reduce_kernelIDF16_DF16_Li64ELi64ELi256ELi10EEvPT0_PKfS3_PKT_PKiS8_iS3_.kd
    .uniform_work_group_size: 1
    .uses_dynamic_stack: false
    .vgpr_count:     92
    .vgpr_spill_count: 0
    .wavefront_size: 64
  - .agpr_count:     0
    .args:
      - .actual_access:  write_only
        .address_space:  global
        .offset:         0
        .size:           8
        .value_kind:     global_buffer
      - .actual_access:  read_only
        .address_space:  global
        .offset:         8
        .size:           8
        .value_kind:     global_buffer
      - .actual_access:  read_only
        .address_space:  global
        .offset:         16
        .size:           8
        .value_kind:     global_buffer
      - .actual_access:  read_only
        .address_space:  global
        .offset:         24
        .size:           8
        .value_kind:     global_buffer
      - .actual_access:  read_only
        .address_space:  global
        .offset:         32
        .size:           8
        .value_kind:     global_buffer
      - .actual_access:  read_only
        .address_space:  global
        .offset:         40
        .size:           8
        .value_kind:     global_buffer
      - .offset:         48
        .size:           4
        .value_kind:     by_value
      - .actual_access:  read_only
        .address_space:  global
        .offset:         56
        .size:           8
        .value_kind:     global_buffer
      - .offset:         64
        .size:           4
        .value_kind:     hidden_block_count_x
      - .offset:         68
        .size:           4
        .value_kind:     hidden_block_count_y
      - .offset:         72
        .size:           4
        .value_kind:     hidden_block_count_z
      - .offset:         76
        .size:           2
        .value_kind:     hidden_group_size_x
      - .offset:         78
        .size:           2
        .value_kind:     hidden_group_size_y
      - .offset:         80
        .size:           2
        .value_kind:     hidden_group_size_z
      - .offset:         82
        .size:           2
        .value_kind:     hidden_remainder_x
      - .offset:         84
        .size:           2
        .value_kind:     hidden_remainder_y
      - .offset:         86
        .size:           2
        .value_kind:     hidden_remainder_z
      - .offset:         104
        .size:           8
        .value_kind:     hidden_global_offset_x
      - .offset:         112
        .size:           8
        .value_kind:     hidden_global_offset_y
      - .offset:         120
        .size:           8
        .value_kind:     hidden_global_offset_z
      - .offset:         128
        .size:           2
        .value_kind:     hidden_grid_dims
    .group_segment_fixed_size: 2820
    .kernarg_segment_align: 8
    .kernarg_segment_size: 320
    .language:       OpenCL C
    .language_version:
      - 2
      - 0
    .max_flat_workgroup_size: 64
    .name:           _Z35paged_attention_ll4mi_reduce_kernelIDF16_DF16_Li64ELi64ELi256ELi11EEvPT0_PKfS3_PKT_PKiS8_iS3_
    .private_segment_fixed_size: 0
    .sgpr_count:     57
    .sgpr_spill_count: 0
    .symbol:         _Z35paged_attention_ll4mi_reduce_kernelIDF16_DF16_Li64ELi64ELi256ELi11EEvPT0_PKfS3_PKT_PKiS8_iS3_.kd
    .uniform_work_group_size: 1
    .uses_dynamic_stack: false
    .vgpr_count:     92
    .vgpr_spill_count: 0
    .wavefront_size: 64
  - .agpr_count:     0
    .args:
      - .actual_access:  write_only
        .address_space:  global
        .offset:         0
        .size:           8
        .value_kind:     global_buffer
      - .actual_access:  read_only
        .address_space:  global
        .offset:         8
        .size:           8
        .value_kind:     global_buffer
      - .actual_access:  read_only
        .address_space:  global
        .offset:         16
        .size:           8
        .value_kind:     global_buffer
      - .actual_access:  read_only
        .address_space:  global
        .offset:         24
        .size:           8
        .value_kind:     global_buffer
      - .actual_access:  read_only
        .address_space:  global
        .offset:         32
        .size:           8
        .value_kind:     global_buffer
      - .actual_access:  read_only
        .address_space:  global
        .offset:         40
        .size:           8
        .value_kind:     global_buffer
      - .offset:         48
        .size:           4
        .value_kind:     by_value
      - .actual_access:  read_only
        .address_space:  global
        .offset:         56
        .size:           8
        .value_kind:     global_buffer
      - .offset:         64
        .size:           4
        .value_kind:     hidden_block_count_x
      - .offset:         68
        .size:           4
        .value_kind:     hidden_block_count_y
      - .offset:         72
        .size:           4
        .value_kind:     hidden_block_count_z
      - .offset:         76
        .size:           2
        .value_kind:     hidden_group_size_x
      - .offset:         78
        .size:           2
        .value_kind:     hidden_group_size_y
      - .offset:         80
        .size:           2
        .value_kind:     hidden_group_size_z
      - .offset:         82
        .size:           2
        .value_kind:     hidden_remainder_x
      - .offset:         84
        .size:           2
        .value_kind:     hidden_remainder_y
      - .offset:         86
        .size:           2
        .value_kind:     hidden_remainder_z
      - .offset:         104
        .size:           8
        .value_kind:     hidden_global_offset_x
      - .offset:         112
        .size:           8
        .value_kind:     hidden_global_offset_y
      - .offset:         120
        .size:           8
        .value_kind:     hidden_global_offset_z
      - .offset:         128
        .size:           2
        .value_kind:     hidden_grid_dims
    .group_segment_fixed_size: 3076
    .kernarg_segment_align: 8
    .kernarg_segment_size: 320
    .language:       OpenCL C
    .language_version:
      - 2
      - 0
    .max_flat_workgroup_size: 64
    .name:           _Z35paged_attention_ll4mi_reduce_kernelIDF16_DF16_Li64ELi64ELi256ELi12EEvPT0_PKfS3_PKT_PKiS8_iS3_
    .private_segment_fixed_size: 0
    .sgpr_count:     59
    .sgpr_spill_count: 0
    .symbol:         _Z35paged_attention_ll4mi_reduce_kernelIDF16_DF16_Li64ELi64ELi256ELi12EEvPT0_PKfS3_PKT_PKiS8_iS3_.kd
    .uniform_work_group_size: 1
    .uses_dynamic_stack: false
    .vgpr_count:     92
    .vgpr_spill_count: 0
    .wavefront_size: 64
  - .agpr_count:     0
    .args:
      - .actual_access:  write_only
        .address_space:  global
        .offset:         0
        .size:           8
        .value_kind:     global_buffer
      - .actual_access:  read_only
        .address_space:  global
        .offset:         8
        .size:           8
        .value_kind:     global_buffer
      - .actual_access:  read_only
        .address_space:  global
        .offset:         16
        .size:           8
        .value_kind:     global_buffer
      - .actual_access:  read_only
        .address_space:  global
        .offset:         24
        .size:           8
        .value_kind:     global_buffer
      - .actual_access:  read_only
        .address_space:  global
        .offset:         32
        .size:           8
        .value_kind:     global_buffer
      - .actual_access:  read_only
        .address_space:  global
        .offset:         40
        .size:           8
        .value_kind:     global_buffer
      - .offset:         48
        .size:           4
        .value_kind:     by_value
      - .actual_access:  read_only
        .address_space:  global
        .offset:         56
        .size:           8
        .value_kind:     global_buffer
      - .offset:         64
        .size:           4
        .value_kind:     hidden_block_count_x
      - .offset:         68
        .size:           4
        .value_kind:     hidden_block_count_y
      - .offset:         72
        .size:           4
        .value_kind:     hidden_block_count_z
      - .offset:         76
        .size:           2
        .value_kind:     hidden_group_size_x
      - .offset:         78
        .size:           2
        .value_kind:     hidden_group_size_y
      - .offset:         80
        .size:           2
        .value_kind:     hidden_group_size_z
      - .offset:         82
        .size:           2
        .value_kind:     hidden_remainder_x
      - .offset:         84
        .size:           2
        .value_kind:     hidden_remainder_y
      - .offset:         86
        .size:           2
        .value_kind:     hidden_remainder_z
      - .offset:         104
        .size:           8
        .value_kind:     hidden_global_offset_x
      - .offset:         112
        .size:           8
        .value_kind:     hidden_global_offset_y
      - .offset:         120
        .size:           8
        .value_kind:     hidden_global_offset_z
      - .offset:         128
        .size:           2
        .value_kind:     hidden_grid_dims
    .group_segment_fixed_size: 3332
    .kernarg_segment_align: 8
    .kernarg_segment_size: 320
    .language:       OpenCL C
    .language_version:
      - 2
      - 0
    .max_flat_workgroup_size: 64
    .name:           _Z35paged_attention_ll4mi_reduce_kernelIDF16_DF16_Li64ELi64ELi256ELi13EEvPT0_PKfS3_PKT_PKiS8_iS3_
    .private_segment_fixed_size: 0
    .sgpr_count:     61
    .sgpr_spill_count: 0
    .symbol:         _Z35paged_attention_ll4mi_reduce_kernelIDF16_DF16_Li64ELi64ELi256ELi13EEvPT0_PKfS3_PKT_PKiS8_iS3_.kd
    .uniform_work_group_size: 1
    .uses_dynamic_stack: false
    .vgpr_count:     92
    .vgpr_spill_count: 0
    .wavefront_size: 64
  - .agpr_count:     0
    .args:
      - .actual_access:  write_only
        .address_space:  global
        .offset:         0
        .size:           8
        .value_kind:     global_buffer
      - .actual_access:  read_only
        .address_space:  global
        .offset:         8
        .size:           8
        .value_kind:     global_buffer
      - .actual_access:  read_only
        .address_space:  global
        .offset:         16
        .size:           8
        .value_kind:     global_buffer
      - .actual_access:  read_only
        .address_space:  global
        .offset:         24
        .size:           8
        .value_kind:     global_buffer
      - .actual_access:  read_only
        .address_space:  global
        .offset:         32
        .size:           8
        .value_kind:     global_buffer
      - .actual_access:  read_only
        .address_space:  global
        .offset:         40
        .size:           8
        .value_kind:     global_buffer
      - .offset:         48
        .size:           4
        .value_kind:     by_value
      - .actual_access:  read_only
        .address_space:  global
        .offset:         56
        .size:           8
        .value_kind:     global_buffer
      - .offset:         64
        .size:           4
        .value_kind:     hidden_block_count_x
      - .offset:         68
        .size:           4
        .value_kind:     hidden_block_count_y
      - .offset:         72
        .size:           4
        .value_kind:     hidden_block_count_z
      - .offset:         76
        .size:           2
        .value_kind:     hidden_group_size_x
      - .offset:         78
        .size:           2
        .value_kind:     hidden_group_size_y
      - .offset:         80
        .size:           2
        .value_kind:     hidden_group_size_z
      - .offset:         82
        .size:           2
        .value_kind:     hidden_remainder_x
      - .offset:         84
        .size:           2
        .value_kind:     hidden_remainder_y
      - .offset:         86
        .size:           2
        .value_kind:     hidden_remainder_z
      - .offset:         104
        .size:           8
        .value_kind:     hidden_global_offset_x
      - .offset:         112
        .size:           8
        .value_kind:     hidden_global_offset_y
      - .offset:         120
        .size:           8
        .value_kind:     hidden_global_offset_z
      - .offset:         128
        .size:           2
        .value_kind:     hidden_grid_dims
    .group_segment_fixed_size: 3588
    .kernarg_segment_align: 8
    .kernarg_segment_size: 320
    .language:       OpenCL C
    .language_version:
      - 2
      - 0
    .max_flat_workgroup_size: 64
    .name:           _Z35paged_attention_ll4mi_reduce_kernelIDF16_DF16_Li64ELi64ELi256ELi14EEvPT0_PKfS3_PKT_PKiS8_iS3_
    .private_segment_fixed_size: 0
    .sgpr_count:     63
    .sgpr_spill_count: 0
    .symbol:         _Z35paged_attention_ll4mi_reduce_kernelIDF16_DF16_Li64ELi64ELi256ELi14EEvPT0_PKfS3_PKT_PKiS8_iS3_.kd
    .uniform_work_group_size: 1
    .uses_dynamic_stack: false
    .vgpr_count:     92
    .vgpr_spill_count: 0
    .wavefront_size: 64
  - .agpr_count:     0
    .args:
      - .actual_access:  write_only
        .address_space:  global
        .offset:         0
        .size:           8
        .value_kind:     global_buffer
      - .actual_access:  read_only
        .address_space:  global
        .offset:         8
        .size:           8
        .value_kind:     global_buffer
      - .actual_access:  read_only
        .address_space:  global
        .offset:         16
        .size:           8
        .value_kind:     global_buffer
      - .actual_access:  read_only
        .address_space:  global
        .offset:         24
        .size:           8
        .value_kind:     global_buffer
      - .actual_access:  read_only
        .address_space:  global
        .offset:         32
        .size:           8
        .value_kind:     global_buffer
      - .actual_access:  read_only
        .address_space:  global
        .offset:         40
        .size:           8
        .value_kind:     global_buffer
      - .offset:         48
        .size:           4
        .value_kind:     by_value
      - .actual_access:  read_only
        .address_space:  global
        .offset:         56
        .size:           8
        .value_kind:     global_buffer
      - .offset:         64
        .size:           4
        .value_kind:     hidden_block_count_x
      - .offset:         68
        .size:           4
        .value_kind:     hidden_block_count_y
      - .offset:         72
        .size:           4
        .value_kind:     hidden_block_count_z
      - .offset:         76
        .size:           2
        .value_kind:     hidden_group_size_x
      - .offset:         78
        .size:           2
        .value_kind:     hidden_group_size_y
      - .offset:         80
        .size:           2
        .value_kind:     hidden_group_size_z
      - .offset:         82
        .size:           2
        .value_kind:     hidden_remainder_x
      - .offset:         84
        .size:           2
        .value_kind:     hidden_remainder_y
      - .offset:         86
        .size:           2
        .value_kind:     hidden_remainder_z
      - .offset:         104
        .size:           8
        .value_kind:     hidden_global_offset_x
      - .offset:         112
        .size:           8
        .value_kind:     hidden_global_offset_y
      - .offset:         120
        .size:           8
        .value_kind:     hidden_global_offset_z
      - .offset:         128
        .size:           2
        .value_kind:     hidden_grid_dims
    .group_segment_fixed_size: 3844
    .kernarg_segment_align: 8
    .kernarg_segment_size: 320
    .language:       OpenCL C
    .language_version:
      - 2
      - 0
    .max_flat_workgroup_size: 64
    .name:           _Z35paged_attention_ll4mi_reduce_kernelIDF16_DF16_Li64ELi64ELi256ELi15EEvPT0_PKfS3_PKT_PKiS8_iS3_
    .private_segment_fixed_size: 0
    .sgpr_count:     65
    .sgpr_spill_count: 0
    .symbol:         _Z35paged_attention_ll4mi_reduce_kernelIDF16_DF16_Li64ELi64ELi256ELi15EEvPT0_PKfS3_PKT_PKiS8_iS3_.kd
    .uniform_work_group_size: 1
    .uses_dynamic_stack: false
    .vgpr_count:     92
    .vgpr_spill_count: 0
    .wavefront_size: 64
  - .agpr_count:     0
    .args:
      - .actual_access:  write_only
        .address_space:  global
        .offset:         0
        .size:           8
        .value_kind:     global_buffer
      - .actual_access:  read_only
        .address_space:  global
        .offset:         8
        .size:           8
        .value_kind:     global_buffer
      - .actual_access:  read_only
        .address_space:  global
        .offset:         16
        .size:           8
        .value_kind:     global_buffer
      - .actual_access:  read_only
        .address_space:  global
        .offset:         24
        .size:           8
        .value_kind:     global_buffer
      - .actual_access:  read_only
        .address_space:  global
        .offset:         32
        .size:           8
        .value_kind:     global_buffer
      - .actual_access:  read_only
        .address_space:  global
        .offset:         40
        .size:           8
        .value_kind:     global_buffer
      - .offset:         48
        .size:           4
        .value_kind:     by_value
      - .actual_access:  read_only
        .address_space:  global
        .offset:         56
        .size:           8
        .value_kind:     global_buffer
      - .offset:         64
        .size:           4
        .value_kind:     hidden_block_count_x
      - .offset:         68
        .size:           4
        .value_kind:     hidden_block_count_y
      - .offset:         72
        .size:           4
        .value_kind:     hidden_block_count_z
      - .offset:         76
        .size:           2
        .value_kind:     hidden_group_size_x
      - .offset:         78
        .size:           2
        .value_kind:     hidden_group_size_y
      - .offset:         80
        .size:           2
        .value_kind:     hidden_group_size_z
      - .offset:         82
        .size:           2
        .value_kind:     hidden_remainder_x
      - .offset:         84
        .size:           2
        .value_kind:     hidden_remainder_y
      - .offset:         86
        .size:           2
        .value_kind:     hidden_remainder_z
      - .offset:         104
        .size:           8
        .value_kind:     hidden_global_offset_x
      - .offset:         112
        .size:           8
        .value_kind:     hidden_global_offset_y
      - .offset:         120
        .size:           8
        .value_kind:     hidden_global_offset_z
      - .offset:         128
        .size:           2
        .value_kind:     hidden_grid_dims
    .group_segment_fixed_size: 4100
    .kernarg_segment_align: 8
    .kernarg_segment_size: 320
    .language:       OpenCL C
    .language_version:
      - 2
      - 0
    .max_flat_workgroup_size: 64
    .name:           _Z35paged_attention_ll4mi_reduce_kernelIDF16_DF16_Li64ELi64ELi256ELi16EEvPT0_PKfS3_PKT_PKiS8_iS3_
    .private_segment_fixed_size: 0
    .sgpr_count:     67
    .sgpr_spill_count: 0
    .symbol:         _Z35paged_attention_ll4mi_reduce_kernelIDF16_DF16_Li64ELi64ELi256ELi16EEvPT0_PKfS3_PKT_PKiS8_iS3_.kd
    .uniform_work_group_size: 1
    .uses_dynamic_stack: false
    .vgpr_count:     92
    .vgpr_spill_count: 0
    .wavefront_size: 64
  - .agpr_count:     4
    .args:
      - .actual_access:  read_only
        .address_space:  global
        .offset:         0
        .size:           8
        .value_kind:     global_buffer
      - .actual_access:  read_only
        .address_space:  global
        .offset:         8
        .size:           8
        .value_kind:     global_buffer
      - .actual_access:  read_only
        .address_space:  global
        .offset:         16
        .size:           8
        .value_kind:     global_buffer
      - .offset:         24
        .size:           4
        .value_kind:     by_value
      - .offset:         28
        .size:           4
        .value_kind:     by_value
      - .actual_access:  read_only
        .address_space:  global
        .offset:         32
        .size:           8
        .value_kind:     global_buffer
      - .actual_access:  read_only
        .address_space:  global
        .offset:         40
        .size:           8
        .value_kind:     global_buffer
      - .actual_access:  read_only
        .address_space:  global
        .offset:         48
        .size:           8
        .value_kind:     global_buffer
      - .offset:         56
        .size:           4
        .value_kind:     by_value
      - .actual_access:  read_only
        .address_space:  global
        .offset:         64
        .size:           8
        .value_kind:     global_buffer
      - .offset:         72
        .size:           4
        .value_kind:     by_value
      - .offset:         76
        .size:           4
        .value_kind:     by_value
      - .offset:         80
        .size:           4
        .value_kind:     by_value
      - .actual_access:  write_only
        .address_space:  global
        .offset:         88
        .size:           8
        .value_kind:     global_buffer
      - .actual_access:  write_only
        .address_space:  global
        .offset:         96
        .size:           8
        .value_kind:     global_buffer
      - .actual_access:  write_only
        .address_space:  global
        .offset:         104
        .size:           8
        .value_kind:     global_buffer
      - .actual_access:  read_only
        .address_space:  global
        .offset:         112
        .size:           8
        .value_kind:     global_buffer
      - .offset:         120
        .size:           4
        .value_kind:     by_value
      - .address_space:  global
        .offset:         128
        .size:           8
        .value_kind:     global_buffer
      - .address_space:  global
        .offset:         136
        .size:           8
        .value_kind:     global_buffer
      - .offset:         144
        .size:           4
        .value_kind:     hidden_block_count_x
      - .offset:         148
        .size:           4
        .value_kind:     hidden_block_count_y
      - .offset:         152
        .size:           4
        .value_kind:     hidden_block_count_z
      - .offset:         156
        .size:           2
        .value_kind:     hidden_group_size_x
      - .offset:         158
        .size:           2
        .value_kind:     hidden_group_size_y
      - .offset:         160
        .size:           2
        .value_kind:     hidden_group_size_z
      - .offset:         162
        .size:           2
        .value_kind:     hidden_remainder_x
      - .offset:         164
        .size:           2
        .value_kind:     hidden_remainder_y
      - .offset:         166
        .size:           2
        .value_kind:     hidden_remainder_z
      - .offset:         184
        .size:           8
        .value_kind:     hidden_global_offset_x
      - .offset:         192
        .size:           8
        .value_kind:     hidden_global_offset_y
      - .offset:         200
        .size:           8
        .value_kind:     hidden_global_offset_z
      - .offset:         208
        .size:           2
        .value_kind:     hidden_grid_dims
    .group_segment_fixed_size: 2720
    .kernarg_segment_align: 8
    .kernarg_segment_size: 400
    .language:       OpenCL C
    .language_version:
      - 2
      - 0
    .max_flat_workgroup_size: 256
    .name:           _Z38paged_attention_ll4mi_QKV_mfma4_kernelIDF16_DF16_LN4vllm18Fp8KVCacheDataTypeE0EDF16_Li16ELi64ELi256ELb0ELi1EEvPKT_PKT0_S7_ifPKiS9_S9_iPKfiiiPfSC_PS2_PT2_iSB_SB_
    .private_segment_fixed_size: 0
    .sgpr_count:     44
    .sgpr_spill_count: 0
    .symbol:         _Z38paged_attention_ll4mi_QKV_mfma4_kernelIDF16_DF16_LN4vllm18Fp8KVCacheDataTypeE0EDF16_Li16ELi64ELi256ELb0ELi1EEvPKT_PKT0_S7_ifPKiS9_S9_iPKfiiiPfSC_PS2_PT2_iSB_SB_.kd
    .uniform_work_group_size: 1
    .uses_dynamic_stack: false
    .vgpr_count:     68
    .vgpr_spill_count: 0
    .wavefront_size: 64
  - .agpr_count:     4
    .args:
      - .actual_access:  read_only
        .address_space:  global
        .offset:         0
        .size:           8
        .value_kind:     global_buffer
      - .actual_access:  read_only
        .address_space:  global
        .offset:         8
        .size:           8
        .value_kind:     global_buffer
      - .actual_access:  read_only
        .address_space:  global
        .offset:         16
        .size:           8
        .value_kind:     global_buffer
      - .offset:         24
        .size:           4
        .value_kind:     by_value
      - .offset:         28
        .size:           4
        .value_kind:     by_value
      - .actual_access:  read_only
        .address_space:  global
        .offset:         32
        .size:           8
        .value_kind:     global_buffer
      - .actual_access:  read_only
        .address_space:  global
        .offset:         40
        .size:           8
        .value_kind:     global_buffer
      - .actual_access:  read_only
        .address_space:  global
        .offset:         48
        .size:           8
        .value_kind:     global_buffer
      - .offset:         56
        .size:           4
        .value_kind:     by_value
      - .actual_access:  read_only
        .address_space:  global
        .offset:         64
        .size:           8
        .value_kind:     global_buffer
      - .offset:         72
        .size:           4
        .value_kind:     by_value
      - .offset:         76
        .size:           4
        .value_kind:     by_value
      - .offset:         80
        .size:           4
        .value_kind:     by_value
      - .actual_access:  write_only
        .address_space:  global
        .offset:         88
        .size:           8
        .value_kind:     global_buffer
      - .actual_access:  write_only
        .address_space:  global
        .offset:         96
        .size:           8
        .value_kind:     global_buffer
      - .actual_access:  write_only
        .address_space:  global
        .offset:         104
        .size:           8
        .value_kind:     global_buffer
      - .actual_access:  read_only
        .address_space:  global
        .offset:         112
        .size:           8
        .value_kind:     global_buffer
      - .offset:         120
        .size:           4
        .value_kind:     by_value
      - .address_space:  global
        .offset:         128
        .size:           8
        .value_kind:     global_buffer
      - .address_space:  global
        .offset:         136
        .size:           8
        .value_kind:     global_buffer
      - .offset:         144
        .size:           4
        .value_kind:     hidden_block_count_x
      - .offset:         148
        .size:           4
        .value_kind:     hidden_block_count_y
      - .offset:         152
        .size:           4
        .value_kind:     hidden_block_count_z
      - .offset:         156
        .size:           2
        .value_kind:     hidden_group_size_x
      - .offset:         158
        .size:           2
        .value_kind:     hidden_group_size_y
      - .offset:         160
        .size:           2
        .value_kind:     hidden_group_size_z
      - .offset:         162
        .size:           2
        .value_kind:     hidden_remainder_x
      - .offset:         164
        .size:           2
        .value_kind:     hidden_remainder_y
      - .offset:         166
        .size:           2
        .value_kind:     hidden_remainder_z
      - .offset:         184
        .size:           8
        .value_kind:     hidden_global_offset_x
      - .offset:         192
        .size:           8
        .value_kind:     hidden_global_offset_y
      - .offset:         200
        .size:           8
        .value_kind:     hidden_global_offset_z
      - .offset:         208
        .size:           2
        .value_kind:     hidden_grid_dims
    .group_segment_fixed_size: 2720
    .kernarg_segment_align: 8
    .kernarg_segment_size: 400
    .language:       OpenCL C
    .language_version:
      - 2
      - 0
    .max_flat_workgroup_size: 256
    .name:           _Z38paged_attention_ll4mi_QKV_mfma4_kernelIDF16_DF16_LN4vllm18Fp8KVCacheDataTypeE0EDF16_Li16ELi64ELi256ELb0ELi2EEvPKT_PKT0_S7_ifPKiS9_S9_iPKfiiiPfSC_PS2_PT2_iSB_SB_
    .private_segment_fixed_size: 0
    .sgpr_count:     44
    .sgpr_spill_count: 0
    .symbol:         _Z38paged_attention_ll4mi_QKV_mfma4_kernelIDF16_DF16_LN4vllm18Fp8KVCacheDataTypeE0EDF16_Li16ELi64ELi256ELb0ELi2EEvPKT_PKT0_S7_ifPKiS9_S9_iPKfiiiPfSC_PS2_PT2_iSB_SB_.kd
    .uniform_work_group_size: 1
    .uses_dynamic_stack: false
    .vgpr_count:     68
    .vgpr_spill_count: 0
    .wavefront_size: 64
  - .agpr_count:     4
    .args:
      - .actual_access:  read_only
        .address_space:  global
        .offset:         0
        .size:           8
        .value_kind:     global_buffer
      - .actual_access:  read_only
        .address_space:  global
        .offset:         8
        .size:           8
        .value_kind:     global_buffer
      - .actual_access:  read_only
        .address_space:  global
        .offset:         16
        .size:           8
        .value_kind:     global_buffer
      - .offset:         24
        .size:           4
        .value_kind:     by_value
      - .offset:         28
        .size:           4
        .value_kind:     by_value
      - .actual_access:  read_only
        .address_space:  global
        .offset:         32
        .size:           8
        .value_kind:     global_buffer
      - .actual_access:  read_only
        .address_space:  global
        .offset:         40
        .size:           8
        .value_kind:     global_buffer
      - .actual_access:  read_only
        .address_space:  global
        .offset:         48
        .size:           8
        .value_kind:     global_buffer
      - .offset:         56
        .size:           4
        .value_kind:     by_value
      - .actual_access:  read_only
        .address_space:  global
        .offset:         64
        .size:           8
        .value_kind:     global_buffer
      - .offset:         72
        .size:           4
        .value_kind:     by_value
      - .offset:         76
        .size:           4
        .value_kind:     by_value
      - .offset:         80
        .size:           4
        .value_kind:     by_value
      - .actual_access:  write_only
        .address_space:  global
        .offset:         88
        .size:           8
        .value_kind:     global_buffer
      - .actual_access:  write_only
        .address_space:  global
        .offset:         96
        .size:           8
        .value_kind:     global_buffer
      - .actual_access:  write_only
        .address_space:  global
        .offset:         104
        .size:           8
        .value_kind:     global_buffer
      - .actual_access:  read_only
        .address_space:  global
        .offset:         112
        .size:           8
        .value_kind:     global_buffer
      - .offset:         120
        .size:           4
        .value_kind:     by_value
      - .address_space:  global
        .offset:         128
        .size:           8
        .value_kind:     global_buffer
      - .address_space:  global
        .offset:         136
        .size:           8
        .value_kind:     global_buffer
      - .offset:         144
        .size:           4
        .value_kind:     hidden_block_count_x
      - .offset:         148
        .size:           4
        .value_kind:     hidden_block_count_y
      - .offset:         152
        .size:           4
        .value_kind:     hidden_block_count_z
      - .offset:         156
        .size:           2
        .value_kind:     hidden_group_size_x
      - .offset:         158
        .size:           2
        .value_kind:     hidden_group_size_y
      - .offset:         160
        .size:           2
        .value_kind:     hidden_group_size_z
      - .offset:         162
        .size:           2
        .value_kind:     hidden_remainder_x
      - .offset:         164
        .size:           2
        .value_kind:     hidden_remainder_y
      - .offset:         166
        .size:           2
        .value_kind:     hidden_remainder_z
      - .offset:         184
        .size:           8
        .value_kind:     hidden_global_offset_x
      - .offset:         192
        .size:           8
        .value_kind:     hidden_global_offset_y
      - .offset:         200
        .size:           8
        .value_kind:     hidden_global_offset_z
      - .offset:         208
        .size:           2
        .value_kind:     hidden_grid_dims
    .group_segment_fixed_size: 2720
    .kernarg_segment_align: 8
    .kernarg_segment_size: 400
    .language:       OpenCL C
    .language_version:
      - 2
      - 0
    .max_flat_workgroup_size: 256
    .name:           _Z38paged_attention_ll4mi_QKV_mfma4_kernelIDF16_DF16_LN4vllm18Fp8KVCacheDataTypeE0EDF16_Li16ELi64ELi256ELb0ELi3EEvPKT_PKT0_S7_ifPKiS9_S9_iPKfiiiPfSC_PS2_PT2_iSB_SB_
    .private_segment_fixed_size: 0
    .sgpr_count:     44
    .sgpr_spill_count: 0
    .symbol:         _Z38paged_attention_ll4mi_QKV_mfma4_kernelIDF16_DF16_LN4vllm18Fp8KVCacheDataTypeE0EDF16_Li16ELi64ELi256ELb0ELi3EEvPKT_PKT0_S7_ifPKiS9_S9_iPKfiiiPfSC_PS2_PT2_iSB_SB_.kd
    .uniform_work_group_size: 1
    .uses_dynamic_stack: false
    .vgpr_count:     68
    .vgpr_spill_count: 0
    .wavefront_size: 64
  - .agpr_count:     4
    .args:
      - .actual_access:  read_only
        .address_space:  global
        .offset:         0
        .size:           8
        .value_kind:     global_buffer
      - .actual_access:  read_only
        .address_space:  global
        .offset:         8
        .size:           8
        .value_kind:     global_buffer
      - .actual_access:  read_only
        .address_space:  global
        .offset:         16
        .size:           8
        .value_kind:     global_buffer
      - .offset:         24
        .size:           4
        .value_kind:     by_value
      - .offset:         28
        .size:           4
        .value_kind:     by_value
      - .actual_access:  read_only
        .address_space:  global
        .offset:         32
        .size:           8
        .value_kind:     global_buffer
      - .actual_access:  read_only
        .address_space:  global
        .offset:         40
        .size:           8
        .value_kind:     global_buffer
      - .actual_access:  read_only
        .address_space:  global
        .offset:         48
        .size:           8
        .value_kind:     global_buffer
      - .offset:         56
        .size:           4
        .value_kind:     by_value
      - .actual_access:  read_only
        .address_space:  global
        .offset:         64
        .size:           8
        .value_kind:     global_buffer
      - .offset:         72
        .size:           4
        .value_kind:     by_value
      - .offset:         76
        .size:           4
        .value_kind:     by_value
      - .offset:         80
        .size:           4
        .value_kind:     by_value
      - .actual_access:  write_only
        .address_space:  global
        .offset:         88
        .size:           8
        .value_kind:     global_buffer
      - .actual_access:  write_only
        .address_space:  global
        .offset:         96
        .size:           8
        .value_kind:     global_buffer
      - .actual_access:  write_only
        .address_space:  global
        .offset:         104
        .size:           8
        .value_kind:     global_buffer
      - .actual_access:  read_only
        .address_space:  global
        .offset:         112
        .size:           8
        .value_kind:     global_buffer
      - .offset:         120
        .size:           4
        .value_kind:     by_value
      - .address_space:  global
        .offset:         128
        .size:           8
        .value_kind:     global_buffer
      - .address_space:  global
        .offset:         136
        .size:           8
        .value_kind:     global_buffer
      - .offset:         144
        .size:           4
        .value_kind:     hidden_block_count_x
      - .offset:         148
        .size:           4
        .value_kind:     hidden_block_count_y
      - .offset:         152
        .size:           4
        .value_kind:     hidden_block_count_z
      - .offset:         156
        .size:           2
        .value_kind:     hidden_group_size_x
      - .offset:         158
        .size:           2
        .value_kind:     hidden_group_size_y
      - .offset:         160
        .size:           2
        .value_kind:     hidden_group_size_z
      - .offset:         162
        .size:           2
        .value_kind:     hidden_remainder_x
      - .offset:         164
        .size:           2
        .value_kind:     hidden_remainder_y
      - .offset:         166
        .size:           2
        .value_kind:     hidden_remainder_z
      - .offset:         184
        .size:           8
        .value_kind:     hidden_global_offset_x
      - .offset:         192
        .size:           8
        .value_kind:     hidden_global_offset_y
      - .offset:         200
        .size:           8
        .value_kind:     hidden_global_offset_z
      - .offset:         208
        .size:           2
        .value_kind:     hidden_grid_dims
    .group_segment_fixed_size: 2720
    .kernarg_segment_align: 8
    .kernarg_segment_size: 400
    .language:       OpenCL C
    .language_version:
      - 2
      - 0
    .max_flat_workgroup_size: 256
    .name:           _Z38paged_attention_ll4mi_QKV_mfma4_kernelIDF16_DF16_LN4vllm18Fp8KVCacheDataTypeE0EDF16_Li16ELi64ELi256ELb0ELi4EEvPKT_PKT0_S7_ifPKiS9_S9_iPKfiiiPfSC_PS2_PT2_iSB_SB_
    .private_segment_fixed_size: 0
    .sgpr_count:     44
    .sgpr_spill_count: 0
    .symbol:         _Z38paged_attention_ll4mi_QKV_mfma4_kernelIDF16_DF16_LN4vllm18Fp8KVCacheDataTypeE0EDF16_Li16ELi64ELi256ELb0ELi4EEvPKT_PKT0_S7_ifPKiS9_S9_iPKfiiiPfSC_PS2_PT2_iSB_SB_.kd
    .uniform_work_group_size: 1
    .uses_dynamic_stack: false
    .vgpr_count:     68
    .vgpr_spill_count: 0
    .wavefront_size: 64
  - .agpr_count:     0
    .args:
      - .actual_access:  read_only
        .address_space:  global
        .offset:         0
        .size:           8
        .value_kind:     global_buffer
      - .actual_access:  read_only
        .address_space:  global
        .offset:         8
        .size:           8
        .value_kind:     global_buffer
      - .actual_access:  read_only
        .address_space:  global
        .offset:         16
        .size:           8
        .value_kind:     global_buffer
      - .offset:         24
        .size:           4
        .value_kind:     by_value
      - .offset:         28
        .size:           4
        .value_kind:     by_value
      - .actual_access:  read_only
        .address_space:  global
        .offset:         32
        .size:           8
        .value_kind:     global_buffer
      - .actual_access:  read_only
        .address_space:  global
        .offset:         40
        .size:           8
        .value_kind:     global_buffer
      - .actual_access:  read_only
        .address_space:  global
        .offset:         48
        .size:           8
        .value_kind:     global_buffer
      - .offset:         56
        .size:           4
        .value_kind:     by_value
      - .actual_access:  read_only
        .address_space:  global
        .offset:         64
        .size:           8
        .value_kind:     global_buffer
      - .offset:         72
        .size:           4
        .value_kind:     by_value
      - .offset:         76
        .size:           4
        .value_kind:     by_value
      - .offset:         80
        .size:           4
        .value_kind:     by_value
      - .actual_access:  write_only
        .address_space:  global
        .offset:         88
        .size:           8
        .value_kind:     global_buffer
      - .actual_access:  write_only
        .address_space:  global
        .offset:         96
        .size:           8
        .value_kind:     global_buffer
      - .actual_access:  write_only
        .address_space:  global
        .offset:         104
        .size:           8
        .value_kind:     global_buffer
      - .actual_access:  read_only
        .address_space:  global
        .offset:         112
        .size:           8
        .value_kind:     global_buffer
      - .offset:         120
        .size:           4
        .value_kind:     by_value
      - .address_space:  global
        .offset:         128
        .size:           8
        .value_kind:     global_buffer
      - .address_space:  global
        .offset:         136
        .size:           8
        .value_kind:     global_buffer
      - .offset:         144
        .size:           4
        .value_kind:     hidden_block_count_x
      - .offset:         148
        .size:           4
        .value_kind:     hidden_block_count_y
      - .offset:         152
        .size:           4
        .value_kind:     hidden_block_count_z
      - .offset:         156
        .size:           2
        .value_kind:     hidden_group_size_x
      - .offset:         158
        .size:           2
        .value_kind:     hidden_group_size_y
      - .offset:         160
        .size:           2
        .value_kind:     hidden_group_size_z
      - .offset:         162
        .size:           2
        .value_kind:     hidden_remainder_x
      - .offset:         164
        .size:           2
        .value_kind:     hidden_remainder_y
      - .offset:         166
        .size:           2
        .value_kind:     hidden_remainder_z
      - .offset:         184
        .size:           8
        .value_kind:     hidden_global_offset_x
      - .offset:         192
        .size:           8
        .value_kind:     hidden_global_offset_y
      - .offset:         200
        .size:           8
        .value_kind:     hidden_global_offset_z
      - .offset:         208
        .size:           2
        .value_kind:     hidden_grid_dims
    .group_segment_fixed_size: 8192
    .kernarg_segment_align: 8
    .kernarg_segment_size: 400
    .language:       OpenCL C
    .language_version:
      - 2
      - 0
    .max_flat_workgroup_size: 256
    .name:           _Z39paged_attention_ll4mi_QKV_mfma16_kernelIDF16_DF16_LN4vllm18Fp8KVCacheDataTypeE0EDF16_Li16ELi64ELi256ELb0ELi5EEvPKT_PKT0_S7_ifPKiS9_S9_iPKfiiiPfSC_PS2_PT2_iSB_SB_
    .private_segment_fixed_size: 0
    .sgpr_count:     54
    .sgpr_spill_count: 0
    .symbol:         _Z39paged_attention_ll4mi_QKV_mfma16_kernelIDF16_DF16_LN4vllm18Fp8KVCacheDataTypeE0EDF16_Li16ELi64ELi256ELb0ELi5EEvPKT_PKT0_S7_ifPKiS9_S9_iPKfiiiPfSC_PS2_PT2_iSB_SB_.kd
    .uniform_work_group_size: 1
    .uses_dynamic_stack: false
    .vgpr_count:     69
    .vgpr_spill_count: 0
    .wavefront_size: 64
  - .agpr_count:     0
    .args:
      - .actual_access:  read_only
        .address_space:  global
        .offset:         0
        .size:           8
        .value_kind:     global_buffer
      - .actual_access:  read_only
        .address_space:  global
        .offset:         8
        .size:           8
        .value_kind:     global_buffer
      - .actual_access:  read_only
        .address_space:  global
        .offset:         16
        .size:           8
        .value_kind:     global_buffer
      - .offset:         24
        .size:           4
        .value_kind:     by_value
      - .offset:         28
        .size:           4
        .value_kind:     by_value
      - .actual_access:  read_only
        .address_space:  global
        .offset:         32
        .size:           8
        .value_kind:     global_buffer
      - .actual_access:  read_only
        .address_space:  global
        .offset:         40
        .size:           8
        .value_kind:     global_buffer
      - .actual_access:  read_only
        .address_space:  global
        .offset:         48
        .size:           8
        .value_kind:     global_buffer
      - .offset:         56
        .size:           4
        .value_kind:     by_value
      - .actual_access:  read_only
        .address_space:  global
        .offset:         64
        .size:           8
        .value_kind:     global_buffer
      - .offset:         72
        .size:           4
        .value_kind:     by_value
      - .offset:         76
        .size:           4
        .value_kind:     by_value
      - .offset:         80
        .size:           4
        .value_kind:     by_value
      - .actual_access:  write_only
        .address_space:  global
        .offset:         88
        .size:           8
        .value_kind:     global_buffer
      - .actual_access:  write_only
        .address_space:  global
        .offset:         96
        .size:           8
        .value_kind:     global_buffer
      - .actual_access:  write_only
        .address_space:  global
        .offset:         104
        .size:           8
        .value_kind:     global_buffer
      - .actual_access:  read_only
        .address_space:  global
        .offset:         112
        .size:           8
        .value_kind:     global_buffer
      - .offset:         120
        .size:           4
        .value_kind:     by_value
      - .address_space:  global
        .offset:         128
        .size:           8
        .value_kind:     global_buffer
      - .address_space:  global
        .offset:         136
        .size:           8
        .value_kind:     global_buffer
      - .offset:         144
        .size:           4
        .value_kind:     hidden_block_count_x
      - .offset:         148
        .size:           4
        .value_kind:     hidden_block_count_y
      - .offset:         152
        .size:           4
        .value_kind:     hidden_block_count_z
      - .offset:         156
        .size:           2
        .value_kind:     hidden_group_size_x
      - .offset:         158
        .size:           2
        .value_kind:     hidden_group_size_y
      - .offset:         160
        .size:           2
        .value_kind:     hidden_group_size_z
      - .offset:         162
        .size:           2
        .value_kind:     hidden_remainder_x
      - .offset:         164
        .size:           2
        .value_kind:     hidden_remainder_y
      - .offset:         166
        .size:           2
        .value_kind:     hidden_remainder_z
      - .offset:         184
        .size:           8
        .value_kind:     hidden_global_offset_x
      - .offset:         192
        .size:           8
        .value_kind:     hidden_global_offset_y
      - .offset:         200
        .size:           8
        .value_kind:     hidden_global_offset_z
      - .offset:         208
        .size:           2
        .value_kind:     hidden_grid_dims
    .group_segment_fixed_size: 8192
    .kernarg_segment_align: 8
    .kernarg_segment_size: 400
    .language:       OpenCL C
    .language_version:
      - 2
      - 0
    .max_flat_workgroup_size: 256
    .name:           _Z39paged_attention_ll4mi_QKV_mfma16_kernelIDF16_DF16_LN4vllm18Fp8KVCacheDataTypeE0EDF16_Li16ELi64ELi256ELb0ELi6EEvPKT_PKT0_S7_ifPKiS9_S9_iPKfiiiPfSC_PS2_PT2_iSB_SB_
    .private_segment_fixed_size: 0
    .sgpr_count:     54
    .sgpr_spill_count: 0
    .symbol:         _Z39paged_attention_ll4mi_QKV_mfma16_kernelIDF16_DF16_LN4vllm18Fp8KVCacheDataTypeE0EDF16_Li16ELi64ELi256ELb0ELi6EEvPKT_PKT0_S7_ifPKiS9_S9_iPKfiiiPfSC_PS2_PT2_iSB_SB_.kd
    .uniform_work_group_size: 1
    .uses_dynamic_stack: false
    .vgpr_count:     69
    .vgpr_spill_count: 0
    .wavefront_size: 64
  - .agpr_count:     0
    .args:
      - .actual_access:  read_only
        .address_space:  global
        .offset:         0
        .size:           8
        .value_kind:     global_buffer
      - .actual_access:  read_only
        .address_space:  global
        .offset:         8
        .size:           8
        .value_kind:     global_buffer
      - .actual_access:  read_only
        .address_space:  global
        .offset:         16
        .size:           8
        .value_kind:     global_buffer
      - .offset:         24
        .size:           4
        .value_kind:     by_value
      - .offset:         28
        .size:           4
        .value_kind:     by_value
      - .actual_access:  read_only
        .address_space:  global
        .offset:         32
        .size:           8
        .value_kind:     global_buffer
      - .actual_access:  read_only
        .address_space:  global
        .offset:         40
        .size:           8
        .value_kind:     global_buffer
      - .actual_access:  read_only
        .address_space:  global
        .offset:         48
        .size:           8
        .value_kind:     global_buffer
      - .offset:         56
        .size:           4
        .value_kind:     by_value
      - .actual_access:  read_only
        .address_space:  global
        .offset:         64
        .size:           8
        .value_kind:     global_buffer
      - .offset:         72
        .size:           4
        .value_kind:     by_value
      - .offset:         76
        .size:           4
        .value_kind:     by_value
      - .offset:         80
        .size:           4
        .value_kind:     by_value
      - .actual_access:  write_only
        .address_space:  global
        .offset:         88
        .size:           8
        .value_kind:     global_buffer
      - .actual_access:  write_only
        .address_space:  global
        .offset:         96
        .size:           8
        .value_kind:     global_buffer
      - .actual_access:  write_only
        .address_space:  global
        .offset:         104
        .size:           8
        .value_kind:     global_buffer
      - .actual_access:  read_only
        .address_space:  global
        .offset:         112
        .size:           8
        .value_kind:     global_buffer
      - .offset:         120
        .size:           4
        .value_kind:     by_value
      - .address_space:  global
        .offset:         128
        .size:           8
        .value_kind:     global_buffer
      - .address_space:  global
        .offset:         136
        .size:           8
        .value_kind:     global_buffer
      - .offset:         144
        .size:           4
        .value_kind:     hidden_block_count_x
      - .offset:         148
        .size:           4
        .value_kind:     hidden_block_count_y
      - .offset:         152
        .size:           4
        .value_kind:     hidden_block_count_z
      - .offset:         156
        .size:           2
        .value_kind:     hidden_group_size_x
      - .offset:         158
        .size:           2
        .value_kind:     hidden_group_size_y
      - .offset:         160
        .size:           2
        .value_kind:     hidden_group_size_z
      - .offset:         162
        .size:           2
        .value_kind:     hidden_remainder_x
      - .offset:         164
        .size:           2
        .value_kind:     hidden_remainder_y
      - .offset:         166
        .size:           2
        .value_kind:     hidden_remainder_z
      - .offset:         184
        .size:           8
        .value_kind:     hidden_global_offset_x
      - .offset:         192
        .size:           8
        .value_kind:     hidden_global_offset_y
      - .offset:         200
        .size:           8
        .value_kind:     hidden_global_offset_z
      - .offset:         208
        .size:           2
        .value_kind:     hidden_grid_dims
    .group_segment_fixed_size: 8192
    .kernarg_segment_align: 8
    .kernarg_segment_size: 400
    .language:       OpenCL C
    .language_version:
      - 2
      - 0
    .max_flat_workgroup_size: 256
    .name:           _Z39paged_attention_ll4mi_QKV_mfma16_kernelIDF16_DF16_LN4vllm18Fp8KVCacheDataTypeE0EDF16_Li16ELi64ELi256ELb0ELi7EEvPKT_PKT0_S7_ifPKiS9_S9_iPKfiiiPfSC_PS2_PT2_iSB_SB_
    .private_segment_fixed_size: 0
    .sgpr_count:     54
    .sgpr_spill_count: 0
    .symbol:         _Z39paged_attention_ll4mi_QKV_mfma16_kernelIDF16_DF16_LN4vllm18Fp8KVCacheDataTypeE0EDF16_Li16ELi64ELi256ELb0ELi7EEvPKT_PKT0_S7_ifPKiS9_S9_iPKfiiiPfSC_PS2_PT2_iSB_SB_.kd
    .uniform_work_group_size: 1
    .uses_dynamic_stack: false
    .vgpr_count:     69
    .vgpr_spill_count: 0
    .wavefront_size: 64
  - .agpr_count:     0
    .args:
      - .actual_access:  read_only
        .address_space:  global
        .offset:         0
        .size:           8
        .value_kind:     global_buffer
      - .actual_access:  read_only
        .address_space:  global
        .offset:         8
        .size:           8
        .value_kind:     global_buffer
      - .actual_access:  read_only
        .address_space:  global
        .offset:         16
        .size:           8
        .value_kind:     global_buffer
      - .offset:         24
        .size:           4
        .value_kind:     by_value
      - .offset:         28
        .size:           4
        .value_kind:     by_value
      - .actual_access:  read_only
        .address_space:  global
        .offset:         32
        .size:           8
        .value_kind:     global_buffer
      - .actual_access:  read_only
        .address_space:  global
        .offset:         40
        .size:           8
        .value_kind:     global_buffer
      - .actual_access:  read_only
        .address_space:  global
        .offset:         48
        .size:           8
        .value_kind:     global_buffer
      - .offset:         56
        .size:           4
        .value_kind:     by_value
      - .actual_access:  read_only
        .address_space:  global
        .offset:         64
        .size:           8
        .value_kind:     global_buffer
      - .offset:         72
        .size:           4
        .value_kind:     by_value
      - .offset:         76
        .size:           4
        .value_kind:     by_value
      - .offset:         80
        .size:           4
        .value_kind:     by_value
      - .actual_access:  write_only
        .address_space:  global
        .offset:         88
        .size:           8
        .value_kind:     global_buffer
      - .actual_access:  write_only
        .address_space:  global
        .offset:         96
        .size:           8
        .value_kind:     global_buffer
      - .actual_access:  write_only
        .address_space:  global
        .offset:         104
        .size:           8
        .value_kind:     global_buffer
      - .actual_access:  read_only
        .address_space:  global
        .offset:         112
        .size:           8
        .value_kind:     global_buffer
      - .offset:         120
        .size:           4
        .value_kind:     by_value
      - .address_space:  global
        .offset:         128
        .size:           8
        .value_kind:     global_buffer
      - .address_space:  global
        .offset:         136
        .size:           8
        .value_kind:     global_buffer
      - .offset:         144
        .size:           4
        .value_kind:     hidden_block_count_x
      - .offset:         148
        .size:           4
        .value_kind:     hidden_block_count_y
      - .offset:         152
        .size:           4
        .value_kind:     hidden_block_count_z
      - .offset:         156
        .size:           2
        .value_kind:     hidden_group_size_x
      - .offset:         158
        .size:           2
        .value_kind:     hidden_group_size_y
      - .offset:         160
        .size:           2
        .value_kind:     hidden_group_size_z
      - .offset:         162
        .size:           2
        .value_kind:     hidden_remainder_x
      - .offset:         164
        .size:           2
        .value_kind:     hidden_remainder_y
      - .offset:         166
        .size:           2
        .value_kind:     hidden_remainder_z
      - .offset:         184
        .size:           8
        .value_kind:     hidden_global_offset_x
      - .offset:         192
        .size:           8
        .value_kind:     hidden_global_offset_y
      - .offset:         200
        .size:           8
        .value_kind:     hidden_global_offset_z
      - .offset:         208
        .size:           2
        .value_kind:     hidden_grid_dims
    .group_segment_fixed_size: 8192
    .kernarg_segment_align: 8
    .kernarg_segment_size: 400
    .language:       OpenCL C
    .language_version:
      - 2
      - 0
    .max_flat_workgroup_size: 256
    .name:           _Z39paged_attention_ll4mi_QKV_mfma16_kernelIDF16_DF16_LN4vllm18Fp8KVCacheDataTypeE0EDF16_Li16ELi64ELi256ELb0ELi8EEvPKT_PKT0_S7_ifPKiS9_S9_iPKfiiiPfSC_PS2_PT2_iSB_SB_
    .private_segment_fixed_size: 0
    .sgpr_count:     54
    .sgpr_spill_count: 0
    .symbol:         _Z39paged_attention_ll4mi_QKV_mfma16_kernelIDF16_DF16_LN4vllm18Fp8KVCacheDataTypeE0EDF16_Li16ELi64ELi256ELb0ELi8EEvPKT_PKT0_S7_ifPKiS9_S9_iPKfiiiPfSC_PS2_PT2_iSB_SB_.kd
    .uniform_work_group_size: 1
    .uses_dynamic_stack: false
    .vgpr_count:     69
    .vgpr_spill_count: 0
    .wavefront_size: 64
  - .agpr_count:     0
    .args:
      - .actual_access:  read_only
        .address_space:  global
        .offset:         0
        .size:           8
        .value_kind:     global_buffer
      - .actual_access:  read_only
        .address_space:  global
        .offset:         8
        .size:           8
        .value_kind:     global_buffer
      - .actual_access:  read_only
        .address_space:  global
        .offset:         16
        .size:           8
        .value_kind:     global_buffer
      - .offset:         24
        .size:           4
        .value_kind:     by_value
      - .offset:         28
        .size:           4
        .value_kind:     by_value
      - .actual_access:  read_only
        .address_space:  global
        .offset:         32
        .size:           8
        .value_kind:     global_buffer
      - .actual_access:  read_only
        .address_space:  global
        .offset:         40
        .size:           8
        .value_kind:     global_buffer
      - .actual_access:  read_only
        .address_space:  global
        .offset:         48
        .size:           8
        .value_kind:     global_buffer
      - .offset:         56
        .size:           4
        .value_kind:     by_value
      - .actual_access:  read_only
        .address_space:  global
        .offset:         64
        .size:           8
        .value_kind:     global_buffer
      - .offset:         72
        .size:           4
        .value_kind:     by_value
      - .offset:         76
        .size:           4
        .value_kind:     by_value
      - .offset:         80
        .size:           4
        .value_kind:     by_value
      - .actual_access:  write_only
        .address_space:  global
        .offset:         88
        .size:           8
        .value_kind:     global_buffer
      - .actual_access:  write_only
        .address_space:  global
        .offset:         96
        .size:           8
        .value_kind:     global_buffer
      - .actual_access:  write_only
        .address_space:  global
        .offset:         104
        .size:           8
        .value_kind:     global_buffer
      - .actual_access:  read_only
        .address_space:  global
        .offset:         112
        .size:           8
        .value_kind:     global_buffer
      - .offset:         120
        .size:           4
        .value_kind:     by_value
      - .address_space:  global
        .offset:         128
        .size:           8
        .value_kind:     global_buffer
      - .address_space:  global
        .offset:         136
        .size:           8
        .value_kind:     global_buffer
      - .offset:         144
        .size:           4
        .value_kind:     hidden_block_count_x
      - .offset:         148
        .size:           4
        .value_kind:     hidden_block_count_y
      - .offset:         152
        .size:           4
        .value_kind:     hidden_block_count_z
      - .offset:         156
        .size:           2
        .value_kind:     hidden_group_size_x
      - .offset:         158
        .size:           2
        .value_kind:     hidden_group_size_y
      - .offset:         160
        .size:           2
        .value_kind:     hidden_group_size_z
      - .offset:         162
        .size:           2
        .value_kind:     hidden_remainder_x
      - .offset:         164
        .size:           2
        .value_kind:     hidden_remainder_y
      - .offset:         166
        .size:           2
        .value_kind:     hidden_remainder_z
      - .offset:         184
        .size:           8
        .value_kind:     hidden_global_offset_x
      - .offset:         192
        .size:           8
        .value_kind:     hidden_global_offset_y
      - .offset:         200
        .size:           8
        .value_kind:     hidden_global_offset_z
      - .offset:         208
        .size:           2
        .value_kind:     hidden_grid_dims
    .group_segment_fixed_size: 8192
    .kernarg_segment_align: 8
    .kernarg_segment_size: 400
    .language:       OpenCL C
    .language_version:
      - 2
      - 0
    .max_flat_workgroup_size: 256
    .name:           _Z39paged_attention_ll4mi_QKV_mfma16_kernelIDF16_DF16_LN4vllm18Fp8KVCacheDataTypeE0EDF16_Li16ELi64ELi256ELb0ELi9EEvPKT_PKT0_S7_ifPKiS9_S9_iPKfiiiPfSC_PS2_PT2_iSB_SB_
    .private_segment_fixed_size: 0
    .sgpr_count:     54
    .sgpr_spill_count: 0
    .symbol:         _Z39paged_attention_ll4mi_QKV_mfma16_kernelIDF16_DF16_LN4vllm18Fp8KVCacheDataTypeE0EDF16_Li16ELi64ELi256ELb0ELi9EEvPKT_PKT0_S7_ifPKiS9_S9_iPKfiiiPfSC_PS2_PT2_iSB_SB_.kd
    .uniform_work_group_size: 1
    .uses_dynamic_stack: false
    .vgpr_count:     69
    .vgpr_spill_count: 0
    .wavefront_size: 64
  - .agpr_count:     0
    .args:
      - .actual_access:  read_only
        .address_space:  global
        .offset:         0
        .size:           8
        .value_kind:     global_buffer
      - .actual_access:  read_only
        .address_space:  global
        .offset:         8
        .size:           8
        .value_kind:     global_buffer
      - .actual_access:  read_only
        .address_space:  global
        .offset:         16
        .size:           8
        .value_kind:     global_buffer
      - .offset:         24
        .size:           4
        .value_kind:     by_value
      - .offset:         28
        .size:           4
        .value_kind:     by_value
      - .actual_access:  read_only
        .address_space:  global
        .offset:         32
        .size:           8
        .value_kind:     global_buffer
      - .actual_access:  read_only
        .address_space:  global
        .offset:         40
        .size:           8
        .value_kind:     global_buffer
      - .actual_access:  read_only
        .address_space:  global
        .offset:         48
        .size:           8
        .value_kind:     global_buffer
      - .offset:         56
        .size:           4
        .value_kind:     by_value
      - .actual_access:  read_only
        .address_space:  global
        .offset:         64
        .size:           8
        .value_kind:     global_buffer
      - .offset:         72
        .size:           4
        .value_kind:     by_value
      - .offset:         76
        .size:           4
        .value_kind:     by_value
      - .offset:         80
        .size:           4
        .value_kind:     by_value
      - .actual_access:  write_only
        .address_space:  global
        .offset:         88
        .size:           8
        .value_kind:     global_buffer
      - .actual_access:  write_only
        .address_space:  global
        .offset:         96
        .size:           8
        .value_kind:     global_buffer
      - .actual_access:  write_only
        .address_space:  global
        .offset:         104
        .size:           8
        .value_kind:     global_buffer
      - .actual_access:  read_only
        .address_space:  global
        .offset:         112
        .size:           8
        .value_kind:     global_buffer
      - .offset:         120
        .size:           4
        .value_kind:     by_value
      - .address_space:  global
        .offset:         128
        .size:           8
        .value_kind:     global_buffer
      - .address_space:  global
        .offset:         136
        .size:           8
        .value_kind:     global_buffer
      - .offset:         144
        .size:           4
        .value_kind:     hidden_block_count_x
      - .offset:         148
        .size:           4
        .value_kind:     hidden_block_count_y
      - .offset:         152
        .size:           4
        .value_kind:     hidden_block_count_z
      - .offset:         156
        .size:           2
        .value_kind:     hidden_group_size_x
      - .offset:         158
        .size:           2
        .value_kind:     hidden_group_size_y
      - .offset:         160
        .size:           2
        .value_kind:     hidden_group_size_z
      - .offset:         162
        .size:           2
        .value_kind:     hidden_remainder_x
      - .offset:         164
        .size:           2
        .value_kind:     hidden_remainder_y
      - .offset:         166
        .size:           2
        .value_kind:     hidden_remainder_z
      - .offset:         184
        .size:           8
        .value_kind:     hidden_global_offset_x
      - .offset:         192
        .size:           8
        .value_kind:     hidden_global_offset_y
      - .offset:         200
        .size:           8
        .value_kind:     hidden_global_offset_z
      - .offset:         208
        .size:           2
        .value_kind:     hidden_grid_dims
    .group_segment_fixed_size: 8192
    .kernarg_segment_align: 8
    .kernarg_segment_size: 400
    .language:       OpenCL C
    .language_version:
      - 2
      - 0
    .max_flat_workgroup_size: 256
    .name:           _Z39paged_attention_ll4mi_QKV_mfma16_kernelIDF16_DF16_LN4vllm18Fp8KVCacheDataTypeE0EDF16_Li16ELi64ELi256ELb0ELi10EEvPKT_PKT0_S7_ifPKiS9_S9_iPKfiiiPfSC_PS2_PT2_iSB_SB_
    .private_segment_fixed_size: 0
    .sgpr_count:     54
    .sgpr_spill_count: 0
    .symbol:         _Z39paged_attention_ll4mi_QKV_mfma16_kernelIDF16_DF16_LN4vllm18Fp8KVCacheDataTypeE0EDF16_Li16ELi64ELi256ELb0ELi10EEvPKT_PKT0_S7_ifPKiS9_S9_iPKfiiiPfSC_PS2_PT2_iSB_SB_.kd
    .uniform_work_group_size: 1
    .uses_dynamic_stack: false
    .vgpr_count:     69
    .vgpr_spill_count: 0
    .wavefront_size: 64
  - .agpr_count:     0
    .args:
      - .actual_access:  read_only
        .address_space:  global
        .offset:         0
        .size:           8
        .value_kind:     global_buffer
      - .actual_access:  read_only
        .address_space:  global
        .offset:         8
        .size:           8
        .value_kind:     global_buffer
      - .actual_access:  read_only
        .address_space:  global
        .offset:         16
        .size:           8
        .value_kind:     global_buffer
      - .offset:         24
        .size:           4
        .value_kind:     by_value
      - .offset:         28
        .size:           4
        .value_kind:     by_value
      - .actual_access:  read_only
        .address_space:  global
        .offset:         32
        .size:           8
        .value_kind:     global_buffer
      - .actual_access:  read_only
        .address_space:  global
        .offset:         40
        .size:           8
        .value_kind:     global_buffer
      - .actual_access:  read_only
        .address_space:  global
        .offset:         48
        .size:           8
        .value_kind:     global_buffer
      - .offset:         56
        .size:           4
        .value_kind:     by_value
      - .actual_access:  read_only
        .address_space:  global
        .offset:         64
        .size:           8
        .value_kind:     global_buffer
      - .offset:         72
        .size:           4
        .value_kind:     by_value
      - .offset:         76
        .size:           4
        .value_kind:     by_value
      - .offset:         80
        .size:           4
        .value_kind:     by_value
      - .actual_access:  write_only
        .address_space:  global
        .offset:         88
        .size:           8
        .value_kind:     global_buffer
      - .actual_access:  write_only
        .address_space:  global
        .offset:         96
        .size:           8
        .value_kind:     global_buffer
      - .actual_access:  write_only
        .address_space:  global
        .offset:         104
        .size:           8
        .value_kind:     global_buffer
      - .actual_access:  read_only
        .address_space:  global
        .offset:         112
        .size:           8
        .value_kind:     global_buffer
      - .offset:         120
        .size:           4
        .value_kind:     by_value
      - .address_space:  global
        .offset:         128
        .size:           8
        .value_kind:     global_buffer
      - .address_space:  global
        .offset:         136
        .size:           8
        .value_kind:     global_buffer
      - .offset:         144
        .size:           4
        .value_kind:     hidden_block_count_x
      - .offset:         148
        .size:           4
        .value_kind:     hidden_block_count_y
      - .offset:         152
        .size:           4
        .value_kind:     hidden_block_count_z
      - .offset:         156
        .size:           2
        .value_kind:     hidden_group_size_x
      - .offset:         158
        .size:           2
        .value_kind:     hidden_group_size_y
      - .offset:         160
        .size:           2
        .value_kind:     hidden_group_size_z
      - .offset:         162
        .size:           2
        .value_kind:     hidden_remainder_x
      - .offset:         164
        .size:           2
        .value_kind:     hidden_remainder_y
      - .offset:         166
        .size:           2
        .value_kind:     hidden_remainder_z
      - .offset:         184
        .size:           8
        .value_kind:     hidden_global_offset_x
      - .offset:         192
        .size:           8
        .value_kind:     hidden_global_offset_y
      - .offset:         200
        .size:           8
        .value_kind:     hidden_global_offset_z
      - .offset:         208
        .size:           2
        .value_kind:     hidden_grid_dims
    .group_segment_fixed_size: 8192
    .kernarg_segment_align: 8
    .kernarg_segment_size: 400
    .language:       OpenCL C
    .language_version:
      - 2
      - 0
    .max_flat_workgroup_size: 256
    .name:           _Z39paged_attention_ll4mi_QKV_mfma16_kernelIDF16_DF16_LN4vllm18Fp8KVCacheDataTypeE0EDF16_Li16ELi64ELi256ELb0ELi11EEvPKT_PKT0_S7_ifPKiS9_S9_iPKfiiiPfSC_PS2_PT2_iSB_SB_
    .private_segment_fixed_size: 0
    .sgpr_count:     54
    .sgpr_spill_count: 0
    .symbol:         _Z39paged_attention_ll4mi_QKV_mfma16_kernelIDF16_DF16_LN4vllm18Fp8KVCacheDataTypeE0EDF16_Li16ELi64ELi256ELb0ELi11EEvPKT_PKT0_S7_ifPKiS9_S9_iPKfiiiPfSC_PS2_PT2_iSB_SB_.kd
    .uniform_work_group_size: 1
    .uses_dynamic_stack: false
    .vgpr_count:     69
    .vgpr_spill_count: 0
    .wavefront_size: 64
  - .agpr_count:     0
    .args:
      - .actual_access:  read_only
        .address_space:  global
        .offset:         0
        .size:           8
        .value_kind:     global_buffer
      - .actual_access:  read_only
        .address_space:  global
        .offset:         8
        .size:           8
        .value_kind:     global_buffer
      - .actual_access:  read_only
        .address_space:  global
        .offset:         16
        .size:           8
        .value_kind:     global_buffer
      - .offset:         24
        .size:           4
        .value_kind:     by_value
      - .offset:         28
        .size:           4
        .value_kind:     by_value
      - .actual_access:  read_only
        .address_space:  global
        .offset:         32
        .size:           8
        .value_kind:     global_buffer
      - .actual_access:  read_only
        .address_space:  global
        .offset:         40
        .size:           8
        .value_kind:     global_buffer
      - .actual_access:  read_only
        .address_space:  global
        .offset:         48
        .size:           8
        .value_kind:     global_buffer
      - .offset:         56
        .size:           4
        .value_kind:     by_value
      - .actual_access:  read_only
        .address_space:  global
        .offset:         64
        .size:           8
        .value_kind:     global_buffer
      - .offset:         72
        .size:           4
        .value_kind:     by_value
      - .offset:         76
        .size:           4
        .value_kind:     by_value
      - .offset:         80
        .size:           4
        .value_kind:     by_value
      - .actual_access:  write_only
        .address_space:  global
        .offset:         88
        .size:           8
        .value_kind:     global_buffer
      - .actual_access:  write_only
        .address_space:  global
        .offset:         96
        .size:           8
        .value_kind:     global_buffer
      - .actual_access:  write_only
        .address_space:  global
        .offset:         104
        .size:           8
        .value_kind:     global_buffer
      - .actual_access:  read_only
        .address_space:  global
        .offset:         112
        .size:           8
        .value_kind:     global_buffer
      - .offset:         120
        .size:           4
        .value_kind:     by_value
      - .address_space:  global
        .offset:         128
        .size:           8
        .value_kind:     global_buffer
      - .address_space:  global
        .offset:         136
        .size:           8
        .value_kind:     global_buffer
      - .offset:         144
        .size:           4
        .value_kind:     hidden_block_count_x
      - .offset:         148
        .size:           4
        .value_kind:     hidden_block_count_y
      - .offset:         152
        .size:           4
        .value_kind:     hidden_block_count_z
      - .offset:         156
        .size:           2
        .value_kind:     hidden_group_size_x
      - .offset:         158
        .size:           2
        .value_kind:     hidden_group_size_y
      - .offset:         160
        .size:           2
        .value_kind:     hidden_group_size_z
      - .offset:         162
        .size:           2
        .value_kind:     hidden_remainder_x
      - .offset:         164
        .size:           2
        .value_kind:     hidden_remainder_y
      - .offset:         166
        .size:           2
        .value_kind:     hidden_remainder_z
      - .offset:         184
        .size:           8
        .value_kind:     hidden_global_offset_x
      - .offset:         192
        .size:           8
        .value_kind:     hidden_global_offset_y
      - .offset:         200
        .size:           8
        .value_kind:     hidden_global_offset_z
      - .offset:         208
        .size:           2
        .value_kind:     hidden_grid_dims
    .group_segment_fixed_size: 8192
    .kernarg_segment_align: 8
    .kernarg_segment_size: 400
    .language:       OpenCL C
    .language_version:
      - 2
      - 0
    .max_flat_workgroup_size: 256
    .name:           _Z39paged_attention_ll4mi_QKV_mfma16_kernelIDF16_DF16_LN4vllm18Fp8KVCacheDataTypeE0EDF16_Li16ELi64ELi256ELb0ELi12EEvPKT_PKT0_S7_ifPKiS9_S9_iPKfiiiPfSC_PS2_PT2_iSB_SB_
    .private_segment_fixed_size: 0
    .sgpr_count:     54
    .sgpr_spill_count: 0
    .symbol:         _Z39paged_attention_ll4mi_QKV_mfma16_kernelIDF16_DF16_LN4vllm18Fp8KVCacheDataTypeE0EDF16_Li16ELi64ELi256ELb0ELi12EEvPKT_PKT0_S7_ifPKiS9_S9_iPKfiiiPfSC_PS2_PT2_iSB_SB_.kd
    .uniform_work_group_size: 1
    .uses_dynamic_stack: false
    .vgpr_count:     69
    .vgpr_spill_count: 0
    .wavefront_size: 64
  - .agpr_count:     0
    .args:
      - .actual_access:  read_only
        .address_space:  global
        .offset:         0
        .size:           8
        .value_kind:     global_buffer
      - .actual_access:  read_only
        .address_space:  global
        .offset:         8
        .size:           8
        .value_kind:     global_buffer
      - .actual_access:  read_only
        .address_space:  global
        .offset:         16
        .size:           8
        .value_kind:     global_buffer
      - .offset:         24
        .size:           4
        .value_kind:     by_value
      - .offset:         28
        .size:           4
        .value_kind:     by_value
      - .actual_access:  read_only
        .address_space:  global
        .offset:         32
        .size:           8
        .value_kind:     global_buffer
      - .actual_access:  read_only
        .address_space:  global
        .offset:         40
        .size:           8
        .value_kind:     global_buffer
      - .actual_access:  read_only
        .address_space:  global
        .offset:         48
        .size:           8
        .value_kind:     global_buffer
      - .offset:         56
        .size:           4
        .value_kind:     by_value
      - .actual_access:  read_only
        .address_space:  global
        .offset:         64
        .size:           8
        .value_kind:     global_buffer
      - .offset:         72
        .size:           4
        .value_kind:     by_value
      - .offset:         76
        .size:           4
        .value_kind:     by_value
      - .offset:         80
        .size:           4
        .value_kind:     by_value
      - .actual_access:  write_only
        .address_space:  global
        .offset:         88
        .size:           8
        .value_kind:     global_buffer
      - .actual_access:  write_only
        .address_space:  global
        .offset:         96
        .size:           8
        .value_kind:     global_buffer
      - .actual_access:  write_only
        .address_space:  global
        .offset:         104
        .size:           8
        .value_kind:     global_buffer
      - .actual_access:  read_only
        .address_space:  global
        .offset:         112
        .size:           8
        .value_kind:     global_buffer
      - .offset:         120
        .size:           4
        .value_kind:     by_value
      - .address_space:  global
        .offset:         128
        .size:           8
        .value_kind:     global_buffer
      - .address_space:  global
        .offset:         136
        .size:           8
        .value_kind:     global_buffer
      - .offset:         144
        .size:           4
        .value_kind:     hidden_block_count_x
      - .offset:         148
        .size:           4
        .value_kind:     hidden_block_count_y
      - .offset:         152
        .size:           4
        .value_kind:     hidden_block_count_z
      - .offset:         156
        .size:           2
        .value_kind:     hidden_group_size_x
      - .offset:         158
        .size:           2
        .value_kind:     hidden_group_size_y
      - .offset:         160
        .size:           2
        .value_kind:     hidden_group_size_z
      - .offset:         162
        .size:           2
        .value_kind:     hidden_remainder_x
      - .offset:         164
        .size:           2
        .value_kind:     hidden_remainder_y
      - .offset:         166
        .size:           2
        .value_kind:     hidden_remainder_z
      - .offset:         184
        .size:           8
        .value_kind:     hidden_global_offset_x
      - .offset:         192
        .size:           8
        .value_kind:     hidden_global_offset_y
      - .offset:         200
        .size:           8
        .value_kind:     hidden_global_offset_z
      - .offset:         208
        .size:           2
        .value_kind:     hidden_grid_dims
    .group_segment_fixed_size: 8192
    .kernarg_segment_align: 8
    .kernarg_segment_size: 400
    .language:       OpenCL C
    .language_version:
      - 2
      - 0
    .max_flat_workgroup_size: 256
    .name:           _Z39paged_attention_ll4mi_QKV_mfma16_kernelIDF16_DF16_LN4vllm18Fp8KVCacheDataTypeE0EDF16_Li16ELi64ELi256ELb0ELi13EEvPKT_PKT0_S7_ifPKiS9_S9_iPKfiiiPfSC_PS2_PT2_iSB_SB_
    .private_segment_fixed_size: 0
    .sgpr_count:     54
    .sgpr_spill_count: 0
    .symbol:         _Z39paged_attention_ll4mi_QKV_mfma16_kernelIDF16_DF16_LN4vllm18Fp8KVCacheDataTypeE0EDF16_Li16ELi64ELi256ELb0ELi13EEvPKT_PKT0_S7_ifPKiS9_S9_iPKfiiiPfSC_PS2_PT2_iSB_SB_.kd
    .uniform_work_group_size: 1
    .uses_dynamic_stack: false
    .vgpr_count:     69
    .vgpr_spill_count: 0
    .wavefront_size: 64
  - .agpr_count:     0
    .args:
      - .actual_access:  read_only
        .address_space:  global
        .offset:         0
        .size:           8
        .value_kind:     global_buffer
      - .actual_access:  read_only
        .address_space:  global
        .offset:         8
        .size:           8
        .value_kind:     global_buffer
      - .actual_access:  read_only
        .address_space:  global
        .offset:         16
        .size:           8
        .value_kind:     global_buffer
      - .offset:         24
        .size:           4
        .value_kind:     by_value
      - .offset:         28
        .size:           4
        .value_kind:     by_value
      - .actual_access:  read_only
        .address_space:  global
        .offset:         32
        .size:           8
        .value_kind:     global_buffer
      - .actual_access:  read_only
        .address_space:  global
        .offset:         40
        .size:           8
        .value_kind:     global_buffer
      - .actual_access:  read_only
        .address_space:  global
        .offset:         48
        .size:           8
        .value_kind:     global_buffer
      - .offset:         56
        .size:           4
        .value_kind:     by_value
      - .actual_access:  read_only
        .address_space:  global
        .offset:         64
        .size:           8
        .value_kind:     global_buffer
      - .offset:         72
        .size:           4
        .value_kind:     by_value
      - .offset:         76
        .size:           4
        .value_kind:     by_value
      - .offset:         80
        .size:           4
        .value_kind:     by_value
      - .actual_access:  write_only
        .address_space:  global
        .offset:         88
        .size:           8
        .value_kind:     global_buffer
      - .actual_access:  write_only
        .address_space:  global
        .offset:         96
        .size:           8
        .value_kind:     global_buffer
      - .actual_access:  write_only
        .address_space:  global
        .offset:         104
        .size:           8
        .value_kind:     global_buffer
      - .actual_access:  read_only
        .address_space:  global
        .offset:         112
        .size:           8
        .value_kind:     global_buffer
      - .offset:         120
        .size:           4
        .value_kind:     by_value
      - .address_space:  global
        .offset:         128
        .size:           8
        .value_kind:     global_buffer
      - .address_space:  global
        .offset:         136
        .size:           8
        .value_kind:     global_buffer
      - .offset:         144
        .size:           4
        .value_kind:     hidden_block_count_x
      - .offset:         148
        .size:           4
        .value_kind:     hidden_block_count_y
      - .offset:         152
        .size:           4
        .value_kind:     hidden_block_count_z
      - .offset:         156
        .size:           2
        .value_kind:     hidden_group_size_x
      - .offset:         158
        .size:           2
        .value_kind:     hidden_group_size_y
      - .offset:         160
        .size:           2
        .value_kind:     hidden_group_size_z
      - .offset:         162
        .size:           2
        .value_kind:     hidden_remainder_x
      - .offset:         164
        .size:           2
        .value_kind:     hidden_remainder_y
      - .offset:         166
        .size:           2
        .value_kind:     hidden_remainder_z
      - .offset:         184
        .size:           8
        .value_kind:     hidden_global_offset_x
      - .offset:         192
        .size:           8
        .value_kind:     hidden_global_offset_y
      - .offset:         200
        .size:           8
        .value_kind:     hidden_global_offset_z
      - .offset:         208
        .size:           2
        .value_kind:     hidden_grid_dims
    .group_segment_fixed_size: 8192
    .kernarg_segment_align: 8
    .kernarg_segment_size: 400
    .language:       OpenCL C
    .language_version:
      - 2
      - 0
    .max_flat_workgroup_size: 256
    .name:           _Z39paged_attention_ll4mi_QKV_mfma16_kernelIDF16_DF16_LN4vllm18Fp8KVCacheDataTypeE0EDF16_Li16ELi64ELi256ELb0ELi14EEvPKT_PKT0_S7_ifPKiS9_S9_iPKfiiiPfSC_PS2_PT2_iSB_SB_
    .private_segment_fixed_size: 0
    .sgpr_count:     54
    .sgpr_spill_count: 0
    .symbol:         _Z39paged_attention_ll4mi_QKV_mfma16_kernelIDF16_DF16_LN4vllm18Fp8KVCacheDataTypeE0EDF16_Li16ELi64ELi256ELb0ELi14EEvPKT_PKT0_S7_ifPKiS9_S9_iPKfiiiPfSC_PS2_PT2_iSB_SB_.kd
    .uniform_work_group_size: 1
    .uses_dynamic_stack: false
    .vgpr_count:     69
    .vgpr_spill_count: 0
    .wavefront_size: 64
  - .agpr_count:     0
    .args:
      - .actual_access:  read_only
        .address_space:  global
        .offset:         0
        .size:           8
        .value_kind:     global_buffer
      - .actual_access:  read_only
        .address_space:  global
        .offset:         8
        .size:           8
        .value_kind:     global_buffer
      - .actual_access:  read_only
        .address_space:  global
        .offset:         16
        .size:           8
        .value_kind:     global_buffer
      - .offset:         24
        .size:           4
        .value_kind:     by_value
      - .offset:         28
        .size:           4
        .value_kind:     by_value
      - .actual_access:  read_only
        .address_space:  global
        .offset:         32
        .size:           8
        .value_kind:     global_buffer
      - .actual_access:  read_only
        .address_space:  global
        .offset:         40
        .size:           8
        .value_kind:     global_buffer
      - .actual_access:  read_only
        .address_space:  global
        .offset:         48
        .size:           8
        .value_kind:     global_buffer
      - .offset:         56
        .size:           4
        .value_kind:     by_value
      - .actual_access:  read_only
        .address_space:  global
        .offset:         64
        .size:           8
        .value_kind:     global_buffer
      - .offset:         72
        .size:           4
        .value_kind:     by_value
      - .offset:         76
        .size:           4
        .value_kind:     by_value
      - .offset:         80
        .size:           4
        .value_kind:     by_value
      - .actual_access:  write_only
        .address_space:  global
        .offset:         88
        .size:           8
        .value_kind:     global_buffer
      - .actual_access:  write_only
        .address_space:  global
        .offset:         96
        .size:           8
        .value_kind:     global_buffer
      - .actual_access:  write_only
        .address_space:  global
        .offset:         104
        .size:           8
        .value_kind:     global_buffer
      - .actual_access:  read_only
        .address_space:  global
        .offset:         112
        .size:           8
        .value_kind:     global_buffer
      - .offset:         120
        .size:           4
        .value_kind:     by_value
      - .address_space:  global
        .offset:         128
        .size:           8
        .value_kind:     global_buffer
      - .address_space:  global
        .offset:         136
        .size:           8
        .value_kind:     global_buffer
      - .offset:         144
        .size:           4
        .value_kind:     hidden_block_count_x
      - .offset:         148
        .size:           4
        .value_kind:     hidden_block_count_y
      - .offset:         152
        .size:           4
        .value_kind:     hidden_block_count_z
      - .offset:         156
        .size:           2
        .value_kind:     hidden_group_size_x
      - .offset:         158
        .size:           2
        .value_kind:     hidden_group_size_y
      - .offset:         160
        .size:           2
        .value_kind:     hidden_group_size_z
      - .offset:         162
        .size:           2
        .value_kind:     hidden_remainder_x
      - .offset:         164
        .size:           2
        .value_kind:     hidden_remainder_y
      - .offset:         166
        .size:           2
        .value_kind:     hidden_remainder_z
      - .offset:         184
        .size:           8
        .value_kind:     hidden_global_offset_x
      - .offset:         192
        .size:           8
        .value_kind:     hidden_global_offset_y
      - .offset:         200
        .size:           8
        .value_kind:     hidden_global_offset_z
      - .offset:         208
        .size:           2
        .value_kind:     hidden_grid_dims
    .group_segment_fixed_size: 8192
    .kernarg_segment_align: 8
    .kernarg_segment_size: 400
    .language:       OpenCL C
    .language_version:
      - 2
      - 0
    .max_flat_workgroup_size: 256
    .name:           _Z39paged_attention_ll4mi_QKV_mfma16_kernelIDF16_DF16_LN4vllm18Fp8KVCacheDataTypeE0EDF16_Li16ELi64ELi256ELb0ELi15EEvPKT_PKT0_S7_ifPKiS9_S9_iPKfiiiPfSC_PS2_PT2_iSB_SB_
    .private_segment_fixed_size: 0
    .sgpr_count:     54
    .sgpr_spill_count: 0
    .symbol:         _Z39paged_attention_ll4mi_QKV_mfma16_kernelIDF16_DF16_LN4vllm18Fp8KVCacheDataTypeE0EDF16_Li16ELi64ELi256ELb0ELi15EEvPKT_PKT0_S7_ifPKiS9_S9_iPKfiiiPfSC_PS2_PT2_iSB_SB_.kd
    .uniform_work_group_size: 1
    .uses_dynamic_stack: false
    .vgpr_count:     69
    .vgpr_spill_count: 0
    .wavefront_size: 64
  - .agpr_count:     0
    .args:
      - .actual_access:  read_only
        .address_space:  global
        .offset:         0
        .size:           8
        .value_kind:     global_buffer
      - .actual_access:  read_only
        .address_space:  global
        .offset:         8
        .size:           8
        .value_kind:     global_buffer
      - .actual_access:  read_only
        .address_space:  global
        .offset:         16
        .size:           8
        .value_kind:     global_buffer
      - .offset:         24
        .size:           4
        .value_kind:     by_value
      - .offset:         28
        .size:           4
        .value_kind:     by_value
      - .actual_access:  read_only
        .address_space:  global
        .offset:         32
        .size:           8
        .value_kind:     global_buffer
      - .actual_access:  read_only
        .address_space:  global
        .offset:         40
        .size:           8
        .value_kind:     global_buffer
      - .actual_access:  read_only
        .address_space:  global
        .offset:         48
        .size:           8
        .value_kind:     global_buffer
      - .offset:         56
        .size:           4
        .value_kind:     by_value
      - .actual_access:  read_only
        .address_space:  global
        .offset:         64
        .size:           8
        .value_kind:     global_buffer
      - .offset:         72
        .size:           4
        .value_kind:     by_value
      - .offset:         76
        .size:           4
        .value_kind:     by_value
      - .offset:         80
        .size:           4
        .value_kind:     by_value
      - .actual_access:  write_only
        .address_space:  global
        .offset:         88
        .size:           8
        .value_kind:     global_buffer
      - .actual_access:  write_only
        .address_space:  global
        .offset:         96
        .size:           8
        .value_kind:     global_buffer
      - .actual_access:  write_only
        .address_space:  global
        .offset:         104
        .size:           8
        .value_kind:     global_buffer
      - .actual_access:  read_only
        .address_space:  global
        .offset:         112
        .size:           8
        .value_kind:     global_buffer
      - .offset:         120
        .size:           4
        .value_kind:     by_value
      - .address_space:  global
        .offset:         128
        .size:           8
        .value_kind:     global_buffer
      - .address_space:  global
        .offset:         136
        .size:           8
        .value_kind:     global_buffer
      - .offset:         144
        .size:           4
        .value_kind:     hidden_block_count_x
      - .offset:         148
        .size:           4
        .value_kind:     hidden_block_count_y
      - .offset:         152
        .size:           4
        .value_kind:     hidden_block_count_z
      - .offset:         156
        .size:           2
        .value_kind:     hidden_group_size_x
      - .offset:         158
        .size:           2
        .value_kind:     hidden_group_size_y
      - .offset:         160
        .size:           2
        .value_kind:     hidden_group_size_z
      - .offset:         162
        .size:           2
        .value_kind:     hidden_remainder_x
      - .offset:         164
        .size:           2
        .value_kind:     hidden_remainder_y
      - .offset:         166
        .size:           2
        .value_kind:     hidden_remainder_z
      - .offset:         184
        .size:           8
        .value_kind:     hidden_global_offset_x
      - .offset:         192
        .size:           8
        .value_kind:     hidden_global_offset_y
      - .offset:         200
        .size:           8
        .value_kind:     hidden_global_offset_z
      - .offset:         208
        .size:           2
        .value_kind:     hidden_grid_dims
    .group_segment_fixed_size: 8192
    .kernarg_segment_align: 8
    .kernarg_segment_size: 400
    .language:       OpenCL C
    .language_version:
      - 2
      - 0
    .max_flat_workgroup_size: 256
    .name:           _Z39paged_attention_ll4mi_QKV_mfma16_kernelIDF16_DF16_LN4vllm18Fp8KVCacheDataTypeE0EDF16_Li16ELi64ELi256ELb0ELi16EEvPKT_PKT0_S7_ifPKiS9_S9_iPKfiiiPfSC_PS2_PT2_iSB_SB_
    .private_segment_fixed_size: 0
    .sgpr_count:     54
    .sgpr_spill_count: 0
    .symbol:         _Z39paged_attention_ll4mi_QKV_mfma16_kernelIDF16_DF16_LN4vllm18Fp8KVCacheDataTypeE0EDF16_Li16ELi64ELi256ELb0ELi16EEvPKT_PKT0_S7_ifPKiS9_S9_iPKfiiiPfSC_PS2_PT2_iSB_SB_.kd
    .uniform_work_group_size: 1
    .uses_dynamic_stack: false
    .vgpr_count:     70
    .vgpr_spill_count: 0
    .wavefront_size: 64
  - .agpr_count:     0
    .args:
      - .actual_access:  read_only
        .address_space:  global
        .offset:         0
        .size:           8
        .value_kind:     global_buffer
      - .actual_access:  read_only
        .address_space:  global
        .offset:         8
        .size:           8
        .value_kind:     global_buffer
      - .actual_access:  read_only
        .address_space:  global
        .offset:         16
        .size:           8
        .value_kind:     global_buffer
      - .offset:         24
        .size:           4
        .value_kind:     by_value
      - .offset:         28
        .size:           4
        .value_kind:     by_value
      - .actual_access:  read_only
        .address_space:  global
        .offset:         32
        .size:           8
        .value_kind:     global_buffer
      - .actual_access:  read_only
        .address_space:  global
        .offset:         40
        .size:           8
        .value_kind:     global_buffer
      - .actual_access:  read_only
        .address_space:  global
        .offset:         48
        .size:           8
        .value_kind:     global_buffer
      - .offset:         56
        .size:           4
        .value_kind:     by_value
      - .actual_access:  read_only
        .address_space:  global
        .offset:         64
        .size:           8
        .value_kind:     global_buffer
      - .offset:         72
        .size:           4
        .value_kind:     by_value
      - .offset:         76
        .size:           4
        .value_kind:     by_value
      - .offset:         80
        .size:           4
        .value_kind:     by_value
      - .actual_access:  write_only
        .address_space:  global
        .offset:         88
        .size:           8
        .value_kind:     global_buffer
      - .actual_access:  write_only
        .address_space:  global
        .offset:         96
        .size:           8
        .value_kind:     global_buffer
      - .actual_access:  write_only
        .address_space:  global
        .offset:         104
        .size:           8
        .value_kind:     global_buffer
      - .actual_access:  read_only
        .address_space:  global
        .offset:         112
        .size:           8
        .value_kind:     global_buffer
      - .offset:         120
        .size:           4
        .value_kind:     by_value
      - .address_space:  global
        .offset:         128
        .size:           8
        .value_kind:     global_buffer
      - .address_space:  global
        .offset:         136
        .size:           8
        .value_kind:     global_buffer
      - .offset:         144
        .size:           4
        .value_kind:     hidden_block_count_x
      - .offset:         148
        .size:           4
        .value_kind:     hidden_block_count_y
      - .offset:         152
        .size:           4
        .value_kind:     hidden_block_count_z
      - .offset:         156
        .size:           2
        .value_kind:     hidden_group_size_x
      - .offset:         158
        .size:           2
        .value_kind:     hidden_group_size_y
      - .offset:         160
        .size:           2
        .value_kind:     hidden_group_size_z
      - .offset:         162
        .size:           2
        .value_kind:     hidden_remainder_x
      - .offset:         164
        .size:           2
        .value_kind:     hidden_remainder_y
      - .offset:         166
        .size:           2
        .value_kind:     hidden_remainder_z
      - .offset:         184
        .size:           8
        .value_kind:     hidden_global_offset_x
      - .offset:         192
        .size:           8
        .value_kind:     hidden_global_offset_y
      - .offset:         200
        .size:           8
        .value_kind:     hidden_global_offset_z
      - .offset:         208
        .size:           2
        .value_kind:     hidden_grid_dims
    .group_segment_fixed_size: 8192
    .kernarg_segment_align: 8
    .kernarg_segment_size: 400
    .language:       OpenCL C
    .language_version:
      - 2
      - 0
    .max_flat_workgroup_size: 256
    .name:           _Z39paged_attention_ll4mi_QKV_mfma16_kernelIDF16_DF16_LN4vllm18Fp8KVCacheDataTypeE0EDF16_Li16ELi64ELi256ELb0ELi1EEvPKT_PKT0_S7_ifPKiS9_S9_iPKfiiiPfSC_PS2_PT2_iSB_SB_
    .private_segment_fixed_size: 0
    .sgpr_count:     54
    .sgpr_spill_count: 0
    .symbol:         _Z39paged_attention_ll4mi_QKV_mfma16_kernelIDF16_DF16_LN4vllm18Fp8KVCacheDataTypeE0EDF16_Li16ELi64ELi256ELb0ELi1EEvPKT_PKT0_S7_ifPKiS9_S9_iPKfiiiPfSC_PS2_PT2_iSB_SB_.kd
    .uniform_work_group_size: 1
    .uses_dynamic_stack: false
    .vgpr_count:     67
    .vgpr_spill_count: 0
    .wavefront_size: 64
  - .agpr_count:     0
    .args:
      - .actual_access:  read_only
        .address_space:  global
        .offset:         0
        .size:           8
        .value_kind:     global_buffer
      - .actual_access:  read_only
        .address_space:  global
        .offset:         8
        .size:           8
        .value_kind:     global_buffer
      - .actual_access:  read_only
        .address_space:  global
        .offset:         16
        .size:           8
        .value_kind:     global_buffer
      - .offset:         24
        .size:           4
        .value_kind:     by_value
      - .offset:         28
        .size:           4
        .value_kind:     by_value
      - .actual_access:  read_only
        .address_space:  global
        .offset:         32
        .size:           8
        .value_kind:     global_buffer
      - .actual_access:  read_only
        .address_space:  global
        .offset:         40
        .size:           8
        .value_kind:     global_buffer
      - .actual_access:  read_only
        .address_space:  global
        .offset:         48
        .size:           8
        .value_kind:     global_buffer
      - .offset:         56
        .size:           4
        .value_kind:     by_value
      - .actual_access:  read_only
        .address_space:  global
        .offset:         64
        .size:           8
        .value_kind:     global_buffer
      - .offset:         72
        .size:           4
        .value_kind:     by_value
      - .offset:         76
        .size:           4
        .value_kind:     by_value
      - .offset:         80
        .size:           4
        .value_kind:     by_value
      - .actual_access:  write_only
        .address_space:  global
        .offset:         88
        .size:           8
        .value_kind:     global_buffer
      - .actual_access:  write_only
        .address_space:  global
        .offset:         96
        .size:           8
        .value_kind:     global_buffer
      - .actual_access:  write_only
        .address_space:  global
        .offset:         104
        .size:           8
        .value_kind:     global_buffer
      - .actual_access:  read_only
        .address_space:  global
        .offset:         112
        .size:           8
        .value_kind:     global_buffer
      - .offset:         120
        .size:           4
        .value_kind:     by_value
      - .address_space:  global
        .offset:         128
        .size:           8
        .value_kind:     global_buffer
      - .address_space:  global
        .offset:         136
        .size:           8
        .value_kind:     global_buffer
      - .offset:         144
        .size:           4
        .value_kind:     hidden_block_count_x
      - .offset:         148
        .size:           4
        .value_kind:     hidden_block_count_y
      - .offset:         152
        .size:           4
        .value_kind:     hidden_block_count_z
      - .offset:         156
        .size:           2
        .value_kind:     hidden_group_size_x
      - .offset:         158
        .size:           2
        .value_kind:     hidden_group_size_y
      - .offset:         160
        .size:           2
        .value_kind:     hidden_group_size_z
      - .offset:         162
        .size:           2
        .value_kind:     hidden_remainder_x
      - .offset:         164
        .size:           2
        .value_kind:     hidden_remainder_y
      - .offset:         166
        .size:           2
        .value_kind:     hidden_remainder_z
      - .offset:         184
        .size:           8
        .value_kind:     hidden_global_offset_x
      - .offset:         192
        .size:           8
        .value_kind:     hidden_global_offset_y
      - .offset:         200
        .size:           8
        .value_kind:     hidden_global_offset_z
      - .offset:         208
        .size:           2
        .value_kind:     hidden_grid_dims
    .group_segment_fixed_size: 8192
    .kernarg_segment_align: 8
    .kernarg_segment_size: 400
    .language:       OpenCL C
    .language_version:
      - 2
      - 0
    .max_flat_workgroup_size: 256
    .name:           _Z39paged_attention_ll4mi_QKV_mfma16_kernelIDF16_DF16_LN4vllm18Fp8KVCacheDataTypeE0EDF16_Li16ELi64ELi256ELb0ELi2EEvPKT_PKT0_S7_ifPKiS9_S9_iPKfiiiPfSC_PS2_PT2_iSB_SB_
    .private_segment_fixed_size: 0
    .sgpr_count:     54
    .sgpr_spill_count: 0
    .symbol:         _Z39paged_attention_ll4mi_QKV_mfma16_kernelIDF16_DF16_LN4vllm18Fp8KVCacheDataTypeE0EDF16_Li16ELi64ELi256ELb0ELi2EEvPKT_PKT0_S7_ifPKiS9_S9_iPKfiiiPfSC_PS2_PT2_iSB_SB_.kd
    .uniform_work_group_size: 1
    .uses_dynamic_stack: false
    .vgpr_count:     69
    .vgpr_spill_count: 0
    .wavefront_size: 64
  - .agpr_count:     0
    .args:
      - .actual_access:  read_only
        .address_space:  global
        .offset:         0
        .size:           8
        .value_kind:     global_buffer
      - .actual_access:  read_only
        .address_space:  global
        .offset:         8
        .size:           8
        .value_kind:     global_buffer
      - .actual_access:  read_only
        .address_space:  global
        .offset:         16
        .size:           8
        .value_kind:     global_buffer
      - .offset:         24
        .size:           4
        .value_kind:     by_value
      - .offset:         28
        .size:           4
        .value_kind:     by_value
      - .actual_access:  read_only
        .address_space:  global
        .offset:         32
        .size:           8
        .value_kind:     global_buffer
      - .actual_access:  read_only
        .address_space:  global
        .offset:         40
        .size:           8
        .value_kind:     global_buffer
      - .actual_access:  read_only
        .address_space:  global
        .offset:         48
        .size:           8
        .value_kind:     global_buffer
      - .offset:         56
        .size:           4
        .value_kind:     by_value
      - .actual_access:  read_only
        .address_space:  global
        .offset:         64
        .size:           8
        .value_kind:     global_buffer
      - .offset:         72
        .size:           4
        .value_kind:     by_value
      - .offset:         76
        .size:           4
        .value_kind:     by_value
      - .offset:         80
        .size:           4
        .value_kind:     by_value
      - .actual_access:  write_only
        .address_space:  global
        .offset:         88
        .size:           8
        .value_kind:     global_buffer
      - .actual_access:  write_only
        .address_space:  global
        .offset:         96
        .size:           8
        .value_kind:     global_buffer
      - .actual_access:  write_only
        .address_space:  global
        .offset:         104
        .size:           8
        .value_kind:     global_buffer
      - .actual_access:  read_only
        .address_space:  global
        .offset:         112
        .size:           8
        .value_kind:     global_buffer
      - .offset:         120
        .size:           4
        .value_kind:     by_value
      - .address_space:  global
        .offset:         128
        .size:           8
        .value_kind:     global_buffer
      - .address_space:  global
        .offset:         136
        .size:           8
        .value_kind:     global_buffer
      - .offset:         144
        .size:           4
        .value_kind:     hidden_block_count_x
      - .offset:         148
        .size:           4
        .value_kind:     hidden_block_count_y
      - .offset:         152
        .size:           4
        .value_kind:     hidden_block_count_z
      - .offset:         156
        .size:           2
        .value_kind:     hidden_group_size_x
      - .offset:         158
        .size:           2
        .value_kind:     hidden_group_size_y
      - .offset:         160
        .size:           2
        .value_kind:     hidden_group_size_z
      - .offset:         162
        .size:           2
        .value_kind:     hidden_remainder_x
      - .offset:         164
        .size:           2
        .value_kind:     hidden_remainder_y
      - .offset:         166
        .size:           2
        .value_kind:     hidden_remainder_z
      - .offset:         184
        .size:           8
        .value_kind:     hidden_global_offset_x
      - .offset:         192
        .size:           8
        .value_kind:     hidden_global_offset_y
      - .offset:         200
        .size:           8
        .value_kind:     hidden_global_offset_z
      - .offset:         208
        .size:           2
        .value_kind:     hidden_grid_dims
    .group_segment_fixed_size: 8192
    .kernarg_segment_align: 8
    .kernarg_segment_size: 400
    .language:       OpenCL C
    .language_version:
      - 2
      - 0
    .max_flat_workgroup_size: 256
    .name:           _Z39paged_attention_ll4mi_QKV_mfma16_kernelIDF16_DF16_LN4vllm18Fp8KVCacheDataTypeE0EDF16_Li16ELi64ELi256ELb0ELi3EEvPKT_PKT0_S7_ifPKiS9_S9_iPKfiiiPfSC_PS2_PT2_iSB_SB_
    .private_segment_fixed_size: 0
    .sgpr_count:     54
    .sgpr_spill_count: 0
    .symbol:         _Z39paged_attention_ll4mi_QKV_mfma16_kernelIDF16_DF16_LN4vllm18Fp8KVCacheDataTypeE0EDF16_Li16ELi64ELi256ELb0ELi3EEvPKT_PKT0_S7_ifPKiS9_S9_iPKfiiiPfSC_PS2_PT2_iSB_SB_.kd
    .uniform_work_group_size: 1
    .uses_dynamic_stack: false
    .vgpr_count:     70
    .vgpr_spill_count: 0
    .wavefront_size: 64
  - .agpr_count:     0
    .args:
      - .actual_access:  read_only
        .address_space:  global
        .offset:         0
        .size:           8
        .value_kind:     global_buffer
      - .actual_access:  read_only
        .address_space:  global
        .offset:         8
        .size:           8
        .value_kind:     global_buffer
      - .actual_access:  read_only
        .address_space:  global
        .offset:         16
        .size:           8
        .value_kind:     global_buffer
      - .offset:         24
        .size:           4
        .value_kind:     by_value
      - .offset:         28
        .size:           4
        .value_kind:     by_value
      - .actual_access:  read_only
        .address_space:  global
        .offset:         32
        .size:           8
        .value_kind:     global_buffer
      - .actual_access:  read_only
        .address_space:  global
        .offset:         40
        .size:           8
        .value_kind:     global_buffer
      - .actual_access:  read_only
        .address_space:  global
        .offset:         48
        .size:           8
        .value_kind:     global_buffer
      - .offset:         56
        .size:           4
        .value_kind:     by_value
      - .actual_access:  read_only
        .address_space:  global
        .offset:         64
        .size:           8
        .value_kind:     global_buffer
      - .offset:         72
        .size:           4
        .value_kind:     by_value
      - .offset:         76
        .size:           4
        .value_kind:     by_value
      - .offset:         80
        .size:           4
        .value_kind:     by_value
      - .actual_access:  write_only
        .address_space:  global
        .offset:         88
        .size:           8
        .value_kind:     global_buffer
      - .actual_access:  write_only
        .address_space:  global
        .offset:         96
        .size:           8
        .value_kind:     global_buffer
      - .actual_access:  write_only
        .address_space:  global
        .offset:         104
        .size:           8
        .value_kind:     global_buffer
      - .actual_access:  read_only
        .address_space:  global
        .offset:         112
        .size:           8
        .value_kind:     global_buffer
      - .offset:         120
        .size:           4
        .value_kind:     by_value
      - .address_space:  global
        .offset:         128
        .size:           8
        .value_kind:     global_buffer
      - .address_space:  global
        .offset:         136
        .size:           8
        .value_kind:     global_buffer
      - .offset:         144
        .size:           4
        .value_kind:     hidden_block_count_x
      - .offset:         148
        .size:           4
        .value_kind:     hidden_block_count_y
      - .offset:         152
        .size:           4
        .value_kind:     hidden_block_count_z
      - .offset:         156
        .size:           2
        .value_kind:     hidden_group_size_x
      - .offset:         158
        .size:           2
        .value_kind:     hidden_group_size_y
      - .offset:         160
        .size:           2
        .value_kind:     hidden_group_size_z
      - .offset:         162
        .size:           2
        .value_kind:     hidden_remainder_x
      - .offset:         164
        .size:           2
        .value_kind:     hidden_remainder_y
      - .offset:         166
        .size:           2
        .value_kind:     hidden_remainder_z
      - .offset:         184
        .size:           8
        .value_kind:     hidden_global_offset_x
      - .offset:         192
        .size:           8
        .value_kind:     hidden_global_offset_y
      - .offset:         200
        .size:           8
        .value_kind:     hidden_global_offset_z
      - .offset:         208
        .size:           2
        .value_kind:     hidden_grid_dims
    .group_segment_fixed_size: 8192
    .kernarg_segment_align: 8
    .kernarg_segment_size: 400
    .language:       OpenCL C
    .language_version:
      - 2
      - 0
    .max_flat_workgroup_size: 256
    .name:           _Z39paged_attention_ll4mi_QKV_mfma16_kernelIDF16_DF16_LN4vllm18Fp8KVCacheDataTypeE0EDF16_Li16ELi64ELi256ELb0ELi4EEvPKT_PKT0_S7_ifPKiS9_S9_iPKfiiiPfSC_PS2_PT2_iSB_SB_
    .private_segment_fixed_size: 0
    .sgpr_count:     52
    .sgpr_spill_count: 0
    .symbol:         _Z39paged_attention_ll4mi_QKV_mfma16_kernelIDF16_DF16_LN4vllm18Fp8KVCacheDataTypeE0EDF16_Li16ELi64ELi256ELb0ELi4EEvPKT_PKT0_S7_ifPKiS9_S9_iPKfiiiPfSC_PS2_PT2_iSB_SB_.kd
    .uniform_work_group_size: 1
    .uses_dynamic_stack: false
    .vgpr_count:     71
    .vgpr_spill_count: 0
    .wavefront_size: 64
  - .agpr_count:     4
    .args:
      - .actual_access:  read_only
        .address_space:  global
        .offset:         0
        .size:           8
        .value_kind:     global_buffer
      - .actual_access:  read_only
        .address_space:  global
        .offset:         8
        .size:           8
        .value_kind:     global_buffer
      - .actual_access:  read_only
        .address_space:  global
        .offset:         16
        .size:           8
        .value_kind:     global_buffer
      - .offset:         24
        .size:           4
        .value_kind:     by_value
      - .offset:         28
        .size:           4
        .value_kind:     by_value
      - .actual_access:  read_only
        .address_space:  global
        .offset:         32
        .size:           8
        .value_kind:     global_buffer
      - .actual_access:  read_only
        .address_space:  global
        .offset:         40
        .size:           8
        .value_kind:     global_buffer
      - .actual_access:  read_only
        .address_space:  global
        .offset:         48
        .size:           8
        .value_kind:     global_buffer
      - .offset:         56
        .size:           4
        .value_kind:     by_value
      - .actual_access:  read_only
        .address_space:  global
        .offset:         64
        .size:           8
        .value_kind:     global_buffer
      - .offset:         72
        .size:           4
        .value_kind:     by_value
      - .offset:         76
        .size:           4
        .value_kind:     by_value
      - .offset:         80
        .size:           4
        .value_kind:     by_value
      - .actual_access:  write_only
        .address_space:  global
        .offset:         88
        .size:           8
        .value_kind:     global_buffer
      - .actual_access:  write_only
        .address_space:  global
        .offset:         96
        .size:           8
        .value_kind:     global_buffer
      - .actual_access:  write_only
        .address_space:  global
        .offset:         104
        .size:           8
        .value_kind:     global_buffer
      - .actual_access:  read_only
        .address_space:  global
        .offset:         112
        .size:           8
        .value_kind:     global_buffer
      - .offset:         120
        .size:           4
        .value_kind:     by_value
      - .address_space:  global
        .offset:         128
        .size:           8
        .value_kind:     global_buffer
      - .address_space:  global
        .offset:         136
        .size:           8
        .value_kind:     global_buffer
      - .offset:         144
        .size:           4
        .value_kind:     hidden_block_count_x
      - .offset:         148
        .size:           4
        .value_kind:     hidden_block_count_y
      - .offset:         152
        .size:           4
        .value_kind:     hidden_block_count_z
      - .offset:         156
        .size:           2
        .value_kind:     hidden_group_size_x
      - .offset:         158
        .size:           2
        .value_kind:     hidden_group_size_y
      - .offset:         160
        .size:           2
        .value_kind:     hidden_group_size_z
      - .offset:         162
        .size:           2
        .value_kind:     hidden_remainder_x
      - .offset:         164
        .size:           2
        .value_kind:     hidden_remainder_y
      - .offset:         166
        .size:           2
        .value_kind:     hidden_remainder_z
      - .offset:         184
        .size:           8
        .value_kind:     hidden_global_offset_x
      - .offset:         192
        .size:           8
        .value_kind:     hidden_global_offset_y
      - .offset:         200
        .size:           8
        .value_kind:     hidden_global_offset_z
      - .offset:         208
        .size:           2
        .value_kind:     hidden_grid_dims
    .group_segment_fixed_size: 2720
    .kernarg_segment_align: 8
    .kernarg_segment_size: 400
    .language:       OpenCL C
    .language_version:
      - 2
      - 0
    .max_flat_workgroup_size: 256
    .name:           _Z38paged_attention_ll4mi_QKV_mfma4_kernelIDF16_DF16_LN4vllm18Fp8KVCacheDataTypeE0EhLi32ELi64ELi256ELb1ELi1EEvPKT_PKT0_S7_ifPKiS9_S9_iPKfiiiPfSC_PS2_PT2_iSB_SB_
    .private_segment_fixed_size: 0
    .sgpr_count:     44
    .sgpr_spill_count: 0
    .symbol:         _Z38paged_attention_ll4mi_QKV_mfma4_kernelIDF16_DF16_LN4vllm18Fp8KVCacheDataTypeE0EhLi32ELi64ELi256ELb1ELi1EEvPKT_PKT0_S7_ifPKiS9_S9_iPKfiiiPfSC_PS2_PT2_iSB_SB_.kd
    .uniform_work_group_size: 1
    .uses_dynamic_stack: false
    .vgpr_count:     60
    .vgpr_spill_count: 0
    .wavefront_size: 64
  - .agpr_count:     4
    .args:
      - .actual_access:  read_only
        .address_space:  global
        .offset:         0
        .size:           8
        .value_kind:     global_buffer
      - .actual_access:  read_only
        .address_space:  global
        .offset:         8
        .size:           8
        .value_kind:     global_buffer
      - .actual_access:  read_only
        .address_space:  global
        .offset:         16
        .size:           8
        .value_kind:     global_buffer
      - .offset:         24
        .size:           4
        .value_kind:     by_value
      - .offset:         28
        .size:           4
        .value_kind:     by_value
      - .actual_access:  read_only
        .address_space:  global
        .offset:         32
        .size:           8
        .value_kind:     global_buffer
      - .actual_access:  read_only
        .address_space:  global
        .offset:         40
        .size:           8
        .value_kind:     global_buffer
      - .actual_access:  read_only
        .address_space:  global
        .offset:         48
        .size:           8
        .value_kind:     global_buffer
      - .offset:         56
        .size:           4
        .value_kind:     by_value
      - .actual_access:  read_only
        .address_space:  global
        .offset:         64
        .size:           8
        .value_kind:     global_buffer
      - .offset:         72
        .size:           4
        .value_kind:     by_value
      - .offset:         76
        .size:           4
        .value_kind:     by_value
      - .offset:         80
        .size:           4
        .value_kind:     by_value
      - .actual_access:  write_only
        .address_space:  global
        .offset:         88
        .size:           8
        .value_kind:     global_buffer
      - .actual_access:  write_only
        .address_space:  global
        .offset:         96
        .size:           8
        .value_kind:     global_buffer
      - .actual_access:  write_only
        .address_space:  global
        .offset:         104
        .size:           8
        .value_kind:     global_buffer
      - .actual_access:  read_only
        .address_space:  global
        .offset:         112
        .size:           8
        .value_kind:     global_buffer
      - .offset:         120
        .size:           4
        .value_kind:     by_value
      - .address_space:  global
        .offset:         128
        .size:           8
        .value_kind:     global_buffer
      - .address_space:  global
        .offset:         136
        .size:           8
        .value_kind:     global_buffer
      - .offset:         144
        .size:           4
        .value_kind:     hidden_block_count_x
      - .offset:         148
        .size:           4
        .value_kind:     hidden_block_count_y
      - .offset:         152
        .size:           4
        .value_kind:     hidden_block_count_z
      - .offset:         156
        .size:           2
        .value_kind:     hidden_group_size_x
      - .offset:         158
        .size:           2
        .value_kind:     hidden_group_size_y
      - .offset:         160
        .size:           2
        .value_kind:     hidden_group_size_z
      - .offset:         162
        .size:           2
        .value_kind:     hidden_remainder_x
      - .offset:         164
        .size:           2
        .value_kind:     hidden_remainder_y
      - .offset:         166
        .size:           2
        .value_kind:     hidden_remainder_z
      - .offset:         184
        .size:           8
        .value_kind:     hidden_global_offset_x
      - .offset:         192
        .size:           8
        .value_kind:     hidden_global_offset_y
      - .offset:         200
        .size:           8
        .value_kind:     hidden_global_offset_z
      - .offset:         208
        .size:           2
        .value_kind:     hidden_grid_dims
    .group_segment_fixed_size: 2720
    .kernarg_segment_align: 8
    .kernarg_segment_size: 400
    .language:       OpenCL C
    .language_version:
      - 2
      - 0
    .max_flat_workgroup_size: 256
    .name:           _Z38paged_attention_ll4mi_QKV_mfma4_kernelIDF16_DF16_LN4vllm18Fp8KVCacheDataTypeE0EhLi32ELi64ELi256ELb1ELi2EEvPKT_PKT0_S7_ifPKiS9_S9_iPKfiiiPfSC_PS2_PT2_iSB_SB_
    .private_segment_fixed_size: 0
    .sgpr_count:     46
    .sgpr_spill_count: 0
    .symbol:         _Z38paged_attention_ll4mi_QKV_mfma4_kernelIDF16_DF16_LN4vllm18Fp8KVCacheDataTypeE0EhLi32ELi64ELi256ELb1ELi2EEvPKT_PKT0_S7_ifPKiS9_S9_iPKfiiiPfSC_PS2_PT2_iSB_SB_.kd
    .uniform_work_group_size: 1
    .uses_dynamic_stack: false
    .vgpr_count:     60
    .vgpr_spill_count: 0
    .wavefront_size: 64
  - .agpr_count:     4
    .args:
      - .actual_access:  read_only
        .address_space:  global
        .offset:         0
        .size:           8
        .value_kind:     global_buffer
      - .actual_access:  read_only
        .address_space:  global
        .offset:         8
        .size:           8
        .value_kind:     global_buffer
      - .actual_access:  read_only
        .address_space:  global
        .offset:         16
        .size:           8
        .value_kind:     global_buffer
      - .offset:         24
        .size:           4
        .value_kind:     by_value
      - .offset:         28
        .size:           4
        .value_kind:     by_value
      - .actual_access:  read_only
        .address_space:  global
        .offset:         32
        .size:           8
        .value_kind:     global_buffer
      - .actual_access:  read_only
        .address_space:  global
        .offset:         40
        .size:           8
        .value_kind:     global_buffer
      - .actual_access:  read_only
        .address_space:  global
        .offset:         48
        .size:           8
        .value_kind:     global_buffer
      - .offset:         56
        .size:           4
        .value_kind:     by_value
      - .actual_access:  read_only
        .address_space:  global
        .offset:         64
        .size:           8
        .value_kind:     global_buffer
      - .offset:         72
        .size:           4
        .value_kind:     by_value
      - .offset:         76
        .size:           4
        .value_kind:     by_value
      - .offset:         80
        .size:           4
        .value_kind:     by_value
      - .actual_access:  write_only
        .address_space:  global
        .offset:         88
        .size:           8
        .value_kind:     global_buffer
      - .actual_access:  write_only
        .address_space:  global
        .offset:         96
        .size:           8
        .value_kind:     global_buffer
      - .actual_access:  write_only
        .address_space:  global
        .offset:         104
        .size:           8
        .value_kind:     global_buffer
      - .actual_access:  read_only
        .address_space:  global
        .offset:         112
        .size:           8
        .value_kind:     global_buffer
      - .offset:         120
        .size:           4
        .value_kind:     by_value
      - .address_space:  global
        .offset:         128
        .size:           8
        .value_kind:     global_buffer
      - .address_space:  global
        .offset:         136
        .size:           8
        .value_kind:     global_buffer
      - .offset:         144
        .size:           4
        .value_kind:     hidden_block_count_x
      - .offset:         148
        .size:           4
        .value_kind:     hidden_block_count_y
      - .offset:         152
        .size:           4
        .value_kind:     hidden_block_count_z
      - .offset:         156
        .size:           2
        .value_kind:     hidden_group_size_x
      - .offset:         158
        .size:           2
        .value_kind:     hidden_group_size_y
      - .offset:         160
        .size:           2
        .value_kind:     hidden_group_size_z
      - .offset:         162
        .size:           2
        .value_kind:     hidden_remainder_x
      - .offset:         164
        .size:           2
        .value_kind:     hidden_remainder_y
      - .offset:         166
        .size:           2
        .value_kind:     hidden_remainder_z
      - .offset:         184
        .size:           8
        .value_kind:     hidden_global_offset_x
      - .offset:         192
        .size:           8
        .value_kind:     hidden_global_offset_y
      - .offset:         200
        .size:           8
        .value_kind:     hidden_global_offset_z
      - .offset:         208
        .size:           2
        .value_kind:     hidden_grid_dims
    .group_segment_fixed_size: 2720
    .kernarg_segment_align: 8
    .kernarg_segment_size: 400
    .language:       OpenCL C
    .language_version:
      - 2
      - 0
    .max_flat_workgroup_size: 256
    .name:           _Z38paged_attention_ll4mi_QKV_mfma4_kernelIDF16_DF16_LN4vllm18Fp8KVCacheDataTypeE0EhLi32ELi64ELi256ELb1ELi3EEvPKT_PKT0_S7_ifPKiS9_S9_iPKfiiiPfSC_PS2_PT2_iSB_SB_
    .private_segment_fixed_size: 0
    .sgpr_count:     46
    .sgpr_spill_count: 0
    .symbol:         _Z38paged_attention_ll4mi_QKV_mfma4_kernelIDF16_DF16_LN4vllm18Fp8KVCacheDataTypeE0EhLi32ELi64ELi256ELb1ELi3EEvPKT_PKT0_S7_ifPKiS9_S9_iPKfiiiPfSC_PS2_PT2_iSB_SB_.kd
    .uniform_work_group_size: 1
    .uses_dynamic_stack: false
    .vgpr_count:     60
    .vgpr_spill_count: 0
    .wavefront_size: 64
  - .agpr_count:     4
    .args:
      - .actual_access:  read_only
        .address_space:  global
        .offset:         0
        .size:           8
        .value_kind:     global_buffer
      - .actual_access:  read_only
        .address_space:  global
        .offset:         8
        .size:           8
        .value_kind:     global_buffer
      - .actual_access:  read_only
        .address_space:  global
        .offset:         16
        .size:           8
        .value_kind:     global_buffer
      - .offset:         24
        .size:           4
        .value_kind:     by_value
      - .offset:         28
        .size:           4
        .value_kind:     by_value
      - .actual_access:  read_only
        .address_space:  global
        .offset:         32
        .size:           8
        .value_kind:     global_buffer
      - .actual_access:  read_only
        .address_space:  global
        .offset:         40
        .size:           8
        .value_kind:     global_buffer
      - .actual_access:  read_only
        .address_space:  global
        .offset:         48
        .size:           8
        .value_kind:     global_buffer
      - .offset:         56
        .size:           4
        .value_kind:     by_value
      - .actual_access:  read_only
        .address_space:  global
        .offset:         64
        .size:           8
        .value_kind:     global_buffer
      - .offset:         72
        .size:           4
        .value_kind:     by_value
      - .offset:         76
        .size:           4
        .value_kind:     by_value
      - .offset:         80
        .size:           4
        .value_kind:     by_value
      - .actual_access:  write_only
        .address_space:  global
        .offset:         88
        .size:           8
        .value_kind:     global_buffer
      - .actual_access:  write_only
        .address_space:  global
        .offset:         96
        .size:           8
        .value_kind:     global_buffer
      - .actual_access:  write_only
        .address_space:  global
        .offset:         104
        .size:           8
        .value_kind:     global_buffer
      - .actual_access:  read_only
        .address_space:  global
        .offset:         112
        .size:           8
        .value_kind:     global_buffer
      - .offset:         120
        .size:           4
        .value_kind:     by_value
      - .address_space:  global
        .offset:         128
        .size:           8
        .value_kind:     global_buffer
      - .address_space:  global
        .offset:         136
        .size:           8
        .value_kind:     global_buffer
      - .offset:         144
        .size:           4
        .value_kind:     hidden_block_count_x
      - .offset:         148
        .size:           4
        .value_kind:     hidden_block_count_y
      - .offset:         152
        .size:           4
        .value_kind:     hidden_block_count_z
      - .offset:         156
        .size:           2
        .value_kind:     hidden_group_size_x
      - .offset:         158
        .size:           2
        .value_kind:     hidden_group_size_y
      - .offset:         160
        .size:           2
        .value_kind:     hidden_group_size_z
      - .offset:         162
        .size:           2
        .value_kind:     hidden_remainder_x
      - .offset:         164
        .size:           2
        .value_kind:     hidden_remainder_y
      - .offset:         166
        .size:           2
        .value_kind:     hidden_remainder_z
      - .offset:         184
        .size:           8
        .value_kind:     hidden_global_offset_x
      - .offset:         192
        .size:           8
        .value_kind:     hidden_global_offset_y
      - .offset:         200
        .size:           8
        .value_kind:     hidden_global_offset_z
      - .offset:         208
        .size:           2
        .value_kind:     hidden_grid_dims
    .group_segment_fixed_size: 2720
    .kernarg_segment_align: 8
    .kernarg_segment_size: 400
    .language:       OpenCL C
    .language_version:
      - 2
      - 0
    .max_flat_workgroup_size: 256
    .name:           _Z38paged_attention_ll4mi_QKV_mfma4_kernelIDF16_DF16_LN4vllm18Fp8KVCacheDataTypeE0EhLi32ELi64ELi256ELb1ELi4EEvPKT_PKT0_S7_ifPKiS9_S9_iPKfiiiPfSC_PS2_PT2_iSB_SB_
    .private_segment_fixed_size: 0
    .sgpr_count:     47
    .sgpr_spill_count: 0
    .symbol:         _Z38paged_attention_ll4mi_QKV_mfma4_kernelIDF16_DF16_LN4vllm18Fp8KVCacheDataTypeE0EhLi32ELi64ELi256ELb1ELi4EEvPKT_PKT0_S7_ifPKiS9_S9_iPKfiiiPfSC_PS2_PT2_iSB_SB_.kd
    .uniform_work_group_size: 1
    .uses_dynamic_stack: false
    .vgpr_count:     72
    .vgpr_spill_count: 0
    .wavefront_size: 64
  - .agpr_count:     0
    .args:
      - .actual_access:  read_only
        .address_space:  global
        .offset:         0
        .size:           8
        .value_kind:     global_buffer
      - .actual_access:  read_only
        .address_space:  global
        .offset:         8
        .size:           8
        .value_kind:     global_buffer
      - .actual_access:  read_only
        .address_space:  global
        .offset:         16
        .size:           8
        .value_kind:     global_buffer
      - .offset:         24
        .size:           4
        .value_kind:     by_value
      - .offset:         28
        .size:           4
        .value_kind:     by_value
      - .actual_access:  read_only
        .address_space:  global
        .offset:         32
        .size:           8
        .value_kind:     global_buffer
      - .actual_access:  read_only
        .address_space:  global
        .offset:         40
        .size:           8
        .value_kind:     global_buffer
      - .actual_access:  read_only
        .address_space:  global
        .offset:         48
        .size:           8
        .value_kind:     global_buffer
      - .offset:         56
        .size:           4
        .value_kind:     by_value
      - .actual_access:  read_only
        .address_space:  global
        .offset:         64
        .size:           8
        .value_kind:     global_buffer
      - .offset:         72
        .size:           4
        .value_kind:     by_value
      - .offset:         76
        .size:           4
        .value_kind:     by_value
      - .offset:         80
        .size:           4
        .value_kind:     by_value
      - .actual_access:  write_only
        .address_space:  global
        .offset:         88
        .size:           8
        .value_kind:     global_buffer
      - .actual_access:  write_only
        .address_space:  global
        .offset:         96
        .size:           8
        .value_kind:     global_buffer
      - .actual_access:  write_only
        .address_space:  global
        .offset:         104
        .size:           8
        .value_kind:     global_buffer
      - .actual_access:  read_only
        .address_space:  global
        .offset:         112
        .size:           8
        .value_kind:     global_buffer
      - .offset:         120
        .size:           4
        .value_kind:     by_value
      - .address_space:  global
        .offset:         128
        .size:           8
        .value_kind:     global_buffer
      - .address_space:  global
        .offset:         136
        .size:           8
        .value_kind:     global_buffer
      - .offset:         144
        .size:           4
        .value_kind:     hidden_block_count_x
      - .offset:         148
        .size:           4
        .value_kind:     hidden_block_count_y
      - .offset:         152
        .size:           4
        .value_kind:     hidden_block_count_z
      - .offset:         156
        .size:           2
        .value_kind:     hidden_group_size_x
      - .offset:         158
        .size:           2
        .value_kind:     hidden_group_size_y
      - .offset:         160
        .size:           2
        .value_kind:     hidden_group_size_z
      - .offset:         162
        .size:           2
        .value_kind:     hidden_remainder_x
      - .offset:         164
        .size:           2
        .value_kind:     hidden_remainder_y
      - .offset:         166
        .size:           2
        .value_kind:     hidden_remainder_z
      - .offset:         184
        .size:           8
        .value_kind:     hidden_global_offset_x
      - .offset:         192
        .size:           8
        .value_kind:     hidden_global_offset_y
      - .offset:         200
        .size:           8
        .value_kind:     hidden_global_offset_z
      - .offset:         208
        .size:           2
        .value_kind:     hidden_grid_dims
    .group_segment_fixed_size: 8192
    .kernarg_segment_align: 8
    .kernarg_segment_size: 400
    .language:       OpenCL C
    .language_version:
      - 2
      - 0
    .max_flat_workgroup_size: 256
    .name:           _Z39paged_attention_ll4mi_QKV_mfma16_kernelIDF16_DF16_LN4vllm18Fp8KVCacheDataTypeE0EhLi32ELi64ELi256ELb1ELi5EEvPKT_PKT0_S7_ifPKiS9_S9_iPKfiiiPfSC_PS2_PT2_iSB_SB_
    .private_segment_fixed_size: 0
    .sgpr_count:     54
    .sgpr_spill_count: 0
    .symbol:         _Z39paged_attention_ll4mi_QKV_mfma16_kernelIDF16_DF16_LN4vllm18Fp8KVCacheDataTypeE0EhLi32ELi64ELi256ELb1ELi5EEvPKT_PKT0_S7_ifPKiS9_S9_iPKfiiiPfSC_PS2_PT2_iSB_SB_.kd
    .uniform_work_group_size: 1
    .uses_dynamic_stack: false
    .vgpr_count:     73
    .vgpr_spill_count: 0
    .wavefront_size: 64
  - .agpr_count:     0
    .args:
      - .actual_access:  read_only
        .address_space:  global
        .offset:         0
        .size:           8
        .value_kind:     global_buffer
      - .actual_access:  read_only
        .address_space:  global
        .offset:         8
        .size:           8
        .value_kind:     global_buffer
      - .actual_access:  read_only
        .address_space:  global
        .offset:         16
        .size:           8
        .value_kind:     global_buffer
      - .offset:         24
        .size:           4
        .value_kind:     by_value
      - .offset:         28
        .size:           4
        .value_kind:     by_value
      - .actual_access:  read_only
        .address_space:  global
        .offset:         32
        .size:           8
        .value_kind:     global_buffer
      - .actual_access:  read_only
        .address_space:  global
        .offset:         40
        .size:           8
        .value_kind:     global_buffer
      - .actual_access:  read_only
        .address_space:  global
        .offset:         48
        .size:           8
        .value_kind:     global_buffer
      - .offset:         56
        .size:           4
        .value_kind:     by_value
      - .actual_access:  read_only
        .address_space:  global
        .offset:         64
        .size:           8
        .value_kind:     global_buffer
      - .offset:         72
        .size:           4
        .value_kind:     by_value
      - .offset:         76
        .size:           4
        .value_kind:     by_value
      - .offset:         80
        .size:           4
        .value_kind:     by_value
      - .actual_access:  write_only
        .address_space:  global
        .offset:         88
        .size:           8
        .value_kind:     global_buffer
      - .actual_access:  write_only
        .address_space:  global
        .offset:         96
        .size:           8
        .value_kind:     global_buffer
      - .actual_access:  write_only
        .address_space:  global
        .offset:         104
        .size:           8
        .value_kind:     global_buffer
      - .actual_access:  read_only
        .address_space:  global
        .offset:         112
        .size:           8
        .value_kind:     global_buffer
      - .offset:         120
        .size:           4
        .value_kind:     by_value
      - .address_space:  global
        .offset:         128
        .size:           8
        .value_kind:     global_buffer
      - .address_space:  global
        .offset:         136
        .size:           8
        .value_kind:     global_buffer
      - .offset:         144
        .size:           4
        .value_kind:     hidden_block_count_x
      - .offset:         148
        .size:           4
        .value_kind:     hidden_block_count_y
      - .offset:         152
        .size:           4
        .value_kind:     hidden_block_count_z
      - .offset:         156
        .size:           2
        .value_kind:     hidden_group_size_x
      - .offset:         158
        .size:           2
        .value_kind:     hidden_group_size_y
      - .offset:         160
        .size:           2
        .value_kind:     hidden_group_size_z
      - .offset:         162
        .size:           2
        .value_kind:     hidden_remainder_x
      - .offset:         164
        .size:           2
        .value_kind:     hidden_remainder_y
      - .offset:         166
        .size:           2
        .value_kind:     hidden_remainder_z
      - .offset:         184
        .size:           8
        .value_kind:     hidden_global_offset_x
      - .offset:         192
        .size:           8
        .value_kind:     hidden_global_offset_y
      - .offset:         200
        .size:           8
        .value_kind:     hidden_global_offset_z
      - .offset:         208
        .size:           2
        .value_kind:     hidden_grid_dims
    .group_segment_fixed_size: 8192
    .kernarg_segment_align: 8
    .kernarg_segment_size: 400
    .language:       OpenCL C
    .language_version:
      - 2
      - 0
    .max_flat_workgroup_size: 256
    .name:           _Z39paged_attention_ll4mi_QKV_mfma16_kernelIDF16_DF16_LN4vllm18Fp8KVCacheDataTypeE0EhLi32ELi64ELi256ELb1ELi6EEvPKT_PKT0_S7_ifPKiS9_S9_iPKfiiiPfSC_PS2_PT2_iSB_SB_
    .private_segment_fixed_size: 0
    .sgpr_count:     54
    .sgpr_spill_count: 0
    .symbol:         _Z39paged_attention_ll4mi_QKV_mfma16_kernelIDF16_DF16_LN4vllm18Fp8KVCacheDataTypeE0EhLi32ELi64ELi256ELb1ELi6EEvPKT_PKT0_S7_ifPKiS9_S9_iPKfiiiPfSC_PS2_PT2_iSB_SB_.kd
    .uniform_work_group_size: 1
    .uses_dynamic_stack: false
    .vgpr_count:     73
    .vgpr_spill_count: 0
    .wavefront_size: 64
  - .agpr_count:     0
    .args:
      - .actual_access:  read_only
        .address_space:  global
        .offset:         0
        .size:           8
        .value_kind:     global_buffer
      - .actual_access:  read_only
        .address_space:  global
        .offset:         8
        .size:           8
        .value_kind:     global_buffer
      - .actual_access:  read_only
        .address_space:  global
        .offset:         16
        .size:           8
        .value_kind:     global_buffer
      - .offset:         24
        .size:           4
        .value_kind:     by_value
      - .offset:         28
        .size:           4
        .value_kind:     by_value
      - .actual_access:  read_only
        .address_space:  global
        .offset:         32
        .size:           8
        .value_kind:     global_buffer
      - .actual_access:  read_only
        .address_space:  global
        .offset:         40
        .size:           8
        .value_kind:     global_buffer
      - .actual_access:  read_only
        .address_space:  global
        .offset:         48
        .size:           8
        .value_kind:     global_buffer
      - .offset:         56
        .size:           4
        .value_kind:     by_value
      - .actual_access:  read_only
        .address_space:  global
        .offset:         64
        .size:           8
        .value_kind:     global_buffer
      - .offset:         72
        .size:           4
        .value_kind:     by_value
      - .offset:         76
        .size:           4
        .value_kind:     by_value
      - .offset:         80
        .size:           4
        .value_kind:     by_value
      - .actual_access:  write_only
        .address_space:  global
        .offset:         88
        .size:           8
        .value_kind:     global_buffer
      - .actual_access:  write_only
        .address_space:  global
        .offset:         96
        .size:           8
        .value_kind:     global_buffer
      - .actual_access:  write_only
        .address_space:  global
        .offset:         104
        .size:           8
        .value_kind:     global_buffer
      - .actual_access:  read_only
        .address_space:  global
        .offset:         112
        .size:           8
        .value_kind:     global_buffer
      - .offset:         120
        .size:           4
        .value_kind:     by_value
      - .address_space:  global
        .offset:         128
        .size:           8
        .value_kind:     global_buffer
      - .address_space:  global
        .offset:         136
        .size:           8
        .value_kind:     global_buffer
      - .offset:         144
        .size:           4
        .value_kind:     hidden_block_count_x
      - .offset:         148
        .size:           4
        .value_kind:     hidden_block_count_y
      - .offset:         152
        .size:           4
        .value_kind:     hidden_block_count_z
      - .offset:         156
        .size:           2
        .value_kind:     hidden_group_size_x
      - .offset:         158
        .size:           2
        .value_kind:     hidden_group_size_y
      - .offset:         160
        .size:           2
        .value_kind:     hidden_group_size_z
      - .offset:         162
        .size:           2
        .value_kind:     hidden_remainder_x
      - .offset:         164
        .size:           2
        .value_kind:     hidden_remainder_y
      - .offset:         166
        .size:           2
        .value_kind:     hidden_remainder_z
      - .offset:         184
        .size:           8
        .value_kind:     hidden_global_offset_x
      - .offset:         192
        .size:           8
        .value_kind:     hidden_global_offset_y
      - .offset:         200
        .size:           8
        .value_kind:     hidden_global_offset_z
      - .offset:         208
        .size:           2
        .value_kind:     hidden_grid_dims
    .group_segment_fixed_size: 8192
    .kernarg_segment_align: 8
    .kernarg_segment_size: 400
    .language:       OpenCL C
    .language_version:
      - 2
      - 0
    .max_flat_workgroup_size: 256
    .name:           _Z39paged_attention_ll4mi_QKV_mfma16_kernelIDF16_DF16_LN4vllm18Fp8KVCacheDataTypeE0EhLi32ELi64ELi256ELb1ELi7EEvPKT_PKT0_S7_ifPKiS9_S9_iPKfiiiPfSC_PS2_PT2_iSB_SB_
    .private_segment_fixed_size: 0
    .sgpr_count:     54
    .sgpr_spill_count: 0
    .symbol:         _Z39paged_attention_ll4mi_QKV_mfma16_kernelIDF16_DF16_LN4vllm18Fp8KVCacheDataTypeE0EhLi32ELi64ELi256ELb1ELi7EEvPKT_PKT0_S7_ifPKiS9_S9_iPKfiiiPfSC_PS2_PT2_iSB_SB_.kd
    .uniform_work_group_size: 1
    .uses_dynamic_stack: false
    .vgpr_count:     73
    .vgpr_spill_count: 0
    .wavefront_size: 64
  - .agpr_count:     0
    .args:
      - .actual_access:  read_only
        .address_space:  global
        .offset:         0
        .size:           8
        .value_kind:     global_buffer
      - .actual_access:  read_only
        .address_space:  global
        .offset:         8
        .size:           8
        .value_kind:     global_buffer
      - .actual_access:  read_only
        .address_space:  global
        .offset:         16
        .size:           8
        .value_kind:     global_buffer
      - .offset:         24
        .size:           4
        .value_kind:     by_value
      - .offset:         28
        .size:           4
        .value_kind:     by_value
      - .actual_access:  read_only
        .address_space:  global
        .offset:         32
        .size:           8
        .value_kind:     global_buffer
      - .actual_access:  read_only
        .address_space:  global
        .offset:         40
        .size:           8
        .value_kind:     global_buffer
      - .actual_access:  read_only
        .address_space:  global
        .offset:         48
        .size:           8
        .value_kind:     global_buffer
      - .offset:         56
        .size:           4
        .value_kind:     by_value
      - .actual_access:  read_only
        .address_space:  global
        .offset:         64
        .size:           8
        .value_kind:     global_buffer
      - .offset:         72
        .size:           4
        .value_kind:     by_value
      - .offset:         76
        .size:           4
        .value_kind:     by_value
      - .offset:         80
        .size:           4
        .value_kind:     by_value
      - .actual_access:  write_only
        .address_space:  global
        .offset:         88
        .size:           8
        .value_kind:     global_buffer
      - .actual_access:  write_only
        .address_space:  global
        .offset:         96
        .size:           8
        .value_kind:     global_buffer
      - .actual_access:  write_only
        .address_space:  global
        .offset:         104
        .size:           8
        .value_kind:     global_buffer
      - .actual_access:  read_only
        .address_space:  global
        .offset:         112
        .size:           8
        .value_kind:     global_buffer
      - .offset:         120
        .size:           4
        .value_kind:     by_value
      - .address_space:  global
        .offset:         128
        .size:           8
        .value_kind:     global_buffer
      - .address_space:  global
        .offset:         136
        .size:           8
        .value_kind:     global_buffer
      - .offset:         144
        .size:           4
        .value_kind:     hidden_block_count_x
      - .offset:         148
        .size:           4
        .value_kind:     hidden_block_count_y
      - .offset:         152
        .size:           4
        .value_kind:     hidden_block_count_z
      - .offset:         156
        .size:           2
        .value_kind:     hidden_group_size_x
      - .offset:         158
        .size:           2
        .value_kind:     hidden_group_size_y
      - .offset:         160
        .size:           2
        .value_kind:     hidden_group_size_z
      - .offset:         162
        .size:           2
        .value_kind:     hidden_remainder_x
      - .offset:         164
        .size:           2
        .value_kind:     hidden_remainder_y
      - .offset:         166
        .size:           2
        .value_kind:     hidden_remainder_z
      - .offset:         184
        .size:           8
        .value_kind:     hidden_global_offset_x
      - .offset:         192
        .size:           8
        .value_kind:     hidden_global_offset_y
      - .offset:         200
        .size:           8
        .value_kind:     hidden_global_offset_z
      - .offset:         208
        .size:           2
        .value_kind:     hidden_grid_dims
    .group_segment_fixed_size: 8192
    .kernarg_segment_align: 8
    .kernarg_segment_size: 400
    .language:       OpenCL C
    .language_version:
      - 2
      - 0
    .max_flat_workgroup_size: 256
    .name:           _Z39paged_attention_ll4mi_QKV_mfma16_kernelIDF16_DF16_LN4vllm18Fp8KVCacheDataTypeE0EhLi32ELi64ELi256ELb1ELi8EEvPKT_PKT0_S7_ifPKiS9_S9_iPKfiiiPfSC_PS2_PT2_iSB_SB_
    .private_segment_fixed_size: 0
    .sgpr_count:     54
    .sgpr_spill_count: 0
    .symbol:         _Z39paged_attention_ll4mi_QKV_mfma16_kernelIDF16_DF16_LN4vllm18Fp8KVCacheDataTypeE0EhLi32ELi64ELi256ELb1ELi8EEvPKT_PKT0_S7_ifPKiS9_S9_iPKfiiiPfSC_PS2_PT2_iSB_SB_.kd
    .uniform_work_group_size: 1
    .uses_dynamic_stack: false
    .vgpr_count:     73
    .vgpr_spill_count: 0
    .wavefront_size: 64
  - .agpr_count:     0
    .args:
      - .actual_access:  read_only
        .address_space:  global
        .offset:         0
        .size:           8
        .value_kind:     global_buffer
      - .actual_access:  read_only
        .address_space:  global
        .offset:         8
        .size:           8
        .value_kind:     global_buffer
      - .actual_access:  read_only
        .address_space:  global
        .offset:         16
        .size:           8
        .value_kind:     global_buffer
      - .offset:         24
        .size:           4
        .value_kind:     by_value
      - .offset:         28
        .size:           4
        .value_kind:     by_value
      - .actual_access:  read_only
        .address_space:  global
        .offset:         32
        .size:           8
        .value_kind:     global_buffer
      - .actual_access:  read_only
        .address_space:  global
        .offset:         40
        .size:           8
        .value_kind:     global_buffer
      - .actual_access:  read_only
        .address_space:  global
        .offset:         48
        .size:           8
        .value_kind:     global_buffer
      - .offset:         56
        .size:           4
        .value_kind:     by_value
      - .actual_access:  read_only
        .address_space:  global
        .offset:         64
        .size:           8
        .value_kind:     global_buffer
      - .offset:         72
        .size:           4
        .value_kind:     by_value
      - .offset:         76
        .size:           4
        .value_kind:     by_value
      - .offset:         80
        .size:           4
        .value_kind:     by_value
      - .actual_access:  write_only
        .address_space:  global
        .offset:         88
        .size:           8
        .value_kind:     global_buffer
      - .actual_access:  write_only
        .address_space:  global
        .offset:         96
        .size:           8
        .value_kind:     global_buffer
      - .actual_access:  write_only
        .address_space:  global
        .offset:         104
        .size:           8
        .value_kind:     global_buffer
      - .actual_access:  read_only
        .address_space:  global
        .offset:         112
        .size:           8
        .value_kind:     global_buffer
      - .offset:         120
        .size:           4
        .value_kind:     by_value
      - .address_space:  global
        .offset:         128
        .size:           8
        .value_kind:     global_buffer
      - .address_space:  global
        .offset:         136
        .size:           8
        .value_kind:     global_buffer
      - .offset:         144
        .size:           4
        .value_kind:     hidden_block_count_x
      - .offset:         148
        .size:           4
        .value_kind:     hidden_block_count_y
      - .offset:         152
        .size:           4
        .value_kind:     hidden_block_count_z
      - .offset:         156
        .size:           2
        .value_kind:     hidden_group_size_x
      - .offset:         158
        .size:           2
        .value_kind:     hidden_group_size_y
      - .offset:         160
        .size:           2
        .value_kind:     hidden_group_size_z
      - .offset:         162
        .size:           2
        .value_kind:     hidden_remainder_x
      - .offset:         164
        .size:           2
        .value_kind:     hidden_remainder_y
      - .offset:         166
        .size:           2
        .value_kind:     hidden_remainder_z
      - .offset:         184
        .size:           8
        .value_kind:     hidden_global_offset_x
      - .offset:         192
        .size:           8
        .value_kind:     hidden_global_offset_y
      - .offset:         200
        .size:           8
        .value_kind:     hidden_global_offset_z
      - .offset:         208
        .size:           2
        .value_kind:     hidden_grid_dims
    .group_segment_fixed_size: 8192
    .kernarg_segment_align: 8
    .kernarg_segment_size: 400
    .language:       OpenCL C
    .language_version:
      - 2
      - 0
    .max_flat_workgroup_size: 256
    .name:           _Z39paged_attention_ll4mi_QKV_mfma16_kernelIDF16_DF16_LN4vllm18Fp8KVCacheDataTypeE0EhLi32ELi64ELi256ELb1ELi9EEvPKT_PKT0_S7_ifPKiS9_S9_iPKfiiiPfSC_PS2_PT2_iSB_SB_
    .private_segment_fixed_size: 0
    .sgpr_count:     54
    .sgpr_spill_count: 0
    .symbol:         _Z39paged_attention_ll4mi_QKV_mfma16_kernelIDF16_DF16_LN4vllm18Fp8KVCacheDataTypeE0EhLi32ELi64ELi256ELb1ELi9EEvPKT_PKT0_S7_ifPKiS9_S9_iPKfiiiPfSC_PS2_PT2_iSB_SB_.kd
    .uniform_work_group_size: 1
    .uses_dynamic_stack: false
    .vgpr_count:     73
    .vgpr_spill_count: 0
    .wavefront_size: 64
  - .agpr_count:     0
    .args:
      - .actual_access:  read_only
        .address_space:  global
        .offset:         0
        .size:           8
        .value_kind:     global_buffer
      - .actual_access:  read_only
        .address_space:  global
        .offset:         8
        .size:           8
        .value_kind:     global_buffer
      - .actual_access:  read_only
        .address_space:  global
        .offset:         16
        .size:           8
        .value_kind:     global_buffer
      - .offset:         24
        .size:           4
        .value_kind:     by_value
      - .offset:         28
        .size:           4
        .value_kind:     by_value
      - .actual_access:  read_only
        .address_space:  global
        .offset:         32
        .size:           8
        .value_kind:     global_buffer
      - .actual_access:  read_only
        .address_space:  global
        .offset:         40
        .size:           8
        .value_kind:     global_buffer
      - .actual_access:  read_only
        .address_space:  global
        .offset:         48
        .size:           8
        .value_kind:     global_buffer
      - .offset:         56
        .size:           4
        .value_kind:     by_value
      - .actual_access:  read_only
        .address_space:  global
        .offset:         64
        .size:           8
        .value_kind:     global_buffer
      - .offset:         72
        .size:           4
        .value_kind:     by_value
      - .offset:         76
        .size:           4
        .value_kind:     by_value
      - .offset:         80
        .size:           4
        .value_kind:     by_value
      - .actual_access:  write_only
        .address_space:  global
        .offset:         88
        .size:           8
        .value_kind:     global_buffer
      - .actual_access:  write_only
        .address_space:  global
        .offset:         96
        .size:           8
        .value_kind:     global_buffer
      - .actual_access:  write_only
        .address_space:  global
        .offset:         104
        .size:           8
        .value_kind:     global_buffer
      - .actual_access:  read_only
        .address_space:  global
        .offset:         112
        .size:           8
        .value_kind:     global_buffer
      - .offset:         120
        .size:           4
        .value_kind:     by_value
      - .address_space:  global
        .offset:         128
        .size:           8
        .value_kind:     global_buffer
      - .address_space:  global
        .offset:         136
        .size:           8
        .value_kind:     global_buffer
      - .offset:         144
        .size:           4
        .value_kind:     hidden_block_count_x
      - .offset:         148
        .size:           4
        .value_kind:     hidden_block_count_y
      - .offset:         152
        .size:           4
        .value_kind:     hidden_block_count_z
      - .offset:         156
        .size:           2
        .value_kind:     hidden_group_size_x
      - .offset:         158
        .size:           2
        .value_kind:     hidden_group_size_y
      - .offset:         160
        .size:           2
        .value_kind:     hidden_group_size_z
      - .offset:         162
        .size:           2
        .value_kind:     hidden_remainder_x
      - .offset:         164
        .size:           2
        .value_kind:     hidden_remainder_y
      - .offset:         166
        .size:           2
        .value_kind:     hidden_remainder_z
      - .offset:         184
        .size:           8
        .value_kind:     hidden_global_offset_x
      - .offset:         192
        .size:           8
        .value_kind:     hidden_global_offset_y
      - .offset:         200
        .size:           8
        .value_kind:     hidden_global_offset_z
      - .offset:         208
        .size:           2
        .value_kind:     hidden_grid_dims
    .group_segment_fixed_size: 8192
    .kernarg_segment_align: 8
    .kernarg_segment_size: 400
    .language:       OpenCL C
    .language_version:
      - 2
      - 0
    .max_flat_workgroup_size: 256
    .name:           _Z39paged_attention_ll4mi_QKV_mfma16_kernelIDF16_DF16_LN4vllm18Fp8KVCacheDataTypeE0EhLi32ELi64ELi256ELb1ELi10EEvPKT_PKT0_S7_ifPKiS9_S9_iPKfiiiPfSC_PS2_PT2_iSB_SB_
    .private_segment_fixed_size: 0
    .sgpr_count:     54
    .sgpr_spill_count: 0
    .symbol:         _Z39paged_attention_ll4mi_QKV_mfma16_kernelIDF16_DF16_LN4vllm18Fp8KVCacheDataTypeE0EhLi32ELi64ELi256ELb1ELi10EEvPKT_PKT0_S7_ifPKiS9_S9_iPKfiiiPfSC_PS2_PT2_iSB_SB_.kd
    .uniform_work_group_size: 1
    .uses_dynamic_stack: false
    .vgpr_count:     73
    .vgpr_spill_count: 0
    .wavefront_size: 64
  - .agpr_count:     0
    .args:
      - .actual_access:  read_only
        .address_space:  global
        .offset:         0
        .size:           8
        .value_kind:     global_buffer
      - .actual_access:  read_only
        .address_space:  global
        .offset:         8
        .size:           8
        .value_kind:     global_buffer
      - .actual_access:  read_only
        .address_space:  global
        .offset:         16
        .size:           8
        .value_kind:     global_buffer
      - .offset:         24
        .size:           4
        .value_kind:     by_value
      - .offset:         28
        .size:           4
        .value_kind:     by_value
      - .actual_access:  read_only
        .address_space:  global
        .offset:         32
        .size:           8
        .value_kind:     global_buffer
      - .actual_access:  read_only
        .address_space:  global
        .offset:         40
        .size:           8
        .value_kind:     global_buffer
      - .actual_access:  read_only
        .address_space:  global
        .offset:         48
        .size:           8
        .value_kind:     global_buffer
      - .offset:         56
        .size:           4
        .value_kind:     by_value
      - .actual_access:  read_only
        .address_space:  global
        .offset:         64
        .size:           8
        .value_kind:     global_buffer
      - .offset:         72
        .size:           4
        .value_kind:     by_value
      - .offset:         76
        .size:           4
        .value_kind:     by_value
      - .offset:         80
        .size:           4
        .value_kind:     by_value
      - .actual_access:  write_only
        .address_space:  global
        .offset:         88
        .size:           8
        .value_kind:     global_buffer
      - .actual_access:  write_only
        .address_space:  global
        .offset:         96
        .size:           8
        .value_kind:     global_buffer
      - .actual_access:  write_only
        .address_space:  global
        .offset:         104
        .size:           8
        .value_kind:     global_buffer
      - .actual_access:  read_only
        .address_space:  global
        .offset:         112
        .size:           8
        .value_kind:     global_buffer
      - .offset:         120
        .size:           4
        .value_kind:     by_value
      - .address_space:  global
        .offset:         128
        .size:           8
        .value_kind:     global_buffer
      - .address_space:  global
        .offset:         136
        .size:           8
        .value_kind:     global_buffer
      - .offset:         144
        .size:           4
        .value_kind:     hidden_block_count_x
      - .offset:         148
        .size:           4
        .value_kind:     hidden_block_count_y
      - .offset:         152
        .size:           4
        .value_kind:     hidden_block_count_z
      - .offset:         156
        .size:           2
        .value_kind:     hidden_group_size_x
      - .offset:         158
        .size:           2
        .value_kind:     hidden_group_size_y
      - .offset:         160
        .size:           2
        .value_kind:     hidden_group_size_z
      - .offset:         162
        .size:           2
        .value_kind:     hidden_remainder_x
      - .offset:         164
        .size:           2
        .value_kind:     hidden_remainder_y
      - .offset:         166
        .size:           2
        .value_kind:     hidden_remainder_z
      - .offset:         184
        .size:           8
        .value_kind:     hidden_global_offset_x
      - .offset:         192
        .size:           8
        .value_kind:     hidden_global_offset_y
      - .offset:         200
        .size:           8
        .value_kind:     hidden_global_offset_z
      - .offset:         208
        .size:           2
        .value_kind:     hidden_grid_dims
    .group_segment_fixed_size: 8192
    .kernarg_segment_align: 8
    .kernarg_segment_size: 400
    .language:       OpenCL C
    .language_version:
      - 2
      - 0
    .max_flat_workgroup_size: 256
    .name:           _Z39paged_attention_ll4mi_QKV_mfma16_kernelIDF16_DF16_LN4vllm18Fp8KVCacheDataTypeE0EhLi32ELi64ELi256ELb1ELi11EEvPKT_PKT0_S7_ifPKiS9_S9_iPKfiiiPfSC_PS2_PT2_iSB_SB_
    .private_segment_fixed_size: 0
    .sgpr_count:     54
    .sgpr_spill_count: 0
    .symbol:         _Z39paged_attention_ll4mi_QKV_mfma16_kernelIDF16_DF16_LN4vllm18Fp8KVCacheDataTypeE0EhLi32ELi64ELi256ELb1ELi11EEvPKT_PKT0_S7_ifPKiS9_S9_iPKfiiiPfSC_PS2_PT2_iSB_SB_.kd
    .uniform_work_group_size: 1
    .uses_dynamic_stack: false
    .vgpr_count:     73
    .vgpr_spill_count: 0
    .wavefront_size: 64
  - .agpr_count:     0
    .args:
      - .actual_access:  read_only
        .address_space:  global
        .offset:         0
        .size:           8
        .value_kind:     global_buffer
      - .actual_access:  read_only
        .address_space:  global
        .offset:         8
        .size:           8
        .value_kind:     global_buffer
      - .actual_access:  read_only
        .address_space:  global
        .offset:         16
        .size:           8
        .value_kind:     global_buffer
      - .offset:         24
        .size:           4
        .value_kind:     by_value
      - .offset:         28
        .size:           4
        .value_kind:     by_value
      - .actual_access:  read_only
        .address_space:  global
        .offset:         32
        .size:           8
        .value_kind:     global_buffer
      - .actual_access:  read_only
        .address_space:  global
        .offset:         40
        .size:           8
        .value_kind:     global_buffer
      - .actual_access:  read_only
        .address_space:  global
        .offset:         48
        .size:           8
        .value_kind:     global_buffer
      - .offset:         56
        .size:           4
        .value_kind:     by_value
      - .actual_access:  read_only
        .address_space:  global
        .offset:         64
        .size:           8
        .value_kind:     global_buffer
      - .offset:         72
        .size:           4
        .value_kind:     by_value
      - .offset:         76
        .size:           4
        .value_kind:     by_value
      - .offset:         80
        .size:           4
        .value_kind:     by_value
      - .actual_access:  write_only
        .address_space:  global
        .offset:         88
        .size:           8
        .value_kind:     global_buffer
      - .actual_access:  write_only
        .address_space:  global
        .offset:         96
        .size:           8
        .value_kind:     global_buffer
      - .actual_access:  write_only
        .address_space:  global
        .offset:         104
        .size:           8
        .value_kind:     global_buffer
      - .actual_access:  read_only
        .address_space:  global
        .offset:         112
        .size:           8
        .value_kind:     global_buffer
      - .offset:         120
        .size:           4
        .value_kind:     by_value
      - .address_space:  global
        .offset:         128
        .size:           8
        .value_kind:     global_buffer
      - .address_space:  global
        .offset:         136
        .size:           8
        .value_kind:     global_buffer
      - .offset:         144
        .size:           4
        .value_kind:     hidden_block_count_x
      - .offset:         148
        .size:           4
        .value_kind:     hidden_block_count_y
      - .offset:         152
        .size:           4
        .value_kind:     hidden_block_count_z
      - .offset:         156
        .size:           2
        .value_kind:     hidden_group_size_x
      - .offset:         158
        .size:           2
        .value_kind:     hidden_group_size_y
      - .offset:         160
        .size:           2
        .value_kind:     hidden_group_size_z
      - .offset:         162
        .size:           2
        .value_kind:     hidden_remainder_x
      - .offset:         164
        .size:           2
        .value_kind:     hidden_remainder_y
      - .offset:         166
        .size:           2
        .value_kind:     hidden_remainder_z
      - .offset:         184
        .size:           8
        .value_kind:     hidden_global_offset_x
      - .offset:         192
        .size:           8
        .value_kind:     hidden_global_offset_y
      - .offset:         200
        .size:           8
        .value_kind:     hidden_global_offset_z
      - .offset:         208
        .size:           2
        .value_kind:     hidden_grid_dims
    .group_segment_fixed_size: 8192
    .kernarg_segment_align: 8
    .kernarg_segment_size: 400
    .language:       OpenCL C
    .language_version:
      - 2
      - 0
    .max_flat_workgroup_size: 256
    .name:           _Z39paged_attention_ll4mi_QKV_mfma16_kernelIDF16_DF16_LN4vllm18Fp8KVCacheDataTypeE0EhLi32ELi64ELi256ELb1ELi12EEvPKT_PKT0_S7_ifPKiS9_S9_iPKfiiiPfSC_PS2_PT2_iSB_SB_
    .private_segment_fixed_size: 0
    .sgpr_count:     54
    .sgpr_spill_count: 0
    .symbol:         _Z39paged_attention_ll4mi_QKV_mfma16_kernelIDF16_DF16_LN4vllm18Fp8KVCacheDataTypeE0EhLi32ELi64ELi256ELb1ELi12EEvPKT_PKT0_S7_ifPKiS9_S9_iPKfiiiPfSC_PS2_PT2_iSB_SB_.kd
    .uniform_work_group_size: 1
    .uses_dynamic_stack: false
    .vgpr_count:     73
    .vgpr_spill_count: 0
    .wavefront_size: 64
  - .agpr_count:     0
    .args:
      - .actual_access:  read_only
        .address_space:  global
        .offset:         0
        .size:           8
        .value_kind:     global_buffer
      - .actual_access:  read_only
        .address_space:  global
        .offset:         8
        .size:           8
        .value_kind:     global_buffer
      - .actual_access:  read_only
        .address_space:  global
        .offset:         16
        .size:           8
        .value_kind:     global_buffer
      - .offset:         24
        .size:           4
        .value_kind:     by_value
      - .offset:         28
        .size:           4
        .value_kind:     by_value
      - .actual_access:  read_only
        .address_space:  global
        .offset:         32
        .size:           8
        .value_kind:     global_buffer
      - .actual_access:  read_only
        .address_space:  global
        .offset:         40
        .size:           8
        .value_kind:     global_buffer
      - .actual_access:  read_only
        .address_space:  global
        .offset:         48
        .size:           8
        .value_kind:     global_buffer
      - .offset:         56
        .size:           4
        .value_kind:     by_value
      - .actual_access:  read_only
        .address_space:  global
        .offset:         64
        .size:           8
        .value_kind:     global_buffer
      - .offset:         72
        .size:           4
        .value_kind:     by_value
      - .offset:         76
        .size:           4
        .value_kind:     by_value
      - .offset:         80
        .size:           4
        .value_kind:     by_value
      - .actual_access:  write_only
        .address_space:  global
        .offset:         88
        .size:           8
        .value_kind:     global_buffer
      - .actual_access:  write_only
        .address_space:  global
        .offset:         96
        .size:           8
        .value_kind:     global_buffer
      - .actual_access:  write_only
        .address_space:  global
        .offset:         104
        .size:           8
        .value_kind:     global_buffer
      - .actual_access:  read_only
        .address_space:  global
        .offset:         112
        .size:           8
        .value_kind:     global_buffer
      - .offset:         120
        .size:           4
        .value_kind:     by_value
      - .address_space:  global
        .offset:         128
        .size:           8
        .value_kind:     global_buffer
      - .address_space:  global
        .offset:         136
        .size:           8
        .value_kind:     global_buffer
      - .offset:         144
        .size:           4
        .value_kind:     hidden_block_count_x
      - .offset:         148
        .size:           4
        .value_kind:     hidden_block_count_y
      - .offset:         152
        .size:           4
        .value_kind:     hidden_block_count_z
      - .offset:         156
        .size:           2
        .value_kind:     hidden_group_size_x
      - .offset:         158
        .size:           2
        .value_kind:     hidden_group_size_y
      - .offset:         160
        .size:           2
        .value_kind:     hidden_group_size_z
      - .offset:         162
        .size:           2
        .value_kind:     hidden_remainder_x
      - .offset:         164
        .size:           2
        .value_kind:     hidden_remainder_y
      - .offset:         166
        .size:           2
        .value_kind:     hidden_remainder_z
      - .offset:         184
        .size:           8
        .value_kind:     hidden_global_offset_x
      - .offset:         192
        .size:           8
        .value_kind:     hidden_global_offset_y
      - .offset:         200
        .size:           8
        .value_kind:     hidden_global_offset_z
      - .offset:         208
        .size:           2
        .value_kind:     hidden_grid_dims
    .group_segment_fixed_size: 8192
    .kernarg_segment_align: 8
    .kernarg_segment_size: 400
    .language:       OpenCL C
    .language_version:
      - 2
      - 0
    .max_flat_workgroup_size: 256
    .name:           _Z39paged_attention_ll4mi_QKV_mfma16_kernelIDF16_DF16_LN4vllm18Fp8KVCacheDataTypeE0EhLi32ELi64ELi256ELb1ELi13EEvPKT_PKT0_S7_ifPKiS9_S9_iPKfiiiPfSC_PS2_PT2_iSB_SB_
    .private_segment_fixed_size: 0
    .sgpr_count:     54
    .sgpr_spill_count: 0
    .symbol:         _Z39paged_attention_ll4mi_QKV_mfma16_kernelIDF16_DF16_LN4vllm18Fp8KVCacheDataTypeE0EhLi32ELi64ELi256ELb1ELi13EEvPKT_PKT0_S7_ifPKiS9_S9_iPKfiiiPfSC_PS2_PT2_iSB_SB_.kd
    .uniform_work_group_size: 1
    .uses_dynamic_stack: false
    .vgpr_count:     73
    .vgpr_spill_count: 0
    .wavefront_size: 64
  - .agpr_count:     0
    .args:
      - .actual_access:  read_only
        .address_space:  global
        .offset:         0
        .size:           8
        .value_kind:     global_buffer
      - .actual_access:  read_only
        .address_space:  global
        .offset:         8
        .size:           8
        .value_kind:     global_buffer
      - .actual_access:  read_only
        .address_space:  global
        .offset:         16
        .size:           8
        .value_kind:     global_buffer
      - .offset:         24
        .size:           4
        .value_kind:     by_value
      - .offset:         28
        .size:           4
        .value_kind:     by_value
      - .actual_access:  read_only
        .address_space:  global
        .offset:         32
        .size:           8
        .value_kind:     global_buffer
      - .actual_access:  read_only
        .address_space:  global
        .offset:         40
        .size:           8
        .value_kind:     global_buffer
      - .actual_access:  read_only
        .address_space:  global
        .offset:         48
        .size:           8
        .value_kind:     global_buffer
      - .offset:         56
        .size:           4
        .value_kind:     by_value
      - .actual_access:  read_only
        .address_space:  global
        .offset:         64
        .size:           8
        .value_kind:     global_buffer
      - .offset:         72
        .size:           4
        .value_kind:     by_value
      - .offset:         76
        .size:           4
        .value_kind:     by_value
      - .offset:         80
        .size:           4
        .value_kind:     by_value
      - .actual_access:  write_only
        .address_space:  global
        .offset:         88
        .size:           8
        .value_kind:     global_buffer
      - .actual_access:  write_only
        .address_space:  global
        .offset:         96
        .size:           8
        .value_kind:     global_buffer
      - .actual_access:  write_only
        .address_space:  global
        .offset:         104
        .size:           8
        .value_kind:     global_buffer
      - .actual_access:  read_only
        .address_space:  global
        .offset:         112
        .size:           8
        .value_kind:     global_buffer
      - .offset:         120
        .size:           4
        .value_kind:     by_value
      - .address_space:  global
        .offset:         128
        .size:           8
        .value_kind:     global_buffer
      - .address_space:  global
        .offset:         136
        .size:           8
        .value_kind:     global_buffer
      - .offset:         144
        .size:           4
        .value_kind:     hidden_block_count_x
      - .offset:         148
        .size:           4
        .value_kind:     hidden_block_count_y
      - .offset:         152
        .size:           4
        .value_kind:     hidden_block_count_z
      - .offset:         156
        .size:           2
        .value_kind:     hidden_group_size_x
      - .offset:         158
        .size:           2
        .value_kind:     hidden_group_size_y
      - .offset:         160
        .size:           2
        .value_kind:     hidden_group_size_z
      - .offset:         162
        .size:           2
        .value_kind:     hidden_remainder_x
      - .offset:         164
        .size:           2
        .value_kind:     hidden_remainder_y
      - .offset:         166
        .size:           2
        .value_kind:     hidden_remainder_z
      - .offset:         184
        .size:           8
        .value_kind:     hidden_global_offset_x
      - .offset:         192
        .size:           8
        .value_kind:     hidden_global_offset_y
      - .offset:         200
        .size:           8
        .value_kind:     hidden_global_offset_z
      - .offset:         208
        .size:           2
        .value_kind:     hidden_grid_dims
    .group_segment_fixed_size: 8192
    .kernarg_segment_align: 8
    .kernarg_segment_size: 400
    .language:       OpenCL C
    .language_version:
      - 2
      - 0
    .max_flat_workgroup_size: 256
    .name:           _Z39paged_attention_ll4mi_QKV_mfma16_kernelIDF16_DF16_LN4vllm18Fp8KVCacheDataTypeE0EhLi32ELi64ELi256ELb1ELi14EEvPKT_PKT0_S7_ifPKiS9_S9_iPKfiiiPfSC_PS2_PT2_iSB_SB_
    .private_segment_fixed_size: 0
    .sgpr_count:     54
    .sgpr_spill_count: 0
    .symbol:         _Z39paged_attention_ll4mi_QKV_mfma16_kernelIDF16_DF16_LN4vllm18Fp8KVCacheDataTypeE0EhLi32ELi64ELi256ELb1ELi14EEvPKT_PKT0_S7_ifPKiS9_S9_iPKfiiiPfSC_PS2_PT2_iSB_SB_.kd
    .uniform_work_group_size: 1
    .uses_dynamic_stack: false
    .vgpr_count:     73
    .vgpr_spill_count: 0
    .wavefront_size: 64
  - .agpr_count:     0
    .args:
      - .actual_access:  read_only
        .address_space:  global
        .offset:         0
        .size:           8
        .value_kind:     global_buffer
      - .actual_access:  read_only
        .address_space:  global
        .offset:         8
        .size:           8
        .value_kind:     global_buffer
      - .actual_access:  read_only
        .address_space:  global
        .offset:         16
        .size:           8
        .value_kind:     global_buffer
      - .offset:         24
        .size:           4
        .value_kind:     by_value
      - .offset:         28
        .size:           4
        .value_kind:     by_value
      - .actual_access:  read_only
        .address_space:  global
        .offset:         32
        .size:           8
        .value_kind:     global_buffer
      - .actual_access:  read_only
        .address_space:  global
        .offset:         40
        .size:           8
        .value_kind:     global_buffer
      - .actual_access:  read_only
        .address_space:  global
        .offset:         48
        .size:           8
        .value_kind:     global_buffer
      - .offset:         56
        .size:           4
        .value_kind:     by_value
      - .actual_access:  read_only
        .address_space:  global
        .offset:         64
        .size:           8
        .value_kind:     global_buffer
      - .offset:         72
        .size:           4
        .value_kind:     by_value
      - .offset:         76
        .size:           4
        .value_kind:     by_value
      - .offset:         80
        .size:           4
        .value_kind:     by_value
      - .actual_access:  write_only
        .address_space:  global
        .offset:         88
        .size:           8
        .value_kind:     global_buffer
      - .actual_access:  write_only
        .address_space:  global
        .offset:         96
        .size:           8
        .value_kind:     global_buffer
      - .actual_access:  write_only
        .address_space:  global
        .offset:         104
        .size:           8
        .value_kind:     global_buffer
      - .actual_access:  read_only
        .address_space:  global
        .offset:         112
        .size:           8
        .value_kind:     global_buffer
      - .offset:         120
        .size:           4
        .value_kind:     by_value
      - .address_space:  global
        .offset:         128
        .size:           8
        .value_kind:     global_buffer
      - .address_space:  global
        .offset:         136
        .size:           8
        .value_kind:     global_buffer
      - .offset:         144
        .size:           4
        .value_kind:     hidden_block_count_x
      - .offset:         148
        .size:           4
        .value_kind:     hidden_block_count_y
      - .offset:         152
        .size:           4
        .value_kind:     hidden_block_count_z
      - .offset:         156
        .size:           2
        .value_kind:     hidden_group_size_x
      - .offset:         158
        .size:           2
        .value_kind:     hidden_group_size_y
      - .offset:         160
        .size:           2
        .value_kind:     hidden_group_size_z
      - .offset:         162
        .size:           2
        .value_kind:     hidden_remainder_x
      - .offset:         164
        .size:           2
        .value_kind:     hidden_remainder_y
      - .offset:         166
        .size:           2
        .value_kind:     hidden_remainder_z
      - .offset:         184
        .size:           8
        .value_kind:     hidden_global_offset_x
      - .offset:         192
        .size:           8
        .value_kind:     hidden_global_offset_y
      - .offset:         200
        .size:           8
        .value_kind:     hidden_global_offset_z
      - .offset:         208
        .size:           2
        .value_kind:     hidden_grid_dims
    .group_segment_fixed_size: 8192
    .kernarg_segment_align: 8
    .kernarg_segment_size: 400
    .language:       OpenCL C
    .language_version:
      - 2
      - 0
    .max_flat_workgroup_size: 256
    .name:           _Z39paged_attention_ll4mi_QKV_mfma16_kernelIDF16_DF16_LN4vllm18Fp8KVCacheDataTypeE0EhLi32ELi64ELi256ELb1ELi15EEvPKT_PKT0_S7_ifPKiS9_S9_iPKfiiiPfSC_PS2_PT2_iSB_SB_
    .private_segment_fixed_size: 0
    .sgpr_count:     54
    .sgpr_spill_count: 0
    .symbol:         _Z39paged_attention_ll4mi_QKV_mfma16_kernelIDF16_DF16_LN4vllm18Fp8KVCacheDataTypeE0EhLi32ELi64ELi256ELb1ELi15EEvPKT_PKT0_S7_ifPKiS9_S9_iPKfiiiPfSC_PS2_PT2_iSB_SB_.kd
    .uniform_work_group_size: 1
    .uses_dynamic_stack: false
    .vgpr_count:     73
    .vgpr_spill_count: 0
    .wavefront_size: 64
  - .agpr_count:     0
    .args:
      - .actual_access:  read_only
        .address_space:  global
        .offset:         0
        .size:           8
        .value_kind:     global_buffer
      - .actual_access:  read_only
        .address_space:  global
        .offset:         8
        .size:           8
        .value_kind:     global_buffer
      - .actual_access:  read_only
        .address_space:  global
        .offset:         16
        .size:           8
        .value_kind:     global_buffer
      - .offset:         24
        .size:           4
        .value_kind:     by_value
      - .offset:         28
        .size:           4
        .value_kind:     by_value
      - .actual_access:  read_only
        .address_space:  global
        .offset:         32
        .size:           8
        .value_kind:     global_buffer
      - .actual_access:  read_only
        .address_space:  global
        .offset:         40
        .size:           8
        .value_kind:     global_buffer
      - .actual_access:  read_only
        .address_space:  global
        .offset:         48
        .size:           8
        .value_kind:     global_buffer
      - .offset:         56
        .size:           4
        .value_kind:     by_value
      - .actual_access:  read_only
        .address_space:  global
        .offset:         64
        .size:           8
        .value_kind:     global_buffer
      - .offset:         72
        .size:           4
        .value_kind:     by_value
      - .offset:         76
        .size:           4
        .value_kind:     by_value
      - .offset:         80
        .size:           4
        .value_kind:     by_value
      - .actual_access:  write_only
        .address_space:  global
        .offset:         88
        .size:           8
        .value_kind:     global_buffer
      - .actual_access:  write_only
        .address_space:  global
        .offset:         96
        .size:           8
        .value_kind:     global_buffer
      - .actual_access:  write_only
        .address_space:  global
        .offset:         104
        .size:           8
        .value_kind:     global_buffer
      - .actual_access:  read_only
        .address_space:  global
        .offset:         112
        .size:           8
        .value_kind:     global_buffer
      - .offset:         120
        .size:           4
        .value_kind:     by_value
      - .address_space:  global
        .offset:         128
        .size:           8
        .value_kind:     global_buffer
      - .address_space:  global
        .offset:         136
        .size:           8
        .value_kind:     global_buffer
      - .offset:         144
        .size:           4
        .value_kind:     hidden_block_count_x
      - .offset:         148
        .size:           4
        .value_kind:     hidden_block_count_y
      - .offset:         152
        .size:           4
        .value_kind:     hidden_block_count_z
      - .offset:         156
        .size:           2
        .value_kind:     hidden_group_size_x
      - .offset:         158
        .size:           2
        .value_kind:     hidden_group_size_y
      - .offset:         160
        .size:           2
        .value_kind:     hidden_group_size_z
      - .offset:         162
        .size:           2
        .value_kind:     hidden_remainder_x
      - .offset:         164
        .size:           2
        .value_kind:     hidden_remainder_y
      - .offset:         166
        .size:           2
        .value_kind:     hidden_remainder_z
      - .offset:         184
        .size:           8
        .value_kind:     hidden_global_offset_x
      - .offset:         192
        .size:           8
        .value_kind:     hidden_global_offset_y
      - .offset:         200
        .size:           8
        .value_kind:     hidden_global_offset_z
      - .offset:         208
        .size:           2
        .value_kind:     hidden_grid_dims
    .group_segment_fixed_size: 8192
    .kernarg_segment_align: 8
    .kernarg_segment_size: 400
    .language:       OpenCL C
    .language_version:
      - 2
      - 0
    .max_flat_workgroup_size: 256
    .name:           _Z39paged_attention_ll4mi_QKV_mfma16_kernelIDF16_DF16_LN4vllm18Fp8KVCacheDataTypeE0EhLi32ELi64ELi256ELb1ELi16EEvPKT_PKT0_S7_ifPKiS9_S9_iPKfiiiPfSC_PS2_PT2_iSB_SB_
    .private_segment_fixed_size: 0
    .sgpr_count:     54
    .sgpr_spill_count: 0
    .symbol:         _Z39paged_attention_ll4mi_QKV_mfma16_kernelIDF16_DF16_LN4vllm18Fp8KVCacheDataTypeE0EhLi32ELi64ELi256ELb1ELi16EEvPKT_PKT0_S7_ifPKiS9_S9_iPKfiiiPfSC_PS2_PT2_iSB_SB_.kd
    .uniform_work_group_size: 1
    .uses_dynamic_stack: false
    .vgpr_count:     68
    .vgpr_spill_count: 0
    .wavefront_size: 64
  - .agpr_count:     0
    .args:
      - .actual_access:  read_only
        .address_space:  global
        .offset:         0
        .size:           8
        .value_kind:     global_buffer
      - .actual_access:  read_only
        .address_space:  global
        .offset:         8
        .size:           8
        .value_kind:     global_buffer
      - .actual_access:  read_only
        .address_space:  global
        .offset:         16
        .size:           8
        .value_kind:     global_buffer
      - .offset:         24
        .size:           4
        .value_kind:     by_value
      - .offset:         28
        .size:           4
        .value_kind:     by_value
      - .actual_access:  read_only
        .address_space:  global
        .offset:         32
        .size:           8
        .value_kind:     global_buffer
      - .actual_access:  read_only
        .address_space:  global
        .offset:         40
        .size:           8
        .value_kind:     global_buffer
      - .actual_access:  read_only
        .address_space:  global
        .offset:         48
        .size:           8
        .value_kind:     global_buffer
      - .offset:         56
        .size:           4
        .value_kind:     by_value
      - .actual_access:  read_only
        .address_space:  global
        .offset:         64
        .size:           8
        .value_kind:     global_buffer
      - .offset:         72
        .size:           4
        .value_kind:     by_value
      - .offset:         76
        .size:           4
        .value_kind:     by_value
      - .offset:         80
        .size:           4
        .value_kind:     by_value
      - .actual_access:  write_only
        .address_space:  global
        .offset:         88
        .size:           8
        .value_kind:     global_buffer
      - .actual_access:  write_only
        .address_space:  global
        .offset:         96
        .size:           8
        .value_kind:     global_buffer
      - .actual_access:  write_only
        .address_space:  global
        .offset:         104
        .size:           8
        .value_kind:     global_buffer
      - .actual_access:  read_only
        .address_space:  global
        .offset:         112
        .size:           8
        .value_kind:     global_buffer
      - .offset:         120
        .size:           4
        .value_kind:     by_value
      - .address_space:  global
        .offset:         128
        .size:           8
        .value_kind:     global_buffer
      - .address_space:  global
        .offset:         136
        .size:           8
        .value_kind:     global_buffer
      - .offset:         144
        .size:           4
        .value_kind:     hidden_block_count_x
      - .offset:         148
        .size:           4
        .value_kind:     hidden_block_count_y
      - .offset:         152
        .size:           4
        .value_kind:     hidden_block_count_z
      - .offset:         156
        .size:           2
        .value_kind:     hidden_group_size_x
      - .offset:         158
        .size:           2
        .value_kind:     hidden_group_size_y
      - .offset:         160
        .size:           2
        .value_kind:     hidden_group_size_z
      - .offset:         162
        .size:           2
        .value_kind:     hidden_remainder_x
      - .offset:         164
        .size:           2
        .value_kind:     hidden_remainder_y
      - .offset:         166
        .size:           2
        .value_kind:     hidden_remainder_z
      - .offset:         184
        .size:           8
        .value_kind:     hidden_global_offset_x
      - .offset:         192
        .size:           8
        .value_kind:     hidden_global_offset_y
      - .offset:         200
        .size:           8
        .value_kind:     hidden_global_offset_z
      - .offset:         208
        .size:           2
        .value_kind:     hidden_grid_dims
    .group_segment_fixed_size: 8192
    .kernarg_segment_align: 8
    .kernarg_segment_size: 400
    .language:       OpenCL C
    .language_version:
      - 2
      - 0
    .max_flat_workgroup_size: 256
    .name:           _Z39paged_attention_ll4mi_QKV_mfma16_kernelIDF16_DF16_LN4vllm18Fp8KVCacheDataTypeE0EhLi32ELi64ELi256ELb1ELi1EEvPKT_PKT0_S7_ifPKiS9_S9_iPKfiiiPfSC_PS2_PT2_iSB_SB_
    .private_segment_fixed_size: 0
    .sgpr_count:     54
    .sgpr_spill_count: 0
    .symbol:         _Z39paged_attention_ll4mi_QKV_mfma16_kernelIDF16_DF16_LN4vllm18Fp8KVCacheDataTypeE0EhLi32ELi64ELi256ELb1ELi1EEvPKT_PKT0_S7_ifPKiS9_S9_iPKfiiiPfSC_PS2_PT2_iSB_SB_.kd
    .uniform_work_group_size: 1
    .uses_dynamic_stack: false
    .vgpr_count:     73
    .vgpr_spill_count: 0
    .wavefront_size: 64
  - .agpr_count:     0
    .args:
      - .actual_access:  read_only
        .address_space:  global
        .offset:         0
        .size:           8
        .value_kind:     global_buffer
      - .actual_access:  read_only
        .address_space:  global
        .offset:         8
        .size:           8
        .value_kind:     global_buffer
      - .actual_access:  read_only
        .address_space:  global
        .offset:         16
        .size:           8
        .value_kind:     global_buffer
      - .offset:         24
        .size:           4
        .value_kind:     by_value
      - .offset:         28
        .size:           4
        .value_kind:     by_value
      - .actual_access:  read_only
        .address_space:  global
        .offset:         32
        .size:           8
        .value_kind:     global_buffer
      - .actual_access:  read_only
        .address_space:  global
        .offset:         40
        .size:           8
        .value_kind:     global_buffer
      - .actual_access:  read_only
        .address_space:  global
        .offset:         48
        .size:           8
        .value_kind:     global_buffer
      - .offset:         56
        .size:           4
        .value_kind:     by_value
      - .actual_access:  read_only
        .address_space:  global
        .offset:         64
        .size:           8
        .value_kind:     global_buffer
      - .offset:         72
        .size:           4
        .value_kind:     by_value
      - .offset:         76
        .size:           4
        .value_kind:     by_value
      - .offset:         80
        .size:           4
        .value_kind:     by_value
      - .actual_access:  write_only
        .address_space:  global
        .offset:         88
        .size:           8
        .value_kind:     global_buffer
      - .actual_access:  write_only
        .address_space:  global
        .offset:         96
        .size:           8
        .value_kind:     global_buffer
      - .actual_access:  write_only
        .address_space:  global
        .offset:         104
        .size:           8
        .value_kind:     global_buffer
      - .actual_access:  read_only
        .address_space:  global
        .offset:         112
        .size:           8
        .value_kind:     global_buffer
      - .offset:         120
        .size:           4
        .value_kind:     by_value
      - .address_space:  global
        .offset:         128
        .size:           8
        .value_kind:     global_buffer
      - .address_space:  global
        .offset:         136
        .size:           8
        .value_kind:     global_buffer
      - .offset:         144
        .size:           4
        .value_kind:     hidden_block_count_x
      - .offset:         148
        .size:           4
        .value_kind:     hidden_block_count_y
      - .offset:         152
        .size:           4
        .value_kind:     hidden_block_count_z
      - .offset:         156
        .size:           2
        .value_kind:     hidden_group_size_x
      - .offset:         158
        .size:           2
        .value_kind:     hidden_group_size_y
      - .offset:         160
        .size:           2
        .value_kind:     hidden_group_size_z
      - .offset:         162
        .size:           2
        .value_kind:     hidden_remainder_x
      - .offset:         164
        .size:           2
        .value_kind:     hidden_remainder_y
      - .offset:         166
        .size:           2
        .value_kind:     hidden_remainder_z
      - .offset:         184
        .size:           8
        .value_kind:     hidden_global_offset_x
      - .offset:         192
        .size:           8
        .value_kind:     hidden_global_offset_y
      - .offset:         200
        .size:           8
        .value_kind:     hidden_global_offset_z
      - .offset:         208
        .size:           2
        .value_kind:     hidden_grid_dims
    .group_segment_fixed_size: 8192
    .kernarg_segment_align: 8
    .kernarg_segment_size: 400
    .language:       OpenCL C
    .language_version:
      - 2
      - 0
    .max_flat_workgroup_size: 256
    .name:           _Z39paged_attention_ll4mi_QKV_mfma16_kernelIDF16_DF16_LN4vllm18Fp8KVCacheDataTypeE0EhLi32ELi64ELi256ELb1ELi2EEvPKT_PKT0_S7_ifPKiS9_S9_iPKfiiiPfSC_PS2_PT2_iSB_SB_
    .private_segment_fixed_size: 0
    .sgpr_count:     54
    .sgpr_spill_count: 0
    .symbol:         _Z39paged_attention_ll4mi_QKV_mfma16_kernelIDF16_DF16_LN4vllm18Fp8KVCacheDataTypeE0EhLi32ELi64ELi256ELb1ELi2EEvPKT_PKT0_S7_ifPKiS9_S9_iPKfiiiPfSC_PS2_PT2_iSB_SB_.kd
    .uniform_work_group_size: 1
    .uses_dynamic_stack: false
    .vgpr_count:     73
    .vgpr_spill_count: 0
    .wavefront_size: 64
  - .agpr_count:     0
    .args:
      - .actual_access:  read_only
        .address_space:  global
        .offset:         0
        .size:           8
        .value_kind:     global_buffer
      - .actual_access:  read_only
        .address_space:  global
        .offset:         8
        .size:           8
        .value_kind:     global_buffer
      - .actual_access:  read_only
        .address_space:  global
        .offset:         16
        .size:           8
        .value_kind:     global_buffer
      - .offset:         24
        .size:           4
        .value_kind:     by_value
      - .offset:         28
        .size:           4
        .value_kind:     by_value
      - .actual_access:  read_only
        .address_space:  global
        .offset:         32
        .size:           8
        .value_kind:     global_buffer
      - .actual_access:  read_only
        .address_space:  global
        .offset:         40
        .size:           8
        .value_kind:     global_buffer
      - .actual_access:  read_only
        .address_space:  global
        .offset:         48
        .size:           8
        .value_kind:     global_buffer
      - .offset:         56
        .size:           4
        .value_kind:     by_value
      - .actual_access:  read_only
        .address_space:  global
        .offset:         64
        .size:           8
        .value_kind:     global_buffer
      - .offset:         72
        .size:           4
        .value_kind:     by_value
      - .offset:         76
        .size:           4
        .value_kind:     by_value
      - .offset:         80
        .size:           4
        .value_kind:     by_value
      - .actual_access:  write_only
        .address_space:  global
        .offset:         88
        .size:           8
        .value_kind:     global_buffer
      - .actual_access:  write_only
        .address_space:  global
        .offset:         96
        .size:           8
        .value_kind:     global_buffer
      - .actual_access:  write_only
        .address_space:  global
        .offset:         104
        .size:           8
        .value_kind:     global_buffer
      - .actual_access:  read_only
        .address_space:  global
        .offset:         112
        .size:           8
        .value_kind:     global_buffer
      - .offset:         120
        .size:           4
        .value_kind:     by_value
      - .address_space:  global
        .offset:         128
        .size:           8
        .value_kind:     global_buffer
      - .address_space:  global
        .offset:         136
        .size:           8
        .value_kind:     global_buffer
      - .offset:         144
        .size:           4
        .value_kind:     hidden_block_count_x
      - .offset:         148
        .size:           4
        .value_kind:     hidden_block_count_y
      - .offset:         152
        .size:           4
        .value_kind:     hidden_block_count_z
      - .offset:         156
        .size:           2
        .value_kind:     hidden_group_size_x
      - .offset:         158
        .size:           2
        .value_kind:     hidden_group_size_y
      - .offset:         160
        .size:           2
        .value_kind:     hidden_group_size_z
      - .offset:         162
        .size:           2
        .value_kind:     hidden_remainder_x
      - .offset:         164
        .size:           2
        .value_kind:     hidden_remainder_y
      - .offset:         166
        .size:           2
        .value_kind:     hidden_remainder_z
      - .offset:         184
        .size:           8
        .value_kind:     hidden_global_offset_x
      - .offset:         192
        .size:           8
        .value_kind:     hidden_global_offset_y
      - .offset:         200
        .size:           8
        .value_kind:     hidden_global_offset_z
      - .offset:         208
        .size:           2
        .value_kind:     hidden_grid_dims
    .group_segment_fixed_size: 8192
    .kernarg_segment_align: 8
    .kernarg_segment_size: 400
    .language:       OpenCL C
    .language_version:
      - 2
      - 0
    .max_flat_workgroup_size: 256
    .name:           _Z39paged_attention_ll4mi_QKV_mfma16_kernelIDF16_DF16_LN4vllm18Fp8KVCacheDataTypeE0EhLi32ELi64ELi256ELb1ELi3EEvPKT_PKT0_S7_ifPKiS9_S9_iPKfiiiPfSC_PS2_PT2_iSB_SB_
    .private_segment_fixed_size: 0
    .sgpr_count:     54
    .sgpr_spill_count: 0
    .symbol:         _Z39paged_attention_ll4mi_QKV_mfma16_kernelIDF16_DF16_LN4vllm18Fp8KVCacheDataTypeE0EhLi32ELi64ELi256ELb1ELi3EEvPKT_PKT0_S7_ifPKiS9_S9_iPKfiiiPfSC_PS2_PT2_iSB_SB_.kd
    .uniform_work_group_size: 1
    .uses_dynamic_stack: false
    .vgpr_count:     74
    .vgpr_spill_count: 0
    .wavefront_size: 64
  - .agpr_count:     0
    .args:
      - .actual_access:  read_only
        .address_space:  global
        .offset:         0
        .size:           8
        .value_kind:     global_buffer
      - .actual_access:  read_only
        .address_space:  global
        .offset:         8
        .size:           8
        .value_kind:     global_buffer
      - .actual_access:  read_only
        .address_space:  global
        .offset:         16
        .size:           8
        .value_kind:     global_buffer
      - .offset:         24
        .size:           4
        .value_kind:     by_value
      - .offset:         28
        .size:           4
        .value_kind:     by_value
      - .actual_access:  read_only
        .address_space:  global
        .offset:         32
        .size:           8
        .value_kind:     global_buffer
      - .actual_access:  read_only
        .address_space:  global
        .offset:         40
        .size:           8
        .value_kind:     global_buffer
      - .actual_access:  read_only
        .address_space:  global
        .offset:         48
        .size:           8
        .value_kind:     global_buffer
      - .offset:         56
        .size:           4
        .value_kind:     by_value
      - .actual_access:  read_only
        .address_space:  global
        .offset:         64
        .size:           8
        .value_kind:     global_buffer
      - .offset:         72
        .size:           4
        .value_kind:     by_value
      - .offset:         76
        .size:           4
        .value_kind:     by_value
      - .offset:         80
        .size:           4
        .value_kind:     by_value
      - .actual_access:  write_only
        .address_space:  global
        .offset:         88
        .size:           8
        .value_kind:     global_buffer
      - .actual_access:  write_only
        .address_space:  global
        .offset:         96
        .size:           8
        .value_kind:     global_buffer
      - .actual_access:  write_only
        .address_space:  global
        .offset:         104
        .size:           8
        .value_kind:     global_buffer
      - .actual_access:  read_only
        .address_space:  global
        .offset:         112
        .size:           8
        .value_kind:     global_buffer
      - .offset:         120
        .size:           4
        .value_kind:     by_value
      - .address_space:  global
        .offset:         128
        .size:           8
        .value_kind:     global_buffer
      - .address_space:  global
        .offset:         136
        .size:           8
        .value_kind:     global_buffer
      - .offset:         144
        .size:           4
        .value_kind:     hidden_block_count_x
      - .offset:         148
        .size:           4
        .value_kind:     hidden_block_count_y
      - .offset:         152
        .size:           4
        .value_kind:     hidden_block_count_z
      - .offset:         156
        .size:           2
        .value_kind:     hidden_group_size_x
      - .offset:         158
        .size:           2
        .value_kind:     hidden_group_size_y
      - .offset:         160
        .size:           2
        .value_kind:     hidden_group_size_z
      - .offset:         162
        .size:           2
        .value_kind:     hidden_remainder_x
      - .offset:         164
        .size:           2
        .value_kind:     hidden_remainder_y
      - .offset:         166
        .size:           2
        .value_kind:     hidden_remainder_z
      - .offset:         184
        .size:           8
        .value_kind:     hidden_global_offset_x
      - .offset:         192
        .size:           8
        .value_kind:     hidden_global_offset_y
      - .offset:         200
        .size:           8
        .value_kind:     hidden_global_offset_z
      - .offset:         208
        .size:           2
        .value_kind:     hidden_grid_dims
    .group_segment_fixed_size: 8192
    .kernarg_segment_align: 8
    .kernarg_segment_size: 400
    .language:       OpenCL C
    .language_version:
      - 2
      - 0
    .max_flat_workgroup_size: 256
    .name:           _Z39paged_attention_ll4mi_QKV_mfma16_kernelIDF16_DF16_LN4vllm18Fp8KVCacheDataTypeE0EhLi32ELi64ELi256ELb1ELi4EEvPKT_PKT0_S7_ifPKiS9_S9_iPKfiiiPfSC_PS2_PT2_iSB_SB_
    .private_segment_fixed_size: 0
    .sgpr_count:     52
    .sgpr_spill_count: 0
    .symbol:         _Z39paged_attention_ll4mi_QKV_mfma16_kernelIDF16_DF16_LN4vllm18Fp8KVCacheDataTypeE0EhLi32ELi64ELi256ELb1ELi4EEvPKT_PKT0_S7_ifPKiS9_S9_iPKfiiiPfSC_PS2_PT2_iSB_SB_.kd
    .uniform_work_group_size: 1
    .uses_dynamic_stack: false
    .vgpr_count:     75
    .vgpr_spill_count: 0
    .wavefront_size: 64
  - .agpr_count:     4
    .args:
      - .actual_access:  read_only
        .address_space:  global
        .offset:         0
        .size:           8
        .value_kind:     global_buffer
      - .actual_access:  read_only
        .address_space:  global
        .offset:         8
        .size:           8
        .value_kind:     global_buffer
      - .actual_access:  read_only
        .address_space:  global
        .offset:         16
        .size:           8
        .value_kind:     global_buffer
      - .offset:         24
        .size:           4
        .value_kind:     by_value
      - .offset:         28
        .size:           4
        .value_kind:     by_value
      - .actual_access:  read_only
        .address_space:  global
        .offset:         32
        .size:           8
        .value_kind:     global_buffer
      - .actual_access:  read_only
        .address_space:  global
        .offset:         40
        .size:           8
        .value_kind:     global_buffer
      - .actual_access:  read_only
        .address_space:  global
        .offset:         48
        .size:           8
        .value_kind:     global_buffer
      - .offset:         56
        .size:           4
        .value_kind:     by_value
      - .actual_access:  read_only
        .address_space:  global
        .offset:         64
        .size:           8
        .value_kind:     global_buffer
      - .offset:         72
        .size:           4
        .value_kind:     by_value
      - .offset:         76
        .size:           4
        .value_kind:     by_value
      - .offset:         80
        .size:           4
        .value_kind:     by_value
      - .actual_access:  write_only
        .address_space:  global
        .offset:         88
        .size:           8
        .value_kind:     global_buffer
      - .actual_access:  write_only
        .address_space:  global
        .offset:         96
        .size:           8
        .value_kind:     global_buffer
      - .actual_access:  write_only
        .address_space:  global
        .offset:         104
        .size:           8
        .value_kind:     global_buffer
      - .actual_access:  read_only
        .address_space:  global
        .offset:         112
        .size:           8
        .value_kind:     global_buffer
      - .offset:         120
        .size:           4
        .value_kind:     by_value
      - .address_space:  global
        .offset:         128
        .size:           8
        .value_kind:     global_buffer
      - .address_space:  global
        .offset:         136
        .size:           8
        .value_kind:     global_buffer
      - .offset:         144
        .size:           4
        .value_kind:     hidden_block_count_x
      - .offset:         148
        .size:           4
        .value_kind:     hidden_block_count_y
      - .offset:         152
        .size:           4
        .value_kind:     hidden_block_count_z
      - .offset:         156
        .size:           2
        .value_kind:     hidden_group_size_x
      - .offset:         158
        .size:           2
        .value_kind:     hidden_group_size_y
      - .offset:         160
        .size:           2
        .value_kind:     hidden_group_size_z
      - .offset:         162
        .size:           2
        .value_kind:     hidden_remainder_x
      - .offset:         164
        .size:           2
        .value_kind:     hidden_remainder_y
      - .offset:         166
        .size:           2
        .value_kind:     hidden_remainder_z
      - .offset:         184
        .size:           8
        .value_kind:     hidden_global_offset_x
      - .offset:         192
        .size:           8
        .value_kind:     hidden_global_offset_y
      - .offset:         200
        .size:           8
        .value_kind:     hidden_global_offset_z
      - .offset:         208
        .size:           2
        .value_kind:     hidden_grid_dims
    .group_segment_fixed_size: 2720
    .kernarg_segment_align: 8
    .kernarg_segment_size: 400
    .language:       OpenCL C
    .language_version:
      - 2
      - 0
    .max_flat_workgroup_size: 256
    .name:           _Z38paged_attention_ll4mi_QKV_mfma4_kernelIDF16_DF16_LN4vllm18Fp8KVCacheDataTypeE0EhLi32ELi64ELi256ELb0ELi1EEvPKT_PKT0_S7_ifPKiS9_S9_iPKfiiiPfSC_PS2_PT2_iSB_SB_
    .private_segment_fixed_size: 0
    .sgpr_count:     44
    .sgpr_spill_count: 0
    .symbol:         _Z38paged_attention_ll4mi_QKV_mfma4_kernelIDF16_DF16_LN4vllm18Fp8KVCacheDataTypeE0EhLi32ELi64ELi256ELb0ELi1EEvPKT_PKT0_S7_ifPKiS9_S9_iPKfiiiPfSC_PS2_PT2_iSB_SB_.kd
    .uniform_work_group_size: 1
    .uses_dynamic_stack: false
    .vgpr_count:     64
    .vgpr_spill_count: 0
    .wavefront_size: 64
  - .agpr_count:     4
    .args:
      - .actual_access:  read_only
        .address_space:  global
        .offset:         0
        .size:           8
        .value_kind:     global_buffer
      - .actual_access:  read_only
        .address_space:  global
        .offset:         8
        .size:           8
        .value_kind:     global_buffer
      - .actual_access:  read_only
        .address_space:  global
        .offset:         16
        .size:           8
        .value_kind:     global_buffer
      - .offset:         24
        .size:           4
        .value_kind:     by_value
      - .offset:         28
        .size:           4
        .value_kind:     by_value
      - .actual_access:  read_only
        .address_space:  global
        .offset:         32
        .size:           8
        .value_kind:     global_buffer
      - .actual_access:  read_only
        .address_space:  global
        .offset:         40
        .size:           8
        .value_kind:     global_buffer
      - .actual_access:  read_only
        .address_space:  global
        .offset:         48
        .size:           8
        .value_kind:     global_buffer
      - .offset:         56
        .size:           4
        .value_kind:     by_value
      - .actual_access:  read_only
        .address_space:  global
        .offset:         64
        .size:           8
        .value_kind:     global_buffer
      - .offset:         72
        .size:           4
        .value_kind:     by_value
      - .offset:         76
        .size:           4
        .value_kind:     by_value
      - .offset:         80
        .size:           4
        .value_kind:     by_value
      - .actual_access:  write_only
        .address_space:  global
        .offset:         88
        .size:           8
        .value_kind:     global_buffer
      - .actual_access:  write_only
        .address_space:  global
        .offset:         96
        .size:           8
        .value_kind:     global_buffer
      - .actual_access:  write_only
        .address_space:  global
        .offset:         104
        .size:           8
        .value_kind:     global_buffer
      - .actual_access:  read_only
        .address_space:  global
        .offset:         112
        .size:           8
        .value_kind:     global_buffer
      - .offset:         120
        .size:           4
        .value_kind:     by_value
      - .address_space:  global
        .offset:         128
        .size:           8
        .value_kind:     global_buffer
      - .address_space:  global
        .offset:         136
        .size:           8
        .value_kind:     global_buffer
      - .offset:         144
        .size:           4
        .value_kind:     hidden_block_count_x
      - .offset:         148
        .size:           4
        .value_kind:     hidden_block_count_y
      - .offset:         152
        .size:           4
        .value_kind:     hidden_block_count_z
      - .offset:         156
        .size:           2
        .value_kind:     hidden_group_size_x
      - .offset:         158
        .size:           2
        .value_kind:     hidden_group_size_y
      - .offset:         160
        .size:           2
        .value_kind:     hidden_group_size_z
      - .offset:         162
        .size:           2
        .value_kind:     hidden_remainder_x
      - .offset:         164
        .size:           2
        .value_kind:     hidden_remainder_y
      - .offset:         166
        .size:           2
        .value_kind:     hidden_remainder_z
      - .offset:         184
        .size:           8
        .value_kind:     hidden_global_offset_x
      - .offset:         192
        .size:           8
        .value_kind:     hidden_global_offset_y
      - .offset:         200
        .size:           8
        .value_kind:     hidden_global_offset_z
      - .offset:         208
        .size:           2
        .value_kind:     hidden_grid_dims
    .group_segment_fixed_size: 2720
    .kernarg_segment_align: 8
    .kernarg_segment_size: 400
    .language:       OpenCL C
    .language_version:
      - 2
      - 0
    .max_flat_workgroup_size: 256
    .name:           _Z38paged_attention_ll4mi_QKV_mfma4_kernelIDF16_DF16_LN4vllm18Fp8KVCacheDataTypeE0EhLi32ELi64ELi256ELb0ELi2EEvPKT_PKT0_S7_ifPKiS9_S9_iPKfiiiPfSC_PS2_PT2_iSB_SB_
    .private_segment_fixed_size: 0
    .sgpr_count:     44
    .sgpr_spill_count: 0
    .symbol:         _Z38paged_attention_ll4mi_QKV_mfma4_kernelIDF16_DF16_LN4vllm18Fp8KVCacheDataTypeE0EhLi32ELi64ELi256ELb0ELi2EEvPKT_PKT0_S7_ifPKiS9_S9_iPKfiiiPfSC_PS2_PT2_iSB_SB_.kd
    .uniform_work_group_size: 1
    .uses_dynamic_stack: false
    .vgpr_count:     64
    .vgpr_spill_count: 0
    .wavefront_size: 64
  - .agpr_count:     4
    .args:
      - .actual_access:  read_only
        .address_space:  global
        .offset:         0
        .size:           8
        .value_kind:     global_buffer
      - .actual_access:  read_only
        .address_space:  global
        .offset:         8
        .size:           8
        .value_kind:     global_buffer
      - .actual_access:  read_only
        .address_space:  global
        .offset:         16
        .size:           8
        .value_kind:     global_buffer
      - .offset:         24
        .size:           4
        .value_kind:     by_value
      - .offset:         28
        .size:           4
        .value_kind:     by_value
      - .actual_access:  read_only
        .address_space:  global
        .offset:         32
        .size:           8
        .value_kind:     global_buffer
      - .actual_access:  read_only
        .address_space:  global
        .offset:         40
        .size:           8
        .value_kind:     global_buffer
      - .actual_access:  read_only
        .address_space:  global
        .offset:         48
        .size:           8
        .value_kind:     global_buffer
      - .offset:         56
        .size:           4
        .value_kind:     by_value
      - .actual_access:  read_only
        .address_space:  global
        .offset:         64
        .size:           8
        .value_kind:     global_buffer
      - .offset:         72
        .size:           4
        .value_kind:     by_value
      - .offset:         76
        .size:           4
        .value_kind:     by_value
      - .offset:         80
        .size:           4
        .value_kind:     by_value
      - .actual_access:  write_only
        .address_space:  global
        .offset:         88
        .size:           8
        .value_kind:     global_buffer
      - .actual_access:  write_only
        .address_space:  global
        .offset:         96
        .size:           8
        .value_kind:     global_buffer
      - .actual_access:  write_only
        .address_space:  global
        .offset:         104
        .size:           8
        .value_kind:     global_buffer
      - .actual_access:  read_only
        .address_space:  global
        .offset:         112
        .size:           8
        .value_kind:     global_buffer
      - .offset:         120
        .size:           4
        .value_kind:     by_value
      - .address_space:  global
        .offset:         128
        .size:           8
        .value_kind:     global_buffer
      - .address_space:  global
        .offset:         136
        .size:           8
        .value_kind:     global_buffer
      - .offset:         144
        .size:           4
        .value_kind:     hidden_block_count_x
      - .offset:         148
        .size:           4
        .value_kind:     hidden_block_count_y
      - .offset:         152
        .size:           4
        .value_kind:     hidden_block_count_z
      - .offset:         156
        .size:           2
        .value_kind:     hidden_group_size_x
      - .offset:         158
        .size:           2
        .value_kind:     hidden_group_size_y
      - .offset:         160
        .size:           2
        .value_kind:     hidden_group_size_z
      - .offset:         162
        .size:           2
        .value_kind:     hidden_remainder_x
      - .offset:         164
        .size:           2
        .value_kind:     hidden_remainder_y
      - .offset:         166
        .size:           2
        .value_kind:     hidden_remainder_z
      - .offset:         184
        .size:           8
        .value_kind:     hidden_global_offset_x
      - .offset:         192
        .size:           8
        .value_kind:     hidden_global_offset_y
      - .offset:         200
        .size:           8
        .value_kind:     hidden_global_offset_z
      - .offset:         208
        .size:           2
        .value_kind:     hidden_grid_dims
    .group_segment_fixed_size: 2720
    .kernarg_segment_align: 8
    .kernarg_segment_size: 400
    .language:       OpenCL C
    .language_version:
      - 2
      - 0
    .max_flat_workgroup_size: 256
    .name:           _Z38paged_attention_ll4mi_QKV_mfma4_kernelIDF16_DF16_LN4vllm18Fp8KVCacheDataTypeE0EhLi32ELi64ELi256ELb0ELi3EEvPKT_PKT0_S7_ifPKiS9_S9_iPKfiiiPfSC_PS2_PT2_iSB_SB_
    .private_segment_fixed_size: 0
    .sgpr_count:     44
    .sgpr_spill_count: 0
    .symbol:         _Z38paged_attention_ll4mi_QKV_mfma4_kernelIDF16_DF16_LN4vllm18Fp8KVCacheDataTypeE0EhLi32ELi64ELi256ELb0ELi3EEvPKT_PKT0_S7_ifPKiS9_S9_iPKfiiiPfSC_PS2_PT2_iSB_SB_.kd
    .uniform_work_group_size: 1
    .uses_dynamic_stack: false
    .vgpr_count:     64
    .vgpr_spill_count: 0
    .wavefront_size: 64
  - .agpr_count:     4
    .args:
      - .actual_access:  read_only
        .address_space:  global
        .offset:         0
        .size:           8
        .value_kind:     global_buffer
      - .actual_access:  read_only
        .address_space:  global
        .offset:         8
        .size:           8
        .value_kind:     global_buffer
      - .actual_access:  read_only
        .address_space:  global
        .offset:         16
        .size:           8
        .value_kind:     global_buffer
      - .offset:         24
        .size:           4
        .value_kind:     by_value
      - .offset:         28
        .size:           4
        .value_kind:     by_value
      - .actual_access:  read_only
        .address_space:  global
        .offset:         32
        .size:           8
        .value_kind:     global_buffer
      - .actual_access:  read_only
        .address_space:  global
        .offset:         40
        .size:           8
        .value_kind:     global_buffer
      - .actual_access:  read_only
        .address_space:  global
        .offset:         48
        .size:           8
        .value_kind:     global_buffer
      - .offset:         56
        .size:           4
        .value_kind:     by_value
      - .actual_access:  read_only
        .address_space:  global
        .offset:         64
        .size:           8
        .value_kind:     global_buffer
      - .offset:         72
        .size:           4
        .value_kind:     by_value
      - .offset:         76
        .size:           4
        .value_kind:     by_value
      - .offset:         80
        .size:           4
        .value_kind:     by_value
      - .actual_access:  write_only
        .address_space:  global
        .offset:         88
        .size:           8
        .value_kind:     global_buffer
      - .actual_access:  write_only
        .address_space:  global
        .offset:         96
        .size:           8
        .value_kind:     global_buffer
      - .actual_access:  write_only
        .address_space:  global
        .offset:         104
        .size:           8
        .value_kind:     global_buffer
      - .actual_access:  read_only
        .address_space:  global
        .offset:         112
        .size:           8
        .value_kind:     global_buffer
      - .offset:         120
        .size:           4
        .value_kind:     by_value
      - .address_space:  global
        .offset:         128
        .size:           8
        .value_kind:     global_buffer
      - .address_space:  global
        .offset:         136
        .size:           8
        .value_kind:     global_buffer
      - .offset:         144
        .size:           4
        .value_kind:     hidden_block_count_x
      - .offset:         148
        .size:           4
        .value_kind:     hidden_block_count_y
      - .offset:         152
        .size:           4
        .value_kind:     hidden_block_count_z
      - .offset:         156
        .size:           2
        .value_kind:     hidden_group_size_x
      - .offset:         158
        .size:           2
        .value_kind:     hidden_group_size_y
      - .offset:         160
        .size:           2
        .value_kind:     hidden_group_size_z
      - .offset:         162
        .size:           2
        .value_kind:     hidden_remainder_x
      - .offset:         164
        .size:           2
        .value_kind:     hidden_remainder_y
      - .offset:         166
        .size:           2
        .value_kind:     hidden_remainder_z
      - .offset:         184
        .size:           8
        .value_kind:     hidden_global_offset_x
      - .offset:         192
        .size:           8
        .value_kind:     hidden_global_offset_y
      - .offset:         200
        .size:           8
        .value_kind:     hidden_global_offset_z
      - .offset:         208
        .size:           2
        .value_kind:     hidden_grid_dims
    .group_segment_fixed_size: 2720
    .kernarg_segment_align: 8
    .kernarg_segment_size: 400
    .language:       OpenCL C
    .language_version:
      - 2
      - 0
    .max_flat_workgroup_size: 256
    .name:           _Z38paged_attention_ll4mi_QKV_mfma4_kernelIDF16_DF16_LN4vllm18Fp8KVCacheDataTypeE0EhLi32ELi64ELi256ELb0ELi4EEvPKT_PKT0_S7_ifPKiS9_S9_iPKfiiiPfSC_PS2_PT2_iSB_SB_
    .private_segment_fixed_size: 0
    .sgpr_count:     44
    .sgpr_spill_count: 0
    .symbol:         _Z38paged_attention_ll4mi_QKV_mfma4_kernelIDF16_DF16_LN4vllm18Fp8KVCacheDataTypeE0EhLi32ELi64ELi256ELb0ELi4EEvPKT_PKT0_S7_ifPKiS9_S9_iPKfiiiPfSC_PS2_PT2_iSB_SB_.kd
    .uniform_work_group_size: 1
    .uses_dynamic_stack: false
    .vgpr_count:     64
    .vgpr_spill_count: 0
    .wavefront_size: 64
  - .agpr_count:     0
    .args:
      - .actual_access:  read_only
        .address_space:  global
        .offset:         0
        .size:           8
        .value_kind:     global_buffer
      - .actual_access:  read_only
        .address_space:  global
        .offset:         8
        .size:           8
        .value_kind:     global_buffer
      - .actual_access:  read_only
        .address_space:  global
        .offset:         16
        .size:           8
        .value_kind:     global_buffer
      - .offset:         24
        .size:           4
        .value_kind:     by_value
      - .offset:         28
        .size:           4
        .value_kind:     by_value
      - .actual_access:  read_only
        .address_space:  global
        .offset:         32
        .size:           8
        .value_kind:     global_buffer
      - .actual_access:  read_only
        .address_space:  global
        .offset:         40
        .size:           8
        .value_kind:     global_buffer
      - .actual_access:  read_only
        .address_space:  global
        .offset:         48
        .size:           8
        .value_kind:     global_buffer
      - .offset:         56
        .size:           4
        .value_kind:     by_value
      - .actual_access:  read_only
        .address_space:  global
        .offset:         64
        .size:           8
        .value_kind:     global_buffer
      - .offset:         72
        .size:           4
        .value_kind:     by_value
      - .offset:         76
        .size:           4
        .value_kind:     by_value
      - .offset:         80
        .size:           4
        .value_kind:     by_value
      - .actual_access:  write_only
        .address_space:  global
        .offset:         88
        .size:           8
        .value_kind:     global_buffer
      - .actual_access:  write_only
        .address_space:  global
        .offset:         96
        .size:           8
        .value_kind:     global_buffer
      - .actual_access:  write_only
        .address_space:  global
        .offset:         104
        .size:           8
        .value_kind:     global_buffer
      - .actual_access:  read_only
        .address_space:  global
        .offset:         112
        .size:           8
        .value_kind:     global_buffer
      - .offset:         120
        .size:           4
        .value_kind:     by_value
      - .address_space:  global
        .offset:         128
        .size:           8
        .value_kind:     global_buffer
      - .address_space:  global
        .offset:         136
        .size:           8
        .value_kind:     global_buffer
      - .offset:         144
        .size:           4
        .value_kind:     hidden_block_count_x
      - .offset:         148
        .size:           4
        .value_kind:     hidden_block_count_y
      - .offset:         152
        .size:           4
        .value_kind:     hidden_block_count_z
      - .offset:         156
        .size:           2
        .value_kind:     hidden_group_size_x
      - .offset:         158
        .size:           2
        .value_kind:     hidden_group_size_y
      - .offset:         160
        .size:           2
        .value_kind:     hidden_group_size_z
      - .offset:         162
        .size:           2
        .value_kind:     hidden_remainder_x
      - .offset:         164
        .size:           2
        .value_kind:     hidden_remainder_y
      - .offset:         166
        .size:           2
        .value_kind:     hidden_remainder_z
      - .offset:         184
        .size:           8
        .value_kind:     hidden_global_offset_x
      - .offset:         192
        .size:           8
        .value_kind:     hidden_global_offset_y
      - .offset:         200
        .size:           8
        .value_kind:     hidden_global_offset_z
      - .offset:         208
        .size:           2
        .value_kind:     hidden_grid_dims
    .group_segment_fixed_size: 8192
    .kernarg_segment_align: 8
    .kernarg_segment_size: 400
    .language:       OpenCL C
    .language_version:
      - 2
      - 0
    .max_flat_workgroup_size: 256
    .name:           _Z39paged_attention_ll4mi_QKV_mfma16_kernelIDF16_DF16_LN4vllm18Fp8KVCacheDataTypeE0EhLi32ELi64ELi256ELb0ELi5EEvPKT_PKT0_S7_ifPKiS9_S9_iPKfiiiPfSC_PS2_PT2_iSB_SB_
    .private_segment_fixed_size: 0
    .sgpr_count:     54
    .sgpr_spill_count: 0
    .symbol:         _Z39paged_attention_ll4mi_QKV_mfma16_kernelIDF16_DF16_LN4vllm18Fp8KVCacheDataTypeE0EhLi32ELi64ELi256ELb0ELi5EEvPKT_PKT0_S7_ifPKiS9_S9_iPKfiiiPfSC_PS2_PT2_iSB_SB_.kd
    .uniform_work_group_size: 1
    .uses_dynamic_stack: false
    .vgpr_count:     67
    .vgpr_spill_count: 0
    .wavefront_size: 64
  - .agpr_count:     0
    .args:
      - .actual_access:  read_only
        .address_space:  global
        .offset:         0
        .size:           8
        .value_kind:     global_buffer
      - .actual_access:  read_only
        .address_space:  global
        .offset:         8
        .size:           8
        .value_kind:     global_buffer
      - .actual_access:  read_only
        .address_space:  global
        .offset:         16
        .size:           8
        .value_kind:     global_buffer
      - .offset:         24
        .size:           4
        .value_kind:     by_value
      - .offset:         28
        .size:           4
        .value_kind:     by_value
      - .actual_access:  read_only
        .address_space:  global
        .offset:         32
        .size:           8
        .value_kind:     global_buffer
      - .actual_access:  read_only
        .address_space:  global
        .offset:         40
        .size:           8
        .value_kind:     global_buffer
      - .actual_access:  read_only
        .address_space:  global
        .offset:         48
        .size:           8
        .value_kind:     global_buffer
      - .offset:         56
        .size:           4
        .value_kind:     by_value
      - .actual_access:  read_only
        .address_space:  global
        .offset:         64
        .size:           8
        .value_kind:     global_buffer
      - .offset:         72
        .size:           4
        .value_kind:     by_value
      - .offset:         76
        .size:           4
        .value_kind:     by_value
      - .offset:         80
        .size:           4
        .value_kind:     by_value
      - .actual_access:  write_only
        .address_space:  global
        .offset:         88
        .size:           8
        .value_kind:     global_buffer
      - .actual_access:  write_only
        .address_space:  global
        .offset:         96
        .size:           8
        .value_kind:     global_buffer
      - .actual_access:  write_only
        .address_space:  global
        .offset:         104
        .size:           8
        .value_kind:     global_buffer
      - .actual_access:  read_only
        .address_space:  global
        .offset:         112
        .size:           8
        .value_kind:     global_buffer
      - .offset:         120
        .size:           4
        .value_kind:     by_value
      - .address_space:  global
        .offset:         128
        .size:           8
        .value_kind:     global_buffer
      - .address_space:  global
        .offset:         136
        .size:           8
        .value_kind:     global_buffer
      - .offset:         144
        .size:           4
        .value_kind:     hidden_block_count_x
      - .offset:         148
        .size:           4
        .value_kind:     hidden_block_count_y
      - .offset:         152
        .size:           4
        .value_kind:     hidden_block_count_z
      - .offset:         156
        .size:           2
        .value_kind:     hidden_group_size_x
      - .offset:         158
        .size:           2
        .value_kind:     hidden_group_size_y
      - .offset:         160
        .size:           2
        .value_kind:     hidden_group_size_z
      - .offset:         162
        .size:           2
        .value_kind:     hidden_remainder_x
      - .offset:         164
        .size:           2
        .value_kind:     hidden_remainder_y
      - .offset:         166
        .size:           2
        .value_kind:     hidden_remainder_z
      - .offset:         184
        .size:           8
        .value_kind:     hidden_global_offset_x
      - .offset:         192
        .size:           8
        .value_kind:     hidden_global_offset_y
      - .offset:         200
        .size:           8
        .value_kind:     hidden_global_offset_z
      - .offset:         208
        .size:           2
        .value_kind:     hidden_grid_dims
    .group_segment_fixed_size: 8192
    .kernarg_segment_align: 8
    .kernarg_segment_size: 400
    .language:       OpenCL C
    .language_version:
      - 2
      - 0
    .max_flat_workgroup_size: 256
    .name:           _Z39paged_attention_ll4mi_QKV_mfma16_kernelIDF16_DF16_LN4vllm18Fp8KVCacheDataTypeE0EhLi32ELi64ELi256ELb0ELi6EEvPKT_PKT0_S7_ifPKiS9_S9_iPKfiiiPfSC_PS2_PT2_iSB_SB_
    .private_segment_fixed_size: 0
    .sgpr_count:     54
    .sgpr_spill_count: 0
    .symbol:         _Z39paged_attention_ll4mi_QKV_mfma16_kernelIDF16_DF16_LN4vllm18Fp8KVCacheDataTypeE0EhLi32ELi64ELi256ELb0ELi6EEvPKT_PKT0_S7_ifPKiS9_S9_iPKfiiiPfSC_PS2_PT2_iSB_SB_.kd
    .uniform_work_group_size: 1
    .uses_dynamic_stack: false
    .vgpr_count:     67
    .vgpr_spill_count: 0
    .wavefront_size: 64
  - .agpr_count:     0
    .args:
      - .actual_access:  read_only
        .address_space:  global
        .offset:         0
        .size:           8
        .value_kind:     global_buffer
      - .actual_access:  read_only
        .address_space:  global
        .offset:         8
        .size:           8
        .value_kind:     global_buffer
      - .actual_access:  read_only
        .address_space:  global
        .offset:         16
        .size:           8
        .value_kind:     global_buffer
      - .offset:         24
        .size:           4
        .value_kind:     by_value
      - .offset:         28
        .size:           4
        .value_kind:     by_value
      - .actual_access:  read_only
        .address_space:  global
        .offset:         32
        .size:           8
        .value_kind:     global_buffer
      - .actual_access:  read_only
        .address_space:  global
        .offset:         40
        .size:           8
        .value_kind:     global_buffer
      - .actual_access:  read_only
        .address_space:  global
        .offset:         48
        .size:           8
        .value_kind:     global_buffer
      - .offset:         56
        .size:           4
        .value_kind:     by_value
      - .actual_access:  read_only
        .address_space:  global
        .offset:         64
        .size:           8
        .value_kind:     global_buffer
      - .offset:         72
        .size:           4
        .value_kind:     by_value
      - .offset:         76
        .size:           4
        .value_kind:     by_value
      - .offset:         80
        .size:           4
        .value_kind:     by_value
      - .actual_access:  write_only
        .address_space:  global
        .offset:         88
        .size:           8
        .value_kind:     global_buffer
      - .actual_access:  write_only
        .address_space:  global
        .offset:         96
        .size:           8
        .value_kind:     global_buffer
      - .actual_access:  write_only
        .address_space:  global
        .offset:         104
        .size:           8
        .value_kind:     global_buffer
      - .actual_access:  read_only
        .address_space:  global
        .offset:         112
        .size:           8
        .value_kind:     global_buffer
      - .offset:         120
        .size:           4
        .value_kind:     by_value
      - .address_space:  global
        .offset:         128
        .size:           8
        .value_kind:     global_buffer
      - .address_space:  global
        .offset:         136
        .size:           8
        .value_kind:     global_buffer
      - .offset:         144
        .size:           4
        .value_kind:     hidden_block_count_x
      - .offset:         148
        .size:           4
        .value_kind:     hidden_block_count_y
      - .offset:         152
        .size:           4
        .value_kind:     hidden_block_count_z
      - .offset:         156
        .size:           2
        .value_kind:     hidden_group_size_x
      - .offset:         158
        .size:           2
        .value_kind:     hidden_group_size_y
      - .offset:         160
        .size:           2
        .value_kind:     hidden_group_size_z
      - .offset:         162
        .size:           2
        .value_kind:     hidden_remainder_x
      - .offset:         164
        .size:           2
        .value_kind:     hidden_remainder_y
      - .offset:         166
        .size:           2
        .value_kind:     hidden_remainder_z
      - .offset:         184
        .size:           8
        .value_kind:     hidden_global_offset_x
      - .offset:         192
        .size:           8
        .value_kind:     hidden_global_offset_y
      - .offset:         200
        .size:           8
        .value_kind:     hidden_global_offset_z
      - .offset:         208
        .size:           2
        .value_kind:     hidden_grid_dims
    .group_segment_fixed_size: 8192
    .kernarg_segment_align: 8
    .kernarg_segment_size: 400
    .language:       OpenCL C
    .language_version:
      - 2
      - 0
    .max_flat_workgroup_size: 256
    .name:           _Z39paged_attention_ll4mi_QKV_mfma16_kernelIDF16_DF16_LN4vllm18Fp8KVCacheDataTypeE0EhLi32ELi64ELi256ELb0ELi7EEvPKT_PKT0_S7_ifPKiS9_S9_iPKfiiiPfSC_PS2_PT2_iSB_SB_
    .private_segment_fixed_size: 0
    .sgpr_count:     54
    .sgpr_spill_count: 0
    .symbol:         _Z39paged_attention_ll4mi_QKV_mfma16_kernelIDF16_DF16_LN4vllm18Fp8KVCacheDataTypeE0EhLi32ELi64ELi256ELb0ELi7EEvPKT_PKT0_S7_ifPKiS9_S9_iPKfiiiPfSC_PS2_PT2_iSB_SB_.kd
    .uniform_work_group_size: 1
    .uses_dynamic_stack: false
    .vgpr_count:     67
    .vgpr_spill_count: 0
    .wavefront_size: 64
  - .agpr_count:     0
    .args:
      - .actual_access:  read_only
        .address_space:  global
        .offset:         0
        .size:           8
        .value_kind:     global_buffer
      - .actual_access:  read_only
        .address_space:  global
        .offset:         8
        .size:           8
        .value_kind:     global_buffer
      - .actual_access:  read_only
        .address_space:  global
        .offset:         16
        .size:           8
        .value_kind:     global_buffer
      - .offset:         24
        .size:           4
        .value_kind:     by_value
      - .offset:         28
        .size:           4
        .value_kind:     by_value
      - .actual_access:  read_only
        .address_space:  global
        .offset:         32
        .size:           8
        .value_kind:     global_buffer
      - .actual_access:  read_only
        .address_space:  global
        .offset:         40
        .size:           8
        .value_kind:     global_buffer
      - .actual_access:  read_only
        .address_space:  global
        .offset:         48
        .size:           8
        .value_kind:     global_buffer
      - .offset:         56
        .size:           4
        .value_kind:     by_value
      - .actual_access:  read_only
        .address_space:  global
        .offset:         64
        .size:           8
        .value_kind:     global_buffer
      - .offset:         72
        .size:           4
        .value_kind:     by_value
      - .offset:         76
        .size:           4
        .value_kind:     by_value
      - .offset:         80
        .size:           4
        .value_kind:     by_value
      - .actual_access:  write_only
        .address_space:  global
        .offset:         88
        .size:           8
        .value_kind:     global_buffer
      - .actual_access:  write_only
        .address_space:  global
        .offset:         96
        .size:           8
        .value_kind:     global_buffer
      - .actual_access:  write_only
        .address_space:  global
        .offset:         104
        .size:           8
        .value_kind:     global_buffer
      - .actual_access:  read_only
        .address_space:  global
        .offset:         112
        .size:           8
        .value_kind:     global_buffer
      - .offset:         120
        .size:           4
        .value_kind:     by_value
      - .address_space:  global
        .offset:         128
        .size:           8
        .value_kind:     global_buffer
      - .address_space:  global
        .offset:         136
        .size:           8
        .value_kind:     global_buffer
      - .offset:         144
        .size:           4
        .value_kind:     hidden_block_count_x
      - .offset:         148
        .size:           4
        .value_kind:     hidden_block_count_y
      - .offset:         152
        .size:           4
        .value_kind:     hidden_block_count_z
      - .offset:         156
        .size:           2
        .value_kind:     hidden_group_size_x
      - .offset:         158
        .size:           2
        .value_kind:     hidden_group_size_y
      - .offset:         160
        .size:           2
        .value_kind:     hidden_group_size_z
      - .offset:         162
        .size:           2
        .value_kind:     hidden_remainder_x
      - .offset:         164
        .size:           2
        .value_kind:     hidden_remainder_y
      - .offset:         166
        .size:           2
        .value_kind:     hidden_remainder_z
      - .offset:         184
        .size:           8
        .value_kind:     hidden_global_offset_x
      - .offset:         192
        .size:           8
        .value_kind:     hidden_global_offset_y
      - .offset:         200
        .size:           8
        .value_kind:     hidden_global_offset_z
      - .offset:         208
        .size:           2
        .value_kind:     hidden_grid_dims
    .group_segment_fixed_size: 8192
    .kernarg_segment_align: 8
    .kernarg_segment_size: 400
    .language:       OpenCL C
    .language_version:
      - 2
      - 0
    .max_flat_workgroup_size: 256
    .name:           _Z39paged_attention_ll4mi_QKV_mfma16_kernelIDF16_DF16_LN4vllm18Fp8KVCacheDataTypeE0EhLi32ELi64ELi256ELb0ELi8EEvPKT_PKT0_S7_ifPKiS9_S9_iPKfiiiPfSC_PS2_PT2_iSB_SB_
    .private_segment_fixed_size: 0
    .sgpr_count:     54
    .sgpr_spill_count: 0
    .symbol:         _Z39paged_attention_ll4mi_QKV_mfma16_kernelIDF16_DF16_LN4vllm18Fp8KVCacheDataTypeE0EhLi32ELi64ELi256ELb0ELi8EEvPKT_PKT0_S7_ifPKiS9_S9_iPKfiiiPfSC_PS2_PT2_iSB_SB_.kd
    .uniform_work_group_size: 1
    .uses_dynamic_stack: false
    .vgpr_count:     67
    .vgpr_spill_count: 0
    .wavefront_size: 64
  - .agpr_count:     0
    .args:
      - .actual_access:  read_only
        .address_space:  global
        .offset:         0
        .size:           8
        .value_kind:     global_buffer
      - .actual_access:  read_only
        .address_space:  global
        .offset:         8
        .size:           8
        .value_kind:     global_buffer
      - .actual_access:  read_only
        .address_space:  global
        .offset:         16
        .size:           8
        .value_kind:     global_buffer
      - .offset:         24
        .size:           4
        .value_kind:     by_value
      - .offset:         28
        .size:           4
        .value_kind:     by_value
      - .actual_access:  read_only
        .address_space:  global
        .offset:         32
        .size:           8
        .value_kind:     global_buffer
      - .actual_access:  read_only
        .address_space:  global
        .offset:         40
        .size:           8
        .value_kind:     global_buffer
      - .actual_access:  read_only
        .address_space:  global
        .offset:         48
        .size:           8
        .value_kind:     global_buffer
      - .offset:         56
        .size:           4
        .value_kind:     by_value
      - .actual_access:  read_only
        .address_space:  global
        .offset:         64
        .size:           8
        .value_kind:     global_buffer
      - .offset:         72
        .size:           4
        .value_kind:     by_value
      - .offset:         76
        .size:           4
        .value_kind:     by_value
      - .offset:         80
        .size:           4
        .value_kind:     by_value
      - .actual_access:  write_only
        .address_space:  global
        .offset:         88
        .size:           8
        .value_kind:     global_buffer
      - .actual_access:  write_only
        .address_space:  global
        .offset:         96
        .size:           8
        .value_kind:     global_buffer
      - .actual_access:  write_only
        .address_space:  global
        .offset:         104
        .size:           8
        .value_kind:     global_buffer
      - .actual_access:  read_only
        .address_space:  global
        .offset:         112
        .size:           8
        .value_kind:     global_buffer
      - .offset:         120
        .size:           4
        .value_kind:     by_value
      - .address_space:  global
        .offset:         128
        .size:           8
        .value_kind:     global_buffer
      - .address_space:  global
        .offset:         136
        .size:           8
        .value_kind:     global_buffer
      - .offset:         144
        .size:           4
        .value_kind:     hidden_block_count_x
      - .offset:         148
        .size:           4
        .value_kind:     hidden_block_count_y
      - .offset:         152
        .size:           4
        .value_kind:     hidden_block_count_z
      - .offset:         156
        .size:           2
        .value_kind:     hidden_group_size_x
      - .offset:         158
        .size:           2
        .value_kind:     hidden_group_size_y
      - .offset:         160
        .size:           2
        .value_kind:     hidden_group_size_z
      - .offset:         162
        .size:           2
        .value_kind:     hidden_remainder_x
      - .offset:         164
        .size:           2
        .value_kind:     hidden_remainder_y
      - .offset:         166
        .size:           2
        .value_kind:     hidden_remainder_z
      - .offset:         184
        .size:           8
        .value_kind:     hidden_global_offset_x
      - .offset:         192
        .size:           8
        .value_kind:     hidden_global_offset_y
      - .offset:         200
        .size:           8
        .value_kind:     hidden_global_offset_z
      - .offset:         208
        .size:           2
        .value_kind:     hidden_grid_dims
    .group_segment_fixed_size: 8192
    .kernarg_segment_align: 8
    .kernarg_segment_size: 400
    .language:       OpenCL C
    .language_version:
      - 2
      - 0
    .max_flat_workgroup_size: 256
    .name:           _Z39paged_attention_ll4mi_QKV_mfma16_kernelIDF16_DF16_LN4vllm18Fp8KVCacheDataTypeE0EhLi32ELi64ELi256ELb0ELi9EEvPKT_PKT0_S7_ifPKiS9_S9_iPKfiiiPfSC_PS2_PT2_iSB_SB_
    .private_segment_fixed_size: 0
    .sgpr_count:     54
    .sgpr_spill_count: 0
    .symbol:         _Z39paged_attention_ll4mi_QKV_mfma16_kernelIDF16_DF16_LN4vllm18Fp8KVCacheDataTypeE0EhLi32ELi64ELi256ELb0ELi9EEvPKT_PKT0_S7_ifPKiS9_S9_iPKfiiiPfSC_PS2_PT2_iSB_SB_.kd
    .uniform_work_group_size: 1
    .uses_dynamic_stack: false
    .vgpr_count:     67
    .vgpr_spill_count: 0
    .wavefront_size: 64
  - .agpr_count:     0
    .args:
      - .actual_access:  read_only
        .address_space:  global
        .offset:         0
        .size:           8
        .value_kind:     global_buffer
      - .actual_access:  read_only
        .address_space:  global
        .offset:         8
        .size:           8
        .value_kind:     global_buffer
      - .actual_access:  read_only
        .address_space:  global
        .offset:         16
        .size:           8
        .value_kind:     global_buffer
      - .offset:         24
        .size:           4
        .value_kind:     by_value
      - .offset:         28
        .size:           4
        .value_kind:     by_value
      - .actual_access:  read_only
        .address_space:  global
        .offset:         32
        .size:           8
        .value_kind:     global_buffer
      - .actual_access:  read_only
        .address_space:  global
        .offset:         40
        .size:           8
        .value_kind:     global_buffer
      - .actual_access:  read_only
        .address_space:  global
        .offset:         48
        .size:           8
        .value_kind:     global_buffer
      - .offset:         56
        .size:           4
        .value_kind:     by_value
      - .actual_access:  read_only
        .address_space:  global
        .offset:         64
        .size:           8
        .value_kind:     global_buffer
      - .offset:         72
        .size:           4
        .value_kind:     by_value
      - .offset:         76
        .size:           4
        .value_kind:     by_value
      - .offset:         80
        .size:           4
        .value_kind:     by_value
      - .actual_access:  write_only
        .address_space:  global
        .offset:         88
        .size:           8
        .value_kind:     global_buffer
      - .actual_access:  write_only
        .address_space:  global
        .offset:         96
        .size:           8
        .value_kind:     global_buffer
      - .actual_access:  write_only
        .address_space:  global
        .offset:         104
        .size:           8
        .value_kind:     global_buffer
      - .actual_access:  read_only
        .address_space:  global
        .offset:         112
        .size:           8
        .value_kind:     global_buffer
      - .offset:         120
        .size:           4
        .value_kind:     by_value
      - .address_space:  global
        .offset:         128
        .size:           8
        .value_kind:     global_buffer
      - .address_space:  global
        .offset:         136
        .size:           8
        .value_kind:     global_buffer
      - .offset:         144
        .size:           4
        .value_kind:     hidden_block_count_x
      - .offset:         148
        .size:           4
        .value_kind:     hidden_block_count_y
      - .offset:         152
        .size:           4
        .value_kind:     hidden_block_count_z
      - .offset:         156
        .size:           2
        .value_kind:     hidden_group_size_x
      - .offset:         158
        .size:           2
        .value_kind:     hidden_group_size_y
      - .offset:         160
        .size:           2
        .value_kind:     hidden_group_size_z
      - .offset:         162
        .size:           2
        .value_kind:     hidden_remainder_x
      - .offset:         164
        .size:           2
        .value_kind:     hidden_remainder_y
      - .offset:         166
        .size:           2
        .value_kind:     hidden_remainder_z
      - .offset:         184
        .size:           8
        .value_kind:     hidden_global_offset_x
      - .offset:         192
        .size:           8
        .value_kind:     hidden_global_offset_y
      - .offset:         200
        .size:           8
        .value_kind:     hidden_global_offset_z
      - .offset:         208
        .size:           2
        .value_kind:     hidden_grid_dims
    .group_segment_fixed_size: 8192
    .kernarg_segment_align: 8
    .kernarg_segment_size: 400
    .language:       OpenCL C
    .language_version:
      - 2
      - 0
    .max_flat_workgroup_size: 256
    .name:           _Z39paged_attention_ll4mi_QKV_mfma16_kernelIDF16_DF16_LN4vllm18Fp8KVCacheDataTypeE0EhLi32ELi64ELi256ELb0ELi10EEvPKT_PKT0_S7_ifPKiS9_S9_iPKfiiiPfSC_PS2_PT2_iSB_SB_
    .private_segment_fixed_size: 0
    .sgpr_count:     54
    .sgpr_spill_count: 0
    .symbol:         _Z39paged_attention_ll4mi_QKV_mfma16_kernelIDF16_DF16_LN4vllm18Fp8KVCacheDataTypeE0EhLi32ELi64ELi256ELb0ELi10EEvPKT_PKT0_S7_ifPKiS9_S9_iPKfiiiPfSC_PS2_PT2_iSB_SB_.kd
    .uniform_work_group_size: 1
    .uses_dynamic_stack: false
    .vgpr_count:     67
    .vgpr_spill_count: 0
    .wavefront_size: 64
  - .agpr_count:     0
    .args:
      - .actual_access:  read_only
        .address_space:  global
        .offset:         0
        .size:           8
        .value_kind:     global_buffer
      - .actual_access:  read_only
        .address_space:  global
        .offset:         8
        .size:           8
        .value_kind:     global_buffer
      - .actual_access:  read_only
        .address_space:  global
        .offset:         16
        .size:           8
        .value_kind:     global_buffer
      - .offset:         24
        .size:           4
        .value_kind:     by_value
      - .offset:         28
        .size:           4
        .value_kind:     by_value
      - .actual_access:  read_only
        .address_space:  global
        .offset:         32
        .size:           8
        .value_kind:     global_buffer
      - .actual_access:  read_only
        .address_space:  global
        .offset:         40
        .size:           8
        .value_kind:     global_buffer
      - .actual_access:  read_only
        .address_space:  global
        .offset:         48
        .size:           8
        .value_kind:     global_buffer
      - .offset:         56
        .size:           4
        .value_kind:     by_value
      - .actual_access:  read_only
        .address_space:  global
        .offset:         64
        .size:           8
        .value_kind:     global_buffer
      - .offset:         72
        .size:           4
        .value_kind:     by_value
      - .offset:         76
        .size:           4
        .value_kind:     by_value
      - .offset:         80
        .size:           4
        .value_kind:     by_value
      - .actual_access:  write_only
        .address_space:  global
        .offset:         88
        .size:           8
        .value_kind:     global_buffer
      - .actual_access:  write_only
        .address_space:  global
        .offset:         96
        .size:           8
        .value_kind:     global_buffer
      - .actual_access:  write_only
        .address_space:  global
        .offset:         104
        .size:           8
        .value_kind:     global_buffer
      - .actual_access:  read_only
        .address_space:  global
        .offset:         112
        .size:           8
        .value_kind:     global_buffer
      - .offset:         120
        .size:           4
        .value_kind:     by_value
      - .address_space:  global
        .offset:         128
        .size:           8
        .value_kind:     global_buffer
      - .address_space:  global
        .offset:         136
        .size:           8
        .value_kind:     global_buffer
      - .offset:         144
        .size:           4
        .value_kind:     hidden_block_count_x
      - .offset:         148
        .size:           4
        .value_kind:     hidden_block_count_y
      - .offset:         152
        .size:           4
        .value_kind:     hidden_block_count_z
      - .offset:         156
        .size:           2
        .value_kind:     hidden_group_size_x
      - .offset:         158
        .size:           2
        .value_kind:     hidden_group_size_y
      - .offset:         160
        .size:           2
        .value_kind:     hidden_group_size_z
      - .offset:         162
        .size:           2
        .value_kind:     hidden_remainder_x
      - .offset:         164
        .size:           2
        .value_kind:     hidden_remainder_y
      - .offset:         166
        .size:           2
        .value_kind:     hidden_remainder_z
      - .offset:         184
        .size:           8
        .value_kind:     hidden_global_offset_x
      - .offset:         192
        .size:           8
        .value_kind:     hidden_global_offset_y
      - .offset:         200
        .size:           8
        .value_kind:     hidden_global_offset_z
      - .offset:         208
        .size:           2
        .value_kind:     hidden_grid_dims
    .group_segment_fixed_size: 8192
    .kernarg_segment_align: 8
    .kernarg_segment_size: 400
    .language:       OpenCL C
    .language_version:
      - 2
      - 0
    .max_flat_workgroup_size: 256
    .name:           _Z39paged_attention_ll4mi_QKV_mfma16_kernelIDF16_DF16_LN4vllm18Fp8KVCacheDataTypeE0EhLi32ELi64ELi256ELb0ELi11EEvPKT_PKT0_S7_ifPKiS9_S9_iPKfiiiPfSC_PS2_PT2_iSB_SB_
    .private_segment_fixed_size: 0
    .sgpr_count:     54
    .sgpr_spill_count: 0
    .symbol:         _Z39paged_attention_ll4mi_QKV_mfma16_kernelIDF16_DF16_LN4vllm18Fp8KVCacheDataTypeE0EhLi32ELi64ELi256ELb0ELi11EEvPKT_PKT0_S7_ifPKiS9_S9_iPKfiiiPfSC_PS2_PT2_iSB_SB_.kd
    .uniform_work_group_size: 1
    .uses_dynamic_stack: false
    .vgpr_count:     67
    .vgpr_spill_count: 0
    .wavefront_size: 64
  - .agpr_count:     0
    .args:
      - .actual_access:  read_only
        .address_space:  global
        .offset:         0
        .size:           8
        .value_kind:     global_buffer
      - .actual_access:  read_only
        .address_space:  global
        .offset:         8
        .size:           8
        .value_kind:     global_buffer
      - .actual_access:  read_only
        .address_space:  global
        .offset:         16
        .size:           8
        .value_kind:     global_buffer
      - .offset:         24
        .size:           4
        .value_kind:     by_value
      - .offset:         28
        .size:           4
        .value_kind:     by_value
      - .actual_access:  read_only
        .address_space:  global
        .offset:         32
        .size:           8
        .value_kind:     global_buffer
      - .actual_access:  read_only
        .address_space:  global
        .offset:         40
        .size:           8
        .value_kind:     global_buffer
      - .actual_access:  read_only
        .address_space:  global
        .offset:         48
        .size:           8
        .value_kind:     global_buffer
      - .offset:         56
        .size:           4
        .value_kind:     by_value
      - .actual_access:  read_only
        .address_space:  global
        .offset:         64
        .size:           8
        .value_kind:     global_buffer
      - .offset:         72
        .size:           4
        .value_kind:     by_value
      - .offset:         76
        .size:           4
        .value_kind:     by_value
      - .offset:         80
        .size:           4
        .value_kind:     by_value
      - .actual_access:  write_only
        .address_space:  global
        .offset:         88
        .size:           8
        .value_kind:     global_buffer
      - .actual_access:  write_only
        .address_space:  global
        .offset:         96
        .size:           8
        .value_kind:     global_buffer
      - .actual_access:  write_only
        .address_space:  global
        .offset:         104
        .size:           8
        .value_kind:     global_buffer
      - .actual_access:  read_only
        .address_space:  global
        .offset:         112
        .size:           8
        .value_kind:     global_buffer
      - .offset:         120
        .size:           4
        .value_kind:     by_value
      - .address_space:  global
        .offset:         128
        .size:           8
        .value_kind:     global_buffer
      - .address_space:  global
        .offset:         136
        .size:           8
        .value_kind:     global_buffer
      - .offset:         144
        .size:           4
        .value_kind:     hidden_block_count_x
      - .offset:         148
        .size:           4
        .value_kind:     hidden_block_count_y
      - .offset:         152
        .size:           4
        .value_kind:     hidden_block_count_z
      - .offset:         156
        .size:           2
        .value_kind:     hidden_group_size_x
      - .offset:         158
        .size:           2
        .value_kind:     hidden_group_size_y
      - .offset:         160
        .size:           2
        .value_kind:     hidden_group_size_z
      - .offset:         162
        .size:           2
        .value_kind:     hidden_remainder_x
      - .offset:         164
        .size:           2
        .value_kind:     hidden_remainder_y
      - .offset:         166
        .size:           2
        .value_kind:     hidden_remainder_z
      - .offset:         184
        .size:           8
        .value_kind:     hidden_global_offset_x
      - .offset:         192
        .size:           8
        .value_kind:     hidden_global_offset_y
      - .offset:         200
        .size:           8
        .value_kind:     hidden_global_offset_z
      - .offset:         208
        .size:           2
        .value_kind:     hidden_grid_dims
    .group_segment_fixed_size: 8192
    .kernarg_segment_align: 8
    .kernarg_segment_size: 400
    .language:       OpenCL C
    .language_version:
      - 2
      - 0
    .max_flat_workgroup_size: 256
    .name:           _Z39paged_attention_ll4mi_QKV_mfma16_kernelIDF16_DF16_LN4vllm18Fp8KVCacheDataTypeE0EhLi32ELi64ELi256ELb0ELi12EEvPKT_PKT0_S7_ifPKiS9_S9_iPKfiiiPfSC_PS2_PT2_iSB_SB_
    .private_segment_fixed_size: 0
    .sgpr_count:     54
    .sgpr_spill_count: 0
    .symbol:         _Z39paged_attention_ll4mi_QKV_mfma16_kernelIDF16_DF16_LN4vllm18Fp8KVCacheDataTypeE0EhLi32ELi64ELi256ELb0ELi12EEvPKT_PKT0_S7_ifPKiS9_S9_iPKfiiiPfSC_PS2_PT2_iSB_SB_.kd
    .uniform_work_group_size: 1
    .uses_dynamic_stack: false
    .vgpr_count:     67
    .vgpr_spill_count: 0
    .wavefront_size: 64
  - .agpr_count:     0
    .args:
      - .actual_access:  read_only
        .address_space:  global
        .offset:         0
        .size:           8
        .value_kind:     global_buffer
      - .actual_access:  read_only
        .address_space:  global
        .offset:         8
        .size:           8
        .value_kind:     global_buffer
      - .actual_access:  read_only
        .address_space:  global
        .offset:         16
        .size:           8
        .value_kind:     global_buffer
      - .offset:         24
        .size:           4
        .value_kind:     by_value
      - .offset:         28
        .size:           4
        .value_kind:     by_value
      - .actual_access:  read_only
        .address_space:  global
        .offset:         32
        .size:           8
        .value_kind:     global_buffer
      - .actual_access:  read_only
        .address_space:  global
        .offset:         40
        .size:           8
        .value_kind:     global_buffer
      - .actual_access:  read_only
        .address_space:  global
        .offset:         48
        .size:           8
        .value_kind:     global_buffer
      - .offset:         56
        .size:           4
        .value_kind:     by_value
      - .actual_access:  read_only
        .address_space:  global
        .offset:         64
        .size:           8
        .value_kind:     global_buffer
      - .offset:         72
        .size:           4
        .value_kind:     by_value
      - .offset:         76
        .size:           4
        .value_kind:     by_value
      - .offset:         80
        .size:           4
        .value_kind:     by_value
      - .actual_access:  write_only
        .address_space:  global
        .offset:         88
        .size:           8
        .value_kind:     global_buffer
      - .actual_access:  write_only
        .address_space:  global
        .offset:         96
        .size:           8
        .value_kind:     global_buffer
      - .actual_access:  write_only
        .address_space:  global
        .offset:         104
        .size:           8
        .value_kind:     global_buffer
      - .actual_access:  read_only
        .address_space:  global
        .offset:         112
        .size:           8
        .value_kind:     global_buffer
      - .offset:         120
        .size:           4
        .value_kind:     by_value
      - .address_space:  global
        .offset:         128
        .size:           8
        .value_kind:     global_buffer
      - .address_space:  global
        .offset:         136
        .size:           8
        .value_kind:     global_buffer
      - .offset:         144
        .size:           4
        .value_kind:     hidden_block_count_x
      - .offset:         148
        .size:           4
        .value_kind:     hidden_block_count_y
      - .offset:         152
        .size:           4
        .value_kind:     hidden_block_count_z
      - .offset:         156
        .size:           2
        .value_kind:     hidden_group_size_x
      - .offset:         158
        .size:           2
        .value_kind:     hidden_group_size_y
      - .offset:         160
        .size:           2
        .value_kind:     hidden_group_size_z
      - .offset:         162
        .size:           2
        .value_kind:     hidden_remainder_x
      - .offset:         164
        .size:           2
        .value_kind:     hidden_remainder_y
      - .offset:         166
        .size:           2
        .value_kind:     hidden_remainder_z
      - .offset:         184
        .size:           8
        .value_kind:     hidden_global_offset_x
      - .offset:         192
        .size:           8
        .value_kind:     hidden_global_offset_y
      - .offset:         200
        .size:           8
        .value_kind:     hidden_global_offset_z
      - .offset:         208
        .size:           2
        .value_kind:     hidden_grid_dims
    .group_segment_fixed_size: 8192
    .kernarg_segment_align: 8
    .kernarg_segment_size: 400
    .language:       OpenCL C
    .language_version:
      - 2
      - 0
    .max_flat_workgroup_size: 256
    .name:           _Z39paged_attention_ll4mi_QKV_mfma16_kernelIDF16_DF16_LN4vllm18Fp8KVCacheDataTypeE0EhLi32ELi64ELi256ELb0ELi13EEvPKT_PKT0_S7_ifPKiS9_S9_iPKfiiiPfSC_PS2_PT2_iSB_SB_
    .private_segment_fixed_size: 0
    .sgpr_count:     54
    .sgpr_spill_count: 0
    .symbol:         _Z39paged_attention_ll4mi_QKV_mfma16_kernelIDF16_DF16_LN4vllm18Fp8KVCacheDataTypeE0EhLi32ELi64ELi256ELb0ELi13EEvPKT_PKT0_S7_ifPKiS9_S9_iPKfiiiPfSC_PS2_PT2_iSB_SB_.kd
    .uniform_work_group_size: 1
    .uses_dynamic_stack: false
    .vgpr_count:     67
    .vgpr_spill_count: 0
    .wavefront_size: 64
  - .agpr_count:     0
    .args:
      - .actual_access:  read_only
        .address_space:  global
        .offset:         0
        .size:           8
        .value_kind:     global_buffer
      - .actual_access:  read_only
        .address_space:  global
        .offset:         8
        .size:           8
        .value_kind:     global_buffer
      - .actual_access:  read_only
        .address_space:  global
        .offset:         16
        .size:           8
        .value_kind:     global_buffer
      - .offset:         24
        .size:           4
        .value_kind:     by_value
      - .offset:         28
        .size:           4
        .value_kind:     by_value
      - .actual_access:  read_only
        .address_space:  global
        .offset:         32
        .size:           8
        .value_kind:     global_buffer
      - .actual_access:  read_only
        .address_space:  global
        .offset:         40
        .size:           8
        .value_kind:     global_buffer
      - .actual_access:  read_only
        .address_space:  global
        .offset:         48
        .size:           8
        .value_kind:     global_buffer
      - .offset:         56
        .size:           4
        .value_kind:     by_value
      - .actual_access:  read_only
        .address_space:  global
        .offset:         64
        .size:           8
        .value_kind:     global_buffer
      - .offset:         72
        .size:           4
        .value_kind:     by_value
      - .offset:         76
        .size:           4
        .value_kind:     by_value
      - .offset:         80
        .size:           4
        .value_kind:     by_value
      - .actual_access:  write_only
        .address_space:  global
        .offset:         88
        .size:           8
        .value_kind:     global_buffer
      - .actual_access:  write_only
        .address_space:  global
        .offset:         96
        .size:           8
        .value_kind:     global_buffer
      - .actual_access:  write_only
        .address_space:  global
        .offset:         104
        .size:           8
        .value_kind:     global_buffer
      - .actual_access:  read_only
        .address_space:  global
        .offset:         112
        .size:           8
        .value_kind:     global_buffer
      - .offset:         120
        .size:           4
        .value_kind:     by_value
      - .address_space:  global
        .offset:         128
        .size:           8
        .value_kind:     global_buffer
      - .address_space:  global
        .offset:         136
        .size:           8
        .value_kind:     global_buffer
      - .offset:         144
        .size:           4
        .value_kind:     hidden_block_count_x
      - .offset:         148
        .size:           4
        .value_kind:     hidden_block_count_y
      - .offset:         152
        .size:           4
        .value_kind:     hidden_block_count_z
      - .offset:         156
        .size:           2
        .value_kind:     hidden_group_size_x
      - .offset:         158
        .size:           2
        .value_kind:     hidden_group_size_y
      - .offset:         160
        .size:           2
        .value_kind:     hidden_group_size_z
      - .offset:         162
        .size:           2
        .value_kind:     hidden_remainder_x
      - .offset:         164
        .size:           2
        .value_kind:     hidden_remainder_y
      - .offset:         166
        .size:           2
        .value_kind:     hidden_remainder_z
      - .offset:         184
        .size:           8
        .value_kind:     hidden_global_offset_x
      - .offset:         192
        .size:           8
        .value_kind:     hidden_global_offset_y
      - .offset:         200
        .size:           8
        .value_kind:     hidden_global_offset_z
      - .offset:         208
        .size:           2
        .value_kind:     hidden_grid_dims
    .group_segment_fixed_size: 8192
    .kernarg_segment_align: 8
    .kernarg_segment_size: 400
    .language:       OpenCL C
    .language_version:
      - 2
      - 0
    .max_flat_workgroup_size: 256
    .name:           _Z39paged_attention_ll4mi_QKV_mfma16_kernelIDF16_DF16_LN4vllm18Fp8KVCacheDataTypeE0EhLi32ELi64ELi256ELb0ELi14EEvPKT_PKT0_S7_ifPKiS9_S9_iPKfiiiPfSC_PS2_PT2_iSB_SB_
    .private_segment_fixed_size: 0
    .sgpr_count:     54
    .sgpr_spill_count: 0
    .symbol:         _Z39paged_attention_ll4mi_QKV_mfma16_kernelIDF16_DF16_LN4vllm18Fp8KVCacheDataTypeE0EhLi32ELi64ELi256ELb0ELi14EEvPKT_PKT0_S7_ifPKiS9_S9_iPKfiiiPfSC_PS2_PT2_iSB_SB_.kd
    .uniform_work_group_size: 1
    .uses_dynamic_stack: false
    .vgpr_count:     67
    .vgpr_spill_count: 0
    .wavefront_size: 64
  - .agpr_count:     0
    .args:
      - .actual_access:  read_only
        .address_space:  global
        .offset:         0
        .size:           8
        .value_kind:     global_buffer
      - .actual_access:  read_only
        .address_space:  global
        .offset:         8
        .size:           8
        .value_kind:     global_buffer
      - .actual_access:  read_only
        .address_space:  global
        .offset:         16
        .size:           8
        .value_kind:     global_buffer
      - .offset:         24
        .size:           4
        .value_kind:     by_value
      - .offset:         28
        .size:           4
        .value_kind:     by_value
      - .actual_access:  read_only
        .address_space:  global
        .offset:         32
        .size:           8
        .value_kind:     global_buffer
      - .actual_access:  read_only
        .address_space:  global
        .offset:         40
        .size:           8
        .value_kind:     global_buffer
      - .actual_access:  read_only
        .address_space:  global
        .offset:         48
        .size:           8
        .value_kind:     global_buffer
      - .offset:         56
        .size:           4
        .value_kind:     by_value
      - .actual_access:  read_only
        .address_space:  global
        .offset:         64
        .size:           8
        .value_kind:     global_buffer
      - .offset:         72
        .size:           4
        .value_kind:     by_value
      - .offset:         76
        .size:           4
        .value_kind:     by_value
      - .offset:         80
        .size:           4
        .value_kind:     by_value
      - .actual_access:  write_only
        .address_space:  global
        .offset:         88
        .size:           8
        .value_kind:     global_buffer
      - .actual_access:  write_only
        .address_space:  global
        .offset:         96
        .size:           8
        .value_kind:     global_buffer
      - .actual_access:  write_only
        .address_space:  global
        .offset:         104
        .size:           8
        .value_kind:     global_buffer
      - .actual_access:  read_only
        .address_space:  global
        .offset:         112
        .size:           8
        .value_kind:     global_buffer
      - .offset:         120
        .size:           4
        .value_kind:     by_value
      - .address_space:  global
        .offset:         128
        .size:           8
        .value_kind:     global_buffer
      - .address_space:  global
        .offset:         136
        .size:           8
        .value_kind:     global_buffer
      - .offset:         144
        .size:           4
        .value_kind:     hidden_block_count_x
      - .offset:         148
        .size:           4
        .value_kind:     hidden_block_count_y
      - .offset:         152
        .size:           4
        .value_kind:     hidden_block_count_z
      - .offset:         156
        .size:           2
        .value_kind:     hidden_group_size_x
      - .offset:         158
        .size:           2
        .value_kind:     hidden_group_size_y
      - .offset:         160
        .size:           2
        .value_kind:     hidden_group_size_z
      - .offset:         162
        .size:           2
        .value_kind:     hidden_remainder_x
      - .offset:         164
        .size:           2
        .value_kind:     hidden_remainder_y
      - .offset:         166
        .size:           2
        .value_kind:     hidden_remainder_z
      - .offset:         184
        .size:           8
        .value_kind:     hidden_global_offset_x
      - .offset:         192
        .size:           8
        .value_kind:     hidden_global_offset_y
      - .offset:         200
        .size:           8
        .value_kind:     hidden_global_offset_z
      - .offset:         208
        .size:           2
        .value_kind:     hidden_grid_dims
    .group_segment_fixed_size: 8192
    .kernarg_segment_align: 8
    .kernarg_segment_size: 400
    .language:       OpenCL C
    .language_version:
      - 2
      - 0
    .max_flat_workgroup_size: 256
    .name:           _Z39paged_attention_ll4mi_QKV_mfma16_kernelIDF16_DF16_LN4vllm18Fp8KVCacheDataTypeE0EhLi32ELi64ELi256ELb0ELi15EEvPKT_PKT0_S7_ifPKiS9_S9_iPKfiiiPfSC_PS2_PT2_iSB_SB_
    .private_segment_fixed_size: 0
    .sgpr_count:     54
    .sgpr_spill_count: 0
    .symbol:         _Z39paged_attention_ll4mi_QKV_mfma16_kernelIDF16_DF16_LN4vllm18Fp8KVCacheDataTypeE0EhLi32ELi64ELi256ELb0ELi15EEvPKT_PKT0_S7_ifPKiS9_S9_iPKfiiiPfSC_PS2_PT2_iSB_SB_.kd
    .uniform_work_group_size: 1
    .uses_dynamic_stack: false
    .vgpr_count:     67
    .vgpr_spill_count: 0
    .wavefront_size: 64
  - .agpr_count:     0
    .args:
      - .actual_access:  read_only
        .address_space:  global
        .offset:         0
        .size:           8
        .value_kind:     global_buffer
      - .actual_access:  read_only
        .address_space:  global
        .offset:         8
        .size:           8
        .value_kind:     global_buffer
      - .actual_access:  read_only
        .address_space:  global
        .offset:         16
        .size:           8
        .value_kind:     global_buffer
      - .offset:         24
        .size:           4
        .value_kind:     by_value
      - .offset:         28
        .size:           4
        .value_kind:     by_value
      - .actual_access:  read_only
        .address_space:  global
        .offset:         32
        .size:           8
        .value_kind:     global_buffer
      - .actual_access:  read_only
        .address_space:  global
        .offset:         40
        .size:           8
        .value_kind:     global_buffer
      - .actual_access:  read_only
        .address_space:  global
        .offset:         48
        .size:           8
        .value_kind:     global_buffer
      - .offset:         56
        .size:           4
        .value_kind:     by_value
      - .actual_access:  read_only
        .address_space:  global
        .offset:         64
        .size:           8
        .value_kind:     global_buffer
      - .offset:         72
        .size:           4
        .value_kind:     by_value
      - .offset:         76
        .size:           4
        .value_kind:     by_value
      - .offset:         80
        .size:           4
        .value_kind:     by_value
      - .actual_access:  write_only
        .address_space:  global
        .offset:         88
        .size:           8
        .value_kind:     global_buffer
      - .actual_access:  write_only
        .address_space:  global
        .offset:         96
        .size:           8
        .value_kind:     global_buffer
      - .actual_access:  write_only
        .address_space:  global
        .offset:         104
        .size:           8
        .value_kind:     global_buffer
      - .actual_access:  read_only
        .address_space:  global
        .offset:         112
        .size:           8
        .value_kind:     global_buffer
      - .offset:         120
        .size:           4
        .value_kind:     by_value
      - .address_space:  global
        .offset:         128
        .size:           8
        .value_kind:     global_buffer
      - .address_space:  global
        .offset:         136
        .size:           8
        .value_kind:     global_buffer
      - .offset:         144
        .size:           4
        .value_kind:     hidden_block_count_x
      - .offset:         148
        .size:           4
        .value_kind:     hidden_block_count_y
      - .offset:         152
        .size:           4
        .value_kind:     hidden_block_count_z
      - .offset:         156
        .size:           2
        .value_kind:     hidden_group_size_x
      - .offset:         158
        .size:           2
        .value_kind:     hidden_group_size_y
      - .offset:         160
        .size:           2
        .value_kind:     hidden_group_size_z
      - .offset:         162
        .size:           2
        .value_kind:     hidden_remainder_x
      - .offset:         164
        .size:           2
        .value_kind:     hidden_remainder_y
      - .offset:         166
        .size:           2
        .value_kind:     hidden_remainder_z
      - .offset:         184
        .size:           8
        .value_kind:     hidden_global_offset_x
      - .offset:         192
        .size:           8
        .value_kind:     hidden_global_offset_y
      - .offset:         200
        .size:           8
        .value_kind:     hidden_global_offset_z
      - .offset:         208
        .size:           2
        .value_kind:     hidden_grid_dims
    .group_segment_fixed_size: 8192
    .kernarg_segment_align: 8
    .kernarg_segment_size: 400
    .language:       OpenCL C
    .language_version:
      - 2
      - 0
    .max_flat_workgroup_size: 256
    .name:           _Z39paged_attention_ll4mi_QKV_mfma16_kernelIDF16_DF16_LN4vllm18Fp8KVCacheDataTypeE0EhLi32ELi64ELi256ELb0ELi16EEvPKT_PKT0_S7_ifPKiS9_S9_iPKfiiiPfSC_PS2_PT2_iSB_SB_
    .private_segment_fixed_size: 0
    .sgpr_count:     54
    .sgpr_spill_count: 0
    .symbol:         _Z39paged_attention_ll4mi_QKV_mfma16_kernelIDF16_DF16_LN4vllm18Fp8KVCacheDataTypeE0EhLi32ELi64ELi256ELb0ELi16EEvPKT_PKT0_S7_ifPKiS9_S9_iPKfiiiPfSC_PS2_PT2_iSB_SB_.kd
    .uniform_work_group_size: 1
    .uses_dynamic_stack: false
    .vgpr_count:     68
    .vgpr_spill_count: 0
    .wavefront_size: 64
  - .agpr_count:     0
    .args:
      - .actual_access:  read_only
        .address_space:  global
        .offset:         0
        .size:           8
        .value_kind:     global_buffer
      - .actual_access:  read_only
        .address_space:  global
        .offset:         8
        .size:           8
        .value_kind:     global_buffer
      - .actual_access:  read_only
        .address_space:  global
        .offset:         16
        .size:           8
        .value_kind:     global_buffer
      - .offset:         24
        .size:           4
        .value_kind:     by_value
      - .offset:         28
        .size:           4
        .value_kind:     by_value
      - .actual_access:  read_only
        .address_space:  global
        .offset:         32
        .size:           8
        .value_kind:     global_buffer
      - .actual_access:  read_only
        .address_space:  global
        .offset:         40
        .size:           8
        .value_kind:     global_buffer
      - .actual_access:  read_only
        .address_space:  global
        .offset:         48
        .size:           8
        .value_kind:     global_buffer
      - .offset:         56
        .size:           4
        .value_kind:     by_value
      - .actual_access:  read_only
        .address_space:  global
        .offset:         64
        .size:           8
        .value_kind:     global_buffer
      - .offset:         72
        .size:           4
        .value_kind:     by_value
      - .offset:         76
        .size:           4
        .value_kind:     by_value
      - .offset:         80
        .size:           4
        .value_kind:     by_value
      - .actual_access:  write_only
        .address_space:  global
        .offset:         88
        .size:           8
        .value_kind:     global_buffer
      - .actual_access:  write_only
        .address_space:  global
        .offset:         96
        .size:           8
        .value_kind:     global_buffer
      - .actual_access:  write_only
        .address_space:  global
        .offset:         104
        .size:           8
        .value_kind:     global_buffer
      - .actual_access:  read_only
        .address_space:  global
        .offset:         112
        .size:           8
        .value_kind:     global_buffer
      - .offset:         120
        .size:           4
        .value_kind:     by_value
      - .address_space:  global
        .offset:         128
        .size:           8
        .value_kind:     global_buffer
      - .address_space:  global
        .offset:         136
        .size:           8
        .value_kind:     global_buffer
      - .offset:         144
        .size:           4
        .value_kind:     hidden_block_count_x
      - .offset:         148
        .size:           4
        .value_kind:     hidden_block_count_y
      - .offset:         152
        .size:           4
        .value_kind:     hidden_block_count_z
      - .offset:         156
        .size:           2
        .value_kind:     hidden_group_size_x
      - .offset:         158
        .size:           2
        .value_kind:     hidden_group_size_y
      - .offset:         160
        .size:           2
        .value_kind:     hidden_group_size_z
      - .offset:         162
        .size:           2
        .value_kind:     hidden_remainder_x
      - .offset:         164
        .size:           2
        .value_kind:     hidden_remainder_y
      - .offset:         166
        .size:           2
        .value_kind:     hidden_remainder_z
      - .offset:         184
        .size:           8
        .value_kind:     hidden_global_offset_x
      - .offset:         192
        .size:           8
        .value_kind:     hidden_global_offset_y
      - .offset:         200
        .size:           8
        .value_kind:     hidden_global_offset_z
      - .offset:         208
        .size:           2
        .value_kind:     hidden_grid_dims
    .group_segment_fixed_size: 8192
    .kernarg_segment_align: 8
    .kernarg_segment_size: 400
    .language:       OpenCL C
    .language_version:
      - 2
      - 0
    .max_flat_workgroup_size: 256
    .name:           _Z39paged_attention_ll4mi_QKV_mfma16_kernelIDF16_DF16_LN4vllm18Fp8KVCacheDataTypeE0EhLi32ELi64ELi256ELb0ELi1EEvPKT_PKT0_S7_ifPKiS9_S9_iPKfiiiPfSC_PS2_PT2_iSB_SB_
    .private_segment_fixed_size: 0
    .sgpr_count:     54
    .sgpr_spill_count: 0
    .symbol:         _Z39paged_attention_ll4mi_QKV_mfma16_kernelIDF16_DF16_LN4vllm18Fp8KVCacheDataTypeE0EhLi32ELi64ELi256ELb0ELi1EEvPKT_PKT0_S7_ifPKiS9_S9_iPKfiiiPfSC_PS2_PT2_iSB_SB_.kd
    .uniform_work_group_size: 1
    .uses_dynamic_stack: false
    .vgpr_count:     67
    .vgpr_spill_count: 0
    .wavefront_size: 64
  - .agpr_count:     0
    .args:
      - .actual_access:  read_only
        .address_space:  global
        .offset:         0
        .size:           8
        .value_kind:     global_buffer
      - .actual_access:  read_only
        .address_space:  global
        .offset:         8
        .size:           8
        .value_kind:     global_buffer
      - .actual_access:  read_only
        .address_space:  global
        .offset:         16
        .size:           8
        .value_kind:     global_buffer
      - .offset:         24
        .size:           4
        .value_kind:     by_value
      - .offset:         28
        .size:           4
        .value_kind:     by_value
      - .actual_access:  read_only
        .address_space:  global
        .offset:         32
        .size:           8
        .value_kind:     global_buffer
      - .actual_access:  read_only
        .address_space:  global
        .offset:         40
        .size:           8
        .value_kind:     global_buffer
      - .actual_access:  read_only
        .address_space:  global
        .offset:         48
        .size:           8
        .value_kind:     global_buffer
      - .offset:         56
        .size:           4
        .value_kind:     by_value
      - .actual_access:  read_only
        .address_space:  global
        .offset:         64
        .size:           8
        .value_kind:     global_buffer
      - .offset:         72
        .size:           4
        .value_kind:     by_value
      - .offset:         76
        .size:           4
        .value_kind:     by_value
      - .offset:         80
        .size:           4
        .value_kind:     by_value
      - .actual_access:  write_only
        .address_space:  global
        .offset:         88
        .size:           8
        .value_kind:     global_buffer
      - .actual_access:  write_only
        .address_space:  global
        .offset:         96
        .size:           8
        .value_kind:     global_buffer
      - .actual_access:  write_only
        .address_space:  global
        .offset:         104
        .size:           8
        .value_kind:     global_buffer
      - .actual_access:  read_only
        .address_space:  global
        .offset:         112
        .size:           8
        .value_kind:     global_buffer
      - .offset:         120
        .size:           4
        .value_kind:     by_value
      - .address_space:  global
        .offset:         128
        .size:           8
        .value_kind:     global_buffer
      - .address_space:  global
        .offset:         136
        .size:           8
        .value_kind:     global_buffer
      - .offset:         144
        .size:           4
        .value_kind:     hidden_block_count_x
      - .offset:         148
        .size:           4
        .value_kind:     hidden_block_count_y
      - .offset:         152
        .size:           4
        .value_kind:     hidden_block_count_z
      - .offset:         156
        .size:           2
        .value_kind:     hidden_group_size_x
      - .offset:         158
        .size:           2
        .value_kind:     hidden_group_size_y
      - .offset:         160
        .size:           2
        .value_kind:     hidden_group_size_z
      - .offset:         162
        .size:           2
        .value_kind:     hidden_remainder_x
      - .offset:         164
        .size:           2
        .value_kind:     hidden_remainder_y
      - .offset:         166
        .size:           2
        .value_kind:     hidden_remainder_z
      - .offset:         184
        .size:           8
        .value_kind:     hidden_global_offset_x
      - .offset:         192
        .size:           8
        .value_kind:     hidden_global_offset_y
      - .offset:         200
        .size:           8
        .value_kind:     hidden_global_offset_z
      - .offset:         208
        .size:           2
        .value_kind:     hidden_grid_dims
    .group_segment_fixed_size: 8192
    .kernarg_segment_align: 8
    .kernarg_segment_size: 400
    .language:       OpenCL C
    .language_version:
      - 2
      - 0
    .max_flat_workgroup_size: 256
    .name:           _Z39paged_attention_ll4mi_QKV_mfma16_kernelIDF16_DF16_LN4vllm18Fp8KVCacheDataTypeE0EhLi32ELi64ELi256ELb0ELi2EEvPKT_PKT0_S7_ifPKiS9_S9_iPKfiiiPfSC_PS2_PT2_iSB_SB_
    .private_segment_fixed_size: 0
    .sgpr_count:     54
    .sgpr_spill_count: 0
    .symbol:         _Z39paged_attention_ll4mi_QKV_mfma16_kernelIDF16_DF16_LN4vllm18Fp8KVCacheDataTypeE0EhLi32ELi64ELi256ELb0ELi2EEvPKT_PKT0_S7_ifPKiS9_S9_iPKfiiiPfSC_PS2_PT2_iSB_SB_.kd
    .uniform_work_group_size: 1
    .uses_dynamic_stack: false
    .vgpr_count:     67
    .vgpr_spill_count: 0
    .wavefront_size: 64
  - .agpr_count:     0
    .args:
      - .actual_access:  read_only
        .address_space:  global
        .offset:         0
        .size:           8
        .value_kind:     global_buffer
      - .actual_access:  read_only
        .address_space:  global
        .offset:         8
        .size:           8
        .value_kind:     global_buffer
      - .actual_access:  read_only
        .address_space:  global
        .offset:         16
        .size:           8
        .value_kind:     global_buffer
      - .offset:         24
        .size:           4
        .value_kind:     by_value
      - .offset:         28
        .size:           4
        .value_kind:     by_value
      - .actual_access:  read_only
        .address_space:  global
        .offset:         32
        .size:           8
        .value_kind:     global_buffer
      - .actual_access:  read_only
        .address_space:  global
        .offset:         40
        .size:           8
        .value_kind:     global_buffer
      - .actual_access:  read_only
        .address_space:  global
        .offset:         48
        .size:           8
        .value_kind:     global_buffer
      - .offset:         56
        .size:           4
        .value_kind:     by_value
      - .actual_access:  read_only
        .address_space:  global
        .offset:         64
        .size:           8
        .value_kind:     global_buffer
      - .offset:         72
        .size:           4
        .value_kind:     by_value
      - .offset:         76
        .size:           4
        .value_kind:     by_value
      - .offset:         80
        .size:           4
        .value_kind:     by_value
      - .actual_access:  write_only
        .address_space:  global
        .offset:         88
        .size:           8
        .value_kind:     global_buffer
      - .actual_access:  write_only
        .address_space:  global
        .offset:         96
        .size:           8
        .value_kind:     global_buffer
      - .actual_access:  write_only
        .address_space:  global
        .offset:         104
        .size:           8
        .value_kind:     global_buffer
      - .actual_access:  read_only
        .address_space:  global
        .offset:         112
        .size:           8
        .value_kind:     global_buffer
      - .offset:         120
        .size:           4
        .value_kind:     by_value
      - .address_space:  global
        .offset:         128
        .size:           8
        .value_kind:     global_buffer
      - .address_space:  global
        .offset:         136
        .size:           8
        .value_kind:     global_buffer
      - .offset:         144
        .size:           4
        .value_kind:     hidden_block_count_x
      - .offset:         148
        .size:           4
        .value_kind:     hidden_block_count_y
      - .offset:         152
        .size:           4
        .value_kind:     hidden_block_count_z
      - .offset:         156
        .size:           2
        .value_kind:     hidden_group_size_x
      - .offset:         158
        .size:           2
        .value_kind:     hidden_group_size_y
      - .offset:         160
        .size:           2
        .value_kind:     hidden_group_size_z
      - .offset:         162
        .size:           2
        .value_kind:     hidden_remainder_x
      - .offset:         164
        .size:           2
        .value_kind:     hidden_remainder_y
      - .offset:         166
        .size:           2
        .value_kind:     hidden_remainder_z
      - .offset:         184
        .size:           8
        .value_kind:     hidden_global_offset_x
      - .offset:         192
        .size:           8
        .value_kind:     hidden_global_offset_y
      - .offset:         200
        .size:           8
        .value_kind:     hidden_global_offset_z
      - .offset:         208
        .size:           2
        .value_kind:     hidden_grid_dims
    .group_segment_fixed_size: 8192
    .kernarg_segment_align: 8
    .kernarg_segment_size: 400
    .language:       OpenCL C
    .language_version:
      - 2
      - 0
    .max_flat_workgroup_size: 256
    .name:           _Z39paged_attention_ll4mi_QKV_mfma16_kernelIDF16_DF16_LN4vllm18Fp8KVCacheDataTypeE0EhLi32ELi64ELi256ELb0ELi3EEvPKT_PKT0_S7_ifPKiS9_S9_iPKfiiiPfSC_PS2_PT2_iSB_SB_
    .private_segment_fixed_size: 0
    .sgpr_count:     54
    .sgpr_spill_count: 0
    .symbol:         _Z39paged_attention_ll4mi_QKV_mfma16_kernelIDF16_DF16_LN4vllm18Fp8KVCacheDataTypeE0EhLi32ELi64ELi256ELb0ELi3EEvPKT_PKT0_S7_ifPKiS9_S9_iPKfiiiPfSC_PS2_PT2_iSB_SB_.kd
    .uniform_work_group_size: 1
    .uses_dynamic_stack: false
    .vgpr_count:     68
    .vgpr_spill_count: 0
    .wavefront_size: 64
  - .agpr_count:     0
    .args:
      - .actual_access:  read_only
        .address_space:  global
        .offset:         0
        .size:           8
        .value_kind:     global_buffer
      - .actual_access:  read_only
        .address_space:  global
        .offset:         8
        .size:           8
        .value_kind:     global_buffer
      - .actual_access:  read_only
        .address_space:  global
        .offset:         16
        .size:           8
        .value_kind:     global_buffer
      - .offset:         24
        .size:           4
        .value_kind:     by_value
      - .offset:         28
        .size:           4
        .value_kind:     by_value
      - .actual_access:  read_only
        .address_space:  global
        .offset:         32
        .size:           8
        .value_kind:     global_buffer
      - .actual_access:  read_only
        .address_space:  global
        .offset:         40
        .size:           8
        .value_kind:     global_buffer
      - .actual_access:  read_only
        .address_space:  global
        .offset:         48
        .size:           8
        .value_kind:     global_buffer
      - .offset:         56
        .size:           4
        .value_kind:     by_value
      - .actual_access:  read_only
        .address_space:  global
        .offset:         64
        .size:           8
        .value_kind:     global_buffer
      - .offset:         72
        .size:           4
        .value_kind:     by_value
      - .offset:         76
        .size:           4
        .value_kind:     by_value
      - .offset:         80
        .size:           4
        .value_kind:     by_value
      - .actual_access:  write_only
        .address_space:  global
        .offset:         88
        .size:           8
        .value_kind:     global_buffer
      - .actual_access:  write_only
        .address_space:  global
        .offset:         96
        .size:           8
        .value_kind:     global_buffer
      - .actual_access:  write_only
        .address_space:  global
        .offset:         104
        .size:           8
        .value_kind:     global_buffer
      - .actual_access:  read_only
        .address_space:  global
        .offset:         112
        .size:           8
        .value_kind:     global_buffer
      - .offset:         120
        .size:           4
        .value_kind:     by_value
      - .address_space:  global
        .offset:         128
        .size:           8
        .value_kind:     global_buffer
      - .address_space:  global
        .offset:         136
        .size:           8
        .value_kind:     global_buffer
      - .offset:         144
        .size:           4
        .value_kind:     hidden_block_count_x
      - .offset:         148
        .size:           4
        .value_kind:     hidden_block_count_y
      - .offset:         152
        .size:           4
        .value_kind:     hidden_block_count_z
      - .offset:         156
        .size:           2
        .value_kind:     hidden_group_size_x
      - .offset:         158
        .size:           2
        .value_kind:     hidden_group_size_y
      - .offset:         160
        .size:           2
        .value_kind:     hidden_group_size_z
      - .offset:         162
        .size:           2
        .value_kind:     hidden_remainder_x
      - .offset:         164
        .size:           2
        .value_kind:     hidden_remainder_y
      - .offset:         166
        .size:           2
        .value_kind:     hidden_remainder_z
      - .offset:         184
        .size:           8
        .value_kind:     hidden_global_offset_x
      - .offset:         192
        .size:           8
        .value_kind:     hidden_global_offset_y
      - .offset:         200
        .size:           8
        .value_kind:     hidden_global_offset_z
      - .offset:         208
        .size:           2
        .value_kind:     hidden_grid_dims
    .group_segment_fixed_size: 8192
    .kernarg_segment_align: 8
    .kernarg_segment_size: 400
    .language:       OpenCL C
    .language_version:
      - 2
      - 0
    .max_flat_workgroup_size: 256
    .name:           _Z39paged_attention_ll4mi_QKV_mfma16_kernelIDF16_DF16_LN4vllm18Fp8KVCacheDataTypeE0EhLi32ELi64ELi256ELb0ELi4EEvPKT_PKT0_S7_ifPKiS9_S9_iPKfiiiPfSC_PS2_PT2_iSB_SB_
    .private_segment_fixed_size: 0
    .sgpr_count:     52
    .sgpr_spill_count: 0
    .symbol:         _Z39paged_attention_ll4mi_QKV_mfma16_kernelIDF16_DF16_LN4vllm18Fp8KVCacheDataTypeE0EhLi32ELi64ELi256ELb0ELi4EEvPKT_PKT0_S7_ifPKiS9_S9_iPKfiiiPfSC_PS2_PT2_iSB_SB_.kd
    .uniform_work_group_size: 1
    .uses_dynamic_stack: false
    .vgpr_count:     69
    .vgpr_spill_count: 0
    .wavefront_size: 64
  - .agpr_count:     4
    .args:
      - .actual_access:  read_only
        .address_space:  global
        .offset:         0
        .size:           8
        .value_kind:     global_buffer
      - .actual_access:  read_only
        .address_space:  global
        .offset:         8
        .size:           8
        .value_kind:     global_buffer
      - .actual_access:  read_only
        .address_space:  global
        .offset:         16
        .size:           8
        .value_kind:     global_buffer
      - .offset:         24
        .size:           4
        .value_kind:     by_value
      - .offset:         28
        .size:           4
        .value_kind:     by_value
      - .actual_access:  read_only
        .address_space:  global
        .offset:         32
        .size:           8
        .value_kind:     global_buffer
      - .actual_access:  read_only
        .address_space:  global
        .offset:         40
        .size:           8
        .value_kind:     global_buffer
      - .actual_access:  read_only
        .address_space:  global
        .offset:         48
        .size:           8
        .value_kind:     global_buffer
      - .offset:         56
        .size:           4
        .value_kind:     by_value
      - .actual_access:  read_only
        .address_space:  global
        .offset:         64
        .size:           8
        .value_kind:     global_buffer
      - .offset:         72
        .size:           4
        .value_kind:     by_value
      - .offset:         76
        .size:           4
        .value_kind:     by_value
      - .offset:         80
        .size:           4
        .value_kind:     by_value
      - .actual_access:  write_only
        .address_space:  global
        .offset:         88
        .size:           8
        .value_kind:     global_buffer
      - .actual_access:  write_only
        .address_space:  global
        .offset:         96
        .size:           8
        .value_kind:     global_buffer
      - .actual_access:  write_only
        .address_space:  global
        .offset:         104
        .size:           8
        .value_kind:     global_buffer
      - .actual_access:  read_only
        .address_space:  global
        .offset:         112
        .size:           8
        .value_kind:     global_buffer
      - .offset:         120
        .size:           4
        .value_kind:     by_value
      - .address_space:  global
        .offset:         128
        .size:           8
        .value_kind:     global_buffer
      - .address_space:  global
        .offset:         136
        .size:           8
        .value_kind:     global_buffer
      - .offset:         144
        .size:           4
        .value_kind:     hidden_block_count_x
      - .offset:         148
        .size:           4
        .value_kind:     hidden_block_count_y
      - .offset:         152
        .size:           4
        .value_kind:     hidden_block_count_z
      - .offset:         156
        .size:           2
        .value_kind:     hidden_group_size_x
      - .offset:         158
        .size:           2
        .value_kind:     hidden_group_size_y
      - .offset:         160
        .size:           2
        .value_kind:     hidden_group_size_z
      - .offset:         162
        .size:           2
        .value_kind:     hidden_remainder_x
      - .offset:         164
        .size:           2
        .value_kind:     hidden_remainder_y
      - .offset:         166
        .size:           2
        .value_kind:     hidden_remainder_z
      - .offset:         184
        .size:           8
        .value_kind:     hidden_global_offset_x
      - .offset:         192
        .size:           8
        .value_kind:     hidden_global_offset_y
      - .offset:         200
        .size:           8
        .value_kind:     hidden_global_offset_z
      - .offset:         208
        .size:           2
        .value_kind:     hidden_grid_dims
    .group_segment_fixed_size: 2720
    .kernarg_segment_align: 8
    .kernarg_segment_size: 400
    .language:       OpenCL C
    .language_version:
      - 2
      - 0
    .max_flat_workgroup_size: 256
    .name:           _Z38paged_attention_ll4mi_QKV_mfma4_kernelIDF16_DF16_LN4vllm18Fp8KVCacheDataTypeE0EDF16_Li32ELi64ELi256ELb1ELi1EEvPKT_PKT0_S7_ifPKiS9_S9_iPKfiiiPfSC_PS2_PT2_iSB_SB_
    .private_segment_fixed_size: 0
    .sgpr_count:     44
    .sgpr_spill_count: 0
    .symbol:         _Z38paged_attention_ll4mi_QKV_mfma4_kernelIDF16_DF16_LN4vllm18Fp8KVCacheDataTypeE0EDF16_Li32ELi64ELi256ELb1ELi1EEvPKT_PKT0_S7_ifPKiS9_S9_iPKfiiiPfSC_PS2_PT2_iSB_SB_.kd
    .uniform_work_group_size: 1
    .uses_dynamic_stack: false
    .vgpr_count:     60
    .vgpr_spill_count: 0
    .wavefront_size: 64
  - .agpr_count:     4
    .args:
      - .actual_access:  read_only
        .address_space:  global
        .offset:         0
        .size:           8
        .value_kind:     global_buffer
      - .actual_access:  read_only
        .address_space:  global
        .offset:         8
        .size:           8
        .value_kind:     global_buffer
      - .actual_access:  read_only
        .address_space:  global
        .offset:         16
        .size:           8
        .value_kind:     global_buffer
      - .offset:         24
        .size:           4
        .value_kind:     by_value
      - .offset:         28
        .size:           4
        .value_kind:     by_value
      - .actual_access:  read_only
        .address_space:  global
        .offset:         32
        .size:           8
        .value_kind:     global_buffer
      - .actual_access:  read_only
        .address_space:  global
        .offset:         40
        .size:           8
        .value_kind:     global_buffer
      - .actual_access:  read_only
        .address_space:  global
        .offset:         48
        .size:           8
        .value_kind:     global_buffer
      - .offset:         56
        .size:           4
        .value_kind:     by_value
      - .actual_access:  read_only
        .address_space:  global
        .offset:         64
        .size:           8
        .value_kind:     global_buffer
      - .offset:         72
        .size:           4
        .value_kind:     by_value
      - .offset:         76
        .size:           4
        .value_kind:     by_value
      - .offset:         80
        .size:           4
        .value_kind:     by_value
      - .actual_access:  write_only
        .address_space:  global
        .offset:         88
        .size:           8
        .value_kind:     global_buffer
      - .actual_access:  write_only
        .address_space:  global
        .offset:         96
        .size:           8
        .value_kind:     global_buffer
      - .actual_access:  write_only
        .address_space:  global
        .offset:         104
        .size:           8
        .value_kind:     global_buffer
      - .actual_access:  read_only
        .address_space:  global
        .offset:         112
        .size:           8
        .value_kind:     global_buffer
      - .offset:         120
        .size:           4
        .value_kind:     by_value
      - .address_space:  global
        .offset:         128
        .size:           8
        .value_kind:     global_buffer
      - .address_space:  global
        .offset:         136
        .size:           8
        .value_kind:     global_buffer
      - .offset:         144
        .size:           4
        .value_kind:     hidden_block_count_x
      - .offset:         148
        .size:           4
        .value_kind:     hidden_block_count_y
      - .offset:         152
        .size:           4
        .value_kind:     hidden_block_count_z
      - .offset:         156
        .size:           2
        .value_kind:     hidden_group_size_x
      - .offset:         158
        .size:           2
        .value_kind:     hidden_group_size_y
      - .offset:         160
        .size:           2
        .value_kind:     hidden_group_size_z
      - .offset:         162
        .size:           2
        .value_kind:     hidden_remainder_x
      - .offset:         164
        .size:           2
        .value_kind:     hidden_remainder_y
      - .offset:         166
        .size:           2
        .value_kind:     hidden_remainder_z
      - .offset:         184
        .size:           8
        .value_kind:     hidden_global_offset_x
      - .offset:         192
        .size:           8
        .value_kind:     hidden_global_offset_y
      - .offset:         200
        .size:           8
        .value_kind:     hidden_global_offset_z
      - .offset:         208
        .size:           2
        .value_kind:     hidden_grid_dims
    .group_segment_fixed_size: 2720
    .kernarg_segment_align: 8
    .kernarg_segment_size: 400
    .language:       OpenCL C
    .language_version:
      - 2
      - 0
    .max_flat_workgroup_size: 256
    .name:           _Z38paged_attention_ll4mi_QKV_mfma4_kernelIDF16_DF16_LN4vllm18Fp8KVCacheDataTypeE0EDF16_Li32ELi64ELi256ELb1ELi2EEvPKT_PKT0_S7_ifPKiS9_S9_iPKfiiiPfSC_PS2_PT2_iSB_SB_
    .private_segment_fixed_size: 0
    .sgpr_count:     46
    .sgpr_spill_count: 0
    .symbol:         _Z38paged_attention_ll4mi_QKV_mfma4_kernelIDF16_DF16_LN4vllm18Fp8KVCacheDataTypeE0EDF16_Li32ELi64ELi256ELb1ELi2EEvPKT_PKT0_S7_ifPKiS9_S9_iPKfiiiPfSC_PS2_PT2_iSB_SB_.kd
    .uniform_work_group_size: 1
    .uses_dynamic_stack: false
    .vgpr_count:     60
    .vgpr_spill_count: 0
    .wavefront_size: 64
  - .agpr_count:     4
    .args:
      - .actual_access:  read_only
        .address_space:  global
        .offset:         0
        .size:           8
        .value_kind:     global_buffer
      - .actual_access:  read_only
        .address_space:  global
        .offset:         8
        .size:           8
        .value_kind:     global_buffer
      - .actual_access:  read_only
        .address_space:  global
        .offset:         16
        .size:           8
        .value_kind:     global_buffer
      - .offset:         24
        .size:           4
        .value_kind:     by_value
      - .offset:         28
        .size:           4
        .value_kind:     by_value
      - .actual_access:  read_only
        .address_space:  global
        .offset:         32
        .size:           8
        .value_kind:     global_buffer
      - .actual_access:  read_only
        .address_space:  global
        .offset:         40
        .size:           8
        .value_kind:     global_buffer
      - .actual_access:  read_only
        .address_space:  global
        .offset:         48
        .size:           8
        .value_kind:     global_buffer
      - .offset:         56
        .size:           4
        .value_kind:     by_value
      - .actual_access:  read_only
        .address_space:  global
        .offset:         64
        .size:           8
        .value_kind:     global_buffer
      - .offset:         72
        .size:           4
        .value_kind:     by_value
      - .offset:         76
        .size:           4
        .value_kind:     by_value
      - .offset:         80
        .size:           4
        .value_kind:     by_value
      - .actual_access:  write_only
        .address_space:  global
        .offset:         88
        .size:           8
        .value_kind:     global_buffer
      - .actual_access:  write_only
        .address_space:  global
        .offset:         96
        .size:           8
        .value_kind:     global_buffer
      - .actual_access:  write_only
        .address_space:  global
        .offset:         104
        .size:           8
        .value_kind:     global_buffer
      - .actual_access:  read_only
        .address_space:  global
        .offset:         112
        .size:           8
        .value_kind:     global_buffer
      - .offset:         120
        .size:           4
        .value_kind:     by_value
      - .address_space:  global
        .offset:         128
        .size:           8
        .value_kind:     global_buffer
      - .address_space:  global
        .offset:         136
        .size:           8
        .value_kind:     global_buffer
      - .offset:         144
        .size:           4
        .value_kind:     hidden_block_count_x
      - .offset:         148
        .size:           4
        .value_kind:     hidden_block_count_y
      - .offset:         152
        .size:           4
        .value_kind:     hidden_block_count_z
      - .offset:         156
        .size:           2
        .value_kind:     hidden_group_size_x
      - .offset:         158
        .size:           2
        .value_kind:     hidden_group_size_y
      - .offset:         160
        .size:           2
        .value_kind:     hidden_group_size_z
      - .offset:         162
        .size:           2
        .value_kind:     hidden_remainder_x
      - .offset:         164
        .size:           2
        .value_kind:     hidden_remainder_y
      - .offset:         166
        .size:           2
        .value_kind:     hidden_remainder_z
      - .offset:         184
        .size:           8
        .value_kind:     hidden_global_offset_x
      - .offset:         192
        .size:           8
        .value_kind:     hidden_global_offset_y
      - .offset:         200
        .size:           8
        .value_kind:     hidden_global_offset_z
      - .offset:         208
        .size:           2
        .value_kind:     hidden_grid_dims
    .group_segment_fixed_size: 2720
    .kernarg_segment_align: 8
    .kernarg_segment_size: 400
    .language:       OpenCL C
    .language_version:
      - 2
      - 0
    .max_flat_workgroup_size: 256
    .name:           _Z38paged_attention_ll4mi_QKV_mfma4_kernelIDF16_DF16_LN4vllm18Fp8KVCacheDataTypeE0EDF16_Li32ELi64ELi256ELb1ELi3EEvPKT_PKT0_S7_ifPKiS9_S9_iPKfiiiPfSC_PS2_PT2_iSB_SB_
    .private_segment_fixed_size: 0
    .sgpr_count:     46
    .sgpr_spill_count: 0
    .symbol:         _Z38paged_attention_ll4mi_QKV_mfma4_kernelIDF16_DF16_LN4vllm18Fp8KVCacheDataTypeE0EDF16_Li32ELi64ELi256ELb1ELi3EEvPKT_PKT0_S7_ifPKiS9_S9_iPKfiiiPfSC_PS2_PT2_iSB_SB_.kd
    .uniform_work_group_size: 1
    .uses_dynamic_stack: false
    .vgpr_count:     60
    .vgpr_spill_count: 0
    .wavefront_size: 64
  - .agpr_count:     4
    .args:
      - .actual_access:  read_only
        .address_space:  global
        .offset:         0
        .size:           8
        .value_kind:     global_buffer
      - .actual_access:  read_only
        .address_space:  global
        .offset:         8
        .size:           8
        .value_kind:     global_buffer
      - .actual_access:  read_only
        .address_space:  global
        .offset:         16
        .size:           8
        .value_kind:     global_buffer
      - .offset:         24
        .size:           4
        .value_kind:     by_value
      - .offset:         28
        .size:           4
        .value_kind:     by_value
      - .actual_access:  read_only
        .address_space:  global
        .offset:         32
        .size:           8
        .value_kind:     global_buffer
      - .actual_access:  read_only
        .address_space:  global
        .offset:         40
        .size:           8
        .value_kind:     global_buffer
      - .actual_access:  read_only
        .address_space:  global
        .offset:         48
        .size:           8
        .value_kind:     global_buffer
      - .offset:         56
        .size:           4
        .value_kind:     by_value
      - .actual_access:  read_only
        .address_space:  global
        .offset:         64
        .size:           8
        .value_kind:     global_buffer
      - .offset:         72
        .size:           4
        .value_kind:     by_value
      - .offset:         76
        .size:           4
        .value_kind:     by_value
      - .offset:         80
        .size:           4
        .value_kind:     by_value
      - .actual_access:  write_only
        .address_space:  global
        .offset:         88
        .size:           8
        .value_kind:     global_buffer
      - .actual_access:  write_only
        .address_space:  global
        .offset:         96
        .size:           8
        .value_kind:     global_buffer
      - .actual_access:  write_only
        .address_space:  global
        .offset:         104
        .size:           8
        .value_kind:     global_buffer
      - .actual_access:  read_only
        .address_space:  global
        .offset:         112
        .size:           8
        .value_kind:     global_buffer
      - .offset:         120
        .size:           4
        .value_kind:     by_value
      - .address_space:  global
        .offset:         128
        .size:           8
        .value_kind:     global_buffer
      - .address_space:  global
        .offset:         136
        .size:           8
        .value_kind:     global_buffer
      - .offset:         144
        .size:           4
        .value_kind:     hidden_block_count_x
      - .offset:         148
        .size:           4
        .value_kind:     hidden_block_count_y
      - .offset:         152
        .size:           4
        .value_kind:     hidden_block_count_z
      - .offset:         156
        .size:           2
        .value_kind:     hidden_group_size_x
      - .offset:         158
        .size:           2
        .value_kind:     hidden_group_size_y
      - .offset:         160
        .size:           2
        .value_kind:     hidden_group_size_z
      - .offset:         162
        .size:           2
        .value_kind:     hidden_remainder_x
      - .offset:         164
        .size:           2
        .value_kind:     hidden_remainder_y
      - .offset:         166
        .size:           2
        .value_kind:     hidden_remainder_z
      - .offset:         184
        .size:           8
        .value_kind:     hidden_global_offset_x
      - .offset:         192
        .size:           8
        .value_kind:     hidden_global_offset_y
      - .offset:         200
        .size:           8
        .value_kind:     hidden_global_offset_z
      - .offset:         208
        .size:           2
        .value_kind:     hidden_grid_dims
    .group_segment_fixed_size: 2720
    .kernarg_segment_align: 8
    .kernarg_segment_size: 400
    .language:       OpenCL C
    .language_version:
      - 2
      - 0
    .max_flat_workgroup_size: 256
    .name:           _Z38paged_attention_ll4mi_QKV_mfma4_kernelIDF16_DF16_LN4vllm18Fp8KVCacheDataTypeE0EDF16_Li32ELi64ELi256ELb1ELi4EEvPKT_PKT0_S7_ifPKiS9_S9_iPKfiiiPfSC_PS2_PT2_iSB_SB_
    .private_segment_fixed_size: 0
    .sgpr_count:     47
    .sgpr_spill_count: 0
    .symbol:         _Z38paged_attention_ll4mi_QKV_mfma4_kernelIDF16_DF16_LN4vllm18Fp8KVCacheDataTypeE0EDF16_Li32ELi64ELi256ELb1ELi4EEvPKT_PKT0_S7_ifPKiS9_S9_iPKfiiiPfSC_PS2_PT2_iSB_SB_.kd
    .uniform_work_group_size: 1
    .uses_dynamic_stack: false
    .vgpr_count:     72
    .vgpr_spill_count: 0
    .wavefront_size: 64
  - .agpr_count:     0
    .args:
      - .actual_access:  read_only
        .address_space:  global
        .offset:         0
        .size:           8
        .value_kind:     global_buffer
      - .actual_access:  read_only
        .address_space:  global
        .offset:         8
        .size:           8
        .value_kind:     global_buffer
      - .actual_access:  read_only
        .address_space:  global
        .offset:         16
        .size:           8
        .value_kind:     global_buffer
      - .offset:         24
        .size:           4
        .value_kind:     by_value
      - .offset:         28
        .size:           4
        .value_kind:     by_value
      - .actual_access:  read_only
        .address_space:  global
        .offset:         32
        .size:           8
        .value_kind:     global_buffer
      - .actual_access:  read_only
        .address_space:  global
        .offset:         40
        .size:           8
        .value_kind:     global_buffer
      - .actual_access:  read_only
        .address_space:  global
        .offset:         48
        .size:           8
        .value_kind:     global_buffer
      - .offset:         56
        .size:           4
        .value_kind:     by_value
      - .actual_access:  read_only
        .address_space:  global
        .offset:         64
        .size:           8
        .value_kind:     global_buffer
      - .offset:         72
        .size:           4
        .value_kind:     by_value
      - .offset:         76
        .size:           4
        .value_kind:     by_value
      - .offset:         80
        .size:           4
        .value_kind:     by_value
      - .actual_access:  write_only
        .address_space:  global
        .offset:         88
        .size:           8
        .value_kind:     global_buffer
      - .actual_access:  write_only
        .address_space:  global
        .offset:         96
        .size:           8
        .value_kind:     global_buffer
      - .actual_access:  write_only
        .address_space:  global
        .offset:         104
        .size:           8
        .value_kind:     global_buffer
      - .actual_access:  read_only
        .address_space:  global
        .offset:         112
        .size:           8
        .value_kind:     global_buffer
      - .offset:         120
        .size:           4
        .value_kind:     by_value
      - .address_space:  global
        .offset:         128
        .size:           8
        .value_kind:     global_buffer
      - .address_space:  global
        .offset:         136
        .size:           8
        .value_kind:     global_buffer
      - .offset:         144
        .size:           4
        .value_kind:     hidden_block_count_x
      - .offset:         148
        .size:           4
        .value_kind:     hidden_block_count_y
      - .offset:         152
        .size:           4
        .value_kind:     hidden_block_count_z
      - .offset:         156
        .size:           2
        .value_kind:     hidden_group_size_x
      - .offset:         158
        .size:           2
        .value_kind:     hidden_group_size_y
      - .offset:         160
        .size:           2
        .value_kind:     hidden_group_size_z
      - .offset:         162
        .size:           2
        .value_kind:     hidden_remainder_x
      - .offset:         164
        .size:           2
        .value_kind:     hidden_remainder_y
      - .offset:         166
        .size:           2
        .value_kind:     hidden_remainder_z
      - .offset:         184
        .size:           8
        .value_kind:     hidden_global_offset_x
      - .offset:         192
        .size:           8
        .value_kind:     hidden_global_offset_y
      - .offset:         200
        .size:           8
        .value_kind:     hidden_global_offset_z
      - .offset:         208
        .size:           2
        .value_kind:     hidden_grid_dims
    .group_segment_fixed_size: 8192
    .kernarg_segment_align: 8
    .kernarg_segment_size: 400
    .language:       OpenCL C
    .language_version:
      - 2
      - 0
    .max_flat_workgroup_size: 256
    .name:           _Z39paged_attention_ll4mi_QKV_mfma16_kernelIDF16_DF16_LN4vllm18Fp8KVCacheDataTypeE0EDF16_Li32ELi64ELi256ELb1ELi5EEvPKT_PKT0_S7_ifPKiS9_S9_iPKfiiiPfSC_PS2_PT2_iSB_SB_
    .private_segment_fixed_size: 0
    .sgpr_count:     54
    .sgpr_spill_count: 0
    .symbol:         _Z39paged_attention_ll4mi_QKV_mfma16_kernelIDF16_DF16_LN4vllm18Fp8KVCacheDataTypeE0EDF16_Li32ELi64ELi256ELb1ELi5EEvPKT_PKT0_S7_ifPKiS9_S9_iPKfiiiPfSC_PS2_PT2_iSB_SB_.kd
    .uniform_work_group_size: 1
    .uses_dynamic_stack: false
    .vgpr_count:     73
    .vgpr_spill_count: 0
    .wavefront_size: 64
  - .agpr_count:     0
    .args:
      - .actual_access:  read_only
        .address_space:  global
        .offset:         0
        .size:           8
        .value_kind:     global_buffer
      - .actual_access:  read_only
        .address_space:  global
        .offset:         8
        .size:           8
        .value_kind:     global_buffer
      - .actual_access:  read_only
        .address_space:  global
        .offset:         16
        .size:           8
        .value_kind:     global_buffer
      - .offset:         24
        .size:           4
        .value_kind:     by_value
      - .offset:         28
        .size:           4
        .value_kind:     by_value
      - .actual_access:  read_only
        .address_space:  global
        .offset:         32
        .size:           8
        .value_kind:     global_buffer
      - .actual_access:  read_only
        .address_space:  global
        .offset:         40
        .size:           8
        .value_kind:     global_buffer
      - .actual_access:  read_only
        .address_space:  global
        .offset:         48
        .size:           8
        .value_kind:     global_buffer
      - .offset:         56
        .size:           4
        .value_kind:     by_value
      - .actual_access:  read_only
        .address_space:  global
        .offset:         64
        .size:           8
        .value_kind:     global_buffer
      - .offset:         72
        .size:           4
        .value_kind:     by_value
      - .offset:         76
        .size:           4
        .value_kind:     by_value
      - .offset:         80
        .size:           4
        .value_kind:     by_value
      - .actual_access:  write_only
        .address_space:  global
        .offset:         88
        .size:           8
        .value_kind:     global_buffer
      - .actual_access:  write_only
        .address_space:  global
        .offset:         96
        .size:           8
        .value_kind:     global_buffer
      - .actual_access:  write_only
        .address_space:  global
        .offset:         104
        .size:           8
        .value_kind:     global_buffer
      - .actual_access:  read_only
        .address_space:  global
        .offset:         112
        .size:           8
        .value_kind:     global_buffer
      - .offset:         120
        .size:           4
        .value_kind:     by_value
      - .address_space:  global
        .offset:         128
        .size:           8
        .value_kind:     global_buffer
      - .address_space:  global
        .offset:         136
        .size:           8
        .value_kind:     global_buffer
      - .offset:         144
        .size:           4
        .value_kind:     hidden_block_count_x
      - .offset:         148
        .size:           4
        .value_kind:     hidden_block_count_y
      - .offset:         152
        .size:           4
        .value_kind:     hidden_block_count_z
      - .offset:         156
        .size:           2
        .value_kind:     hidden_group_size_x
      - .offset:         158
        .size:           2
        .value_kind:     hidden_group_size_y
      - .offset:         160
        .size:           2
        .value_kind:     hidden_group_size_z
      - .offset:         162
        .size:           2
        .value_kind:     hidden_remainder_x
      - .offset:         164
        .size:           2
        .value_kind:     hidden_remainder_y
      - .offset:         166
        .size:           2
        .value_kind:     hidden_remainder_z
      - .offset:         184
        .size:           8
        .value_kind:     hidden_global_offset_x
      - .offset:         192
        .size:           8
        .value_kind:     hidden_global_offset_y
      - .offset:         200
        .size:           8
        .value_kind:     hidden_global_offset_z
      - .offset:         208
        .size:           2
        .value_kind:     hidden_grid_dims
    .group_segment_fixed_size: 8192
    .kernarg_segment_align: 8
    .kernarg_segment_size: 400
    .language:       OpenCL C
    .language_version:
      - 2
      - 0
    .max_flat_workgroup_size: 256
    .name:           _Z39paged_attention_ll4mi_QKV_mfma16_kernelIDF16_DF16_LN4vllm18Fp8KVCacheDataTypeE0EDF16_Li32ELi64ELi256ELb1ELi6EEvPKT_PKT0_S7_ifPKiS9_S9_iPKfiiiPfSC_PS2_PT2_iSB_SB_
    .private_segment_fixed_size: 0
    .sgpr_count:     54
    .sgpr_spill_count: 0
    .symbol:         _Z39paged_attention_ll4mi_QKV_mfma16_kernelIDF16_DF16_LN4vllm18Fp8KVCacheDataTypeE0EDF16_Li32ELi64ELi256ELb1ELi6EEvPKT_PKT0_S7_ifPKiS9_S9_iPKfiiiPfSC_PS2_PT2_iSB_SB_.kd
    .uniform_work_group_size: 1
    .uses_dynamic_stack: false
    .vgpr_count:     73
    .vgpr_spill_count: 0
    .wavefront_size: 64
  - .agpr_count:     0
    .args:
      - .actual_access:  read_only
        .address_space:  global
        .offset:         0
        .size:           8
        .value_kind:     global_buffer
      - .actual_access:  read_only
        .address_space:  global
        .offset:         8
        .size:           8
        .value_kind:     global_buffer
      - .actual_access:  read_only
        .address_space:  global
        .offset:         16
        .size:           8
        .value_kind:     global_buffer
      - .offset:         24
        .size:           4
        .value_kind:     by_value
      - .offset:         28
        .size:           4
        .value_kind:     by_value
      - .actual_access:  read_only
        .address_space:  global
        .offset:         32
        .size:           8
        .value_kind:     global_buffer
      - .actual_access:  read_only
        .address_space:  global
        .offset:         40
        .size:           8
        .value_kind:     global_buffer
      - .actual_access:  read_only
        .address_space:  global
        .offset:         48
        .size:           8
        .value_kind:     global_buffer
      - .offset:         56
        .size:           4
        .value_kind:     by_value
      - .actual_access:  read_only
        .address_space:  global
        .offset:         64
        .size:           8
        .value_kind:     global_buffer
      - .offset:         72
        .size:           4
        .value_kind:     by_value
      - .offset:         76
        .size:           4
        .value_kind:     by_value
      - .offset:         80
        .size:           4
        .value_kind:     by_value
      - .actual_access:  write_only
        .address_space:  global
        .offset:         88
        .size:           8
        .value_kind:     global_buffer
      - .actual_access:  write_only
        .address_space:  global
        .offset:         96
        .size:           8
        .value_kind:     global_buffer
      - .actual_access:  write_only
        .address_space:  global
        .offset:         104
        .size:           8
        .value_kind:     global_buffer
      - .actual_access:  read_only
        .address_space:  global
        .offset:         112
        .size:           8
        .value_kind:     global_buffer
      - .offset:         120
        .size:           4
        .value_kind:     by_value
      - .address_space:  global
        .offset:         128
        .size:           8
        .value_kind:     global_buffer
      - .address_space:  global
        .offset:         136
        .size:           8
        .value_kind:     global_buffer
      - .offset:         144
        .size:           4
        .value_kind:     hidden_block_count_x
      - .offset:         148
        .size:           4
        .value_kind:     hidden_block_count_y
      - .offset:         152
        .size:           4
        .value_kind:     hidden_block_count_z
      - .offset:         156
        .size:           2
        .value_kind:     hidden_group_size_x
      - .offset:         158
        .size:           2
        .value_kind:     hidden_group_size_y
      - .offset:         160
        .size:           2
        .value_kind:     hidden_group_size_z
      - .offset:         162
        .size:           2
        .value_kind:     hidden_remainder_x
      - .offset:         164
        .size:           2
        .value_kind:     hidden_remainder_y
      - .offset:         166
        .size:           2
        .value_kind:     hidden_remainder_z
      - .offset:         184
        .size:           8
        .value_kind:     hidden_global_offset_x
      - .offset:         192
        .size:           8
        .value_kind:     hidden_global_offset_y
      - .offset:         200
        .size:           8
        .value_kind:     hidden_global_offset_z
      - .offset:         208
        .size:           2
        .value_kind:     hidden_grid_dims
    .group_segment_fixed_size: 8192
    .kernarg_segment_align: 8
    .kernarg_segment_size: 400
    .language:       OpenCL C
    .language_version:
      - 2
      - 0
    .max_flat_workgroup_size: 256
    .name:           _Z39paged_attention_ll4mi_QKV_mfma16_kernelIDF16_DF16_LN4vllm18Fp8KVCacheDataTypeE0EDF16_Li32ELi64ELi256ELb1ELi7EEvPKT_PKT0_S7_ifPKiS9_S9_iPKfiiiPfSC_PS2_PT2_iSB_SB_
    .private_segment_fixed_size: 0
    .sgpr_count:     54
    .sgpr_spill_count: 0
    .symbol:         _Z39paged_attention_ll4mi_QKV_mfma16_kernelIDF16_DF16_LN4vllm18Fp8KVCacheDataTypeE0EDF16_Li32ELi64ELi256ELb1ELi7EEvPKT_PKT0_S7_ifPKiS9_S9_iPKfiiiPfSC_PS2_PT2_iSB_SB_.kd
    .uniform_work_group_size: 1
    .uses_dynamic_stack: false
    .vgpr_count:     73
    .vgpr_spill_count: 0
    .wavefront_size: 64
  - .agpr_count:     0
    .args:
      - .actual_access:  read_only
        .address_space:  global
        .offset:         0
        .size:           8
        .value_kind:     global_buffer
      - .actual_access:  read_only
        .address_space:  global
        .offset:         8
        .size:           8
        .value_kind:     global_buffer
      - .actual_access:  read_only
        .address_space:  global
        .offset:         16
        .size:           8
        .value_kind:     global_buffer
      - .offset:         24
        .size:           4
        .value_kind:     by_value
      - .offset:         28
        .size:           4
        .value_kind:     by_value
      - .actual_access:  read_only
        .address_space:  global
        .offset:         32
        .size:           8
        .value_kind:     global_buffer
      - .actual_access:  read_only
        .address_space:  global
        .offset:         40
        .size:           8
        .value_kind:     global_buffer
      - .actual_access:  read_only
        .address_space:  global
        .offset:         48
        .size:           8
        .value_kind:     global_buffer
      - .offset:         56
        .size:           4
        .value_kind:     by_value
      - .actual_access:  read_only
        .address_space:  global
        .offset:         64
        .size:           8
        .value_kind:     global_buffer
      - .offset:         72
        .size:           4
        .value_kind:     by_value
      - .offset:         76
        .size:           4
        .value_kind:     by_value
      - .offset:         80
        .size:           4
        .value_kind:     by_value
      - .actual_access:  write_only
        .address_space:  global
        .offset:         88
        .size:           8
        .value_kind:     global_buffer
      - .actual_access:  write_only
        .address_space:  global
        .offset:         96
        .size:           8
        .value_kind:     global_buffer
      - .actual_access:  write_only
        .address_space:  global
        .offset:         104
        .size:           8
        .value_kind:     global_buffer
      - .actual_access:  read_only
        .address_space:  global
        .offset:         112
        .size:           8
        .value_kind:     global_buffer
      - .offset:         120
        .size:           4
        .value_kind:     by_value
      - .address_space:  global
        .offset:         128
        .size:           8
        .value_kind:     global_buffer
      - .address_space:  global
        .offset:         136
        .size:           8
        .value_kind:     global_buffer
      - .offset:         144
        .size:           4
        .value_kind:     hidden_block_count_x
      - .offset:         148
        .size:           4
        .value_kind:     hidden_block_count_y
      - .offset:         152
        .size:           4
        .value_kind:     hidden_block_count_z
      - .offset:         156
        .size:           2
        .value_kind:     hidden_group_size_x
      - .offset:         158
        .size:           2
        .value_kind:     hidden_group_size_y
      - .offset:         160
        .size:           2
        .value_kind:     hidden_group_size_z
      - .offset:         162
        .size:           2
        .value_kind:     hidden_remainder_x
      - .offset:         164
        .size:           2
        .value_kind:     hidden_remainder_y
      - .offset:         166
        .size:           2
        .value_kind:     hidden_remainder_z
      - .offset:         184
        .size:           8
        .value_kind:     hidden_global_offset_x
      - .offset:         192
        .size:           8
        .value_kind:     hidden_global_offset_y
      - .offset:         200
        .size:           8
        .value_kind:     hidden_global_offset_z
      - .offset:         208
        .size:           2
        .value_kind:     hidden_grid_dims
    .group_segment_fixed_size: 8192
    .kernarg_segment_align: 8
    .kernarg_segment_size: 400
    .language:       OpenCL C
    .language_version:
      - 2
      - 0
    .max_flat_workgroup_size: 256
    .name:           _Z39paged_attention_ll4mi_QKV_mfma16_kernelIDF16_DF16_LN4vllm18Fp8KVCacheDataTypeE0EDF16_Li32ELi64ELi256ELb1ELi8EEvPKT_PKT0_S7_ifPKiS9_S9_iPKfiiiPfSC_PS2_PT2_iSB_SB_
    .private_segment_fixed_size: 0
    .sgpr_count:     54
    .sgpr_spill_count: 0
    .symbol:         _Z39paged_attention_ll4mi_QKV_mfma16_kernelIDF16_DF16_LN4vllm18Fp8KVCacheDataTypeE0EDF16_Li32ELi64ELi256ELb1ELi8EEvPKT_PKT0_S7_ifPKiS9_S9_iPKfiiiPfSC_PS2_PT2_iSB_SB_.kd
    .uniform_work_group_size: 1
    .uses_dynamic_stack: false
    .vgpr_count:     73
    .vgpr_spill_count: 0
    .wavefront_size: 64
  - .agpr_count:     0
    .args:
      - .actual_access:  read_only
        .address_space:  global
        .offset:         0
        .size:           8
        .value_kind:     global_buffer
      - .actual_access:  read_only
        .address_space:  global
        .offset:         8
        .size:           8
        .value_kind:     global_buffer
      - .actual_access:  read_only
        .address_space:  global
        .offset:         16
        .size:           8
        .value_kind:     global_buffer
      - .offset:         24
        .size:           4
        .value_kind:     by_value
      - .offset:         28
        .size:           4
        .value_kind:     by_value
      - .actual_access:  read_only
        .address_space:  global
        .offset:         32
        .size:           8
        .value_kind:     global_buffer
      - .actual_access:  read_only
        .address_space:  global
        .offset:         40
        .size:           8
        .value_kind:     global_buffer
      - .actual_access:  read_only
        .address_space:  global
        .offset:         48
        .size:           8
        .value_kind:     global_buffer
      - .offset:         56
        .size:           4
        .value_kind:     by_value
      - .actual_access:  read_only
        .address_space:  global
        .offset:         64
        .size:           8
        .value_kind:     global_buffer
      - .offset:         72
        .size:           4
        .value_kind:     by_value
      - .offset:         76
        .size:           4
        .value_kind:     by_value
      - .offset:         80
        .size:           4
        .value_kind:     by_value
      - .actual_access:  write_only
        .address_space:  global
        .offset:         88
        .size:           8
        .value_kind:     global_buffer
      - .actual_access:  write_only
        .address_space:  global
        .offset:         96
        .size:           8
        .value_kind:     global_buffer
      - .actual_access:  write_only
        .address_space:  global
        .offset:         104
        .size:           8
        .value_kind:     global_buffer
      - .actual_access:  read_only
        .address_space:  global
        .offset:         112
        .size:           8
        .value_kind:     global_buffer
      - .offset:         120
        .size:           4
        .value_kind:     by_value
      - .address_space:  global
        .offset:         128
        .size:           8
        .value_kind:     global_buffer
      - .address_space:  global
        .offset:         136
        .size:           8
        .value_kind:     global_buffer
      - .offset:         144
        .size:           4
        .value_kind:     hidden_block_count_x
      - .offset:         148
        .size:           4
        .value_kind:     hidden_block_count_y
      - .offset:         152
        .size:           4
        .value_kind:     hidden_block_count_z
      - .offset:         156
        .size:           2
        .value_kind:     hidden_group_size_x
      - .offset:         158
        .size:           2
        .value_kind:     hidden_group_size_y
      - .offset:         160
        .size:           2
        .value_kind:     hidden_group_size_z
      - .offset:         162
        .size:           2
        .value_kind:     hidden_remainder_x
      - .offset:         164
        .size:           2
        .value_kind:     hidden_remainder_y
      - .offset:         166
        .size:           2
        .value_kind:     hidden_remainder_z
      - .offset:         184
        .size:           8
        .value_kind:     hidden_global_offset_x
      - .offset:         192
        .size:           8
        .value_kind:     hidden_global_offset_y
      - .offset:         200
        .size:           8
        .value_kind:     hidden_global_offset_z
      - .offset:         208
        .size:           2
        .value_kind:     hidden_grid_dims
    .group_segment_fixed_size: 8192
    .kernarg_segment_align: 8
    .kernarg_segment_size: 400
    .language:       OpenCL C
    .language_version:
      - 2
      - 0
    .max_flat_workgroup_size: 256
    .name:           _Z39paged_attention_ll4mi_QKV_mfma16_kernelIDF16_DF16_LN4vllm18Fp8KVCacheDataTypeE0EDF16_Li32ELi64ELi256ELb1ELi9EEvPKT_PKT0_S7_ifPKiS9_S9_iPKfiiiPfSC_PS2_PT2_iSB_SB_
    .private_segment_fixed_size: 0
    .sgpr_count:     54
    .sgpr_spill_count: 0
    .symbol:         _Z39paged_attention_ll4mi_QKV_mfma16_kernelIDF16_DF16_LN4vllm18Fp8KVCacheDataTypeE0EDF16_Li32ELi64ELi256ELb1ELi9EEvPKT_PKT0_S7_ifPKiS9_S9_iPKfiiiPfSC_PS2_PT2_iSB_SB_.kd
    .uniform_work_group_size: 1
    .uses_dynamic_stack: false
    .vgpr_count:     73
    .vgpr_spill_count: 0
    .wavefront_size: 64
  - .agpr_count:     0
    .args:
      - .actual_access:  read_only
        .address_space:  global
        .offset:         0
        .size:           8
        .value_kind:     global_buffer
      - .actual_access:  read_only
        .address_space:  global
        .offset:         8
        .size:           8
        .value_kind:     global_buffer
      - .actual_access:  read_only
        .address_space:  global
        .offset:         16
        .size:           8
        .value_kind:     global_buffer
      - .offset:         24
        .size:           4
        .value_kind:     by_value
      - .offset:         28
        .size:           4
        .value_kind:     by_value
      - .actual_access:  read_only
        .address_space:  global
        .offset:         32
        .size:           8
        .value_kind:     global_buffer
      - .actual_access:  read_only
        .address_space:  global
        .offset:         40
        .size:           8
        .value_kind:     global_buffer
      - .actual_access:  read_only
        .address_space:  global
        .offset:         48
        .size:           8
        .value_kind:     global_buffer
      - .offset:         56
        .size:           4
        .value_kind:     by_value
      - .actual_access:  read_only
        .address_space:  global
        .offset:         64
        .size:           8
        .value_kind:     global_buffer
      - .offset:         72
        .size:           4
        .value_kind:     by_value
      - .offset:         76
        .size:           4
        .value_kind:     by_value
      - .offset:         80
        .size:           4
        .value_kind:     by_value
      - .actual_access:  write_only
        .address_space:  global
        .offset:         88
        .size:           8
        .value_kind:     global_buffer
      - .actual_access:  write_only
        .address_space:  global
        .offset:         96
        .size:           8
        .value_kind:     global_buffer
      - .actual_access:  write_only
        .address_space:  global
        .offset:         104
        .size:           8
        .value_kind:     global_buffer
      - .actual_access:  read_only
        .address_space:  global
        .offset:         112
        .size:           8
        .value_kind:     global_buffer
      - .offset:         120
        .size:           4
        .value_kind:     by_value
      - .address_space:  global
        .offset:         128
        .size:           8
        .value_kind:     global_buffer
      - .address_space:  global
        .offset:         136
        .size:           8
        .value_kind:     global_buffer
      - .offset:         144
        .size:           4
        .value_kind:     hidden_block_count_x
      - .offset:         148
        .size:           4
        .value_kind:     hidden_block_count_y
      - .offset:         152
        .size:           4
        .value_kind:     hidden_block_count_z
      - .offset:         156
        .size:           2
        .value_kind:     hidden_group_size_x
      - .offset:         158
        .size:           2
        .value_kind:     hidden_group_size_y
      - .offset:         160
        .size:           2
        .value_kind:     hidden_group_size_z
      - .offset:         162
        .size:           2
        .value_kind:     hidden_remainder_x
      - .offset:         164
        .size:           2
        .value_kind:     hidden_remainder_y
      - .offset:         166
        .size:           2
        .value_kind:     hidden_remainder_z
      - .offset:         184
        .size:           8
        .value_kind:     hidden_global_offset_x
      - .offset:         192
        .size:           8
        .value_kind:     hidden_global_offset_y
      - .offset:         200
        .size:           8
        .value_kind:     hidden_global_offset_z
      - .offset:         208
        .size:           2
        .value_kind:     hidden_grid_dims
    .group_segment_fixed_size: 8192
    .kernarg_segment_align: 8
    .kernarg_segment_size: 400
    .language:       OpenCL C
    .language_version:
      - 2
      - 0
    .max_flat_workgroup_size: 256
    .name:           _Z39paged_attention_ll4mi_QKV_mfma16_kernelIDF16_DF16_LN4vllm18Fp8KVCacheDataTypeE0EDF16_Li32ELi64ELi256ELb1ELi10EEvPKT_PKT0_S7_ifPKiS9_S9_iPKfiiiPfSC_PS2_PT2_iSB_SB_
    .private_segment_fixed_size: 0
    .sgpr_count:     54
    .sgpr_spill_count: 0
    .symbol:         _Z39paged_attention_ll4mi_QKV_mfma16_kernelIDF16_DF16_LN4vllm18Fp8KVCacheDataTypeE0EDF16_Li32ELi64ELi256ELb1ELi10EEvPKT_PKT0_S7_ifPKiS9_S9_iPKfiiiPfSC_PS2_PT2_iSB_SB_.kd
    .uniform_work_group_size: 1
    .uses_dynamic_stack: false
    .vgpr_count:     73
    .vgpr_spill_count: 0
    .wavefront_size: 64
  - .agpr_count:     0
    .args:
      - .actual_access:  read_only
        .address_space:  global
        .offset:         0
        .size:           8
        .value_kind:     global_buffer
      - .actual_access:  read_only
        .address_space:  global
        .offset:         8
        .size:           8
        .value_kind:     global_buffer
      - .actual_access:  read_only
        .address_space:  global
        .offset:         16
        .size:           8
        .value_kind:     global_buffer
      - .offset:         24
        .size:           4
        .value_kind:     by_value
      - .offset:         28
        .size:           4
        .value_kind:     by_value
      - .actual_access:  read_only
        .address_space:  global
        .offset:         32
        .size:           8
        .value_kind:     global_buffer
      - .actual_access:  read_only
        .address_space:  global
        .offset:         40
        .size:           8
        .value_kind:     global_buffer
      - .actual_access:  read_only
        .address_space:  global
        .offset:         48
        .size:           8
        .value_kind:     global_buffer
      - .offset:         56
        .size:           4
        .value_kind:     by_value
      - .actual_access:  read_only
        .address_space:  global
        .offset:         64
        .size:           8
        .value_kind:     global_buffer
      - .offset:         72
        .size:           4
        .value_kind:     by_value
      - .offset:         76
        .size:           4
        .value_kind:     by_value
      - .offset:         80
        .size:           4
        .value_kind:     by_value
      - .actual_access:  write_only
        .address_space:  global
        .offset:         88
        .size:           8
        .value_kind:     global_buffer
      - .actual_access:  write_only
        .address_space:  global
        .offset:         96
        .size:           8
        .value_kind:     global_buffer
      - .actual_access:  write_only
        .address_space:  global
        .offset:         104
        .size:           8
        .value_kind:     global_buffer
      - .actual_access:  read_only
        .address_space:  global
        .offset:         112
        .size:           8
        .value_kind:     global_buffer
      - .offset:         120
        .size:           4
        .value_kind:     by_value
      - .address_space:  global
        .offset:         128
        .size:           8
        .value_kind:     global_buffer
      - .address_space:  global
        .offset:         136
        .size:           8
        .value_kind:     global_buffer
      - .offset:         144
        .size:           4
        .value_kind:     hidden_block_count_x
      - .offset:         148
        .size:           4
        .value_kind:     hidden_block_count_y
      - .offset:         152
        .size:           4
        .value_kind:     hidden_block_count_z
      - .offset:         156
        .size:           2
        .value_kind:     hidden_group_size_x
      - .offset:         158
        .size:           2
        .value_kind:     hidden_group_size_y
      - .offset:         160
        .size:           2
        .value_kind:     hidden_group_size_z
      - .offset:         162
        .size:           2
        .value_kind:     hidden_remainder_x
      - .offset:         164
        .size:           2
        .value_kind:     hidden_remainder_y
      - .offset:         166
        .size:           2
        .value_kind:     hidden_remainder_z
      - .offset:         184
        .size:           8
        .value_kind:     hidden_global_offset_x
      - .offset:         192
        .size:           8
        .value_kind:     hidden_global_offset_y
      - .offset:         200
        .size:           8
        .value_kind:     hidden_global_offset_z
      - .offset:         208
        .size:           2
        .value_kind:     hidden_grid_dims
    .group_segment_fixed_size: 8192
    .kernarg_segment_align: 8
    .kernarg_segment_size: 400
    .language:       OpenCL C
    .language_version:
      - 2
      - 0
    .max_flat_workgroup_size: 256
    .name:           _Z39paged_attention_ll4mi_QKV_mfma16_kernelIDF16_DF16_LN4vllm18Fp8KVCacheDataTypeE0EDF16_Li32ELi64ELi256ELb1ELi11EEvPKT_PKT0_S7_ifPKiS9_S9_iPKfiiiPfSC_PS2_PT2_iSB_SB_
    .private_segment_fixed_size: 0
    .sgpr_count:     54
    .sgpr_spill_count: 0
    .symbol:         _Z39paged_attention_ll4mi_QKV_mfma16_kernelIDF16_DF16_LN4vllm18Fp8KVCacheDataTypeE0EDF16_Li32ELi64ELi256ELb1ELi11EEvPKT_PKT0_S7_ifPKiS9_S9_iPKfiiiPfSC_PS2_PT2_iSB_SB_.kd
    .uniform_work_group_size: 1
    .uses_dynamic_stack: false
    .vgpr_count:     73
    .vgpr_spill_count: 0
    .wavefront_size: 64
  - .agpr_count:     0
    .args:
      - .actual_access:  read_only
        .address_space:  global
        .offset:         0
        .size:           8
        .value_kind:     global_buffer
      - .actual_access:  read_only
        .address_space:  global
        .offset:         8
        .size:           8
        .value_kind:     global_buffer
      - .actual_access:  read_only
        .address_space:  global
        .offset:         16
        .size:           8
        .value_kind:     global_buffer
      - .offset:         24
        .size:           4
        .value_kind:     by_value
      - .offset:         28
        .size:           4
        .value_kind:     by_value
      - .actual_access:  read_only
        .address_space:  global
        .offset:         32
        .size:           8
        .value_kind:     global_buffer
      - .actual_access:  read_only
        .address_space:  global
        .offset:         40
        .size:           8
        .value_kind:     global_buffer
      - .actual_access:  read_only
        .address_space:  global
        .offset:         48
        .size:           8
        .value_kind:     global_buffer
      - .offset:         56
        .size:           4
        .value_kind:     by_value
      - .actual_access:  read_only
        .address_space:  global
        .offset:         64
        .size:           8
        .value_kind:     global_buffer
      - .offset:         72
        .size:           4
        .value_kind:     by_value
      - .offset:         76
        .size:           4
        .value_kind:     by_value
      - .offset:         80
        .size:           4
        .value_kind:     by_value
      - .actual_access:  write_only
        .address_space:  global
        .offset:         88
        .size:           8
        .value_kind:     global_buffer
      - .actual_access:  write_only
        .address_space:  global
        .offset:         96
        .size:           8
        .value_kind:     global_buffer
      - .actual_access:  write_only
        .address_space:  global
        .offset:         104
        .size:           8
        .value_kind:     global_buffer
      - .actual_access:  read_only
        .address_space:  global
        .offset:         112
        .size:           8
        .value_kind:     global_buffer
      - .offset:         120
        .size:           4
        .value_kind:     by_value
      - .address_space:  global
        .offset:         128
        .size:           8
        .value_kind:     global_buffer
      - .address_space:  global
        .offset:         136
        .size:           8
        .value_kind:     global_buffer
      - .offset:         144
        .size:           4
        .value_kind:     hidden_block_count_x
      - .offset:         148
        .size:           4
        .value_kind:     hidden_block_count_y
      - .offset:         152
        .size:           4
        .value_kind:     hidden_block_count_z
      - .offset:         156
        .size:           2
        .value_kind:     hidden_group_size_x
      - .offset:         158
        .size:           2
        .value_kind:     hidden_group_size_y
      - .offset:         160
        .size:           2
        .value_kind:     hidden_group_size_z
      - .offset:         162
        .size:           2
        .value_kind:     hidden_remainder_x
      - .offset:         164
        .size:           2
        .value_kind:     hidden_remainder_y
      - .offset:         166
        .size:           2
        .value_kind:     hidden_remainder_z
      - .offset:         184
        .size:           8
        .value_kind:     hidden_global_offset_x
      - .offset:         192
        .size:           8
        .value_kind:     hidden_global_offset_y
      - .offset:         200
        .size:           8
        .value_kind:     hidden_global_offset_z
      - .offset:         208
        .size:           2
        .value_kind:     hidden_grid_dims
    .group_segment_fixed_size: 8192
    .kernarg_segment_align: 8
    .kernarg_segment_size: 400
    .language:       OpenCL C
    .language_version:
      - 2
      - 0
    .max_flat_workgroup_size: 256
    .name:           _Z39paged_attention_ll4mi_QKV_mfma16_kernelIDF16_DF16_LN4vllm18Fp8KVCacheDataTypeE0EDF16_Li32ELi64ELi256ELb1ELi12EEvPKT_PKT0_S7_ifPKiS9_S9_iPKfiiiPfSC_PS2_PT2_iSB_SB_
    .private_segment_fixed_size: 0
    .sgpr_count:     54
    .sgpr_spill_count: 0
    .symbol:         _Z39paged_attention_ll4mi_QKV_mfma16_kernelIDF16_DF16_LN4vllm18Fp8KVCacheDataTypeE0EDF16_Li32ELi64ELi256ELb1ELi12EEvPKT_PKT0_S7_ifPKiS9_S9_iPKfiiiPfSC_PS2_PT2_iSB_SB_.kd
    .uniform_work_group_size: 1
    .uses_dynamic_stack: false
    .vgpr_count:     73
    .vgpr_spill_count: 0
    .wavefront_size: 64
  - .agpr_count:     0
    .args:
      - .actual_access:  read_only
        .address_space:  global
        .offset:         0
        .size:           8
        .value_kind:     global_buffer
      - .actual_access:  read_only
        .address_space:  global
        .offset:         8
        .size:           8
        .value_kind:     global_buffer
      - .actual_access:  read_only
        .address_space:  global
        .offset:         16
        .size:           8
        .value_kind:     global_buffer
      - .offset:         24
        .size:           4
        .value_kind:     by_value
      - .offset:         28
        .size:           4
        .value_kind:     by_value
      - .actual_access:  read_only
        .address_space:  global
        .offset:         32
        .size:           8
        .value_kind:     global_buffer
      - .actual_access:  read_only
        .address_space:  global
        .offset:         40
        .size:           8
        .value_kind:     global_buffer
      - .actual_access:  read_only
        .address_space:  global
        .offset:         48
        .size:           8
        .value_kind:     global_buffer
      - .offset:         56
        .size:           4
        .value_kind:     by_value
      - .actual_access:  read_only
        .address_space:  global
        .offset:         64
        .size:           8
        .value_kind:     global_buffer
      - .offset:         72
        .size:           4
        .value_kind:     by_value
      - .offset:         76
        .size:           4
        .value_kind:     by_value
      - .offset:         80
        .size:           4
        .value_kind:     by_value
      - .actual_access:  write_only
        .address_space:  global
        .offset:         88
        .size:           8
        .value_kind:     global_buffer
      - .actual_access:  write_only
        .address_space:  global
        .offset:         96
        .size:           8
        .value_kind:     global_buffer
      - .actual_access:  write_only
        .address_space:  global
        .offset:         104
        .size:           8
        .value_kind:     global_buffer
      - .actual_access:  read_only
        .address_space:  global
        .offset:         112
        .size:           8
        .value_kind:     global_buffer
      - .offset:         120
        .size:           4
        .value_kind:     by_value
      - .address_space:  global
        .offset:         128
        .size:           8
        .value_kind:     global_buffer
      - .address_space:  global
        .offset:         136
        .size:           8
        .value_kind:     global_buffer
      - .offset:         144
        .size:           4
        .value_kind:     hidden_block_count_x
      - .offset:         148
        .size:           4
        .value_kind:     hidden_block_count_y
      - .offset:         152
        .size:           4
        .value_kind:     hidden_block_count_z
      - .offset:         156
        .size:           2
        .value_kind:     hidden_group_size_x
      - .offset:         158
        .size:           2
        .value_kind:     hidden_group_size_y
      - .offset:         160
        .size:           2
        .value_kind:     hidden_group_size_z
      - .offset:         162
        .size:           2
        .value_kind:     hidden_remainder_x
      - .offset:         164
        .size:           2
        .value_kind:     hidden_remainder_y
      - .offset:         166
        .size:           2
        .value_kind:     hidden_remainder_z
      - .offset:         184
        .size:           8
        .value_kind:     hidden_global_offset_x
      - .offset:         192
        .size:           8
        .value_kind:     hidden_global_offset_y
      - .offset:         200
        .size:           8
        .value_kind:     hidden_global_offset_z
      - .offset:         208
        .size:           2
        .value_kind:     hidden_grid_dims
    .group_segment_fixed_size: 8192
    .kernarg_segment_align: 8
    .kernarg_segment_size: 400
    .language:       OpenCL C
    .language_version:
      - 2
      - 0
    .max_flat_workgroup_size: 256
    .name:           _Z39paged_attention_ll4mi_QKV_mfma16_kernelIDF16_DF16_LN4vllm18Fp8KVCacheDataTypeE0EDF16_Li32ELi64ELi256ELb1ELi13EEvPKT_PKT0_S7_ifPKiS9_S9_iPKfiiiPfSC_PS2_PT2_iSB_SB_
    .private_segment_fixed_size: 0
    .sgpr_count:     54
    .sgpr_spill_count: 0
    .symbol:         _Z39paged_attention_ll4mi_QKV_mfma16_kernelIDF16_DF16_LN4vllm18Fp8KVCacheDataTypeE0EDF16_Li32ELi64ELi256ELb1ELi13EEvPKT_PKT0_S7_ifPKiS9_S9_iPKfiiiPfSC_PS2_PT2_iSB_SB_.kd
    .uniform_work_group_size: 1
    .uses_dynamic_stack: false
    .vgpr_count:     73
    .vgpr_spill_count: 0
    .wavefront_size: 64
  - .agpr_count:     0
    .args:
      - .actual_access:  read_only
        .address_space:  global
        .offset:         0
        .size:           8
        .value_kind:     global_buffer
      - .actual_access:  read_only
        .address_space:  global
        .offset:         8
        .size:           8
        .value_kind:     global_buffer
      - .actual_access:  read_only
        .address_space:  global
        .offset:         16
        .size:           8
        .value_kind:     global_buffer
      - .offset:         24
        .size:           4
        .value_kind:     by_value
      - .offset:         28
        .size:           4
        .value_kind:     by_value
      - .actual_access:  read_only
        .address_space:  global
        .offset:         32
        .size:           8
        .value_kind:     global_buffer
      - .actual_access:  read_only
        .address_space:  global
        .offset:         40
        .size:           8
        .value_kind:     global_buffer
      - .actual_access:  read_only
        .address_space:  global
        .offset:         48
        .size:           8
        .value_kind:     global_buffer
      - .offset:         56
        .size:           4
        .value_kind:     by_value
      - .actual_access:  read_only
        .address_space:  global
        .offset:         64
        .size:           8
        .value_kind:     global_buffer
      - .offset:         72
        .size:           4
        .value_kind:     by_value
      - .offset:         76
        .size:           4
        .value_kind:     by_value
      - .offset:         80
        .size:           4
        .value_kind:     by_value
      - .actual_access:  write_only
        .address_space:  global
        .offset:         88
        .size:           8
        .value_kind:     global_buffer
      - .actual_access:  write_only
        .address_space:  global
        .offset:         96
        .size:           8
        .value_kind:     global_buffer
      - .actual_access:  write_only
        .address_space:  global
        .offset:         104
        .size:           8
        .value_kind:     global_buffer
      - .actual_access:  read_only
        .address_space:  global
        .offset:         112
        .size:           8
        .value_kind:     global_buffer
      - .offset:         120
        .size:           4
        .value_kind:     by_value
      - .address_space:  global
        .offset:         128
        .size:           8
        .value_kind:     global_buffer
      - .address_space:  global
        .offset:         136
        .size:           8
        .value_kind:     global_buffer
      - .offset:         144
        .size:           4
        .value_kind:     hidden_block_count_x
      - .offset:         148
        .size:           4
        .value_kind:     hidden_block_count_y
      - .offset:         152
        .size:           4
        .value_kind:     hidden_block_count_z
      - .offset:         156
        .size:           2
        .value_kind:     hidden_group_size_x
      - .offset:         158
        .size:           2
        .value_kind:     hidden_group_size_y
      - .offset:         160
        .size:           2
        .value_kind:     hidden_group_size_z
      - .offset:         162
        .size:           2
        .value_kind:     hidden_remainder_x
      - .offset:         164
        .size:           2
        .value_kind:     hidden_remainder_y
      - .offset:         166
        .size:           2
        .value_kind:     hidden_remainder_z
      - .offset:         184
        .size:           8
        .value_kind:     hidden_global_offset_x
      - .offset:         192
        .size:           8
        .value_kind:     hidden_global_offset_y
      - .offset:         200
        .size:           8
        .value_kind:     hidden_global_offset_z
      - .offset:         208
        .size:           2
        .value_kind:     hidden_grid_dims
    .group_segment_fixed_size: 8192
    .kernarg_segment_align: 8
    .kernarg_segment_size: 400
    .language:       OpenCL C
    .language_version:
      - 2
      - 0
    .max_flat_workgroup_size: 256
    .name:           _Z39paged_attention_ll4mi_QKV_mfma16_kernelIDF16_DF16_LN4vllm18Fp8KVCacheDataTypeE0EDF16_Li32ELi64ELi256ELb1ELi14EEvPKT_PKT0_S7_ifPKiS9_S9_iPKfiiiPfSC_PS2_PT2_iSB_SB_
    .private_segment_fixed_size: 0
    .sgpr_count:     54
    .sgpr_spill_count: 0
    .symbol:         _Z39paged_attention_ll4mi_QKV_mfma16_kernelIDF16_DF16_LN4vllm18Fp8KVCacheDataTypeE0EDF16_Li32ELi64ELi256ELb1ELi14EEvPKT_PKT0_S7_ifPKiS9_S9_iPKfiiiPfSC_PS2_PT2_iSB_SB_.kd
    .uniform_work_group_size: 1
    .uses_dynamic_stack: false
    .vgpr_count:     73
    .vgpr_spill_count: 0
    .wavefront_size: 64
  - .agpr_count:     0
    .args:
      - .actual_access:  read_only
        .address_space:  global
        .offset:         0
        .size:           8
        .value_kind:     global_buffer
      - .actual_access:  read_only
        .address_space:  global
        .offset:         8
        .size:           8
        .value_kind:     global_buffer
      - .actual_access:  read_only
        .address_space:  global
        .offset:         16
        .size:           8
        .value_kind:     global_buffer
      - .offset:         24
        .size:           4
        .value_kind:     by_value
      - .offset:         28
        .size:           4
        .value_kind:     by_value
      - .actual_access:  read_only
        .address_space:  global
        .offset:         32
        .size:           8
        .value_kind:     global_buffer
      - .actual_access:  read_only
        .address_space:  global
        .offset:         40
        .size:           8
        .value_kind:     global_buffer
      - .actual_access:  read_only
        .address_space:  global
        .offset:         48
        .size:           8
        .value_kind:     global_buffer
      - .offset:         56
        .size:           4
        .value_kind:     by_value
      - .actual_access:  read_only
        .address_space:  global
        .offset:         64
        .size:           8
        .value_kind:     global_buffer
      - .offset:         72
        .size:           4
        .value_kind:     by_value
      - .offset:         76
        .size:           4
        .value_kind:     by_value
      - .offset:         80
        .size:           4
        .value_kind:     by_value
      - .actual_access:  write_only
        .address_space:  global
        .offset:         88
        .size:           8
        .value_kind:     global_buffer
      - .actual_access:  write_only
        .address_space:  global
        .offset:         96
        .size:           8
        .value_kind:     global_buffer
      - .actual_access:  write_only
        .address_space:  global
        .offset:         104
        .size:           8
        .value_kind:     global_buffer
      - .actual_access:  read_only
        .address_space:  global
        .offset:         112
        .size:           8
        .value_kind:     global_buffer
      - .offset:         120
        .size:           4
        .value_kind:     by_value
      - .address_space:  global
        .offset:         128
        .size:           8
        .value_kind:     global_buffer
      - .address_space:  global
        .offset:         136
        .size:           8
        .value_kind:     global_buffer
      - .offset:         144
        .size:           4
        .value_kind:     hidden_block_count_x
      - .offset:         148
        .size:           4
        .value_kind:     hidden_block_count_y
      - .offset:         152
        .size:           4
        .value_kind:     hidden_block_count_z
      - .offset:         156
        .size:           2
        .value_kind:     hidden_group_size_x
      - .offset:         158
        .size:           2
        .value_kind:     hidden_group_size_y
      - .offset:         160
        .size:           2
        .value_kind:     hidden_group_size_z
      - .offset:         162
        .size:           2
        .value_kind:     hidden_remainder_x
      - .offset:         164
        .size:           2
        .value_kind:     hidden_remainder_y
      - .offset:         166
        .size:           2
        .value_kind:     hidden_remainder_z
      - .offset:         184
        .size:           8
        .value_kind:     hidden_global_offset_x
      - .offset:         192
        .size:           8
        .value_kind:     hidden_global_offset_y
      - .offset:         200
        .size:           8
        .value_kind:     hidden_global_offset_z
      - .offset:         208
        .size:           2
        .value_kind:     hidden_grid_dims
    .group_segment_fixed_size: 8192
    .kernarg_segment_align: 8
    .kernarg_segment_size: 400
    .language:       OpenCL C
    .language_version:
      - 2
      - 0
    .max_flat_workgroup_size: 256
    .name:           _Z39paged_attention_ll4mi_QKV_mfma16_kernelIDF16_DF16_LN4vllm18Fp8KVCacheDataTypeE0EDF16_Li32ELi64ELi256ELb1ELi15EEvPKT_PKT0_S7_ifPKiS9_S9_iPKfiiiPfSC_PS2_PT2_iSB_SB_
    .private_segment_fixed_size: 0
    .sgpr_count:     54
    .sgpr_spill_count: 0
    .symbol:         _Z39paged_attention_ll4mi_QKV_mfma16_kernelIDF16_DF16_LN4vllm18Fp8KVCacheDataTypeE0EDF16_Li32ELi64ELi256ELb1ELi15EEvPKT_PKT0_S7_ifPKiS9_S9_iPKfiiiPfSC_PS2_PT2_iSB_SB_.kd
    .uniform_work_group_size: 1
    .uses_dynamic_stack: false
    .vgpr_count:     73
    .vgpr_spill_count: 0
    .wavefront_size: 64
  - .agpr_count:     0
    .args:
      - .actual_access:  read_only
        .address_space:  global
        .offset:         0
        .size:           8
        .value_kind:     global_buffer
      - .actual_access:  read_only
        .address_space:  global
        .offset:         8
        .size:           8
        .value_kind:     global_buffer
      - .actual_access:  read_only
        .address_space:  global
        .offset:         16
        .size:           8
        .value_kind:     global_buffer
      - .offset:         24
        .size:           4
        .value_kind:     by_value
      - .offset:         28
        .size:           4
        .value_kind:     by_value
      - .actual_access:  read_only
        .address_space:  global
        .offset:         32
        .size:           8
        .value_kind:     global_buffer
      - .actual_access:  read_only
        .address_space:  global
        .offset:         40
        .size:           8
        .value_kind:     global_buffer
      - .actual_access:  read_only
        .address_space:  global
        .offset:         48
        .size:           8
        .value_kind:     global_buffer
      - .offset:         56
        .size:           4
        .value_kind:     by_value
      - .actual_access:  read_only
        .address_space:  global
        .offset:         64
        .size:           8
        .value_kind:     global_buffer
      - .offset:         72
        .size:           4
        .value_kind:     by_value
      - .offset:         76
        .size:           4
        .value_kind:     by_value
      - .offset:         80
        .size:           4
        .value_kind:     by_value
      - .actual_access:  write_only
        .address_space:  global
        .offset:         88
        .size:           8
        .value_kind:     global_buffer
      - .actual_access:  write_only
        .address_space:  global
        .offset:         96
        .size:           8
        .value_kind:     global_buffer
      - .actual_access:  write_only
        .address_space:  global
        .offset:         104
        .size:           8
        .value_kind:     global_buffer
      - .actual_access:  read_only
        .address_space:  global
        .offset:         112
        .size:           8
        .value_kind:     global_buffer
      - .offset:         120
        .size:           4
        .value_kind:     by_value
      - .address_space:  global
        .offset:         128
        .size:           8
        .value_kind:     global_buffer
      - .address_space:  global
        .offset:         136
        .size:           8
        .value_kind:     global_buffer
      - .offset:         144
        .size:           4
        .value_kind:     hidden_block_count_x
      - .offset:         148
        .size:           4
        .value_kind:     hidden_block_count_y
      - .offset:         152
        .size:           4
        .value_kind:     hidden_block_count_z
      - .offset:         156
        .size:           2
        .value_kind:     hidden_group_size_x
      - .offset:         158
        .size:           2
        .value_kind:     hidden_group_size_y
      - .offset:         160
        .size:           2
        .value_kind:     hidden_group_size_z
      - .offset:         162
        .size:           2
        .value_kind:     hidden_remainder_x
      - .offset:         164
        .size:           2
        .value_kind:     hidden_remainder_y
      - .offset:         166
        .size:           2
        .value_kind:     hidden_remainder_z
      - .offset:         184
        .size:           8
        .value_kind:     hidden_global_offset_x
      - .offset:         192
        .size:           8
        .value_kind:     hidden_global_offset_y
      - .offset:         200
        .size:           8
        .value_kind:     hidden_global_offset_z
      - .offset:         208
        .size:           2
        .value_kind:     hidden_grid_dims
    .group_segment_fixed_size: 8192
    .kernarg_segment_align: 8
    .kernarg_segment_size: 400
    .language:       OpenCL C
    .language_version:
      - 2
      - 0
    .max_flat_workgroup_size: 256
    .name:           _Z39paged_attention_ll4mi_QKV_mfma16_kernelIDF16_DF16_LN4vllm18Fp8KVCacheDataTypeE0EDF16_Li32ELi64ELi256ELb1ELi16EEvPKT_PKT0_S7_ifPKiS9_S9_iPKfiiiPfSC_PS2_PT2_iSB_SB_
    .private_segment_fixed_size: 0
    .sgpr_count:     54
    .sgpr_spill_count: 0
    .symbol:         _Z39paged_attention_ll4mi_QKV_mfma16_kernelIDF16_DF16_LN4vllm18Fp8KVCacheDataTypeE0EDF16_Li32ELi64ELi256ELb1ELi16EEvPKT_PKT0_S7_ifPKiS9_S9_iPKfiiiPfSC_PS2_PT2_iSB_SB_.kd
    .uniform_work_group_size: 1
    .uses_dynamic_stack: false
    .vgpr_count:     68
    .vgpr_spill_count: 0
    .wavefront_size: 64
  - .agpr_count:     0
    .args:
      - .actual_access:  read_only
        .address_space:  global
        .offset:         0
        .size:           8
        .value_kind:     global_buffer
      - .actual_access:  read_only
        .address_space:  global
        .offset:         8
        .size:           8
        .value_kind:     global_buffer
      - .actual_access:  read_only
        .address_space:  global
        .offset:         16
        .size:           8
        .value_kind:     global_buffer
      - .offset:         24
        .size:           4
        .value_kind:     by_value
      - .offset:         28
        .size:           4
        .value_kind:     by_value
      - .actual_access:  read_only
        .address_space:  global
        .offset:         32
        .size:           8
        .value_kind:     global_buffer
      - .actual_access:  read_only
        .address_space:  global
        .offset:         40
        .size:           8
        .value_kind:     global_buffer
      - .actual_access:  read_only
        .address_space:  global
        .offset:         48
        .size:           8
        .value_kind:     global_buffer
      - .offset:         56
        .size:           4
        .value_kind:     by_value
      - .actual_access:  read_only
        .address_space:  global
        .offset:         64
        .size:           8
        .value_kind:     global_buffer
      - .offset:         72
        .size:           4
        .value_kind:     by_value
      - .offset:         76
        .size:           4
        .value_kind:     by_value
      - .offset:         80
        .size:           4
        .value_kind:     by_value
      - .actual_access:  write_only
        .address_space:  global
        .offset:         88
        .size:           8
        .value_kind:     global_buffer
      - .actual_access:  write_only
        .address_space:  global
        .offset:         96
        .size:           8
        .value_kind:     global_buffer
      - .actual_access:  write_only
        .address_space:  global
        .offset:         104
        .size:           8
        .value_kind:     global_buffer
      - .actual_access:  read_only
        .address_space:  global
        .offset:         112
        .size:           8
        .value_kind:     global_buffer
      - .offset:         120
        .size:           4
        .value_kind:     by_value
      - .address_space:  global
        .offset:         128
        .size:           8
        .value_kind:     global_buffer
      - .address_space:  global
        .offset:         136
        .size:           8
        .value_kind:     global_buffer
      - .offset:         144
        .size:           4
        .value_kind:     hidden_block_count_x
      - .offset:         148
        .size:           4
        .value_kind:     hidden_block_count_y
      - .offset:         152
        .size:           4
        .value_kind:     hidden_block_count_z
      - .offset:         156
        .size:           2
        .value_kind:     hidden_group_size_x
      - .offset:         158
        .size:           2
        .value_kind:     hidden_group_size_y
      - .offset:         160
        .size:           2
        .value_kind:     hidden_group_size_z
      - .offset:         162
        .size:           2
        .value_kind:     hidden_remainder_x
      - .offset:         164
        .size:           2
        .value_kind:     hidden_remainder_y
      - .offset:         166
        .size:           2
        .value_kind:     hidden_remainder_z
      - .offset:         184
        .size:           8
        .value_kind:     hidden_global_offset_x
      - .offset:         192
        .size:           8
        .value_kind:     hidden_global_offset_y
      - .offset:         200
        .size:           8
        .value_kind:     hidden_global_offset_z
      - .offset:         208
        .size:           2
        .value_kind:     hidden_grid_dims
    .group_segment_fixed_size: 8192
    .kernarg_segment_align: 8
    .kernarg_segment_size: 400
    .language:       OpenCL C
    .language_version:
      - 2
      - 0
    .max_flat_workgroup_size: 256
    .name:           _Z39paged_attention_ll4mi_QKV_mfma16_kernelIDF16_DF16_LN4vllm18Fp8KVCacheDataTypeE0EDF16_Li32ELi64ELi256ELb1ELi1EEvPKT_PKT0_S7_ifPKiS9_S9_iPKfiiiPfSC_PS2_PT2_iSB_SB_
    .private_segment_fixed_size: 0
    .sgpr_count:     54
    .sgpr_spill_count: 0
    .symbol:         _Z39paged_attention_ll4mi_QKV_mfma16_kernelIDF16_DF16_LN4vllm18Fp8KVCacheDataTypeE0EDF16_Li32ELi64ELi256ELb1ELi1EEvPKT_PKT0_S7_ifPKiS9_S9_iPKfiiiPfSC_PS2_PT2_iSB_SB_.kd
    .uniform_work_group_size: 1
    .uses_dynamic_stack: false
    .vgpr_count:     73
    .vgpr_spill_count: 0
    .wavefront_size: 64
  - .agpr_count:     0
    .args:
      - .actual_access:  read_only
        .address_space:  global
        .offset:         0
        .size:           8
        .value_kind:     global_buffer
      - .actual_access:  read_only
        .address_space:  global
        .offset:         8
        .size:           8
        .value_kind:     global_buffer
      - .actual_access:  read_only
        .address_space:  global
        .offset:         16
        .size:           8
        .value_kind:     global_buffer
      - .offset:         24
        .size:           4
        .value_kind:     by_value
      - .offset:         28
        .size:           4
        .value_kind:     by_value
      - .actual_access:  read_only
        .address_space:  global
        .offset:         32
        .size:           8
        .value_kind:     global_buffer
      - .actual_access:  read_only
        .address_space:  global
        .offset:         40
        .size:           8
        .value_kind:     global_buffer
      - .actual_access:  read_only
        .address_space:  global
        .offset:         48
        .size:           8
        .value_kind:     global_buffer
      - .offset:         56
        .size:           4
        .value_kind:     by_value
      - .actual_access:  read_only
        .address_space:  global
        .offset:         64
        .size:           8
        .value_kind:     global_buffer
      - .offset:         72
        .size:           4
        .value_kind:     by_value
      - .offset:         76
        .size:           4
        .value_kind:     by_value
      - .offset:         80
        .size:           4
        .value_kind:     by_value
      - .actual_access:  write_only
        .address_space:  global
        .offset:         88
        .size:           8
        .value_kind:     global_buffer
      - .actual_access:  write_only
        .address_space:  global
        .offset:         96
        .size:           8
        .value_kind:     global_buffer
      - .actual_access:  write_only
        .address_space:  global
        .offset:         104
        .size:           8
        .value_kind:     global_buffer
      - .actual_access:  read_only
        .address_space:  global
        .offset:         112
        .size:           8
        .value_kind:     global_buffer
      - .offset:         120
        .size:           4
        .value_kind:     by_value
      - .address_space:  global
        .offset:         128
        .size:           8
        .value_kind:     global_buffer
      - .address_space:  global
        .offset:         136
        .size:           8
        .value_kind:     global_buffer
      - .offset:         144
        .size:           4
        .value_kind:     hidden_block_count_x
      - .offset:         148
        .size:           4
        .value_kind:     hidden_block_count_y
      - .offset:         152
        .size:           4
        .value_kind:     hidden_block_count_z
      - .offset:         156
        .size:           2
        .value_kind:     hidden_group_size_x
      - .offset:         158
        .size:           2
        .value_kind:     hidden_group_size_y
      - .offset:         160
        .size:           2
        .value_kind:     hidden_group_size_z
      - .offset:         162
        .size:           2
        .value_kind:     hidden_remainder_x
      - .offset:         164
        .size:           2
        .value_kind:     hidden_remainder_y
      - .offset:         166
        .size:           2
        .value_kind:     hidden_remainder_z
      - .offset:         184
        .size:           8
        .value_kind:     hidden_global_offset_x
      - .offset:         192
        .size:           8
        .value_kind:     hidden_global_offset_y
      - .offset:         200
        .size:           8
        .value_kind:     hidden_global_offset_z
      - .offset:         208
        .size:           2
        .value_kind:     hidden_grid_dims
    .group_segment_fixed_size: 8192
    .kernarg_segment_align: 8
    .kernarg_segment_size: 400
    .language:       OpenCL C
    .language_version:
      - 2
      - 0
    .max_flat_workgroup_size: 256
    .name:           _Z39paged_attention_ll4mi_QKV_mfma16_kernelIDF16_DF16_LN4vllm18Fp8KVCacheDataTypeE0EDF16_Li32ELi64ELi256ELb1ELi2EEvPKT_PKT0_S7_ifPKiS9_S9_iPKfiiiPfSC_PS2_PT2_iSB_SB_
    .private_segment_fixed_size: 0
    .sgpr_count:     54
    .sgpr_spill_count: 0
    .symbol:         _Z39paged_attention_ll4mi_QKV_mfma16_kernelIDF16_DF16_LN4vllm18Fp8KVCacheDataTypeE0EDF16_Li32ELi64ELi256ELb1ELi2EEvPKT_PKT0_S7_ifPKiS9_S9_iPKfiiiPfSC_PS2_PT2_iSB_SB_.kd
    .uniform_work_group_size: 1
    .uses_dynamic_stack: false
    .vgpr_count:     73
    .vgpr_spill_count: 0
    .wavefront_size: 64
  - .agpr_count:     0
    .args:
      - .actual_access:  read_only
        .address_space:  global
        .offset:         0
        .size:           8
        .value_kind:     global_buffer
      - .actual_access:  read_only
        .address_space:  global
        .offset:         8
        .size:           8
        .value_kind:     global_buffer
      - .actual_access:  read_only
        .address_space:  global
        .offset:         16
        .size:           8
        .value_kind:     global_buffer
      - .offset:         24
        .size:           4
        .value_kind:     by_value
      - .offset:         28
        .size:           4
        .value_kind:     by_value
      - .actual_access:  read_only
        .address_space:  global
        .offset:         32
        .size:           8
        .value_kind:     global_buffer
      - .actual_access:  read_only
        .address_space:  global
        .offset:         40
        .size:           8
        .value_kind:     global_buffer
      - .actual_access:  read_only
        .address_space:  global
        .offset:         48
        .size:           8
        .value_kind:     global_buffer
      - .offset:         56
        .size:           4
        .value_kind:     by_value
      - .actual_access:  read_only
        .address_space:  global
        .offset:         64
        .size:           8
        .value_kind:     global_buffer
      - .offset:         72
        .size:           4
        .value_kind:     by_value
      - .offset:         76
        .size:           4
        .value_kind:     by_value
      - .offset:         80
        .size:           4
        .value_kind:     by_value
      - .actual_access:  write_only
        .address_space:  global
        .offset:         88
        .size:           8
        .value_kind:     global_buffer
      - .actual_access:  write_only
        .address_space:  global
        .offset:         96
        .size:           8
        .value_kind:     global_buffer
      - .actual_access:  write_only
        .address_space:  global
        .offset:         104
        .size:           8
        .value_kind:     global_buffer
      - .actual_access:  read_only
        .address_space:  global
        .offset:         112
        .size:           8
        .value_kind:     global_buffer
      - .offset:         120
        .size:           4
        .value_kind:     by_value
      - .address_space:  global
        .offset:         128
        .size:           8
        .value_kind:     global_buffer
      - .address_space:  global
        .offset:         136
        .size:           8
        .value_kind:     global_buffer
      - .offset:         144
        .size:           4
        .value_kind:     hidden_block_count_x
      - .offset:         148
        .size:           4
        .value_kind:     hidden_block_count_y
      - .offset:         152
        .size:           4
        .value_kind:     hidden_block_count_z
      - .offset:         156
        .size:           2
        .value_kind:     hidden_group_size_x
      - .offset:         158
        .size:           2
        .value_kind:     hidden_group_size_y
      - .offset:         160
        .size:           2
        .value_kind:     hidden_group_size_z
      - .offset:         162
        .size:           2
        .value_kind:     hidden_remainder_x
      - .offset:         164
        .size:           2
        .value_kind:     hidden_remainder_y
      - .offset:         166
        .size:           2
        .value_kind:     hidden_remainder_z
      - .offset:         184
        .size:           8
        .value_kind:     hidden_global_offset_x
      - .offset:         192
        .size:           8
        .value_kind:     hidden_global_offset_y
      - .offset:         200
        .size:           8
        .value_kind:     hidden_global_offset_z
      - .offset:         208
        .size:           2
        .value_kind:     hidden_grid_dims
    .group_segment_fixed_size: 8192
    .kernarg_segment_align: 8
    .kernarg_segment_size: 400
    .language:       OpenCL C
    .language_version:
      - 2
      - 0
    .max_flat_workgroup_size: 256
    .name:           _Z39paged_attention_ll4mi_QKV_mfma16_kernelIDF16_DF16_LN4vllm18Fp8KVCacheDataTypeE0EDF16_Li32ELi64ELi256ELb1ELi3EEvPKT_PKT0_S7_ifPKiS9_S9_iPKfiiiPfSC_PS2_PT2_iSB_SB_
    .private_segment_fixed_size: 0
    .sgpr_count:     54
    .sgpr_spill_count: 0
    .symbol:         _Z39paged_attention_ll4mi_QKV_mfma16_kernelIDF16_DF16_LN4vllm18Fp8KVCacheDataTypeE0EDF16_Li32ELi64ELi256ELb1ELi3EEvPKT_PKT0_S7_ifPKiS9_S9_iPKfiiiPfSC_PS2_PT2_iSB_SB_.kd
    .uniform_work_group_size: 1
    .uses_dynamic_stack: false
    .vgpr_count:     74
    .vgpr_spill_count: 0
    .wavefront_size: 64
  - .agpr_count:     0
    .args:
      - .actual_access:  read_only
        .address_space:  global
        .offset:         0
        .size:           8
        .value_kind:     global_buffer
      - .actual_access:  read_only
        .address_space:  global
        .offset:         8
        .size:           8
        .value_kind:     global_buffer
      - .actual_access:  read_only
        .address_space:  global
        .offset:         16
        .size:           8
        .value_kind:     global_buffer
      - .offset:         24
        .size:           4
        .value_kind:     by_value
      - .offset:         28
        .size:           4
        .value_kind:     by_value
      - .actual_access:  read_only
        .address_space:  global
        .offset:         32
        .size:           8
        .value_kind:     global_buffer
      - .actual_access:  read_only
        .address_space:  global
        .offset:         40
        .size:           8
        .value_kind:     global_buffer
      - .actual_access:  read_only
        .address_space:  global
        .offset:         48
        .size:           8
        .value_kind:     global_buffer
      - .offset:         56
        .size:           4
        .value_kind:     by_value
      - .actual_access:  read_only
        .address_space:  global
        .offset:         64
        .size:           8
        .value_kind:     global_buffer
      - .offset:         72
        .size:           4
        .value_kind:     by_value
      - .offset:         76
        .size:           4
        .value_kind:     by_value
      - .offset:         80
        .size:           4
        .value_kind:     by_value
      - .actual_access:  write_only
        .address_space:  global
        .offset:         88
        .size:           8
        .value_kind:     global_buffer
      - .actual_access:  write_only
        .address_space:  global
        .offset:         96
        .size:           8
        .value_kind:     global_buffer
      - .actual_access:  write_only
        .address_space:  global
        .offset:         104
        .size:           8
        .value_kind:     global_buffer
      - .actual_access:  read_only
        .address_space:  global
        .offset:         112
        .size:           8
        .value_kind:     global_buffer
      - .offset:         120
        .size:           4
        .value_kind:     by_value
      - .address_space:  global
        .offset:         128
        .size:           8
        .value_kind:     global_buffer
      - .address_space:  global
        .offset:         136
        .size:           8
        .value_kind:     global_buffer
      - .offset:         144
        .size:           4
        .value_kind:     hidden_block_count_x
      - .offset:         148
        .size:           4
        .value_kind:     hidden_block_count_y
      - .offset:         152
        .size:           4
        .value_kind:     hidden_block_count_z
      - .offset:         156
        .size:           2
        .value_kind:     hidden_group_size_x
      - .offset:         158
        .size:           2
        .value_kind:     hidden_group_size_y
      - .offset:         160
        .size:           2
        .value_kind:     hidden_group_size_z
      - .offset:         162
        .size:           2
        .value_kind:     hidden_remainder_x
      - .offset:         164
        .size:           2
        .value_kind:     hidden_remainder_y
      - .offset:         166
        .size:           2
        .value_kind:     hidden_remainder_z
      - .offset:         184
        .size:           8
        .value_kind:     hidden_global_offset_x
      - .offset:         192
        .size:           8
        .value_kind:     hidden_global_offset_y
      - .offset:         200
        .size:           8
        .value_kind:     hidden_global_offset_z
      - .offset:         208
        .size:           2
        .value_kind:     hidden_grid_dims
    .group_segment_fixed_size: 8192
    .kernarg_segment_align: 8
    .kernarg_segment_size: 400
    .language:       OpenCL C
    .language_version:
      - 2
      - 0
    .max_flat_workgroup_size: 256
    .name:           _Z39paged_attention_ll4mi_QKV_mfma16_kernelIDF16_DF16_LN4vllm18Fp8KVCacheDataTypeE0EDF16_Li32ELi64ELi256ELb1ELi4EEvPKT_PKT0_S7_ifPKiS9_S9_iPKfiiiPfSC_PS2_PT2_iSB_SB_
    .private_segment_fixed_size: 0
    .sgpr_count:     52
    .sgpr_spill_count: 0
    .symbol:         _Z39paged_attention_ll4mi_QKV_mfma16_kernelIDF16_DF16_LN4vllm18Fp8KVCacheDataTypeE0EDF16_Li32ELi64ELi256ELb1ELi4EEvPKT_PKT0_S7_ifPKiS9_S9_iPKfiiiPfSC_PS2_PT2_iSB_SB_.kd
    .uniform_work_group_size: 1
    .uses_dynamic_stack: false
    .vgpr_count:     75
    .vgpr_spill_count: 0
    .wavefront_size: 64
  - .agpr_count:     4
    .args:
      - .actual_access:  read_only
        .address_space:  global
        .offset:         0
        .size:           8
        .value_kind:     global_buffer
      - .actual_access:  read_only
        .address_space:  global
        .offset:         8
        .size:           8
        .value_kind:     global_buffer
      - .actual_access:  read_only
        .address_space:  global
        .offset:         16
        .size:           8
        .value_kind:     global_buffer
      - .offset:         24
        .size:           4
        .value_kind:     by_value
      - .offset:         28
        .size:           4
        .value_kind:     by_value
      - .actual_access:  read_only
        .address_space:  global
        .offset:         32
        .size:           8
        .value_kind:     global_buffer
      - .actual_access:  read_only
        .address_space:  global
        .offset:         40
        .size:           8
        .value_kind:     global_buffer
      - .actual_access:  read_only
        .address_space:  global
        .offset:         48
        .size:           8
        .value_kind:     global_buffer
      - .offset:         56
        .size:           4
        .value_kind:     by_value
      - .actual_access:  read_only
        .address_space:  global
        .offset:         64
        .size:           8
        .value_kind:     global_buffer
      - .offset:         72
        .size:           4
        .value_kind:     by_value
      - .offset:         76
        .size:           4
        .value_kind:     by_value
      - .offset:         80
        .size:           4
        .value_kind:     by_value
      - .actual_access:  write_only
        .address_space:  global
        .offset:         88
        .size:           8
        .value_kind:     global_buffer
      - .actual_access:  write_only
        .address_space:  global
        .offset:         96
        .size:           8
        .value_kind:     global_buffer
      - .actual_access:  write_only
        .address_space:  global
        .offset:         104
        .size:           8
        .value_kind:     global_buffer
      - .actual_access:  read_only
        .address_space:  global
        .offset:         112
        .size:           8
        .value_kind:     global_buffer
      - .offset:         120
        .size:           4
        .value_kind:     by_value
      - .address_space:  global
        .offset:         128
        .size:           8
        .value_kind:     global_buffer
      - .address_space:  global
        .offset:         136
        .size:           8
        .value_kind:     global_buffer
      - .offset:         144
        .size:           4
        .value_kind:     hidden_block_count_x
      - .offset:         148
        .size:           4
        .value_kind:     hidden_block_count_y
      - .offset:         152
        .size:           4
        .value_kind:     hidden_block_count_z
      - .offset:         156
        .size:           2
        .value_kind:     hidden_group_size_x
      - .offset:         158
        .size:           2
        .value_kind:     hidden_group_size_y
      - .offset:         160
        .size:           2
        .value_kind:     hidden_group_size_z
      - .offset:         162
        .size:           2
        .value_kind:     hidden_remainder_x
      - .offset:         164
        .size:           2
        .value_kind:     hidden_remainder_y
      - .offset:         166
        .size:           2
        .value_kind:     hidden_remainder_z
      - .offset:         184
        .size:           8
        .value_kind:     hidden_global_offset_x
      - .offset:         192
        .size:           8
        .value_kind:     hidden_global_offset_y
      - .offset:         200
        .size:           8
        .value_kind:     hidden_global_offset_z
      - .offset:         208
        .size:           2
        .value_kind:     hidden_grid_dims
    .group_segment_fixed_size: 2720
    .kernarg_segment_align: 8
    .kernarg_segment_size: 400
    .language:       OpenCL C
    .language_version:
      - 2
      - 0
    .max_flat_workgroup_size: 256
    .name:           _Z38paged_attention_ll4mi_QKV_mfma4_kernelIDF16_DF16_LN4vllm18Fp8KVCacheDataTypeE0EDF16_Li32ELi64ELi256ELb0ELi1EEvPKT_PKT0_S7_ifPKiS9_S9_iPKfiiiPfSC_PS2_PT2_iSB_SB_
    .private_segment_fixed_size: 0
    .sgpr_count:     44
    .sgpr_spill_count: 0
    .symbol:         _Z38paged_attention_ll4mi_QKV_mfma4_kernelIDF16_DF16_LN4vllm18Fp8KVCacheDataTypeE0EDF16_Li32ELi64ELi256ELb0ELi1EEvPKT_PKT0_S7_ifPKiS9_S9_iPKfiiiPfSC_PS2_PT2_iSB_SB_.kd
    .uniform_work_group_size: 1
    .uses_dynamic_stack: false
    .vgpr_count:     64
    .vgpr_spill_count: 0
    .wavefront_size: 64
  - .agpr_count:     4
    .args:
      - .actual_access:  read_only
        .address_space:  global
        .offset:         0
        .size:           8
        .value_kind:     global_buffer
      - .actual_access:  read_only
        .address_space:  global
        .offset:         8
        .size:           8
        .value_kind:     global_buffer
      - .actual_access:  read_only
        .address_space:  global
        .offset:         16
        .size:           8
        .value_kind:     global_buffer
      - .offset:         24
        .size:           4
        .value_kind:     by_value
      - .offset:         28
        .size:           4
        .value_kind:     by_value
      - .actual_access:  read_only
        .address_space:  global
        .offset:         32
        .size:           8
        .value_kind:     global_buffer
      - .actual_access:  read_only
        .address_space:  global
        .offset:         40
        .size:           8
        .value_kind:     global_buffer
      - .actual_access:  read_only
        .address_space:  global
        .offset:         48
        .size:           8
        .value_kind:     global_buffer
      - .offset:         56
        .size:           4
        .value_kind:     by_value
      - .actual_access:  read_only
        .address_space:  global
        .offset:         64
        .size:           8
        .value_kind:     global_buffer
      - .offset:         72
        .size:           4
        .value_kind:     by_value
      - .offset:         76
        .size:           4
        .value_kind:     by_value
      - .offset:         80
        .size:           4
        .value_kind:     by_value
      - .actual_access:  write_only
        .address_space:  global
        .offset:         88
        .size:           8
        .value_kind:     global_buffer
      - .actual_access:  write_only
        .address_space:  global
        .offset:         96
        .size:           8
        .value_kind:     global_buffer
      - .actual_access:  write_only
        .address_space:  global
        .offset:         104
        .size:           8
        .value_kind:     global_buffer
      - .actual_access:  read_only
        .address_space:  global
        .offset:         112
        .size:           8
        .value_kind:     global_buffer
      - .offset:         120
        .size:           4
        .value_kind:     by_value
      - .address_space:  global
        .offset:         128
        .size:           8
        .value_kind:     global_buffer
      - .address_space:  global
        .offset:         136
        .size:           8
        .value_kind:     global_buffer
      - .offset:         144
        .size:           4
        .value_kind:     hidden_block_count_x
      - .offset:         148
        .size:           4
        .value_kind:     hidden_block_count_y
      - .offset:         152
        .size:           4
        .value_kind:     hidden_block_count_z
      - .offset:         156
        .size:           2
        .value_kind:     hidden_group_size_x
      - .offset:         158
        .size:           2
        .value_kind:     hidden_group_size_y
      - .offset:         160
        .size:           2
        .value_kind:     hidden_group_size_z
      - .offset:         162
        .size:           2
        .value_kind:     hidden_remainder_x
      - .offset:         164
        .size:           2
        .value_kind:     hidden_remainder_y
      - .offset:         166
        .size:           2
        .value_kind:     hidden_remainder_z
      - .offset:         184
        .size:           8
        .value_kind:     hidden_global_offset_x
      - .offset:         192
        .size:           8
        .value_kind:     hidden_global_offset_y
      - .offset:         200
        .size:           8
        .value_kind:     hidden_global_offset_z
      - .offset:         208
        .size:           2
        .value_kind:     hidden_grid_dims
    .group_segment_fixed_size: 2720
    .kernarg_segment_align: 8
    .kernarg_segment_size: 400
    .language:       OpenCL C
    .language_version:
      - 2
      - 0
    .max_flat_workgroup_size: 256
    .name:           _Z38paged_attention_ll4mi_QKV_mfma4_kernelIDF16_DF16_LN4vllm18Fp8KVCacheDataTypeE0EDF16_Li32ELi64ELi256ELb0ELi2EEvPKT_PKT0_S7_ifPKiS9_S9_iPKfiiiPfSC_PS2_PT2_iSB_SB_
    .private_segment_fixed_size: 0
    .sgpr_count:     44
    .sgpr_spill_count: 0
    .symbol:         _Z38paged_attention_ll4mi_QKV_mfma4_kernelIDF16_DF16_LN4vllm18Fp8KVCacheDataTypeE0EDF16_Li32ELi64ELi256ELb0ELi2EEvPKT_PKT0_S7_ifPKiS9_S9_iPKfiiiPfSC_PS2_PT2_iSB_SB_.kd
    .uniform_work_group_size: 1
    .uses_dynamic_stack: false
    .vgpr_count:     64
    .vgpr_spill_count: 0
    .wavefront_size: 64
  - .agpr_count:     4
    .args:
      - .actual_access:  read_only
        .address_space:  global
        .offset:         0
        .size:           8
        .value_kind:     global_buffer
      - .actual_access:  read_only
        .address_space:  global
        .offset:         8
        .size:           8
        .value_kind:     global_buffer
      - .actual_access:  read_only
        .address_space:  global
        .offset:         16
        .size:           8
        .value_kind:     global_buffer
      - .offset:         24
        .size:           4
        .value_kind:     by_value
      - .offset:         28
        .size:           4
        .value_kind:     by_value
      - .actual_access:  read_only
        .address_space:  global
        .offset:         32
        .size:           8
        .value_kind:     global_buffer
      - .actual_access:  read_only
        .address_space:  global
        .offset:         40
        .size:           8
        .value_kind:     global_buffer
      - .actual_access:  read_only
        .address_space:  global
        .offset:         48
        .size:           8
        .value_kind:     global_buffer
      - .offset:         56
        .size:           4
        .value_kind:     by_value
      - .actual_access:  read_only
        .address_space:  global
        .offset:         64
        .size:           8
        .value_kind:     global_buffer
      - .offset:         72
        .size:           4
        .value_kind:     by_value
      - .offset:         76
        .size:           4
        .value_kind:     by_value
      - .offset:         80
        .size:           4
        .value_kind:     by_value
      - .actual_access:  write_only
        .address_space:  global
        .offset:         88
        .size:           8
        .value_kind:     global_buffer
      - .actual_access:  write_only
        .address_space:  global
        .offset:         96
        .size:           8
        .value_kind:     global_buffer
      - .actual_access:  write_only
        .address_space:  global
        .offset:         104
        .size:           8
        .value_kind:     global_buffer
      - .actual_access:  read_only
        .address_space:  global
        .offset:         112
        .size:           8
        .value_kind:     global_buffer
      - .offset:         120
        .size:           4
        .value_kind:     by_value
      - .address_space:  global
        .offset:         128
        .size:           8
        .value_kind:     global_buffer
      - .address_space:  global
        .offset:         136
        .size:           8
        .value_kind:     global_buffer
      - .offset:         144
        .size:           4
        .value_kind:     hidden_block_count_x
      - .offset:         148
        .size:           4
        .value_kind:     hidden_block_count_y
      - .offset:         152
        .size:           4
        .value_kind:     hidden_block_count_z
      - .offset:         156
        .size:           2
        .value_kind:     hidden_group_size_x
      - .offset:         158
        .size:           2
        .value_kind:     hidden_group_size_y
      - .offset:         160
        .size:           2
        .value_kind:     hidden_group_size_z
      - .offset:         162
        .size:           2
        .value_kind:     hidden_remainder_x
      - .offset:         164
        .size:           2
        .value_kind:     hidden_remainder_y
      - .offset:         166
        .size:           2
        .value_kind:     hidden_remainder_z
      - .offset:         184
        .size:           8
        .value_kind:     hidden_global_offset_x
      - .offset:         192
        .size:           8
        .value_kind:     hidden_global_offset_y
      - .offset:         200
        .size:           8
        .value_kind:     hidden_global_offset_z
      - .offset:         208
        .size:           2
        .value_kind:     hidden_grid_dims
    .group_segment_fixed_size: 2720
    .kernarg_segment_align: 8
    .kernarg_segment_size: 400
    .language:       OpenCL C
    .language_version:
      - 2
      - 0
    .max_flat_workgroup_size: 256
    .name:           _Z38paged_attention_ll4mi_QKV_mfma4_kernelIDF16_DF16_LN4vllm18Fp8KVCacheDataTypeE0EDF16_Li32ELi64ELi256ELb0ELi3EEvPKT_PKT0_S7_ifPKiS9_S9_iPKfiiiPfSC_PS2_PT2_iSB_SB_
    .private_segment_fixed_size: 0
    .sgpr_count:     44
    .sgpr_spill_count: 0
    .symbol:         _Z38paged_attention_ll4mi_QKV_mfma4_kernelIDF16_DF16_LN4vllm18Fp8KVCacheDataTypeE0EDF16_Li32ELi64ELi256ELb0ELi3EEvPKT_PKT0_S7_ifPKiS9_S9_iPKfiiiPfSC_PS2_PT2_iSB_SB_.kd
    .uniform_work_group_size: 1
    .uses_dynamic_stack: false
    .vgpr_count:     64
    .vgpr_spill_count: 0
    .wavefront_size: 64
  - .agpr_count:     4
    .args:
      - .actual_access:  read_only
        .address_space:  global
        .offset:         0
        .size:           8
        .value_kind:     global_buffer
      - .actual_access:  read_only
        .address_space:  global
        .offset:         8
        .size:           8
        .value_kind:     global_buffer
      - .actual_access:  read_only
        .address_space:  global
        .offset:         16
        .size:           8
        .value_kind:     global_buffer
      - .offset:         24
        .size:           4
        .value_kind:     by_value
      - .offset:         28
        .size:           4
        .value_kind:     by_value
      - .actual_access:  read_only
        .address_space:  global
        .offset:         32
        .size:           8
        .value_kind:     global_buffer
      - .actual_access:  read_only
        .address_space:  global
        .offset:         40
        .size:           8
        .value_kind:     global_buffer
      - .actual_access:  read_only
        .address_space:  global
        .offset:         48
        .size:           8
        .value_kind:     global_buffer
      - .offset:         56
        .size:           4
        .value_kind:     by_value
      - .actual_access:  read_only
        .address_space:  global
        .offset:         64
        .size:           8
        .value_kind:     global_buffer
      - .offset:         72
        .size:           4
        .value_kind:     by_value
      - .offset:         76
        .size:           4
        .value_kind:     by_value
      - .offset:         80
        .size:           4
        .value_kind:     by_value
      - .actual_access:  write_only
        .address_space:  global
        .offset:         88
        .size:           8
        .value_kind:     global_buffer
      - .actual_access:  write_only
        .address_space:  global
        .offset:         96
        .size:           8
        .value_kind:     global_buffer
      - .actual_access:  write_only
        .address_space:  global
        .offset:         104
        .size:           8
        .value_kind:     global_buffer
      - .actual_access:  read_only
        .address_space:  global
        .offset:         112
        .size:           8
        .value_kind:     global_buffer
      - .offset:         120
        .size:           4
        .value_kind:     by_value
      - .address_space:  global
        .offset:         128
        .size:           8
        .value_kind:     global_buffer
      - .address_space:  global
        .offset:         136
        .size:           8
        .value_kind:     global_buffer
      - .offset:         144
        .size:           4
        .value_kind:     hidden_block_count_x
      - .offset:         148
        .size:           4
        .value_kind:     hidden_block_count_y
      - .offset:         152
        .size:           4
        .value_kind:     hidden_block_count_z
      - .offset:         156
        .size:           2
        .value_kind:     hidden_group_size_x
      - .offset:         158
        .size:           2
        .value_kind:     hidden_group_size_y
      - .offset:         160
        .size:           2
        .value_kind:     hidden_group_size_z
      - .offset:         162
        .size:           2
        .value_kind:     hidden_remainder_x
      - .offset:         164
        .size:           2
        .value_kind:     hidden_remainder_y
      - .offset:         166
        .size:           2
        .value_kind:     hidden_remainder_z
      - .offset:         184
        .size:           8
        .value_kind:     hidden_global_offset_x
      - .offset:         192
        .size:           8
        .value_kind:     hidden_global_offset_y
      - .offset:         200
        .size:           8
        .value_kind:     hidden_global_offset_z
      - .offset:         208
        .size:           2
        .value_kind:     hidden_grid_dims
    .group_segment_fixed_size: 2720
    .kernarg_segment_align: 8
    .kernarg_segment_size: 400
    .language:       OpenCL C
    .language_version:
      - 2
      - 0
    .max_flat_workgroup_size: 256
    .name:           _Z38paged_attention_ll4mi_QKV_mfma4_kernelIDF16_DF16_LN4vllm18Fp8KVCacheDataTypeE0EDF16_Li32ELi64ELi256ELb0ELi4EEvPKT_PKT0_S7_ifPKiS9_S9_iPKfiiiPfSC_PS2_PT2_iSB_SB_
    .private_segment_fixed_size: 0
    .sgpr_count:     44
    .sgpr_spill_count: 0
    .symbol:         _Z38paged_attention_ll4mi_QKV_mfma4_kernelIDF16_DF16_LN4vllm18Fp8KVCacheDataTypeE0EDF16_Li32ELi64ELi256ELb0ELi4EEvPKT_PKT0_S7_ifPKiS9_S9_iPKfiiiPfSC_PS2_PT2_iSB_SB_.kd
    .uniform_work_group_size: 1
    .uses_dynamic_stack: false
    .vgpr_count:     64
    .vgpr_spill_count: 0
    .wavefront_size: 64
  - .agpr_count:     0
    .args:
      - .actual_access:  read_only
        .address_space:  global
        .offset:         0
        .size:           8
        .value_kind:     global_buffer
      - .actual_access:  read_only
        .address_space:  global
        .offset:         8
        .size:           8
        .value_kind:     global_buffer
      - .actual_access:  read_only
        .address_space:  global
        .offset:         16
        .size:           8
        .value_kind:     global_buffer
      - .offset:         24
        .size:           4
        .value_kind:     by_value
      - .offset:         28
        .size:           4
        .value_kind:     by_value
      - .actual_access:  read_only
        .address_space:  global
        .offset:         32
        .size:           8
        .value_kind:     global_buffer
      - .actual_access:  read_only
        .address_space:  global
        .offset:         40
        .size:           8
        .value_kind:     global_buffer
      - .actual_access:  read_only
        .address_space:  global
        .offset:         48
        .size:           8
        .value_kind:     global_buffer
      - .offset:         56
        .size:           4
        .value_kind:     by_value
      - .actual_access:  read_only
        .address_space:  global
        .offset:         64
        .size:           8
        .value_kind:     global_buffer
      - .offset:         72
        .size:           4
        .value_kind:     by_value
      - .offset:         76
        .size:           4
        .value_kind:     by_value
      - .offset:         80
        .size:           4
        .value_kind:     by_value
      - .actual_access:  write_only
        .address_space:  global
        .offset:         88
        .size:           8
        .value_kind:     global_buffer
      - .actual_access:  write_only
        .address_space:  global
        .offset:         96
        .size:           8
        .value_kind:     global_buffer
      - .actual_access:  write_only
        .address_space:  global
        .offset:         104
        .size:           8
        .value_kind:     global_buffer
      - .actual_access:  read_only
        .address_space:  global
        .offset:         112
        .size:           8
        .value_kind:     global_buffer
      - .offset:         120
        .size:           4
        .value_kind:     by_value
      - .address_space:  global
        .offset:         128
        .size:           8
        .value_kind:     global_buffer
      - .address_space:  global
        .offset:         136
        .size:           8
        .value_kind:     global_buffer
      - .offset:         144
        .size:           4
        .value_kind:     hidden_block_count_x
      - .offset:         148
        .size:           4
        .value_kind:     hidden_block_count_y
      - .offset:         152
        .size:           4
        .value_kind:     hidden_block_count_z
      - .offset:         156
        .size:           2
        .value_kind:     hidden_group_size_x
      - .offset:         158
        .size:           2
        .value_kind:     hidden_group_size_y
      - .offset:         160
        .size:           2
        .value_kind:     hidden_group_size_z
      - .offset:         162
        .size:           2
        .value_kind:     hidden_remainder_x
      - .offset:         164
        .size:           2
        .value_kind:     hidden_remainder_y
      - .offset:         166
        .size:           2
        .value_kind:     hidden_remainder_z
      - .offset:         184
        .size:           8
        .value_kind:     hidden_global_offset_x
      - .offset:         192
        .size:           8
        .value_kind:     hidden_global_offset_y
      - .offset:         200
        .size:           8
        .value_kind:     hidden_global_offset_z
      - .offset:         208
        .size:           2
        .value_kind:     hidden_grid_dims
    .group_segment_fixed_size: 8192
    .kernarg_segment_align: 8
    .kernarg_segment_size: 400
    .language:       OpenCL C
    .language_version:
      - 2
      - 0
    .max_flat_workgroup_size: 256
    .name:           _Z39paged_attention_ll4mi_QKV_mfma16_kernelIDF16_DF16_LN4vllm18Fp8KVCacheDataTypeE0EDF16_Li32ELi64ELi256ELb0ELi5EEvPKT_PKT0_S7_ifPKiS9_S9_iPKfiiiPfSC_PS2_PT2_iSB_SB_
    .private_segment_fixed_size: 0
    .sgpr_count:     54
    .sgpr_spill_count: 0
    .symbol:         _Z39paged_attention_ll4mi_QKV_mfma16_kernelIDF16_DF16_LN4vllm18Fp8KVCacheDataTypeE0EDF16_Li32ELi64ELi256ELb0ELi5EEvPKT_PKT0_S7_ifPKiS9_S9_iPKfiiiPfSC_PS2_PT2_iSB_SB_.kd
    .uniform_work_group_size: 1
    .uses_dynamic_stack: false
    .vgpr_count:     67
    .vgpr_spill_count: 0
    .wavefront_size: 64
  - .agpr_count:     0
    .args:
      - .actual_access:  read_only
        .address_space:  global
        .offset:         0
        .size:           8
        .value_kind:     global_buffer
      - .actual_access:  read_only
        .address_space:  global
        .offset:         8
        .size:           8
        .value_kind:     global_buffer
      - .actual_access:  read_only
        .address_space:  global
        .offset:         16
        .size:           8
        .value_kind:     global_buffer
      - .offset:         24
        .size:           4
        .value_kind:     by_value
      - .offset:         28
        .size:           4
        .value_kind:     by_value
      - .actual_access:  read_only
        .address_space:  global
        .offset:         32
        .size:           8
        .value_kind:     global_buffer
      - .actual_access:  read_only
        .address_space:  global
        .offset:         40
        .size:           8
        .value_kind:     global_buffer
      - .actual_access:  read_only
        .address_space:  global
        .offset:         48
        .size:           8
        .value_kind:     global_buffer
      - .offset:         56
        .size:           4
        .value_kind:     by_value
      - .actual_access:  read_only
        .address_space:  global
        .offset:         64
        .size:           8
        .value_kind:     global_buffer
      - .offset:         72
        .size:           4
        .value_kind:     by_value
      - .offset:         76
        .size:           4
        .value_kind:     by_value
      - .offset:         80
        .size:           4
        .value_kind:     by_value
      - .actual_access:  write_only
        .address_space:  global
        .offset:         88
        .size:           8
        .value_kind:     global_buffer
      - .actual_access:  write_only
        .address_space:  global
        .offset:         96
        .size:           8
        .value_kind:     global_buffer
      - .actual_access:  write_only
        .address_space:  global
        .offset:         104
        .size:           8
        .value_kind:     global_buffer
      - .actual_access:  read_only
        .address_space:  global
        .offset:         112
        .size:           8
        .value_kind:     global_buffer
      - .offset:         120
        .size:           4
        .value_kind:     by_value
      - .address_space:  global
        .offset:         128
        .size:           8
        .value_kind:     global_buffer
      - .address_space:  global
        .offset:         136
        .size:           8
        .value_kind:     global_buffer
      - .offset:         144
        .size:           4
        .value_kind:     hidden_block_count_x
      - .offset:         148
        .size:           4
        .value_kind:     hidden_block_count_y
      - .offset:         152
        .size:           4
        .value_kind:     hidden_block_count_z
      - .offset:         156
        .size:           2
        .value_kind:     hidden_group_size_x
      - .offset:         158
        .size:           2
        .value_kind:     hidden_group_size_y
      - .offset:         160
        .size:           2
        .value_kind:     hidden_group_size_z
      - .offset:         162
        .size:           2
        .value_kind:     hidden_remainder_x
      - .offset:         164
        .size:           2
        .value_kind:     hidden_remainder_y
      - .offset:         166
        .size:           2
        .value_kind:     hidden_remainder_z
      - .offset:         184
        .size:           8
        .value_kind:     hidden_global_offset_x
      - .offset:         192
        .size:           8
        .value_kind:     hidden_global_offset_y
      - .offset:         200
        .size:           8
        .value_kind:     hidden_global_offset_z
      - .offset:         208
        .size:           2
        .value_kind:     hidden_grid_dims
    .group_segment_fixed_size: 8192
    .kernarg_segment_align: 8
    .kernarg_segment_size: 400
    .language:       OpenCL C
    .language_version:
      - 2
      - 0
    .max_flat_workgroup_size: 256
    .name:           _Z39paged_attention_ll4mi_QKV_mfma16_kernelIDF16_DF16_LN4vllm18Fp8KVCacheDataTypeE0EDF16_Li32ELi64ELi256ELb0ELi6EEvPKT_PKT0_S7_ifPKiS9_S9_iPKfiiiPfSC_PS2_PT2_iSB_SB_
    .private_segment_fixed_size: 0
    .sgpr_count:     54
    .sgpr_spill_count: 0
    .symbol:         _Z39paged_attention_ll4mi_QKV_mfma16_kernelIDF16_DF16_LN4vllm18Fp8KVCacheDataTypeE0EDF16_Li32ELi64ELi256ELb0ELi6EEvPKT_PKT0_S7_ifPKiS9_S9_iPKfiiiPfSC_PS2_PT2_iSB_SB_.kd
    .uniform_work_group_size: 1
    .uses_dynamic_stack: false
    .vgpr_count:     67
    .vgpr_spill_count: 0
    .wavefront_size: 64
  - .agpr_count:     0
    .args:
      - .actual_access:  read_only
        .address_space:  global
        .offset:         0
        .size:           8
        .value_kind:     global_buffer
      - .actual_access:  read_only
        .address_space:  global
        .offset:         8
        .size:           8
        .value_kind:     global_buffer
      - .actual_access:  read_only
        .address_space:  global
        .offset:         16
        .size:           8
        .value_kind:     global_buffer
      - .offset:         24
        .size:           4
        .value_kind:     by_value
      - .offset:         28
        .size:           4
        .value_kind:     by_value
      - .actual_access:  read_only
        .address_space:  global
        .offset:         32
        .size:           8
        .value_kind:     global_buffer
      - .actual_access:  read_only
        .address_space:  global
        .offset:         40
        .size:           8
        .value_kind:     global_buffer
      - .actual_access:  read_only
        .address_space:  global
        .offset:         48
        .size:           8
        .value_kind:     global_buffer
      - .offset:         56
        .size:           4
        .value_kind:     by_value
      - .actual_access:  read_only
        .address_space:  global
        .offset:         64
        .size:           8
        .value_kind:     global_buffer
      - .offset:         72
        .size:           4
        .value_kind:     by_value
      - .offset:         76
        .size:           4
        .value_kind:     by_value
      - .offset:         80
        .size:           4
        .value_kind:     by_value
      - .actual_access:  write_only
        .address_space:  global
        .offset:         88
        .size:           8
        .value_kind:     global_buffer
      - .actual_access:  write_only
        .address_space:  global
        .offset:         96
        .size:           8
        .value_kind:     global_buffer
      - .actual_access:  write_only
        .address_space:  global
        .offset:         104
        .size:           8
        .value_kind:     global_buffer
      - .actual_access:  read_only
        .address_space:  global
        .offset:         112
        .size:           8
        .value_kind:     global_buffer
      - .offset:         120
        .size:           4
        .value_kind:     by_value
      - .address_space:  global
        .offset:         128
        .size:           8
        .value_kind:     global_buffer
      - .address_space:  global
        .offset:         136
        .size:           8
        .value_kind:     global_buffer
      - .offset:         144
        .size:           4
        .value_kind:     hidden_block_count_x
      - .offset:         148
        .size:           4
        .value_kind:     hidden_block_count_y
      - .offset:         152
        .size:           4
        .value_kind:     hidden_block_count_z
      - .offset:         156
        .size:           2
        .value_kind:     hidden_group_size_x
      - .offset:         158
        .size:           2
        .value_kind:     hidden_group_size_y
      - .offset:         160
        .size:           2
        .value_kind:     hidden_group_size_z
      - .offset:         162
        .size:           2
        .value_kind:     hidden_remainder_x
      - .offset:         164
        .size:           2
        .value_kind:     hidden_remainder_y
      - .offset:         166
        .size:           2
        .value_kind:     hidden_remainder_z
      - .offset:         184
        .size:           8
        .value_kind:     hidden_global_offset_x
      - .offset:         192
        .size:           8
        .value_kind:     hidden_global_offset_y
      - .offset:         200
        .size:           8
        .value_kind:     hidden_global_offset_z
      - .offset:         208
        .size:           2
        .value_kind:     hidden_grid_dims
    .group_segment_fixed_size: 8192
    .kernarg_segment_align: 8
    .kernarg_segment_size: 400
    .language:       OpenCL C
    .language_version:
      - 2
      - 0
    .max_flat_workgroup_size: 256
    .name:           _Z39paged_attention_ll4mi_QKV_mfma16_kernelIDF16_DF16_LN4vllm18Fp8KVCacheDataTypeE0EDF16_Li32ELi64ELi256ELb0ELi7EEvPKT_PKT0_S7_ifPKiS9_S9_iPKfiiiPfSC_PS2_PT2_iSB_SB_
    .private_segment_fixed_size: 0
    .sgpr_count:     54
    .sgpr_spill_count: 0
    .symbol:         _Z39paged_attention_ll4mi_QKV_mfma16_kernelIDF16_DF16_LN4vllm18Fp8KVCacheDataTypeE0EDF16_Li32ELi64ELi256ELb0ELi7EEvPKT_PKT0_S7_ifPKiS9_S9_iPKfiiiPfSC_PS2_PT2_iSB_SB_.kd
    .uniform_work_group_size: 1
    .uses_dynamic_stack: false
    .vgpr_count:     67
    .vgpr_spill_count: 0
    .wavefront_size: 64
  - .agpr_count:     0
    .args:
      - .actual_access:  read_only
        .address_space:  global
        .offset:         0
        .size:           8
        .value_kind:     global_buffer
      - .actual_access:  read_only
        .address_space:  global
        .offset:         8
        .size:           8
        .value_kind:     global_buffer
      - .actual_access:  read_only
        .address_space:  global
        .offset:         16
        .size:           8
        .value_kind:     global_buffer
      - .offset:         24
        .size:           4
        .value_kind:     by_value
      - .offset:         28
        .size:           4
        .value_kind:     by_value
      - .actual_access:  read_only
        .address_space:  global
        .offset:         32
        .size:           8
        .value_kind:     global_buffer
      - .actual_access:  read_only
        .address_space:  global
        .offset:         40
        .size:           8
        .value_kind:     global_buffer
      - .actual_access:  read_only
        .address_space:  global
        .offset:         48
        .size:           8
        .value_kind:     global_buffer
      - .offset:         56
        .size:           4
        .value_kind:     by_value
      - .actual_access:  read_only
        .address_space:  global
        .offset:         64
        .size:           8
        .value_kind:     global_buffer
      - .offset:         72
        .size:           4
        .value_kind:     by_value
      - .offset:         76
        .size:           4
        .value_kind:     by_value
      - .offset:         80
        .size:           4
        .value_kind:     by_value
      - .actual_access:  write_only
        .address_space:  global
        .offset:         88
        .size:           8
        .value_kind:     global_buffer
      - .actual_access:  write_only
        .address_space:  global
        .offset:         96
        .size:           8
        .value_kind:     global_buffer
      - .actual_access:  write_only
        .address_space:  global
        .offset:         104
        .size:           8
        .value_kind:     global_buffer
      - .actual_access:  read_only
        .address_space:  global
        .offset:         112
        .size:           8
        .value_kind:     global_buffer
      - .offset:         120
        .size:           4
        .value_kind:     by_value
      - .address_space:  global
        .offset:         128
        .size:           8
        .value_kind:     global_buffer
      - .address_space:  global
        .offset:         136
        .size:           8
        .value_kind:     global_buffer
      - .offset:         144
        .size:           4
        .value_kind:     hidden_block_count_x
      - .offset:         148
        .size:           4
        .value_kind:     hidden_block_count_y
      - .offset:         152
        .size:           4
        .value_kind:     hidden_block_count_z
      - .offset:         156
        .size:           2
        .value_kind:     hidden_group_size_x
      - .offset:         158
        .size:           2
        .value_kind:     hidden_group_size_y
      - .offset:         160
        .size:           2
        .value_kind:     hidden_group_size_z
      - .offset:         162
        .size:           2
        .value_kind:     hidden_remainder_x
      - .offset:         164
        .size:           2
        .value_kind:     hidden_remainder_y
      - .offset:         166
        .size:           2
        .value_kind:     hidden_remainder_z
      - .offset:         184
        .size:           8
        .value_kind:     hidden_global_offset_x
      - .offset:         192
        .size:           8
        .value_kind:     hidden_global_offset_y
      - .offset:         200
        .size:           8
        .value_kind:     hidden_global_offset_z
      - .offset:         208
        .size:           2
        .value_kind:     hidden_grid_dims
    .group_segment_fixed_size: 8192
    .kernarg_segment_align: 8
    .kernarg_segment_size: 400
    .language:       OpenCL C
    .language_version:
      - 2
      - 0
    .max_flat_workgroup_size: 256
    .name:           _Z39paged_attention_ll4mi_QKV_mfma16_kernelIDF16_DF16_LN4vllm18Fp8KVCacheDataTypeE0EDF16_Li32ELi64ELi256ELb0ELi8EEvPKT_PKT0_S7_ifPKiS9_S9_iPKfiiiPfSC_PS2_PT2_iSB_SB_
    .private_segment_fixed_size: 0
    .sgpr_count:     54
    .sgpr_spill_count: 0
    .symbol:         _Z39paged_attention_ll4mi_QKV_mfma16_kernelIDF16_DF16_LN4vllm18Fp8KVCacheDataTypeE0EDF16_Li32ELi64ELi256ELb0ELi8EEvPKT_PKT0_S7_ifPKiS9_S9_iPKfiiiPfSC_PS2_PT2_iSB_SB_.kd
    .uniform_work_group_size: 1
    .uses_dynamic_stack: false
    .vgpr_count:     67
    .vgpr_spill_count: 0
    .wavefront_size: 64
  - .agpr_count:     0
    .args:
      - .actual_access:  read_only
        .address_space:  global
        .offset:         0
        .size:           8
        .value_kind:     global_buffer
      - .actual_access:  read_only
        .address_space:  global
        .offset:         8
        .size:           8
        .value_kind:     global_buffer
      - .actual_access:  read_only
        .address_space:  global
        .offset:         16
        .size:           8
        .value_kind:     global_buffer
      - .offset:         24
        .size:           4
        .value_kind:     by_value
      - .offset:         28
        .size:           4
        .value_kind:     by_value
      - .actual_access:  read_only
        .address_space:  global
        .offset:         32
        .size:           8
        .value_kind:     global_buffer
      - .actual_access:  read_only
        .address_space:  global
        .offset:         40
        .size:           8
        .value_kind:     global_buffer
      - .actual_access:  read_only
        .address_space:  global
        .offset:         48
        .size:           8
        .value_kind:     global_buffer
      - .offset:         56
        .size:           4
        .value_kind:     by_value
      - .actual_access:  read_only
        .address_space:  global
        .offset:         64
        .size:           8
        .value_kind:     global_buffer
      - .offset:         72
        .size:           4
        .value_kind:     by_value
      - .offset:         76
        .size:           4
        .value_kind:     by_value
      - .offset:         80
        .size:           4
        .value_kind:     by_value
      - .actual_access:  write_only
        .address_space:  global
        .offset:         88
        .size:           8
        .value_kind:     global_buffer
      - .actual_access:  write_only
        .address_space:  global
        .offset:         96
        .size:           8
        .value_kind:     global_buffer
      - .actual_access:  write_only
        .address_space:  global
        .offset:         104
        .size:           8
        .value_kind:     global_buffer
      - .actual_access:  read_only
        .address_space:  global
        .offset:         112
        .size:           8
        .value_kind:     global_buffer
      - .offset:         120
        .size:           4
        .value_kind:     by_value
      - .address_space:  global
        .offset:         128
        .size:           8
        .value_kind:     global_buffer
      - .address_space:  global
        .offset:         136
        .size:           8
        .value_kind:     global_buffer
      - .offset:         144
        .size:           4
        .value_kind:     hidden_block_count_x
      - .offset:         148
        .size:           4
        .value_kind:     hidden_block_count_y
      - .offset:         152
        .size:           4
        .value_kind:     hidden_block_count_z
      - .offset:         156
        .size:           2
        .value_kind:     hidden_group_size_x
      - .offset:         158
        .size:           2
        .value_kind:     hidden_group_size_y
      - .offset:         160
        .size:           2
        .value_kind:     hidden_group_size_z
      - .offset:         162
        .size:           2
        .value_kind:     hidden_remainder_x
      - .offset:         164
        .size:           2
        .value_kind:     hidden_remainder_y
      - .offset:         166
        .size:           2
        .value_kind:     hidden_remainder_z
      - .offset:         184
        .size:           8
        .value_kind:     hidden_global_offset_x
      - .offset:         192
        .size:           8
        .value_kind:     hidden_global_offset_y
      - .offset:         200
        .size:           8
        .value_kind:     hidden_global_offset_z
      - .offset:         208
        .size:           2
        .value_kind:     hidden_grid_dims
    .group_segment_fixed_size: 8192
    .kernarg_segment_align: 8
    .kernarg_segment_size: 400
    .language:       OpenCL C
    .language_version:
      - 2
      - 0
    .max_flat_workgroup_size: 256
    .name:           _Z39paged_attention_ll4mi_QKV_mfma16_kernelIDF16_DF16_LN4vllm18Fp8KVCacheDataTypeE0EDF16_Li32ELi64ELi256ELb0ELi9EEvPKT_PKT0_S7_ifPKiS9_S9_iPKfiiiPfSC_PS2_PT2_iSB_SB_
    .private_segment_fixed_size: 0
    .sgpr_count:     54
    .sgpr_spill_count: 0
    .symbol:         _Z39paged_attention_ll4mi_QKV_mfma16_kernelIDF16_DF16_LN4vllm18Fp8KVCacheDataTypeE0EDF16_Li32ELi64ELi256ELb0ELi9EEvPKT_PKT0_S7_ifPKiS9_S9_iPKfiiiPfSC_PS2_PT2_iSB_SB_.kd
    .uniform_work_group_size: 1
    .uses_dynamic_stack: false
    .vgpr_count:     67
    .vgpr_spill_count: 0
    .wavefront_size: 64
  - .agpr_count:     0
    .args:
      - .actual_access:  read_only
        .address_space:  global
        .offset:         0
        .size:           8
        .value_kind:     global_buffer
      - .actual_access:  read_only
        .address_space:  global
        .offset:         8
        .size:           8
        .value_kind:     global_buffer
      - .actual_access:  read_only
        .address_space:  global
        .offset:         16
        .size:           8
        .value_kind:     global_buffer
      - .offset:         24
        .size:           4
        .value_kind:     by_value
      - .offset:         28
        .size:           4
        .value_kind:     by_value
      - .actual_access:  read_only
        .address_space:  global
        .offset:         32
        .size:           8
        .value_kind:     global_buffer
      - .actual_access:  read_only
        .address_space:  global
        .offset:         40
        .size:           8
        .value_kind:     global_buffer
      - .actual_access:  read_only
        .address_space:  global
        .offset:         48
        .size:           8
        .value_kind:     global_buffer
      - .offset:         56
        .size:           4
        .value_kind:     by_value
      - .actual_access:  read_only
        .address_space:  global
        .offset:         64
        .size:           8
        .value_kind:     global_buffer
      - .offset:         72
        .size:           4
        .value_kind:     by_value
      - .offset:         76
        .size:           4
        .value_kind:     by_value
      - .offset:         80
        .size:           4
        .value_kind:     by_value
      - .actual_access:  write_only
        .address_space:  global
        .offset:         88
        .size:           8
        .value_kind:     global_buffer
      - .actual_access:  write_only
        .address_space:  global
        .offset:         96
        .size:           8
        .value_kind:     global_buffer
      - .actual_access:  write_only
        .address_space:  global
        .offset:         104
        .size:           8
        .value_kind:     global_buffer
      - .actual_access:  read_only
        .address_space:  global
        .offset:         112
        .size:           8
        .value_kind:     global_buffer
      - .offset:         120
        .size:           4
        .value_kind:     by_value
      - .address_space:  global
        .offset:         128
        .size:           8
        .value_kind:     global_buffer
      - .address_space:  global
        .offset:         136
        .size:           8
        .value_kind:     global_buffer
      - .offset:         144
        .size:           4
        .value_kind:     hidden_block_count_x
      - .offset:         148
        .size:           4
        .value_kind:     hidden_block_count_y
      - .offset:         152
        .size:           4
        .value_kind:     hidden_block_count_z
      - .offset:         156
        .size:           2
        .value_kind:     hidden_group_size_x
      - .offset:         158
        .size:           2
        .value_kind:     hidden_group_size_y
      - .offset:         160
        .size:           2
        .value_kind:     hidden_group_size_z
      - .offset:         162
        .size:           2
        .value_kind:     hidden_remainder_x
      - .offset:         164
        .size:           2
        .value_kind:     hidden_remainder_y
      - .offset:         166
        .size:           2
        .value_kind:     hidden_remainder_z
      - .offset:         184
        .size:           8
        .value_kind:     hidden_global_offset_x
      - .offset:         192
        .size:           8
        .value_kind:     hidden_global_offset_y
      - .offset:         200
        .size:           8
        .value_kind:     hidden_global_offset_z
      - .offset:         208
        .size:           2
        .value_kind:     hidden_grid_dims
    .group_segment_fixed_size: 8192
    .kernarg_segment_align: 8
    .kernarg_segment_size: 400
    .language:       OpenCL C
    .language_version:
      - 2
      - 0
    .max_flat_workgroup_size: 256
    .name:           _Z39paged_attention_ll4mi_QKV_mfma16_kernelIDF16_DF16_LN4vllm18Fp8KVCacheDataTypeE0EDF16_Li32ELi64ELi256ELb0ELi10EEvPKT_PKT0_S7_ifPKiS9_S9_iPKfiiiPfSC_PS2_PT2_iSB_SB_
    .private_segment_fixed_size: 0
    .sgpr_count:     54
    .sgpr_spill_count: 0
    .symbol:         _Z39paged_attention_ll4mi_QKV_mfma16_kernelIDF16_DF16_LN4vllm18Fp8KVCacheDataTypeE0EDF16_Li32ELi64ELi256ELb0ELi10EEvPKT_PKT0_S7_ifPKiS9_S9_iPKfiiiPfSC_PS2_PT2_iSB_SB_.kd
    .uniform_work_group_size: 1
    .uses_dynamic_stack: false
    .vgpr_count:     67
    .vgpr_spill_count: 0
    .wavefront_size: 64
  - .agpr_count:     0
    .args:
      - .actual_access:  read_only
        .address_space:  global
        .offset:         0
        .size:           8
        .value_kind:     global_buffer
      - .actual_access:  read_only
        .address_space:  global
        .offset:         8
        .size:           8
        .value_kind:     global_buffer
      - .actual_access:  read_only
        .address_space:  global
        .offset:         16
        .size:           8
        .value_kind:     global_buffer
      - .offset:         24
        .size:           4
        .value_kind:     by_value
      - .offset:         28
        .size:           4
        .value_kind:     by_value
      - .actual_access:  read_only
        .address_space:  global
        .offset:         32
        .size:           8
        .value_kind:     global_buffer
      - .actual_access:  read_only
        .address_space:  global
        .offset:         40
        .size:           8
        .value_kind:     global_buffer
      - .actual_access:  read_only
        .address_space:  global
        .offset:         48
        .size:           8
        .value_kind:     global_buffer
      - .offset:         56
        .size:           4
        .value_kind:     by_value
      - .actual_access:  read_only
        .address_space:  global
        .offset:         64
        .size:           8
        .value_kind:     global_buffer
      - .offset:         72
        .size:           4
        .value_kind:     by_value
      - .offset:         76
        .size:           4
        .value_kind:     by_value
      - .offset:         80
        .size:           4
        .value_kind:     by_value
      - .actual_access:  write_only
        .address_space:  global
        .offset:         88
        .size:           8
        .value_kind:     global_buffer
      - .actual_access:  write_only
        .address_space:  global
        .offset:         96
        .size:           8
        .value_kind:     global_buffer
      - .actual_access:  write_only
        .address_space:  global
        .offset:         104
        .size:           8
        .value_kind:     global_buffer
      - .actual_access:  read_only
        .address_space:  global
        .offset:         112
        .size:           8
        .value_kind:     global_buffer
      - .offset:         120
        .size:           4
        .value_kind:     by_value
      - .address_space:  global
        .offset:         128
        .size:           8
        .value_kind:     global_buffer
      - .address_space:  global
        .offset:         136
        .size:           8
        .value_kind:     global_buffer
      - .offset:         144
        .size:           4
        .value_kind:     hidden_block_count_x
      - .offset:         148
        .size:           4
        .value_kind:     hidden_block_count_y
      - .offset:         152
        .size:           4
        .value_kind:     hidden_block_count_z
      - .offset:         156
        .size:           2
        .value_kind:     hidden_group_size_x
      - .offset:         158
        .size:           2
        .value_kind:     hidden_group_size_y
      - .offset:         160
        .size:           2
        .value_kind:     hidden_group_size_z
      - .offset:         162
        .size:           2
        .value_kind:     hidden_remainder_x
      - .offset:         164
        .size:           2
        .value_kind:     hidden_remainder_y
      - .offset:         166
        .size:           2
        .value_kind:     hidden_remainder_z
      - .offset:         184
        .size:           8
        .value_kind:     hidden_global_offset_x
      - .offset:         192
        .size:           8
        .value_kind:     hidden_global_offset_y
      - .offset:         200
        .size:           8
        .value_kind:     hidden_global_offset_z
      - .offset:         208
        .size:           2
        .value_kind:     hidden_grid_dims
    .group_segment_fixed_size: 8192
    .kernarg_segment_align: 8
    .kernarg_segment_size: 400
    .language:       OpenCL C
    .language_version:
      - 2
      - 0
    .max_flat_workgroup_size: 256
    .name:           _Z39paged_attention_ll4mi_QKV_mfma16_kernelIDF16_DF16_LN4vllm18Fp8KVCacheDataTypeE0EDF16_Li32ELi64ELi256ELb0ELi11EEvPKT_PKT0_S7_ifPKiS9_S9_iPKfiiiPfSC_PS2_PT2_iSB_SB_
    .private_segment_fixed_size: 0
    .sgpr_count:     54
    .sgpr_spill_count: 0
    .symbol:         _Z39paged_attention_ll4mi_QKV_mfma16_kernelIDF16_DF16_LN4vllm18Fp8KVCacheDataTypeE0EDF16_Li32ELi64ELi256ELb0ELi11EEvPKT_PKT0_S7_ifPKiS9_S9_iPKfiiiPfSC_PS2_PT2_iSB_SB_.kd
    .uniform_work_group_size: 1
    .uses_dynamic_stack: false
    .vgpr_count:     67
    .vgpr_spill_count: 0
    .wavefront_size: 64
  - .agpr_count:     0
    .args:
      - .actual_access:  read_only
        .address_space:  global
        .offset:         0
        .size:           8
        .value_kind:     global_buffer
      - .actual_access:  read_only
        .address_space:  global
        .offset:         8
        .size:           8
        .value_kind:     global_buffer
      - .actual_access:  read_only
        .address_space:  global
        .offset:         16
        .size:           8
        .value_kind:     global_buffer
      - .offset:         24
        .size:           4
        .value_kind:     by_value
      - .offset:         28
        .size:           4
        .value_kind:     by_value
      - .actual_access:  read_only
        .address_space:  global
        .offset:         32
        .size:           8
        .value_kind:     global_buffer
      - .actual_access:  read_only
        .address_space:  global
        .offset:         40
        .size:           8
        .value_kind:     global_buffer
      - .actual_access:  read_only
        .address_space:  global
        .offset:         48
        .size:           8
        .value_kind:     global_buffer
      - .offset:         56
        .size:           4
        .value_kind:     by_value
      - .actual_access:  read_only
        .address_space:  global
        .offset:         64
        .size:           8
        .value_kind:     global_buffer
      - .offset:         72
        .size:           4
        .value_kind:     by_value
      - .offset:         76
        .size:           4
        .value_kind:     by_value
      - .offset:         80
        .size:           4
        .value_kind:     by_value
      - .actual_access:  write_only
        .address_space:  global
        .offset:         88
        .size:           8
        .value_kind:     global_buffer
      - .actual_access:  write_only
        .address_space:  global
        .offset:         96
        .size:           8
        .value_kind:     global_buffer
      - .actual_access:  write_only
        .address_space:  global
        .offset:         104
        .size:           8
        .value_kind:     global_buffer
      - .actual_access:  read_only
        .address_space:  global
        .offset:         112
        .size:           8
        .value_kind:     global_buffer
      - .offset:         120
        .size:           4
        .value_kind:     by_value
      - .address_space:  global
        .offset:         128
        .size:           8
        .value_kind:     global_buffer
      - .address_space:  global
        .offset:         136
        .size:           8
        .value_kind:     global_buffer
      - .offset:         144
        .size:           4
        .value_kind:     hidden_block_count_x
      - .offset:         148
        .size:           4
        .value_kind:     hidden_block_count_y
      - .offset:         152
        .size:           4
        .value_kind:     hidden_block_count_z
      - .offset:         156
        .size:           2
        .value_kind:     hidden_group_size_x
      - .offset:         158
        .size:           2
        .value_kind:     hidden_group_size_y
      - .offset:         160
        .size:           2
        .value_kind:     hidden_group_size_z
      - .offset:         162
        .size:           2
        .value_kind:     hidden_remainder_x
      - .offset:         164
        .size:           2
        .value_kind:     hidden_remainder_y
      - .offset:         166
        .size:           2
        .value_kind:     hidden_remainder_z
      - .offset:         184
        .size:           8
        .value_kind:     hidden_global_offset_x
      - .offset:         192
        .size:           8
        .value_kind:     hidden_global_offset_y
      - .offset:         200
        .size:           8
        .value_kind:     hidden_global_offset_z
      - .offset:         208
        .size:           2
        .value_kind:     hidden_grid_dims
    .group_segment_fixed_size: 8192
    .kernarg_segment_align: 8
    .kernarg_segment_size: 400
    .language:       OpenCL C
    .language_version:
      - 2
      - 0
    .max_flat_workgroup_size: 256
    .name:           _Z39paged_attention_ll4mi_QKV_mfma16_kernelIDF16_DF16_LN4vllm18Fp8KVCacheDataTypeE0EDF16_Li32ELi64ELi256ELb0ELi12EEvPKT_PKT0_S7_ifPKiS9_S9_iPKfiiiPfSC_PS2_PT2_iSB_SB_
    .private_segment_fixed_size: 0
    .sgpr_count:     54
    .sgpr_spill_count: 0
    .symbol:         _Z39paged_attention_ll4mi_QKV_mfma16_kernelIDF16_DF16_LN4vllm18Fp8KVCacheDataTypeE0EDF16_Li32ELi64ELi256ELb0ELi12EEvPKT_PKT0_S7_ifPKiS9_S9_iPKfiiiPfSC_PS2_PT2_iSB_SB_.kd
    .uniform_work_group_size: 1
    .uses_dynamic_stack: false
    .vgpr_count:     67
    .vgpr_spill_count: 0
    .wavefront_size: 64
  - .agpr_count:     0
    .args:
      - .actual_access:  read_only
        .address_space:  global
        .offset:         0
        .size:           8
        .value_kind:     global_buffer
      - .actual_access:  read_only
        .address_space:  global
        .offset:         8
        .size:           8
        .value_kind:     global_buffer
      - .actual_access:  read_only
        .address_space:  global
        .offset:         16
        .size:           8
        .value_kind:     global_buffer
      - .offset:         24
        .size:           4
        .value_kind:     by_value
      - .offset:         28
        .size:           4
        .value_kind:     by_value
      - .actual_access:  read_only
        .address_space:  global
        .offset:         32
        .size:           8
        .value_kind:     global_buffer
      - .actual_access:  read_only
        .address_space:  global
        .offset:         40
        .size:           8
        .value_kind:     global_buffer
      - .actual_access:  read_only
        .address_space:  global
        .offset:         48
        .size:           8
        .value_kind:     global_buffer
      - .offset:         56
        .size:           4
        .value_kind:     by_value
      - .actual_access:  read_only
        .address_space:  global
        .offset:         64
        .size:           8
        .value_kind:     global_buffer
      - .offset:         72
        .size:           4
        .value_kind:     by_value
      - .offset:         76
        .size:           4
        .value_kind:     by_value
      - .offset:         80
        .size:           4
        .value_kind:     by_value
      - .actual_access:  write_only
        .address_space:  global
        .offset:         88
        .size:           8
        .value_kind:     global_buffer
      - .actual_access:  write_only
        .address_space:  global
        .offset:         96
        .size:           8
        .value_kind:     global_buffer
      - .actual_access:  write_only
        .address_space:  global
        .offset:         104
        .size:           8
        .value_kind:     global_buffer
      - .actual_access:  read_only
        .address_space:  global
        .offset:         112
        .size:           8
        .value_kind:     global_buffer
      - .offset:         120
        .size:           4
        .value_kind:     by_value
      - .address_space:  global
        .offset:         128
        .size:           8
        .value_kind:     global_buffer
      - .address_space:  global
        .offset:         136
        .size:           8
        .value_kind:     global_buffer
      - .offset:         144
        .size:           4
        .value_kind:     hidden_block_count_x
      - .offset:         148
        .size:           4
        .value_kind:     hidden_block_count_y
      - .offset:         152
        .size:           4
        .value_kind:     hidden_block_count_z
      - .offset:         156
        .size:           2
        .value_kind:     hidden_group_size_x
      - .offset:         158
        .size:           2
        .value_kind:     hidden_group_size_y
      - .offset:         160
        .size:           2
        .value_kind:     hidden_group_size_z
      - .offset:         162
        .size:           2
        .value_kind:     hidden_remainder_x
      - .offset:         164
        .size:           2
        .value_kind:     hidden_remainder_y
      - .offset:         166
        .size:           2
        .value_kind:     hidden_remainder_z
      - .offset:         184
        .size:           8
        .value_kind:     hidden_global_offset_x
      - .offset:         192
        .size:           8
        .value_kind:     hidden_global_offset_y
      - .offset:         200
        .size:           8
        .value_kind:     hidden_global_offset_z
      - .offset:         208
        .size:           2
        .value_kind:     hidden_grid_dims
    .group_segment_fixed_size: 8192
    .kernarg_segment_align: 8
    .kernarg_segment_size: 400
    .language:       OpenCL C
    .language_version:
      - 2
      - 0
    .max_flat_workgroup_size: 256
    .name:           _Z39paged_attention_ll4mi_QKV_mfma16_kernelIDF16_DF16_LN4vllm18Fp8KVCacheDataTypeE0EDF16_Li32ELi64ELi256ELb0ELi13EEvPKT_PKT0_S7_ifPKiS9_S9_iPKfiiiPfSC_PS2_PT2_iSB_SB_
    .private_segment_fixed_size: 0
    .sgpr_count:     54
    .sgpr_spill_count: 0
    .symbol:         _Z39paged_attention_ll4mi_QKV_mfma16_kernelIDF16_DF16_LN4vllm18Fp8KVCacheDataTypeE0EDF16_Li32ELi64ELi256ELb0ELi13EEvPKT_PKT0_S7_ifPKiS9_S9_iPKfiiiPfSC_PS2_PT2_iSB_SB_.kd
    .uniform_work_group_size: 1
    .uses_dynamic_stack: false
    .vgpr_count:     67
    .vgpr_spill_count: 0
    .wavefront_size: 64
  - .agpr_count:     0
    .args:
      - .actual_access:  read_only
        .address_space:  global
        .offset:         0
        .size:           8
        .value_kind:     global_buffer
      - .actual_access:  read_only
        .address_space:  global
        .offset:         8
        .size:           8
        .value_kind:     global_buffer
      - .actual_access:  read_only
        .address_space:  global
        .offset:         16
        .size:           8
        .value_kind:     global_buffer
      - .offset:         24
        .size:           4
        .value_kind:     by_value
      - .offset:         28
        .size:           4
        .value_kind:     by_value
      - .actual_access:  read_only
        .address_space:  global
        .offset:         32
        .size:           8
        .value_kind:     global_buffer
      - .actual_access:  read_only
        .address_space:  global
        .offset:         40
        .size:           8
        .value_kind:     global_buffer
      - .actual_access:  read_only
        .address_space:  global
        .offset:         48
        .size:           8
        .value_kind:     global_buffer
      - .offset:         56
        .size:           4
        .value_kind:     by_value
      - .actual_access:  read_only
        .address_space:  global
        .offset:         64
        .size:           8
        .value_kind:     global_buffer
      - .offset:         72
        .size:           4
        .value_kind:     by_value
      - .offset:         76
        .size:           4
        .value_kind:     by_value
      - .offset:         80
        .size:           4
        .value_kind:     by_value
      - .actual_access:  write_only
        .address_space:  global
        .offset:         88
        .size:           8
        .value_kind:     global_buffer
      - .actual_access:  write_only
        .address_space:  global
        .offset:         96
        .size:           8
        .value_kind:     global_buffer
      - .actual_access:  write_only
        .address_space:  global
        .offset:         104
        .size:           8
        .value_kind:     global_buffer
      - .actual_access:  read_only
        .address_space:  global
        .offset:         112
        .size:           8
        .value_kind:     global_buffer
      - .offset:         120
        .size:           4
        .value_kind:     by_value
      - .address_space:  global
        .offset:         128
        .size:           8
        .value_kind:     global_buffer
      - .address_space:  global
        .offset:         136
        .size:           8
        .value_kind:     global_buffer
      - .offset:         144
        .size:           4
        .value_kind:     hidden_block_count_x
      - .offset:         148
        .size:           4
        .value_kind:     hidden_block_count_y
      - .offset:         152
        .size:           4
        .value_kind:     hidden_block_count_z
      - .offset:         156
        .size:           2
        .value_kind:     hidden_group_size_x
      - .offset:         158
        .size:           2
        .value_kind:     hidden_group_size_y
      - .offset:         160
        .size:           2
        .value_kind:     hidden_group_size_z
      - .offset:         162
        .size:           2
        .value_kind:     hidden_remainder_x
      - .offset:         164
        .size:           2
        .value_kind:     hidden_remainder_y
      - .offset:         166
        .size:           2
        .value_kind:     hidden_remainder_z
      - .offset:         184
        .size:           8
        .value_kind:     hidden_global_offset_x
      - .offset:         192
        .size:           8
        .value_kind:     hidden_global_offset_y
      - .offset:         200
        .size:           8
        .value_kind:     hidden_global_offset_z
      - .offset:         208
        .size:           2
        .value_kind:     hidden_grid_dims
    .group_segment_fixed_size: 8192
    .kernarg_segment_align: 8
    .kernarg_segment_size: 400
    .language:       OpenCL C
    .language_version:
      - 2
      - 0
    .max_flat_workgroup_size: 256
    .name:           _Z39paged_attention_ll4mi_QKV_mfma16_kernelIDF16_DF16_LN4vllm18Fp8KVCacheDataTypeE0EDF16_Li32ELi64ELi256ELb0ELi14EEvPKT_PKT0_S7_ifPKiS9_S9_iPKfiiiPfSC_PS2_PT2_iSB_SB_
    .private_segment_fixed_size: 0
    .sgpr_count:     54
    .sgpr_spill_count: 0
    .symbol:         _Z39paged_attention_ll4mi_QKV_mfma16_kernelIDF16_DF16_LN4vllm18Fp8KVCacheDataTypeE0EDF16_Li32ELi64ELi256ELb0ELi14EEvPKT_PKT0_S7_ifPKiS9_S9_iPKfiiiPfSC_PS2_PT2_iSB_SB_.kd
    .uniform_work_group_size: 1
    .uses_dynamic_stack: false
    .vgpr_count:     67
    .vgpr_spill_count: 0
    .wavefront_size: 64
  - .agpr_count:     0
    .args:
      - .actual_access:  read_only
        .address_space:  global
        .offset:         0
        .size:           8
        .value_kind:     global_buffer
      - .actual_access:  read_only
        .address_space:  global
        .offset:         8
        .size:           8
        .value_kind:     global_buffer
      - .actual_access:  read_only
        .address_space:  global
        .offset:         16
        .size:           8
        .value_kind:     global_buffer
      - .offset:         24
        .size:           4
        .value_kind:     by_value
      - .offset:         28
        .size:           4
        .value_kind:     by_value
      - .actual_access:  read_only
        .address_space:  global
        .offset:         32
        .size:           8
        .value_kind:     global_buffer
      - .actual_access:  read_only
        .address_space:  global
        .offset:         40
        .size:           8
        .value_kind:     global_buffer
      - .actual_access:  read_only
        .address_space:  global
        .offset:         48
        .size:           8
        .value_kind:     global_buffer
      - .offset:         56
        .size:           4
        .value_kind:     by_value
      - .actual_access:  read_only
        .address_space:  global
        .offset:         64
        .size:           8
        .value_kind:     global_buffer
      - .offset:         72
        .size:           4
        .value_kind:     by_value
      - .offset:         76
        .size:           4
        .value_kind:     by_value
      - .offset:         80
        .size:           4
        .value_kind:     by_value
      - .actual_access:  write_only
        .address_space:  global
        .offset:         88
        .size:           8
        .value_kind:     global_buffer
      - .actual_access:  write_only
        .address_space:  global
        .offset:         96
        .size:           8
        .value_kind:     global_buffer
      - .actual_access:  write_only
        .address_space:  global
        .offset:         104
        .size:           8
        .value_kind:     global_buffer
      - .actual_access:  read_only
        .address_space:  global
        .offset:         112
        .size:           8
        .value_kind:     global_buffer
      - .offset:         120
        .size:           4
        .value_kind:     by_value
      - .address_space:  global
        .offset:         128
        .size:           8
        .value_kind:     global_buffer
      - .address_space:  global
        .offset:         136
        .size:           8
        .value_kind:     global_buffer
      - .offset:         144
        .size:           4
        .value_kind:     hidden_block_count_x
      - .offset:         148
        .size:           4
        .value_kind:     hidden_block_count_y
      - .offset:         152
        .size:           4
        .value_kind:     hidden_block_count_z
      - .offset:         156
        .size:           2
        .value_kind:     hidden_group_size_x
      - .offset:         158
        .size:           2
        .value_kind:     hidden_group_size_y
      - .offset:         160
        .size:           2
        .value_kind:     hidden_group_size_z
      - .offset:         162
        .size:           2
        .value_kind:     hidden_remainder_x
      - .offset:         164
        .size:           2
        .value_kind:     hidden_remainder_y
      - .offset:         166
        .size:           2
        .value_kind:     hidden_remainder_z
      - .offset:         184
        .size:           8
        .value_kind:     hidden_global_offset_x
      - .offset:         192
        .size:           8
        .value_kind:     hidden_global_offset_y
      - .offset:         200
        .size:           8
        .value_kind:     hidden_global_offset_z
      - .offset:         208
        .size:           2
        .value_kind:     hidden_grid_dims
    .group_segment_fixed_size: 8192
    .kernarg_segment_align: 8
    .kernarg_segment_size: 400
    .language:       OpenCL C
    .language_version:
      - 2
      - 0
    .max_flat_workgroup_size: 256
    .name:           _Z39paged_attention_ll4mi_QKV_mfma16_kernelIDF16_DF16_LN4vllm18Fp8KVCacheDataTypeE0EDF16_Li32ELi64ELi256ELb0ELi15EEvPKT_PKT0_S7_ifPKiS9_S9_iPKfiiiPfSC_PS2_PT2_iSB_SB_
    .private_segment_fixed_size: 0
    .sgpr_count:     54
    .sgpr_spill_count: 0
    .symbol:         _Z39paged_attention_ll4mi_QKV_mfma16_kernelIDF16_DF16_LN4vllm18Fp8KVCacheDataTypeE0EDF16_Li32ELi64ELi256ELb0ELi15EEvPKT_PKT0_S7_ifPKiS9_S9_iPKfiiiPfSC_PS2_PT2_iSB_SB_.kd
    .uniform_work_group_size: 1
    .uses_dynamic_stack: false
    .vgpr_count:     67
    .vgpr_spill_count: 0
    .wavefront_size: 64
  - .agpr_count:     0
    .args:
      - .actual_access:  read_only
        .address_space:  global
        .offset:         0
        .size:           8
        .value_kind:     global_buffer
      - .actual_access:  read_only
        .address_space:  global
        .offset:         8
        .size:           8
        .value_kind:     global_buffer
      - .actual_access:  read_only
        .address_space:  global
        .offset:         16
        .size:           8
        .value_kind:     global_buffer
      - .offset:         24
        .size:           4
        .value_kind:     by_value
      - .offset:         28
        .size:           4
        .value_kind:     by_value
      - .actual_access:  read_only
        .address_space:  global
        .offset:         32
        .size:           8
        .value_kind:     global_buffer
      - .actual_access:  read_only
        .address_space:  global
        .offset:         40
        .size:           8
        .value_kind:     global_buffer
      - .actual_access:  read_only
        .address_space:  global
        .offset:         48
        .size:           8
        .value_kind:     global_buffer
      - .offset:         56
        .size:           4
        .value_kind:     by_value
      - .actual_access:  read_only
        .address_space:  global
        .offset:         64
        .size:           8
        .value_kind:     global_buffer
      - .offset:         72
        .size:           4
        .value_kind:     by_value
      - .offset:         76
        .size:           4
        .value_kind:     by_value
      - .offset:         80
        .size:           4
        .value_kind:     by_value
      - .actual_access:  write_only
        .address_space:  global
        .offset:         88
        .size:           8
        .value_kind:     global_buffer
      - .actual_access:  write_only
        .address_space:  global
        .offset:         96
        .size:           8
        .value_kind:     global_buffer
      - .actual_access:  write_only
        .address_space:  global
        .offset:         104
        .size:           8
        .value_kind:     global_buffer
      - .actual_access:  read_only
        .address_space:  global
        .offset:         112
        .size:           8
        .value_kind:     global_buffer
      - .offset:         120
        .size:           4
        .value_kind:     by_value
      - .address_space:  global
        .offset:         128
        .size:           8
        .value_kind:     global_buffer
      - .address_space:  global
        .offset:         136
        .size:           8
        .value_kind:     global_buffer
      - .offset:         144
        .size:           4
        .value_kind:     hidden_block_count_x
      - .offset:         148
        .size:           4
        .value_kind:     hidden_block_count_y
      - .offset:         152
        .size:           4
        .value_kind:     hidden_block_count_z
      - .offset:         156
        .size:           2
        .value_kind:     hidden_group_size_x
      - .offset:         158
        .size:           2
        .value_kind:     hidden_group_size_y
      - .offset:         160
        .size:           2
        .value_kind:     hidden_group_size_z
      - .offset:         162
        .size:           2
        .value_kind:     hidden_remainder_x
      - .offset:         164
        .size:           2
        .value_kind:     hidden_remainder_y
      - .offset:         166
        .size:           2
        .value_kind:     hidden_remainder_z
      - .offset:         184
        .size:           8
        .value_kind:     hidden_global_offset_x
      - .offset:         192
        .size:           8
        .value_kind:     hidden_global_offset_y
      - .offset:         200
        .size:           8
        .value_kind:     hidden_global_offset_z
      - .offset:         208
        .size:           2
        .value_kind:     hidden_grid_dims
    .group_segment_fixed_size: 8192
    .kernarg_segment_align: 8
    .kernarg_segment_size: 400
    .language:       OpenCL C
    .language_version:
      - 2
      - 0
    .max_flat_workgroup_size: 256
    .name:           _Z39paged_attention_ll4mi_QKV_mfma16_kernelIDF16_DF16_LN4vllm18Fp8KVCacheDataTypeE0EDF16_Li32ELi64ELi256ELb0ELi16EEvPKT_PKT0_S7_ifPKiS9_S9_iPKfiiiPfSC_PS2_PT2_iSB_SB_
    .private_segment_fixed_size: 0
    .sgpr_count:     54
    .sgpr_spill_count: 0
    .symbol:         _Z39paged_attention_ll4mi_QKV_mfma16_kernelIDF16_DF16_LN4vllm18Fp8KVCacheDataTypeE0EDF16_Li32ELi64ELi256ELb0ELi16EEvPKT_PKT0_S7_ifPKiS9_S9_iPKfiiiPfSC_PS2_PT2_iSB_SB_.kd
    .uniform_work_group_size: 1
    .uses_dynamic_stack: false
    .vgpr_count:     68
    .vgpr_spill_count: 0
    .wavefront_size: 64
  - .agpr_count:     0
    .args:
      - .actual_access:  read_only
        .address_space:  global
        .offset:         0
        .size:           8
        .value_kind:     global_buffer
      - .actual_access:  read_only
        .address_space:  global
        .offset:         8
        .size:           8
        .value_kind:     global_buffer
      - .actual_access:  read_only
        .address_space:  global
        .offset:         16
        .size:           8
        .value_kind:     global_buffer
      - .offset:         24
        .size:           4
        .value_kind:     by_value
      - .offset:         28
        .size:           4
        .value_kind:     by_value
      - .actual_access:  read_only
        .address_space:  global
        .offset:         32
        .size:           8
        .value_kind:     global_buffer
      - .actual_access:  read_only
        .address_space:  global
        .offset:         40
        .size:           8
        .value_kind:     global_buffer
      - .actual_access:  read_only
        .address_space:  global
        .offset:         48
        .size:           8
        .value_kind:     global_buffer
      - .offset:         56
        .size:           4
        .value_kind:     by_value
      - .actual_access:  read_only
        .address_space:  global
        .offset:         64
        .size:           8
        .value_kind:     global_buffer
      - .offset:         72
        .size:           4
        .value_kind:     by_value
      - .offset:         76
        .size:           4
        .value_kind:     by_value
      - .offset:         80
        .size:           4
        .value_kind:     by_value
      - .actual_access:  write_only
        .address_space:  global
        .offset:         88
        .size:           8
        .value_kind:     global_buffer
      - .actual_access:  write_only
        .address_space:  global
        .offset:         96
        .size:           8
        .value_kind:     global_buffer
      - .actual_access:  write_only
        .address_space:  global
        .offset:         104
        .size:           8
        .value_kind:     global_buffer
      - .actual_access:  read_only
        .address_space:  global
        .offset:         112
        .size:           8
        .value_kind:     global_buffer
      - .offset:         120
        .size:           4
        .value_kind:     by_value
      - .address_space:  global
        .offset:         128
        .size:           8
        .value_kind:     global_buffer
      - .address_space:  global
        .offset:         136
        .size:           8
        .value_kind:     global_buffer
      - .offset:         144
        .size:           4
        .value_kind:     hidden_block_count_x
      - .offset:         148
        .size:           4
        .value_kind:     hidden_block_count_y
      - .offset:         152
        .size:           4
        .value_kind:     hidden_block_count_z
      - .offset:         156
        .size:           2
        .value_kind:     hidden_group_size_x
      - .offset:         158
        .size:           2
        .value_kind:     hidden_group_size_y
      - .offset:         160
        .size:           2
        .value_kind:     hidden_group_size_z
      - .offset:         162
        .size:           2
        .value_kind:     hidden_remainder_x
      - .offset:         164
        .size:           2
        .value_kind:     hidden_remainder_y
      - .offset:         166
        .size:           2
        .value_kind:     hidden_remainder_z
      - .offset:         184
        .size:           8
        .value_kind:     hidden_global_offset_x
      - .offset:         192
        .size:           8
        .value_kind:     hidden_global_offset_y
      - .offset:         200
        .size:           8
        .value_kind:     hidden_global_offset_z
      - .offset:         208
        .size:           2
        .value_kind:     hidden_grid_dims
    .group_segment_fixed_size: 8192
    .kernarg_segment_align: 8
    .kernarg_segment_size: 400
    .language:       OpenCL C
    .language_version:
      - 2
      - 0
    .max_flat_workgroup_size: 256
    .name:           _Z39paged_attention_ll4mi_QKV_mfma16_kernelIDF16_DF16_LN4vllm18Fp8KVCacheDataTypeE0EDF16_Li32ELi64ELi256ELb0ELi1EEvPKT_PKT0_S7_ifPKiS9_S9_iPKfiiiPfSC_PS2_PT2_iSB_SB_
    .private_segment_fixed_size: 0
    .sgpr_count:     54
    .sgpr_spill_count: 0
    .symbol:         _Z39paged_attention_ll4mi_QKV_mfma16_kernelIDF16_DF16_LN4vllm18Fp8KVCacheDataTypeE0EDF16_Li32ELi64ELi256ELb0ELi1EEvPKT_PKT0_S7_ifPKiS9_S9_iPKfiiiPfSC_PS2_PT2_iSB_SB_.kd
    .uniform_work_group_size: 1
    .uses_dynamic_stack: false
    .vgpr_count:     67
    .vgpr_spill_count: 0
    .wavefront_size: 64
  - .agpr_count:     0
    .args:
      - .actual_access:  read_only
        .address_space:  global
        .offset:         0
        .size:           8
        .value_kind:     global_buffer
      - .actual_access:  read_only
        .address_space:  global
        .offset:         8
        .size:           8
        .value_kind:     global_buffer
      - .actual_access:  read_only
        .address_space:  global
        .offset:         16
        .size:           8
        .value_kind:     global_buffer
      - .offset:         24
        .size:           4
        .value_kind:     by_value
      - .offset:         28
        .size:           4
        .value_kind:     by_value
      - .actual_access:  read_only
        .address_space:  global
        .offset:         32
        .size:           8
        .value_kind:     global_buffer
      - .actual_access:  read_only
        .address_space:  global
        .offset:         40
        .size:           8
        .value_kind:     global_buffer
      - .actual_access:  read_only
        .address_space:  global
        .offset:         48
        .size:           8
        .value_kind:     global_buffer
      - .offset:         56
        .size:           4
        .value_kind:     by_value
      - .actual_access:  read_only
        .address_space:  global
        .offset:         64
        .size:           8
        .value_kind:     global_buffer
      - .offset:         72
        .size:           4
        .value_kind:     by_value
      - .offset:         76
        .size:           4
        .value_kind:     by_value
      - .offset:         80
        .size:           4
        .value_kind:     by_value
      - .actual_access:  write_only
        .address_space:  global
        .offset:         88
        .size:           8
        .value_kind:     global_buffer
      - .actual_access:  write_only
        .address_space:  global
        .offset:         96
        .size:           8
        .value_kind:     global_buffer
      - .actual_access:  write_only
        .address_space:  global
        .offset:         104
        .size:           8
        .value_kind:     global_buffer
      - .actual_access:  read_only
        .address_space:  global
        .offset:         112
        .size:           8
        .value_kind:     global_buffer
      - .offset:         120
        .size:           4
        .value_kind:     by_value
      - .address_space:  global
        .offset:         128
        .size:           8
        .value_kind:     global_buffer
      - .address_space:  global
        .offset:         136
        .size:           8
        .value_kind:     global_buffer
      - .offset:         144
        .size:           4
        .value_kind:     hidden_block_count_x
      - .offset:         148
        .size:           4
        .value_kind:     hidden_block_count_y
      - .offset:         152
        .size:           4
        .value_kind:     hidden_block_count_z
      - .offset:         156
        .size:           2
        .value_kind:     hidden_group_size_x
      - .offset:         158
        .size:           2
        .value_kind:     hidden_group_size_y
      - .offset:         160
        .size:           2
        .value_kind:     hidden_group_size_z
      - .offset:         162
        .size:           2
        .value_kind:     hidden_remainder_x
      - .offset:         164
        .size:           2
        .value_kind:     hidden_remainder_y
      - .offset:         166
        .size:           2
        .value_kind:     hidden_remainder_z
      - .offset:         184
        .size:           8
        .value_kind:     hidden_global_offset_x
      - .offset:         192
        .size:           8
        .value_kind:     hidden_global_offset_y
      - .offset:         200
        .size:           8
        .value_kind:     hidden_global_offset_z
      - .offset:         208
        .size:           2
        .value_kind:     hidden_grid_dims
    .group_segment_fixed_size: 8192
    .kernarg_segment_align: 8
    .kernarg_segment_size: 400
    .language:       OpenCL C
    .language_version:
      - 2
      - 0
    .max_flat_workgroup_size: 256
    .name:           _Z39paged_attention_ll4mi_QKV_mfma16_kernelIDF16_DF16_LN4vllm18Fp8KVCacheDataTypeE0EDF16_Li32ELi64ELi256ELb0ELi2EEvPKT_PKT0_S7_ifPKiS9_S9_iPKfiiiPfSC_PS2_PT2_iSB_SB_
    .private_segment_fixed_size: 0
    .sgpr_count:     54
    .sgpr_spill_count: 0
    .symbol:         _Z39paged_attention_ll4mi_QKV_mfma16_kernelIDF16_DF16_LN4vllm18Fp8KVCacheDataTypeE0EDF16_Li32ELi64ELi256ELb0ELi2EEvPKT_PKT0_S7_ifPKiS9_S9_iPKfiiiPfSC_PS2_PT2_iSB_SB_.kd
    .uniform_work_group_size: 1
    .uses_dynamic_stack: false
    .vgpr_count:     67
    .vgpr_spill_count: 0
    .wavefront_size: 64
  - .agpr_count:     0
    .args:
      - .actual_access:  read_only
        .address_space:  global
        .offset:         0
        .size:           8
        .value_kind:     global_buffer
      - .actual_access:  read_only
        .address_space:  global
        .offset:         8
        .size:           8
        .value_kind:     global_buffer
      - .actual_access:  read_only
        .address_space:  global
        .offset:         16
        .size:           8
        .value_kind:     global_buffer
      - .offset:         24
        .size:           4
        .value_kind:     by_value
      - .offset:         28
        .size:           4
        .value_kind:     by_value
      - .actual_access:  read_only
        .address_space:  global
        .offset:         32
        .size:           8
        .value_kind:     global_buffer
      - .actual_access:  read_only
        .address_space:  global
        .offset:         40
        .size:           8
        .value_kind:     global_buffer
      - .actual_access:  read_only
        .address_space:  global
        .offset:         48
        .size:           8
        .value_kind:     global_buffer
      - .offset:         56
        .size:           4
        .value_kind:     by_value
      - .actual_access:  read_only
        .address_space:  global
        .offset:         64
        .size:           8
        .value_kind:     global_buffer
      - .offset:         72
        .size:           4
        .value_kind:     by_value
      - .offset:         76
        .size:           4
        .value_kind:     by_value
      - .offset:         80
        .size:           4
        .value_kind:     by_value
      - .actual_access:  write_only
        .address_space:  global
        .offset:         88
        .size:           8
        .value_kind:     global_buffer
      - .actual_access:  write_only
        .address_space:  global
        .offset:         96
        .size:           8
        .value_kind:     global_buffer
      - .actual_access:  write_only
        .address_space:  global
        .offset:         104
        .size:           8
        .value_kind:     global_buffer
      - .actual_access:  read_only
        .address_space:  global
        .offset:         112
        .size:           8
        .value_kind:     global_buffer
      - .offset:         120
        .size:           4
        .value_kind:     by_value
      - .address_space:  global
        .offset:         128
        .size:           8
        .value_kind:     global_buffer
      - .address_space:  global
        .offset:         136
        .size:           8
        .value_kind:     global_buffer
      - .offset:         144
        .size:           4
        .value_kind:     hidden_block_count_x
      - .offset:         148
        .size:           4
        .value_kind:     hidden_block_count_y
      - .offset:         152
        .size:           4
        .value_kind:     hidden_block_count_z
      - .offset:         156
        .size:           2
        .value_kind:     hidden_group_size_x
      - .offset:         158
        .size:           2
        .value_kind:     hidden_group_size_y
      - .offset:         160
        .size:           2
        .value_kind:     hidden_group_size_z
      - .offset:         162
        .size:           2
        .value_kind:     hidden_remainder_x
      - .offset:         164
        .size:           2
        .value_kind:     hidden_remainder_y
      - .offset:         166
        .size:           2
        .value_kind:     hidden_remainder_z
      - .offset:         184
        .size:           8
        .value_kind:     hidden_global_offset_x
      - .offset:         192
        .size:           8
        .value_kind:     hidden_global_offset_y
      - .offset:         200
        .size:           8
        .value_kind:     hidden_global_offset_z
      - .offset:         208
        .size:           2
        .value_kind:     hidden_grid_dims
    .group_segment_fixed_size: 8192
    .kernarg_segment_align: 8
    .kernarg_segment_size: 400
    .language:       OpenCL C
    .language_version:
      - 2
      - 0
    .max_flat_workgroup_size: 256
    .name:           _Z39paged_attention_ll4mi_QKV_mfma16_kernelIDF16_DF16_LN4vllm18Fp8KVCacheDataTypeE0EDF16_Li32ELi64ELi256ELb0ELi3EEvPKT_PKT0_S7_ifPKiS9_S9_iPKfiiiPfSC_PS2_PT2_iSB_SB_
    .private_segment_fixed_size: 0
    .sgpr_count:     54
    .sgpr_spill_count: 0
    .symbol:         _Z39paged_attention_ll4mi_QKV_mfma16_kernelIDF16_DF16_LN4vllm18Fp8KVCacheDataTypeE0EDF16_Li32ELi64ELi256ELb0ELi3EEvPKT_PKT0_S7_ifPKiS9_S9_iPKfiiiPfSC_PS2_PT2_iSB_SB_.kd
    .uniform_work_group_size: 1
    .uses_dynamic_stack: false
    .vgpr_count:     68
    .vgpr_spill_count: 0
    .wavefront_size: 64
  - .agpr_count:     0
    .args:
      - .actual_access:  read_only
        .address_space:  global
        .offset:         0
        .size:           8
        .value_kind:     global_buffer
      - .actual_access:  read_only
        .address_space:  global
        .offset:         8
        .size:           8
        .value_kind:     global_buffer
      - .actual_access:  read_only
        .address_space:  global
        .offset:         16
        .size:           8
        .value_kind:     global_buffer
      - .offset:         24
        .size:           4
        .value_kind:     by_value
      - .offset:         28
        .size:           4
        .value_kind:     by_value
      - .actual_access:  read_only
        .address_space:  global
        .offset:         32
        .size:           8
        .value_kind:     global_buffer
      - .actual_access:  read_only
        .address_space:  global
        .offset:         40
        .size:           8
        .value_kind:     global_buffer
      - .actual_access:  read_only
        .address_space:  global
        .offset:         48
        .size:           8
        .value_kind:     global_buffer
      - .offset:         56
        .size:           4
        .value_kind:     by_value
      - .actual_access:  read_only
        .address_space:  global
        .offset:         64
        .size:           8
        .value_kind:     global_buffer
      - .offset:         72
        .size:           4
        .value_kind:     by_value
      - .offset:         76
        .size:           4
        .value_kind:     by_value
      - .offset:         80
        .size:           4
        .value_kind:     by_value
      - .actual_access:  write_only
        .address_space:  global
        .offset:         88
        .size:           8
        .value_kind:     global_buffer
      - .actual_access:  write_only
        .address_space:  global
        .offset:         96
        .size:           8
        .value_kind:     global_buffer
      - .actual_access:  write_only
        .address_space:  global
        .offset:         104
        .size:           8
        .value_kind:     global_buffer
      - .actual_access:  read_only
        .address_space:  global
        .offset:         112
        .size:           8
        .value_kind:     global_buffer
      - .offset:         120
        .size:           4
        .value_kind:     by_value
      - .address_space:  global
        .offset:         128
        .size:           8
        .value_kind:     global_buffer
      - .address_space:  global
        .offset:         136
        .size:           8
        .value_kind:     global_buffer
      - .offset:         144
        .size:           4
        .value_kind:     hidden_block_count_x
      - .offset:         148
        .size:           4
        .value_kind:     hidden_block_count_y
      - .offset:         152
        .size:           4
        .value_kind:     hidden_block_count_z
      - .offset:         156
        .size:           2
        .value_kind:     hidden_group_size_x
      - .offset:         158
        .size:           2
        .value_kind:     hidden_group_size_y
      - .offset:         160
        .size:           2
        .value_kind:     hidden_group_size_z
      - .offset:         162
        .size:           2
        .value_kind:     hidden_remainder_x
      - .offset:         164
        .size:           2
        .value_kind:     hidden_remainder_y
      - .offset:         166
        .size:           2
        .value_kind:     hidden_remainder_z
      - .offset:         184
        .size:           8
        .value_kind:     hidden_global_offset_x
      - .offset:         192
        .size:           8
        .value_kind:     hidden_global_offset_y
      - .offset:         200
        .size:           8
        .value_kind:     hidden_global_offset_z
      - .offset:         208
        .size:           2
        .value_kind:     hidden_grid_dims
    .group_segment_fixed_size: 8192
    .kernarg_segment_align: 8
    .kernarg_segment_size: 400
    .language:       OpenCL C
    .language_version:
      - 2
      - 0
    .max_flat_workgroup_size: 256
    .name:           _Z39paged_attention_ll4mi_QKV_mfma16_kernelIDF16_DF16_LN4vllm18Fp8KVCacheDataTypeE0EDF16_Li32ELi64ELi256ELb0ELi4EEvPKT_PKT0_S7_ifPKiS9_S9_iPKfiiiPfSC_PS2_PT2_iSB_SB_
    .private_segment_fixed_size: 0
    .sgpr_count:     52
    .sgpr_spill_count: 0
    .symbol:         _Z39paged_attention_ll4mi_QKV_mfma16_kernelIDF16_DF16_LN4vllm18Fp8KVCacheDataTypeE0EDF16_Li32ELi64ELi256ELb0ELi4EEvPKT_PKT0_S7_ifPKiS9_S9_iPKfiiiPfSC_PS2_PT2_iSB_SB_.kd
    .uniform_work_group_size: 1
    .uses_dynamic_stack: false
    .vgpr_count:     69
    .vgpr_spill_count: 0
    .wavefront_size: 64
  - .agpr_count:     8
    .args:
      - .actual_access:  read_only
        .address_space:  global
        .offset:         0
        .size:           8
        .value_kind:     global_buffer
      - .actual_access:  read_only
        .address_space:  global
        .offset:         8
        .size:           8
        .value_kind:     global_buffer
      - .actual_access:  read_only
        .address_space:  global
        .offset:         16
        .size:           8
        .value_kind:     global_buffer
      - .offset:         24
        .size:           4
        .value_kind:     by_value
      - .offset:         28
        .size:           4
        .value_kind:     by_value
      - .actual_access:  read_only
        .address_space:  global
        .offset:         32
        .size:           8
        .value_kind:     global_buffer
      - .actual_access:  read_only
        .address_space:  global
        .offset:         40
        .size:           8
        .value_kind:     global_buffer
      - .actual_access:  read_only
        .address_space:  global
        .offset:         48
        .size:           8
        .value_kind:     global_buffer
      - .offset:         56
        .size:           4
        .value_kind:     by_value
      - .actual_access:  read_only
        .address_space:  global
        .offset:         64
        .size:           8
        .value_kind:     global_buffer
      - .offset:         72
        .size:           4
        .value_kind:     by_value
      - .offset:         76
        .size:           4
        .value_kind:     by_value
      - .offset:         80
        .size:           4
        .value_kind:     by_value
      - .actual_access:  write_only
        .address_space:  global
        .offset:         88
        .size:           8
        .value_kind:     global_buffer
      - .actual_access:  write_only
        .address_space:  global
        .offset:         96
        .size:           8
        .value_kind:     global_buffer
      - .actual_access:  write_only
        .address_space:  global
        .offset:         104
        .size:           8
        .value_kind:     global_buffer
      - .actual_access:  read_only
        .address_space:  global
        .offset:         112
        .size:           8
        .value_kind:     global_buffer
      - .offset:         120
        .size:           4
        .value_kind:     by_value
      - .address_space:  global
        .offset:         128
        .size:           8
        .value_kind:     global_buffer
      - .address_space:  global
        .offset:         136
        .size:           8
        .value_kind:     global_buffer
      - .offset:         144
        .size:           4
        .value_kind:     hidden_block_count_x
      - .offset:         148
        .size:           4
        .value_kind:     hidden_block_count_y
      - .offset:         152
        .size:           4
        .value_kind:     hidden_block_count_z
      - .offset:         156
        .size:           2
        .value_kind:     hidden_group_size_x
      - .offset:         158
        .size:           2
        .value_kind:     hidden_group_size_y
      - .offset:         160
        .size:           2
        .value_kind:     hidden_group_size_z
      - .offset:         162
        .size:           2
        .value_kind:     hidden_remainder_x
      - .offset:         164
        .size:           2
        .value_kind:     hidden_remainder_y
      - .offset:         166
        .size:           2
        .value_kind:     hidden_remainder_z
      - .offset:         184
        .size:           8
        .value_kind:     hidden_global_offset_x
      - .offset:         192
        .size:           8
        .value_kind:     hidden_global_offset_y
      - .offset:         200
        .size:           8
        .value_kind:     hidden_global_offset_z
      - .offset:         208
        .size:           2
        .value_kind:     hidden_grid_dims
    .group_segment_fixed_size: 5280
    .kernarg_segment_align: 8
    .kernarg_segment_size: 400
    .language:       OpenCL C
    .language_version:
      - 2
      - 0
    .max_flat_workgroup_size: 256
    .name:           _Z38paged_attention_ll4mi_QKV_mfma4_kernelIDF16_DF16_LN4vllm18Fp8KVCacheDataTypeE0EhLi16ELi128ELi256ELb1ELi1EEvPKT_PKT0_S7_ifPKiS9_S9_iPKfiiiPfSC_PS2_PT2_iSB_SB_
    .private_segment_fixed_size: 0
    .sgpr_count:     44
    .sgpr_spill_count: 0
    .symbol:         _Z38paged_attention_ll4mi_QKV_mfma4_kernelIDF16_DF16_LN4vllm18Fp8KVCacheDataTypeE0EhLi16ELi128ELi256ELb1ELi1EEvPKT_PKT0_S7_ifPKiS9_S9_iPKfiiiPfSC_PS2_PT2_iSB_SB_.kd
    .uniform_work_group_size: 1
    .uses_dynamic_stack: false
    .vgpr_count:     108
    .vgpr_spill_count: 0
    .wavefront_size: 64
  - .agpr_count:     8
    .args:
      - .actual_access:  read_only
        .address_space:  global
        .offset:         0
        .size:           8
        .value_kind:     global_buffer
      - .actual_access:  read_only
        .address_space:  global
        .offset:         8
        .size:           8
        .value_kind:     global_buffer
      - .actual_access:  read_only
        .address_space:  global
        .offset:         16
        .size:           8
        .value_kind:     global_buffer
      - .offset:         24
        .size:           4
        .value_kind:     by_value
      - .offset:         28
        .size:           4
        .value_kind:     by_value
      - .actual_access:  read_only
        .address_space:  global
        .offset:         32
        .size:           8
        .value_kind:     global_buffer
      - .actual_access:  read_only
        .address_space:  global
        .offset:         40
        .size:           8
        .value_kind:     global_buffer
      - .actual_access:  read_only
        .address_space:  global
        .offset:         48
        .size:           8
        .value_kind:     global_buffer
      - .offset:         56
        .size:           4
        .value_kind:     by_value
      - .actual_access:  read_only
        .address_space:  global
        .offset:         64
        .size:           8
        .value_kind:     global_buffer
      - .offset:         72
        .size:           4
        .value_kind:     by_value
      - .offset:         76
        .size:           4
        .value_kind:     by_value
      - .offset:         80
        .size:           4
        .value_kind:     by_value
      - .actual_access:  write_only
        .address_space:  global
        .offset:         88
        .size:           8
        .value_kind:     global_buffer
      - .actual_access:  write_only
        .address_space:  global
        .offset:         96
        .size:           8
        .value_kind:     global_buffer
      - .actual_access:  write_only
        .address_space:  global
        .offset:         104
        .size:           8
        .value_kind:     global_buffer
      - .actual_access:  read_only
        .address_space:  global
        .offset:         112
        .size:           8
        .value_kind:     global_buffer
      - .offset:         120
        .size:           4
        .value_kind:     by_value
      - .address_space:  global
        .offset:         128
        .size:           8
        .value_kind:     global_buffer
      - .address_space:  global
        .offset:         136
        .size:           8
        .value_kind:     global_buffer
      - .offset:         144
        .size:           4
        .value_kind:     hidden_block_count_x
      - .offset:         148
        .size:           4
        .value_kind:     hidden_block_count_y
      - .offset:         152
        .size:           4
        .value_kind:     hidden_block_count_z
      - .offset:         156
        .size:           2
        .value_kind:     hidden_group_size_x
      - .offset:         158
        .size:           2
        .value_kind:     hidden_group_size_y
      - .offset:         160
        .size:           2
        .value_kind:     hidden_group_size_z
      - .offset:         162
        .size:           2
        .value_kind:     hidden_remainder_x
      - .offset:         164
        .size:           2
        .value_kind:     hidden_remainder_y
      - .offset:         166
        .size:           2
        .value_kind:     hidden_remainder_z
      - .offset:         184
        .size:           8
        .value_kind:     hidden_global_offset_x
      - .offset:         192
        .size:           8
        .value_kind:     hidden_global_offset_y
      - .offset:         200
        .size:           8
        .value_kind:     hidden_global_offset_z
      - .offset:         208
        .size:           2
        .value_kind:     hidden_grid_dims
    .group_segment_fixed_size: 5280
    .kernarg_segment_align: 8
    .kernarg_segment_size: 400
    .language:       OpenCL C
    .language_version:
      - 2
      - 0
    .max_flat_workgroup_size: 256
    .name:           _Z38paged_attention_ll4mi_QKV_mfma4_kernelIDF16_DF16_LN4vllm18Fp8KVCacheDataTypeE0EhLi16ELi128ELi256ELb1ELi2EEvPKT_PKT0_S7_ifPKiS9_S9_iPKfiiiPfSC_PS2_PT2_iSB_SB_
    .private_segment_fixed_size: 0
    .sgpr_count:     46
    .sgpr_spill_count: 0
    .symbol:         _Z38paged_attention_ll4mi_QKV_mfma4_kernelIDF16_DF16_LN4vllm18Fp8KVCacheDataTypeE0EhLi16ELi128ELi256ELb1ELi2EEvPKT_PKT0_S7_ifPKiS9_S9_iPKfiiiPfSC_PS2_PT2_iSB_SB_.kd
    .uniform_work_group_size: 1
    .uses_dynamic_stack: false
    .vgpr_count:     108
    .vgpr_spill_count: 0
    .wavefront_size: 64
  - .agpr_count:     8
    .args:
      - .actual_access:  read_only
        .address_space:  global
        .offset:         0
        .size:           8
        .value_kind:     global_buffer
      - .actual_access:  read_only
        .address_space:  global
        .offset:         8
        .size:           8
        .value_kind:     global_buffer
      - .actual_access:  read_only
        .address_space:  global
        .offset:         16
        .size:           8
        .value_kind:     global_buffer
      - .offset:         24
        .size:           4
        .value_kind:     by_value
      - .offset:         28
        .size:           4
        .value_kind:     by_value
      - .actual_access:  read_only
        .address_space:  global
        .offset:         32
        .size:           8
        .value_kind:     global_buffer
      - .actual_access:  read_only
        .address_space:  global
        .offset:         40
        .size:           8
        .value_kind:     global_buffer
      - .actual_access:  read_only
        .address_space:  global
        .offset:         48
        .size:           8
        .value_kind:     global_buffer
      - .offset:         56
        .size:           4
        .value_kind:     by_value
      - .actual_access:  read_only
        .address_space:  global
        .offset:         64
        .size:           8
        .value_kind:     global_buffer
      - .offset:         72
        .size:           4
        .value_kind:     by_value
      - .offset:         76
        .size:           4
        .value_kind:     by_value
      - .offset:         80
        .size:           4
        .value_kind:     by_value
      - .actual_access:  write_only
        .address_space:  global
        .offset:         88
        .size:           8
        .value_kind:     global_buffer
      - .actual_access:  write_only
        .address_space:  global
        .offset:         96
        .size:           8
        .value_kind:     global_buffer
      - .actual_access:  write_only
        .address_space:  global
        .offset:         104
        .size:           8
        .value_kind:     global_buffer
      - .actual_access:  read_only
        .address_space:  global
        .offset:         112
        .size:           8
        .value_kind:     global_buffer
      - .offset:         120
        .size:           4
        .value_kind:     by_value
      - .address_space:  global
        .offset:         128
        .size:           8
        .value_kind:     global_buffer
      - .address_space:  global
        .offset:         136
        .size:           8
        .value_kind:     global_buffer
      - .offset:         144
        .size:           4
        .value_kind:     hidden_block_count_x
      - .offset:         148
        .size:           4
        .value_kind:     hidden_block_count_y
      - .offset:         152
        .size:           4
        .value_kind:     hidden_block_count_z
      - .offset:         156
        .size:           2
        .value_kind:     hidden_group_size_x
      - .offset:         158
        .size:           2
        .value_kind:     hidden_group_size_y
      - .offset:         160
        .size:           2
        .value_kind:     hidden_group_size_z
      - .offset:         162
        .size:           2
        .value_kind:     hidden_remainder_x
      - .offset:         164
        .size:           2
        .value_kind:     hidden_remainder_y
      - .offset:         166
        .size:           2
        .value_kind:     hidden_remainder_z
      - .offset:         184
        .size:           8
        .value_kind:     hidden_global_offset_x
      - .offset:         192
        .size:           8
        .value_kind:     hidden_global_offset_y
      - .offset:         200
        .size:           8
        .value_kind:     hidden_global_offset_z
      - .offset:         208
        .size:           2
        .value_kind:     hidden_grid_dims
    .group_segment_fixed_size: 5280
    .kernarg_segment_align: 8
    .kernarg_segment_size: 400
    .language:       OpenCL C
    .language_version:
      - 2
      - 0
    .max_flat_workgroup_size: 256
    .name:           _Z38paged_attention_ll4mi_QKV_mfma4_kernelIDF16_DF16_LN4vllm18Fp8KVCacheDataTypeE0EhLi16ELi128ELi256ELb1ELi3EEvPKT_PKT0_S7_ifPKiS9_S9_iPKfiiiPfSC_PS2_PT2_iSB_SB_
    .private_segment_fixed_size: 0
    .sgpr_count:     46
    .sgpr_spill_count: 0
    .symbol:         _Z38paged_attention_ll4mi_QKV_mfma4_kernelIDF16_DF16_LN4vllm18Fp8KVCacheDataTypeE0EhLi16ELi128ELi256ELb1ELi3EEvPKT_PKT0_S7_ifPKiS9_S9_iPKfiiiPfSC_PS2_PT2_iSB_SB_.kd
    .uniform_work_group_size: 1
    .uses_dynamic_stack: false
    .vgpr_count:     104
    .vgpr_spill_count: 0
    .wavefront_size: 64
  - .agpr_count:     8
    .args:
      - .actual_access:  read_only
        .address_space:  global
        .offset:         0
        .size:           8
        .value_kind:     global_buffer
      - .actual_access:  read_only
        .address_space:  global
        .offset:         8
        .size:           8
        .value_kind:     global_buffer
      - .actual_access:  read_only
        .address_space:  global
        .offset:         16
        .size:           8
        .value_kind:     global_buffer
      - .offset:         24
        .size:           4
        .value_kind:     by_value
      - .offset:         28
        .size:           4
        .value_kind:     by_value
      - .actual_access:  read_only
        .address_space:  global
        .offset:         32
        .size:           8
        .value_kind:     global_buffer
      - .actual_access:  read_only
        .address_space:  global
        .offset:         40
        .size:           8
        .value_kind:     global_buffer
      - .actual_access:  read_only
        .address_space:  global
        .offset:         48
        .size:           8
        .value_kind:     global_buffer
      - .offset:         56
        .size:           4
        .value_kind:     by_value
      - .actual_access:  read_only
        .address_space:  global
        .offset:         64
        .size:           8
        .value_kind:     global_buffer
      - .offset:         72
        .size:           4
        .value_kind:     by_value
      - .offset:         76
        .size:           4
        .value_kind:     by_value
      - .offset:         80
        .size:           4
        .value_kind:     by_value
      - .actual_access:  write_only
        .address_space:  global
        .offset:         88
        .size:           8
        .value_kind:     global_buffer
      - .actual_access:  write_only
        .address_space:  global
        .offset:         96
        .size:           8
        .value_kind:     global_buffer
      - .actual_access:  write_only
        .address_space:  global
        .offset:         104
        .size:           8
        .value_kind:     global_buffer
      - .actual_access:  read_only
        .address_space:  global
        .offset:         112
        .size:           8
        .value_kind:     global_buffer
      - .offset:         120
        .size:           4
        .value_kind:     by_value
      - .address_space:  global
        .offset:         128
        .size:           8
        .value_kind:     global_buffer
      - .address_space:  global
        .offset:         136
        .size:           8
        .value_kind:     global_buffer
      - .offset:         144
        .size:           4
        .value_kind:     hidden_block_count_x
      - .offset:         148
        .size:           4
        .value_kind:     hidden_block_count_y
      - .offset:         152
        .size:           4
        .value_kind:     hidden_block_count_z
      - .offset:         156
        .size:           2
        .value_kind:     hidden_group_size_x
      - .offset:         158
        .size:           2
        .value_kind:     hidden_group_size_y
      - .offset:         160
        .size:           2
        .value_kind:     hidden_group_size_z
      - .offset:         162
        .size:           2
        .value_kind:     hidden_remainder_x
      - .offset:         164
        .size:           2
        .value_kind:     hidden_remainder_y
      - .offset:         166
        .size:           2
        .value_kind:     hidden_remainder_z
      - .offset:         184
        .size:           8
        .value_kind:     hidden_global_offset_x
      - .offset:         192
        .size:           8
        .value_kind:     hidden_global_offset_y
      - .offset:         200
        .size:           8
        .value_kind:     hidden_global_offset_z
      - .offset:         208
        .size:           2
        .value_kind:     hidden_grid_dims
    .group_segment_fixed_size: 5280
    .kernarg_segment_align: 8
    .kernarg_segment_size: 400
    .language:       OpenCL C
    .language_version:
      - 2
      - 0
    .max_flat_workgroup_size: 256
    .name:           _Z38paged_attention_ll4mi_QKV_mfma4_kernelIDF16_DF16_LN4vllm18Fp8KVCacheDataTypeE0EhLi16ELi128ELi256ELb1ELi4EEvPKT_PKT0_S7_ifPKiS9_S9_iPKfiiiPfSC_PS2_PT2_iSB_SB_
    .private_segment_fixed_size: 0
    .sgpr_count:     47
    .sgpr_spill_count: 0
    .symbol:         _Z38paged_attention_ll4mi_QKV_mfma4_kernelIDF16_DF16_LN4vllm18Fp8KVCacheDataTypeE0EhLi16ELi128ELi256ELb1ELi4EEvPKT_PKT0_S7_ifPKiS9_S9_iPKfiiiPfSC_PS2_PT2_iSB_SB_.kd
    .uniform_work_group_size: 1
    .uses_dynamic_stack: false
    .vgpr_count:     112
    .vgpr_spill_count: 0
    .wavefront_size: 64
  - .agpr_count:     0
    .args:
      - .actual_access:  read_only
        .address_space:  global
        .offset:         0
        .size:           8
        .value_kind:     global_buffer
      - .actual_access:  read_only
        .address_space:  global
        .offset:         8
        .size:           8
        .value_kind:     global_buffer
      - .actual_access:  read_only
        .address_space:  global
        .offset:         16
        .size:           8
        .value_kind:     global_buffer
      - .offset:         24
        .size:           4
        .value_kind:     by_value
      - .offset:         28
        .size:           4
        .value_kind:     by_value
      - .actual_access:  read_only
        .address_space:  global
        .offset:         32
        .size:           8
        .value_kind:     global_buffer
      - .actual_access:  read_only
        .address_space:  global
        .offset:         40
        .size:           8
        .value_kind:     global_buffer
      - .actual_access:  read_only
        .address_space:  global
        .offset:         48
        .size:           8
        .value_kind:     global_buffer
      - .offset:         56
        .size:           4
        .value_kind:     by_value
      - .actual_access:  read_only
        .address_space:  global
        .offset:         64
        .size:           8
        .value_kind:     global_buffer
      - .offset:         72
        .size:           4
        .value_kind:     by_value
      - .offset:         76
        .size:           4
        .value_kind:     by_value
      - .offset:         80
        .size:           4
        .value_kind:     by_value
      - .actual_access:  write_only
        .address_space:  global
        .offset:         88
        .size:           8
        .value_kind:     global_buffer
      - .actual_access:  write_only
        .address_space:  global
        .offset:         96
        .size:           8
        .value_kind:     global_buffer
      - .actual_access:  write_only
        .address_space:  global
        .offset:         104
        .size:           8
        .value_kind:     global_buffer
      - .actual_access:  read_only
        .address_space:  global
        .offset:         112
        .size:           8
        .value_kind:     global_buffer
      - .offset:         120
        .size:           4
        .value_kind:     by_value
      - .address_space:  global
        .offset:         128
        .size:           8
        .value_kind:     global_buffer
      - .address_space:  global
        .offset:         136
        .size:           8
        .value_kind:     global_buffer
      - .offset:         144
        .size:           4
        .value_kind:     hidden_block_count_x
      - .offset:         148
        .size:           4
        .value_kind:     hidden_block_count_y
      - .offset:         152
        .size:           4
        .value_kind:     hidden_block_count_z
      - .offset:         156
        .size:           2
        .value_kind:     hidden_group_size_x
      - .offset:         158
        .size:           2
        .value_kind:     hidden_group_size_y
      - .offset:         160
        .size:           2
        .value_kind:     hidden_group_size_z
      - .offset:         162
        .size:           2
        .value_kind:     hidden_remainder_x
      - .offset:         164
        .size:           2
        .value_kind:     hidden_remainder_y
      - .offset:         166
        .size:           2
        .value_kind:     hidden_remainder_z
      - .offset:         184
        .size:           8
        .value_kind:     hidden_global_offset_x
      - .offset:         192
        .size:           8
        .value_kind:     hidden_global_offset_y
      - .offset:         200
        .size:           8
        .value_kind:     hidden_global_offset_z
      - .offset:         208
        .size:           2
        .value_kind:     hidden_grid_dims
    .group_segment_fixed_size: 8192
    .kernarg_segment_align: 8
    .kernarg_segment_size: 400
    .language:       OpenCL C
    .language_version:
      - 2
      - 0
    .max_flat_workgroup_size: 256
    .name:           _Z39paged_attention_ll4mi_QKV_mfma16_kernelIDF16_DF16_LN4vllm18Fp8KVCacheDataTypeE0EhLi16ELi128ELi256ELb1ELi5EEvPKT_PKT0_S7_ifPKiS9_S9_iPKfiiiPfSC_PS2_PT2_iSB_SB_
    .private_segment_fixed_size: 0
    .sgpr_count:     48
    .sgpr_spill_count: 0
    .symbol:         _Z39paged_attention_ll4mi_QKV_mfma16_kernelIDF16_DF16_LN4vllm18Fp8KVCacheDataTypeE0EhLi16ELi128ELi256ELb1ELi5EEvPKT_PKT0_S7_ifPKiS9_S9_iPKfiiiPfSC_PS2_PT2_iSB_SB_.kd
    .uniform_work_group_size: 1
    .uses_dynamic_stack: false
    .vgpr_count:     96
    .vgpr_spill_count: 0
    .wavefront_size: 64
  - .agpr_count:     0
    .args:
      - .actual_access:  read_only
        .address_space:  global
        .offset:         0
        .size:           8
        .value_kind:     global_buffer
      - .actual_access:  read_only
        .address_space:  global
        .offset:         8
        .size:           8
        .value_kind:     global_buffer
      - .actual_access:  read_only
        .address_space:  global
        .offset:         16
        .size:           8
        .value_kind:     global_buffer
      - .offset:         24
        .size:           4
        .value_kind:     by_value
      - .offset:         28
        .size:           4
        .value_kind:     by_value
      - .actual_access:  read_only
        .address_space:  global
        .offset:         32
        .size:           8
        .value_kind:     global_buffer
      - .actual_access:  read_only
        .address_space:  global
        .offset:         40
        .size:           8
        .value_kind:     global_buffer
      - .actual_access:  read_only
        .address_space:  global
        .offset:         48
        .size:           8
        .value_kind:     global_buffer
      - .offset:         56
        .size:           4
        .value_kind:     by_value
      - .actual_access:  read_only
        .address_space:  global
        .offset:         64
        .size:           8
        .value_kind:     global_buffer
      - .offset:         72
        .size:           4
        .value_kind:     by_value
      - .offset:         76
        .size:           4
        .value_kind:     by_value
      - .offset:         80
        .size:           4
        .value_kind:     by_value
      - .actual_access:  write_only
        .address_space:  global
        .offset:         88
        .size:           8
        .value_kind:     global_buffer
      - .actual_access:  write_only
        .address_space:  global
        .offset:         96
        .size:           8
        .value_kind:     global_buffer
      - .actual_access:  write_only
        .address_space:  global
        .offset:         104
        .size:           8
        .value_kind:     global_buffer
      - .actual_access:  read_only
        .address_space:  global
        .offset:         112
        .size:           8
        .value_kind:     global_buffer
      - .offset:         120
        .size:           4
        .value_kind:     by_value
      - .address_space:  global
        .offset:         128
        .size:           8
        .value_kind:     global_buffer
      - .address_space:  global
        .offset:         136
        .size:           8
        .value_kind:     global_buffer
      - .offset:         144
        .size:           4
        .value_kind:     hidden_block_count_x
      - .offset:         148
        .size:           4
        .value_kind:     hidden_block_count_y
      - .offset:         152
        .size:           4
        .value_kind:     hidden_block_count_z
      - .offset:         156
        .size:           2
        .value_kind:     hidden_group_size_x
      - .offset:         158
        .size:           2
        .value_kind:     hidden_group_size_y
      - .offset:         160
        .size:           2
        .value_kind:     hidden_group_size_z
      - .offset:         162
        .size:           2
        .value_kind:     hidden_remainder_x
      - .offset:         164
        .size:           2
        .value_kind:     hidden_remainder_y
      - .offset:         166
        .size:           2
        .value_kind:     hidden_remainder_z
      - .offset:         184
        .size:           8
        .value_kind:     hidden_global_offset_x
      - .offset:         192
        .size:           8
        .value_kind:     hidden_global_offset_y
      - .offset:         200
        .size:           8
        .value_kind:     hidden_global_offset_z
      - .offset:         208
        .size:           2
        .value_kind:     hidden_grid_dims
    .group_segment_fixed_size: 8192
    .kernarg_segment_align: 8
    .kernarg_segment_size: 400
    .language:       OpenCL C
    .language_version:
      - 2
      - 0
    .max_flat_workgroup_size: 256
    .name:           _Z39paged_attention_ll4mi_QKV_mfma16_kernelIDF16_DF16_LN4vllm18Fp8KVCacheDataTypeE0EhLi16ELi128ELi256ELb1ELi6EEvPKT_PKT0_S7_ifPKiS9_S9_iPKfiiiPfSC_PS2_PT2_iSB_SB_
    .private_segment_fixed_size: 0
    .sgpr_count:     48
    .sgpr_spill_count: 0
    .symbol:         _Z39paged_attention_ll4mi_QKV_mfma16_kernelIDF16_DF16_LN4vllm18Fp8KVCacheDataTypeE0EhLi16ELi128ELi256ELb1ELi6EEvPKT_PKT0_S7_ifPKiS9_S9_iPKfiiiPfSC_PS2_PT2_iSB_SB_.kd
    .uniform_work_group_size: 1
    .uses_dynamic_stack: false
    .vgpr_count:     96
    .vgpr_spill_count: 0
    .wavefront_size: 64
  - .agpr_count:     0
    .args:
      - .actual_access:  read_only
        .address_space:  global
        .offset:         0
        .size:           8
        .value_kind:     global_buffer
      - .actual_access:  read_only
        .address_space:  global
        .offset:         8
        .size:           8
        .value_kind:     global_buffer
      - .actual_access:  read_only
        .address_space:  global
        .offset:         16
        .size:           8
        .value_kind:     global_buffer
      - .offset:         24
        .size:           4
        .value_kind:     by_value
      - .offset:         28
        .size:           4
        .value_kind:     by_value
      - .actual_access:  read_only
        .address_space:  global
        .offset:         32
        .size:           8
        .value_kind:     global_buffer
      - .actual_access:  read_only
        .address_space:  global
        .offset:         40
        .size:           8
        .value_kind:     global_buffer
      - .actual_access:  read_only
        .address_space:  global
        .offset:         48
        .size:           8
        .value_kind:     global_buffer
      - .offset:         56
        .size:           4
        .value_kind:     by_value
      - .actual_access:  read_only
        .address_space:  global
        .offset:         64
        .size:           8
        .value_kind:     global_buffer
      - .offset:         72
        .size:           4
        .value_kind:     by_value
      - .offset:         76
        .size:           4
        .value_kind:     by_value
      - .offset:         80
        .size:           4
        .value_kind:     by_value
      - .actual_access:  write_only
        .address_space:  global
        .offset:         88
        .size:           8
        .value_kind:     global_buffer
      - .actual_access:  write_only
        .address_space:  global
        .offset:         96
        .size:           8
        .value_kind:     global_buffer
      - .actual_access:  write_only
        .address_space:  global
        .offset:         104
        .size:           8
        .value_kind:     global_buffer
      - .actual_access:  read_only
        .address_space:  global
        .offset:         112
        .size:           8
        .value_kind:     global_buffer
      - .offset:         120
        .size:           4
        .value_kind:     by_value
      - .address_space:  global
        .offset:         128
        .size:           8
        .value_kind:     global_buffer
      - .address_space:  global
        .offset:         136
        .size:           8
        .value_kind:     global_buffer
      - .offset:         144
        .size:           4
        .value_kind:     hidden_block_count_x
      - .offset:         148
        .size:           4
        .value_kind:     hidden_block_count_y
      - .offset:         152
        .size:           4
        .value_kind:     hidden_block_count_z
      - .offset:         156
        .size:           2
        .value_kind:     hidden_group_size_x
      - .offset:         158
        .size:           2
        .value_kind:     hidden_group_size_y
      - .offset:         160
        .size:           2
        .value_kind:     hidden_group_size_z
      - .offset:         162
        .size:           2
        .value_kind:     hidden_remainder_x
      - .offset:         164
        .size:           2
        .value_kind:     hidden_remainder_y
      - .offset:         166
        .size:           2
        .value_kind:     hidden_remainder_z
      - .offset:         184
        .size:           8
        .value_kind:     hidden_global_offset_x
      - .offset:         192
        .size:           8
        .value_kind:     hidden_global_offset_y
      - .offset:         200
        .size:           8
        .value_kind:     hidden_global_offset_z
      - .offset:         208
        .size:           2
        .value_kind:     hidden_grid_dims
    .group_segment_fixed_size: 8192
    .kernarg_segment_align: 8
    .kernarg_segment_size: 400
    .language:       OpenCL C
    .language_version:
      - 2
      - 0
    .max_flat_workgroup_size: 256
    .name:           _Z39paged_attention_ll4mi_QKV_mfma16_kernelIDF16_DF16_LN4vllm18Fp8KVCacheDataTypeE0EhLi16ELi128ELi256ELb1ELi7EEvPKT_PKT0_S7_ifPKiS9_S9_iPKfiiiPfSC_PS2_PT2_iSB_SB_
    .private_segment_fixed_size: 0
    .sgpr_count:     48
    .sgpr_spill_count: 0
    .symbol:         _Z39paged_attention_ll4mi_QKV_mfma16_kernelIDF16_DF16_LN4vllm18Fp8KVCacheDataTypeE0EhLi16ELi128ELi256ELb1ELi7EEvPKT_PKT0_S7_ifPKiS9_S9_iPKfiiiPfSC_PS2_PT2_iSB_SB_.kd
    .uniform_work_group_size: 1
    .uses_dynamic_stack: false
    .vgpr_count:     96
    .vgpr_spill_count: 0
    .wavefront_size: 64
  - .agpr_count:     0
    .args:
      - .actual_access:  read_only
        .address_space:  global
        .offset:         0
        .size:           8
        .value_kind:     global_buffer
      - .actual_access:  read_only
        .address_space:  global
        .offset:         8
        .size:           8
        .value_kind:     global_buffer
      - .actual_access:  read_only
        .address_space:  global
        .offset:         16
        .size:           8
        .value_kind:     global_buffer
      - .offset:         24
        .size:           4
        .value_kind:     by_value
      - .offset:         28
        .size:           4
        .value_kind:     by_value
      - .actual_access:  read_only
        .address_space:  global
        .offset:         32
        .size:           8
        .value_kind:     global_buffer
      - .actual_access:  read_only
        .address_space:  global
        .offset:         40
        .size:           8
        .value_kind:     global_buffer
      - .actual_access:  read_only
        .address_space:  global
        .offset:         48
        .size:           8
        .value_kind:     global_buffer
      - .offset:         56
        .size:           4
        .value_kind:     by_value
      - .actual_access:  read_only
        .address_space:  global
        .offset:         64
        .size:           8
        .value_kind:     global_buffer
      - .offset:         72
        .size:           4
        .value_kind:     by_value
      - .offset:         76
        .size:           4
        .value_kind:     by_value
      - .offset:         80
        .size:           4
        .value_kind:     by_value
      - .actual_access:  write_only
        .address_space:  global
        .offset:         88
        .size:           8
        .value_kind:     global_buffer
      - .actual_access:  write_only
        .address_space:  global
        .offset:         96
        .size:           8
        .value_kind:     global_buffer
      - .actual_access:  write_only
        .address_space:  global
        .offset:         104
        .size:           8
        .value_kind:     global_buffer
      - .actual_access:  read_only
        .address_space:  global
        .offset:         112
        .size:           8
        .value_kind:     global_buffer
      - .offset:         120
        .size:           4
        .value_kind:     by_value
      - .address_space:  global
        .offset:         128
        .size:           8
        .value_kind:     global_buffer
      - .address_space:  global
        .offset:         136
        .size:           8
        .value_kind:     global_buffer
      - .offset:         144
        .size:           4
        .value_kind:     hidden_block_count_x
      - .offset:         148
        .size:           4
        .value_kind:     hidden_block_count_y
      - .offset:         152
        .size:           4
        .value_kind:     hidden_block_count_z
      - .offset:         156
        .size:           2
        .value_kind:     hidden_group_size_x
      - .offset:         158
        .size:           2
        .value_kind:     hidden_group_size_y
      - .offset:         160
        .size:           2
        .value_kind:     hidden_group_size_z
      - .offset:         162
        .size:           2
        .value_kind:     hidden_remainder_x
      - .offset:         164
        .size:           2
        .value_kind:     hidden_remainder_y
      - .offset:         166
        .size:           2
        .value_kind:     hidden_remainder_z
      - .offset:         184
        .size:           8
        .value_kind:     hidden_global_offset_x
      - .offset:         192
        .size:           8
        .value_kind:     hidden_global_offset_y
      - .offset:         200
        .size:           8
        .value_kind:     hidden_global_offset_z
      - .offset:         208
        .size:           2
        .value_kind:     hidden_grid_dims
    .group_segment_fixed_size: 8192
    .kernarg_segment_align: 8
    .kernarg_segment_size: 400
    .language:       OpenCL C
    .language_version:
      - 2
      - 0
    .max_flat_workgroup_size: 256
    .name:           _Z39paged_attention_ll4mi_QKV_mfma16_kernelIDF16_DF16_LN4vllm18Fp8KVCacheDataTypeE0EhLi16ELi128ELi256ELb1ELi8EEvPKT_PKT0_S7_ifPKiS9_S9_iPKfiiiPfSC_PS2_PT2_iSB_SB_
    .private_segment_fixed_size: 0
    .sgpr_count:     47
    .sgpr_spill_count: 0
    .symbol:         _Z39paged_attention_ll4mi_QKV_mfma16_kernelIDF16_DF16_LN4vllm18Fp8KVCacheDataTypeE0EhLi16ELi128ELi256ELb1ELi8EEvPKT_PKT0_S7_ifPKiS9_S9_iPKfiiiPfSC_PS2_PT2_iSB_SB_.kd
    .uniform_work_group_size: 1
    .uses_dynamic_stack: false
    .vgpr_count:     96
    .vgpr_spill_count: 0
    .wavefront_size: 64
  - .agpr_count:     0
    .args:
      - .actual_access:  read_only
        .address_space:  global
        .offset:         0
        .size:           8
        .value_kind:     global_buffer
      - .actual_access:  read_only
        .address_space:  global
        .offset:         8
        .size:           8
        .value_kind:     global_buffer
      - .actual_access:  read_only
        .address_space:  global
        .offset:         16
        .size:           8
        .value_kind:     global_buffer
      - .offset:         24
        .size:           4
        .value_kind:     by_value
      - .offset:         28
        .size:           4
        .value_kind:     by_value
      - .actual_access:  read_only
        .address_space:  global
        .offset:         32
        .size:           8
        .value_kind:     global_buffer
      - .actual_access:  read_only
        .address_space:  global
        .offset:         40
        .size:           8
        .value_kind:     global_buffer
      - .actual_access:  read_only
        .address_space:  global
        .offset:         48
        .size:           8
        .value_kind:     global_buffer
      - .offset:         56
        .size:           4
        .value_kind:     by_value
      - .actual_access:  read_only
        .address_space:  global
        .offset:         64
        .size:           8
        .value_kind:     global_buffer
      - .offset:         72
        .size:           4
        .value_kind:     by_value
      - .offset:         76
        .size:           4
        .value_kind:     by_value
      - .offset:         80
        .size:           4
        .value_kind:     by_value
      - .actual_access:  write_only
        .address_space:  global
        .offset:         88
        .size:           8
        .value_kind:     global_buffer
      - .actual_access:  write_only
        .address_space:  global
        .offset:         96
        .size:           8
        .value_kind:     global_buffer
      - .actual_access:  write_only
        .address_space:  global
        .offset:         104
        .size:           8
        .value_kind:     global_buffer
      - .actual_access:  read_only
        .address_space:  global
        .offset:         112
        .size:           8
        .value_kind:     global_buffer
      - .offset:         120
        .size:           4
        .value_kind:     by_value
      - .address_space:  global
        .offset:         128
        .size:           8
        .value_kind:     global_buffer
      - .address_space:  global
        .offset:         136
        .size:           8
        .value_kind:     global_buffer
      - .offset:         144
        .size:           4
        .value_kind:     hidden_block_count_x
      - .offset:         148
        .size:           4
        .value_kind:     hidden_block_count_y
      - .offset:         152
        .size:           4
        .value_kind:     hidden_block_count_z
      - .offset:         156
        .size:           2
        .value_kind:     hidden_group_size_x
      - .offset:         158
        .size:           2
        .value_kind:     hidden_group_size_y
      - .offset:         160
        .size:           2
        .value_kind:     hidden_group_size_z
      - .offset:         162
        .size:           2
        .value_kind:     hidden_remainder_x
      - .offset:         164
        .size:           2
        .value_kind:     hidden_remainder_y
      - .offset:         166
        .size:           2
        .value_kind:     hidden_remainder_z
      - .offset:         184
        .size:           8
        .value_kind:     hidden_global_offset_x
      - .offset:         192
        .size:           8
        .value_kind:     hidden_global_offset_y
      - .offset:         200
        .size:           8
        .value_kind:     hidden_global_offset_z
      - .offset:         208
        .size:           2
        .value_kind:     hidden_grid_dims
    .group_segment_fixed_size: 8192
    .kernarg_segment_align: 8
    .kernarg_segment_size: 400
    .language:       OpenCL C
    .language_version:
      - 2
      - 0
    .max_flat_workgroup_size: 256
    .name:           _Z39paged_attention_ll4mi_QKV_mfma16_kernelIDF16_DF16_LN4vllm18Fp8KVCacheDataTypeE0EhLi16ELi128ELi256ELb1ELi9EEvPKT_PKT0_S7_ifPKiS9_S9_iPKfiiiPfSC_PS2_PT2_iSB_SB_
    .private_segment_fixed_size: 0
    .sgpr_count:     48
    .sgpr_spill_count: 0
    .symbol:         _Z39paged_attention_ll4mi_QKV_mfma16_kernelIDF16_DF16_LN4vllm18Fp8KVCacheDataTypeE0EhLi16ELi128ELi256ELb1ELi9EEvPKT_PKT0_S7_ifPKiS9_S9_iPKfiiiPfSC_PS2_PT2_iSB_SB_.kd
    .uniform_work_group_size: 1
    .uses_dynamic_stack: false
    .vgpr_count:     96
    .vgpr_spill_count: 0
    .wavefront_size: 64
  - .agpr_count:     0
    .args:
      - .actual_access:  read_only
        .address_space:  global
        .offset:         0
        .size:           8
        .value_kind:     global_buffer
      - .actual_access:  read_only
        .address_space:  global
        .offset:         8
        .size:           8
        .value_kind:     global_buffer
      - .actual_access:  read_only
        .address_space:  global
        .offset:         16
        .size:           8
        .value_kind:     global_buffer
      - .offset:         24
        .size:           4
        .value_kind:     by_value
      - .offset:         28
        .size:           4
        .value_kind:     by_value
      - .actual_access:  read_only
        .address_space:  global
        .offset:         32
        .size:           8
        .value_kind:     global_buffer
      - .actual_access:  read_only
        .address_space:  global
        .offset:         40
        .size:           8
        .value_kind:     global_buffer
      - .actual_access:  read_only
        .address_space:  global
        .offset:         48
        .size:           8
        .value_kind:     global_buffer
      - .offset:         56
        .size:           4
        .value_kind:     by_value
      - .actual_access:  read_only
        .address_space:  global
        .offset:         64
        .size:           8
        .value_kind:     global_buffer
      - .offset:         72
        .size:           4
        .value_kind:     by_value
      - .offset:         76
        .size:           4
        .value_kind:     by_value
      - .offset:         80
        .size:           4
        .value_kind:     by_value
      - .actual_access:  write_only
        .address_space:  global
        .offset:         88
        .size:           8
        .value_kind:     global_buffer
      - .actual_access:  write_only
        .address_space:  global
        .offset:         96
        .size:           8
        .value_kind:     global_buffer
      - .actual_access:  write_only
        .address_space:  global
        .offset:         104
        .size:           8
        .value_kind:     global_buffer
      - .actual_access:  read_only
        .address_space:  global
        .offset:         112
        .size:           8
        .value_kind:     global_buffer
      - .offset:         120
        .size:           4
        .value_kind:     by_value
      - .address_space:  global
        .offset:         128
        .size:           8
        .value_kind:     global_buffer
      - .address_space:  global
        .offset:         136
        .size:           8
        .value_kind:     global_buffer
      - .offset:         144
        .size:           4
        .value_kind:     hidden_block_count_x
      - .offset:         148
        .size:           4
        .value_kind:     hidden_block_count_y
      - .offset:         152
        .size:           4
        .value_kind:     hidden_block_count_z
      - .offset:         156
        .size:           2
        .value_kind:     hidden_group_size_x
      - .offset:         158
        .size:           2
        .value_kind:     hidden_group_size_y
      - .offset:         160
        .size:           2
        .value_kind:     hidden_group_size_z
      - .offset:         162
        .size:           2
        .value_kind:     hidden_remainder_x
      - .offset:         164
        .size:           2
        .value_kind:     hidden_remainder_y
      - .offset:         166
        .size:           2
        .value_kind:     hidden_remainder_z
      - .offset:         184
        .size:           8
        .value_kind:     hidden_global_offset_x
      - .offset:         192
        .size:           8
        .value_kind:     hidden_global_offset_y
      - .offset:         200
        .size:           8
        .value_kind:     hidden_global_offset_z
      - .offset:         208
        .size:           2
        .value_kind:     hidden_grid_dims
    .group_segment_fixed_size: 8192
    .kernarg_segment_align: 8
    .kernarg_segment_size: 400
    .language:       OpenCL C
    .language_version:
      - 2
      - 0
    .max_flat_workgroup_size: 256
    .name:           _Z39paged_attention_ll4mi_QKV_mfma16_kernelIDF16_DF16_LN4vllm18Fp8KVCacheDataTypeE0EhLi16ELi128ELi256ELb1ELi10EEvPKT_PKT0_S7_ifPKiS9_S9_iPKfiiiPfSC_PS2_PT2_iSB_SB_
    .private_segment_fixed_size: 0
    .sgpr_count:     48
    .sgpr_spill_count: 0
    .symbol:         _Z39paged_attention_ll4mi_QKV_mfma16_kernelIDF16_DF16_LN4vllm18Fp8KVCacheDataTypeE0EhLi16ELi128ELi256ELb1ELi10EEvPKT_PKT0_S7_ifPKiS9_S9_iPKfiiiPfSC_PS2_PT2_iSB_SB_.kd
    .uniform_work_group_size: 1
    .uses_dynamic_stack: false
    .vgpr_count:     96
    .vgpr_spill_count: 0
    .wavefront_size: 64
  - .agpr_count:     0
    .args:
      - .actual_access:  read_only
        .address_space:  global
        .offset:         0
        .size:           8
        .value_kind:     global_buffer
      - .actual_access:  read_only
        .address_space:  global
        .offset:         8
        .size:           8
        .value_kind:     global_buffer
      - .actual_access:  read_only
        .address_space:  global
        .offset:         16
        .size:           8
        .value_kind:     global_buffer
      - .offset:         24
        .size:           4
        .value_kind:     by_value
      - .offset:         28
        .size:           4
        .value_kind:     by_value
      - .actual_access:  read_only
        .address_space:  global
        .offset:         32
        .size:           8
        .value_kind:     global_buffer
      - .actual_access:  read_only
        .address_space:  global
        .offset:         40
        .size:           8
        .value_kind:     global_buffer
      - .actual_access:  read_only
        .address_space:  global
        .offset:         48
        .size:           8
        .value_kind:     global_buffer
      - .offset:         56
        .size:           4
        .value_kind:     by_value
      - .actual_access:  read_only
        .address_space:  global
        .offset:         64
        .size:           8
        .value_kind:     global_buffer
      - .offset:         72
        .size:           4
        .value_kind:     by_value
      - .offset:         76
        .size:           4
        .value_kind:     by_value
      - .offset:         80
        .size:           4
        .value_kind:     by_value
      - .actual_access:  write_only
        .address_space:  global
        .offset:         88
        .size:           8
        .value_kind:     global_buffer
      - .actual_access:  write_only
        .address_space:  global
        .offset:         96
        .size:           8
        .value_kind:     global_buffer
      - .actual_access:  write_only
        .address_space:  global
        .offset:         104
        .size:           8
        .value_kind:     global_buffer
      - .actual_access:  read_only
        .address_space:  global
        .offset:         112
        .size:           8
        .value_kind:     global_buffer
      - .offset:         120
        .size:           4
        .value_kind:     by_value
      - .address_space:  global
        .offset:         128
        .size:           8
        .value_kind:     global_buffer
      - .address_space:  global
        .offset:         136
        .size:           8
        .value_kind:     global_buffer
      - .offset:         144
        .size:           4
        .value_kind:     hidden_block_count_x
      - .offset:         148
        .size:           4
        .value_kind:     hidden_block_count_y
      - .offset:         152
        .size:           4
        .value_kind:     hidden_block_count_z
      - .offset:         156
        .size:           2
        .value_kind:     hidden_group_size_x
      - .offset:         158
        .size:           2
        .value_kind:     hidden_group_size_y
      - .offset:         160
        .size:           2
        .value_kind:     hidden_group_size_z
      - .offset:         162
        .size:           2
        .value_kind:     hidden_remainder_x
      - .offset:         164
        .size:           2
        .value_kind:     hidden_remainder_y
      - .offset:         166
        .size:           2
        .value_kind:     hidden_remainder_z
      - .offset:         184
        .size:           8
        .value_kind:     hidden_global_offset_x
      - .offset:         192
        .size:           8
        .value_kind:     hidden_global_offset_y
      - .offset:         200
        .size:           8
        .value_kind:     hidden_global_offset_z
      - .offset:         208
        .size:           2
        .value_kind:     hidden_grid_dims
    .group_segment_fixed_size: 8192
    .kernarg_segment_align: 8
    .kernarg_segment_size: 400
    .language:       OpenCL C
    .language_version:
      - 2
      - 0
    .max_flat_workgroup_size: 256
    .name:           _Z39paged_attention_ll4mi_QKV_mfma16_kernelIDF16_DF16_LN4vllm18Fp8KVCacheDataTypeE0EhLi16ELi128ELi256ELb1ELi11EEvPKT_PKT0_S7_ifPKiS9_S9_iPKfiiiPfSC_PS2_PT2_iSB_SB_
    .private_segment_fixed_size: 0
    .sgpr_count:     48
    .sgpr_spill_count: 0
    .symbol:         _Z39paged_attention_ll4mi_QKV_mfma16_kernelIDF16_DF16_LN4vllm18Fp8KVCacheDataTypeE0EhLi16ELi128ELi256ELb1ELi11EEvPKT_PKT0_S7_ifPKiS9_S9_iPKfiiiPfSC_PS2_PT2_iSB_SB_.kd
    .uniform_work_group_size: 1
    .uses_dynamic_stack: false
    .vgpr_count:     96
    .vgpr_spill_count: 0
    .wavefront_size: 64
  - .agpr_count:     0
    .args:
      - .actual_access:  read_only
        .address_space:  global
        .offset:         0
        .size:           8
        .value_kind:     global_buffer
      - .actual_access:  read_only
        .address_space:  global
        .offset:         8
        .size:           8
        .value_kind:     global_buffer
      - .actual_access:  read_only
        .address_space:  global
        .offset:         16
        .size:           8
        .value_kind:     global_buffer
      - .offset:         24
        .size:           4
        .value_kind:     by_value
      - .offset:         28
        .size:           4
        .value_kind:     by_value
      - .actual_access:  read_only
        .address_space:  global
        .offset:         32
        .size:           8
        .value_kind:     global_buffer
      - .actual_access:  read_only
        .address_space:  global
        .offset:         40
        .size:           8
        .value_kind:     global_buffer
      - .actual_access:  read_only
        .address_space:  global
        .offset:         48
        .size:           8
        .value_kind:     global_buffer
      - .offset:         56
        .size:           4
        .value_kind:     by_value
      - .actual_access:  read_only
        .address_space:  global
        .offset:         64
        .size:           8
        .value_kind:     global_buffer
      - .offset:         72
        .size:           4
        .value_kind:     by_value
      - .offset:         76
        .size:           4
        .value_kind:     by_value
      - .offset:         80
        .size:           4
        .value_kind:     by_value
      - .actual_access:  write_only
        .address_space:  global
        .offset:         88
        .size:           8
        .value_kind:     global_buffer
      - .actual_access:  write_only
        .address_space:  global
        .offset:         96
        .size:           8
        .value_kind:     global_buffer
      - .actual_access:  write_only
        .address_space:  global
        .offset:         104
        .size:           8
        .value_kind:     global_buffer
      - .actual_access:  read_only
        .address_space:  global
        .offset:         112
        .size:           8
        .value_kind:     global_buffer
      - .offset:         120
        .size:           4
        .value_kind:     by_value
      - .address_space:  global
        .offset:         128
        .size:           8
        .value_kind:     global_buffer
      - .address_space:  global
        .offset:         136
        .size:           8
        .value_kind:     global_buffer
      - .offset:         144
        .size:           4
        .value_kind:     hidden_block_count_x
      - .offset:         148
        .size:           4
        .value_kind:     hidden_block_count_y
      - .offset:         152
        .size:           4
        .value_kind:     hidden_block_count_z
      - .offset:         156
        .size:           2
        .value_kind:     hidden_group_size_x
      - .offset:         158
        .size:           2
        .value_kind:     hidden_group_size_y
      - .offset:         160
        .size:           2
        .value_kind:     hidden_group_size_z
      - .offset:         162
        .size:           2
        .value_kind:     hidden_remainder_x
      - .offset:         164
        .size:           2
        .value_kind:     hidden_remainder_y
      - .offset:         166
        .size:           2
        .value_kind:     hidden_remainder_z
      - .offset:         184
        .size:           8
        .value_kind:     hidden_global_offset_x
      - .offset:         192
        .size:           8
        .value_kind:     hidden_global_offset_y
      - .offset:         200
        .size:           8
        .value_kind:     hidden_global_offset_z
      - .offset:         208
        .size:           2
        .value_kind:     hidden_grid_dims
    .group_segment_fixed_size: 8192
    .kernarg_segment_align: 8
    .kernarg_segment_size: 400
    .language:       OpenCL C
    .language_version:
      - 2
      - 0
    .max_flat_workgroup_size: 256
    .name:           _Z39paged_attention_ll4mi_QKV_mfma16_kernelIDF16_DF16_LN4vllm18Fp8KVCacheDataTypeE0EhLi16ELi128ELi256ELb1ELi12EEvPKT_PKT0_S7_ifPKiS9_S9_iPKfiiiPfSC_PS2_PT2_iSB_SB_
    .private_segment_fixed_size: 0
    .sgpr_count:     48
    .sgpr_spill_count: 0
    .symbol:         _Z39paged_attention_ll4mi_QKV_mfma16_kernelIDF16_DF16_LN4vllm18Fp8KVCacheDataTypeE0EhLi16ELi128ELi256ELb1ELi12EEvPKT_PKT0_S7_ifPKiS9_S9_iPKfiiiPfSC_PS2_PT2_iSB_SB_.kd
    .uniform_work_group_size: 1
    .uses_dynamic_stack: false
    .vgpr_count:     96
    .vgpr_spill_count: 0
    .wavefront_size: 64
  - .agpr_count:     0
    .args:
      - .actual_access:  read_only
        .address_space:  global
        .offset:         0
        .size:           8
        .value_kind:     global_buffer
      - .actual_access:  read_only
        .address_space:  global
        .offset:         8
        .size:           8
        .value_kind:     global_buffer
      - .actual_access:  read_only
        .address_space:  global
        .offset:         16
        .size:           8
        .value_kind:     global_buffer
      - .offset:         24
        .size:           4
        .value_kind:     by_value
      - .offset:         28
        .size:           4
        .value_kind:     by_value
      - .actual_access:  read_only
        .address_space:  global
        .offset:         32
        .size:           8
        .value_kind:     global_buffer
      - .actual_access:  read_only
        .address_space:  global
        .offset:         40
        .size:           8
        .value_kind:     global_buffer
      - .actual_access:  read_only
        .address_space:  global
        .offset:         48
        .size:           8
        .value_kind:     global_buffer
      - .offset:         56
        .size:           4
        .value_kind:     by_value
      - .actual_access:  read_only
        .address_space:  global
        .offset:         64
        .size:           8
        .value_kind:     global_buffer
      - .offset:         72
        .size:           4
        .value_kind:     by_value
      - .offset:         76
        .size:           4
        .value_kind:     by_value
      - .offset:         80
        .size:           4
        .value_kind:     by_value
      - .actual_access:  write_only
        .address_space:  global
        .offset:         88
        .size:           8
        .value_kind:     global_buffer
      - .actual_access:  write_only
        .address_space:  global
        .offset:         96
        .size:           8
        .value_kind:     global_buffer
      - .actual_access:  write_only
        .address_space:  global
        .offset:         104
        .size:           8
        .value_kind:     global_buffer
      - .actual_access:  read_only
        .address_space:  global
        .offset:         112
        .size:           8
        .value_kind:     global_buffer
      - .offset:         120
        .size:           4
        .value_kind:     by_value
      - .address_space:  global
        .offset:         128
        .size:           8
        .value_kind:     global_buffer
      - .address_space:  global
        .offset:         136
        .size:           8
        .value_kind:     global_buffer
      - .offset:         144
        .size:           4
        .value_kind:     hidden_block_count_x
      - .offset:         148
        .size:           4
        .value_kind:     hidden_block_count_y
      - .offset:         152
        .size:           4
        .value_kind:     hidden_block_count_z
      - .offset:         156
        .size:           2
        .value_kind:     hidden_group_size_x
      - .offset:         158
        .size:           2
        .value_kind:     hidden_group_size_y
      - .offset:         160
        .size:           2
        .value_kind:     hidden_group_size_z
      - .offset:         162
        .size:           2
        .value_kind:     hidden_remainder_x
      - .offset:         164
        .size:           2
        .value_kind:     hidden_remainder_y
      - .offset:         166
        .size:           2
        .value_kind:     hidden_remainder_z
      - .offset:         184
        .size:           8
        .value_kind:     hidden_global_offset_x
      - .offset:         192
        .size:           8
        .value_kind:     hidden_global_offset_y
      - .offset:         200
        .size:           8
        .value_kind:     hidden_global_offset_z
      - .offset:         208
        .size:           2
        .value_kind:     hidden_grid_dims
    .group_segment_fixed_size: 8192
    .kernarg_segment_align: 8
    .kernarg_segment_size: 400
    .language:       OpenCL C
    .language_version:
      - 2
      - 0
    .max_flat_workgroup_size: 256
    .name:           _Z39paged_attention_ll4mi_QKV_mfma16_kernelIDF16_DF16_LN4vllm18Fp8KVCacheDataTypeE0EhLi16ELi128ELi256ELb1ELi13EEvPKT_PKT0_S7_ifPKiS9_S9_iPKfiiiPfSC_PS2_PT2_iSB_SB_
    .private_segment_fixed_size: 0
    .sgpr_count:     48
    .sgpr_spill_count: 0
    .symbol:         _Z39paged_attention_ll4mi_QKV_mfma16_kernelIDF16_DF16_LN4vllm18Fp8KVCacheDataTypeE0EhLi16ELi128ELi256ELb1ELi13EEvPKT_PKT0_S7_ifPKiS9_S9_iPKfiiiPfSC_PS2_PT2_iSB_SB_.kd
    .uniform_work_group_size: 1
    .uses_dynamic_stack: false
    .vgpr_count:     96
    .vgpr_spill_count: 0
    .wavefront_size: 64
  - .agpr_count:     0
    .args:
      - .actual_access:  read_only
        .address_space:  global
        .offset:         0
        .size:           8
        .value_kind:     global_buffer
      - .actual_access:  read_only
        .address_space:  global
        .offset:         8
        .size:           8
        .value_kind:     global_buffer
      - .actual_access:  read_only
        .address_space:  global
        .offset:         16
        .size:           8
        .value_kind:     global_buffer
      - .offset:         24
        .size:           4
        .value_kind:     by_value
      - .offset:         28
        .size:           4
        .value_kind:     by_value
      - .actual_access:  read_only
        .address_space:  global
        .offset:         32
        .size:           8
        .value_kind:     global_buffer
      - .actual_access:  read_only
        .address_space:  global
        .offset:         40
        .size:           8
        .value_kind:     global_buffer
      - .actual_access:  read_only
        .address_space:  global
        .offset:         48
        .size:           8
        .value_kind:     global_buffer
      - .offset:         56
        .size:           4
        .value_kind:     by_value
      - .actual_access:  read_only
        .address_space:  global
        .offset:         64
        .size:           8
        .value_kind:     global_buffer
      - .offset:         72
        .size:           4
        .value_kind:     by_value
      - .offset:         76
        .size:           4
        .value_kind:     by_value
      - .offset:         80
        .size:           4
        .value_kind:     by_value
      - .actual_access:  write_only
        .address_space:  global
        .offset:         88
        .size:           8
        .value_kind:     global_buffer
      - .actual_access:  write_only
        .address_space:  global
        .offset:         96
        .size:           8
        .value_kind:     global_buffer
      - .actual_access:  write_only
        .address_space:  global
        .offset:         104
        .size:           8
        .value_kind:     global_buffer
      - .actual_access:  read_only
        .address_space:  global
        .offset:         112
        .size:           8
        .value_kind:     global_buffer
      - .offset:         120
        .size:           4
        .value_kind:     by_value
      - .address_space:  global
        .offset:         128
        .size:           8
        .value_kind:     global_buffer
      - .address_space:  global
        .offset:         136
        .size:           8
        .value_kind:     global_buffer
      - .offset:         144
        .size:           4
        .value_kind:     hidden_block_count_x
      - .offset:         148
        .size:           4
        .value_kind:     hidden_block_count_y
      - .offset:         152
        .size:           4
        .value_kind:     hidden_block_count_z
      - .offset:         156
        .size:           2
        .value_kind:     hidden_group_size_x
      - .offset:         158
        .size:           2
        .value_kind:     hidden_group_size_y
      - .offset:         160
        .size:           2
        .value_kind:     hidden_group_size_z
      - .offset:         162
        .size:           2
        .value_kind:     hidden_remainder_x
      - .offset:         164
        .size:           2
        .value_kind:     hidden_remainder_y
      - .offset:         166
        .size:           2
        .value_kind:     hidden_remainder_z
      - .offset:         184
        .size:           8
        .value_kind:     hidden_global_offset_x
      - .offset:         192
        .size:           8
        .value_kind:     hidden_global_offset_y
      - .offset:         200
        .size:           8
        .value_kind:     hidden_global_offset_z
      - .offset:         208
        .size:           2
        .value_kind:     hidden_grid_dims
    .group_segment_fixed_size: 8192
    .kernarg_segment_align: 8
    .kernarg_segment_size: 400
    .language:       OpenCL C
    .language_version:
      - 2
      - 0
    .max_flat_workgroup_size: 256
    .name:           _Z39paged_attention_ll4mi_QKV_mfma16_kernelIDF16_DF16_LN4vllm18Fp8KVCacheDataTypeE0EhLi16ELi128ELi256ELb1ELi14EEvPKT_PKT0_S7_ifPKiS9_S9_iPKfiiiPfSC_PS2_PT2_iSB_SB_
    .private_segment_fixed_size: 0
    .sgpr_count:     48
    .sgpr_spill_count: 0
    .symbol:         _Z39paged_attention_ll4mi_QKV_mfma16_kernelIDF16_DF16_LN4vllm18Fp8KVCacheDataTypeE0EhLi16ELi128ELi256ELb1ELi14EEvPKT_PKT0_S7_ifPKiS9_S9_iPKfiiiPfSC_PS2_PT2_iSB_SB_.kd
    .uniform_work_group_size: 1
    .uses_dynamic_stack: false
    .vgpr_count:     96
    .vgpr_spill_count: 0
    .wavefront_size: 64
  - .agpr_count:     0
    .args:
      - .actual_access:  read_only
        .address_space:  global
        .offset:         0
        .size:           8
        .value_kind:     global_buffer
      - .actual_access:  read_only
        .address_space:  global
        .offset:         8
        .size:           8
        .value_kind:     global_buffer
      - .actual_access:  read_only
        .address_space:  global
        .offset:         16
        .size:           8
        .value_kind:     global_buffer
      - .offset:         24
        .size:           4
        .value_kind:     by_value
      - .offset:         28
        .size:           4
        .value_kind:     by_value
      - .actual_access:  read_only
        .address_space:  global
        .offset:         32
        .size:           8
        .value_kind:     global_buffer
      - .actual_access:  read_only
        .address_space:  global
        .offset:         40
        .size:           8
        .value_kind:     global_buffer
      - .actual_access:  read_only
        .address_space:  global
        .offset:         48
        .size:           8
        .value_kind:     global_buffer
      - .offset:         56
        .size:           4
        .value_kind:     by_value
      - .actual_access:  read_only
        .address_space:  global
        .offset:         64
        .size:           8
        .value_kind:     global_buffer
      - .offset:         72
        .size:           4
        .value_kind:     by_value
      - .offset:         76
        .size:           4
        .value_kind:     by_value
      - .offset:         80
        .size:           4
        .value_kind:     by_value
      - .actual_access:  write_only
        .address_space:  global
        .offset:         88
        .size:           8
        .value_kind:     global_buffer
      - .actual_access:  write_only
        .address_space:  global
        .offset:         96
        .size:           8
        .value_kind:     global_buffer
      - .actual_access:  write_only
        .address_space:  global
        .offset:         104
        .size:           8
        .value_kind:     global_buffer
      - .actual_access:  read_only
        .address_space:  global
        .offset:         112
        .size:           8
        .value_kind:     global_buffer
      - .offset:         120
        .size:           4
        .value_kind:     by_value
      - .address_space:  global
        .offset:         128
        .size:           8
        .value_kind:     global_buffer
      - .address_space:  global
        .offset:         136
        .size:           8
        .value_kind:     global_buffer
      - .offset:         144
        .size:           4
        .value_kind:     hidden_block_count_x
      - .offset:         148
        .size:           4
        .value_kind:     hidden_block_count_y
      - .offset:         152
        .size:           4
        .value_kind:     hidden_block_count_z
      - .offset:         156
        .size:           2
        .value_kind:     hidden_group_size_x
      - .offset:         158
        .size:           2
        .value_kind:     hidden_group_size_y
      - .offset:         160
        .size:           2
        .value_kind:     hidden_group_size_z
      - .offset:         162
        .size:           2
        .value_kind:     hidden_remainder_x
      - .offset:         164
        .size:           2
        .value_kind:     hidden_remainder_y
      - .offset:         166
        .size:           2
        .value_kind:     hidden_remainder_z
      - .offset:         184
        .size:           8
        .value_kind:     hidden_global_offset_x
      - .offset:         192
        .size:           8
        .value_kind:     hidden_global_offset_y
      - .offset:         200
        .size:           8
        .value_kind:     hidden_global_offset_z
      - .offset:         208
        .size:           2
        .value_kind:     hidden_grid_dims
    .group_segment_fixed_size: 8192
    .kernarg_segment_align: 8
    .kernarg_segment_size: 400
    .language:       OpenCL C
    .language_version:
      - 2
      - 0
    .max_flat_workgroup_size: 256
    .name:           _Z39paged_attention_ll4mi_QKV_mfma16_kernelIDF16_DF16_LN4vllm18Fp8KVCacheDataTypeE0EhLi16ELi128ELi256ELb1ELi15EEvPKT_PKT0_S7_ifPKiS9_S9_iPKfiiiPfSC_PS2_PT2_iSB_SB_
    .private_segment_fixed_size: 0
    .sgpr_count:     48
    .sgpr_spill_count: 0
    .symbol:         _Z39paged_attention_ll4mi_QKV_mfma16_kernelIDF16_DF16_LN4vllm18Fp8KVCacheDataTypeE0EhLi16ELi128ELi256ELb1ELi15EEvPKT_PKT0_S7_ifPKiS9_S9_iPKfiiiPfSC_PS2_PT2_iSB_SB_.kd
    .uniform_work_group_size: 1
    .uses_dynamic_stack: false
    .vgpr_count:     96
    .vgpr_spill_count: 0
    .wavefront_size: 64
  - .agpr_count:     0
    .args:
      - .actual_access:  read_only
        .address_space:  global
        .offset:         0
        .size:           8
        .value_kind:     global_buffer
      - .actual_access:  read_only
        .address_space:  global
        .offset:         8
        .size:           8
        .value_kind:     global_buffer
      - .actual_access:  read_only
        .address_space:  global
        .offset:         16
        .size:           8
        .value_kind:     global_buffer
      - .offset:         24
        .size:           4
        .value_kind:     by_value
      - .offset:         28
        .size:           4
        .value_kind:     by_value
      - .actual_access:  read_only
        .address_space:  global
        .offset:         32
        .size:           8
        .value_kind:     global_buffer
      - .actual_access:  read_only
        .address_space:  global
        .offset:         40
        .size:           8
        .value_kind:     global_buffer
      - .actual_access:  read_only
        .address_space:  global
        .offset:         48
        .size:           8
        .value_kind:     global_buffer
      - .offset:         56
        .size:           4
        .value_kind:     by_value
      - .actual_access:  read_only
        .address_space:  global
        .offset:         64
        .size:           8
        .value_kind:     global_buffer
      - .offset:         72
        .size:           4
        .value_kind:     by_value
      - .offset:         76
        .size:           4
        .value_kind:     by_value
      - .offset:         80
        .size:           4
        .value_kind:     by_value
      - .actual_access:  write_only
        .address_space:  global
        .offset:         88
        .size:           8
        .value_kind:     global_buffer
      - .actual_access:  write_only
        .address_space:  global
        .offset:         96
        .size:           8
        .value_kind:     global_buffer
      - .actual_access:  write_only
        .address_space:  global
        .offset:         104
        .size:           8
        .value_kind:     global_buffer
      - .actual_access:  read_only
        .address_space:  global
        .offset:         112
        .size:           8
        .value_kind:     global_buffer
      - .offset:         120
        .size:           4
        .value_kind:     by_value
      - .address_space:  global
        .offset:         128
        .size:           8
        .value_kind:     global_buffer
      - .address_space:  global
        .offset:         136
        .size:           8
        .value_kind:     global_buffer
      - .offset:         144
        .size:           4
        .value_kind:     hidden_block_count_x
      - .offset:         148
        .size:           4
        .value_kind:     hidden_block_count_y
      - .offset:         152
        .size:           4
        .value_kind:     hidden_block_count_z
      - .offset:         156
        .size:           2
        .value_kind:     hidden_group_size_x
      - .offset:         158
        .size:           2
        .value_kind:     hidden_group_size_y
      - .offset:         160
        .size:           2
        .value_kind:     hidden_group_size_z
      - .offset:         162
        .size:           2
        .value_kind:     hidden_remainder_x
      - .offset:         164
        .size:           2
        .value_kind:     hidden_remainder_y
      - .offset:         166
        .size:           2
        .value_kind:     hidden_remainder_z
      - .offset:         184
        .size:           8
        .value_kind:     hidden_global_offset_x
      - .offset:         192
        .size:           8
        .value_kind:     hidden_global_offset_y
      - .offset:         200
        .size:           8
        .value_kind:     hidden_global_offset_z
      - .offset:         208
        .size:           2
        .value_kind:     hidden_grid_dims
    .group_segment_fixed_size: 8192
    .kernarg_segment_align: 8
    .kernarg_segment_size: 400
    .language:       OpenCL C
    .language_version:
      - 2
      - 0
    .max_flat_workgroup_size: 256
    .name:           _Z39paged_attention_ll4mi_QKV_mfma16_kernelIDF16_DF16_LN4vllm18Fp8KVCacheDataTypeE0EhLi16ELi128ELi256ELb1ELi16EEvPKT_PKT0_S7_ifPKiS9_S9_iPKfiiiPfSC_PS2_PT2_iSB_SB_
    .private_segment_fixed_size: 16
    .sgpr_count:     47
    .sgpr_spill_count: 0
    .symbol:         _Z39paged_attention_ll4mi_QKV_mfma16_kernelIDF16_DF16_LN4vllm18Fp8KVCacheDataTypeE0EhLi16ELi128ELi256ELb1ELi16EEvPKT_PKT0_S7_ifPKiS9_S9_iPKfiiiPfSC_PS2_PT2_iSB_SB_.kd
    .uniform_work_group_size: 1
    .uses_dynamic_stack: false
    .vgpr_count:     96
    .vgpr_spill_count: 5
    .wavefront_size: 64
  - .agpr_count:     0
    .args:
      - .actual_access:  write_only
        .address_space:  global
        .offset:         0
        .size:           8
        .value_kind:     global_buffer
      - .actual_access:  read_only
        .address_space:  global
        .offset:         8
        .size:           8
        .value_kind:     global_buffer
      - .actual_access:  read_only
        .address_space:  global
        .offset:         16
        .size:           8
        .value_kind:     global_buffer
      - .actual_access:  read_only
        .address_space:  global
        .offset:         24
        .size:           8
        .value_kind:     global_buffer
      - .actual_access:  read_only
        .address_space:  global
        .offset:         32
        .size:           8
        .value_kind:     global_buffer
      - .actual_access:  read_only
        .address_space:  global
        .offset:         40
        .size:           8
        .value_kind:     global_buffer
      - .offset:         48
        .size:           4
        .value_kind:     by_value
      - .actual_access:  read_only
        .address_space:  global
        .offset:         56
        .size:           8
        .value_kind:     global_buffer
      - .offset:         64
        .size:           4
        .value_kind:     hidden_block_count_x
      - .offset:         68
        .size:           4
        .value_kind:     hidden_block_count_y
      - .offset:         72
        .size:           4
        .value_kind:     hidden_block_count_z
      - .offset:         76
        .size:           2
        .value_kind:     hidden_group_size_x
      - .offset:         78
        .size:           2
        .value_kind:     hidden_group_size_y
      - .offset:         80
        .size:           2
        .value_kind:     hidden_group_size_z
      - .offset:         82
        .size:           2
        .value_kind:     hidden_remainder_x
      - .offset:         84
        .size:           2
        .value_kind:     hidden_remainder_y
      - .offset:         86
        .size:           2
        .value_kind:     hidden_remainder_z
      - .offset:         104
        .size:           8
        .value_kind:     hidden_global_offset_x
      - .offset:         112
        .size:           8
        .value_kind:     hidden_global_offset_y
      - .offset:         120
        .size:           8
        .value_kind:     hidden_global_offset_z
      - .offset:         128
        .size:           2
        .value_kind:     hidden_grid_dims
    .group_segment_fixed_size: 260
    .kernarg_segment_align: 8
    .kernarg_segment_size: 320
    .language:       OpenCL C
    .language_version:
      - 2
      - 0
    .max_flat_workgroup_size: 128
    .name:           _Z35paged_attention_ll4mi_reduce_kernelIDF16_hLi128ELi128ELi256ELi1EEvPT0_PKfS3_PKT_PKiS8_iS3_
    .private_segment_fixed_size: 0
    .sgpr_count:     36
    .sgpr_spill_count: 0
    .symbol:         _Z35paged_attention_ll4mi_reduce_kernelIDF16_hLi128ELi128ELi256ELi1EEvPT0_PKfS3_PKT_PKiS8_iS3_.kd
    .uniform_work_group_size: 1
    .uses_dynamic_stack: false
    .vgpr_count:     92
    .vgpr_spill_count: 0
    .wavefront_size: 64
  - .agpr_count:     0
    .args:
      - .actual_access:  write_only
        .address_space:  global
        .offset:         0
        .size:           8
        .value_kind:     global_buffer
      - .actual_access:  read_only
        .address_space:  global
        .offset:         8
        .size:           8
        .value_kind:     global_buffer
      - .actual_access:  read_only
        .address_space:  global
        .offset:         16
        .size:           8
        .value_kind:     global_buffer
      - .actual_access:  read_only
        .address_space:  global
        .offset:         24
        .size:           8
        .value_kind:     global_buffer
      - .actual_access:  read_only
        .address_space:  global
        .offset:         32
        .size:           8
        .value_kind:     global_buffer
      - .actual_access:  read_only
        .address_space:  global
        .offset:         40
        .size:           8
        .value_kind:     global_buffer
      - .offset:         48
        .size:           4
        .value_kind:     by_value
      - .actual_access:  read_only
        .address_space:  global
        .offset:         56
        .size:           8
        .value_kind:     global_buffer
      - .offset:         64
        .size:           4
        .value_kind:     hidden_block_count_x
      - .offset:         68
        .size:           4
        .value_kind:     hidden_block_count_y
      - .offset:         72
        .size:           4
        .value_kind:     hidden_block_count_z
      - .offset:         76
        .size:           2
        .value_kind:     hidden_group_size_x
      - .offset:         78
        .size:           2
        .value_kind:     hidden_group_size_y
      - .offset:         80
        .size:           2
        .value_kind:     hidden_group_size_z
      - .offset:         82
        .size:           2
        .value_kind:     hidden_remainder_x
      - .offset:         84
        .size:           2
        .value_kind:     hidden_remainder_y
      - .offset:         86
        .size:           2
        .value_kind:     hidden_remainder_z
      - .offset:         104
        .size:           8
        .value_kind:     hidden_global_offset_x
      - .offset:         112
        .size:           8
        .value_kind:     hidden_global_offset_y
      - .offset:         120
        .size:           8
        .value_kind:     hidden_global_offset_z
      - .offset:         128
        .size:           2
        .value_kind:     hidden_grid_dims
    .group_segment_fixed_size: 516
    .kernarg_segment_align: 8
    .kernarg_segment_size: 320
    .language:       OpenCL C
    .language_version:
      - 2
      - 0
    .max_flat_workgroup_size: 128
    .name:           _Z35paged_attention_ll4mi_reduce_kernelIDF16_hLi128ELi128ELi256ELi2EEvPT0_PKfS3_PKT_PKiS8_iS3_
    .private_segment_fixed_size: 0
    .sgpr_count:     38
    .sgpr_spill_count: 0
    .symbol:         _Z35paged_attention_ll4mi_reduce_kernelIDF16_hLi128ELi128ELi256ELi2EEvPT0_PKfS3_PKT_PKiS8_iS3_.kd
    .uniform_work_group_size: 1
    .uses_dynamic_stack: false
    .vgpr_count:     92
    .vgpr_spill_count: 0
    .wavefront_size: 64
  - .agpr_count:     0
    .args:
      - .actual_access:  write_only
        .address_space:  global
        .offset:         0
        .size:           8
        .value_kind:     global_buffer
      - .actual_access:  read_only
        .address_space:  global
        .offset:         8
        .size:           8
        .value_kind:     global_buffer
      - .actual_access:  read_only
        .address_space:  global
        .offset:         16
        .size:           8
        .value_kind:     global_buffer
      - .actual_access:  read_only
        .address_space:  global
        .offset:         24
        .size:           8
        .value_kind:     global_buffer
      - .actual_access:  read_only
        .address_space:  global
        .offset:         32
        .size:           8
        .value_kind:     global_buffer
      - .actual_access:  read_only
        .address_space:  global
        .offset:         40
        .size:           8
        .value_kind:     global_buffer
      - .offset:         48
        .size:           4
        .value_kind:     by_value
      - .actual_access:  read_only
        .address_space:  global
        .offset:         56
        .size:           8
        .value_kind:     global_buffer
      - .offset:         64
        .size:           4
        .value_kind:     hidden_block_count_x
      - .offset:         68
        .size:           4
        .value_kind:     hidden_block_count_y
      - .offset:         72
        .size:           4
        .value_kind:     hidden_block_count_z
      - .offset:         76
        .size:           2
        .value_kind:     hidden_group_size_x
      - .offset:         78
        .size:           2
        .value_kind:     hidden_group_size_y
      - .offset:         80
        .size:           2
        .value_kind:     hidden_group_size_z
      - .offset:         82
        .size:           2
        .value_kind:     hidden_remainder_x
      - .offset:         84
        .size:           2
        .value_kind:     hidden_remainder_y
      - .offset:         86
        .size:           2
        .value_kind:     hidden_remainder_z
      - .offset:         104
        .size:           8
        .value_kind:     hidden_global_offset_x
      - .offset:         112
        .size:           8
        .value_kind:     hidden_global_offset_y
      - .offset:         120
        .size:           8
        .value_kind:     hidden_global_offset_z
      - .offset:         128
        .size:           2
        .value_kind:     hidden_grid_dims
    .group_segment_fixed_size: 772
    .kernarg_segment_align: 8
    .kernarg_segment_size: 320
    .language:       OpenCL C
    .language_version:
      - 2
      - 0
    .max_flat_workgroup_size: 128
    .name:           _Z35paged_attention_ll4mi_reduce_kernelIDF16_hLi128ELi128ELi256ELi3EEvPT0_PKfS3_PKT_PKiS8_iS3_
    .private_segment_fixed_size: 0
    .sgpr_count:     42
    .sgpr_spill_count: 0
    .symbol:         _Z35paged_attention_ll4mi_reduce_kernelIDF16_hLi128ELi128ELi256ELi3EEvPT0_PKfS3_PKT_PKiS8_iS3_.kd
    .uniform_work_group_size: 1
    .uses_dynamic_stack: false
    .vgpr_count:     92
    .vgpr_spill_count: 0
    .wavefront_size: 64
  - .agpr_count:     0
    .args:
      - .actual_access:  write_only
        .address_space:  global
        .offset:         0
        .size:           8
        .value_kind:     global_buffer
      - .actual_access:  read_only
        .address_space:  global
        .offset:         8
        .size:           8
        .value_kind:     global_buffer
      - .actual_access:  read_only
        .address_space:  global
        .offset:         16
        .size:           8
        .value_kind:     global_buffer
      - .actual_access:  read_only
        .address_space:  global
        .offset:         24
        .size:           8
        .value_kind:     global_buffer
      - .actual_access:  read_only
        .address_space:  global
        .offset:         32
        .size:           8
        .value_kind:     global_buffer
      - .actual_access:  read_only
        .address_space:  global
        .offset:         40
        .size:           8
        .value_kind:     global_buffer
      - .offset:         48
        .size:           4
        .value_kind:     by_value
      - .actual_access:  read_only
        .address_space:  global
        .offset:         56
        .size:           8
        .value_kind:     global_buffer
      - .offset:         64
        .size:           4
        .value_kind:     hidden_block_count_x
      - .offset:         68
        .size:           4
        .value_kind:     hidden_block_count_y
      - .offset:         72
        .size:           4
        .value_kind:     hidden_block_count_z
      - .offset:         76
        .size:           2
        .value_kind:     hidden_group_size_x
      - .offset:         78
        .size:           2
        .value_kind:     hidden_group_size_y
      - .offset:         80
        .size:           2
        .value_kind:     hidden_group_size_z
      - .offset:         82
        .size:           2
        .value_kind:     hidden_remainder_x
      - .offset:         84
        .size:           2
        .value_kind:     hidden_remainder_y
      - .offset:         86
        .size:           2
        .value_kind:     hidden_remainder_z
      - .offset:         104
        .size:           8
        .value_kind:     hidden_global_offset_x
      - .offset:         112
        .size:           8
        .value_kind:     hidden_global_offset_y
      - .offset:         120
        .size:           8
        .value_kind:     hidden_global_offset_z
      - .offset:         128
        .size:           2
        .value_kind:     hidden_grid_dims
    .group_segment_fixed_size: 1028
    .kernarg_segment_align: 8
    .kernarg_segment_size: 320
    .language:       OpenCL C
    .language_version:
      - 2
      - 0
    .max_flat_workgroup_size: 128
    .name:           _Z35paged_attention_ll4mi_reduce_kernelIDF16_hLi128ELi128ELi256ELi4EEvPT0_PKfS3_PKT_PKiS8_iS3_
    .private_segment_fixed_size: 0
    .sgpr_count:     44
    .sgpr_spill_count: 0
    .symbol:         _Z35paged_attention_ll4mi_reduce_kernelIDF16_hLi128ELi128ELi256ELi4EEvPT0_PKfS3_PKT_PKiS8_iS3_.kd
    .uniform_work_group_size: 1
    .uses_dynamic_stack: false
    .vgpr_count:     92
    .vgpr_spill_count: 0
    .wavefront_size: 64
  - .agpr_count:     0
    .args:
      - .actual_access:  write_only
        .address_space:  global
        .offset:         0
        .size:           8
        .value_kind:     global_buffer
      - .actual_access:  read_only
        .address_space:  global
        .offset:         8
        .size:           8
        .value_kind:     global_buffer
      - .actual_access:  read_only
        .address_space:  global
        .offset:         16
        .size:           8
        .value_kind:     global_buffer
      - .actual_access:  read_only
        .address_space:  global
        .offset:         24
        .size:           8
        .value_kind:     global_buffer
      - .actual_access:  read_only
        .address_space:  global
        .offset:         32
        .size:           8
        .value_kind:     global_buffer
      - .actual_access:  read_only
        .address_space:  global
        .offset:         40
        .size:           8
        .value_kind:     global_buffer
      - .offset:         48
        .size:           4
        .value_kind:     by_value
      - .actual_access:  read_only
        .address_space:  global
        .offset:         56
        .size:           8
        .value_kind:     global_buffer
      - .offset:         64
        .size:           4
        .value_kind:     hidden_block_count_x
      - .offset:         68
        .size:           4
        .value_kind:     hidden_block_count_y
      - .offset:         72
        .size:           4
        .value_kind:     hidden_block_count_z
      - .offset:         76
        .size:           2
        .value_kind:     hidden_group_size_x
      - .offset:         78
        .size:           2
        .value_kind:     hidden_group_size_y
      - .offset:         80
        .size:           2
        .value_kind:     hidden_group_size_z
      - .offset:         82
        .size:           2
        .value_kind:     hidden_remainder_x
      - .offset:         84
        .size:           2
        .value_kind:     hidden_remainder_y
      - .offset:         86
        .size:           2
        .value_kind:     hidden_remainder_z
      - .offset:         104
        .size:           8
        .value_kind:     hidden_global_offset_x
      - .offset:         112
        .size:           8
        .value_kind:     hidden_global_offset_y
      - .offset:         120
        .size:           8
        .value_kind:     hidden_global_offset_z
      - .offset:         128
        .size:           2
        .value_kind:     hidden_grid_dims
    .group_segment_fixed_size: 1284
    .kernarg_segment_align: 8
    .kernarg_segment_size: 320
    .language:       OpenCL C
    .language_version:
      - 2
      - 0
    .max_flat_workgroup_size: 128
    .name:           _Z35paged_attention_ll4mi_reduce_kernelIDF16_hLi128ELi128ELi256ELi5EEvPT0_PKfS3_PKT_PKiS8_iS3_
    .private_segment_fixed_size: 0
    .sgpr_count:     46
    .sgpr_spill_count: 0
    .symbol:         _Z35paged_attention_ll4mi_reduce_kernelIDF16_hLi128ELi128ELi256ELi5EEvPT0_PKfS3_PKT_PKiS8_iS3_.kd
    .uniform_work_group_size: 1
    .uses_dynamic_stack: false
    .vgpr_count:     92
    .vgpr_spill_count: 0
    .wavefront_size: 64
  - .agpr_count:     0
    .args:
      - .actual_access:  write_only
        .address_space:  global
        .offset:         0
        .size:           8
        .value_kind:     global_buffer
      - .actual_access:  read_only
        .address_space:  global
        .offset:         8
        .size:           8
        .value_kind:     global_buffer
      - .actual_access:  read_only
        .address_space:  global
        .offset:         16
        .size:           8
        .value_kind:     global_buffer
      - .actual_access:  read_only
        .address_space:  global
        .offset:         24
        .size:           8
        .value_kind:     global_buffer
      - .actual_access:  read_only
        .address_space:  global
        .offset:         32
        .size:           8
        .value_kind:     global_buffer
      - .actual_access:  read_only
        .address_space:  global
        .offset:         40
        .size:           8
        .value_kind:     global_buffer
      - .offset:         48
        .size:           4
        .value_kind:     by_value
      - .actual_access:  read_only
        .address_space:  global
        .offset:         56
        .size:           8
        .value_kind:     global_buffer
      - .offset:         64
        .size:           4
        .value_kind:     hidden_block_count_x
      - .offset:         68
        .size:           4
        .value_kind:     hidden_block_count_y
      - .offset:         72
        .size:           4
        .value_kind:     hidden_block_count_z
      - .offset:         76
        .size:           2
        .value_kind:     hidden_group_size_x
      - .offset:         78
        .size:           2
        .value_kind:     hidden_group_size_y
      - .offset:         80
        .size:           2
        .value_kind:     hidden_group_size_z
      - .offset:         82
        .size:           2
        .value_kind:     hidden_remainder_x
      - .offset:         84
        .size:           2
        .value_kind:     hidden_remainder_y
      - .offset:         86
        .size:           2
        .value_kind:     hidden_remainder_z
      - .offset:         104
        .size:           8
        .value_kind:     hidden_global_offset_x
      - .offset:         112
        .size:           8
        .value_kind:     hidden_global_offset_y
      - .offset:         120
        .size:           8
        .value_kind:     hidden_global_offset_z
      - .offset:         128
        .size:           2
        .value_kind:     hidden_grid_dims
    .group_segment_fixed_size: 1540
    .kernarg_segment_align: 8
    .kernarg_segment_size: 320
    .language:       OpenCL C
    .language_version:
      - 2
      - 0
    .max_flat_workgroup_size: 128
    .name:           _Z35paged_attention_ll4mi_reduce_kernelIDF16_hLi128ELi128ELi256ELi6EEvPT0_PKfS3_PKT_PKiS8_iS3_
    .private_segment_fixed_size: 0
    .sgpr_count:     48
    .sgpr_spill_count: 0
    .symbol:         _Z35paged_attention_ll4mi_reduce_kernelIDF16_hLi128ELi128ELi256ELi6EEvPT0_PKfS3_PKT_PKiS8_iS3_.kd
    .uniform_work_group_size: 1
    .uses_dynamic_stack: false
    .vgpr_count:     92
    .vgpr_spill_count: 0
    .wavefront_size: 64
  - .agpr_count:     0
    .args:
      - .actual_access:  write_only
        .address_space:  global
        .offset:         0
        .size:           8
        .value_kind:     global_buffer
      - .actual_access:  read_only
        .address_space:  global
        .offset:         8
        .size:           8
        .value_kind:     global_buffer
      - .actual_access:  read_only
        .address_space:  global
        .offset:         16
        .size:           8
        .value_kind:     global_buffer
      - .actual_access:  read_only
        .address_space:  global
        .offset:         24
        .size:           8
        .value_kind:     global_buffer
      - .actual_access:  read_only
        .address_space:  global
        .offset:         32
        .size:           8
        .value_kind:     global_buffer
      - .actual_access:  read_only
        .address_space:  global
        .offset:         40
        .size:           8
        .value_kind:     global_buffer
      - .offset:         48
        .size:           4
        .value_kind:     by_value
      - .actual_access:  read_only
        .address_space:  global
        .offset:         56
        .size:           8
        .value_kind:     global_buffer
      - .offset:         64
        .size:           4
        .value_kind:     hidden_block_count_x
      - .offset:         68
        .size:           4
        .value_kind:     hidden_block_count_y
      - .offset:         72
        .size:           4
        .value_kind:     hidden_block_count_z
      - .offset:         76
        .size:           2
        .value_kind:     hidden_group_size_x
      - .offset:         78
        .size:           2
        .value_kind:     hidden_group_size_y
      - .offset:         80
        .size:           2
        .value_kind:     hidden_group_size_z
      - .offset:         82
        .size:           2
        .value_kind:     hidden_remainder_x
      - .offset:         84
        .size:           2
        .value_kind:     hidden_remainder_y
      - .offset:         86
        .size:           2
        .value_kind:     hidden_remainder_z
      - .offset:         104
        .size:           8
        .value_kind:     hidden_global_offset_x
      - .offset:         112
        .size:           8
        .value_kind:     hidden_global_offset_y
      - .offset:         120
        .size:           8
        .value_kind:     hidden_global_offset_z
      - .offset:         128
        .size:           2
        .value_kind:     hidden_grid_dims
    .group_segment_fixed_size: 1796
    .kernarg_segment_align: 8
    .kernarg_segment_size: 320
    .language:       OpenCL C
    .language_version:
      - 2
      - 0
    .max_flat_workgroup_size: 128
    .name:           _Z35paged_attention_ll4mi_reduce_kernelIDF16_hLi128ELi128ELi256ELi7EEvPT0_PKfS3_PKT_PKiS8_iS3_
    .private_segment_fixed_size: 0
    .sgpr_count:     50
    .sgpr_spill_count: 0
    .symbol:         _Z35paged_attention_ll4mi_reduce_kernelIDF16_hLi128ELi128ELi256ELi7EEvPT0_PKfS3_PKT_PKiS8_iS3_.kd
    .uniform_work_group_size: 1
    .uses_dynamic_stack: false
    .vgpr_count:     92
    .vgpr_spill_count: 0
    .wavefront_size: 64
  - .agpr_count:     0
    .args:
      - .actual_access:  write_only
        .address_space:  global
        .offset:         0
        .size:           8
        .value_kind:     global_buffer
      - .actual_access:  read_only
        .address_space:  global
        .offset:         8
        .size:           8
        .value_kind:     global_buffer
      - .actual_access:  read_only
        .address_space:  global
        .offset:         16
        .size:           8
        .value_kind:     global_buffer
      - .actual_access:  read_only
        .address_space:  global
        .offset:         24
        .size:           8
        .value_kind:     global_buffer
      - .actual_access:  read_only
        .address_space:  global
        .offset:         32
        .size:           8
        .value_kind:     global_buffer
      - .actual_access:  read_only
        .address_space:  global
        .offset:         40
        .size:           8
        .value_kind:     global_buffer
      - .offset:         48
        .size:           4
        .value_kind:     by_value
      - .actual_access:  read_only
        .address_space:  global
        .offset:         56
        .size:           8
        .value_kind:     global_buffer
      - .offset:         64
        .size:           4
        .value_kind:     hidden_block_count_x
      - .offset:         68
        .size:           4
        .value_kind:     hidden_block_count_y
      - .offset:         72
        .size:           4
        .value_kind:     hidden_block_count_z
      - .offset:         76
        .size:           2
        .value_kind:     hidden_group_size_x
      - .offset:         78
        .size:           2
        .value_kind:     hidden_group_size_y
      - .offset:         80
        .size:           2
        .value_kind:     hidden_group_size_z
      - .offset:         82
        .size:           2
        .value_kind:     hidden_remainder_x
      - .offset:         84
        .size:           2
        .value_kind:     hidden_remainder_y
      - .offset:         86
        .size:           2
        .value_kind:     hidden_remainder_z
      - .offset:         104
        .size:           8
        .value_kind:     hidden_global_offset_x
      - .offset:         112
        .size:           8
        .value_kind:     hidden_global_offset_y
      - .offset:         120
        .size:           8
        .value_kind:     hidden_global_offset_z
      - .offset:         128
        .size:           2
        .value_kind:     hidden_grid_dims
    .group_segment_fixed_size: 2052
    .kernarg_segment_align: 8
    .kernarg_segment_size: 320
    .language:       OpenCL C
    .language_version:
      - 2
      - 0
    .max_flat_workgroup_size: 128
    .name:           _Z35paged_attention_ll4mi_reduce_kernelIDF16_hLi128ELi128ELi256ELi8EEvPT0_PKfS3_PKT_PKiS8_iS3_
    .private_segment_fixed_size: 0
    .sgpr_count:     51
    .sgpr_spill_count: 0
    .symbol:         _Z35paged_attention_ll4mi_reduce_kernelIDF16_hLi128ELi128ELi256ELi8EEvPT0_PKfS3_PKT_PKiS8_iS3_.kd
    .uniform_work_group_size: 1
    .uses_dynamic_stack: false
    .vgpr_count:     92
    .vgpr_spill_count: 0
    .wavefront_size: 64
  - .agpr_count:     0
    .args:
      - .actual_access:  read_only
        .address_space:  global
        .offset:         0
        .size:           8
        .value_kind:     global_buffer
      - .actual_access:  read_only
        .address_space:  global
        .offset:         8
        .size:           8
        .value_kind:     global_buffer
      - .actual_access:  read_only
        .address_space:  global
        .offset:         16
        .size:           8
        .value_kind:     global_buffer
      - .offset:         24
        .size:           4
        .value_kind:     by_value
      - .offset:         28
        .size:           4
        .value_kind:     by_value
      - .actual_access:  read_only
        .address_space:  global
        .offset:         32
        .size:           8
        .value_kind:     global_buffer
      - .actual_access:  read_only
        .address_space:  global
        .offset:         40
        .size:           8
        .value_kind:     global_buffer
      - .actual_access:  read_only
        .address_space:  global
        .offset:         48
        .size:           8
        .value_kind:     global_buffer
      - .offset:         56
        .size:           4
        .value_kind:     by_value
      - .actual_access:  read_only
        .address_space:  global
        .offset:         64
        .size:           8
        .value_kind:     global_buffer
      - .offset:         72
        .size:           4
        .value_kind:     by_value
      - .offset:         76
        .size:           4
        .value_kind:     by_value
      - .offset:         80
        .size:           4
        .value_kind:     by_value
      - .actual_access:  write_only
        .address_space:  global
        .offset:         88
        .size:           8
        .value_kind:     global_buffer
      - .actual_access:  write_only
        .address_space:  global
        .offset:         96
        .size:           8
        .value_kind:     global_buffer
      - .actual_access:  write_only
        .address_space:  global
        .offset:         104
        .size:           8
        .value_kind:     global_buffer
      - .actual_access:  read_only
        .address_space:  global
        .offset:         112
        .size:           8
        .value_kind:     global_buffer
      - .offset:         120
        .size:           4
        .value_kind:     by_value
      - .address_space:  global
        .offset:         128
        .size:           8
        .value_kind:     global_buffer
      - .address_space:  global
        .offset:         136
        .size:           8
        .value_kind:     global_buffer
      - .offset:         144
        .size:           4
        .value_kind:     hidden_block_count_x
      - .offset:         148
        .size:           4
        .value_kind:     hidden_block_count_y
      - .offset:         152
        .size:           4
        .value_kind:     hidden_block_count_z
      - .offset:         156
        .size:           2
        .value_kind:     hidden_group_size_x
      - .offset:         158
        .size:           2
        .value_kind:     hidden_group_size_y
      - .offset:         160
        .size:           2
        .value_kind:     hidden_group_size_z
      - .offset:         162
        .size:           2
        .value_kind:     hidden_remainder_x
      - .offset:         164
        .size:           2
        .value_kind:     hidden_remainder_y
      - .offset:         166
        .size:           2
        .value_kind:     hidden_remainder_z
      - .offset:         184
        .size:           8
        .value_kind:     hidden_global_offset_x
      - .offset:         192
        .size:           8
        .value_kind:     hidden_global_offset_y
      - .offset:         200
        .size:           8
        .value_kind:     hidden_global_offset_z
      - .offset:         208
        .size:           2
        .value_kind:     hidden_grid_dims
    .group_segment_fixed_size: 8192
    .kernarg_segment_align: 8
    .kernarg_segment_size: 400
    .language:       OpenCL C
    .language_version:
      - 2
      - 0
    .max_flat_workgroup_size: 256
    .name:           _Z39paged_attention_ll4mi_QKV_mfma16_kernelIDF16_DF16_LN4vllm18Fp8KVCacheDataTypeE0EhLi16ELi128ELi256ELb1ELi1EEvPKT_PKT0_S7_ifPKiS9_S9_iPKfiiiPfSC_PS2_PT2_iSB_SB_
    .private_segment_fixed_size: 8
    .sgpr_count:     48
    .sgpr_spill_count: 0
    .symbol:         _Z39paged_attention_ll4mi_QKV_mfma16_kernelIDF16_DF16_LN4vllm18Fp8KVCacheDataTypeE0EhLi16ELi128ELi256ELb1ELi1EEvPKT_PKT0_S7_ifPKiS9_S9_iPKfiiiPfSC_PS2_PT2_iSB_SB_.kd
    .uniform_work_group_size: 1
    .uses_dynamic_stack: false
    .vgpr_count:     96
    .vgpr_spill_count: 1
    .wavefront_size: 64
  - .agpr_count:     0
    .args:
      - .actual_access:  read_only
        .address_space:  global
        .offset:         0
        .size:           8
        .value_kind:     global_buffer
      - .actual_access:  read_only
        .address_space:  global
        .offset:         8
        .size:           8
        .value_kind:     global_buffer
      - .actual_access:  read_only
        .address_space:  global
        .offset:         16
        .size:           8
        .value_kind:     global_buffer
      - .offset:         24
        .size:           4
        .value_kind:     by_value
      - .offset:         28
        .size:           4
        .value_kind:     by_value
      - .actual_access:  read_only
        .address_space:  global
        .offset:         32
        .size:           8
        .value_kind:     global_buffer
      - .actual_access:  read_only
        .address_space:  global
        .offset:         40
        .size:           8
        .value_kind:     global_buffer
      - .actual_access:  read_only
        .address_space:  global
        .offset:         48
        .size:           8
        .value_kind:     global_buffer
      - .offset:         56
        .size:           4
        .value_kind:     by_value
      - .actual_access:  read_only
        .address_space:  global
        .offset:         64
        .size:           8
        .value_kind:     global_buffer
      - .offset:         72
        .size:           4
        .value_kind:     by_value
      - .offset:         76
        .size:           4
        .value_kind:     by_value
      - .offset:         80
        .size:           4
        .value_kind:     by_value
      - .actual_access:  write_only
        .address_space:  global
        .offset:         88
        .size:           8
        .value_kind:     global_buffer
      - .actual_access:  write_only
        .address_space:  global
        .offset:         96
        .size:           8
        .value_kind:     global_buffer
      - .actual_access:  write_only
        .address_space:  global
        .offset:         104
        .size:           8
        .value_kind:     global_buffer
      - .actual_access:  read_only
        .address_space:  global
        .offset:         112
        .size:           8
        .value_kind:     global_buffer
      - .offset:         120
        .size:           4
        .value_kind:     by_value
      - .address_space:  global
        .offset:         128
        .size:           8
        .value_kind:     global_buffer
      - .address_space:  global
        .offset:         136
        .size:           8
        .value_kind:     global_buffer
      - .offset:         144
        .size:           4
        .value_kind:     hidden_block_count_x
      - .offset:         148
        .size:           4
        .value_kind:     hidden_block_count_y
      - .offset:         152
        .size:           4
        .value_kind:     hidden_block_count_z
      - .offset:         156
        .size:           2
        .value_kind:     hidden_group_size_x
      - .offset:         158
        .size:           2
        .value_kind:     hidden_group_size_y
      - .offset:         160
        .size:           2
        .value_kind:     hidden_group_size_z
      - .offset:         162
        .size:           2
        .value_kind:     hidden_remainder_x
      - .offset:         164
        .size:           2
        .value_kind:     hidden_remainder_y
      - .offset:         166
        .size:           2
        .value_kind:     hidden_remainder_z
      - .offset:         184
        .size:           8
        .value_kind:     hidden_global_offset_x
      - .offset:         192
        .size:           8
        .value_kind:     hidden_global_offset_y
      - .offset:         200
        .size:           8
        .value_kind:     hidden_global_offset_z
      - .offset:         208
        .size:           2
        .value_kind:     hidden_grid_dims
    .group_segment_fixed_size: 8192
    .kernarg_segment_align: 8
    .kernarg_segment_size: 400
    .language:       OpenCL C
    .language_version:
      - 2
      - 0
    .max_flat_workgroup_size: 256
    .name:           _Z39paged_attention_ll4mi_QKV_mfma16_kernelIDF16_DF16_LN4vllm18Fp8KVCacheDataTypeE0EhLi16ELi128ELi256ELb1ELi2EEvPKT_PKT0_S7_ifPKiS9_S9_iPKfiiiPfSC_PS2_PT2_iSB_SB_
    .private_segment_fixed_size: 0
    .sgpr_count:     47
    .sgpr_spill_count: 0
    .symbol:         _Z39paged_attention_ll4mi_QKV_mfma16_kernelIDF16_DF16_LN4vllm18Fp8KVCacheDataTypeE0EhLi16ELi128ELi256ELb1ELi2EEvPKT_PKT0_S7_ifPKiS9_S9_iPKfiiiPfSC_PS2_PT2_iSB_SB_.kd
    .uniform_work_group_size: 1
    .uses_dynamic_stack: false
    .vgpr_count:     96
    .vgpr_spill_count: 0
    .wavefront_size: 64
  - .agpr_count:     0
    .args:
      - .actual_access:  read_only
        .address_space:  global
        .offset:         0
        .size:           8
        .value_kind:     global_buffer
      - .actual_access:  read_only
        .address_space:  global
        .offset:         8
        .size:           8
        .value_kind:     global_buffer
      - .actual_access:  read_only
        .address_space:  global
        .offset:         16
        .size:           8
        .value_kind:     global_buffer
      - .offset:         24
        .size:           4
        .value_kind:     by_value
      - .offset:         28
        .size:           4
        .value_kind:     by_value
      - .actual_access:  read_only
        .address_space:  global
        .offset:         32
        .size:           8
        .value_kind:     global_buffer
      - .actual_access:  read_only
        .address_space:  global
        .offset:         40
        .size:           8
        .value_kind:     global_buffer
      - .actual_access:  read_only
        .address_space:  global
        .offset:         48
        .size:           8
        .value_kind:     global_buffer
      - .offset:         56
        .size:           4
        .value_kind:     by_value
      - .actual_access:  read_only
        .address_space:  global
        .offset:         64
        .size:           8
        .value_kind:     global_buffer
      - .offset:         72
        .size:           4
        .value_kind:     by_value
      - .offset:         76
        .size:           4
        .value_kind:     by_value
      - .offset:         80
        .size:           4
        .value_kind:     by_value
      - .actual_access:  write_only
        .address_space:  global
        .offset:         88
        .size:           8
        .value_kind:     global_buffer
      - .actual_access:  write_only
        .address_space:  global
        .offset:         96
        .size:           8
        .value_kind:     global_buffer
      - .actual_access:  write_only
        .address_space:  global
        .offset:         104
        .size:           8
        .value_kind:     global_buffer
      - .actual_access:  read_only
        .address_space:  global
        .offset:         112
        .size:           8
        .value_kind:     global_buffer
      - .offset:         120
        .size:           4
        .value_kind:     by_value
      - .address_space:  global
        .offset:         128
        .size:           8
        .value_kind:     global_buffer
      - .address_space:  global
        .offset:         136
        .size:           8
        .value_kind:     global_buffer
      - .offset:         144
        .size:           4
        .value_kind:     hidden_block_count_x
      - .offset:         148
        .size:           4
        .value_kind:     hidden_block_count_y
      - .offset:         152
        .size:           4
        .value_kind:     hidden_block_count_z
      - .offset:         156
        .size:           2
        .value_kind:     hidden_group_size_x
      - .offset:         158
        .size:           2
        .value_kind:     hidden_group_size_y
      - .offset:         160
        .size:           2
        .value_kind:     hidden_group_size_z
      - .offset:         162
        .size:           2
        .value_kind:     hidden_remainder_x
      - .offset:         164
        .size:           2
        .value_kind:     hidden_remainder_y
      - .offset:         166
        .size:           2
        .value_kind:     hidden_remainder_z
      - .offset:         184
        .size:           8
        .value_kind:     hidden_global_offset_x
      - .offset:         192
        .size:           8
        .value_kind:     hidden_global_offset_y
      - .offset:         200
        .size:           8
        .value_kind:     hidden_global_offset_z
      - .offset:         208
        .size:           2
        .value_kind:     hidden_grid_dims
    .group_segment_fixed_size: 8192
    .kernarg_segment_align: 8
    .kernarg_segment_size: 400
    .language:       OpenCL C
    .language_version:
      - 2
      - 0
    .max_flat_workgroup_size: 256
    .name:           _Z39paged_attention_ll4mi_QKV_mfma16_kernelIDF16_DF16_LN4vllm18Fp8KVCacheDataTypeE0EhLi16ELi128ELi256ELb1ELi3EEvPKT_PKT0_S7_ifPKiS9_S9_iPKfiiiPfSC_PS2_PT2_iSB_SB_
    .private_segment_fixed_size: 16
    .sgpr_count:     48
    .sgpr_spill_count: 0
    .symbol:         _Z39paged_attention_ll4mi_QKV_mfma16_kernelIDF16_DF16_LN4vllm18Fp8KVCacheDataTypeE0EhLi16ELi128ELi256ELb1ELi3EEvPKT_PKT0_S7_ifPKiS9_S9_iPKfiiiPfSC_PS2_PT2_iSB_SB_.kd
    .uniform_work_group_size: 1
    .uses_dynamic_stack: false
    .vgpr_count:     96
    .vgpr_spill_count: 5
    .wavefront_size: 64
  - .agpr_count:     0
    .args:
      - .actual_access:  read_only
        .address_space:  global
        .offset:         0
        .size:           8
        .value_kind:     global_buffer
      - .actual_access:  read_only
        .address_space:  global
        .offset:         8
        .size:           8
        .value_kind:     global_buffer
      - .actual_access:  read_only
        .address_space:  global
        .offset:         16
        .size:           8
        .value_kind:     global_buffer
      - .offset:         24
        .size:           4
        .value_kind:     by_value
      - .offset:         28
        .size:           4
        .value_kind:     by_value
      - .actual_access:  read_only
        .address_space:  global
        .offset:         32
        .size:           8
        .value_kind:     global_buffer
      - .actual_access:  read_only
        .address_space:  global
        .offset:         40
        .size:           8
        .value_kind:     global_buffer
      - .actual_access:  read_only
        .address_space:  global
        .offset:         48
        .size:           8
        .value_kind:     global_buffer
      - .offset:         56
        .size:           4
        .value_kind:     by_value
      - .actual_access:  read_only
        .address_space:  global
        .offset:         64
        .size:           8
        .value_kind:     global_buffer
      - .offset:         72
        .size:           4
        .value_kind:     by_value
      - .offset:         76
        .size:           4
        .value_kind:     by_value
      - .offset:         80
        .size:           4
        .value_kind:     by_value
      - .actual_access:  write_only
        .address_space:  global
        .offset:         88
        .size:           8
        .value_kind:     global_buffer
      - .actual_access:  write_only
        .address_space:  global
        .offset:         96
        .size:           8
        .value_kind:     global_buffer
      - .actual_access:  write_only
        .address_space:  global
        .offset:         104
        .size:           8
        .value_kind:     global_buffer
      - .actual_access:  read_only
        .address_space:  global
        .offset:         112
        .size:           8
        .value_kind:     global_buffer
      - .offset:         120
        .size:           4
        .value_kind:     by_value
      - .address_space:  global
        .offset:         128
        .size:           8
        .value_kind:     global_buffer
      - .address_space:  global
        .offset:         136
        .size:           8
        .value_kind:     global_buffer
      - .offset:         144
        .size:           4
        .value_kind:     hidden_block_count_x
      - .offset:         148
        .size:           4
        .value_kind:     hidden_block_count_y
      - .offset:         152
        .size:           4
        .value_kind:     hidden_block_count_z
      - .offset:         156
        .size:           2
        .value_kind:     hidden_group_size_x
      - .offset:         158
        .size:           2
        .value_kind:     hidden_group_size_y
      - .offset:         160
        .size:           2
        .value_kind:     hidden_group_size_z
      - .offset:         162
        .size:           2
        .value_kind:     hidden_remainder_x
      - .offset:         164
        .size:           2
        .value_kind:     hidden_remainder_y
      - .offset:         166
        .size:           2
        .value_kind:     hidden_remainder_z
      - .offset:         184
        .size:           8
        .value_kind:     hidden_global_offset_x
      - .offset:         192
        .size:           8
        .value_kind:     hidden_global_offset_y
      - .offset:         200
        .size:           8
        .value_kind:     hidden_global_offset_z
      - .offset:         208
        .size:           2
        .value_kind:     hidden_grid_dims
    .group_segment_fixed_size: 8192
    .kernarg_segment_align: 8
    .kernarg_segment_size: 400
    .language:       OpenCL C
    .language_version:
      - 2
      - 0
    .max_flat_workgroup_size: 256
    .name:           _Z39paged_attention_ll4mi_QKV_mfma16_kernelIDF16_DF16_LN4vllm18Fp8KVCacheDataTypeE0EhLi16ELi128ELi256ELb1ELi4EEvPKT_PKT0_S7_ifPKiS9_S9_iPKfiiiPfSC_PS2_PT2_iSB_SB_
    .private_segment_fixed_size: 12
    .sgpr_count:     49
    .sgpr_spill_count: 0
    .symbol:         _Z39paged_attention_ll4mi_QKV_mfma16_kernelIDF16_DF16_LN4vllm18Fp8KVCacheDataTypeE0EhLi16ELi128ELi256ELb1ELi4EEvPKT_PKT0_S7_ifPKiS9_S9_iPKfiiiPfSC_PS2_PT2_iSB_SB_.kd
    .uniform_work_group_size: 1
    .uses_dynamic_stack: false
    .vgpr_count:     96
    .vgpr_spill_count: 2
    .wavefront_size: 64
  - .agpr_count:     0
    .args:
      - .actual_access:  write_only
        .address_space:  global
        .offset:         0
        .size:           8
        .value_kind:     global_buffer
      - .actual_access:  read_only
        .address_space:  global
        .offset:         8
        .size:           8
        .value_kind:     global_buffer
      - .actual_access:  read_only
        .address_space:  global
        .offset:         16
        .size:           8
        .value_kind:     global_buffer
      - .actual_access:  read_only
        .address_space:  global
        .offset:         24
        .size:           8
        .value_kind:     global_buffer
      - .actual_access:  read_only
        .address_space:  global
        .offset:         32
        .size:           8
        .value_kind:     global_buffer
      - .actual_access:  read_only
        .address_space:  global
        .offset:         40
        .size:           8
        .value_kind:     global_buffer
      - .offset:         48
        .size:           4
        .value_kind:     by_value
      - .actual_access:  read_only
        .address_space:  global
        .offset:         56
        .size:           8
        .value_kind:     global_buffer
      - .offset:         64
        .size:           4
        .value_kind:     hidden_block_count_x
      - .offset:         68
        .size:           4
        .value_kind:     hidden_block_count_y
      - .offset:         72
        .size:           4
        .value_kind:     hidden_block_count_z
      - .offset:         76
        .size:           2
        .value_kind:     hidden_group_size_x
      - .offset:         78
        .size:           2
        .value_kind:     hidden_group_size_y
      - .offset:         80
        .size:           2
        .value_kind:     hidden_group_size_z
      - .offset:         82
        .size:           2
        .value_kind:     hidden_remainder_x
      - .offset:         84
        .size:           2
        .value_kind:     hidden_remainder_y
      - .offset:         86
        .size:           2
        .value_kind:     hidden_remainder_z
      - .offset:         104
        .size:           8
        .value_kind:     hidden_global_offset_x
      - .offset:         112
        .size:           8
        .value_kind:     hidden_global_offset_y
      - .offset:         120
        .size:           8
        .value_kind:     hidden_global_offset_z
      - .offset:         128
        .size:           2
        .value_kind:     hidden_grid_dims
    .group_segment_fixed_size: 2308
    .kernarg_segment_align: 8
    .kernarg_segment_size: 320
    .language:       OpenCL C
    .language_version:
      - 2
      - 0
    .max_flat_workgroup_size: 128
    .name:           _Z35paged_attention_ll4mi_reduce_kernelIDF16_hLi128ELi128ELi256ELi9EEvPT0_PKfS3_PKT_PKiS8_iS3_
    .private_segment_fixed_size: 0
    .sgpr_count:     53
    .sgpr_spill_count: 0
    .symbol:         _Z35paged_attention_ll4mi_reduce_kernelIDF16_hLi128ELi128ELi256ELi9EEvPT0_PKfS3_PKT_PKiS8_iS3_.kd
    .uniform_work_group_size: 1
    .uses_dynamic_stack: false
    .vgpr_count:     92
    .vgpr_spill_count: 0
    .wavefront_size: 64
  - .agpr_count:     0
    .args:
      - .actual_access:  write_only
        .address_space:  global
        .offset:         0
        .size:           8
        .value_kind:     global_buffer
      - .actual_access:  read_only
        .address_space:  global
        .offset:         8
        .size:           8
        .value_kind:     global_buffer
      - .actual_access:  read_only
        .address_space:  global
        .offset:         16
        .size:           8
        .value_kind:     global_buffer
      - .actual_access:  read_only
        .address_space:  global
        .offset:         24
        .size:           8
        .value_kind:     global_buffer
      - .actual_access:  read_only
        .address_space:  global
        .offset:         32
        .size:           8
        .value_kind:     global_buffer
      - .actual_access:  read_only
        .address_space:  global
        .offset:         40
        .size:           8
        .value_kind:     global_buffer
      - .offset:         48
        .size:           4
        .value_kind:     by_value
      - .actual_access:  read_only
        .address_space:  global
        .offset:         56
        .size:           8
        .value_kind:     global_buffer
      - .offset:         64
        .size:           4
        .value_kind:     hidden_block_count_x
      - .offset:         68
        .size:           4
        .value_kind:     hidden_block_count_y
      - .offset:         72
        .size:           4
        .value_kind:     hidden_block_count_z
      - .offset:         76
        .size:           2
        .value_kind:     hidden_group_size_x
      - .offset:         78
        .size:           2
        .value_kind:     hidden_group_size_y
      - .offset:         80
        .size:           2
        .value_kind:     hidden_group_size_z
      - .offset:         82
        .size:           2
        .value_kind:     hidden_remainder_x
      - .offset:         84
        .size:           2
        .value_kind:     hidden_remainder_y
      - .offset:         86
        .size:           2
        .value_kind:     hidden_remainder_z
      - .offset:         104
        .size:           8
        .value_kind:     hidden_global_offset_x
      - .offset:         112
        .size:           8
        .value_kind:     hidden_global_offset_y
      - .offset:         120
        .size:           8
        .value_kind:     hidden_global_offset_z
      - .offset:         128
        .size:           2
        .value_kind:     hidden_grid_dims
    .group_segment_fixed_size: 2564
    .kernarg_segment_align: 8
    .kernarg_segment_size: 320
    .language:       OpenCL C
    .language_version:
      - 2
      - 0
    .max_flat_workgroup_size: 128
    .name:           _Z35paged_attention_ll4mi_reduce_kernelIDF16_hLi128ELi128ELi256ELi10EEvPT0_PKfS3_PKT_PKiS8_iS3_
    .private_segment_fixed_size: 0
    .sgpr_count:     55
    .sgpr_spill_count: 0
    .symbol:         _Z35paged_attention_ll4mi_reduce_kernelIDF16_hLi128ELi128ELi256ELi10EEvPT0_PKfS3_PKT_PKiS8_iS3_.kd
    .uniform_work_group_size: 1
    .uses_dynamic_stack: false
    .vgpr_count:     92
    .vgpr_spill_count: 0
    .wavefront_size: 64
  - .agpr_count:     0
    .args:
      - .actual_access:  write_only
        .address_space:  global
        .offset:         0
        .size:           8
        .value_kind:     global_buffer
      - .actual_access:  read_only
        .address_space:  global
        .offset:         8
        .size:           8
        .value_kind:     global_buffer
      - .actual_access:  read_only
        .address_space:  global
        .offset:         16
        .size:           8
        .value_kind:     global_buffer
      - .actual_access:  read_only
        .address_space:  global
        .offset:         24
        .size:           8
        .value_kind:     global_buffer
      - .actual_access:  read_only
        .address_space:  global
        .offset:         32
        .size:           8
        .value_kind:     global_buffer
      - .actual_access:  read_only
        .address_space:  global
        .offset:         40
        .size:           8
        .value_kind:     global_buffer
      - .offset:         48
        .size:           4
        .value_kind:     by_value
      - .actual_access:  read_only
        .address_space:  global
        .offset:         56
        .size:           8
        .value_kind:     global_buffer
      - .offset:         64
        .size:           4
        .value_kind:     hidden_block_count_x
      - .offset:         68
        .size:           4
        .value_kind:     hidden_block_count_y
      - .offset:         72
        .size:           4
        .value_kind:     hidden_block_count_z
      - .offset:         76
        .size:           2
        .value_kind:     hidden_group_size_x
      - .offset:         78
        .size:           2
        .value_kind:     hidden_group_size_y
      - .offset:         80
        .size:           2
        .value_kind:     hidden_group_size_z
      - .offset:         82
        .size:           2
        .value_kind:     hidden_remainder_x
      - .offset:         84
        .size:           2
        .value_kind:     hidden_remainder_y
      - .offset:         86
        .size:           2
        .value_kind:     hidden_remainder_z
      - .offset:         104
        .size:           8
        .value_kind:     hidden_global_offset_x
      - .offset:         112
        .size:           8
        .value_kind:     hidden_global_offset_y
      - .offset:         120
        .size:           8
        .value_kind:     hidden_global_offset_z
      - .offset:         128
        .size:           2
        .value_kind:     hidden_grid_dims
    .group_segment_fixed_size: 2820
    .kernarg_segment_align: 8
    .kernarg_segment_size: 320
    .language:       OpenCL C
    .language_version:
      - 2
      - 0
    .max_flat_workgroup_size: 128
    .name:           _Z35paged_attention_ll4mi_reduce_kernelIDF16_hLi128ELi128ELi256ELi11EEvPT0_PKfS3_PKT_PKiS8_iS3_
    .private_segment_fixed_size: 0
    .sgpr_count:     57
    .sgpr_spill_count: 0
    .symbol:         _Z35paged_attention_ll4mi_reduce_kernelIDF16_hLi128ELi128ELi256ELi11EEvPT0_PKfS3_PKT_PKiS8_iS3_.kd
    .uniform_work_group_size: 1
    .uses_dynamic_stack: false
    .vgpr_count:     92
    .vgpr_spill_count: 0
    .wavefront_size: 64
  - .agpr_count:     0
    .args:
      - .actual_access:  write_only
        .address_space:  global
        .offset:         0
        .size:           8
        .value_kind:     global_buffer
      - .actual_access:  read_only
        .address_space:  global
        .offset:         8
        .size:           8
        .value_kind:     global_buffer
      - .actual_access:  read_only
        .address_space:  global
        .offset:         16
        .size:           8
        .value_kind:     global_buffer
      - .actual_access:  read_only
        .address_space:  global
        .offset:         24
        .size:           8
        .value_kind:     global_buffer
      - .actual_access:  read_only
        .address_space:  global
        .offset:         32
        .size:           8
        .value_kind:     global_buffer
      - .actual_access:  read_only
        .address_space:  global
        .offset:         40
        .size:           8
        .value_kind:     global_buffer
      - .offset:         48
        .size:           4
        .value_kind:     by_value
      - .actual_access:  read_only
        .address_space:  global
        .offset:         56
        .size:           8
        .value_kind:     global_buffer
      - .offset:         64
        .size:           4
        .value_kind:     hidden_block_count_x
      - .offset:         68
        .size:           4
        .value_kind:     hidden_block_count_y
      - .offset:         72
        .size:           4
        .value_kind:     hidden_block_count_z
      - .offset:         76
        .size:           2
        .value_kind:     hidden_group_size_x
      - .offset:         78
        .size:           2
        .value_kind:     hidden_group_size_y
      - .offset:         80
        .size:           2
        .value_kind:     hidden_group_size_z
      - .offset:         82
        .size:           2
        .value_kind:     hidden_remainder_x
      - .offset:         84
        .size:           2
        .value_kind:     hidden_remainder_y
      - .offset:         86
        .size:           2
        .value_kind:     hidden_remainder_z
      - .offset:         104
        .size:           8
        .value_kind:     hidden_global_offset_x
      - .offset:         112
        .size:           8
        .value_kind:     hidden_global_offset_y
      - .offset:         120
        .size:           8
        .value_kind:     hidden_global_offset_z
      - .offset:         128
        .size:           2
        .value_kind:     hidden_grid_dims
    .group_segment_fixed_size: 3076
    .kernarg_segment_align: 8
    .kernarg_segment_size: 320
    .language:       OpenCL C
    .language_version:
      - 2
      - 0
    .max_flat_workgroup_size: 128
    .name:           _Z35paged_attention_ll4mi_reduce_kernelIDF16_hLi128ELi128ELi256ELi12EEvPT0_PKfS3_PKT_PKiS8_iS3_
    .private_segment_fixed_size: 0
    .sgpr_count:     59
    .sgpr_spill_count: 0
    .symbol:         _Z35paged_attention_ll4mi_reduce_kernelIDF16_hLi128ELi128ELi256ELi12EEvPT0_PKfS3_PKT_PKiS8_iS3_.kd
    .uniform_work_group_size: 1
    .uses_dynamic_stack: false
    .vgpr_count:     92
    .vgpr_spill_count: 0
    .wavefront_size: 64
  - .agpr_count:     0
    .args:
      - .actual_access:  write_only
        .address_space:  global
        .offset:         0
        .size:           8
        .value_kind:     global_buffer
      - .actual_access:  read_only
        .address_space:  global
        .offset:         8
        .size:           8
        .value_kind:     global_buffer
      - .actual_access:  read_only
        .address_space:  global
        .offset:         16
        .size:           8
        .value_kind:     global_buffer
      - .actual_access:  read_only
        .address_space:  global
        .offset:         24
        .size:           8
        .value_kind:     global_buffer
      - .actual_access:  read_only
        .address_space:  global
        .offset:         32
        .size:           8
        .value_kind:     global_buffer
      - .actual_access:  read_only
        .address_space:  global
        .offset:         40
        .size:           8
        .value_kind:     global_buffer
      - .offset:         48
        .size:           4
        .value_kind:     by_value
      - .actual_access:  read_only
        .address_space:  global
        .offset:         56
        .size:           8
        .value_kind:     global_buffer
      - .offset:         64
        .size:           4
        .value_kind:     hidden_block_count_x
      - .offset:         68
        .size:           4
        .value_kind:     hidden_block_count_y
      - .offset:         72
        .size:           4
        .value_kind:     hidden_block_count_z
      - .offset:         76
        .size:           2
        .value_kind:     hidden_group_size_x
      - .offset:         78
        .size:           2
        .value_kind:     hidden_group_size_y
      - .offset:         80
        .size:           2
        .value_kind:     hidden_group_size_z
      - .offset:         82
        .size:           2
        .value_kind:     hidden_remainder_x
      - .offset:         84
        .size:           2
        .value_kind:     hidden_remainder_y
      - .offset:         86
        .size:           2
        .value_kind:     hidden_remainder_z
      - .offset:         104
        .size:           8
        .value_kind:     hidden_global_offset_x
      - .offset:         112
        .size:           8
        .value_kind:     hidden_global_offset_y
      - .offset:         120
        .size:           8
        .value_kind:     hidden_global_offset_z
      - .offset:         128
        .size:           2
        .value_kind:     hidden_grid_dims
    .group_segment_fixed_size: 3332
    .kernarg_segment_align: 8
    .kernarg_segment_size: 320
    .language:       OpenCL C
    .language_version:
      - 2
      - 0
    .max_flat_workgroup_size: 128
    .name:           _Z35paged_attention_ll4mi_reduce_kernelIDF16_hLi128ELi128ELi256ELi13EEvPT0_PKfS3_PKT_PKiS8_iS3_
    .private_segment_fixed_size: 0
    .sgpr_count:     61
    .sgpr_spill_count: 0
    .symbol:         _Z35paged_attention_ll4mi_reduce_kernelIDF16_hLi128ELi128ELi256ELi13EEvPT0_PKfS3_PKT_PKiS8_iS3_.kd
    .uniform_work_group_size: 1
    .uses_dynamic_stack: false
    .vgpr_count:     92
    .vgpr_spill_count: 0
    .wavefront_size: 64
  - .agpr_count:     0
    .args:
      - .actual_access:  write_only
        .address_space:  global
        .offset:         0
        .size:           8
        .value_kind:     global_buffer
      - .actual_access:  read_only
        .address_space:  global
        .offset:         8
        .size:           8
        .value_kind:     global_buffer
      - .actual_access:  read_only
        .address_space:  global
        .offset:         16
        .size:           8
        .value_kind:     global_buffer
      - .actual_access:  read_only
        .address_space:  global
        .offset:         24
        .size:           8
        .value_kind:     global_buffer
      - .actual_access:  read_only
        .address_space:  global
        .offset:         32
        .size:           8
        .value_kind:     global_buffer
      - .actual_access:  read_only
        .address_space:  global
        .offset:         40
        .size:           8
        .value_kind:     global_buffer
      - .offset:         48
        .size:           4
        .value_kind:     by_value
      - .actual_access:  read_only
        .address_space:  global
        .offset:         56
        .size:           8
        .value_kind:     global_buffer
      - .offset:         64
        .size:           4
        .value_kind:     hidden_block_count_x
      - .offset:         68
        .size:           4
        .value_kind:     hidden_block_count_y
      - .offset:         72
        .size:           4
        .value_kind:     hidden_block_count_z
      - .offset:         76
        .size:           2
        .value_kind:     hidden_group_size_x
      - .offset:         78
        .size:           2
        .value_kind:     hidden_group_size_y
      - .offset:         80
        .size:           2
        .value_kind:     hidden_group_size_z
      - .offset:         82
        .size:           2
        .value_kind:     hidden_remainder_x
      - .offset:         84
        .size:           2
        .value_kind:     hidden_remainder_y
      - .offset:         86
        .size:           2
        .value_kind:     hidden_remainder_z
      - .offset:         104
        .size:           8
        .value_kind:     hidden_global_offset_x
      - .offset:         112
        .size:           8
        .value_kind:     hidden_global_offset_y
      - .offset:         120
        .size:           8
        .value_kind:     hidden_global_offset_z
      - .offset:         128
        .size:           2
        .value_kind:     hidden_grid_dims
    .group_segment_fixed_size: 3588
    .kernarg_segment_align: 8
    .kernarg_segment_size: 320
    .language:       OpenCL C
    .language_version:
      - 2
      - 0
    .max_flat_workgroup_size: 128
    .name:           _Z35paged_attention_ll4mi_reduce_kernelIDF16_hLi128ELi128ELi256ELi14EEvPT0_PKfS3_PKT_PKiS8_iS3_
    .private_segment_fixed_size: 0
    .sgpr_count:     63
    .sgpr_spill_count: 0
    .symbol:         _Z35paged_attention_ll4mi_reduce_kernelIDF16_hLi128ELi128ELi256ELi14EEvPT0_PKfS3_PKT_PKiS8_iS3_.kd
    .uniform_work_group_size: 1
    .uses_dynamic_stack: false
    .vgpr_count:     92
    .vgpr_spill_count: 0
    .wavefront_size: 64
  - .agpr_count:     0
    .args:
      - .actual_access:  write_only
        .address_space:  global
        .offset:         0
        .size:           8
        .value_kind:     global_buffer
      - .actual_access:  read_only
        .address_space:  global
        .offset:         8
        .size:           8
        .value_kind:     global_buffer
      - .actual_access:  read_only
        .address_space:  global
        .offset:         16
        .size:           8
        .value_kind:     global_buffer
      - .actual_access:  read_only
        .address_space:  global
        .offset:         24
        .size:           8
        .value_kind:     global_buffer
      - .actual_access:  read_only
        .address_space:  global
        .offset:         32
        .size:           8
        .value_kind:     global_buffer
      - .actual_access:  read_only
        .address_space:  global
        .offset:         40
        .size:           8
        .value_kind:     global_buffer
      - .offset:         48
        .size:           4
        .value_kind:     by_value
      - .actual_access:  read_only
        .address_space:  global
        .offset:         56
        .size:           8
        .value_kind:     global_buffer
      - .offset:         64
        .size:           4
        .value_kind:     hidden_block_count_x
      - .offset:         68
        .size:           4
        .value_kind:     hidden_block_count_y
      - .offset:         72
        .size:           4
        .value_kind:     hidden_block_count_z
      - .offset:         76
        .size:           2
        .value_kind:     hidden_group_size_x
      - .offset:         78
        .size:           2
        .value_kind:     hidden_group_size_y
      - .offset:         80
        .size:           2
        .value_kind:     hidden_group_size_z
      - .offset:         82
        .size:           2
        .value_kind:     hidden_remainder_x
      - .offset:         84
        .size:           2
        .value_kind:     hidden_remainder_y
      - .offset:         86
        .size:           2
        .value_kind:     hidden_remainder_z
      - .offset:         104
        .size:           8
        .value_kind:     hidden_global_offset_x
      - .offset:         112
        .size:           8
        .value_kind:     hidden_global_offset_y
      - .offset:         120
        .size:           8
        .value_kind:     hidden_global_offset_z
      - .offset:         128
        .size:           2
        .value_kind:     hidden_grid_dims
    .group_segment_fixed_size: 3844
    .kernarg_segment_align: 8
    .kernarg_segment_size: 320
    .language:       OpenCL C
    .language_version:
      - 2
      - 0
    .max_flat_workgroup_size: 128
    .name:           _Z35paged_attention_ll4mi_reduce_kernelIDF16_hLi128ELi128ELi256ELi15EEvPT0_PKfS3_PKT_PKiS8_iS3_
    .private_segment_fixed_size: 0
    .sgpr_count:     65
    .sgpr_spill_count: 0
    .symbol:         _Z35paged_attention_ll4mi_reduce_kernelIDF16_hLi128ELi128ELi256ELi15EEvPT0_PKfS3_PKT_PKiS8_iS3_.kd
    .uniform_work_group_size: 1
    .uses_dynamic_stack: false
    .vgpr_count:     92
    .vgpr_spill_count: 0
    .wavefront_size: 64
  - .agpr_count:     0
    .args:
      - .actual_access:  write_only
        .address_space:  global
        .offset:         0
        .size:           8
        .value_kind:     global_buffer
      - .actual_access:  read_only
        .address_space:  global
        .offset:         8
        .size:           8
        .value_kind:     global_buffer
      - .actual_access:  read_only
        .address_space:  global
        .offset:         16
        .size:           8
        .value_kind:     global_buffer
      - .actual_access:  read_only
        .address_space:  global
        .offset:         24
        .size:           8
        .value_kind:     global_buffer
      - .actual_access:  read_only
        .address_space:  global
        .offset:         32
        .size:           8
        .value_kind:     global_buffer
      - .actual_access:  read_only
        .address_space:  global
        .offset:         40
        .size:           8
        .value_kind:     global_buffer
      - .offset:         48
        .size:           4
        .value_kind:     by_value
      - .actual_access:  read_only
        .address_space:  global
        .offset:         56
        .size:           8
        .value_kind:     global_buffer
      - .offset:         64
        .size:           4
        .value_kind:     hidden_block_count_x
      - .offset:         68
        .size:           4
        .value_kind:     hidden_block_count_y
      - .offset:         72
        .size:           4
        .value_kind:     hidden_block_count_z
      - .offset:         76
        .size:           2
        .value_kind:     hidden_group_size_x
      - .offset:         78
        .size:           2
        .value_kind:     hidden_group_size_y
      - .offset:         80
        .size:           2
        .value_kind:     hidden_group_size_z
      - .offset:         82
        .size:           2
        .value_kind:     hidden_remainder_x
      - .offset:         84
        .size:           2
        .value_kind:     hidden_remainder_y
      - .offset:         86
        .size:           2
        .value_kind:     hidden_remainder_z
      - .offset:         104
        .size:           8
        .value_kind:     hidden_global_offset_x
      - .offset:         112
        .size:           8
        .value_kind:     hidden_global_offset_y
      - .offset:         120
        .size:           8
        .value_kind:     hidden_global_offset_z
      - .offset:         128
        .size:           2
        .value_kind:     hidden_grid_dims
    .group_segment_fixed_size: 4100
    .kernarg_segment_align: 8
    .kernarg_segment_size: 320
    .language:       OpenCL C
    .language_version:
      - 2
      - 0
    .max_flat_workgroup_size: 128
    .name:           _Z35paged_attention_ll4mi_reduce_kernelIDF16_hLi128ELi128ELi256ELi16EEvPT0_PKfS3_PKT_PKiS8_iS3_
    .private_segment_fixed_size: 0
    .sgpr_count:     67
    .sgpr_spill_count: 0
    .symbol:         _Z35paged_attention_ll4mi_reduce_kernelIDF16_hLi128ELi128ELi256ELi16EEvPT0_PKfS3_PKT_PKiS8_iS3_.kd
    .uniform_work_group_size: 1
    .uses_dynamic_stack: false
    .vgpr_count:     92
    .vgpr_spill_count: 0
    .wavefront_size: 64
  - .agpr_count:     8
    .args:
      - .actual_access:  read_only
        .address_space:  global
        .offset:         0
        .size:           8
        .value_kind:     global_buffer
      - .actual_access:  read_only
        .address_space:  global
        .offset:         8
        .size:           8
        .value_kind:     global_buffer
      - .actual_access:  read_only
        .address_space:  global
        .offset:         16
        .size:           8
        .value_kind:     global_buffer
      - .offset:         24
        .size:           4
        .value_kind:     by_value
      - .offset:         28
        .size:           4
        .value_kind:     by_value
      - .actual_access:  read_only
        .address_space:  global
        .offset:         32
        .size:           8
        .value_kind:     global_buffer
      - .actual_access:  read_only
        .address_space:  global
        .offset:         40
        .size:           8
        .value_kind:     global_buffer
      - .actual_access:  read_only
        .address_space:  global
        .offset:         48
        .size:           8
        .value_kind:     global_buffer
      - .offset:         56
        .size:           4
        .value_kind:     by_value
      - .actual_access:  read_only
        .address_space:  global
        .offset:         64
        .size:           8
        .value_kind:     global_buffer
      - .offset:         72
        .size:           4
        .value_kind:     by_value
      - .offset:         76
        .size:           4
        .value_kind:     by_value
      - .offset:         80
        .size:           4
        .value_kind:     by_value
      - .actual_access:  write_only
        .address_space:  global
        .offset:         88
        .size:           8
        .value_kind:     global_buffer
      - .actual_access:  write_only
        .address_space:  global
        .offset:         96
        .size:           8
        .value_kind:     global_buffer
      - .actual_access:  write_only
        .address_space:  global
        .offset:         104
        .size:           8
        .value_kind:     global_buffer
      - .actual_access:  read_only
        .address_space:  global
        .offset:         112
        .size:           8
        .value_kind:     global_buffer
      - .offset:         120
        .size:           4
        .value_kind:     by_value
      - .address_space:  global
        .offset:         128
        .size:           8
        .value_kind:     global_buffer
      - .address_space:  global
        .offset:         136
        .size:           8
        .value_kind:     global_buffer
      - .offset:         144
        .size:           4
        .value_kind:     hidden_block_count_x
      - .offset:         148
        .size:           4
        .value_kind:     hidden_block_count_y
      - .offset:         152
        .size:           4
        .value_kind:     hidden_block_count_z
      - .offset:         156
        .size:           2
        .value_kind:     hidden_group_size_x
      - .offset:         158
        .size:           2
        .value_kind:     hidden_group_size_y
      - .offset:         160
        .size:           2
        .value_kind:     hidden_group_size_z
      - .offset:         162
        .size:           2
        .value_kind:     hidden_remainder_x
      - .offset:         164
        .size:           2
        .value_kind:     hidden_remainder_y
      - .offset:         166
        .size:           2
        .value_kind:     hidden_remainder_z
      - .offset:         184
        .size:           8
        .value_kind:     hidden_global_offset_x
      - .offset:         192
        .size:           8
        .value_kind:     hidden_global_offset_y
      - .offset:         200
        .size:           8
        .value_kind:     hidden_global_offset_z
      - .offset:         208
        .size:           2
        .value_kind:     hidden_grid_dims
    .group_segment_fixed_size: 5280
    .kernarg_segment_align: 8
    .kernarg_segment_size: 400
    .language:       OpenCL C
    .language_version:
      - 2
      - 0
    .max_flat_workgroup_size: 256
    .name:           _Z38paged_attention_ll4mi_QKV_mfma4_kernelIDF16_DF16_LN4vllm18Fp8KVCacheDataTypeE0EhLi16ELi128ELi256ELb0ELi1EEvPKT_PKT0_S7_ifPKiS9_S9_iPKfiiiPfSC_PS2_PT2_iSB_SB_
    .private_segment_fixed_size: 0
    .sgpr_count:     44
    .sgpr_spill_count: 0
    .symbol:         _Z38paged_attention_ll4mi_QKV_mfma4_kernelIDF16_DF16_LN4vllm18Fp8KVCacheDataTypeE0EhLi16ELi128ELi256ELb0ELi1EEvPKT_PKT0_S7_ifPKiS9_S9_iPKfiiiPfSC_PS2_PT2_iSB_SB_.kd
    .uniform_work_group_size: 1
    .uses_dynamic_stack: false
    .vgpr_count:     104
    .vgpr_spill_count: 0
    .wavefront_size: 64
  - .agpr_count:     8
    .args:
      - .actual_access:  read_only
        .address_space:  global
        .offset:         0
        .size:           8
        .value_kind:     global_buffer
      - .actual_access:  read_only
        .address_space:  global
        .offset:         8
        .size:           8
        .value_kind:     global_buffer
      - .actual_access:  read_only
        .address_space:  global
        .offset:         16
        .size:           8
        .value_kind:     global_buffer
      - .offset:         24
        .size:           4
        .value_kind:     by_value
      - .offset:         28
        .size:           4
        .value_kind:     by_value
      - .actual_access:  read_only
        .address_space:  global
        .offset:         32
        .size:           8
        .value_kind:     global_buffer
      - .actual_access:  read_only
        .address_space:  global
        .offset:         40
        .size:           8
        .value_kind:     global_buffer
      - .actual_access:  read_only
        .address_space:  global
        .offset:         48
        .size:           8
        .value_kind:     global_buffer
      - .offset:         56
        .size:           4
        .value_kind:     by_value
      - .actual_access:  read_only
        .address_space:  global
        .offset:         64
        .size:           8
        .value_kind:     global_buffer
      - .offset:         72
        .size:           4
        .value_kind:     by_value
      - .offset:         76
        .size:           4
        .value_kind:     by_value
      - .offset:         80
        .size:           4
        .value_kind:     by_value
      - .actual_access:  write_only
        .address_space:  global
        .offset:         88
        .size:           8
        .value_kind:     global_buffer
      - .actual_access:  write_only
        .address_space:  global
        .offset:         96
        .size:           8
        .value_kind:     global_buffer
      - .actual_access:  write_only
        .address_space:  global
        .offset:         104
        .size:           8
        .value_kind:     global_buffer
      - .actual_access:  read_only
        .address_space:  global
        .offset:         112
        .size:           8
        .value_kind:     global_buffer
      - .offset:         120
        .size:           4
        .value_kind:     by_value
      - .address_space:  global
        .offset:         128
        .size:           8
        .value_kind:     global_buffer
      - .address_space:  global
        .offset:         136
        .size:           8
        .value_kind:     global_buffer
      - .offset:         144
        .size:           4
        .value_kind:     hidden_block_count_x
      - .offset:         148
        .size:           4
        .value_kind:     hidden_block_count_y
      - .offset:         152
        .size:           4
        .value_kind:     hidden_block_count_z
      - .offset:         156
        .size:           2
        .value_kind:     hidden_group_size_x
      - .offset:         158
        .size:           2
        .value_kind:     hidden_group_size_y
      - .offset:         160
        .size:           2
        .value_kind:     hidden_group_size_z
      - .offset:         162
        .size:           2
        .value_kind:     hidden_remainder_x
      - .offset:         164
        .size:           2
        .value_kind:     hidden_remainder_y
      - .offset:         166
        .size:           2
        .value_kind:     hidden_remainder_z
      - .offset:         184
        .size:           8
        .value_kind:     hidden_global_offset_x
      - .offset:         192
        .size:           8
        .value_kind:     hidden_global_offset_y
      - .offset:         200
        .size:           8
        .value_kind:     hidden_global_offset_z
      - .offset:         208
        .size:           2
        .value_kind:     hidden_grid_dims
    .group_segment_fixed_size: 5280
    .kernarg_segment_align: 8
    .kernarg_segment_size: 400
    .language:       OpenCL C
    .language_version:
      - 2
      - 0
    .max_flat_workgroup_size: 256
    .name:           _Z38paged_attention_ll4mi_QKV_mfma4_kernelIDF16_DF16_LN4vllm18Fp8KVCacheDataTypeE0EhLi16ELi128ELi256ELb0ELi2EEvPKT_PKT0_S7_ifPKiS9_S9_iPKfiiiPfSC_PS2_PT2_iSB_SB_
    .private_segment_fixed_size: 0
    .sgpr_count:     44
    .sgpr_spill_count: 0
    .symbol:         _Z38paged_attention_ll4mi_QKV_mfma4_kernelIDF16_DF16_LN4vllm18Fp8KVCacheDataTypeE0EhLi16ELi128ELi256ELb0ELi2EEvPKT_PKT0_S7_ifPKiS9_S9_iPKfiiiPfSC_PS2_PT2_iSB_SB_.kd
    .uniform_work_group_size: 1
    .uses_dynamic_stack: false
    .vgpr_count:     104
    .vgpr_spill_count: 0
    .wavefront_size: 64
  - .agpr_count:     8
    .args:
      - .actual_access:  read_only
        .address_space:  global
        .offset:         0
        .size:           8
        .value_kind:     global_buffer
      - .actual_access:  read_only
        .address_space:  global
        .offset:         8
        .size:           8
        .value_kind:     global_buffer
      - .actual_access:  read_only
        .address_space:  global
        .offset:         16
        .size:           8
        .value_kind:     global_buffer
      - .offset:         24
        .size:           4
        .value_kind:     by_value
      - .offset:         28
        .size:           4
        .value_kind:     by_value
      - .actual_access:  read_only
        .address_space:  global
        .offset:         32
        .size:           8
        .value_kind:     global_buffer
      - .actual_access:  read_only
        .address_space:  global
        .offset:         40
        .size:           8
        .value_kind:     global_buffer
      - .actual_access:  read_only
        .address_space:  global
        .offset:         48
        .size:           8
        .value_kind:     global_buffer
      - .offset:         56
        .size:           4
        .value_kind:     by_value
      - .actual_access:  read_only
        .address_space:  global
        .offset:         64
        .size:           8
        .value_kind:     global_buffer
      - .offset:         72
        .size:           4
        .value_kind:     by_value
      - .offset:         76
        .size:           4
        .value_kind:     by_value
      - .offset:         80
        .size:           4
        .value_kind:     by_value
      - .actual_access:  write_only
        .address_space:  global
        .offset:         88
        .size:           8
        .value_kind:     global_buffer
      - .actual_access:  write_only
        .address_space:  global
        .offset:         96
        .size:           8
        .value_kind:     global_buffer
      - .actual_access:  write_only
        .address_space:  global
        .offset:         104
        .size:           8
        .value_kind:     global_buffer
      - .actual_access:  read_only
        .address_space:  global
        .offset:         112
        .size:           8
        .value_kind:     global_buffer
      - .offset:         120
        .size:           4
        .value_kind:     by_value
      - .address_space:  global
        .offset:         128
        .size:           8
        .value_kind:     global_buffer
      - .address_space:  global
        .offset:         136
        .size:           8
        .value_kind:     global_buffer
      - .offset:         144
        .size:           4
        .value_kind:     hidden_block_count_x
      - .offset:         148
        .size:           4
        .value_kind:     hidden_block_count_y
      - .offset:         152
        .size:           4
        .value_kind:     hidden_block_count_z
      - .offset:         156
        .size:           2
        .value_kind:     hidden_group_size_x
      - .offset:         158
        .size:           2
        .value_kind:     hidden_group_size_y
      - .offset:         160
        .size:           2
        .value_kind:     hidden_group_size_z
      - .offset:         162
        .size:           2
        .value_kind:     hidden_remainder_x
      - .offset:         164
        .size:           2
        .value_kind:     hidden_remainder_y
      - .offset:         166
        .size:           2
        .value_kind:     hidden_remainder_z
      - .offset:         184
        .size:           8
        .value_kind:     hidden_global_offset_x
      - .offset:         192
        .size:           8
        .value_kind:     hidden_global_offset_y
      - .offset:         200
        .size:           8
        .value_kind:     hidden_global_offset_z
      - .offset:         208
        .size:           2
        .value_kind:     hidden_grid_dims
    .group_segment_fixed_size: 5280
    .kernarg_segment_align: 8
    .kernarg_segment_size: 400
    .language:       OpenCL C
    .language_version:
      - 2
      - 0
    .max_flat_workgroup_size: 256
    .name:           _Z38paged_attention_ll4mi_QKV_mfma4_kernelIDF16_DF16_LN4vllm18Fp8KVCacheDataTypeE0EhLi16ELi128ELi256ELb0ELi3EEvPKT_PKT0_S7_ifPKiS9_S9_iPKfiiiPfSC_PS2_PT2_iSB_SB_
    .private_segment_fixed_size: 0
    .sgpr_count:     44
    .sgpr_spill_count: 0
    .symbol:         _Z38paged_attention_ll4mi_QKV_mfma4_kernelIDF16_DF16_LN4vllm18Fp8KVCacheDataTypeE0EhLi16ELi128ELi256ELb0ELi3EEvPKT_PKT0_S7_ifPKiS9_S9_iPKfiiiPfSC_PS2_PT2_iSB_SB_.kd
    .uniform_work_group_size: 1
    .uses_dynamic_stack: false
    .vgpr_count:     104
    .vgpr_spill_count: 0
    .wavefront_size: 64
  - .agpr_count:     8
    .args:
      - .actual_access:  read_only
        .address_space:  global
        .offset:         0
        .size:           8
        .value_kind:     global_buffer
      - .actual_access:  read_only
        .address_space:  global
        .offset:         8
        .size:           8
        .value_kind:     global_buffer
      - .actual_access:  read_only
        .address_space:  global
        .offset:         16
        .size:           8
        .value_kind:     global_buffer
      - .offset:         24
        .size:           4
        .value_kind:     by_value
      - .offset:         28
        .size:           4
        .value_kind:     by_value
      - .actual_access:  read_only
        .address_space:  global
        .offset:         32
        .size:           8
        .value_kind:     global_buffer
      - .actual_access:  read_only
        .address_space:  global
        .offset:         40
        .size:           8
        .value_kind:     global_buffer
      - .actual_access:  read_only
        .address_space:  global
        .offset:         48
        .size:           8
        .value_kind:     global_buffer
      - .offset:         56
        .size:           4
        .value_kind:     by_value
      - .actual_access:  read_only
        .address_space:  global
        .offset:         64
        .size:           8
        .value_kind:     global_buffer
      - .offset:         72
        .size:           4
        .value_kind:     by_value
      - .offset:         76
        .size:           4
        .value_kind:     by_value
      - .offset:         80
        .size:           4
        .value_kind:     by_value
      - .actual_access:  write_only
        .address_space:  global
        .offset:         88
        .size:           8
        .value_kind:     global_buffer
      - .actual_access:  write_only
        .address_space:  global
        .offset:         96
        .size:           8
        .value_kind:     global_buffer
      - .actual_access:  write_only
        .address_space:  global
        .offset:         104
        .size:           8
        .value_kind:     global_buffer
      - .actual_access:  read_only
        .address_space:  global
        .offset:         112
        .size:           8
        .value_kind:     global_buffer
      - .offset:         120
        .size:           4
        .value_kind:     by_value
      - .address_space:  global
        .offset:         128
        .size:           8
        .value_kind:     global_buffer
      - .address_space:  global
        .offset:         136
        .size:           8
        .value_kind:     global_buffer
      - .offset:         144
        .size:           4
        .value_kind:     hidden_block_count_x
      - .offset:         148
        .size:           4
        .value_kind:     hidden_block_count_y
      - .offset:         152
        .size:           4
        .value_kind:     hidden_block_count_z
      - .offset:         156
        .size:           2
        .value_kind:     hidden_group_size_x
      - .offset:         158
        .size:           2
        .value_kind:     hidden_group_size_y
      - .offset:         160
        .size:           2
        .value_kind:     hidden_group_size_z
      - .offset:         162
        .size:           2
        .value_kind:     hidden_remainder_x
      - .offset:         164
        .size:           2
        .value_kind:     hidden_remainder_y
      - .offset:         166
        .size:           2
        .value_kind:     hidden_remainder_z
      - .offset:         184
        .size:           8
        .value_kind:     hidden_global_offset_x
      - .offset:         192
        .size:           8
        .value_kind:     hidden_global_offset_y
      - .offset:         200
        .size:           8
        .value_kind:     hidden_global_offset_z
      - .offset:         208
        .size:           2
        .value_kind:     hidden_grid_dims
    .group_segment_fixed_size: 5280
    .kernarg_segment_align: 8
    .kernarg_segment_size: 400
    .language:       OpenCL C
    .language_version:
      - 2
      - 0
    .max_flat_workgroup_size: 256
    .name:           _Z38paged_attention_ll4mi_QKV_mfma4_kernelIDF16_DF16_LN4vllm18Fp8KVCacheDataTypeE0EhLi16ELi128ELi256ELb0ELi4EEvPKT_PKT0_S7_ifPKiS9_S9_iPKfiiiPfSC_PS2_PT2_iSB_SB_
    .private_segment_fixed_size: 0
    .sgpr_count:     44
    .sgpr_spill_count: 0
    .symbol:         _Z38paged_attention_ll4mi_QKV_mfma4_kernelIDF16_DF16_LN4vllm18Fp8KVCacheDataTypeE0EhLi16ELi128ELi256ELb0ELi4EEvPKT_PKT0_S7_ifPKiS9_S9_iPKfiiiPfSC_PS2_PT2_iSB_SB_.kd
    .uniform_work_group_size: 1
    .uses_dynamic_stack: false
    .vgpr_count:     104
    .vgpr_spill_count: 0
    .wavefront_size: 64
  - .agpr_count:     0
    .args:
      - .actual_access:  read_only
        .address_space:  global
        .offset:         0
        .size:           8
        .value_kind:     global_buffer
      - .actual_access:  read_only
        .address_space:  global
        .offset:         8
        .size:           8
        .value_kind:     global_buffer
      - .actual_access:  read_only
        .address_space:  global
        .offset:         16
        .size:           8
        .value_kind:     global_buffer
      - .offset:         24
        .size:           4
        .value_kind:     by_value
      - .offset:         28
        .size:           4
        .value_kind:     by_value
      - .actual_access:  read_only
        .address_space:  global
        .offset:         32
        .size:           8
        .value_kind:     global_buffer
      - .actual_access:  read_only
        .address_space:  global
        .offset:         40
        .size:           8
        .value_kind:     global_buffer
      - .actual_access:  read_only
        .address_space:  global
        .offset:         48
        .size:           8
        .value_kind:     global_buffer
      - .offset:         56
        .size:           4
        .value_kind:     by_value
      - .actual_access:  read_only
        .address_space:  global
        .offset:         64
        .size:           8
        .value_kind:     global_buffer
      - .offset:         72
        .size:           4
        .value_kind:     by_value
      - .offset:         76
        .size:           4
        .value_kind:     by_value
      - .offset:         80
        .size:           4
        .value_kind:     by_value
      - .actual_access:  write_only
        .address_space:  global
        .offset:         88
        .size:           8
        .value_kind:     global_buffer
      - .actual_access:  write_only
        .address_space:  global
        .offset:         96
        .size:           8
        .value_kind:     global_buffer
      - .actual_access:  write_only
        .address_space:  global
        .offset:         104
        .size:           8
        .value_kind:     global_buffer
      - .actual_access:  read_only
        .address_space:  global
        .offset:         112
        .size:           8
        .value_kind:     global_buffer
      - .offset:         120
        .size:           4
        .value_kind:     by_value
      - .address_space:  global
        .offset:         128
        .size:           8
        .value_kind:     global_buffer
      - .address_space:  global
        .offset:         136
        .size:           8
        .value_kind:     global_buffer
      - .offset:         144
        .size:           4
        .value_kind:     hidden_block_count_x
      - .offset:         148
        .size:           4
        .value_kind:     hidden_block_count_y
      - .offset:         152
        .size:           4
        .value_kind:     hidden_block_count_z
      - .offset:         156
        .size:           2
        .value_kind:     hidden_group_size_x
      - .offset:         158
        .size:           2
        .value_kind:     hidden_group_size_y
      - .offset:         160
        .size:           2
        .value_kind:     hidden_group_size_z
      - .offset:         162
        .size:           2
        .value_kind:     hidden_remainder_x
      - .offset:         164
        .size:           2
        .value_kind:     hidden_remainder_y
      - .offset:         166
        .size:           2
        .value_kind:     hidden_remainder_z
      - .offset:         184
        .size:           8
        .value_kind:     hidden_global_offset_x
      - .offset:         192
        .size:           8
        .value_kind:     hidden_global_offset_y
      - .offset:         200
        .size:           8
        .value_kind:     hidden_global_offset_z
      - .offset:         208
        .size:           2
        .value_kind:     hidden_grid_dims
    .group_segment_fixed_size: 8192
    .kernarg_segment_align: 8
    .kernarg_segment_size: 400
    .language:       OpenCL C
    .language_version:
      - 2
      - 0
    .max_flat_workgroup_size: 256
    .name:           _Z39paged_attention_ll4mi_QKV_mfma16_kernelIDF16_DF16_LN4vllm18Fp8KVCacheDataTypeE0EhLi16ELi128ELi256ELb0ELi5EEvPKT_PKT0_S7_ifPKiS9_S9_iPKfiiiPfSC_PS2_PT2_iSB_SB_
    .private_segment_fixed_size: 0
    .sgpr_count:     48
    .sgpr_spill_count: 0
    .symbol:         _Z39paged_attention_ll4mi_QKV_mfma16_kernelIDF16_DF16_LN4vllm18Fp8KVCacheDataTypeE0EhLi16ELi128ELi256ELb0ELi5EEvPKT_PKT0_S7_ifPKiS9_S9_iPKfiiiPfSC_PS2_PT2_iSB_SB_.kd
    .uniform_work_group_size: 1
    .uses_dynamic_stack: false
    .vgpr_count:     96
    .vgpr_spill_count: 0
    .wavefront_size: 64
  - .agpr_count:     0
    .args:
      - .actual_access:  read_only
        .address_space:  global
        .offset:         0
        .size:           8
        .value_kind:     global_buffer
      - .actual_access:  read_only
        .address_space:  global
        .offset:         8
        .size:           8
        .value_kind:     global_buffer
      - .actual_access:  read_only
        .address_space:  global
        .offset:         16
        .size:           8
        .value_kind:     global_buffer
      - .offset:         24
        .size:           4
        .value_kind:     by_value
      - .offset:         28
        .size:           4
        .value_kind:     by_value
      - .actual_access:  read_only
        .address_space:  global
        .offset:         32
        .size:           8
        .value_kind:     global_buffer
      - .actual_access:  read_only
        .address_space:  global
        .offset:         40
        .size:           8
        .value_kind:     global_buffer
      - .actual_access:  read_only
        .address_space:  global
        .offset:         48
        .size:           8
        .value_kind:     global_buffer
      - .offset:         56
        .size:           4
        .value_kind:     by_value
      - .actual_access:  read_only
        .address_space:  global
        .offset:         64
        .size:           8
        .value_kind:     global_buffer
      - .offset:         72
        .size:           4
        .value_kind:     by_value
      - .offset:         76
        .size:           4
        .value_kind:     by_value
      - .offset:         80
        .size:           4
        .value_kind:     by_value
      - .actual_access:  write_only
        .address_space:  global
        .offset:         88
        .size:           8
        .value_kind:     global_buffer
      - .actual_access:  write_only
        .address_space:  global
        .offset:         96
        .size:           8
        .value_kind:     global_buffer
      - .actual_access:  write_only
        .address_space:  global
        .offset:         104
        .size:           8
        .value_kind:     global_buffer
      - .actual_access:  read_only
        .address_space:  global
        .offset:         112
        .size:           8
        .value_kind:     global_buffer
      - .offset:         120
        .size:           4
        .value_kind:     by_value
      - .address_space:  global
        .offset:         128
        .size:           8
        .value_kind:     global_buffer
      - .address_space:  global
        .offset:         136
        .size:           8
        .value_kind:     global_buffer
      - .offset:         144
        .size:           4
        .value_kind:     hidden_block_count_x
      - .offset:         148
        .size:           4
        .value_kind:     hidden_block_count_y
      - .offset:         152
        .size:           4
        .value_kind:     hidden_block_count_z
      - .offset:         156
        .size:           2
        .value_kind:     hidden_group_size_x
      - .offset:         158
        .size:           2
        .value_kind:     hidden_group_size_y
      - .offset:         160
        .size:           2
        .value_kind:     hidden_group_size_z
      - .offset:         162
        .size:           2
        .value_kind:     hidden_remainder_x
      - .offset:         164
        .size:           2
        .value_kind:     hidden_remainder_y
      - .offset:         166
        .size:           2
        .value_kind:     hidden_remainder_z
      - .offset:         184
        .size:           8
        .value_kind:     hidden_global_offset_x
      - .offset:         192
        .size:           8
        .value_kind:     hidden_global_offset_y
      - .offset:         200
        .size:           8
        .value_kind:     hidden_global_offset_z
      - .offset:         208
        .size:           2
        .value_kind:     hidden_grid_dims
    .group_segment_fixed_size: 8192
    .kernarg_segment_align: 8
    .kernarg_segment_size: 400
    .language:       OpenCL C
    .language_version:
      - 2
      - 0
    .max_flat_workgroup_size: 256
    .name:           _Z39paged_attention_ll4mi_QKV_mfma16_kernelIDF16_DF16_LN4vllm18Fp8KVCacheDataTypeE0EhLi16ELi128ELi256ELb0ELi6EEvPKT_PKT0_S7_ifPKiS9_S9_iPKfiiiPfSC_PS2_PT2_iSB_SB_
    .private_segment_fixed_size: 0
    .sgpr_count:     48
    .sgpr_spill_count: 0
    .symbol:         _Z39paged_attention_ll4mi_QKV_mfma16_kernelIDF16_DF16_LN4vllm18Fp8KVCacheDataTypeE0EhLi16ELi128ELi256ELb0ELi6EEvPKT_PKT0_S7_ifPKiS9_S9_iPKfiiiPfSC_PS2_PT2_iSB_SB_.kd
    .uniform_work_group_size: 1
    .uses_dynamic_stack: false
    .vgpr_count:     96
    .vgpr_spill_count: 0
    .wavefront_size: 64
  - .agpr_count:     0
    .args:
      - .actual_access:  read_only
        .address_space:  global
        .offset:         0
        .size:           8
        .value_kind:     global_buffer
      - .actual_access:  read_only
        .address_space:  global
        .offset:         8
        .size:           8
        .value_kind:     global_buffer
      - .actual_access:  read_only
        .address_space:  global
        .offset:         16
        .size:           8
        .value_kind:     global_buffer
      - .offset:         24
        .size:           4
        .value_kind:     by_value
      - .offset:         28
        .size:           4
        .value_kind:     by_value
      - .actual_access:  read_only
        .address_space:  global
        .offset:         32
        .size:           8
        .value_kind:     global_buffer
      - .actual_access:  read_only
        .address_space:  global
        .offset:         40
        .size:           8
        .value_kind:     global_buffer
      - .actual_access:  read_only
        .address_space:  global
        .offset:         48
        .size:           8
        .value_kind:     global_buffer
      - .offset:         56
        .size:           4
        .value_kind:     by_value
      - .actual_access:  read_only
        .address_space:  global
        .offset:         64
        .size:           8
        .value_kind:     global_buffer
      - .offset:         72
        .size:           4
        .value_kind:     by_value
      - .offset:         76
        .size:           4
        .value_kind:     by_value
      - .offset:         80
        .size:           4
        .value_kind:     by_value
      - .actual_access:  write_only
        .address_space:  global
        .offset:         88
        .size:           8
        .value_kind:     global_buffer
      - .actual_access:  write_only
        .address_space:  global
        .offset:         96
        .size:           8
        .value_kind:     global_buffer
      - .actual_access:  write_only
        .address_space:  global
        .offset:         104
        .size:           8
        .value_kind:     global_buffer
      - .actual_access:  read_only
        .address_space:  global
        .offset:         112
        .size:           8
        .value_kind:     global_buffer
      - .offset:         120
        .size:           4
        .value_kind:     by_value
      - .address_space:  global
        .offset:         128
        .size:           8
        .value_kind:     global_buffer
      - .address_space:  global
        .offset:         136
        .size:           8
        .value_kind:     global_buffer
      - .offset:         144
        .size:           4
        .value_kind:     hidden_block_count_x
      - .offset:         148
        .size:           4
        .value_kind:     hidden_block_count_y
      - .offset:         152
        .size:           4
        .value_kind:     hidden_block_count_z
      - .offset:         156
        .size:           2
        .value_kind:     hidden_group_size_x
      - .offset:         158
        .size:           2
        .value_kind:     hidden_group_size_y
      - .offset:         160
        .size:           2
        .value_kind:     hidden_group_size_z
      - .offset:         162
        .size:           2
        .value_kind:     hidden_remainder_x
      - .offset:         164
        .size:           2
        .value_kind:     hidden_remainder_y
      - .offset:         166
        .size:           2
        .value_kind:     hidden_remainder_z
      - .offset:         184
        .size:           8
        .value_kind:     hidden_global_offset_x
      - .offset:         192
        .size:           8
        .value_kind:     hidden_global_offset_y
      - .offset:         200
        .size:           8
        .value_kind:     hidden_global_offset_z
      - .offset:         208
        .size:           2
        .value_kind:     hidden_grid_dims
    .group_segment_fixed_size: 8192
    .kernarg_segment_align: 8
    .kernarg_segment_size: 400
    .language:       OpenCL C
    .language_version:
      - 2
      - 0
    .max_flat_workgroup_size: 256
    .name:           _Z39paged_attention_ll4mi_QKV_mfma16_kernelIDF16_DF16_LN4vllm18Fp8KVCacheDataTypeE0EhLi16ELi128ELi256ELb0ELi7EEvPKT_PKT0_S7_ifPKiS9_S9_iPKfiiiPfSC_PS2_PT2_iSB_SB_
    .private_segment_fixed_size: 0
    .sgpr_count:     48
    .sgpr_spill_count: 0
    .symbol:         _Z39paged_attention_ll4mi_QKV_mfma16_kernelIDF16_DF16_LN4vllm18Fp8KVCacheDataTypeE0EhLi16ELi128ELi256ELb0ELi7EEvPKT_PKT0_S7_ifPKiS9_S9_iPKfiiiPfSC_PS2_PT2_iSB_SB_.kd
    .uniform_work_group_size: 1
    .uses_dynamic_stack: false
    .vgpr_count:     96
    .vgpr_spill_count: 0
    .wavefront_size: 64
  - .agpr_count:     0
    .args:
      - .actual_access:  read_only
        .address_space:  global
        .offset:         0
        .size:           8
        .value_kind:     global_buffer
      - .actual_access:  read_only
        .address_space:  global
        .offset:         8
        .size:           8
        .value_kind:     global_buffer
      - .actual_access:  read_only
        .address_space:  global
        .offset:         16
        .size:           8
        .value_kind:     global_buffer
      - .offset:         24
        .size:           4
        .value_kind:     by_value
      - .offset:         28
        .size:           4
        .value_kind:     by_value
      - .actual_access:  read_only
        .address_space:  global
        .offset:         32
        .size:           8
        .value_kind:     global_buffer
      - .actual_access:  read_only
        .address_space:  global
        .offset:         40
        .size:           8
        .value_kind:     global_buffer
      - .actual_access:  read_only
        .address_space:  global
        .offset:         48
        .size:           8
        .value_kind:     global_buffer
      - .offset:         56
        .size:           4
        .value_kind:     by_value
      - .actual_access:  read_only
        .address_space:  global
        .offset:         64
        .size:           8
        .value_kind:     global_buffer
      - .offset:         72
        .size:           4
        .value_kind:     by_value
      - .offset:         76
        .size:           4
        .value_kind:     by_value
      - .offset:         80
        .size:           4
        .value_kind:     by_value
      - .actual_access:  write_only
        .address_space:  global
        .offset:         88
        .size:           8
        .value_kind:     global_buffer
      - .actual_access:  write_only
        .address_space:  global
        .offset:         96
        .size:           8
        .value_kind:     global_buffer
      - .actual_access:  write_only
        .address_space:  global
        .offset:         104
        .size:           8
        .value_kind:     global_buffer
      - .actual_access:  read_only
        .address_space:  global
        .offset:         112
        .size:           8
        .value_kind:     global_buffer
      - .offset:         120
        .size:           4
        .value_kind:     by_value
      - .address_space:  global
        .offset:         128
        .size:           8
        .value_kind:     global_buffer
      - .address_space:  global
        .offset:         136
        .size:           8
        .value_kind:     global_buffer
      - .offset:         144
        .size:           4
        .value_kind:     hidden_block_count_x
      - .offset:         148
        .size:           4
        .value_kind:     hidden_block_count_y
      - .offset:         152
        .size:           4
        .value_kind:     hidden_block_count_z
      - .offset:         156
        .size:           2
        .value_kind:     hidden_group_size_x
      - .offset:         158
        .size:           2
        .value_kind:     hidden_group_size_y
      - .offset:         160
        .size:           2
        .value_kind:     hidden_group_size_z
      - .offset:         162
        .size:           2
        .value_kind:     hidden_remainder_x
      - .offset:         164
        .size:           2
        .value_kind:     hidden_remainder_y
      - .offset:         166
        .size:           2
        .value_kind:     hidden_remainder_z
      - .offset:         184
        .size:           8
        .value_kind:     hidden_global_offset_x
      - .offset:         192
        .size:           8
        .value_kind:     hidden_global_offset_y
      - .offset:         200
        .size:           8
        .value_kind:     hidden_global_offset_z
      - .offset:         208
        .size:           2
        .value_kind:     hidden_grid_dims
    .group_segment_fixed_size: 8192
    .kernarg_segment_align: 8
    .kernarg_segment_size: 400
    .language:       OpenCL C
    .language_version:
      - 2
      - 0
    .max_flat_workgroup_size: 256
    .name:           _Z39paged_attention_ll4mi_QKV_mfma16_kernelIDF16_DF16_LN4vllm18Fp8KVCacheDataTypeE0EhLi16ELi128ELi256ELb0ELi8EEvPKT_PKT0_S7_ifPKiS9_S9_iPKfiiiPfSC_PS2_PT2_iSB_SB_
    .private_segment_fixed_size: 0
    .sgpr_count:     47
    .sgpr_spill_count: 0
    .symbol:         _Z39paged_attention_ll4mi_QKV_mfma16_kernelIDF16_DF16_LN4vllm18Fp8KVCacheDataTypeE0EhLi16ELi128ELi256ELb0ELi8EEvPKT_PKT0_S7_ifPKiS9_S9_iPKfiiiPfSC_PS2_PT2_iSB_SB_.kd
    .uniform_work_group_size: 1
    .uses_dynamic_stack: false
    .vgpr_count:     96
    .vgpr_spill_count: 0
    .wavefront_size: 64
  - .agpr_count:     0
    .args:
      - .actual_access:  read_only
        .address_space:  global
        .offset:         0
        .size:           8
        .value_kind:     global_buffer
      - .actual_access:  read_only
        .address_space:  global
        .offset:         8
        .size:           8
        .value_kind:     global_buffer
      - .actual_access:  read_only
        .address_space:  global
        .offset:         16
        .size:           8
        .value_kind:     global_buffer
      - .offset:         24
        .size:           4
        .value_kind:     by_value
      - .offset:         28
        .size:           4
        .value_kind:     by_value
      - .actual_access:  read_only
        .address_space:  global
        .offset:         32
        .size:           8
        .value_kind:     global_buffer
      - .actual_access:  read_only
        .address_space:  global
        .offset:         40
        .size:           8
        .value_kind:     global_buffer
      - .actual_access:  read_only
        .address_space:  global
        .offset:         48
        .size:           8
        .value_kind:     global_buffer
      - .offset:         56
        .size:           4
        .value_kind:     by_value
      - .actual_access:  read_only
        .address_space:  global
        .offset:         64
        .size:           8
        .value_kind:     global_buffer
      - .offset:         72
        .size:           4
        .value_kind:     by_value
      - .offset:         76
        .size:           4
        .value_kind:     by_value
      - .offset:         80
        .size:           4
        .value_kind:     by_value
      - .actual_access:  write_only
        .address_space:  global
        .offset:         88
        .size:           8
        .value_kind:     global_buffer
      - .actual_access:  write_only
        .address_space:  global
        .offset:         96
        .size:           8
        .value_kind:     global_buffer
      - .actual_access:  write_only
        .address_space:  global
        .offset:         104
        .size:           8
        .value_kind:     global_buffer
      - .actual_access:  read_only
        .address_space:  global
        .offset:         112
        .size:           8
        .value_kind:     global_buffer
      - .offset:         120
        .size:           4
        .value_kind:     by_value
      - .address_space:  global
        .offset:         128
        .size:           8
        .value_kind:     global_buffer
      - .address_space:  global
        .offset:         136
        .size:           8
        .value_kind:     global_buffer
      - .offset:         144
        .size:           4
        .value_kind:     hidden_block_count_x
      - .offset:         148
        .size:           4
        .value_kind:     hidden_block_count_y
      - .offset:         152
        .size:           4
        .value_kind:     hidden_block_count_z
      - .offset:         156
        .size:           2
        .value_kind:     hidden_group_size_x
      - .offset:         158
        .size:           2
        .value_kind:     hidden_group_size_y
      - .offset:         160
        .size:           2
        .value_kind:     hidden_group_size_z
      - .offset:         162
        .size:           2
        .value_kind:     hidden_remainder_x
      - .offset:         164
        .size:           2
        .value_kind:     hidden_remainder_y
      - .offset:         166
        .size:           2
        .value_kind:     hidden_remainder_z
      - .offset:         184
        .size:           8
        .value_kind:     hidden_global_offset_x
      - .offset:         192
        .size:           8
        .value_kind:     hidden_global_offset_y
      - .offset:         200
        .size:           8
        .value_kind:     hidden_global_offset_z
      - .offset:         208
        .size:           2
        .value_kind:     hidden_grid_dims
    .group_segment_fixed_size: 8192
    .kernarg_segment_align: 8
    .kernarg_segment_size: 400
    .language:       OpenCL C
    .language_version:
      - 2
      - 0
    .max_flat_workgroup_size: 256
    .name:           _Z39paged_attention_ll4mi_QKV_mfma16_kernelIDF16_DF16_LN4vllm18Fp8KVCacheDataTypeE0EhLi16ELi128ELi256ELb0ELi9EEvPKT_PKT0_S7_ifPKiS9_S9_iPKfiiiPfSC_PS2_PT2_iSB_SB_
    .private_segment_fixed_size: 0
    .sgpr_count:     48
    .sgpr_spill_count: 0
    .symbol:         _Z39paged_attention_ll4mi_QKV_mfma16_kernelIDF16_DF16_LN4vllm18Fp8KVCacheDataTypeE0EhLi16ELi128ELi256ELb0ELi9EEvPKT_PKT0_S7_ifPKiS9_S9_iPKfiiiPfSC_PS2_PT2_iSB_SB_.kd
    .uniform_work_group_size: 1
    .uses_dynamic_stack: false
    .vgpr_count:     96
    .vgpr_spill_count: 0
    .wavefront_size: 64
  - .agpr_count:     0
    .args:
      - .actual_access:  read_only
        .address_space:  global
        .offset:         0
        .size:           8
        .value_kind:     global_buffer
      - .actual_access:  read_only
        .address_space:  global
        .offset:         8
        .size:           8
        .value_kind:     global_buffer
      - .actual_access:  read_only
        .address_space:  global
        .offset:         16
        .size:           8
        .value_kind:     global_buffer
      - .offset:         24
        .size:           4
        .value_kind:     by_value
      - .offset:         28
        .size:           4
        .value_kind:     by_value
      - .actual_access:  read_only
        .address_space:  global
        .offset:         32
        .size:           8
        .value_kind:     global_buffer
      - .actual_access:  read_only
        .address_space:  global
        .offset:         40
        .size:           8
        .value_kind:     global_buffer
      - .actual_access:  read_only
        .address_space:  global
        .offset:         48
        .size:           8
        .value_kind:     global_buffer
      - .offset:         56
        .size:           4
        .value_kind:     by_value
      - .actual_access:  read_only
        .address_space:  global
        .offset:         64
        .size:           8
        .value_kind:     global_buffer
      - .offset:         72
        .size:           4
        .value_kind:     by_value
      - .offset:         76
        .size:           4
        .value_kind:     by_value
      - .offset:         80
        .size:           4
        .value_kind:     by_value
      - .actual_access:  write_only
        .address_space:  global
        .offset:         88
        .size:           8
        .value_kind:     global_buffer
      - .actual_access:  write_only
        .address_space:  global
        .offset:         96
        .size:           8
        .value_kind:     global_buffer
      - .actual_access:  write_only
        .address_space:  global
        .offset:         104
        .size:           8
        .value_kind:     global_buffer
      - .actual_access:  read_only
        .address_space:  global
        .offset:         112
        .size:           8
        .value_kind:     global_buffer
      - .offset:         120
        .size:           4
        .value_kind:     by_value
      - .address_space:  global
        .offset:         128
        .size:           8
        .value_kind:     global_buffer
      - .address_space:  global
        .offset:         136
        .size:           8
        .value_kind:     global_buffer
      - .offset:         144
        .size:           4
        .value_kind:     hidden_block_count_x
      - .offset:         148
        .size:           4
        .value_kind:     hidden_block_count_y
      - .offset:         152
        .size:           4
        .value_kind:     hidden_block_count_z
      - .offset:         156
        .size:           2
        .value_kind:     hidden_group_size_x
      - .offset:         158
        .size:           2
        .value_kind:     hidden_group_size_y
      - .offset:         160
        .size:           2
        .value_kind:     hidden_group_size_z
      - .offset:         162
        .size:           2
        .value_kind:     hidden_remainder_x
      - .offset:         164
        .size:           2
        .value_kind:     hidden_remainder_y
      - .offset:         166
        .size:           2
        .value_kind:     hidden_remainder_z
      - .offset:         184
        .size:           8
        .value_kind:     hidden_global_offset_x
      - .offset:         192
        .size:           8
        .value_kind:     hidden_global_offset_y
      - .offset:         200
        .size:           8
        .value_kind:     hidden_global_offset_z
      - .offset:         208
        .size:           2
        .value_kind:     hidden_grid_dims
    .group_segment_fixed_size: 8192
    .kernarg_segment_align: 8
    .kernarg_segment_size: 400
    .language:       OpenCL C
    .language_version:
      - 2
      - 0
    .max_flat_workgroup_size: 256
    .name:           _Z39paged_attention_ll4mi_QKV_mfma16_kernelIDF16_DF16_LN4vllm18Fp8KVCacheDataTypeE0EhLi16ELi128ELi256ELb0ELi10EEvPKT_PKT0_S7_ifPKiS9_S9_iPKfiiiPfSC_PS2_PT2_iSB_SB_
    .private_segment_fixed_size: 0
    .sgpr_count:     48
    .sgpr_spill_count: 0
    .symbol:         _Z39paged_attention_ll4mi_QKV_mfma16_kernelIDF16_DF16_LN4vllm18Fp8KVCacheDataTypeE0EhLi16ELi128ELi256ELb0ELi10EEvPKT_PKT0_S7_ifPKiS9_S9_iPKfiiiPfSC_PS2_PT2_iSB_SB_.kd
    .uniform_work_group_size: 1
    .uses_dynamic_stack: false
    .vgpr_count:     96
    .vgpr_spill_count: 0
    .wavefront_size: 64
  - .agpr_count:     0
    .args:
      - .actual_access:  read_only
        .address_space:  global
        .offset:         0
        .size:           8
        .value_kind:     global_buffer
      - .actual_access:  read_only
        .address_space:  global
        .offset:         8
        .size:           8
        .value_kind:     global_buffer
      - .actual_access:  read_only
        .address_space:  global
        .offset:         16
        .size:           8
        .value_kind:     global_buffer
      - .offset:         24
        .size:           4
        .value_kind:     by_value
      - .offset:         28
        .size:           4
        .value_kind:     by_value
      - .actual_access:  read_only
        .address_space:  global
        .offset:         32
        .size:           8
        .value_kind:     global_buffer
      - .actual_access:  read_only
        .address_space:  global
        .offset:         40
        .size:           8
        .value_kind:     global_buffer
      - .actual_access:  read_only
        .address_space:  global
        .offset:         48
        .size:           8
        .value_kind:     global_buffer
      - .offset:         56
        .size:           4
        .value_kind:     by_value
      - .actual_access:  read_only
        .address_space:  global
        .offset:         64
        .size:           8
        .value_kind:     global_buffer
      - .offset:         72
        .size:           4
        .value_kind:     by_value
      - .offset:         76
        .size:           4
        .value_kind:     by_value
      - .offset:         80
        .size:           4
        .value_kind:     by_value
      - .actual_access:  write_only
        .address_space:  global
        .offset:         88
        .size:           8
        .value_kind:     global_buffer
      - .actual_access:  write_only
        .address_space:  global
        .offset:         96
        .size:           8
        .value_kind:     global_buffer
      - .actual_access:  write_only
        .address_space:  global
        .offset:         104
        .size:           8
        .value_kind:     global_buffer
      - .actual_access:  read_only
        .address_space:  global
        .offset:         112
        .size:           8
        .value_kind:     global_buffer
      - .offset:         120
        .size:           4
        .value_kind:     by_value
      - .address_space:  global
        .offset:         128
        .size:           8
        .value_kind:     global_buffer
      - .address_space:  global
        .offset:         136
        .size:           8
        .value_kind:     global_buffer
      - .offset:         144
        .size:           4
        .value_kind:     hidden_block_count_x
      - .offset:         148
        .size:           4
        .value_kind:     hidden_block_count_y
      - .offset:         152
        .size:           4
        .value_kind:     hidden_block_count_z
      - .offset:         156
        .size:           2
        .value_kind:     hidden_group_size_x
      - .offset:         158
        .size:           2
        .value_kind:     hidden_group_size_y
      - .offset:         160
        .size:           2
        .value_kind:     hidden_group_size_z
      - .offset:         162
        .size:           2
        .value_kind:     hidden_remainder_x
      - .offset:         164
        .size:           2
        .value_kind:     hidden_remainder_y
      - .offset:         166
        .size:           2
        .value_kind:     hidden_remainder_z
      - .offset:         184
        .size:           8
        .value_kind:     hidden_global_offset_x
      - .offset:         192
        .size:           8
        .value_kind:     hidden_global_offset_y
      - .offset:         200
        .size:           8
        .value_kind:     hidden_global_offset_z
      - .offset:         208
        .size:           2
        .value_kind:     hidden_grid_dims
    .group_segment_fixed_size: 8192
    .kernarg_segment_align: 8
    .kernarg_segment_size: 400
    .language:       OpenCL C
    .language_version:
      - 2
      - 0
    .max_flat_workgroup_size: 256
    .name:           _Z39paged_attention_ll4mi_QKV_mfma16_kernelIDF16_DF16_LN4vllm18Fp8KVCacheDataTypeE0EhLi16ELi128ELi256ELb0ELi11EEvPKT_PKT0_S7_ifPKiS9_S9_iPKfiiiPfSC_PS2_PT2_iSB_SB_
    .private_segment_fixed_size: 0
    .sgpr_count:     48
    .sgpr_spill_count: 0
    .symbol:         _Z39paged_attention_ll4mi_QKV_mfma16_kernelIDF16_DF16_LN4vllm18Fp8KVCacheDataTypeE0EhLi16ELi128ELi256ELb0ELi11EEvPKT_PKT0_S7_ifPKiS9_S9_iPKfiiiPfSC_PS2_PT2_iSB_SB_.kd
    .uniform_work_group_size: 1
    .uses_dynamic_stack: false
    .vgpr_count:     96
    .vgpr_spill_count: 0
    .wavefront_size: 64
  - .agpr_count:     0
    .args:
      - .actual_access:  read_only
        .address_space:  global
        .offset:         0
        .size:           8
        .value_kind:     global_buffer
      - .actual_access:  read_only
        .address_space:  global
        .offset:         8
        .size:           8
        .value_kind:     global_buffer
      - .actual_access:  read_only
        .address_space:  global
        .offset:         16
        .size:           8
        .value_kind:     global_buffer
      - .offset:         24
        .size:           4
        .value_kind:     by_value
      - .offset:         28
        .size:           4
        .value_kind:     by_value
      - .actual_access:  read_only
        .address_space:  global
        .offset:         32
        .size:           8
        .value_kind:     global_buffer
      - .actual_access:  read_only
        .address_space:  global
        .offset:         40
        .size:           8
        .value_kind:     global_buffer
      - .actual_access:  read_only
        .address_space:  global
        .offset:         48
        .size:           8
        .value_kind:     global_buffer
      - .offset:         56
        .size:           4
        .value_kind:     by_value
      - .actual_access:  read_only
        .address_space:  global
        .offset:         64
        .size:           8
        .value_kind:     global_buffer
      - .offset:         72
        .size:           4
        .value_kind:     by_value
      - .offset:         76
        .size:           4
        .value_kind:     by_value
      - .offset:         80
        .size:           4
        .value_kind:     by_value
      - .actual_access:  write_only
        .address_space:  global
        .offset:         88
        .size:           8
        .value_kind:     global_buffer
      - .actual_access:  write_only
        .address_space:  global
        .offset:         96
        .size:           8
        .value_kind:     global_buffer
      - .actual_access:  write_only
        .address_space:  global
        .offset:         104
        .size:           8
        .value_kind:     global_buffer
      - .actual_access:  read_only
        .address_space:  global
        .offset:         112
        .size:           8
        .value_kind:     global_buffer
      - .offset:         120
        .size:           4
        .value_kind:     by_value
      - .address_space:  global
        .offset:         128
        .size:           8
        .value_kind:     global_buffer
      - .address_space:  global
        .offset:         136
        .size:           8
        .value_kind:     global_buffer
      - .offset:         144
        .size:           4
        .value_kind:     hidden_block_count_x
      - .offset:         148
        .size:           4
        .value_kind:     hidden_block_count_y
      - .offset:         152
        .size:           4
        .value_kind:     hidden_block_count_z
      - .offset:         156
        .size:           2
        .value_kind:     hidden_group_size_x
      - .offset:         158
        .size:           2
        .value_kind:     hidden_group_size_y
      - .offset:         160
        .size:           2
        .value_kind:     hidden_group_size_z
      - .offset:         162
        .size:           2
        .value_kind:     hidden_remainder_x
      - .offset:         164
        .size:           2
        .value_kind:     hidden_remainder_y
      - .offset:         166
        .size:           2
        .value_kind:     hidden_remainder_z
      - .offset:         184
        .size:           8
        .value_kind:     hidden_global_offset_x
      - .offset:         192
        .size:           8
        .value_kind:     hidden_global_offset_y
      - .offset:         200
        .size:           8
        .value_kind:     hidden_global_offset_z
      - .offset:         208
        .size:           2
        .value_kind:     hidden_grid_dims
    .group_segment_fixed_size: 8192
    .kernarg_segment_align: 8
    .kernarg_segment_size: 400
    .language:       OpenCL C
    .language_version:
      - 2
      - 0
    .max_flat_workgroup_size: 256
    .name:           _Z39paged_attention_ll4mi_QKV_mfma16_kernelIDF16_DF16_LN4vllm18Fp8KVCacheDataTypeE0EhLi16ELi128ELi256ELb0ELi12EEvPKT_PKT0_S7_ifPKiS9_S9_iPKfiiiPfSC_PS2_PT2_iSB_SB_
    .private_segment_fixed_size: 0
    .sgpr_count:     48
    .sgpr_spill_count: 0
    .symbol:         _Z39paged_attention_ll4mi_QKV_mfma16_kernelIDF16_DF16_LN4vllm18Fp8KVCacheDataTypeE0EhLi16ELi128ELi256ELb0ELi12EEvPKT_PKT0_S7_ifPKiS9_S9_iPKfiiiPfSC_PS2_PT2_iSB_SB_.kd
    .uniform_work_group_size: 1
    .uses_dynamic_stack: false
    .vgpr_count:     96
    .vgpr_spill_count: 0
    .wavefront_size: 64
  - .agpr_count:     0
    .args:
      - .actual_access:  read_only
        .address_space:  global
        .offset:         0
        .size:           8
        .value_kind:     global_buffer
      - .actual_access:  read_only
        .address_space:  global
        .offset:         8
        .size:           8
        .value_kind:     global_buffer
      - .actual_access:  read_only
        .address_space:  global
        .offset:         16
        .size:           8
        .value_kind:     global_buffer
      - .offset:         24
        .size:           4
        .value_kind:     by_value
      - .offset:         28
        .size:           4
        .value_kind:     by_value
      - .actual_access:  read_only
        .address_space:  global
        .offset:         32
        .size:           8
        .value_kind:     global_buffer
      - .actual_access:  read_only
        .address_space:  global
        .offset:         40
        .size:           8
        .value_kind:     global_buffer
      - .actual_access:  read_only
        .address_space:  global
        .offset:         48
        .size:           8
        .value_kind:     global_buffer
      - .offset:         56
        .size:           4
        .value_kind:     by_value
      - .actual_access:  read_only
        .address_space:  global
        .offset:         64
        .size:           8
        .value_kind:     global_buffer
      - .offset:         72
        .size:           4
        .value_kind:     by_value
      - .offset:         76
        .size:           4
        .value_kind:     by_value
      - .offset:         80
        .size:           4
        .value_kind:     by_value
      - .actual_access:  write_only
        .address_space:  global
        .offset:         88
        .size:           8
        .value_kind:     global_buffer
      - .actual_access:  write_only
        .address_space:  global
        .offset:         96
        .size:           8
        .value_kind:     global_buffer
      - .actual_access:  write_only
        .address_space:  global
        .offset:         104
        .size:           8
        .value_kind:     global_buffer
      - .actual_access:  read_only
        .address_space:  global
        .offset:         112
        .size:           8
        .value_kind:     global_buffer
      - .offset:         120
        .size:           4
        .value_kind:     by_value
      - .address_space:  global
        .offset:         128
        .size:           8
        .value_kind:     global_buffer
      - .address_space:  global
        .offset:         136
        .size:           8
        .value_kind:     global_buffer
      - .offset:         144
        .size:           4
        .value_kind:     hidden_block_count_x
      - .offset:         148
        .size:           4
        .value_kind:     hidden_block_count_y
      - .offset:         152
        .size:           4
        .value_kind:     hidden_block_count_z
      - .offset:         156
        .size:           2
        .value_kind:     hidden_group_size_x
      - .offset:         158
        .size:           2
        .value_kind:     hidden_group_size_y
      - .offset:         160
        .size:           2
        .value_kind:     hidden_group_size_z
      - .offset:         162
        .size:           2
        .value_kind:     hidden_remainder_x
      - .offset:         164
        .size:           2
        .value_kind:     hidden_remainder_y
      - .offset:         166
        .size:           2
        .value_kind:     hidden_remainder_z
      - .offset:         184
        .size:           8
        .value_kind:     hidden_global_offset_x
      - .offset:         192
        .size:           8
        .value_kind:     hidden_global_offset_y
      - .offset:         200
        .size:           8
        .value_kind:     hidden_global_offset_z
      - .offset:         208
        .size:           2
        .value_kind:     hidden_grid_dims
    .group_segment_fixed_size: 8192
    .kernarg_segment_align: 8
    .kernarg_segment_size: 400
    .language:       OpenCL C
    .language_version:
      - 2
      - 0
    .max_flat_workgroup_size: 256
    .name:           _Z39paged_attention_ll4mi_QKV_mfma16_kernelIDF16_DF16_LN4vllm18Fp8KVCacheDataTypeE0EhLi16ELi128ELi256ELb0ELi13EEvPKT_PKT0_S7_ifPKiS9_S9_iPKfiiiPfSC_PS2_PT2_iSB_SB_
    .private_segment_fixed_size: 0
    .sgpr_count:     48
    .sgpr_spill_count: 0
    .symbol:         _Z39paged_attention_ll4mi_QKV_mfma16_kernelIDF16_DF16_LN4vllm18Fp8KVCacheDataTypeE0EhLi16ELi128ELi256ELb0ELi13EEvPKT_PKT0_S7_ifPKiS9_S9_iPKfiiiPfSC_PS2_PT2_iSB_SB_.kd
    .uniform_work_group_size: 1
    .uses_dynamic_stack: false
    .vgpr_count:     96
    .vgpr_spill_count: 0
    .wavefront_size: 64
  - .agpr_count:     0
    .args:
      - .actual_access:  read_only
        .address_space:  global
        .offset:         0
        .size:           8
        .value_kind:     global_buffer
      - .actual_access:  read_only
        .address_space:  global
        .offset:         8
        .size:           8
        .value_kind:     global_buffer
      - .actual_access:  read_only
        .address_space:  global
        .offset:         16
        .size:           8
        .value_kind:     global_buffer
      - .offset:         24
        .size:           4
        .value_kind:     by_value
      - .offset:         28
        .size:           4
        .value_kind:     by_value
      - .actual_access:  read_only
        .address_space:  global
        .offset:         32
        .size:           8
        .value_kind:     global_buffer
      - .actual_access:  read_only
        .address_space:  global
        .offset:         40
        .size:           8
        .value_kind:     global_buffer
      - .actual_access:  read_only
        .address_space:  global
        .offset:         48
        .size:           8
        .value_kind:     global_buffer
      - .offset:         56
        .size:           4
        .value_kind:     by_value
      - .actual_access:  read_only
        .address_space:  global
        .offset:         64
        .size:           8
        .value_kind:     global_buffer
      - .offset:         72
        .size:           4
        .value_kind:     by_value
      - .offset:         76
        .size:           4
        .value_kind:     by_value
      - .offset:         80
        .size:           4
        .value_kind:     by_value
      - .actual_access:  write_only
        .address_space:  global
        .offset:         88
        .size:           8
        .value_kind:     global_buffer
      - .actual_access:  write_only
        .address_space:  global
        .offset:         96
        .size:           8
        .value_kind:     global_buffer
      - .actual_access:  write_only
        .address_space:  global
        .offset:         104
        .size:           8
        .value_kind:     global_buffer
      - .actual_access:  read_only
        .address_space:  global
        .offset:         112
        .size:           8
        .value_kind:     global_buffer
      - .offset:         120
        .size:           4
        .value_kind:     by_value
      - .address_space:  global
        .offset:         128
        .size:           8
        .value_kind:     global_buffer
      - .address_space:  global
        .offset:         136
        .size:           8
        .value_kind:     global_buffer
      - .offset:         144
        .size:           4
        .value_kind:     hidden_block_count_x
      - .offset:         148
        .size:           4
        .value_kind:     hidden_block_count_y
      - .offset:         152
        .size:           4
        .value_kind:     hidden_block_count_z
      - .offset:         156
        .size:           2
        .value_kind:     hidden_group_size_x
      - .offset:         158
        .size:           2
        .value_kind:     hidden_group_size_y
      - .offset:         160
        .size:           2
        .value_kind:     hidden_group_size_z
      - .offset:         162
        .size:           2
        .value_kind:     hidden_remainder_x
      - .offset:         164
        .size:           2
        .value_kind:     hidden_remainder_y
      - .offset:         166
        .size:           2
        .value_kind:     hidden_remainder_z
      - .offset:         184
        .size:           8
        .value_kind:     hidden_global_offset_x
      - .offset:         192
        .size:           8
        .value_kind:     hidden_global_offset_y
      - .offset:         200
        .size:           8
        .value_kind:     hidden_global_offset_z
      - .offset:         208
        .size:           2
        .value_kind:     hidden_grid_dims
    .group_segment_fixed_size: 8192
    .kernarg_segment_align: 8
    .kernarg_segment_size: 400
    .language:       OpenCL C
    .language_version:
      - 2
      - 0
    .max_flat_workgroup_size: 256
    .name:           _Z39paged_attention_ll4mi_QKV_mfma16_kernelIDF16_DF16_LN4vllm18Fp8KVCacheDataTypeE0EhLi16ELi128ELi256ELb0ELi14EEvPKT_PKT0_S7_ifPKiS9_S9_iPKfiiiPfSC_PS2_PT2_iSB_SB_
    .private_segment_fixed_size: 0
    .sgpr_count:     48
    .sgpr_spill_count: 0
    .symbol:         _Z39paged_attention_ll4mi_QKV_mfma16_kernelIDF16_DF16_LN4vllm18Fp8KVCacheDataTypeE0EhLi16ELi128ELi256ELb0ELi14EEvPKT_PKT0_S7_ifPKiS9_S9_iPKfiiiPfSC_PS2_PT2_iSB_SB_.kd
    .uniform_work_group_size: 1
    .uses_dynamic_stack: false
    .vgpr_count:     96
    .vgpr_spill_count: 0
    .wavefront_size: 64
  - .agpr_count:     0
    .args:
      - .actual_access:  read_only
        .address_space:  global
        .offset:         0
        .size:           8
        .value_kind:     global_buffer
      - .actual_access:  read_only
        .address_space:  global
        .offset:         8
        .size:           8
        .value_kind:     global_buffer
      - .actual_access:  read_only
        .address_space:  global
        .offset:         16
        .size:           8
        .value_kind:     global_buffer
      - .offset:         24
        .size:           4
        .value_kind:     by_value
      - .offset:         28
        .size:           4
        .value_kind:     by_value
      - .actual_access:  read_only
        .address_space:  global
        .offset:         32
        .size:           8
        .value_kind:     global_buffer
      - .actual_access:  read_only
        .address_space:  global
        .offset:         40
        .size:           8
        .value_kind:     global_buffer
      - .actual_access:  read_only
        .address_space:  global
        .offset:         48
        .size:           8
        .value_kind:     global_buffer
      - .offset:         56
        .size:           4
        .value_kind:     by_value
      - .actual_access:  read_only
        .address_space:  global
        .offset:         64
        .size:           8
        .value_kind:     global_buffer
      - .offset:         72
        .size:           4
        .value_kind:     by_value
      - .offset:         76
        .size:           4
        .value_kind:     by_value
      - .offset:         80
        .size:           4
        .value_kind:     by_value
      - .actual_access:  write_only
        .address_space:  global
        .offset:         88
        .size:           8
        .value_kind:     global_buffer
      - .actual_access:  write_only
        .address_space:  global
        .offset:         96
        .size:           8
        .value_kind:     global_buffer
      - .actual_access:  write_only
        .address_space:  global
        .offset:         104
        .size:           8
        .value_kind:     global_buffer
      - .actual_access:  read_only
        .address_space:  global
        .offset:         112
        .size:           8
        .value_kind:     global_buffer
      - .offset:         120
        .size:           4
        .value_kind:     by_value
      - .address_space:  global
        .offset:         128
        .size:           8
        .value_kind:     global_buffer
      - .address_space:  global
        .offset:         136
        .size:           8
        .value_kind:     global_buffer
      - .offset:         144
        .size:           4
        .value_kind:     hidden_block_count_x
      - .offset:         148
        .size:           4
        .value_kind:     hidden_block_count_y
      - .offset:         152
        .size:           4
        .value_kind:     hidden_block_count_z
      - .offset:         156
        .size:           2
        .value_kind:     hidden_group_size_x
      - .offset:         158
        .size:           2
        .value_kind:     hidden_group_size_y
      - .offset:         160
        .size:           2
        .value_kind:     hidden_group_size_z
      - .offset:         162
        .size:           2
        .value_kind:     hidden_remainder_x
      - .offset:         164
        .size:           2
        .value_kind:     hidden_remainder_y
      - .offset:         166
        .size:           2
        .value_kind:     hidden_remainder_z
      - .offset:         184
        .size:           8
        .value_kind:     hidden_global_offset_x
      - .offset:         192
        .size:           8
        .value_kind:     hidden_global_offset_y
      - .offset:         200
        .size:           8
        .value_kind:     hidden_global_offset_z
      - .offset:         208
        .size:           2
        .value_kind:     hidden_grid_dims
    .group_segment_fixed_size: 8192
    .kernarg_segment_align: 8
    .kernarg_segment_size: 400
    .language:       OpenCL C
    .language_version:
      - 2
      - 0
    .max_flat_workgroup_size: 256
    .name:           _Z39paged_attention_ll4mi_QKV_mfma16_kernelIDF16_DF16_LN4vllm18Fp8KVCacheDataTypeE0EhLi16ELi128ELi256ELb0ELi15EEvPKT_PKT0_S7_ifPKiS9_S9_iPKfiiiPfSC_PS2_PT2_iSB_SB_
    .private_segment_fixed_size: 0
    .sgpr_count:     48
    .sgpr_spill_count: 0
    .symbol:         _Z39paged_attention_ll4mi_QKV_mfma16_kernelIDF16_DF16_LN4vllm18Fp8KVCacheDataTypeE0EhLi16ELi128ELi256ELb0ELi15EEvPKT_PKT0_S7_ifPKiS9_S9_iPKfiiiPfSC_PS2_PT2_iSB_SB_.kd
    .uniform_work_group_size: 1
    .uses_dynamic_stack: false
    .vgpr_count:     96
    .vgpr_spill_count: 0
    .wavefront_size: 64
  - .agpr_count:     0
    .args:
      - .actual_access:  read_only
        .address_space:  global
        .offset:         0
        .size:           8
        .value_kind:     global_buffer
      - .actual_access:  read_only
        .address_space:  global
        .offset:         8
        .size:           8
        .value_kind:     global_buffer
      - .actual_access:  read_only
        .address_space:  global
        .offset:         16
        .size:           8
        .value_kind:     global_buffer
      - .offset:         24
        .size:           4
        .value_kind:     by_value
      - .offset:         28
        .size:           4
        .value_kind:     by_value
      - .actual_access:  read_only
        .address_space:  global
        .offset:         32
        .size:           8
        .value_kind:     global_buffer
      - .actual_access:  read_only
        .address_space:  global
        .offset:         40
        .size:           8
        .value_kind:     global_buffer
      - .actual_access:  read_only
        .address_space:  global
        .offset:         48
        .size:           8
        .value_kind:     global_buffer
      - .offset:         56
        .size:           4
        .value_kind:     by_value
      - .actual_access:  read_only
        .address_space:  global
        .offset:         64
        .size:           8
        .value_kind:     global_buffer
      - .offset:         72
        .size:           4
        .value_kind:     by_value
      - .offset:         76
        .size:           4
        .value_kind:     by_value
      - .offset:         80
        .size:           4
        .value_kind:     by_value
      - .actual_access:  write_only
        .address_space:  global
        .offset:         88
        .size:           8
        .value_kind:     global_buffer
      - .actual_access:  write_only
        .address_space:  global
        .offset:         96
        .size:           8
        .value_kind:     global_buffer
      - .actual_access:  write_only
        .address_space:  global
        .offset:         104
        .size:           8
        .value_kind:     global_buffer
      - .actual_access:  read_only
        .address_space:  global
        .offset:         112
        .size:           8
        .value_kind:     global_buffer
      - .offset:         120
        .size:           4
        .value_kind:     by_value
      - .address_space:  global
        .offset:         128
        .size:           8
        .value_kind:     global_buffer
      - .address_space:  global
        .offset:         136
        .size:           8
        .value_kind:     global_buffer
      - .offset:         144
        .size:           4
        .value_kind:     hidden_block_count_x
      - .offset:         148
        .size:           4
        .value_kind:     hidden_block_count_y
      - .offset:         152
        .size:           4
        .value_kind:     hidden_block_count_z
      - .offset:         156
        .size:           2
        .value_kind:     hidden_group_size_x
      - .offset:         158
        .size:           2
        .value_kind:     hidden_group_size_y
      - .offset:         160
        .size:           2
        .value_kind:     hidden_group_size_z
      - .offset:         162
        .size:           2
        .value_kind:     hidden_remainder_x
      - .offset:         164
        .size:           2
        .value_kind:     hidden_remainder_y
      - .offset:         166
        .size:           2
        .value_kind:     hidden_remainder_z
      - .offset:         184
        .size:           8
        .value_kind:     hidden_global_offset_x
      - .offset:         192
        .size:           8
        .value_kind:     hidden_global_offset_y
      - .offset:         200
        .size:           8
        .value_kind:     hidden_global_offset_z
      - .offset:         208
        .size:           2
        .value_kind:     hidden_grid_dims
    .group_segment_fixed_size: 8192
    .kernarg_segment_align: 8
    .kernarg_segment_size: 400
    .language:       OpenCL C
    .language_version:
      - 2
      - 0
    .max_flat_workgroup_size: 256
    .name:           _Z39paged_attention_ll4mi_QKV_mfma16_kernelIDF16_DF16_LN4vllm18Fp8KVCacheDataTypeE0EhLi16ELi128ELi256ELb0ELi16EEvPKT_PKT0_S7_ifPKiS9_S9_iPKfiiiPfSC_PS2_PT2_iSB_SB_
    .private_segment_fixed_size: 8
    .sgpr_count:     47
    .sgpr_spill_count: 0
    .symbol:         _Z39paged_attention_ll4mi_QKV_mfma16_kernelIDF16_DF16_LN4vllm18Fp8KVCacheDataTypeE0EhLi16ELi128ELi256ELb0ELi16EEvPKT_PKT0_S7_ifPKiS9_S9_iPKfiiiPfSC_PS2_PT2_iSB_SB_.kd
    .uniform_work_group_size: 1
    .uses_dynamic_stack: false
    .vgpr_count:     96
    .vgpr_spill_count: 1
    .wavefront_size: 64
  - .agpr_count:     0
    .args:
      - .actual_access:  read_only
        .address_space:  global
        .offset:         0
        .size:           8
        .value_kind:     global_buffer
      - .actual_access:  read_only
        .address_space:  global
        .offset:         8
        .size:           8
        .value_kind:     global_buffer
      - .actual_access:  read_only
        .address_space:  global
        .offset:         16
        .size:           8
        .value_kind:     global_buffer
      - .offset:         24
        .size:           4
        .value_kind:     by_value
      - .offset:         28
        .size:           4
        .value_kind:     by_value
      - .actual_access:  read_only
        .address_space:  global
        .offset:         32
        .size:           8
        .value_kind:     global_buffer
      - .actual_access:  read_only
        .address_space:  global
        .offset:         40
        .size:           8
        .value_kind:     global_buffer
      - .actual_access:  read_only
        .address_space:  global
        .offset:         48
        .size:           8
        .value_kind:     global_buffer
      - .offset:         56
        .size:           4
        .value_kind:     by_value
      - .actual_access:  read_only
        .address_space:  global
        .offset:         64
        .size:           8
        .value_kind:     global_buffer
      - .offset:         72
        .size:           4
        .value_kind:     by_value
      - .offset:         76
        .size:           4
        .value_kind:     by_value
      - .offset:         80
        .size:           4
        .value_kind:     by_value
      - .actual_access:  write_only
        .address_space:  global
        .offset:         88
        .size:           8
        .value_kind:     global_buffer
      - .actual_access:  write_only
        .address_space:  global
        .offset:         96
        .size:           8
        .value_kind:     global_buffer
      - .actual_access:  write_only
        .address_space:  global
        .offset:         104
        .size:           8
        .value_kind:     global_buffer
      - .actual_access:  read_only
        .address_space:  global
        .offset:         112
        .size:           8
        .value_kind:     global_buffer
      - .offset:         120
        .size:           4
        .value_kind:     by_value
      - .address_space:  global
        .offset:         128
        .size:           8
        .value_kind:     global_buffer
      - .address_space:  global
        .offset:         136
        .size:           8
        .value_kind:     global_buffer
      - .offset:         144
        .size:           4
        .value_kind:     hidden_block_count_x
      - .offset:         148
        .size:           4
        .value_kind:     hidden_block_count_y
      - .offset:         152
        .size:           4
        .value_kind:     hidden_block_count_z
      - .offset:         156
        .size:           2
        .value_kind:     hidden_group_size_x
      - .offset:         158
        .size:           2
        .value_kind:     hidden_group_size_y
      - .offset:         160
        .size:           2
        .value_kind:     hidden_group_size_z
      - .offset:         162
        .size:           2
        .value_kind:     hidden_remainder_x
      - .offset:         164
        .size:           2
        .value_kind:     hidden_remainder_y
      - .offset:         166
        .size:           2
        .value_kind:     hidden_remainder_z
      - .offset:         184
        .size:           8
        .value_kind:     hidden_global_offset_x
      - .offset:         192
        .size:           8
        .value_kind:     hidden_global_offset_y
      - .offset:         200
        .size:           8
        .value_kind:     hidden_global_offset_z
      - .offset:         208
        .size:           2
        .value_kind:     hidden_grid_dims
    .group_segment_fixed_size: 8192
    .kernarg_segment_align: 8
    .kernarg_segment_size: 400
    .language:       OpenCL C
    .language_version:
      - 2
      - 0
    .max_flat_workgroup_size: 256
    .name:           _Z39paged_attention_ll4mi_QKV_mfma16_kernelIDF16_DF16_LN4vllm18Fp8KVCacheDataTypeE0EhLi16ELi128ELi256ELb0ELi1EEvPKT_PKT0_S7_ifPKiS9_S9_iPKfiiiPfSC_PS2_PT2_iSB_SB_
    .private_segment_fixed_size: 8
    .sgpr_count:     46
    .sgpr_spill_count: 0
    .symbol:         _Z39paged_attention_ll4mi_QKV_mfma16_kernelIDF16_DF16_LN4vllm18Fp8KVCacheDataTypeE0EhLi16ELi128ELi256ELb0ELi1EEvPKT_PKT0_S7_ifPKiS9_S9_iPKfiiiPfSC_PS2_PT2_iSB_SB_.kd
    .uniform_work_group_size: 1
    .uses_dynamic_stack: false
    .vgpr_count:     96
    .vgpr_spill_count: 1
    .wavefront_size: 64
  - .agpr_count:     0
    .args:
      - .actual_access:  read_only
        .address_space:  global
        .offset:         0
        .size:           8
        .value_kind:     global_buffer
      - .actual_access:  read_only
        .address_space:  global
        .offset:         8
        .size:           8
        .value_kind:     global_buffer
      - .actual_access:  read_only
        .address_space:  global
        .offset:         16
        .size:           8
        .value_kind:     global_buffer
      - .offset:         24
        .size:           4
        .value_kind:     by_value
      - .offset:         28
        .size:           4
        .value_kind:     by_value
      - .actual_access:  read_only
        .address_space:  global
        .offset:         32
        .size:           8
        .value_kind:     global_buffer
      - .actual_access:  read_only
        .address_space:  global
        .offset:         40
        .size:           8
        .value_kind:     global_buffer
      - .actual_access:  read_only
        .address_space:  global
        .offset:         48
        .size:           8
        .value_kind:     global_buffer
      - .offset:         56
        .size:           4
        .value_kind:     by_value
      - .actual_access:  read_only
        .address_space:  global
        .offset:         64
        .size:           8
        .value_kind:     global_buffer
      - .offset:         72
        .size:           4
        .value_kind:     by_value
      - .offset:         76
        .size:           4
        .value_kind:     by_value
      - .offset:         80
        .size:           4
        .value_kind:     by_value
      - .actual_access:  write_only
        .address_space:  global
        .offset:         88
        .size:           8
        .value_kind:     global_buffer
      - .actual_access:  write_only
        .address_space:  global
        .offset:         96
        .size:           8
        .value_kind:     global_buffer
      - .actual_access:  write_only
        .address_space:  global
        .offset:         104
        .size:           8
        .value_kind:     global_buffer
      - .actual_access:  read_only
        .address_space:  global
        .offset:         112
        .size:           8
        .value_kind:     global_buffer
      - .offset:         120
        .size:           4
        .value_kind:     by_value
      - .address_space:  global
        .offset:         128
        .size:           8
        .value_kind:     global_buffer
      - .address_space:  global
        .offset:         136
        .size:           8
        .value_kind:     global_buffer
      - .offset:         144
        .size:           4
        .value_kind:     hidden_block_count_x
      - .offset:         148
        .size:           4
        .value_kind:     hidden_block_count_y
      - .offset:         152
        .size:           4
        .value_kind:     hidden_block_count_z
      - .offset:         156
        .size:           2
        .value_kind:     hidden_group_size_x
      - .offset:         158
        .size:           2
        .value_kind:     hidden_group_size_y
      - .offset:         160
        .size:           2
        .value_kind:     hidden_group_size_z
      - .offset:         162
        .size:           2
        .value_kind:     hidden_remainder_x
      - .offset:         164
        .size:           2
        .value_kind:     hidden_remainder_y
      - .offset:         166
        .size:           2
        .value_kind:     hidden_remainder_z
      - .offset:         184
        .size:           8
        .value_kind:     hidden_global_offset_x
      - .offset:         192
        .size:           8
        .value_kind:     hidden_global_offset_y
      - .offset:         200
        .size:           8
        .value_kind:     hidden_global_offset_z
      - .offset:         208
        .size:           2
        .value_kind:     hidden_grid_dims
    .group_segment_fixed_size: 8192
    .kernarg_segment_align: 8
    .kernarg_segment_size: 400
    .language:       OpenCL C
    .language_version:
      - 2
      - 0
    .max_flat_workgroup_size: 256
    .name:           _Z39paged_attention_ll4mi_QKV_mfma16_kernelIDF16_DF16_LN4vllm18Fp8KVCacheDataTypeE0EhLi16ELi128ELi256ELb0ELi2EEvPKT_PKT0_S7_ifPKiS9_S9_iPKfiiiPfSC_PS2_PT2_iSB_SB_
    .private_segment_fixed_size: 0
    .sgpr_count:     47
    .sgpr_spill_count: 0
    .symbol:         _Z39paged_attention_ll4mi_QKV_mfma16_kernelIDF16_DF16_LN4vllm18Fp8KVCacheDataTypeE0EhLi16ELi128ELi256ELb0ELi2EEvPKT_PKT0_S7_ifPKiS9_S9_iPKfiiiPfSC_PS2_PT2_iSB_SB_.kd
    .uniform_work_group_size: 1
    .uses_dynamic_stack: false
    .vgpr_count:     96
    .vgpr_spill_count: 0
    .wavefront_size: 64
  - .agpr_count:     0
    .args:
      - .actual_access:  read_only
        .address_space:  global
        .offset:         0
        .size:           8
        .value_kind:     global_buffer
      - .actual_access:  read_only
        .address_space:  global
        .offset:         8
        .size:           8
        .value_kind:     global_buffer
      - .actual_access:  read_only
        .address_space:  global
        .offset:         16
        .size:           8
        .value_kind:     global_buffer
      - .offset:         24
        .size:           4
        .value_kind:     by_value
      - .offset:         28
        .size:           4
        .value_kind:     by_value
      - .actual_access:  read_only
        .address_space:  global
        .offset:         32
        .size:           8
        .value_kind:     global_buffer
      - .actual_access:  read_only
        .address_space:  global
        .offset:         40
        .size:           8
        .value_kind:     global_buffer
      - .actual_access:  read_only
        .address_space:  global
        .offset:         48
        .size:           8
        .value_kind:     global_buffer
      - .offset:         56
        .size:           4
        .value_kind:     by_value
      - .actual_access:  read_only
        .address_space:  global
        .offset:         64
        .size:           8
        .value_kind:     global_buffer
      - .offset:         72
        .size:           4
        .value_kind:     by_value
      - .offset:         76
        .size:           4
        .value_kind:     by_value
      - .offset:         80
        .size:           4
        .value_kind:     by_value
      - .actual_access:  write_only
        .address_space:  global
        .offset:         88
        .size:           8
        .value_kind:     global_buffer
      - .actual_access:  write_only
        .address_space:  global
        .offset:         96
        .size:           8
        .value_kind:     global_buffer
      - .actual_access:  write_only
        .address_space:  global
        .offset:         104
        .size:           8
        .value_kind:     global_buffer
      - .actual_access:  read_only
        .address_space:  global
        .offset:         112
        .size:           8
        .value_kind:     global_buffer
      - .offset:         120
        .size:           4
        .value_kind:     by_value
      - .address_space:  global
        .offset:         128
        .size:           8
        .value_kind:     global_buffer
      - .address_space:  global
        .offset:         136
        .size:           8
        .value_kind:     global_buffer
      - .offset:         144
        .size:           4
        .value_kind:     hidden_block_count_x
      - .offset:         148
        .size:           4
        .value_kind:     hidden_block_count_y
      - .offset:         152
        .size:           4
        .value_kind:     hidden_block_count_z
      - .offset:         156
        .size:           2
        .value_kind:     hidden_group_size_x
      - .offset:         158
        .size:           2
        .value_kind:     hidden_group_size_y
      - .offset:         160
        .size:           2
        .value_kind:     hidden_group_size_z
      - .offset:         162
        .size:           2
        .value_kind:     hidden_remainder_x
      - .offset:         164
        .size:           2
        .value_kind:     hidden_remainder_y
      - .offset:         166
        .size:           2
        .value_kind:     hidden_remainder_z
      - .offset:         184
        .size:           8
        .value_kind:     hidden_global_offset_x
      - .offset:         192
        .size:           8
        .value_kind:     hidden_global_offset_y
      - .offset:         200
        .size:           8
        .value_kind:     hidden_global_offset_z
      - .offset:         208
        .size:           2
        .value_kind:     hidden_grid_dims
    .group_segment_fixed_size: 8192
    .kernarg_segment_align: 8
    .kernarg_segment_size: 400
    .language:       OpenCL C
    .language_version:
      - 2
      - 0
    .max_flat_workgroup_size: 256
    .name:           _Z39paged_attention_ll4mi_QKV_mfma16_kernelIDF16_DF16_LN4vllm18Fp8KVCacheDataTypeE0EhLi16ELi128ELi256ELb0ELi3EEvPKT_PKT0_S7_ifPKiS9_S9_iPKfiiiPfSC_PS2_PT2_iSB_SB_
    .private_segment_fixed_size: 16
    .sgpr_count:     48
    .sgpr_spill_count: 0
    .symbol:         _Z39paged_attention_ll4mi_QKV_mfma16_kernelIDF16_DF16_LN4vllm18Fp8KVCacheDataTypeE0EhLi16ELi128ELi256ELb0ELi3EEvPKT_PKT0_S7_ifPKiS9_S9_iPKfiiiPfSC_PS2_PT2_iSB_SB_.kd
    .uniform_work_group_size: 1
    .uses_dynamic_stack: false
    .vgpr_count:     96
    .vgpr_spill_count: 5
    .wavefront_size: 64
  - .agpr_count:     0
    .args:
      - .actual_access:  read_only
        .address_space:  global
        .offset:         0
        .size:           8
        .value_kind:     global_buffer
      - .actual_access:  read_only
        .address_space:  global
        .offset:         8
        .size:           8
        .value_kind:     global_buffer
      - .actual_access:  read_only
        .address_space:  global
        .offset:         16
        .size:           8
        .value_kind:     global_buffer
      - .offset:         24
        .size:           4
        .value_kind:     by_value
      - .offset:         28
        .size:           4
        .value_kind:     by_value
      - .actual_access:  read_only
        .address_space:  global
        .offset:         32
        .size:           8
        .value_kind:     global_buffer
      - .actual_access:  read_only
        .address_space:  global
        .offset:         40
        .size:           8
        .value_kind:     global_buffer
      - .actual_access:  read_only
        .address_space:  global
        .offset:         48
        .size:           8
        .value_kind:     global_buffer
      - .offset:         56
        .size:           4
        .value_kind:     by_value
      - .actual_access:  read_only
        .address_space:  global
        .offset:         64
        .size:           8
        .value_kind:     global_buffer
      - .offset:         72
        .size:           4
        .value_kind:     by_value
      - .offset:         76
        .size:           4
        .value_kind:     by_value
      - .offset:         80
        .size:           4
        .value_kind:     by_value
      - .actual_access:  write_only
        .address_space:  global
        .offset:         88
        .size:           8
        .value_kind:     global_buffer
      - .actual_access:  write_only
        .address_space:  global
        .offset:         96
        .size:           8
        .value_kind:     global_buffer
      - .actual_access:  write_only
        .address_space:  global
        .offset:         104
        .size:           8
        .value_kind:     global_buffer
      - .actual_access:  read_only
        .address_space:  global
        .offset:         112
        .size:           8
        .value_kind:     global_buffer
      - .offset:         120
        .size:           4
        .value_kind:     by_value
      - .address_space:  global
        .offset:         128
        .size:           8
        .value_kind:     global_buffer
      - .address_space:  global
        .offset:         136
        .size:           8
        .value_kind:     global_buffer
      - .offset:         144
        .size:           4
        .value_kind:     hidden_block_count_x
      - .offset:         148
        .size:           4
        .value_kind:     hidden_block_count_y
      - .offset:         152
        .size:           4
        .value_kind:     hidden_block_count_z
      - .offset:         156
        .size:           2
        .value_kind:     hidden_group_size_x
      - .offset:         158
        .size:           2
        .value_kind:     hidden_group_size_y
      - .offset:         160
        .size:           2
        .value_kind:     hidden_group_size_z
      - .offset:         162
        .size:           2
        .value_kind:     hidden_remainder_x
      - .offset:         164
        .size:           2
        .value_kind:     hidden_remainder_y
      - .offset:         166
        .size:           2
        .value_kind:     hidden_remainder_z
      - .offset:         184
        .size:           8
        .value_kind:     hidden_global_offset_x
      - .offset:         192
        .size:           8
        .value_kind:     hidden_global_offset_y
      - .offset:         200
        .size:           8
        .value_kind:     hidden_global_offset_z
      - .offset:         208
        .size:           2
        .value_kind:     hidden_grid_dims
    .group_segment_fixed_size: 8192
    .kernarg_segment_align: 8
    .kernarg_segment_size: 400
    .language:       OpenCL C
    .language_version:
      - 2
      - 0
    .max_flat_workgroup_size: 256
    .name:           _Z39paged_attention_ll4mi_QKV_mfma16_kernelIDF16_DF16_LN4vllm18Fp8KVCacheDataTypeE0EhLi16ELi128ELi256ELb0ELi4EEvPKT_PKT0_S7_ifPKiS9_S9_iPKfiiiPfSC_PS2_PT2_iSB_SB_
    .private_segment_fixed_size: 20
    .sgpr_count:     49
    .sgpr_spill_count: 0
    .symbol:         _Z39paged_attention_ll4mi_QKV_mfma16_kernelIDF16_DF16_LN4vllm18Fp8KVCacheDataTypeE0EhLi16ELi128ELi256ELb0ELi4EEvPKT_PKT0_S7_ifPKiS9_S9_iPKfiiiPfSC_PS2_PT2_iSB_SB_.kd
    .uniform_work_group_size: 1
    .uses_dynamic_stack: false
    .vgpr_count:     96
    .vgpr_spill_count: 6
    .wavefront_size: 64
  - .agpr_count:     8
    .args:
      - .actual_access:  read_only
        .address_space:  global
        .offset:         0
        .size:           8
        .value_kind:     global_buffer
      - .actual_access:  read_only
        .address_space:  global
        .offset:         8
        .size:           8
        .value_kind:     global_buffer
      - .actual_access:  read_only
        .address_space:  global
        .offset:         16
        .size:           8
        .value_kind:     global_buffer
      - .offset:         24
        .size:           4
        .value_kind:     by_value
      - .offset:         28
        .size:           4
        .value_kind:     by_value
      - .actual_access:  read_only
        .address_space:  global
        .offset:         32
        .size:           8
        .value_kind:     global_buffer
      - .actual_access:  read_only
        .address_space:  global
        .offset:         40
        .size:           8
        .value_kind:     global_buffer
      - .actual_access:  read_only
        .address_space:  global
        .offset:         48
        .size:           8
        .value_kind:     global_buffer
      - .offset:         56
        .size:           4
        .value_kind:     by_value
      - .actual_access:  read_only
        .address_space:  global
        .offset:         64
        .size:           8
        .value_kind:     global_buffer
      - .offset:         72
        .size:           4
        .value_kind:     by_value
      - .offset:         76
        .size:           4
        .value_kind:     by_value
      - .offset:         80
        .size:           4
        .value_kind:     by_value
      - .actual_access:  write_only
        .address_space:  global
        .offset:         88
        .size:           8
        .value_kind:     global_buffer
      - .actual_access:  write_only
        .address_space:  global
        .offset:         96
        .size:           8
        .value_kind:     global_buffer
      - .actual_access:  write_only
        .address_space:  global
        .offset:         104
        .size:           8
        .value_kind:     global_buffer
      - .actual_access:  read_only
        .address_space:  global
        .offset:         112
        .size:           8
        .value_kind:     global_buffer
      - .offset:         120
        .size:           4
        .value_kind:     by_value
      - .address_space:  global
        .offset:         128
        .size:           8
        .value_kind:     global_buffer
      - .address_space:  global
        .offset:         136
        .size:           8
        .value_kind:     global_buffer
      - .offset:         144
        .size:           4
        .value_kind:     hidden_block_count_x
      - .offset:         148
        .size:           4
        .value_kind:     hidden_block_count_y
      - .offset:         152
        .size:           4
        .value_kind:     hidden_block_count_z
      - .offset:         156
        .size:           2
        .value_kind:     hidden_group_size_x
      - .offset:         158
        .size:           2
        .value_kind:     hidden_group_size_y
      - .offset:         160
        .size:           2
        .value_kind:     hidden_group_size_z
      - .offset:         162
        .size:           2
        .value_kind:     hidden_remainder_x
      - .offset:         164
        .size:           2
        .value_kind:     hidden_remainder_y
      - .offset:         166
        .size:           2
        .value_kind:     hidden_remainder_z
      - .offset:         184
        .size:           8
        .value_kind:     hidden_global_offset_x
      - .offset:         192
        .size:           8
        .value_kind:     hidden_global_offset_y
      - .offset:         200
        .size:           8
        .value_kind:     hidden_global_offset_z
      - .offset:         208
        .size:           2
        .value_kind:     hidden_grid_dims
    .group_segment_fixed_size: 5280
    .kernarg_segment_align: 8
    .kernarg_segment_size: 400
    .language:       OpenCL C
    .language_version:
      - 2
      - 0
    .max_flat_workgroup_size: 256
    .name:           _Z38paged_attention_ll4mi_QKV_mfma4_kernelIDF16_DF16_LN4vllm18Fp8KVCacheDataTypeE0EDF16_Li16ELi128ELi256ELb1ELi1EEvPKT_PKT0_S7_ifPKiS9_S9_iPKfiiiPfSC_PS2_PT2_iSB_SB_
    .private_segment_fixed_size: 0
    .sgpr_count:     44
    .sgpr_spill_count: 0
    .symbol:         _Z38paged_attention_ll4mi_QKV_mfma4_kernelIDF16_DF16_LN4vllm18Fp8KVCacheDataTypeE0EDF16_Li16ELi128ELi256ELb1ELi1EEvPKT_PKT0_S7_ifPKiS9_S9_iPKfiiiPfSC_PS2_PT2_iSB_SB_.kd
    .uniform_work_group_size: 1
    .uses_dynamic_stack: false
    .vgpr_count:     108
    .vgpr_spill_count: 0
    .wavefront_size: 64
  - .agpr_count:     8
    .args:
      - .actual_access:  read_only
        .address_space:  global
        .offset:         0
        .size:           8
        .value_kind:     global_buffer
      - .actual_access:  read_only
        .address_space:  global
        .offset:         8
        .size:           8
        .value_kind:     global_buffer
      - .actual_access:  read_only
        .address_space:  global
        .offset:         16
        .size:           8
        .value_kind:     global_buffer
      - .offset:         24
        .size:           4
        .value_kind:     by_value
      - .offset:         28
        .size:           4
        .value_kind:     by_value
      - .actual_access:  read_only
        .address_space:  global
        .offset:         32
        .size:           8
        .value_kind:     global_buffer
      - .actual_access:  read_only
        .address_space:  global
        .offset:         40
        .size:           8
        .value_kind:     global_buffer
      - .actual_access:  read_only
        .address_space:  global
        .offset:         48
        .size:           8
        .value_kind:     global_buffer
      - .offset:         56
        .size:           4
        .value_kind:     by_value
      - .actual_access:  read_only
        .address_space:  global
        .offset:         64
        .size:           8
        .value_kind:     global_buffer
      - .offset:         72
        .size:           4
        .value_kind:     by_value
      - .offset:         76
        .size:           4
        .value_kind:     by_value
      - .offset:         80
        .size:           4
        .value_kind:     by_value
      - .actual_access:  write_only
        .address_space:  global
        .offset:         88
        .size:           8
        .value_kind:     global_buffer
      - .actual_access:  write_only
        .address_space:  global
        .offset:         96
        .size:           8
        .value_kind:     global_buffer
      - .actual_access:  write_only
        .address_space:  global
        .offset:         104
        .size:           8
        .value_kind:     global_buffer
      - .actual_access:  read_only
        .address_space:  global
        .offset:         112
        .size:           8
        .value_kind:     global_buffer
      - .offset:         120
        .size:           4
        .value_kind:     by_value
      - .address_space:  global
        .offset:         128
        .size:           8
        .value_kind:     global_buffer
      - .address_space:  global
        .offset:         136
        .size:           8
        .value_kind:     global_buffer
      - .offset:         144
        .size:           4
        .value_kind:     hidden_block_count_x
      - .offset:         148
        .size:           4
        .value_kind:     hidden_block_count_y
      - .offset:         152
        .size:           4
        .value_kind:     hidden_block_count_z
      - .offset:         156
        .size:           2
        .value_kind:     hidden_group_size_x
      - .offset:         158
        .size:           2
        .value_kind:     hidden_group_size_y
      - .offset:         160
        .size:           2
        .value_kind:     hidden_group_size_z
      - .offset:         162
        .size:           2
        .value_kind:     hidden_remainder_x
      - .offset:         164
        .size:           2
        .value_kind:     hidden_remainder_y
      - .offset:         166
        .size:           2
        .value_kind:     hidden_remainder_z
      - .offset:         184
        .size:           8
        .value_kind:     hidden_global_offset_x
      - .offset:         192
        .size:           8
        .value_kind:     hidden_global_offset_y
      - .offset:         200
        .size:           8
        .value_kind:     hidden_global_offset_z
      - .offset:         208
        .size:           2
        .value_kind:     hidden_grid_dims
    .group_segment_fixed_size: 5280
    .kernarg_segment_align: 8
    .kernarg_segment_size: 400
    .language:       OpenCL C
    .language_version:
      - 2
      - 0
    .max_flat_workgroup_size: 256
    .name:           _Z38paged_attention_ll4mi_QKV_mfma4_kernelIDF16_DF16_LN4vllm18Fp8KVCacheDataTypeE0EDF16_Li16ELi128ELi256ELb1ELi2EEvPKT_PKT0_S7_ifPKiS9_S9_iPKfiiiPfSC_PS2_PT2_iSB_SB_
    .private_segment_fixed_size: 0
    .sgpr_count:     46
    .sgpr_spill_count: 0
    .symbol:         _Z38paged_attention_ll4mi_QKV_mfma4_kernelIDF16_DF16_LN4vllm18Fp8KVCacheDataTypeE0EDF16_Li16ELi128ELi256ELb1ELi2EEvPKT_PKT0_S7_ifPKiS9_S9_iPKfiiiPfSC_PS2_PT2_iSB_SB_.kd
    .uniform_work_group_size: 1
    .uses_dynamic_stack: false
    .vgpr_count:     108
    .vgpr_spill_count: 0
    .wavefront_size: 64
  - .agpr_count:     8
    .args:
      - .actual_access:  read_only
        .address_space:  global
        .offset:         0
        .size:           8
        .value_kind:     global_buffer
      - .actual_access:  read_only
        .address_space:  global
        .offset:         8
        .size:           8
        .value_kind:     global_buffer
      - .actual_access:  read_only
        .address_space:  global
        .offset:         16
        .size:           8
        .value_kind:     global_buffer
      - .offset:         24
        .size:           4
        .value_kind:     by_value
      - .offset:         28
        .size:           4
        .value_kind:     by_value
      - .actual_access:  read_only
        .address_space:  global
        .offset:         32
        .size:           8
        .value_kind:     global_buffer
      - .actual_access:  read_only
        .address_space:  global
        .offset:         40
        .size:           8
        .value_kind:     global_buffer
      - .actual_access:  read_only
        .address_space:  global
        .offset:         48
        .size:           8
        .value_kind:     global_buffer
      - .offset:         56
        .size:           4
        .value_kind:     by_value
      - .actual_access:  read_only
        .address_space:  global
        .offset:         64
        .size:           8
        .value_kind:     global_buffer
      - .offset:         72
        .size:           4
        .value_kind:     by_value
      - .offset:         76
        .size:           4
        .value_kind:     by_value
      - .offset:         80
        .size:           4
        .value_kind:     by_value
      - .actual_access:  write_only
        .address_space:  global
        .offset:         88
        .size:           8
        .value_kind:     global_buffer
      - .actual_access:  write_only
        .address_space:  global
        .offset:         96
        .size:           8
        .value_kind:     global_buffer
      - .actual_access:  write_only
        .address_space:  global
        .offset:         104
        .size:           8
        .value_kind:     global_buffer
      - .actual_access:  read_only
        .address_space:  global
        .offset:         112
        .size:           8
        .value_kind:     global_buffer
      - .offset:         120
        .size:           4
        .value_kind:     by_value
      - .address_space:  global
        .offset:         128
        .size:           8
        .value_kind:     global_buffer
      - .address_space:  global
        .offset:         136
        .size:           8
        .value_kind:     global_buffer
      - .offset:         144
        .size:           4
        .value_kind:     hidden_block_count_x
      - .offset:         148
        .size:           4
        .value_kind:     hidden_block_count_y
      - .offset:         152
        .size:           4
        .value_kind:     hidden_block_count_z
      - .offset:         156
        .size:           2
        .value_kind:     hidden_group_size_x
      - .offset:         158
        .size:           2
        .value_kind:     hidden_group_size_y
      - .offset:         160
        .size:           2
        .value_kind:     hidden_group_size_z
      - .offset:         162
        .size:           2
        .value_kind:     hidden_remainder_x
      - .offset:         164
        .size:           2
        .value_kind:     hidden_remainder_y
      - .offset:         166
        .size:           2
        .value_kind:     hidden_remainder_z
      - .offset:         184
        .size:           8
        .value_kind:     hidden_global_offset_x
      - .offset:         192
        .size:           8
        .value_kind:     hidden_global_offset_y
      - .offset:         200
        .size:           8
        .value_kind:     hidden_global_offset_z
      - .offset:         208
        .size:           2
        .value_kind:     hidden_grid_dims
    .group_segment_fixed_size: 5280
    .kernarg_segment_align: 8
    .kernarg_segment_size: 400
    .language:       OpenCL C
    .language_version:
      - 2
      - 0
    .max_flat_workgroup_size: 256
    .name:           _Z38paged_attention_ll4mi_QKV_mfma4_kernelIDF16_DF16_LN4vllm18Fp8KVCacheDataTypeE0EDF16_Li16ELi128ELi256ELb1ELi3EEvPKT_PKT0_S7_ifPKiS9_S9_iPKfiiiPfSC_PS2_PT2_iSB_SB_
    .private_segment_fixed_size: 0
    .sgpr_count:     46
    .sgpr_spill_count: 0
    .symbol:         _Z38paged_attention_ll4mi_QKV_mfma4_kernelIDF16_DF16_LN4vllm18Fp8KVCacheDataTypeE0EDF16_Li16ELi128ELi256ELb1ELi3EEvPKT_PKT0_S7_ifPKiS9_S9_iPKfiiiPfSC_PS2_PT2_iSB_SB_.kd
    .uniform_work_group_size: 1
    .uses_dynamic_stack: false
    .vgpr_count:     104
    .vgpr_spill_count: 0
    .wavefront_size: 64
  - .agpr_count:     8
    .args:
      - .actual_access:  read_only
        .address_space:  global
        .offset:         0
        .size:           8
        .value_kind:     global_buffer
      - .actual_access:  read_only
        .address_space:  global
        .offset:         8
        .size:           8
        .value_kind:     global_buffer
      - .actual_access:  read_only
        .address_space:  global
        .offset:         16
        .size:           8
        .value_kind:     global_buffer
      - .offset:         24
        .size:           4
        .value_kind:     by_value
      - .offset:         28
        .size:           4
        .value_kind:     by_value
      - .actual_access:  read_only
        .address_space:  global
        .offset:         32
        .size:           8
        .value_kind:     global_buffer
      - .actual_access:  read_only
        .address_space:  global
        .offset:         40
        .size:           8
        .value_kind:     global_buffer
      - .actual_access:  read_only
        .address_space:  global
        .offset:         48
        .size:           8
        .value_kind:     global_buffer
      - .offset:         56
        .size:           4
        .value_kind:     by_value
      - .actual_access:  read_only
        .address_space:  global
        .offset:         64
        .size:           8
        .value_kind:     global_buffer
      - .offset:         72
        .size:           4
        .value_kind:     by_value
      - .offset:         76
        .size:           4
        .value_kind:     by_value
      - .offset:         80
        .size:           4
        .value_kind:     by_value
      - .actual_access:  write_only
        .address_space:  global
        .offset:         88
        .size:           8
        .value_kind:     global_buffer
      - .actual_access:  write_only
        .address_space:  global
        .offset:         96
        .size:           8
        .value_kind:     global_buffer
      - .actual_access:  write_only
        .address_space:  global
        .offset:         104
        .size:           8
        .value_kind:     global_buffer
      - .actual_access:  read_only
        .address_space:  global
        .offset:         112
        .size:           8
        .value_kind:     global_buffer
      - .offset:         120
        .size:           4
        .value_kind:     by_value
      - .address_space:  global
        .offset:         128
        .size:           8
        .value_kind:     global_buffer
      - .address_space:  global
        .offset:         136
        .size:           8
        .value_kind:     global_buffer
      - .offset:         144
        .size:           4
        .value_kind:     hidden_block_count_x
      - .offset:         148
        .size:           4
        .value_kind:     hidden_block_count_y
      - .offset:         152
        .size:           4
        .value_kind:     hidden_block_count_z
      - .offset:         156
        .size:           2
        .value_kind:     hidden_group_size_x
      - .offset:         158
        .size:           2
        .value_kind:     hidden_group_size_y
      - .offset:         160
        .size:           2
        .value_kind:     hidden_group_size_z
      - .offset:         162
        .size:           2
        .value_kind:     hidden_remainder_x
      - .offset:         164
        .size:           2
        .value_kind:     hidden_remainder_y
      - .offset:         166
        .size:           2
        .value_kind:     hidden_remainder_z
      - .offset:         184
        .size:           8
        .value_kind:     hidden_global_offset_x
      - .offset:         192
        .size:           8
        .value_kind:     hidden_global_offset_y
      - .offset:         200
        .size:           8
        .value_kind:     hidden_global_offset_z
      - .offset:         208
        .size:           2
        .value_kind:     hidden_grid_dims
    .group_segment_fixed_size: 5280
    .kernarg_segment_align: 8
    .kernarg_segment_size: 400
    .language:       OpenCL C
    .language_version:
      - 2
      - 0
    .max_flat_workgroup_size: 256
    .name:           _Z38paged_attention_ll4mi_QKV_mfma4_kernelIDF16_DF16_LN4vllm18Fp8KVCacheDataTypeE0EDF16_Li16ELi128ELi256ELb1ELi4EEvPKT_PKT0_S7_ifPKiS9_S9_iPKfiiiPfSC_PS2_PT2_iSB_SB_
    .private_segment_fixed_size: 0
    .sgpr_count:     47
    .sgpr_spill_count: 0
    .symbol:         _Z38paged_attention_ll4mi_QKV_mfma4_kernelIDF16_DF16_LN4vllm18Fp8KVCacheDataTypeE0EDF16_Li16ELi128ELi256ELb1ELi4EEvPKT_PKT0_S7_ifPKiS9_S9_iPKfiiiPfSC_PS2_PT2_iSB_SB_.kd
    .uniform_work_group_size: 1
    .uses_dynamic_stack: false
    .vgpr_count:     112
    .vgpr_spill_count: 0
    .wavefront_size: 64
  - .agpr_count:     0
    .args:
      - .actual_access:  read_only
        .address_space:  global
        .offset:         0
        .size:           8
        .value_kind:     global_buffer
      - .actual_access:  read_only
        .address_space:  global
        .offset:         8
        .size:           8
        .value_kind:     global_buffer
      - .actual_access:  read_only
        .address_space:  global
        .offset:         16
        .size:           8
        .value_kind:     global_buffer
      - .offset:         24
        .size:           4
        .value_kind:     by_value
      - .offset:         28
        .size:           4
        .value_kind:     by_value
      - .actual_access:  read_only
        .address_space:  global
        .offset:         32
        .size:           8
        .value_kind:     global_buffer
      - .actual_access:  read_only
        .address_space:  global
        .offset:         40
        .size:           8
        .value_kind:     global_buffer
      - .actual_access:  read_only
        .address_space:  global
        .offset:         48
        .size:           8
        .value_kind:     global_buffer
      - .offset:         56
        .size:           4
        .value_kind:     by_value
      - .actual_access:  read_only
        .address_space:  global
        .offset:         64
        .size:           8
        .value_kind:     global_buffer
      - .offset:         72
        .size:           4
        .value_kind:     by_value
      - .offset:         76
        .size:           4
        .value_kind:     by_value
      - .offset:         80
        .size:           4
        .value_kind:     by_value
      - .actual_access:  write_only
        .address_space:  global
        .offset:         88
        .size:           8
        .value_kind:     global_buffer
      - .actual_access:  write_only
        .address_space:  global
        .offset:         96
        .size:           8
        .value_kind:     global_buffer
      - .actual_access:  write_only
        .address_space:  global
        .offset:         104
        .size:           8
        .value_kind:     global_buffer
      - .actual_access:  read_only
        .address_space:  global
        .offset:         112
        .size:           8
        .value_kind:     global_buffer
      - .offset:         120
        .size:           4
        .value_kind:     by_value
      - .address_space:  global
        .offset:         128
        .size:           8
        .value_kind:     global_buffer
      - .address_space:  global
        .offset:         136
        .size:           8
        .value_kind:     global_buffer
      - .offset:         144
        .size:           4
        .value_kind:     hidden_block_count_x
      - .offset:         148
        .size:           4
        .value_kind:     hidden_block_count_y
      - .offset:         152
        .size:           4
        .value_kind:     hidden_block_count_z
      - .offset:         156
        .size:           2
        .value_kind:     hidden_group_size_x
      - .offset:         158
        .size:           2
        .value_kind:     hidden_group_size_y
      - .offset:         160
        .size:           2
        .value_kind:     hidden_group_size_z
      - .offset:         162
        .size:           2
        .value_kind:     hidden_remainder_x
      - .offset:         164
        .size:           2
        .value_kind:     hidden_remainder_y
      - .offset:         166
        .size:           2
        .value_kind:     hidden_remainder_z
      - .offset:         184
        .size:           8
        .value_kind:     hidden_global_offset_x
      - .offset:         192
        .size:           8
        .value_kind:     hidden_global_offset_y
      - .offset:         200
        .size:           8
        .value_kind:     hidden_global_offset_z
      - .offset:         208
        .size:           2
        .value_kind:     hidden_grid_dims
    .group_segment_fixed_size: 8192
    .kernarg_segment_align: 8
    .kernarg_segment_size: 400
    .language:       OpenCL C
    .language_version:
      - 2
      - 0
    .max_flat_workgroup_size: 256
    .name:           _Z39paged_attention_ll4mi_QKV_mfma16_kernelIDF16_DF16_LN4vllm18Fp8KVCacheDataTypeE0EDF16_Li16ELi128ELi256ELb1ELi5EEvPKT_PKT0_S7_ifPKiS9_S9_iPKfiiiPfSC_PS2_PT2_iSB_SB_
    .private_segment_fixed_size: 0
    .sgpr_count:     48
    .sgpr_spill_count: 0
    .symbol:         _Z39paged_attention_ll4mi_QKV_mfma16_kernelIDF16_DF16_LN4vllm18Fp8KVCacheDataTypeE0EDF16_Li16ELi128ELi256ELb1ELi5EEvPKT_PKT0_S7_ifPKiS9_S9_iPKfiiiPfSC_PS2_PT2_iSB_SB_.kd
    .uniform_work_group_size: 1
    .uses_dynamic_stack: false
    .vgpr_count:     96
    .vgpr_spill_count: 0
    .wavefront_size: 64
  - .agpr_count:     0
    .args:
      - .actual_access:  read_only
        .address_space:  global
        .offset:         0
        .size:           8
        .value_kind:     global_buffer
      - .actual_access:  read_only
        .address_space:  global
        .offset:         8
        .size:           8
        .value_kind:     global_buffer
      - .actual_access:  read_only
        .address_space:  global
        .offset:         16
        .size:           8
        .value_kind:     global_buffer
      - .offset:         24
        .size:           4
        .value_kind:     by_value
      - .offset:         28
        .size:           4
        .value_kind:     by_value
      - .actual_access:  read_only
        .address_space:  global
        .offset:         32
        .size:           8
        .value_kind:     global_buffer
      - .actual_access:  read_only
        .address_space:  global
        .offset:         40
        .size:           8
        .value_kind:     global_buffer
      - .actual_access:  read_only
        .address_space:  global
        .offset:         48
        .size:           8
        .value_kind:     global_buffer
      - .offset:         56
        .size:           4
        .value_kind:     by_value
      - .actual_access:  read_only
        .address_space:  global
        .offset:         64
        .size:           8
        .value_kind:     global_buffer
      - .offset:         72
        .size:           4
        .value_kind:     by_value
      - .offset:         76
        .size:           4
        .value_kind:     by_value
      - .offset:         80
        .size:           4
        .value_kind:     by_value
      - .actual_access:  write_only
        .address_space:  global
        .offset:         88
        .size:           8
        .value_kind:     global_buffer
      - .actual_access:  write_only
        .address_space:  global
        .offset:         96
        .size:           8
        .value_kind:     global_buffer
      - .actual_access:  write_only
        .address_space:  global
        .offset:         104
        .size:           8
        .value_kind:     global_buffer
      - .actual_access:  read_only
        .address_space:  global
        .offset:         112
        .size:           8
        .value_kind:     global_buffer
      - .offset:         120
        .size:           4
        .value_kind:     by_value
      - .address_space:  global
        .offset:         128
        .size:           8
        .value_kind:     global_buffer
      - .address_space:  global
        .offset:         136
        .size:           8
        .value_kind:     global_buffer
      - .offset:         144
        .size:           4
        .value_kind:     hidden_block_count_x
      - .offset:         148
        .size:           4
        .value_kind:     hidden_block_count_y
      - .offset:         152
        .size:           4
        .value_kind:     hidden_block_count_z
      - .offset:         156
        .size:           2
        .value_kind:     hidden_group_size_x
      - .offset:         158
        .size:           2
        .value_kind:     hidden_group_size_y
      - .offset:         160
        .size:           2
        .value_kind:     hidden_group_size_z
      - .offset:         162
        .size:           2
        .value_kind:     hidden_remainder_x
      - .offset:         164
        .size:           2
        .value_kind:     hidden_remainder_y
      - .offset:         166
        .size:           2
        .value_kind:     hidden_remainder_z
      - .offset:         184
        .size:           8
        .value_kind:     hidden_global_offset_x
      - .offset:         192
        .size:           8
        .value_kind:     hidden_global_offset_y
      - .offset:         200
        .size:           8
        .value_kind:     hidden_global_offset_z
      - .offset:         208
        .size:           2
        .value_kind:     hidden_grid_dims
    .group_segment_fixed_size: 8192
    .kernarg_segment_align: 8
    .kernarg_segment_size: 400
    .language:       OpenCL C
    .language_version:
      - 2
      - 0
    .max_flat_workgroup_size: 256
    .name:           _Z39paged_attention_ll4mi_QKV_mfma16_kernelIDF16_DF16_LN4vllm18Fp8KVCacheDataTypeE0EDF16_Li16ELi128ELi256ELb1ELi6EEvPKT_PKT0_S7_ifPKiS9_S9_iPKfiiiPfSC_PS2_PT2_iSB_SB_
    .private_segment_fixed_size: 0
    .sgpr_count:     48
    .sgpr_spill_count: 0
    .symbol:         _Z39paged_attention_ll4mi_QKV_mfma16_kernelIDF16_DF16_LN4vllm18Fp8KVCacheDataTypeE0EDF16_Li16ELi128ELi256ELb1ELi6EEvPKT_PKT0_S7_ifPKiS9_S9_iPKfiiiPfSC_PS2_PT2_iSB_SB_.kd
    .uniform_work_group_size: 1
    .uses_dynamic_stack: false
    .vgpr_count:     96
    .vgpr_spill_count: 0
    .wavefront_size: 64
  - .agpr_count:     0
    .args:
      - .actual_access:  read_only
        .address_space:  global
        .offset:         0
        .size:           8
        .value_kind:     global_buffer
      - .actual_access:  read_only
        .address_space:  global
        .offset:         8
        .size:           8
        .value_kind:     global_buffer
      - .actual_access:  read_only
        .address_space:  global
        .offset:         16
        .size:           8
        .value_kind:     global_buffer
      - .offset:         24
        .size:           4
        .value_kind:     by_value
      - .offset:         28
        .size:           4
        .value_kind:     by_value
      - .actual_access:  read_only
        .address_space:  global
        .offset:         32
        .size:           8
        .value_kind:     global_buffer
      - .actual_access:  read_only
        .address_space:  global
        .offset:         40
        .size:           8
        .value_kind:     global_buffer
      - .actual_access:  read_only
        .address_space:  global
        .offset:         48
        .size:           8
        .value_kind:     global_buffer
      - .offset:         56
        .size:           4
        .value_kind:     by_value
      - .actual_access:  read_only
        .address_space:  global
        .offset:         64
        .size:           8
        .value_kind:     global_buffer
      - .offset:         72
        .size:           4
        .value_kind:     by_value
      - .offset:         76
        .size:           4
        .value_kind:     by_value
      - .offset:         80
        .size:           4
        .value_kind:     by_value
      - .actual_access:  write_only
        .address_space:  global
        .offset:         88
        .size:           8
        .value_kind:     global_buffer
      - .actual_access:  write_only
        .address_space:  global
        .offset:         96
        .size:           8
        .value_kind:     global_buffer
      - .actual_access:  write_only
        .address_space:  global
        .offset:         104
        .size:           8
        .value_kind:     global_buffer
      - .actual_access:  read_only
        .address_space:  global
        .offset:         112
        .size:           8
        .value_kind:     global_buffer
      - .offset:         120
        .size:           4
        .value_kind:     by_value
      - .address_space:  global
        .offset:         128
        .size:           8
        .value_kind:     global_buffer
      - .address_space:  global
        .offset:         136
        .size:           8
        .value_kind:     global_buffer
      - .offset:         144
        .size:           4
        .value_kind:     hidden_block_count_x
      - .offset:         148
        .size:           4
        .value_kind:     hidden_block_count_y
      - .offset:         152
        .size:           4
        .value_kind:     hidden_block_count_z
      - .offset:         156
        .size:           2
        .value_kind:     hidden_group_size_x
      - .offset:         158
        .size:           2
        .value_kind:     hidden_group_size_y
      - .offset:         160
        .size:           2
        .value_kind:     hidden_group_size_z
      - .offset:         162
        .size:           2
        .value_kind:     hidden_remainder_x
      - .offset:         164
        .size:           2
        .value_kind:     hidden_remainder_y
      - .offset:         166
        .size:           2
        .value_kind:     hidden_remainder_z
      - .offset:         184
        .size:           8
        .value_kind:     hidden_global_offset_x
      - .offset:         192
        .size:           8
        .value_kind:     hidden_global_offset_y
      - .offset:         200
        .size:           8
        .value_kind:     hidden_global_offset_z
      - .offset:         208
        .size:           2
        .value_kind:     hidden_grid_dims
    .group_segment_fixed_size: 8192
    .kernarg_segment_align: 8
    .kernarg_segment_size: 400
    .language:       OpenCL C
    .language_version:
      - 2
      - 0
    .max_flat_workgroup_size: 256
    .name:           _Z39paged_attention_ll4mi_QKV_mfma16_kernelIDF16_DF16_LN4vllm18Fp8KVCacheDataTypeE0EDF16_Li16ELi128ELi256ELb1ELi7EEvPKT_PKT0_S7_ifPKiS9_S9_iPKfiiiPfSC_PS2_PT2_iSB_SB_
    .private_segment_fixed_size: 0
    .sgpr_count:     48
    .sgpr_spill_count: 0
    .symbol:         _Z39paged_attention_ll4mi_QKV_mfma16_kernelIDF16_DF16_LN4vllm18Fp8KVCacheDataTypeE0EDF16_Li16ELi128ELi256ELb1ELi7EEvPKT_PKT0_S7_ifPKiS9_S9_iPKfiiiPfSC_PS2_PT2_iSB_SB_.kd
    .uniform_work_group_size: 1
    .uses_dynamic_stack: false
    .vgpr_count:     96
    .vgpr_spill_count: 0
    .wavefront_size: 64
  - .agpr_count:     0
    .args:
      - .actual_access:  read_only
        .address_space:  global
        .offset:         0
        .size:           8
        .value_kind:     global_buffer
      - .actual_access:  read_only
        .address_space:  global
        .offset:         8
        .size:           8
        .value_kind:     global_buffer
      - .actual_access:  read_only
        .address_space:  global
        .offset:         16
        .size:           8
        .value_kind:     global_buffer
      - .offset:         24
        .size:           4
        .value_kind:     by_value
      - .offset:         28
        .size:           4
        .value_kind:     by_value
      - .actual_access:  read_only
        .address_space:  global
        .offset:         32
        .size:           8
        .value_kind:     global_buffer
      - .actual_access:  read_only
        .address_space:  global
        .offset:         40
        .size:           8
        .value_kind:     global_buffer
      - .actual_access:  read_only
        .address_space:  global
        .offset:         48
        .size:           8
        .value_kind:     global_buffer
      - .offset:         56
        .size:           4
        .value_kind:     by_value
      - .actual_access:  read_only
        .address_space:  global
        .offset:         64
        .size:           8
        .value_kind:     global_buffer
      - .offset:         72
        .size:           4
        .value_kind:     by_value
      - .offset:         76
        .size:           4
        .value_kind:     by_value
      - .offset:         80
        .size:           4
        .value_kind:     by_value
      - .actual_access:  write_only
        .address_space:  global
        .offset:         88
        .size:           8
        .value_kind:     global_buffer
      - .actual_access:  write_only
        .address_space:  global
        .offset:         96
        .size:           8
        .value_kind:     global_buffer
      - .actual_access:  write_only
        .address_space:  global
        .offset:         104
        .size:           8
        .value_kind:     global_buffer
      - .actual_access:  read_only
        .address_space:  global
        .offset:         112
        .size:           8
        .value_kind:     global_buffer
      - .offset:         120
        .size:           4
        .value_kind:     by_value
      - .address_space:  global
        .offset:         128
        .size:           8
        .value_kind:     global_buffer
      - .address_space:  global
        .offset:         136
        .size:           8
        .value_kind:     global_buffer
      - .offset:         144
        .size:           4
        .value_kind:     hidden_block_count_x
      - .offset:         148
        .size:           4
        .value_kind:     hidden_block_count_y
      - .offset:         152
        .size:           4
        .value_kind:     hidden_block_count_z
      - .offset:         156
        .size:           2
        .value_kind:     hidden_group_size_x
      - .offset:         158
        .size:           2
        .value_kind:     hidden_group_size_y
      - .offset:         160
        .size:           2
        .value_kind:     hidden_group_size_z
      - .offset:         162
        .size:           2
        .value_kind:     hidden_remainder_x
      - .offset:         164
        .size:           2
        .value_kind:     hidden_remainder_y
      - .offset:         166
        .size:           2
        .value_kind:     hidden_remainder_z
      - .offset:         184
        .size:           8
        .value_kind:     hidden_global_offset_x
      - .offset:         192
        .size:           8
        .value_kind:     hidden_global_offset_y
      - .offset:         200
        .size:           8
        .value_kind:     hidden_global_offset_z
      - .offset:         208
        .size:           2
        .value_kind:     hidden_grid_dims
    .group_segment_fixed_size: 8192
    .kernarg_segment_align: 8
    .kernarg_segment_size: 400
    .language:       OpenCL C
    .language_version:
      - 2
      - 0
    .max_flat_workgroup_size: 256
    .name:           _Z39paged_attention_ll4mi_QKV_mfma16_kernelIDF16_DF16_LN4vllm18Fp8KVCacheDataTypeE0EDF16_Li16ELi128ELi256ELb1ELi8EEvPKT_PKT0_S7_ifPKiS9_S9_iPKfiiiPfSC_PS2_PT2_iSB_SB_
    .private_segment_fixed_size: 0
    .sgpr_count:     47
    .sgpr_spill_count: 0
    .symbol:         _Z39paged_attention_ll4mi_QKV_mfma16_kernelIDF16_DF16_LN4vllm18Fp8KVCacheDataTypeE0EDF16_Li16ELi128ELi256ELb1ELi8EEvPKT_PKT0_S7_ifPKiS9_S9_iPKfiiiPfSC_PS2_PT2_iSB_SB_.kd
    .uniform_work_group_size: 1
    .uses_dynamic_stack: false
    .vgpr_count:     96
    .vgpr_spill_count: 0
    .wavefront_size: 64
  - .agpr_count:     0
    .args:
      - .actual_access:  read_only
        .address_space:  global
        .offset:         0
        .size:           8
        .value_kind:     global_buffer
      - .actual_access:  read_only
        .address_space:  global
        .offset:         8
        .size:           8
        .value_kind:     global_buffer
      - .actual_access:  read_only
        .address_space:  global
        .offset:         16
        .size:           8
        .value_kind:     global_buffer
      - .offset:         24
        .size:           4
        .value_kind:     by_value
      - .offset:         28
        .size:           4
        .value_kind:     by_value
      - .actual_access:  read_only
        .address_space:  global
        .offset:         32
        .size:           8
        .value_kind:     global_buffer
      - .actual_access:  read_only
        .address_space:  global
        .offset:         40
        .size:           8
        .value_kind:     global_buffer
      - .actual_access:  read_only
        .address_space:  global
        .offset:         48
        .size:           8
        .value_kind:     global_buffer
      - .offset:         56
        .size:           4
        .value_kind:     by_value
      - .actual_access:  read_only
        .address_space:  global
        .offset:         64
        .size:           8
        .value_kind:     global_buffer
      - .offset:         72
        .size:           4
        .value_kind:     by_value
      - .offset:         76
        .size:           4
        .value_kind:     by_value
      - .offset:         80
        .size:           4
        .value_kind:     by_value
      - .actual_access:  write_only
        .address_space:  global
        .offset:         88
        .size:           8
        .value_kind:     global_buffer
      - .actual_access:  write_only
        .address_space:  global
        .offset:         96
        .size:           8
        .value_kind:     global_buffer
      - .actual_access:  write_only
        .address_space:  global
        .offset:         104
        .size:           8
        .value_kind:     global_buffer
      - .actual_access:  read_only
        .address_space:  global
        .offset:         112
        .size:           8
        .value_kind:     global_buffer
      - .offset:         120
        .size:           4
        .value_kind:     by_value
      - .address_space:  global
        .offset:         128
        .size:           8
        .value_kind:     global_buffer
      - .address_space:  global
        .offset:         136
        .size:           8
        .value_kind:     global_buffer
      - .offset:         144
        .size:           4
        .value_kind:     hidden_block_count_x
      - .offset:         148
        .size:           4
        .value_kind:     hidden_block_count_y
      - .offset:         152
        .size:           4
        .value_kind:     hidden_block_count_z
      - .offset:         156
        .size:           2
        .value_kind:     hidden_group_size_x
      - .offset:         158
        .size:           2
        .value_kind:     hidden_group_size_y
      - .offset:         160
        .size:           2
        .value_kind:     hidden_group_size_z
      - .offset:         162
        .size:           2
        .value_kind:     hidden_remainder_x
      - .offset:         164
        .size:           2
        .value_kind:     hidden_remainder_y
      - .offset:         166
        .size:           2
        .value_kind:     hidden_remainder_z
      - .offset:         184
        .size:           8
        .value_kind:     hidden_global_offset_x
      - .offset:         192
        .size:           8
        .value_kind:     hidden_global_offset_y
      - .offset:         200
        .size:           8
        .value_kind:     hidden_global_offset_z
      - .offset:         208
        .size:           2
        .value_kind:     hidden_grid_dims
    .group_segment_fixed_size: 8192
    .kernarg_segment_align: 8
    .kernarg_segment_size: 400
    .language:       OpenCL C
    .language_version:
      - 2
      - 0
    .max_flat_workgroup_size: 256
    .name:           _Z39paged_attention_ll4mi_QKV_mfma16_kernelIDF16_DF16_LN4vllm18Fp8KVCacheDataTypeE0EDF16_Li16ELi128ELi256ELb1ELi9EEvPKT_PKT0_S7_ifPKiS9_S9_iPKfiiiPfSC_PS2_PT2_iSB_SB_
    .private_segment_fixed_size: 0
    .sgpr_count:     48
    .sgpr_spill_count: 0
    .symbol:         _Z39paged_attention_ll4mi_QKV_mfma16_kernelIDF16_DF16_LN4vllm18Fp8KVCacheDataTypeE0EDF16_Li16ELi128ELi256ELb1ELi9EEvPKT_PKT0_S7_ifPKiS9_S9_iPKfiiiPfSC_PS2_PT2_iSB_SB_.kd
    .uniform_work_group_size: 1
    .uses_dynamic_stack: false
    .vgpr_count:     96
    .vgpr_spill_count: 0
    .wavefront_size: 64
  - .agpr_count:     0
    .args:
      - .actual_access:  read_only
        .address_space:  global
        .offset:         0
        .size:           8
        .value_kind:     global_buffer
      - .actual_access:  read_only
        .address_space:  global
        .offset:         8
        .size:           8
        .value_kind:     global_buffer
      - .actual_access:  read_only
        .address_space:  global
        .offset:         16
        .size:           8
        .value_kind:     global_buffer
      - .offset:         24
        .size:           4
        .value_kind:     by_value
      - .offset:         28
        .size:           4
        .value_kind:     by_value
      - .actual_access:  read_only
        .address_space:  global
        .offset:         32
        .size:           8
        .value_kind:     global_buffer
      - .actual_access:  read_only
        .address_space:  global
        .offset:         40
        .size:           8
        .value_kind:     global_buffer
      - .actual_access:  read_only
        .address_space:  global
        .offset:         48
        .size:           8
        .value_kind:     global_buffer
      - .offset:         56
        .size:           4
        .value_kind:     by_value
      - .actual_access:  read_only
        .address_space:  global
        .offset:         64
        .size:           8
        .value_kind:     global_buffer
      - .offset:         72
        .size:           4
        .value_kind:     by_value
      - .offset:         76
        .size:           4
        .value_kind:     by_value
      - .offset:         80
        .size:           4
        .value_kind:     by_value
      - .actual_access:  write_only
        .address_space:  global
        .offset:         88
        .size:           8
        .value_kind:     global_buffer
      - .actual_access:  write_only
        .address_space:  global
        .offset:         96
        .size:           8
        .value_kind:     global_buffer
      - .actual_access:  write_only
        .address_space:  global
        .offset:         104
        .size:           8
        .value_kind:     global_buffer
      - .actual_access:  read_only
        .address_space:  global
        .offset:         112
        .size:           8
        .value_kind:     global_buffer
      - .offset:         120
        .size:           4
        .value_kind:     by_value
      - .address_space:  global
        .offset:         128
        .size:           8
        .value_kind:     global_buffer
      - .address_space:  global
        .offset:         136
        .size:           8
        .value_kind:     global_buffer
      - .offset:         144
        .size:           4
        .value_kind:     hidden_block_count_x
      - .offset:         148
        .size:           4
        .value_kind:     hidden_block_count_y
      - .offset:         152
        .size:           4
        .value_kind:     hidden_block_count_z
      - .offset:         156
        .size:           2
        .value_kind:     hidden_group_size_x
      - .offset:         158
        .size:           2
        .value_kind:     hidden_group_size_y
      - .offset:         160
        .size:           2
        .value_kind:     hidden_group_size_z
      - .offset:         162
        .size:           2
        .value_kind:     hidden_remainder_x
      - .offset:         164
        .size:           2
        .value_kind:     hidden_remainder_y
      - .offset:         166
        .size:           2
        .value_kind:     hidden_remainder_z
      - .offset:         184
        .size:           8
        .value_kind:     hidden_global_offset_x
      - .offset:         192
        .size:           8
        .value_kind:     hidden_global_offset_y
      - .offset:         200
        .size:           8
        .value_kind:     hidden_global_offset_z
      - .offset:         208
        .size:           2
        .value_kind:     hidden_grid_dims
    .group_segment_fixed_size: 8192
    .kernarg_segment_align: 8
    .kernarg_segment_size: 400
    .language:       OpenCL C
    .language_version:
      - 2
      - 0
    .max_flat_workgroup_size: 256
    .name:           _Z39paged_attention_ll4mi_QKV_mfma16_kernelIDF16_DF16_LN4vllm18Fp8KVCacheDataTypeE0EDF16_Li16ELi128ELi256ELb1ELi10EEvPKT_PKT0_S7_ifPKiS9_S9_iPKfiiiPfSC_PS2_PT2_iSB_SB_
    .private_segment_fixed_size: 0
    .sgpr_count:     48
    .sgpr_spill_count: 0
    .symbol:         _Z39paged_attention_ll4mi_QKV_mfma16_kernelIDF16_DF16_LN4vllm18Fp8KVCacheDataTypeE0EDF16_Li16ELi128ELi256ELb1ELi10EEvPKT_PKT0_S7_ifPKiS9_S9_iPKfiiiPfSC_PS2_PT2_iSB_SB_.kd
    .uniform_work_group_size: 1
    .uses_dynamic_stack: false
    .vgpr_count:     96
    .vgpr_spill_count: 0
    .wavefront_size: 64
  - .agpr_count:     0
    .args:
      - .actual_access:  read_only
        .address_space:  global
        .offset:         0
        .size:           8
        .value_kind:     global_buffer
      - .actual_access:  read_only
        .address_space:  global
        .offset:         8
        .size:           8
        .value_kind:     global_buffer
      - .actual_access:  read_only
        .address_space:  global
        .offset:         16
        .size:           8
        .value_kind:     global_buffer
      - .offset:         24
        .size:           4
        .value_kind:     by_value
      - .offset:         28
        .size:           4
        .value_kind:     by_value
      - .actual_access:  read_only
        .address_space:  global
        .offset:         32
        .size:           8
        .value_kind:     global_buffer
      - .actual_access:  read_only
        .address_space:  global
        .offset:         40
        .size:           8
        .value_kind:     global_buffer
      - .actual_access:  read_only
        .address_space:  global
        .offset:         48
        .size:           8
        .value_kind:     global_buffer
      - .offset:         56
        .size:           4
        .value_kind:     by_value
      - .actual_access:  read_only
        .address_space:  global
        .offset:         64
        .size:           8
        .value_kind:     global_buffer
      - .offset:         72
        .size:           4
        .value_kind:     by_value
      - .offset:         76
        .size:           4
        .value_kind:     by_value
      - .offset:         80
        .size:           4
        .value_kind:     by_value
      - .actual_access:  write_only
        .address_space:  global
        .offset:         88
        .size:           8
        .value_kind:     global_buffer
      - .actual_access:  write_only
        .address_space:  global
        .offset:         96
        .size:           8
        .value_kind:     global_buffer
      - .actual_access:  write_only
        .address_space:  global
        .offset:         104
        .size:           8
        .value_kind:     global_buffer
      - .actual_access:  read_only
        .address_space:  global
        .offset:         112
        .size:           8
        .value_kind:     global_buffer
      - .offset:         120
        .size:           4
        .value_kind:     by_value
      - .address_space:  global
        .offset:         128
        .size:           8
        .value_kind:     global_buffer
      - .address_space:  global
        .offset:         136
        .size:           8
        .value_kind:     global_buffer
      - .offset:         144
        .size:           4
        .value_kind:     hidden_block_count_x
      - .offset:         148
        .size:           4
        .value_kind:     hidden_block_count_y
      - .offset:         152
        .size:           4
        .value_kind:     hidden_block_count_z
      - .offset:         156
        .size:           2
        .value_kind:     hidden_group_size_x
      - .offset:         158
        .size:           2
        .value_kind:     hidden_group_size_y
      - .offset:         160
        .size:           2
        .value_kind:     hidden_group_size_z
      - .offset:         162
        .size:           2
        .value_kind:     hidden_remainder_x
      - .offset:         164
        .size:           2
        .value_kind:     hidden_remainder_y
      - .offset:         166
        .size:           2
        .value_kind:     hidden_remainder_z
      - .offset:         184
        .size:           8
        .value_kind:     hidden_global_offset_x
      - .offset:         192
        .size:           8
        .value_kind:     hidden_global_offset_y
      - .offset:         200
        .size:           8
        .value_kind:     hidden_global_offset_z
      - .offset:         208
        .size:           2
        .value_kind:     hidden_grid_dims
    .group_segment_fixed_size: 8192
    .kernarg_segment_align: 8
    .kernarg_segment_size: 400
    .language:       OpenCL C
    .language_version:
      - 2
      - 0
    .max_flat_workgroup_size: 256
    .name:           _Z39paged_attention_ll4mi_QKV_mfma16_kernelIDF16_DF16_LN4vllm18Fp8KVCacheDataTypeE0EDF16_Li16ELi128ELi256ELb1ELi11EEvPKT_PKT0_S7_ifPKiS9_S9_iPKfiiiPfSC_PS2_PT2_iSB_SB_
    .private_segment_fixed_size: 0
    .sgpr_count:     48
    .sgpr_spill_count: 0
    .symbol:         _Z39paged_attention_ll4mi_QKV_mfma16_kernelIDF16_DF16_LN4vllm18Fp8KVCacheDataTypeE0EDF16_Li16ELi128ELi256ELb1ELi11EEvPKT_PKT0_S7_ifPKiS9_S9_iPKfiiiPfSC_PS2_PT2_iSB_SB_.kd
    .uniform_work_group_size: 1
    .uses_dynamic_stack: false
    .vgpr_count:     96
    .vgpr_spill_count: 0
    .wavefront_size: 64
  - .agpr_count:     0
    .args:
      - .actual_access:  read_only
        .address_space:  global
        .offset:         0
        .size:           8
        .value_kind:     global_buffer
      - .actual_access:  read_only
        .address_space:  global
        .offset:         8
        .size:           8
        .value_kind:     global_buffer
      - .actual_access:  read_only
        .address_space:  global
        .offset:         16
        .size:           8
        .value_kind:     global_buffer
      - .offset:         24
        .size:           4
        .value_kind:     by_value
      - .offset:         28
        .size:           4
        .value_kind:     by_value
      - .actual_access:  read_only
        .address_space:  global
        .offset:         32
        .size:           8
        .value_kind:     global_buffer
      - .actual_access:  read_only
        .address_space:  global
        .offset:         40
        .size:           8
        .value_kind:     global_buffer
      - .actual_access:  read_only
        .address_space:  global
        .offset:         48
        .size:           8
        .value_kind:     global_buffer
      - .offset:         56
        .size:           4
        .value_kind:     by_value
      - .actual_access:  read_only
        .address_space:  global
        .offset:         64
        .size:           8
        .value_kind:     global_buffer
      - .offset:         72
        .size:           4
        .value_kind:     by_value
      - .offset:         76
        .size:           4
        .value_kind:     by_value
      - .offset:         80
        .size:           4
        .value_kind:     by_value
      - .actual_access:  write_only
        .address_space:  global
        .offset:         88
        .size:           8
        .value_kind:     global_buffer
      - .actual_access:  write_only
        .address_space:  global
        .offset:         96
        .size:           8
        .value_kind:     global_buffer
      - .actual_access:  write_only
        .address_space:  global
        .offset:         104
        .size:           8
        .value_kind:     global_buffer
      - .actual_access:  read_only
        .address_space:  global
        .offset:         112
        .size:           8
        .value_kind:     global_buffer
      - .offset:         120
        .size:           4
        .value_kind:     by_value
      - .address_space:  global
        .offset:         128
        .size:           8
        .value_kind:     global_buffer
      - .address_space:  global
        .offset:         136
        .size:           8
        .value_kind:     global_buffer
      - .offset:         144
        .size:           4
        .value_kind:     hidden_block_count_x
      - .offset:         148
        .size:           4
        .value_kind:     hidden_block_count_y
      - .offset:         152
        .size:           4
        .value_kind:     hidden_block_count_z
      - .offset:         156
        .size:           2
        .value_kind:     hidden_group_size_x
      - .offset:         158
        .size:           2
        .value_kind:     hidden_group_size_y
      - .offset:         160
        .size:           2
        .value_kind:     hidden_group_size_z
      - .offset:         162
        .size:           2
        .value_kind:     hidden_remainder_x
      - .offset:         164
        .size:           2
        .value_kind:     hidden_remainder_y
      - .offset:         166
        .size:           2
        .value_kind:     hidden_remainder_z
      - .offset:         184
        .size:           8
        .value_kind:     hidden_global_offset_x
      - .offset:         192
        .size:           8
        .value_kind:     hidden_global_offset_y
      - .offset:         200
        .size:           8
        .value_kind:     hidden_global_offset_z
      - .offset:         208
        .size:           2
        .value_kind:     hidden_grid_dims
    .group_segment_fixed_size: 8192
    .kernarg_segment_align: 8
    .kernarg_segment_size: 400
    .language:       OpenCL C
    .language_version:
      - 2
      - 0
    .max_flat_workgroup_size: 256
    .name:           _Z39paged_attention_ll4mi_QKV_mfma16_kernelIDF16_DF16_LN4vllm18Fp8KVCacheDataTypeE0EDF16_Li16ELi128ELi256ELb1ELi12EEvPKT_PKT0_S7_ifPKiS9_S9_iPKfiiiPfSC_PS2_PT2_iSB_SB_
    .private_segment_fixed_size: 0
    .sgpr_count:     48
    .sgpr_spill_count: 0
    .symbol:         _Z39paged_attention_ll4mi_QKV_mfma16_kernelIDF16_DF16_LN4vllm18Fp8KVCacheDataTypeE0EDF16_Li16ELi128ELi256ELb1ELi12EEvPKT_PKT0_S7_ifPKiS9_S9_iPKfiiiPfSC_PS2_PT2_iSB_SB_.kd
    .uniform_work_group_size: 1
    .uses_dynamic_stack: false
    .vgpr_count:     96
    .vgpr_spill_count: 0
    .wavefront_size: 64
  - .agpr_count:     0
    .args:
      - .actual_access:  read_only
        .address_space:  global
        .offset:         0
        .size:           8
        .value_kind:     global_buffer
      - .actual_access:  read_only
        .address_space:  global
        .offset:         8
        .size:           8
        .value_kind:     global_buffer
      - .actual_access:  read_only
        .address_space:  global
        .offset:         16
        .size:           8
        .value_kind:     global_buffer
      - .offset:         24
        .size:           4
        .value_kind:     by_value
      - .offset:         28
        .size:           4
        .value_kind:     by_value
      - .actual_access:  read_only
        .address_space:  global
        .offset:         32
        .size:           8
        .value_kind:     global_buffer
      - .actual_access:  read_only
        .address_space:  global
        .offset:         40
        .size:           8
        .value_kind:     global_buffer
      - .actual_access:  read_only
        .address_space:  global
        .offset:         48
        .size:           8
        .value_kind:     global_buffer
      - .offset:         56
        .size:           4
        .value_kind:     by_value
      - .actual_access:  read_only
        .address_space:  global
        .offset:         64
        .size:           8
        .value_kind:     global_buffer
      - .offset:         72
        .size:           4
        .value_kind:     by_value
      - .offset:         76
        .size:           4
        .value_kind:     by_value
      - .offset:         80
        .size:           4
        .value_kind:     by_value
      - .actual_access:  write_only
        .address_space:  global
        .offset:         88
        .size:           8
        .value_kind:     global_buffer
      - .actual_access:  write_only
        .address_space:  global
        .offset:         96
        .size:           8
        .value_kind:     global_buffer
      - .actual_access:  write_only
        .address_space:  global
        .offset:         104
        .size:           8
        .value_kind:     global_buffer
      - .actual_access:  read_only
        .address_space:  global
        .offset:         112
        .size:           8
        .value_kind:     global_buffer
      - .offset:         120
        .size:           4
        .value_kind:     by_value
      - .address_space:  global
        .offset:         128
        .size:           8
        .value_kind:     global_buffer
      - .address_space:  global
        .offset:         136
        .size:           8
        .value_kind:     global_buffer
      - .offset:         144
        .size:           4
        .value_kind:     hidden_block_count_x
      - .offset:         148
        .size:           4
        .value_kind:     hidden_block_count_y
      - .offset:         152
        .size:           4
        .value_kind:     hidden_block_count_z
      - .offset:         156
        .size:           2
        .value_kind:     hidden_group_size_x
      - .offset:         158
        .size:           2
        .value_kind:     hidden_group_size_y
      - .offset:         160
        .size:           2
        .value_kind:     hidden_group_size_z
      - .offset:         162
        .size:           2
        .value_kind:     hidden_remainder_x
      - .offset:         164
        .size:           2
        .value_kind:     hidden_remainder_y
      - .offset:         166
        .size:           2
        .value_kind:     hidden_remainder_z
      - .offset:         184
        .size:           8
        .value_kind:     hidden_global_offset_x
      - .offset:         192
        .size:           8
        .value_kind:     hidden_global_offset_y
      - .offset:         200
        .size:           8
        .value_kind:     hidden_global_offset_z
      - .offset:         208
        .size:           2
        .value_kind:     hidden_grid_dims
    .group_segment_fixed_size: 8192
    .kernarg_segment_align: 8
    .kernarg_segment_size: 400
    .language:       OpenCL C
    .language_version:
      - 2
      - 0
    .max_flat_workgroup_size: 256
    .name:           _Z39paged_attention_ll4mi_QKV_mfma16_kernelIDF16_DF16_LN4vllm18Fp8KVCacheDataTypeE0EDF16_Li16ELi128ELi256ELb1ELi13EEvPKT_PKT0_S7_ifPKiS9_S9_iPKfiiiPfSC_PS2_PT2_iSB_SB_
    .private_segment_fixed_size: 0
    .sgpr_count:     48
    .sgpr_spill_count: 0
    .symbol:         _Z39paged_attention_ll4mi_QKV_mfma16_kernelIDF16_DF16_LN4vllm18Fp8KVCacheDataTypeE0EDF16_Li16ELi128ELi256ELb1ELi13EEvPKT_PKT0_S7_ifPKiS9_S9_iPKfiiiPfSC_PS2_PT2_iSB_SB_.kd
    .uniform_work_group_size: 1
    .uses_dynamic_stack: false
    .vgpr_count:     96
    .vgpr_spill_count: 0
    .wavefront_size: 64
  - .agpr_count:     0
    .args:
      - .actual_access:  read_only
        .address_space:  global
        .offset:         0
        .size:           8
        .value_kind:     global_buffer
      - .actual_access:  read_only
        .address_space:  global
        .offset:         8
        .size:           8
        .value_kind:     global_buffer
      - .actual_access:  read_only
        .address_space:  global
        .offset:         16
        .size:           8
        .value_kind:     global_buffer
      - .offset:         24
        .size:           4
        .value_kind:     by_value
      - .offset:         28
        .size:           4
        .value_kind:     by_value
      - .actual_access:  read_only
        .address_space:  global
        .offset:         32
        .size:           8
        .value_kind:     global_buffer
      - .actual_access:  read_only
        .address_space:  global
        .offset:         40
        .size:           8
        .value_kind:     global_buffer
      - .actual_access:  read_only
        .address_space:  global
        .offset:         48
        .size:           8
        .value_kind:     global_buffer
      - .offset:         56
        .size:           4
        .value_kind:     by_value
      - .actual_access:  read_only
        .address_space:  global
        .offset:         64
        .size:           8
        .value_kind:     global_buffer
      - .offset:         72
        .size:           4
        .value_kind:     by_value
      - .offset:         76
        .size:           4
        .value_kind:     by_value
      - .offset:         80
        .size:           4
        .value_kind:     by_value
      - .actual_access:  write_only
        .address_space:  global
        .offset:         88
        .size:           8
        .value_kind:     global_buffer
      - .actual_access:  write_only
        .address_space:  global
        .offset:         96
        .size:           8
        .value_kind:     global_buffer
      - .actual_access:  write_only
        .address_space:  global
        .offset:         104
        .size:           8
        .value_kind:     global_buffer
      - .actual_access:  read_only
        .address_space:  global
        .offset:         112
        .size:           8
        .value_kind:     global_buffer
      - .offset:         120
        .size:           4
        .value_kind:     by_value
      - .address_space:  global
        .offset:         128
        .size:           8
        .value_kind:     global_buffer
      - .address_space:  global
        .offset:         136
        .size:           8
        .value_kind:     global_buffer
      - .offset:         144
        .size:           4
        .value_kind:     hidden_block_count_x
      - .offset:         148
        .size:           4
        .value_kind:     hidden_block_count_y
      - .offset:         152
        .size:           4
        .value_kind:     hidden_block_count_z
      - .offset:         156
        .size:           2
        .value_kind:     hidden_group_size_x
      - .offset:         158
        .size:           2
        .value_kind:     hidden_group_size_y
      - .offset:         160
        .size:           2
        .value_kind:     hidden_group_size_z
      - .offset:         162
        .size:           2
        .value_kind:     hidden_remainder_x
      - .offset:         164
        .size:           2
        .value_kind:     hidden_remainder_y
      - .offset:         166
        .size:           2
        .value_kind:     hidden_remainder_z
      - .offset:         184
        .size:           8
        .value_kind:     hidden_global_offset_x
      - .offset:         192
        .size:           8
        .value_kind:     hidden_global_offset_y
      - .offset:         200
        .size:           8
        .value_kind:     hidden_global_offset_z
      - .offset:         208
        .size:           2
        .value_kind:     hidden_grid_dims
    .group_segment_fixed_size: 8192
    .kernarg_segment_align: 8
    .kernarg_segment_size: 400
    .language:       OpenCL C
    .language_version:
      - 2
      - 0
    .max_flat_workgroup_size: 256
    .name:           _Z39paged_attention_ll4mi_QKV_mfma16_kernelIDF16_DF16_LN4vllm18Fp8KVCacheDataTypeE0EDF16_Li16ELi128ELi256ELb1ELi14EEvPKT_PKT0_S7_ifPKiS9_S9_iPKfiiiPfSC_PS2_PT2_iSB_SB_
    .private_segment_fixed_size: 0
    .sgpr_count:     48
    .sgpr_spill_count: 0
    .symbol:         _Z39paged_attention_ll4mi_QKV_mfma16_kernelIDF16_DF16_LN4vllm18Fp8KVCacheDataTypeE0EDF16_Li16ELi128ELi256ELb1ELi14EEvPKT_PKT0_S7_ifPKiS9_S9_iPKfiiiPfSC_PS2_PT2_iSB_SB_.kd
    .uniform_work_group_size: 1
    .uses_dynamic_stack: false
    .vgpr_count:     96
    .vgpr_spill_count: 0
    .wavefront_size: 64
  - .agpr_count:     0
    .args:
      - .actual_access:  read_only
        .address_space:  global
        .offset:         0
        .size:           8
        .value_kind:     global_buffer
      - .actual_access:  read_only
        .address_space:  global
        .offset:         8
        .size:           8
        .value_kind:     global_buffer
      - .actual_access:  read_only
        .address_space:  global
        .offset:         16
        .size:           8
        .value_kind:     global_buffer
      - .offset:         24
        .size:           4
        .value_kind:     by_value
      - .offset:         28
        .size:           4
        .value_kind:     by_value
      - .actual_access:  read_only
        .address_space:  global
        .offset:         32
        .size:           8
        .value_kind:     global_buffer
      - .actual_access:  read_only
        .address_space:  global
        .offset:         40
        .size:           8
        .value_kind:     global_buffer
      - .actual_access:  read_only
        .address_space:  global
        .offset:         48
        .size:           8
        .value_kind:     global_buffer
      - .offset:         56
        .size:           4
        .value_kind:     by_value
      - .actual_access:  read_only
        .address_space:  global
        .offset:         64
        .size:           8
        .value_kind:     global_buffer
      - .offset:         72
        .size:           4
        .value_kind:     by_value
      - .offset:         76
        .size:           4
        .value_kind:     by_value
      - .offset:         80
        .size:           4
        .value_kind:     by_value
      - .actual_access:  write_only
        .address_space:  global
        .offset:         88
        .size:           8
        .value_kind:     global_buffer
      - .actual_access:  write_only
        .address_space:  global
        .offset:         96
        .size:           8
        .value_kind:     global_buffer
      - .actual_access:  write_only
        .address_space:  global
        .offset:         104
        .size:           8
        .value_kind:     global_buffer
      - .actual_access:  read_only
        .address_space:  global
        .offset:         112
        .size:           8
        .value_kind:     global_buffer
      - .offset:         120
        .size:           4
        .value_kind:     by_value
      - .address_space:  global
        .offset:         128
        .size:           8
        .value_kind:     global_buffer
      - .address_space:  global
        .offset:         136
        .size:           8
        .value_kind:     global_buffer
      - .offset:         144
        .size:           4
        .value_kind:     hidden_block_count_x
      - .offset:         148
        .size:           4
        .value_kind:     hidden_block_count_y
      - .offset:         152
        .size:           4
        .value_kind:     hidden_block_count_z
      - .offset:         156
        .size:           2
        .value_kind:     hidden_group_size_x
      - .offset:         158
        .size:           2
        .value_kind:     hidden_group_size_y
      - .offset:         160
        .size:           2
        .value_kind:     hidden_group_size_z
      - .offset:         162
        .size:           2
        .value_kind:     hidden_remainder_x
      - .offset:         164
        .size:           2
        .value_kind:     hidden_remainder_y
      - .offset:         166
        .size:           2
        .value_kind:     hidden_remainder_z
      - .offset:         184
        .size:           8
        .value_kind:     hidden_global_offset_x
      - .offset:         192
        .size:           8
        .value_kind:     hidden_global_offset_y
      - .offset:         200
        .size:           8
        .value_kind:     hidden_global_offset_z
      - .offset:         208
        .size:           2
        .value_kind:     hidden_grid_dims
    .group_segment_fixed_size: 8192
    .kernarg_segment_align: 8
    .kernarg_segment_size: 400
    .language:       OpenCL C
    .language_version:
      - 2
      - 0
    .max_flat_workgroup_size: 256
    .name:           _Z39paged_attention_ll4mi_QKV_mfma16_kernelIDF16_DF16_LN4vllm18Fp8KVCacheDataTypeE0EDF16_Li16ELi128ELi256ELb1ELi15EEvPKT_PKT0_S7_ifPKiS9_S9_iPKfiiiPfSC_PS2_PT2_iSB_SB_
    .private_segment_fixed_size: 0
    .sgpr_count:     48
    .sgpr_spill_count: 0
    .symbol:         _Z39paged_attention_ll4mi_QKV_mfma16_kernelIDF16_DF16_LN4vllm18Fp8KVCacheDataTypeE0EDF16_Li16ELi128ELi256ELb1ELi15EEvPKT_PKT0_S7_ifPKiS9_S9_iPKfiiiPfSC_PS2_PT2_iSB_SB_.kd
    .uniform_work_group_size: 1
    .uses_dynamic_stack: false
    .vgpr_count:     96
    .vgpr_spill_count: 0
    .wavefront_size: 64
  - .agpr_count:     0
    .args:
      - .actual_access:  read_only
        .address_space:  global
        .offset:         0
        .size:           8
        .value_kind:     global_buffer
      - .actual_access:  read_only
        .address_space:  global
        .offset:         8
        .size:           8
        .value_kind:     global_buffer
      - .actual_access:  read_only
        .address_space:  global
        .offset:         16
        .size:           8
        .value_kind:     global_buffer
      - .offset:         24
        .size:           4
        .value_kind:     by_value
      - .offset:         28
        .size:           4
        .value_kind:     by_value
      - .actual_access:  read_only
        .address_space:  global
        .offset:         32
        .size:           8
        .value_kind:     global_buffer
      - .actual_access:  read_only
        .address_space:  global
        .offset:         40
        .size:           8
        .value_kind:     global_buffer
      - .actual_access:  read_only
        .address_space:  global
        .offset:         48
        .size:           8
        .value_kind:     global_buffer
      - .offset:         56
        .size:           4
        .value_kind:     by_value
      - .actual_access:  read_only
        .address_space:  global
        .offset:         64
        .size:           8
        .value_kind:     global_buffer
      - .offset:         72
        .size:           4
        .value_kind:     by_value
      - .offset:         76
        .size:           4
        .value_kind:     by_value
      - .offset:         80
        .size:           4
        .value_kind:     by_value
      - .actual_access:  write_only
        .address_space:  global
        .offset:         88
        .size:           8
        .value_kind:     global_buffer
      - .actual_access:  write_only
        .address_space:  global
        .offset:         96
        .size:           8
        .value_kind:     global_buffer
      - .actual_access:  write_only
        .address_space:  global
        .offset:         104
        .size:           8
        .value_kind:     global_buffer
      - .actual_access:  read_only
        .address_space:  global
        .offset:         112
        .size:           8
        .value_kind:     global_buffer
      - .offset:         120
        .size:           4
        .value_kind:     by_value
      - .address_space:  global
        .offset:         128
        .size:           8
        .value_kind:     global_buffer
      - .address_space:  global
        .offset:         136
        .size:           8
        .value_kind:     global_buffer
      - .offset:         144
        .size:           4
        .value_kind:     hidden_block_count_x
      - .offset:         148
        .size:           4
        .value_kind:     hidden_block_count_y
      - .offset:         152
        .size:           4
        .value_kind:     hidden_block_count_z
      - .offset:         156
        .size:           2
        .value_kind:     hidden_group_size_x
      - .offset:         158
        .size:           2
        .value_kind:     hidden_group_size_y
      - .offset:         160
        .size:           2
        .value_kind:     hidden_group_size_z
      - .offset:         162
        .size:           2
        .value_kind:     hidden_remainder_x
      - .offset:         164
        .size:           2
        .value_kind:     hidden_remainder_y
      - .offset:         166
        .size:           2
        .value_kind:     hidden_remainder_z
      - .offset:         184
        .size:           8
        .value_kind:     hidden_global_offset_x
      - .offset:         192
        .size:           8
        .value_kind:     hidden_global_offset_y
      - .offset:         200
        .size:           8
        .value_kind:     hidden_global_offset_z
      - .offset:         208
        .size:           2
        .value_kind:     hidden_grid_dims
    .group_segment_fixed_size: 8192
    .kernarg_segment_align: 8
    .kernarg_segment_size: 400
    .language:       OpenCL C
    .language_version:
      - 2
      - 0
    .max_flat_workgroup_size: 256
    .name:           _Z39paged_attention_ll4mi_QKV_mfma16_kernelIDF16_DF16_LN4vllm18Fp8KVCacheDataTypeE0EDF16_Li16ELi128ELi256ELb1ELi16EEvPKT_PKT0_S7_ifPKiS9_S9_iPKfiiiPfSC_PS2_PT2_iSB_SB_
    .private_segment_fixed_size: 16
    .sgpr_count:     47
    .sgpr_spill_count: 0
    .symbol:         _Z39paged_attention_ll4mi_QKV_mfma16_kernelIDF16_DF16_LN4vllm18Fp8KVCacheDataTypeE0EDF16_Li16ELi128ELi256ELb1ELi16EEvPKT_PKT0_S7_ifPKiS9_S9_iPKfiiiPfSC_PS2_PT2_iSB_SB_.kd
    .uniform_work_group_size: 1
    .uses_dynamic_stack: false
    .vgpr_count:     96
    .vgpr_spill_count: 5
    .wavefront_size: 64
  - .agpr_count:     0
    .args:
      - .actual_access:  write_only
        .address_space:  global
        .offset:         0
        .size:           8
        .value_kind:     global_buffer
      - .actual_access:  read_only
        .address_space:  global
        .offset:         8
        .size:           8
        .value_kind:     global_buffer
      - .actual_access:  read_only
        .address_space:  global
        .offset:         16
        .size:           8
        .value_kind:     global_buffer
      - .actual_access:  read_only
        .address_space:  global
        .offset:         24
        .size:           8
        .value_kind:     global_buffer
      - .actual_access:  read_only
        .address_space:  global
        .offset:         32
        .size:           8
        .value_kind:     global_buffer
      - .actual_access:  read_only
        .address_space:  global
        .offset:         40
        .size:           8
        .value_kind:     global_buffer
      - .offset:         48
        .size:           4
        .value_kind:     by_value
      - .actual_access:  read_only
        .address_space:  global
        .offset:         56
        .size:           8
        .value_kind:     global_buffer
      - .offset:         64
        .size:           4
        .value_kind:     hidden_block_count_x
      - .offset:         68
        .size:           4
        .value_kind:     hidden_block_count_y
      - .offset:         72
        .size:           4
        .value_kind:     hidden_block_count_z
      - .offset:         76
        .size:           2
        .value_kind:     hidden_group_size_x
      - .offset:         78
        .size:           2
        .value_kind:     hidden_group_size_y
      - .offset:         80
        .size:           2
        .value_kind:     hidden_group_size_z
      - .offset:         82
        .size:           2
        .value_kind:     hidden_remainder_x
      - .offset:         84
        .size:           2
        .value_kind:     hidden_remainder_y
      - .offset:         86
        .size:           2
        .value_kind:     hidden_remainder_z
      - .offset:         104
        .size:           8
        .value_kind:     hidden_global_offset_x
      - .offset:         112
        .size:           8
        .value_kind:     hidden_global_offset_y
      - .offset:         120
        .size:           8
        .value_kind:     hidden_global_offset_z
      - .offset:         128
        .size:           2
        .value_kind:     hidden_grid_dims
    .group_segment_fixed_size: 260
    .kernarg_segment_align: 8
    .kernarg_segment_size: 320
    .language:       OpenCL C
    .language_version:
      - 2
      - 0
    .max_flat_workgroup_size: 128
    .name:           _Z35paged_attention_ll4mi_reduce_kernelIDF16_DF16_Li128ELi128ELi256ELi1EEvPT0_PKfS3_PKT_PKiS8_iS3_
    .private_segment_fixed_size: 0
    .sgpr_count:     36
    .sgpr_spill_count: 0
    .symbol:         _Z35paged_attention_ll4mi_reduce_kernelIDF16_DF16_Li128ELi128ELi256ELi1EEvPT0_PKfS3_PKT_PKiS8_iS3_.kd
    .uniform_work_group_size: 1
    .uses_dynamic_stack: false
    .vgpr_count:     92
    .vgpr_spill_count: 0
    .wavefront_size: 64
  - .agpr_count:     0
    .args:
      - .actual_access:  write_only
        .address_space:  global
        .offset:         0
        .size:           8
        .value_kind:     global_buffer
      - .actual_access:  read_only
        .address_space:  global
        .offset:         8
        .size:           8
        .value_kind:     global_buffer
      - .actual_access:  read_only
        .address_space:  global
        .offset:         16
        .size:           8
        .value_kind:     global_buffer
      - .actual_access:  read_only
        .address_space:  global
        .offset:         24
        .size:           8
        .value_kind:     global_buffer
      - .actual_access:  read_only
        .address_space:  global
        .offset:         32
        .size:           8
        .value_kind:     global_buffer
      - .actual_access:  read_only
        .address_space:  global
        .offset:         40
        .size:           8
        .value_kind:     global_buffer
      - .offset:         48
        .size:           4
        .value_kind:     by_value
      - .actual_access:  read_only
        .address_space:  global
        .offset:         56
        .size:           8
        .value_kind:     global_buffer
      - .offset:         64
        .size:           4
        .value_kind:     hidden_block_count_x
      - .offset:         68
        .size:           4
        .value_kind:     hidden_block_count_y
      - .offset:         72
        .size:           4
        .value_kind:     hidden_block_count_z
      - .offset:         76
        .size:           2
        .value_kind:     hidden_group_size_x
      - .offset:         78
        .size:           2
        .value_kind:     hidden_group_size_y
      - .offset:         80
        .size:           2
        .value_kind:     hidden_group_size_z
      - .offset:         82
        .size:           2
        .value_kind:     hidden_remainder_x
      - .offset:         84
        .size:           2
        .value_kind:     hidden_remainder_y
      - .offset:         86
        .size:           2
        .value_kind:     hidden_remainder_z
      - .offset:         104
        .size:           8
        .value_kind:     hidden_global_offset_x
      - .offset:         112
        .size:           8
        .value_kind:     hidden_global_offset_y
      - .offset:         120
        .size:           8
        .value_kind:     hidden_global_offset_z
      - .offset:         128
        .size:           2
        .value_kind:     hidden_grid_dims
    .group_segment_fixed_size: 516
    .kernarg_segment_align: 8
    .kernarg_segment_size: 320
    .language:       OpenCL C
    .language_version:
      - 2
      - 0
    .max_flat_workgroup_size: 128
    .name:           _Z35paged_attention_ll4mi_reduce_kernelIDF16_DF16_Li128ELi128ELi256ELi2EEvPT0_PKfS3_PKT_PKiS8_iS3_
    .private_segment_fixed_size: 0
    .sgpr_count:     38
    .sgpr_spill_count: 0
    .symbol:         _Z35paged_attention_ll4mi_reduce_kernelIDF16_DF16_Li128ELi128ELi256ELi2EEvPT0_PKfS3_PKT_PKiS8_iS3_.kd
    .uniform_work_group_size: 1
    .uses_dynamic_stack: false
    .vgpr_count:     92
    .vgpr_spill_count: 0
    .wavefront_size: 64
  - .agpr_count:     0
    .args:
      - .actual_access:  write_only
        .address_space:  global
        .offset:         0
        .size:           8
        .value_kind:     global_buffer
      - .actual_access:  read_only
        .address_space:  global
        .offset:         8
        .size:           8
        .value_kind:     global_buffer
      - .actual_access:  read_only
        .address_space:  global
        .offset:         16
        .size:           8
        .value_kind:     global_buffer
      - .actual_access:  read_only
        .address_space:  global
        .offset:         24
        .size:           8
        .value_kind:     global_buffer
      - .actual_access:  read_only
        .address_space:  global
        .offset:         32
        .size:           8
        .value_kind:     global_buffer
      - .actual_access:  read_only
        .address_space:  global
        .offset:         40
        .size:           8
        .value_kind:     global_buffer
      - .offset:         48
        .size:           4
        .value_kind:     by_value
      - .actual_access:  read_only
        .address_space:  global
        .offset:         56
        .size:           8
        .value_kind:     global_buffer
      - .offset:         64
        .size:           4
        .value_kind:     hidden_block_count_x
      - .offset:         68
        .size:           4
        .value_kind:     hidden_block_count_y
      - .offset:         72
        .size:           4
        .value_kind:     hidden_block_count_z
      - .offset:         76
        .size:           2
        .value_kind:     hidden_group_size_x
      - .offset:         78
        .size:           2
        .value_kind:     hidden_group_size_y
      - .offset:         80
        .size:           2
        .value_kind:     hidden_group_size_z
      - .offset:         82
        .size:           2
        .value_kind:     hidden_remainder_x
      - .offset:         84
        .size:           2
        .value_kind:     hidden_remainder_y
      - .offset:         86
        .size:           2
        .value_kind:     hidden_remainder_z
      - .offset:         104
        .size:           8
        .value_kind:     hidden_global_offset_x
      - .offset:         112
        .size:           8
        .value_kind:     hidden_global_offset_y
      - .offset:         120
        .size:           8
        .value_kind:     hidden_global_offset_z
      - .offset:         128
        .size:           2
        .value_kind:     hidden_grid_dims
    .group_segment_fixed_size: 772
    .kernarg_segment_align: 8
    .kernarg_segment_size: 320
    .language:       OpenCL C
    .language_version:
      - 2
      - 0
    .max_flat_workgroup_size: 128
    .name:           _Z35paged_attention_ll4mi_reduce_kernelIDF16_DF16_Li128ELi128ELi256ELi3EEvPT0_PKfS3_PKT_PKiS8_iS3_
    .private_segment_fixed_size: 0
    .sgpr_count:     42
    .sgpr_spill_count: 0
    .symbol:         _Z35paged_attention_ll4mi_reduce_kernelIDF16_DF16_Li128ELi128ELi256ELi3EEvPT0_PKfS3_PKT_PKiS8_iS3_.kd
    .uniform_work_group_size: 1
    .uses_dynamic_stack: false
    .vgpr_count:     92
    .vgpr_spill_count: 0
    .wavefront_size: 64
  - .agpr_count:     0
    .args:
      - .actual_access:  write_only
        .address_space:  global
        .offset:         0
        .size:           8
        .value_kind:     global_buffer
      - .actual_access:  read_only
        .address_space:  global
        .offset:         8
        .size:           8
        .value_kind:     global_buffer
      - .actual_access:  read_only
        .address_space:  global
        .offset:         16
        .size:           8
        .value_kind:     global_buffer
      - .actual_access:  read_only
        .address_space:  global
        .offset:         24
        .size:           8
        .value_kind:     global_buffer
      - .actual_access:  read_only
        .address_space:  global
        .offset:         32
        .size:           8
        .value_kind:     global_buffer
      - .actual_access:  read_only
        .address_space:  global
        .offset:         40
        .size:           8
        .value_kind:     global_buffer
      - .offset:         48
        .size:           4
        .value_kind:     by_value
      - .actual_access:  read_only
        .address_space:  global
        .offset:         56
        .size:           8
        .value_kind:     global_buffer
      - .offset:         64
        .size:           4
        .value_kind:     hidden_block_count_x
      - .offset:         68
        .size:           4
        .value_kind:     hidden_block_count_y
      - .offset:         72
        .size:           4
        .value_kind:     hidden_block_count_z
      - .offset:         76
        .size:           2
        .value_kind:     hidden_group_size_x
      - .offset:         78
        .size:           2
        .value_kind:     hidden_group_size_y
      - .offset:         80
        .size:           2
        .value_kind:     hidden_group_size_z
      - .offset:         82
        .size:           2
        .value_kind:     hidden_remainder_x
      - .offset:         84
        .size:           2
        .value_kind:     hidden_remainder_y
      - .offset:         86
        .size:           2
        .value_kind:     hidden_remainder_z
      - .offset:         104
        .size:           8
        .value_kind:     hidden_global_offset_x
      - .offset:         112
        .size:           8
        .value_kind:     hidden_global_offset_y
      - .offset:         120
        .size:           8
        .value_kind:     hidden_global_offset_z
      - .offset:         128
        .size:           2
        .value_kind:     hidden_grid_dims
    .group_segment_fixed_size: 1028
    .kernarg_segment_align: 8
    .kernarg_segment_size: 320
    .language:       OpenCL C
    .language_version:
      - 2
      - 0
    .max_flat_workgroup_size: 128
    .name:           _Z35paged_attention_ll4mi_reduce_kernelIDF16_DF16_Li128ELi128ELi256ELi4EEvPT0_PKfS3_PKT_PKiS8_iS3_
    .private_segment_fixed_size: 0
    .sgpr_count:     44
    .sgpr_spill_count: 0
    .symbol:         _Z35paged_attention_ll4mi_reduce_kernelIDF16_DF16_Li128ELi128ELi256ELi4EEvPT0_PKfS3_PKT_PKiS8_iS3_.kd
    .uniform_work_group_size: 1
    .uses_dynamic_stack: false
    .vgpr_count:     92
    .vgpr_spill_count: 0
    .wavefront_size: 64
  - .agpr_count:     0
    .args:
      - .actual_access:  write_only
        .address_space:  global
        .offset:         0
        .size:           8
        .value_kind:     global_buffer
      - .actual_access:  read_only
        .address_space:  global
        .offset:         8
        .size:           8
        .value_kind:     global_buffer
      - .actual_access:  read_only
        .address_space:  global
        .offset:         16
        .size:           8
        .value_kind:     global_buffer
      - .actual_access:  read_only
        .address_space:  global
        .offset:         24
        .size:           8
        .value_kind:     global_buffer
      - .actual_access:  read_only
        .address_space:  global
        .offset:         32
        .size:           8
        .value_kind:     global_buffer
      - .actual_access:  read_only
        .address_space:  global
        .offset:         40
        .size:           8
        .value_kind:     global_buffer
      - .offset:         48
        .size:           4
        .value_kind:     by_value
      - .actual_access:  read_only
        .address_space:  global
        .offset:         56
        .size:           8
        .value_kind:     global_buffer
      - .offset:         64
        .size:           4
        .value_kind:     hidden_block_count_x
      - .offset:         68
        .size:           4
        .value_kind:     hidden_block_count_y
      - .offset:         72
        .size:           4
        .value_kind:     hidden_block_count_z
      - .offset:         76
        .size:           2
        .value_kind:     hidden_group_size_x
      - .offset:         78
        .size:           2
        .value_kind:     hidden_group_size_y
      - .offset:         80
        .size:           2
        .value_kind:     hidden_group_size_z
      - .offset:         82
        .size:           2
        .value_kind:     hidden_remainder_x
      - .offset:         84
        .size:           2
        .value_kind:     hidden_remainder_y
      - .offset:         86
        .size:           2
        .value_kind:     hidden_remainder_z
      - .offset:         104
        .size:           8
        .value_kind:     hidden_global_offset_x
      - .offset:         112
        .size:           8
        .value_kind:     hidden_global_offset_y
      - .offset:         120
        .size:           8
        .value_kind:     hidden_global_offset_z
      - .offset:         128
        .size:           2
        .value_kind:     hidden_grid_dims
    .group_segment_fixed_size: 1284
    .kernarg_segment_align: 8
    .kernarg_segment_size: 320
    .language:       OpenCL C
    .language_version:
      - 2
      - 0
    .max_flat_workgroup_size: 128
    .name:           _Z35paged_attention_ll4mi_reduce_kernelIDF16_DF16_Li128ELi128ELi256ELi5EEvPT0_PKfS3_PKT_PKiS8_iS3_
    .private_segment_fixed_size: 0
    .sgpr_count:     46
    .sgpr_spill_count: 0
    .symbol:         _Z35paged_attention_ll4mi_reduce_kernelIDF16_DF16_Li128ELi128ELi256ELi5EEvPT0_PKfS3_PKT_PKiS8_iS3_.kd
    .uniform_work_group_size: 1
    .uses_dynamic_stack: false
    .vgpr_count:     92
    .vgpr_spill_count: 0
    .wavefront_size: 64
  - .agpr_count:     0
    .args:
      - .actual_access:  write_only
        .address_space:  global
        .offset:         0
        .size:           8
        .value_kind:     global_buffer
      - .actual_access:  read_only
        .address_space:  global
        .offset:         8
        .size:           8
        .value_kind:     global_buffer
      - .actual_access:  read_only
        .address_space:  global
        .offset:         16
        .size:           8
        .value_kind:     global_buffer
      - .actual_access:  read_only
        .address_space:  global
        .offset:         24
        .size:           8
        .value_kind:     global_buffer
      - .actual_access:  read_only
        .address_space:  global
        .offset:         32
        .size:           8
        .value_kind:     global_buffer
      - .actual_access:  read_only
        .address_space:  global
        .offset:         40
        .size:           8
        .value_kind:     global_buffer
      - .offset:         48
        .size:           4
        .value_kind:     by_value
      - .actual_access:  read_only
        .address_space:  global
        .offset:         56
        .size:           8
        .value_kind:     global_buffer
      - .offset:         64
        .size:           4
        .value_kind:     hidden_block_count_x
      - .offset:         68
        .size:           4
        .value_kind:     hidden_block_count_y
      - .offset:         72
        .size:           4
        .value_kind:     hidden_block_count_z
      - .offset:         76
        .size:           2
        .value_kind:     hidden_group_size_x
      - .offset:         78
        .size:           2
        .value_kind:     hidden_group_size_y
      - .offset:         80
        .size:           2
        .value_kind:     hidden_group_size_z
      - .offset:         82
        .size:           2
        .value_kind:     hidden_remainder_x
      - .offset:         84
        .size:           2
        .value_kind:     hidden_remainder_y
      - .offset:         86
        .size:           2
        .value_kind:     hidden_remainder_z
      - .offset:         104
        .size:           8
        .value_kind:     hidden_global_offset_x
      - .offset:         112
        .size:           8
        .value_kind:     hidden_global_offset_y
      - .offset:         120
        .size:           8
        .value_kind:     hidden_global_offset_z
      - .offset:         128
        .size:           2
        .value_kind:     hidden_grid_dims
    .group_segment_fixed_size: 1540
    .kernarg_segment_align: 8
    .kernarg_segment_size: 320
    .language:       OpenCL C
    .language_version:
      - 2
      - 0
    .max_flat_workgroup_size: 128
    .name:           _Z35paged_attention_ll4mi_reduce_kernelIDF16_DF16_Li128ELi128ELi256ELi6EEvPT0_PKfS3_PKT_PKiS8_iS3_
    .private_segment_fixed_size: 0
    .sgpr_count:     48
    .sgpr_spill_count: 0
    .symbol:         _Z35paged_attention_ll4mi_reduce_kernelIDF16_DF16_Li128ELi128ELi256ELi6EEvPT0_PKfS3_PKT_PKiS8_iS3_.kd
    .uniform_work_group_size: 1
    .uses_dynamic_stack: false
    .vgpr_count:     92
    .vgpr_spill_count: 0
    .wavefront_size: 64
  - .agpr_count:     0
    .args:
      - .actual_access:  write_only
        .address_space:  global
        .offset:         0
        .size:           8
        .value_kind:     global_buffer
      - .actual_access:  read_only
        .address_space:  global
        .offset:         8
        .size:           8
        .value_kind:     global_buffer
      - .actual_access:  read_only
        .address_space:  global
        .offset:         16
        .size:           8
        .value_kind:     global_buffer
      - .actual_access:  read_only
        .address_space:  global
        .offset:         24
        .size:           8
        .value_kind:     global_buffer
      - .actual_access:  read_only
        .address_space:  global
        .offset:         32
        .size:           8
        .value_kind:     global_buffer
      - .actual_access:  read_only
        .address_space:  global
        .offset:         40
        .size:           8
        .value_kind:     global_buffer
      - .offset:         48
        .size:           4
        .value_kind:     by_value
      - .actual_access:  read_only
        .address_space:  global
        .offset:         56
        .size:           8
        .value_kind:     global_buffer
      - .offset:         64
        .size:           4
        .value_kind:     hidden_block_count_x
      - .offset:         68
        .size:           4
        .value_kind:     hidden_block_count_y
      - .offset:         72
        .size:           4
        .value_kind:     hidden_block_count_z
      - .offset:         76
        .size:           2
        .value_kind:     hidden_group_size_x
      - .offset:         78
        .size:           2
        .value_kind:     hidden_group_size_y
      - .offset:         80
        .size:           2
        .value_kind:     hidden_group_size_z
      - .offset:         82
        .size:           2
        .value_kind:     hidden_remainder_x
      - .offset:         84
        .size:           2
        .value_kind:     hidden_remainder_y
      - .offset:         86
        .size:           2
        .value_kind:     hidden_remainder_z
      - .offset:         104
        .size:           8
        .value_kind:     hidden_global_offset_x
      - .offset:         112
        .size:           8
        .value_kind:     hidden_global_offset_y
      - .offset:         120
        .size:           8
        .value_kind:     hidden_global_offset_z
      - .offset:         128
        .size:           2
        .value_kind:     hidden_grid_dims
    .group_segment_fixed_size: 1796
    .kernarg_segment_align: 8
    .kernarg_segment_size: 320
    .language:       OpenCL C
    .language_version:
      - 2
      - 0
    .max_flat_workgroup_size: 128
    .name:           _Z35paged_attention_ll4mi_reduce_kernelIDF16_DF16_Li128ELi128ELi256ELi7EEvPT0_PKfS3_PKT_PKiS8_iS3_
    .private_segment_fixed_size: 0
    .sgpr_count:     50
    .sgpr_spill_count: 0
    .symbol:         _Z35paged_attention_ll4mi_reduce_kernelIDF16_DF16_Li128ELi128ELi256ELi7EEvPT0_PKfS3_PKT_PKiS8_iS3_.kd
    .uniform_work_group_size: 1
    .uses_dynamic_stack: false
    .vgpr_count:     92
    .vgpr_spill_count: 0
    .wavefront_size: 64
  - .agpr_count:     0
    .args:
      - .actual_access:  write_only
        .address_space:  global
        .offset:         0
        .size:           8
        .value_kind:     global_buffer
      - .actual_access:  read_only
        .address_space:  global
        .offset:         8
        .size:           8
        .value_kind:     global_buffer
      - .actual_access:  read_only
        .address_space:  global
        .offset:         16
        .size:           8
        .value_kind:     global_buffer
      - .actual_access:  read_only
        .address_space:  global
        .offset:         24
        .size:           8
        .value_kind:     global_buffer
      - .actual_access:  read_only
        .address_space:  global
        .offset:         32
        .size:           8
        .value_kind:     global_buffer
      - .actual_access:  read_only
        .address_space:  global
        .offset:         40
        .size:           8
        .value_kind:     global_buffer
      - .offset:         48
        .size:           4
        .value_kind:     by_value
      - .actual_access:  read_only
        .address_space:  global
        .offset:         56
        .size:           8
        .value_kind:     global_buffer
      - .offset:         64
        .size:           4
        .value_kind:     hidden_block_count_x
      - .offset:         68
        .size:           4
        .value_kind:     hidden_block_count_y
      - .offset:         72
        .size:           4
        .value_kind:     hidden_block_count_z
      - .offset:         76
        .size:           2
        .value_kind:     hidden_group_size_x
      - .offset:         78
        .size:           2
        .value_kind:     hidden_group_size_y
      - .offset:         80
        .size:           2
        .value_kind:     hidden_group_size_z
      - .offset:         82
        .size:           2
        .value_kind:     hidden_remainder_x
      - .offset:         84
        .size:           2
        .value_kind:     hidden_remainder_y
      - .offset:         86
        .size:           2
        .value_kind:     hidden_remainder_z
      - .offset:         104
        .size:           8
        .value_kind:     hidden_global_offset_x
      - .offset:         112
        .size:           8
        .value_kind:     hidden_global_offset_y
      - .offset:         120
        .size:           8
        .value_kind:     hidden_global_offset_z
      - .offset:         128
        .size:           2
        .value_kind:     hidden_grid_dims
    .group_segment_fixed_size: 2052
    .kernarg_segment_align: 8
    .kernarg_segment_size: 320
    .language:       OpenCL C
    .language_version:
      - 2
      - 0
    .max_flat_workgroup_size: 128
    .name:           _Z35paged_attention_ll4mi_reduce_kernelIDF16_DF16_Li128ELi128ELi256ELi8EEvPT0_PKfS3_PKT_PKiS8_iS3_
    .private_segment_fixed_size: 0
    .sgpr_count:     51
    .sgpr_spill_count: 0
    .symbol:         _Z35paged_attention_ll4mi_reduce_kernelIDF16_DF16_Li128ELi128ELi256ELi8EEvPT0_PKfS3_PKT_PKiS8_iS3_.kd
    .uniform_work_group_size: 1
    .uses_dynamic_stack: false
    .vgpr_count:     92
    .vgpr_spill_count: 0
    .wavefront_size: 64
  - .agpr_count:     0
    .args:
      - .actual_access:  read_only
        .address_space:  global
        .offset:         0
        .size:           8
        .value_kind:     global_buffer
      - .actual_access:  read_only
        .address_space:  global
        .offset:         8
        .size:           8
        .value_kind:     global_buffer
      - .actual_access:  read_only
        .address_space:  global
        .offset:         16
        .size:           8
        .value_kind:     global_buffer
      - .offset:         24
        .size:           4
        .value_kind:     by_value
      - .offset:         28
        .size:           4
        .value_kind:     by_value
      - .actual_access:  read_only
        .address_space:  global
        .offset:         32
        .size:           8
        .value_kind:     global_buffer
      - .actual_access:  read_only
        .address_space:  global
        .offset:         40
        .size:           8
        .value_kind:     global_buffer
      - .actual_access:  read_only
        .address_space:  global
        .offset:         48
        .size:           8
        .value_kind:     global_buffer
      - .offset:         56
        .size:           4
        .value_kind:     by_value
      - .actual_access:  read_only
        .address_space:  global
        .offset:         64
        .size:           8
        .value_kind:     global_buffer
      - .offset:         72
        .size:           4
        .value_kind:     by_value
      - .offset:         76
        .size:           4
        .value_kind:     by_value
      - .offset:         80
        .size:           4
        .value_kind:     by_value
      - .actual_access:  write_only
        .address_space:  global
        .offset:         88
        .size:           8
        .value_kind:     global_buffer
      - .actual_access:  write_only
        .address_space:  global
        .offset:         96
        .size:           8
        .value_kind:     global_buffer
      - .actual_access:  write_only
        .address_space:  global
        .offset:         104
        .size:           8
        .value_kind:     global_buffer
      - .actual_access:  read_only
        .address_space:  global
        .offset:         112
        .size:           8
        .value_kind:     global_buffer
      - .offset:         120
        .size:           4
        .value_kind:     by_value
      - .address_space:  global
        .offset:         128
        .size:           8
        .value_kind:     global_buffer
      - .address_space:  global
        .offset:         136
        .size:           8
        .value_kind:     global_buffer
      - .offset:         144
        .size:           4
        .value_kind:     hidden_block_count_x
      - .offset:         148
        .size:           4
        .value_kind:     hidden_block_count_y
      - .offset:         152
        .size:           4
        .value_kind:     hidden_block_count_z
      - .offset:         156
        .size:           2
        .value_kind:     hidden_group_size_x
      - .offset:         158
        .size:           2
        .value_kind:     hidden_group_size_y
      - .offset:         160
        .size:           2
        .value_kind:     hidden_group_size_z
      - .offset:         162
        .size:           2
        .value_kind:     hidden_remainder_x
      - .offset:         164
        .size:           2
        .value_kind:     hidden_remainder_y
      - .offset:         166
        .size:           2
        .value_kind:     hidden_remainder_z
      - .offset:         184
        .size:           8
        .value_kind:     hidden_global_offset_x
      - .offset:         192
        .size:           8
        .value_kind:     hidden_global_offset_y
      - .offset:         200
        .size:           8
        .value_kind:     hidden_global_offset_z
      - .offset:         208
        .size:           2
        .value_kind:     hidden_grid_dims
    .group_segment_fixed_size: 8192
    .kernarg_segment_align: 8
    .kernarg_segment_size: 400
    .language:       OpenCL C
    .language_version:
      - 2
      - 0
    .max_flat_workgroup_size: 256
    .name:           _Z39paged_attention_ll4mi_QKV_mfma16_kernelIDF16_DF16_LN4vllm18Fp8KVCacheDataTypeE0EDF16_Li16ELi128ELi256ELb1ELi1EEvPKT_PKT0_S7_ifPKiS9_S9_iPKfiiiPfSC_PS2_PT2_iSB_SB_
    .private_segment_fixed_size: 8
    .sgpr_count:     48
    .sgpr_spill_count: 0
    .symbol:         _Z39paged_attention_ll4mi_QKV_mfma16_kernelIDF16_DF16_LN4vllm18Fp8KVCacheDataTypeE0EDF16_Li16ELi128ELi256ELb1ELi1EEvPKT_PKT0_S7_ifPKiS9_S9_iPKfiiiPfSC_PS2_PT2_iSB_SB_.kd
    .uniform_work_group_size: 1
    .uses_dynamic_stack: false
    .vgpr_count:     96
    .vgpr_spill_count: 1
    .wavefront_size: 64
  - .agpr_count:     0
    .args:
      - .actual_access:  read_only
        .address_space:  global
        .offset:         0
        .size:           8
        .value_kind:     global_buffer
      - .actual_access:  read_only
        .address_space:  global
        .offset:         8
        .size:           8
        .value_kind:     global_buffer
      - .actual_access:  read_only
        .address_space:  global
        .offset:         16
        .size:           8
        .value_kind:     global_buffer
      - .offset:         24
        .size:           4
        .value_kind:     by_value
      - .offset:         28
        .size:           4
        .value_kind:     by_value
      - .actual_access:  read_only
        .address_space:  global
        .offset:         32
        .size:           8
        .value_kind:     global_buffer
      - .actual_access:  read_only
        .address_space:  global
        .offset:         40
        .size:           8
        .value_kind:     global_buffer
      - .actual_access:  read_only
        .address_space:  global
        .offset:         48
        .size:           8
        .value_kind:     global_buffer
      - .offset:         56
        .size:           4
        .value_kind:     by_value
      - .actual_access:  read_only
        .address_space:  global
        .offset:         64
        .size:           8
        .value_kind:     global_buffer
      - .offset:         72
        .size:           4
        .value_kind:     by_value
      - .offset:         76
        .size:           4
        .value_kind:     by_value
      - .offset:         80
        .size:           4
        .value_kind:     by_value
      - .actual_access:  write_only
        .address_space:  global
        .offset:         88
        .size:           8
        .value_kind:     global_buffer
      - .actual_access:  write_only
        .address_space:  global
        .offset:         96
        .size:           8
        .value_kind:     global_buffer
      - .actual_access:  write_only
        .address_space:  global
        .offset:         104
        .size:           8
        .value_kind:     global_buffer
      - .actual_access:  read_only
        .address_space:  global
        .offset:         112
        .size:           8
        .value_kind:     global_buffer
      - .offset:         120
        .size:           4
        .value_kind:     by_value
      - .address_space:  global
        .offset:         128
        .size:           8
        .value_kind:     global_buffer
      - .address_space:  global
        .offset:         136
        .size:           8
        .value_kind:     global_buffer
      - .offset:         144
        .size:           4
        .value_kind:     hidden_block_count_x
      - .offset:         148
        .size:           4
        .value_kind:     hidden_block_count_y
      - .offset:         152
        .size:           4
        .value_kind:     hidden_block_count_z
      - .offset:         156
        .size:           2
        .value_kind:     hidden_group_size_x
      - .offset:         158
        .size:           2
        .value_kind:     hidden_group_size_y
      - .offset:         160
        .size:           2
        .value_kind:     hidden_group_size_z
      - .offset:         162
        .size:           2
        .value_kind:     hidden_remainder_x
      - .offset:         164
        .size:           2
        .value_kind:     hidden_remainder_y
      - .offset:         166
        .size:           2
        .value_kind:     hidden_remainder_z
      - .offset:         184
        .size:           8
        .value_kind:     hidden_global_offset_x
      - .offset:         192
        .size:           8
        .value_kind:     hidden_global_offset_y
      - .offset:         200
        .size:           8
        .value_kind:     hidden_global_offset_z
      - .offset:         208
        .size:           2
        .value_kind:     hidden_grid_dims
    .group_segment_fixed_size: 8192
    .kernarg_segment_align: 8
    .kernarg_segment_size: 400
    .language:       OpenCL C
    .language_version:
      - 2
      - 0
    .max_flat_workgroup_size: 256
    .name:           _Z39paged_attention_ll4mi_QKV_mfma16_kernelIDF16_DF16_LN4vllm18Fp8KVCacheDataTypeE0EDF16_Li16ELi128ELi256ELb1ELi2EEvPKT_PKT0_S7_ifPKiS9_S9_iPKfiiiPfSC_PS2_PT2_iSB_SB_
    .private_segment_fixed_size: 0
    .sgpr_count:     47
    .sgpr_spill_count: 0
    .symbol:         _Z39paged_attention_ll4mi_QKV_mfma16_kernelIDF16_DF16_LN4vllm18Fp8KVCacheDataTypeE0EDF16_Li16ELi128ELi256ELb1ELi2EEvPKT_PKT0_S7_ifPKiS9_S9_iPKfiiiPfSC_PS2_PT2_iSB_SB_.kd
    .uniform_work_group_size: 1
    .uses_dynamic_stack: false
    .vgpr_count:     96
    .vgpr_spill_count: 0
    .wavefront_size: 64
  - .agpr_count:     0
    .args:
      - .actual_access:  read_only
        .address_space:  global
        .offset:         0
        .size:           8
        .value_kind:     global_buffer
      - .actual_access:  read_only
        .address_space:  global
        .offset:         8
        .size:           8
        .value_kind:     global_buffer
      - .actual_access:  read_only
        .address_space:  global
        .offset:         16
        .size:           8
        .value_kind:     global_buffer
      - .offset:         24
        .size:           4
        .value_kind:     by_value
      - .offset:         28
        .size:           4
        .value_kind:     by_value
      - .actual_access:  read_only
        .address_space:  global
        .offset:         32
        .size:           8
        .value_kind:     global_buffer
      - .actual_access:  read_only
        .address_space:  global
        .offset:         40
        .size:           8
        .value_kind:     global_buffer
      - .actual_access:  read_only
        .address_space:  global
        .offset:         48
        .size:           8
        .value_kind:     global_buffer
      - .offset:         56
        .size:           4
        .value_kind:     by_value
      - .actual_access:  read_only
        .address_space:  global
        .offset:         64
        .size:           8
        .value_kind:     global_buffer
      - .offset:         72
        .size:           4
        .value_kind:     by_value
      - .offset:         76
        .size:           4
        .value_kind:     by_value
      - .offset:         80
        .size:           4
        .value_kind:     by_value
      - .actual_access:  write_only
        .address_space:  global
        .offset:         88
        .size:           8
        .value_kind:     global_buffer
      - .actual_access:  write_only
        .address_space:  global
        .offset:         96
        .size:           8
        .value_kind:     global_buffer
      - .actual_access:  write_only
        .address_space:  global
        .offset:         104
        .size:           8
        .value_kind:     global_buffer
      - .actual_access:  read_only
        .address_space:  global
        .offset:         112
        .size:           8
        .value_kind:     global_buffer
      - .offset:         120
        .size:           4
        .value_kind:     by_value
      - .address_space:  global
        .offset:         128
        .size:           8
        .value_kind:     global_buffer
      - .address_space:  global
        .offset:         136
        .size:           8
        .value_kind:     global_buffer
      - .offset:         144
        .size:           4
        .value_kind:     hidden_block_count_x
      - .offset:         148
        .size:           4
        .value_kind:     hidden_block_count_y
      - .offset:         152
        .size:           4
        .value_kind:     hidden_block_count_z
      - .offset:         156
        .size:           2
        .value_kind:     hidden_group_size_x
      - .offset:         158
        .size:           2
        .value_kind:     hidden_group_size_y
      - .offset:         160
        .size:           2
        .value_kind:     hidden_group_size_z
      - .offset:         162
        .size:           2
        .value_kind:     hidden_remainder_x
      - .offset:         164
        .size:           2
        .value_kind:     hidden_remainder_y
      - .offset:         166
        .size:           2
        .value_kind:     hidden_remainder_z
      - .offset:         184
        .size:           8
        .value_kind:     hidden_global_offset_x
      - .offset:         192
        .size:           8
        .value_kind:     hidden_global_offset_y
      - .offset:         200
        .size:           8
        .value_kind:     hidden_global_offset_z
      - .offset:         208
        .size:           2
        .value_kind:     hidden_grid_dims
    .group_segment_fixed_size: 8192
    .kernarg_segment_align: 8
    .kernarg_segment_size: 400
    .language:       OpenCL C
    .language_version:
      - 2
      - 0
    .max_flat_workgroup_size: 256
    .name:           _Z39paged_attention_ll4mi_QKV_mfma16_kernelIDF16_DF16_LN4vllm18Fp8KVCacheDataTypeE0EDF16_Li16ELi128ELi256ELb1ELi3EEvPKT_PKT0_S7_ifPKiS9_S9_iPKfiiiPfSC_PS2_PT2_iSB_SB_
    .private_segment_fixed_size: 16
    .sgpr_count:     48
    .sgpr_spill_count: 0
    .symbol:         _Z39paged_attention_ll4mi_QKV_mfma16_kernelIDF16_DF16_LN4vllm18Fp8KVCacheDataTypeE0EDF16_Li16ELi128ELi256ELb1ELi3EEvPKT_PKT0_S7_ifPKiS9_S9_iPKfiiiPfSC_PS2_PT2_iSB_SB_.kd
    .uniform_work_group_size: 1
    .uses_dynamic_stack: false
    .vgpr_count:     96
    .vgpr_spill_count: 5
    .wavefront_size: 64
  - .agpr_count:     0
    .args:
      - .actual_access:  read_only
        .address_space:  global
        .offset:         0
        .size:           8
        .value_kind:     global_buffer
      - .actual_access:  read_only
        .address_space:  global
        .offset:         8
        .size:           8
        .value_kind:     global_buffer
      - .actual_access:  read_only
        .address_space:  global
        .offset:         16
        .size:           8
        .value_kind:     global_buffer
      - .offset:         24
        .size:           4
        .value_kind:     by_value
      - .offset:         28
        .size:           4
        .value_kind:     by_value
      - .actual_access:  read_only
        .address_space:  global
        .offset:         32
        .size:           8
        .value_kind:     global_buffer
      - .actual_access:  read_only
        .address_space:  global
        .offset:         40
        .size:           8
        .value_kind:     global_buffer
      - .actual_access:  read_only
        .address_space:  global
        .offset:         48
        .size:           8
        .value_kind:     global_buffer
      - .offset:         56
        .size:           4
        .value_kind:     by_value
      - .actual_access:  read_only
        .address_space:  global
        .offset:         64
        .size:           8
        .value_kind:     global_buffer
      - .offset:         72
        .size:           4
        .value_kind:     by_value
      - .offset:         76
        .size:           4
        .value_kind:     by_value
      - .offset:         80
        .size:           4
        .value_kind:     by_value
      - .actual_access:  write_only
        .address_space:  global
        .offset:         88
        .size:           8
        .value_kind:     global_buffer
      - .actual_access:  write_only
        .address_space:  global
        .offset:         96
        .size:           8
        .value_kind:     global_buffer
      - .actual_access:  write_only
        .address_space:  global
        .offset:         104
        .size:           8
        .value_kind:     global_buffer
      - .actual_access:  read_only
        .address_space:  global
        .offset:         112
        .size:           8
        .value_kind:     global_buffer
      - .offset:         120
        .size:           4
        .value_kind:     by_value
      - .address_space:  global
        .offset:         128
        .size:           8
        .value_kind:     global_buffer
      - .address_space:  global
        .offset:         136
        .size:           8
        .value_kind:     global_buffer
      - .offset:         144
        .size:           4
        .value_kind:     hidden_block_count_x
      - .offset:         148
        .size:           4
        .value_kind:     hidden_block_count_y
      - .offset:         152
        .size:           4
        .value_kind:     hidden_block_count_z
      - .offset:         156
        .size:           2
        .value_kind:     hidden_group_size_x
      - .offset:         158
        .size:           2
        .value_kind:     hidden_group_size_y
      - .offset:         160
        .size:           2
        .value_kind:     hidden_group_size_z
      - .offset:         162
        .size:           2
        .value_kind:     hidden_remainder_x
      - .offset:         164
        .size:           2
        .value_kind:     hidden_remainder_y
      - .offset:         166
        .size:           2
        .value_kind:     hidden_remainder_z
      - .offset:         184
        .size:           8
        .value_kind:     hidden_global_offset_x
      - .offset:         192
        .size:           8
        .value_kind:     hidden_global_offset_y
      - .offset:         200
        .size:           8
        .value_kind:     hidden_global_offset_z
      - .offset:         208
        .size:           2
        .value_kind:     hidden_grid_dims
    .group_segment_fixed_size: 8192
    .kernarg_segment_align: 8
    .kernarg_segment_size: 400
    .language:       OpenCL C
    .language_version:
      - 2
      - 0
    .max_flat_workgroup_size: 256
    .name:           _Z39paged_attention_ll4mi_QKV_mfma16_kernelIDF16_DF16_LN4vllm18Fp8KVCacheDataTypeE0EDF16_Li16ELi128ELi256ELb1ELi4EEvPKT_PKT0_S7_ifPKiS9_S9_iPKfiiiPfSC_PS2_PT2_iSB_SB_
    .private_segment_fixed_size: 12
    .sgpr_count:     49
    .sgpr_spill_count: 0
    .symbol:         _Z39paged_attention_ll4mi_QKV_mfma16_kernelIDF16_DF16_LN4vllm18Fp8KVCacheDataTypeE0EDF16_Li16ELi128ELi256ELb1ELi4EEvPKT_PKT0_S7_ifPKiS9_S9_iPKfiiiPfSC_PS2_PT2_iSB_SB_.kd
    .uniform_work_group_size: 1
    .uses_dynamic_stack: false
    .vgpr_count:     96
    .vgpr_spill_count: 2
    .wavefront_size: 64
  - .agpr_count:     0
    .args:
      - .actual_access:  write_only
        .address_space:  global
        .offset:         0
        .size:           8
        .value_kind:     global_buffer
      - .actual_access:  read_only
        .address_space:  global
        .offset:         8
        .size:           8
        .value_kind:     global_buffer
      - .actual_access:  read_only
        .address_space:  global
        .offset:         16
        .size:           8
        .value_kind:     global_buffer
      - .actual_access:  read_only
        .address_space:  global
        .offset:         24
        .size:           8
        .value_kind:     global_buffer
      - .actual_access:  read_only
        .address_space:  global
        .offset:         32
        .size:           8
        .value_kind:     global_buffer
      - .actual_access:  read_only
        .address_space:  global
        .offset:         40
        .size:           8
        .value_kind:     global_buffer
      - .offset:         48
        .size:           4
        .value_kind:     by_value
      - .actual_access:  read_only
        .address_space:  global
        .offset:         56
        .size:           8
        .value_kind:     global_buffer
      - .offset:         64
        .size:           4
        .value_kind:     hidden_block_count_x
      - .offset:         68
        .size:           4
        .value_kind:     hidden_block_count_y
      - .offset:         72
        .size:           4
        .value_kind:     hidden_block_count_z
      - .offset:         76
        .size:           2
        .value_kind:     hidden_group_size_x
      - .offset:         78
        .size:           2
        .value_kind:     hidden_group_size_y
      - .offset:         80
        .size:           2
        .value_kind:     hidden_group_size_z
      - .offset:         82
        .size:           2
        .value_kind:     hidden_remainder_x
      - .offset:         84
        .size:           2
        .value_kind:     hidden_remainder_y
      - .offset:         86
        .size:           2
        .value_kind:     hidden_remainder_z
      - .offset:         104
        .size:           8
        .value_kind:     hidden_global_offset_x
      - .offset:         112
        .size:           8
        .value_kind:     hidden_global_offset_y
      - .offset:         120
        .size:           8
        .value_kind:     hidden_global_offset_z
      - .offset:         128
        .size:           2
        .value_kind:     hidden_grid_dims
    .group_segment_fixed_size: 2308
    .kernarg_segment_align: 8
    .kernarg_segment_size: 320
    .language:       OpenCL C
    .language_version:
      - 2
      - 0
    .max_flat_workgroup_size: 128
    .name:           _Z35paged_attention_ll4mi_reduce_kernelIDF16_DF16_Li128ELi128ELi256ELi9EEvPT0_PKfS3_PKT_PKiS8_iS3_
    .private_segment_fixed_size: 0
    .sgpr_count:     53
    .sgpr_spill_count: 0
    .symbol:         _Z35paged_attention_ll4mi_reduce_kernelIDF16_DF16_Li128ELi128ELi256ELi9EEvPT0_PKfS3_PKT_PKiS8_iS3_.kd
    .uniform_work_group_size: 1
    .uses_dynamic_stack: false
    .vgpr_count:     92
    .vgpr_spill_count: 0
    .wavefront_size: 64
  - .agpr_count:     0
    .args:
      - .actual_access:  write_only
        .address_space:  global
        .offset:         0
        .size:           8
        .value_kind:     global_buffer
      - .actual_access:  read_only
        .address_space:  global
        .offset:         8
        .size:           8
        .value_kind:     global_buffer
      - .actual_access:  read_only
        .address_space:  global
        .offset:         16
        .size:           8
        .value_kind:     global_buffer
      - .actual_access:  read_only
        .address_space:  global
        .offset:         24
        .size:           8
        .value_kind:     global_buffer
      - .actual_access:  read_only
        .address_space:  global
        .offset:         32
        .size:           8
        .value_kind:     global_buffer
      - .actual_access:  read_only
        .address_space:  global
        .offset:         40
        .size:           8
        .value_kind:     global_buffer
      - .offset:         48
        .size:           4
        .value_kind:     by_value
      - .actual_access:  read_only
        .address_space:  global
        .offset:         56
        .size:           8
        .value_kind:     global_buffer
      - .offset:         64
        .size:           4
        .value_kind:     hidden_block_count_x
      - .offset:         68
        .size:           4
        .value_kind:     hidden_block_count_y
      - .offset:         72
        .size:           4
        .value_kind:     hidden_block_count_z
      - .offset:         76
        .size:           2
        .value_kind:     hidden_group_size_x
      - .offset:         78
        .size:           2
        .value_kind:     hidden_group_size_y
      - .offset:         80
        .size:           2
        .value_kind:     hidden_group_size_z
      - .offset:         82
        .size:           2
        .value_kind:     hidden_remainder_x
      - .offset:         84
        .size:           2
        .value_kind:     hidden_remainder_y
      - .offset:         86
        .size:           2
        .value_kind:     hidden_remainder_z
      - .offset:         104
        .size:           8
        .value_kind:     hidden_global_offset_x
      - .offset:         112
        .size:           8
        .value_kind:     hidden_global_offset_y
      - .offset:         120
        .size:           8
        .value_kind:     hidden_global_offset_z
      - .offset:         128
        .size:           2
        .value_kind:     hidden_grid_dims
    .group_segment_fixed_size: 2564
    .kernarg_segment_align: 8
    .kernarg_segment_size: 320
    .language:       OpenCL C
    .language_version:
      - 2
      - 0
    .max_flat_workgroup_size: 128
    .name:           _Z35paged_attention_ll4mi_reduce_kernelIDF16_DF16_Li128ELi128ELi256ELi10EEvPT0_PKfS3_PKT_PKiS8_iS3_
    .private_segment_fixed_size: 0
    .sgpr_count:     55
    .sgpr_spill_count: 0
    .symbol:         _Z35paged_attention_ll4mi_reduce_kernelIDF16_DF16_Li128ELi128ELi256ELi10EEvPT0_PKfS3_PKT_PKiS8_iS3_.kd
    .uniform_work_group_size: 1
    .uses_dynamic_stack: false
    .vgpr_count:     92
    .vgpr_spill_count: 0
    .wavefront_size: 64
  - .agpr_count:     0
    .args:
      - .actual_access:  write_only
        .address_space:  global
        .offset:         0
        .size:           8
        .value_kind:     global_buffer
      - .actual_access:  read_only
        .address_space:  global
        .offset:         8
        .size:           8
        .value_kind:     global_buffer
      - .actual_access:  read_only
        .address_space:  global
        .offset:         16
        .size:           8
        .value_kind:     global_buffer
      - .actual_access:  read_only
        .address_space:  global
        .offset:         24
        .size:           8
        .value_kind:     global_buffer
      - .actual_access:  read_only
        .address_space:  global
        .offset:         32
        .size:           8
        .value_kind:     global_buffer
      - .actual_access:  read_only
        .address_space:  global
        .offset:         40
        .size:           8
        .value_kind:     global_buffer
      - .offset:         48
        .size:           4
        .value_kind:     by_value
      - .actual_access:  read_only
        .address_space:  global
        .offset:         56
        .size:           8
        .value_kind:     global_buffer
      - .offset:         64
        .size:           4
        .value_kind:     hidden_block_count_x
      - .offset:         68
        .size:           4
        .value_kind:     hidden_block_count_y
      - .offset:         72
        .size:           4
        .value_kind:     hidden_block_count_z
      - .offset:         76
        .size:           2
        .value_kind:     hidden_group_size_x
      - .offset:         78
        .size:           2
        .value_kind:     hidden_group_size_y
      - .offset:         80
        .size:           2
        .value_kind:     hidden_group_size_z
      - .offset:         82
        .size:           2
        .value_kind:     hidden_remainder_x
      - .offset:         84
        .size:           2
        .value_kind:     hidden_remainder_y
      - .offset:         86
        .size:           2
        .value_kind:     hidden_remainder_z
      - .offset:         104
        .size:           8
        .value_kind:     hidden_global_offset_x
      - .offset:         112
        .size:           8
        .value_kind:     hidden_global_offset_y
      - .offset:         120
        .size:           8
        .value_kind:     hidden_global_offset_z
      - .offset:         128
        .size:           2
        .value_kind:     hidden_grid_dims
    .group_segment_fixed_size: 2820
    .kernarg_segment_align: 8
    .kernarg_segment_size: 320
    .language:       OpenCL C
    .language_version:
      - 2
      - 0
    .max_flat_workgroup_size: 128
    .name:           _Z35paged_attention_ll4mi_reduce_kernelIDF16_DF16_Li128ELi128ELi256ELi11EEvPT0_PKfS3_PKT_PKiS8_iS3_
    .private_segment_fixed_size: 0
    .sgpr_count:     57
    .sgpr_spill_count: 0
    .symbol:         _Z35paged_attention_ll4mi_reduce_kernelIDF16_DF16_Li128ELi128ELi256ELi11EEvPT0_PKfS3_PKT_PKiS8_iS3_.kd
    .uniform_work_group_size: 1
    .uses_dynamic_stack: false
    .vgpr_count:     92
    .vgpr_spill_count: 0
    .wavefront_size: 64
  - .agpr_count:     0
    .args:
      - .actual_access:  write_only
        .address_space:  global
        .offset:         0
        .size:           8
        .value_kind:     global_buffer
      - .actual_access:  read_only
        .address_space:  global
        .offset:         8
        .size:           8
        .value_kind:     global_buffer
      - .actual_access:  read_only
        .address_space:  global
        .offset:         16
        .size:           8
        .value_kind:     global_buffer
      - .actual_access:  read_only
        .address_space:  global
        .offset:         24
        .size:           8
        .value_kind:     global_buffer
      - .actual_access:  read_only
        .address_space:  global
        .offset:         32
        .size:           8
        .value_kind:     global_buffer
      - .actual_access:  read_only
        .address_space:  global
        .offset:         40
        .size:           8
        .value_kind:     global_buffer
      - .offset:         48
        .size:           4
        .value_kind:     by_value
      - .actual_access:  read_only
        .address_space:  global
        .offset:         56
        .size:           8
        .value_kind:     global_buffer
      - .offset:         64
        .size:           4
        .value_kind:     hidden_block_count_x
      - .offset:         68
        .size:           4
        .value_kind:     hidden_block_count_y
      - .offset:         72
        .size:           4
        .value_kind:     hidden_block_count_z
      - .offset:         76
        .size:           2
        .value_kind:     hidden_group_size_x
      - .offset:         78
        .size:           2
        .value_kind:     hidden_group_size_y
      - .offset:         80
        .size:           2
        .value_kind:     hidden_group_size_z
      - .offset:         82
        .size:           2
        .value_kind:     hidden_remainder_x
      - .offset:         84
        .size:           2
        .value_kind:     hidden_remainder_y
      - .offset:         86
        .size:           2
        .value_kind:     hidden_remainder_z
      - .offset:         104
        .size:           8
        .value_kind:     hidden_global_offset_x
      - .offset:         112
        .size:           8
        .value_kind:     hidden_global_offset_y
      - .offset:         120
        .size:           8
        .value_kind:     hidden_global_offset_z
      - .offset:         128
        .size:           2
        .value_kind:     hidden_grid_dims
    .group_segment_fixed_size: 3076
    .kernarg_segment_align: 8
    .kernarg_segment_size: 320
    .language:       OpenCL C
    .language_version:
      - 2
      - 0
    .max_flat_workgroup_size: 128
    .name:           _Z35paged_attention_ll4mi_reduce_kernelIDF16_DF16_Li128ELi128ELi256ELi12EEvPT0_PKfS3_PKT_PKiS8_iS3_
    .private_segment_fixed_size: 0
    .sgpr_count:     59
    .sgpr_spill_count: 0
    .symbol:         _Z35paged_attention_ll4mi_reduce_kernelIDF16_DF16_Li128ELi128ELi256ELi12EEvPT0_PKfS3_PKT_PKiS8_iS3_.kd
    .uniform_work_group_size: 1
    .uses_dynamic_stack: false
    .vgpr_count:     92
    .vgpr_spill_count: 0
    .wavefront_size: 64
  - .agpr_count:     0
    .args:
      - .actual_access:  write_only
        .address_space:  global
        .offset:         0
        .size:           8
        .value_kind:     global_buffer
      - .actual_access:  read_only
        .address_space:  global
        .offset:         8
        .size:           8
        .value_kind:     global_buffer
      - .actual_access:  read_only
        .address_space:  global
        .offset:         16
        .size:           8
        .value_kind:     global_buffer
      - .actual_access:  read_only
        .address_space:  global
        .offset:         24
        .size:           8
        .value_kind:     global_buffer
      - .actual_access:  read_only
        .address_space:  global
        .offset:         32
        .size:           8
        .value_kind:     global_buffer
      - .actual_access:  read_only
        .address_space:  global
        .offset:         40
        .size:           8
        .value_kind:     global_buffer
      - .offset:         48
        .size:           4
        .value_kind:     by_value
      - .actual_access:  read_only
        .address_space:  global
        .offset:         56
        .size:           8
        .value_kind:     global_buffer
      - .offset:         64
        .size:           4
        .value_kind:     hidden_block_count_x
      - .offset:         68
        .size:           4
        .value_kind:     hidden_block_count_y
      - .offset:         72
        .size:           4
        .value_kind:     hidden_block_count_z
      - .offset:         76
        .size:           2
        .value_kind:     hidden_group_size_x
      - .offset:         78
        .size:           2
        .value_kind:     hidden_group_size_y
      - .offset:         80
        .size:           2
        .value_kind:     hidden_group_size_z
      - .offset:         82
        .size:           2
        .value_kind:     hidden_remainder_x
      - .offset:         84
        .size:           2
        .value_kind:     hidden_remainder_y
      - .offset:         86
        .size:           2
        .value_kind:     hidden_remainder_z
      - .offset:         104
        .size:           8
        .value_kind:     hidden_global_offset_x
      - .offset:         112
        .size:           8
        .value_kind:     hidden_global_offset_y
      - .offset:         120
        .size:           8
        .value_kind:     hidden_global_offset_z
      - .offset:         128
        .size:           2
        .value_kind:     hidden_grid_dims
    .group_segment_fixed_size: 3332
    .kernarg_segment_align: 8
    .kernarg_segment_size: 320
    .language:       OpenCL C
    .language_version:
      - 2
      - 0
    .max_flat_workgroup_size: 128
    .name:           _Z35paged_attention_ll4mi_reduce_kernelIDF16_DF16_Li128ELi128ELi256ELi13EEvPT0_PKfS3_PKT_PKiS8_iS3_
    .private_segment_fixed_size: 0
    .sgpr_count:     61
    .sgpr_spill_count: 0
    .symbol:         _Z35paged_attention_ll4mi_reduce_kernelIDF16_DF16_Li128ELi128ELi256ELi13EEvPT0_PKfS3_PKT_PKiS8_iS3_.kd
    .uniform_work_group_size: 1
    .uses_dynamic_stack: false
    .vgpr_count:     92
    .vgpr_spill_count: 0
    .wavefront_size: 64
  - .agpr_count:     0
    .args:
      - .actual_access:  write_only
        .address_space:  global
        .offset:         0
        .size:           8
        .value_kind:     global_buffer
      - .actual_access:  read_only
        .address_space:  global
        .offset:         8
        .size:           8
        .value_kind:     global_buffer
      - .actual_access:  read_only
        .address_space:  global
        .offset:         16
        .size:           8
        .value_kind:     global_buffer
      - .actual_access:  read_only
        .address_space:  global
        .offset:         24
        .size:           8
        .value_kind:     global_buffer
      - .actual_access:  read_only
        .address_space:  global
        .offset:         32
        .size:           8
        .value_kind:     global_buffer
      - .actual_access:  read_only
        .address_space:  global
        .offset:         40
        .size:           8
        .value_kind:     global_buffer
      - .offset:         48
        .size:           4
        .value_kind:     by_value
      - .actual_access:  read_only
        .address_space:  global
        .offset:         56
        .size:           8
        .value_kind:     global_buffer
      - .offset:         64
        .size:           4
        .value_kind:     hidden_block_count_x
      - .offset:         68
        .size:           4
        .value_kind:     hidden_block_count_y
      - .offset:         72
        .size:           4
        .value_kind:     hidden_block_count_z
      - .offset:         76
        .size:           2
        .value_kind:     hidden_group_size_x
      - .offset:         78
        .size:           2
        .value_kind:     hidden_group_size_y
      - .offset:         80
        .size:           2
        .value_kind:     hidden_group_size_z
      - .offset:         82
        .size:           2
        .value_kind:     hidden_remainder_x
      - .offset:         84
        .size:           2
        .value_kind:     hidden_remainder_y
      - .offset:         86
        .size:           2
        .value_kind:     hidden_remainder_z
      - .offset:         104
        .size:           8
        .value_kind:     hidden_global_offset_x
      - .offset:         112
        .size:           8
        .value_kind:     hidden_global_offset_y
      - .offset:         120
        .size:           8
        .value_kind:     hidden_global_offset_z
      - .offset:         128
        .size:           2
        .value_kind:     hidden_grid_dims
    .group_segment_fixed_size: 3588
    .kernarg_segment_align: 8
    .kernarg_segment_size: 320
    .language:       OpenCL C
    .language_version:
      - 2
      - 0
    .max_flat_workgroup_size: 128
    .name:           _Z35paged_attention_ll4mi_reduce_kernelIDF16_DF16_Li128ELi128ELi256ELi14EEvPT0_PKfS3_PKT_PKiS8_iS3_
    .private_segment_fixed_size: 0
    .sgpr_count:     63
    .sgpr_spill_count: 0
    .symbol:         _Z35paged_attention_ll4mi_reduce_kernelIDF16_DF16_Li128ELi128ELi256ELi14EEvPT0_PKfS3_PKT_PKiS8_iS3_.kd
    .uniform_work_group_size: 1
    .uses_dynamic_stack: false
    .vgpr_count:     92
    .vgpr_spill_count: 0
    .wavefront_size: 64
  - .agpr_count:     0
    .args:
      - .actual_access:  write_only
        .address_space:  global
        .offset:         0
        .size:           8
        .value_kind:     global_buffer
      - .actual_access:  read_only
        .address_space:  global
        .offset:         8
        .size:           8
        .value_kind:     global_buffer
      - .actual_access:  read_only
        .address_space:  global
        .offset:         16
        .size:           8
        .value_kind:     global_buffer
      - .actual_access:  read_only
        .address_space:  global
        .offset:         24
        .size:           8
        .value_kind:     global_buffer
      - .actual_access:  read_only
        .address_space:  global
        .offset:         32
        .size:           8
        .value_kind:     global_buffer
      - .actual_access:  read_only
        .address_space:  global
        .offset:         40
        .size:           8
        .value_kind:     global_buffer
      - .offset:         48
        .size:           4
        .value_kind:     by_value
      - .actual_access:  read_only
        .address_space:  global
        .offset:         56
        .size:           8
        .value_kind:     global_buffer
      - .offset:         64
        .size:           4
        .value_kind:     hidden_block_count_x
      - .offset:         68
        .size:           4
        .value_kind:     hidden_block_count_y
      - .offset:         72
        .size:           4
        .value_kind:     hidden_block_count_z
      - .offset:         76
        .size:           2
        .value_kind:     hidden_group_size_x
      - .offset:         78
        .size:           2
        .value_kind:     hidden_group_size_y
      - .offset:         80
        .size:           2
        .value_kind:     hidden_group_size_z
      - .offset:         82
        .size:           2
        .value_kind:     hidden_remainder_x
      - .offset:         84
        .size:           2
        .value_kind:     hidden_remainder_y
      - .offset:         86
        .size:           2
        .value_kind:     hidden_remainder_z
      - .offset:         104
        .size:           8
        .value_kind:     hidden_global_offset_x
      - .offset:         112
        .size:           8
        .value_kind:     hidden_global_offset_y
      - .offset:         120
        .size:           8
        .value_kind:     hidden_global_offset_z
      - .offset:         128
        .size:           2
        .value_kind:     hidden_grid_dims
    .group_segment_fixed_size: 3844
    .kernarg_segment_align: 8
    .kernarg_segment_size: 320
    .language:       OpenCL C
    .language_version:
      - 2
      - 0
    .max_flat_workgroup_size: 128
    .name:           _Z35paged_attention_ll4mi_reduce_kernelIDF16_DF16_Li128ELi128ELi256ELi15EEvPT0_PKfS3_PKT_PKiS8_iS3_
    .private_segment_fixed_size: 0
    .sgpr_count:     65
    .sgpr_spill_count: 0
    .symbol:         _Z35paged_attention_ll4mi_reduce_kernelIDF16_DF16_Li128ELi128ELi256ELi15EEvPT0_PKfS3_PKT_PKiS8_iS3_.kd
    .uniform_work_group_size: 1
    .uses_dynamic_stack: false
    .vgpr_count:     92
    .vgpr_spill_count: 0
    .wavefront_size: 64
  - .agpr_count:     0
    .args:
      - .actual_access:  write_only
        .address_space:  global
        .offset:         0
        .size:           8
        .value_kind:     global_buffer
      - .actual_access:  read_only
        .address_space:  global
        .offset:         8
        .size:           8
        .value_kind:     global_buffer
      - .actual_access:  read_only
        .address_space:  global
        .offset:         16
        .size:           8
        .value_kind:     global_buffer
      - .actual_access:  read_only
        .address_space:  global
        .offset:         24
        .size:           8
        .value_kind:     global_buffer
      - .actual_access:  read_only
        .address_space:  global
        .offset:         32
        .size:           8
        .value_kind:     global_buffer
      - .actual_access:  read_only
        .address_space:  global
        .offset:         40
        .size:           8
        .value_kind:     global_buffer
      - .offset:         48
        .size:           4
        .value_kind:     by_value
      - .actual_access:  read_only
        .address_space:  global
        .offset:         56
        .size:           8
        .value_kind:     global_buffer
      - .offset:         64
        .size:           4
        .value_kind:     hidden_block_count_x
      - .offset:         68
        .size:           4
        .value_kind:     hidden_block_count_y
      - .offset:         72
        .size:           4
        .value_kind:     hidden_block_count_z
      - .offset:         76
        .size:           2
        .value_kind:     hidden_group_size_x
      - .offset:         78
        .size:           2
        .value_kind:     hidden_group_size_y
      - .offset:         80
        .size:           2
        .value_kind:     hidden_group_size_z
      - .offset:         82
        .size:           2
        .value_kind:     hidden_remainder_x
      - .offset:         84
        .size:           2
        .value_kind:     hidden_remainder_y
      - .offset:         86
        .size:           2
        .value_kind:     hidden_remainder_z
      - .offset:         104
        .size:           8
        .value_kind:     hidden_global_offset_x
      - .offset:         112
        .size:           8
        .value_kind:     hidden_global_offset_y
      - .offset:         120
        .size:           8
        .value_kind:     hidden_global_offset_z
      - .offset:         128
        .size:           2
        .value_kind:     hidden_grid_dims
    .group_segment_fixed_size: 4100
    .kernarg_segment_align: 8
    .kernarg_segment_size: 320
    .language:       OpenCL C
    .language_version:
      - 2
      - 0
    .max_flat_workgroup_size: 128
    .name:           _Z35paged_attention_ll4mi_reduce_kernelIDF16_DF16_Li128ELi128ELi256ELi16EEvPT0_PKfS3_PKT_PKiS8_iS3_
    .private_segment_fixed_size: 0
    .sgpr_count:     67
    .sgpr_spill_count: 0
    .symbol:         _Z35paged_attention_ll4mi_reduce_kernelIDF16_DF16_Li128ELi128ELi256ELi16EEvPT0_PKfS3_PKT_PKiS8_iS3_.kd
    .uniform_work_group_size: 1
    .uses_dynamic_stack: false
    .vgpr_count:     92
    .vgpr_spill_count: 0
    .wavefront_size: 64
  - .agpr_count:     8
    .args:
      - .actual_access:  read_only
        .address_space:  global
        .offset:         0
        .size:           8
        .value_kind:     global_buffer
      - .actual_access:  read_only
        .address_space:  global
        .offset:         8
        .size:           8
        .value_kind:     global_buffer
      - .actual_access:  read_only
        .address_space:  global
        .offset:         16
        .size:           8
        .value_kind:     global_buffer
      - .offset:         24
        .size:           4
        .value_kind:     by_value
      - .offset:         28
        .size:           4
        .value_kind:     by_value
      - .actual_access:  read_only
        .address_space:  global
        .offset:         32
        .size:           8
        .value_kind:     global_buffer
      - .actual_access:  read_only
        .address_space:  global
        .offset:         40
        .size:           8
        .value_kind:     global_buffer
      - .actual_access:  read_only
        .address_space:  global
        .offset:         48
        .size:           8
        .value_kind:     global_buffer
      - .offset:         56
        .size:           4
        .value_kind:     by_value
      - .actual_access:  read_only
        .address_space:  global
        .offset:         64
        .size:           8
        .value_kind:     global_buffer
      - .offset:         72
        .size:           4
        .value_kind:     by_value
      - .offset:         76
        .size:           4
        .value_kind:     by_value
      - .offset:         80
        .size:           4
        .value_kind:     by_value
      - .actual_access:  write_only
        .address_space:  global
        .offset:         88
        .size:           8
        .value_kind:     global_buffer
      - .actual_access:  write_only
        .address_space:  global
        .offset:         96
        .size:           8
        .value_kind:     global_buffer
      - .actual_access:  write_only
        .address_space:  global
        .offset:         104
        .size:           8
        .value_kind:     global_buffer
      - .actual_access:  read_only
        .address_space:  global
        .offset:         112
        .size:           8
        .value_kind:     global_buffer
      - .offset:         120
        .size:           4
        .value_kind:     by_value
      - .address_space:  global
        .offset:         128
        .size:           8
        .value_kind:     global_buffer
      - .address_space:  global
        .offset:         136
        .size:           8
        .value_kind:     global_buffer
      - .offset:         144
        .size:           4
        .value_kind:     hidden_block_count_x
      - .offset:         148
        .size:           4
        .value_kind:     hidden_block_count_y
      - .offset:         152
        .size:           4
        .value_kind:     hidden_block_count_z
      - .offset:         156
        .size:           2
        .value_kind:     hidden_group_size_x
      - .offset:         158
        .size:           2
        .value_kind:     hidden_group_size_y
      - .offset:         160
        .size:           2
        .value_kind:     hidden_group_size_z
      - .offset:         162
        .size:           2
        .value_kind:     hidden_remainder_x
      - .offset:         164
        .size:           2
        .value_kind:     hidden_remainder_y
      - .offset:         166
        .size:           2
        .value_kind:     hidden_remainder_z
      - .offset:         184
        .size:           8
        .value_kind:     hidden_global_offset_x
      - .offset:         192
        .size:           8
        .value_kind:     hidden_global_offset_y
      - .offset:         200
        .size:           8
        .value_kind:     hidden_global_offset_z
      - .offset:         208
        .size:           2
        .value_kind:     hidden_grid_dims
    .group_segment_fixed_size: 5280
    .kernarg_segment_align: 8
    .kernarg_segment_size: 400
    .language:       OpenCL C
    .language_version:
      - 2
      - 0
    .max_flat_workgroup_size: 256
    .name:           _Z38paged_attention_ll4mi_QKV_mfma4_kernelIDF16_DF16_LN4vllm18Fp8KVCacheDataTypeE0EDF16_Li16ELi128ELi256ELb0ELi1EEvPKT_PKT0_S7_ifPKiS9_S9_iPKfiiiPfSC_PS2_PT2_iSB_SB_
    .private_segment_fixed_size: 0
    .sgpr_count:     44
    .sgpr_spill_count: 0
    .symbol:         _Z38paged_attention_ll4mi_QKV_mfma4_kernelIDF16_DF16_LN4vllm18Fp8KVCacheDataTypeE0EDF16_Li16ELi128ELi256ELb0ELi1EEvPKT_PKT0_S7_ifPKiS9_S9_iPKfiiiPfSC_PS2_PT2_iSB_SB_.kd
    .uniform_work_group_size: 1
    .uses_dynamic_stack: false
    .vgpr_count:     104
    .vgpr_spill_count: 0
    .wavefront_size: 64
  - .agpr_count:     8
    .args:
      - .actual_access:  read_only
        .address_space:  global
        .offset:         0
        .size:           8
        .value_kind:     global_buffer
      - .actual_access:  read_only
        .address_space:  global
        .offset:         8
        .size:           8
        .value_kind:     global_buffer
      - .actual_access:  read_only
        .address_space:  global
        .offset:         16
        .size:           8
        .value_kind:     global_buffer
      - .offset:         24
        .size:           4
        .value_kind:     by_value
      - .offset:         28
        .size:           4
        .value_kind:     by_value
      - .actual_access:  read_only
        .address_space:  global
        .offset:         32
        .size:           8
        .value_kind:     global_buffer
      - .actual_access:  read_only
        .address_space:  global
        .offset:         40
        .size:           8
        .value_kind:     global_buffer
      - .actual_access:  read_only
        .address_space:  global
        .offset:         48
        .size:           8
        .value_kind:     global_buffer
      - .offset:         56
        .size:           4
        .value_kind:     by_value
      - .actual_access:  read_only
        .address_space:  global
        .offset:         64
        .size:           8
        .value_kind:     global_buffer
      - .offset:         72
        .size:           4
        .value_kind:     by_value
      - .offset:         76
        .size:           4
        .value_kind:     by_value
      - .offset:         80
        .size:           4
        .value_kind:     by_value
      - .actual_access:  write_only
        .address_space:  global
        .offset:         88
        .size:           8
        .value_kind:     global_buffer
      - .actual_access:  write_only
        .address_space:  global
        .offset:         96
        .size:           8
        .value_kind:     global_buffer
      - .actual_access:  write_only
        .address_space:  global
        .offset:         104
        .size:           8
        .value_kind:     global_buffer
      - .actual_access:  read_only
        .address_space:  global
        .offset:         112
        .size:           8
        .value_kind:     global_buffer
      - .offset:         120
        .size:           4
        .value_kind:     by_value
      - .address_space:  global
        .offset:         128
        .size:           8
        .value_kind:     global_buffer
      - .address_space:  global
        .offset:         136
        .size:           8
        .value_kind:     global_buffer
      - .offset:         144
        .size:           4
        .value_kind:     hidden_block_count_x
      - .offset:         148
        .size:           4
        .value_kind:     hidden_block_count_y
      - .offset:         152
        .size:           4
        .value_kind:     hidden_block_count_z
      - .offset:         156
        .size:           2
        .value_kind:     hidden_group_size_x
      - .offset:         158
        .size:           2
        .value_kind:     hidden_group_size_y
      - .offset:         160
        .size:           2
        .value_kind:     hidden_group_size_z
      - .offset:         162
        .size:           2
        .value_kind:     hidden_remainder_x
      - .offset:         164
        .size:           2
        .value_kind:     hidden_remainder_y
      - .offset:         166
        .size:           2
        .value_kind:     hidden_remainder_z
      - .offset:         184
        .size:           8
        .value_kind:     hidden_global_offset_x
      - .offset:         192
        .size:           8
        .value_kind:     hidden_global_offset_y
      - .offset:         200
        .size:           8
        .value_kind:     hidden_global_offset_z
      - .offset:         208
        .size:           2
        .value_kind:     hidden_grid_dims
    .group_segment_fixed_size: 5280
    .kernarg_segment_align: 8
    .kernarg_segment_size: 400
    .language:       OpenCL C
    .language_version:
      - 2
      - 0
    .max_flat_workgroup_size: 256
    .name:           _Z38paged_attention_ll4mi_QKV_mfma4_kernelIDF16_DF16_LN4vllm18Fp8KVCacheDataTypeE0EDF16_Li16ELi128ELi256ELb0ELi2EEvPKT_PKT0_S7_ifPKiS9_S9_iPKfiiiPfSC_PS2_PT2_iSB_SB_
    .private_segment_fixed_size: 0
    .sgpr_count:     44
    .sgpr_spill_count: 0
    .symbol:         _Z38paged_attention_ll4mi_QKV_mfma4_kernelIDF16_DF16_LN4vllm18Fp8KVCacheDataTypeE0EDF16_Li16ELi128ELi256ELb0ELi2EEvPKT_PKT0_S7_ifPKiS9_S9_iPKfiiiPfSC_PS2_PT2_iSB_SB_.kd
    .uniform_work_group_size: 1
    .uses_dynamic_stack: false
    .vgpr_count:     104
    .vgpr_spill_count: 0
    .wavefront_size: 64
  - .agpr_count:     8
    .args:
      - .actual_access:  read_only
        .address_space:  global
        .offset:         0
        .size:           8
        .value_kind:     global_buffer
      - .actual_access:  read_only
        .address_space:  global
        .offset:         8
        .size:           8
        .value_kind:     global_buffer
      - .actual_access:  read_only
        .address_space:  global
        .offset:         16
        .size:           8
        .value_kind:     global_buffer
      - .offset:         24
        .size:           4
        .value_kind:     by_value
      - .offset:         28
        .size:           4
        .value_kind:     by_value
      - .actual_access:  read_only
        .address_space:  global
        .offset:         32
        .size:           8
        .value_kind:     global_buffer
      - .actual_access:  read_only
        .address_space:  global
        .offset:         40
        .size:           8
        .value_kind:     global_buffer
      - .actual_access:  read_only
        .address_space:  global
        .offset:         48
        .size:           8
        .value_kind:     global_buffer
      - .offset:         56
        .size:           4
        .value_kind:     by_value
      - .actual_access:  read_only
        .address_space:  global
        .offset:         64
        .size:           8
        .value_kind:     global_buffer
      - .offset:         72
        .size:           4
        .value_kind:     by_value
      - .offset:         76
        .size:           4
        .value_kind:     by_value
      - .offset:         80
        .size:           4
        .value_kind:     by_value
      - .actual_access:  write_only
        .address_space:  global
        .offset:         88
        .size:           8
        .value_kind:     global_buffer
      - .actual_access:  write_only
        .address_space:  global
        .offset:         96
        .size:           8
        .value_kind:     global_buffer
      - .actual_access:  write_only
        .address_space:  global
        .offset:         104
        .size:           8
        .value_kind:     global_buffer
      - .actual_access:  read_only
        .address_space:  global
        .offset:         112
        .size:           8
        .value_kind:     global_buffer
      - .offset:         120
        .size:           4
        .value_kind:     by_value
      - .address_space:  global
        .offset:         128
        .size:           8
        .value_kind:     global_buffer
      - .address_space:  global
        .offset:         136
        .size:           8
        .value_kind:     global_buffer
      - .offset:         144
        .size:           4
        .value_kind:     hidden_block_count_x
      - .offset:         148
        .size:           4
        .value_kind:     hidden_block_count_y
      - .offset:         152
        .size:           4
        .value_kind:     hidden_block_count_z
      - .offset:         156
        .size:           2
        .value_kind:     hidden_group_size_x
      - .offset:         158
        .size:           2
        .value_kind:     hidden_group_size_y
      - .offset:         160
        .size:           2
        .value_kind:     hidden_group_size_z
      - .offset:         162
        .size:           2
        .value_kind:     hidden_remainder_x
      - .offset:         164
        .size:           2
        .value_kind:     hidden_remainder_y
      - .offset:         166
        .size:           2
        .value_kind:     hidden_remainder_z
      - .offset:         184
        .size:           8
        .value_kind:     hidden_global_offset_x
      - .offset:         192
        .size:           8
        .value_kind:     hidden_global_offset_y
      - .offset:         200
        .size:           8
        .value_kind:     hidden_global_offset_z
      - .offset:         208
        .size:           2
        .value_kind:     hidden_grid_dims
    .group_segment_fixed_size: 5280
    .kernarg_segment_align: 8
    .kernarg_segment_size: 400
    .language:       OpenCL C
    .language_version:
      - 2
      - 0
    .max_flat_workgroup_size: 256
    .name:           _Z38paged_attention_ll4mi_QKV_mfma4_kernelIDF16_DF16_LN4vllm18Fp8KVCacheDataTypeE0EDF16_Li16ELi128ELi256ELb0ELi3EEvPKT_PKT0_S7_ifPKiS9_S9_iPKfiiiPfSC_PS2_PT2_iSB_SB_
    .private_segment_fixed_size: 0
    .sgpr_count:     44
    .sgpr_spill_count: 0
    .symbol:         _Z38paged_attention_ll4mi_QKV_mfma4_kernelIDF16_DF16_LN4vllm18Fp8KVCacheDataTypeE0EDF16_Li16ELi128ELi256ELb0ELi3EEvPKT_PKT0_S7_ifPKiS9_S9_iPKfiiiPfSC_PS2_PT2_iSB_SB_.kd
    .uniform_work_group_size: 1
    .uses_dynamic_stack: false
    .vgpr_count:     104
    .vgpr_spill_count: 0
    .wavefront_size: 64
  - .agpr_count:     8
    .args:
      - .actual_access:  read_only
        .address_space:  global
        .offset:         0
        .size:           8
        .value_kind:     global_buffer
      - .actual_access:  read_only
        .address_space:  global
        .offset:         8
        .size:           8
        .value_kind:     global_buffer
      - .actual_access:  read_only
        .address_space:  global
        .offset:         16
        .size:           8
        .value_kind:     global_buffer
      - .offset:         24
        .size:           4
        .value_kind:     by_value
      - .offset:         28
        .size:           4
        .value_kind:     by_value
      - .actual_access:  read_only
        .address_space:  global
        .offset:         32
        .size:           8
        .value_kind:     global_buffer
      - .actual_access:  read_only
        .address_space:  global
        .offset:         40
        .size:           8
        .value_kind:     global_buffer
      - .actual_access:  read_only
        .address_space:  global
        .offset:         48
        .size:           8
        .value_kind:     global_buffer
      - .offset:         56
        .size:           4
        .value_kind:     by_value
      - .actual_access:  read_only
        .address_space:  global
        .offset:         64
        .size:           8
        .value_kind:     global_buffer
      - .offset:         72
        .size:           4
        .value_kind:     by_value
      - .offset:         76
        .size:           4
        .value_kind:     by_value
      - .offset:         80
        .size:           4
        .value_kind:     by_value
      - .actual_access:  write_only
        .address_space:  global
        .offset:         88
        .size:           8
        .value_kind:     global_buffer
      - .actual_access:  write_only
        .address_space:  global
        .offset:         96
        .size:           8
        .value_kind:     global_buffer
      - .actual_access:  write_only
        .address_space:  global
        .offset:         104
        .size:           8
        .value_kind:     global_buffer
      - .actual_access:  read_only
        .address_space:  global
        .offset:         112
        .size:           8
        .value_kind:     global_buffer
      - .offset:         120
        .size:           4
        .value_kind:     by_value
      - .address_space:  global
        .offset:         128
        .size:           8
        .value_kind:     global_buffer
      - .address_space:  global
        .offset:         136
        .size:           8
        .value_kind:     global_buffer
      - .offset:         144
        .size:           4
        .value_kind:     hidden_block_count_x
      - .offset:         148
        .size:           4
        .value_kind:     hidden_block_count_y
      - .offset:         152
        .size:           4
        .value_kind:     hidden_block_count_z
      - .offset:         156
        .size:           2
        .value_kind:     hidden_group_size_x
      - .offset:         158
        .size:           2
        .value_kind:     hidden_group_size_y
      - .offset:         160
        .size:           2
        .value_kind:     hidden_group_size_z
      - .offset:         162
        .size:           2
        .value_kind:     hidden_remainder_x
      - .offset:         164
        .size:           2
        .value_kind:     hidden_remainder_y
      - .offset:         166
        .size:           2
        .value_kind:     hidden_remainder_z
      - .offset:         184
        .size:           8
        .value_kind:     hidden_global_offset_x
      - .offset:         192
        .size:           8
        .value_kind:     hidden_global_offset_y
      - .offset:         200
        .size:           8
        .value_kind:     hidden_global_offset_z
      - .offset:         208
        .size:           2
        .value_kind:     hidden_grid_dims
    .group_segment_fixed_size: 5280
    .kernarg_segment_align: 8
    .kernarg_segment_size: 400
    .language:       OpenCL C
    .language_version:
      - 2
      - 0
    .max_flat_workgroup_size: 256
    .name:           _Z38paged_attention_ll4mi_QKV_mfma4_kernelIDF16_DF16_LN4vllm18Fp8KVCacheDataTypeE0EDF16_Li16ELi128ELi256ELb0ELi4EEvPKT_PKT0_S7_ifPKiS9_S9_iPKfiiiPfSC_PS2_PT2_iSB_SB_
    .private_segment_fixed_size: 0
    .sgpr_count:     44
    .sgpr_spill_count: 0
    .symbol:         _Z38paged_attention_ll4mi_QKV_mfma4_kernelIDF16_DF16_LN4vllm18Fp8KVCacheDataTypeE0EDF16_Li16ELi128ELi256ELb0ELi4EEvPKT_PKT0_S7_ifPKiS9_S9_iPKfiiiPfSC_PS2_PT2_iSB_SB_.kd
    .uniform_work_group_size: 1
    .uses_dynamic_stack: false
    .vgpr_count:     104
    .vgpr_spill_count: 0
    .wavefront_size: 64
  - .agpr_count:     0
    .args:
      - .actual_access:  read_only
        .address_space:  global
        .offset:         0
        .size:           8
        .value_kind:     global_buffer
      - .actual_access:  read_only
        .address_space:  global
        .offset:         8
        .size:           8
        .value_kind:     global_buffer
      - .actual_access:  read_only
        .address_space:  global
        .offset:         16
        .size:           8
        .value_kind:     global_buffer
      - .offset:         24
        .size:           4
        .value_kind:     by_value
      - .offset:         28
        .size:           4
        .value_kind:     by_value
      - .actual_access:  read_only
        .address_space:  global
        .offset:         32
        .size:           8
        .value_kind:     global_buffer
      - .actual_access:  read_only
        .address_space:  global
        .offset:         40
        .size:           8
        .value_kind:     global_buffer
      - .actual_access:  read_only
        .address_space:  global
        .offset:         48
        .size:           8
        .value_kind:     global_buffer
      - .offset:         56
        .size:           4
        .value_kind:     by_value
      - .actual_access:  read_only
        .address_space:  global
        .offset:         64
        .size:           8
        .value_kind:     global_buffer
      - .offset:         72
        .size:           4
        .value_kind:     by_value
      - .offset:         76
        .size:           4
        .value_kind:     by_value
      - .offset:         80
        .size:           4
        .value_kind:     by_value
      - .actual_access:  write_only
        .address_space:  global
        .offset:         88
        .size:           8
        .value_kind:     global_buffer
      - .actual_access:  write_only
        .address_space:  global
        .offset:         96
        .size:           8
        .value_kind:     global_buffer
      - .actual_access:  write_only
        .address_space:  global
        .offset:         104
        .size:           8
        .value_kind:     global_buffer
      - .actual_access:  read_only
        .address_space:  global
        .offset:         112
        .size:           8
        .value_kind:     global_buffer
      - .offset:         120
        .size:           4
        .value_kind:     by_value
      - .address_space:  global
        .offset:         128
        .size:           8
        .value_kind:     global_buffer
      - .address_space:  global
        .offset:         136
        .size:           8
        .value_kind:     global_buffer
      - .offset:         144
        .size:           4
        .value_kind:     hidden_block_count_x
      - .offset:         148
        .size:           4
        .value_kind:     hidden_block_count_y
      - .offset:         152
        .size:           4
        .value_kind:     hidden_block_count_z
      - .offset:         156
        .size:           2
        .value_kind:     hidden_group_size_x
      - .offset:         158
        .size:           2
        .value_kind:     hidden_group_size_y
      - .offset:         160
        .size:           2
        .value_kind:     hidden_group_size_z
      - .offset:         162
        .size:           2
        .value_kind:     hidden_remainder_x
      - .offset:         164
        .size:           2
        .value_kind:     hidden_remainder_y
      - .offset:         166
        .size:           2
        .value_kind:     hidden_remainder_z
      - .offset:         184
        .size:           8
        .value_kind:     hidden_global_offset_x
      - .offset:         192
        .size:           8
        .value_kind:     hidden_global_offset_y
      - .offset:         200
        .size:           8
        .value_kind:     hidden_global_offset_z
      - .offset:         208
        .size:           2
        .value_kind:     hidden_grid_dims
    .group_segment_fixed_size: 8192
    .kernarg_segment_align: 8
    .kernarg_segment_size: 400
    .language:       OpenCL C
    .language_version:
      - 2
      - 0
    .max_flat_workgroup_size: 256
    .name:           _Z39paged_attention_ll4mi_QKV_mfma16_kernelIDF16_DF16_LN4vllm18Fp8KVCacheDataTypeE0EDF16_Li16ELi128ELi256ELb0ELi5EEvPKT_PKT0_S7_ifPKiS9_S9_iPKfiiiPfSC_PS2_PT2_iSB_SB_
    .private_segment_fixed_size: 0
    .sgpr_count:     48
    .sgpr_spill_count: 0
    .symbol:         _Z39paged_attention_ll4mi_QKV_mfma16_kernelIDF16_DF16_LN4vllm18Fp8KVCacheDataTypeE0EDF16_Li16ELi128ELi256ELb0ELi5EEvPKT_PKT0_S7_ifPKiS9_S9_iPKfiiiPfSC_PS2_PT2_iSB_SB_.kd
    .uniform_work_group_size: 1
    .uses_dynamic_stack: false
    .vgpr_count:     96
    .vgpr_spill_count: 0
    .wavefront_size: 64
  - .agpr_count:     0
    .args:
      - .actual_access:  read_only
        .address_space:  global
        .offset:         0
        .size:           8
        .value_kind:     global_buffer
      - .actual_access:  read_only
        .address_space:  global
        .offset:         8
        .size:           8
        .value_kind:     global_buffer
      - .actual_access:  read_only
        .address_space:  global
        .offset:         16
        .size:           8
        .value_kind:     global_buffer
      - .offset:         24
        .size:           4
        .value_kind:     by_value
      - .offset:         28
        .size:           4
        .value_kind:     by_value
      - .actual_access:  read_only
        .address_space:  global
        .offset:         32
        .size:           8
        .value_kind:     global_buffer
      - .actual_access:  read_only
        .address_space:  global
        .offset:         40
        .size:           8
        .value_kind:     global_buffer
      - .actual_access:  read_only
        .address_space:  global
        .offset:         48
        .size:           8
        .value_kind:     global_buffer
      - .offset:         56
        .size:           4
        .value_kind:     by_value
      - .actual_access:  read_only
        .address_space:  global
        .offset:         64
        .size:           8
        .value_kind:     global_buffer
      - .offset:         72
        .size:           4
        .value_kind:     by_value
      - .offset:         76
        .size:           4
        .value_kind:     by_value
      - .offset:         80
        .size:           4
        .value_kind:     by_value
      - .actual_access:  write_only
        .address_space:  global
        .offset:         88
        .size:           8
        .value_kind:     global_buffer
      - .actual_access:  write_only
        .address_space:  global
        .offset:         96
        .size:           8
        .value_kind:     global_buffer
      - .actual_access:  write_only
        .address_space:  global
        .offset:         104
        .size:           8
        .value_kind:     global_buffer
      - .actual_access:  read_only
        .address_space:  global
        .offset:         112
        .size:           8
        .value_kind:     global_buffer
      - .offset:         120
        .size:           4
        .value_kind:     by_value
      - .address_space:  global
        .offset:         128
        .size:           8
        .value_kind:     global_buffer
      - .address_space:  global
        .offset:         136
        .size:           8
        .value_kind:     global_buffer
      - .offset:         144
        .size:           4
        .value_kind:     hidden_block_count_x
      - .offset:         148
        .size:           4
        .value_kind:     hidden_block_count_y
      - .offset:         152
        .size:           4
        .value_kind:     hidden_block_count_z
      - .offset:         156
        .size:           2
        .value_kind:     hidden_group_size_x
      - .offset:         158
        .size:           2
        .value_kind:     hidden_group_size_y
      - .offset:         160
        .size:           2
        .value_kind:     hidden_group_size_z
      - .offset:         162
        .size:           2
        .value_kind:     hidden_remainder_x
      - .offset:         164
        .size:           2
        .value_kind:     hidden_remainder_y
      - .offset:         166
        .size:           2
        .value_kind:     hidden_remainder_z
      - .offset:         184
        .size:           8
        .value_kind:     hidden_global_offset_x
      - .offset:         192
        .size:           8
        .value_kind:     hidden_global_offset_y
      - .offset:         200
        .size:           8
        .value_kind:     hidden_global_offset_z
      - .offset:         208
        .size:           2
        .value_kind:     hidden_grid_dims
    .group_segment_fixed_size: 8192
    .kernarg_segment_align: 8
    .kernarg_segment_size: 400
    .language:       OpenCL C
    .language_version:
      - 2
      - 0
    .max_flat_workgroup_size: 256
    .name:           _Z39paged_attention_ll4mi_QKV_mfma16_kernelIDF16_DF16_LN4vllm18Fp8KVCacheDataTypeE0EDF16_Li16ELi128ELi256ELb0ELi6EEvPKT_PKT0_S7_ifPKiS9_S9_iPKfiiiPfSC_PS2_PT2_iSB_SB_
    .private_segment_fixed_size: 0
    .sgpr_count:     48
    .sgpr_spill_count: 0
    .symbol:         _Z39paged_attention_ll4mi_QKV_mfma16_kernelIDF16_DF16_LN4vllm18Fp8KVCacheDataTypeE0EDF16_Li16ELi128ELi256ELb0ELi6EEvPKT_PKT0_S7_ifPKiS9_S9_iPKfiiiPfSC_PS2_PT2_iSB_SB_.kd
    .uniform_work_group_size: 1
    .uses_dynamic_stack: false
    .vgpr_count:     96
    .vgpr_spill_count: 0
    .wavefront_size: 64
  - .agpr_count:     0
    .args:
      - .actual_access:  read_only
        .address_space:  global
        .offset:         0
        .size:           8
        .value_kind:     global_buffer
      - .actual_access:  read_only
        .address_space:  global
        .offset:         8
        .size:           8
        .value_kind:     global_buffer
      - .actual_access:  read_only
        .address_space:  global
        .offset:         16
        .size:           8
        .value_kind:     global_buffer
      - .offset:         24
        .size:           4
        .value_kind:     by_value
      - .offset:         28
        .size:           4
        .value_kind:     by_value
      - .actual_access:  read_only
        .address_space:  global
        .offset:         32
        .size:           8
        .value_kind:     global_buffer
      - .actual_access:  read_only
        .address_space:  global
        .offset:         40
        .size:           8
        .value_kind:     global_buffer
      - .actual_access:  read_only
        .address_space:  global
        .offset:         48
        .size:           8
        .value_kind:     global_buffer
      - .offset:         56
        .size:           4
        .value_kind:     by_value
      - .actual_access:  read_only
        .address_space:  global
        .offset:         64
        .size:           8
        .value_kind:     global_buffer
      - .offset:         72
        .size:           4
        .value_kind:     by_value
      - .offset:         76
        .size:           4
        .value_kind:     by_value
      - .offset:         80
        .size:           4
        .value_kind:     by_value
      - .actual_access:  write_only
        .address_space:  global
        .offset:         88
        .size:           8
        .value_kind:     global_buffer
      - .actual_access:  write_only
        .address_space:  global
        .offset:         96
        .size:           8
        .value_kind:     global_buffer
      - .actual_access:  write_only
        .address_space:  global
        .offset:         104
        .size:           8
        .value_kind:     global_buffer
      - .actual_access:  read_only
        .address_space:  global
        .offset:         112
        .size:           8
        .value_kind:     global_buffer
      - .offset:         120
        .size:           4
        .value_kind:     by_value
      - .address_space:  global
        .offset:         128
        .size:           8
        .value_kind:     global_buffer
      - .address_space:  global
        .offset:         136
        .size:           8
        .value_kind:     global_buffer
      - .offset:         144
        .size:           4
        .value_kind:     hidden_block_count_x
      - .offset:         148
        .size:           4
        .value_kind:     hidden_block_count_y
      - .offset:         152
        .size:           4
        .value_kind:     hidden_block_count_z
      - .offset:         156
        .size:           2
        .value_kind:     hidden_group_size_x
      - .offset:         158
        .size:           2
        .value_kind:     hidden_group_size_y
      - .offset:         160
        .size:           2
        .value_kind:     hidden_group_size_z
      - .offset:         162
        .size:           2
        .value_kind:     hidden_remainder_x
      - .offset:         164
        .size:           2
        .value_kind:     hidden_remainder_y
      - .offset:         166
        .size:           2
        .value_kind:     hidden_remainder_z
      - .offset:         184
        .size:           8
        .value_kind:     hidden_global_offset_x
      - .offset:         192
        .size:           8
        .value_kind:     hidden_global_offset_y
      - .offset:         200
        .size:           8
        .value_kind:     hidden_global_offset_z
      - .offset:         208
        .size:           2
        .value_kind:     hidden_grid_dims
    .group_segment_fixed_size: 8192
    .kernarg_segment_align: 8
    .kernarg_segment_size: 400
    .language:       OpenCL C
    .language_version:
      - 2
      - 0
    .max_flat_workgroup_size: 256
    .name:           _Z39paged_attention_ll4mi_QKV_mfma16_kernelIDF16_DF16_LN4vllm18Fp8KVCacheDataTypeE0EDF16_Li16ELi128ELi256ELb0ELi7EEvPKT_PKT0_S7_ifPKiS9_S9_iPKfiiiPfSC_PS2_PT2_iSB_SB_
    .private_segment_fixed_size: 0
    .sgpr_count:     48
    .sgpr_spill_count: 0
    .symbol:         _Z39paged_attention_ll4mi_QKV_mfma16_kernelIDF16_DF16_LN4vllm18Fp8KVCacheDataTypeE0EDF16_Li16ELi128ELi256ELb0ELi7EEvPKT_PKT0_S7_ifPKiS9_S9_iPKfiiiPfSC_PS2_PT2_iSB_SB_.kd
    .uniform_work_group_size: 1
    .uses_dynamic_stack: false
    .vgpr_count:     96
    .vgpr_spill_count: 0
    .wavefront_size: 64
  - .agpr_count:     0
    .args:
      - .actual_access:  read_only
        .address_space:  global
        .offset:         0
        .size:           8
        .value_kind:     global_buffer
      - .actual_access:  read_only
        .address_space:  global
        .offset:         8
        .size:           8
        .value_kind:     global_buffer
      - .actual_access:  read_only
        .address_space:  global
        .offset:         16
        .size:           8
        .value_kind:     global_buffer
      - .offset:         24
        .size:           4
        .value_kind:     by_value
      - .offset:         28
        .size:           4
        .value_kind:     by_value
      - .actual_access:  read_only
        .address_space:  global
        .offset:         32
        .size:           8
        .value_kind:     global_buffer
      - .actual_access:  read_only
        .address_space:  global
        .offset:         40
        .size:           8
        .value_kind:     global_buffer
      - .actual_access:  read_only
        .address_space:  global
        .offset:         48
        .size:           8
        .value_kind:     global_buffer
      - .offset:         56
        .size:           4
        .value_kind:     by_value
      - .actual_access:  read_only
        .address_space:  global
        .offset:         64
        .size:           8
        .value_kind:     global_buffer
      - .offset:         72
        .size:           4
        .value_kind:     by_value
      - .offset:         76
        .size:           4
        .value_kind:     by_value
      - .offset:         80
        .size:           4
        .value_kind:     by_value
      - .actual_access:  write_only
        .address_space:  global
        .offset:         88
        .size:           8
        .value_kind:     global_buffer
      - .actual_access:  write_only
        .address_space:  global
        .offset:         96
        .size:           8
        .value_kind:     global_buffer
      - .actual_access:  write_only
        .address_space:  global
        .offset:         104
        .size:           8
        .value_kind:     global_buffer
      - .actual_access:  read_only
        .address_space:  global
        .offset:         112
        .size:           8
        .value_kind:     global_buffer
      - .offset:         120
        .size:           4
        .value_kind:     by_value
      - .address_space:  global
        .offset:         128
        .size:           8
        .value_kind:     global_buffer
      - .address_space:  global
        .offset:         136
        .size:           8
        .value_kind:     global_buffer
      - .offset:         144
        .size:           4
        .value_kind:     hidden_block_count_x
      - .offset:         148
        .size:           4
        .value_kind:     hidden_block_count_y
      - .offset:         152
        .size:           4
        .value_kind:     hidden_block_count_z
      - .offset:         156
        .size:           2
        .value_kind:     hidden_group_size_x
      - .offset:         158
        .size:           2
        .value_kind:     hidden_group_size_y
      - .offset:         160
        .size:           2
        .value_kind:     hidden_group_size_z
      - .offset:         162
        .size:           2
        .value_kind:     hidden_remainder_x
      - .offset:         164
        .size:           2
        .value_kind:     hidden_remainder_y
      - .offset:         166
        .size:           2
        .value_kind:     hidden_remainder_z
      - .offset:         184
        .size:           8
        .value_kind:     hidden_global_offset_x
      - .offset:         192
        .size:           8
        .value_kind:     hidden_global_offset_y
      - .offset:         200
        .size:           8
        .value_kind:     hidden_global_offset_z
      - .offset:         208
        .size:           2
        .value_kind:     hidden_grid_dims
    .group_segment_fixed_size: 8192
    .kernarg_segment_align: 8
    .kernarg_segment_size: 400
    .language:       OpenCL C
    .language_version:
      - 2
      - 0
    .max_flat_workgroup_size: 256
    .name:           _Z39paged_attention_ll4mi_QKV_mfma16_kernelIDF16_DF16_LN4vllm18Fp8KVCacheDataTypeE0EDF16_Li16ELi128ELi256ELb0ELi8EEvPKT_PKT0_S7_ifPKiS9_S9_iPKfiiiPfSC_PS2_PT2_iSB_SB_
    .private_segment_fixed_size: 0
    .sgpr_count:     47
    .sgpr_spill_count: 0
    .symbol:         _Z39paged_attention_ll4mi_QKV_mfma16_kernelIDF16_DF16_LN4vllm18Fp8KVCacheDataTypeE0EDF16_Li16ELi128ELi256ELb0ELi8EEvPKT_PKT0_S7_ifPKiS9_S9_iPKfiiiPfSC_PS2_PT2_iSB_SB_.kd
    .uniform_work_group_size: 1
    .uses_dynamic_stack: false
    .vgpr_count:     96
    .vgpr_spill_count: 0
    .wavefront_size: 64
  - .agpr_count:     0
    .args:
      - .actual_access:  read_only
        .address_space:  global
        .offset:         0
        .size:           8
        .value_kind:     global_buffer
      - .actual_access:  read_only
        .address_space:  global
        .offset:         8
        .size:           8
        .value_kind:     global_buffer
      - .actual_access:  read_only
        .address_space:  global
        .offset:         16
        .size:           8
        .value_kind:     global_buffer
      - .offset:         24
        .size:           4
        .value_kind:     by_value
      - .offset:         28
        .size:           4
        .value_kind:     by_value
      - .actual_access:  read_only
        .address_space:  global
        .offset:         32
        .size:           8
        .value_kind:     global_buffer
      - .actual_access:  read_only
        .address_space:  global
        .offset:         40
        .size:           8
        .value_kind:     global_buffer
      - .actual_access:  read_only
        .address_space:  global
        .offset:         48
        .size:           8
        .value_kind:     global_buffer
      - .offset:         56
        .size:           4
        .value_kind:     by_value
      - .actual_access:  read_only
        .address_space:  global
        .offset:         64
        .size:           8
        .value_kind:     global_buffer
      - .offset:         72
        .size:           4
        .value_kind:     by_value
      - .offset:         76
        .size:           4
        .value_kind:     by_value
      - .offset:         80
        .size:           4
        .value_kind:     by_value
      - .actual_access:  write_only
        .address_space:  global
        .offset:         88
        .size:           8
        .value_kind:     global_buffer
      - .actual_access:  write_only
        .address_space:  global
        .offset:         96
        .size:           8
        .value_kind:     global_buffer
      - .actual_access:  write_only
        .address_space:  global
        .offset:         104
        .size:           8
        .value_kind:     global_buffer
      - .actual_access:  read_only
        .address_space:  global
        .offset:         112
        .size:           8
        .value_kind:     global_buffer
      - .offset:         120
        .size:           4
        .value_kind:     by_value
      - .address_space:  global
        .offset:         128
        .size:           8
        .value_kind:     global_buffer
      - .address_space:  global
        .offset:         136
        .size:           8
        .value_kind:     global_buffer
      - .offset:         144
        .size:           4
        .value_kind:     hidden_block_count_x
      - .offset:         148
        .size:           4
        .value_kind:     hidden_block_count_y
      - .offset:         152
        .size:           4
        .value_kind:     hidden_block_count_z
      - .offset:         156
        .size:           2
        .value_kind:     hidden_group_size_x
      - .offset:         158
        .size:           2
        .value_kind:     hidden_group_size_y
      - .offset:         160
        .size:           2
        .value_kind:     hidden_group_size_z
      - .offset:         162
        .size:           2
        .value_kind:     hidden_remainder_x
      - .offset:         164
        .size:           2
        .value_kind:     hidden_remainder_y
      - .offset:         166
        .size:           2
        .value_kind:     hidden_remainder_z
      - .offset:         184
        .size:           8
        .value_kind:     hidden_global_offset_x
      - .offset:         192
        .size:           8
        .value_kind:     hidden_global_offset_y
      - .offset:         200
        .size:           8
        .value_kind:     hidden_global_offset_z
      - .offset:         208
        .size:           2
        .value_kind:     hidden_grid_dims
    .group_segment_fixed_size: 8192
    .kernarg_segment_align: 8
    .kernarg_segment_size: 400
    .language:       OpenCL C
    .language_version:
      - 2
      - 0
    .max_flat_workgroup_size: 256
    .name:           _Z39paged_attention_ll4mi_QKV_mfma16_kernelIDF16_DF16_LN4vllm18Fp8KVCacheDataTypeE0EDF16_Li16ELi128ELi256ELb0ELi9EEvPKT_PKT0_S7_ifPKiS9_S9_iPKfiiiPfSC_PS2_PT2_iSB_SB_
    .private_segment_fixed_size: 0
    .sgpr_count:     48
    .sgpr_spill_count: 0
    .symbol:         _Z39paged_attention_ll4mi_QKV_mfma16_kernelIDF16_DF16_LN4vllm18Fp8KVCacheDataTypeE0EDF16_Li16ELi128ELi256ELb0ELi9EEvPKT_PKT0_S7_ifPKiS9_S9_iPKfiiiPfSC_PS2_PT2_iSB_SB_.kd
    .uniform_work_group_size: 1
    .uses_dynamic_stack: false
    .vgpr_count:     96
    .vgpr_spill_count: 0
    .wavefront_size: 64
  - .agpr_count:     0
    .args:
      - .actual_access:  read_only
        .address_space:  global
        .offset:         0
        .size:           8
        .value_kind:     global_buffer
      - .actual_access:  read_only
        .address_space:  global
        .offset:         8
        .size:           8
        .value_kind:     global_buffer
      - .actual_access:  read_only
        .address_space:  global
        .offset:         16
        .size:           8
        .value_kind:     global_buffer
      - .offset:         24
        .size:           4
        .value_kind:     by_value
      - .offset:         28
        .size:           4
        .value_kind:     by_value
      - .actual_access:  read_only
        .address_space:  global
        .offset:         32
        .size:           8
        .value_kind:     global_buffer
      - .actual_access:  read_only
        .address_space:  global
        .offset:         40
        .size:           8
        .value_kind:     global_buffer
      - .actual_access:  read_only
        .address_space:  global
        .offset:         48
        .size:           8
        .value_kind:     global_buffer
      - .offset:         56
        .size:           4
        .value_kind:     by_value
      - .actual_access:  read_only
        .address_space:  global
        .offset:         64
        .size:           8
        .value_kind:     global_buffer
      - .offset:         72
        .size:           4
        .value_kind:     by_value
      - .offset:         76
        .size:           4
        .value_kind:     by_value
      - .offset:         80
        .size:           4
        .value_kind:     by_value
      - .actual_access:  write_only
        .address_space:  global
        .offset:         88
        .size:           8
        .value_kind:     global_buffer
      - .actual_access:  write_only
        .address_space:  global
        .offset:         96
        .size:           8
        .value_kind:     global_buffer
      - .actual_access:  write_only
        .address_space:  global
        .offset:         104
        .size:           8
        .value_kind:     global_buffer
      - .actual_access:  read_only
        .address_space:  global
        .offset:         112
        .size:           8
        .value_kind:     global_buffer
      - .offset:         120
        .size:           4
        .value_kind:     by_value
      - .address_space:  global
        .offset:         128
        .size:           8
        .value_kind:     global_buffer
      - .address_space:  global
        .offset:         136
        .size:           8
        .value_kind:     global_buffer
      - .offset:         144
        .size:           4
        .value_kind:     hidden_block_count_x
      - .offset:         148
        .size:           4
        .value_kind:     hidden_block_count_y
      - .offset:         152
        .size:           4
        .value_kind:     hidden_block_count_z
      - .offset:         156
        .size:           2
        .value_kind:     hidden_group_size_x
      - .offset:         158
        .size:           2
        .value_kind:     hidden_group_size_y
      - .offset:         160
        .size:           2
        .value_kind:     hidden_group_size_z
      - .offset:         162
        .size:           2
        .value_kind:     hidden_remainder_x
      - .offset:         164
        .size:           2
        .value_kind:     hidden_remainder_y
      - .offset:         166
        .size:           2
        .value_kind:     hidden_remainder_z
      - .offset:         184
        .size:           8
        .value_kind:     hidden_global_offset_x
      - .offset:         192
        .size:           8
        .value_kind:     hidden_global_offset_y
      - .offset:         200
        .size:           8
        .value_kind:     hidden_global_offset_z
      - .offset:         208
        .size:           2
        .value_kind:     hidden_grid_dims
    .group_segment_fixed_size: 8192
    .kernarg_segment_align: 8
    .kernarg_segment_size: 400
    .language:       OpenCL C
    .language_version:
      - 2
      - 0
    .max_flat_workgroup_size: 256
    .name:           _Z39paged_attention_ll4mi_QKV_mfma16_kernelIDF16_DF16_LN4vllm18Fp8KVCacheDataTypeE0EDF16_Li16ELi128ELi256ELb0ELi10EEvPKT_PKT0_S7_ifPKiS9_S9_iPKfiiiPfSC_PS2_PT2_iSB_SB_
    .private_segment_fixed_size: 0
    .sgpr_count:     48
    .sgpr_spill_count: 0
    .symbol:         _Z39paged_attention_ll4mi_QKV_mfma16_kernelIDF16_DF16_LN4vllm18Fp8KVCacheDataTypeE0EDF16_Li16ELi128ELi256ELb0ELi10EEvPKT_PKT0_S7_ifPKiS9_S9_iPKfiiiPfSC_PS2_PT2_iSB_SB_.kd
    .uniform_work_group_size: 1
    .uses_dynamic_stack: false
    .vgpr_count:     96
    .vgpr_spill_count: 0
    .wavefront_size: 64
  - .agpr_count:     0
    .args:
      - .actual_access:  read_only
        .address_space:  global
        .offset:         0
        .size:           8
        .value_kind:     global_buffer
      - .actual_access:  read_only
        .address_space:  global
        .offset:         8
        .size:           8
        .value_kind:     global_buffer
      - .actual_access:  read_only
        .address_space:  global
        .offset:         16
        .size:           8
        .value_kind:     global_buffer
      - .offset:         24
        .size:           4
        .value_kind:     by_value
      - .offset:         28
        .size:           4
        .value_kind:     by_value
      - .actual_access:  read_only
        .address_space:  global
        .offset:         32
        .size:           8
        .value_kind:     global_buffer
      - .actual_access:  read_only
        .address_space:  global
        .offset:         40
        .size:           8
        .value_kind:     global_buffer
      - .actual_access:  read_only
        .address_space:  global
        .offset:         48
        .size:           8
        .value_kind:     global_buffer
      - .offset:         56
        .size:           4
        .value_kind:     by_value
      - .actual_access:  read_only
        .address_space:  global
        .offset:         64
        .size:           8
        .value_kind:     global_buffer
      - .offset:         72
        .size:           4
        .value_kind:     by_value
      - .offset:         76
        .size:           4
        .value_kind:     by_value
      - .offset:         80
        .size:           4
        .value_kind:     by_value
      - .actual_access:  write_only
        .address_space:  global
        .offset:         88
        .size:           8
        .value_kind:     global_buffer
      - .actual_access:  write_only
        .address_space:  global
        .offset:         96
        .size:           8
        .value_kind:     global_buffer
      - .actual_access:  write_only
        .address_space:  global
        .offset:         104
        .size:           8
        .value_kind:     global_buffer
      - .actual_access:  read_only
        .address_space:  global
        .offset:         112
        .size:           8
        .value_kind:     global_buffer
      - .offset:         120
        .size:           4
        .value_kind:     by_value
      - .address_space:  global
        .offset:         128
        .size:           8
        .value_kind:     global_buffer
      - .address_space:  global
        .offset:         136
        .size:           8
        .value_kind:     global_buffer
      - .offset:         144
        .size:           4
        .value_kind:     hidden_block_count_x
      - .offset:         148
        .size:           4
        .value_kind:     hidden_block_count_y
      - .offset:         152
        .size:           4
        .value_kind:     hidden_block_count_z
      - .offset:         156
        .size:           2
        .value_kind:     hidden_group_size_x
      - .offset:         158
        .size:           2
        .value_kind:     hidden_group_size_y
      - .offset:         160
        .size:           2
        .value_kind:     hidden_group_size_z
      - .offset:         162
        .size:           2
        .value_kind:     hidden_remainder_x
      - .offset:         164
        .size:           2
        .value_kind:     hidden_remainder_y
      - .offset:         166
        .size:           2
        .value_kind:     hidden_remainder_z
      - .offset:         184
        .size:           8
        .value_kind:     hidden_global_offset_x
      - .offset:         192
        .size:           8
        .value_kind:     hidden_global_offset_y
      - .offset:         200
        .size:           8
        .value_kind:     hidden_global_offset_z
      - .offset:         208
        .size:           2
        .value_kind:     hidden_grid_dims
    .group_segment_fixed_size: 8192
    .kernarg_segment_align: 8
    .kernarg_segment_size: 400
    .language:       OpenCL C
    .language_version:
      - 2
      - 0
    .max_flat_workgroup_size: 256
    .name:           _Z39paged_attention_ll4mi_QKV_mfma16_kernelIDF16_DF16_LN4vllm18Fp8KVCacheDataTypeE0EDF16_Li16ELi128ELi256ELb0ELi11EEvPKT_PKT0_S7_ifPKiS9_S9_iPKfiiiPfSC_PS2_PT2_iSB_SB_
    .private_segment_fixed_size: 0
    .sgpr_count:     48
    .sgpr_spill_count: 0
    .symbol:         _Z39paged_attention_ll4mi_QKV_mfma16_kernelIDF16_DF16_LN4vllm18Fp8KVCacheDataTypeE0EDF16_Li16ELi128ELi256ELb0ELi11EEvPKT_PKT0_S7_ifPKiS9_S9_iPKfiiiPfSC_PS2_PT2_iSB_SB_.kd
    .uniform_work_group_size: 1
    .uses_dynamic_stack: false
    .vgpr_count:     96
    .vgpr_spill_count: 0
    .wavefront_size: 64
  - .agpr_count:     0
    .args:
      - .actual_access:  read_only
        .address_space:  global
        .offset:         0
        .size:           8
        .value_kind:     global_buffer
      - .actual_access:  read_only
        .address_space:  global
        .offset:         8
        .size:           8
        .value_kind:     global_buffer
      - .actual_access:  read_only
        .address_space:  global
        .offset:         16
        .size:           8
        .value_kind:     global_buffer
      - .offset:         24
        .size:           4
        .value_kind:     by_value
      - .offset:         28
        .size:           4
        .value_kind:     by_value
      - .actual_access:  read_only
        .address_space:  global
        .offset:         32
        .size:           8
        .value_kind:     global_buffer
      - .actual_access:  read_only
        .address_space:  global
        .offset:         40
        .size:           8
        .value_kind:     global_buffer
      - .actual_access:  read_only
        .address_space:  global
        .offset:         48
        .size:           8
        .value_kind:     global_buffer
      - .offset:         56
        .size:           4
        .value_kind:     by_value
      - .actual_access:  read_only
        .address_space:  global
        .offset:         64
        .size:           8
        .value_kind:     global_buffer
      - .offset:         72
        .size:           4
        .value_kind:     by_value
      - .offset:         76
        .size:           4
        .value_kind:     by_value
      - .offset:         80
        .size:           4
        .value_kind:     by_value
      - .actual_access:  write_only
        .address_space:  global
        .offset:         88
        .size:           8
        .value_kind:     global_buffer
      - .actual_access:  write_only
        .address_space:  global
        .offset:         96
        .size:           8
        .value_kind:     global_buffer
      - .actual_access:  write_only
        .address_space:  global
        .offset:         104
        .size:           8
        .value_kind:     global_buffer
      - .actual_access:  read_only
        .address_space:  global
        .offset:         112
        .size:           8
        .value_kind:     global_buffer
      - .offset:         120
        .size:           4
        .value_kind:     by_value
      - .address_space:  global
        .offset:         128
        .size:           8
        .value_kind:     global_buffer
      - .address_space:  global
        .offset:         136
        .size:           8
        .value_kind:     global_buffer
      - .offset:         144
        .size:           4
        .value_kind:     hidden_block_count_x
      - .offset:         148
        .size:           4
        .value_kind:     hidden_block_count_y
      - .offset:         152
        .size:           4
        .value_kind:     hidden_block_count_z
      - .offset:         156
        .size:           2
        .value_kind:     hidden_group_size_x
      - .offset:         158
        .size:           2
        .value_kind:     hidden_group_size_y
      - .offset:         160
        .size:           2
        .value_kind:     hidden_group_size_z
      - .offset:         162
        .size:           2
        .value_kind:     hidden_remainder_x
      - .offset:         164
        .size:           2
        .value_kind:     hidden_remainder_y
      - .offset:         166
        .size:           2
        .value_kind:     hidden_remainder_z
      - .offset:         184
        .size:           8
        .value_kind:     hidden_global_offset_x
      - .offset:         192
        .size:           8
        .value_kind:     hidden_global_offset_y
      - .offset:         200
        .size:           8
        .value_kind:     hidden_global_offset_z
      - .offset:         208
        .size:           2
        .value_kind:     hidden_grid_dims
    .group_segment_fixed_size: 8192
    .kernarg_segment_align: 8
    .kernarg_segment_size: 400
    .language:       OpenCL C
    .language_version:
      - 2
      - 0
    .max_flat_workgroup_size: 256
    .name:           _Z39paged_attention_ll4mi_QKV_mfma16_kernelIDF16_DF16_LN4vllm18Fp8KVCacheDataTypeE0EDF16_Li16ELi128ELi256ELb0ELi12EEvPKT_PKT0_S7_ifPKiS9_S9_iPKfiiiPfSC_PS2_PT2_iSB_SB_
    .private_segment_fixed_size: 0
    .sgpr_count:     48
    .sgpr_spill_count: 0
    .symbol:         _Z39paged_attention_ll4mi_QKV_mfma16_kernelIDF16_DF16_LN4vllm18Fp8KVCacheDataTypeE0EDF16_Li16ELi128ELi256ELb0ELi12EEvPKT_PKT0_S7_ifPKiS9_S9_iPKfiiiPfSC_PS2_PT2_iSB_SB_.kd
    .uniform_work_group_size: 1
    .uses_dynamic_stack: false
    .vgpr_count:     96
    .vgpr_spill_count: 0
    .wavefront_size: 64
  - .agpr_count:     0
    .args:
      - .actual_access:  read_only
        .address_space:  global
        .offset:         0
        .size:           8
        .value_kind:     global_buffer
      - .actual_access:  read_only
        .address_space:  global
        .offset:         8
        .size:           8
        .value_kind:     global_buffer
      - .actual_access:  read_only
        .address_space:  global
        .offset:         16
        .size:           8
        .value_kind:     global_buffer
      - .offset:         24
        .size:           4
        .value_kind:     by_value
      - .offset:         28
        .size:           4
        .value_kind:     by_value
      - .actual_access:  read_only
        .address_space:  global
        .offset:         32
        .size:           8
        .value_kind:     global_buffer
      - .actual_access:  read_only
        .address_space:  global
        .offset:         40
        .size:           8
        .value_kind:     global_buffer
      - .actual_access:  read_only
        .address_space:  global
        .offset:         48
        .size:           8
        .value_kind:     global_buffer
      - .offset:         56
        .size:           4
        .value_kind:     by_value
      - .actual_access:  read_only
        .address_space:  global
        .offset:         64
        .size:           8
        .value_kind:     global_buffer
      - .offset:         72
        .size:           4
        .value_kind:     by_value
      - .offset:         76
        .size:           4
        .value_kind:     by_value
      - .offset:         80
        .size:           4
        .value_kind:     by_value
      - .actual_access:  write_only
        .address_space:  global
        .offset:         88
        .size:           8
        .value_kind:     global_buffer
      - .actual_access:  write_only
        .address_space:  global
        .offset:         96
        .size:           8
        .value_kind:     global_buffer
      - .actual_access:  write_only
        .address_space:  global
        .offset:         104
        .size:           8
        .value_kind:     global_buffer
      - .actual_access:  read_only
        .address_space:  global
        .offset:         112
        .size:           8
        .value_kind:     global_buffer
      - .offset:         120
        .size:           4
        .value_kind:     by_value
      - .address_space:  global
        .offset:         128
        .size:           8
        .value_kind:     global_buffer
      - .address_space:  global
        .offset:         136
        .size:           8
        .value_kind:     global_buffer
      - .offset:         144
        .size:           4
        .value_kind:     hidden_block_count_x
      - .offset:         148
        .size:           4
        .value_kind:     hidden_block_count_y
      - .offset:         152
        .size:           4
        .value_kind:     hidden_block_count_z
      - .offset:         156
        .size:           2
        .value_kind:     hidden_group_size_x
      - .offset:         158
        .size:           2
        .value_kind:     hidden_group_size_y
      - .offset:         160
        .size:           2
        .value_kind:     hidden_group_size_z
      - .offset:         162
        .size:           2
        .value_kind:     hidden_remainder_x
      - .offset:         164
        .size:           2
        .value_kind:     hidden_remainder_y
      - .offset:         166
        .size:           2
        .value_kind:     hidden_remainder_z
      - .offset:         184
        .size:           8
        .value_kind:     hidden_global_offset_x
      - .offset:         192
        .size:           8
        .value_kind:     hidden_global_offset_y
      - .offset:         200
        .size:           8
        .value_kind:     hidden_global_offset_z
      - .offset:         208
        .size:           2
        .value_kind:     hidden_grid_dims
    .group_segment_fixed_size: 8192
    .kernarg_segment_align: 8
    .kernarg_segment_size: 400
    .language:       OpenCL C
    .language_version:
      - 2
      - 0
    .max_flat_workgroup_size: 256
    .name:           _Z39paged_attention_ll4mi_QKV_mfma16_kernelIDF16_DF16_LN4vllm18Fp8KVCacheDataTypeE0EDF16_Li16ELi128ELi256ELb0ELi13EEvPKT_PKT0_S7_ifPKiS9_S9_iPKfiiiPfSC_PS2_PT2_iSB_SB_
    .private_segment_fixed_size: 0
    .sgpr_count:     48
    .sgpr_spill_count: 0
    .symbol:         _Z39paged_attention_ll4mi_QKV_mfma16_kernelIDF16_DF16_LN4vllm18Fp8KVCacheDataTypeE0EDF16_Li16ELi128ELi256ELb0ELi13EEvPKT_PKT0_S7_ifPKiS9_S9_iPKfiiiPfSC_PS2_PT2_iSB_SB_.kd
    .uniform_work_group_size: 1
    .uses_dynamic_stack: false
    .vgpr_count:     96
    .vgpr_spill_count: 0
    .wavefront_size: 64
  - .agpr_count:     0
    .args:
      - .actual_access:  read_only
        .address_space:  global
        .offset:         0
        .size:           8
        .value_kind:     global_buffer
      - .actual_access:  read_only
        .address_space:  global
        .offset:         8
        .size:           8
        .value_kind:     global_buffer
      - .actual_access:  read_only
        .address_space:  global
        .offset:         16
        .size:           8
        .value_kind:     global_buffer
      - .offset:         24
        .size:           4
        .value_kind:     by_value
      - .offset:         28
        .size:           4
        .value_kind:     by_value
      - .actual_access:  read_only
        .address_space:  global
        .offset:         32
        .size:           8
        .value_kind:     global_buffer
      - .actual_access:  read_only
        .address_space:  global
        .offset:         40
        .size:           8
        .value_kind:     global_buffer
      - .actual_access:  read_only
        .address_space:  global
        .offset:         48
        .size:           8
        .value_kind:     global_buffer
      - .offset:         56
        .size:           4
        .value_kind:     by_value
      - .actual_access:  read_only
        .address_space:  global
        .offset:         64
        .size:           8
        .value_kind:     global_buffer
      - .offset:         72
        .size:           4
        .value_kind:     by_value
      - .offset:         76
        .size:           4
        .value_kind:     by_value
      - .offset:         80
        .size:           4
        .value_kind:     by_value
      - .actual_access:  write_only
        .address_space:  global
        .offset:         88
        .size:           8
        .value_kind:     global_buffer
      - .actual_access:  write_only
        .address_space:  global
        .offset:         96
        .size:           8
        .value_kind:     global_buffer
      - .actual_access:  write_only
        .address_space:  global
        .offset:         104
        .size:           8
        .value_kind:     global_buffer
      - .actual_access:  read_only
        .address_space:  global
        .offset:         112
        .size:           8
        .value_kind:     global_buffer
      - .offset:         120
        .size:           4
        .value_kind:     by_value
      - .address_space:  global
        .offset:         128
        .size:           8
        .value_kind:     global_buffer
      - .address_space:  global
        .offset:         136
        .size:           8
        .value_kind:     global_buffer
      - .offset:         144
        .size:           4
        .value_kind:     hidden_block_count_x
      - .offset:         148
        .size:           4
        .value_kind:     hidden_block_count_y
      - .offset:         152
        .size:           4
        .value_kind:     hidden_block_count_z
      - .offset:         156
        .size:           2
        .value_kind:     hidden_group_size_x
      - .offset:         158
        .size:           2
        .value_kind:     hidden_group_size_y
      - .offset:         160
        .size:           2
        .value_kind:     hidden_group_size_z
      - .offset:         162
        .size:           2
        .value_kind:     hidden_remainder_x
      - .offset:         164
        .size:           2
        .value_kind:     hidden_remainder_y
      - .offset:         166
        .size:           2
        .value_kind:     hidden_remainder_z
      - .offset:         184
        .size:           8
        .value_kind:     hidden_global_offset_x
      - .offset:         192
        .size:           8
        .value_kind:     hidden_global_offset_y
      - .offset:         200
        .size:           8
        .value_kind:     hidden_global_offset_z
      - .offset:         208
        .size:           2
        .value_kind:     hidden_grid_dims
    .group_segment_fixed_size: 8192
    .kernarg_segment_align: 8
    .kernarg_segment_size: 400
    .language:       OpenCL C
    .language_version:
      - 2
      - 0
    .max_flat_workgroup_size: 256
    .name:           _Z39paged_attention_ll4mi_QKV_mfma16_kernelIDF16_DF16_LN4vllm18Fp8KVCacheDataTypeE0EDF16_Li16ELi128ELi256ELb0ELi14EEvPKT_PKT0_S7_ifPKiS9_S9_iPKfiiiPfSC_PS2_PT2_iSB_SB_
    .private_segment_fixed_size: 0
    .sgpr_count:     48
    .sgpr_spill_count: 0
    .symbol:         _Z39paged_attention_ll4mi_QKV_mfma16_kernelIDF16_DF16_LN4vllm18Fp8KVCacheDataTypeE0EDF16_Li16ELi128ELi256ELb0ELi14EEvPKT_PKT0_S7_ifPKiS9_S9_iPKfiiiPfSC_PS2_PT2_iSB_SB_.kd
    .uniform_work_group_size: 1
    .uses_dynamic_stack: false
    .vgpr_count:     96
    .vgpr_spill_count: 0
    .wavefront_size: 64
  - .agpr_count:     0
    .args:
      - .actual_access:  read_only
        .address_space:  global
        .offset:         0
        .size:           8
        .value_kind:     global_buffer
      - .actual_access:  read_only
        .address_space:  global
        .offset:         8
        .size:           8
        .value_kind:     global_buffer
      - .actual_access:  read_only
        .address_space:  global
        .offset:         16
        .size:           8
        .value_kind:     global_buffer
      - .offset:         24
        .size:           4
        .value_kind:     by_value
      - .offset:         28
        .size:           4
        .value_kind:     by_value
      - .actual_access:  read_only
        .address_space:  global
        .offset:         32
        .size:           8
        .value_kind:     global_buffer
      - .actual_access:  read_only
        .address_space:  global
        .offset:         40
        .size:           8
        .value_kind:     global_buffer
      - .actual_access:  read_only
        .address_space:  global
        .offset:         48
        .size:           8
        .value_kind:     global_buffer
      - .offset:         56
        .size:           4
        .value_kind:     by_value
      - .actual_access:  read_only
        .address_space:  global
        .offset:         64
        .size:           8
        .value_kind:     global_buffer
      - .offset:         72
        .size:           4
        .value_kind:     by_value
      - .offset:         76
        .size:           4
        .value_kind:     by_value
      - .offset:         80
        .size:           4
        .value_kind:     by_value
      - .actual_access:  write_only
        .address_space:  global
        .offset:         88
        .size:           8
        .value_kind:     global_buffer
      - .actual_access:  write_only
        .address_space:  global
        .offset:         96
        .size:           8
        .value_kind:     global_buffer
      - .actual_access:  write_only
        .address_space:  global
        .offset:         104
        .size:           8
        .value_kind:     global_buffer
      - .actual_access:  read_only
        .address_space:  global
        .offset:         112
        .size:           8
        .value_kind:     global_buffer
      - .offset:         120
        .size:           4
        .value_kind:     by_value
      - .address_space:  global
        .offset:         128
        .size:           8
        .value_kind:     global_buffer
      - .address_space:  global
        .offset:         136
        .size:           8
        .value_kind:     global_buffer
      - .offset:         144
        .size:           4
        .value_kind:     hidden_block_count_x
      - .offset:         148
        .size:           4
        .value_kind:     hidden_block_count_y
      - .offset:         152
        .size:           4
        .value_kind:     hidden_block_count_z
      - .offset:         156
        .size:           2
        .value_kind:     hidden_group_size_x
      - .offset:         158
        .size:           2
        .value_kind:     hidden_group_size_y
      - .offset:         160
        .size:           2
        .value_kind:     hidden_group_size_z
      - .offset:         162
        .size:           2
        .value_kind:     hidden_remainder_x
      - .offset:         164
        .size:           2
        .value_kind:     hidden_remainder_y
      - .offset:         166
        .size:           2
        .value_kind:     hidden_remainder_z
      - .offset:         184
        .size:           8
        .value_kind:     hidden_global_offset_x
      - .offset:         192
        .size:           8
        .value_kind:     hidden_global_offset_y
      - .offset:         200
        .size:           8
        .value_kind:     hidden_global_offset_z
      - .offset:         208
        .size:           2
        .value_kind:     hidden_grid_dims
    .group_segment_fixed_size: 8192
    .kernarg_segment_align: 8
    .kernarg_segment_size: 400
    .language:       OpenCL C
    .language_version:
      - 2
      - 0
    .max_flat_workgroup_size: 256
    .name:           _Z39paged_attention_ll4mi_QKV_mfma16_kernelIDF16_DF16_LN4vllm18Fp8KVCacheDataTypeE0EDF16_Li16ELi128ELi256ELb0ELi15EEvPKT_PKT0_S7_ifPKiS9_S9_iPKfiiiPfSC_PS2_PT2_iSB_SB_
    .private_segment_fixed_size: 0
    .sgpr_count:     48
    .sgpr_spill_count: 0
    .symbol:         _Z39paged_attention_ll4mi_QKV_mfma16_kernelIDF16_DF16_LN4vllm18Fp8KVCacheDataTypeE0EDF16_Li16ELi128ELi256ELb0ELi15EEvPKT_PKT0_S7_ifPKiS9_S9_iPKfiiiPfSC_PS2_PT2_iSB_SB_.kd
    .uniform_work_group_size: 1
    .uses_dynamic_stack: false
    .vgpr_count:     96
    .vgpr_spill_count: 0
    .wavefront_size: 64
  - .agpr_count:     0
    .args:
      - .actual_access:  read_only
        .address_space:  global
        .offset:         0
        .size:           8
        .value_kind:     global_buffer
      - .actual_access:  read_only
        .address_space:  global
        .offset:         8
        .size:           8
        .value_kind:     global_buffer
      - .actual_access:  read_only
        .address_space:  global
        .offset:         16
        .size:           8
        .value_kind:     global_buffer
      - .offset:         24
        .size:           4
        .value_kind:     by_value
      - .offset:         28
        .size:           4
        .value_kind:     by_value
      - .actual_access:  read_only
        .address_space:  global
        .offset:         32
        .size:           8
        .value_kind:     global_buffer
      - .actual_access:  read_only
        .address_space:  global
        .offset:         40
        .size:           8
        .value_kind:     global_buffer
      - .actual_access:  read_only
        .address_space:  global
        .offset:         48
        .size:           8
        .value_kind:     global_buffer
      - .offset:         56
        .size:           4
        .value_kind:     by_value
      - .actual_access:  read_only
        .address_space:  global
        .offset:         64
        .size:           8
        .value_kind:     global_buffer
      - .offset:         72
        .size:           4
        .value_kind:     by_value
      - .offset:         76
        .size:           4
        .value_kind:     by_value
      - .offset:         80
        .size:           4
        .value_kind:     by_value
      - .actual_access:  write_only
        .address_space:  global
        .offset:         88
        .size:           8
        .value_kind:     global_buffer
      - .actual_access:  write_only
        .address_space:  global
        .offset:         96
        .size:           8
        .value_kind:     global_buffer
      - .actual_access:  write_only
        .address_space:  global
        .offset:         104
        .size:           8
        .value_kind:     global_buffer
      - .actual_access:  read_only
        .address_space:  global
        .offset:         112
        .size:           8
        .value_kind:     global_buffer
      - .offset:         120
        .size:           4
        .value_kind:     by_value
      - .address_space:  global
        .offset:         128
        .size:           8
        .value_kind:     global_buffer
      - .address_space:  global
        .offset:         136
        .size:           8
        .value_kind:     global_buffer
      - .offset:         144
        .size:           4
        .value_kind:     hidden_block_count_x
      - .offset:         148
        .size:           4
        .value_kind:     hidden_block_count_y
      - .offset:         152
        .size:           4
        .value_kind:     hidden_block_count_z
      - .offset:         156
        .size:           2
        .value_kind:     hidden_group_size_x
      - .offset:         158
        .size:           2
        .value_kind:     hidden_group_size_y
      - .offset:         160
        .size:           2
        .value_kind:     hidden_group_size_z
      - .offset:         162
        .size:           2
        .value_kind:     hidden_remainder_x
      - .offset:         164
        .size:           2
        .value_kind:     hidden_remainder_y
      - .offset:         166
        .size:           2
        .value_kind:     hidden_remainder_z
      - .offset:         184
        .size:           8
        .value_kind:     hidden_global_offset_x
      - .offset:         192
        .size:           8
        .value_kind:     hidden_global_offset_y
      - .offset:         200
        .size:           8
        .value_kind:     hidden_global_offset_z
      - .offset:         208
        .size:           2
        .value_kind:     hidden_grid_dims
    .group_segment_fixed_size: 8192
    .kernarg_segment_align: 8
    .kernarg_segment_size: 400
    .language:       OpenCL C
    .language_version:
      - 2
      - 0
    .max_flat_workgroup_size: 256
    .name:           _Z39paged_attention_ll4mi_QKV_mfma16_kernelIDF16_DF16_LN4vllm18Fp8KVCacheDataTypeE0EDF16_Li16ELi128ELi256ELb0ELi16EEvPKT_PKT0_S7_ifPKiS9_S9_iPKfiiiPfSC_PS2_PT2_iSB_SB_
    .private_segment_fixed_size: 8
    .sgpr_count:     47
    .sgpr_spill_count: 0
    .symbol:         _Z39paged_attention_ll4mi_QKV_mfma16_kernelIDF16_DF16_LN4vllm18Fp8KVCacheDataTypeE0EDF16_Li16ELi128ELi256ELb0ELi16EEvPKT_PKT0_S7_ifPKiS9_S9_iPKfiiiPfSC_PS2_PT2_iSB_SB_.kd
    .uniform_work_group_size: 1
    .uses_dynamic_stack: false
    .vgpr_count:     96
    .vgpr_spill_count: 1
    .wavefront_size: 64
  - .agpr_count:     0
    .args:
      - .actual_access:  read_only
        .address_space:  global
        .offset:         0
        .size:           8
        .value_kind:     global_buffer
      - .actual_access:  read_only
        .address_space:  global
        .offset:         8
        .size:           8
        .value_kind:     global_buffer
      - .actual_access:  read_only
        .address_space:  global
        .offset:         16
        .size:           8
        .value_kind:     global_buffer
      - .offset:         24
        .size:           4
        .value_kind:     by_value
      - .offset:         28
        .size:           4
        .value_kind:     by_value
      - .actual_access:  read_only
        .address_space:  global
        .offset:         32
        .size:           8
        .value_kind:     global_buffer
      - .actual_access:  read_only
        .address_space:  global
        .offset:         40
        .size:           8
        .value_kind:     global_buffer
      - .actual_access:  read_only
        .address_space:  global
        .offset:         48
        .size:           8
        .value_kind:     global_buffer
      - .offset:         56
        .size:           4
        .value_kind:     by_value
      - .actual_access:  read_only
        .address_space:  global
        .offset:         64
        .size:           8
        .value_kind:     global_buffer
      - .offset:         72
        .size:           4
        .value_kind:     by_value
      - .offset:         76
        .size:           4
        .value_kind:     by_value
      - .offset:         80
        .size:           4
        .value_kind:     by_value
      - .actual_access:  write_only
        .address_space:  global
        .offset:         88
        .size:           8
        .value_kind:     global_buffer
      - .actual_access:  write_only
        .address_space:  global
        .offset:         96
        .size:           8
        .value_kind:     global_buffer
      - .actual_access:  write_only
        .address_space:  global
        .offset:         104
        .size:           8
        .value_kind:     global_buffer
      - .actual_access:  read_only
        .address_space:  global
        .offset:         112
        .size:           8
        .value_kind:     global_buffer
      - .offset:         120
        .size:           4
        .value_kind:     by_value
      - .address_space:  global
        .offset:         128
        .size:           8
        .value_kind:     global_buffer
      - .address_space:  global
        .offset:         136
        .size:           8
        .value_kind:     global_buffer
      - .offset:         144
        .size:           4
        .value_kind:     hidden_block_count_x
      - .offset:         148
        .size:           4
        .value_kind:     hidden_block_count_y
      - .offset:         152
        .size:           4
        .value_kind:     hidden_block_count_z
      - .offset:         156
        .size:           2
        .value_kind:     hidden_group_size_x
      - .offset:         158
        .size:           2
        .value_kind:     hidden_group_size_y
      - .offset:         160
        .size:           2
        .value_kind:     hidden_group_size_z
      - .offset:         162
        .size:           2
        .value_kind:     hidden_remainder_x
      - .offset:         164
        .size:           2
        .value_kind:     hidden_remainder_y
      - .offset:         166
        .size:           2
        .value_kind:     hidden_remainder_z
      - .offset:         184
        .size:           8
        .value_kind:     hidden_global_offset_x
      - .offset:         192
        .size:           8
        .value_kind:     hidden_global_offset_y
      - .offset:         200
        .size:           8
        .value_kind:     hidden_global_offset_z
      - .offset:         208
        .size:           2
        .value_kind:     hidden_grid_dims
    .group_segment_fixed_size: 8192
    .kernarg_segment_align: 8
    .kernarg_segment_size: 400
    .language:       OpenCL C
    .language_version:
      - 2
      - 0
    .max_flat_workgroup_size: 256
    .name:           _Z39paged_attention_ll4mi_QKV_mfma16_kernelIDF16_DF16_LN4vllm18Fp8KVCacheDataTypeE0EDF16_Li16ELi128ELi256ELb0ELi1EEvPKT_PKT0_S7_ifPKiS9_S9_iPKfiiiPfSC_PS2_PT2_iSB_SB_
    .private_segment_fixed_size: 8
    .sgpr_count:     46
    .sgpr_spill_count: 0
    .symbol:         _Z39paged_attention_ll4mi_QKV_mfma16_kernelIDF16_DF16_LN4vllm18Fp8KVCacheDataTypeE0EDF16_Li16ELi128ELi256ELb0ELi1EEvPKT_PKT0_S7_ifPKiS9_S9_iPKfiiiPfSC_PS2_PT2_iSB_SB_.kd
    .uniform_work_group_size: 1
    .uses_dynamic_stack: false
    .vgpr_count:     96
    .vgpr_spill_count: 1
    .wavefront_size: 64
  - .agpr_count:     0
    .args:
      - .actual_access:  read_only
        .address_space:  global
        .offset:         0
        .size:           8
        .value_kind:     global_buffer
      - .actual_access:  read_only
        .address_space:  global
        .offset:         8
        .size:           8
        .value_kind:     global_buffer
      - .actual_access:  read_only
        .address_space:  global
        .offset:         16
        .size:           8
        .value_kind:     global_buffer
      - .offset:         24
        .size:           4
        .value_kind:     by_value
      - .offset:         28
        .size:           4
        .value_kind:     by_value
      - .actual_access:  read_only
        .address_space:  global
        .offset:         32
        .size:           8
        .value_kind:     global_buffer
      - .actual_access:  read_only
        .address_space:  global
        .offset:         40
        .size:           8
        .value_kind:     global_buffer
      - .actual_access:  read_only
        .address_space:  global
        .offset:         48
        .size:           8
        .value_kind:     global_buffer
      - .offset:         56
        .size:           4
        .value_kind:     by_value
      - .actual_access:  read_only
        .address_space:  global
        .offset:         64
        .size:           8
        .value_kind:     global_buffer
      - .offset:         72
        .size:           4
        .value_kind:     by_value
      - .offset:         76
        .size:           4
        .value_kind:     by_value
      - .offset:         80
        .size:           4
        .value_kind:     by_value
      - .actual_access:  write_only
        .address_space:  global
        .offset:         88
        .size:           8
        .value_kind:     global_buffer
      - .actual_access:  write_only
        .address_space:  global
        .offset:         96
        .size:           8
        .value_kind:     global_buffer
      - .actual_access:  write_only
        .address_space:  global
        .offset:         104
        .size:           8
        .value_kind:     global_buffer
      - .actual_access:  read_only
        .address_space:  global
        .offset:         112
        .size:           8
        .value_kind:     global_buffer
      - .offset:         120
        .size:           4
        .value_kind:     by_value
      - .address_space:  global
        .offset:         128
        .size:           8
        .value_kind:     global_buffer
      - .address_space:  global
        .offset:         136
        .size:           8
        .value_kind:     global_buffer
      - .offset:         144
        .size:           4
        .value_kind:     hidden_block_count_x
      - .offset:         148
        .size:           4
        .value_kind:     hidden_block_count_y
      - .offset:         152
        .size:           4
        .value_kind:     hidden_block_count_z
      - .offset:         156
        .size:           2
        .value_kind:     hidden_group_size_x
      - .offset:         158
        .size:           2
        .value_kind:     hidden_group_size_y
      - .offset:         160
        .size:           2
        .value_kind:     hidden_group_size_z
      - .offset:         162
        .size:           2
        .value_kind:     hidden_remainder_x
      - .offset:         164
        .size:           2
        .value_kind:     hidden_remainder_y
      - .offset:         166
        .size:           2
        .value_kind:     hidden_remainder_z
      - .offset:         184
        .size:           8
        .value_kind:     hidden_global_offset_x
      - .offset:         192
        .size:           8
        .value_kind:     hidden_global_offset_y
      - .offset:         200
        .size:           8
        .value_kind:     hidden_global_offset_z
      - .offset:         208
        .size:           2
        .value_kind:     hidden_grid_dims
    .group_segment_fixed_size: 8192
    .kernarg_segment_align: 8
    .kernarg_segment_size: 400
    .language:       OpenCL C
    .language_version:
      - 2
      - 0
    .max_flat_workgroup_size: 256
    .name:           _Z39paged_attention_ll4mi_QKV_mfma16_kernelIDF16_DF16_LN4vllm18Fp8KVCacheDataTypeE0EDF16_Li16ELi128ELi256ELb0ELi2EEvPKT_PKT0_S7_ifPKiS9_S9_iPKfiiiPfSC_PS2_PT2_iSB_SB_
    .private_segment_fixed_size: 0
    .sgpr_count:     47
    .sgpr_spill_count: 0
    .symbol:         _Z39paged_attention_ll4mi_QKV_mfma16_kernelIDF16_DF16_LN4vllm18Fp8KVCacheDataTypeE0EDF16_Li16ELi128ELi256ELb0ELi2EEvPKT_PKT0_S7_ifPKiS9_S9_iPKfiiiPfSC_PS2_PT2_iSB_SB_.kd
    .uniform_work_group_size: 1
    .uses_dynamic_stack: false
    .vgpr_count:     96
    .vgpr_spill_count: 0
    .wavefront_size: 64
  - .agpr_count:     0
    .args:
      - .actual_access:  read_only
        .address_space:  global
        .offset:         0
        .size:           8
        .value_kind:     global_buffer
      - .actual_access:  read_only
        .address_space:  global
        .offset:         8
        .size:           8
        .value_kind:     global_buffer
      - .actual_access:  read_only
        .address_space:  global
        .offset:         16
        .size:           8
        .value_kind:     global_buffer
      - .offset:         24
        .size:           4
        .value_kind:     by_value
      - .offset:         28
        .size:           4
        .value_kind:     by_value
      - .actual_access:  read_only
        .address_space:  global
        .offset:         32
        .size:           8
        .value_kind:     global_buffer
      - .actual_access:  read_only
        .address_space:  global
        .offset:         40
        .size:           8
        .value_kind:     global_buffer
      - .actual_access:  read_only
        .address_space:  global
        .offset:         48
        .size:           8
        .value_kind:     global_buffer
      - .offset:         56
        .size:           4
        .value_kind:     by_value
      - .actual_access:  read_only
        .address_space:  global
        .offset:         64
        .size:           8
        .value_kind:     global_buffer
      - .offset:         72
        .size:           4
        .value_kind:     by_value
      - .offset:         76
        .size:           4
        .value_kind:     by_value
      - .offset:         80
        .size:           4
        .value_kind:     by_value
      - .actual_access:  write_only
        .address_space:  global
        .offset:         88
        .size:           8
        .value_kind:     global_buffer
      - .actual_access:  write_only
        .address_space:  global
        .offset:         96
        .size:           8
        .value_kind:     global_buffer
      - .actual_access:  write_only
        .address_space:  global
        .offset:         104
        .size:           8
        .value_kind:     global_buffer
      - .actual_access:  read_only
        .address_space:  global
        .offset:         112
        .size:           8
        .value_kind:     global_buffer
      - .offset:         120
        .size:           4
        .value_kind:     by_value
      - .address_space:  global
        .offset:         128
        .size:           8
        .value_kind:     global_buffer
      - .address_space:  global
        .offset:         136
        .size:           8
        .value_kind:     global_buffer
      - .offset:         144
        .size:           4
        .value_kind:     hidden_block_count_x
      - .offset:         148
        .size:           4
        .value_kind:     hidden_block_count_y
      - .offset:         152
        .size:           4
        .value_kind:     hidden_block_count_z
      - .offset:         156
        .size:           2
        .value_kind:     hidden_group_size_x
      - .offset:         158
        .size:           2
        .value_kind:     hidden_group_size_y
      - .offset:         160
        .size:           2
        .value_kind:     hidden_group_size_z
      - .offset:         162
        .size:           2
        .value_kind:     hidden_remainder_x
      - .offset:         164
        .size:           2
        .value_kind:     hidden_remainder_y
      - .offset:         166
        .size:           2
        .value_kind:     hidden_remainder_z
      - .offset:         184
        .size:           8
        .value_kind:     hidden_global_offset_x
      - .offset:         192
        .size:           8
        .value_kind:     hidden_global_offset_y
      - .offset:         200
        .size:           8
        .value_kind:     hidden_global_offset_z
      - .offset:         208
        .size:           2
        .value_kind:     hidden_grid_dims
    .group_segment_fixed_size: 8192
    .kernarg_segment_align: 8
    .kernarg_segment_size: 400
    .language:       OpenCL C
    .language_version:
      - 2
      - 0
    .max_flat_workgroup_size: 256
    .name:           _Z39paged_attention_ll4mi_QKV_mfma16_kernelIDF16_DF16_LN4vllm18Fp8KVCacheDataTypeE0EDF16_Li16ELi128ELi256ELb0ELi3EEvPKT_PKT0_S7_ifPKiS9_S9_iPKfiiiPfSC_PS2_PT2_iSB_SB_
    .private_segment_fixed_size: 16
    .sgpr_count:     48
    .sgpr_spill_count: 0
    .symbol:         _Z39paged_attention_ll4mi_QKV_mfma16_kernelIDF16_DF16_LN4vllm18Fp8KVCacheDataTypeE0EDF16_Li16ELi128ELi256ELb0ELi3EEvPKT_PKT0_S7_ifPKiS9_S9_iPKfiiiPfSC_PS2_PT2_iSB_SB_.kd
    .uniform_work_group_size: 1
    .uses_dynamic_stack: false
    .vgpr_count:     96
    .vgpr_spill_count: 5
    .wavefront_size: 64
  - .agpr_count:     0
    .args:
      - .actual_access:  read_only
        .address_space:  global
        .offset:         0
        .size:           8
        .value_kind:     global_buffer
      - .actual_access:  read_only
        .address_space:  global
        .offset:         8
        .size:           8
        .value_kind:     global_buffer
      - .actual_access:  read_only
        .address_space:  global
        .offset:         16
        .size:           8
        .value_kind:     global_buffer
      - .offset:         24
        .size:           4
        .value_kind:     by_value
      - .offset:         28
        .size:           4
        .value_kind:     by_value
      - .actual_access:  read_only
        .address_space:  global
        .offset:         32
        .size:           8
        .value_kind:     global_buffer
      - .actual_access:  read_only
        .address_space:  global
        .offset:         40
        .size:           8
        .value_kind:     global_buffer
      - .actual_access:  read_only
        .address_space:  global
        .offset:         48
        .size:           8
        .value_kind:     global_buffer
      - .offset:         56
        .size:           4
        .value_kind:     by_value
      - .actual_access:  read_only
        .address_space:  global
        .offset:         64
        .size:           8
        .value_kind:     global_buffer
      - .offset:         72
        .size:           4
        .value_kind:     by_value
      - .offset:         76
        .size:           4
        .value_kind:     by_value
      - .offset:         80
        .size:           4
        .value_kind:     by_value
      - .actual_access:  write_only
        .address_space:  global
        .offset:         88
        .size:           8
        .value_kind:     global_buffer
      - .actual_access:  write_only
        .address_space:  global
        .offset:         96
        .size:           8
        .value_kind:     global_buffer
      - .actual_access:  write_only
        .address_space:  global
        .offset:         104
        .size:           8
        .value_kind:     global_buffer
      - .actual_access:  read_only
        .address_space:  global
        .offset:         112
        .size:           8
        .value_kind:     global_buffer
      - .offset:         120
        .size:           4
        .value_kind:     by_value
      - .address_space:  global
        .offset:         128
        .size:           8
        .value_kind:     global_buffer
      - .address_space:  global
        .offset:         136
        .size:           8
        .value_kind:     global_buffer
      - .offset:         144
        .size:           4
        .value_kind:     hidden_block_count_x
      - .offset:         148
        .size:           4
        .value_kind:     hidden_block_count_y
      - .offset:         152
        .size:           4
        .value_kind:     hidden_block_count_z
      - .offset:         156
        .size:           2
        .value_kind:     hidden_group_size_x
      - .offset:         158
        .size:           2
        .value_kind:     hidden_group_size_y
      - .offset:         160
        .size:           2
        .value_kind:     hidden_group_size_z
      - .offset:         162
        .size:           2
        .value_kind:     hidden_remainder_x
      - .offset:         164
        .size:           2
        .value_kind:     hidden_remainder_y
      - .offset:         166
        .size:           2
        .value_kind:     hidden_remainder_z
      - .offset:         184
        .size:           8
        .value_kind:     hidden_global_offset_x
      - .offset:         192
        .size:           8
        .value_kind:     hidden_global_offset_y
      - .offset:         200
        .size:           8
        .value_kind:     hidden_global_offset_z
      - .offset:         208
        .size:           2
        .value_kind:     hidden_grid_dims
    .group_segment_fixed_size: 8192
    .kernarg_segment_align: 8
    .kernarg_segment_size: 400
    .language:       OpenCL C
    .language_version:
      - 2
      - 0
    .max_flat_workgroup_size: 256
    .name:           _Z39paged_attention_ll4mi_QKV_mfma16_kernelIDF16_DF16_LN4vllm18Fp8KVCacheDataTypeE0EDF16_Li16ELi128ELi256ELb0ELi4EEvPKT_PKT0_S7_ifPKiS9_S9_iPKfiiiPfSC_PS2_PT2_iSB_SB_
    .private_segment_fixed_size: 20
    .sgpr_count:     49
    .sgpr_spill_count: 0
    .symbol:         _Z39paged_attention_ll4mi_QKV_mfma16_kernelIDF16_DF16_LN4vllm18Fp8KVCacheDataTypeE0EDF16_Li16ELi128ELi256ELb0ELi4EEvPKT_PKT0_S7_ifPKiS9_S9_iPKfiiiPfSC_PS2_PT2_iSB_SB_.kd
    .uniform_work_group_size: 1
    .uses_dynamic_stack: false
    .vgpr_count:     96
    .vgpr_spill_count: 6
    .wavefront_size: 64
  - .agpr_count:     8
    .args:
      - .actual_access:  read_only
        .address_space:  global
        .offset:         0
        .size:           8
        .value_kind:     global_buffer
      - .actual_access:  read_only
        .address_space:  global
        .offset:         8
        .size:           8
        .value_kind:     global_buffer
      - .actual_access:  read_only
        .address_space:  global
        .offset:         16
        .size:           8
        .value_kind:     global_buffer
      - .offset:         24
        .size:           4
        .value_kind:     by_value
      - .offset:         28
        .size:           4
        .value_kind:     by_value
      - .actual_access:  read_only
        .address_space:  global
        .offset:         32
        .size:           8
        .value_kind:     global_buffer
      - .actual_access:  read_only
        .address_space:  global
        .offset:         40
        .size:           8
        .value_kind:     global_buffer
      - .actual_access:  read_only
        .address_space:  global
        .offset:         48
        .size:           8
        .value_kind:     global_buffer
      - .offset:         56
        .size:           4
        .value_kind:     by_value
      - .actual_access:  read_only
        .address_space:  global
        .offset:         64
        .size:           8
        .value_kind:     global_buffer
      - .offset:         72
        .size:           4
        .value_kind:     by_value
      - .offset:         76
        .size:           4
        .value_kind:     by_value
      - .offset:         80
        .size:           4
        .value_kind:     by_value
      - .actual_access:  write_only
        .address_space:  global
        .offset:         88
        .size:           8
        .value_kind:     global_buffer
      - .actual_access:  write_only
        .address_space:  global
        .offset:         96
        .size:           8
        .value_kind:     global_buffer
      - .actual_access:  write_only
        .address_space:  global
        .offset:         104
        .size:           8
        .value_kind:     global_buffer
      - .actual_access:  read_only
        .address_space:  global
        .offset:         112
        .size:           8
        .value_kind:     global_buffer
      - .offset:         120
        .size:           4
        .value_kind:     by_value
      - .address_space:  global
        .offset:         128
        .size:           8
        .value_kind:     global_buffer
      - .address_space:  global
        .offset:         136
        .size:           8
        .value_kind:     global_buffer
      - .offset:         144
        .size:           4
        .value_kind:     hidden_block_count_x
      - .offset:         148
        .size:           4
        .value_kind:     hidden_block_count_y
      - .offset:         152
        .size:           4
        .value_kind:     hidden_block_count_z
      - .offset:         156
        .size:           2
        .value_kind:     hidden_group_size_x
      - .offset:         158
        .size:           2
        .value_kind:     hidden_group_size_y
      - .offset:         160
        .size:           2
        .value_kind:     hidden_group_size_z
      - .offset:         162
        .size:           2
        .value_kind:     hidden_remainder_x
      - .offset:         164
        .size:           2
        .value_kind:     hidden_remainder_y
      - .offset:         166
        .size:           2
        .value_kind:     hidden_remainder_z
      - .offset:         184
        .size:           8
        .value_kind:     hidden_global_offset_x
      - .offset:         192
        .size:           8
        .value_kind:     hidden_global_offset_y
      - .offset:         200
        .size:           8
        .value_kind:     hidden_global_offset_z
      - .offset:         208
        .size:           2
        .value_kind:     hidden_grid_dims
    .group_segment_fixed_size: 5280
    .kernarg_segment_align: 8
    .kernarg_segment_size: 400
    .language:       OpenCL C
    .language_version:
      - 2
      - 0
    .max_flat_workgroup_size: 256
    .name:           _Z38paged_attention_ll4mi_QKV_mfma4_kernelIDF16_DF16_LN4vllm18Fp8KVCacheDataTypeE0EhLi32ELi128ELi256ELb1ELi1EEvPKT_PKT0_S7_ifPKiS9_S9_iPKfiiiPfSC_PS2_PT2_iSB_SB_
    .private_segment_fixed_size: 0
    .sgpr_count:     44
    .sgpr_spill_count: 0
    .symbol:         _Z38paged_attention_ll4mi_QKV_mfma4_kernelIDF16_DF16_LN4vllm18Fp8KVCacheDataTypeE0EhLi32ELi128ELi256ELb1ELi1EEvPKT_PKT0_S7_ifPKiS9_S9_iPKfiiiPfSC_PS2_PT2_iSB_SB_.kd
    .uniform_work_group_size: 1
    .uses_dynamic_stack: false
    .vgpr_count:     96
    .vgpr_spill_count: 0
    .wavefront_size: 64
  - .agpr_count:     8
    .args:
      - .actual_access:  read_only
        .address_space:  global
        .offset:         0
        .size:           8
        .value_kind:     global_buffer
      - .actual_access:  read_only
        .address_space:  global
        .offset:         8
        .size:           8
        .value_kind:     global_buffer
      - .actual_access:  read_only
        .address_space:  global
        .offset:         16
        .size:           8
        .value_kind:     global_buffer
      - .offset:         24
        .size:           4
        .value_kind:     by_value
      - .offset:         28
        .size:           4
        .value_kind:     by_value
      - .actual_access:  read_only
        .address_space:  global
        .offset:         32
        .size:           8
        .value_kind:     global_buffer
      - .actual_access:  read_only
        .address_space:  global
        .offset:         40
        .size:           8
        .value_kind:     global_buffer
      - .actual_access:  read_only
        .address_space:  global
        .offset:         48
        .size:           8
        .value_kind:     global_buffer
      - .offset:         56
        .size:           4
        .value_kind:     by_value
      - .actual_access:  read_only
        .address_space:  global
        .offset:         64
        .size:           8
        .value_kind:     global_buffer
      - .offset:         72
        .size:           4
        .value_kind:     by_value
      - .offset:         76
        .size:           4
        .value_kind:     by_value
      - .offset:         80
        .size:           4
        .value_kind:     by_value
      - .actual_access:  write_only
        .address_space:  global
        .offset:         88
        .size:           8
        .value_kind:     global_buffer
      - .actual_access:  write_only
        .address_space:  global
        .offset:         96
        .size:           8
        .value_kind:     global_buffer
      - .actual_access:  write_only
        .address_space:  global
        .offset:         104
        .size:           8
        .value_kind:     global_buffer
      - .actual_access:  read_only
        .address_space:  global
        .offset:         112
        .size:           8
        .value_kind:     global_buffer
      - .offset:         120
        .size:           4
        .value_kind:     by_value
      - .address_space:  global
        .offset:         128
        .size:           8
        .value_kind:     global_buffer
      - .address_space:  global
        .offset:         136
        .size:           8
        .value_kind:     global_buffer
      - .offset:         144
        .size:           4
        .value_kind:     hidden_block_count_x
      - .offset:         148
        .size:           4
        .value_kind:     hidden_block_count_y
      - .offset:         152
        .size:           4
        .value_kind:     hidden_block_count_z
      - .offset:         156
        .size:           2
        .value_kind:     hidden_group_size_x
      - .offset:         158
        .size:           2
        .value_kind:     hidden_group_size_y
      - .offset:         160
        .size:           2
        .value_kind:     hidden_group_size_z
      - .offset:         162
        .size:           2
        .value_kind:     hidden_remainder_x
      - .offset:         164
        .size:           2
        .value_kind:     hidden_remainder_y
      - .offset:         166
        .size:           2
        .value_kind:     hidden_remainder_z
      - .offset:         184
        .size:           8
        .value_kind:     hidden_global_offset_x
      - .offset:         192
        .size:           8
        .value_kind:     hidden_global_offset_y
      - .offset:         200
        .size:           8
        .value_kind:     hidden_global_offset_z
      - .offset:         208
        .size:           2
        .value_kind:     hidden_grid_dims
    .group_segment_fixed_size: 5280
    .kernarg_segment_align: 8
    .kernarg_segment_size: 400
    .language:       OpenCL C
    .language_version:
      - 2
      - 0
    .max_flat_workgroup_size: 256
    .name:           _Z38paged_attention_ll4mi_QKV_mfma4_kernelIDF16_DF16_LN4vllm18Fp8KVCacheDataTypeE0EhLi32ELi128ELi256ELb1ELi2EEvPKT_PKT0_S7_ifPKiS9_S9_iPKfiiiPfSC_PS2_PT2_iSB_SB_
    .private_segment_fixed_size: 0
    .sgpr_count:     46
    .sgpr_spill_count: 0
    .symbol:         _Z38paged_attention_ll4mi_QKV_mfma4_kernelIDF16_DF16_LN4vllm18Fp8KVCacheDataTypeE0EhLi32ELi128ELi256ELb1ELi2EEvPKT_PKT0_S7_ifPKiS9_S9_iPKfiiiPfSC_PS2_PT2_iSB_SB_.kd
    .uniform_work_group_size: 1
    .uses_dynamic_stack: false
    .vgpr_count:     96
    .vgpr_spill_count: 0
    .wavefront_size: 64
  - .agpr_count:     8
    .args:
      - .actual_access:  read_only
        .address_space:  global
        .offset:         0
        .size:           8
        .value_kind:     global_buffer
      - .actual_access:  read_only
        .address_space:  global
        .offset:         8
        .size:           8
        .value_kind:     global_buffer
      - .actual_access:  read_only
        .address_space:  global
        .offset:         16
        .size:           8
        .value_kind:     global_buffer
      - .offset:         24
        .size:           4
        .value_kind:     by_value
      - .offset:         28
        .size:           4
        .value_kind:     by_value
      - .actual_access:  read_only
        .address_space:  global
        .offset:         32
        .size:           8
        .value_kind:     global_buffer
      - .actual_access:  read_only
        .address_space:  global
        .offset:         40
        .size:           8
        .value_kind:     global_buffer
      - .actual_access:  read_only
        .address_space:  global
        .offset:         48
        .size:           8
        .value_kind:     global_buffer
      - .offset:         56
        .size:           4
        .value_kind:     by_value
      - .actual_access:  read_only
        .address_space:  global
        .offset:         64
        .size:           8
        .value_kind:     global_buffer
      - .offset:         72
        .size:           4
        .value_kind:     by_value
      - .offset:         76
        .size:           4
        .value_kind:     by_value
      - .offset:         80
        .size:           4
        .value_kind:     by_value
      - .actual_access:  write_only
        .address_space:  global
        .offset:         88
        .size:           8
        .value_kind:     global_buffer
      - .actual_access:  write_only
        .address_space:  global
        .offset:         96
        .size:           8
        .value_kind:     global_buffer
      - .actual_access:  write_only
        .address_space:  global
        .offset:         104
        .size:           8
        .value_kind:     global_buffer
      - .actual_access:  read_only
        .address_space:  global
        .offset:         112
        .size:           8
        .value_kind:     global_buffer
      - .offset:         120
        .size:           4
        .value_kind:     by_value
      - .address_space:  global
        .offset:         128
        .size:           8
        .value_kind:     global_buffer
      - .address_space:  global
        .offset:         136
        .size:           8
        .value_kind:     global_buffer
      - .offset:         144
        .size:           4
        .value_kind:     hidden_block_count_x
      - .offset:         148
        .size:           4
        .value_kind:     hidden_block_count_y
      - .offset:         152
        .size:           4
        .value_kind:     hidden_block_count_z
      - .offset:         156
        .size:           2
        .value_kind:     hidden_group_size_x
      - .offset:         158
        .size:           2
        .value_kind:     hidden_group_size_y
      - .offset:         160
        .size:           2
        .value_kind:     hidden_group_size_z
      - .offset:         162
        .size:           2
        .value_kind:     hidden_remainder_x
      - .offset:         164
        .size:           2
        .value_kind:     hidden_remainder_y
      - .offset:         166
        .size:           2
        .value_kind:     hidden_remainder_z
      - .offset:         184
        .size:           8
        .value_kind:     hidden_global_offset_x
      - .offset:         192
        .size:           8
        .value_kind:     hidden_global_offset_y
      - .offset:         200
        .size:           8
        .value_kind:     hidden_global_offset_z
      - .offset:         208
        .size:           2
        .value_kind:     hidden_grid_dims
    .group_segment_fixed_size: 5280
    .kernarg_segment_align: 8
    .kernarg_segment_size: 400
    .language:       OpenCL C
    .language_version:
      - 2
      - 0
    .max_flat_workgroup_size: 256
    .name:           _Z38paged_attention_ll4mi_QKV_mfma4_kernelIDF16_DF16_LN4vllm18Fp8KVCacheDataTypeE0EhLi32ELi128ELi256ELb1ELi3EEvPKT_PKT0_S7_ifPKiS9_S9_iPKfiiiPfSC_PS2_PT2_iSB_SB_
    .private_segment_fixed_size: 0
    .sgpr_count:     46
    .sgpr_spill_count: 0
    .symbol:         _Z38paged_attention_ll4mi_QKV_mfma4_kernelIDF16_DF16_LN4vllm18Fp8KVCacheDataTypeE0EhLi32ELi128ELi256ELb1ELi3EEvPKT_PKT0_S7_ifPKiS9_S9_iPKfiiiPfSC_PS2_PT2_iSB_SB_.kd
    .uniform_work_group_size: 1
    .uses_dynamic_stack: false
    .vgpr_count:     100
    .vgpr_spill_count: 0
    .wavefront_size: 64
  - .agpr_count:     8
    .args:
      - .actual_access:  read_only
        .address_space:  global
        .offset:         0
        .size:           8
        .value_kind:     global_buffer
      - .actual_access:  read_only
        .address_space:  global
        .offset:         8
        .size:           8
        .value_kind:     global_buffer
      - .actual_access:  read_only
        .address_space:  global
        .offset:         16
        .size:           8
        .value_kind:     global_buffer
      - .offset:         24
        .size:           4
        .value_kind:     by_value
      - .offset:         28
        .size:           4
        .value_kind:     by_value
      - .actual_access:  read_only
        .address_space:  global
        .offset:         32
        .size:           8
        .value_kind:     global_buffer
      - .actual_access:  read_only
        .address_space:  global
        .offset:         40
        .size:           8
        .value_kind:     global_buffer
      - .actual_access:  read_only
        .address_space:  global
        .offset:         48
        .size:           8
        .value_kind:     global_buffer
      - .offset:         56
        .size:           4
        .value_kind:     by_value
      - .actual_access:  read_only
        .address_space:  global
        .offset:         64
        .size:           8
        .value_kind:     global_buffer
      - .offset:         72
        .size:           4
        .value_kind:     by_value
      - .offset:         76
        .size:           4
        .value_kind:     by_value
      - .offset:         80
        .size:           4
        .value_kind:     by_value
      - .actual_access:  write_only
        .address_space:  global
        .offset:         88
        .size:           8
        .value_kind:     global_buffer
      - .actual_access:  write_only
        .address_space:  global
        .offset:         96
        .size:           8
        .value_kind:     global_buffer
      - .actual_access:  write_only
        .address_space:  global
        .offset:         104
        .size:           8
        .value_kind:     global_buffer
      - .actual_access:  read_only
        .address_space:  global
        .offset:         112
        .size:           8
        .value_kind:     global_buffer
      - .offset:         120
        .size:           4
        .value_kind:     by_value
      - .address_space:  global
        .offset:         128
        .size:           8
        .value_kind:     global_buffer
      - .address_space:  global
        .offset:         136
        .size:           8
        .value_kind:     global_buffer
      - .offset:         144
        .size:           4
        .value_kind:     hidden_block_count_x
      - .offset:         148
        .size:           4
        .value_kind:     hidden_block_count_y
      - .offset:         152
        .size:           4
        .value_kind:     hidden_block_count_z
      - .offset:         156
        .size:           2
        .value_kind:     hidden_group_size_x
      - .offset:         158
        .size:           2
        .value_kind:     hidden_group_size_y
      - .offset:         160
        .size:           2
        .value_kind:     hidden_group_size_z
      - .offset:         162
        .size:           2
        .value_kind:     hidden_remainder_x
      - .offset:         164
        .size:           2
        .value_kind:     hidden_remainder_y
      - .offset:         166
        .size:           2
        .value_kind:     hidden_remainder_z
      - .offset:         184
        .size:           8
        .value_kind:     hidden_global_offset_x
      - .offset:         192
        .size:           8
        .value_kind:     hidden_global_offset_y
      - .offset:         200
        .size:           8
        .value_kind:     hidden_global_offset_z
      - .offset:         208
        .size:           2
        .value_kind:     hidden_grid_dims
    .group_segment_fixed_size: 5280
    .kernarg_segment_align: 8
    .kernarg_segment_size: 400
    .language:       OpenCL C
    .language_version:
      - 2
      - 0
    .max_flat_workgroup_size: 256
    .name:           _Z38paged_attention_ll4mi_QKV_mfma4_kernelIDF16_DF16_LN4vllm18Fp8KVCacheDataTypeE0EhLi32ELi128ELi256ELb1ELi4EEvPKT_PKT0_S7_ifPKiS9_S9_iPKfiiiPfSC_PS2_PT2_iSB_SB_
    .private_segment_fixed_size: 0
    .sgpr_count:     47
    .sgpr_spill_count: 0
    .symbol:         _Z38paged_attention_ll4mi_QKV_mfma4_kernelIDF16_DF16_LN4vllm18Fp8KVCacheDataTypeE0EhLi32ELi128ELi256ELb1ELi4EEvPKT_PKT0_S7_ifPKiS9_S9_iPKfiiiPfSC_PS2_PT2_iSB_SB_.kd
    .uniform_work_group_size: 1
    .uses_dynamic_stack: false
    .vgpr_count:     104
    .vgpr_spill_count: 0
    .wavefront_size: 64
  - .agpr_count:     0
    .args:
      - .actual_access:  read_only
        .address_space:  global
        .offset:         0
        .size:           8
        .value_kind:     global_buffer
      - .actual_access:  read_only
        .address_space:  global
        .offset:         8
        .size:           8
        .value_kind:     global_buffer
      - .actual_access:  read_only
        .address_space:  global
        .offset:         16
        .size:           8
        .value_kind:     global_buffer
      - .offset:         24
        .size:           4
        .value_kind:     by_value
      - .offset:         28
        .size:           4
        .value_kind:     by_value
      - .actual_access:  read_only
        .address_space:  global
        .offset:         32
        .size:           8
        .value_kind:     global_buffer
      - .actual_access:  read_only
        .address_space:  global
        .offset:         40
        .size:           8
        .value_kind:     global_buffer
      - .actual_access:  read_only
        .address_space:  global
        .offset:         48
        .size:           8
        .value_kind:     global_buffer
      - .offset:         56
        .size:           4
        .value_kind:     by_value
      - .actual_access:  read_only
        .address_space:  global
        .offset:         64
        .size:           8
        .value_kind:     global_buffer
      - .offset:         72
        .size:           4
        .value_kind:     by_value
      - .offset:         76
        .size:           4
        .value_kind:     by_value
      - .offset:         80
        .size:           4
        .value_kind:     by_value
      - .actual_access:  write_only
        .address_space:  global
        .offset:         88
        .size:           8
        .value_kind:     global_buffer
      - .actual_access:  write_only
        .address_space:  global
        .offset:         96
        .size:           8
        .value_kind:     global_buffer
      - .actual_access:  write_only
        .address_space:  global
        .offset:         104
        .size:           8
        .value_kind:     global_buffer
      - .actual_access:  read_only
        .address_space:  global
        .offset:         112
        .size:           8
        .value_kind:     global_buffer
      - .offset:         120
        .size:           4
        .value_kind:     by_value
      - .address_space:  global
        .offset:         128
        .size:           8
        .value_kind:     global_buffer
      - .address_space:  global
        .offset:         136
        .size:           8
        .value_kind:     global_buffer
      - .offset:         144
        .size:           4
        .value_kind:     hidden_block_count_x
      - .offset:         148
        .size:           4
        .value_kind:     hidden_block_count_y
      - .offset:         152
        .size:           4
        .value_kind:     hidden_block_count_z
      - .offset:         156
        .size:           2
        .value_kind:     hidden_group_size_x
      - .offset:         158
        .size:           2
        .value_kind:     hidden_group_size_y
      - .offset:         160
        .size:           2
        .value_kind:     hidden_group_size_z
      - .offset:         162
        .size:           2
        .value_kind:     hidden_remainder_x
      - .offset:         164
        .size:           2
        .value_kind:     hidden_remainder_y
      - .offset:         166
        .size:           2
        .value_kind:     hidden_remainder_z
      - .offset:         184
        .size:           8
        .value_kind:     hidden_global_offset_x
      - .offset:         192
        .size:           8
        .value_kind:     hidden_global_offset_y
      - .offset:         200
        .size:           8
        .value_kind:     hidden_global_offset_z
      - .offset:         208
        .size:           2
        .value_kind:     hidden_grid_dims
    .group_segment_fixed_size: 8192
    .kernarg_segment_align: 8
    .kernarg_segment_size: 400
    .language:       OpenCL C
    .language_version:
      - 2
      - 0
    .max_flat_workgroup_size: 256
    .name:           _Z39paged_attention_ll4mi_QKV_mfma16_kernelIDF16_DF16_LN4vllm18Fp8KVCacheDataTypeE0EhLi32ELi128ELi256ELb1ELi5EEvPKT_PKT0_S7_ifPKiS9_S9_iPKfiiiPfSC_PS2_PT2_iSB_SB_
    .private_segment_fixed_size: 0
    .sgpr_count:     48
    .sgpr_spill_count: 0
    .symbol:         _Z39paged_attention_ll4mi_QKV_mfma16_kernelIDF16_DF16_LN4vllm18Fp8KVCacheDataTypeE0EhLi32ELi128ELi256ELb1ELi5EEvPKT_PKT0_S7_ifPKiS9_S9_iPKfiiiPfSC_PS2_PT2_iSB_SB_.kd
    .uniform_work_group_size: 1
    .uses_dynamic_stack: false
    .vgpr_count:     96
    .vgpr_spill_count: 0
    .wavefront_size: 64
  - .agpr_count:     0
    .args:
      - .actual_access:  read_only
        .address_space:  global
        .offset:         0
        .size:           8
        .value_kind:     global_buffer
      - .actual_access:  read_only
        .address_space:  global
        .offset:         8
        .size:           8
        .value_kind:     global_buffer
      - .actual_access:  read_only
        .address_space:  global
        .offset:         16
        .size:           8
        .value_kind:     global_buffer
      - .offset:         24
        .size:           4
        .value_kind:     by_value
      - .offset:         28
        .size:           4
        .value_kind:     by_value
      - .actual_access:  read_only
        .address_space:  global
        .offset:         32
        .size:           8
        .value_kind:     global_buffer
      - .actual_access:  read_only
        .address_space:  global
        .offset:         40
        .size:           8
        .value_kind:     global_buffer
      - .actual_access:  read_only
        .address_space:  global
        .offset:         48
        .size:           8
        .value_kind:     global_buffer
      - .offset:         56
        .size:           4
        .value_kind:     by_value
      - .actual_access:  read_only
        .address_space:  global
        .offset:         64
        .size:           8
        .value_kind:     global_buffer
      - .offset:         72
        .size:           4
        .value_kind:     by_value
      - .offset:         76
        .size:           4
        .value_kind:     by_value
      - .offset:         80
        .size:           4
        .value_kind:     by_value
      - .actual_access:  write_only
        .address_space:  global
        .offset:         88
        .size:           8
        .value_kind:     global_buffer
      - .actual_access:  write_only
        .address_space:  global
        .offset:         96
        .size:           8
        .value_kind:     global_buffer
      - .actual_access:  write_only
        .address_space:  global
        .offset:         104
        .size:           8
        .value_kind:     global_buffer
      - .actual_access:  read_only
        .address_space:  global
        .offset:         112
        .size:           8
        .value_kind:     global_buffer
      - .offset:         120
        .size:           4
        .value_kind:     by_value
      - .address_space:  global
        .offset:         128
        .size:           8
        .value_kind:     global_buffer
      - .address_space:  global
        .offset:         136
        .size:           8
        .value_kind:     global_buffer
      - .offset:         144
        .size:           4
        .value_kind:     hidden_block_count_x
      - .offset:         148
        .size:           4
        .value_kind:     hidden_block_count_y
      - .offset:         152
        .size:           4
        .value_kind:     hidden_block_count_z
      - .offset:         156
        .size:           2
        .value_kind:     hidden_group_size_x
      - .offset:         158
        .size:           2
        .value_kind:     hidden_group_size_y
      - .offset:         160
        .size:           2
        .value_kind:     hidden_group_size_z
      - .offset:         162
        .size:           2
        .value_kind:     hidden_remainder_x
      - .offset:         164
        .size:           2
        .value_kind:     hidden_remainder_y
      - .offset:         166
        .size:           2
        .value_kind:     hidden_remainder_z
      - .offset:         184
        .size:           8
        .value_kind:     hidden_global_offset_x
      - .offset:         192
        .size:           8
        .value_kind:     hidden_global_offset_y
      - .offset:         200
        .size:           8
        .value_kind:     hidden_global_offset_z
      - .offset:         208
        .size:           2
        .value_kind:     hidden_grid_dims
    .group_segment_fixed_size: 8192
    .kernarg_segment_align: 8
    .kernarg_segment_size: 400
    .language:       OpenCL C
    .language_version:
      - 2
      - 0
    .max_flat_workgroup_size: 256
    .name:           _Z39paged_attention_ll4mi_QKV_mfma16_kernelIDF16_DF16_LN4vllm18Fp8KVCacheDataTypeE0EhLi32ELi128ELi256ELb1ELi6EEvPKT_PKT0_S7_ifPKiS9_S9_iPKfiiiPfSC_PS2_PT2_iSB_SB_
    .private_segment_fixed_size: 0
    .sgpr_count:     48
    .sgpr_spill_count: 0
    .symbol:         _Z39paged_attention_ll4mi_QKV_mfma16_kernelIDF16_DF16_LN4vllm18Fp8KVCacheDataTypeE0EhLi32ELi128ELi256ELb1ELi6EEvPKT_PKT0_S7_ifPKiS9_S9_iPKfiiiPfSC_PS2_PT2_iSB_SB_.kd
    .uniform_work_group_size: 1
    .uses_dynamic_stack: false
    .vgpr_count:     96
    .vgpr_spill_count: 0
    .wavefront_size: 64
  - .agpr_count:     0
    .args:
      - .actual_access:  read_only
        .address_space:  global
        .offset:         0
        .size:           8
        .value_kind:     global_buffer
      - .actual_access:  read_only
        .address_space:  global
        .offset:         8
        .size:           8
        .value_kind:     global_buffer
      - .actual_access:  read_only
        .address_space:  global
        .offset:         16
        .size:           8
        .value_kind:     global_buffer
      - .offset:         24
        .size:           4
        .value_kind:     by_value
      - .offset:         28
        .size:           4
        .value_kind:     by_value
      - .actual_access:  read_only
        .address_space:  global
        .offset:         32
        .size:           8
        .value_kind:     global_buffer
      - .actual_access:  read_only
        .address_space:  global
        .offset:         40
        .size:           8
        .value_kind:     global_buffer
      - .actual_access:  read_only
        .address_space:  global
        .offset:         48
        .size:           8
        .value_kind:     global_buffer
      - .offset:         56
        .size:           4
        .value_kind:     by_value
      - .actual_access:  read_only
        .address_space:  global
        .offset:         64
        .size:           8
        .value_kind:     global_buffer
      - .offset:         72
        .size:           4
        .value_kind:     by_value
      - .offset:         76
        .size:           4
        .value_kind:     by_value
      - .offset:         80
        .size:           4
        .value_kind:     by_value
      - .actual_access:  write_only
        .address_space:  global
        .offset:         88
        .size:           8
        .value_kind:     global_buffer
      - .actual_access:  write_only
        .address_space:  global
        .offset:         96
        .size:           8
        .value_kind:     global_buffer
      - .actual_access:  write_only
        .address_space:  global
        .offset:         104
        .size:           8
        .value_kind:     global_buffer
      - .actual_access:  read_only
        .address_space:  global
        .offset:         112
        .size:           8
        .value_kind:     global_buffer
      - .offset:         120
        .size:           4
        .value_kind:     by_value
      - .address_space:  global
        .offset:         128
        .size:           8
        .value_kind:     global_buffer
      - .address_space:  global
        .offset:         136
        .size:           8
        .value_kind:     global_buffer
      - .offset:         144
        .size:           4
        .value_kind:     hidden_block_count_x
      - .offset:         148
        .size:           4
        .value_kind:     hidden_block_count_y
      - .offset:         152
        .size:           4
        .value_kind:     hidden_block_count_z
      - .offset:         156
        .size:           2
        .value_kind:     hidden_group_size_x
      - .offset:         158
        .size:           2
        .value_kind:     hidden_group_size_y
      - .offset:         160
        .size:           2
        .value_kind:     hidden_group_size_z
      - .offset:         162
        .size:           2
        .value_kind:     hidden_remainder_x
      - .offset:         164
        .size:           2
        .value_kind:     hidden_remainder_y
      - .offset:         166
        .size:           2
        .value_kind:     hidden_remainder_z
      - .offset:         184
        .size:           8
        .value_kind:     hidden_global_offset_x
      - .offset:         192
        .size:           8
        .value_kind:     hidden_global_offset_y
      - .offset:         200
        .size:           8
        .value_kind:     hidden_global_offset_z
      - .offset:         208
        .size:           2
        .value_kind:     hidden_grid_dims
    .group_segment_fixed_size: 8192
    .kernarg_segment_align: 8
    .kernarg_segment_size: 400
    .language:       OpenCL C
    .language_version:
      - 2
      - 0
    .max_flat_workgroup_size: 256
    .name:           _Z39paged_attention_ll4mi_QKV_mfma16_kernelIDF16_DF16_LN4vllm18Fp8KVCacheDataTypeE0EhLi32ELi128ELi256ELb1ELi7EEvPKT_PKT0_S7_ifPKiS9_S9_iPKfiiiPfSC_PS2_PT2_iSB_SB_
    .private_segment_fixed_size: 0
    .sgpr_count:     48
    .sgpr_spill_count: 0
    .symbol:         _Z39paged_attention_ll4mi_QKV_mfma16_kernelIDF16_DF16_LN4vllm18Fp8KVCacheDataTypeE0EhLi32ELi128ELi256ELb1ELi7EEvPKT_PKT0_S7_ifPKiS9_S9_iPKfiiiPfSC_PS2_PT2_iSB_SB_.kd
    .uniform_work_group_size: 1
    .uses_dynamic_stack: false
    .vgpr_count:     96
    .vgpr_spill_count: 0
    .wavefront_size: 64
  - .agpr_count:     0
    .args:
      - .actual_access:  read_only
        .address_space:  global
        .offset:         0
        .size:           8
        .value_kind:     global_buffer
      - .actual_access:  read_only
        .address_space:  global
        .offset:         8
        .size:           8
        .value_kind:     global_buffer
      - .actual_access:  read_only
        .address_space:  global
        .offset:         16
        .size:           8
        .value_kind:     global_buffer
      - .offset:         24
        .size:           4
        .value_kind:     by_value
      - .offset:         28
        .size:           4
        .value_kind:     by_value
      - .actual_access:  read_only
        .address_space:  global
        .offset:         32
        .size:           8
        .value_kind:     global_buffer
      - .actual_access:  read_only
        .address_space:  global
        .offset:         40
        .size:           8
        .value_kind:     global_buffer
      - .actual_access:  read_only
        .address_space:  global
        .offset:         48
        .size:           8
        .value_kind:     global_buffer
      - .offset:         56
        .size:           4
        .value_kind:     by_value
      - .actual_access:  read_only
        .address_space:  global
        .offset:         64
        .size:           8
        .value_kind:     global_buffer
      - .offset:         72
        .size:           4
        .value_kind:     by_value
      - .offset:         76
        .size:           4
        .value_kind:     by_value
      - .offset:         80
        .size:           4
        .value_kind:     by_value
      - .actual_access:  write_only
        .address_space:  global
        .offset:         88
        .size:           8
        .value_kind:     global_buffer
      - .actual_access:  write_only
        .address_space:  global
        .offset:         96
        .size:           8
        .value_kind:     global_buffer
      - .actual_access:  write_only
        .address_space:  global
        .offset:         104
        .size:           8
        .value_kind:     global_buffer
      - .actual_access:  read_only
        .address_space:  global
        .offset:         112
        .size:           8
        .value_kind:     global_buffer
      - .offset:         120
        .size:           4
        .value_kind:     by_value
      - .address_space:  global
        .offset:         128
        .size:           8
        .value_kind:     global_buffer
      - .address_space:  global
        .offset:         136
        .size:           8
        .value_kind:     global_buffer
      - .offset:         144
        .size:           4
        .value_kind:     hidden_block_count_x
      - .offset:         148
        .size:           4
        .value_kind:     hidden_block_count_y
      - .offset:         152
        .size:           4
        .value_kind:     hidden_block_count_z
      - .offset:         156
        .size:           2
        .value_kind:     hidden_group_size_x
      - .offset:         158
        .size:           2
        .value_kind:     hidden_group_size_y
      - .offset:         160
        .size:           2
        .value_kind:     hidden_group_size_z
      - .offset:         162
        .size:           2
        .value_kind:     hidden_remainder_x
      - .offset:         164
        .size:           2
        .value_kind:     hidden_remainder_y
      - .offset:         166
        .size:           2
        .value_kind:     hidden_remainder_z
      - .offset:         184
        .size:           8
        .value_kind:     hidden_global_offset_x
      - .offset:         192
        .size:           8
        .value_kind:     hidden_global_offset_y
      - .offset:         200
        .size:           8
        .value_kind:     hidden_global_offset_z
      - .offset:         208
        .size:           2
        .value_kind:     hidden_grid_dims
    .group_segment_fixed_size: 8192
    .kernarg_segment_align: 8
    .kernarg_segment_size: 400
    .language:       OpenCL C
    .language_version:
      - 2
      - 0
    .max_flat_workgroup_size: 256
    .name:           _Z39paged_attention_ll4mi_QKV_mfma16_kernelIDF16_DF16_LN4vllm18Fp8KVCacheDataTypeE0EhLi32ELi128ELi256ELb1ELi8EEvPKT_PKT0_S7_ifPKiS9_S9_iPKfiiiPfSC_PS2_PT2_iSB_SB_
    .private_segment_fixed_size: 0
    .sgpr_count:     47
    .sgpr_spill_count: 0
    .symbol:         _Z39paged_attention_ll4mi_QKV_mfma16_kernelIDF16_DF16_LN4vllm18Fp8KVCacheDataTypeE0EhLi32ELi128ELi256ELb1ELi8EEvPKT_PKT0_S7_ifPKiS9_S9_iPKfiiiPfSC_PS2_PT2_iSB_SB_.kd
    .uniform_work_group_size: 1
    .uses_dynamic_stack: false
    .vgpr_count:     96
    .vgpr_spill_count: 0
    .wavefront_size: 64
  - .agpr_count:     0
    .args:
      - .actual_access:  read_only
        .address_space:  global
        .offset:         0
        .size:           8
        .value_kind:     global_buffer
      - .actual_access:  read_only
        .address_space:  global
        .offset:         8
        .size:           8
        .value_kind:     global_buffer
      - .actual_access:  read_only
        .address_space:  global
        .offset:         16
        .size:           8
        .value_kind:     global_buffer
      - .offset:         24
        .size:           4
        .value_kind:     by_value
      - .offset:         28
        .size:           4
        .value_kind:     by_value
      - .actual_access:  read_only
        .address_space:  global
        .offset:         32
        .size:           8
        .value_kind:     global_buffer
      - .actual_access:  read_only
        .address_space:  global
        .offset:         40
        .size:           8
        .value_kind:     global_buffer
      - .actual_access:  read_only
        .address_space:  global
        .offset:         48
        .size:           8
        .value_kind:     global_buffer
      - .offset:         56
        .size:           4
        .value_kind:     by_value
      - .actual_access:  read_only
        .address_space:  global
        .offset:         64
        .size:           8
        .value_kind:     global_buffer
      - .offset:         72
        .size:           4
        .value_kind:     by_value
      - .offset:         76
        .size:           4
        .value_kind:     by_value
      - .offset:         80
        .size:           4
        .value_kind:     by_value
      - .actual_access:  write_only
        .address_space:  global
        .offset:         88
        .size:           8
        .value_kind:     global_buffer
      - .actual_access:  write_only
        .address_space:  global
        .offset:         96
        .size:           8
        .value_kind:     global_buffer
      - .actual_access:  write_only
        .address_space:  global
        .offset:         104
        .size:           8
        .value_kind:     global_buffer
      - .actual_access:  read_only
        .address_space:  global
        .offset:         112
        .size:           8
        .value_kind:     global_buffer
      - .offset:         120
        .size:           4
        .value_kind:     by_value
      - .address_space:  global
        .offset:         128
        .size:           8
        .value_kind:     global_buffer
      - .address_space:  global
        .offset:         136
        .size:           8
        .value_kind:     global_buffer
      - .offset:         144
        .size:           4
        .value_kind:     hidden_block_count_x
      - .offset:         148
        .size:           4
        .value_kind:     hidden_block_count_y
      - .offset:         152
        .size:           4
        .value_kind:     hidden_block_count_z
      - .offset:         156
        .size:           2
        .value_kind:     hidden_group_size_x
      - .offset:         158
        .size:           2
        .value_kind:     hidden_group_size_y
      - .offset:         160
        .size:           2
        .value_kind:     hidden_group_size_z
      - .offset:         162
        .size:           2
        .value_kind:     hidden_remainder_x
      - .offset:         164
        .size:           2
        .value_kind:     hidden_remainder_y
      - .offset:         166
        .size:           2
        .value_kind:     hidden_remainder_z
      - .offset:         184
        .size:           8
        .value_kind:     hidden_global_offset_x
      - .offset:         192
        .size:           8
        .value_kind:     hidden_global_offset_y
      - .offset:         200
        .size:           8
        .value_kind:     hidden_global_offset_z
      - .offset:         208
        .size:           2
        .value_kind:     hidden_grid_dims
    .group_segment_fixed_size: 8192
    .kernarg_segment_align: 8
    .kernarg_segment_size: 400
    .language:       OpenCL C
    .language_version:
      - 2
      - 0
    .max_flat_workgroup_size: 256
    .name:           _Z39paged_attention_ll4mi_QKV_mfma16_kernelIDF16_DF16_LN4vllm18Fp8KVCacheDataTypeE0EhLi32ELi128ELi256ELb1ELi9EEvPKT_PKT0_S7_ifPKiS9_S9_iPKfiiiPfSC_PS2_PT2_iSB_SB_
    .private_segment_fixed_size: 0
    .sgpr_count:     48
    .sgpr_spill_count: 0
    .symbol:         _Z39paged_attention_ll4mi_QKV_mfma16_kernelIDF16_DF16_LN4vllm18Fp8KVCacheDataTypeE0EhLi32ELi128ELi256ELb1ELi9EEvPKT_PKT0_S7_ifPKiS9_S9_iPKfiiiPfSC_PS2_PT2_iSB_SB_.kd
    .uniform_work_group_size: 1
    .uses_dynamic_stack: false
    .vgpr_count:     96
    .vgpr_spill_count: 0
    .wavefront_size: 64
  - .agpr_count:     0
    .args:
      - .actual_access:  read_only
        .address_space:  global
        .offset:         0
        .size:           8
        .value_kind:     global_buffer
      - .actual_access:  read_only
        .address_space:  global
        .offset:         8
        .size:           8
        .value_kind:     global_buffer
      - .actual_access:  read_only
        .address_space:  global
        .offset:         16
        .size:           8
        .value_kind:     global_buffer
      - .offset:         24
        .size:           4
        .value_kind:     by_value
      - .offset:         28
        .size:           4
        .value_kind:     by_value
      - .actual_access:  read_only
        .address_space:  global
        .offset:         32
        .size:           8
        .value_kind:     global_buffer
      - .actual_access:  read_only
        .address_space:  global
        .offset:         40
        .size:           8
        .value_kind:     global_buffer
      - .actual_access:  read_only
        .address_space:  global
        .offset:         48
        .size:           8
        .value_kind:     global_buffer
      - .offset:         56
        .size:           4
        .value_kind:     by_value
      - .actual_access:  read_only
        .address_space:  global
        .offset:         64
        .size:           8
        .value_kind:     global_buffer
      - .offset:         72
        .size:           4
        .value_kind:     by_value
      - .offset:         76
        .size:           4
        .value_kind:     by_value
      - .offset:         80
        .size:           4
        .value_kind:     by_value
      - .actual_access:  write_only
        .address_space:  global
        .offset:         88
        .size:           8
        .value_kind:     global_buffer
      - .actual_access:  write_only
        .address_space:  global
        .offset:         96
        .size:           8
        .value_kind:     global_buffer
      - .actual_access:  write_only
        .address_space:  global
        .offset:         104
        .size:           8
        .value_kind:     global_buffer
      - .actual_access:  read_only
        .address_space:  global
        .offset:         112
        .size:           8
        .value_kind:     global_buffer
      - .offset:         120
        .size:           4
        .value_kind:     by_value
      - .address_space:  global
        .offset:         128
        .size:           8
        .value_kind:     global_buffer
      - .address_space:  global
        .offset:         136
        .size:           8
        .value_kind:     global_buffer
      - .offset:         144
        .size:           4
        .value_kind:     hidden_block_count_x
      - .offset:         148
        .size:           4
        .value_kind:     hidden_block_count_y
      - .offset:         152
        .size:           4
        .value_kind:     hidden_block_count_z
      - .offset:         156
        .size:           2
        .value_kind:     hidden_group_size_x
      - .offset:         158
        .size:           2
        .value_kind:     hidden_group_size_y
      - .offset:         160
        .size:           2
        .value_kind:     hidden_group_size_z
      - .offset:         162
        .size:           2
        .value_kind:     hidden_remainder_x
      - .offset:         164
        .size:           2
        .value_kind:     hidden_remainder_y
      - .offset:         166
        .size:           2
        .value_kind:     hidden_remainder_z
      - .offset:         184
        .size:           8
        .value_kind:     hidden_global_offset_x
      - .offset:         192
        .size:           8
        .value_kind:     hidden_global_offset_y
      - .offset:         200
        .size:           8
        .value_kind:     hidden_global_offset_z
      - .offset:         208
        .size:           2
        .value_kind:     hidden_grid_dims
    .group_segment_fixed_size: 8192
    .kernarg_segment_align: 8
    .kernarg_segment_size: 400
    .language:       OpenCL C
    .language_version:
      - 2
      - 0
    .max_flat_workgroup_size: 256
    .name:           _Z39paged_attention_ll4mi_QKV_mfma16_kernelIDF16_DF16_LN4vllm18Fp8KVCacheDataTypeE0EhLi32ELi128ELi256ELb1ELi10EEvPKT_PKT0_S7_ifPKiS9_S9_iPKfiiiPfSC_PS2_PT2_iSB_SB_
    .private_segment_fixed_size: 0
    .sgpr_count:     48
    .sgpr_spill_count: 0
    .symbol:         _Z39paged_attention_ll4mi_QKV_mfma16_kernelIDF16_DF16_LN4vllm18Fp8KVCacheDataTypeE0EhLi32ELi128ELi256ELb1ELi10EEvPKT_PKT0_S7_ifPKiS9_S9_iPKfiiiPfSC_PS2_PT2_iSB_SB_.kd
    .uniform_work_group_size: 1
    .uses_dynamic_stack: false
    .vgpr_count:     96
    .vgpr_spill_count: 0
    .wavefront_size: 64
  - .agpr_count:     0
    .args:
      - .actual_access:  read_only
        .address_space:  global
        .offset:         0
        .size:           8
        .value_kind:     global_buffer
      - .actual_access:  read_only
        .address_space:  global
        .offset:         8
        .size:           8
        .value_kind:     global_buffer
      - .actual_access:  read_only
        .address_space:  global
        .offset:         16
        .size:           8
        .value_kind:     global_buffer
      - .offset:         24
        .size:           4
        .value_kind:     by_value
      - .offset:         28
        .size:           4
        .value_kind:     by_value
      - .actual_access:  read_only
        .address_space:  global
        .offset:         32
        .size:           8
        .value_kind:     global_buffer
      - .actual_access:  read_only
        .address_space:  global
        .offset:         40
        .size:           8
        .value_kind:     global_buffer
      - .actual_access:  read_only
        .address_space:  global
        .offset:         48
        .size:           8
        .value_kind:     global_buffer
      - .offset:         56
        .size:           4
        .value_kind:     by_value
      - .actual_access:  read_only
        .address_space:  global
        .offset:         64
        .size:           8
        .value_kind:     global_buffer
      - .offset:         72
        .size:           4
        .value_kind:     by_value
      - .offset:         76
        .size:           4
        .value_kind:     by_value
      - .offset:         80
        .size:           4
        .value_kind:     by_value
      - .actual_access:  write_only
        .address_space:  global
        .offset:         88
        .size:           8
        .value_kind:     global_buffer
      - .actual_access:  write_only
        .address_space:  global
        .offset:         96
        .size:           8
        .value_kind:     global_buffer
      - .actual_access:  write_only
        .address_space:  global
        .offset:         104
        .size:           8
        .value_kind:     global_buffer
      - .actual_access:  read_only
        .address_space:  global
        .offset:         112
        .size:           8
        .value_kind:     global_buffer
      - .offset:         120
        .size:           4
        .value_kind:     by_value
      - .address_space:  global
        .offset:         128
        .size:           8
        .value_kind:     global_buffer
      - .address_space:  global
        .offset:         136
        .size:           8
        .value_kind:     global_buffer
      - .offset:         144
        .size:           4
        .value_kind:     hidden_block_count_x
      - .offset:         148
        .size:           4
        .value_kind:     hidden_block_count_y
      - .offset:         152
        .size:           4
        .value_kind:     hidden_block_count_z
      - .offset:         156
        .size:           2
        .value_kind:     hidden_group_size_x
      - .offset:         158
        .size:           2
        .value_kind:     hidden_group_size_y
      - .offset:         160
        .size:           2
        .value_kind:     hidden_group_size_z
      - .offset:         162
        .size:           2
        .value_kind:     hidden_remainder_x
      - .offset:         164
        .size:           2
        .value_kind:     hidden_remainder_y
      - .offset:         166
        .size:           2
        .value_kind:     hidden_remainder_z
      - .offset:         184
        .size:           8
        .value_kind:     hidden_global_offset_x
      - .offset:         192
        .size:           8
        .value_kind:     hidden_global_offset_y
      - .offset:         200
        .size:           8
        .value_kind:     hidden_global_offset_z
      - .offset:         208
        .size:           2
        .value_kind:     hidden_grid_dims
    .group_segment_fixed_size: 8192
    .kernarg_segment_align: 8
    .kernarg_segment_size: 400
    .language:       OpenCL C
    .language_version:
      - 2
      - 0
    .max_flat_workgroup_size: 256
    .name:           _Z39paged_attention_ll4mi_QKV_mfma16_kernelIDF16_DF16_LN4vllm18Fp8KVCacheDataTypeE0EhLi32ELi128ELi256ELb1ELi11EEvPKT_PKT0_S7_ifPKiS9_S9_iPKfiiiPfSC_PS2_PT2_iSB_SB_
    .private_segment_fixed_size: 0
    .sgpr_count:     48
    .sgpr_spill_count: 0
    .symbol:         _Z39paged_attention_ll4mi_QKV_mfma16_kernelIDF16_DF16_LN4vllm18Fp8KVCacheDataTypeE0EhLi32ELi128ELi256ELb1ELi11EEvPKT_PKT0_S7_ifPKiS9_S9_iPKfiiiPfSC_PS2_PT2_iSB_SB_.kd
    .uniform_work_group_size: 1
    .uses_dynamic_stack: false
    .vgpr_count:     96
    .vgpr_spill_count: 0
    .wavefront_size: 64
  - .agpr_count:     0
    .args:
      - .actual_access:  read_only
        .address_space:  global
        .offset:         0
        .size:           8
        .value_kind:     global_buffer
      - .actual_access:  read_only
        .address_space:  global
        .offset:         8
        .size:           8
        .value_kind:     global_buffer
      - .actual_access:  read_only
        .address_space:  global
        .offset:         16
        .size:           8
        .value_kind:     global_buffer
      - .offset:         24
        .size:           4
        .value_kind:     by_value
      - .offset:         28
        .size:           4
        .value_kind:     by_value
      - .actual_access:  read_only
        .address_space:  global
        .offset:         32
        .size:           8
        .value_kind:     global_buffer
      - .actual_access:  read_only
        .address_space:  global
        .offset:         40
        .size:           8
        .value_kind:     global_buffer
      - .actual_access:  read_only
        .address_space:  global
        .offset:         48
        .size:           8
        .value_kind:     global_buffer
      - .offset:         56
        .size:           4
        .value_kind:     by_value
      - .actual_access:  read_only
        .address_space:  global
        .offset:         64
        .size:           8
        .value_kind:     global_buffer
      - .offset:         72
        .size:           4
        .value_kind:     by_value
      - .offset:         76
        .size:           4
        .value_kind:     by_value
      - .offset:         80
        .size:           4
        .value_kind:     by_value
      - .actual_access:  write_only
        .address_space:  global
        .offset:         88
        .size:           8
        .value_kind:     global_buffer
      - .actual_access:  write_only
        .address_space:  global
        .offset:         96
        .size:           8
        .value_kind:     global_buffer
      - .actual_access:  write_only
        .address_space:  global
        .offset:         104
        .size:           8
        .value_kind:     global_buffer
      - .actual_access:  read_only
        .address_space:  global
        .offset:         112
        .size:           8
        .value_kind:     global_buffer
      - .offset:         120
        .size:           4
        .value_kind:     by_value
      - .address_space:  global
        .offset:         128
        .size:           8
        .value_kind:     global_buffer
      - .address_space:  global
        .offset:         136
        .size:           8
        .value_kind:     global_buffer
      - .offset:         144
        .size:           4
        .value_kind:     hidden_block_count_x
      - .offset:         148
        .size:           4
        .value_kind:     hidden_block_count_y
      - .offset:         152
        .size:           4
        .value_kind:     hidden_block_count_z
      - .offset:         156
        .size:           2
        .value_kind:     hidden_group_size_x
      - .offset:         158
        .size:           2
        .value_kind:     hidden_group_size_y
      - .offset:         160
        .size:           2
        .value_kind:     hidden_group_size_z
      - .offset:         162
        .size:           2
        .value_kind:     hidden_remainder_x
      - .offset:         164
        .size:           2
        .value_kind:     hidden_remainder_y
      - .offset:         166
        .size:           2
        .value_kind:     hidden_remainder_z
      - .offset:         184
        .size:           8
        .value_kind:     hidden_global_offset_x
      - .offset:         192
        .size:           8
        .value_kind:     hidden_global_offset_y
      - .offset:         200
        .size:           8
        .value_kind:     hidden_global_offset_z
      - .offset:         208
        .size:           2
        .value_kind:     hidden_grid_dims
    .group_segment_fixed_size: 8192
    .kernarg_segment_align: 8
    .kernarg_segment_size: 400
    .language:       OpenCL C
    .language_version:
      - 2
      - 0
    .max_flat_workgroup_size: 256
    .name:           _Z39paged_attention_ll4mi_QKV_mfma16_kernelIDF16_DF16_LN4vllm18Fp8KVCacheDataTypeE0EhLi32ELi128ELi256ELb1ELi12EEvPKT_PKT0_S7_ifPKiS9_S9_iPKfiiiPfSC_PS2_PT2_iSB_SB_
    .private_segment_fixed_size: 0
    .sgpr_count:     48
    .sgpr_spill_count: 0
    .symbol:         _Z39paged_attention_ll4mi_QKV_mfma16_kernelIDF16_DF16_LN4vllm18Fp8KVCacheDataTypeE0EhLi32ELi128ELi256ELb1ELi12EEvPKT_PKT0_S7_ifPKiS9_S9_iPKfiiiPfSC_PS2_PT2_iSB_SB_.kd
    .uniform_work_group_size: 1
    .uses_dynamic_stack: false
    .vgpr_count:     96
    .vgpr_spill_count: 0
    .wavefront_size: 64
  - .agpr_count:     0
    .args:
      - .actual_access:  read_only
        .address_space:  global
        .offset:         0
        .size:           8
        .value_kind:     global_buffer
      - .actual_access:  read_only
        .address_space:  global
        .offset:         8
        .size:           8
        .value_kind:     global_buffer
      - .actual_access:  read_only
        .address_space:  global
        .offset:         16
        .size:           8
        .value_kind:     global_buffer
      - .offset:         24
        .size:           4
        .value_kind:     by_value
      - .offset:         28
        .size:           4
        .value_kind:     by_value
      - .actual_access:  read_only
        .address_space:  global
        .offset:         32
        .size:           8
        .value_kind:     global_buffer
      - .actual_access:  read_only
        .address_space:  global
        .offset:         40
        .size:           8
        .value_kind:     global_buffer
      - .actual_access:  read_only
        .address_space:  global
        .offset:         48
        .size:           8
        .value_kind:     global_buffer
      - .offset:         56
        .size:           4
        .value_kind:     by_value
      - .actual_access:  read_only
        .address_space:  global
        .offset:         64
        .size:           8
        .value_kind:     global_buffer
      - .offset:         72
        .size:           4
        .value_kind:     by_value
      - .offset:         76
        .size:           4
        .value_kind:     by_value
      - .offset:         80
        .size:           4
        .value_kind:     by_value
      - .actual_access:  write_only
        .address_space:  global
        .offset:         88
        .size:           8
        .value_kind:     global_buffer
      - .actual_access:  write_only
        .address_space:  global
        .offset:         96
        .size:           8
        .value_kind:     global_buffer
      - .actual_access:  write_only
        .address_space:  global
        .offset:         104
        .size:           8
        .value_kind:     global_buffer
      - .actual_access:  read_only
        .address_space:  global
        .offset:         112
        .size:           8
        .value_kind:     global_buffer
      - .offset:         120
        .size:           4
        .value_kind:     by_value
      - .address_space:  global
        .offset:         128
        .size:           8
        .value_kind:     global_buffer
      - .address_space:  global
        .offset:         136
        .size:           8
        .value_kind:     global_buffer
      - .offset:         144
        .size:           4
        .value_kind:     hidden_block_count_x
      - .offset:         148
        .size:           4
        .value_kind:     hidden_block_count_y
      - .offset:         152
        .size:           4
        .value_kind:     hidden_block_count_z
      - .offset:         156
        .size:           2
        .value_kind:     hidden_group_size_x
      - .offset:         158
        .size:           2
        .value_kind:     hidden_group_size_y
      - .offset:         160
        .size:           2
        .value_kind:     hidden_group_size_z
      - .offset:         162
        .size:           2
        .value_kind:     hidden_remainder_x
      - .offset:         164
        .size:           2
        .value_kind:     hidden_remainder_y
      - .offset:         166
        .size:           2
        .value_kind:     hidden_remainder_z
      - .offset:         184
        .size:           8
        .value_kind:     hidden_global_offset_x
      - .offset:         192
        .size:           8
        .value_kind:     hidden_global_offset_y
      - .offset:         200
        .size:           8
        .value_kind:     hidden_global_offset_z
      - .offset:         208
        .size:           2
        .value_kind:     hidden_grid_dims
    .group_segment_fixed_size: 8192
    .kernarg_segment_align: 8
    .kernarg_segment_size: 400
    .language:       OpenCL C
    .language_version:
      - 2
      - 0
    .max_flat_workgroup_size: 256
    .name:           _Z39paged_attention_ll4mi_QKV_mfma16_kernelIDF16_DF16_LN4vllm18Fp8KVCacheDataTypeE0EhLi32ELi128ELi256ELb1ELi13EEvPKT_PKT0_S7_ifPKiS9_S9_iPKfiiiPfSC_PS2_PT2_iSB_SB_
    .private_segment_fixed_size: 0
    .sgpr_count:     48
    .sgpr_spill_count: 0
    .symbol:         _Z39paged_attention_ll4mi_QKV_mfma16_kernelIDF16_DF16_LN4vllm18Fp8KVCacheDataTypeE0EhLi32ELi128ELi256ELb1ELi13EEvPKT_PKT0_S7_ifPKiS9_S9_iPKfiiiPfSC_PS2_PT2_iSB_SB_.kd
    .uniform_work_group_size: 1
    .uses_dynamic_stack: false
    .vgpr_count:     96
    .vgpr_spill_count: 0
    .wavefront_size: 64
  - .agpr_count:     0
    .args:
      - .actual_access:  read_only
        .address_space:  global
        .offset:         0
        .size:           8
        .value_kind:     global_buffer
      - .actual_access:  read_only
        .address_space:  global
        .offset:         8
        .size:           8
        .value_kind:     global_buffer
      - .actual_access:  read_only
        .address_space:  global
        .offset:         16
        .size:           8
        .value_kind:     global_buffer
      - .offset:         24
        .size:           4
        .value_kind:     by_value
      - .offset:         28
        .size:           4
        .value_kind:     by_value
      - .actual_access:  read_only
        .address_space:  global
        .offset:         32
        .size:           8
        .value_kind:     global_buffer
      - .actual_access:  read_only
        .address_space:  global
        .offset:         40
        .size:           8
        .value_kind:     global_buffer
      - .actual_access:  read_only
        .address_space:  global
        .offset:         48
        .size:           8
        .value_kind:     global_buffer
      - .offset:         56
        .size:           4
        .value_kind:     by_value
      - .actual_access:  read_only
        .address_space:  global
        .offset:         64
        .size:           8
        .value_kind:     global_buffer
      - .offset:         72
        .size:           4
        .value_kind:     by_value
      - .offset:         76
        .size:           4
        .value_kind:     by_value
      - .offset:         80
        .size:           4
        .value_kind:     by_value
      - .actual_access:  write_only
        .address_space:  global
        .offset:         88
        .size:           8
        .value_kind:     global_buffer
      - .actual_access:  write_only
        .address_space:  global
        .offset:         96
        .size:           8
        .value_kind:     global_buffer
      - .actual_access:  write_only
        .address_space:  global
        .offset:         104
        .size:           8
        .value_kind:     global_buffer
      - .actual_access:  read_only
        .address_space:  global
        .offset:         112
        .size:           8
        .value_kind:     global_buffer
      - .offset:         120
        .size:           4
        .value_kind:     by_value
      - .address_space:  global
        .offset:         128
        .size:           8
        .value_kind:     global_buffer
      - .address_space:  global
        .offset:         136
        .size:           8
        .value_kind:     global_buffer
      - .offset:         144
        .size:           4
        .value_kind:     hidden_block_count_x
      - .offset:         148
        .size:           4
        .value_kind:     hidden_block_count_y
      - .offset:         152
        .size:           4
        .value_kind:     hidden_block_count_z
      - .offset:         156
        .size:           2
        .value_kind:     hidden_group_size_x
      - .offset:         158
        .size:           2
        .value_kind:     hidden_group_size_y
      - .offset:         160
        .size:           2
        .value_kind:     hidden_group_size_z
      - .offset:         162
        .size:           2
        .value_kind:     hidden_remainder_x
      - .offset:         164
        .size:           2
        .value_kind:     hidden_remainder_y
      - .offset:         166
        .size:           2
        .value_kind:     hidden_remainder_z
      - .offset:         184
        .size:           8
        .value_kind:     hidden_global_offset_x
      - .offset:         192
        .size:           8
        .value_kind:     hidden_global_offset_y
      - .offset:         200
        .size:           8
        .value_kind:     hidden_global_offset_z
      - .offset:         208
        .size:           2
        .value_kind:     hidden_grid_dims
    .group_segment_fixed_size: 8192
    .kernarg_segment_align: 8
    .kernarg_segment_size: 400
    .language:       OpenCL C
    .language_version:
      - 2
      - 0
    .max_flat_workgroup_size: 256
    .name:           _Z39paged_attention_ll4mi_QKV_mfma16_kernelIDF16_DF16_LN4vllm18Fp8KVCacheDataTypeE0EhLi32ELi128ELi256ELb1ELi14EEvPKT_PKT0_S7_ifPKiS9_S9_iPKfiiiPfSC_PS2_PT2_iSB_SB_
    .private_segment_fixed_size: 0
    .sgpr_count:     48
    .sgpr_spill_count: 0
    .symbol:         _Z39paged_attention_ll4mi_QKV_mfma16_kernelIDF16_DF16_LN4vllm18Fp8KVCacheDataTypeE0EhLi32ELi128ELi256ELb1ELi14EEvPKT_PKT0_S7_ifPKiS9_S9_iPKfiiiPfSC_PS2_PT2_iSB_SB_.kd
    .uniform_work_group_size: 1
    .uses_dynamic_stack: false
    .vgpr_count:     96
    .vgpr_spill_count: 0
    .wavefront_size: 64
  - .agpr_count:     0
    .args:
      - .actual_access:  read_only
        .address_space:  global
        .offset:         0
        .size:           8
        .value_kind:     global_buffer
      - .actual_access:  read_only
        .address_space:  global
        .offset:         8
        .size:           8
        .value_kind:     global_buffer
      - .actual_access:  read_only
        .address_space:  global
        .offset:         16
        .size:           8
        .value_kind:     global_buffer
      - .offset:         24
        .size:           4
        .value_kind:     by_value
      - .offset:         28
        .size:           4
        .value_kind:     by_value
      - .actual_access:  read_only
        .address_space:  global
        .offset:         32
        .size:           8
        .value_kind:     global_buffer
      - .actual_access:  read_only
        .address_space:  global
        .offset:         40
        .size:           8
        .value_kind:     global_buffer
      - .actual_access:  read_only
        .address_space:  global
        .offset:         48
        .size:           8
        .value_kind:     global_buffer
      - .offset:         56
        .size:           4
        .value_kind:     by_value
      - .actual_access:  read_only
        .address_space:  global
        .offset:         64
        .size:           8
        .value_kind:     global_buffer
      - .offset:         72
        .size:           4
        .value_kind:     by_value
      - .offset:         76
        .size:           4
        .value_kind:     by_value
      - .offset:         80
        .size:           4
        .value_kind:     by_value
      - .actual_access:  write_only
        .address_space:  global
        .offset:         88
        .size:           8
        .value_kind:     global_buffer
      - .actual_access:  write_only
        .address_space:  global
        .offset:         96
        .size:           8
        .value_kind:     global_buffer
      - .actual_access:  write_only
        .address_space:  global
        .offset:         104
        .size:           8
        .value_kind:     global_buffer
      - .actual_access:  read_only
        .address_space:  global
        .offset:         112
        .size:           8
        .value_kind:     global_buffer
      - .offset:         120
        .size:           4
        .value_kind:     by_value
      - .address_space:  global
        .offset:         128
        .size:           8
        .value_kind:     global_buffer
      - .address_space:  global
        .offset:         136
        .size:           8
        .value_kind:     global_buffer
      - .offset:         144
        .size:           4
        .value_kind:     hidden_block_count_x
      - .offset:         148
        .size:           4
        .value_kind:     hidden_block_count_y
      - .offset:         152
        .size:           4
        .value_kind:     hidden_block_count_z
      - .offset:         156
        .size:           2
        .value_kind:     hidden_group_size_x
      - .offset:         158
        .size:           2
        .value_kind:     hidden_group_size_y
      - .offset:         160
        .size:           2
        .value_kind:     hidden_group_size_z
      - .offset:         162
        .size:           2
        .value_kind:     hidden_remainder_x
      - .offset:         164
        .size:           2
        .value_kind:     hidden_remainder_y
      - .offset:         166
        .size:           2
        .value_kind:     hidden_remainder_z
      - .offset:         184
        .size:           8
        .value_kind:     hidden_global_offset_x
      - .offset:         192
        .size:           8
        .value_kind:     hidden_global_offset_y
      - .offset:         200
        .size:           8
        .value_kind:     hidden_global_offset_z
      - .offset:         208
        .size:           2
        .value_kind:     hidden_grid_dims
    .group_segment_fixed_size: 8192
    .kernarg_segment_align: 8
    .kernarg_segment_size: 400
    .language:       OpenCL C
    .language_version:
      - 2
      - 0
    .max_flat_workgroup_size: 256
    .name:           _Z39paged_attention_ll4mi_QKV_mfma16_kernelIDF16_DF16_LN4vllm18Fp8KVCacheDataTypeE0EhLi32ELi128ELi256ELb1ELi15EEvPKT_PKT0_S7_ifPKiS9_S9_iPKfiiiPfSC_PS2_PT2_iSB_SB_
    .private_segment_fixed_size: 0
    .sgpr_count:     48
    .sgpr_spill_count: 0
    .symbol:         _Z39paged_attention_ll4mi_QKV_mfma16_kernelIDF16_DF16_LN4vllm18Fp8KVCacheDataTypeE0EhLi32ELi128ELi256ELb1ELi15EEvPKT_PKT0_S7_ifPKiS9_S9_iPKfiiiPfSC_PS2_PT2_iSB_SB_.kd
    .uniform_work_group_size: 1
    .uses_dynamic_stack: false
    .vgpr_count:     96
    .vgpr_spill_count: 0
    .wavefront_size: 64
  - .agpr_count:     0
    .args:
      - .actual_access:  read_only
        .address_space:  global
        .offset:         0
        .size:           8
        .value_kind:     global_buffer
      - .actual_access:  read_only
        .address_space:  global
        .offset:         8
        .size:           8
        .value_kind:     global_buffer
      - .actual_access:  read_only
        .address_space:  global
        .offset:         16
        .size:           8
        .value_kind:     global_buffer
      - .offset:         24
        .size:           4
        .value_kind:     by_value
      - .offset:         28
        .size:           4
        .value_kind:     by_value
      - .actual_access:  read_only
        .address_space:  global
        .offset:         32
        .size:           8
        .value_kind:     global_buffer
      - .actual_access:  read_only
        .address_space:  global
        .offset:         40
        .size:           8
        .value_kind:     global_buffer
      - .actual_access:  read_only
        .address_space:  global
        .offset:         48
        .size:           8
        .value_kind:     global_buffer
      - .offset:         56
        .size:           4
        .value_kind:     by_value
      - .actual_access:  read_only
        .address_space:  global
        .offset:         64
        .size:           8
        .value_kind:     global_buffer
      - .offset:         72
        .size:           4
        .value_kind:     by_value
      - .offset:         76
        .size:           4
        .value_kind:     by_value
      - .offset:         80
        .size:           4
        .value_kind:     by_value
      - .actual_access:  write_only
        .address_space:  global
        .offset:         88
        .size:           8
        .value_kind:     global_buffer
      - .actual_access:  write_only
        .address_space:  global
        .offset:         96
        .size:           8
        .value_kind:     global_buffer
      - .actual_access:  write_only
        .address_space:  global
        .offset:         104
        .size:           8
        .value_kind:     global_buffer
      - .actual_access:  read_only
        .address_space:  global
        .offset:         112
        .size:           8
        .value_kind:     global_buffer
      - .offset:         120
        .size:           4
        .value_kind:     by_value
      - .address_space:  global
        .offset:         128
        .size:           8
        .value_kind:     global_buffer
      - .address_space:  global
        .offset:         136
        .size:           8
        .value_kind:     global_buffer
      - .offset:         144
        .size:           4
        .value_kind:     hidden_block_count_x
      - .offset:         148
        .size:           4
        .value_kind:     hidden_block_count_y
      - .offset:         152
        .size:           4
        .value_kind:     hidden_block_count_z
      - .offset:         156
        .size:           2
        .value_kind:     hidden_group_size_x
      - .offset:         158
        .size:           2
        .value_kind:     hidden_group_size_y
      - .offset:         160
        .size:           2
        .value_kind:     hidden_group_size_z
      - .offset:         162
        .size:           2
        .value_kind:     hidden_remainder_x
      - .offset:         164
        .size:           2
        .value_kind:     hidden_remainder_y
      - .offset:         166
        .size:           2
        .value_kind:     hidden_remainder_z
      - .offset:         184
        .size:           8
        .value_kind:     hidden_global_offset_x
      - .offset:         192
        .size:           8
        .value_kind:     hidden_global_offset_y
      - .offset:         200
        .size:           8
        .value_kind:     hidden_global_offset_z
      - .offset:         208
        .size:           2
        .value_kind:     hidden_grid_dims
    .group_segment_fixed_size: 8192
    .kernarg_segment_align: 8
    .kernarg_segment_size: 400
    .language:       OpenCL C
    .language_version:
      - 2
      - 0
    .max_flat_workgroup_size: 256
    .name:           _Z39paged_attention_ll4mi_QKV_mfma16_kernelIDF16_DF16_LN4vllm18Fp8KVCacheDataTypeE0EhLi32ELi128ELi256ELb1ELi16EEvPKT_PKT0_S7_ifPKiS9_S9_iPKfiiiPfSC_PS2_PT2_iSB_SB_
    .private_segment_fixed_size: 28
    .sgpr_count:     47
    .sgpr_spill_count: 0
    .symbol:         _Z39paged_attention_ll4mi_QKV_mfma16_kernelIDF16_DF16_LN4vllm18Fp8KVCacheDataTypeE0EhLi32ELi128ELi256ELb1ELi16EEvPKT_PKT0_S7_ifPKiS9_S9_iPKfiiiPfSC_PS2_PT2_iSB_SB_.kd
    .uniform_work_group_size: 1
    .uses_dynamic_stack: false
    .vgpr_count:     96
    .vgpr_spill_count: 6
    .wavefront_size: 64
  - .agpr_count:     0
    .args:
      - .actual_access:  read_only
        .address_space:  global
        .offset:         0
        .size:           8
        .value_kind:     global_buffer
      - .actual_access:  read_only
        .address_space:  global
        .offset:         8
        .size:           8
        .value_kind:     global_buffer
      - .actual_access:  read_only
        .address_space:  global
        .offset:         16
        .size:           8
        .value_kind:     global_buffer
      - .offset:         24
        .size:           4
        .value_kind:     by_value
      - .offset:         28
        .size:           4
        .value_kind:     by_value
      - .actual_access:  read_only
        .address_space:  global
        .offset:         32
        .size:           8
        .value_kind:     global_buffer
      - .actual_access:  read_only
        .address_space:  global
        .offset:         40
        .size:           8
        .value_kind:     global_buffer
      - .actual_access:  read_only
        .address_space:  global
        .offset:         48
        .size:           8
        .value_kind:     global_buffer
      - .offset:         56
        .size:           4
        .value_kind:     by_value
      - .actual_access:  read_only
        .address_space:  global
        .offset:         64
        .size:           8
        .value_kind:     global_buffer
      - .offset:         72
        .size:           4
        .value_kind:     by_value
      - .offset:         76
        .size:           4
        .value_kind:     by_value
      - .offset:         80
        .size:           4
        .value_kind:     by_value
      - .actual_access:  write_only
        .address_space:  global
        .offset:         88
        .size:           8
        .value_kind:     global_buffer
      - .actual_access:  write_only
        .address_space:  global
        .offset:         96
        .size:           8
        .value_kind:     global_buffer
      - .actual_access:  write_only
        .address_space:  global
        .offset:         104
        .size:           8
        .value_kind:     global_buffer
      - .actual_access:  read_only
        .address_space:  global
        .offset:         112
        .size:           8
        .value_kind:     global_buffer
      - .offset:         120
        .size:           4
        .value_kind:     by_value
      - .address_space:  global
        .offset:         128
        .size:           8
        .value_kind:     global_buffer
      - .address_space:  global
        .offset:         136
        .size:           8
        .value_kind:     global_buffer
      - .offset:         144
        .size:           4
        .value_kind:     hidden_block_count_x
      - .offset:         148
        .size:           4
        .value_kind:     hidden_block_count_y
      - .offset:         152
        .size:           4
        .value_kind:     hidden_block_count_z
      - .offset:         156
        .size:           2
        .value_kind:     hidden_group_size_x
      - .offset:         158
        .size:           2
        .value_kind:     hidden_group_size_y
      - .offset:         160
        .size:           2
        .value_kind:     hidden_group_size_z
      - .offset:         162
        .size:           2
        .value_kind:     hidden_remainder_x
      - .offset:         164
        .size:           2
        .value_kind:     hidden_remainder_y
      - .offset:         166
        .size:           2
        .value_kind:     hidden_remainder_z
      - .offset:         184
        .size:           8
        .value_kind:     hidden_global_offset_x
      - .offset:         192
        .size:           8
        .value_kind:     hidden_global_offset_y
      - .offset:         200
        .size:           8
        .value_kind:     hidden_global_offset_z
      - .offset:         208
        .size:           2
        .value_kind:     hidden_grid_dims
    .group_segment_fixed_size: 8192
    .kernarg_segment_align: 8
    .kernarg_segment_size: 400
    .language:       OpenCL C
    .language_version:
      - 2
      - 0
    .max_flat_workgroup_size: 256
    .name:           _Z39paged_attention_ll4mi_QKV_mfma16_kernelIDF16_DF16_LN4vllm18Fp8KVCacheDataTypeE0EhLi32ELi128ELi256ELb1ELi1EEvPKT_PKT0_S7_ifPKiS9_S9_iPKfiiiPfSC_PS2_PT2_iSB_SB_
    .private_segment_fixed_size: 12
    .sgpr_count:     48
    .sgpr_spill_count: 0
    .symbol:         _Z39paged_attention_ll4mi_QKV_mfma16_kernelIDF16_DF16_LN4vllm18Fp8KVCacheDataTypeE0EhLi32ELi128ELi256ELb1ELi1EEvPKT_PKT0_S7_ifPKiS9_S9_iPKfiiiPfSC_PS2_PT2_iSB_SB_.kd
    .uniform_work_group_size: 1
    .uses_dynamic_stack: false
    .vgpr_count:     96
    .vgpr_spill_count: 6
    .wavefront_size: 64
  - .agpr_count:     0
    .args:
      - .actual_access:  read_only
        .address_space:  global
        .offset:         0
        .size:           8
        .value_kind:     global_buffer
      - .actual_access:  read_only
        .address_space:  global
        .offset:         8
        .size:           8
        .value_kind:     global_buffer
      - .actual_access:  read_only
        .address_space:  global
        .offset:         16
        .size:           8
        .value_kind:     global_buffer
      - .offset:         24
        .size:           4
        .value_kind:     by_value
      - .offset:         28
        .size:           4
        .value_kind:     by_value
      - .actual_access:  read_only
        .address_space:  global
        .offset:         32
        .size:           8
        .value_kind:     global_buffer
      - .actual_access:  read_only
        .address_space:  global
        .offset:         40
        .size:           8
        .value_kind:     global_buffer
      - .actual_access:  read_only
        .address_space:  global
        .offset:         48
        .size:           8
        .value_kind:     global_buffer
      - .offset:         56
        .size:           4
        .value_kind:     by_value
      - .actual_access:  read_only
        .address_space:  global
        .offset:         64
        .size:           8
        .value_kind:     global_buffer
      - .offset:         72
        .size:           4
        .value_kind:     by_value
      - .offset:         76
        .size:           4
        .value_kind:     by_value
      - .offset:         80
        .size:           4
        .value_kind:     by_value
      - .actual_access:  write_only
        .address_space:  global
        .offset:         88
        .size:           8
        .value_kind:     global_buffer
      - .actual_access:  write_only
        .address_space:  global
        .offset:         96
        .size:           8
        .value_kind:     global_buffer
      - .actual_access:  write_only
        .address_space:  global
        .offset:         104
        .size:           8
        .value_kind:     global_buffer
      - .actual_access:  read_only
        .address_space:  global
        .offset:         112
        .size:           8
        .value_kind:     global_buffer
      - .offset:         120
        .size:           4
        .value_kind:     by_value
      - .address_space:  global
        .offset:         128
        .size:           8
        .value_kind:     global_buffer
      - .address_space:  global
        .offset:         136
        .size:           8
        .value_kind:     global_buffer
      - .offset:         144
        .size:           4
        .value_kind:     hidden_block_count_x
      - .offset:         148
        .size:           4
        .value_kind:     hidden_block_count_y
      - .offset:         152
        .size:           4
        .value_kind:     hidden_block_count_z
      - .offset:         156
        .size:           2
        .value_kind:     hidden_group_size_x
      - .offset:         158
        .size:           2
        .value_kind:     hidden_group_size_y
      - .offset:         160
        .size:           2
        .value_kind:     hidden_group_size_z
      - .offset:         162
        .size:           2
        .value_kind:     hidden_remainder_x
      - .offset:         164
        .size:           2
        .value_kind:     hidden_remainder_y
      - .offset:         166
        .size:           2
        .value_kind:     hidden_remainder_z
      - .offset:         184
        .size:           8
        .value_kind:     hidden_global_offset_x
      - .offset:         192
        .size:           8
        .value_kind:     hidden_global_offset_y
      - .offset:         200
        .size:           8
        .value_kind:     hidden_global_offset_z
      - .offset:         208
        .size:           2
        .value_kind:     hidden_grid_dims
    .group_segment_fixed_size: 8192
    .kernarg_segment_align: 8
    .kernarg_segment_size: 400
    .language:       OpenCL C
    .language_version:
      - 2
      - 0
    .max_flat_workgroup_size: 256
    .name:           _Z39paged_attention_ll4mi_QKV_mfma16_kernelIDF16_DF16_LN4vllm18Fp8KVCacheDataTypeE0EhLi32ELi128ELi256ELb1ELi2EEvPKT_PKT0_S7_ifPKiS9_S9_iPKfiiiPfSC_PS2_PT2_iSB_SB_
    .private_segment_fixed_size: 0
    .sgpr_count:     47
    .sgpr_spill_count: 0
    .symbol:         _Z39paged_attention_ll4mi_QKV_mfma16_kernelIDF16_DF16_LN4vllm18Fp8KVCacheDataTypeE0EhLi32ELi128ELi256ELb1ELi2EEvPKT_PKT0_S7_ifPKiS9_S9_iPKfiiiPfSC_PS2_PT2_iSB_SB_.kd
    .uniform_work_group_size: 1
    .uses_dynamic_stack: false
    .vgpr_count:     96
    .vgpr_spill_count: 0
    .wavefront_size: 64
  - .agpr_count:     0
    .args:
      - .actual_access:  read_only
        .address_space:  global
        .offset:         0
        .size:           8
        .value_kind:     global_buffer
      - .actual_access:  read_only
        .address_space:  global
        .offset:         8
        .size:           8
        .value_kind:     global_buffer
      - .actual_access:  read_only
        .address_space:  global
        .offset:         16
        .size:           8
        .value_kind:     global_buffer
      - .offset:         24
        .size:           4
        .value_kind:     by_value
      - .offset:         28
        .size:           4
        .value_kind:     by_value
      - .actual_access:  read_only
        .address_space:  global
        .offset:         32
        .size:           8
        .value_kind:     global_buffer
      - .actual_access:  read_only
        .address_space:  global
        .offset:         40
        .size:           8
        .value_kind:     global_buffer
      - .actual_access:  read_only
        .address_space:  global
        .offset:         48
        .size:           8
        .value_kind:     global_buffer
      - .offset:         56
        .size:           4
        .value_kind:     by_value
      - .actual_access:  read_only
        .address_space:  global
        .offset:         64
        .size:           8
        .value_kind:     global_buffer
      - .offset:         72
        .size:           4
        .value_kind:     by_value
      - .offset:         76
        .size:           4
        .value_kind:     by_value
      - .offset:         80
        .size:           4
        .value_kind:     by_value
      - .actual_access:  write_only
        .address_space:  global
        .offset:         88
        .size:           8
        .value_kind:     global_buffer
      - .actual_access:  write_only
        .address_space:  global
        .offset:         96
        .size:           8
        .value_kind:     global_buffer
      - .actual_access:  write_only
        .address_space:  global
        .offset:         104
        .size:           8
        .value_kind:     global_buffer
      - .actual_access:  read_only
        .address_space:  global
        .offset:         112
        .size:           8
        .value_kind:     global_buffer
      - .offset:         120
        .size:           4
        .value_kind:     by_value
      - .address_space:  global
        .offset:         128
        .size:           8
        .value_kind:     global_buffer
      - .address_space:  global
        .offset:         136
        .size:           8
        .value_kind:     global_buffer
      - .offset:         144
        .size:           4
        .value_kind:     hidden_block_count_x
      - .offset:         148
        .size:           4
        .value_kind:     hidden_block_count_y
      - .offset:         152
        .size:           4
        .value_kind:     hidden_block_count_z
      - .offset:         156
        .size:           2
        .value_kind:     hidden_group_size_x
      - .offset:         158
        .size:           2
        .value_kind:     hidden_group_size_y
      - .offset:         160
        .size:           2
        .value_kind:     hidden_group_size_z
      - .offset:         162
        .size:           2
        .value_kind:     hidden_remainder_x
      - .offset:         164
        .size:           2
        .value_kind:     hidden_remainder_y
      - .offset:         166
        .size:           2
        .value_kind:     hidden_remainder_z
      - .offset:         184
        .size:           8
        .value_kind:     hidden_global_offset_x
      - .offset:         192
        .size:           8
        .value_kind:     hidden_global_offset_y
      - .offset:         200
        .size:           8
        .value_kind:     hidden_global_offset_z
      - .offset:         208
        .size:           2
        .value_kind:     hidden_grid_dims
    .group_segment_fixed_size: 8192
    .kernarg_segment_align: 8
    .kernarg_segment_size: 400
    .language:       OpenCL C
    .language_version:
      - 2
      - 0
    .max_flat_workgroup_size: 256
    .name:           _Z39paged_attention_ll4mi_QKV_mfma16_kernelIDF16_DF16_LN4vllm18Fp8KVCacheDataTypeE0EhLi32ELi128ELi256ELb1ELi3EEvPKT_PKT0_S7_ifPKiS9_S9_iPKfiiiPfSC_PS2_PT2_iSB_SB_
    .private_segment_fixed_size: 8
    .sgpr_count:     48
    .sgpr_spill_count: 0
    .symbol:         _Z39paged_attention_ll4mi_QKV_mfma16_kernelIDF16_DF16_LN4vllm18Fp8KVCacheDataTypeE0EhLi32ELi128ELi256ELb1ELi3EEvPKT_PKT0_S7_ifPKiS9_S9_iPKfiiiPfSC_PS2_PT2_iSB_SB_.kd
    .uniform_work_group_size: 1
    .uses_dynamic_stack: false
    .vgpr_count:     96
    .vgpr_spill_count: 1
    .wavefront_size: 64
  - .agpr_count:     0
    .args:
      - .actual_access:  read_only
        .address_space:  global
        .offset:         0
        .size:           8
        .value_kind:     global_buffer
      - .actual_access:  read_only
        .address_space:  global
        .offset:         8
        .size:           8
        .value_kind:     global_buffer
      - .actual_access:  read_only
        .address_space:  global
        .offset:         16
        .size:           8
        .value_kind:     global_buffer
      - .offset:         24
        .size:           4
        .value_kind:     by_value
      - .offset:         28
        .size:           4
        .value_kind:     by_value
      - .actual_access:  read_only
        .address_space:  global
        .offset:         32
        .size:           8
        .value_kind:     global_buffer
      - .actual_access:  read_only
        .address_space:  global
        .offset:         40
        .size:           8
        .value_kind:     global_buffer
      - .actual_access:  read_only
        .address_space:  global
        .offset:         48
        .size:           8
        .value_kind:     global_buffer
      - .offset:         56
        .size:           4
        .value_kind:     by_value
      - .actual_access:  read_only
        .address_space:  global
        .offset:         64
        .size:           8
        .value_kind:     global_buffer
      - .offset:         72
        .size:           4
        .value_kind:     by_value
      - .offset:         76
        .size:           4
        .value_kind:     by_value
      - .offset:         80
        .size:           4
        .value_kind:     by_value
      - .actual_access:  write_only
        .address_space:  global
        .offset:         88
        .size:           8
        .value_kind:     global_buffer
      - .actual_access:  write_only
        .address_space:  global
        .offset:         96
        .size:           8
        .value_kind:     global_buffer
      - .actual_access:  write_only
        .address_space:  global
        .offset:         104
        .size:           8
        .value_kind:     global_buffer
      - .actual_access:  read_only
        .address_space:  global
        .offset:         112
        .size:           8
        .value_kind:     global_buffer
      - .offset:         120
        .size:           4
        .value_kind:     by_value
      - .address_space:  global
        .offset:         128
        .size:           8
        .value_kind:     global_buffer
      - .address_space:  global
        .offset:         136
        .size:           8
        .value_kind:     global_buffer
      - .offset:         144
        .size:           4
        .value_kind:     hidden_block_count_x
      - .offset:         148
        .size:           4
        .value_kind:     hidden_block_count_y
      - .offset:         152
        .size:           4
        .value_kind:     hidden_block_count_z
      - .offset:         156
        .size:           2
        .value_kind:     hidden_group_size_x
      - .offset:         158
        .size:           2
        .value_kind:     hidden_group_size_y
      - .offset:         160
        .size:           2
        .value_kind:     hidden_group_size_z
      - .offset:         162
        .size:           2
        .value_kind:     hidden_remainder_x
      - .offset:         164
        .size:           2
        .value_kind:     hidden_remainder_y
      - .offset:         166
        .size:           2
        .value_kind:     hidden_remainder_z
      - .offset:         184
        .size:           8
        .value_kind:     hidden_global_offset_x
      - .offset:         192
        .size:           8
        .value_kind:     hidden_global_offset_y
      - .offset:         200
        .size:           8
        .value_kind:     hidden_global_offset_z
      - .offset:         208
        .size:           2
        .value_kind:     hidden_grid_dims
    .group_segment_fixed_size: 8192
    .kernarg_segment_align: 8
    .kernarg_segment_size: 400
    .language:       OpenCL C
    .language_version:
      - 2
      - 0
    .max_flat_workgroup_size: 256
    .name:           _Z39paged_attention_ll4mi_QKV_mfma16_kernelIDF16_DF16_LN4vllm18Fp8KVCacheDataTypeE0EhLi32ELi128ELi256ELb1ELi4EEvPKT_PKT0_S7_ifPKiS9_S9_iPKfiiiPfSC_PS2_PT2_iSB_SB_
    .private_segment_fixed_size: 12
    .sgpr_count:     49
    .sgpr_spill_count: 0
    .symbol:         _Z39paged_attention_ll4mi_QKV_mfma16_kernelIDF16_DF16_LN4vllm18Fp8KVCacheDataTypeE0EhLi32ELi128ELi256ELb1ELi4EEvPKT_PKT0_S7_ifPKiS9_S9_iPKfiiiPfSC_PS2_PT2_iSB_SB_.kd
    .uniform_work_group_size: 1
    .uses_dynamic_stack: false
    .vgpr_count:     96
    .vgpr_spill_count: 2
    .wavefront_size: 64
  - .agpr_count:     8
    .args:
      - .actual_access:  read_only
        .address_space:  global
        .offset:         0
        .size:           8
        .value_kind:     global_buffer
      - .actual_access:  read_only
        .address_space:  global
        .offset:         8
        .size:           8
        .value_kind:     global_buffer
      - .actual_access:  read_only
        .address_space:  global
        .offset:         16
        .size:           8
        .value_kind:     global_buffer
      - .offset:         24
        .size:           4
        .value_kind:     by_value
      - .offset:         28
        .size:           4
        .value_kind:     by_value
      - .actual_access:  read_only
        .address_space:  global
        .offset:         32
        .size:           8
        .value_kind:     global_buffer
      - .actual_access:  read_only
        .address_space:  global
        .offset:         40
        .size:           8
        .value_kind:     global_buffer
      - .actual_access:  read_only
        .address_space:  global
        .offset:         48
        .size:           8
        .value_kind:     global_buffer
      - .offset:         56
        .size:           4
        .value_kind:     by_value
      - .actual_access:  read_only
        .address_space:  global
        .offset:         64
        .size:           8
        .value_kind:     global_buffer
      - .offset:         72
        .size:           4
        .value_kind:     by_value
      - .offset:         76
        .size:           4
        .value_kind:     by_value
      - .offset:         80
        .size:           4
        .value_kind:     by_value
      - .actual_access:  write_only
        .address_space:  global
        .offset:         88
        .size:           8
        .value_kind:     global_buffer
      - .actual_access:  write_only
        .address_space:  global
        .offset:         96
        .size:           8
        .value_kind:     global_buffer
      - .actual_access:  write_only
        .address_space:  global
        .offset:         104
        .size:           8
        .value_kind:     global_buffer
      - .actual_access:  read_only
        .address_space:  global
        .offset:         112
        .size:           8
        .value_kind:     global_buffer
      - .offset:         120
        .size:           4
        .value_kind:     by_value
      - .address_space:  global
        .offset:         128
        .size:           8
        .value_kind:     global_buffer
      - .address_space:  global
        .offset:         136
        .size:           8
        .value_kind:     global_buffer
      - .offset:         144
        .size:           4
        .value_kind:     hidden_block_count_x
      - .offset:         148
        .size:           4
        .value_kind:     hidden_block_count_y
      - .offset:         152
        .size:           4
        .value_kind:     hidden_block_count_z
      - .offset:         156
        .size:           2
        .value_kind:     hidden_group_size_x
      - .offset:         158
        .size:           2
        .value_kind:     hidden_group_size_y
      - .offset:         160
        .size:           2
        .value_kind:     hidden_group_size_z
      - .offset:         162
        .size:           2
        .value_kind:     hidden_remainder_x
      - .offset:         164
        .size:           2
        .value_kind:     hidden_remainder_y
      - .offset:         166
        .size:           2
        .value_kind:     hidden_remainder_z
      - .offset:         184
        .size:           8
        .value_kind:     hidden_global_offset_x
      - .offset:         192
        .size:           8
        .value_kind:     hidden_global_offset_y
      - .offset:         200
        .size:           8
        .value_kind:     hidden_global_offset_z
      - .offset:         208
        .size:           2
        .value_kind:     hidden_grid_dims
    .group_segment_fixed_size: 5280
    .kernarg_segment_align: 8
    .kernarg_segment_size: 400
    .language:       OpenCL C
    .language_version:
      - 2
      - 0
    .max_flat_workgroup_size: 256
    .name:           _Z38paged_attention_ll4mi_QKV_mfma4_kernelIDF16_DF16_LN4vllm18Fp8KVCacheDataTypeE0EhLi32ELi128ELi256ELb0ELi1EEvPKT_PKT0_S7_ifPKiS9_S9_iPKfiiiPfSC_PS2_PT2_iSB_SB_
    .private_segment_fixed_size: 0
    .sgpr_count:     44
    .sgpr_spill_count: 0
    .symbol:         _Z38paged_attention_ll4mi_QKV_mfma4_kernelIDF16_DF16_LN4vllm18Fp8KVCacheDataTypeE0EhLi32ELi128ELi256ELb0ELi1EEvPKT_PKT0_S7_ifPKiS9_S9_iPKfiiiPfSC_PS2_PT2_iSB_SB_.kd
    .uniform_work_group_size: 1
    .uses_dynamic_stack: false
    .vgpr_count:     100
    .vgpr_spill_count: 0
    .wavefront_size: 64
  - .agpr_count:     8
    .args:
      - .actual_access:  read_only
        .address_space:  global
        .offset:         0
        .size:           8
        .value_kind:     global_buffer
      - .actual_access:  read_only
        .address_space:  global
        .offset:         8
        .size:           8
        .value_kind:     global_buffer
      - .actual_access:  read_only
        .address_space:  global
        .offset:         16
        .size:           8
        .value_kind:     global_buffer
      - .offset:         24
        .size:           4
        .value_kind:     by_value
      - .offset:         28
        .size:           4
        .value_kind:     by_value
      - .actual_access:  read_only
        .address_space:  global
        .offset:         32
        .size:           8
        .value_kind:     global_buffer
      - .actual_access:  read_only
        .address_space:  global
        .offset:         40
        .size:           8
        .value_kind:     global_buffer
      - .actual_access:  read_only
        .address_space:  global
        .offset:         48
        .size:           8
        .value_kind:     global_buffer
      - .offset:         56
        .size:           4
        .value_kind:     by_value
      - .actual_access:  read_only
        .address_space:  global
        .offset:         64
        .size:           8
        .value_kind:     global_buffer
      - .offset:         72
        .size:           4
        .value_kind:     by_value
      - .offset:         76
        .size:           4
        .value_kind:     by_value
      - .offset:         80
        .size:           4
        .value_kind:     by_value
      - .actual_access:  write_only
        .address_space:  global
        .offset:         88
        .size:           8
        .value_kind:     global_buffer
      - .actual_access:  write_only
        .address_space:  global
        .offset:         96
        .size:           8
        .value_kind:     global_buffer
      - .actual_access:  write_only
        .address_space:  global
        .offset:         104
        .size:           8
        .value_kind:     global_buffer
      - .actual_access:  read_only
        .address_space:  global
        .offset:         112
        .size:           8
        .value_kind:     global_buffer
      - .offset:         120
        .size:           4
        .value_kind:     by_value
      - .address_space:  global
        .offset:         128
        .size:           8
        .value_kind:     global_buffer
      - .address_space:  global
        .offset:         136
        .size:           8
        .value_kind:     global_buffer
      - .offset:         144
        .size:           4
        .value_kind:     hidden_block_count_x
      - .offset:         148
        .size:           4
        .value_kind:     hidden_block_count_y
      - .offset:         152
        .size:           4
        .value_kind:     hidden_block_count_z
      - .offset:         156
        .size:           2
        .value_kind:     hidden_group_size_x
      - .offset:         158
        .size:           2
        .value_kind:     hidden_group_size_y
      - .offset:         160
        .size:           2
        .value_kind:     hidden_group_size_z
      - .offset:         162
        .size:           2
        .value_kind:     hidden_remainder_x
      - .offset:         164
        .size:           2
        .value_kind:     hidden_remainder_y
      - .offset:         166
        .size:           2
        .value_kind:     hidden_remainder_z
      - .offset:         184
        .size:           8
        .value_kind:     hidden_global_offset_x
      - .offset:         192
        .size:           8
        .value_kind:     hidden_global_offset_y
      - .offset:         200
        .size:           8
        .value_kind:     hidden_global_offset_z
      - .offset:         208
        .size:           2
        .value_kind:     hidden_grid_dims
    .group_segment_fixed_size: 5280
    .kernarg_segment_align: 8
    .kernarg_segment_size: 400
    .language:       OpenCL C
    .language_version:
      - 2
      - 0
    .max_flat_workgroup_size: 256
    .name:           _Z38paged_attention_ll4mi_QKV_mfma4_kernelIDF16_DF16_LN4vllm18Fp8KVCacheDataTypeE0EhLi32ELi128ELi256ELb0ELi2EEvPKT_PKT0_S7_ifPKiS9_S9_iPKfiiiPfSC_PS2_PT2_iSB_SB_
    .private_segment_fixed_size: 0
    .sgpr_count:     44
    .sgpr_spill_count: 0
    .symbol:         _Z38paged_attention_ll4mi_QKV_mfma4_kernelIDF16_DF16_LN4vllm18Fp8KVCacheDataTypeE0EhLi32ELi128ELi256ELb0ELi2EEvPKT_PKT0_S7_ifPKiS9_S9_iPKfiiiPfSC_PS2_PT2_iSB_SB_.kd
    .uniform_work_group_size: 1
    .uses_dynamic_stack: false
    .vgpr_count:     100
    .vgpr_spill_count: 0
    .wavefront_size: 64
  - .agpr_count:     8
    .args:
      - .actual_access:  read_only
        .address_space:  global
        .offset:         0
        .size:           8
        .value_kind:     global_buffer
      - .actual_access:  read_only
        .address_space:  global
        .offset:         8
        .size:           8
        .value_kind:     global_buffer
      - .actual_access:  read_only
        .address_space:  global
        .offset:         16
        .size:           8
        .value_kind:     global_buffer
      - .offset:         24
        .size:           4
        .value_kind:     by_value
      - .offset:         28
        .size:           4
        .value_kind:     by_value
      - .actual_access:  read_only
        .address_space:  global
        .offset:         32
        .size:           8
        .value_kind:     global_buffer
      - .actual_access:  read_only
        .address_space:  global
        .offset:         40
        .size:           8
        .value_kind:     global_buffer
      - .actual_access:  read_only
        .address_space:  global
        .offset:         48
        .size:           8
        .value_kind:     global_buffer
      - .offset:         56
        .size:           4
        .value_kind:     by_value
      - .actual_access:  read_only
        .address_space:  global
        .offset:         64
        .size:           8
        .value_kind:     global_buffer
      - .offset:         72
        .size:           4
        .value_kind:     by_value
      - .offset:         76
        .size:           4
        .value_kind:     by_value
      - .offset:         80
        .size:           4
        .value_kind:     by_value
      - .actual_access:  write_only
        .address_space:  global
        .offset:         88
        .size:           8
        .value_kind:     global_buffer
      - .actual_access:  write_only
        .address_space:  global
        .offset:         96
        .size:           8
        .value_kind:     global_buffer
      - .actual_access:  write_only
        .address_space:  global
        .offset:         104
        .size:           8
        .value_kind:     global_buffer
      - .actual_access:  read_only
        .address_space:  global
        .offset:         112
        .size:           8
        .value_kind:     global_buffer
      - .offset:         120
        .size:           4
        .value_kind:     by_value
      - .address_space:  global
        .offset:         128
        .size:           8
        .value_kind:     global_buffer
      - .address_space:  global
        .offset:         136
        .size:           8
        .value_kind:     global_buffer
      - .offset:         144
        .size:           4
        .value_kind:     hidden_block_count_x
      - .offset:         148
        .size:           4
        .value_kind:     hidden_block_count_y
      - .offset:         152
        .size:           4
        .value_kind:     hidden_block_count_z
      - .offset:         156
        .size:           2
        .value_kind:     hidden_group_size_x
      - .offset:         158
        .size:           2
        .value_kind:     hidden_group_size_y
      - .offset:         160
        .size:           2
        .value_kind:     hidden_group_size_z
      - .offset:         162
        .size:           2
        .value_kind:     hidden_remainder_x
      - .offset:         164
        .size:           2
        .value_kind:     hidden_remainder_y
      - .offset:         166
        .size:           2
        .value_kind:     hidden_remainder_z
      - .offset:         184
        .size:           8
        .value_kind:     hidden_global_offset_x
      - .offset:         192
        .size:           8
        .value_kind:     hidden_global_offset_y
      - .offset:         200
        .size:           8
        .value_kind:     hidden_global_offset_z
      - .offset:         208
        .size:           2
        .value_kind:     hidden_grid_dims
    .group_segment_fixed_size: 5280
    .kernarg_segment_align: 8
    .kernarg_segment_size: 400
    .language:       OpenCL C
    .language_version:
      - 2
      - 0
    .max_flat_workgroup_size: 256
    .name:           _Z38paged_attention_ll4mi_QKV_mfma4_kernelIDF16_DF16_LN4vllm18Fp8KVCacheDataTypeE0EhLi32ELi128ELi256ELb0ELi3EEvPKT_PKT0_S7_ifPKiS9_S9_iPKfiiiPfSC_PS2_PT2_iSB_SB_
    .private_segment_fixed_size: 0
    .sgpr_count:     44
    .sgpr_spill_count: 0
    .symbol:         _Z38paged_attention_ll4mi_QKV_mfma4_kernelIDF16_DF16_LN4vllm18Fp8KVCacheDataTypeE0EhLi32ELi128ELi256ELb0ELi3EEvPKT_PKT0_S7_ifPKiS9_S9_iPKfiiiPfSC_PS2_PT2_iSB_SB_.kd
    .uniform_work_group_size: 1
    .uses_dynamic_stack: false
    .vgpr_count:     100
    .vgpr_spill_count: 0
    .wavefront_size: 64
  - .agpr_count:     8
    .args:
      - .actual_access:  read_only
        .address_space:  global
        .offset:         0
        .size:           8
        .value_kind:     global_buffer
      - .actual_access:  read_only
        .address_space:  global
        .offset:         8
        .size:           8
        .value_kind:     global_buffer
      - .actual_access:  read_only
        .address_space:  global
        .offset:         16
        .size:           8
        .value_kind:     global_buffer
      - .offset:         24
        .size:           4
        .value_kind:     by_value
      - .offset:         28
        .size:           4
        .value_kind:     by_value
      - .actual_access:  read_only
        .address_space:  global
        .offset:         32
        .size:           8
        .value_kind:     global_buffer
      - .actual_access:  read_only
        .address_space:  global
        .offset:         40
        .size:           8
        .value_kind:     global_buffer
      - .actual_access:  read_only
        .address_space:  global
        .offset:         48
        .size:           8
        .value_kind:     global_buffer
      - .offset:         56
        .size:           4
        .value_kind:     by_value
      - .actual_access:  read_only
        .address_space:  global
        .offset:         64
        .size:           8
        .value_kind:     global_buffer
      - .offset:         72
        .size:           4
        .value_kind:     by_value
      - .offset:         76
        .size:           4
        .value_kind:     by_value
      - .offset:         80
        .size:           4
        .value_kind:     by_value
      - .actual_access:  write_only
        .address_space:  global
        .offset:         88
        .size:           8
        .value_kind:     global_buffer
      - .actual_access:  write_only
        .address_space:  global
        .offset:         96
        .size:           8
        .value_kind:     global_buffer
      - .actual_access:  write_only
        .address_space:  global
        .offset:         104
        .size:           8
        .value_kind:     global_buffer
      - .actual_access:  read_only
        .address_space:  global
        .offset:         112
        .size:           8
        .value_kind:     global_buffer
      - .offset:         120
        .size:           4
        .value_kind:     by_value
      - .address_space:  global
        .offset:         128
        .size:           8
        .value_kind:     global_buffer
      - .address_space:  global
        .offset:         136
        .size:           8
        .value_kind:     global_buffer
      - .offset:         144
        .size:           4
        .value_kind:     hidden_block_count_x
      - .offset:         148
        .size:           4
        .value_kind:     hidden_block_count_y
      - .offset:         152
        .size:           4
        .value_kind:     hidden_block_count_z
      - .offset:         156
        .size:           2
        .value_kind:     hidden_group_size_x
      - .offset:         158
        .size:           2
        .value_kind:     hidden_group_size_y
      - .offset:         160
        .size:           2
        .value_kind:     hidden_group_size_z
      - .offset:         162
        .size:           2
        .value_kind:     hidden_remainder_x
      - .offset:         164
        .size:           2
        .value_kind:     hidden_remainder_y
      - .offset:         166
        .size:           2
        .value_kind:     hidden_remainder_z
      - .offset:         184
        .size:           8
        .value_kind:     hidden_global_offset_x
      - .offset:         192
        .size:           8
        .value_kind:     hidden_global_offset_y
      - .offset:         200
        .size:           8
        .value_kind:     hidden_global_offset_z
      - .offset:         208
        .size:           2
        .value_kind:     hidden_grid_dims
    .group_segment_fixed_size: 5280
    .kernarg_segment_align: 8
    .kernarg_segment_size: 400
    .language:       OpenCL C
    .language_version:
      - 2
      - 0
    .max_flat_workgroup_size: 256
    .name:           _Z38paged_attention_ll4mi_QKV_mfma4_kernelIDF16_DF16_LN4vllm18Fp8KVCacheDataTypeE0EhLi32ELi128ELi256ELb0ELi4EEvPKT_PKT0_S7_ifPKiS9_S9_iPKfiiiPfSC_PS2_PT2_iSB_SB_
    .private_segment_fixed_size: 0
    .sgpr_count:     44
    .sgpr_spill_count: 0
    .symbol:         _Z38paged_attention_ll4mi_QKV_mfma4_kernelIDF16_DF16_LN4vllm18Fp8KVCacheDataTypeE0EhLi32ELi128ELi256ELb0ELi4EEvPKT_PKT0_S7_ifPKiS9_S9_iPKfiiiPfSC_PS2_PT2_iSB_SB_.kd
    .uniform_work_group_size: 1
    .uses_dynamic_stack: false
    .vgpr_count:     100
    .vgpr_spill_count: 0
    .wavefront_size: 64
  - .agpr_count:     0
    .args:
      - .actual_access:  read_only
        .address_space:  global
        .offset:         0
        .size:           8
        .value_kind:     global_buffer
      - .actual_access:  read_only
        .address_space:  global
        .offset:         8
        .size:           8
        .value_kind:     global_buffer
      - .actual_access:  read_only
        .address_space:  global
        .offset:         16
        .size:           8
        .value_kind:     global_buffer
      - .offset:         24
        .size:           4
        .value_kind:     by_value
      - .offset:         28
        .size:           4
        .value_kind:     by_value
      - .actual_access:  read_only
        .address_space:  global
        .offset:         32
        .size:           8
        .value_kind:     global_buffer
      - .actual_access:  read_only
        .address_space:  global
        .offset:         40
        .size:           8
        .value_kind:     global_buffer
      - .actual_access:  read_only
        .address_space:  global
        .offset:         48
        .size:           8
        .value_kind:     global_buffer
      - .offset:         56
        .size:           4
        .value_kind:     by_value
      - .actual_access:  read_only
        .address_space:  global
        .offset:         64
        .size:           8
        .value_kind:     global_buffer
      - .offset:         72
        .size:           4
        .value_kind:     by_value
      - .offset:         76
        .size:           4
        .value_kind:     by_value
      - .offset:         80
        .size:           4
        .value_kind:     by_value
      - .actual_access:  write_only
        .address_space:  global
        .offset:         88
        .size:           8
        .value_kind:     global_buffer
      - .actual_access:  write_only
        .address_space:  global
        .offset:         96
        .size:           8
        .value_kind:     global_buffer
      - .actual_access:  write_only
        .address_space:  global
        .offset:         104
        .size:           8
        .value_kind:     global_buffer
      - .actual_access:  read_only
        .address_space:  global
        .offset:         112
        .size:           8
        .value_kind:     global_buffer
      - .offset:         120
        .size:           4
        .value_kind:     by_value
      - .address_space:  global
        .offset:         128
        .size:           8
        .value_kind:     global_buffer
      - .address_space:  global
        .offset:         136
        .size:           8
        .value_kind:     global_buffer
      - .offset:         144
        .size:           4
        .value_kind:     hidden_block_count_x
      - .offset:         148
        .size:           4
        .value_kind:     hidden_block_count_y
      - .offset:         152
        .size:           4
        .value_kind:     hidden_block_count_z
      - .offset:         156
        .size:           2
        .value_kind:     hidden_group_size_x
      - .offset:         158
        .size:           2
        .value_kind:     hidden_group_size_y
      - .offset:         160
        .size:           2
        .value_kind:     hidden_group_size_z
      - .offset:         162
        .size:           2
        .value_kind:     hidden_remainder_x
      - .offset:         164
        .size:           2
        .value_kind:     hidden_remainder_y
      - .offset:         166
        .size:           2
        .value_kind:     hidden_remainder_z
      - .offset:         184
        .size:           8
        .value_kind:     hidden_global_offset_x
      - .offset:         192
        .size:           8
        .value_kind:     hidden_global_offset_y
      - .offset:         200
        .size:           8
        .value_kind:     hidden_global_offset_z
      - .offset:         208
        .size:           2
        .value_kind:     hidden_grid_dims
    .group_segment_fixed_size: 8192
    .kernarg_segment_align: 8
    .kernarg_segment_size: 400
    .language:       OpenCL C
    .language_version:
      - 2
      - 0
    .max_flat_workgroup_size: 256
    .name:           _Z39paged_attention_ll4mi_QKV_mfma16_kernelIDF16_DF16_LN4vllm18Fp8KVCacheDataTypeE0EhLi32ELi128ELi256ELb0ELi5EEvPKT_PKT0_S7_ifPKiS9_S9_iPKfiiiPfSC_PS2_PT2_iSB_SB_
    .private_segment_fixed_size: 0
    .sgpr_count:     48
    .sgpr_spill_count: 0
    .symbol:         _Z39paged_attention_ll4mi_QKV_mfma16_kernelIDF16_DF16_LN4vllm18Fp8KVCacheDataTypeE0EhLi32ELi128ELi256ELb0ELi5EEvPKT_PKT0_S7_ifPKiS9_S9_iPKfiiiPfSC_PS2_PT2_iSB_SB_.kd
    .uniform_work_group_size: 1
    .uses_dynamic_stack: false
    .vgpr_count:     96
    .vgpr_spill_count: 0
    .wavefront_size: 64
  - .agpr_count:     0
    .args:
      - .actual_access:  read_only
        .address_space:  global
        .offset:         0
        .size:           8
        .value_kind:     global_buffer
      - .actual_access:  read_only
        .address_space:  global
        .offset:         8
        .size:           8
        .value_kind:     global_buffer
      - .actual_access:  read_only
        .address_space:  global
        .offset:         16
        .size:           8
        .value_kind:     global_buffer
      - .offset:         24
        .size:           4
        .value_kind:     by_value
      - .offset:         28
        .size:           4
        .value_kind:     by_value
      - .actual_access:  read_only
        .address_space:  global
        .offset:         32
        .size:           8
        .value_kind:     global_buffer
      - .actual_access:  read_only
        .address_space:  global
        .offset:         40
        .size:           8
        .value_kind:     global_buffer
      - .actual_access:  read_only
        .address_space:  global
        .offset:         48
        .size:           8
        .value_kind:     global_buffer
      - .offset:         56
        .size:           4
        .value_kind:     by_value
      - .actual_access:  read_only
        .address_space:  global
        .offset:         64
        .size:           8
        .value_kind:     global_buffer
      - .offset:         72
        .size:           4
        .value_kind:     by_value
      - .offset:         76
        .size:           4
        .value_kind:     by_value
      - .offset:         80
        .size:           4
        .value_kind:     by_value
      - .actual_access:  write_only
        .address_space:  global
        .offset:         88
        .size:           8
        .value_kind:     global_buffer
      - .actual_access:  write_only
        .address_space:  global
        .offset:         96
        .size:           8
        .value_kind:     global_buffer
      - .actual_access:  write_only
        .address_space:  global
        .offset:         104
        .size:           8
        .value_kind:     global_buffer
      - .actual_access:  read_only
        .address_space:  global
        .offset:         112
        .size:           8
        .value_kind:     global_buffer
      - .offset:         120
        .size:           4
        .value_kind:     by_value
      - .address_space:  global
        .offset:         128
        .size:           8
        .value_kind:     global_buffer
      - .address_space:  global
        .offset:         136
        .size:           8
        .value_kind:     global_buffer
      - .offset:         144
        .size:           4
        .value_kind:     hidden_block_count_x
      - .offset:         148
        .size:           4
        .value_kind:     hidden_block_count_y
      - .offset:         152
        .size:           4
        .value_kind:     hidden_block_count_z
      - .offset:         156
        .size:           2
        .value_kind:     hidden_group_size_x
      - .offset:         158
        .size:           2
        .value_kind:     hidden_group_size_y
      - .offset:         160
        .size:           2
        .value_kind:     hidden_group_size_z
      - .offset:         162
        .size:           2
        .value_kind:     hidden_remainder_x
      - .offset:         164
        .size:           2
        .value_kind:     hidden_remainder_y
      - .offset:         166
        .size:           2
        .value_kind:     hidden_remainder_z
      - .offset:         184
        .size:           8
        .value_kind:     hidden_global_offset_x
      - .offset:         192
        .size:           8
        .value_kind:     hidden_global_offset_y
      - .offset:         200
        .size:           8
        .value_kind:     hidden_global_offset_z
      - .offset:         208
        .size:           2
        .value_kind:     hidden_grid_dims
    .group_segment_fixed_size: 8192
    .kernarg_segment_align: 8
    .kernarg_segment_size: 400
    .language:       OpenCL C
    .language_version:
      - 2
      - 0
    .max_flat_workgroup_size: 256
    .name:           _Z39paged_attention_ll4mi_QKV_mfma16_kernelIDF16_DF16_LN4vllm18Fp8KVCacheDataTypeE0EhLi32ELi128ELi256ELb0ELi6EEvPKT_PKT0_S7_ifPKiS9_S9_iPKfiiiPfSC_PS2_PT2_iSB_SB_
    .private_segment_fixed_size: 0
    .sgpr_count:     48
    .sgpr_spill_count: 0
    .symbol:         _Z39paged_attention_ll4mi_QKV_mfma16_kernelIDF16_DF16_LN4vllm18Fp8KVCacheDataTypeE0EhLi32ELi128ELi256ELb0ELi6EEvPKT_PKT0_S7_ifPKiS9_S9_iPKfiiiPfSC_PS2_PT2_iSB_SB_.kd
    .uniform_work_group_size: 1
    .uses_dynamic_stack: false
    .vgpr_count:     96
    .vgpr_spill_count: 0
    .wavefront_size: 64
  - .agpr_count:     0
    .args:
      - .actual_access:  read_only
        .address_space:  global
        .offset:         0
        .size:           8
        .value_kind:     global_buffer
      - .actual_access:  read_only
        .address_space:  global
        .offset:         8
        .size:           8
        .value_kind:     global_buffer
      - .actual_access:  read_only
        .address_space:  global
        .offset:         16
        .size:           8
        .value_kind:     global_buffer
      - .offset:         24
        .size:           4
        .value_kind:     by_value
      - .offset:         28
        .size:           4
        .value_kind:     by_value
      - .actual_access:  read_only
        .address_space:  global
        .offset:         32
        .size:           8
        .value_kind:     global_buffer
      - .actual_access:  read_only
        .address_space:  global
        .offset:         40
        .size:           8
        .value_kind:     global_buffer
      - .actual_access:  read_only
        .address_space:  global
        .offset:         48
        .size:           8
        .value_kind:     global_buffer
      - .offset:         56
        .size:           4
        .value_kind:     by_value
      - .actual_access:  read_only
        .address_space:  global
        .offset:         64
        .size:           8
        .value_kind:     global_buffer
      - .offset:         72
        .size:           4
        .value_kind:     by_value
      - .offset:         76
        .size:           4
        .value_kind:     by_value
      - .offset:         80
        .size:           4
        .value_kind:     by_value
      - .actual_access:  write_only
        .address_space:  global
        .offset:         88
        .size:           8
        .value_kind:     global_buffer
      - .actual_access:  write_only
        .address_space:  global
        .offset:         96
        .size:           8
        .value_kind:     global_buffer
      - .actual_access:  write_only
        .address_space:  global
        .offset:         104
        .size:           8
        .value_kind:     global_buffer
      - .actual_access:  read_only
        .address_space:  global
        .offset:         112
        .size:           8
        .value_kind:     global_buffer
      - .offset:         120
        .size:           4
        .value_kind:     by_value
      - .address_space:  global
        .offset:         128
        .size:           8
        .value_kind:     global_buffer
      - .address_space:  global
        .offset:         136
        .size:           8
        .value_kind:     global_buffer
      - .offset:         144
        .size:           4
        .value_kind:     hidden_block_count_x
      - .offset:         148
        .size:           4
        .value_kind:     hidden_block_count_y
      - .offset:         152
        .size:           4
        .value_kind:     hidden_block_count_z
      - .offset:         156
        .size:           2
        .value_kind:     hidden_group_size_x
      - .offset:         158
        .size:           2
        .value_kind:     hidden_group_size_y
      - .offset:         160
        .size:           2
        .value_kind:     hidden_group_size_z
      - .offset:         162
        .size:           2
        .value_kind:     hidden_remainder_x
      - .offset:         164
        .size:           2
        .value_kind:     hidden_remainder_y
      - .offset:         166
        .size:           2
        .value_kind:     hidden_remainder_z
      - .offset:         184
        .size:           8
        .value_kind:     hidden_global_offset_x
      - .offset:         192
        .size:           8
        .value_kind:     hidden_global_offset_y
      - .offset:         200
        .size:           8
        .value_kind:     hidden_global_offset_z
      - .offset:         208
        .size:           2
        .value_kind:     hidden_grid_dims
    .group_segment_fixed_size: 8192
    .kernarg_segment_align: 8
    .kernarg_segment_size: 400
    .language:       OpenCL C
    .language_version:
      - 2
      - 0
    .max_flat_workgroup_size: 256
    .name:           _Z39paged_attention_ll4mi_QKV_mfma16_kernelIDF16_DF16_LN4vllm18Fp8KVCacheDataTypeE0EhLi32ELi128ELi256ELb0ELi7EEvPKT_PKT0_S7_ifPKiS9_S9_iPKfiiiPfSC_PS2_PT2_iSB_SB_
    .private_segment_fixed_size: 0
    .sgpr_count:     48
    .sgpr_spill_count: 0
    .symbol:         _Z39paged_attention_ll4mi_QKV_mfma16_kernelIDF16_DF16_LN4vllm18Fp8KVCacheDataTypeE0EhLi32ELi128ELi256ELb0ELi7EEvPKT_PKT0_S7_ifPKiS9_S9_iPKfiiiPfSC_PS2_PT2_iSB_SB_.kd
    .uniform_work_group_size: 1
    .uses_dynamic_stack: false
    .vgpr_count:     96
    .vgpr_spill_count: 0
    .wavefront_size: 64
  - .agpr_count:     0
    .args:
      - .actual_access:  read_only
        .address_space:  global
        .offset:         0
        .size:           8
        .value_kind:     global_buffer
      - .actual_access:  read_only
        .address_space:  global
        .offset:         8
        .size:           8
        .value_kind:     global_buffer
      - .actual_access:  read_only
        .address_space:  global
        .offset:         16
        .size:           8
        .value_kind:     global_buffer
      - .offset:         24
        .size:           4
        .value_kind:     by_value
      - .offset:         28
        .size:           4
        .value_kind:     by_value
      - .actual_access:  read_only
        .address_space:  global
        .offset:         32
        .size:           8
        .value_kind:     global_buffer
      - .actual_access:  read_only
        .address_space:  global
        .offset:         40
        .size:           8
        .value_kind:     global_buffer
      - .actual_access:  read_only
        .address_space:  global
        .offset:         48
        .size:           8
        .value_kind:     global_buffer
      - .offset:         56
        .size:           4
        .value_kind:     by_value
      - .actual_access:  read_only
        .address_space:  global
        .offset:         64
        .size:           8
        .value_kind:     global_buffer
      - .offset:         72
        .size:           4
        .value_kind:     by_value
      - .offset:         76
        .size:           4
        .value_kind:     by_value
      - .offset:         80
        .size:           4
        .value_kind:     by_value
      - .actual_access:  write_only
        .address_space:  global
        .offset:         88
        .size:           8
        .value_kind:     global_buffer
      - .actual_access:  write_only
        .address_space:  global
        .offset:         96
        .size:           8
        .value_kind:     global_buffer
      - .actual_access:  write_only
        .address_space:  global
        .offset:         104
        .size:           8
        .value_kind:     global_buffer
      - .actual_access:  read_only
        .address_space:  global
        .offset:         112
        .size:           8
        .value_kind:     global_buffer
      - .offset:         120
        .size:           4
        .value_kind:     by_value
      - .address_space:  global
        .offset:         128
        .size:           8
        .value_kind:     global_buffer
      - .address_space:  global
        .offset:         136
        .size:           8
        .value_kind:     global_buffer
      - .offset:         144
        .size:           4
        .value_kind:     hidden_block_count_x
      - .offset:         148
        .size:           4
        .value_kind:     hidden_block_count_y
      - .offset:         152
        .size:           4
        .value_kind:     hidden_block_count_z
      - .offset:         156
        .size:           2
        .value_kind:     hidden_group_size_x
      - .offset:         158
        .size:           2
        .value_kind:     hidden_group_size_y
      - .offset:         160
        .size:           2
        .value_kind:     hidden_group_size_z
      - .offset:         162
        .size:           2
        .value_kind:     hidden_remainder_x
      - .offset:         164
        .size:           2
        .value_kind:     hidden_remainder_y
      - .offset:         166
        .size:           2
        .value_kind:     hidden_remainder_z
      - .offset:         184
        .size:           8
        .value_kind:     hidden_global_offset_x
      - .offset:         192
        .size:           8
        .value_kind:     hidden_global_offset_y
      - .offset:         200
        .size:           8
        .value_kind:     hidden_global_offset_z
      - .offset:         208
        .size:           2
        .value_kind:     hidden_grid_dims
    .group_segment_fixed_size: 8192
    .kernarg_segment_align: 8
    .kernarg_segment_size: 400
    .language:       OpenCL C
    .language_version:
      - 2
      - 0
    .max_flat_workgroup_size: 256
    .name:           _Z39paged_attention_ll4mi_QKV_mfma16_kernelIDF16_DF16_LN4vllm18Fp8KVCacheDataTypeE0EhLi32ELi128ELi256ELb0ELi8EEvPKT_PKT0_S7_ifPKiS9_S9_iPKfiiiPfSC_PS2_PT2_iSB_SB_
    .private_segment_fixed_size: 12
    .sgpr_count:     47
    .sgpr_spill_count: 0
    .symbol:         _Z39paged_attention_ll4mi_QKV_mfma16_kernelIDF16_DF16_LN4vllm18Fp8KVCacheDataTypeE0EhLi32ELi128ELi256ELb0ELi8EEvPKT_PKT0_S7_ifPKiS9_S9_iPKfiiiPfSC_PS2_PT2_iSB_SB_.kd
    .uniform_work_group_size: 1
    .uses_dynamic_stack: false
    .vgpr_count:     96
    .vgpr_spill_count: 2
    .wavefront_size: 64
  - .agpr_count:     0
    .args:
      - .actual_access:  read_only
        .address_space:  global
        .offset:         0
        .size:           8
        .value_kind:     global_buffer
      - .actual_access:  read_only
        .address_space:  global
        .offset:         8
        .size:           8
        .value_kind:     global_buffer
      - .actual_access:  read_only
        .address_space:  global
        .offset:         16
        .size:           8
        .value_kind:     global_buffer
      - .offset:         24
        .size:           4
        .value_kind:     by_value
      - .offset:         28
        .size:           4
        .value_kind:     by_value
      - .actual_access:  read_only
        .address_space:  global
        .offset:         32
        .size:           8
        .value_kind:     global_buffer
      - .actual_access:  read_only
        .address_space:  global
        .offset:         40
        .size:           8
        .value_kind:     global_buffer
      - .actual_access:  read_only
        .address_space:  global
        .offset:         48
        .size:           8
        .value_kind:     global_buffer
      - .offset:         56
        .size:           4
        .value_kind:     by_value
      - .actual_access:  read_only
        .address_space:  global
        .offset:         64
        .size:           8
        .value_kind:     global_buffer
      - .offset:         72
        .size:           4
        .value_kind:     by_value
      - .offset:         76
        .size:           4
        .value_kind:     by_value
      - .offset:         80
        .size:           4
        .value_kind:     by_value
      - .actual_access:  write_only
        .address_space:  global
        .offset:         88
        .size:           8
        .value_kind:     global_buffer
      - .actual_access:  write_only
        .address_space:  global
        .offset:         96
        .size:           8
        .value_kind:     global_buffer
      - .actual_access:  write_only
        .address_space:  global
        .offset:         104
        .size:           8
        .value_kind:     global_buffer
      - .actual_access:  read_only
        .address_space:  global
        .offset:         112
        .size:           8
        .value_kind:     global_buffer
      - .offset:         120
        .size:           4
        .value_kind:     by_value
      - .address_space:  global
        .offset:         128
        .size:           8
        .value_kind:     global_buffer
      - .address_space:  global
        .offset:         136
        .size:           8
        .value_kind:     global_buffer
      - .offset:         144
        .size:           4
        .value_kind:     hidden_block_count_x
      - .offset:         148
        .size:           4
        .value_kind:     hidden_block_count_y
      - .offset:         152
        .size:           4
        .value_kind:     hidden_block_count_z
      - .offset:         156
        .size:           2
        .value_kind:     hidden_group_size_x
      - .offset:         158
        .size:           2
        .value_kind:     hidden_group_size_y
      - .offset:         160
        .size:           2
        .value_kind:     hidden_group_size_z
      - .offset:         162
        .size:           2
        .value_kind:     hidden_remainder_x
      - .offset:         164
        .size:           2
        .value_kind:     hidden_remainder_y
      - .offset:         166
        .size:           2
        .value_kind:     hidden_remainder_z
      - .offset:         184
        .size:           8
        .value_kind:     hidden_global_offset_x
      - .offset:         192
        .size:           8
        .value_kind:     hidden_global_offset_y
      - .offset:         200
        .size:           8
        .value_kind:     hidden_global_offset_z
      - .offset:         208
        .size:           2
        .value_kind:     hidden_grid_dims
    .group_segment_fixed_size: 8192
    .kernarg_segment_align: 8
    .kernarg_segment_size: 400
    .language:       OpenCL C
    .language_version:
      - 2
      - 0
    .max_flat_workgroup_size: 256
    .name:           _Z39paged_attention_ll4mi_QKV_mfma16_kernelIDF16_DF16_LN4vllm18Fp8KVCacheDataTypeE0EhLi32ELi128ELi256ELb0ELi9EEvPKT_PKT0_S7_ifPKiS9_S9_iPKfiiiPfSC_PS2_PT2_iSB_SB_
    .private_segment_fixed_size: 0
    .sgpr_count:     48
    .sgpr_spill_count: 0
    .symbol:         _Z39paged_attention_ll4mi_QKV_mfma16_kernelIDF16_DF16_LN4vllm18Fp8KVCacheDataTypeE0EhLi32ELi128ELi256ELb0ELi9EEvPKT_PKT0_S7_ifPKiS9_S9_iPKfiiiPfSC_PS2_PT2_iSB_SB_.kd
    .uniform_work_group_size: 1
    .uses_dynamic_stack: false
    .vgpr_count:     96
    .vgpr_spill_count: 0
    .wavefront_size: 64
  - .agpr_count:     0
    .args:
      - .actual_access:  read_only
        .address_space:  global
        .offset:         0
        .size:           8
        .value_kind:     global_buffer
      - .actual_access:  read_only
        .address_space:  global
        .offset:         8
        .size:           8
        .value_kind:     global_buffer
      - .actual_access:  read_only
        .address_space:  global
        .offset:         16
        .size:           8
        .value_kind:     global_buffer
      - .offset:         24
        .size:           4
        .value_kind:     by_value
      - .offset:         28
        .size:           4
        .value_kind:     by_value
      - .actual_access:  read_only
        .address_space:  global
        .offset:         32
        .size:           8
        .value_kind:     global_buffer
      - .actual_access:  read_only
        .address_space:  global
        .offset:         40
        .size:           8
        .value_kind:     global_buffer
      - .actual_access:  read_only
        .address_space:  global
        .offset:         48
        .size:           8
        .value_kind:     global_buffer
      - .offset:         56
        .size:           4
        .value_kind:     by_value
      - .actual_access:  read_only
        .address_space:  global
        .offset:         64
        .size:           8
        .value_kind:     global_buffer
      - .offset:         72
        .size:           4
        .value_kind:     by_value
      - .offset:         76
        .size:           4
        .value_kind:     by_value
      - .offset:         80
        .size:           4
        .value_kind:     by_value
      - .actual_access:  write_only
        .address_space:  global
        .offset:         88
        .size:           8
        .value_kind:     global_buffer
      - .actual_access:  write_only
        .address_space:  global
        .offset:         96
        .size:           8
        .value_kind:     global_buffer
      - .actual_access:  write_only
        .address_space:  global
        .offset:         104
        .size:           8
        .value_kind:     global_buffer
      - .actual_access:  read_only
        .address_space:  global
        .offset:         112
        .size:           8
        .value_kind:     global_buffer
      - .offset:         120
        .size:           4
        .value_kind:     by_value
      - .address_space:  global
        .offset:         128
        .size:           8
        .value_kind:     global_buffer
      - .address_space:  global
        .offset:         136
        .size:           8
        .value_kind:     global_buffer
      - .offset:         144
        .size:           4
        .value_kind:     hidden_block_count_x
      - .offset:         148
        .size:           4
        .value_kind:     hidden_block_count_y
      - .offset:         152
        .size:           4
        .value_kind:     hidden_block_count_z
      - .offset:         156
        .size:           2
        .value_kind:     hidden_group_size_x
      - .offset:         158
        .size:           2
        .value_kind:     hidden_group_size_y
      - .offset:         160
        .size:           2
        .value_kind:     hidden_group_size_z
      - .offset:         162
        .size:           2
        .value_kind:     hidden_remainder_x
      - .offset:         164
        .size:           2
        .value_kind:     hidden_remainder_y
      - .offset:         166
        .size:           2
        .value_kind:     hidden_remainder_z
      - .offset:         184
        .size:           8
        .value_kind:     hidden_global_offset_x
      - .offset:         192
        .size:           8
        .value_kind:     hidden_global_offset_y
      - .offset:         200
        .size:           8
        .value_kind:     hidden_global_offset_z
      - .offset:         208
        .size:           2
        .value_kind:     hidden_grid_dims
    .group_segment_fixed_size: 8192
    .kernarg_segment_align: 8
    .kernarg_segment_size: 400
    .language:       OpenCL C
    .language_version:
      - 2
      - 0
    .max_flat_workgroup_size: 256
    .name:           _Z39paged_attention_ll4mi_QKV_mfma16_kernelIDF16_DF16_LN4vllm18Fp8KVCacheDataTypeE0EhLi32ELi128ELi256ELb0ELi10EEvPKT_PKT0_S7_ifPKiS9_S9_iPKfiiiPfSC_PS2_PT2_iSB_SB_
    .private_segment_fixed_size: 0
    .sgpr_count:     48
    .sgpr_spill_count: 0
    .symbol:         _Z39paged_attention_ll4mi_QKV_mfma16_kernelIDF16_DF16_LN4vllm18Fp8KVCacheDataTypeE0EhLi32ELi128ELi256ELb0ELi10EEvPKT_PKT0_S7_ifPKiS9_S9_iPKfiiiPfSC_PS2_PT2_iSB_SB_.kd
    .uniform_work_group_size: 1
    .uses_dynamic_stack: false
    .vgpr_count:     96
    .vgpr_spill_count: 0
    .wavefront_size: 64
  - .agpr_count:     0
    .args:
      - .actual_access:  read_only
        .address_space:  global
        .offset:         0
        .size:           8
        .value_kind:     global_buffer
      - .actual_access:  read_only
        .address_space:  global
        .offset:         8
        .size:           8
        .value_kind:     global_buffer
      - .actual_access:  read_only
        .address_space:  global
        .offset:         16
        .size:           8
        .value_kind:     global_buffer
      - .offset:         24
        .size:           4
        .value_kind:     by_value
      - .offset:         28
        .size:           4
        .value_kind:     by_value
      - .actual_access:  read_only
        .address_space:  global
        .offset:         32
        .size:           8
        .value_kind:     global_buffer
      - .actual_access:  read_only
        .address_space:  global
        .offset:         40
        .size:           8
        .value_kind:     global_buffer
      - .actual_access:  read_only
        .address_space:  global
        .offset:         48
        .size:           8
        .value_kind:     global_buffer
      - .offset:         56
        .size:           4
        .value_kind:     by_value
      - .actual_access:  read_only
        .address_space:  global
        .offset:         64
        .size:           8
        .value_kind:     global_buffer
      - .offset:         72
        .size:           4
        .value_kind:     by_value
      - .offset:         76
        .size:           4
        .value_kind:     by_value
      - .offset:         80
        .size:           4
        .value_kind:     by_value
      - .actual_access:  write_only
        .address_space:  global
        .offset:         88
        .size:           8
        .value_kind:     global_buffer
      - .actual_access:  write_only
        .address_space:  global
        .offset:         96
        .size:           8
        .value_kind:     global_buffer
      - .actual_access:  write_only
        .address_space:  global
        .offset:         104
        .size:           8
        .value_kind:     global_buffer
      - .actual_access:  read_only
        .address_space:  global
        .offset:         112
        .size:           8
        .value_kind:     global_buffer
      - .offset:         120
        .size:           4
        .value_kind:     by_value
      - .address_space:  global
        .offset:         128
        .size:           8
        .value_kind:     global_buffer
      - .address_space:  global
        .offset:         136
        .size:           8
        .value_kind:     global_buffer
      - .offset:         144
        .size:           4
        .value_kind:     hidden_block_count_x
      - .offset:         148
        .size:           4
        .value_kind:     hidden_block_count_y
      - .offset:         152
        .size:           4
        .value_kind:     hidden_block_count_z
      - .offset:         156
        .size:           2
        .value_kind:     hidden_group_size_x
      - .offset:         158
        .size:           2
        .value_kind:     hidden_group_size_y
      - .offset:         160
        .size:           2
        .value_kind:     hidden_group_size_z
      - .offset:         162
        .size:           2
        .value_kind:     hidden_remainder_x
      - .offset:         164
        .size:           2
        .value_kind:     hidden_remainder_y
      - .offset:         166
        .size:           2
        .value_kind:     hidden_remainder_z
      - .offset:         184
        .size:           8
        .value_kind:     hidden_global_offset_x
      - .offset:         192
        .size:           8
        .value_kind:     hidden_global_offset_y
      - .offset:         200
        .size:           8
        .value_kind:     hidden_global_offset_z
      - .offset:         208
        .size:           2
        .value_kind:     hidden_grid_dims
    .group_segment_fixed_size: 8192
    .kernarg_segment_align: 8
    .kernarg_segment_size: 400
    .language:       OpenCL C
    .language_version:
      - 2
      - 0
    .max_flat_workgroup_size: 256
    .name:           _Z39paged_attention_ll4mi_QKV_mfma16_kernelIDF16_DF16_LN4vllm18Fp8KVCacheDataTypeE0EhLi32ELi128ELi256ELb0ELi11EEvPKT_PKT0_S7_ifPKiS9_S9_iPKfiiiPfSC_PS2_PT2_iSB_SB_
    .private_segment_fixed_size: 0
    .sgpr_count:     48
    .sgpr_spill_count: 0
    .symbol:         _Z39paged_attention_ll4mi_QKV_mfma16_kernelIDF16_DF16_LN4vllm18Fp8KVCacheDataTypeE0EhLi32ELi128ELi256ELb0ELi11EEvPKT_PKT0_S7_ifPKiS9_S9_iPKfiiiPfSC_PS2_PT2_iSB_SB_.kd
    .uniform_work_group_size: 1
    .uses_dynamic_stack: false
    .vgpr_count:     96
    .vgpr_spill_count: 0
    .wavefront_size: 64
  - .agpr_count:     0
    .args:
      - .actual_access:  read_only
        .address_space:  global
        .offset:         0
        .size:           8
        .value_kind:     global_buffer
      - .actual_access:  read_only
        .address_space:  global
        .offset:         8
        .size:           8
        .value_kind:     global_buffer
      - .actual_access:  read_only
        .address_space:  global
        .offset:         16
        .size:           8
        .value_kind:     global_buffer
      - .offset:         24
        .size:           4
        .value_kind:     by_value
      - .offset:         28
        .size:           4
        .value_kind:     by_value
      - .actual_access:  read_only
        .address_space:  global
        .offset:         32
        .size:           8
        .value_kind:     global_buffer
      - .actual_access:  read_only
        .address_space:  global
        .offset:         40
        .size:           8
        .value_kind:     global_buffer
      - .actual_access:  read_only
        .address_space:  global
        .offset:         48
        .size:           8
        .value_kind:     global_buffer
      - .offset:         56
        .size:           4
        .value_kind:     by_value
      - .actual_access:  read_only
        .address_space:  global
        .offset:         64
        .size:           8
        .value_kind:     global_buffer
      - .offset:         72
        .size:           4
        .value_kind:     by_value
      - .offset:         76
        .size:           4
        .value_kind:     by_value
      - .offset:         80
        .size:           4
        .value_kind:     by_value
      - .actual_access:  write_only
        .address_space:  global
        .offset:         88
        .size:           8
        .value_kind:     global_buffer
      - .actual_access:  write_only
        .address_space:  global
        .offset:         96
        .size:           8
        .value_kind:     global_buffer
      - .actual_access:  write_only
        .address_space:  global
        .offset:         104
        .size:           8
        .value_kind:     global_buffer
      - .actual_access:  read_only
        .address_space:  global
        .offset:         112
        .size:           8
        .value_kind:     global_buffer
      - .offset:         120
        .size:           4
        .value_kind:     by_value
      - .address_space:  global
        .offset:         128
        .size:           8
        .value_kind:     global_buffer
      - .address_space:  global
        .offset:         136
        .size:           8
        .value_kind:     global_buffer
      - .offset:         144
        .size:           4
        .value_kind:     hidden_block_count_x
      - .offset:         148
        .size:           4
        .value_kind:     hidden_block_count_y
      - .offset:         152
        .size:           4
        .value_kind:     hidden_block_count_z
      - .offset:         156
        .size:           2
        .value_kind:     hidden_group_size_x
      - .offset:         158
        .size:           2
        .value_kind:     hidden_group_size_y
      - .offset:         160
        .size:           2
        .value_kind:     hidden_group_size_z
      - .offset:         162
        .size:           2
        .value_kind:     hidden_remainder_x
      - .offset:         164
        .size:           2
        .value_kind:     hidden_remainder_y
      - .offset:         166
        .size:           2
        .value_kind:     hidden_remainder_z
      - .offset:         184
        .size:           8
        .value_kind:     hidden_global_offset_x
      - .offset:         192
        .size:           8
        .value_kind:     hidden_global_offset_y
      - .offset:         200
        .size:           8
        .value_kind:     hidden_global_offset_z
      - .offset:         208
        .size:           2
        .value_kind:     hidden_grid_dims
    .group_segment_fixed_size: 8192
    .kernarg_segment_align: 8
    .kernarg_segment_size: 400
    .language:       OpenCL C
    .language_version:
      - 2
      - 0
    .max_flat_workgroup_size: 256
    .name:           _Z39paged_attention_ll4mi_QKV_mfma16_kernelIDF16_DF16_LN4vllm18Fp8KVCacheDataTypeE0EhLi32ELi128ELi256ELb0ELi12EEvPKT_PKT0_S7_ifPKiS9_S9_iPKfiiiPfSC_PS2_PT2_iSB_SB_
    .private_segment_fixed_size: 0
    .sgpr_count:     48
    .sgpr_spill_count: 0
    .symbol:         _Z39paged_attention_ll4mi_QKV_mfma16_kernelIDF16_DF16_LN4vllm18Fp8KVCacheDataTypeE0EhLi32ELi128ELi256ELb0ELi12EEvPKT_PKT0_S7_ifPKiS9_S9_iPKfiiiPfSC_PS2_PT2_iSB_SB_.kd
    .uniform_work_group_size: 1
    .uses_dynamic_stack: false
    .vgpr_count:     96
    .vgpr_spill_count: 0
    .wavefront_size: 64
  - .agpr_count:     0
    .args:
      - .actual_access:  read_only
        .address_space:  global
        .offset:         0
        .size:           8
        .value_kind:     global_buffer
      - .actual_access:  read_only
        .address_space:  global
        .offset:         8
        .size:           8
        .value_kind:     global_buffer
      - .actual_access:  read_only
        .address_space:  global
        .offset:         16
        .size:           8
        .value_kind:     global_buffer
      - .offset:         24
        .size:           4
        .value_kind:     by_value
      - .offset:         28
        .size:           4
        .value_kind:     by_value
      - .actual_access:  read_only
        .address_space:  global
        .offset:         32
        .size:           8
        .value_kind:     global_buffer
      - .actual_access:  read_only
        .address_space:  global
        .offset:         40
        .size:           8
        .value_kind:     global_buffer
      - .actual_access:  read_only
        .address_space:  global
        .offset:         48
        .size:           8
        .value_kind:     global_buffer
      - .offset:         56
        .size:           4
        .value_kind:     by_value
      - .actual_access:  read_only
        .address_space:  global
        .offset:         64
        .size:           8
        .value_kind:     global_buffer
      - .offset:         72
        .size:           4
        .value_kind:     by_value
      - .offset:         76
        .size:           4
        .value_kind:     by_value
      - .offset:         80
        .size:           4
        .value_kind:     by_value
      - .actual_access:  write_only
        .address_space:  global
        .offset:         88
        .size:           8
        .value_kind:     global_buffer
      - .actual_access:  write_only
        .address_space:  global
        .offset:         96
        .size:           8
        .value_kind:     global_buffer
      - .actual_access:  write_only
        .address_space:  global
        .offset:         104
        .size:           8
        .value_kind:     global_buffer
      - .actual_access:  read_only
        .address_space:  global
        .offset:         112
        .size:           8
        .value_kind:     global_buffer
      - .offset:         120
        .size:           4
        .value_kind:     by_value
      - .address_space:  global
        .offset:         128
        .size:           8
        .value_kind:     global_buffer
      - .address_space:  global
        .offset:         136
        .size:           8
        .value_kind:     global_buffer
      - .offset:         144
        .size:           4
        .value_kind:     hidden_block_count_x
      - .offset:         148
        .size:           4
        .value_kind:     hidden_block_count_y
      - .offset:         152
        .size:           4
        .value_kind:     hidden_block_count_z
      - .offset:         156
        .size:           2
        .value_kind:     hidden_group_size_x
      - .offset:         158
        .size:           2
        .value_kind:     hidden_group_size_y
      - .offset:         160
        .size:           2
        .value_kind:     hidden_group_size_z
      - .offset:         162
        .size:           2
        .value_kind:     hidden_remainder_x
      - .offset:         164
        .size:           2
        .value_kind:     hidden_remainder_y
      - .offset:         166
        .size:           2
        .value_kind:     hidden_remainder_z
      - .offset:         184
        .size:           8
        .value_kind:     hidden_global_offset_x
      - .offset:         192
        .size:           8
        .value_kind:     hidden_global_offset_y
      - .offset:         200
        .size:           8
        .value_kind:     hidden_global_offset_z
      - .offset:         208
        .size:           2
        .value_kind:     hidden_grid_dims
    .group_segment_fixed_size: 8192
    .kernarg_segment_align: 8
    .kernarg_segment_size: 400
    .language:       OpenCL C
    .language_version:
      - 2
      - 0
    .max_flat_workgroup_size: 256
    .name:           _Z39paged_attention_ll4mi_QKV_mfma16_kernelIDF16_DF16_LN4vllm18Fp8KVCacheDataTypeE0EhLi32ELi128ELi256ELb0ELi13EEvPKT_PKT0_S7_ifPKiS9_S9_iPKfiiiPfSC_PS2_PT2_iSB_SB_
    .private_segment_fixed_size: 0
    .sgpr_count:     48
    .sgpr_spill_count: 0
    .symbol:         _Z39paged_attention_ll4mi_QKV_mfma16_kernelIDF16_DF16_LN4vllm18Fp8KVCacheDataTypeE0EhLi32ELi128ELi256ELb0ELi13EEvPKT_PKT0_S7_ifPKiS9_S9_iPKfiiiPfSC_PS2_PT2_iSB_SB_.kd
    .uniform_work_group_size: 1
    .uses_dynamic_stack: false
    .vgpr_count:     96
    .vgpr_spill_count: 0
    .wavefront_size: 64
  - .agpr_count:     0
    .args:
      - .actual_access:  read_only
        .address_space:  global
        .offset:         0
        .size:           8
        .value_kind:     global_buffer
      - .actual_access:  read_only
        .address_space:  global
        .offset:         8
        .size:           8
        .value_kind:     global_buffer
      - .actual_access:  read_only
        .address_space:  global
        .offset:         16
        .size:           8
        .value_kind:     global_buffer
      - .offset:         24
        .size:           4
        .value_kind:     by_value
      - .offset:         28
        .size:           4
        .value_kind:     by_value
      - .actual_access:  read_only
        .address_space:  global
        .offset:         32
        .size:           8
        .value_kind:     global_buffer
      - .actual_access:  read_only
        .address_space:  global
        .offset:         40
        .size:           8
        .value_kind:     global_buffer
      - .actual_access:  read_only
        .address_space:  global
        .offset:         48
        .size:           8
        .value_kind:     global_buffer
      - .offset:         56
        .size:           4
        .value_kind:     by_value
      - .actual_access:  read_only
        .address_space:  global
        .offset:         64
        .size:           8
        .value_kind:     global_buffer
      - .offset:         72
        .size:           4
        .value_kind:     by_value
      - .offset:         76
        .size:           4
        .value_kind:     by_value
      - .offset:         80
        .size:           4
        .value_kind:     by_value
      - .actual_access:  write_only
        .address_space:  global
        .offset:         88
        .size:           8
        .value_kind:     global_buffer
      - .actual_access:  write_only
        .address_space:  global
        .offset:         96
        .size:           8
        .value_kind:     global_buffer
      - .actual_access:  write_only
        .address_space:  global
        .offset:         104
        .size:           8
        .value_kind:     global_buffer
      - .actual_access:  read_only
        .address_space:  global
        .offset:         112
        .size:           8
        .value_kind:     global_buffer
      - .offset:         120
        .size:           4
        .value_kind:     by_value
      - .address_space:  global
        .offset:         128
        .size:           8
        .value_kind:     global_buffer
      - .address_space:  global
        .offset:         136
        .size:           8
        .value_kind:     global_buffer
      - .offset:         144
        .size:           4
        .value_kind:     hidden_block_count_x
      - .offset:         148
        .size:           4
        .value_kind:     hidden_block_count_y
      - .offset:         152
        .size:           4
        .value_kind:     hidden_block_count_z
      - .offset:         156
        .size:           2
        .value_kind:     hidden_group_size_x
      - .offset:         158
        .size:           2
        .value_kind:     hidden_group_size_y
      - .offset:         160
        .size:           2
        .value_kind:     hidden_group_size_z
      - .offset:         162
        .size:           2
        .value_kind:     hidden_remainder_x
      - .offset:         164
        .size:           2
        .value_kind:     hidden_remainder_y
      - .offset:         166
        .size:           2
        .value_kind:     hidden_remainder_z
      - .offset:         184
        .size:           8
        .value_kind:     hidden_global_offset_x
      - .offset:         192
        .size:           8
        .value_kind:     hidden_global_offset_y
      - .offset:         200
        .size:           8
        .value_kind:     hidden_global_offset_z
      - .offset:         208
        .size:           2
        .value_kind:     hidden_grid_dims
    .group_segment_fixed_size: 8192
    .kernarg_segment_align: 8
    .kernarg_segment_size: 400
    .language:       OpenCL C
    .language_version:
      - 2
      - 0
    .max_flat_workgroup_size: 256
    .name:           _Z39paged_attention_ll4mi_QKV_mfma16_kernelIDF16_DF16_LN4vllm18Fp8KVCacheDataTypeE0EhLi32ELi128ELi256ELb0ELi14EEvPKT_PKT0_S7_ifPKiS9_S9_iPKfiiiPfSC_PS2_PT2_iSB_SB_
    .private_segment_fixed_size: 0
    .sgpr_count:     48
    .sgpr_spill_count: 0
    .symbol:         _Z39paged_attention_ll4mi_QKV_mfma16_kernelIDF16_DF16_LN4vllm18Fp8KVCacheDataTypeE0EhLi32ELi128ELi256ELb0ELi14EEvPKT_PKT0_S7_ifPKiS9_S9_iPKfiiiPfSC_PS2_PT2_iSB_SB_.kd
    .uniform_work_group_size: 1
    .uses_dynamic_stack: false
    .vgpr_count:     96
    .vgpr_spill_count: 0
    .wavefront_size: 64
  - .agpr_count:     0
    .args:
      - .actual_access:  read_only
        .address_space:  global
        .offset:         0
        .size:           8
        .value_kind:     global_buffer
      - .actual_access:  read_only
        .address_space:  global
        .offset:         8
        .size:           8
        .value_kind:     global_buffer
      - .actual_access:  read_only
        .address_space:  global
        .offset:         16
        .size:           8
        .value_kind:     global_buffer
      - .offset:         24
        .size:           4
        .value_kind:     by_value
      - .offset:         28
        .size:           4
        .value_kind:     by_value
      - .actual_access:  read_only
        .address_space:  global
        .offset:         32
        .size:           8
        .value_kind:     global_buffer
      - .actual_access:  read_only
        .address_space:  global
        .offset:         40
        .size:           8
        .value_kind:     global_buffer
      - .actual_access:  read_only
        .address_space:  global
        .offset:         48
        .size:           8
        .value_kind:     global_buffer
      - .offset:         56
        .size:           4
        .value_kind:     by_value
      - .actual_access:  read_only
        .address_space:  global
        .offset:         64
        .size:           8
        .value_kind:     global_buffer
      - .offset:         72
        .size:           4
        .value_kind:     by_value
      - .offset:         76
        .size:           4
        .value_kind:     by_value
      - .offset:         80
        .size:           4
        .value_kind:     by_value
      - .actual_access:  write_only
        .address_space:  global
        .offset:         88
        .size:           8
        .value_kind:     global_buffer
      - .actual_access:  write_only
        .address_space:  global
        .offset:         96
        .size:           8
        .value_kind:     global_buffer
      - .actual_access:  write_only
        .address_space:  global
        .offset:         104
        .size:           8
        .value_kind:     global_buffer
      - .actual_access:  read_only
        .address_space:  global
        .offset:         112
        .size:           8
        .value_kind:     global_buffer
      - .offset:         120
        .size:           4
        .value_kind:     by_value
      - .address_space:  global
        .offset:         128
        .size:           8
        .value_kind:     global_buffer
      - .address_space:  global
        .offset:         136
        .size:           8
        .value_kind:     global_buffer
      - .offset:         144
        .size:           4
        .value_kind:     hidden_block_count_x
      - .offset:         148
        .size:           4
        .value_kind:     hidden_block_count_y
      - .offset:         152
        .size:           4
        .value_kind:     hidden_block_count_z
      - .offset:         156
        .size:           2
        .value_kind:     hidden_group_size_x
      - .offset:         158
        .size:           2
        .value_kind:     hidden_group_size_y
      - .offset:         160
        .size:           2
        .value_kind:     hidden_group_size_z
      - .offset:         162
        .size:           2
        .value_kind:     hidden_remainder_x
      - .offset:         164
        .size:           2
        .value_kind:     hidden_remainder_y
      - .offset:         166
        .size:           2
        .value_kind:     hidden_remainder_z
      - .offset:         184
        .size:           8
        .value_kind:     hidden_global_offset_x
      - .offset:         192
        .size:           8
        .value_kind:     hidden_global_offset_y
      - .offset:         200
        .size:           8
        .value_kind:     hidden_global_offset_z
      - .offset:         208
        .size:           2
        .value_kind:     hidden_grid_dims
    .group_segment_fixed_size: 8192
    .kernarg_segment_align: 8
    .kernarg_segment_size: 400
    .language:       OpenCL C
    .language_version:
      - 2
      - 0
    .max_flat_workgroup_size: 256
    .name:           _Z39paged_attention_ll4mi_QKV_mfma16_kernelIDF16_DF16_LN4vllm18Fp8KVCacheDataTypeE0EhLi32ELi128ELi256ELb0ELi15EEvPKT_PKT0_S7_ifPKiS9_S9_iPKfiiiPfSC_PS2_PT2_iSB_SB_
    .private_segment_fixed_size: 12
    .sgpr_count:     48
    .sgpr_spill_count: 0
    .symbol:         _Z39paged_attention_ll4mi_QKV_mfma16_kernelIDF16_DF16_LN4vllm18Fp8KVCacheDataTypeE0EhLi32ELi128ELi256ELb0ELi15EEvPKT_PKT0_S7_ifPKiS9_S9_iPKfiiiPfSC_PS2_PT2_iSB_SB_.kd
    .uniform_work_group_size: 1
    .uses_dynamic_stack: false
    .vgpr_count:     96
    .vgpr_spill_count: 2
    .wavefront_size: 64
  - .agpr_count:     0
    .args:
      - .actual_access:  read_only
        .address_space:  global
        .offset:         0
        .size:           8
        .value_kind:     global_buffer
      - .actual_access:  read_only
        .address_space:  global
        .offset:         8
        .size:           8
        .value_kind:     global_buffer
      - .actual_access:  read_only
        .address_space:  global
        .offset:         16
        .size:           8
        .value_kind:     global_buffer
      - .offset:         24
        .size:           4
        .value_kind:     by_value
      - .offset:         28
        .size:           4
        .value_kind:     by_value
      - .actual_access:  read_only
        .address_space:  global
        .offset:         32
        .size:           8
        .value_kind:     global_buffer
      - .actual_access:  read_only
        .address_space:  global
        .offset:         40
        .size:           8
        .value_kind:     global_buffer
      - .actual_access:  read_only
        .address_space:  global
        .offset:         48
        .size:           8
        .value_kind:     global_buffer
      - .offset:         56
        .size:           4
        .value_kind:     by_value
      - .actual_access:  read_only
        .address_space:  global
        .offset:         64
        .size:           8
        .value_kind:     global_buffer
      - .offset:         72
        .size:           4
        .value_kind:     by_value
      - .offset:         76
        .size:           4
        .value_kind:     by_value
      - .offset:         80
        .size:           4
        .value_kind:     by_value
      - .actual_access:  write_only
        .address_space:  global
        .offset:         88
        .size:           8
        .value_kind:     global_buffer
      - .actual_access:  write_only
        .address_space:  global
        .offset:         96
        .size:           8
        .value_kind:     global_buffer
      - .actual_access:  write_only
        .address_space:  global
        .offset:         104
        .size:           8
        .value_kind:     global_buffer
      - .actual_access:  read_only
        .address_space:  global
        .offset:         112
        .size:           8
        .value_kind:     global_buffer
      - .offset:         120
        .size:           4
        .value_kind:     by_value
      - .address_space:  global
        .offset:         128
        .size:           8
        .value_kind:     global_buffer
      - .address_space:  global
        .offset:         136
        .size:           8
        .value_kind:     global_buffer
      - .offset:         144
        .size:           4
        .value_kind:     hidden_block_count_x
      - .offset:         148
        .size:           4
        .value_kind:     hidden_block_count_y
      - .offset:         152
        .size:           4
        .value_kind:     hidden_block_count_z
      - .offset:         156
        .size:           2
        .value_kind:     hidden_group_size_x
      - .offset:         158
        .size:           2
        .value_kind:     hidden_group_size_y
      - .offset:         160
        .size:           2
        .value_kind:     hidden_group_size_z
      - .offset:         162
        .size:           2
        .value_kind:     hidden_remainder_x
      - .offset:         164
        .size:           2
        .value_kind:     hidden_remainder_y
      - .offset:         166
        .size:           2
        .value_kind:     hidden_remainder_z
      - .offset:         184
        .size:           8
        .value_kind:     hidden_global_offset_x
      - .offset:         192
        .size:           8
        .value_kind:     hidden_global_offset_y
      - .offset:         200
        .size:           8
        .value_kind:     hidden_global_offset_z
      - .offset:         208
        .size:           2
        .value_kind:     hidden_grid_dims
    .group_segment_fixed_size: 8192
    .kernarg_segment_align: 8
    .kernarg_segment_size: 400
    .language:       OpenCL C
    .language_version:
      - 2
      - 0
    .max_flat_workgroup_size: 256
    .name:           _Z39paged_attention_ll4mi_QKV_mfma16_kernelIDF16_DF16_LN4vllm18Fp8KVCacheDataTypeE0EhLi32ELi128ELi256ELb0ELi16EEvPKT_PKT0_S7_ifPKiS9_S9_iPKfiiiPfSC_PS2_PT2_iSB_SB_
    .private_segment_fixed_size: 44
    .sgpr_count:     47
    .sgpr_spill_count: 0
    .symbol:         _Z39paged_attention_ll4mi_QKV_mfma16_kernelIDF16_DF16_LN4vllm18Fp8KVCacheDataTypeE0EhLi32ELi128ELi256ELb0ELi16EEvPKT_PKT0_S7_ifPKiS9_S9_iPKfiiiPfSC_PS2_PT2_iSB_SB_.kd
    .uniform_work_group_size: 1
    .uses_dynamic_stack: false
    .vgpr_count:     96
    .vgpr_spill_count: 10
    .wavefront_size: 64
  - .agpr_count:     0
    .args:
      - .actual_access:  read_only
        .address_space:  global
        .offset:         0
        .size:           8
        .value_kind:     global_buffer
      - .actual_access:  read_only
        .address_space:  global
        .offset:         8
        .size:           8
        .value_kind:     global_buffer
      - .actual_access:  read_only
        .address_space:  global
        .offset:         16
        .size:           8
        .value_kind:     global_buffer
      - .offset:         24
        .size:           4
        .value_kind:     by_value
      - .offset:         28
        .size:           4
        .value_kind:     by_value
      - .actual_access:  read_only
        .address_space:  global
        .offset:         32
        .size:           8
        .value_kind:     global_buffer
      - .actual_access:  read_only
        .address_space:  global
        .offset:         40
        .size:           8
        .value_kind:     global_buffer
      - .actual_access:  read_only
        .address_space:  global
        .offset:         48
        .size:           8
        .value_kind:     global_buffer
      - .offset:         56
        .size:           4
        .value_kind:     by_value
      - .actual_access:  read_only
        .address_space:  global
        .offset:         64
        .size:           8
        .value_kind:     global_buffer
      - .offset:         72
        .size:           4
        .value_kind:     by_value
      - .offset:         76
        .size:           4
        .value_kind:     by_value
      - .offset:         80
        .size:           4
        .value_kind:     by_value
      - .actual_access:  write_only
        .address_space:  global
        .offset:         88
        .size:           8
        .value_kind:     global_buffer
      - .actual_access:  write_only
        .address_space:  global
        .offset:         96
        .size:           8
        .value_kind:     global_buffer
      - .actual_access:  write_only
        .address_space:  global
        .offset:         104
        .size:           8
        .value_kind:     global_buffer
      - .actual_access:  read_only
        .address_space:  global
        .offset:         112
        .size:           8
        .value_kind:     global_buffer
      - .offset:         120
        .size:           4
        .value_kind:     by_value
      - .address_space:  global
        .offset:         128
        .size:           8
        .value_kind:     global_buffer
      - .address_space:  global
        .offset:         136
        .size:           8
        .value_kind:     global_buffer
      - .offset:         144
        .size:           4
        .value_kind:     hidden_block_count_x
      - .offset:         148
        .size:           4
        .value_kind:     hidden_block_count_y
      - .offset:         152
        .size:           4
        .value_kind:     hidden_block_count_z
      - .offset:         156
        .size:           2
        .value_kind:     hidden_group_size_x
      - .offset:         158
        .size:           2
        .value_kind:     hidden_group_size_y
      - .offset:         160
        .size:           2
        .value_kind:     hidden_group_size_z
      - .offset:         162
        .size:           2
        .value_kind:     hidden_remainder_x
      - .offset:         164
        .size:           2
        .value_kind:     hidden_remainder_y
      - .offset:         166
        .size:           2
        .value_kind:     hidden_remainder_z
      - .offset:         184
        .size:           8
        .value_kind:     hidden_global_offset_x
      - .offset:         192
        .size:           8
        .value_kind:     hidden_global_offset_y
      - .offset:         200
        .size:           8
        .value_kind:     hidden_global_offset_z
      - .offset:         208
        .size:           2
        .value_kind:     hidden_grid_dims
    .group_segment_fixed_size: 8192
    .kernarg_segment_align: 8
    .kernarg_segment_size: 400
    .language:       OpenCL C
    .language_version:
      - 2
      - 0
    .max_flat_workgroup_size: 256
    .name:           _Z39paged_attention_ll4mi_QKV_mfma16_kernelIDF16_DF16_LN4vllm18Fp8KVCacheDataTypeE0EhLi32ELi128ELi256ELb0ELi1EEvPKT_PKT0_S7_ifPKiS9_S9_iPKfiiiPfSC_PS2_PT2_iSB_SB_
    .private_segment_fixed_size: 28
    .sgpr_count:     46
    .sgpr_spill_count: 0
    .symbol:         _Z39paged_attention_ll4mi_QKV_mfma16_kernelIDF16_DF16_LN4vllm18Fp8KVCacheDataTypeE0EhLi32ELi128ELi256ELb0ELi1EEvPKT_PKT0_S7_ifPKiS9_S9_iPKfiiiPfSC_PS2_PT2_iSB_SB_.kd
    .uniform_work_group_size: 1
    .uses_dynamic_stack: false
    .vgpr_count:     96
    .vgpr_spill_count: 10
    .wavefront_size: 64
  - .agpr_count:     0
    .args:
      - .actual_access:  read_only
        .address_space:  global
        .offset:         0
        .size:           8
        .value_kind:     global_buffer
      - .actual_access:  read_only
        .address_space:  global
        .offset:         8
        .size:           8
        .value_kind:     global_buffer
      - .actual_access:  read_only
        .address_space:  global
        .offset:         16
        .size:           8
        .value_kind:     global_buffer
      - .offset:         24
        .size:           4
        .value_kind:     by_value
      - .offset:         28
        .size:           4
        .value_kind:     by_value
      - .actual_access:  read_only
        .address_space:  global
        .offset:         32
        .size:           8
        .value_kind:     global_buffer
      - .actual_access:  read_only
        .address_space:  global
        .offset:         40
        .size:           8
        .value_kind:     global_buffer
      - .actual_access:  read_only
        .address_space:  global
        .offset:         48
        .size:           8
        .value_kind:     global_buffer
      - .offset:         56
        .size:           4
        .value_kind:     by_value
      - .actual_access:  read_only
        .address_space:  global
        .offset:         64
        .size:           8
        .value_kind:     global_buffer
      - .offset:         72
        .size:           4
        .value_kind:     by_value
      - .offset:         76
        .size:           4
        .value_kind:     by_value
      - .offset:         80
        .size:           4
        .value_kind:     by_value
      - .actual_access:  write_only
        .address_space:  global
        .offset:         88
        .size:           8
        .value_kind:     global_buffer
      - .actual_access:  write_only
        .address_space:  global
        .offset:         96
        .size:           8
        .value_kind:     global_buffer
      - .actual_access:  write_only
        .address_space:  global
        .offset:         104
        .size:           8
        .value_kind:     global_buffer
      - .actual_access:  read_only
        .address_space:  global
        .offset:         112
        .size:           8
        .value_kind:     global_buffer
      - .offset:         120
        .size:           4
        .value_kind:     by_value
      - .address_space:  global
        .offset:         128
        .size:           8
        .value_kind:     global_buffer
      - .address_space:  global
        .offset:         136
        .size:           8
        .value_kind:     global_buffer
      - .offset:         144
        .size:           4
        .value_kind:     hidden_block_count_x
      - .offset:         148
        .size:           4
        .value_kind:     hidden_block_count_y
      - .offset:         152
        .size:           4
        .value_kind:     hidden_block_count_z
      - .offset:         156
        .size:           2
        .value_kind:     hidden_group_size_x
      - .offset:         158
        .size:           2
        .value_kind:     hidden_group_size_y
      - .offset:         160
        .size:           2
        .value_kind:     hidden_group_size_z
      - .offset:         162
        .size:           2
        .value_kind:     hidden_remainder_x
      - .offset:         164
        .size:           2
        .value_kind:     hidden_remainder_y
      - .offset:         166
        .size:           2
        .value_kind:     hidden_remainder_z
      - .offset:         184
        .size:           8
        .value_kind:     hidden_global_offset_x
      - .offset:         192
        .size:           8
        .value_kind:     hidden_global_offset_y
      - .offset:         200
        .size:           8
        .value_kind:     hidden_global_offset_z
      - .offset:         208
        .size:           2
        .value_kind:     hidden_grid_dims
    .group_segment_fixed_size: 8192
    .kernarg_segment_align: 8
    .kernarg_segment_size: 400
    .language:       OpenCL C
    .language_version:
      - 2
      - 0
    .max_flat_workgroup_size: 256
    .name:           _Z39paged_attention_ll4mi_QKV_mfma16_kernelIDF16_DF16_LN4vllm18Fp8KVCacheDataTypeE0EhLi32ELi128ELi256ELb0ELi2EEvPKT_PKT0_S7_ifPKiS9_S9_iPKfiiiPfSC_PS2_PT2_iSB_SB_
    .private_segment_fixed_size: 12
    .sgpr_count:     47
    .sgpr_spill_count: 0
    .symbol:         _Z39paged_attention_ll4mi_QKV_mfma16_kernelIDF16_DF16_LN4vllm18Fp8KVCacheDataTypeE0EhLi32ELi128ELi256ELb0ELi2EEvPKT_PKT0_S7_ifPKiS9_S9_iPKfiiiPfSC_PS2_PT2_iSB_SB_.kd
    .uniform_work_group_size: 1
    .uses_dynamic_stack: false
    .vgpr_count:     96
    .vgpr_spill_count: 2
    .wavefront_size: 64
  - .agpr_count:     0
    .args:
      - .actual_access:  read_only
        .address_space:  global
        .offset:         0
        .size:           8
        .value_kind:     global_buffer
      - .actual_access:  read_only
        .address_space:  global
        .offset:         8
        .size:           8
        .value_kind:     global_buffer
      - .actual_access:  read_only
        .address_space:  global
        .offset:         16
        .size:           8
        .value_kind:     global_buffer
      - .offset:         24
        .size:           4
        .value_kind:     by_value
      - .offset:         28
        .size:           4
        .value_kind:     by_value
      - .actual_access:  read_only
        .address_space:  global
        .offset:         32
        .size:           8
        .value_kind:     global_buffer
      - .actual_access:  read_only
        .address_space:  global
        .offset:         40
        .size:           8
        .value_kind:     global_buffer
      - .actual_access:  read_only
        .address_space:  global
        .offset:         48
        .size:           8
        .value_kind:     global_buffer
      - .offset:         56
        .size:           4
        .value_kind:     by_value
      - .actual_access:  read_only
        .address_space:  global
        .offset:         64
        .size:           8
        .value_kind:     global_buffer
      - .offset:         72
        .size:           4
        .value_kind:     by_value
      - .offset:         76
        .size:           4
        .value_kind:     by_value
      - .offset:         80
        .size:           4
        .value_kind:     by_value
      - .actual_access:  write_only
        .address_space:  global
        .offset:         88
        .size:           8
        .value_kind:     global_buffer
      - .actual_access:  write_only
        .address_space:  global
        .offset:         96
        .size:           8
        .value_kind:     global_buffer
      - .actual_access:  write_only
        .address_space:  global
        .offset:         104
        .size:           8
        .value_kind:     global_buffer
      - .actual_access:  read_only
        .address_space:  global
        .offset:         112
        .size:           8
        .value_kind:     global_buffer
      - .offset:         120
        .size:           4
        .value_kind:     by_value
      - .address_space:  global
        .offset:         128
        .size:           8
        .value_kind:     global_buffer
      - .address_space:  global
        .offset:         136
        .size:           8
        .value_kind:     global_buffer
      - .offset:         144
        .size:           4
        .value_kind:     hidden_block_count_x
      - .offset:         148
        .size:           4
        .value_kind:     hidden_block_count_y
      - .offset:         152
        .size:           4
        .value_kind:     hidden_block_count_z
      - .offset:         156
        .size:           2
        .value_kind:     hidden_group_size_x
      - .offset:         158
        .size:           2
        .value_kind:     hidden_group_size_y
      - .offset:         160
        .size:           2
        .value_kind:     hidden_group_size_z
      - .offset:         162
        .size:           2
        .value_kind:     hidden_remainder_x
      - .offset:         164
        .size:           2
        .value_kind:     hidden_remainder_y
      - .offset:         166
        .size:           2
        .value_kind:     hidden_remainder_z
      - .offset:         184
        .size:           8
        .value_kind:     hidden_global_offset_x
      - .offset:         192
        .size:           8
        .value_kind:     hidden_global_offset_y
      - .offset:         200
        .size:           8
        .value_kind:     hidden_global_offset_z
      - .offset:         208
        .size:           2
        .value_kind:     hidden_grid_dims
    .group_segment_fixed_size: 8192
    .kernarg_segment_align: 8
    .kernarg_segment_size: 400
    .language:       OpenCL C
    .language_version:
      - 2
      - 0
    .max_flat_workgroup_size: 256
    .name:           _Z39paged_attention_ll4mi_QKV_mfma16_kernelIDF16_DF16_LN4vllm18Fp8KVCacheDataTypeE0EhLi32ELi128ELi256ELb0ELi3EEvPKT_PKT0_S7_ifPKiS9_S9_iPKfiiiPfSC_PS2_PT2_iSB_SB_
    .private_segment_fixed_size: 8
    .sgpr_count:     48
    .sgpr_spill_count: 0
    .symbol:         _Z39paged_attention_ll4mi_QKV_mfma16_kernelIDF16_DF16_LN4vllm18Fp8KVCacheDataTypeE0EhLi32ELi128ELi256ELb0ELi3EEvPKT_PKT0_S7_ifPKiS9_S9_iPKfiiiPfSC_PS2_PT2_iSB_SB_.kd
    .uniform_work_group_size: 1
    .uses_dynamic_stack: false
    .vgpr_count:     96
    .vgpr_spill_count: 1
    .wavefront_size: 64
  - .agpr_count:     0
    .args:
      - .actual_access:  read_only
        .address_space:  global
        .offset:         0
        .size:           8
        .value_kind:     global_buffer
      - .actual_access:  read_only
        .address_space:  global
        .offset:         8
        .size:           8
        .value_kind:     global_buffer
      - .actual_access:  read_only
        .address_space:  global
        .offset:         16
        .size:           8
        .value_kind:     global_buffer
      - .offset:         24
        .size:           4
        .value_kind:     by_value
      - .offset:         28
        .size:           4
        .value_kind:     by_value
      - .actual_access:  read_only
        .address_space:  global
        .offset:         32
        .size:           8
        .value_kind:     global_buffer
      - .actual_access:  read_only
        .address_space:  global
        .offset:         40
        .size:           8
        .value_kind:     global_buffer
      - .actual_access:  read_only
        .address_space:  global
        .offset:         48
        .size:           8
        .value_kind:     global_buffer
      - .offset:         56
        .size:           4
        .value_kind:     by_value
      - .actual_access:  read_only
        .address_space:  global
        .offset:         64
        .size:           8
        .value_kind:     global_buffer
      - .offset:         72
        .size:           4
        .value_kind:     by_value
      - .offset:         76
        .size:           4
        .value_kind:     by_value
      - .offset:         80
        .size:           4
        .value_kind:     by_value
      - .actual_access:  write_only
        .address_space:  global
        .offset:         88
        .size:           8
        .value_kind:     global_buffer
      - .actual_access:  write_only
        .address_space:  global
        .offset:         96
        .size:           8
        .value_kind:     global_buffer
      - .actual_access:  write_only
        .address_space:  global
        .offset:         104
        .size:           8
        .value_kind:     global_buffer
      - .actual_access:  read_only
        .address_space:  global
        .offset:         112
        .size:           8
        .value_kind:     global_buffer
      - .offset:         120
        .size:           4
        .value_kind:     by_value
      - .address_space:  global
        .offset:         128
        .size:           8
        .value_kind:     global_buffer
      - .address_space:  global
        .offset:         136
        .size:           8
        .value_kind:     global_buffer
      - .offset:         144
        .size:           4
        .value_kind:     hidden_block_count_x
      - .offset:         148
        .size:           4
        .value_kind:     hidden_block_count_y
      - .offset:         152
        .size:           4
        .value_kind:     hidden_block_count_z
      - .offset:         156
        .size:           2
        .value_kind:     hidden_group_size_x
      - .offset:         158
        .size:           2
        .value_kind:     hidden_group_size_y
      - .offset:         160
        .size:           2
        .value_kind:     hidden_group_size_z
      - .offset:         162
        .size:           2
        .value_kind:     hidden_remainder_x
      - .offset:         164
        .size:           2
        .value_kind:     hidden_remainder_y
      - .offset:         166
        .size:           2
        .value_kind:     hidden_remainder_z
      - .offset:         184
        .size:           8
        .value_kind:     hidden_global_offset_x
      - .offset:         192
        .size:           8
        .value_kind:     hidden_global_offset_y
      - .offset:         200
        .size:           8
        .value_kind:     hidden_global_offset_z
      - .offset:         208
        .size:           2
        .value_kind:     hidden_grid_dims
    .group_segment_fixed_size: 8192
    .kernarg_segment_align: 8
    .kernarg_segment_size: 400
    .language:       OpenCL C
    .language_version:
      - 2
      - 0
    .max_flat_workgroup_size: 256
    .name:           _Z39paged_attention_ll4mi_QKV_mfma16_kernelIDF16_DF16_LN4vllm18Fp8KVCacheDataTypeE0EhLi32ELi128ELi256ELb0ELi4EEvPKT_PKT0_S7_ifPKiS9_S9_iPKfiiiPfSC_PS2_PT2_iSB_SB_
    .private_segment_fixed_size: 12
    .sgpr_count:     49
    .sgpr_spill_count: 0
    .symbol:         _Z39paged_attention_ll4mi_QKV_mfma16_kernelIDF16_DF16_LN4vllm18Fp8KVCacheDataTypeE0EhLi32ELi128ELi256ELb0ELi4EEvPKT_PKT0_S7_ifPKiS9_S9_iPKfiiiPfSC_PS2_PT2_iSB_SB_.kd
    .uniform_work_group_size: 1
    .uses_dynamic_stack: false
    .vgpr_count:     96
    .vgpr_spill_count: 2
    .wavefront_size: 64
  - .agpr_count:     8
    .args:
      - .actual_access:  read_only
        .address_space:  global
        .offset:         0
        .size:           8
        .value_kind:     global_buffer
      - .actual_access:  read_only
        .address_space:  global
        .offset:         8
        .size:           8
        .value_kind:     global_buffer
      - .actual_access:  read_only
        .address_space:  global
        .offset:         16
        .size:           8
        .value_kind:     global_buffer
      - .offset:         24
        .size:           4
        .value_kind:     by_value
      - .offset:         28
        .size:           4
        .value_kind:     by_value
      - .actual_access:  read_only
        .address_space:  global
        .offset:         32
        .size:           8
        .value_kind:     global_buffer
      - .actual_access:  read_only
        .address_space:  global
        .offset:         40
        .size:           8
        .value_kind:     global_buffer
      - .actual_access:  read_only
        .address_space:  global
        .offset:         48
        .size:           8
        .value_kind:     global_buffer
      - .offset:         56
        .size:           4
        .value_kind:     by_value
      - .actual_access:  read_only
        .address_space:  global
        .offset:         64
        .size:           8
        .value_kind:     global_buffer
      - .offset:         72
        .size:           4
        .value_kind:     by_value
      - .offset:         76
        .size:           4
        .value_kind:     by_value
      - .offset:         80
        .size:           4
        .value_kind:     by_value
      - .actual_access:  write_only
        .address_space:  global
        .offset:         88
        .size:           8
        .value_kind:     global_buffer
      - .actual_access:  write_only
        .address_space:  global
        .offset:         96
        .size:           8
        .value_kind:     global_buffer
      - .actual_access:  write_only
        .address_space:  global
        .offset:         104
        .size:           8
        .value_kind:     global_buffer
      - .actual_access:  read_only
        .address_space:  global
        .offset:         112
        .size:           8
        .value_kind:     global_buffer
      - .offset:         120
        .size:           4
        .value_kind:     by_value
      - .address_space:  global
        .offset:         128
        .size:           8
        .value_kind:     global_buffer
      - .address_space:  global
        .offset:         136
        .size:           8
        .value_kind:     global_buffer
      - .offset:         144
        .size:           4
        .value_kind:     hidden_block_count_x
      - .offset:         148
        .size:           4
        .value_kind:     hidden_block_count_y
      - .offset:         152
        .size:           4
        .value_kind:     hidden_block_count_z
      - .offset:         156
        .size:           2
        .value_kind:     hidden_group_size_x
      - .offset:         158
        .size:           2
        .value_kind:     hidden_group_size_y
      - .offset:         160
        .size:           2
        .value_kind:     hidden_group_size_z
      - .offset:         162
        .size:           2
        .value_kind:     hidden_remainder_x
      - .offset:         164
        .size:           2
        .value_kind:     hidden_remainder_y
      - .offset:         166
        .size:           2
        .value_kind:     hidden_remainder_z
      - .offset:         184
        .size:           8
        .value_kind:     hidden_global_offset_x
      - .offset:         192
        .size:           8
        .value_kind:     hidden_global_offset_y
      - .offset:         200
        .size:           8
        .value_kind:     hidden_global_offset_z
      - .offset:         208
        .size:           2
        .value_kind:     hidden_grid_dims
    .group_segment_fixed_size: 5280
    .kernarg_segment_align: 8
    .kernarg_segment_size: 400
    .language:       OpenCL C
    .language_version:
      - 2
      - 0
    .max_flat_workgroup_size: 256
    .name:           _Z38paged_attention_ll4mi_QKV_mfma4_kernelIDF16_DF16_LN4vllm18Fp8KVCacheDataTypeE0EDF16_Li32ELi128ELi256ELb1ELi1EEvPKT_PKT0_S7_ifPKiS9_S9_iPKfiiiPfSC_PS2_PT2_iSB_SB_
    .private_segment_fixed_size: 0
    .sgpr_count:     44
    .sgpr_spill_count: 0
    .symbol:         _Z38paged_attention_ll4mi_QKV_mfma4_kernelIDF16_DF16_LN4vllm18Fp8KVCacheDataTypeE0EDF16_Li32ELi128ELi256ELb1ELi1EEvPKT_PKT0_S7_ifPKiS9_S9_iPKfiiiPfSC_PS2_PT2_iSB_SB_.kd
    .uniform_work_group_size: 1
    .uses_dynamic_stack: false
    .vgpr_count:     96
    .vgpr_spill_count: 0
    .wavefront_size: 64
  - .agpr_count:     8
    .args:
      - .actual_access:  read_only
        .address_space:  global
        .offset:         0
        .size:           8
        .value_kind:     global_buffer
      - .actual_access:  read_only
        .address_space:  global
        .offset:         8
        .size:           8
        .value_kind:     global_buffer
      - .actual_access:  read_only
        .address_space:  global
        .offset:         16
        .size:           8
        .value_kind:     global_buffer
      - .offset:         24
        .size:           4
        .value_kind:     by_value
      - .offset:         28
        .size:           4
        .value_kind:     by_value
      - .actual_access:  read_only
        .address_space:  global
        .offset:         32
        .size:           8
        .value_kind:     global_buffer
      - .actual_access:  read_only
        .address_space:  global
        .offset:         40
        .size:           8
        .value_kind:     global_buffer
      - .actual_access:  read_only
        .address_space:  global
        .offset:         48
        .size:           8
        .value_kind:     global_buffer
      - .offset:         56
        .size:           4
        .value_kind:     by_value
      - .actual_access:  read_only
        .address_space:  global
        .offset:         64
        .size:           8
        .value_kind:     global_buffer
      - .offset:         72
        .size:           4
        .value_kind:     by_value
      - .offset:         76
        .size:           4
        .value_kind:     by_value
      - .offset:         80
        .size:           4
        .value_kind:     by_value
      - .actual_access:  write_only
        .address_space:  global
        .offset:         88
        .size:           8
        .value_kind:     global_buffer
      - .actual_access:  write_only
        .address_space:  global
        .offset:         96
        .size:           8
        .value_kind:     global_buffer
      - .actual_access:  write_only
        .address_space:  global
        .offset:         104
        .size:           8
        .value_kind:     global_buffer
      - .actual_access:  read_only
        .address_space:  global
        .offset:         112
        .size:           8
        .value_kind:     global_buffer
      - .offset:         120
        .size:           4
        .value_kind:     by_value
      - .address_space:  global
        .offset:         128
        .size:           8
        .value_kind:     global_buffer
      - .address_space:  global
        .offset:         136
        .size:           8
        .value_kind:     global_buffer
      - .offset:         144
        .size:           4
        .value_kind:     hidden_block_count_x
      - .offset:         148
        .size:           4
        .value_kind:     hidden_block_count_y
      - .offset:         152
        .size:           4
        .value_kind:     hidden_block_count_z
      - .offset:         156
        .size:           2
        .value_kind:     hidden_group_size_x
      - .offset:         158
        .size:           2
        .value_kind:     hidden_group_size_y
      - .offset:         160
        .size:           2
        .value_kind:     hidden_group_size_z
      - .offset:         162
        .size:           2
        .value_kind:     hidden_remainder_x
      - .offset:         164
        .size:           2
        .value_kind:     hidden_remainder_y
      - .offset:         166
        .size:           2
        .value_kind:     hidden_remainder_z
      - .offset:         184
        .size:           8
        .value_kind:     hidden_global_offset_x
      - .offset:         192
        .size:           8
        .value_kind:     hidden_global_offset_y
      - .offset:         200
        .size:           8
        .value_kind:     hidden_global_offset_z
      - .offset:         208
        .size:           2
        .value_kind:     hidden_grid_dims
    .group_segment_fixed_size: 5280
    .kernarg_segment_align: 8
    .kernarg_segment_size: 400
    .language:       OpenCL C
    .language_version:
      - 2
      - 0
    .max_flat_workgroup_size: 256
    .name:           _Z38paged_attention_ll4mi_QKV_mfma4_kernelIDF16_DF16_LN4vllm18Fp8KVCacheDataTypeE0EDF16_Li32ELi128ELi256ELb1ELi2EEvPKT_PKT0_S7_ifPKiS9_S9_iPKfiiiPfSC_PS2_PT2_iSB_SB_
    .private_segment_fixed_size: 0
    .sgpr_count:     46
    .sgpr_spill_count: 0
    .symbol:         _Z38paged_attention_ll4mi_QKV_mfma4_kernelIDF16_DF16_LN4vllm18Fp8KVCacheDataTypeE0EDF16_Li32ELi128ELi256ELb1ELi2EEvPKT_PKT0_S7_ifPKiS9_S9_iPKfiiiPfSC_PS2_PT2_iSB_SB_.kd
    .uniform_work_group_size: 1
    .uses_dynamic_stack: false
    .vgpr_count:     96
    .vgpr_spill_count: 0
    .wavefront_size: 64
  - .agpr_count:     8
    .args:
      - .actual_access:  read_only
        .address_space:  global
        .offset:         0
        .size:           8
        .value_kind:     global_buffer
      - .actual_access:  read_only
        .address_space:  global
        .offset:         8
        .size:           8
        .value_kind:     global_buffer
      - .actual_access:  read_only
        .address_space:  global
        .offset:         16
        .size:           8
        .value_kind:     global_buffer
      - .offset:         24
        .size:           4
        .value_kind:     by_value
      - .offset:         28
        .size:           4
        .value_kind:     by_value
      - .actual_access:  read_only
        .address_space:  global
        .offset:         32
        .size:           8
        .value_kind:     global_buffer
      - .actual_access:  read_only
        .address_space:  global
        .offset:         40
        .size:           8
        .value_kind:     global_buffer
      - .actual_access:  read_only
        .address_space:  global
        .offset:         48
        .size:           8
        .value_kind:     global_buffer
      - .offset:         56
        .size:           4
        .value_kind:     by_value
      - .actual_access:  read_only
        .address_space:  global
        .offset:         64
        .size:           8
        .value_kind:     global_buffer
      - .offset:         72
        .size:           4
        .value_kind:     by_value
      - .offset:         76
        .size:           4
        .value_kind:     by_value
      - .offset:         80
        .size:           4
        .value_kind:     by_value
      - .actual_access:  write_only
        .address_space:  global
        .offset:         88
        .size:           8
        .value_kind:     global_buffer
      - .actual_access:  write_only
        .address_space:  global
        .offset:         96
        .size:           8
        .value_kind:     global_buffer
      - .actual_access:  write_only
        .address_space:  global
        .offset:         104
        .size:           8
        .value_kind:     global_buffer
      - .actual_access:  read_only
        .address_space:  global
        .offset:         112
        .size:           8
        .value_kind:     global_buffer
      - .offset:         120
        .size:           4
        .value_kind:     by_value
      - .address_space:  global
        .offset:         128
        .size:           8
        .value_kind:     global_buffer
      - .address_space:  global
        .offset:         136
        .size:           8
        .value_kind:     global_buffer
      - .offset:         144
        .size:           4
        .value_kind:     hidden_block_count_x
      - .offset:         148
        .size:           4
        .value_kind:     hidden_block_count_y
      - .offset:         152
        .size:           4
        .value_kind:     hidden_block_count_z
      - .offset:         156
        .size:           2
        .value_kind:     hidden_group_size_x
      - .offset:         158
        .size:           2
        .value_kind:     hidden_group_size_y
      - .offset:         160
        .size:           2
        .value_kind:     hidden_group_size_z
      - .offset:         162
        .size:           2
        .value_kind:     hidden_remainder_x
      - .offset:         164
        .size:           2
        .value_kind:     hidden_remainder_y
      - .offset:         166
        .size:           2
        .value_kind:     hidden_remainder_z
      - .offset:         184
        .size:           8
        .value_kind:     hidden_global_offset_x
      - .offset:         192
        .size:           8
        .value_kind:     hidden_global_offset_y
      - .offset:         200
        .size:           8
        .value_kind:     hidden_global_offset_z
      - .offset:         208
        .size:           2
        .value_kind:     hidden_grid_dims
    .group_segment_fixed_size: 5280
    .kernarg_segment_align: 8
    .kernarg_segment_size: 400
    .language:       OpenCL C
    .language_version:
      - 2
      - 0
    .max_flat_workgroup_size: 256
    .name:           _Z38paged_attention_ll4mi_QKV_mfma4_kernelIDF16_DF16_LN4vllm18Fp8KVCacheDataTypeE0EDF16_Li32ELi128ELi256ELb1ELi3EEvPKT_PKT0_S7_ifPKiS9_S9_iPKfiiiPfSC_PS2_PT2_iSB_SB_
    .private_segment_fixed_size: 0
    .sgpr_count:     46
    .sgpr_spill_count: 0
    .symbol:         _Z38paged_attention_ll4mi_QKV_mfma4_kernelIDF16_DF16_LN4vllm18Fp8KVCacheDataTypeE0EDF16_Li32ELi128ELi256ELb1ELi3EEvPKT_PKT0_S7_ifPKiS9_S9_iPKfiiiPfSC_PS2_PT2_iSB_SB_.kd
    .uniform_work_group_size: 1
    .uses_dynamic_stack: false
    .vgpr_count:     100
    .vgpr_spill_count: 0
    .wavefront_size: 64
  - .agpr_count:     8
    .args:
      - .actual_access:  read_only
        .address_space:  global
        .offset:         0
        .size:           8
        .value_kind:     global_buffer
      - .actual_access:  read_only
        .address_space:  global
        .offset:         8
        .size:           8
        .value_kind:     global_buffer
      - .actual_access:  read_only
        .address_space:  global
        .offset:         16
        .size:           8
        .value_kind:     global_buffer
      - .offset:         24
        .size:           4
        .value_kind:     by_value
      - .offset:         28
        .size:           4
        .value_kind:     by_value
      - .actual_access:  read_only
        .address_space:  global
        .offset:         32
        .size:           8
        .value_kind:     global_buffer
      - .actual_access:  read_only
        .address_space:  global
        .offset:         40
        .size:           8
        .value_kind:     global_buffer
      - .actual_access:  read_only
        .address_space:  global
        .offset:         48
        .size:           8
        .value_kind:     global_buffer
      - .offset:         56
        .size:           4
        .value_kind:     by_value
      - .actual_access:  read_only
        .address_space:  global
        .offset:         64
        .size:           8
        .value_kind:     global_buffer
      - .offset:         72
        .size:           4
        .value_kind:     by_value
      - .offset:         76
        .size:           4
        .value_kind:     by_value
      - .offset:         80
        .size:           4
        .value_kind:     by_value
      - .actual_access:  write_only
        .address_space:  global
        .offset:         88
        .size:           8
        .value_kind:     global_buffer
      - .actual_access:  write_only
        .address_space:  global
        .offset:         96
        .size:           8
        .value_kind:     global_buffer
      - .actual_access:  write_only
        .address_space:  global
        .offset:         104
        .size:           8
        .value_kind:     global_buffer
      - .actual_access:  read_only
        .address_space:  global
        .offset:         112
        .size:           8
        .value_kind:     global_buffer
      - .offset:         120
        .size:           4
        .value_kind:     by_value
      - .address_space:  global
        .offset:         128
        .size:           8
        .value_kind:     global_buffer
      - .address_space:  global
        .offset:         136
        .size:           8
        .value_kind:     global_buffer
      - .offset:         144
        .size:           4
        .value_kind:     hidden_block_count_x
      - .offset:         148
        .size:           4
        .value_kind:     hidden_block_count_y
      - .offset:         152
        .size:           4
        .value_kind:     hidden_block_count_z
      - .offset:         156
        .size:           2
        .value_kind:     hidden_group_size_x
      - .offset:         158
        .size:           2
        .value_kind:     hidden_group_size_y
      - .offset:         160
        .size:           2
        .value_kind:     hidden_group_size_z
      - .offset:         162
        .size:           2
        .value_kind:     hidden_remainder_x
      - .offset:         164
        .size:           2
        .value_kind:     hidden_remainder_y
      - .offset:         166
        .size:           2
        .value_kind:     hidden_remainder_z
      - .offset:         184
        .size:           8
        .value_kind:     hidden_global_offset_x
      - .offset:         192
        .size:           8
        .value_kind:     hidden_global_offset_y
      - .offset:         200
        .size:           8
        .value_kind:     hidden_global_offset_z
      - .offset:         208
        .size:           2
        .value_kind:     hidden_grid_dims
    .group_segment_fixed_size: 5280
    .kernarg_segment_align: 8
    .kernarg_segment_size: 400
    .language:       OpenCL C
    .language_version:
      - 2
      - 0
    .max_flat_workgroup_size: 256
    .name:           _Z38paged_attention_ll4mi_QKV_mfma4_kernelIDF16_DF16_LN4vllm18Fp8KVCacheDataTypeE0EDF16_Li32ELi128ELi256ELb1ELi4EEvPKT_PKT0_S7_ifPKiS9_S9_iPKfiiiPfSC_PS2_PT2_iSB_SB_
    .private_segment_fixed_size: 0
    .sgpr_count:     47
    .sgpr_spill_count: 0
    .symbol:         _Z38paged_attention_ll4mi_QKV_mfma4_kernelIDF16_DF16_LN4vllm18Fp8KVCacheDataTypeE0EDF16_Li32ELi128ELi256ELb1ELi4EEvPKT_PKT0_S7_ifPKiS9_S9_iPKfiiiPfSC_PS2_PT2_iSB_SB_.kd
    .uniform_work_group_size: 1
    .uses_dynamic_stack: false
    .vgpr_count:     104
    .vgpr_spill_count: 0
    .wavefront_size: 64
  - .agpr_count:     0
    .args:
      - .actual_access:  read_only
        .address_space:  global
        .offset:         0
        .size:           8
        .value_kind:     global_buffer
      - .actual_access:  read_only
        .address_space:  global
        .offset:         8
        .size:           8
        .value_kind:     global_buffer
      - .actual_access:  read_only
        .address_space:  global
        .offset:         16
        .size:           8
        .value_kind:     global_buffer
      - .offset:         24
        .size:           4
        .value_kind:     by_value
      - .offset:         28
        .size:           4
        .value_kind:     by_value
      - .actual_access:  read_only
        .address_space:  global
        .offset:         32
        .size:           8
        .value_kind:     global_buffer
      - .actual_access:  read_only
        .address_space:  global
        .offset:         40
        .size:           8
        .value_kind:     global_buffer
      - .actual_access:  read_only
        .address_space:  global
        .offset:         48
        .size:           8
        .value_kind:     global_buffer
      - .offset:         56
        .size:           4
        .value_kind:     by_value
      - .actual_access:  read_only
        .address_space:  global
        .offset:         64
        .size:           8
        .value_kind:     global_buffer
      - .offset:         72
        .size:           4
        .value_kind:     by_value
      - .offset:         76
        .size:           4
        .value_kind:     by_value
      - .offset:         80
        .size:           4
        .value_kind:     by_value
      - .actual_access:  write_only
        .address_space:  global
        .offset:         88
        .size:           8
        .value_kind:     global_buffer
      - .actual_access:  write_only
        .address_space:  global
        .offset:         96
        .size:           8
        .value_kind:     global_buffer
      - .actual_access:  write_only
        .address_space:  global
        .offset:         104
        .size:           8
        .value_kind:     global_buffer
      - .actual_access:  read_only
        .address_space:  global
        .offset:         112
        .size:           8
        .value_kind:     global_buffer
      - .offset:         120
        .size:           4
        .value_kind:     by_value
      - .address_space:  global
        .offset:         128
        .size:           8
        .value_kind:     global_buffer
      - .address_space:  global
        .offset:         136
        .size:           8
        .value_kind:     global_buffer
      - .offset:         144
        .size:           4
        .value_kind:     hidden_block_count_x
      - .offset:         148
        .size:           4
        .value_kind:     hidden_block_count_y
      - .offset:         152
        .size:           4
        .value_kind:     hidden_block_count_z
      - .offset:         156
        .size:           2
        .value_kind:     hidden_group_size_x
      - .offset:         158
        .size:           2
        .value_kind:     hidden_group_size_y
      - .offset:         160
        .size:           2
        .value_kind:     hidden_group_size_z
      - .offset:         162
        .size:           2
        .value_kind:     hidden_remainder_x
      - .offset:         164
        .size:           2
        .value_kind:     hidden_remainder_y
      - .offset:         166
        .size:           2
        .value_kind:     hidden_remainder_z
      - .offset:         184
        .size:           8
        .value_kind:     hidden_global_offset_x
      - .offset:         192
        .size:           8
        .value_kind:     hidden_global_offset_y
      - .offset:         200
        .size:           8
        .value_kind:     hidden_global_offset_z
      - .offset:         208
        .size:           2
        .value_kind:     hidden_grid_dims
    .group_segment_fixed_size: 8192
    .kernarg_segment_align: 8
    .kernarg_segment_size: 400
    .language:       OpenCL C
    .language_version:
      - 2
      - 0
    .max_flat_workgroup_size: 256
    .name:           _Z39paged_attention_ll4mi_QKV_mfma16_kernelIDF16_DF16_LN4vllm18Fp8KVCacheDataTypeE0EDF16_Li32ELi128ELi256ELb1ELi5EEvPKT_PKT0_S7_ifPKiS9_S9_iPKfiiiPfSC_PS2_PT2_iSB_SB_
    .private_segment_fixed_size: 0
    .sgpr_count:     48
    .sgpr_spill_count: 0
    .symbol:         _Z39paged_attention_ll4mi_QKV_mfma16_kernelIDF16_DF16_LN4vllm18Fp8KVCacheDataTypeE0EDF16_Li32ELi128ELi256ELb1ELi5EEvPKT_PKT0_S7_ifPKiS9_S9_iPKfiiiPfSC_PS2_PT2_iSB_SB_.kd
    .uniform_work_group_size: 1
    .uses_dynamic_stack: false
    .vgpr_count:     96
    .vgpr_spill_count: 0
    .wavefront_size: 64
  - .agpr_count:     0
    .args:
      - .actual_access:  read_only
        .address_space:  global
        .offset:         0
        .size:           8
        .value_kind:     global_buffer
      - .actual_access:  read_only
        .address_space:  global
        .offset:         8
        .size:           8
        .value_kind:     global_buffer
      - .actual_access:  read_only
        .address_space:  global
        .offset:         16
        .size:           8
        .value_kind:     global_buffer
      - .offset:         24
        .size:           4
        .value_kind:     by_value
      - .offset:         28
        .size:           4
        .value_kind:     by_value
      - .actual_access:  read_only
        .address_space:  global
        .offset:         32
        .size:           8
        .value_kind:     global_buffer
      - .actual_access:  read_only
        .address_space:  global
        .offset:         40
        .size:           8
        .value_kind:     global_buffer
      - .actual_access:  read_only
        .address_space:  global
        .offset:         48
        .size:           8
        .value_kind:     global_buffer
      - .offset:         56
        .size:           4
        .value_kind:     by_value
      - .actual_access:  read_only
        .address_space:  global
        .offset:         64
        .size:           8
        .value_kind:     global_buffer
      - .offset:         72
        .size:           4
        .value_kind:     by_value
      - .offset:         76
        .size:           4
        .value_kind:     by_value
      - .offset:         80
        .size:           4
        .value_kind:     by_value
      - .actual_access:  write_only
        .address_space:  global
        .offset:         88
        .size:           8
        .value_kind:     global_buffer
      - .actual_access:  write_only
        .address_space:  global
        .offset:         96
        .size:           8
        .value_kind:     global_buffer
      - .actual_access:  write_only
        .address_space:  global
        .offset:         104
        .size:           8
        .value_kind:     global_buffer
      - .actual_access:  read_only
        .address_space:  global
        .offset:         112
        .size:           8
        .value_kind:     global_buffer
      - .offset:         120
        .size:           4
        .value_kind:     by_value
      - .address_space:  global
        .offset:         128
        .size:           8
        .value_kind:     global_buffer
      - .address_space:  global
        .offset:         136
        .size:           8
        .value_kind:     global_buffer
      - .offset:         144
        .size:           4
        .value_kind:     hidden_block_count_x
      - .offset:         148
        .size:           4
        .value_kind:     hidden_block_count_y
      - .offset:         152
        .size:           4
        .value_kind:     hidden_block_count_z
      - .offset:         156
        .size:           2
        .value_kind:     hidden_group_size_x
      - .offset:         158
        .size:           2
        .value_kind:     hidden_group_size_y
      - .offset:         160
        .size:           2
        .value_kind:     hidden_group_size_z
      - .offset:         162
        .size:           2
        .value_kind:     hidden_remainder_x
      - .offset:         164
        .size:           2
        .value_kind:     hidden_remainder_y
      - .offset:         166
        .size:           2
        .value_kind:     hidden_remainder_z
      - .offset:         184
        .size:           8
        .value_kind:     hidden_global_offset_x
      - .offset:         192
        .size:           8
        .value_kind:     hidden_global_offset_y
      - .offset:         200
        .size:           8
        .value_kind:     hidden_global_offset_z
      - .offset:         208
        .size:           2
        .value_kind:     hidden_grid_dims
    .group_segment_fixed_size: 8192
    .kernarg_segment_align: 8
    .kernarg_segment_size: 400
    .language:       OpenCL C
    .language_version:
      - 2
      - 0
    .max_flat_workgroup_size: 256
    .name:           _Z39paged_attention_ll4mi_QKV_mfma16_kernelIDF16_DF16_LN4vllm18Fp8KVCacheDataTypeE0EDF16_Li32ELi128ELi256ELb1ELi6EEvPKT_PKT0_S7_ifPKiS9_S9_iPKfiiiPfSC_PS2_PT2_iSB_SB_
    .private_segment_fixed_size: 0
    .sgpr_count:     48
    .sgpr_spill_count: 0
    .symbol:         _Z39paged_attention_ll4mi_QKV_mfma16_kernelIDF16_DF16_LN4vllm18Fp8KVCacheDataTypeE0EDF16_Li32ELi128ELi256ELb1ELi6EEvPKT_PKT0_S7_ifPKiS9_S9_iPKfiiiPfSC_PS2_PT2_iSB_SB_.kd
    .uniform_work_group_size: 1
    .uses_dynamic_stack: false
    .vgpr_count:     96
    .vgpr_spill_count: 0
    .wavefront_size: 64
  - .agpr_count:     0
    .args:
      - .actual_access:  read_only
        .address_space:  global
        .offset:         0
        .size:           8
        .value_kind:     global_buffer
      - .actual_access:  read_only
        .address_space:  global
        .offset:         8
        .size:           8
        .value_kind:     global_buffer
      - .actual_access:  read_only
        .address_space:  global
        .offset:         16
        .size:           8
        .value_kind:     global_buffer
      - .offset:         24
        .size:           4
        .value_kind:     by_value
      - .offset:         28
        .size:           4
        .value_kind:     by_value
      - .actual_access:  read_only
        .address_space:  global
        .offset:         32
        .size:           8
        .value_kind:     global_buffer
      - .actual_access:  read_only
        .address_space:  global
        .offset:         40
        .size:           8
        .value_kind:     global_buffer
      - .actual_access:  read_only
        .address_space:  global
        .offset:         48
        .size:           8
        .value_kind:     global_buffer
      - .offset:         56
        .size:           4
        .value_kind:     by_value
      - .actual_access:  read_only
        .address_space:  global
        .offset:         64
        .size:           8
        .value_kind:     global_buffer
      - .offset:         72
        .size:           4
        .value_kind:     by_value
      - .offset:         76
        .size:           4
        .value_kind:     by_value
      - .offset:         80
        .size:           4
        .value_kind:     by_value
      - .actual_access:  write_only
        .address_space:  global
        .offset:         88
        .size:           8
        .value_kind:     global_buffer
      - .actual_access:  write_only
        .address_space:  global
        .offset:         96
        .size:           8
        .value_kind:     global_buffer
      - .actual_access:  write_only
        .address_space:  global
        .offset:         104
        .size:           8
        .value_kind:     global_buffer
      - .actual_access:  read_only
        .address_space:  global
        .offset:         112
        .size:           8
        .value_kind:     global_buffer
      - .offset:         120
        .size:           4
        .value_kind:     by_value
      - .address_space:  global
        .offset:         128
        .size:           8
        .value_kind:     global_buffer
      - .address_space:  global
        .offset:         136
        .size:           8
        .value_kind:     global_buffer
      - .offset:         144
        .size:           4
        .value_kind:     hidden_block_count_x
      - .offset:         148
        .size:           4
        .value_kind:     hidden_block_count_y
      - .offset:         152
        .size:           4
        .value_kind:     hidden_block_count_z
      - .offset:         156
        .size:           2
        .value_kind:     hidden_group_size_x
      - .offset:         158
        .size:           2
        .value_kind:     hidden_group_size_y
      - .offset:         160
        .size:           2
        .value_kind:     hidden_group_size_z
      - .offset:         162
        .size:           2
        .value_kind:     hidden_remainder_x
      - .offset:         164
        .size:           2
        .value_kind:     hidden_remainder_y
      - .offset:         166
        .size:           2
        .value_kind:     hidden_remainder_z
      - .offset:         184
        .size:           8
        .value_kind:     hidden_global_offset_x
      - .offset:         192
        .size:           8
        .value_kind:     hidden_global_offset_y
      - .offset:         200
        .size:           8
        .value_kind:     hidden_global_offset_z
      - .offset:         208
        .size:           2
        .value_kind:     hidden_grid_dims
    .group_segment_fixed_size: 8192
    .kernarg_segment_align: 8
    .kernarg_segment_size: 400
    .language:       OpenCL C
    .language_version:
      - 2
      - 0
    .max_flat_workgroup_size: 256
    .name:           _Z39paged_attention_ll4mi_QKV_mfma16_kernelIDF16_DF16_LN4vllm18Fp8KVCacheDataTypeE0EDF16_Li32ELi128ELi256ELb1ELi7EEvPKT_PKT0_S7_ifPKiS9_S9_iPKfiiiPfSC_PS2_PT2_iSB_SB_
    .private_segment_fixed_size: 0
    .sgpr_count:     48
    .sgpr_spill_count: 0
    .symbol:         _Z39paged_attention_ll4mi_QKV_mfma16_kernelIDF16_DF16_LN4vllm18Fp8KVCacheDataTypeE0EDF16_Li32ELi128ELi256ELb1ELi7EEvPKT_PKT0_S7_ifPKiS9_S9_iPKfiiiPfSC_PS2_PT2_iSB_SB_.kd
    .uniform_work_group_size: 1
    .uses_dynamic_stack: false
    .vgpr_count:     96
    .vgpr_spill_count: 0
    .wavefront_size: 64
  - .agpr_count:     0
    .args:
      - .actual_access:  read_only
        .address_space:  global
        .offset:         0
        .size:           8
        .value_kind:     global_buffer
      - .actual_access:  read_only
        .address_space:  global
        .offset:         8
        .size:           8
        .value_kind:     global_buffer
      - .actual_access:  read_only
        .address_space:  global
        .offset:         16
        .size:           8
        .value_kind:     global_buffer
      - .offset:         24
        .size:           4
        .value_kind:     by_value
      - .offset:         28
        .size:           4
        .value_kind:     by_value
      - .actual_access:  read_only
        .address_space:  global
        .offset:         32
        .size:           8
        .value_kind:     global_buffer
      - .actual_access:  read_only
        .address_space:  global
        .offset:         40
        .size:           8
        .value_kind:     global_buffer
      - .actual_access:  read_only
        .address_space:  global
        .offset:         48
        .size:           8
        .value_kind:     global_buffer
      - .offset:         56
        .size:           4
        .value_kind:     by_value
      - .actual_access:  read_only
        .address_space:  global
        .offset:         64
        .size:           8
        .value_kind:     global_buffer
      - .offset:         72
        .size:           4
        .value_kind:     by_value
      - .offset:         76
        .size:           4
        .value_kind:     by_value
      - .offset:         80
        .size:           4
        .value_kind:     by_value
      - .actual_access:  write_only
        .address_space:  global
        .offset:         88
        .size:           8
        .value_kind:     global_buffer
      - .actual_access:  write_only
        .address_space:  global
        .offset:         96
        .size:           8
        .value_kind:     global_buffer
      - .actual_access:  write_only
        .address_space:  global
        .offset:         104
        .size:           8
        .value_kind:     global_buffer
      - .actual_access:  read_only
        .address_space:  global
        .offset:         112
        .size:           8
        .value_kind:     global_buffer
      - .offset:         120
        .size:           4
        .value_kind:     by_value
      - .address_space:  global
        .offset:         128
        .size:           8
        .value_kind:     global_buffer
      - .address_space:  global
        .offset:         136
        .size:           8
        .value_kind:     global_buffer
      - .offset:         144
        .size:           4
        .value_kind:     hidden_block_count_x
      - .offset:         148
        .size:           4
        .value_kind:     hidden_block_count_y
      - .offset:         152
        .size:           4
        .value_kind:     hidden_block_count_z
      - .offset:         156
        .size:           2
        .value_kind:     hidden_group_size_x
      - .offset:         158
        .size:           2
        .value_kind:     hidden_group_size_y
      - .offset:         160
        .size:           2
        .value_kind:     hidden_group_size_z
      - .offset:         162
        .size:           2
        .value_kind:     hidden_remainder_x
      - .offset:         164
        .size:           2
        .value_kind:     hidden_remainder_y
      - .offset:         166
        .size:           2
        .value_kind:     hidden_remainder_z
      - .offset:         184
        .size:           8
        .value_kind:     hidden_global_offset_x
      - .offset:         192
        .size:           8
        .value_kind:     hidden_global_offset_y
      - .offset:         200
        .size:           8
        .value_kind:     hidden_global_offset_z
      - .offset:         208
        .size:           2
        .value_kind:     hidden_grid_dims
    .group_segment_fixed_size: 8192
    .kernarg_segment_align: 8
    .kernarg_segment_size: 400
    .language:       OpenCL C
    .language_version:
      - 2
      - 0
    .max_flat_workgroup_size: 256
    .name:           _Z39paged_attention_ll4mi_QKV_mfma16_kernelIDF16_DF16_LN4vllm18Fp8KVCacheDataTypeE0EDF16_Li32ELi128ELi256ELb1ELi8EEvPKT_PKT0_S7_ifPKiS9_S9_iPKfiiiPfSC_PS2_PT2_iSB_SB_
    .private_segment_fixed_size: 0
    .sgpr_count:     47
    .sgpr_spill_count: 0
    .symbol:         _Z39paged_attention_ll4mi_QKV_mfma16_kernelIDF16_DF16_LN4vllm18Fp8KVCacheDataTypeE0EDF16_Li32ELi128ELi256ELb1ELi8EEvPKT_PKT0_S7_ifPKiS9_S9_iPKfiiiPfSC_PS2_PT2_iSB_SB_.kd
    .uniform_work_group_size: 1
    .uses_dynamic_stack: false
    .vgpr_count:     96
    .vgpr_spill_count: 0
    .wavefront_size: 64
  - .agpr_count:     0
    .args:
      - .actual_access:  read_only
        .address_space:  global
        .offset:         0
        .size:           8
        .value_kind:     global_buffer
      - .actual_access:  read_only
        .address_space:  global
        .offset:         8
        .size:           8
        .value_kind:     global_buffer
      - .actual_access:  read_only
        .address_space:  global
        .offset:         16
        .size:           8
        .value_kind:     global_buffer
      - .offset:         24
        .size:           4
        .value_kind:     by_value
      - .offset:         28
        .size:           4
        .value_kind:     by_value
      - .actual_access:  read_only
        .address_space:  global
        .offset:         32
        .size:           8
        .value_kind:     global_buffer
      - .actual_access:  read_only
        .address_space:  global
        .offset:         40
        .size:           8
        .value_kind:     global_buffer
      - .actual_access:  read_only
        .address_space:  global
        .offset:         48
        .size:           8
        .value_kind:     global_buffer
      - .offset:         56
        .size:           4
        .value_kind:     by_value
      - .actual_access:  read_only
        .address_space:  global
        .offset:         64
        .size:           8
        .value_kind:     global_buffer
      - .offset:         72
        .size:           4
        .value_kind:     by_value
      - .offset:         76
        .size:           4
        .value_kind:     by_value
      - .offset:         80
        .size:           4
        .value_kind:     by_value
      - .actual_access:  write_only
        .address_space:  global
        .offset:         88
        .size:           8
        .value_kind:     global_buffer
      - .actual_access:  write_only
        .address_space:  global
        .offset:         96
        .size:           8
        .value_kind:     global_buffer
      - .actual_access:  write_only
        .address_space:  global
        .offset:         104
        .size:           8
        .value_kind:     global_buffer
      - .actual_access:  read_only
        .address_space:  global
        .offset:         112
        .size:           8
        .value_kind:     global_buffer
      - .offset:         120
        .size:           4
        .value_kind:     by_value
      - .address_space:  global
        .offset:         128
        .size:           8
        .value_kind:     global_buffer
      - .address_space:  global
        .offset:         136
        .size:           8
        .value_kind:     global_buffer
      - .offset:         144
        .size:           4
        .value_kind:     hidden_block_count_x
      - .offset:         148
        .size:           4
        .value_kind:     hidden_block_count_y
      - .offset:         152
        .size:           4
        .value_kind:     hidden_block_count_z
      - .offset:         156
        .size:           2
        .value_kind:     hidden_group_size_x
      - .offset:         158
        .size:           2
        .value_kind:     hidden_group_size_y
      - .offset:         160
        .size:           2
        .value_kind:     hidden_group_size_z
      - .offset:         162
        .size:           2
        .value_kind:     hidden_remainder_x
      - .offset:         164
        .size:           2
        .value_kind:     hidden_remainder_y
      - .offset:         166
        .size:           2
        .value_kind:     hidden_remainder_z
      - .offset:         184
        .size:           8
        .value_kind:     hidden_global_offset_x
      - .offset:         192
        .size:           8
        .value_kind:     hidden_global_offset_y
      - .offset:         200
        .size:           8
        .value_kind:     hidden_global_offset_z
      - .offset:         208
        .size:           2
        .value_kind:     hidden_grid_dims
    .group_segment_fixed_size: 8192
    .kernarg_segment_align: 8
    .kernarg_segment_size: 400
    .language:       OpenCL C
    .language_version:
      - 2
      - 0
    .max_flat_workgroup_size: 256
    .name:           _Z39paged_attention_ll4mi_QKV_mfma16_kernelIDF16_DF16_LN4vllm18Fp8KVCacheDataTypeE0EDF16_Li32ELi128ELi256ELb1ELi9EEvPKT_PKT0_S7_ifPKiS9_S9_iPKfiiiPfSC_PS2_PT2_iSB_SB_
    .private_segment_fixed_size: 0
    .sgpr_count:     48
    .sgpr_spill_count: 0
    .symbol:         _Z39paged_attention_ll4mi_QKV_mfma16_kernelIDF16_DF16_LN4vllm18Fp8KVCacheDataTypeE0EDF16_Li32ELi128ELi256ELb1ELi9EEvPKT_PKT0_S7_ifPKiS9_S9_iPKfiiiPfSC_PS2_PT2_iSB_SB_.kd
    .uniform_work_group_size: 1
    .uses_dynamic_stack: false
    .vgpr_count:     96
    .vgpr_spill_count: 0
    .wavefront_size: 64
  - .agpr_count:     0
    .args:
      - .actual_access:  read_only
        .address_space:  global
        .offset:         0
        .size:           8
        .value_kind:     global_buffer
      - .actual_access:  read_only
        .address_space:  global
        .offset:         8
        .size:           8
        .value_kind:     global_buffer
      - .actual_access:  read_only
        .address_space:  global
        .offset:         16
        .size:           8
        .value_kind:     global_buffer
      - .offset:         24
        .size:           4
        .value_kind:     by_value
      - .offset:         28
        .size:           4
        .value_kind:     by_value
      - .actual_access:  read_only
        .address_space:  global
        .offset:         32
        .size:           8
        .value_kind:     global_buffer
      - .actual_access:  read_only
        .address_space:  global
        .offset:         40
        .size:           8
        .value_kind:     global_buffer
      - .actual_access:  read_only
        .address_space:  global
        .offset:         48
        .size:           8
        .value_kind:     global_buffer
      - .offset:         56
        .size:           4
        .value_kind:     by_value
      - .actual_access:  read_only
        .address_space:  global
        .offset:         64
        .size:           8
        .value_kind:     global_buffer
      - .offset:         72
        .size:           4
        .value_kind:     by_value
      - .offset:         76
        .size:           4
        .value_kind:     by_value
      - .offset:         80
        .size:           4
        .value_kind:     by_value
      - .actual_access:  write_only
        .address_space:  global
        .offset:         88
        .size:           8
        .value_kind:     global_buffer
      - .actual_access:  write_only
        .address_space:  global
        .offset:         96
        .size:           8
        .value_kind:     global_buffer
      - .actual_access:  write_only
        .address_space:  global
        .offset:         104
        .size:           8
        .value_kind:     global_buffer
      - .actual_access:  read_only
        .address_space:  global
        .offset:         112
        .size:           8
        .value_kind:     global_buffer
      - .offset:         120
        .size:           4
        .value_kind:     by_value
      - .address_space:  global
        .offset:         128
        .size:           8
        .value_kind:     global_buffer
      - .address_space:  global
        .offset:         136
        .size:           8
        .value_kind:     global_buffer
      - .offset:         144
        .size:           4
        .value_kind:     hidden_block_count_x
      - .offset:         148
        .size:           4
        .value_kind:     hidden_block_count_y
      - .offset:         152
        .size:           4
        .value_kind:     hidden_block_count_z
      - .offset:         156
        .size:           2
        .value_kind:     hidden_group_size_x
      - .offset:         158
        .size:           2
        .value_kind:     hidden_group_size_y
      - .offset:         160
        .size:           2
        .value_kind:     hidden_group_size_z
      - .offset:         162
        .size:           2
        .value_kind:     hidden_remainder_x
      - .offset:         164
        .size:           2
        .value_kind:     hidden_remainder_y
      - .offset:         166
        .size:           2
        .value_kind:     hidden_remainder_z
      - .offset:         184
        .size:           8
        .value_kind:     hidden_global_offset_x
      - .offset:         192
        .size:           8
        .value_kind:     hidden_global_offset_y
      - .offset:         200
        .size:           8
        .value_kind:     hidden_global_offset_z
      - .offset:         208
        .size:           2
        .value_kind:     hidden_grid_dims
    .group_segment_fixed_size: 8192
    .kernarg_segment_align: 8
    .kernarg_segment_size: 400
    .language:       OpenCL C
    .language_version:
      - 2
      - 0
    .max_flat_workgroup_size: 256
    .name:           _Z39paged_attention_ll4mi_QKV_mfma16_kernelIDF16_DF16_LN4vllm18Fp8KVCacheDataTypeE0EDF16_Li32ELi128ELi256ELb1ELi10EEvPKT_PKT0_S7_ifPKiS9_S9_iPKfiiiPfSC_PS2_PT2_iSB_SB_
    .private_segment_fixed_size: 0
    .sgpr_count:     48
    .sgpr_spill_count: 0
    .symbol:         _Z39paged_attention_ll4mi_QKV_mfma16_kernelIDF16_DF16_LN4vllm18Fp8KVCacheDataTypeE0EDF16_Li32ELi128ELi256ELb1ELi10EEvPKT_PKT0_S7_ifPKiS9_S9_iPKfiiiPfSC_PS2_PT2_iSB_SB_.kd
    .uniform_work_group_size: 1
    .uses_dynamic_stack: false
    .vgpr_count:     96
    .vgpr_spill_count: 0
    .wavefront_size: 64
  - .agpr_count:     0
    .args:
      - .actual_access:  read_only
        .address_space:  global
        .offset:         0
        .size:           8
        .value_kind:     global_buffer
      - .actual_access:  read_only
        .address_space:  global
        .offset:         8
        .size:           8
        .value_kind:     global_buffer
      - .actual_access:  read_only
        .address_space:  global
        .offset:         16
        .size:           8
        .value_kind:     global_buffer
      - .offset:         24
        .size:           4
        .value_kind:     by_value
      - .offset:         28
        .size:           4
        .value_kind:     by_value
      - .actual_access:  read_only
        .address_space:  global
        .offset:         32
        .size:           8
        .value_kind:     global_buffer
      - .actual_access:  read_only
        .address_space:  global
        .offset:         40
        .size:           8
        .value_kind:     global_buffer
      - .actual_access:  read_only
        .address_space:  global
        .offset:         48
        .size:           8
        .value_kind:     global_buffer
      - .offset:         56
        .size:           4
        .value_kind:     by_value
      - .actual_access:  read_only
        .address_space:  global
        .offset:         64
        .size:           8
        .value_kind:     global_buffer
      - .offset:         72
        .size:           4
        .value_kind:     by_value
      - .offset:         76
        .size:           4
        .value_kind:     by_value
      - .offset:         80
        .size:           4
        .value_kind:     by_value
      - .actual_access:  write_only
        .address_space:  global
        .offset:         88
        .size:           8
        .value_kind:     global_buffer
      - .actual_access:  write_only
        .address_space:  global
        .offset:         96
        .size:           8
        .value_kind:     global_buffer
      - .actual_access:  write_only
        .address_space:  global
        .offset:         104
        .size:           8
        .value_kind:     global_buffer
      - .actual_access:  read_only
        .address_space:  global
        .offset:         112
        .size:           8
        .value_kind:     global_buffer
      - .offset:         120
        .size:           4
        .value_kind:     by_value
      - .address_space:  global
        .offset:         128
        .size:           8
        .value_kind:     global_buffer
      - .address_space:  global
        .offset:         136
        .size:           8
        .value_kind:     global_buffer
      - .offset:         144
        .size:           4
        .value_kind:     hidden_block_count_x
      - .offset:         148
        .size:           4
        .value_kind:     hidden_block_count_y
      - .offset:         152
        .size:           4
        .value_kind:     hidden_block_count_z
      - .offset:         156
        .size:           2
        .value_kind:     hidden_group_size_x
      - .offset:         158
        .size:           2
        .value_kind:     hidden_group_size_y
      - .offset:         160
        .size:           2
        .value_kind:     hidden_group_size_z
      - .offset:         162
        .size:           2
        .value_kind:     hidden_remainder_x
      - .offset:         164
        .size:           2
        .value_kind:     hidden_remainder_y
      - .offset:         166
        .size:           2
        .value_kind:     hidden_remainder_z
      - .offset:         184
        .size:           8
        .value_kind:     hidden_global_offset_x
      - .offset:         192
        .size:           8
        .value_kind:     hidden_global_offset_y
      - .offset:         200
        .size:           8
        .value_kind:     hidden_global_offset_z
      - .offset:         208
        .size:           2
        .value_kind:     hidden_grid_dims
    .group_segment_fixed_size: 8192
    .kernarg_segment_align: 8
    .kernarg_segment_size: 400
    .language:       OpenCL C
    .language_version:
      - 2
      - 0
    .max_flat_workgroup_size: 256
    .name:           _Z39paged_attention_ll4mi_QKV_mfma16_kernelIDF16_DF16_LN4vllm18Fp8KVCacheDataTypeE0EDF16_Li32ELi128ELi256ELb1ELi11EEvPKT_PKT0_S7_ifPKiS9_S9_iPKfiiiPfSC_PS2_PT2_iSB_SB_
    .private_segment_fixed_size: 0
    .sgpr_count:     48
    .sgpr_spill_count: 0
    .symbol:         _Z39paged_attention_ll4mi_QKV_mfma16_kernelIDF16_DF16_LN4vllm18Fp8KVCacheDataTypeE0EDF16_Li32ELi128ELi256ELb1ELi11EEvPKT_PKT0_S7_ifPKiS9_S9_iPKfiiiPfSC_PS2_PT2_iSB_SB_.kd
    .uniform_work_group_size: 1
    .uses_dynamic_stack: false
    .vgpr_count:     96
    .vgpr_spill_count: 0
    .wavefront_size: 64
  - .agpr_count:     0
    .args:
      - .actual_access:  read_only
        .address_space:  global
        .offset:         0
        .size:           8
        .value_kind:     global_buffer
      - .actual_access:  read_only
        .address_space:  global
        .offset:         8
        .size:           8
        .value_kind:     global_buffer
      - .actual_access:  read_only
        .address_space:  global
        .offset:         16
        .size:           8
        .value_kind:     global_buffer
      - .offset:         24
        .size:           4
        .value_kind:     by_value
      - .offset:         28
        .size:           4
        .value_kind:     by_value
      - .actual_access:  read_only
        .address_space:  global
        .offset:         32
        .size:           8
        .value_kind:     global_buffer
      - .actual_access:  read_only
        .address_space:  global
        .offset:         40
        .size:           8
        .value_kind:     global_buffer
      - .actual_access:  read_only
        .address_space:  global
        .offset:         48
        .size:           8
        .value_kind:     global_buffer
      - .offset:         56
        .size:           4
        .value_kind:     by_value
      - .actual_access:  read_only
        .address_space:  global
        .offset:         64
        .size:           8
        .value_kind:     global_buffer
      - .offset:         72
        .size:           4
        .value_kind:     by_value
      - .offset:         76
        .size:           4
        .value_kind:     by_value
      - .offset:         80
        .size:           4
        .value_kind:     by_value
      - .actual_access:  write_only
        .address_space:  global
        .offset:         88
        .size:           8
        .value_kind:     global_buffer
      - .actual_access:  write_only
        .address_space:  global
        .offset:         96
        .size:           8
        .value_kind:     global_buffer
      - .actual_access:  write_only
        .address_space:  global
        .offset:         104
        .size:           8
        .value_kind:     global_buffer
      - .actual_access:  read_only
        .address_space:  global
        .offset:         112
        .size:           8
        .value_kind:     global_buffer
      - .offset:         120
        .size:           4
        .value_kind:     by_value
      - .address_space:  global
        .offset:         128
        .size:           8
        .value_kind:     global_buffer
      - .address_space:  global
        .offset:         136
        .size:           8
        .value_kind:     global_buffer
      - .offset:         144
        .size:           4
        .value_kind:     hidden_block_count_x
      - .offset:         148
        .size:           4
        .value_kind:     hidden_block_count_y
      - .offset:         152
        .size:           4
        .value_kind:     hidden_block_count_z
      - .offset:         156
        .size:           2
        .value_kind:     hidden_group_size_x
      - .offset:         158
        .size:           2
        .value_kind:     hidden_group_size_y
      - .offset:         160
        .size:           2
        .value_kind:     hidden_group_size_z
      - .offset:         162
        .size:           2
        .value_kind:     hidden_remainder_x
      - .offset:         164
        .size:           2
        .value_kind:     hidden_remainder_y
      - .offset:         166
        .size:           2
        .value_kind:     hidden_remainder_z
      - .offset:         184
        .size:           8
        .value_kind:     hidden_global_offset_x
      - .offset:         192
        .size:           8
        .value_kind:     hidden_global_offset_y
      - .offset:         200
        .size:           8
        .value_kind:     hidden_global_offset_z
      - .offset:         208
        .size:           2
        .value_kind:     hidden_grid_dims
    .group_segment_fixed_size: 8192
    .kernarg_segment_align: 8
    .kernarg_segment_size: 400
    .language:       OpenCL C
    .language_version:
      - 2
      - 0
    .max_flat_workgroup_size: 256
    .name:           _Z39paged_attention_ll4mi_QKV_mfma16_kernelIDF16_DF16_LN4vllm18Fp8KVCacheDataTypeE0EDF16_Li32ELi128ELi256ELb1ELi12EEvPKT_PKT0_S7_ifPKiS9_S9_iPKfiiiPfSC_PS2_PT2_iSB_SB_
    .private_segment_fixed_size: 0
    .sgpr_count:     48
    .sgpr_spill_count: 0
    .symbol:         _Z39paged_attention_ll4mi_QKV_mfma16_kernelIDF16_DF16_LN4vllm18Fp8KVCacheDataTypeE0EDF16_Li32ELi128ELi256ELb1ELi12EEvPKT_PKT0_S7_ifPKiS9_S9_iPKfiiiPfSC_PS2_PT2_iSB_SB_.kd
    .uniform_work_group_size: 1
    .uses_dynamic_stack: false
    .vgpr_count:     96
    .vgpr_spill_count: 0
    .wavefront_size: 64
  - .agpr_count:     0
    .args:
      - .actual_access:  read_only
        .address_space:  global
        .offset:         0
        .size:           8
        .value_kind:     global_buffer
      - .actual_access:  read_only
        .address_space:  global
        .offset:         8
        .size:           8
        .value_kind:     global_buffer
      - .actual_access:  read_only
        .address_space:  global
        .offset:         16
        .size:           8
        .value_kind:     global_buffer
      - .offset:         24
        .size:           4
        .value_kind:     by_value
      - .offset:         28
        .size:           4
        .value_kind:     by_value
      - .actual_access:  read_only
        .address_space:  global
        .offset:         32
        .size:           8
        .value_kind:     global_buffer
      - .actual_access:  read_only
        .address_space:  global
        .offset:         40
        .size:           8
        .value_kind:     global_buffer
      - .actual_access:  read_only
        .address_space:  global
        .offset:         48
        .size:           8
        .value_kind:     global_buffer
      - .offset:         56
        .size:           4
        .value_kind:     by_value
      - .actual_access:  read_only
        .address_space:  global
        .offset:         64
        .size:           8
        .value_kind:     global_buffer
      - .offset:         72
        .size:           4
        .value_kind:     by_value
      - .offset:         76
        .size:           4
        .value_kind:     by_value
      - .offset:         80
        .size:           4
        .value_kind:     by_value
      - .actual_access:  write_only
        .address_space:  global
        .offset:         88
        .size:           8
        .value_kind:     global_buffer
      - .actual_access:  write_only
        .address_space:  global
        .offset:         96
        .size:           8
        .value_kind:     global_buffer
      - .actual_access:  write_only
        .address_space:  global
        .offset:         104
        .size:           8
        .value_kind:     global_buffer
      - .actual_access:  read_only
        .address_space:  global
        .offset:         112
        .size:           8
        .value_kind:     global_buffer
      - .offset:         120
        .size:           4
        .value_kind:     by_value
      - .address_space:  global
        .offset:         128
        .size:           8
        .value_kind:     global_buffer
      - .address_space:  global
        .offset:         136
        .size:           8
        .value_kind:     global_buffer
      - .offset:         144
        .size:           4
        .value_kind:     hidden_block_count_x
      - .offset:         148
        .size:           4
        .value_kind:     hidden_block_count_y
      - .offset:         152
        .size:           4
        .value_kind:     hidden_block_count_z
      - .offset:         156
        .size:           2
        .value_kind:     hidden_group_size_x
      - .offset:         158
        .size:           2
        .value_kind:     hidden_group_size_y
      - .offset:         160
        .size:           2
        .value_kind:     hidden_group_size_z
      - .offset:         162
        .size:           2
        .value_kind:     hidden_remainder_x
      - .offset:         164
        .size:           2
        .value_kind:     hidden_remainder_y
      - .offset:         166
        .size:           2
        .value_kind:     hidden_remainder_z
      - .offset:         184
        .size:           8
        .value_kind:     hidden_global_offset_x
      - .offset:         192
        .size:           8
        .value_kind:     hidden_global_offset_y
      - .offset:         200
        .size:           8
        .value_kind:     hidden_global_offset_z
      - .offset:         208
        .size:           2
        .value_kind:     hidden_grid_dims
    .group_segment_fixed_size: 8192
    .kernarg_segment_align: 8
    .kernarg_segment_size: 400
    .language:       OpenCL C
    .language_version:
      - 2
      - 0
    .max_flat_workgroup_size: 256
    .name:           _Z39paged_attention_ll4mi_QKV_mfma16_kernelIDF16_DF16_LN4vllm18Fp8KVCacheDataTypeE0EDF16_Li32ELi128ELi256ELb1ELi13EEvPKT_PKT0_S7_ifPKiS9_S9_iPKfiiiPfSC_PS2_PT2_iSB_SB_
    .private_segment_fixed_size: 0
    .sgpr_count:     48
    .sgpr_spill_count: 0
    .symbol:         _Z39paged_attention_ll4mi_QKV_mfma16_kernelIDF16_DF16_LN4vllm18Fp8KVCacheDataTypeE0EDF16_Li32ELi128ELi256ELb1ELi13EEvPKT_PKT0_S7_ifPKiS9_S9_iPKfiiiPfSC_PS2_PT2_iSB_SB_.kd
    .uniform_work_group_size: 1
    .uses_dynamic_stack: false
    .vgpr_count:     96
    .vgpr_spill_count: 0
    .wavefront_size: 64
  - .agpr_count:     0
    .args:
      - .actual_access:  read_only
        .address_space:  global
        .offset:         0
        .size:           8
        .value_kind:     global_buffer
      - .actual_access:  read_only
        .address_space:  global
        .offset:         8
        .size:           8
        .value_kind:     global_buffer
      - .actual_access:  read_only
        .address_space:  global
        .offset:         16
        .size:           8
        .value_kind:     global_buffer
      - .offset:         24
        .size:           4
        .value_kind:     by_value
      - .offset:         28
        .size:           4
        .value_kind:     by_value
      - .actual_access:  read_only
        .address_space:  global
        .offset:         32
        .size:           8
        .value_kind:     global_buffer
      - .actual_access:  read_only
        .address_space:  global
        .offset:         40
        .size:           8
        .value_kind:     global_buffer
      - .actual_access:  read_only
        .address_space:  global
        .offset:         48
        .size:           8
        .value_kind:     global_buffer
      - .offset:         56
        .size:           4
        .value_kind:     by_value
      - .actual_access:  read_only
        .address_space:  global
        .offset:         64
        .size:           8
        .value_kind:     global_buffer
      - .offset:         72
        .size:           4
        .value_kind:     by_value
      - .offset:         76
        .size:           4
        .value_kind:     by_value
      - .offset:         80
        .size:           4
        .value_kind:     by_value
      - .actual_access:  write_only
        .address_space:  global
        .offset:         88
        .size:           8
        .value_kind:     global_buffer
      - .actual_access:  write_only
        .address_space:  global
        .offset:         96
        .size:           8
        .value_kind:     global_buffer
      - .actual_access:  write_only
        .address_space:  global
        .offset:         104
        .size:           8
        .value_kind:     global_buffer
      - .actual_access:  read_only
        .address_space:  global
        .offset:         112
        .size:           8
        .value_kind:     global_buffer
      - .offset:         120
        .size:           4
        .value_kind:     by_value
      - .address_space:  global
        .offset:         128
        .size:           8
        .value_kind:     global_buffer
      - .address_space:  global
        .offset:         136
        .size:           8
        .value_kind:     global_buffer
      - .offset:         144
        .size:           4
        .value_kind:     hidden_block_count_x
      - .offset:         148
        .size:           4
        .value_kind:     hidden_block_count_y
      - .offset:         152
        .size:           4
        .value_kind:     hidden_block_count_z
      - .offset:         156
        .size:           2
        .value_kind:     hidden_group_size_x
      - .offset:         158
        .size:           2
        .value_kind:     hidden_group_size_y
      - .offset:         160
        .size:           2
        .value_kind:     hidden_group_size_z
      - .offset:         162
        .size:           2
        .value_kind:     hidden_remainder_x
      - .offset:         164
        .size:           2
        .value_kind:     hidden_remainder_y
      - .offset:         166
        .size:           2
        .value_kind:     hidden_remainder_z
      - .offset:         184
        .size:           8
        .value_kind:     hidden_global_offset_x
      - .offset:         192
        .size:           8
        .value_kind:     hidden_global_offset_y
      - .offset:         200
        .size:           8
        .value_kind:     hidden_global_offset_z
      - .offset:         208
        .size:           2
        .value_kind:     hidden_grid_dims
    .group_segment_fixed_size: 8192
    .kernarg_segment_align: 8
    .kernarg_segment_size: 400
    .language:       OpenCL C
    .language_version:
      - 2
      - 0
    .max_flat_workgroup_size: 256
    .name:           _Z39paged_attention_ll4mi_QKV_mfma16_kernelIDF16_DF16_LN4vllm18Fp8KVCacheDataTypeE0EDF16_Li32ELi128ELi256ELb1ELi14EEvPKT_PKT0_S7_ifPKiS9_S9_iPKfiiiPfSC_PS2_PT2_iSB_SB_
    .private_segment_fixed_size: 0
    .sgpr_count:     48
    .sgpr_spill_count: 0
    .symbol:         _Z39paged_attention_ll4mi_QKV_mfma16_kernelIDF16_DF16_LN4vllm18Fp8KVCacheDataTypeE0EDF16_Li32ELi128ELi256ELb1ELi14EEvPKT_PKT0_S7_ifPKiS9_S9_iPKfiiiPfSC_PS2_PT2_iSB_SB_.kd
    .uniform_work_group_size: 1
    .uses_dynamic_stack: false
    .vgpr_count:     96
    .vgpr_spill_count: 0
    .wavefront_size: 64
  - .agpr_count:     0
    .args:
      - .actual_access:  read_only
        .address_space:  global
        .offset:         0
        .size:           8
        .value_kind:     global_buffer
      - .actual_access:  read_only
        .address_space:  global
        .offset:         8
        .size:           8
        .value_kind:     global_buffer
      - .actual_access:  read_only
        .address_space:  global
        .offset:         16
        .size:           8
        .value_kind:     global_buffer
      - .offset:         24
        .size:           4
        .value_kind:     by_value
      - .offset:         28
        .size:           4
        .value_kind:     by_value
      - .actual_access:  read_only
        .address_space:  global
        .offset:         32
        .size:           8
        .value_kind:     global_buffer
      - .actual_access:  read_only
        .address_space:  global
        .offset:         40
        .size:           8
        .value_kind:     global_buffer
      - .actual_access:  read_only
        .address_space:  global
        .offset:         48
        .size:           8
        .value_kind:     global_buffer
      - .offset:         56
        .size:           4
        .value_kind:     by_value
      - .actual_access:  read_only
        .address_space:  global
        .offset:         64
        .size:           8
        .value_kind:     global_buffer
      - .offset:         72
        .size:           4
        .value_kind:     by_value
      - .offset:         76
        .size:           4
        .value_kind:     by_value
      - .offset:         80
        .size:           4
        .value_kind:     by_value
      - .actual_access:  write_only
        .address_space:  global
        .offset:         88
        .size:           8
        .value_kind:     global_buffer
      - .actual_access:  write_only
        .address_space:  global
        .offset:         96
        .size:           8
        .value_kind:     global_buffer
      - .actual_access:  write_only
        .address_space:  global
        .offset:         104
        .size:           8
        .value_kind:     global_buffer
      - .actual_access:  read_only
        .address_space:  global
        .offset:         112
        .size:           8
        .value_kind:     global_buffer
      - .offset:         120
        .size:           4
        .value_kind:     by_value
      - .address_space:  global
        .offset:         128
        .size:           8
        .value_kind:     global_buffer
      - .address_space:  global
        .offset:         136
        .size:           8
        .value_kind:     global_buffer
      - .offset:         144
        .size:           4
        .value_kind:     hidden_block_count_x
      - .offset:         148
        .size:           4
        .value_kind:     hidden_block_count_y
      - .offset:         152
        .size:           4
        .value_kind:     hidden_block_count_z
      - .offset:         156
        .size:           2
        .value_kind:     hidden_group_size_x
      - .offset:         158
        .size:           2
        .value_kind:     hidden_group_size_y
      - .offset:         160
        .size:           2
        .value_kind:     hidden_group_size_z
      - .offset:         162
        .size:           2
        .value_kind:     hidden_remainder_x
      - .offset:         164
        .size:           2
        .value_kind:     hidden_remainder_y
      - .offset:         166
        .size:           2
        .value_kind:     hidden_remainder_z
      - .offset:         184
        .size:           8
        .value_kind:     hidden_global_offset_x
      - .offset:         192
        .size:           8
        .value_kind:     hidden_global_offset_y
      - .offset:         200
        .size:           8
        .value_kind:     hidden_global_offset_z
      - .offset:         208
        .size:           2
        .value_kind:     hidden_grid_dims
    .group_segment_fixed_size: 8192
    .kernarg_segment_align: 8
    .kernarg_segment_size: 400
    .language:       OpenCL C
    .language_version:
      - 2
      - 0
    .max_flat_workgroup_size: 256
    .name:           _Z39paged_attention_ll4mi_QKV_mfma16_kernelIDF16_DF16_LN4vllm18Fp8KVCacheDataTypeE0EDF16_Li32ELi128ELi256ELb1ELi15EEvPKT_PKT0_S7_ifPKiS9_S9_iPKfiiiPfSC_PS2_PT2_iSB_SB_
    .private_segment_fixed_size: 0
    .sgpr_count:     48
    .sgpr_spill_count: 0
    .symbol:         _Z39paged_attention_ll4mi_QKV_mfma16_kernelIDF16_DF16_LN4vllm18Fp8KVCacheDataTypeE0EDF16_Li32ELi128ELi256ELb1ELi15EEvPKT_PKT0_S7_ifPKiS9_S9_iPKfiiiPfSC_PS2_PT2_iSB_SB_.kd
    .uniform_work_group_size: 1
    .uses_dynamic_stack: false
    .vgpr_count:     96
    .vgpr_spill_count: 0
    .wavefront_size: 64
  - .agpr_count:     0
    .args:
      - .actual_access:  read_only
        .address_space:  global
        .offset:         0
        .size:           8
        .value_kind:     global_buffer
      - .actual_access:  read_only
        .address_space:  global
        .offset:         8
        .size:           8
        .value_kind:     global_buffer
      - .actual_access:  read_only
        .address_space:  global
        .offset:         16
        .size:           8
        .value_kind:     global_buffer
      - .offset:         24
        .size:           4
        .value_kind:     by_value
      - .offset:         28
        .size:           4
        .value_kind:     by_value
      - .actual_access:  read_only
        .address_space:  global
        .offset:         32
        .size:           8
        .value_kind:     global_buffer
      - .actual_access:  read_only
        .address_space:  global
        .offset:         40
        .size:           8
        .value_kind:     global_buffer
      - .actual_access:  read_only
        .address_space:  global
        .offset:         48
        .size:           8
        .value_kind:     global_buffer
      - .offset:         56
        .size:           4
        .value_kind:     by_value
      - .actual_access:  read_only
        .address_space:  global
        .offset:         64
        .size:           8
        .value_kind:     global_buffer
      - .offset:         72
        .size:           4
        .value_kind:     by_value
      - .offset:         76
        .size:           4
        .value_kind:     by_value
      - .offset:         80
        .size:           4
        .value_kind:     by_value
      - .actual_access:  write_only
        .address_space:  global
        .offset:         88
        .size:           8
        .value_kind:     global_buffer
      - .actual_access:  write_only
        .address_space:  global
        .offset:         96
        .size:           8
        .value_kind:     global_buffer
      - .actual_access:  write_only
        .address_space:  global
        .offset:         104
        .size:           8
        .value_kind:     global_buffer
      - .actual_access:  read_only
        .address_space:  global
        .offset:         112
        .size:           8
        .value_kind:     global_buffer
      - .offset:         120
        .size:           4
        .value_kind:     by_value
      - .address_space:  global
        .offset:         128
        .size:           8
        .value_kind:     global_buffer
      - .address_space:  global
        .offset:         136
        .size:           8
        .value_kind:     global_buffer
      - .offset:         144
        .size:           4
        .value_kind:     hidden_block_count_x
      - .offset:         148
        .size:           4
        .value_kind:     hidden_block_count_y
      - .offset:         152
        .size:           4
        .value_kind:     hidden_block_count_z
      - .offset:         156
        .size:           2
        .value_kind:     hidden_group_size_x
      - .offset:         158
        .size:           2
        .value_kind:     hidden_group_size_y
      - .offset:         160
        .size:           2
        .value_kind:     hidden_group_size_z
      - .offset:         162
        .size:           2
        .value_kind:     hidden_remainder_x
      - .offset:         164
        .size:           2
        .value_kind:     hidden_remainder_y
      - .offset:         166
        .size:           2
        .value_kind:     hidden_remainder_z
      - .offset:         184
        .size:           8
        .value_kind:     hidden_global_offset_x
      - .offset:         192
        .size:           8
        .value_kind:     hidden_global_offset_y
      - .offset:         200
        .size:           8
        .value_kind:     hidden_global_offset_z
      - .offset:         208
        .size:           2
        .value_kind:     hidden_grid_dims
    .group_segment_fixed_size: 8192
    .kernarg_segment_align: 8
    .kernarg_segment_size: 400
    .language:       OpenCL C
    .language_version:
      - 2
      - 0
    .max_flat_workgroup_size: 256
    .name:           _Z39paged_attention_ll4mi_QKV_mfma16_kernelIDF16_DF16_LN4vllm18Fp8KVCacheDataTypeE0EDF16_Li32ELi128ELi256ELb1ELi16EEvPKT_PKT0_S7_ifPKiS9_S9_iPKfiiiPfSC_PS2_PT2_iSB_SB_
    .private_segment_fixed_size: 28
    .sgpr_count:     47
    .sgpr_spill_count: 0
    .symbol:         _Z39paged_attention_ll4mi_QKV_mfma16_kernelIDF16_DF16_LN4vllm18Fp8KVCacheDataTypeE0EDF16_Li32ELi128ELi256ELb1ELi16EEvPKT_PKT0_S7_ifPKiS9_S9_iPKfiiiPfSC_PS2_PT2_iSB_SB_.kd
    .uniform_work_group_size: 1
    .uses_dynamic_stack: false
    .vgpr_count:     96
    .vgpr_spill_count: 6
    .wavefront_size: 64
  - .agpr_count:     0
    .args:
      - .actual_access:  read_only
        .address_space:  global
        .offset:         0
        .size:           8
        .value_kind:     global_buffer
      - .actual_access:  read_only
        .address_space:  global
        .offset:         8
        .size:           8
        .value_kind:     global_buffer
      - .actual_access:  read_only
        .address_space:  global
        .offset:         16
        .size:           8
        .value_kind:     global_buffer
      - .offset:         24
        .size:           4
        .value_kind:     by_value
      - .offset:         28
        .size:           4
        .value_kind:     by_value
      - .actual_access:  read_only
        .address_space:  global
        .offset:         32
        .size:           8
        .value_kind:     global_buffer
      - .actual_access:  read_only
        .address_space:  global
        .offset:         40
        .size:           8
        .value_kind:     global_buffer
      - .actual_access:  read_only
        .address_space:  global
        .offset:         48
        .size:           8
        .value_kind:     global_buffer
      - .offset:         56
        .size:           4
        .value_kind:     by_value
      - .actual_access:  read_only
        .address_space:  global
        .offset:         64
        .size:           8
        .value_kind:     global_buffer
      - .offset:         72
        .size:           4
        .value_kind:     by_value
      - .offset:         76
        .size:           4
        .value_kind:     by_value
      - .offset:         80
        .size:           4
        .value_kind:     by_value
      - .actual_access:  write_only
        .address_space:  global
        .offset:         88
        .size:           8
        .value_kind:     global_buffer
      - .actual_access:  write_only
        .address_space:  global
        .offset:         96
        .size:           8
        .value_kind:     global_buffer
      - .actual_access:  write_only
        .address_space:  global
        .offset:         104
        .size:           8
        .value_kind:     global_buffer
      - .actual_access:  read_only
        .address_space:  global
        .offset:         112
        .size:           8
        .value_kind:     global_buffer
      - .offset:         120
        .size:           4
        .value_kind:     by_value
      - .address_space:  global
        .offset:         128
        .size:           8
        .value_kind:     global_buffer
      - .address_space:  global
        .offset:         136
        .size:           8
        .value_kind:     global_buffer
      - .offset:         144
        .size:           4
        .value_kind:     hidden_block_count_x
      - .offset:         148
        .size:           4
        .value_kind:     hidden_block_count_y
      - .offset:         152
        .size:           4
        .value_kind:     hidden_block_count_z
      - .offset:         156
        .size:           2
        .value_kind:     hidden_group_size_x
      - .offset:         158
        .size:           2
        .value_kind:     hidden_group_size_y
      - .offset:         160
        .size:           2
        .value_kind:     hidden_group_size_z
      - .offset:         162
        .size:           2
        .value_kind:     hidden_remainder_x
      - .offset:         164
        .size:           2
        .value_kind:     hidden_remainder_y
      - .offset:         166
        .size:           2
        .value_kind:     hidden_remainder_z
      - .offset:         184
        .size:           8
        .value_kind:     hidden_global_offset_x
      - .offset:         192
        .size:           8
        .value_kind:     hidden_global_offset_y
      - .offset:         200
        .size:           8
        .value_kind:     hidden_global_offset_z
      - .offset:         208
        .size:           2
        .value_kind:     hidden_grid_dims
    .group_segment_fixed_size: 8192
    .kernarg_segment_align: 8
    .kernarg_segment_size: 400
    .language:       OpenCL C
    .language_version:
      - 2
      - 0
    .max_flat_workgroup_size: 256
    .name:           _Z39paged_attention_ll4mi_QKV_mfma16_kernelIDF16_DF16_LN4vllm18Fp8KVCacheDataTypeE0EDF16_Li32ELi128ELi256ELb1ELi1EEvPKT_PKT0_S7_ifPKiS9_S9_iPKfiiiPfSC_PS2_PT2_iSB_SB_
    .private_segment_fixed_size: 12
    .sgpr_count:     48
    .sgpr_spill_count: 0
    .symbol:         _Z39paged_attention_ll4mi_QKV_mfma16_kernelIDF16_DF16_LN4vllm18Fp8KVCacheDataTypeE0EDF16_Li32ELi128ELi256ELb1ELi1EEvPKT_PKT0_S7_ifPKiS9_S9_iPKfiiiPfSC_PS2_PT2_iSB_SB_.kd
    .uniform_work_group_size: 1
    .uses_dynamic_stack: false
    .vgpr_count:     96
    .vgpr_spill_count: 6
    .wavefront_size: 64
  - .agpr_count:     0
    .args:
      - .actual_access:  read_only
        .address_space:  global
        .offset:         0
        .size:           8
        .value_kind:     global_buffer
      - .actual_access:  read_only
        .address_space:  global
        .offset:         8
        .size:           8
        .value_kind:     global_buffer
      - .actual_access:  read_only
        .address_space:  global
        .offset:         16
        .size:           8
        .value_kind:     global_buffer
      - .offset:         24
        .size:           4
        .value_kind:     by_value
      - .offset:         28
        .size:           4
        .value_kind:     by_value
      - .actual_access:  read_only
        .address_space:  global
        .offset:         32
        .size:           8
        .value_kind:     global_buffer
      - .actual_access:  read_only
        .address_space:  global
        .offset:         40
        .size:           8
        .value_kind:     global_buffer
      - .actual_access:  read_only
        .address_space:  global
        .offset:         48
        .size:           8
        .value_kind:     global_buffer
      - .offset:         56
        .size:           4
        .value_kind:     by_value
      - .actual_access:  read_only
        .address_space:  global
        .offset:         64
        .size:           8
        .value_kind:     global_buffer
      - .offset:         72
        .size:           4
        .value_kind:     by_value
      - .offset:         76
        .size:           4
        .value_kind:     by_value
      - .offset:         80
        .size:           4
        .value_kind:     by_value
      - .actual_access:  write_only
        .address_space:  global
        .offset:         88
        .size:           8
        .value_kind:     global_buffer
      - .actual_access:  write_only
        .address_space:  global
        .offset:         96
        .size:           8
        .value_kind:     global_buffer
      - .actual_access:  write_only
        .address_space:  global
        .offset:         104
        .size:           8
        .value_kind:     global_buffer
      - .actual_access:  read_only
        .address_space:  global
        .offset:         112
        .size:           8
        .value_kind:     global_buffer
      - .offset:         120
        .size:           4
        .value_kind:     by_value
      - .address_space:  global
        .offset:         128
        .size:           8
        .value_kind:     global_buffer
      - .address_space:  global
        .offset:         136
        .size:           8
        .value_kind:     global_buffer
      - .offset:         144
        .size:           4
        .value_kind:     hidden_block_count_x
      - .offset:         148
        .size:           4
        .value_kind:     hidden_block_count_y
      - .offset:         152
        .size:           4
        .value_kind:     hidden_block_count_z
      - .offset:         156
        .size:           2
        .value_kind:     hidden_group_size_x
      - .offset:         158
        .size:           2
        .value_kind:     hidden_group_size_y
      - .offset:         160
        .size:           2
        .value_kind:     hidden_group_size_z
      - .offset:         162
        .size:           2
        .value_kind:     hidden_remainder_x
      - .offset:         164
        .size:           2
        .value_kind:     hidden_remainder_y
      - .offset:         166
        .size:           2
        .value_kind:     hidden_remainder_z
      - .offset:         184
        .size:           8
        .value_kind:     hidden_global_offset_x
      - .offset:         192
        .size:           8
        .value_kind:     hidden_global_offset_y
      - .offset:         200
        .size:           8
        .value_kind:     hidden_global_offset_z
      - .offset:         208
        .size:           2
        .value_kind:     hidden_grid_dims
    .group_segment_fixed_size: 8192
    .kernarg_segment_align: 8
    .kernarg_segment_size: 400
    .language:       OpenCL C
    .language_version:
      - 2
      - 0
    .max_flat_workgroup_size: 256
    .name:           _Z39paged_attention_ll4mi_QKV_mfma16_kernelIDF16_DF16_LN4vllm18Fp8KVCacheDataTypeE0EDF16_Li32ELi128ELi256ELb1ELi2EEvPKT_PKT0_S7_ifPKiS9_S9_iPKfiiiPfSC_PS2_PT2_iSB_SB_
    .private_segment_fixed_size: 0
    .sgpr_count:     47
    .sgpr_spill_count: 0
    .symbol:         _Z39paged_attention_ll4mi_QKV_mfma16_kernelIDF16_DF16_LN4vllm18Fp8KVCacheDataTypeE0EDF16_Li32ELi128ELi256ELb1ELi2EEvPKT_PKT0_S7_ifPKiS9_S9_iPKfiiiPfSC_PS2_PT2_iSB_SB_.kd
    .uniform_work_group_size: 1
    .uses_dynamic_stack: false
    .vgpr_count:     96
    .vgpr_spill_count: 0
    .wavefront_size: 64
  - .agpr_count:     0
    .args:
      - .actual_access:  read_only
        .address_space:  global
        .offset:         0
        .size:           8
        .value_kind:     global_buffer
      - .actual_access:  read_only
        .address_space:  global
        .offset:         8
        .size:           8
        .value_kind:     global_buffer
      - .actual_access:  read_only
        .address_space:  global
        .offset:         16
        .size:           8
        .value_kind:     global_buffer
      - .offset:         24
        .size:           4
        .value_kind:     by_value
      - .offset:         28
        .size:           4
        .value_kind:     by_value
      - .actual_access:  read_only
        .address_space:  global
        .offset:         32
        .size:           8
        .value_kind:     global_buffer
      - .actual_access:  read_only
        .address_space:  global
        .offset:         40
        .size:           8
        .value_kind:     global_buffer
      - .actual_access:  read_only
        .address_space:  global
        .offset:         48
        .size:           8
        .value_kind:     global_buffer
      - .offset:         56
        .size:           4
        .value_kind:     by_value
      - .actual_access:  read_only
        .address_space:  global
        .offset:         64
        .size:           8
        .value_kind:     global_buffer
      - .offset:         72
        .size:           4
        .value_kind:     by_value
      - .offset:         76
        .size:           4
        .value_kind:     by_value
      - .offset:         80
        .size:           4
        .value_kind:     by_value
      - .actual_access:  write_only
        .address_space:  global
        .offset:         88
        .size:           8
        .value_kind:     global_buffer
      - .actual_access:  write_only
        .address_space:  global
        .offset:         96
        .size:           8
        .value_kind:     global_buffer
      - .actual_access:  write_only
        .address_space:  global
        .offset:         104
        .size:           8
        .value_kind:     global_buffer
      - .actual_access:  read_only
        .address_space:  global
        .offset:         112
        .size:           8
        .value_kind:     global_buffer
      - .offset:         120
        .size:           4
        .value_kind:     by_value
      - .address_space:  global
        .offset:         128
        .size:           8
        .value_kind:     global_buffer
      - .address_space:  global
        .offset:         136
        .size:           8
        .value_kind:     global_buffer
      - .offset:         144
        .size:           4
        .value_kind:     hidden_block_count_x
      - .offset:         148
        .size:           4
        .value_kind:     hidden_block_count_y
      - .offset:         152
        .size:           4
        .value_kind:     hidden_block_count_z
      - .offset:         156
        .size:           2
        .value_kind:     hidden_group_size_x
      - .offset:         158
        .size:           2
        .value_kind:     hidden_group_size_y
      - .offset:         160
        .size:           2
        .value_kind:     hidden_group_size_z
      - .offset:         162
        .size:           2
        .value_kind:     hidden_remainder_x
      - .offset:         164
        .size:           2
        .value_kind:     hidden_remainder_y
      - .offset:         166
        .size:           2
        .value_kind:     hidden_remainder_z
      - .offset:         184
        .size:           8
        .value_kind:     hidden_global_offset_x
      - .offset:         192
        .size:           8
        .value_kind:     hidden_global_offset_y
      - .offset:         200
        .size:           8
        .value_kind:     hidden_global_offset_z
      - .offset:         208
        .size:           2
        .value_kind:     hidden_grid_dims
    .group_segment_fixed_size: 8192
    .kernarg_segment_align: 8
    .kernarg_segment_size: 400
    .language:       OpenCL C
    .language_version:
      - 2
      - 0
    .max_flat_workgroup_size: 256
    .name:           _Z39paged_attention_ll4mi_QKV_mfma16_kernelIDF16_DF16_LN4vllm18Fp8KVCacheDataTypeE0EDF16_Li32ELi128ELi256ELb1ELi3EEvPKT_PKT0_S7_ifPKiS9_S9_iPKfiiiPfSC_PS2_PT2_iSB_SB_
    .private_segment_fixed_size: 8
    .sgpr_count:     48
    .sgpr_spill_count: 0
    .symbol:         _Z39paged_attention_ll4mi_QKV_mfma16_kernelIDF16_DF16_LN4vllm18Fp8KVCacheDataTypeE0EDF16_Li32ELi128ELi256ELb1ELi3EEvPKT_PKT0_S7_ifPKiS9_S9_iPKfiiiPfSC_PS2_PT2_iSB_SB_.kd
    .uniform_work_group_size: 1
    .uses_dynamic_stack: false
    .vgpr_count:     96
    .vgpr_spill_count: 1
    .wavefront_size: 64
  - .agpr_count:     0
    .args:
      - .actual_access:  read_only
        .address_space:  global
        .offset:         0
        .size:           8
        .value_kind:     global_buffer
      - .actual_access:  read_only
        .address_space:  global
        .offset:         8
        .size:           8
        .value_kind:     global_buffer
      - .actual_access:  read_only
        .address_space:  global
        .offset:         16
        .size:           8
        .value_kind:     global_buffer
      - .offset:         24
        .size:           4
        .value_kind:     by_value
      - .offset:         28
        .size:           4
        .value_kind:     by_value
      - .actual_access:  read_only
        .address_space:  global
        .offset:         32
        .size:           8
        .value_kind:     global_buffer
      - .actual_access:  read_only
        .address_space:  global
        .offset:         40
        .size:           8
        .value_kind:     global_buffer
      - .actual_access:  read_only
        .address_space:  global
        .offset:         48
        .size:           8
        .value_kind:     global_buffer
      - .offset:         56
        .size:           4
        .value_kind:     by_value
      - .actual_access:  read_only
        .address_space:  global
        .offset:         64
        .size:           8
        .value_kind:     global_buffer
      - .offset:         72
        .size:           4
        .value_kind:     by_value
      - .offset:         76
        .size:           4
        .value_kind:     by_value
      - .offset:         80
        .size:           4
        .value_kind:     by_value
      - .actual_access:  write_only
        .address_space:  global
        .offset:         88
        .size:           8
        .value_kind:     global_buffer
      - .actual_access:  write_only
        .address_space:  global
        .offset:         96
        .size:           8
        .value_kind:     global_buffer
      - .actual_access:  write_only
        .address_space:  global
        .offset:         104
        .size:           8
        .value_kind:     global_buffer
      - .actual_access:  read_only
        .address_space:  global
        .offset:         112
        .size:           8
        .value_kind:     global_buffer
      - .offset:         120
        .size:           4
        .value_kind:     by_value
      - .address_space:  global
        .offset:         128
        .size:           8
        .value_kind:     global_buffer
      - .address_space:  global
        .offset:         136
        .size:           8
        .value_kind:     global_buffer
      - .offset:         144
        .size:           4
        .value_kind:     hidden_block_count_x
      - .offset:         148
        .size:           4
        .value_kind:     hidden_block_count_y
      - .offset:         152
        .size:           4
        .value_kind:     hidden_block_count_z
      - .offset:         156
        .size:           2
        .value_kind:     hidden_group_size_x
      - .offset:         158
        .size:           2
        .value_kind:     hidden_group_size_y
      - .offset:         160
        .size:           2
        .value_kind:     hidden_group_size_z
      - .offset:         162
        .size:           2
        .value_kind:     hidden_remainder_x
      - .offset:         164
        .size:           2
        .value_kind:     hidden_remainder_y
      - .offset:         166
        .size:           2
        .value_kind:     hidden_remainder_z
      - .offset:         184
        .size:           8
        .value_kind:     hidden_global_offset_x
      - .offset:         192
        .size:           8
        .value_kind:     hidden_global_offset_y
      - .offset:         200
        .size:           8
        .value_kind:     hidden_global_offset_z
      - .offset:         208
        .size:           2
        .value_kind:     hidden_grid_dims
    .group_segment_fixed_size: 8192
    .kernarg_segment_align: 8
    .kernarg_segment_size: 400
    .language:       OpenCL C
    .language_version:
      - 2
      - 0
    .max_flat_workgroup_size: 256
    .name:           _Z39paged_attention_ll4mi_QKV_mfma16_kernelIDF16_DF16_LN4vllm18Fp8KVCacheDataTypeE0EDF16_Li32ELi128ELi256ELb1ELi4EEvPKT_PKT0_S7_ifPKiS9_S9_iPKfiiiPfSC_PS2_PT2_iSB_SB_
    .private_segment_fixed_size: 12
    .sgpr_count:     49
    .sgpr_spill_count: 0
    .symbol:         _Z39paged_attention_ll4mi_QKV_mfma16_kernelIDF16_DF16_LN4vllm18Fp8KVCacheDataTypeE0EDF16_Li32ELi128ELi256ELb1ELi4EEvPKT_PKT0_S7_ifPKiS9_S9_iPKfiiiPfSC_PS2_PT2_iSB_SB_.kd
    .uniform_work_group_size: 1
    .uses_dynamic_stack: false
    .vgpr_count:     96
    .vgpr_spill_count: 2
    .wavefront_size: 64
  - .agpr_count:     8
    .args:
      - .actual_access:  read_only
        .address_space:  global
        .offset:         0
        .size:           8
        .value_kind:     global_buffer
      - .actual_access:  read_only
        .address_space:  global
        .offset:         8
        .size:           8
        .value_kind:     global_buffer
      - .actual_access:  read_only
        .address_space:  global
        .offset:         16
        .size:           8
        .value_kind:     global_buffer
      - .offset:         24
        .size:           4
        .value_kind:     by_value
      - .offset:         28
        .size:           4
        .value_kind:     by_value
      - .actual_access:  read_only
        .address_space:  global
        .offset:         32
        .size:           8
        .value_kind:     global_buffer
      - .actual_access:  read_only
        .address_space:  global
        .offset:         40
        .size:           8
        .value_kind:     global_buffer
      - .actual_access:  read_only
        .address_space:  global
        .offset:         48
        .size:           8
        .value_kind:     global_buffer
      - .offset:         56
        .size:           4
        .value_kind:     by_value
      - .actual_access:  read_only
        .address_space:  global
        .offset:         64
        .size:           8
        .value_kind:     global_buffer
      - .offset:         72
        .size:           4
        .value_kind:     by_value
      - .offset:         76
        .size:           4
        .value_kind:     by_value
      - .offset:         80
        .size:           4
        .value_kind:     by_value
      - .actual_access:  write_only
        .address_space:  global
        .offset:         88
        .size:           8
        .value_kind:     global_buffer
      - .actual_access:  write_only
        .address_space:  global
        .offset:         96
        .size:           8
        .value_kind:     global_buffer
      - .actual_access:  write_only
        .address_space:  global
        .offset:         104
        .size:           8
        .value_kind:     global_buffer
      - .actual_access:  read_only
        .address_space:  global
        .offset:         112
        .size:           8
        .value_kind:     global_buffer
      - .offset:         120
        .size:           4
        .value_kind:     by_value
      - .address_space:  global
        .offset:         128
        .size:           8
        .value_kind:     global_buffer
      - .address_space:  global
        .offset:         136
        .size:           8
        .value_kind:     global_buffer
      - .offset:         144
        .size:           4
        .value_kind:     hidden_block_count_x
      - .offset:         148
        .size:           4
        .value_kind:     hidden_block_count_y
      - .offset:         152
        .size:           4
        .value_kind:     hidden_block_count_z
      - .offset:         156
        .size:           2
        .value_kind:     hidden_group_size_x
      - .offset:         158
        .size:           2
        .value_kind:     hidden_group_size_y
      - .offset:         160
        .size:           2
        .value_kind:     hidden_group_size_z
      - .offset:         162
        .size:           2
        .value_kind:     hidden_remainder_x
      - .offset:         164
        .size:           2
        .value_kind:     hidden_remainder_y
      - .offset:         166
        .size:           2
        .value_kind:     hidden_remainder_z
      - .offset:         184
        .size:           8
        .value_kind:     hidden_global_offset_x
      - .offset:         192
        .size:           8
        .value_kind:     hidden_global_offset_y
      - .offset:         200
        .size:           8
        .value_kind:     hidden_global_offset_z
      - .offset:         208
        .size:           2
        .value_kind:     hidden_grid_dims
    .group_segment_fixed_size: 5280
    .kernarg_segment_align: 8
    .kernarg_segment_size: 400
    .language:       OpenCL C
    .language_version:
      - 2
      - 0
    .max_flat_workgroup_size: 256
    .name:           _Z38paged_attention_ll4mi_QKV_mfma4_kernelIDF16_DF16_LN4vllm18Fp8KVCacheDataTypeE0EDF16_Li32ELi128ELi256ELb0ELi1EEvPKT_PKT0_S7_ifPKiS9_S9_iPKfiiiPfSC_PS2_PT2_iSB_SB_
    .private_segment_fixed_size: 0
    .sgpr_count:     44
    .sgpr_spill_count: 0
    .symbol:         _Z38paged_attention_ll4mi_QKV_mfma4_kernelIDF16_DF16_LN4vllm18Fp8KVCacheDataTypeE0EDF16_Li32ELi128ELi256ELb0ELi1EEvPKT_PKT0_S7_ifPKiS9_S9_iPKfiiiPfSC_PS2_PT2_iSB_SB_.kd
    .uniform_work_group_size: 1
    .uses_dynamic_stack: false
    .vgpr_count:     100
    .vgpr_spill_count: 0
    .wavefront_size: 64
  - .agpr_count:     8
    .args:
      - .actual_access:  read_only
        .address_space:  global
        .offset:         0
        .size:           8
        .value_kind:     global_buffer
      - .actual_access:  read_only
        .address_space:  global
        .offset:         8
        .size:           8
        .value_kind:     global_buffer
      - .actual_access:  read_only
        .address_space:  global
        .offset:         16
        .size:           8
        .value_kind:     global_buffer
      - .offset:         24
        .size:           4
        .value_kind:     by_value
      - .offset:         28
        .size:           4
        .value_kind:     by_value
      - .actual_access:  read_only
        .address_space:  global
        .offset:         32
        .size:           8
        .value_kind:     global_buffer
      - .actual_access:  read_only
        .address_space:  global
        .offset:         40
        .size:           8
        .value_kind:     global_buffer
      - .actual_access:  read_only
        .address_space:  global
        .offset:         48
        .size:           8
        .value_kind:     global_buffer
      - .offset:         56
        .size:           4
        .value_kind:     by_value
      - .actual_access:  read_only
        .address_space:  global
        .offset:         64
        .size:           8
        .value_kind:     global_buffer
      - .offset:         72
        .size:           4
        .value_kind:     by_value
      - .offset:         76
        .size:           4
        .value_kind:     by_value
      - .offset:         80
        .size:           4
        .value_kind:     by_value
      - .actual_access:  write_only
        .address_space:  global
        .offset:         88
        .size:           8
        .value_kind:     global_buffer
      - .actual_access:  write_only
        .address_space:  global
        .offset:         96
        .size:           8
        .value_kind:     global_buffer
      - .actual_access:  write_only
        .address_space:  global
        .offset:         104
        .size:           8
        .value_kind:     global_buffer
      - .actual_access:  read_only
        .address_space:  global
        .offset:         112
        .size:           8
        .value_kind:     global_buffer
      - .offset:         120
        .size:           4
        .value_kind:     by_value
      - .address_space:  global
        .offset:         128
        .size:           8
        .value_kind:     global_buffer
      - .address_space:  global
        .offset:         136
        .size:           8
        .value_kind:     global_buffer
      - .offset:         144
        .size:           4
        .value_kind:     hidden_block_count_x
      - .offset:         148
        .size:           4
        .value_kind:     hidden_block_count_y
      - .offset:         152
        .size:           4
        .value_kind:     hidden_block_count_z
      - .offset:         156
        .size:           2
        .value_kind:     hidden_group_size_x
      - .offset:         158
        .size:           2
        .value_kind:     hidden_group_size_y
      - .offset:         160
        .size:           2
        .value_kind:     hidden_group_size_z
      - .offset:         162
        .size:           2
        .value_kind:     hidden_remainder_x
      - .offset:         164
        .size:           2
        .value_kind:     hidden_remainder_y
      - .offset:         166
        .size:           2
        .value_kind:     hidden_remainder_z
      - .offset:         184
        .size:           8
        .value_kind:     hidden_global_offset_x
      - .offset:         192
        .size:           8
        .value_kind:     hidden_global_offset_y
      - .offset:         200
        .size:           8
        .value_kind:     hidden_global_offset_z
      - .offset:         208
        .size:           2
        .value_kind:     hidden_grid_dims
    .group_segment_fixed_size: 5280
    .kernarg_segment_align: 8
    .kernarg_segment_size: 400
    .language:       OpenCL C
    .language_version:
      - 2
      - 0
    .max_flat_workgroup_size: 256
    .name:           _Z38paged_attention_ll4mi_QKV_mfma4_kernelIDF16_DF16_LN4vllm18Fp8KVCacheDataTypeE0EDF16_Li32ELi128ELi256ELb0ELi2EEvPKT_PKT0_S7_ifPKiS9_S9_iPKfiiiPfSC_PS2_PT2_iSB_SB_
    .private_segment_fixed_size: 0
    .sgpr_count:     44
    .sgpr_spill_count: 0
    .symbol:         _Z38paged_attention_ll4mi_QKV_mfma4_kernelIDF16_DF16_LN4vllm18Fp8KVCacheDataTypeE0EDF16_Li32ELi128ELi256ELb0ELi2EEvPKT_PKT0_S7_ifPKiS9_S9_iPKfiiiPfSC_PS2_PT2_iSB_SB_.kd
    .uniform_work_group_size: 1
    .uses_dynamic_stack: false
    .vgpr_count:     100
    .vgpr_spill_count: 0
    .wavefront_size: 64
  - .agpr_count:     8
    .args:
      - .actual_access:  read_only
        .address_space:  global
        .offset:         0
        .size:           8
        .value_kind:     global_buffer
      - .actual_access:  read_only
        .address_space:  global
        .offset:         8
        .size:           8
        .value_kind:     global_buffer
      - .actual_access:  read_only
        .address_space:  global
        .offset:         16
        .size:           8
        .value_kind:     global_buffer
      - .offset:         24
        .size:           4
        .value_kind:     by_value
      - .offset:         28
        .size:           4
        .value_kind:     by_value
      - .actual_access:  read_only
        .address_space:  global
        .offset:         32
        .size:           8
        .value_kind:     global_buffer
      - .actual_access:  read_only
        .address_space:  global
        .offset:         40
        .size:           8
        .value_kind:     global_buffer
      - .actual_access:  read_only
        .address_space:  global
        .offset:         48
        .size:           8
        .value_kind:     global_buffer
      - .offset:         56
        .size:           4
        .value_kind:     by_value
      - .actual_access:  read_only
        .address_space:  global
        .offset:         64
        .size:           8
        .value_kind:     global_buffer
      - .offset:         72
        .size:           4
        .value_kind:     by_value
      - .offset:         76
        .size:           4
        .value_kind:     by_value
      - .offset:         80
        .size:           4
        .value_kind:     by_value
      - .actual_access:  write_only
        .address_space:  global
        .offset:         88
        .size:           8
        .value_kind:     global_buffer
      - .actual_access:  write_only
        .address_space:  global
        .offset:         96
        .size:           8
        .value_kind:     global_buffer
      - .actual_access:  write_only
        .address_space:  global
        .offset:         104
        .size:           8
        .value_kind:     global_buffer
      - .actual_access:  read_only
        .address_space:  global
        .offset:         112
        .size:           8
        .value_kind:     global_buffer
      - .offset:         120
        .size:           4
        .value_kind:     by_value
      - .address_space:  global
        .offset:         128
        .size:           8
        .value_kind:     global_buffer
      - .address_space:  global
        .offset:         136
        .size:           8
        .value_kind:     global_buffer
      - .offset:         144
        .size:           4
        .value_kind:     hidden_block_count_x
      - .offset:         148
        .size:           4
        .value_kind:     hidden_block_count_y
      - .offset:         152
        .size:           4
        .value_kind:     hidden_block_count_z
      - .offset:         156
        .size:           2
        .value_kind:     hidden_group_size_x
      - .offset:         158
        .size:           2
        .value_kind:     hidden_group_size_y
      - .offset:         160
        .size:           2
        .value_kind:     hidden_group_size_z
      - .offset:         162
        .size:           2
        .value_kind:     hidden_remainder_x
      - .offset:         164
        .size:           2
        .value_kind:     hidden_remainder_y
      - .offset:         166
        .size:           2
        .value_kind:     hidden_remainder_z
      - .offset:         184
        .size:           8
        .value_kind:     hidden_global_offset_x
      - .offset:         192
        .size:           8
        .value_kind:     hidden_global_offset_y
      - .offset:         200
        .size:           8
        .value_kind:     hidden_global_offset_z
      - .offset:         208
        .size:           2
        .value_kind:     hidden_grid_dims
    .group_segment_fixed_size: 5280
    .kernarg_segment_align: 8
    .kernarg_segment_size: 400
    .language:       OpenCL C
    .language_version:
      - 2
      - 0
    .max_flat_workgroup_size: 256
    .name:           _Z38paged_attention_ll4mi_QKV_mfma4_kernelIDF16_DF16_LN4vllm18Fp8KVCacheDataTypeE0EDF16_Li32ELi128ELi256ELb0ELi3EEvPKT_PKT0_S7_ifPKiS9_S9_iPKfiiiPfSC_PS2_PT2_iSB_SB_
    .private_segment_fixed_size: 0
    .sgpr_count:     44
    .sgpr_spill_count: 0
    .symbol:         _Z38paged_attention_ll4mi_QKV_mfma4_kernelIDF16_DF16_LN4vllm18Fp8KVCacheDataTypeE0EDF16_Li32ELi128ELi256ELb0ELi3EEvPKT_PKT0_S7_ifPKiS9_S9_iPKfiiiPfSC_PS2_PT2_iSB_SB_.kd
    .uniform_work_group_size: 1
    .uses_dynamic_stack: false
    .vgpr_count:     100
    .vgpr_spill_count: 0
    .wavefront_size: 64
  - .agpr_count:     8
    .args:
      - .actual_access:  read_only
        .address_space:  global
        .offset:         0
        .size:           8
        .value_kind:     global_buffer
      - .actual_access:  read_only
        .address_space:  global
        .offset:         8
        .size:           8
        .value_kind:     global_buffer
      - .actual_access:  read_only
        .address_space:  global
        .offset:         16
        .size:           8
        .value_kind:     global_buffer
      - .offset:         24
        .size:           4
        .value_kind:     by_value
      - .offset:         28
        .size:           4
        .value_kind:     by_value
      - .actual_access:  read_only
        .address_space:  global
        .offset:         32
        .size:           8
        .value_kind:     global_buffer
      - .actual_access:  read_only
        .address_space:  global
        .offset:         40
        .size:           8
        .value_kind:     global_buffer
      - .actual_access:  read_only
        .address_space:  global
        .offset:         48
        .size:           8
        .value_kind:     global_buffer
      - .offset:         56
        .size:           4
        .value_kind:     by_value
      - .actual_access:  read_only
        .address_space:  global
        .offset:         64
        .size:           8
        .value_kind:     global_buffer
      - .offset:         72
        .size:           4
        .value_kind:     by_value
      - .offset:         76
        .size:           4
        .value_kind:     by_value
      - .offset:         80
        .size:           4
        .value_kind:     by_value
      - .actual_access:  write_only
        .address_space:  global
        .offset:         88
        .size:           8
        .value_kind:     global_buffer
      - .actual_access:  write_only
        .address_space:  global
        .offset:         96
        .size:           8
        .value_kind:     global_buffer
      - .actual_access:  write_only
        .address_space:  global
        .offset:         104
        .size:           8
        .value_kind:     global_buffer
      - .actual_access:  read_only
        .address_space:  global
        .offset:         112
        .size:           8
        .value_kind:     global_buffer
      - .offset:         120
        .size:           4
        .value_kind:     by_value
      - .address_space:  global
        .offset:         128
        .size:           8
        .value_kind:     global_buffer
      - .address_space:  global
        .offset:         136
        .size:           8
        .value_kind:     global_buffer
      - .offset:         144
        .size:           4
        .value_kind:     hidden_block_count_x
      - .offset:         148
        .size:           4
        .value_kind:     hidden_block_count_y
      - .offset:         152
        .size:           4
        .value_kind:     hidden_block_count_z
      - .offset:         156
        .size:           2
        .value_kind:     hidden_group_size_x
      - .offset:         158
        .size:           2
        .value_kind:     hidden_group_size_y
      - .offset:         160
        .size:           2
        .value_kind:     hidden_group_size_z
      - .offset:         162
        .size:           2
        .value_kind:     hidden_remainder_x
      - .offset:         164
        .size:           2
        .value_kind:     hidden_remainder_y
      - .offset:         166
        .size:           2
        .value_kind:     hidden_remainder_z
      - .offset:         184
        .size:           8
        .value_kind:     hidden_global_offset_x
      - .offset:         192
        .size:           8
        .value_kind:     hidden_global_offset_y
      - .offset:         200
        .size:           8
        .value_kind:     hidden_global_offset_z
      - .offset:         208
        .size:           2
        .value_kind:     hidden_grid_dims
    .group_segment_fixed_size: 5280
    .kernarg_segment_align: 8
    .kernarg_segment_size: 400
    .language:       OpenCL C
    .language_version:
      - 2
      - 0
    .max_flat_workgroup_size: 256
    .name:           _Z38paged_attention_ll4mi_QKV_mfma4_kernelIDF16_DF16_LN4vllm18Fp8KVCacheDataTypeE0EDF16_Li32ELi128ELi256ELb0ELi4EEvPKT_PKT0_S7_ifPKiS9_S9_iPKfiiiPfSC_PS2_PT2_iSB_SB_
    .private_segment_fixed_size: 0
    .sgpr_count:     44
    .sgpr_spill_count: 0
    .symbol:         _Z38paged_attention_ll4mi_QKV_mfma4_kernelIDF16_DF16_LN4vllm18Fp8KVCacheDataTypeE0EDF16_Li32ELi128ELi256ELb0ELi4EEvPKT_PKT0_S7_ifPKiS9_S9_iPKfiiiPfSC_PS2_PT2_iSB_SB_.kd
    .uniform_work_group_size: 1
    .uses_dynamic_stack: false
    .vgpr_count:     100
    .vgpr_spill_count: 0
    .wavefront_size: 64
  - .agpr_count:     0
    .args:
      - .actual_access:  read_only
        .address_space:  global
        .offset:         0
        .size:           8
        .value_kind:     global_buffer
      - .actual_access:  read_only
        .address_space:  global
        .offset:         8
        .size:           8
        .value_kind:     global_buffer
      - .actual_access:  read_only
        .address_space:  global
        .offset:         16
        .size:           8
        .value_kind:     global_buffer
      - .offset:         24
        .size:           4
        .value_kind:     by_value
      - .offset:         28
        .size:           4
        .value_kind:     by_value
      - .actual_access:  read_only
        .address_space:  global
        .offset:         32
        .size:           8
        .value_kind:     global_buffer
      - .actual_access:  read_only
        .address_space:  global
        .offset:         40
        .size:           8
        .value_kind:     global_buffer
      - .actual_access:  read_only
        .address_space:  global
        .offset:         48
        .size:           8
        .value_kind:     global_buffer
      - .offset:         56
        .size:           4
        .value_kind:     by_value
      - .actual_access:  read_only
        .address_space:  global
        .offset:         64
        .size:           8
        .value_kind:     global_buffer
      - .offset:         72
        .size:           4
        .value_kind:     by_value
      - .offset:         76
        .size:           4
        .value_kind:     by_value
      - .offset:         80
        .size:           4
        .value_kind:     by_value
      - .actual_access:  write_only
        .address_space:  global
        .offset:         88
        .size:           8
        .value_kind:     global_buffer
      - .actual_access:  write_only
        .address_space:  global
        .offset:         96
        .size:           8
        .value_kind:     global_buffer
      - .actual_access:  write_only
        .address_space:  global
        .offset:         104
        .size:           8
        .value_kind:     global_buffer
      - .actual_access:  read_only
        .address_space:  global
        .offset:         112
        .size:           8
        .value_kind:     global_buffer
      - .offset:         120
        .size:           4
        .value_kind:     by_value
      - .address_space:  global
        .offset:         128
        .size:           8
        .value_kind:     global_buffer
      - .address_space:  global
        .offset:         136
        .size:           8
        .value_kind:     global_buffer
      - .offset:         144
        .size:           4
        .value_kind:     hidden_block_count_x
      - .offset:         148
        .size:           4
        .value_kind:     hidden_block_count_y
      - .offset:         152
        .size:           4
        .value_kind:     hidden_block_count_z
      - .offset:         156
        .size:           2
        .value_kind:     hidden_group_size_x
      - .offset:         158
        .size:           2
        .value_kind:     hidden_group_size_y
      - .offset:         160
        .size:           2
        .value_kind:     hidden_group_size_z
      - .offset:         162
        .size:           2
        .value_kind:     hidden_remainder_x
      - .offset:         164
        .size:           2
        .value_kind:     hidden_remainder_y
      - .offset:         166
        .size:           2
        .value_kind:     hidden_remainder_z
      - .offset:         184
        .size:           8
        .value_kind:     hidden_global_offset_x
      - .offset:         192
        .size:           8
        .value_kind:     hidden_global_offset_y
      - .offset:         200
        .size:           8
        .value_kind:     hidden_global_offset_z
      - .offset:         208
        .size:           2
        .value_kind:     hidden_grid_dims
    .group_segment_fixed_size: 8192
    .kernarg_segment_align: 8
    .kernarg_segment_size: 400
    .language:       OpenCL C
    .language_version:
      - 2
      - 0
    .max_flat_workgroup_size: 256
    .name:           _Z39paged_attention_ll4mi_QKV_mfma16_kernelIDF16_DF16_LN4vllm18Fp8KVCacheDataTypeE0EDF16_Li32ELi128ELi256ELb0ELi5EEvPKT_PKT0_S7_ifPKiS9_S9_iPKfiiiPfSC_PS2_PT2_iSB_SB_
    .private_segment_fixed_size: 0
    .sgpr_count:     48
    .sgpr_spill_count: 0
    .symbol:         _Z39paged_attention_ll4mi_QKV_mfma16_kernelIDF16_DF16_LN4vllm18Fp8KVCacheDataTypeE0EDF16_Li32ELi128ELi256ELb0ELi5EEvPKT_PKT0_S7_ifPKiS9_S9_iPKfiiiPfSC_PS2_PT2_iSB_SB_.kd
    .uniform_work_group_size: 1
    .uses_dynamic_stack: false
    .vgpr_count:     96
    .vgpr_spill_count: 0
    .wavefront_size: 64
  - .agpr_count:     0
    .args:
      - .actual_access:  read_only
        .address_space:  global
        .offset:         0
        .size:           8
        .value_kind:     global_buffer
      - .actual_access:  read_only
        .address_space:  global
        .offset:         8
        .size:           8
        .value_kind:     global_buffer
      - .actual_access:  read_only
        .address_space:  global
        .offset:         16
        .size:           8
        .value_kind:     global_buffer
      - .offset:         24
        .size:           4
        .value_kind:     by_value
      - .offset:         28
        .size:           4
        .value_kind:     by_value
      - .actual_access:  read_only
        .address_space:  global
        .offset:         32
        .size:           8
        .value_kind:     global_buffer
      - .actual_access:  read_only
        .address_space:  global
        .offset:         40
        .size:           8
        .value_kind:     global_buffer
      - .actual_access:  read_only
        .address_space:  global
        .offset:         48
        .size:           8
        .value_kind:     global_buffer
      - .offset:         56
        .size:           4
        .value_kind:     by_value
      - .actual_access:  read_only
        .address_space:  global
        .offset:         64
        .size:           8
        .value_kind:     global_buffer
      - .offset:         72
        .size:           4
        .value_kind:     by_value
      - .offset:         76
        .size:           4
        .value_kind:     by_value
      - .offset:         80
        .size:           4
        .value_kind:     by_value
      - .actual_access:  write_only
        .address_space:  global
        .offset:         88
        .size:           8
        .value_kind:     global_buffer
      - .actual_access:  write_only
        .address_space:  global
        .offset:         96
        .size:           8
        .value_kind:     global_buffer
      - .actual_access:  write_only
        .address_space:  global
        .offset:         104
        .size:           8
        .value_kind:     global_buffer
      - .actual_access:  read_only
        .address_space:  global
        .offset:         112
        .size:           8
        .value_kind:     global_buffer
      - .offset:         120
        .size:           4
        .value_kind:     by_value
      - .address_space:  global
        .offset:         128
        .size:           8
        .value_kind:     global_buffer
      - .address_space:  global
        .offset:         136
        .size:           8
        .value_kind:     global_buffer
      - .offset:         144
        .size:           4
        .value_kind:     hidden_block_count_x
      - .offset:         148
        .size:           4
        .value_kind:     hidden_block_count_y
      - .offset:         152
        .size:           4
        .value_kind:     hidden_block_count_z
      - .offset:         156
        .size:           2
        .value_kind:     hidden_group_size_x
      - .offset:         158
        .size:           2
        .value_kind:     hidden_group_size_y
      - .offset:         160
        .size:           2
        .value_kind:     hidden_group_size_z
      - .offset:         162
        .size:           2
        .value_kind:     hidden_remainder_x
      - .offset:         164
        .size:           2
        .value_kind:     hidden_remainder_y
      - .offset:         166
        .size:           2
        .value_kind:     hidden_remainder_z
      - .offset:         184
        .size:           8
        .value_kind:     hidden_global_offset_x
      - .offset:         192
        .size:           8
        .value_kind:     hidden_global_offset_y
      - .offset:         200
        .size:           8
        .value_kind:     hidden_global_offset_z
      - .offset:         208
        .size:           2
        .value_kind:     hidden_grid_dims
    .group_segment_fixed_size: 8192
    .kernarg_segment_align: 8
    .kernarg_segment_size: 400
    .language:       OpenCL C
    .language_version:
      - 2
      - 0
    .max_flat_workgroup_size: 256
    .name:           _Z39paged_attention_ll4mi_QKV_mfma16_kernelIDF16_DF16_LN4vllm18Fp8KVCacheDataTypeE0EDF16_Li32ELi128ELi256ELb0ELi6EEvPKT_PKT0_S7_ifPKiS9_S9_iPKfiiiPfSC_PS2_PT2_iSB_SB_
    .private_segment_fixed_size: 0
    .sgpr_count:     48
    .sgpr_spill_count: 0
    .symbol:         _Z39paged_attention_ll4mi_QKV_mfma16_kernelIDF16_DF16_LN4vllm18Fp8KVCacheDataTypeE0EDF16_Li32ELi128ELi256ELb0ELi6EEvPKT_PKT0_S7_ifPKiS9_S9_iPKfiiiPfSC_PS2_PT2_iSB_SB_.kd
    .uniform_work_group_size: 1
    .uses_dynamic_stack: false
    .vgpr_count:     96
    .vgpr_spill_count: 0
    .wavefront_size: 64
  - .agpr_count:     0
    .args:
      - .actual_access:  read_only
        .address_space:  global
        .offset:         0
        .size:           8
        .value_kind:     global_buffer
      - .actual_access:  read_only
        .address_space:  global
        .offset:         8
        .size:           8
        .value_kind:     global_buffer
      - .actual_access:  read_only
        .address_space:  global
        .offset:         16
        .size:           8
        .value_kind:     global_buffer
      - .offset:         24
        .size:           4
        .value_kind:     by_value
      - .offset:         28
        .size:           4
        .value_kind:     by_value
      - .actual_access:  read_only
        .address_space:  global
        .offset:         32
        .size:           8
        .value_kind:     global_buffer
      - .actual_access:  read_only
        .address_space:  global
        .offset:         40
        .size:           8
        .value_kind:     global_buffer
      - .actual_access:  read_only
        .address_space:  global
        .offset:         48
        .size:           8
        .value_kind:     global_buffer
      - .offset:         56
        .size:           4
        .value_kind:     by_value
      - .actual_access:  read_only
        .address_space:  global
        .offset:         64
        .size:           8
        .value_kind:     global_buffer
      - .offset:         72
        .size:           4
        .value_kind:     by_value
      - .offset:         76
        .size:           4
        .value_kind:     by_value
      - .offset:         80
        .size:           4
        .value_kind:     by_value
      - .actual_access:  write_only
        .address_space:  global
        .offset:         88
        .size:           8
        .value_kind:     global_buffer
      - .actual_access:  write_only
        .address_space:  global
        .offset:         96
        .size:           8
        .value_kind:     global_buffer
      - .actual_access:  write_only
        .address_space:  global
        .offset:         104
        .size:           8
        .value_kind:     global_buffer
      - .actual_access:  read_only
        .address_space:  global
        .offset:         112
        .size:           8
        .value_kind:     global_buffer
      - .offset:         120
        .size:           4
        .value_kind:     by_value
      - .address_space:  global
        .offset:         128
        .size:           8
        .value_kind:     global_buffer
      - .address_space:  global
        .offset:         136
        .size:           8
        .value_kind:     global_buffer
      - .offset:         144
        .size:           4
        .value_kind:     hidden_block_count_x
      - .offset:         148
        .size:           4
        .value_kind:     hidden_block_count_y
      - .offset:         152
        .size:           4
        .value_kind:     hidden_block_count_z
      - .offset:         156
        .size:           2
        .value_kind:     hidden_group_size_x
      - .offset:         158
        .size:           2
        .value_kind:     hidden_group_size_y
      - .offset:         160
        .size:           2
        .value_kind:     hidden_group_size_z
      - .offset:         162
        .size:           2
        .value_kind:     hidden_remainder_x
      - .offset:         164
        .size:           2
        .value_kind:     hidden_remainder_y
      - .offset:         166
        .size:           2
        .value_kind:     hidden_remainder_z
      - .offset:         184
        .size:           8
        .value_kind:     hidden_global_offset_x
      - .offset:         192
        .size:           8
        .value_kind:     hidden_global_offset_y
      - .offset:         200
        .size:           8
        .value_kind:     hidden_global_offset_z
      - .offset:         208
        .size:           2
        .value_kind:     hidden_grid_dims
    .group_segment_fixed_size: 8192
    .kernarg_segment_align: 8
    .kernarg_segment_size: 400
    .language:       OpenCL C
    .language_version:
      - 2
      - 0
    .max_flat_workgroup_size: 256
    .name:           _Z39paged_attention_ll4mi_QKV_mfma16_kernelIDF16_DF16_LN4vllm18Fp8KVCacheDataTypeE0EDF16_Li32ELi128ELi256ELb0ELi7EEvPKT_PKT0_S7_ifPKiS9_S9_iPKfiiiPfSC_PS2_PT2_iSB_SB_
    .private_segment_fixed_size: 0
    .sgpr_count:     48
    .sgpr_spill_count: 0
    .symbol:         _Z39paged_attention_ll4mi_QKV_mfma16_kernelIDF16_DF16_LN4vllm18Fp8KVCacheDataTypeE0EDF16_Li32ELi128ELi256ELb0ELi7EEvPKT_PKT0_S7_ifPKiS9_S9_iPKfiiiPfSC_PS2_PT2_iSB_SB_.kd
    .uniform_work_group_size: 1
    .uses_dynamic_stack: false
    .vgpr_count:     96
    .vgpr_spill_count: 0
    .wavefront_size: 64
  - .agpr_count:     0
    .args:
      - .actual_access:  read_only
        .address_space:  global
        .offset:         0
        .size:           8
        .value_kind:     global_buffer
      - .actual_access:  read_only
        .address_space:  global
        .offset:         8
        .size:           8
        .value_kind:     global_buffer
      - .actual_access:  read_only
        .address_space:  global
        .offset:         16
        .size:           8
        .value_kind:     global_buffer
      - .offset:         24
        .size:           4
        .value_kind:     by_value
      - .offset:         28
        .size:           4
        .value_kind:     by_value
      - .actual_access:  read_only
        .address_space:  global
        .offset:         32
        .size:           8
        .value_kind:     global_buffer
      - .actual_access:  read_only
        .address_space:  global
        .offset:         40
        .size:           8
        .value_kind:     global_buffer
      - .actual_access:  read_only
        .address_space:  global
        .offset:         48
        .size:           8
        .value_kind:     global_buffer
      - .offset:         56
        .size:           4
        .value_kind:     by_value
      - .actual_access:  read_only
        .address_space:  global
        .offset:         64
        .size:           8
        .value_kind:     global_buffer
      - .offset:         72
        .size:           4
        .value_kind:     by_value
      - .offset:         76
        .size:           4
        .value_kind:     by_value
      - .offset:         80
        .size:           4
        .value_kind:     by_value
      - .actual_access:  write_only
        .address_space:  global
        .offset:         88
        .size:           8
        .value_kind:     global_buffer
      - .actual_access:  write_only
        .address_space:  global
        .offset:         96
        .size:           8
        .value_kind:     global_buffer
      - .actual_access:  write_only
        .address_space:  global
        .offset:         104
        .size:           8
        .value_kind:     global_buffer
      - .actual_access:  read_only
        .address_space:  global
        .offset:         112
        .size:           8
        .value_kind:     global_buffer
      - .offset:         120
        .size:           4
        .value_kind:     by_value
      - .address_space:  global
        .offset:         128
        .size:           8
        .value_kind:     global_buffer
      - .address_space:  global
        .offset:         136
        .size:           8
        .value_kind:     global_buffer
      - .offset:         144
        .size:           4
        .value_kind:     hidden_block_count_x
      - .offset:         148
        .size:           4
        .value_kind:     hidden_block_count_y
      - .offset:         152
        .size:           4
        .value_kind:     hidden_block_count_z
      - .offset:         156
        .size:           2
        .value_kind:     hidden_group_size_x
      - .offset:         158
        .size:           2
        .value_kind:     hidden_group_size_y
      - .offset:         160
        .size:           2
        .value_kind:     hidden_group_size_z
      - .offset:         162
        .size:           2
        .value_kind:     hidden_remainder_x
      - .offset:         164
        .size:           2
        .value_kind:     hidden_remainder_y
      - .offset:         166
        .size:           2
        .value_kind:     hidden_remainder_z
      - .offset:         184
        .size:           8
        .value_kind:     hidden_global_offset_x
      - .offset:         192
        .size:           8
        .value_kind:     hidden_global_offset_y
      - .offset:         200
        .size:           8
        .value_kind:     hidden_global_offset_z
      - .offset:         208
        .size:           2
        .value_kind:     hidden_grid_dims
    .group_segment_fixed_size: 8192
    .kernarg_segment_align: 8
    .kernarg_segment_size: 400
    .language:       OpenCL C
    .language_version:
      - 2
      - 0
    .max_flat_workgroup_size: 256
    .name:           _Z39paged_attention_ll4mi_QKV_mfma16_kernelIDF16_DF16_LN4vllm18Fp8KVCacheDataTypeE0EDF16_Li32ELi128ELi256ELb0ELi8EEvPKT_PKT0_S7_ifPKiS9_S9_iPKfiiiPfSC_PS2_PT2_iSB_SB_
    .private_segment_fixed_size: 12
    .sgpr_count:     47
    .sgpr_spill_count: 0
    .symbol:         _Z39paged_attention_ll4mi_QKV_mfma16_kernelIDF16_DF16_LN4vllm18Fp8KVCacheDataTypeE0EDF16_Li32ELi128ELi256ELb0ELi8EEvPKT_PKT0_S7_ifPKiS9_S9_iPKfiiiPfSC_PS2_PT2_iSB_SB_.kd
    .uniform_work_group_size: 1
    .uses_dynamic_stack: false
    .vgpr_count:     96
    .vgpr_spill_count: 2
    .wavefront_size: 64
  - .agpr_count:     0
    .args:
      - .actual_access:  read_only
        .address_space:  global
        .offset:         0
        .size:           8
        .value_kind:     global_buffer
      - .actual_access:  read_only
        .address_space:  global
        .offset:         8
        .size:           8
        .value_kind:     global_buffer
      - .actual_access:  read_only
        .address_space:  global
        .offset:         16
        .size:           8
        .value_kind:     global_buffer
      - .offset:         24
        .size:           4
        .value_kind:     by_value
      - .offset:         28
        .size:           4
        .value_kind:     by_value
      - .actual_access:  read_only
        .address_space:  global
        .offset:         32
        .size:           8
        .value_kind:     global_buffer
      - .actual_access:  read_only
        .address_space:  global
        .offset:         40
        .size:           8
        .value_kind:     global_buffer
      - .actual_access:  read_only
        .address_space:  global
        .offset:         48
        .size:           8
        .value_kind:     global_buffer
      - .offset:         56
        .size:           4
        .value_kind:     by_value
      - .actual_access:  read_only
        .address_space:  global
        .offset:         64
        .size:           8
        .value_kind:     global_buffer
      - .offset:         72
        .size:           4
        .value_kind:     by_value
      - .offset:         76
        .size:           4
        .value_kind:     by_value
      - .offset:         80
        .size:           4
        .value_kind:     by_value
      - .actual_access:  write_only
        .address_space:  global
        .offset:         88
        .size:           8
        .value_kind:     global_buffer
      - .actual_access:  write_only
        .address_space:  global
        .offset:         96
        .size:           8
        .value_kind:     global_buffer
      - .actual_access:  write_only
        .address_space:  global
        .offset:         104
        .size:           8
        .value_kind:     global_buffer
      - .actual_access:  read_only
        .address_space:  global
        .offset:         112
        .size:           8
        .value_kind:     global_buffer
      - .offset:         120
        .size:           4
        .value_kind:     by_value
      - .address_space:  global
        .offset:         128
        .size:           8
        .value_kind:     global_buffer
      - .address_space:  global
        .offset:         136
        .size:           8
        .value_kind:     global_buffer
      - .offset:         144
        .size:           4
        .value_kind:     hidden_block_count_x
      - .offset:         148
        .size:           4
        .value_kind:     hidden_block_count_y
      - .offset:         152
        .size:           4
        .value_kind:     hidden_block_count_z
      - .offset:         156
        .size:           2
        .value_kind:     hidden_group_size_x
      - .offset:         158
        .size:           2
        .value_kind:     hidden_group_size_y
      - .offset:         160
        .size:           2
        .value_kind:     hidden_group_size_z
      - .offset:         162
        .size:           2
        .value_kind:     hidden_remainder_x
      - .offset:         164
        .size:           2
        .value_kind:     hidden_remainder_y
      - .offset:         166
        .size:           2
        .value_kind:     hidden_remainder_z
      - .offset:         184
        .size:           8
        .value_kind:     hidden_global_offset_x
      - .offset:         192
        .size:           8
        .value_kind:     hidden_global_offset_y
      - .offset:         200
        .size:           8
        .value_kind:     hidden_global_offset_z
      - .offset:         208
        .size:           2
        .value_kind:     hidden_grid_dims
    .group_segment_fixed_size: 8192
    .kernarg_segment_align: 8
    .kernarg_segment_size: 400
    .language:       OpenCL C
    .language_version:
      - 2
      - 0
    .max_flat_workgroup_size: 256
    .name:           _Z39paged_attention_ll4mi_QKV_mfma16_kernelIDF16_DF16_LN4vllm18Fp8KVCacheDataTypeE0EDF16_Li32ELi128ELi256ELb0ELi9EEvPKT_PKT0_S7_ifPKiS9_S9_iPKfiiiPfSC_PS2_PT2_iSB_SB_
    .private_segment_fixed_size: 0
    .sgpr_count:     48
    .sgpr_spill_count: 0
    .symbol:         _Z39paged_attention_ll4mi_QKV_mfma16_kernelIDF16_DF16_LN4vllm18Fp8KVCacheDataTypeE0EDF16_Li32ELi128ELi256ELb0ELi9EEvPKT_PKT0_S7_ifPKiS9_S9_iPKfiiiPfSC_PS2_PT2_iSB_SB_.kd
    .uniform_work_group_size: 1
    .uses_dynamic_stack: false
    .vgpr_count:     96
    .vgpr_spill_count: 0
    .wavefront_size: 64
  - .agpr_count:     0
    .args:
      - .actual_access:  read_only
        .address_space:  global
        .offset:         0
        .size:           8
        .value_kind:     global_buffer
      - .actual_access:  read_only
        .address_space:  global
        .offset:         8
        .size:           8
        .value_kind:     global_buffer
      - .actual_access:  read_only
        .address_space:  global
        .offset:         16
        .size:           8
        .value_kind:     global_buffer
      - .offset:         24
        .size:           4
        .value_kind:     by_value
      - .offset:         28
        .size:           4
        .value_kind:     by_value
      - .actual_access:  read_only
        .address_space:  global
        .offset:         32
        .size:           8
        .value_kind:     global_buffer
      - .actual_access:  read_only
        .address_space:  global
        .offset:         40
        .size:           8
        .value_kind:     global_buffer
      - .actual_access:  read_only
        .address_space:  global
        .offset:         48
        .size:           8
        .value_kind:     global_buffer
      - .offset:         56
        .size:           4
        .value_kind:     by_value
      - .actual_access:  read_only
        .address_space:  global
        .offset:         64
        .size:           8
        .value_kind:     global_buffer
      - .offset:         72
        .size:           4
        .value_kind:     by_value
      - .offset:         76
        .size:           4
        .value_kind:     by_value
      - .offset:         80
        .size:           4
        .value_kind:     by_value
      - .actual_access:  write_only
        .address_space:  global
        .offset:         88
        .size:           8
        .value_kind:     global_buffer
      - .actual_access:  write_only
        .address_space:  global
        .offset:         96
        .size:           8
        .value_kind:     global_buffer
      - .actual_access:  write_only
        .address_space:  global
        .offset:         104
        .size:           8
        .value_kind:     global_buffer
      - .actual_access:  read_only
        .address_space:  global
        .offset:         112
        .size:           8
        .value_kind:     global_buffer
      - .offset:         120
        .size:           4
        .value_kind:     by_value
      - .address_space:  global
        .offset:         128
        .size:           8
        .value_kind:     global_buffer
      - .address_space:  global
        .offset:         136
        .size:           8
        .value_kind:     global_buffer
      - .offset:         144
        .size:           4
        .value_kind:     hidden_block_count_x
      - .offset:         148
        .size:           4
        .value_kind:     hidden_block_count_y
      - .offset:         152
        .size:           4
        .value_kind:     hidden_block_count_z
      - .offset:         156
        .size:           2
        .value_kind:     hidden_group_size_x
      - .offset:         158
        .size:           2
        .value_kind:     hidden_group_size_y
      - .offset:         160
        .size:           2
        .value_kind:     hidden_group_size_z
      - .offset:         162
        .size:           2
        .value_kind:     hidden_remainder_x
      - .offset:         164
        .size:           2
        .value_kind:     hidden_remainder_y
      - .offset:         166
        .size:           2
        .value_kind:     hidden_remainder_z
      - .offset:         184
        .size:           8
        .value_kind:     hidden_global_offset_x
      - .offset:         192
        .size:           8
        .value_kind:     hidden_global_offset_y
      - .offset:         200
        .size:           8
        .value_kind:     hidden_global_offset_z
      - .offset:         208
        .size:           2
        .value_kind:     hidden_grid_dims
    .group_segment_fixed_size: 8192
    .kernarg_segment_align: 8
    .kernarg_segment_size: 400
    .language:       OpenCL C
    .language_version:
      - 2
      - 0
    .max_flat_workgroup_size: 256
    .name:           _Z39paged_attention_ll4mi_QKV_mfma16_kernelIDF16_DF16_LN4vllm18Fp8KVCacheDataTypeE0EDF16_Li32ELi128ELi256ELb0ELi10EEvPKT_PKT0_S7_ifPKiS9_S9_iPKfiiiPfSC_PS2_PT2_iSB_SB_
    .private_segment_fixed_size: 0
    .sgpr_count:     48
    .sgpr_spill_count: 0
    .symbol:         _Z39paged_attention_ll4mi_QKV_mfma16_kernelIDF16_DF16_LN4vllm18Fp8KVCacheDataTypeE0EDF16_Li32ELi128ELi256ELb0ELi10EEvPKT_PKT0_S7_ifPKiS9_S9_iPKfiiiPfSC_PS2_PT2_iSB_SB_.kd
    .uniform_work_group_size: 1
    .uses_dynamic_stack: false
    .vgpr_count:     96
    .vgpr_spill_count: 0
    .wavefront_size: 64
  - .agpr_count:     0
    .args:
      - .actual_access:  read_only
        .address_space:  global
        .offset:         0
        .size:           8
        .value_kind:     global_buffer
      - .actual_access:  read_only
        .address_space:  global
        .offset:         8
        .size:           8
        .value_kind:     global_buffer
      - .actual_access:  read_only
        .address_space:  global
        .offset:         16
        .size:           8
        .value_kind:     global_buffer
      - .offset:         24
        .size:           4
        .value_kind:     by_value
      - .offset:         28
        .size:           4
        .value_kind:     by_value
      - .actual_access:  read_only
        .address_space:  global
        .offset:         32
        .size:           8
        .value_kind:     global_buffer
      - .actual_access:  read_only
        .address_space:  global
        .offset:         40
        .size:           8
        .value_kind:     global_buffer
      - .actual_access:  read_only
        .address_space:  global
        .offset:         48
        .size:           8
        .value_kind:     global_buffer
      - .offset:         56
        .size:           4
        .value_kind:     by_value
      - .actual_access:  read_only
        .address_space:  global
        .offset:         64
        .size:           8
        .value_kind:     global_buffer
      - .offset:         72
        .size:           4
        .value_kind:     by_value
      - .offset:         76
        .size:           4
        .value_kind:     by_value
      - .offset:         80
        .size:           4
        .value_kind:     by_value
      - .actual_access:  write_only
        .address_space:  global
        .offset:         88
        .size:           8
        .value_kind:     global_buffer
      - .actual_access:  write_only
        .address_space:  global
        .offset:         96
        .size:           8
        .value_kind:     global_buffer
      - .actual_access:  write_only
        .address_space:  global
        .offset:         104
        .size:           8
        .value_kind:     global_buffer
      - .actual_access:  read_only
        .address_space:  global
        .offset:         112
        .size:           8
        .value_kind:     global_buffer
      - .offset:         120
        .size:           4
        .value_kind:     by_value
      - .address_space:  global
        .offset:         128
        .size:           8
        .value_kind:     global_buffer
      - .address_space:  global
        .offset:         136
        .size:           8
        .value_kind:     global_buffer
      - .offset:         144
        .size:           4
        .value_kind:     hidden_block_count_x
      - .offset:         148
        .size:           4
        .value_kind:     hidden_block_count_y
      - .offset:         152
        .size:           4
        .value_kind:     hidden_block_count_z
      - .offset:         156
        .size:           2
        .value_kind:     hidden_group_size_x
      - .offset:         158
        .size:           2
        .value_kind:     hidden_group_size_y
      - .offset:         160
        .size:           2
        .value_kind:     hidden_group_size_z
      - .offset:         162
        .size:           2
        .value_kind:     hidden_remainder_x
      - .offset:         164
        .size:           2
        .value_kind:     hidden_remainder_y
      - .offset:         166
        .size:           2
        .value_kind:     hidden_remainder_z
      - .offset:         184
        .size:           8
        .value_kind:     hidden_global_offset_x
      - .offset:         192
        .size:           8
        .value_kind:     hidden_global_offset_y
      - .offset:         200
        .size:           8
        .value_kind:     hidden_global_offset_z
      - .offset:         208
        .size:           2
        .value_kind:     hidden_grid_dims
    .group_segment_fixed_size: 8192
    .kernarg_segment_align: 8
    .kernarg_segment_size: 400
    .language:       OpenCL C
    .language_version:
      - 2
      - 0
    .max_flat_workgroup_size: 256
    .name:           _Z39paged_attention_ll4mi_QKV_mfma16_kernelIDF16_DF16_LN4vllm18Fp8KVCacheDataTypeE0EDF16_Li32ELi128ELi256ELb0ELi11EEvPKT_PKT0_S7_ifPKiS9_S9_iPKfiiiPfSC_PS2_PT2_iSB_SB_
    .private_segment_fixed_size: 0
    .sgpr_count:     48
    .sgpr_spill_count: 0
    .symbol:         _Z39paged_attention_ll4mi_QKV_mfma16_kernelIDF16_DF16_LN4vllm18Fp8KVCacheDataTypeE0EDF16_Li32ELi128ELi256ELb0ELi11EEvPKT_PKT0_S7_ifPKiS9_S9_iPKfiiiPfSC_PS2_PT2_iSB_SB_.kd
    .uniform_work_group_size: 1
    .uses_dynamic_stack: false
    .vgpr_count:     96
    .vgpr_spill_count: 0
    .wavefront_size: 64
  - .agpr_count:     0
    .args:
      - .actual_access:  read_only
        .address_space:  global
        .offset:         0
        .size:           8
        .value_kind:     global_buffer
      - .actual_access:  read_only
        .address_space:  global
        .offset:         8
        .size:           8
        .value_kind:     global_buffer
      - .actual_access:  read_only
        .address_space:  global
        .offset:         16
        .size:           8
        .value_kind:     global_buffer
      - .offset:         24
        .size:           4
        .value_kind:     by_value
      - .offset:         28
        .size:           4
        .value_kind:     by_value
      - .actual_access:  read_only
        .address_space:  global
        .offset:         32
        .size:           8
        .value_kind:     global_buffer
      - .actual_access:  read_only
        .address_space:  global
        .offset:         40
        .size:           8
        .value_kind:     global_buffer
      - .actual_access:  read_only
        .address_space:  global
        .offset:         48
        .size:           8
        .value_kind:     global_buffer
      - .offset:         56
        .size:           4
        .value_kind:     by_value
      - .actual_access:  read_only
        .address_space:  global
        .offset:         64
        .size:           8
        .value_kind:     global_buffer
      - .offset:         72
        .size:           4
        .value_kind:     by_value
      - .offset:         76
        .size:           4
        .value_kind:     by_value
      - .offset:         80
        .size:           4
        .value_kind:     by_value
      - .actual_access:  write_only
        .address_space:  global
        .offset:         88
        .size:           8
        .value_kind:     global_buffer
      - .actual_access:  write_only
        .address_space:  global
        .offset:         96
        .size:           8
        .value_kind:     global_buffer
      - .actual_access:  write_only
        .address_space:  global
        .offset:         104
        .size:           8
        .value_kind:     global_buffer
      - .actual_access:  read_only
        .address_space:  global
        .offset:         112
        .size:           8
        .value_kind:     global_buffer
      - .offset:         120
        .size:           4
        .value_kind:     by_value
      - .address_space:  global
        .offset:         128
        .size:           8
        .value_kind:     global_buffer
      - .address_space:  global
        .offset:         136
        .size:           8
        .value_kind:     global_buffer
      - .offset:         144
        .size:           4
        .value_kind:     hidden_block_count_x
      - .offset:         148
        .size:           4
        .value_kind:     hidden_block_count_y
      - .offset:         152
        .size:           4
        .value_kind:     hidden_block_count_z
      - .offset:         156
        .size:           2
        .value_kind:     hidden_group_size_x
      - .offset:         158
        .size:           2
        .value_kind:     hidden_group_size_y
      - .offset:         160
        .size:           2
        .value_kind:     hidden_group_size_z
      - .offset:         162
        .size:           2
        .value_kind:     hidden_remainder_x
      - .offset:         164
        .size:           2
        .value_kind:     hidden_remainder_y
      - .offset:         166
        .size:           2
        .value_kind:     hidden_remainder_z
      - .offset:         184
        .size:           8
        .value_kind:     hidden_global_offset_x
      - .offset:         192
        .size:           8
        .value_kind:     hidden_global_offset_y
      - .offset:         200
        .size:           8
        .value_kind:     hidden_global_offset_z
      - .offset:         208
        .size:           2
        .value_kind:     hidden_grid_dims
    .group_segment_fixed_size: 8192
    .kernarg_segment_align: 8
    .kernarg_segment_size: 400
    .language:       OpenCL C
    .language_version:
      - 2
      - 0
    .max_flat_workgroup_size: 256
    .name:           _Z39paged_attention_ll4mi_QKV_mfma16_kernelIDF16_DF16_LN4vllm18Fp8KVCacheDataTypeE0EDF16_Li32ELi128ELi256ELb0ELi12EEvPKT_PKT0_S7_ifPKiS9_S9_iPKfiiiPfSC_PS2_PT2_iSB_SB_
    .private_segment_fixed_size: 0
    .sgpr_count:     48
    .sgpr_spill_count: 0
    .symbol:         _Z39paged_attention_ll4mi_QKV_mfma16_kernelIDF16_DF16_LN4vllm18Fp8KVCacheDataTypeE0EDF16_Li32ELi128ELi256ELb0ELi12EEvPKT_PKT0_S7_ifPKiS9_S9_iPKfiiiPfSC_PS2_PT2_iSB_SB_.kd
    .uniform_work_group_size: 1
    .uses_dynamic_stack: false
    .vgpr_count:     96
    .vgpr_spill_count: 0
    .wavefront_size: 64
  - .agpr_count:     0
    .args:
      - .actual_access:  read_only
        .address_space:  global
        .offset:         0
        .size:           8
        .value_kind:     global_buffer
      - .actual_access:  read_only
        .address_space:  global
        .offset:         8
        .size:           8
        .value_kind:     global_buffer
      - .actual_access:  read_only
        .address_space:  global
        .offset:         16
        .size:           8
        .value_kind:     global_buffer
      - .offset:         24
        .size:           4
        .value_kind:     by_value
      - .offset:         28
        .size:           4
        .value_kind:     by_value
      - .actual_access:  read_only
        .address_space:  global
        .offset:         32
        .size:           8
        .value_kind:     global_buffer
      - .actual_access:  read_only
        .address_space:  global
        .offset:         40
        .size:           8
        .value_kind:     global_buffer
      - .actual_access:  read_only
        .address_space:  global
        .offset:         48
        .size:           8
        .value_kind:     global_buffer
      - .offset:         56
        .size:           4
        .value_kind:     by_value
      - .actual_access:  read_only
        .address_space:  global
        .offset:         64
        .size:           8
        .value_kind:     global_buffer
      - .offset:         72
        .size:           4
        .value_kind:     by_value
      - .offset:         76
        .size:           4
        .value_kind:     by_value
      - .offset:         80
        .size:           4
        .value_kind:     by_value
      - .actual_access:  write_only
        .address_space:  global
        .offset:         88
        .size:           8
        .value_kind:     global_buffer
      - .actual_access:  write_only
        .address_space:  global
        .offset:         96
        .size:           8
        .value_kind:     global_buffer
      - .actual_access:  write_only
        .address_space:  global
        .offset:         104
        .size:           8
        .value_kind:     global_buffer
      - .actual_access:  read_only
        .address_space:  global
        .offset:         112
        .size:           8
        .value_kind:     global_buffer
      - .offset:         120
        .size:           4
        .value_kind:     by_value
      - .address_space:  global
        .offset:         128
        .size:           8
        .value_kind:     global_buffer
      - .address_space:  global
        .offset:         136
        .size:           8
        .value_kind:     global_buffer
      - .offset:         144
        .size:           4
        .value_kind:     hidden_block_count_x
      - .offset:         148
        .size:           4
        .value_kind:     hidden_block_count_y
      - .offset:         152
        .size:           4
        .value_kind:     hidden_block_count_z
      - .offset:         156
        .size:           2
        .value_kind:     hidden_group_size_x
      - .offset:         158
        .size:           2
        .value_kind:     hidden_group_size_y
      - .offset:         160
        .size:           2
        .value_kind:     hidden_group_size_z
      - .offset:         162
        .size:           2
        .value_kind:     hidden_remainder_x
      - .offset:         164
        .size:           2
        .value_kind:     hidden_remainder_y
      - .offset:         166
        .size:           2
        .value_kind:     hidden_remainder_z
      - .offset:         184
        .size:           8
        .value_kind:     hidden_global_offset_x
      - .offset:         192
        .size:           8
        .value_kind:     hidden_global_offset_y
      - .offset:         200
        .size:           8
        .value_kind:     hidden_global_offset_z
      - .offset:         208
        .size:           2
        .value_kind:     hidden_grid_dims
    .group_segment_fixed_size: 8192
    .kernarg_segment_align: 8
    .kernarg_segment_size: 400
    .language:       OpenCL C
    .language_version:
      - 2
      - 0
    .max_flat_workgroup_size: 256
    .name:           _Z39paged_attention_ll4mi_QKV_mfma16_kernelIDF16_DF16_LN4vllm18Fp8KVCacheDataTypeE0EDF16_Li32ELi128ELi256ELb0ELi13EEvPKT_PKT0_S7_ifPKiS9_S9_iPKfiiiPfSC_PS2_PT2_iSB_SB_
    .private_segment_fixed_size: 0
    .sgpr_count:     48
    .sgpr_spill_count: 0
    .symbol:         _Z39paged_attention_ll4mi_QKV_mfma16_kernelIDF16_DF16_LN4vllm18Fp8KVCacheDataTypeE0EDF16_Li32ELi128ELi256ELb0ELi13EEvPKT_PKT0_S7_ifPKiS9_S9_iPKfiiiPfSC_PS2_PT2_iSB_SB_.kd
    .uniform_work_group_size: 1
    .uses_dynamic_stack: false
    .vgpr_count:     96
    .vgpr_spill_count: 0
    .wavefront_size: 64
  - .agpr_count:     0
    .args:
      - .actual_access:  read_only
        .address_space:  global
        .offset:         0
        .size:           8
        .value_kind:     global_buffer
      - .actual_access:  read_only
        .address_space:  global
        .offset:         8
        .size:           8
        .value_kind:     global_buffer
      - .actual_access:  read_only
        .address_space:  global
        .offset:         16
        .size:           8
        .value_kind:     global_buffer
      - .offset:         24
        .size:           4
        .value_kind:     by_value
      - .offset:         28
        .size:           4
        .value_kind:     by_value
      - .actual_access:  read_only
        .address_space:  global
        .offset:         32
        .size:           8
        .value_kind:     global_buffer
      - .actual_access:  read_only
        .address_space:  global
        .offset:         40
        .size:           8
        .value_kind:     global_buffer
      - .actual_access:  read_only
        .address_space:  global
        .offset:         48
        .size:           8
        .value_kind:     global_buffer
      - .offset:         56
        .size:           4
        .value_kind:     by_value
      - .actual_access:  read_only
        .address_space:  global
        .offset:         64
        .size:           8
        .value_kind:     global_buffer
      - .offset:         72
        .size:           4
        .value_kind:     by_value
      - .offset:         76
        .size:           4
        .value_kind:     by_value
      - .offset:         80
        .size:           4
        .value_kind:     by_value
      - .actual_access:  write_only
        .address_space:  global
        .offset:         88
        .size:           8
        .value_kind:     global_buffer
      - .actual_access:  write_only
        .address_space:  global
        .offset:         96
        .size:           8
        .value_kind:     global_buffer
      - .actual_access:  write_only
        .address_space:  global
        .offset:         104
        .size:           8
        .value_kind:     global_buffer
      - .actual_access:  read_only
        .address_space:  global
        .offset:         112
        .size:           8
        .value_kind:     global_buffer
      - .offset:         120
        .size:           4
        .value_kind:     by_value
      - .address_space:  global
        .offset:         128
        .size:           8
        .value_kind:     global_buffer
      - .address_space:  global
        .offset:         136
        .size:           8
        .value_kind:     global_buffer
      - .offset:         144
        .size:           4
        .value_kind:     hidden_block_count_x
      - .offset:         148
        .size:           4
        .value_kind:     hidden_block_count_y
      - .offset:         152
        .size:           4
        .value_kind:     hidden_block_count_z
      - .offset:         156
        .size:           2
        .value_kind:     hidden_group_size_x
      - .offset:         158
        .size:           2
        .value_kind:     hidden_group_size_y
      - .offset:         160
        .size:           2
        .value_kind:     hidden_group_size_z
      - .offset:         162
        .size:           2
        .value_kind:     hidden_remainder_x
      - .offset:         164
        .size:           2
        .value_kind:     hidden_remainder_y
      - .offset:         166
        .size:           2
        .value_kind:     hidden_remainder_z
      - .offset:         184
        .size:           8
        .value_kind:     hidden_global_offset_x
      - .offset:         192
        .size:           8
        .value_kind:     hidden_global_offset_y
      - .offset:         200
        .size:           8
        .value_kind:     hidden_global_offset_z
      - .offset:         208
        .size:           2
        .value_kind:     hidden_grid_dims
    .group_segment_fixed_size: 8192
    .kernarg_segment_align: 8
    .kernarg_segment_size: 400
    .language:       OpenCL C
    .language_version:
      - 2
      - 0
    .max_flat_workgroup_size: 256
    .name:           _Z39paged_attention_ll4mi_QKV_mfma16_kernelIDF16_DF16_LN4vllm18Fp8KVCacheDataTypeE0EDF16_Li32ELi128ELi256ELb0ELi14EEvPKT_PKT0_S7_ifPKiS9_S9_iPKfiiiPfSC_PS2_PT2_iSB_SB_
    .private_segment_fixed_size: 0
    .sgpr_count:     48
    .sgpr_spill_count: 0
    .symbol:         _Z39paged_attention_ll4mi_QKV_mfma16_kernelIDF16_DF16_LN4vllm18Fp8KVCacheDataTypeE0EDF16_Li32ELi128ELi256ELb0ELi14EEvPKT_PKT0_S7_ifPKiS9_S9_iPKfiiiPfSC_PS2_PT2_iSB_SB_.kd
    .uniform_work_group_size: 1
    .uses_dynamic_stack: false
    .vgpr_count:     96
    .vgpr_spill_count: 0
    .wavefront_size: 64
  - .agpr_count:     0
    .args:
      - .actual_access:  read_only
        .address_space:  global
        .offset:         0
        .size:           8
        .value_kind:     global_buffer
      - .actual_access:  read_only
        .address_space:  global
        .offset:         8
        .size:           8
        .value_kind:     global_buffer
      - .actual_access:  read_only
        .address_space:  global
        .offset:         16
        .size:           8
        .value_kind:     global_buffer
      - .offset:         24
        .size:           4
        .value_kind:     by_value
      - .offset:         28
        .size:           4
        .value_kind:     by_value
      - .actual_access:  read_only
        .address_space:  global
        .offset:         32
        .size:           8
        .value_kind:     global_buffer
      - .actual_access:  read_only
        .address_space:  global
        .offset:         40
        .size:           8
        .value_kind:     global_buffer
      - .actual_access:  read_only
        .address_space:  global
        .offset:         48
        .size:           8
        .value_kind:     global_buffer
      - .offset:         56
        .size:           4
        .value_kind:     by_value
      - .actual_access:  read_only
        .address_space:  global
        .offset:         64
        .size:           8
        .value_kind:     global_buffer
      - .offset:         72
        .size:           4
        .value_kind:     by_value
      - .offset:         76
        .size:           4
        .value_kind:     by_value
      - .offset:         80
        .size:           4
        .value_kind:     by_value
      - .actual_access:  write_only
        .address_space:  global
        .offset:         88
        .size:           8
        .value_kind:     global_buffer
      - .actual_access:  write_only
        .address_space:  global
        .offset:         96
        .size:           8
        .value_kind:     global_buffer
      - .actual_access:  write_only
        .address_space:  global
        .offset:         104
        .size:           8
        .value_kind:     global_buffer
      - .actual_access:  read_only
        .address_space:  global
        .offset:         112
        .size:           8
        .value_kind:     global_buffer
      - .offset:         120
        .size:           4
        .value_kind:     by_value
      - .address_space:  global
        .offset:         128
        .size:           8
        .value_kind:     global_buffer
      - .address_space:  global
        .offset:         136
        .size:           8
        .value_kind:     global_buffer
      - .offset:         144
        .size:           4
        .value_kind:     hidden_block_count_x
      - .offset:         148
        .size:           4
        .value_kind:     hidden_block_count_y
      - .offset:         152
        .size:           4
        .value_kind:     hidden_block_count_z
      - .offset:         156
        .size:           2
        .value_kind:     hidden_group_size_x
      - .offset:         158
        .size:           2
        .value_kind:     hidden_group_size_y
      - .offset:         160
        .size:           2
        .value_kind:     hidden_group_size_z
      - .offset:         162
        .size:           2
        .value_kind:     hidden_remainder_x
      - .offset:         164
        .size:           2
        .value_kind:     hidden_remainder_y
      - .offset:         166
        .size:           2
        .value_kind:     hidden_remainder_z
      - .offset:         184
        .size:           8
        .value_kind:     hidden_global_offset_x
      - .offset:         192
        .size:           8
        .value_kind:     hidden_global_offset_y
      - .offset:         200
        .size:           8
        .value_kind:     hidden_global_offset_z
      - .offset:         208
        .size:           2
        .value_kind:     hidden_grid_dims
    .group_segment_fixed_size: 8192
    .kernarg_segment_align: 8
    .kernarg_segment_size: 400
    .language:       OpenCL C
    .language_version:
      - 2
      - 0
    .max_flat_workgroup_size: 256
    .name:           _Z39paged_attention_ll4mi_QKV_mfma16_kernelIDF16_DF16_LN4vllm18Fp8KVCacheDataTypeE0EDF16_Li32ELi128ELi256ELb0ELi15EEvPKT_PKT0_S7_ifPKiS9_S9_iPKfiiiPfSC_PS2_PT2_iSB_SB_
    .private_segment_fixed_size: 12
    .sgpr_count:     48
    .sgpr_spill_count: 0
    .symbol:         _Z39paged_attention_ll4mi_QKV_mfma16_kernelIDF16_DF16_LN4vllm18Fp8KVCacheDataTypeE0EDF16_Li32ELi128ELi256ELb0ELi15EEvPKT_PKT0_S7_ifPKiS9_S9_iPKfiiiPfSC_PS2_PT2_iSB_SB_.kd
    .uniform_work_group_size: 1
    .uses_dynamic_stack: false
    .vgpr_count:     96
    .vgpr_spill_count: 2
    .wavefront_size: 64
  - .agpr_count:     0
    .args:
      - .actual_access:  read_only
        .address_space:  global
        .offset:         0
        .size:           8
        .value_kind:     global_buffer
      - .actual_access:  read_only
        .address_space:  global
        .offset:         8
        .size:           8
        .value_kind:     global_buffer
      - .actual_access:  read_only
        .address_space:  global
        .offset:         16
        .size:           8
        .value_kind:     global_buffer
      - .offset:         24
        .size:           4
        .value_kind:     by_value
      - .offset:         28
        .size:           4
        .value_kind:     by_value
      - .actual_access:  read_only
        .address_space:  global
        .offset:         32
        .size:           8
        .value_kind:     global_buffer
      - .actual_access:  read_only
        .address_space:  global
        .offset:         40
        .size:           8
        .value_kind:     global_buffer
      - .actual_access:  read_only
        .address_space:  global
        .offset:         48
        .size:           8
        .value_kind:     global_buffer
      - .offset:         56
        .size:           4
        .value_kind:     by_value
      - .actual_access:  read_only
        .address_space:  global
        .offset:         64
        .size:           8
        .value_kind:     global_buffer
      - .offset:         72
        .size:           4
        .value_kind:     by_value
      - .offset:         76
        .size:           4
        .value_kind:     by_value
      - .offset:         80
        .size:           4
        .value_kind:     by_value
      - .actual_access:  write_only
        .address_space:  global
        .offset:         88
        .size:           8
        .value_kind:     global_buffer
      - .actual_access:  write_only
        .address_space:  global
        .offset:         96
        .size:           8
        .value_kind:     global_buffer
      - .actual_access:  write_only
        .address_space:  global
        .offset:         104
        .size:           8
        .value_kind:     global_buffer
      - .actual_access:  read_only
        .address_space:  global
        .offset:         112
        .size:           8
        .value_kind:     global_buffer
      - .offset:         120
        .size:           4
        .value_kind:     by_value
      - .address_space:  global
        .offset:         128
        .size:           8
        .value_kind:     global_buffer
      - .address_space:  global
        .offset:         136
        .size:           8
        .value_kind:     global_buffer
      - .offset:         144
        .size:           4
        .value_kind:     hidden_block_count_x
      - .offset:         148
        .size:           4
        .value_kind:     hidden_block_count_y
      - .offset:         152
        .size:           4
        .value_kind:     hidden_block_count_z
      - .offset:         156
        .size:           2
        .value_kind:     hidden_group_size_x
      - .offset:         158
        .size:           2
        .value_kind:     hidden_group_size_y
      - .offset:         160
        .size:           2
        .value_kind:     hidden_group_size_z
      - .offset:         162
        .size:           2
        .value_kind:     hidden_remainder_x
      - .offset:         164
        .size:           2
        .value_kind:     hidden_remainder_y
      - .offset:         166
        .size:           2
        .value_kind:     hidden_remainder_z
      - .offset:         184
        .size:           8
        .value_kind:     hidden_global_offset_x
      - .offset:         192
        .size:           8
        .value_kind:     hidden_global_offset_y
      - .offset:         200
        .size:           8
        .value_kind:     hidden_global_offset_z
      - .offset:         208
        .size:           2
        .value_kind:     hidden_grid_dims
    .group_segment_fixed_size: 8192
    .kernarg_segment_align: 8
    .kernarg_segment_size: 400
    .language:       OpenCL C
    .language_version:
      - 2
      - 0
    .max_flat_workgroup_size: 256
    .name:           _Z39paged_attention_ll4mi_QKV_mfma16_kernelIDF16_DF16_LN4vllm18Fp8KVCacheDataTypeE0EDF16_Li32ELi128ELi256ELb0ELi16EEvPKT_PKT0_S7_ifPKiS9_S9_iPKfiiiPfSC_PS2_PT2_iSB_SB_
    .private_segment_fixed_size: 44
    .sgpr_count:     47
    .sgpr_spill_count: 0
    .symbol:         _Z39paged_attention_ll4mi_QKV_mfma16_kernelIDF16_DF16_LN4vllm18Fp8KVCacheDataTypeE0EDF16_Li32ELi128ELi256ELb0ELi16EEvPKT_PKT0_S7_ifPKiS9_S9_iPKfiiiPfSC_PS2_PT2_iSB_SB_.kd
    .uniform_work_group_size: 1
    .uses_dynamic_stack: false
    .vgpr_count:     96
    .vgpr_spill_count: 10
    .wavefront_size: 64
  - .agpr_count:     0
    .args:
      - .actual_access:  read_only
        .address_space:  global
        .offset:         0
        .size:           8
        .value_kind:     global_buffer
      - .actual_access:  read_only
        .address_space:  global
        .offset:         8
        .size:           8
        .value_kind:     global_buffer
      - .actual_access:  read_only
        .address_space:  global
        .offset:         16
        .size:           8
        .value_kind:     global_buffer
      - .offset:         24
        .size:           4
        .value_kind:     by_value
      - .offset:         28
        .size:           4
        .value_kind:     by_value
      - .actual_access:  read_only
        .address_space:  global
        .offset:         32
        .size:           8
        .value_kind:     global_buffer
      - .actual_access:  read_only
        .address_space:  global
        .offset:         40
        .size:           8
        .value_kind:     global_buffer
      - .actual_access:  read_only
        .address_space:  global
        .offset:         48
        .size:           8
        .value_kind:     global_buffer
      - .offset:         56
        .size:           4
        .value_kind:     by_value
      - .actual_access:  read_only
        .address_space:  global
        .offset:         64
        .size:           8
        .value_kind:     global_buffer
      - .offset:         72
        .size:           4
        .value_kind:     by_value
      - .offset:         76
        .size:           4
        .value_kind:     by_value
      - .offset:         80
        .size:           4
        .value_kind:     by_value
      - .actual_access:  write_only
        .address_space:  global
        .offset:         88
        .size:           8
        .value_kind:     global_buffer
      - .actual_access:  write_only
        .address_space:  global
        .offset:         96
        .size:           8
        .value_kind:     global_buffer
      - .actual_access:  write_only
        .address_space:  global
        .offset:         104
        .size:           8
        .value_kind:     global_buffer
      - .actual_access:  read_only
        .address_space:  global
        .offset:         112
        .size:           8
        .value_kind:     global_buffer
      - .offset:         120
        .size:           4
        .value_kind:     by_value
      - .address_space:  global
        .offset:         128
        .size:           8
        .value_kind:     global_buffer
      - .address_space:  global
        .offset:         136
        .size:           8
        .value_kind:     global_buffer
      - .offset:         144
        .size:           4
        .value_kind:     hidden_block_count_x
      - .offset:         148
        .size:           4
        .value_kind:     hidden_block_count_y
      - .offset:         152
        .size:           4
        .value_kind:     hidden_block_count_z
      - .offset:         156
        .size:           2
        .value_kind:     hidden_group_size_x
      - .offset:         158
        .size:           2
        .value_kind:     hidden_group_size_y
      - .offset:         160
        .size:           2
        .value_kind:     hidden_group_size_z
      - .offset:         162
        .size:           2
        .value_kind:     hidden_remainder_x
      - .offset:         164
        .size:           2
        .value_kind:     hidden_remainder_y
      - .offset:         166
        .size:           2
        .value_kind:     hidden_remainder_z
      - .offset:         184
        .size:           8
        .value_kind:     hidden_global_offset_x
      - .offset:         192
        .size:           8
        .value_kind:     hidden_global_offset_y
      - .offset:         200
        .size:           8
        .value_kind:     hidden_global_offset_z
      - .offset:         208
        .size:           2
        .value_kind:     hidden_grid_dims
    .group_segment_fixed_size: 8192
    .kernarg_segment_align: 8
    .kernarg_segment_size: 400
    .language:       OpenCL C
    .language_version:
      - 2
      - 0
    .max_flat_workgroup_size: 256
    .name:           _Z39paged_attention_ll4mi_QKV_mfma16_kernelIDF16_DF16_LN4vllm18Fp8KVCacheDataTypeE0EDF16_Li32ELi128ELi256ELb0ELi1EEvPKT_PKT0_S7_ifPKiS9_S9_iPKfiiiPfSC_PS2_PT2_iSB_SB_
    .private_segment_fixed_size: 28
    .sgpr_count:     46
    .sgpr_spill_count: 0
    .symbol:         _Z39paged_attention_ll4mi_QKV_mfma16_kernelIDF16_DF16_LN4vllm18Fp8KVCacheDataTypeE0EDF16_Li32ELi128ELi256ELb0ELi1EEvPKT_PKT0_S7_ifPKiS9_S9_iPKfiiiPfSC_PS2_PT2_iSB_SB_.kd
    .uniform_work_group_size: 1
    .uses_dynamic_stack: false
    .vgpr_count:     96
    .vgpr_spill_count: 10
    .wavefront_size: 64
  - .agpr_count:     0
    .args:
      - .actual_access:  read_only
        .address_space:  global
        .offset:         0
        .size:           8
        .value_kind:     global_buffer
      - .actual_access:  read_only
        .address_space:  global
        .offset:         8
        .size:           8
        .value_kind:     global_buffer
      - .actual_access:  read_only
        .address_space:  global
        .offset:         16
        .size:           8
        .value_kind:     global_buffer
      - .offset:         24
        .size:           4
        .value_kind:     by_value
      - .offset:         28
        .size:           4
        .value_kind:     by_value
      - .actual_access:  read_only
        .address_space:  global
        .offset:         32
        .size:           8
        .value_kind:     global_buffer
      - .actual_access:  read_only
        .address_space:  global
        .offset:         40
        .size:           8
        .value_kind:     global_buffer
      - .actual_access:  read_only
        .address_space:  global
        .offset:         48
        .size:           8
        .value_kind:     global_buffer
      - .offset:         56
        .size:           4
        .value_kind:     by_value
      - .actual_access:  read_only
        .address_space:  global
        .offset:         64
        .size:           8
        .value_kind:     global_buffer
      - .offset:         72
        .size:           4
        .value_kind:     by_value
      - .offset:         76
        .size:           4
        .value_kind:     by_value
      - .offset:         80
        .size:           4
        .value_kind:     by_value
      - .actual_access:  write_only
        .address_space:  global
        .offset:         88
        .size:           8
        .value_kind:     global_buffer
      - .actual_access:  write_only
        .address_space:  global
        .offset:         96
        .size:           8
        .value_kind:     global_buffer
      - .actual_access:  write_only
        .address_space:  global
        .offset:         104
        .size:           8
        .value_kind:     global_buffer
      - .actual_access:  read_only
        .address_space:  global
        .offset:         112
        .size:           8
        .value_kind:     global_buffer
      - .offset:         120
        .size:           4
        .value_kind:     by_value
      - .address_space:  global
        .offset:         128
        .size:           8
        .value_kind:     global_buffer
      - .address_space:  global
        .offset:         136
        .size:           8
        .value_kind:     global_buffer
      - .offset:         144
        .size:           4
        .value_kind:     hidden_block_count_x
      - .offset:         148
        .size:           4
        .value_kind:     hidden_block_count_y
      - .offset:         152
        .size:           4
        .value_kind:     hidden_block_count_z
      - .offset:         156
        .size:           2
        .value_kind:     hidden_group_size_x
      - .offset:         158
        .size:           2
        .value_kind:     hidden_group_size_y
      - .offset:         160
        .size:           2
        .value_kind:     hidden_group_size_z
      - .offset:         162
        .size:           2
        .value_kind:     hidden_remainder_x
      - .offset:         164
        .size:           2
        .value_kind:     hidden_remainder_y
      - .offset:         166
        .size:           2
        .value_kind:     hidden_remainder_z
      - .offset:         184
        .size:           8
        .value_kind:     hidden_global_offset_x
      - .offset:         192
        .size:           8
        .value_kind:     hidden_global_offset_y
      - .offset:         200
        .size:           8
        .value_kind:     hidden_global_offset_z
      - .offset:         208
        .size:           2
        .value_kind:     hidden_grid_dims
    .group_segment_fixed_size: 8192
    .kernarg_segment_align: 8
    .kernarg_segment_size: 400
    .language:       OpenCL C
    .language_version:
      - 2
      - 0
    .max_flat_workgroup_size: 256
    .name:           _Z39paged_attention_ll4mi_QKV_mfma16_kernelIDF16_DF16_LN4vllm18Fp8KVCacheDataTypeE0EDF16_Li32ELi128ELi256ELb0ELi2EEvPKT_PKT0_S7_ifPKiS9_S9_iPKfiiiPfSC_PS2_PT2_iSB_SB_
    .private_segment_fixed_size: 12
    .sgpr_count:     47
    .sgpr_spill_count: 0
    .symbol:         _Z39paged_attention_ll4mi_QKV_mfma16_kernelIDF16_DF16_LN4vllm18Fp8KVCacheDataTypeE0EDF16_Li32ELi128ELi256ELb0ELi2EEvPKT_PKT0_S7_ifPKiS9_S9_iPKfiiiPfSC_PS2_PT2_iSB_SB_.kd
    .uniform_work_group_size: 1
    .uses_dynamic_stack: false
    .vgpr_count:     96
    .vgpr_spill_count: 2
    .wavefront_size: 64
  - .agpr_count:     0
    .args:
      - .actual_access:  read_only
        .address_space:  global
        .offset:         0
        .size:           8
        .value_kind:     global_buffer
      - .actual_access:  read_only
        .address_space:  global
        .offset:         8
        .size:           8
        .value_kind:     global_buffer
      - .actual_access:  read_only
        .address_space:  global
        .offset:         16
        .size:           8
        .value_kind:     global_buffer
      - .offset:         24
        .size:           4
        .value_kind:     by_value
      - .offset:         28
        .size:           4
        .value_kind:     by_value
      - .actual_access:  read_only
        .address_space:  global
        .offset:         32
        .size:           8
        .value_kind:     global_buffer
      - .actual_access:  read_only
        .address_space:  global
        .offset:         40
        .size:           8
        .value_kind:     global_buffer
      - .actual_access:  read_only
        .address_space:  global
        .offset:         48
        .size:           8
        .value_kind:     global_buffer
      - .offset:         56
        .size:           4
        .value_kind:     by_value
      - .actual_access:  read_only
        .address_space:  global
        .offset:         64
        .size:           8
        .value_kind:     global_buffer
      - .offset:         72
        .size:           4
        .value_kind:     by_value
      - .offset:         76
        .size:           4
        .value_kind:     by_value
      - .offset:         80
        .size:           4
        .value_kind:     by_value
      - .actual_access:  write_only
        .address_space:  global
        .offset:         88
        .size:           8
        .value_kind:     global_buffer
      - .actual_access:  write_only
        .address_space:  global
        .offset:         96
        .size:           8
        .value_kind:     global_buffer
      - .actual_access:  write_only
        .address_space:  global
        .offset:         104
        .size:           8
        .value_kind:     global_buffer
      - .actual_access:  read_only
        .address_space:  global
        .offset:         112
        .size:           8
        .value_kind:     global_buffer
      - .offset:         120
        .size:           4
        .value_kind:     by_value
      - .address_space:  global
        .offset:         128
        .size:           8
        .value_kind:     global_buffer
      - .address_space:  global
        .offset:         136
        .size:           8
        .value_kind:     global_buffer
      - .offset:         144
        .size:           4
        .value_kind:     hidden_block_count_x
      - .offset:         148
        .size:           4
        .value_kind:     hidden_block_count_y
      - .offset:         152
        .size:           4
        .value_kind:     hidden_block_count_z
      - .offset:         156
        .size:           2
        .value_kind:     hidden_group_size_x
      - .offset:         158
        .size:           2
        .value_kind:     hidden_group_size_y
      - .offset:         160
        .size:           2
        .value_kind:     hidden_group_size_z
      - .offset:         162
        .size:           2
        .value_kind:     hidden_remainder_x
      - .offset:         164
        .size:           2
        .value_kind:     hidden_remainder_y
      - .offset:         166
        .size:           2
        .value_kind:     hidden_remainder_z
      - .offset:         184
        .size:           8
        .value_kind:     hidden_global_offset_x
      - .offset:         192
        .size:           8
        .value_kind:     hidden_global_offset_y
      - .offset:         200
        .size:           8
        .value_kind:     hidden_global_offset_z
      - .offset:         208
        .size:           2
        .value_kind:     hidden_grid_dims
    .group_segment_fixed_size: 8192
    .kernarg_segment_align: 8
    .kernarg_segment_size: 400
    .language:       OpenCL C
    .language_version:
      - 2
      - 0
    .max_flat_workgroup_size: 256
    .name:           _Z39paged_attention_ll4mi_QKV_mfma16_kernelIDF16_DF16_LN4vllm18Fp8KVCacheDataTypeE0EDF16_Li32ELi128ELi256ELb0ELi3EEvPKT_PKT0_S7_ifPKiS9_S9_iPKfiiiPfSC_PS2_PT2_iSB_SB_
    .private_segment_fixed_size: 8
    .sgpr_count:     48
    .sgpr_spill_count: 0
    .symbol:         _Z39paged_attention_ll4mi_QKV_mfma16_kernelIDF16_DF16_LN4vllm18Fp8KVCacheDataTypeE0EDF16_Li32ELi128ELi256ELb0ELi3EEvPKT_PKT0_S7_ifPKiS9_S9_iPKfiiiPfSC_PS2_PT2_iSB_SB_.kd
    .uniform_work_group_size: 1
    .uses_dynamic_stack: false
    .vgpr_count:     96
    .vgpr_spill_count: 1
    .wavefront_size: 64
  - .agpr_count:     0
    .args:
      - .actual_access:  read_only
        .address_space:  global
        .offset:         0
        .size:           8
        .value_kind:     global_buffer
      - .actual_access:  read_only
        .address_space:  global
        .offset:         8
        .size:           8
        .value_kind:     global_buffer
      - .actual_access:  read_only
        .address_space:  global
        .offset:         16
        .size:           8
        .value_kind:     global_buffer
      - .offset:         24
        .size:           4
        .value_kind:     by_value
      - .offset:         28
        .size:           4
        .value_kind:     by_value
      - .actual_access:  read_only
        .address_space:  global
        .offset:         32
        .size:           8
        .value_kind:     global_buffer
      - .actual_access:  read_only
        .address_space:  global
        .offset:         40
        .size:           8
        .value_kind:     global_buffer
      - .actual_access:  read_only
        .address_space:  global
        .offset:         48
        .size:           8
        .value_kind:     global_buffer
      - .offset:         56
        .size:           4
        .value_kind:     by_value
      - .actual_access:  read_only
        .address_space:  global
        .offset:         64
        .size:           8
        .value_kind:     global_buffer
      - .offset:         72
        .size:           4
        .value_kind:     by_value
      - .offset:         76
        .size:           4
        .value_kind:     by_value
      - .offset:         80
        .size:           4
        .value_kind:     by_value
      - .actual_access:  write_only
        .address_space:  global
        .offset:         88
        .size:           8
        .value_kind:     global_buffer
      - .actual_access:  write_only
        .address_space:  global
        .offset:         96
        .size:           8
        .value_kind:     global_buffer
      - .actual_access:  write_only
        .address_space:  global
        .offset:         104
        .size:           8
        .value_kind:     global_buffer
      - .actual_access:  read_only
        .address_space:  global
        .offset:         112
        .size:           8
        .value_kind:     global_buffer
      - .offset:         120
        .size:           4
        .value_kind:     by_value
      - .address_space:  global
        .offset:         128
        .size:           8
        .value_kind:     global_buffer
      - .address_space:  global
        .offset:         136
        .size:           8
        .value_kind:     global_buffer
      - .offset:         144
        .size:           4
        .value_kind:     hidden_block_count_x
      - .offset:         148
        .size:           4
        .value_kind:     hidden_block_count_y
      - .offset:         152
        .size:           4
        .value_kind:     hidden_block_count_z
      - .offset:         156
        .size:           2
        .value_kind:     hidden_group_size_x
      - .offset:         158
        .size:           2
        .value_kind:     hidden_group_size_y
      - .offset:         160
        .size:           2
        .value_kind:     hidden_group_size_z
      - .offset:         162
        .size:           2
        .value_kind:     hidden_remainder_x
      - .offset:         164
        .size:           2
        .value_kind:     hidden_remainder_y
      - .offset:         166
        .size:           2
        .value_kind:     hidden_remainder_z
      - .offset:         184
        .size:           8
        .value_kind:     hidden_global_offset_x
      - .offset:         192
        .size:           8
        .value_kind:     hidden_global_offset_y
      - .offset:         200
        .size:           8
        .value_kind:     hidden_global_offset_z
      - .offset:         208
        .size:           2
        .value_kind:     hidden_grid_dims
    .group_segment_fixed_size: 8192
    .kernarg_segment_align: 8
    .kernarg_segment_size: 400
    .language:       OpenCL C
    .language_version:
      - 2
      - 0
    .max_flat_workgroup_size: 256
    .name:           _Z39paged_attention_ll4mi_QKV_mfma16_kernelIDF16_DF16_LN4vllm18Fp8KVCacheDataTypeE0EDF16_Li32ELi128ELi256ELb0ELi4EEvPKT_PKT0_S7_ifPKiS9_S9_iPKfiiiPfSC_PS2_PT2_iSB_SB_
    .private_segment_fixed_size: 12
    .sgpr_count:     49
    .sgpr_spill_count: 0
    .symbol:         _Z39paged_attention_ll4mi_QKV_mfma16_kernelIDF16_DF16_LN4vllm18Fp8KVCacheDataTypeE0EDF16_Li32ELi128ELi256ELb0ELi4EEvPKT_PKT0_S7_ifPKiS9_S9_iPKfiiiPfSC_PS2_PT2_iSB_SB_.kd
    .uniform_work_group_size: 1
    .uses_dynamic_stack: false
    .vgpr_count:     96
    .vgpr_spill_count: 2
    .wavefront_size: 64
  - .agpr_count:     4
    .args:
      - .actual_access:  read_only
        .address_space:  global
        .offset:         0
        .size:           8
        .value_kind:     global_buffer
      - .actual_access:  read_only
        .address_space:  global
        .offset:         8
        .size:           8
        .value_kind:     global_buffer
      - .actual_access:  read_only
        .address_space:  global
        .offset:         16
        .size:           8
        .value_kind:     global_buffer
      - .offset:         24
        .size:           4
        .value_kind:     by_value
      - .offset:         28
        .size:           4
        .value_kind:     by_value
      - .actual_access:  read_only
        .address_space:  global
        .offset:         32
        .size:           8
        .value_kind:     global_buffer
      - .actual_access:  read_only
        .address_space:  global
        .offset:         40
        .size:           8
        .value_kind:     global_buffer
      - .actual_access:  read_only
        .address_space:  global
        .offset:         48
        .size:           8
        .value_kind:     global_buffer
      - .offset:         56
        .size:           4
        .value_kind:     by_value
      - .actual_access:  read_only
        .address_space:  global
        .offset:         64
        .size:           8
        .value_kind:     global_buffer
      - .offset:         72
        .size:           4
        .value_kind:     by_value
      - .offset:         76
        .size:           4
        .value_kind:     by_value
      - .offset:         80
        .size:           4
        .value_kind:     by_value
      - .actual_access:  write_only
        .address_space:  global
        .offset:         88
        .size:           8
        .value_kind:     global_buffer
      - .actual_access:  write_only
        .address_space:  global
        .offset:         96
        .size:           8
        .value_kind:     global_buffer
      - .actual_access:  write_only
        .address_space:  global
        .offset:         104
        .size:           8
        .value_kind:     global_buffer
      - .actual_access:  read_only
        .address_space:  global
        .offset:         112
        .size:           8
        .value_kind:     global_buffer
      - .offset:         120
        .size:           4
        .value_kind:     by_value
      - .address_space:  global
        .offset:         128
        .size:           8
        .value_kind:     global_buffer
      - .address_space:  global
        .offset:         136
        .size:           8
        .value_kind:     global_buffer
      - .offset:         144
        .size:           4
        .value_kind:     hidden_block_count_x
      - .offset:         148
        .size:           4
        .value_kind:     hidden_block_count_y
      - .offset:         152
        .size:           4
        .value_kind:     hidden_block_count_z
      - .offset:         156
        .size:           2
        .value_kind:     hidden_group_size_x
      - .offset:         158
        .size:           2
        .value_kind:     hidden_group_size_y
      - .offset:         160
        .size:           2
        .value_kind:     hidden_group_size_z
      - .offset:         162
        .size:           2
        .value_kind:     hidden_remainder_x
      - .offset:         164
        .size:           2
        .value_kind:     hidden_remainder_y
      - .offset:         166
        .size:           2
        .value_kind:     hidden_remainder_z
      - .offset:         184
        .size:           8
        .value_kind:     hidden_global_offset_x
      - .offset:         192
        .size:           8
        .value_kind:     hidden_global_offset_y
      - .offset:         200
        .size:           8
        .value_kind:     hidden_global_offset_z
      - .offset:         208
        .size:           2
        .value_kind:     hidden_grid_dims
    .group_segment_fixed_size: 2720
    .kernarg_segment_align: 8
    .kernarg_segment_size: 400
    .language:       OpenCL C
    .language_version:
      - 2
      - 0
    .max_flat_workgroup_size: 256
    .name:           _Z38paged_attention_ll4mi_QKV_mfma4_kernelI14__hip_bfloat16S0_LN4vllm18Fp8KVCacheDataTypeE0EhLi16ELi64ELi256ELb1ELi1EEvPKT_PKT0_S8_ifPKiSA_SA_iPKfiiiPfSD_PS3_PT2_iSC_SC_
    .private_segment_fixed_size: 0
    .sgpr_count:     44
    .sgpr_spill_count: 0
    .symbol:         _Z38paged_attention_ll4mi_QKV_mfma4_kernelI14__hip_bfloat16S0_LN4vllm18Fp8KVCacheDataTypeE0EhLi16ELi64ELi256ELb1ELi1EEvPKT_PKT0_S8_ifPKiSA_SA_iPKfiiiPfSD_PS3_PT2_iSC_SC_.kd
    .uniform_work_group_size: 1
    .uses_dynamic_stack: false
    .vgpr_count:     72
    .vgpr_spill_count: 0
    .wavefront_size: 64
  - .agpr_count:     4
    .args:
      - .actual_access:  read_only
        .address_space:  global
        .offset:         0
        .size:           8
        .value_kind:     global_buffer
      - .actual_access:  read_only
        .address_space:  global
        .offset:         8
        .size:           8
        .value_kind:     global_buffer
      - .actual_access:  read_only
        .address_space:  global
        .offset:         16
        .size:           8
        .value_kind:     global_buffer
      - .offset:         24
        .size:           4
        .value_kind:     by_value
      - .offset:         28
        .size:           4
        .value_kind:     by_value
      - .actual_access:  read_only
        .address_space:  global
        .offset:         32
        .size:           8
        .value_kind:     global_buffer
      - .actual_access:  read_only
        .address_space:  global
        .offset:         40
        .size:           8
        .value_kind:     global_buffer
      - .actual_access:  read_only
        .address_space:  global
        .offset:         48
        .size:           8
        .value_kind:     global_buffer
      - .offset:         56
        .size:           4
        .value_kind:     by_value
      - .actual_access:  read_only
        .address_space:  global
        .offset:         64
        .size:           8
        .value_kind:     global_buffer
      - .offset:         72
        .size:           4
        .value_kind:     by_value
      - .offset:         76
        .size:           4
        .value_kind:     by_value
      - .offset:         80
        .size:           4
        .value_kind:     by_value
      - .actual_access:  write_only
        .address_space:  global
        .offset:         88
        .size:           8
        .value_kind:     global_buffer
      - .actual_access:  write_only
        .address_space:  global
        .offset:         96
        .size:           8
        .value_kind:     global_buffer
      - .actual_access:  write_only
        .address_space:  global
        .offset:         104
        .size:           8
        .value_kind:     global_buffer
      - .actual_access:  read_only
        .address_space:  global
        .offset:         112
        .size:           8
        .value_kind:     global_buffer
      - .offset:         120
        .size:           4
        .value_kind:     by_value
      - .address_space:  global
        .offset:         128
        .size:           8
        .value_kind:     global_buffer
      - .address_space:  global
        .offset:         136
        .size:           8
        .value_kind:     global_buffer
      - .offset:         144
        .size:           4
        .value_kind:     hidden_block_count_x
      - .offset:         148
        .size:           4
        .value_kind:     hidden_block_count_y
      - .offset:         152
        .size:           4
        .value_kind:     hidden_block_count_z
      - .offset:         156
        .size:           2
        .value_kind:     hidden_group_size_x
      - .offset:         158
        .size:           2
        .value_kind:     hidden_group_size_y
      - .offset:         160
        .size:           2
        .value_kind:     hidden_group_size_z
      - .offset:         162
        .size:           2
        .value_kind:     hidden_remainder_x
      - .offset:         164
        .size:           2
        .value_kind:     hidden_remainder_y
      - .offset:         166
        .size:           2
        .value_kind:     hidden_remainder_z
      - .offset:         184
        .size:           8
        .value_kind:     hidden_global_offset_x
      - .offset:         192
        .size:           8
        .value_kind:     hidden_global_offset_y
      - .offset:         200
        .size:           8
        .value_kind:     hidden_global_offset_z
      - .offset:         208
        .size:           2
        .value_kind:     hidden_grid_dims
    .group_segment_fixed_size: 2720
    .kernarg_segment_align: 8
    .kernarg_segment_size: 400
    .language:       OpenCL C
    .language_version:
      - 2
      - 0
    .max_flat_workgroup_size: 256
    .name:           _Z38paged_attention_ll4mi_QKV_mfma4_kernelI14__hip_bfloat16S0_LN4vllm18Fp8KVCacheDataTypeE0EhLi16ELi64ELi256ELb1ELi2EEvPKT_PKT0_S8_ifPKiSA_SA_iPKfiiiPfSD_PS3_PT2_iSC_SC_
    .private_segment_fixed_size: 0
    .sgpr_count:     46
    .sgpr_spill_count: 0
    .symbol:         _Z38paged_attention_ll4mi_QKV_mfma4_kernelI14__hip_bfloat16S0_LN4vllm18Fp8KVCacheDataTypeE0EhLi16ELi64ELi256ELb1ELi2EEvPKT_PKT0_S8_ifPKiSA_SA_iPKfiiiPfSD_PS3_PT2_iSC_SC_.kd
    .uniform_work_group_size: 1
    .uses_dynamic_stack: false
    .vgpr_count:     72
    .vgpr_spill_count: 0
    .wavefront_size: 64
  - .agpr_count:     4
    .args:
      - .actual_access:  read_only
        .address_space:  global
        .offset:         0
        .size:           8
        .value_kind:     global_buffer
      - .actual_access:  read_only
        .address_space:  global
        .offset:         8
        .size:           8
        .value_kind:     global_buffer
      - .actual_access:  read_only
        .address_space:  global
        .offset:         16
        .size:           8
        .value_kind:     global_buffer
      - .offset:         24
        .size:           4
        .value_kind:     by_value
      - .offset:         28
        .size:           4
        .value_kind:     by_value
      - .actual_access:  read_only
        .address_space:  global
        .offset:         32
        .size:           8
        .value_kind:     global_buffer
      - .actual_access:  read_only
        .address_space:  global
        .offset:         40
        .size:           8
        .value_kind:     global_buffer
      - .actual_access:  read_only
        .address_space:  global
        .offset:         48
        .size:           8
        .value_kind:     global_buffer
      - .offset:         56
        .size:           4
        .value_kind:     by_value
      - .actual_access:  read_only
        .address_space:  global
        .offset:         64
        .size:           8
        .value_kind:     global_buffer
      - .offset:         72
        .size:           4
        .value_kind:     by_value
      - .offset:         76
        .size:           4
        .value_kind:     by_value
      - .offset:         80
        .size:           4
        .value_kind:     by_value
      - .actual_access:  write_only
        .address_space:  global
        .offset:         88
        .size:           8
        .value_kind:     global_buffer
      - .actual_access:  write_only
        .address_space:  global
        .offset:         96
        .size:           8
        .value_kind:     global_buffer
      - .actual_access:  write_only
        .address_space:  global
        .offset:         104
        .size:           8
        .value_kind:     global_buffer
      - .actual_access:  read_only
        .address_space:  global
        .offset:         112
        .size:           8
        .value_kind:     global_buffer
      - .offset:         120
        .size:           4
        .value_kind:     by_value
      - .address_space:  global
        .offset:         128
        .size:           8
        .value_kind:     global_buffer
      - .address_space:  global
        .offset:         136
        .size:           8
        .value_kind:     global_buffer
      - .offset:         144
        .size:           4
        .value_kind:     hidden_block_count_x
      - .offset:         148
        .size:           4
        .value_kind:     hidden_block_count_y
      - .offset:         152
        .size:           4
        .value_kind:     hidden_block_count_z
      - .offset:         156
        .size:           2
        .value_kind:     hidden_group_size_x
      - .offset:         158
        .size:           2
        .value_kind:     hidden_group_size_y
      - .offset:         160
        .size:           2
        .value_kind:     hidden_group_size_z
      - .offset:         162
        .size:           2
        .value_kind:     hidden_remainder_x
      - .offset:         164
        .size:           2
        .value_kind:     hidden_remainder_y
      - .offset:         166
        .size:           2
        .value_kind:     hidden_remainder_z
      - .offset:         184
        .size:           8
        .value_kind:     hidden_global_offset_x
      - .offset:         192
        .size:           8
        .value_kind:     hidden_global_offset_y
      - .offset:         200
        .size:           8
        .value_kind:     hidden_global_offset_z
      - .offset:         208
        .size:           2
        .value_kind:     hidden_grid_dims
    .group_segment_fixed_size: 2720
    .kernarg_segment_align: 8
    .kernarg_segment_size: 400
    .language:       OpenCL C
    .language_version:
      - 2
      - 0
    .max_flat_workgroup_size: 256
    .name:           _Z38paged_attention_ll4mi_QKV_mfma4_kernelI14__hip_bfloat16S0_LN4vllm18Fp8KVCacheDataTypeE0EhLi16ELi64ELi256ELb1ELi3EEvPKT_PKT0_S8_ifPKiSA_SA_iPKfiiiPfSD_PS3_PT2_iSC_SC_
    .private_segment_fixed_size: 0
    .sgpr_count:     46
    .sgpr_spill_count: 0
    .symbol:         _Z38paged_attention_ll4mi_QKV_mfma4_kernelI14__hip_bfloat16S0_LN4vllm18Fp8KVCacheDataTypeE0EhLi16ELi64ELi256ELb1ELi3EEvPKT_PKT0_S8_ifPKiSA_SA_iPKfiiiPfSD_PS3_PT2_iSC_SC_.kd
    .uniform_work_group_size: 1
    .uses_dynamic_stack: false
    .vgpr_count:     72
    .vgpr_spill_count: 0
    .wavefront_size: 64
  - .agpr_count:     4
    .args:
      - .actual_access:  read_only
        .address_space:  global
        .offset:         0
        .size:           8
        .value_kind:     global_buffer
      - .actual_access:  read_only
        .address_space:  global
        .offset:         8
        .size:           8
        .value_kind:     global_buffer
      - .actual_access:  read_only
        .address_space:  global
        .offset:         16
        .size:           8
        .value_kind:     global_buffer
      - .offset:         24
        .size:           4
        .value_kind:     by_value
      - .offset:         28
        .size:           4
        .value_kind:     by_value
      - .actual_access:  read_only
        .address_space:  global
        .offset:         32
        .size:           8
        .value_kind:     global_buffer
      - .actual_access:  read_only
        .address_space:  global
        .offset:         40
        .size:           8
        .value_kind:     global_buffer
      - .actual_access:  read_only
        .address_space:  global
        .offset:         48
        .size:           8
        .value_kind:     global_buffer
      - .offset:         56
        .size:           4
        .value_kind:     by_value
      - .actual_access:  read_only
        .address_space:  global
        .offset:         64
        .size:           8
        .value_kind:     global_buffer
      - .offset:         72
        .size:           4
        .value_kind:     by_value
      - .offset:         76
        .size:           4
        .value_kind:     by_value
      - .offset:         80
        .size:           4
        .value_kind:     by_value
      - .actual_access:  write_only
        .address_space:  global
        .offset:         88
        .size:           8
        .value_kind:     global_buffer
      - .actual_access:  write_only
        .address_space:  global
        .offset:         96
        .size:           8
        .value_kind:     global_buffer
      - .actual_access:  write_only
        .address_space:  global
        .offset:         104
        .size:           8
        .value_kind:     global_buffer
      - .actual_access:  read_only
        .address_space:  global
        .offset:         112
        .size:           8
        .value_kind:     global_buffer
      - .offset:         120
        .size:           4
        .value_kind:     by_value
      - .address_space:  global
        .offset:         128
        .size:           8
        .value_kind:     global_buffer
      - .address_space:  global
        .offset:         136
        .size:           8
        .value_kind:     global_buffer
      - .offset:         144
        .size:           4
        .value_kind:     hidden_block_count_x
      - .offset:         148
        .size:           4
        .value_kind:     hidden_block_count_y
      - .offset:         152
        .size:           4
        .value_kind:     hidden_block_count_z
      - .offset:         156
        .size:           2
        .value_kind:     hidden_group_size_x
      - .offset:         158
        .size:           2
        .value_kind:     hidden_group_size_y
      - .offset:         160
        .size:           2
        .value_kind:     hidden_group_size_z
      - .offset:         162
        .size:           2
        .value_kind:     hidden_remainder_x
      - .offset:         164
        .size:           2
        .value_kind:     hidden_remainder_y
      - .offset:         166
        .size:           2
        .value_kind:     hidden_remainder_z
      - .offset:         184
        .size:           8
        .value_kind:     hidden_global_offset_x
      - .offset:         192
        .size:           8
        .value_kind:     hidden_global_offset_y
      - .offset:         200
        .size:           8
        .value_kind:     hidden_global_offset_z
      - .offset:         208
        .size:           2
        .value_kind:     hidden_grid_dims
    .group_segment_fixed_size: 2720
    .kernarg_segment_align: 8
    .kernarg_segment_size: 400
    .language:       OpenCL C
    .language_version:
      - 2
      - 0
    .max_flat_workgroup_size: 256
    .name:           _Z38paged_attention_ll4mi_QKV_mfma4_kernelI14__hip_bfloat16S0_LN4vllm18Fp8KVCacheDataTypeE0EhLi16ELi64ELi256ELb1ELi4EEvPKT_PKT0_S8_ifPKiSA_SA_iPKfiiiPfSD_PS3_PT2_iSC_SC_
    .private_segment_fixed_size: 0
    .sgpr_count:     47
    .sgpr_spill_count: 0
    .symbol:         _Z38paged_attention_ll4mi_QKV_mfma4_kernelI14__hip_bfloat16S0_LN4vllm18Fp8KVCacheDataTypeE0EhLi16ELi64ELi256ELb1ELi4EEvPKT_PKT0_S8_ifPKiSA_SA_iPKfiiiPfSD_PS3_PT2_iSC_SC_.kd
    .uniform_work_group_size: 1
    .uses_dynamic_stack: false
    .vgpr_count:     76
    .vgpr_spill_count: 0
    .wavefront_size: 64
  - .agpr_count:     0
    .args:
      - .actual_access:  read_only
        .address_space:  global
        .offset:         0
        .size:           8
        .value_kind:     global_buffer
      - .actual_access:  read_only
        .address_space:  global
        .offset:         8
        .size:           8
        .value_kind:     global_buffer
      - .actual_access:  read_only
        .address_space:  global
        .offset:         16
        .size:           8
        .value_kind:     global_buffer
      - .offset:         24
        .size:           4
        .value_kind:     by_value
      - .offset:         28
        .size:           4
        .value_kind:     by_value
      - .actual_access:  read_only
        .address_space:  global
        .offset:         32
        .size:           8
        .value_kind:     global_buffer
      - .actual_access:  read_only
        .address_space:  global
        .offset:         40
        .size:           8
        .value_kind:     global_buffer
      - .actual_access:  read_only
        .address_space:  global
        .offset:         48
        .size:           8
        .value_kind:     global_buffer
      - .offset:         56
        .size:           4
        .value_kind:     by_value
      - .actual_access:  read_only
        .address_space:  global
        .offset:         64
        .size:           8
        .value_kind:     global_buffer
      - .offset:         72
        .size:           4
        .value_kind:     by_value
      - .offset:         76
        .size:           4
        .value_kind:     by_value
      - .offset:         80
        .size:           4
        .value_kind:     by_value
      - .actual_access:  write_only
        .address_space:  global
        .offset:         88
        .size:           8
        .value_kind:     global_buffer
      - .actual_access:  write_only
        .address_space:  global
        .offset:         96
        .size:           8
        .value_kind:     global_buffer
      - .actual_access:  write_only
        .address_space:  global
        .offset:         104
        .size:           8
        .value_kind:     global_buffer
      - .actual_access:  read_only
        .address_space:  global
        .offset:         112
        .size:           8
        .value_kind:     global_buffer
      - .offset:         120
        .size:           4
        .value_kind:     by_value
      - .address_space:  global
        .offset:         128
        .size:           8
        .value_kind:     global_buffer
      - .address_space:  global
        .offset:         136
        .size:           8
        .value_kind:     global_buffer
      - .offset:         144
        .size:           4
        .value_kind:     hidden_block_count_x
      - .offset:         148
        .size:           4
        .value_kind:     hidden_block_count_y
      - .offset:         152
        .size:           4
        .value_kind:     hidden_block_count_z
      - .offset:         156
        .size:           2
        .value_kind:     hidden_group_size_x
      - .offset:         158
        .size:           2
        .value_kind:     hidden_group_size_y
      - .offset:         160
        .size:           2
        .value_kind:     hidden_group_size_z
      - .offset:         162
        .size:           2
        .value_kind:     hidden_remainder_x
      - .offset:         164
        .size:           2
        .value_kind:     hidden_remainder_y
      - .offset:         166
        .size:           2
        .value_kind:     hidden_remainder_z
      - .offset:         184
        .size:           8
        .value_kind:     hidden_global_offset_x
      - .offset:         192
        .size:           8
        .value_kind:     hidden_global_offset_y
      - .offset:         200
        .size:           8
        .value_kind:     hidden_global_offset_z
      - .offset:         208
        .size:           2
        .value_kind:     hidden_grid_dims
    .group_segment_fixed_size: 8192
    .kernarg_segment_align: 8
    .kernarg_segment_size: 400
    .language:       OpenCL C
    .language_version:
      - 2
      - 0
    .max_flat_workgroup_size: 256
    .name:           _Z39paged_attention_ll4mi_QKV_mfma16_kernelI14__hip_bfloat16S0_LN4vllm18Fp8KVCacheDataTypeE0EhLi16ELi64ELi256ELb1ELi5EEvPKT_PKT0_S8_ifPKiSA_SA_iPKfiiiPfSD_PS3_PT2_iSC_SC_
    .private_segment_fixed_size: 0
    .sgpr_count:     54
    .sgpr_spill_count: 0
    .symbol:         _Z39paged_attention_ll4mi_QKV_mfma16_kernelI14__hip_bfloat16S0_LN4vllm18Fp8KVCacheDataTypeE0EhLi16ELi64ELi256ELb1ELi5EEvPKT_PKT0_S8_ifPKiSA_SA_iPKfiiiPfSD_PS3_PT2_iSC_SC_.kd
    .uniform_work_group_size: 1
    .uses_dynamic_stack: false
    .vgpr_count:     72
    .vgpr_spill_count: 0
    .wavefront_size: 64
  - .agpr_count:     0
    .args:
      - .actual_access:  read_only
        .address_space:  global
        .offset:         0
        .size:           8
        .value_kind:     global_buffer
      - .actual_access:  read_only
        .address_space:  global
        .offset:         8
        .size:           8
        .value_kind:     global_buffer
      - .actual_access:  read_only
        .address_space:  global
        .offset:         16
        .size:           8
        .value_kind:     global_buffer
      - .offset:         24
        .size:           4
        .value_kind:     by_value
      - .offset:         28
        .size:           4
        .value_kind:     by_value
      - .actual_access:  read_only
        .address_space:  global
        .offset:         32
        .size:           8
        .value_kind:     global_buffer
      - .actual_access:  read_only
        .address_space:  global
        .offset:         40
        .size:           8
        .value_kind:     global_buffer
      - .actual_access:  read_only
        .address_space:  global
        .offset:         48
        .size:           8
        .value_kind:     global_buffer
      - .offset:         56
        .size:           4
        .value_kind:     by_value
      - .actual_access:  read_only
        .address_space:  global
        .offset:         64
        .size:           8
        .value_kind:     global_buffer
      - .offset:         72
        .size:           4
        .value_kind:     by_value
      - .offset:         76
        .size:           4
        .value_kind:     by_value
      - .offset:         80
        .size:           4
        .value_kind:     by_value
      - .actual_access:  write_only
        .address_space:  global
        .offset:         88
        .size:           8
        .value_kind:     global_buffer
      - .actual_access:  write_only
        .address_space:  global
        .offset:         96
        .size:           8
        .value_kind:     global_buffer
      - .actual_access:  write_only
        .address_space:  global
        .offset:         104
        .size:           8
        .value_kind:     global_buffer
      - .actual_access:  read_only
        .address_space:  global
        .offset:         112
        .size:           8
        .value_kind:     global_buffer
      - .offset:         120
        .size:           4
        .value_kind:     by_value
      - .address_space:  global
        .offset:         128
        .size:           8
        .value_kind:     global_buffer
      - .address_space:  global
        .offset:         136
        .size:           8
        .value_kind:     global_buffer
      - .offset:         144
        .size:           4
        .value_kind:     hidden_block_count_x
      - .offset:         148
        .size:           4
        .value_kind:     hidden_block_count_y
      - .offset:         152
        .size:           4
        .value_kind:     hidden_block_count_z
      - .offset:         156
        .size:           2
        .value_kind:     hidden_group_size_x
      - .offset:         158
        .size:           2
        .value_kind:     hidden_group_size_y
      - .offset:         160
        .size:           2
        .value_kind:     hidden_group_size_z
      - .offset:         162
        .size:           2
        .value_kind:     hidden_remainder_x
      - .offset:         164
        .size:           2
        .value_kind:     hidden_remainder_y
      - .offset:         166
        .size:           2
        .value_kind:     hidden_remainder_z
      - .offset:         184
        .size:           8
        .value_kind:     hidden_global_offset_x
      - .offset:         192
        .size:           8
        .value_kind:     hidden_global_offset_y
      - .offset:         200
        .size:           8
        .value_kind:     hidden_global_offset_z
      - .offset:         208
        .size:           2
        .value_kind:     hidden_grid_dims
    .group_segment_fixed_size: 8192
    .kernarg_segment_align: 8
    .kernarg_segment_size: 400
    .language:       OpenCL C
    .language_version:
      - 2
      - 0
    .max_flat_workgroup_size: 256
    .name:           _Z39paged_attention_ll4mi_QKV_mfma16_kernelI14__hip_bfloat16S0_LN4vllm18Fp8KVCacheDataTypeE0EhLi16ELi64ELi256ELb1ELi6EEvPKT_PKT0_S8_ifPKiSA_SA_iPKfiiiPfSD_PS3_PT2_iSC_SC_
    .private_segment_fixed_size: 0
    .sgpr_count:     54
    .sgpr_spill_count: 0
    .symbol:         _Z39paged_attention_ll4mi_QKV_mfma16_kernelI14__hip_bfloat16S0_LN4vllm18Fp8KVCacheDataTypeE0EhLi16ELi64ELi256ELb1ELi6EEvPKT_PKT0_S8_ifPKiSA_SA_iPKfiiiPfSD_PS3_PT2_iSC_SC_.kd
    .uniform_work_group_size: 1
    .uses_dynamic_stack: false
    .vgpr_count:     72
    .vgpr_spill_count: 0
    .wavefront_size: 64
  - .agpr_count:     0
    .args:
      - .actual_access:  read_only
        .address_space:  global
        .offset:         0
        .size:           8
        .value_kind:     global_buffer
      - .actual_access:  read_only
        .address_space:  global
        .offset:         8
        .size:           8
        .value_kind:     global_buffer
      - .actual_access:  read_only
        .address_space:  global
        .offset:         16
        .size:           8
        .value_kind:     global_buffer
      - .offset:         24
        .size:           4
        .value_kind:     by_value
      - .offset:         28
        .size:           4
        .value_kind:     by_value
      - .actual_access:  read_only
        .address_space:  global
        .offset:         32
        .size:           8
        .value_kind:     global_buffer
      - .actual_access:  read_only
        .address_space:  global
        .offset:         40
        .size:           8
        .value_kind:     global_buffer
      - .actual_access:  read_only
        .address_space:  global
        .offset:         48
        .size:           8
        .value_kind:     global_buffer
      - .offset:         56
        .size:           4
        .value_kind:     by_value
      - .actual_access:  read_only
        .address_space:  global
        .offset:         64
        .size:           8
        .value_kind:     global_buffer
      - .offset:         72
        .size:           4
        .value_kind:     by_value
      - .offset:         76
        .size:           4
        .value_kind:     by_value
      - .offset:         80
        .size:           4
        .value_kind:     by_value
      - .actual_access:  write_only
        .address_space:  global
        .offset:         88
        .size:           8
        .value_kind:     global_buffer
      - .actual_access:  write_only
        .address_space:  global
        .offset:         96
        .size:           8
        .value_kind:     global_buffer
      - .actual_access:  write_only
        .address_space:  global
        .offset:         104
        .size:           8
        .value_kind:     global_buffer
      - .actual_access:  read_only
        .address_space:  global
        .offset:         112
        .size:           8
        .value_kind:     global_buffer
      - .offset:         120
        .size:           4
        .value_kind:     by_value
      - .address_space:  global
        .offset:         128
        .size:           8
        .value_kind:     global_buffer
      - .address_space:  global
        .offset:         136
        .size:           8
        .value_kind:     global_buffer
      - .offset:         144
        .size:           4
        .value_kind:     hidden_block_count_x
      - .offset:         148
        .size:           4
        .value_kind:     hidden_block_count_y
      - .offset:         152
        .size:           4
        .value_kind:     hidden_block_count_z
      - .offset:         156
        .size:           2
        .value_kind:     hidden_group_size_x
      - .offset:         158
        .size:           2
        .value_kind:     hidden_group_size_y
      - .offset:         160
        .size:           2
        .value_kind:     hidden_group_size_z
      - .offset:         162
        .size:           2
        .value_kind:     hidden_remainder_x
      - .offset:         164
        .size:           2
        .value_kind:     hidden_remainder_y
      - .offset:         166
        .size:           2
        .value_kind:     hidden_remainder_z
      - .offset:         184
        .size:           8
        .value_kind:     hidden_global_offset_x
      - .offset:         192
        .size:           8
        .value_kind:     hidden_global_offset_y
      - .offset:         200
        .size:           8
        .value_kind:     hidden_global_offset_z
      - .offset:         208
        .size:           2
        .value_kind:     hidden_grid_dims
    .group_segment_fixed_size: 8192
    .kernarg_segment_align: 8
    .kernarg_segment_size: 400
    .language:       OpenCL C
    .language_version:
      - 2
      - 0
    .max_flat_workgroup_size: 256
    .name:           _Z39paged_attention_ll4mi_QKV_mfma16_kernelI14__hip_bfloat16S0_LN4vllm18Fp8KVCacheDataTypeE0EhLi16ELi64ELi256ELb1ELi7EEvPKT_PKT0_S8_ifPKiSA_SA_iPKfiiiPfSD_PS3_PT2_iSC_SC_
    .private_segment_fixed_size: 0
    .sgpr_count:     54
    .sgpr_spill_count: 0
    .symbol:         _Z39paged_attention_ll4mi_QKV_mfma16_kernelI14__hip_bfloat16S0_LN4vllm18Fp8KVCacheDataTypeE0EhLi16ELi64ELi256ELb1ELi7EEvPKT_PKT0_S8_ifPKiSA_SA_iPKfiiiPfSD_PS3_PT2_iSC_SC_.kd
    .uniform_work_group_size: 1
    .uses_dynamic_stack: false
    .vgpr_count:     72
    .vgpr_spill_count: 0
    .wavefront_size: 64
  - .agpr_count:     0
    .args:
      - .actual_access:  read_only
        .address_space:  global
        .offset:         0
        .size:           8
        .value_kind:     global_buffer
      - .actual_access:  read_only
        .address_space:  global
        .offset:         8
        .size:           8
        .value_kind:     global_buffer
      - .actual_access:  read_only
        .address_space:  global
        .offset:         16
        .size:           8
        .value_kind:     global_buffer
      - .offset:         24
        .size:           4
        .value_kind:     by_value
      - .offset:         28
        .size:           4
        .value_kind:     by_value
      - .actual_access:  read_only
        .address_space:  global
        .offset:         32
        .size:           8
        .value_kind:     global_buffer
      - .actual_access:  read_only
        .address_space:  global
        .offset:         40
        .size:           8
        .value_kind:     global_buffer
      - .actual_access:  read_only
        .address_space:  global
        .offset:         48
        .size:           8
        .value_kind:     global_buffer
      - .offset:         56
        .size:           4
        .value_kind:     by_value
      - .actual_access:  read_only
        .address_space:  global
        .offset:         64
        .size:           8
        .value_kind:     global_buffer
      - .offset:         72
        .size:           4
        .value_kind:     by_value
      - .offset:         76
        .size:           4
        .value_kind:     by_value
      - .offset:         80
        .size:           4
        .value_kind:     by_value
      - .actual_access:  write_only
        .address_space:  global
        .offset:         88
        .size:           8
        .value_kind:     global_buffer
      - .actual_access:  write_only
        .address_space:  global
        .offset:         96
        .size:           8
        .value_kind:     global_buffer
      - .actual_access:  write_only
        .address_space:  global
        .offset:         104
        .size:           8
        .value_kind:     global_buffer
      - .actual_access:  read_only
        .address_space:  global
        .offset:         112
        .size:           8
        .value_kind:     global_buffer
      - .offset:         120
        .size:           4
        .value_kind:     by_value
      - .address_space:  global
        .offset:         128
        .size:           8
        .value_kind:     global_buffer
      - .address_space:  global
        .offset:         136
        .size:           8
        .value_kind:     global_buffer
      - .offset:         144
        .size:           4
        .value_kind:     hidden_block_count_x
      - .offset:         148
        .size:           4
        .value_kind:     hidden_block_count_y
      - .offset:         152
        .size:           4
        .value_kind:     hidden_block_count_z
      - .offset:         156
        .size:           2
        .value_kind:     hidden_group_size_x
      - .offset:         158
        .size:           2
        .value_kind:     hidden_group_size_y
      - .offset:         160
        .size:           2
        .value_kind:     hidden_group_size_z
      - .offset:         162
        .size:           2
        .value_kind:     hidden_remainder_x
      - .offset:         164
        .size:           2
        .value_kind:     hidden_remainder_y
      - .offset:         166
        .size:           2
        .value_kind:     hidden_remainder_z
      - .offset:         184
        .size:           8
        .value_kind:     hidden_global_offset_x
      - .offset:         192
        .size:           8
        .value_kind:     hidden_global_offset_y
      - .offset:         200
        .size:           8
        .value_kind:     hidden_global_offset_z
      - .offset:         208
        .size:           2
        .value_kind:     hidden_grid_dims
    .group_segment_fixed_size: 8192
    .kernarg_segment_align: 8
    .kernarg_segment_size: 400
    .language:       OpenCL C
    .language_version:
      - 2
      - 0
    .max_flat_workgroup_size: 256
    .name:           _Z39paged_attention_ll4mi_QKV_mfma16_kernelI14__hip_bfloat16S0_LN4vllm18Fp8KVCacheDataTypeE0EhLi16ELi64ELi256ELb1ELi8EEvPKT_PKT0_S8_ifPKiSA_SA_iPKfiiiPfSD_PS3_PT2_iSC_SC_
    .private_segment_fixed_size: 0
    .sgpr_count:     54
    .sgpr_spill_count: 0
    .symbol:         _Z39paged_attention_ll4mi_QKV_mfma16_kernelI14__hip_bfloat16S0_LN4vllm18Fp8KVCacheDataTypeE0EhLi16ELi64ELi256ELb1ELi8EEvPKT_PKT0_S8_ifPKiSA_SA_iPKfiiiPfSD_PS3_PT2_iSC_SC_.kd
    .uniform_work_group_size: 1
    .uses_dynamic_stack: false
    .vgpr_count:     72
    .vgpr_spill_count: 0
    .wavefront_size: 64
  - .agpr_count:     0
    .args:
      - .actual_access:  read_only
        .address_space:  global
        .offset:         0
        .size:           8
        .value_kind:     global_buffer
      - .actual_access:  read_only
        .address_space:  global
        .offset:         8
        .size:           8
        .value_kind:     global_buffer
      - .actual_access:  read_only
        .address_space:  global
        .offset:         16
        .size:           8
        .value_kind:     global_buffer
      - .offset:         24
        .size:           4
        .value_kind:     by_value
      - .offset:         28
        .size:           4
        .value_kind:     by_value
      - .actual_access:  read_only
        .address_space:  global
        .offset:         32
        .size:           8
        .value_kind:     global_buffer
      - .actual_access:  read_only
        .address_space:  global
        .offset:         40
        .size:           8
        .value_kind:     global_buffer
      - .actual_access:  read_only
        .address_space:  global
        .offset:         48
        .size:           8
        .value_kind:     global_buffer
      - .offset:         56
        .size:           4
        .value_kind:     by_value
      - .actual_access:  read_only
        .address_space:  global
        .offset:         64
        .size:           8
        .value_kind:     global_buffer
      - .offset:         72
        .size:           4
        .value_kind:     by_value
      - .offset:         76
        .size:           4
        .value_kind:     by_value
      - .offset:         80
        .size:           4
        .value_kind:     by_value
      - .actual_access:  write_only
        .address_space:  global
        .offset:         88
        .size:           8
        .value_kind:     global_buffer
      - .actual_access:  write_only
        .address_space:  global
        .offset:         96
        .size:           8
        .value_kind:     global_buffer
      - .actual_access:  write_only
        .address_space:  global
        .offset:         104
        .size:           8
        .value_kind:     global_buffer
      - .actual_access:  read_only
        .address_space:  global
        .offset:         112
        .size:           8
        .value_kind:     global_buffer
      - .offset:         120
        .size:           4
        .value_kind:     by_value
      - .address_space:  global
        .offset:         128
        .size:           8
        .value_kind:     global_buffer
      - .address_space:  global
        .offset:         136
        .size:           8
        .value_kind:     global_buffer
      - .offset:         144
        .size:           4
        .value_kind:     hidden_block_count_x
      - .offset:         148
        .size:           4
        .value_kind:     hidden_block_count_y
      - .offset:         152
        .size:           4
        .value_kind:     hidden_block_count_z
      - .offset:         156
        .size:           2
        .value_kind:     hidden_group_size_x
      - .offset:         158
        .size:           2
        .value_kind:     hidden_group_size_y
      - .offset:         160
        .size:           2
        .value_kind:     hidden_group_size_z
      - .offset:         162
        .size:           2
        .value_kind:     hidden_remainder_x
      - .offset:         164
        .size:           2
        .value_kind:     hidden_remainder_y
      - .offset:         166
        .size:           2
        .value_kind:     hidden_remainder_z
      - .offset:         184
        .size:           8
        .value_kind:     hidden_global_offset_x
      - .offset:         192
        .size:           8
        .value_kind:     hidden_global_offset_y
      - .offset:         200
        .size:           8
        .value_kind:     hidden_global_offset_z
      - .offset:         208
        .size:           2
        .value_kind:     hidden_grid_dims
    .group_segment_fixed_size: 8192
    .kernarg_segment_align: 8
    .kernarg_segment_size: 400
    .language:       OpenCL C
    .language_version:
      - 2
      - 0
    .max_flat_workgroup_size: 256
    .name:           _Z39paged_attention_ll4mi_QKV_mfma16_kernelI14__hip_bfloat16S0_LN4vllm18Fp8KVCacheDataTypeE0EhLi16ELi64ELi256ELb1ELi9EEvPKT_PKT0_S8_ifPKiSA_SA_iPKfiiiPfSD_PS3_PT2_iSC_SC_
    .private_segment_fixed_size: 0
    .sgpr_count:     54
    .sgpr_spill_count: 0
    .symbol:         _Z39paged_attention_ll4mi_QKV_mfma16_kernelI14__hip_bfloat16S0_LN4vllm18Fp8KVCacheDataTypeE0EhLi16ELi64ELi256ELb1ELi9EEvPKT_PKT0_S8_ifPKiSA_SA_iPKfiiiPfSD_PS3_PT2_iSC_SC_.kd
    .uniform_work_group_size: 1
    .uses_dynamic_stack: false
    .vgpr_count:     72
    .vgpr_spill_count: 0
    .wavefront_size: 64
  - .agpr_count:     0
    .args:
      - .actual_access:  read_only
        .address_space:  global
        .offset:         0
        .size:           8
        .value_kind:     global_buffer
      - .actual_access:  read_only
        .address_space:  global
        .offset:         8
        .size:           8
        .value_kind:     global_buffer
      - .actual_access:  read_only
        .address_space:  global
        .offset:         16
        .size:           8
        .value_kind:     global_buffer
      - .offset:         24
        .size:           4
        .value_kind:     by_value
      - .offset:         28
        .size:           4
        .value_kind:     by_value
      - .actual_access:  read_only
        .address_space:  global
        .offset:         32
        .size:           8
        .value_kind:     global_buffer
      - .actual_access:  read_only
        .address_space:  global
        .offset:         40
        .size:           8
        .value_kind:     global_buffer
      - .actual_access:  read_only
        .address_space:  global
        .offset:         48
        .size:           8
        .value_kind:     global_buffer
      - .offset:         56
        .size:           4
        .value_kind:     by_value
      - .actual_access:  read_only
        .address_space:  global
        .offset:         64
        .size:           8
        .value_kind:     global_buffer
      - .offset:         72
        .size:           4
        .value_kind:     by_value
      - .offset:         76
        .size:           4
        .value_kind:     by_value
      - .offset:         80
        .size:           4
        .value_kind:     by_value
      - .actual_access:  write_only
        .address_space:  global
        .offset:         88
        .size:           8
        .value_kind:     global_buffer
      - .actual_access:  write_only
        .address_space:  global
        .offset:         96
        .size:           8
        .value_kind:     global_buffer
      - .actual_access:  write_only
        .address_space:  global
        .offset:         104
        .size:           8
        .value_kind:     global_buffer
      - .actual_access:  read_only
        .address_space:  global
        .offset:         112
        .size:           8
        .value_kind:     global_buffer
      - .offset:         120
        .size:           4
        .value_kind:     by_value
      - .address_space:  global
        .offset:         128
        .size:           8
        .value_kind:     global_buffer
      - .address_space:  global
        .offset:         136
        .size:           8
        .value_kind:     global_buffer
      - .offset:         144
        .size:           4
        .value_kind:     hidden_block_count_x
      - .offset:         148
        .size:           4
        .value_kind:     hidden_block_count_y
      - .offset:         152
        .size:           4
        .value_kind:     hidden_block_count_z
      - .offset:         156
        .size:           2
        .value_kind:     hidden_group_size_x
      - .offset:         158
        .size:           2
        .value_kind:     hidden_group_size_y
      - .offset:         160
        .size:           2
        .value_kind:     hidden_group_size_z
      - .offset:         162
        .size:           2
        .value_kind:     hidden_remainder_x
      - .offset:         164
        .size:           2
        .value_kind:     hidden_remainder_y
      - .offset:         166
        .size:           2
        .value_kind:     hidden_remainder_z
      - .offset:         184
        .size:           8
        .value_kind:     hidden_global_offset_x
      - .offset:         192
        .size:           8
        .value_kind:     hidden_global_offset_y
      - .offset:         200
        .size:           8
        .value_kind:     hidden_global_offset_z
      - .offset:         208
        .size:           2
        .value_kind:     hidden_grid_dims
    .group_segment_fixed_size: 8192
    .kernarg_segment_align: 8
    .kernarg_segment_size: 400
    .language:       OpenCL C
    .language_version:
      - 2
      - 0
    .max_flat_workgroup_size: 256
    .name:           _Z39paged_attention_ll4mi_QKV_mfma16_kernelI14__hip_bfloat16S0_LN4vllm18Fp8KVCacheDataTypeE0EhLi16ELi64ELi256ELb1ELi10EEvPKT_PKT0_S8_ifPKiSA_SA_iPKfiiiPfSD_PS3_PT2_iSC_SC_
    .private_segment_fixed_size: 0
    .sgpr_count:     54
    .sgpr_spill_count: 0
    .symbol:         _Z39paged_attention_ll4mi_QKV_mfma16_kernelI14__hip_bfloat16S0_LN4vllm18Fp8KVCacheDataTypeE0EhLi16ELi64ELi256ELb1ELi10EEvPKT_PKT0_S8_ifPKiSA_SA_iPKfiiiPfSD_PS3_PT2_iSC_SC_.kd
    .uniform_work_group_size: 1
    .uses_dynamic_stack: false
    .vgpr_count:     72
    .vgpr_spill_count: 0
    .wavefront_size: 64
  - .agpr_count:     0
    .args:
      - .actual_access:  read_only
        .address_space:  global
        .offset:         0
        .size:           8
        .value_kind:     global_buffer
      - .actual_access:  read_only
        .address_space:  global
        .offset:         8
        .size:           8
        .value_kind:     global_buffer
      - .actual_access:  read_only
        .address_space:  global
        .offset:         16
        .size:           8
        .value_kind:     global_buffer
      - .offset:         24
        .size:           4
        .value_kind:     by_value
      - .offset:         28
        .size:           4
        .value_kind:     by_value
      - .actual_access:  read_only
        .address_space:  global
        .offset:         32
        .size:           8
        .value_kind:     global_buffer
      - .actual_access:  read_only
        .address_space:  global
        .offset:         40
        .size:           8
        .value_kind:     global_buffer
      - .actual_access:  read_only
        .address_space:  global
        .offset:         48
        .size:           8
        .value_kind:     global_buffer
      - .offset:         56
        .size:           4
        .value_kind:     by_value
      - .actual_access:  read_only
        .address_space:  global
        .offset:         64
        .size:           8
        .value_kind:     global_buffer
      - .offset:         72
        .size:           4
        .value_kind:     by_value
      - .offset:         76
        .size:           4
        .value_kind:     by_value
      - .offset:         80
        .size:           4
        .value_kind:     by_value
      - .actual_access:  write_only
        .address_space:  global
        .offset:         88
        .size:           8
        .value_kind:     global_buffer
      - .actual_access:  write_only
        .address_space:  global
        .offset:         96
        .size:           8
        .value_kind:     global_buffer
      - .actual_access:  write_only
        .address_space:  global
        .offset:         104
        .size:           8
        .value_kind:     global_buffer
      - .actual_access:  read_only
        .address_space:  global
        .offset:         112
        .size:           8
        .value_kind:     global_buffer
      - .offset:         120
        .size:           4
        .value_kind:     by_value
      - .address_space:  global
        .offset:         128
        .size:           8
        .value_kind:     global_buffer
      - .address_space:  global
        .offset:         136
        .size:           8
        .value_kind:     global_buffer
      - .offset:         144
        .size:           4
        .value_kind:     hidden_block_count_x
      - .offset:         148
        .size:           4
        .value_kind:     hidden_block_count_y
      - .offset:         152
        .size:           4
        .value_kind:     hidden_block_count_z
      - .offset:         156
        .size:           2
        .value_kind:     hidden_group_size_x
      - .offset:         158
        .size:           2
        .value_kind:     hidden_group_size_y
      - .offset:         160
        .size:           2
        .value_kind:     hidden_group_size_z
      - .offset:         162
        .size:           2
        .value_kind:     hidden_remainder_x
      - .offset:         164
        .size:           2
        .value_kind:     hidden_remainder_y
      - .offset:         166
        .size:           2
        .value_kind:     hidden_remainder_z
      - .offset:         184
        .size:           8
        .value_kind:     hidden_global_offset_x
      - .offset:         192
        .size:           8
        .value_kind:     hidden_global_offset_y
      - .offset:         200
        .size:           8
        .value_kind:     hidden_global_offset_z
      - .offset:         208
        .size:           2
        .value_kind:     hidden_grid_dims
    .group_segment_fixed_size: 8192
    .kernarg_segment_align: 8
    .kernarg_segment_size: 400
    .language:       OpenCL C
    .language_version:
      - 2
      - 0
    .max_flat_workgroup_size: 256
    .name:           _Z39paged_attention_ll4mi_QKV_mfma16_kernelI14__hip_bfloat16S0_LN4vllm18Fp8KVCacheDataTypeE0EhLi16ELi64ELi256ELb1ELi11EEvPKT_PKT0_S8_ifPKiSA_SA_iPKfiiiPfSD_PS3_PT2_iSC_SC_
    .private_segment_fixed_size: 0
    .sgpr_count:     54
    .sgpr_spill_count: 0
    .symbol:         _Z39paged_attention_ll4mi_QKV_mfma16_kernelI14__hip_bfloat16S0_LN4vllm18Fp8KVCacheDataTypeE0EhLi16ELi64ELi256ELb1ELi11EEvPKT_PKT0_S8_ifPKiSA_SA_iPKfiiiPfSD_PS3_PT2_iSC_SC_.kd
    .uniform_work_group_size: 1
    .uses_dynamic_stack: false
    .vgpr_count:     72
    .vgpr_spill_count: 0
    .wavefront_size: 64
  - .agpr_count:     0
    .args:
      - .actual_access:  read_only
        .address_space:  global
        .offset:         0
        .size:           8
        .value_kind:     global_buffer
      - .actual_access:  read_only
        .address_space:  global
        .offset:         8
        .size:           8
        .value_kind:     global_buffer
      - .actual_access:  read_only
        .address_space:  global
        .offset:         16
        .size:           8
        .value_kind:     global_buffer
      - .offset:         24
        .size:           4
        .value_kind:     by_value
      - .offset:         28
        .size:           4
        .value_kind:     by_value
      - .actual_access:  read_only
        .address_space:  global
        .offset:         32
        .size:           8
        .value_kind:     global_buffer
      - .actual_access:  read_only
        .address_space:  global
        .offset:         40
        .size:           8
        .value_kind:     global_buffer
      - .actual_access:  read_only
        .address_space:  global
        .offset:         48
        .size:           8
        .value_kind:     global_buffer
      - .offset:         56
        .size:           4
        .value_kind:     by_value
      - .actual_access:  read_only
        .address_space:  global
        .offset:         64
        .size:           8
        .value_kind:     global_buffer
      - .offset:         72
        .size:           4
        .value_kind:     by_value
      - .offset:         76
        .size:           4
        .value_kind:     by_value
      - .offset:         80
        .size:           4
        .value_kind:     by_value
      - .actual_access:  write_only
        .address_space:  global
        .offset:         88
        .size:           8
        .value_kind:     global_buffer
      - .actual_access:  write_only
        .address_space:  global
        .offset:         96
        .size:           8
        .value_kind:     global_buffer
      - .actual_access:  write_only
        .address_space:  global
        .offset:         104
        .size:           8
        .value_kind:     global_buffer
      - .actual_access:  read_only
        .address_space:  global
        .offset:         112
        .size:           8
        .value_kind:     global_buffer
      - .offset:         120
        .size:           4
        .value_kind:     by_value
      - .address_space:  global
        .offset:         128
        .size:           8
        .value_kind:     global_buffer
      - .address_space:  global
        .offset:         136
        .size:           8
        .value_kind:     global_buffer
      - .offset:         144
        .size:           4
        .value_kind:     hidden_block_count_x
      - .offset:         148
        .size:           4
        .value_kind:     hidden_block_count_y
      - .offset:         152
        .size:           4
        .value_kind:     hidden_block_count_z
      - .offset:         156
        .size:           2
        .value_kind:     hidden_group_size_x
      - .offset:         158
        .size:           2
        .value_kind:     hidden_group_size_y
      - .offset:         160
        .size:           2
        .value_kind:     hidden_group_size_z
      - .offset:         162
        .size:           2
        .value_kind:     hidden_remainder_x
      - .offset:         164
        .size:           2
        .value_kind:     hidden_remainder_y
      - .offset:         166
        .size:           2
        .value_kind:     hidden_remainder_z
      - .offset:         184
        .size:           8
        .value_kind:     hidden_global_offset_x
      - .offset:         192
        .size:           8
        .value_kind:     hidden_global_offset_y
      - .offset:         200
        .size:           8
        .value_kind:     hidden_global_offset_z
      - .offset:         208
        .size:           2
        .value_kind:     hidden_grid_dims
    .group_segment_fixed_size: 8192
    .kernarg_segment_align: 8
    .kernarg_segment_size: 400
    .language:       OpenCL C
    .language_version:
      - 2
      - 0
    .max_flat_workgroup_size: 256
    .name:           _Z39paged_attention_ll4mi_QKV_mfma16_kernelI14__hip_bfloat16S0_LN4vllm18Fp8KVCacheDataTypeE0EhLi16ELi64ELi256ELb1ELi12EEvPKT_PKT0_S8_ifPKiSA_SA_iPKfiiiPfSD_PS3_PT2_iSC_SC_
    .private_segment_fixed_size: 0
    .sgpr_count:     54
    .sgpr_spill_count: 0
    .symbol:         _Z39paged_attention_ll4mi_QKV_mfma16_kernelI14__hip_bfloat16S0_LN4vllm18Fp8KVCacheDataTypeE0EhLi16ELi64ELi256ELb1ELi12EEvPKT_PKT0_S8_ifPKiSA_SA_iPKfiiiPfSD_PS3_PT2_iSC_SC_.kd
    .uniform_work_group_size: 1
    .uses_dynamic_stack: false
    .vgpr_count:     72
    .vgpr_spill_count: 0
    .wavefront_size: 64
  - .agpr_count:     0
    .args:
      - .actual_access:  read_only
        .address_space:  global
        .offset:         0
        .size:           8
        .value_kind:     global_buffer
      - .actual_access:  read_only
        .address_space:  global
        .offset:         8
        .size:           8
        .value_kind:     global_buffer
      - .actual_access:  read_only
        .address_space:  global
        .offset:         16
        .size:           8
        .value_kind:     global_buffer
      - .offset:         24
        .size:           4
        .value_kind:     by_value
      - .offset:         28
        .size:           4
        .value_kind:     by_value
      - .actual_access:  read_only
        .address_space:  global
        .offset:         32
        .size:           8
        .value_kind:     global_buffer
      - .actual_access:  read_only
        .address_space:  global
        .offset:         40
        .size:           8
        .value_kind:     global_buffer
      - .actual_access:  read_only
        .address_space:  global
        .offset:         48
        .size:           8
        .value_kind:     global_buffer
      - .offset:         56
        .size:           4
        .value_kind:     by_value
      - .actual_access:  read_only
        .address_space:  global
        .offset:         64
        .size:           8
        .value_kind:     global_buffer
      - .offset:         72
        .size:           4
        .value_kind:     by_value
      - .offset:         76
        .size:           4
        .value_kind:     by_value
      - .offset:         80
        .size:           4
        .value_kind:     by_value
      - .actual_access:  write_only
        .address_space:  global
        .offset:         88
        .size:           8
        .value_kind:     global_buffer
      - .actual_access:  write_only
        .address_space:  global
        .offset:         96
        .size:           8
        .value_kind:     global_buffer
      - .actual_access:  write_only
        .address_space:  global
        .offset:         104
        .size:           8
        .value_kind:     global_buffer
      - .actual_access:  read_only
        .address_space:  global
        .offset:         112
        .size:           8
        .value_kind:     global_buffer
      - .offset:         120
        .size:           4
        .value_kind:     by_value
      - .address_space:  global
        .offset:         128
        .size:           8
        .value_kind:     global_buffer
      - .address_space:  global
        .offset:         136
        .size:           8
        .value_kind:     global_buffer
      - .offset:         144
        .size:           4
        .value_kind:     hidden_block_count_x
      - .offset:         148
        .size:           4
        .value_kind:     hidden_block_count_y
      - .offset:         152
        .size:           4
        .value_kind:     hidden_block_count_z
      - .offset:         156
        .size:           2
        .value_kind:     hidden_group_size_x
      - .offset:         158
        .size:           2
        .value_kind:     hidden_group_size_y
      - .offset:         160
        .size:           2
        .value_kind:     hidden_group_size_z
      - .offset:         162
        .size:           2
        .value_kind:     hidden_remainder_x
      - .offset:         164
        .size:           2
        .value_kind:     hidden_remainder_y
      - .offset:         166
        .size:           2
        .value_kind:     hidden_remainder_z
      - .offset:         184
        .size:           8
        .value_kind:     hidden_global_offset_x
      - .offset:         192
        .size:           8
        .value_kind:     hidden_global_offset_y
      - .offset:         200
        .size:           8
        .value_kind:     hidden_global_offset_z
      - .offset:         208
        .size:           2
        .value_kind:     hidden_grid_dims
    .group_segment_fixed_size: 8192
    .kernarg_segment_align: 8
    .kernarg_segment_size: 400
    .language:       OpenCL C
    .language_version:
      - 2
      - 0
    .max_flat_workgroup_size: 256
    .name:           _Z39paged_attention_ll4mi_QKV_mfma16_kernelI14__hip_bfloat16S0_LN4vllm18Fp8KVCacheDataTypeE0EhLi16ELi64ELi256ELb1ELi13EEvPKT_PKT0_S8_ifPKiSA_SA_iPKfiiiPfSD_PS3_PT2_iSC_SC_
    .private_segment_fixed_size: 0
    .sgpr_count:     54
    .sgpr_spill_count: 0
    .symbol:         _Z39paged_attention_ll4mi_QKV_mfma16_kernelI14__hip_bfloat16S0_LN4vllm18Fp8KVCacheDataTypeE0EhLi16ELi64ELi256ELb1ELi13EEvPKT_PKT0_S8_ifPKiSA_SA_iPKfiiiPfSD_PS3_PT2_iSC_SC_.kd
    .uniform_work_group_size: 1
    .uses_dynamic_stack: false
    .vgpr_count:     72
    .vgpr_spill_count: 0
    .wavefront_size: 64
  - .agpr_count:     0
    .args:
      - .actual_access:  read_only
        .address_space:  global
        .offset:         0
        .size:           8
        .value_kind:     global_buffer
      - .actual_access:  read_only
        .address_space:  global
        .offset:         8
        .size:           8
        .value_kind:     global_buffer
      - .actual_access:  read_only
        .address_space:  global
        .offset:         16
        .size:           8
        .value_kind:     global_buffer
      - .offset:         24
        .size:           4
        .value_kind:     by_value
      - .offset:         28
        .size:           4
        .value_kind:     by_value
      - .actual_access:  read_only
        .address_space:  global
        .offset:         32
        .size:           8
        .value_kind:     global_buffer
      - .actual_access:  read_only
        .address_space:  global
        .offset:         40
        .size:           8
        .value_kind:     global_buffer
      - .actual_access:  read_only
        .address_space:  global
        .offset:         48
        .size:           8
        .value_kind:     global_buffer
      - .offset:         56
        .size:           4
        .value_kind:     by_value
      - .actual_access:  read_only
        .address_space:  global
        .offset:         64
        .size:           8
        .value_kind:     global_buffer
      - .offset:         72
        .size:           4
        .value_kind:     by_value
      - .offset:         76
        .size:           4
        .value_kind:     by_value
      - .offset:         80
        .size:           4
        .value_kind:     by_value
      - .actual_access:  write_only
        .address_space:  global
        .offset:         88
        .size:           8
        .value_kind:     global_buffer
      - .actual_access:  write_only
        .address_space:  global
        .offset:         96
        .size:           8
        .value_kind:     global_buffer
      - .actual_access:  write_only
        .address_space:  global
        .offset:         104
        .size:           8
        .value_kind:     global_buffer
      - .actual_access:  read_only
        .address_space:  global
        .offset:         112
        .size:           8
        .value_kind:     global_buffer
      - .offset:         120
        .size:           4
        .value_kind:     by_value
      - .address_space:  global
        .offset:         128
        .size:           8
        .value_kind:     global_buffer
      - .address_space:  global
        .offset:         136
        .size:           8
        .value_kind:     global_buffer
      - .offset:         144
        .size:           4
        .value_kind:     hidden_block_count_x
      - .offset:         148
        .size:           4
        .value_kind:     hidden_block_count_y
      - .offset:         152
        .size:           4
        .value_kind:     hidden_block_count_z
      - .offset:         156
        .size:           2
        .value_kind:     hidden_group_size_x
      - .offset:         158
        .size:           2
        .value_kind:     hidden_group_size_y
      - .offset:         160
        .size:           2
        .value_kind:     hidden_group_size_z
      - .offset:         162
        .size:           2
        .value_kind:     hidden_remainder_x
      - .offset:         164
        .size:           2
        .value_kind:     hidden_remainder_y
      - .offset:         166
        .size:           2
        .value_kind:     hidden_remainder_z
      - .offset:         184
        .size:           8
        .value_kind:     hidden_global_offset_x
      - .offset:         192
        .size:           8
        .value_kind:     hidden_global_offset_y
      - .offset:         200
        .size:           8
        .value_kind:     hidden_global_offset_z
      - .offset:         208
        .size:           2
        .value_kind:     hidden_grid_dims
    .group_segment_fixed_size: 8192
    .kernarg_segment_align: 8
    .kernarg_segment_size: 400
    .language:       OpenCL C
    .language_version:
      - 2
      - 0
    .max_flat_workgroup_size: 256
    .name:           _Z39paged_attention_ll4mi_QKV_mfma16_kernelI14__hip_bfloat16S0_LN4vllm18Fp8KVCacheDataTypeE0EhLi16ELi64ELi256ELb1ELi14EEvPKT_PKT0_S8_ifPKiSA_SA_iPKfiiiPfSD_PS3_PT2_iSC_SC_
    .private_segment_fixed_size: 0
    .sgpr_count:     54
    .sgpr_spill_count: 0
    .symbol:         _Z39paged_attention_ll4mi_QKV_mfma16_kernelI14__hip_bfloat16S0_LN4vllm18Fp8KVCacheDataTypeE0EhLi16ELi64ELi256ELb1ELi14EEvPKT_PKT0_S8_ifPKiSA_SA_iPKfiiiPfSD_PS3_PT2_iSC_SC_.kd
    .uniform_work_group_size: 1
    .uses_dynamic_stack: false
    .vgpr_count:     72
    .vgpr_spill_count: 0
    .wavefront_size: 64
  - .agpr_count:     0
    .args:
      - .actual_access:  read_only
        .address_space:  global
        .offset:         0
        .size:           8
        .value_kind:     global_buffer
      - .actual_access:  read_only
        .address_space:  global
        .offset:         8
        .size:           8
        .value_kind:     global_buffer
      - .actual_access:  read_only
        .address_space:  global
        .offset:         16
        .size:           8
        .value_kind:     global_buffer
      - .offset:         24
        .size:           4
        .value_kind:     by_value
      - .offset:         28
        .size:           4
        .value_kind:     by_value
      - .actual_access:  read_only
        .address_space:  global
        .offset:         32
        .size:           8
        .value_kind:     global_buffer
      - .actual_access:  read_only
        .address_space:  global
        .offset:         40
        .size:           8
        .value_kind:     global_buffer
      - .actual_access:  read_only
        .address_space:  global
        .offset:         48
        .size:           8
        .value_kind:     global_buffer
      - .offset:         56
        .size:           4
        .value_kind:     by_value
      - .actual_access:  read_only
        .address_space:  global
        .offset:         64
        .size:           8
        .value_kind:     global_buffer
      - .offset:         72
        .size:           4
        .value_kind:     by_value
      - .offset:         76
        .size:           4
        .value_kind:     by_value
      - .offset:         80
        .size:           4
        .value_kind:     by_value
      - .actual_access:  write_only
        .address_space:  global
        .offset:         88
        .size:           8
        .value_kind:     global_buffer
      - .actual_access:  write_only
        .address_space:  global
        .offset:         96
        .size:           8
        .value_kind:     global_buffer
      - .actual_access:  write_only
        .address_space:  global
        .offset:         104
        .size:           8
        .value_kind:     global_buffer
      - .actual_access:  read_only
        .address_space:  global
        .offset:         112
        .size:           8
        .value_kind:     global_buffer
      - .offset:         120
        .size:           4
        .value_kind:     by_value
      - .address_space:  global
        .offset:         128
        .size:           8
        .value_kind:     global_buffer
      - .address_space:  global
        .offset:         136
        .size:           8
        .value_kind:     global_buffer
      - .offset:         144
        .size:           4
        .value_kind:     hidden_block_count_x
      - .offset:         148
        .size:           4
        .value_kind:     hidden_block_count_y
      - .offset:         152
        .size:           4
        .value_kind:     hidden_block_count_z
      - .offset:         156
        .size:           2
        .value_kind:     hidden_group_size_x
      - .offset:         158
        .size:           2
        .value_kind:     hidden_group_size_y
      - .offset:         160
        .size:           2
        .value_kind:     hidden_group_size_z
      - .offset:         162
        .size:           2
        .value_kind:     hidden_remainder_x
      - .offset:         164
        .size:           2
        .value_kind:     hidden_remainder_y
      - .offset:         166
        .size:           2
        .value_kind:     hidden_remainder_z
      - .offset:         184
        .size:           8
        .value_kind:     hidden_global_offset_x
      - .offset:         192
        .size:           8
        .value_kind:     hidden_global_offset_y
      - .offset:         200
        .size:           8
        .value_kind:     hidden_global_offset_z
      - .offset:         208
        .size:           2
        .value_kind:     hidden_grid_dims
    .group_segment_fixed_size: 8192
    .kernarg_segment_align: 8
    .kernarg_segment_size: 400
    .language:       OpenCL C
    .language_version:
      - 2
      - 0
    .max_flat_workgroup_size: 256
    .name:           _Z39paged_attention_ll4mi_QKV_mfma16_kernelI14__hip_bfloat16S0_LN4vllm18Fp8KVCacheDataTypeE0EhLi16ELi64ELi256ELb1ELi15EEvPKT_PKT0_S8_ifPKiSA_SA_iPKfiiiPfSD_PS3_PT2_iSC_SC_
    .private_segment_fixed_size: 0
    .sgpr_count:     54
    .sgpr_spill_count: 0
    .symbol:         _Z39paged_attention_ll4mi_QKV_mfma16_kernelI14__hip_bfloat16S0_LN4vllm18Fp8KVCacheDataTypeE0EhLi16ELi64ELi256ELb1ELi15EEvPKT_PKT0_S8_ifPKiSA_SA_iPKfiiiPfSD_PS3_PT2_iSC_SC_.kd
    .uniform_work_group_size: 1
    .uses_dynamic_stack: false
    .vgpr_count:     72
    .vgpr_spill_count: 0
    .wavefront_size: 64
  - .agpr_count:     0
    .args:
      - .actual_access:  read_only
        .address_space:  global
        .offset:         0
        .size:           8
        .value_kind:     global_buffer
      - .actual_access:  read_only
        .address_space:  global
        .offset:         8
        .size:           8
        .value_kind:     global_buffer
      - .actual_access:  read_only
        .address_space:  global
        .offset:         16
        .size:           8
        .value_kind:     global_buffer
      - .offset:         24
        .size:           4
        .value_kind:     by_value
      - .offset:         28
        .size:           4
        .value_kind:     by_value
      - .actual_access:  read_only
        .address_space:  global
        .offset:         32
        .size:           8
        .value_kind:     global_buffer
      - .actual_access:  read_only
        .address_space:  global
        .offset:         40
        .size:           8
        .value_kind:     global_buffer
      - .actual_access:  read_only
        .address_space:  global
        .offset:         48
        .size:           8
        .value_kind:     global_buffer
      - .offset:         56
        .size:           4
        .value_kind:     by_value
      - .actual_access:  read_only
        .address_space:  global
        .offset:         64
        .size:           8
        .value_kind:     global_buffer
      - .offset:         72
        .size:           4
        .value_kind:     by_value
      - .offset:         76
        .size:           4
        .value_kind:     by_value
      - .offset:         80
        .size:           4
        .value_kind:     by_value
      - .actual_access:  write_only
        .address_space:  global
        .offset:         88
        .size:           8
        .value_kind:     global_buffer
      - .actual_access:  write_only
        .address_space:  global
        .offset:         96
        .size:           8
        .value_kind:     global_buffer
      - .actual_access:  write_only
        .address_space:  global
        .offset:         104
        .size:           8
        .value_kind:     global_buffer
      - .actual_access:  read_only
        .address_space:  global
        .offset:         112
        .size:           8
        .value_kind:     global_buffer
      - .offset:         120
        .size:           4
        .value_kind:     by_value
      - .address_space:  global
        .offset:         128
        .size:           8
        .value_kind:     global_buffer
      - .address_space:  global
        .offset:         136
        .size:           8
        .value_kind:     global_buffer
      - .offset:         144
        .size:           4
        .value_kind:     hidden_block_count_x
      - .offset:         148
        .size:           4
        .value_kind:     hidden_block_count_y
      - .offset:         152
        .size:           4
        .value_kind:     hidden_block_count_z
      - .offset:         156
        .size:           2
        .value_kind:     hidden_group_size_x
      - .offset:         158
        .size:           2
        .value_kind:     hidden_group_size_y
      - .offset:         160
        .size:           2
        .value_kind:     hidden_group_size_z
      - .offset:         162
        .size:           2
        .value_kind:     hidden_remainder_x
      - .offset:         164
        .size:           2
        .value_kind:     hidden_remainder_y
      - .offset:         166
        .size:           2
        .value_kind:     hidden_remainder_z
      - .offset:         184
        .size:           8
        .value_kind:     hidden_global_offset_x
      - .offset:         192
        .size:           8
        .value_kind:     hidden_global_offset_y
      - .offset:         200
        .size:           8
        .value_kind:     hidden_global_offset_z
      - .offset:         208
        .size:           2
        .value_kind:     hidden_grid_dims
    .group_segment_fixed_size: 8192
    .kernarg_segment_align: 8
    .kernarg_segment_size: 400
    .language:       OpenCL C
    .language_version:
      - 2
      - 0
    .max_flat_workgroup_size: 256
    .name:           _Z39paged_attention_ll4mi_QKV_mfma16_kernelI14__hip_bfloat16S0_LN4vllm18Fp8KVCacheDataTypeE0EhLi16ELi64ELi256ELb1ELi16EEvPKT_PKT0_S8_ifPKiSA_SA_iPKfiiiPfSD_PS3_PT2_iSC_SC_
    .private_segment_fixed_size: 0
    .sgpr_count:     54
    .sgpr_spill_count: 0
    .symbol:         _Z39paged_attention_ll4mi_QKV_mfma16_kernelI14__hip_bfloat16S0_LN4vllm18Fp8KVCacheDataTypeE0EhLi16ELi64ELi256ELb1ELi16EEvPKT_PKT0_S8_ifPKiSA_SA_iPKfiiiPfSD_PS3_PT2_iSC_SC_.kd
    .uniform_work_group_size: 1
    .uses_dynamic_stack: false
    .vgpr_count:     72
    .vgpr_spill_count: 0
    .wavefront_size: 64
  - .agpr_count:     0
    .args:
      - .actual_access:  write_only
        .address_space:  global
        .offset:         0
        .size:           8
        .value_kind:     global_buffer
      - .actual_access:  read_only
        .address_space:  global
        .offset:         8
        .size:           8
        .value_kind:     global_buffer
      - .actual_access:  read_only
        .address_space:  global
        .offset:         16
        .size:           8
        .value_kind:     global_buffer
      - .actual_access:  read_only
        .address_space:  global
        .offset:         24
        .size:           8
        .value_kind:     global_buffer
      - .actual_access:  read_only
        .address_space:  global
        .offset:         32
        .size:           8
        .value_kind:     global_buffer
      - .actual_access:  read_only
        .address_space:  global
        .offset:         40
        .size:           8
        .value_kind:     global_buffer
      - .offset:         48
        .size:           4
        .value_kind:     by_value
      - .actual_access:  read_only
        .address_space:  global
        .offset:         56
        .size:           8
        .value_kind:     global_buffer
      - .offset:         64
        .size:           4
        .value_kind:     hidden_block_count_x
      - .offset:         68
        .size:           4
        .value_kind:     hidden_block_count_y
      - .offset:         72
        .size:           4
        .value_kind:     hidden_block_count_z
      - .offset:         76
        .size:           2
        .value_kind:     hidden_group_size_x
      - .offset:         78
        .size:           2
        .value_kind:     hidden_group_size_y
      - .offset:         80
        .size:           2
        .value_kind:     hidden_group_size_z
      - .offset:         82
        .size:           2
        .value_kind:     hidden_remainder_x
      - .offset:         84
        .size:           2
        .value_kind:     hidden_remainder_y
      - .offset:         86
        .size:           2
        .value_kind:     hidden_remainder_z
      - .offset:         104
        .size:           8
        .value_kind:     hidden_global_offset_x
      - .offset:         112
        .size:           8
        .value_kind:     hidden_global_offset_y
      - .offset:         120
        .size:           8
        .value_kind:     hidden_global_offset_z
      - .offset:         128
        .size:           2
        .value_kind:     hidden_grid_dims
    .group_segment_fixed_size: 260
    .kernarg_segment_align: 8
    .kernarg_segment_size: 320
    .language:       OpenCL C
    .language_version:
      - 2
      - 0
    .max_flat_workgroup_size: 64
    .name:           _Z35paged_attention_ll4mi_reduce_kernelI14__hip_bfloat16hLi64ELi64ELi256ELi1EEvPT0_PKfS4_PKT_PKiS9_iS4_
    .private_segment_fixed_size: 0
    .sgpr_count:     36
    .sgpr_spill_count: 0
    .symbol:         _Z35paged_attention_ll4mi_reduce_kernelI14__hip_bfloat16hLi64ELi64ELi256ELi1EEvPT0_PKfS4_PKT_PKiS9_iS4_.kd
    .uniform_work_group_size: 1
    .uses_dynamic_stack: false
    .vgpr_count:     116
    .vgpr_spill_count: 0
    .wavefront_size: 64
  - .agpr_count:     0
    .args:
      - .actual_access:  write_only
        .address_space:  global
        .offset:         0
        .size:           8
        .value_kind:     global_buffer
      - .actual_access:  read_only
        .address_space:  global
        .offset:         8
        .size:           8
        .value_kind:     global_buffer
      - .actual_access:  read_only
        .address_space:  global
        .offset:         16
        .size:           8
        .value_kind:     global_buffer
      - .actual_access:  read_only
        .address_space:  global
        .offset:         24
        .size:           8
        .value_kind:     global_buffer
      - .actual_access:  read_only
        .address_space:  global
        .offset:         32
        .size:           8
        .value_kind:     global_buffer
      - .actual_access:  read_only
        .address_space:  global
        .offset:         40
        .size:           8
        .value_kind:     global_buffer
      - .offset:         48
        .size:           4
        .value_kind:     by_value
      - .actual_access:  read_only
        .address_space:  global
        .offset:         56
        .size:           8
        .value_kind:     global_buffer
      - .offset:         64
        .size:           4
        .value_kind:     hidden_block_count_x
      - .offset:         68
        .size:           4
        .value_kind:     hidden_block_count_y
      - .offset:         72
        .size:           4
        .value_kind:     hidden_block_count_z
      - .offset:         76
        .size:           2
        .value_kind:     hidden_group_size_x
      - .offset:         78
        .size:           2
        .value_kind:     hidden_group_size_y
      - .offset:         80
        .size:           2
        .value_kind:     hidden_group_size_z
      - .offset:         82
        .size:           2
        .value_kind:     hidden_remainder_x
      - .offset:         84
        .size:           2
        .value_kind:     hidden_remainder_y
      - .offset:         86
        .size:           2
        .value_kind:     hidden_remainder_z
      - .offset:         104
        .size:           8
        .value_kind:     hidden_global_offset_x
      - .offset:         112
        .size:           8
        .value_kind:     hidden_global_offset_y
      - .offset:         120
        .size:           8
        .value_kind:     hidden_global_offset_z
      - .offset:         128
        .size:           2
        .value_kind:     hidden_grid_dims
    .group_segment_fixed_size: 516
    .kernarg_segment_align: 8
    .kernarg_segment_size: 320
    .language:       OpenCL C
    .language_version:
      - 2
      - 0
    .max_flat_workgroup_size: 64
    .name:           _Z35paged_attention_ll4mi_reduce_kernelI14__hip_bfloat16hLi64ELi64ELi256ELi2EEvPT0_PKfS4_PKT_PKiS9_iS4_
    .private_segment_fixed_size: 0
    .sgpr_count:     38
    .sgpr_spill_count: 0
    .symbol:         _Z35paged_attention_ll4mi_reduce_kernelI14__hip_bfloat16hLi64ELi64ELi256ELi2EEvPT0_PKfS4_PKT_PKiS9_iS4_.kd
    .uniform_work_group_size: 1
    .uses_dynamic_stack: false
    .vgpr_count:     126
    .vgpr_spill_count: 0
    .wavefront_size: 64
  - .agpr_count:     0
    .args:
      - .actual_access:  write_only
        .address_space:  global
        .offset:         0
        .size:           8
        .value_kind:     global_buffer
      - .actual_access:  read_only
        .address_space:  global
        .offset:         8
        .size:           8
        .value_kind:     global_buffer
      - .actual_access:  read_only
        .address_space:  global
        .offset:         16
        .size:           8
        .value_kind:     global_buffer
      - .actual_access:  read_only
        .address_space:  global
        .offset:         24
        .size:           8
        .value_kind:     global_buffer
      - .actual_access:  read_only
        .address_space:  global
        .offset:         32
        .size:           8
        .value_kind:     global_buffer
      - .actual_access:  read_only
        .address_space:  global
        .offset:         40
        .size:           8
        .value_kind:     global_buffer
      - .offset:         48
        .size:           4
        .value_kind:     by_value
      - .actual_access:  read_only
        .address_space:  global
        .offset:         56
        .size:           8
        .value_kind:     global_buffer
      - .offset:         64
        .size:           4
        .value_kind:     hidden_block_count_x
      - .offset:         68
        .size:           4
        .value_kind:     hidden_block_count_y
      - .offset:         72
        .size:           4
        .value_kind:     hidden_block_count_z
      - .offset:         76
        .size:           2
        .value_kind:     hidden_group_size_x
      - .offset:         78
        .size:           2
        .value_kind:     hidden_group_size_y
      - .offset:         80
        .size:           2
        .value_kind:     hidden_group_size_z
      - .offset:         82
        .size:           2
        .value_kind:     hidden_remainder_x
      - .offset:         84
        .size:           2
        .value_kind:     hidden_remainder_y
      - .offset:         86
        .size:           2
        .value_kind:     hidden_remainder_z
      - .offset:         104
        .size:           8
        .value_kind:     hidden_global_offset_x
      - .offset:         112
        .size:           8
        .value_kind:     hidden_global_offset_y
      - .offset:         120
        .size:           8
        .value_kind:     hidden_global_offset_z
      - .offset:         128
        .size:           2
        .value_kind:     hidden_grid_dims
    .group_segment_fixed_size: 772
    .kernarg_segment_align: 8
    .kernarg_segment_size: 320
    .language:       OpenCL C
    .language_version:
      - 2
      - 0
    .max_flat_workgroup_size: 64
    .name:           _Z35paged_attention_ll4mi_reduce_kernelI14__hip_bfloat16hLi64ELi64ELi256ELi3EEvPT0_PKfS4_PKT_PKiS9_iS4_
    .private_segment_fixed_size: 0
    .sgpr_count:     42
    .sgpr_spill_count: 0
    .symbol:         _Z35paged_attention_ll4mi_reduce_kernelI14__hip_bfloat16hLi64ELi64ELi256ELi3EEvPT0_PKfS4_PKT_PKiS9_iS4_.kd
    .uniform_work_group_size: 1
    .uses_dynamic_stack: false
    .vgpr_count:     126
    .vgpr_spill_count: 0
    .wavefront_size: 64
  - .agpr_count:     0
    .args:
      - .actual_access:  write_only
        .address_space:  global
        .offset:         0
        .size:           8
        .value_kind:     global_buffer
      - .actual_access:  read_only
        .address_space:  global
        .offset:         8
        .size:           8
        .value_kind:     global_buffer
      - .actual_access:  read_only
        .address_space:  global
        .offset:         16
        .size:           8
        .value_kind:     global_buffer
      - .actual_access:  read_only
        .address_space:  global
        .offset:         24
        .size:           8
        .value_kind:     global_buffer
      - .actual_access:  read_only
        .address_space:  global
        .offset:         32
        .size:           8
        .value_kind:     global_buffer
      - .actual_access:  read_only
        .address_space:  global
        .offset:         40
        .size:           8
        .value_kind:     global_buffer
      - .offset:         48
        .size:           4
        .value_kind:     by_value
      - .actual_access:  read_only
        .address_space:  global
        .offset:         56
        .size:           8
        .value_kind:     global_buffer
      - .offset:         64
        .size:           4
        .value_kind:     hidden_block_count_x
      - .offset:         68
        .size:           4
        .value_kind:     hidden_block_count_y
      - .offset:         72
        .size:           4
        .value_kind:     hidden_block_count_z
      - .offset:         76
        .size:           2
        .value_kind:     hidden_group_size_x
      - .offset:         78
        .size:           2
        .value_kind:     hidden_group_size_y
      - .offset:         80
        .size:           2
        .value_kind:     hidden_group_size_z
      - .offset:         82
        .size:           2
        .value_kind:     hidden_remainder_x
      - .offset:         84
        .size:           2
        .value_kind:     hidden_remainder_y
      - .offset:         86
        .size:           2
        .value_kind:     hidden_remainder_z
      - .offset:         104
        .size:           8
        .value_kind:     hidden_global_offset_x
      - .offset:         112
        .size:           8
        .value_kind:     hidden_global_offset_y
      - .offset:         120
        .size:           8
        .value_kind:     hidden_global_offset_z
      - .offset:         128
        .size:           2
        .value_kind:     hidden_grid_dims
    .group_segment_fixed_size: 1028
    .kernarg_segment_align: 8
    .kernarg_segment_size: 320
    .language:       OpenCL C
    .language_version:
      - 2
      - 0
    .max_flat_workgroup_size: 64
    .name:           _Z35paged_attention_ll4mi_reduce_kernelI14__hip_bfloat16hLi64ELi64ELi256ELi4EEvPT0_PKfS4_PKT_PKiS9_iS4_
    .private_segment_fixed_size: 0
    .sgpr_count:     44
    .sgpr_spill_count: 0
    .symbol:         _Z35paged_attention_ll4mi_reduce_kernelI14__hip_bfloat16hLi64ELi64ELi256ELi4EEvPT0_PKfS4_PKT_PKiS9_iS4_.kd
    .uniform_work_group_size: 1
    .uses_dynamic_stack: false
    .vgpr_count:     127
    .vgpr_spill_count: 0
    .wavefront_size: 64
  - .agpr_count:     0
    .args:
      - .actual_access:  write_only
        .address_space:  global
        .offset:         0
        .size:           8
        .value_kind:     global_buffer
      - .actual_access:  read_only
        .address_space:  global
        .offset:         8
        .size:           8
        .value_kind:     global_buffer
      - .actual_access:  read_only
        .address_space:  global
        .offset:         16
        .size:           8
        .value_kind:     global_buffer
      - .actual_access:  read_only
        .address_space:  global
        .offset:         24
        .size:           8
        .value_kind:     global_buffer
      - .actual_access:  read_only
        .address_space:  global
        .offset:         32
        .size:           8
        .value_kind:     global_buffer
      - .actual_access:  read_only
        .address_space:  global
        .offset:         40
        .size:           8
        .value_kind:     global_buffer
      - .offset:         48
        .size:           4
        .value_kind:     by_value
      - .actual_access:  read_only
        .address_space:  global
        .offset:         56
        .size:           8
        .value_kind:     global_buffer
      - .offset:         64
        .size:           4
        .value_kind:     hidden_block_count_x
      - .offset:         68
        .size:           4
        .value_kind:     hidden_block_count_y
      - .offset:         72
        .size:           4
        .value_kind:     hidden_block_count_z
      - .offset:         76
        .size:           2
        .value_kind:     hidden_group_size_x
      - .offset:         78
        .size:           2
        .value_kind:     hidden_group_size_y
      - .offset:         80
        .size:           2
        .value_kind:     hidden_group_size_z
      - .offset:         82
        .size:           2
        .value_kind:     hidden_remainder_x
      - .offset:         84
        .size:           2
        .value_kind:     hidden_remainder_y
      - .offset:         86
        .size:           2
        .value_kind:     hidden_remainder_z
      - .offset:         104
        .size:           8
        .value_kind:     hidden_global_offset_x
      - .offset:         112
        .size:           8
        .value_kind:     hidden_global_offset_y
      - .offset:         120
        .size:           8
        .value_kind:     hidden_global_offset_z
      - .offset:         128
        .size:           2
        .value_kind:     hidden_grid_dims
    .group_segment_fixed_size: 1284
    .kernarg_segment_align: 8
    .kernarg_segment_size: 320
    .language:       OpenCL C
    .language_version:
      - 2
      - 0
    .max_flat_workgroup_size: 64
    .name:           _Z35paged_attention_ll4mi_reduce_kernelI14__hip_bfloat16hLi64ELi64ELi256ELi5EEvPT0_PKfS4_PKT_PKiS9_iS4_
    .private_segment_fixed_size: 0
    .sgpr_count:     46
    .sgpr_spill_count: 0
    .symbol:         _Z35paged_attention_ll4mi_reduce_kernelI14__hip_bfloat16hLi64ELi64ELi256ELi5EEvPT0_PKfS4_PKT_PKiS9_iS4_.kd
    .uniform_work_group_size: 1
    .uses_dynamic_stack: false
    .vgpr_count:     127
    .vgpr_spill_count: 0
    .wavefront_size: 64
  - .agpr_count:     0
    .args:
      - .actual_access:  write_only
        .address_space:  global
        .offset:         0
        .size:           8
        .value_kind:     global_buffer
      - .actual_access:  read_only
        .address_space:  global
        .offset:         8
        .size:           8
        .value_kind:     global_buffer
      - .actual_access:  read_only
        .address_space:  global
        .offset:         16
        .size:           8
        .value_kind:     global_buffer
      - .actual_access:  read_only
        .address_space:  global
        .offset:         24
        .size:           8
        .value_kind:     global_buffer
      - .actual_access:  read_only
        .address_space:  global
        .offset:         32
        .size:           8
        .value_kind:     global_buffer
      - .actual_access:  read_only
        .address_space:  global
        .offset:         40
        .size:           8
        .value_kind:     global_buffer
      - .offset:         48
        .size:           4
        .value_kind:     by_value
      - .actual_access:  read_only
        .address_space:  global
        .offset:         56
        .size:           8
        .value_kind:     global_buffer
      - .offset:         64
        .size:           4
        .value_kind:     hidden_block_count_x
      - .offset:         68
        .size:           4
        .value_kind:     hidden_block_count_y
      - .offset:         72
        .size:           4
        .value_kind:     hidden_block_count_z
      - .offset:         76
        .size:           2
        .value_kind:     hidden_group_size_x
      - .offset:         78
        .size:           2
        .value_kind:     hidden_group_size_y
      - .offset:         80
        .size:           2
        .value_kind:     hidden_group_size_z
      - .offset:         82
        .size:           2
        .value_kind:     hidden_remainder_x
      - .offset:         84
        .size:           2
        .value_kind:     hidden_remainder_y
      - .offset:         86
        .size:           2
        .value_kind:     hidden_remainder_z
      - .offset:         104
        .size:           8
        .value_kind:     hidden_global_offset_x
      - .offset:         112
        .size:           8
        .value_kind:     hidden_global_offset_y
      - .offset:         120
        .size:           8
        .value_kind:     hidden_global_offset_z
      - .offset:         128
        .size:           2
        .value_kind:     hidden_grid_dims
    .group_segment_fixed_size: 1540
    .kernarg_segment_align: 8
    .kernarg_segment_size: 320
    .language:       OpenCL C
    .language_version:
      - 2
      - 0
    .max_flat_workgroup_size: 64
    .name:           _Z35paged_attention_ll4mi_reduce_kernelI14__hip_bfloat16hLi64ELi64ELi256ELi6EEvPT0_PKfS4_PKT_PKiS9_iS4_
    .private_segment_fixed_size: 0
    .sgpr_count:     48
    .sgpr_spill_count: 0
    .symbol:         _Z35paged_attention_ll4mi_reduce_kernelI14__hip_bfloat16hLi64ELi64ELi256ELi6EEvPT0_PKfS4_PKT_PKiS9_iS4_.kd
    .uniform_work_group_size: 1
    .uses_dynamic_stack: false
    .vgpr_count:     127
    .vgpr_spill_count: 0
    .wavefront_size: 64
  - .agpr_count:     0
    .args:
      - .actual_access:  write_only
        .address_space:  global
        .offset:         0
        .size:           8
        .value_kind:     global_buffer
      - .actual_access:  read_only
        .address_space:  global
        .offset:         8
        .size:           8
        .value_kind:     global_buffer
      - .actual_access:  read_only
        .address_space:  global
        .offset:         16
        .size:           8
        .value_kind:     global_buffer
      - .actual_access:  read_only
        .address_space:  global
        .offset:         24
        .size:           8
        .value_kind:     global_buffer
      - .actual_access:  read_only
        .address_space:  global
        .offset:         32
        .size:           8
        .value_kind:     global_buffer
      - .actual_access:  read_only
        .address_space:  global
        .offset:         40
        .size:           8
        .value_kind:     global_buffer
      - .offset:         48
        .size:           4
        .value_kind:     by_value
      - .actual_access:  read_only
        .address_space:  global
        .offset:         56
        .size:           8
        .value_kind:     global_buffer
      - .offset:         64
        .size:           4
        .value_kind:     hidden_block_count_x
      - .offset:         68
        .size:           4
        .value_kind:     hidden_block_count_y
      - .offset:         72
        .size:           4
        .value_kind:     hidden_block_count_z
      - .offset:         76
        .size:           2
        .value_kind:     hidden_group_size_x
      - .offset:         78
        .size:           2
        .value_kind:     hidden_group_size_y
      - .offset:         80
        .size:           2
        .value_kind:     hidden_group_size_z
      - .offset:         82
        .size:           2
        .value_kind:     hidden_remainder_x
      - .offset:         84
        .size:           2
        .value_kind:     hidden_remainder_y
      - .offset:         86
        .size:           2
        .value_kind:     hidden_remainder_z
      - .offset:         104
        .size:           8
        .value_kind:     hidden_global_offset_x
      - .offset:         112
        .size:           8
        .value_kind:     hidden_global_offset_y
      - .offset:         120
        .size:           8
        .value_kind:     hidden_global_offset_z
      - .offset:         128
        .size:           2
        .value_kind:     hidden_grid_dims
    .group_segment_fixed_size: 1796
    .kernarg_segment_align: 8
    .kernarg_segment_size: 320
    .language:       OpenCL C
    .language_version:
      - 2
      - 0
    .max_flat_workgroup_size: 64
    .name:           _Z35paged_attention_ll4mi_reduce_kernelI14__hip_bfloat16hLi64ELi64ELi256ELi7EEvPT0_PKfS4_PKT_PKiS9_iS4_
    .private_segment_fixed_size: 0
    .sgpr_count:     50
    .sgpr_spill_count: 0
    .symbol:         _Z35paged_attention_ll4mi_reduce_kernelI14__hip_bfloat16hLi64ELi64ELi256ELi7EEvPT0_PKfS4_PKT_PKiS9_iS4_.kd
    .uniform_work_group_size: 1
    .uses_dynamic_stack: false
    .vgpr_count:     127
    .vgpr_spill_count: 0
    .wavefront_size: 64
  - .agpr_count:     0
    .args:
      - .actual_access:  write_only
        .address_space:  global
        .offset:         0
        .size:           8
        .value_kind:     global_buffer
      - .actual_access:  read_only
        .address_space:  global
        .offset:         8
        .size:           8
        .value_kind:     global_buffer
      - .actual_access:  read_only
        .address_space:  global
        .offset:         16
        .size:           8
        .value_kind:     global_buffer
      - .actual_access:  read_only
        .address_space:  global
        .offset:         24
        .size:           8
        .value_kind:     global_buffer
      - .actual_access:  read_only
        .address_space:  global
        .offset:         32
        .size:           8
        .value_kind:     global_buffer
      - .actual_access:  read_only
        .address_space:  global
        .offset:         40
        .size:           8
        .value_kind:     global_buffer
      - .offset:         48
        .size:           4
        .value_kind:     by_value
      - .actual_access:  read_only
        .address_space:  global
        .offset:         56
        .size:           8
        .value_kind:     global_buffer
      - .offset:         64
        .size:           4
        .value_kind:     hidden_block_count_x
      - .offset:         68
        .size:           4
        .value_kind:     hidden_block_count_y
      - .offset:         72
        .size:           4
        .value_kind:     hidden_block_count_z
      - .offset:         76
        .size:           2
        .value_kind:     hidden_group_size_x
      - .offset:         78
        .size:           2
        .value_kind:     hidden_group_size_y
      - .offset:         80
        .size:           2
        .value_kind:     hidden_group_size_z
      - .offset:         82
        .size:           2
        .value_kind:     hidden_remainder_x
      - .offset:         84
        .size:           2
        .value_kind:     hidden_remainder_y
      - .offset:         86
        .size:           2
        .value_kind:     hidden_remainder_z
      - .offset:         104
        .size:           8
        .value_kind:     hidden_global_offset_x
      - .offset:         112
        .size:           8
        .value_kind:     hidden_global_offset_y
      - .offset:         120
        .size:           8
        .value_kind:     hidden_global_offset_z
      - .offset:         128
        .size:           2
        .value_kind:     hidden_grid_dims
    .group_segment_fixed_size: 2052
    .kernarg_segment_align: 8
    .kernarg_segment_size: 320
    .language:       OpenCL C
    .language_version:
      - 2
      - 0
    .max_flat_workgroup_size: 64
    .name:           _Z35paged_attention_ll4mi_reduce_kernelI14__hip_bfloat16hLi64ELi64ELi256ELi8EEvPT0_PKfS4_PKT_PKiS9_iS4_
    .private_segment_fixed_size: 0
    .sgpr_count:     51
    .sgpr_spill_count: 0
    .symbol:         _Z35paged_attention_ll4mi_reduce_kernelI14__hip_bfloat16hLi64ELi64ELi256ELi8EEvPT0_PKfS4_PKT_PKiS9_iS4_.kd
    .uniform_work_group_size: 1
    .uses_dynamic_stack: false
    .vgpr_count:     127
    .vgpr_spill_count: 0
    .wavefront_size: 64
  - .agpr_count:     0
    .args:
      - .actual_access:  read_only
        .address_space:  global
        .offset:         0
        .size:           8
        .value_kind:     global_buffer
      - .actual_access:  read_only
        .address_space:  global
        .offset:         8
        .size:           8
        .value_kind:     global_buffer
      - .actual_access:  read_only
        .address_space:  global
        .offset:         16
        .size:           8
        .value_kind:     global_buffer
      - .offset:         24
        .size:           4
        .value_kind:     by_value
      - .offset:         28
        .size:           4
        .value_kind:     by_value
      - .actual_access:  read_only
        .address_space:  global
        .offset:         32
        .size:           8
        .value_kind:     global_buffer
      - .actual_access:  read_only
        .address_space:  global
        .offset:         40
        .size:           8
        .value_kind:     global_buffer
      - .actual_access:  read_only
        .address_space:  global
        .offset:         48
        .size:           8
        .value_kind:     global_buffer
      - .offset:         56
        .size:           4
        .value_kind:     by_value
      - .actual_access:  read_only
        .address_space:  global
        .offset:         64
        .size:           8
        .value_kind:     global_buffer
      - .offset:         72
        .size:           4
        .value_kind:     by_value
      - .offset:         76
        .size:           4
        .value_kind:     by_value
      - .offset:         80
        .size:           4
        .value_kind:     by_value
      - .actual_access:  write_only
        .address_space:  global
        .offset:         88
        .size:           8
        .value_kind:     global_buffer
      - .actual_access:  write_only
        .address_space:  global
        .offset:         96
        .size:           8
        .value_kind:     global_buffer
      - .actual_access:  write_only
        .address_space:  global
        .offset:         104
        .size:           8
        .value_kind:     global_buffer
      - .actual_access:  read_only
        .address_space:  global
        .offset:         112
        .size:           8
        .value_kind:     global_buffer
      - .offset:         120
        .size:           4
        .value_kind:     by_value
      - .address_space:  global
        .offset:         128
        .size:           8
        .value_kind:     global_buffer
      - .address_space:  global
        .offset:         136
        .size:           8
        .value_kind:     global_buffer
      - .offset:         144
        .size:           4
        .value_kind:     hidden_block_count_x
      - .offset:         148
        .size:           4
        .value_kind:     hidden_block_count_y
      - .offset:         152
        .size:           4
        .value_kind:     hidden_block_count_z
      - .offset:         156
        .size:           2
        .value_kind:     hidden_group_size_x
      - .offset:         158
        .size:           2
        .value_kind:     hidden_group_size_y
      - .offset:         160
        .size:           2
        .value_kind:     hidden_group_size_z
      - .offset:         162
        .size:           2
        .value_kind:     hidden_remainder_x
      - .offset:         164
        .size:           2
        .value_kind:     hidden_remainder_y
      - .offset:         166
        .size:           2
        .value_kind:     hidden_remainder_z
      - .offset:         184
        .size:           8
        .value_kind:     hidden_global_offset_x
      - .offset:         192
        .size:           8
        .value_kind:     hidden_global_offset_y
      - .offset:         200
        .size:           8
        .value_kind:     hidden_global_offset_z
      - .offset:         208
        .size:           2
        .value_kind:     hidden_grid_dims
    .group_segment_fixed_size: 8192
    .kernarg_segment_align: 8
    .kernarg_segment_size: 400
    .language:       OpenCL C
    .language_version:
      - 2
      - 0
    .max_flat_workgroup_size: 256
    .name:           _Z39paged_attention_ll4mi_QKV_mfma16_kernelI14__hip_bfloat16S0_LN4vllm18Fp8KVCacheDataTypeE0EhLi16ELi64ELi256ELb1ELi1EEvPKT_PKT0_S8_ifPKiSA_SA_iPKfiiiPfSD_PS3_PT2_iSC_SC_
    .private_segment_fixed_size: 0
    .sgpr_count:     54
    .sgpr_spill_count: 0
    .symbol:         _Z39paged_attention_ll4mi_QKV_mfma16_kernelI14__hip_bfloat16S0_LN4vllm18Fp8KVCacheDataTypeE0EhLi16ELi64ELi256ELb1ELi1EEvPKT_PKT0_S8_ifPKiSA_SA_iPKfiiiPfSD_PS3_PT2_iSC_SC_.kd
    .uniform_work_group_size: 1
    .uses_dynamic_stack: false
    .vgpr_count:     72
    .vgpr_spill_count: 0
    .wavefront_size: 64
  - .agpr_count:     0
    .args:
      - .actual_access:  read_only
        .address_space:  global
        .offset:         0
        .size:           8
        .value_kind:     global_buffer
      - .actual_access:  read_only
        .address_space:  global
        .offset:         8
        .size:           8
        .value_kind:     global_buffer
      - .actual_access:  read_only
        .address_space:  global
        .offset:         16
        .size:           8
        .value_kind:     global_buffer
      - .offset:         24
        .size:           4
        .value_kind:     by_value
      - .offset:         28
        .size:           4
        .value_kind:     by_value
      - .actual_access:  read_only
        .address_space:  global
        .offset:         32
        .size:           8
        .value_kind:     global_buffer
      - .actual_access:  read_only
        .address_space:  global
        .offset:         40
        .size:           8
        .value_kind:     global_buffer
      - .actual_access:  read_only
        .address_space:  global
        .offset:         48
        .size:           8
        .value_kind:     global_buffer
      - .offset:         56
        .size:           4
        .value_kind:     by_value
      - .actual_access:  read_only
        .address_space:  global
        .offset:         64
        .size:           8
        .value_kind:     global_buffer
      - .offset:         72
        .size:           4
        .value_kind:     by_value
      - .offset:         76
        .size:           4
        .value_kind:     by_value
      - .offset:         80
        .size:           4
        .value_kind:     by_value
      - .actual_access:  write_only
        .address_space:  global
        .offset:         88
        .size:           8
        .value_kind:     global_buffer
      - .actual_access:  write_only
        .address_space:  global
        .offset:         96
        .size:           8
        .value_kind:     global_buffer
      - .actual_access:  write_only
        .address_space:  global
        .offset:         104
        .size:           8
        .value_kind:     global_buffer
      - .actual_access:  read_only
        .address_space:  global
        .offset:         112
        .size:           8
        .value_kind:     global_buffer
      - .offset:         120
        .size:           4
        .value_kind:     by_value
      - .address_space:  global
        .offset:         128
        .size:           8
        .value_kind:     global_buffer
      - .address_space:  global
        .offset:         136
        .size:           8
        .value_kind:     global_buffer
      - .offset:         144
        .size:           4
        .value_kind:     hidden_block_count_x
      - .offset:         148
        .size:           4
        .value_kind:     hidden_block_count_y
      - .offset:         152
        .size:           4
        .value_kind:     hidden_block_count_z
      - .offset:         156
        .size:           2
        .value_kind:     hidden_group_size_x
      - .offset:         158
        .size:           2
        .value_kind:     hidden_group_size_y
      - .offset:         160
        .size:           2
        .value_kind:     hidden_group_size_z
      - .offset:         162
        .size:           2
        .value_kind:     hidden_remainder_x
      - .offset:         164
        .size:           2
        .value_kind:     hidden_remainder_y
      - .offset:         166
        .size:           2
        .value_kind:     hidden_remainder_z
      - .offset:         184
        .size:           8
        .value_kind:     hidden_global_offset_x
      - .offset:         192
        .size:           8
        .value_kind:     hidden_global_offset_y
      - .offset:         200
        .size:           8
        .value_kind:     hidden_global_offset_z
      - .offset:         208
        .size:           2
        .value_kind:     hidden_grid_dims
    .group_segment_fixed_size: 8192
    .kernarg_segment_align: 8
    .kernarg_segment_size: 400
    .language:       OpenCL C
    .language_version:
      - 2
      - 0
    .max_flat_workgroup_size: 256
    .name:           _Z39paged_attention_ll4mi_QKV_mfma16_kernelI14__hip_bfloat16S0_LN4vllm18Fp8KVCacheDataTypeE0EhLi16ELi64ELi256ELb1ELi2EEvPKT_PKT0_S8_ifPKiSA_SA_iPKfiiiPfSD_PS3_PT2_iSC_SC_
    .private_segment_fixed_size: 0
    .sgpr_count:     54
    .sgpr_spill_count: 0
    .symbol:         _Z39paged_attention_ll4mi_QKV_mfma16_kernelI14__hip_bfloat16S0_LN4vllm18Fp8KVCacheDataTypeE0EhLi16ELi64ELi256ELb1ELi2EEvPKT_PKT0_S8_ifPKiSA_SA_iPKfiiiPfSD_PS3_PT2_iSC_SC_.kd
    .uniform_work_group_size: 1
    .uses_dynamic_stack: false
    .vgpr_count:     72
    .vgpr_spill_count: 0
    .wavefront_size: 64
  - .agpr_count:     0
    .args:
      - .actual_access:  read_only
        .address_space:  global
        .offset:         0
        .size:           8
        .value_kind:     global_buffer
      - .actual_access:  read_only
        .address_space:  global
        .offset:         8
        .size:           8
        .value_kind:     global_buffer
      - .actual_access:  read_only
        .address_space:  global
        .offset:         16
        .size:           8
        .value_kind:     global_buffer
      - .offset:         24
        .size:           4
        .value_kind:     by_value
      - .offset:         28
        .size:           4
        .value_kind:     by_value
      - .actual_access:  read_only
        .address_space:  global
        .offset:         32
        .size:           8
        .value_kind:     global_buffer
      - .actual_access:  read_only
        .address_space:  global
        .offset:         40
        .size:           8
        .value_kind:     global_buffer
      - .actual_access:  read_only
        .address_space:  global
        .offset:         48
        .size:           8
        .value_kind:     global_buffer
      - .offset:         56
        .size:           4
        .value_kind:     by_value
      - .actual_access:  read_only
        .address_space:  global
        .offset:         64
        .size:           8
        .value_kind:     global_buffer
      - .offset:         72
        .size:           4
        .value_kind:     by_value
      - .offset:         76
        .size:           4
        .value_kind:     by_value
      - .offset:         80
        .size:           4
        .value_kind:     by_value
      - .actual_access:  write_only
        .address_space:  global
        .offset:         88
        .size:           8
        .value_kind:     global_buffer
      - .actual_access:  write_only
        .address_space:  global
        .offset:         96
        .size:           8
        .value_kind:     global_buffer
      - .actual_access:  write_only
        .address_space:  global
        .offset:         104
        .size:           8
        .value_kind:     global_buffer
      - .actual_access:  read_only
        .address_space:  global
        .offset:         112
        .size:           8
        .value_kind:     global_buffer
      - .offset:         120
        .size:           4
        .value_kind:     by_value
      - .address_space:  global
        .offset:         128
        .size:           8
        .value_kind:     global_buffer
      - .address_space:  global
        .offset:         136
        .size:           8
        .value_kind:     global_buffer
      - .offset:         144
        .size:           4
        .value_kind:     hidden_block_count_x
      - .offset:         148
        .size:           4
        .value_kind:     hidden_block_count_y
      - .offset:         152
        .size:           4
        .value_kind:     hidden_block_count_z
      - .offset:         156
        .size:           2
        .value_kind:     hidden_group_size_x
      - .offset:         158
        .size:           2
        .value_kind:     hidden_group_size_y
      - .offset:         160
        .size:           2
        .value_kind:     hidden_group_size_z
      - .offset:         162
        .size:           2
        .value_kind:     hidden_remainder_x
      - .offset:         164
        .size:           2
        .value_kind:     hidden_remainder_y
      - .offset:         166
        .size:           2
        .value_kind:     hidden_remainder_z
      - .offset:         184
        .size:           8
        .value_kind:     hidden_global_offset_x
      - .offset:         192
        .size:           8
        .value_kind:     hidden_global_offset_y
      - .offset:         200
        .size:           8
        .value_kind:     hidden_global_offset_z
      - .offset:         208
        .size:           2
        .value_kind:     hidden_grid_dims
    .group_segment_fixed_size: 8192
    .kernarg_segment_align: 8
    .kernarg_segment_size: 400
    .language:       OpenCL C
    .language_version:
      - 2
      - 0
    .max_flat_workgroup_size: 256
    .name:           _Z39paged_attention_ll4mi_QKV_mfma16_kernelI14__hip_bfloat16S0_LN4vllm18Fp8KVCacheDataTypeE0EhLi16ELi64ELi256ELb1ELi3EEvPKT_PKT0_S8_ifPKiSA_SA_iPKfiiiPfSD_PS3_PT2_iSC_SC_
    .private_segment_fixed_size: 0
    .sgpr_count:     54
    .sgpr_spill_count: 0
    .symbol:         _Z39paged_attention_ll4mi_QKV_mfma16_kernelI14__hip_bfloat16S0_LN4vllm18Fp8KVCacheDataTypeE0EhLi16ELi64ELi256ELb1ELi3EEvPKT_PKT0_S8_ifPKiSA_SA_iPKfiiiPfSD_PS3_PT2_iSC_SC_.kd
    .uniform_work_group_size: 1
    .uses_dynamic_stack: false
    .vgpr_count:     73
    .vgpr_spill_count: 0
    .wavefront_size: 64
  - .agpr_count:     0
    .args:
      - .actual_access:  read_only
        .address_space:  global
        .offset:         0
        .size:           8
        .value_kind:     global_buffer
      - .actual_access:  read_only
        .address_space:  global
        .offset:         8
        .size:           8
        .value_kind:     global_buffer
      - .actual_access:  read_only
        .address_space:  global
        .offset:         16
        .size:           8
        .value_kind:     global_buffer
      - .offset:         24
        .size:           4
        .value_kind:     by_value
      - .offset:         28
        .size:           4
        .value_kind:     by_value
      - .actual_access:  read_only
        .address_space:  global
        .offset:         32
        .size:           8
        .value_kind:     global_buffer
      - .actual_access:  read_only
        .address_space:  global
        .offset:         40
        .size:           8
        .value_kind:     global_buffer
      - .actual_access:  read_only
        .address_space:  global
        .offset:         48
        .size:           8
        .value_kind:     global_buffer
      - .offset:         56
        .size:           4
        .value_kind:     by_value
      - .actual_access:  read_only
        .address_space:  global
        .offset:         64
        .size:           8
        .value_kind:     global_buffer
      - .offset:         72
        .size:           4
        .value_kind:     by_value
      - .offset:         76
        .size:           4
        .value_kind:     by_value
      - .offset:         80
        .size:           4
        .value_kind:     by_value
      - .actual_access:  write_only
        .address_space:  global
        .offset:         88
        .size:           8
        .value_kind:     global_buffer
      - .actual_access:  write_only
        .address_space:  global
        .offset:         96
        .size:           8
        .value_kind:     global_buffer
      - .actual_access:  write_only
        .address_space:  global
        .offset:         104
        .size:           8
        .value_kind:     global_buffer
      - .actual_access:  read_only
        .address_space:  global
        .offset:         112
        .size:           8
        .value_kind:     global_buffer
      - .offset:         120
        .size:           4
        .value_kind:     by_value
      - .address_space:  global
        .offset:         128
        .size:           8
        .value_kind:     global_buffer
      - .address_space:  global
        .offset:         136
        .size:           8
        .value_kind:     global_buffer
      - .offset:         144
        .size:           4
        .value_kind:     hidden_block_count_x
      - .offset:         148
        .size:           4
        .value_kind:     hidden_block_count_y
      - .offset:         152
        .size:           4
        .value_kind:     hidden_block_count_z
      - .offset:         156
        .size:           2
        .value_kind:     hidden_group_size_x
      - .offset:         158
        .size:           2
        .value_kind:     hidden_group_size_y
      - .offset:         160
        .size:           2
        .value_kind:     hidden_group_size_z
      - .offset:         162
        .size:           2
        .value_kind:     hidden_remainder_x
      - .offset:         164
        .size:           2
        .value_kind:     hidden_remainder_y
      - .offset:         166
        .size:           2
        .value_kind:     hidden_remainder_z
      - .offset:         184
        .size:           8
        .value_kind:     hidden_global_offset_x
      - .offset:         192
        .size:           8
        .value_kind:     hidden_global_offset_y
      - .offset:         200
        .size:           8
        .value_kind:     hidden_global_offset_z
      - .offset:         208
        .size:           2
        .value_kind:     hidden_grid_dims
    .group_segment_fixed_size: 8192
    .kernarg_segment_align: 8
    .kernarg_segment_size: 400
    .language:       OpenCL C
    .language_version:
      - 2
      - 0
    .max_flat_workgroup_size: 256
    .name:           _Z39paged_attention_ll4mi_QKV_mfma16_kernelI14__hip_bfloat16S0_LN4vllm18Fp8KVCacheDataTypeE0EhLi16ELi64ELi256ELb1ELi4EEvPKT_PKT0_S8_ifPKiSA_SA_iPKfiiiPfSD_PS3_PT2_iSC_SC_
    .private_segment_fixed_size: 0
    .sgpr_count:     52
    .sgpr_spill_count: 0
    .symbol:         _Z39paged_attention_ll4mi_QKV_mfma16_kernelI14__hip_bfloat16S0_LN4vllm18Fp8KVCacheDataTypeE0EhLi16ELi64ELi256ELb1ELi4EEvPKT_PKT0_S8_ifPKiSA_SA_iPKfiiiPfSD_PS3_PT2_iSC_SC_.kd
    .uniform_work_group_size: 1
    .uses_dynamic_stack: false
    .vgpr_count:     74
    .vgpr_spill_count: 0
    .wavefront_size: 64
  - .agpr_count:     0
    .args:
      - .actual_access:  write_only
        .address_space:  global
        .offset:         0
        .size:           8
        .value_kind:     global_buffer
      - .actual_access:  read_only
        .address_space:  global
        .offset:         8
        .size:           8
        .value_kind:     global_buffer
      - .actual_access:  read_only
        .address_space:  global
        .offset:         16
        .size:           8
        .value_kind:     global_buffer
      - .actual_access:  read_only
        .address_space:  global
        .offset:         24
        .size:           8
        .value_kind:     global_buffer
      - .actual_access:  read_only
        .address_space:  global
        .offset:         32
        .size:           8
        .value_kind:     global_buffer
      - .actual_access:  read_only
        .address_space:  global
        .offset:         40
        .size:           8
        .value_kind:     global_buffer
      - .offset:         48
        .size:           4
        .value_kind:     by_value
      - .actual_access:  read_only
        .address_space:  global
        .offset:         56
        .size:           8
        .value_kind:     global_buffer
      - .offset:         64
        .size:           4
        .value_kind:     hidden_block_count_x
      - .offset:         68
        .size:           4
        .value_kind:     hidden_block_count_y
      - .offset:         72
        .size:           4
        .value_kind:     hidden_block_count_z
      - .offset:         76
        .size:           2
        .value_kind:     hidden_group_size_x
      - .offset:         78
        .size:           2
        .value_kind:     hidden_group_size_y
      - .offset:         80
        .size:           2
        .value_kind:     hidden_group_size_z
      - .offset:         82
        .size:           2
        .value_kind:     hidden_remainder_x
      - .offset:         84
        .size:           2
        .value_kind:     hidden_remainder_y
      - .offset:         86
        .size:           2
        .value_kind:     hidden_remainder_z
      - .offset:         104
        .size:           8
        .value_kind:     hidden_global_offset_x
      - .offset:         112
        .size:           8
        .value_kind:     hidden_global_offset_y
      - .offset:         120
        .size:           8
        .value_kind:     hidden_global_offset_z
      - .offset:         128
        .size:           2
        .value_kind:     hidden_grid_dims
    .group_segment_fixed_size: 2308
    .kernarg_segment_align: 8
    .kernarg_segment_size: 320
    .language:       OpenCL C
    .language_version:
      - 2
      - 0
    .max_flat_workgroup_size: 64
    .name:           _Z35paged_attention_ll4mi_reduce_kernelI14__hip_bfloat16hLi64ELi64ELi256ELi9EEvPT0_PKfS4_PKT_PKiS9_iS4_
    .private_segment_fixed_size: 0
    .sgpr_count:     53
    .sgpr_spill_count: 0
    .symbol:         _Z35paged_attention_ll4mi_reduce_kernelI14__hip_bfloat16hLi64ELi64ELi256ELi9EEvPT0_PKfS4_PKT_PKiS9_iS4_.kd
    .uniform_work_group_size: 1
    .uses_dynamic_stack: false
    .vgpr_count:     127
    .vgpr_spill_count: 0
    .wavefront_size: 64
  - .agpr_count:     0
    .args:
      - .actual_access:  write_only
        .address_space:  global
        .offset:         0
        .size:           8
        .value_kind:     global_buffer
      - .actual_access:  read_only
        .address_space:  global
        .offset:         8
        .size:           8
        .value_kind:     global_buffer
      - .actual_access:  read_only
        .address_space:  global
        .offset:         16
        .size:           8
        .value_kind:     global_buffer
      - .actual_access:  read_only
        .address_space:  global
        .offset:         24
        .size:           8
        .value_kind:     global_buffer
      - .actual_access:  read_only
        .address_space:  global
        .offset:         32
        .size:           8
        .value_kind:     global_buffer
      - .actual_access:  read_only
        .address_space:  global
        .offset:         40
        .size:           8
        .value_kind:     global_buffer
      - .offset:         48
        .size:           4
        .value_kind:     by_value
      - .actual_access:  read_only
        .address_space:  global
        .offset:         56
        .size:           8
        .value_kind:     global_buffer
      - .offset:         64
        .size:           4
        .value_kind:     hidden_block_count_x
      - .offset:         68
        .size:           4
        .value_kind:     hidden_block_count_y
      - .offset:         72
        .size:           4
        .value_kind:     hidden_block_count_z
      - .offset:         76
        .size:           2
        .value_kind:     hidden_group_size_x
      - .offset:         78
        .size:           2
        .value_kind:     hidden_group_size_y
      - .offset:         80
        .size:           2
        .value_kind:     hidden_group_size_z
      - .offset:         82
        .size:           2
        .value_kind:     hidden_remainder_x
      - .offset:         84
        .size:           2
        .value_kind:     hidden_remainder_y
      - .offset:         86
        .size:           2
        .value_kind:     hidden_remainder_z
      - .offset:         104
        .size:           8
        .value_kind:     hidden_global_offset_x
      - .offset:         112
        .size:           8
        .value_kind:     hidden_global_offset_y
      - .offset:         120
        .size:           8
        .value_kind:     hidden_global_offset_z
      - .offset:         128
        .size:           2
        .value_kind:     hidden_grid_dims
    .group_segment_fixed_size: 2564
    .kernarg_segment_align: 8
    .kernarg_segment_size: 320
    .language:       OpenCL C
    .language_version:
      - 2
      - 0
    .max_flat_workgroup_size: 64
    .name:           _Z35paged_attention_ll4mi_reduce_kernelI14__hip_bfloat16hLi64ELi64ELi256ELi10EEvPT0_PKfS4_PKT_PKiS9_iS4_
    .private_segment_fixed_size: 0
    .sgpr_count:     55
    .sgpr_spill_count: 0
    .symbol:         _Z35paged_attention_ll4mi_reduce_kernelI14__hip_bfloat16hLi64ELi64ELi256ELi10EEvPT0_PKfS4_PKT_PKiS9_iS4_.kd
    .uniform_work_group_size: 1
    .uses_dynamic_stack: false
    .vgpr_count:     127
    .vgpr_spill_count: 0
    .wavefront_size: 64
  - .agpr_count:     0
    .args:
      - .actual_access:  write_only
        .address_space:  global
        .offset:         0
        .size:           8
        .value_kind:     global_buffer
      - .actual_access:  read_only
        .address_space:  global
        .offset:         8
        .size:           8
        .value_kind:     global_buffer
      - .actual_access:  read_only
        .address_space:  global
        .offset:         16
        .size:           8
        .value_kind:     global_buffer
      - .actual_access:  read_only
        .address_space:  global
        .offset:         24
        .size:           8
        .value_kind:     global_buffer
      - .actual_access:  read_only
        .address_space:  global
        .offset:         32
        .size:           8
        .value_kind:     global_buffer
      - .actual_access:  read_only
        .address_space:  global
        .offset:         40
        .size:           8
        .value_kind:     global_buffer
      - .offset:         48
        .size:           4
        .value_kind:     by_value
      - .actual_access:  read_only
        .address_space:  global
        .offset:         56
        .size:           8
        .value_kind:     global_buffer
      - .offset:         64
        .size:           4
        .value_kind:     hidden_block_count_x
      - .offset:         68
        .size:           4
        .value_kind:     hidden_block_count_y
      - .offset:         72
        .size:           4
        .value_kind:     hidden_block_count_z
      - .offset:         76
        .size:           2
        .value_kind:     hidden_group_size_x
      - .offset:         78
        .size:           2
        .value_kind:     hidden_group_size_y
      - .offset:         80
        .size:           2
        .value_kind:     hidden_group_size_z
      - .offset:         82
        .size:           2
        .value_kind:     hidden_remainder_x
      - .offset:         84
        .size:           2
        .value_kind:     hidden_remainder_y
      - .offset:         86
        .size:           2
        .value_kind:     hidden_remainder_z
      - .offset:         104
        .size:           8
        .value_kind:     hidden_global_offset_x
      - .offset:         112
        .size:           8
        .value_kind:     hidden_global_offset_y
      - .offset:         120
        .size:           8
        .value_kind:     hidden_global_offset_z
      - .offset:         128
        .size:           2
        .value_kind:     hidden_grid_dims
    .group_segment_fixed_size: 2820
    .kernarg_segment_align: 8
    .kernarg_segment_size: 320
    .language:       OpenCL C
    .language_version:
      - 2
      - 0
    .max_flat_workgroup_size: 64
    .name:           _Z35paged_attention_ll4mi_reduce_kernelI14__hip_bfloat16hLi64ELi64ELi256ELi11EEvPT0_PKfS4_PKT_PKiS9_iS4_
    .private_segment_fixed_size: 0
    .sgpr_count:     57
    .sgpr_spill_count: 0
    .symbol:         _Z35paged_attention_ll4mi_reduce_kernelI14__hip_bfloat16hLi64ELi64ELi256ELi11EEvPT0_PKfS4_PKT_PKiS9_iS4_.kd
    .uniform_work_group_size: 1
    .uses_dynamic_stack: false
    .vgpr_count:     127
    .vgpr_spill_count: 0
    .wavefront_size: 64
  - .agpr_count:     0
    .args:
      - .actual_access:  write_only
        .address_space:  global
        .offset:         0
        .size:           8
        .value_kind:     global_buffer
      - .actual_access:  read_only
        .address_space:  global
        .offset:         8
        .size:           8
        .value_kind:     global_buffer
      - .actual_access:  read_only
        .address_space:  global
        .offset:         16
        .size:           8
        .value_kind:     global_buffer
      - .actual_access:  read_only
        .address_space:  global
        .offset:         24
        .size:           8
        .value_kind:     global_buffer
      - .actual_access:  read_only
        .address_space:  global
        .offset:         32
        .size:           8
        .value_kind:     global_buffer
      - .actual_access:  read_only
        .address_space:  global
        .offset:         40
        .size:           8
        .value_kind:     global_buffer
      - .offset:         48
        .size:           4
        .value_kind:     by_value
      - .actual_access:  read_only
        .address_space:  global
        .offset:         56
        .size:           8
        .value_kind:     global_buffer
      - .offset:         64
        .size:           4
        .value_kind:     hidden_block_count_x
      - .offset:         68
        .size:           4
        .value_kind:     hidden_block_count_y
      - .offset:         72
        .size:           4
        .value_kind:     hidden_block_count_z
      - .offset:         76
        .size:           2
        .value_kind:     hidden_group_size_x
      - .offset:         78
        .size:           2
        .value_kind:     hidden_group_size_y
      - .offset:         80
        .size:           2
        .value_kind:     hidden_group_size_z
      - .offset:         82
        .size:           2
        .value_kind:     hidden_remainder_x
      - .offset:         84
        .size:           2
        .value_kind:     hidden_remainder_y
      - .offset:         86
        .size:           2
        .value_kind:     hidden_remainder_z
      - .offset:         104
        .size:           8
        .value_kind:     hidden_global_offset_x
      - .offset:         112
        .size:           8
        .value_kind:     hidden_global_offset_y
      - .offset:         120
        .size:           8
        .value_kind:     hidden_global_offset_z
      - .offset:         128
        .size:           2
        .value_kind:     hidden_grid_dims
    .group_segment_fixed_size: 3076
    .kernarg_segment_align: 8
    .kernarg_segment_size: 320
    .language:       OpenCL C
    .language_version:
      - 2
      - 0
    .max_flat_workgroup_size: 64
    .name:           _Z35paged_attention_ll4mi_reduce_kernelI14__hip_bfloat16hLi64ELi64ELi256ELi12EEvPT0_PKfS4_PKT_PKiS9_iS4_
    .private_segment_fixed_size: 0
    .sgpr_count:     59
    .sgpr_spill_count: 0
    .symbol:         _Z35paged_attention_ll4mi_reduce_kernelI14__hip_bfloat16hLi64ELi64ELi256ELi12EEvPT0_PKfS4_PKT_PKiS9_iS4_.kd
    .uniform_work_group_size: 1
    .uses_dynamic_stack: false
    .vgpr_count:     127
    .vgpr_spill_count: 0
    .wavefront_size: 64
  - .agpr_count:     0
    .args:
      - .actual_access:  write_only
        .address_space:  global
        .offset:         0
        .size:           8
        .value_kind:     global_buffer
      - .actual_access:  read_only
        .address_space:  global
        .offset:         8
        .size:           8
        .value_kind:     global_buffer
      - .actual_access:  read_only
        .address_space:  global
        .offset:         16
        .size:           8
        .value_kind:     global_buffer
      - .actual_access:  read_only
        .address_space:  global
        .offset:         24
        .size:           8
        .value_kind:     global_buffer
      - .actual_access:  read_only
        .address_space:  global
        .offset:         32
        .size:           8
        .value_kind:     global_buffer
      - .actual_access:  read_only
        .address_space:  global
        .offset:         40
        .size:           8
        .value_kind:     global_buffer
      - .offset:         48
        .size:           4
        .value_kind:     by_value
      - .actual_access:  read_only
        .address_space:  global
        .offset:         56
        .size:           8
        .value_kind:     global_buffer
      - .offset:         64
        .size:           4
        .value_kind:     hidden_block_count_x
      - .offset:         68
        .size:           4
        .value_kind:     hidden_block_count_y
      - .offset:         72
        .size:           4
        .value_kind:     hidden_block_count_z
      - .offset:         76
        .size:           2
        .value_kind:     hidden_group_size_x
      - .offset:         78
        .size:           2
        .value_kind:     hidden_group_size_y
      - .offset:         80
        .size:           2
        .value_kind:     hidden_group_size_z
      - .offset:         82
        .size:           2
        .value_kind:     hidden_remainder_x
      - .offset:         84
        .size:           2
        .value_kind:     hidden_remainder_y
      - .offset:         86
        .size:           2
        .value_kind:     hidden_remainder_z
      - .offset:         104
        .size:           8
        .value_kind:     hidden_global_offset_x
      - .offset:         112
        .size:           8
        .value_kind:     hidden_global_offset_y
      - .offset:         120
        .size:           8
        .value_kind:     hidden_global_offset_z
      - .offset:         128
        .size:           2
        .value_kind:     hidden_grid_dims
    .group_segment_fixed_size: 3332
    .kernarg_segment_align: 8
    .kernarg_segment_size: 320
    .language:       OpenCL C
    .language_version:
      - 2
      - 0
    .max_flat_workgroup_size: 64
    .name:           _Z35paged_attention_ll4mi_reduce_kernelI14__hip_bfloat16hLi64ELi64ELi256ELi13EEvPT0_PKfS4_PKT_PKiS9_iS4_
    .private_segment_fixed_size: 0
    .sgpr_count:     61
    .sgpr_spill_count: 0
    .symbol:         _Z35paged_attention_ll4mi_reduce_kernelI14__hip_bfloat16hLi64ELi64ELi256ELi13EEvPT0_PKfS4_PKT_PKiS9_iS4_.kd
    .uniform_work_group_size: 1
    .uses_dynamic_stack: false
    .vgpr_count:     127
    .vgpr_spill_count: 0
    .wavefront_size: 64
  - .agpr_count:     0
    .args:
      - .actual_access:  write_only
        .address_space:  global
        .offset:         0
        .size:           8
        .value_kind:     global_buffer
      - .actual_access:  read_only
        .address_space:  global
        .offset:         8
        .size:           8
        .value_kind:     global_buffer
      - .actual_access:  read_only
        .address_space:  global
        .offset:         16
        .size:           8
        .value_kind:     global_buffer
      - .actual_access:  read_only
        .address_space:  global
        .offset:         24
        .size:           8
        .value_kind:     global_buffer
      - .actual_access:  read_only
        .address_space:  global
        .offset:         32
        .size:           8
        .value_kind:     global_buffer
      - .actual_access:  read_only
        .address_space:  global
        .offset:         40
        .size:           8
        .value_kind:     global_buffer
      - .offset:         48
        .size:           4
        .value_kind:     by_value
      - .actual_access:  read_only
        .address_space:  global
        .offset:         56
        .size:           8
        .value_kind:     global_buffer
      - .offset:         64
        .size:           4
        .value_kind:     hidden_block_count_x
      - .offset:         68
        .size:           4
        .value_kind:     hidden_block_count_y
      - .offset:         72
        .size:           4
        .value_kind:     hidden_block_count_z
      - .offset:         76
        .size:           2
        .value_kind:     hidden_group_size_x
      - .offset:         78
        .size:           2
        .value_kind:     hidden_group_size_y
      - .offset:         80
        .size:           2
        .value_kind:     hidden_group_size_z
      - .offset:         82
        .size:           2
        .value_kind:     hidden_remainder_x
      - .offset:         84
        .size:           2
        .value_kind:     hidden_remainder_y
      - .offset:         86
        .size:           2
        .value_kind:     hidden_remainder_z
      - .offset:         104
        .size:           8
        .value_kind:     hidden_global_offset_x
      - .offset:         112
        .size:           8
        .value_kind:     hidden_global_offset_y
      - .offset:         120
        .size:           8
        .value_kind:     hidden_global_offset_z
      - .offset:         128
        .size:           2
        .value_kind:     hidden_grid_dims
    .group_segment_fixed_size: 3588
    .kernarg_segment_align: 8
    .kernarg_segment_size: 320
    .language:       OpenCL C
    .language_version:
      - 2
      - 0
    .max_flat_workgroup_size: 64
    .name:           _Z35paged_attention_ll4mi_reduce_kernelI14__hip_bfloat16hLi64ELi64ELi256ELi14EEvPT0_PKfS4_PKT_PKiS9_iS4_
    .private_segment_fixed_size: 0
    .sgpr_count:     63
    .sgpr_spill_count: 0
    .symbol:         _Z35paged_attention_ll4mi_reduce_kernelI14__hip_bfloat16hLi64ELi64ELi256ELi14EEvPT0_PKfS4_PKT_PKiS9_iS4_.kd
    .uniform_work_group_size: 1
    .uses_dynamic_stack: false
    .vgpr_count:     127
    .vgpr_spill_count: 0
    .wavefront_size: 64
  - .agpr_count:     0
    .args:
      - .actual_access:  write_only
        .address_space:  global
        .offset:         0
        .size:           8
        .value_kind:     global_buffer
      - .actual_access:  read_only
        .address_space:  global
        .offset:         8
        .size:           8
        .value_kind:     global_buffer
      - .actual_access:  read_only
        .address_space:  global
        .offset:         16
        .size:           8
        .value_kind:     global_buffer
      - .actual_access:  read_only
        .address_space:  global
        .offset:         24
        .size:           8
        .value_kind:     global_buffer
      - .actual_access:  read_only
        .address_space:  global
        .offset:         32
        .size:           8
        .value_kind:     global_buffer
      - .actual_access:  read_only
        .address_space:  global
        .offset:         40
        .size:           8
        .value_kind:     global_buffer
      - .offset:         48
        .size:           4
        .value_kind:     by_value
      - .actual_access:  read_only
        .address_space:  global
        .offset:         56
        .size:           8
        .value_kind:     global_buffer
      - .offset:         64
        .size:           4
        .value_kind:     hidden_block_count_x
      - .offset:         68
        .size:           4
        .value_kind:     hidden_block_count_y
      - .offset:         72
        .size:           4
        .value_kind:     hidden_block_count_z
      - .offset:         76
        .size:           2
        .value_kind:     hidden_group_size_x
      - .offset:         78
        .size:           2
        .value_kind:     hidden_group_size_y
      - .offset:         80
        .size:           2
        .value_kind:     hidden_group_size_z
      - .offset:         82
        .size:           2
        .value_kind:     hidden_remainder_x
      - .offset:         84
        .size:           2
        .value_kind:     hidden_remainder_y
      - .offset:         86
        .size:           2
        .value_kind:     hidden_remainder_z
      - .offset:         104
        .size:           8
        .value_kind:     hidden_global_offset_x
      - .offset:         112
        .size:           8
        .value_kind:     hidden_global_offset_y
      - .offset:         120
        .size:           8
        .value_kind:     hidden_global_offset_z
      - .offset:         128
        .size:           2
        .value_kind:     hidden_grid_dims
    .group_segment_fixed_size: 3844
    .kernarg_segment_align: 8
    .kernarg_segment_size: 320
    .language:       OpenCL C
    .language_version:
      - 2
      - 0
    .max_flat_workgroup_size: 64
    .name:           _Z35paged_attention_ll4mi_reduce_kernelI14__hip_bfloat16hLi64ELi64ELi256ELi15EEvPT0_PKfS4_PKT_PKiS9_iS4_
    .private_segment_fixed_size: 0
    .sgpr_count:     65
    .sgpr_spill_count: 0
    .symbol:         _Z35paged_attention_ll4mi_reduce_kernelI14__hip_bfloat16hLi64ELi64ELi256ELi15EEvPT0_PKfS4_PKT_PKiS9_iS4_.kd
    .uniform_work_group_size: 1
    .uses_dynamic_stack: false
    .vgpr_count:     127
    .vgpr_spill_count: 0
    .wavefront_size: 64
  - .agpr_count:     0
    .args:
      - .actual_access:  write_only
        .address_space:  global
        .offset:         0
        .size:           8
        .value_kind:     global_buffer
      - .actual_access:  read_only
        .address_space:  global
        .offset:         8
        .size:           8
        .value_kind:     global_buffer
      - .actual_access:  read_only
        .address_space:  global
        .offset:         16
        .size:           8
        .value_kind:     global_buffer
      - .actual_access:  read_only
        .address_space:  global
        .offset:         24
        .size:           8
        .value_kind:     global_buffer
      - .actual_access:  read_only
        .address_space:  global
        .offset:         32
        .size:           8
        .value_kind:     global_buffer
      - .actual_access:  read_only
        .address_space:  global
        .offset:         40
        .size:           8
        .value_kind:     global_buffer
      - .offset:         48
        .size:           4
        .value_kind:     by_value
      - .actual_access:  read_only
        .address_space:  global
        .offset:         56
        .size:           8
        .value_kind:     global_buffer
      - .offset:         64
        .size:           4
        .value_kind:     hidden_block_count_x
      - .offset:         68
        .size:           4
        .value_kind:     hidden_block_count_y
      - .offset:         72
        .size:           4
        .value_kind:     hidden_block_count_z
      - .offset:         76
        .size:           2
        .value_kind:     hidden_group_size_x
      - .offset:         78
        .size:           2
        .value_kind:     hidden_group_size_y
      - .offset:         80
        .size:           2
        .value_kind:     hidden_group_size_z
      - .offset:         82
        .size:           2
        .value_kind:     hidden_remainder_x
      - .offset:         84
        .size:           2
        .value_kind:     hidden_remainder_y
      - .offset:         86
        .size:           2
        .value_kind:     hidden_remainder_z
      - .offset:         104
        .size:           8
        .value_kind:     hidden_global_offset_x
      - .offset:         112
        .size:           8
        .value_kind:     hidden_global_offset_y
      - .offset:         120
        .size:           8
        .value_kind:     hidden_global_offset_z
      - .offset:         128
        .size:           2
        .value_kind:     hidden_grid_dims
    .group_segment_fixed_size: 4100
    .kernarg_segment_align: 8
    .kernarg_segment_size: 320
    .language:       OpenCL C
    .language_version:
      - 2
      - 0
    .max_flat_workgroup_size: 64
    .name:           _Z35paged_attention_ll4mi_reduce_kernelI14__hip_bfloat16hLi64ELi64ELi256ELi16EEvPT0_PKfS4_PKT_PKiS9_iS4_
    .private_segment_fixed_size: 0
    .sgpr_count:     67
    .sgpr_spill_count: 0
    .symbol:         _Z35paged_attention_ll4mi_reduce_kernelI14__hip_bfloat16hLi64ELi64ELi256ELi16EEvPT0_PKfS4_PKT_PKiS9_iS4_.kd
    .uniform_work_group_size: 1
    .uses_dynamic_stack: false
    .vgpr_count:     124
    .vgpr_spill_count: 0
    .wavefront_size: 64
  - .agpr_count:     4
    .args:
      - .actual_access:  read_only
        .address_space:  global
        .offset:         0
        .size:           8
        .value_kind:     global_buffer
      - .actual_access:  read_only
        .address_space:  global
        .offset:         8
        .size:           8
        .value_kind:     global_buffer
      - .actual_access:  read_only
        .address_space:  global
        .offset:         16
        .size:           8
        .value_kind:     global_buffer
      - .offset:         24
        .size:           4
        .value_kind:     by_value
      - .offset:         28
        .size:           4
        .value_kind:     by_value
      - .actual_access:  read_only
        .address_space:  global
        .offset:         32
        .size:           8
        .value_kind:     global_buffer
      - .actual_access:  read_only
        .address_space:  global
        .offset:         40
        .size:           8
        .value_kind:     global_buffer
      - .actual_access:  read_only
        .address_space:  global
        .offset:         48
        .size:           8
        .value_kind:     global_buffer
      - .offset:         56
        .size:           4
        .value_kind:     by_value
      - .actual_access:  read_only
        .address_space:  global
        .offset:         64
        .size:           8
        .value_kind:     global_buffer
      - .offset:         72
        .size:           4
        .value_kind:     by_value
      - .offset:         76
        .size:           4
        .value_kind:     by_value
      - .offset:         80
        .size:           4
        .value_kind:     by_value
      - .actual_access:  write_only
        .address_space:  global
        .offset:         88
        .size:           8
        .value_kind:     global_buffer
      - .actual_access:  write_only
        .address_space:  global
        .offset:         96
        .size:           8
        .value_kind:     global_buffer
      - .actual_access:  write_only
        .address_space:  global
        .offset:         104
        .size:           8
        .value_kind:     global_buffer
      - .actual_access:  read_only
        .address_space:  global
        .offset:         112
        .size:           8
        .value_kind:     global_buffer
      - .offset:         120
        .size:           4
        .value_kind:     by_value
      - .address_space:  global
        .offset:         128
        .size:           8
        .value_kind:     global_buffer
      - .address_space:  global
        .offset:         136
        .size:           8
        .value_kind:     global_buffer
      - .offset:         144
        .size:           4
        .value_kind:     hidden_block_count_x
      - .offset:         148
        .size:           4
        .value_kind:     hidden_block_count_y
      - .offset:         152
        .size:           4
        .value_kind:     hidden_block_count_z
      - .offset:         156
        .size:           2
        .value_kind:     hidden_group_size_x
      - .offset:         158
        .size:           2
        .value_kind:     hidden_group_size_y
      - .offset:         160
        .size:           2
        .value_kind:     hidden_group_size_z
      - .offset:         162
        .size:           2
        .value_kind:     hidden_remainder_x
      - .offset:         164
        .size:           2
        .value_kind:     hidden_remainder_y
      - .offset:         166
        .size:           2
        .value_kind:     hidden_remainder_z
      - .offset:         184
        .size:           8
        .value_kind:     hidden_global_offset_x
      - .offset:         192
        .size:           8
        .value_kind:     hidden_global_offset_y
      - .offset:         200
        .size:           8
        .value_kind:     hidden_global_offset_z
      - .offset:         208
        .size:           2
        .value_kind:     hidden_grid_dims
    .group_segment_fixed_size: 2720
    .kernarg_segment_align: 8
    .kernarg_segment_size: 400
    .language:       OpenCL C
    .language_version:
      - 2
      - 0
    .max_flat_workgroup_size: 256
    .name:           _Z38paged_attention_ll4mi_QKV_mfma4_kernelI14__hip_bfloat16S0_LN4vllm18Fp8KVCacheDataTypeE0EhLi16ELi64ELi256ELb0ELi1EEvPKT_PKT0_S8_ifPKiSA_SA_iPKfiiiPfSD_PS3_PT2_iSC_SC_
    .private_segment_fixed_size: 0
    .sgpr_count:     44
    .sgpr_spill_count: 0
    .symbol:         _Z38paged_attention_ll4mi_QKV_mfma4_kernelI14__hip_bfloat16S0_LN4vllm18Fp8KVCacheDataTypeE0EhLi16ELi64ELi256ELb0ELi1EEvPKT_PKT0_S8_ifPKiSA_SA_iPKfiiiPfSD_PS3_PT2_iSC_SC_.kd
    .uniform_work_group_size: 1
    .uses_dynamic_stack: false
    .vgpr_count:     68
    .vgpr_spill_count: 0
    .wavefront_size: 64
  - .agpr_count:     4
    .args:
      - .actual_access:  read_only
        .address_space:  global
        .offset:         0
        .size:           8
        .value_kind:     global_buffer
      - .actual_access:  read_only
        .address_space:  global
        .offset:         8
        .size:           8
        .value_kind:     global_buffer
      - .actual_access:  read_only
        .address_space:  global
        .offset:         16
        .size:           8
        .value_kind:     global_buffer
      - .offset:         24
        .size:           4
        .value_kind:     by_value
      - .offset:         28
        .size:           4
        .value_kind:     by_value
      - .actual_access:  read_only
        .address_space:  global
        .offset:         32
        .size:           8
        .value_kind:     global_buffer
      - .actual_access:  read_only
        .address_space:  global
        .offset:         40
        .size:           8
        .value_kind:     global_buffer
      - .actual_access:  read_only
        .address_space:  global
        .offset:         48
        .size:           8
        .value_kind:     global_buffer
      - .offset:         56
        .size:           4
        .value_kind:     by_value
      - .actual_access:  read_only
        .address_space:  global
        .offset:         64
        .size:           8
        .value_kind:     global_buffer
      - .offset:         72
        .size:           4
        .value_kind:     by_value
      - .offset:         76
        .size:           4
        .value_kind:     by_value
      - .offset:         80
        .size:           4
        .value_kind:     by_value
      - .actual_access:  write_only
        .address_space:  global
        .offset:         88
        .size:           8
        .value_kind:     global_buffer
      - .actual_access:  write_only
        .address_space:  global
        .offset:         96
        .size:           8
        .value_kind:     global_buffer
      - .actual_access:  write_only
        .address_space:  global
        .offset:         104
        .size:           8
        .value_kind:     global_buffer
      - .actual_access:  read_only
        .address_space:  global
        .offset:         112
        .size:           8
        .value_kind:     global_buffer
      - .offset:         120
        .size:           4
        .value_kind:     by_value
      - .address_space:  global
        .offset:         128
        .size:           8
        .value_kind:     global_buffer
      - .address_space:  global
        .offset:         136
        .size:           8
        .value_kind:     global_buffer
      - .offset:         144
        .size:           4
        .value_kind:     hidden_block_count_x
      - .offset:         148
        .size:           4
        .value_kind:     hidden_block_count_y
      - .offset:         152
        .size:           4
        .value_kind:     hidden_block_count_z
      - .offset:         156
        .size:           2
        .value_kind:     hidden_group_size_x
      - .offset:         158
        .size:           2
        .value_kind:     hidden_group_size_y
      - .offset:         160
        .size:           2
        .value_kind:     hidden_group_size_z
      - .offset:         162
        .size:           2
        .value_kind:     hidden_remainder_x
      - .offset:         164
        .size:           2
        .value_kind:     hidden_remainder_y
      - .offset:         166
        .size:           2
        .value_kind:     hidden_remainder_z
      - .offset:         184
        .size:           8
        .value_kind:     hidden_global_offset_x
      - .offset:         192
        .size:           8
        .value_kind:     hidden_global_offset_y
      - .offset:         200
        .size:           8
        .value_kind:     hidden_global_offset_z
      - .offset:         208
        .size:           2
        .value_kind:     hidden_grid_dims
    .group_segment_fixed_size: 2720
    .kernarg_segment_align: 8
    .kernarg_segment_size: 400
    .language:       OpenCL C
    .language_version:
      - 2
      - 0
    .max_flat_workgroup_size: 256
    .name:           _Z38paged_attention_ll4mi_QKV_mfma4_kernelI14__hip_bfloat16S0_LN4vllm18Fp8KVCacheDataTypeE0EhLi16ELi64ELi256ELb0ELi2EEvPKT_PKT0_S8_ifPKiSA_SA_iPKfiiiPfSD_PS3_PT2_iSC_SC_
    .private_segment_fixed_size: 0
    .sgpr_count:     44
    .sgpr_spill_count: 0
    .symbol:         _Z38paged_attention_ll4mi_QKV_mfma4_kernelI14__hip_bfloat16S0_LN4vllm18Fp8KVCacheDataTypeE0EhLi16ELi64ELi256ELb0ELi2EEvPKT_PKT0_S8_ifPKiSA_SA_iPKfiiiPfSD_PS3_PT2_iSC_SC_.kd
    .uniform_work_group_size: 1
    .uses_dynamic_stack: false
    .vgpr_count:     68
    .vgpr_spill_count: 0
    .wavefront_size: 64
  - .agpr_count:     4
    .args:
      - .actual_access:  read_only
        .address_space:  global
        .offset:         0
        .size:           8
        .value_kind:     global_buffer
      - .actual_access:  read_only
        .address_space:  global
        .offset:         8
        .size:           8
        .value_kind:     global_buffer
      - .actual_access:  read_only
        .address_space:  global
        .offset:         16
        .size:           8
        .value_kind:     global_buffer
      - .offset:         24
        .size:           4
        .value_kind:     by_value
      - .offset:         28
        .size:           4
        .value_kind:     by_value
      - .actual_access:  read_only
        .address_space:  global
        .offset:         32
        .size:           8
        .value_kind:     global_buffer
      - .actual_access:  read_only
        .address_space:  global
        .offset:         40
        .size:           8
        .value_kind:     global_buffer
      - .actual_access:  read_only
        .address_space:  global
        .offset:         48
        .size:           8
        .value_kind:     global_buffer
      - .offset:         56
        .size:           4
        .value_kind:     by_value
      - .actual_access:  read_only
        .address_space:  global
        .offset:         64
        .size:           8
        .value_kind:     global_buffer
      - .offset:         72
        .size:           4
        .value_kind:     by_value
      - .offset:         76
        .size:           4
        .value_kind:     by_value
      - .offset:         80
        .size:           4
        .value_kind:     by_value
      - .actual_access:  write_only
        .address_space:  global
        .offset:         88
        .size:           8
        .value_kind:     global_buffer
      - .actual_access:  write_only
        .address_space:  global
        .offset:         96
        .size:           8
        .value_kind:     global_buffer
      - .actual_access:  write_only
        .address_space:  global
        .offset:         104
        .size:           8
        .value_kind:     global_buffer
      - .actual_access:  read_only
        .address_space:  global
        .offset:         112
        .size:           8
        .value_kind:     global_buffer
      - .offset:         120
        .size:           4
        .value_kind:     by_value
      - .address_space:  global
        .offset:         128
        .size:           8
        .value_kind:     global_buffer
      - .address_space:  global
        .offset:         136
        .size:           8
        .value_kind:     global_buffer
      - .offset:         144
        .size:           4
        .value_kind:     hidden_block_count_x
      - .offset:         148
        .size:           4
        .value_kind:     hidden_block_count_y
      - .offset:         152
        .size:           4
        .value_kind:     hidden_block_count_z
      - .offset:         156
        .size:           2
        .value_kind:     hidden_group_size_x
      - .offset:         158
        .size:           2
        .value_kind:     hidden_group_size_y
      - .offset:         160
        .size:           2
        .value_kind:     hidden_group_size_z
      - .offset:         162
        .size:           2
        .value_kind:     hidden_remainder_x
      - .offset:         164
        .size:           2
        .value_kind:     hidden_remainder_y
      - .offset:         166
        .size:           2
        .value_kind:     hidden_remainder_z
      - .offset:         184
        .size:           8
        .value_kind:     hidden_global_offset_x
      - .offset:         192
        .size:           8
        .value_kind:     hidden_global_offset_y
      - .offset:         200
        .size:           8
        .value_kind:     hidden_global_offset_z
      - .offset:         208
        .size:           2
        .value_kind:     hidden_grid_dims
    .group_segment_fixed_size: 2720
    .kernarg_segment_align: 8
    .kernarg_segment_size: 400
    .language:       OpenCL C
    .language_version:
      - 2
      - 0
    .max_flat_workgroup_size: 256
    .name:           _Z38paged_attention_ll4mi_QKV_mfma4_kernelI14__hip_bfloat16S0_LN4vllm18Fp8KVCacheDataTypeE0EhLi16ELi64ELi256ELb0ELi3EEvPKT_PKT0_S8_ifPKiSA_SA_iPKfiiiPfSD_PS3_PT2_iSC_SC_
    .private_segment_fixed_size: 0
    .sgpr_count:     44
    .sgpr_spill_count: 0
    .symbol:         _Z38paged_attention_ll4mi_QKV_mfma4_kernelI14__hip_bfloat16S0_LN4vllm18Fp8KVCacheDataTypeE0EhLi16ELi64ELi256ELb0ELi3EEvPKT_PKT0_S8_ifPKiSA_SA_iPKfiiiPfSD_PS3_PT2_iSC_SC_.kd
    .uniform_work_group_size: 1
    .uses_dynamic_stack: false
    .vgpr_count:     68
    .vgpr_spill_count: 0
    .wavefront_size: 64
  - .agpr_count:     4
    .args:
      - .actual_access:  read_only
        .address_space:  global
        .offset:         0
        .size:           8
        .value_kind:     global_buffer
      - .actual_access:  read_only
        .address_space:  global
        .offset:         8
        .size:           8
        .value_kind:     global_buffer
      - .actual_access:  read_only
        .address_space:  global
        .offset:         16
        .size:           8
        .value_kind:     global_buffer
      - .offset:         24
        .size:           4
        .value_kind:     by_value
      - .offset:         28
        .size:           4
        .value_kind:     by_value
      - .actual_access:  read_only
        .address_space:  global
        .offset:         32
        .size:           8
        .value_kind:     global_buffer
      - .actual_access:  read_only
        .address_space:  global
        .offset:         40
        .size:           8
        .value_kind:     global_buffer
      - .actual_access:  read_only
        .address_space:  global
        .offset:         48
        .size:           8
        .value_kind:     global_buffer
      - .offset:         56
        .size:           4
        .value_kind:     by_value
      - .actual_access:  read_only
        .address_space:  global
        .offset:         64
        .size:           8
        .value_kind:     global_buffer
      - .offset:         72
        .size:           4
        .value_kind:     by_value
      - .offset:         76
        .size:           4
        .value_kind:     by_value
      - .offset:         80
        .size:           4
        .value_kind:     by_value
      - .actual_access:  write_only
        .address_space:  global
        .offset:         88
        .size:           8
        .value_kind:     global_buffer
      - .actual_access:  write_only
        .address_space:  global
        .offset:         96
        .size:           8
        .value_kind:     global_buffer
      - .actual_access:  write_only
        .address_space:  global
        .offset:         104
        .size:           8
        .value_kind:     global_buffer
      - .actual_access:  read_only
        .address_space:  global
        .offset:         112
        .size:           8
        .value_kind:     global_buffer
      - .offset:         120
        .size:           4
        .value_kind:     by_value
      - .address_space:  global
        .offset:         128
        .size:           8
        .value_kind:     global_buffer
      - .address_space:  global
        .offset:         136
        .size:           8
        .value_kind:     global_buffer
      - .offset:         144
        .size:           4
        .value_kind:     hidden_block_count_x
      - .offset:         148
        .size:           4
        .value_kind:     hidden_block_count_y
      - .offset:         152
        .size:           4
        .value_kind:     hidden_block_count_z
      - .offset:         156
        .size:           2
        .value_kind:     hidden_group_size_x
      - .offset:         158
        .size:           2
        .value_kind:     hidden_group_size_y
      - .offset:         160
        .size:           2
        .value_kind:     hidden_group_size_z
      - .offset:         162
        .size:           2
        .value_kind:     hidden_remainder_x
      - .offset:         164
        .size:           2
        .value_kind:     hidden_remainder_y
      - .offset:         166
        .size:           2
        .value_kind:     hidden_remainder_z
      - .offset:         184
        .size:           8
        .value_kind:     hidden_global_offset_x
      - .offset:         192
        .size:           8
        .value_kind:     hidden_global_offset_y
      - .offset:         200
        .size:           8
        .value_kind:     hidden_global_offset_z
      - .offset:         208
        .size:           2
        .value_kind:     hidden_grid_dims
    .group_segment_fixed_size: 2720
    .kernarg_segment_align: 8
    .kernarg_segment_size: 400
    .language:       OpenCL C
    .language_version:
      - 2
      - 0
    .max_flat_workgroup_size: 256
    .name:           _Z38paged_attention_ll4mi_QKV_mfma4_kernelI14__hip_bfloat16S0_LN4vllm18Fp8KVCacheDataTypeE0EhLi16ELi64ELi256ELb0ELi4EEvPKT_PKT0_S8_ifPKiSA_SA_iPKfiiiPfSD_PS3_PT2_iSC_SC_
    .private_segment_fixed_size: 0
    .sgpr_count:     44
    .sgpr_spill_count: 0
    .symbol:         _Z38paged_attention_ll4mi_QKV_mfma4_kernelI14__hip_bfloat16S0_LN4vllm18Fp8KVCacheDataTypeE0EhLi16ELi64ELi256ELb0ELi4EEvPKT_PKT0_S8_ifPKiSA_SA_iPKfiiiPfSD_PS3_PT2_iSC_SC_.kd
    .uniform_work_group_size: 1
    .uses_dynamic_stack: false
    .vgpr_count:     68
    .vgpr_spill_count: 0
    .wavefront_size: 64
  - .agpr_count:     0
    .args:
      - .actual_access:  read_only
        .address_space:  global
        .offset:         0
        .size:           8
        .value_kind:     global_buffer
      - .actual_access:  read_only
        .address_space:  global
        .offset:         8
        .size:           8
        .value_kind:     global_buffer
      - .actual_access:  read_only
        .address_space:  global
        .offset:         16
        .size:           8
        .value_kind:     global_buffer
      - .offset:         24
        .size:           4
        .value_kind:     by_value
      - .offset:         28
        .size:           4
        .value_kind:     by_value
      - .actual_access:  read_only
        .address_space:  global
        .offset:         32
        .size:           8
        .value_kind:     global_buffer
      - .actual_access:  read_only
        .address_space:  global
        .offset:         40
        .size:           8
        .value_kind:     global_buffer
      - .actual_access:  read_only
        .address_space:  global
        .offset:         48
        .size:           8
        .value_kind:     global_buffer
      - .offset:         56
        .size:           4
        .value_kind:     by_value
      - .actual_access:  read_only
        .address_space:  global
        .offset:         64
        .size:           8
        .value_kind:     global_buffer
      - .offset:         72
        .size:           4
        .value_kind:     by_value
      - .offset:         76
        .size:           4
        .value_kind:     by_value
      - .offset:         80
        .size:           4
        .value_kind:     by_value
      - .actual_access:  write_only
        .address_space:  global
        .offset:         88
        .size:           8
        .value_kind:     global_buffer
      - .actual_access:  write_only
        .address_space:  global
        .offset:         96
        .size:           8
        .value_kind:     global_buffer
      - .actual_access:  write_only
        .address_space:  global
        .offset:         104
        .size:           8
        .value_kind:     global_buffer
      - .actual_access:  read_only
        .address_space:  global
        .offset:         112
        .size:           8
        .value_kind:     global_buffer
      - .offset:         120
        .size:           4
        .value_kind:     by_value
      - .address_space:  global
        .offset:         128
        .size:           8
        .value_kind:     global_buffer
      - .address_space:  global
        .offset:         136
        .size:           8
        .value_kind:     global_buffer
      - .offset:         144
        .size:           4
        .value_kind:     hidden_block_count_x
      - .offset:         148
        .size:           4
        .value_kind:     hidden_block_count_y
      - .offset:         152
        .size:           4
        .value_kind:     hidden_block_count_z
      - .offset:         156
        .size:           2
        .value_kind:     hidden_group_size_x
      - .offset:         158
        .size:           2
        .value_kind:     hidden_group_size_y
      - .offset:         160
        .size:           2
        .value_kind:     hidden_group_size_z
      - .offset:         162
        .size:           2
        .value_kind:     hidden_remainder_x
      - .offset:         164
        .size:           2
        .value_kind:     hidden_remainder_y
      - .offset:         166
        .size:           2
        .value_kind:     hidden_remainder_z
      - .offset:         184
        .size:           8
        .value_kind:     hidden_global_offset_x
      - .offset:         192
        .size:           8
        .value_kind:     hidden_global_offset_y
      - .offset:         200
        .size:           8
        .value_kind:     hidden_global_offset_z
      - .offset:         208
        .size:           2
        .value_kind:     hidden_grid_dims
    .group_segment_fixed_size: 8192
    .kernarg_segment_align: 8
    .kernarg_segment_size: 400
    .language:       OpenCL C
    .language_version:
      - 2
      - 0
    .max_flat_workgroup_size: 256
    .name:           _Z39paged_attention_ll4mi_QKV_mfma16_kernelI14__hip_bfloat16S0_LN4vllm18Fp8KVCacheDataTypeE0EhLi16ELi64ELi256ELb0ELi5EEvPKT_PKT0_S8_ifPKiSA_SA_iPKfiiiPfSD_PS3_PT2_iSC_SC_
    .private_segment_fixed_size: 0
    .sgpr_count:     54
    .sgpr_spill_count: 0
    .symbol:         _Z39paged_attention_ll4mi_QKV_mfma16_kernelI14__hip_bfloat16S0_LN4vllm18Fp8KVCacheDataTypeE0EhLi16ELi64ELi256ELb0ELi5EEvPKT_PKT0_S8_ifPKiSA_SA_iPKfiiiPfSD_PS3_PT2_iSC_SC_.kd
    .uniform_work_group_size: 1
    .uses_dynamic_stack: false
    .vgpr_count:     69
    .vgpr_spill_count: 0
    .wavefront_size: 64
  - .agpr_count:     0
    .args:
      - .actual_access:  read_only
        .address_space:  global
        .offset:         0
        .size:           8
        .value_kind:     global_buffer
      - .actual_access:  read_only
        .address_space:  global
        .offset:         8
        .size:           8
        .value_kind:     global_buffer
      - .actual_access:  read_only
        .address_space:  global
        .offset:         16
        .size:           8
        .value_kind:     global_buffer
      - .offset:         24
        .size:           4
        .value_kind:     by_value
      - .offset:         28
        .size:           4
        .value_kind:     by_value
      - .actual_access:  read_only
        .address_space:  global
        .offset:         32
        .size:           8
        .value_kind:     global_buffer
      - .actual_access:  read_only
        .address_space:  global
        .offset:         40
        .size:           8
        .value_kind:     global_buffer
      - .actual_access:  read_only
        .address_space:  global
        .offset:         48
        .size:           8
        .value_kind:     global_buffer
      - .offset:         56
        .size:           4
        .value_kind:     by_value
      - .actual_access:  read_only
        .address_space:  global
        .offset:         64
        .size:           8
        .value_kind:     global_buffer
      - .offset:         72
        .size:           4
        .value_kind:     by_value
      - .offset:         76
        .size:           4
        .value_kind:     by_value
      - .offset:         80
        .size:           4
        .value_kind:     by_value
      - .actual_access:  write_only
        .address_space:  global
        .offset:         88
        .size:           8
        .value_kind:     global_buffer
      - .actual_access:  write_only
        .address_space:  global
        .offset:         96
        .size:           8
        .value_kind:     global_buffer
      - .actual_access:  write_only
        .address_space:  global
        .offset:         104
        .size:           8
        .value_kind:     global_buffer
      - .actual_access:  read_only
        .address_space:  global
        .offset:         112
        .size:           8
        .value_kind:     global_buffer
      - .offset:         120
        .size:           4
        .value_kind:     by_value
      - .address_space:  global
        .offset:         128
        .size:           8
        .value_kind:     global_buffer
      - .address_space:  global
        .offset:         136
        .size:           8
        .value_kind:     global_buffer
      - .offset:         144
        .size:           4
        .value_kind:     hidden_block_count_x
      - .offset:         148
        .size:           4
        .value_kind:     hidden_block_count_y
      - .offset:         152
        .size:           4
        .value_kind:     hidden_block_count_z
      - .offset:         156
        .size:           2
        .value_kind:     hidden_group_size_x
      - .offset:         158
        .size:           2
        .value_kind:     hidden_group_size_y
      - .offset:         160
        .size:           2
        .value_kind:     hidden_group_size_z
      - .offset:         162
        .size:           2
        .value_kind:     hidden_remainder_x
      - .offset:         164
        .size:           2
        .value_kind:     hidden_remainder_y
      - .offset:         166
        .size:           2
        .value_kind:     hidden_remainder_z
      - .offset:         184
        .size:           8
        .value_kind:     hidden_global_offset_x
      - .offset:         192
        .size:           8
        .value_kind:     hidden_global_offset_y
      - .offset:         200
        .size:           8
        .value_kind:     hidden_global_offset_z
      - .offset:         208
        .size:           2
        .value_kind:     hidden_grid_dims
    .group_segment_fixed_size: 8192
    .kernarg_segment_align: 8
    .kernarg_segment_size: 400
    .language:       OpenCL C
    .language_version:
      - 2
      - 0
    .max_flat_workgroup_size: 256
    .name:           _Z39paged_attention_ll4mi_QKV_mfma16_kernelI14__hip_bfloat16S0_LN4vllm18Fp8KVCacheDataTypeE0EhLi16ELi64ELi256ELb0ELi6EEvPKT_PKT0_S8_ifPKiSA_SA_iPKfiiiPfSD_PS3_PT2_iSC_SC_
    .private_segment_fixed_size: 0
    .sgpr_count:     54
    .sgpr_spill_count: 0
    .symbol:         _Z39paged_attention_ll4mi_QKV_mfma16_kernelI14__hip_bfloat16S0_LN4vllm18Fp8KVCacheDataTypeE0EhLi16ELi64ELi256ELb0ELi6EEvPKT_PKT0_S8_ifPKiSA_SA_iPKfiiiPfSD_PS3_PT2_iSC_SC_.kd
    .uniform_work_group_size: 1
    .uses_dynamic_stack: false
    .vgpr_count:     69
    .vgpr_spill_count: 0
    .wavefront_size: 64
  - .agpr_count:     0
    .args:
      - .actual_access:  read_only
        .address_space:  global
        .offset:         0
        .size:           8
        .value_kind:     global_buffer
      - .actual_access:  read_only
        .address_space:  global
        .offset:         8
        .size:           8
        .value_kind:     global_buffer
      - .actual_access:  read_only
        .address_space:  global
        .offset:         16
        .size:           8
        .value_kind:     global_buffer
      - .offset:         24
        .size:           4
        .value_kind:     by_value
      - .offset:         28
        .size:           4
        .value_kind:     by_value
      - .actual_access:  read_only
        .address_space:  global
        .offset:         32
        .size:           8
        .value_kind:     global_buffer
      - .actual_access:  read_only
        .address_space:  global
        .offset:         40
        .size:           8
        .value_kind:     global_buffer
      - .actual_access:  read_only
        .address_space:  global
        .offset:         48
        .size:           8
        .value_kind:     global_buffer
      - .offset:         56
        .size:           4
        .value_kind:     by_value
      - .actual_access:  read_only
        .address_space:  global
        .offset:         64
        .size:           8
        .value_kind:     global_buffer
      - .offset:         72
        .size:           4
        .value_kind:     by_value
      - .offset:         76
        .size:           4
        .value_kind:     by_value
      - .offset:         80
        .size:           4
        .value_kind:     by_value
      - .actual_access:  write_only
        .address_space:  global
        .offset:         88
        .size:           8
        .value_kind:     global_buffer
      - .actual_access:  write_only
        .address_space:  global
        .offset:         96
        .size:           8
        .value_kind:     global_buffer
      - .actual_access:  write_only
        .address_space:  global
        .offset:         104
        .size:           8
        .value_kind:     global_buffer
      - .actual_access:  read_only
        .address_space:  global
        .offset:         112
        .size:           8
        .value_kind:     global_buffer
      - .offset:         120
        .size:           4
        .value_kind:     by_value
      - .address_space:  global
        .offset:         128
        .size:           8
        .value_kind:     global_buffer
      - .address_space:  global
        .offset:         136
        .size:           8
        .value_kind:     global_buffer
      - .offset:         144
        .size:           4
        .value_kind:     hidden_block_count_x
      - .offset:         148
        .size:           4
        .value_kind:     hidden_block_count_y
      - .offset:         152
        .size:           4
        .value_kind:     hidden_block_count_z
      - .offset:         156
        .size:           2
        .value_kind:     hidden_group_size_x
      - .offset:         158
        .size:           2
        .value_kind:     hidden_group_size_y
      - .offset:         160
        .size:           2
        .value_kind:     hidden_group_size_z
      - .offset:         162
        .size:           2
        .value_kind:     hidden_remainder_x
      - .offset:         164
        .size:           2
        .value_kind:     hidden_remainder_y
      - .offset:         166
        .size:           2
        .value_kind:     hidden_remainder_z
      - .offset:         184
        .size:           8
        .value_kind:     hidden_global_offset_x
      - .offset:         192
        .size:           8
        .value_kind:     hidden_global_offset_y
      - .offset:         200
        .size:           8
        .value_kind:     hidden_global_offset_z
      - .offset:         208
        .size:           2
        .value_kind:     hidden_grid_dims
    .group_segment_fixed_size: 8192
    .kernarg_segment_align: 8
    .kernarg_segment_size: 400
    .language:       OpenCL C
    .language_version:
      - 2
      - 0
    .max_flat_workgroup_size: 256
    .name:           _Z39paged_attention_ll4mi_QKV_mfma16_kernelI14__hip_bfloat16S0_LN4vllm18Fp8KVCacheDataTypeE0EhLi16ELi64ELi256ELb0ELi7EEvPKT_PKT0_S8_ifPKiSA_SA_iPKfiiiPfSD_PS3_PT2_iSC_SC_
    .private_segment_fixed_size: 0
    .sgpr_count:     54
    .sgpr_spill_count: 0
    .symbol:         _Z39paged_attention_ll4mi_QKV_mfma16_kernelI14__hip_bfloat16S0_LN4vllm18Fp8KVCacheDataTypeE0EhLi16ELi64ELi256ELb0ELi7EEvPKT_PKT0_S8_ifPKiSA_SA_iPKfiiiPfSD_PS3_PT2_iSC_SC_.kd
    .uniform_work_group_size: 1
    .uses_dynamic_stack: false
    .vgpr_count:     69
    .vgpr_spill_count: 0
    .wavefront_size: 64
  - .agpr_count:     0
    .args:
      - .actual_access:  read_only
        .address_space:  global
        .offset:         0
        .size:           8
        .value_kind:     global_buffer
      - .actual_access:  read_only
        .address_space:  global
        .offset:         8
        .size:           8
        .value_kind:     global_buffer
      - .actual_access:  read_only
        .address_space:  global
        .offset:         16
        .size:           8
        .value_kind:     global_buffer
      - .offset:         24
        .size:           4
        .value_kind:     by_value
      - .offset:         28
        .size:           4
        .value_kind:     by_value
      - .actual_access:  read_only
        .address_space:  global
        .offset:         32
        .size:           8
        .value_kind:     global_buffer
      - .actual_access:  read_only
        .address_space:  global
        .offset:         40
        .size:           8
        .value_kind:     global_buffer
      - .actual_access:  read_only
        .address_space:  global
        .offset:         48
        .size:           8
        .value_kind:     global_buffer
      - .offset:         56
        .size:           4
        .value_kind:     by_value
      - .actual_access:  read_only
        .address_space:  global
        .offset:         64
        .size:           8
        .value_kind:     global_buffer
      - .offset:         72
        .size:           4
        .value_kind:     by_value
      - .offset:         76
        .size:           4
        .value_kind:     by_value
      - .offset:         80
        .size:           4
        .value_kind:     by_value
      - .actual_access:  write_only
        .address_space:  global
        .offset:         88
        .size:           8
        .value_kind:     global_buffer
      - .actual_access:  write_only
        .address_space:  global
        .offset:         96
        .size:           8
        .value_kind:     global_buffer
      - .actual_access:  write_only
        .address_space:  global
        .offset:         104
        .size:           8
        .value_kind:     global_buffer
      - .actual_access:  read_only
        .address_space:  global
        .offset:         112
        .size:           8
        .value_kind:     global_buffer
      - .offset:         120
        .size:           4
        .value_kind:     by_value
      - .address_space:  global
        .offset:         128
        .size:           8
        .value_kind:     global_buffer
      - .address_space:  global
        .offset:         136
        .size:           8
        .value_kind:     global_buffer
      - .offset:         144
        .size:           4
        .value_kind:     hidden_block_count_x
      - .offset:         148
        .size:           4
        .value_kind:     hidden_block_count_y
      - .offset:         152
        .size:           4
        .value_kind:     hidden_block_count_z
      - .offset:         156
        .size:           2
        .value_kind:     hidden_group_size_x
      - .offset:         158
        .size:           2
        .value_kind:     hidden_group_size_y
      - .offset:         160
        .size:           2
        .value_kind:     hidden_group_size_z
      - .offset:         162
        .size:           2
        .value_kind:     hidden_remainder_x
      - .offset:         164
        .size:           2
        .value_kind:     hidden_remainder_y
      - .offset:         166
        .size:           2
        .value_kind:     hidden_remainder_z
      - .offset:         184
        .size:           8
        .value_kind:     hidden_global_offset_x
      - .offset:         192
        .size:           8
        .value_kind:     hidden_global_offset_y
      - .offset:         200
        .size:           8
        .value_kind:     hidden_global_offset_z
      - .offset:         208
        .size:           2
        .value_kind:     hidden_grid_dims
    .group_segment_fixed_size: 8192
    .kernarg_segment_align: 8
    .kernarg_segment_size: 400
    .language:       OpenCL C
    .language_version:
      - 2
      - 0
    .max_flat_workgroup_size: 256
    .name:           _Z39paged_attention_ll4mi_QKV_mfma16_kernelI14__hip_bfloat16S0_LN4vllm18Fp8KVCacheDataTypeE0EhLi16ELi64ELi256ELb0ELi8EEvPKT_PKT0_S8_ifPKiSA_SA_iPKfiiiPfSD_PS3_PT2_iSC_SC_
    .private_segment_fixed_size: 0
    .sgpr_count:     54
    .sgpr_spill_count: 0
    .symbol:         _Z39paged_attention_ll4mi_QKV_mfma16_kernelI14__hip_bfloat16S0_LN4vllm18Fp8KVCacheDataTypeE0EhLi16ELi64ELi256ELb0ELi8EEvPKT_PKT0_S8_ifPKiSA_SA_iPKfiiiPfSD_PS3_PT2_iSC_SC_.kd
    .uniform_work_group_size: 1
    .uses_dynamic_stack: false
    .vgpr_count:     69
    .vgpr_spill_count: 0
    .wavefront_size: 64
  - .agpr_count:     0
    .args:
      - .actual_access:  read_only
        .address_space:  global
        .offset:         0
        .size:           8
        .value_kind:     global_buffer
      - .actual_access:  read_only
        .address_space:  global
        .offset:         8
        .size:           8
        .value_kind:     global_buffer
      - .actual_access:  read_only
        .address_space:  global
        .offset:         16
        .size:           8
        .value_kind:     global_buffer
      - .offset:         24
        .size:           4
        .value_kind:     by_value
      - .offset:         28
        .size:           4
        .value_kind:     by_value
      - .actual_access:  read_only
        .address_space:  global
        .offset:         32
        .size:           8
        .value_kind:     global_buffer
      - .actual_access:  read_only
        .address_space:  global
        .offset:         40
        .size:           8
        .value_kind:     global_buffer
      - .actual_access:  read_only
        .address_space:  global
        .offset:         48
        .size:           8
        .value_kind:     global_buffer
      - .offset:         56
        .size:           4
        .value_kind:     by_value
      - .actual_access:  read_only
        .address_space:  global
        .offset:         64
        .size:           8
        .value_kind:     global_buffer
      - .offset:         72
        .size:           4
        .value_kind:     by_value
      - .offset:         76
        .size:           4
        .value_kind:     by_value
      - .offset:         80
        .size:           4
        .value_kind:     by_value
      - .actual_access:  write_only
        .address_space:  global
        .offset:         88
        .size:           8
        .value_kind:     global_buffer
      - .actual_access:  write_only
        .address_space:  global
        .offset:         96
        .size:           8
        .value_kind:     global_buffer
      - .actual_access:  write_only
        .address_space:  global
        .offset:         104
        .size:           8
        .value_kind:     global_buffer
      - .actual_access:  read_only
        .address_space:  global
        .offset:         112
        .size:           8
        .value_kind:     global_buffer
      - .offset:         120
        .size:           4
        .value_kind:     by_value
      - .address_space:  global
        .offset:         128
        .size:           8
        .value_kind:     global_buffer
      - .address_space:  global
        .offset:         136
        .size:           8
        .value_kind:     global_buffer
      - .offset:         144
        .size:           4
        .value_kind:     hidden_block_count_x
      - .offset:         148
        .size:           4
        .value_kind:     hidden_block_count_y
      - .offset:         152
        .size:           4
        .value_kind:     hidden_block_count_z
      - .offset:         156
        .size:           2
        .value_kind:     hidden_group_size_x
      - .offset:         158
        .size:           2
        .value_kind:     hidden_group_size_y
      - .offset:         160
        .size:           2
        .value_kind:     hidden_group_size_z
      - .offset:         162
        .size:           2
        .value_kind:     hidden_remainder_x
      - .offset:         164
        .size:           2
        .value_kind:     hidden_remainder_y
      - .offset:         166
        .size:           2
        .value_kind:     hidden_remainder_z
      - .offset:         184
        .size:           8
        .value_kind:     hidden_global_offset_x
      - .offset:         192
        .size:           8
        .value_kind:     hidden_global_offset_y
      - .offset:         200
        .size:           8
        .value_kind:     hidden_global_offset_z
      - .offset:         208
        .size:           2
        .value_kind:     hidden_grid_dims
    .group_segment_fixed_size: 8192
    .kernarg_segment_align: 8
    .kernarg_segment_size: 400
    .language:       OpenCL C
    .language_version:
      - 2
      - 0
    .max_flat_workgroup_size: 256
    .name:           _Z39paged_attention_ll4mi_QKV_mfma16_kernelI14__hip_bfloat16S0_LN4vllm18Fp8KVCacheDataTypeE0EhLi16ELi64ELi256ELb0ELi9EEvPKT_PKT0_S8_ifPKiSA_SA_iPKfiiiPfSD_PS3_PT2_iSC_SC_
    .private_segment_fixed_size: 0
    .sgpr_count:     54
    .sgpr_spill_count: 0
    .symbol:         _Z39paged_attention_ll4mi_QKV_mfma16_kernelI14__hip_bfloat16S0_LN4vllm18Fp8KVCacheDataTypeE0EhLi16ELi64ELi256ELb0ELi9EEvPKT_PKT0_S8_ifPKiSA_SA_iPKfiiiPfSD_PS3_PT2_iSC_SC_.kd
    .uniform_work_group_size: 1
    .uses_dynamic_stack: false
    .vgpr_count:     69
    .vgpr_spill_count: 0
    .wavefront_size: 64
  - .agpr_count:     0
    .args:
      - .actual_access:  read_only
        .address_space:  global
        .offset:         0
        .size:           8
        .value_kind:     global_buffer
      - .actual_access:  read_only
        .address_space:  global
        .offset:         8
        .size:           8
        .value_kind:     global_buffer
      - .actual_access:  read_only
        .address_space:  global
        .offset:         16
        .size:           8
        .value_kind:     global_buffer
      - .offset:         24
        .size:           4
        .value_kind:     by_value
      - .offset:         28
        .size:           4
        .value_kind:     by_value
      - .actual_access:  read_only
        .address_space:  global
        .offset:         32
        .size:           8
        .value_kind:     global_buffer
      - .actual_access:  read_only
        .address_space:  global
        .offset:         40
        .size:           8
        .value_kind:     global_buffer
      - .actual_access:  read_only
        .address_space:  global
        .offset:         48
        .size:           8
        .value_kind:     global_buffer
      - .offset:         56
        .size:           4
        .value_kind:     by_value
      - .actual_access:  read_only
        .address_space:  global
        .offset:         64
        .size:           8
        .value_kind:     global_buffer
      - .offset:         72
        .size:           4
        .value_kind:     by_value
      - .offset:         76
        .size:           4
        .value_kind:     by_value
      - .offset:         80
        .size:           4
        .value_kind:     by_value
      - .actual_access:  write_only
        .address_space:  global
        .offset:         88
        .size:           8
        .value_kind:     global_buffer
      - .actual_access:  write_only
        .address_space:  global
        .offset:         96
        .size:           8
        .value_kind:     global_buffer
      - .actual_access:  write_only
        .address_space:  global
        .offset:         104
        .size:           8
        .value_kind:     global_buffer
      - .actual_access:  read_only
        .address_space:  global
        .offset:         112
        .size:           8
        .value_kind:     global_buffer
      - .offset:         120
        .size:           4
        .value_kind:     by_value
      - .address_space:  global
        .offset:         128
        .size:           8
        .value_kind:     global_buffer
      - .address_space:  global
        .offset:         136
        .size:           8
        .value_kind:     global_buffer
      - .offset:         144
        .size:           4
        .value_kind:     hidden_block_count_x
      - .offset:         148
        .size:           4
        .value_kind:     hidden_block_count_y
      - .offset:         152
        .size:           4
        .value_kind:     hidden_block_count_z
      - .offset:         156
        .size:           2
        .value_kind:     hidden_group_size_x
      - .offset:         158
        .size:           2
        .value_kind:     hidden_group_size_y
      - .offset:         160
        .size:           2
        .value_kind:     hidden_group_size_z
      - .offset:         162
        .size:           2
        .value_kind:     hidden_remainder_x
      - .offset:         164
        .size:           2
        .value_kind:     hidden_remainder_y
      - .offset:         166
        .size:           2
        .value_kind:     hidden_remainder_z
      - .offset:         184
        .size:           8
        .value_kind:     hidden_global_offset_x
      - .offset:         192
        .size:           8
        .value_kind:     hidden_global_offset_y
      - .offset:         200
        .size:           8
        .value_kind:     hidden_global_offset_z
      - .offset:         208
        .size:           2
        .value_kind:     hidden_grid_dims
    .group_segment_fixed_size: 8192
    .kernarg_segment_align: 8
    .kernarg_segment_size: 400
    .language:       OpenCL C
    .language_version:
      - 2
      - 0
    .max_flat_workgroup_size: 256
    .name:           _Z39paged_attention_ll4mi_QKV_mfma16_kernelI14__hip_bfloat16S0_LN4vllm18Fp8KVCacheDataTypeE0EhLi16ELi64ELi256ELb0ELi10EEvPKT_PKT0_S8_ifPKiSA_SA_iPKfiiiPfSD_PS3_PT2_iSC_SC_
    .private_segment_fixed_size: 0
    .sgpr_count:     54
    .sgpr_spill_count: 0
    .symbol:         _Z39paged_attention_ll4mi_QKV_mfma16_kernelI14__hip_bfloat16S0_LN4vllm18Fp8KVCacheDataTypeE0EhLi16ELi64ELi256ELb0ELi10EEvPKT_PKT0_S8_ifPKiSA_SA_iPKfiiiPfSD_PS3_PT2_iSC_SC_.kd
    .uniform_work_group_size: 1
    .uses_dynamic_stack: false
    .vgpr_count:     69
    .vgpr_spill_count: 0
    .wavefront_size: 64
  - .agpr_count:     0
    .args:
      - .actual_access:  read_only
        .address_space:  global
        .offset:         0
        .size:           8
        .value_kind:     global_buffer
      - .actual_access:  read_only
        .address_space:  global
        .offset:         8
        .size:           8
        .value_kind:     global_buffer
      - .actual_access:  read_only
        .address_space:  global
        .offset:         16
        .size:           8
        .value_kind:     global_buffer
      - .offset:         24
        .size:           4
        .value_kind:     by_value
      - .offset:         28
        .size:           4
        .value_kind:     by_value
      - .actual_access:  read_only
        .address_space:  global
        .offset:         32
        .size:           8
        .value_kind:     global_buffer
      - .actual_access:  read_only
        .address_space:  global
        .offset:         40
        .size:           8
        .value_kind:     global_buffer
      - .actual_access:  read_only
        .address_space:  global
        .offset:         48
        .size:           8
        .value_kind:     global_buffer
      - .offset:         56
        .size:           4
        .value_kind:     by_value
      - .actual_access:  read_only
        .address_space:  global
        .offset:         64
        .size:           8
        .value_kind:     global_buffer
      - .offset:         72
        .size:           4
        .value_kind:     by_value
      - .offset:         76
        .size:           4
        .value_kind:     by_value
      - .offset:         80
        .size:           4
        .value_kind:     by_value
      - .actual_access:  write_only
        .address_space:  global
        .offset:         88
        .size:           8
        .value_kind:     global_buffer
      - .actual_access:  write_only
        .address_space:  global
        .offset:         96
        .size:           8
        .value_kind:     global_buffer
      - .actual_access:  write_only
        .address_space:  global
        .offset:         104
        .size:           8
        .value_kind:     global_buffer
      - .actual_access:  read_only
        .address_space:  global
        .offset:         112
        .size:           8
        .value_kind:     global_buffer
      - .offset:         120
        .size:           4
        .value_kind:     by_value
      - .address_space:  global
        .offset:         128
        .size:           8
        .value_kind:     global_buffer
      - .address_space:  global
        .offset:         136
        .size:           8
        .value_kind:     global_buffer
      - .offset:         144
        .size:           4
        .value_kind:     hidden_block_count_x
      - .offset:         148
        .size:           4
        .value_kind:     hidden_block_count_y
      - .offset:         152
        .size:           4
        .value_kind:     hidden_block_count_z
      - .offset:         156
        .size:           2
        .value_kind:     hidden_group_size_x
      - .offset:         158
        .size:           2
        .value_kind:     hidden_group_size_y
      - .offset:         160
        .size:           2
        .value_kind:     hidden_group_size_z
      - .offset:         162
        .size:           2
        .value_kind:     hidden_remainder_x
      - .offset:         164
        .size:           2
        .value_kind:     hidden_remainder_y
      - .offset:         166
        .size:           2
        .value_kind:     hidden_remainder_z
      - .offset:         184
        .size:           8
        .value_kind:     hidden_global_offset_x
      - .offset:         192
        .size:           8
        .value_kind:     hidden_global_offset_y
      - .offset:         200
        .size:           8
        .value_kind:     hidden_global_offset_z
      - .offset:         208
        .size:           2
        .value_kind:     hidden_grid_dims
    .group_segment_fixed_size: 8192
    .kernarg_segment_align: 8
    .kernarg_segment_size: 400
    .language:       OpenCL C
    .language_version:
      - 2
      - 0
    .max_flat_workgroup_size: 256
    .name:           _Z39paged_attention_ll4mi_QKV_mfma16_kernelI14__hip_bfloat16S0_LN4vllm18Fp8KVCacheDataTypeE0EhLi16ELi64ELi256ELb0ELi11EEvPKT_PKT0_S8_ifPKiSA_SA_iPKfiiiPfSD_PS3_PT2_iSC_SC_
    .private_segment_fixed_size: 0
    .sgpr_count:     54
    .sgpr_spill_count: 0
    .symbol:         _Z39paged_attention_ll4mi_QKV_mfma16_kernelI14__hip_bfloat16S0_LN4vllm18Fp8KVCacheDataTypeE0EhLi16ELi64ELi256ELb0ELi11EEvPKT_PKT0_S8_ifPKiSA_SA_iPKfiiiPfSD_PS3_PT2_iSC_SC_.kd
    .uniform_work_group_size: 1
    .uses_dynamic_stack: false
    .vgpr_count:     69
    .vgpr_spill_count: 0
    .wavefront_size: 64
  - .agpr_count:     0
    .args:
      - .actual_access:  read_only
        .address_space:  global
        .offset:         0
        .size:           8
        .value_kind:     global_buffer
      - .actual_access:  read_only
        .address_space:  global
        .offset:         8
        .size:           8
        .value_kind:     global_buffer
      - .actual_access:  read_only
        .address_space:  global
        .offset:         16
        .size:           8
        .value_kind:     global_buffer
      - .offset:         24
        .size:           4
        .value_kind:     by_value
      - .offset:         28
        .size:           4
        .value_kind:     by_value
      - .actual_access:  read_only
        .address_space:  global
        .offset:         32
        .size:           8
        .value_kind:     global_buffer
      - .actual_access:  read_only
        .address_space:  global
        .offset:         40
        .size:           8
        .value_kind:     global_buffer
      - .actual_access:  read_only
        .address_space:  global
        .offset:         48
        .size:           8
        .value_kind:     global_buffer
      - .offset:         56
        .size:           4
        .value_kind:     by_value
      - .actual_access:  read_only
        .address_space:  global
        .offset:         64
        .size:           8
        .value_kind:     global_buffer
      - .offset:         72
        .size:           4
        .value_kind:     by_value
      - .offset:         76
        .size:           4
        .value_kind:     by_value
      - .offset:         80
        .size:           4
        .value_kind:     by_value
      - .actual_access:  write_only
        .address_space:  global
        .offset:         88
        .size:           8
        .value_kind:     global_buffer
      - .actual_access:  write_only
        .address_space:  global
        .offset:         96
        .size:           8
        .value_kind:     global_buffer
      - .actual_access:  write_only
        .address_space:  global
        .offset:         104
        .size:           8
        .value_kind:     global_buffer
      - .actual_access:  read_only
        .address_space:  global
        .offset:         112
        .size:           8
        .value_kind:     global_buffer
      - .offset:         120
        .size:           4
        .value_kind:     by_value
      - .address_space:  global
        .offset:         128
        .size:           8
        .value_kind:     global_buffer
      - .address_space:  global
        .offset:         136
        .size:           8
        .value_kind:     global_buffer
      - .offset:         144
        .size:           4
        .value_kind:     hidden_block_count_x
      - .offset:         148
        .size:           4
        .value_kind:     hidden_block_count_y
      - .offset:         152
        .size:           4
        .value_kind:     hidden_block_count_z
      - .offset:         156
        .size:           2
        .value_kind:     hidden_group_size_x
      - .offset:         158
        .size:           2
        .value_kind:     hidden_group_size_y
      - .offset:         160
        .size:           2
        .value_kind:     hidden_group_size_z
      - .offset:         162
        .size:           2
        .value_kind:     hidden_remainder_x
      - .offset:         164
        .size:           2
        .value_kind:     hidden_remainder_y
      - .offset:         166
        .size:           2
        .value_kind:     hidden_remainder_z
      - .offset:         184
        .size:           8
        .value_kind:     hidden_global_offset_x
      - .offset:         192
        .size:           8
        .value_kind:     hidden_global_offset_y
      - .offset:         200
        .size:           8
        .value_kind:     hidden_global_offset_z
      - .offset:         208
        .size:           2
        .value_kind:     hidden_grid_dims
    .group_segment_fixed_size: 8192
    .kernarg_segment_align: 8
    .kernarg_segment_size: 400
    .language:       OpenCL C
    .language_version:
      - 2
      - 0
    .max_flat_workgroup_size: 256
    .name:           _Z39paged_attention_ll4mi_QKV_mfma16_kernelI14__hip_bfloat16S0_LN4vllm18Fp8KVCacheDataTypeE0EhLi16ELi64ELi256ELb0ELi12EEvPKT_PKT0_S8_ifPKiSA_SA_iPKfiiiPfSD_PS3_PT2_iSC_SC_
    .private_segment_fixed_size: 0
    .sgpr_count:     54
    .sgpr_spill_count: 0
    .symbol:         _Z39paged_attention_ll4mi_QKV_mfma16_kernelI14__hip_bfloat16S0_LN4vllm18Fp8KVCacheDataTypeE0EhLi16ELi64ELi256ELb0ELi12EEvPKT_PKT0_S8_ifPKiSA_SA_iPKfiiiPfSD_PS3_PT2_iSC_SC_.kd
    .uniform_work_group_size: 1
    .uses_dynamic_stack: false
    .vgpr_count:     69
    .vgpr_spill_count: 0
    .wavefront_size: 64
  - .agpr_count:     0
    .args:
      - .actual_access:  read_only
        .address_space:  global
        .offset:         0
        .size:           8
        .value_kind:     global_buffer
      - .actual_access:  read_only
        .address_space:  global
        .offset:         8
        .size:           8
        .value_kind:     global_buffer
      - .actual_access:  read_only
        .address_space:  global
        .offset:         16
        .size:           8
        .value_kind:     global_buffer
      - .offset:         24
        .size:           4
        .value_kind:     by_value
      - .offset:         28
        .size:           4
        .value_kind:     by_value
      - .actual_access:  read_only
        .address_space:  global
        .offset:         32
        .size:           8
        .value_kind:     global_buffer
      - .actual_access:  read_only
        .address_space:  global
        .offset:         40
        .size:           8
        .value_kind:     global_buffer
      - .actual_access:  read_only
        .address_space:  global
        .offset:         48
        .size:           8
        .value_kind:     global_buffer
      - .offset:         56
        .size:           4
        .value_kind:     by_value
      - .actual_access:  read_only
        .address_space:  global
        .offset:         64
        .size:           8
        .value_kind:     global_buffer
      - .offset:         72
        .size:           4
        .value_kind:     by_value
      - .offset:         76
        .size:           4
        .value_kind:     by_value
      - .offset:         80
        .size:           4
        .value_kind:     by_value
      - .actual_access:  write_only
        .address_space:  global
        .offset:         88
        .size:           8
        .value_kind:     global_buffer
      - .actual_access:  write_only
        .address_space:  global
        .offset:         96
        .size:           8
        .value_kind:     global_buffer
      - .actual_access:  write_only
        .address_space:  global
        .offset:         104
        .size:           8
        .value_kind:     global_buffer
      - .actual_access:  read_only
        .address_space:  global
        .offset:         112
        .size:           8
        .value_kind:     global_buffer
      - .offset:         120
        .size:           4
        .value_kind:     by_value
      - .address_space:  global
        .offset:         128
        .size:           8
        .value_kind:     global_buffer
      - .address_space:  global
        .offset:         136
        .size:           8
        .value_kind:     global_buffer
      - .offset:         144
        .size:           4
        .value_kind:     hidden_block_count_x
      - .offset:         148
        .size:           4
        .value_kind:     hidden_block_count_y
      - .offset:         152
        .size:           4
        .value_kind:     hidden_block_count_z
      - .offset:         156
        .size:           2
        .value_kind:     hidden_group_size_x
      - .offset:         158
        .size:           2
        .value_kind:     hidden_group_size_y
      - .offset:         160
        .size:           2
        .value_kind:     hidden_group_size_z
      - .offset:         162
        .size:           2
        .value_kind:     hidden_remainder_x
      - .offset:         164
        .size:           2
        .value_kind:     hidden_remainder_y
      - .offset:         166
        .size:           2
        .value_kind:     hidden_remainder_z
      - .offset:         184
        .size:           8
        .value_kind:     hidden_global_offset_x
      - .offset:         192
        .size:           8
        .value_kind:     hidden_global_offset_y
      - .offset:         200
        .size:           8
        .value_kind:     hidden_global_offset_z
      - .offset:         208
        .size:           2
        .value_kind:     hidden_grid_dims
    .group_segment_fixed_size: 8192
    .kernarg_segment_align: 8
    .kernarg_segment_size: 400
    .language:       OpenCL C
    .language_version:
      - 2
      - 0
    .max_flat_workgroup_size: 256
    .name:           _Z39paged_attention_ll4mi_QKV_mfma16_kernelI14__hip_bfloat16S0_LN4vllm18Fp8KVCacheDataTypeE0EhLi16ELi64ELi256ELb0ELi13EEvPKT_PKT0_S8_ifPKiSA_SA_iPKfiiiPfSD_PS3_PT2_iSC_SC_
    .private_segment_fixed_size: 0
    .sgpr_count:     54
    .sgpr_spill_count: 0
    .symbol:         _Z39paged_attention_ll4mi_QKV_mfma16_kernelI14__hip_bfloat16S0_LN4vllm18Fp8KVCacheDataTypeE0EhLi16ELi64ELi256ELb0ELi13EEvPKT_PKT0_S8_ifPKiSA_SA_iPKfiiiPfSD_PS3_PT2_iSC_SC_.kd
    .uniform_work_group_size: 1
    .uses_dynamic_stack: false
    .vgpr_count:     69
    .vgpr_spill_count: 0
    .wavefront_size: 64
  - .agpr_count:     0
    .args:
      - .actual_access:  read_only
        .address_space:  global
        .offset:         0
        .size:           8
        .value_kind:     global_buffer
      - .actual_access:  read_only
        .address_space:  global
        .offset:         8
        .size:           8
        .value_kind:     global_buffer
      - .actual_access:  read_only
        .address_space:  global
        .offset:         16
        .size:           8
        .value_kind:     global_buffer
      - .offset:         24
        .size:           4
        .value_kind:     by_value
      - .offset:         28
        .size:           4
        .value_kind:     by_value
      - .actual_access:  read_only
        .address_space:  global
        .offset:         32
        .size:           8
        .value_kind:     global_buffer
      - .actual_access:  read_only
        .address_space:  global
        .offset:         40
        .size:           8
        .value_kind:     global_buffer
      - .actual_access:  read_only
        .address_space:  global
        .offset:         48
        .size:           8
        .value_kind:     global_buffer
      - .offset:         56
        .size:           4
        .value_kind:     by_value
      - .actual_access:  read_only
        .address_space:  global
        .offset:         64
        .size:           8
        .value_kind:     global_buffer
      - .offset:         72
        .size:           4
        .value_kind:     by_value
      - .offset:         76
        .size:           4
        .value_kind:     by_value
      - .offset:         80
        .size:           4
        .value_kind:     by_value
      - .actual_access:  write_only
        .address_space:  global
        .offset:         88
        .size:           8
        .value_kind:     global_buffer
      - .actual_access:  write_only
        .address_space:  global
        .offset:         96
        .size:           8
        .value_kind:     global_buffer
      - .actual_access:  write_only
        .address_space:  global
        .offset:         104
        .size:           8
        .value_kind:     global_buffer
      - .actual_access:  read_only
        .address_space:  global
        .offset:         112
        .size:           8
        .value_kind:     global_buffer
      - .offset:         120
        .size:           4
        .value_kind:     by_value
      - .address_space:  global
        .offset:         128
        .size:           8
        .value_kind:     global_buffer
      - .address_space:  global
        .offset:         136
        .size:           8
        .value_kind:     global_buffer
      - .offset:         144
        .size:           4
        .value_kind:     hidden_block_count_x
      - .offset:         148
        .size:           4
        .value_kind:     hidden_block_count_y
      - .offset:         152
        .size:           4
        .value_kind:     hidden_block_count_z
      - .offset:         156
        .size:           2
        .value_kind:     hidden_group_size_x
      - .offset:         158
        .size:           2
        .value_kind:     hidden_group_size_y
      - .offset:         160
        .size:           2
        .value_kind:     hidden_group_size_z
      - .offset:         162
        .size:           2
        .value_kind:     hidden_remainder_x
      - .offset:         164
        .size:           2
        .value_kind:     hidden_remainder_y
      - .offset:         166
        .size:           2
        .value_kind:     hidden_remainder_z
      - .offset:         184
        .size:           8
        .value_kind:     hidden_global_offset_x
      - .offset:         192
        .size:           8
        .value_kind:     hidden_global_offset_y
      - .offset:         200
        .size:           8
        .value_kind:     hidden_global_offset_z
      - .offset:         208
        .size:           2
        .value_kind:     hidden_grid_dims
    .group_segment_fixed_size: 8192
    .kernarg_segment_align: 8
    .kernarg_segment_size: 400
    .language:       OpenCL C
    .language_version:
      - 2
      - 0
    .max_flat_workgroup_size: 256
    .name:           _Z39paged_attention_ll4mi_QKV_mfma16_kernelI14__hip_bfloat16S0_LN4vllm18Fp8KVCacheDataTypeE0EhLi16ELi64ELi256ELb0ELi14EEvPKT_PKT0_S8_ifPKiSA_SA_iPKfiiiPfSD_PS3_PT2_iSC_SC_
    .private_segment_fixed_size: 0
    .sgpr_count:     54
    .sgpr_spill_count: 0
    .symbol:         _Z39paged_attention_ll4mi_QKV_mfma16_kernelI14__hip_bfloat16S0_LN4vllm18Fp8KVCacheDataTypeE0EhLi16ELi64ELi256ELb0ELi14EEvPKT_PKT0_S8_ifPKiSA_SA_iPKfiiiPfSD_PS3_PT2_iSC_SC_.kd
    .uniform_work_group_size: 1
    .uses_dynamic_stack: false
    .vgpr_count:     69
    .vgpr_spill_count: 0
    .wavefront_size: 64
  - .agpr_count:     0
    .args:
      - .actual_access:  read_only
        .address_space:  global
        .offset:         0
        .size:           8
        .value_kind:     global_buffer
      - .actual_access:  read_only
        .address_space:  global
        .offset:         8
        .size:           8
        .value_kind:     global_buffer
      - .actual_access:  read_only
        .address_space:  global
        .offset:         16
        .size:           8
        .value_kind:     global_buffer
      - .offset:         24
        .size:           4
        .value_kind:     by_value
      - .offset:         28
        .size:           4
        .value_kind:     by_value
      - .actual_access:  read_only
        .address_space:  global
        .offset:         32
        .size:           8
        .value_kind:     global_buffer
      - .actual_access:  read_only
        .address_space:  global
        .offset:         40
        .size:           8
        .value_kind:     global_buffer
      - .actual_access:  read_only
        .address_space:  global
        .offset:         48
        .size:           8
        .value_kind:     global_buffer
      - .offset:         56
        .size:           4
        .value_kind:     by_value
      - .actual_access:  read_only
        .address_space:  global
        .offset:         64
        .size:           8
        .value_kind:     global_buffer
      - .offset:         72
        .size:           4
        .value_kind:     by_value
      - .offset:         76
        .size:           4
        .value_kind:     by_value
      - .offset:         80
        .size:           4
        .value_kind:     by_value
      - .actual_access:  write_only
        .address_space:  global
        .offset:         88
        .size:           8
        .value_kind:     global_buffer
      - .actual_access:  write_only
        .address_space:  global
        .offset:         96
        .size:           8
        .value_kind:     global_buffer
      - .actual_access:  write_only
        .address_space:  global
        .offset:         104
        .size:           8
        .value_kind:     global_buffer
      - .actual_access:  read_only
        .address_space:  global
        .offset:         112
        .size:           8
        .value_kind:     global_buffer
      - .offset:         120
        .size:           4
        .value_kind:     by_value
      - .address_space:  global
        .offset:         128
        .size:           8
        .value_kind:     global_buffer
      - .address_space:  global
        .offset:         136
        .size:           8
        .value_kind:     global_buffer
      - .offset:         144
        .size:           4
        .value_kind:     hidden_block_count_x
      - .offset:         148
        .size:           4
        .value_kind:     hidden_block_count_y
      - .offset:         152
        .size:           4
        .value_kind:     hidden_block_count_z
      - .offset:         156
        .size:           2
        .value_kind:     hidden_group_size_x
      - .offset:         158
        .size:           2
        .value_kind:     hidden_group_size_y
      - .offset:         160
        .size:           2
        .value_kind:     hidden_group_size_z
      - .offset:         162
        .size:           2
        .value_kind:     hidden_remainder_x
      - .offset:         164
        .size:           2
        .value_kind:     hidden_remainder_y
      - .offset:         166
        .size:           2
        .value_kind:     hidden_remainder_z
      - .offset:         184
        .size:           8
        .value_kind:     hidden_global_offset_x
      - .offset:         192
        .size:           8
        .value_kind:     hidden_global_offset_y
      - .offset:         200
        .size:           8
        .value_kind:     hidden_global_offset_z
      - .offset:         208
        .size:           2
        .value_kind:     hidden_grid_dims
    .group_segment_fixed_size: 8192
    .kernarg_segment_align: 8
    .kernarg_segment_size: 400
    .language:       OpenCL C
    .language_version:
      - 2
      - 0
    .max_flat_workgroup_size: 256
    .name:           _Z39paged_attention_ll4mi_QKV_mfma16_kernelI14__hip_bfloat16S0_LN4vllm18Fp8KVCacheDataTypeE0EhLi16ELi64ELi256ELb0ELi15EEvPKT_PKT0_S8_ifPKiSA_SA_iPKfiiiPfSD_PS3_PT2_iSC_SC_
    .private_segment_fixed_size: 0
    .sgpr_count:     54
    .sgpr_spill_count: 0
    .symbol:         _Z39paged_attention_ll4mi_QKV_mfma16_kernelI14__hip_bfloat16S0_LN4vllm18Fp8KVCacheDataTypeE0EhLi16ELi64ELi256ELb0ELi15EEvPKT_PKT0_S8_ifPKiSA_SA_iPKfiiiPfSD_PS3_PT2_iSC_SC_.kd
    .uniform_work_group_size: 1
    .uses_dynamic_stack: false
    .vgpr_count:     69
    .vgpr_spill_count: 0
    .wavefront_size: 64
  - .agpr_count:     0
    .args:
      - .actual_access:  read_only
        .address_space:  global
        .offset:         0
        .size:           8
        .value_kind:     global_buffer
      - .actual_access:  read_only
        .address_space:  global
        .offset:         8
        .size:           8
        .value_kind:     global_buffer
      - .actual_access:  read_only
        .address_space:  global
        .offset:         16
        .size:           8
        .value_kind:     global_buffer
      - .offset:         24
        .size:           4
        .value_kind:     by_value
      - .offset:         28
        .size:           4
        .value_kind:     by_value
      - .actual_access:  read_only
        .address_space:  global
        .offset:         32
        .size:           8
        .value_kind:     global_buffer
      - .actual_access:  read_only
        .address_space:  global
        .offset:         40
        .size:           8
        .value_kind:     global_buffer
      - .actual_access:  read_only
        .address_space:  global
        .offset:         48
        .size:           8
        .value_kind:     global_buffer
      - .offset:         56
        .size:           4
        .value_kind:     by_value
      - .actual_access:  read_only
        .address_space:  global
        .offset:         64
        .size:           8
        .value_kind:     global_buffer
      - .offset:         72
        .size:           4
        .value_kind:     by_value
      - .offset:         76
        .size:           4
        .value_kind:     by_value
      - .offset:         80
        .size:           4
        .value_kind:     by_value
      - .actual_access:  write_only
        .address_space:  global
        .offset:         88
        .size:           8
        .value_kind:     global_buffer
      - .actual_access:  write_only
        .address_space:  global
        .offset:         96
        .size:           8
        .value_kind:     global_buffer
      - .actual_access:  write_only
        .address_space:  global
        .offset:         104
        .size:           8
        .value_kind:     global_buffer
      - .actual_access:  read_only
        .address_space:  global
        .offset:         112
        .size:           8
        .value_kind:     global_buffer
      - .offset:         120
        .size:           4
        .value_kind:     by_value
      - .address_space:  global
        .offset:         128
        .size:           8
        .value_kind:     global_buffer
      - .address_space:  global
        .offset:         136
        .size:           8
        .value_kind:     global_buffer
      - .offset:         144
        .size:           4
        .value_kind:     hidden_block_count_x
      - .offset:         148
        .size:           4
        .value_kind:     hidden_block_count_y
      - .offset:         152
        .size:           4
        .value_kind:     hidden_block_count_z
      - .offset:         156
        .size:           2
        .value_kind:     hidden_group_size_x
      - .offset:         158
        .size:           2
        .value_kind:     hidden_group_size_y
      - .offset:         160
        .size:           2
        .value_kind:     hidden_group_size_z
      - .offset:         162
        .size:           2
        .value_kind:     hidden_remainder_x
      - .offset:         164
        .size:           2
        .value_kind:     hidden_remainder_y
      - .offset:         166
        .size:           2
        .value_kind:     hidden_remainder_z
      - .offset:         184
        .size:           8
        .value_kind:     hidden_global_offset_x
      - .offset:         192
        .size:           8
        .value_kind:     hidden_global_offset_y
      - .offset:         200
        .size:           8
        .value_kind:     hidden_global_offset_z
      - .offset:         208
        .size:           2
        .value_kind:     hidden_grid_dims
    .group_segment_fixed_size: 8192
    .kernarg_segment_align: 8
    .kernarg_segment_size: 400
    .language:       OpenCL C
    .language_version:
      - 2
      - 0
    .max_flat_workgroup_size: 256
    .name:           _Z39paged_attention_ll4mi_QKV_mfma16_kernelI14__hip_bfloat16S0_LN4vllm18Fp8KVCacheDataTypeE0EhLi16ELi64ELi256ELb0ELi16EEvPKT_PKT0_S8_ifPKiSA_SA_iPKfiiiPfSD_PS3_PT2_iSC_SC_
    .private_segment_fixed_size: 0
    .sgpr_count:     54
    .sgpr_spill_count: 0
    .symbol:         _Z39paged_attention_ll4mi_QKV_mfma16_kernelI14__hip_bfloat16S0_LN4vllm18Fp8KVCacheDataTypeE0EhLi16ELi64ELi256ELb0ELi16EEvPKT_PKT0_S8_ifPKiSA_SA_iPKfiiiPfSD_PS3_PT2_iSC_SC_.kd
    .uniform_work_group_size: 1
    .uses_dynamic_stack: false
    .vgpr_count:     70
    .vgpr_spill_count: 0
    .wavefront_size: 64
  - .agpr_count:     0
    .args:
      - .actual_access:  read_only
        .address_space:  global
        .offset:         0
        .size:           8
        .value_kind:     global_buffer
      - .actual_access:  read_only
        .address_space:  global
        .offset:         8
        .size:           8
        .value_kind:     global_buffer
      - .actual_access:  read_only
        .address_space:  global
        .offset:         16
        .size:           8
        .value_kind:     global_buffer
      - .offset:         24
        .size:           4
        .value_kind:     by_value
      - .offset:         28
        .size:           4
        .value_kind:     by_value
      - .actual_access:  read_only
        .address_space:  global
        .offset:         32
        .size:           8
        .value_kind:     global_buffer
      - .actual_access:  read_only
        .address_space:  global
        .offset:         40
        .size:           8
        .value_kind:     global_buffer
      - .actual_access:  read_only
        .address_space:  global
        .offset:         48
        .size:           8
        .value_kind:     global_buffer
      - .offset:         56
        .size:           4
        .value_kind:     by_value
      - .actual_access:  read_only
        .address_space:  global
        .offset:         64
        .size:           8
        .value_kind:     global_buffer
      - .offset:         72
        .size:           4
        .value_kind:     by_value
      - .offset:         76
        .size:           4
        .value_kind:     by_value
      - .offset:         80
        .size:           4
        .value_kind:     by_value
      - .actual_access:  write_only
        .address_space:  global
        .offset:         88
        .size:           8
        .value_kind:     global_buffer
      - .actual_access:  write_only
        .address_space:  global
        .offset:         96
        .size:           8
        .value_kind:     global_buffer
      - .actual_access:  write_only
        .address_space:  global
        .offset:         104
        .size:           8
        .value_kind:     global_buffer
      - .actual_access:  read_only
        .address_space:  global
        .offset:         112
        .size:           8
        .value_kind:     global_buffer
      - .offset:         120
        .size:           4
        .value_kind:     by_value
      - .address_space:  global
        .offset:         128
        .size:           8
        .value_kind:     global_buffer
      - .address_space:  global
        .offset:         136
        .size:           8
        .value_kind:     global_buffer
      - .offset:         144
        .size:           4
        .value_kind:     hidden_block_count_x
      - .offset:         148
        .size:           4
        .value_kind:     hidden_block_count_y
      - .offset:         152
        .size:           4
        .value_kind:     hidden_block_count_z
      - .offset:         156
        .size:           2
        .value_kind:     hidden_group_size_x
      - .offset:         158
        .size:           2
        .value_kind:     hidden_group_size_y
      - .offset:         160
        .size:           2
        .value_kind:     hidden_group_size_z
      - .offset:         162
        .size:           2
        .value_kind:     hidden_remainder_x
      - .offset:         164
        .size:           2
        .value_kind:     hidden_remainder_y
      - .offset:         166
        .size:           2
        .value_kind:     hidden_remainder_z
      - .offset:         184
        .size:           8
        .value_kind:     hidden_global_offset_x
      - .offset:         192
        .size:           8
        .value_kind:     hidden_global_offset_y
      - .offset:         200
        .size:           8
        .value_kind:     hidden_global_offset_z
      - .offset:         208
        .size:           2
        .value_kind:     hidden_grid_dims
    .group_segment_fixed_size: 8192
    .kernarg_segment_align: 8
    .kernarg_segment_size: 400
    .language:       OpenCL C
    .language_version:
      - 2
      - 0
    .max_flat_workgroup_size: 256
    .name:           _Z39paged_attention_ll4mi_QKV_mfma16_kernelI14__hip_bfloat16S0_LN4vllm18Fp8KVCacheDataTypeE0EhLi16ELi64ELi256ELb0ELi1EEvPKT_PKT0_S8_ifPKiSA_SA_iPKfiiiPfSD_PS3_PT2_iSC_SC_
    .private_segment_fixed_size: 0
    .sgpr_count:     54
    .sgpr_spill_count: 0
    .symbol:         _Z39paged_attention_ll4mi_QKV_mfma16_kernelI14__hip_bfloat16S0_LN4vllm18Fp8KVCacheDataTypeE0EhLi16ELi64ELi256ELb0ELi1EEvPKT_PKT0_S8_ifPKiSA_SA_iPKfiiiPfSD_PS3_PT2_iSC_SC_.kd
    .uniform_work_group_size: 1
    .uses_dynamic_stack: false
    .vgpr_count:     71
    .vgpr_spill_count: 0
    .wavefront_size: 64
  - .agpr_count:     0
    .args:
      - .actual_access:  read_only
        .address_space:  global
        .offset:         0
        .size:           8
        .value_kind:     global_buffer
      - .actual_access:  read_only
        .address_space:  global
        .offset:         8
        .size:           8
        .value_kind:     global_buffer
      - .actual_access:  read_only
        .address_space:  global
        .offset:         16
        .size:           8
        .value_kind:     global_buffer
      - .offset:         24
        .size:           4
        .value_kind:     by_value
      - .offset:         28
        .size:           4
        .value_kind:     by_value
      - .actual_access:  read_only
        .address_space:  global
        .offset:         32
        .size:           8
        .value_kind:     global_buffer
      - .actual_access:  read_only
        .address_space:  global
        .offset:         40
        .size:           8
        .value_kind:     global_buffer
      - .actual_access:  read_only
        .address_space:  global
        .offset:         48
        .size:           8
        .value_kind:     global_buffer
      - .offset:         56
        .size:           4
        .value_kind:     by_value
      - .actual_access:  read_only
        .address_space:  global
        .offset:         64
        .size:           8
        .value_kind:     global_buffer
      - .offset:         72
        .size:           4
        .value_kind:     by_value
      - .offset:         76
        .size:           4
        .value_kind:     by_value
      - .offset:         80
        .size:           4
        .value_kind:     by_value
      - .actual_access:  write_only
        .address_space:  global
        .offset:         88
        .size:           8
        .value_kind:     global_buffer
      - .actual_access:  write_only
        .address_space:  global
        .offset:         96
        .size:           8
        .value_kind:     global_buffer
      - .actual_access:  write_only
        .address_space:  global
        .offset:         104
        .size:           8
        .value_kind:     global_buffer
      - .actual_access:  read_only
        .address_space:  global
        .offset:         112
        .size:           8
        .value_kind:     global_buffer
      - .offset:         120
        .size:           4
        .value_kind:     by_value
      - .address_space:  global
        .offset:         128
        .size:           8
        .value_kind:     global_buffer
      - .address_space:  global
        .offset:         136
        .size:           8
        .value_kind:     global_buffer
      - .offset:         144
        .size:           4
        .value_kind:     hidden_block_count_x
      - .offset:         148
        .size:           4
        .value_kind:     hidden_block_count_y
      - .offset:         152
        .size:           4
        .value_kind:     hidden_block_count_z
      - .offset:         156
        .size:           2
        .value_kind:     hidden_group_size_x
      - .offset:         158
        .size:           2
        .value_kind:     hidden_group_size_y
      - .offset:         160
        .size:           2
        .value_kind:     hidden_group_size_z
      - .offset:         162
        .size:           2
        .value_kind:     hidden_remainder_x
      - .offset:         164
        .size:           2
        .value_kind:     hidden_remainder_y
      - .offset:         166
        .size:           2
        .value_kind:     hidden_remainder_z
      - .offset:         184
        .size:           8
        .value_kind:     hidden_global_offset_x
      - .offset:         192
        .size:           8
        .value_kind:     hidden_global_offset_y
      - .offset:         200
        .size:           8
        .value_kind:     hidden_global_offset_z
      - .offset:         208
        .size:           2
        .value_kind:     hidden_grid_dims
    .group_segment_fixed_size: 8192
    .kernarg_segment_align: 8
    .kernarg_segment_size: 400
    .language:       OpenCL C
    .language_version:
      - 2
      - 0
    .max_flat_workgroup_size: 256
    .name:           _Z39paged_attention_ll4mi_QKV_mfma16_kernelI14__hip_bfloat16S0_LN4vllm18Fp8KVCacheDataTypeE0EhLi16ELi64ELi256ELb0ELi2EEvPKT_PKT0_S8_ifPKiSA_SA_iPKfiiiPfSD_PS3_PT2_iSC_SC_
    .private_segment_fixed_size: 0
    .sgpr_count:     54
    .sgpr_spill_count: 0
    .symbol:         _Z39paged_attention_ll4mi_QKV_mfma16_kernelI14__hip_bfloat16S0_LN4vllm18Fp8KVCacheDataTypeE0EhLi16ELi64ELi256ELb0ELi2EEvPKT_PKT0_S8_ifPKiSA_SA_iPKfiiiPfSD_PS3_PT2_iSC_SC_.kd
    .uniform_work_group_size: 1
    .uses_dynamic_stack: false
    .vgpr_count:     69
    .vgpr_spill_count: 0
    .wavefront_size: 64
  - .agpr_count:     0
    .args:
      - .actual_access:  read_only
        .address_space:  global
        .offset:         0
        .size:           8
        .value_kind:     global_buffer
      - .actual_access:  read_only
        .address_space:  global
        .offset:         8
        .size:           8
        .value_kind:     global_buffer
      - .actual_access:  read_only
        .address_space:  global
        .offset:         16
        .size:           8
        .value_kind:     global_buffer
      - .offset:         24
        .size:           4
        .value_kind:     by_value
      - .offset:         28
        .size:           4
        .value_kind:     by_value
      - .actual_access:  read_only
        .address_space:  global
        .offset:         32
        .size:           8
        .value_kind:     global_buffer
      - .actual_access:  read_only
        .address_space:  global
        .offset:         40
        .size:           8
        .value_kind:     global_buffer
      - .actual_access:  read_only
        .address_space:  global
        .offset:         48
        .size:           8
        .value_kind:     global_buffer
      - .offset:         56
        .size:           4
        .value_kind:     by_value
      - .actual_access:  read_only
        .address_space:  global
        .offset:         64
        .size:           8
        .value_kind:     global_buffer
      - .offset:         72
        .size:           4
        .value_kind:     by_value
      - .offset:         76
        .size:           4
        .value_kind:     by_value
      - .offset:         80
        .size:           4
        .value_kind:     by_value
      - .actual_access:  write_only
        .address_space:  global
        .offset:         88
        .size:           8
        .value_kind:     global_buffer
      - .actual_access:  write_only
        .address_space:  global
        .offset:         96
        .size:           8
        .value_kind:     global_buffer
      - .actual_access:  write_only
        .address_space:  global
        .offset:         104
        .size:           8
        .value_kind:     global_buffer
      - .actual_access:  read_only
        .address_space:  global
        .offset:         112
        .size:           8
        .value_kind:     global_buffer
      - .offset:         120
        .size:           4
        .value_kind:     by_value
      - .address_space:  global
        .offset:         128
        .size:           8
        .value_kind:     global_buffer
      - .address_space:  global
        .offset:         136
        .size:           8
        .value_kind:     global_buffer
      - .offset:         144
        .size:           4
        .value_kind:     hidden_block_count_x
      - .offset:         148
        .size:           4
        .value_kind:     hidden_block_count_y
      - .offset:         152
        .size:           4
        .value_kind:     hidden_block_count_z
      - .offset:         156
        .size:           2
        .value_kind:     hidden_group_size_x
      - .offset:         158
        .size:           2
        .value_kind:     hidden_group_size_y
      - .offset:         160
        .size:           2
        .value_kind:     hidden_group_size_z
      - .offset:         162
        .size:           2
        .value_kind:     hidden_remainder_x
      - .offset:         164
        .size:           2
        .value_kind:     hidden_remainder_y
      - .offset:         166
        .size:           2
        .value_kind:     hidden_remainder_z
      - .offset:         184
        .size:           8
        .value_kind:     hidden_global_offset_x
      - .offset:         192
        .size:           8
        .value_kind:     hidden_global_offset_y
      - .offset:         200
        .size:           8
        .value_kind:     hidden_global_offset_z
      - .offset:         208
        .size:           2
        .value_kind:     hidden_grid_dims
    .group_segment_fixed_size: 8192
    .kernarg_segment_align: 8
    .kernarg_segment_size: 400
    .language:       OpenCL C
    .language_version:
      - 2
      - 0
    .max_flat_workgroup_size: 256
    .name:           _Z39paged_attention_ll4mi_QKV_mfma16_kernelI14__hip_bfloat16S0_LN4vllm18Fp8KVCacheDataTypeE0EhLi16ELi64ELi256ELb0ELi3EEvPKT_PKT0_S8_ifPKiSA_SA_iPKfiiiPfSD_PS3_PT2_iSC_SC_
    .private_segment_fixed_size: 0
    .sgpr_count:     54
    .sgpr_spill_count: 0
    .symbol:         _Z39paged_attention_ll4mi_QKV_mfma16_kernelI14__hip_bfloat16S0_LN4vllm18Fp8KVCacheDataTypeE0EhLi16ELi64ELi256ELb0ELi3EEvPKT_PKT0_S8_ifPKiSA_SA_iPKfiiiPfSD_PS3_PT2_iSC_SC_.kd
    .uniform_work_group_size: 1
    .uses_dynamic_stack: false
    .vgpr_count:     70
    .vgpr_spill_count: 0
    .wavefront_size: 64
  - .agpr_count:     0
    .args:
      - .actual_access:  read_only
        .address_space:  global
        .offset:         0
        .size:           8
        .value_kind:     global_buffer
      - .actual_access:  read_only
        .address_space:  global
        .offset:         8
        .size:           8
        .value_kind:     global_buffer
      - .actual_access:  read_only
        .address_space:  global
        .offset:         16
        .size:           8
        .value_kind:     global_buffer
      - .offset:         24
        .size:           4
        .value_kind:     by_value
      - .offset:         28
        .size:           4
        .value_kind:     by_value
      - .actual_access:  read_only
        .address_space:  global
        .offset:         32
        .size:           8
        .value_kind:     global_buffer
      - .actual_access:  read_only
        .address_space:  global
        .offset:         40
        .size:           8
        .value_kind:     global_buffer
      - .actual_access:  read_only
        .address_space:  global
        .offset:         48
        .size:           8
        .value_kind:     global_buffer
      - .offset:         56
        .size:           4
        .value_kind:     by_value
      - .actual_access:  read_only
        .address_space:  global
        .offset:         64
        .size:           8
        .value_kind:     global_buffer
      - .offset:         72
        .size:           4
        .value_kind:     by_value
      - .offset:         76
        .size:           4
        .value_kind:     by_value
      - .offset:         80
        .size:           4
        .value_kind:     by_value
      - .actual_access:  write_only
        .address_space:  global
        .offset:         88
        .size:           8
        .value_kind:     global_buffer
      - .actual_access:  write_only
        .address_space:  global
        .offset:         96
        .size:           8
        .value_kind:     global_buffer
      - .actual_access:  write_only
        .address_space:  global
        .offset:         104
        .size:           8
        .value_kind:     global_buffer
      - .actual_access:  read_only
        .address_space:  global
        .offset:         112
        .size:           8
        .value_kind:     global_buffer
      - .offset:         120
        .size:           4
        .value_kind:     by_value
      - .address_space:  global
        .offset:         128
        .size:           8
        .value_kind:     global_buffer
      - .address_space:  global
        .offset:         136
        .size:           8
        .value_kind:     global_buffer
      - .offset:         144
        .size:           4
        .value_kind:     hidden_block_count_x
      - .offset:         148
        .size:           4
        .value_kind:     hidden_block_count_y
      - .offset:         152
        .size:           4
        .value_kind:     hidden_block_count_z
      - .offset:         156
        .size:           2
        .value_kind:     hidden_group_size_x
      - .offset:         158
        .size:           2
        .value_kind:     hidden_group_size_y
      - .offset:         160
        .size:           2
        .value_kind:     hidden_group_size_z
      - .offset:         162
        .size:           2
        .value_kind:     hidden_remainder_x
      - .offset:         164
        .size:           2
        .value_kind:     hidden_remainder_y
      - .offset:         166
        .size:           2
        .value_kind:     hidden_remainder_z
      - .offset:         184
        .size:           8
        .value_kind:     hidden_global_offset_x
      - .offset:         192
        .size:           8
        .value_kind:     hidden_global_offset_y
      - .offset:         200
        .size:           8
        .value_kind:     hidden_global_offset_z
      - .offset:         208
        .size:           2
        .value_kind:     hidden_grid_dims
    .group_segment_fixed_size: 8192
    .kernarg_segment_align: 8
    .kernarg_segment_size: 400
    .language:       OpenCL C
    .language_version:
      - 2
      - 0
    .max_flat_workgroup_size: 256
    .name:           _Z39paged_attention_ll4mi_QKV_mfma16_kernelI14__hip_bfloat16S0_LN4vllm18Fp8KVCacheDataTypeE0EhLi16ELi64ELi256ELb0ELi4EEvPKT_PKT0_S8_ifPKiSA_SA_iPKfiiiPfSD_PS3_PT2_iSC_SC_
    .private_segment_fixed_size: 0
    .sgpr_count:     52
    .sgpr_spill_count: 0
    .symbol:         _Z39paged_attention_ll4mi_QKV_mfma16_kernelI14__hip_bfloat16S0_LN4vllm18Fp8KVCacheDataTypeE0EhLi16ELi64ELi256ELb0ELi4EEvPKT_PKT0_S8_ifPKiSA_SA_iPKfiiiPfSD_PS3_PT2_iSC_SC_.kd
    .uniform_work_group_size: 1
    .uses_dynamic_stack: false
    .vgpr_count:     71
    .vgpr_spill_count: 0
    .wavefront_size: 64
  - .agpr_count:     4
    .args:
      - .actual_access:  read_only
        .address_space:  global
        .offset:         0
        .size:           8
        .value_kind:     global_buffer
      - .actual_access:  read_only
        .address_space:  global
        .offset:         8
        .size:           8
        .value_kind:     global_buffer
      - .actual_access:  read_only
        .address_space:  global
        .offset:         16
        .size:           8
        .value_kind:     global_buffer
      - .offset:         24
        .size:           4
        .value_kind:     by_value
      - .offset:         28
        .size:           4
        .value_kind:     by_value
      - .actual_access:  read_only
        .address_space:  global
        .offset:         32
        .size:           8
        .value_kind:     global_buffer
      - .actual_access:  read_only
        .address_space:  global
        .offset:         40
        .size:           8
        .value_kind:     global_buffer
      - .actual_access:  read_only
        .address_space:  global
        .offset:         48
        .size:           8
        .value_kind:     global_buffer
      - .offset:         56
        .size:           4
        .value_kind:     by_value
      - .actual_access:  read_only
        .address_space:  global
        .offset:         64
        .size:           8
        .value_kind:     global_buffer
      - .offset:         72
        .size:           4
        .value_kind:     by_value
      - .offset:         76
        .size:           4
        .value_kind:     by_value
      - .offset:         80
        .size:           4
        .value_kind:     by_value
      - .actual_access:  write_only
        .address_space:  global
        .offset:         88
        .size:           8
        .value_kind:     global_buffer
      - .actual_access:  write_only
        .address_space:  global
        .offset:         96
        .size:           8
        .value_kind:     global_buffer
      - .actual_access:  write_only
        .address_space:  global
        .offset:         104
        .size:           8
        .value_kind:     global_buffer
      - .actual_access:  read_only
        .address_space:  global
        .offset:         112
        .size:           8
        .value_kind:     global_buffer
      - .offset:         120
        .size:           4
        .value_kind:     by_value
      - .address_space:  global
        .offset:         128
        .size:           8
        .value_kind:     global_buffer
      - .address_space:  global
        .offset:         136
        .size:           8
        .value_kind:     global_buffer
      - .offset:         144
        .size:           4
        .value_kind:     hidden_block_count_x
      - .offset:         148
        .size:           4
        .value_kind:     hidden_block_count_y
      - .offset:         152
        .size:           4
        .value_kind:     hidden_block_count_z
      - .offset:         156
        .size:           2
        .value_kind:     hidden_group_size_x
      - .offset:         158
        .size:           2
        .value_kind:     hidden_group_size_y
      - .offset:         160
        .size:           2
        .value_kind:     hidden_group_size_z
      - .offset:         162
        .size:           2
        .value_kind:     hidden_remainder_x
      - .offset:         164
        .size:           2
        .value_kind:     hidden_remainder_y
      - .offset:         166
        .size:           2
        .value_kind:     hidden_remainder_z
      - .offset:         184
        .size:           8
        .value_kind:     hidden_global_offset_x
      - .offset:         192
        .size:           8
        .value_kind:     hidden_global_offset_y
      - .offset:         200
        .size:           8
        .value_kind:     hidden_global_offset_z
      - .offset:         208
        .size:           2
        .value_kind:     hidden_grid_dims
    .group_segment_fixed_size: 2720
    .kernarg_segment_align: 8
    .kernarg_segment_size: 400
    .language:       OpenCL C
    .language_version:
      - 2
      - 0
    .max_flat_workgroup_size: 256
    .name:           _Z38paged_attention_ll4mi_QKV_mfma4_kernelI14__hip_bfloat16S0_LN4vllm18Fp8KVCacheDataTypeE0ES0_Li16ELi64ELi256ELb1ELi1EEvPKT_PKT0_S8_ifPKiSA_SA_iPKfiiiPfSD_PS3_PT2_iSC_SC_
    .private_segment_fixed_size: 0
    .sgpr_count:     44
    .sgpr_spill_count: 0
    .symbol:         _Z38paged_attention_ll4mi_QKV_mfma4_kernelI14__hip_bfloat16S0_LN4vllm18Fp8KVCacheDataTypeE0ES0_Li16ELi64ELi256ELb1ELi1EEvPKT_PKT0_S8_ifPKiSA_SA_iPKfiiiPfSD_PS3_PT2_iSC_SC_.kd
    .uniform_work_group_size: 1
    .uses_dynamic_stack: false
    .vgpr_count:     72
    .vgpr_spill_count: 0
    .wavefront_size: 64
  - .agpr_count:     4
    .args:
      - .actual_access:  read_only
        .address_space:  global
        .offset:         0
        .size:           8
        .value_kind:     global_buffer
      - .actual_access:  read_only
        .address_space:  global
        .offset:         8
        .size:           8
        .value_kind:     global_buffer
      - .actual_access:  read_only
        .address_space:  global
        .offset:         16
        .size:           8
        .value_kind:     global_buffer
      - .offset:         24
        .size:           4
        .value_kind:     by_value
      - .offset:         28
        .size:           4
        .value_kind:     by_value
      - .actual_access:  read_only
        .address_space:  global
        .offset:         32
        .size:           8
        .value_kind:     global_buffer
      - .actual_access:  read_only
        .address_space:  global
        .offset:         40
        .size:           8
        .value_kind:     global_buffer
      - .actual_access:  read_only
        .address_space:  global
        .offset:         48
        .size:           8
        .value_kind:     global_buffer
      - .offset:         56
        .size:           4
        .value_kind:     by_value
      - .actual_access:  read_only
        .address_space:  global
        .offset:         64
        .size:           8
        .value_kind:     global_buffer
      - .offset:         72
        .size:           4
        .value_kind:     by_value
      - .offset:         76
        .size:           4
        .value_kind:     by_value
      - .offset:         80
        .size:           4
        .value_kind:     by_value
      - .actual_access:  write_only
        .address_space:  global
        .offset:         88
        .size:           8
        .value_kind:     global_buffer
      - .actual_access:  write_only
        .address_space:  global
        .offset:         96
        .size:           8
        .value_kind:     global_buffer
      - .actual_access:  write_only
        .address_space:  global
        .offset:         104
        .size:           8
        .value_kind:     global_buffer
      - .actual_access:  read_only
        .address_space:  global
        .offset:         112
        .size:           8
        .value_kind:     global_buffer
      - .offset:         120
        .size:           4
        .value_kind:     by_value
      - .address_space:  global
        .offset:         128
        .size:           8
        .value_kind:     global_buffer
      - .address_space:  global
        .offset:         136
        .size:           8
        .value_kind:     global_buffer
      - .offset:         144
        .size:           4
        .value_kind:     hidden_block_count_x
      - .offset:         148
        .size:           4
        .value_kind:     hidden_block_count_y
      - .offset:         152
        .size:           4
        .value_kind:     hidden_block_count_z
      - .offset:         156
        .size:           2
        .value_kind:     hidden_group_size_x
      - .offset:         158
        .size:           2
        .value_kind:     hidden_group_size_y
      - .offset:         160
        .size:           2
        .value_kind:     hidden_group_size_z
      - .offset:         162
        .size:           2
        .value_kind:     hidden_remainder_x
      - .offset:         164
        .size:           2
        .value_kind:     hidden_remainder_y
      - .offset:         166
        .size:           2
        .value_kind:     hidden_remainder_z
      - .offset:         184
        .size:           8
        .value_kind:     hidden_global_offset_x
      - .offset:         192
        .size:           8
        .value_kind:     hidden_global_offset_y
      - .offset:         200
        .size:           8
        .value_kind:     hidden_global_offset_z
      - .offset:         208
        .size:           2
        .value_kind:     hidden_grid_dims
    .group_segment_fixed_size: 2720
    .kernarg_segment_align: 8
    .kernarg_segment_size: 400
    .language:       OpenCL C
    .language_version:
      - 2
      - 0
    .max_flat_workgroup_size: 256
    .name:           _Z38paged_attention_ll4mi_QKV_mfma4_kernelI14__hip_bfloat16S0_LN4vllm18Fp8KVCacheDataTypeE0ES0_Li16ELi64ELi256ELb1ELi2EEvPKT_PKT0_S8_ifPKiSA_SA_iPKfiiiPfSD_PS3_PT2_iSC_SC_
    .private_segment_fixed_size: 0
    .sgpr_count:     46
    .sgpr_spill_count: 0
    .symbol:         _Z38paged_attention_ll4mi_QKV_mfma4_kernelI14__hip_bfloat16S0_LN4vllm18Fp8KVCacheDataTypeE0ES0_Li16ELi64ELi256ELb1ELi2EEvPKT_PKT0_S8_ifPKiSA_SA_iPKfiiiPfSD_PS3_PT2_iSC_SC_.kd
    .uniform_work_group_size: 1
    .uses_dynamic_stack: false
    .vgpr_count:     72
    .vgpr_spill_count: 0
    .wavefront_size: 64
  - .agpr_count:     4
    .args:
      - .actual_access:  read_only
        .address_space:  global
        .offset:         0
        .size:           8
        .value_kind:     global_buffer
      - .actual_access:  read_only
        .address_space:  global
        .offset:         8
        .size:           8
        .value_kind:     global_buffer
      - .actual_access:  read_only
        .address_space:  global
        .offset:         16
        .size:           8
        .value_kind:     global_buffer
      - .offset:         24
        .size:           4
        .value_kind:     by_value
      - .offset:         28
        .size:           4
        .value_kind:     by_value
      - .actual_access:  read_only
        .address_space:  global
        .offset:         32
        .size:           8
        .value_kind:     global_buffer
      - .actual_access:  read_only
        .address_space:  global
        .offset:         40
        .size:           8
        .value_kind:     global_buffer
      - .actual_access:  read_only
        .address_space:  global
        .offset:         48
        .size:           8
        .value_kind:     global_buffer
      - .offset:         56
        .size:           4
        .value_kind:     by_value
      - .actual_access:  read_only
        .address_space:  global
        .offset:         64
        .size:           8
        .value_kind:     global_buffer
      - .offset:         72
        .size:           4
        .value_kind:     by_value
      - .offset:         76
        .size:           4
        .value_kind:     by_value
      - .offset:         80
        .size:           4
        .value_kind:     by_value
      - .actual_access:  write_only
        .address_space:  global
        .offset:         88
        .size:           8
        .value_kind:     global_buffer
      - .actual_access:  write_only
        .address_space:  global
        .offset:         96
        .size:           8
        .value_kind:     global_buffer
      - .actual_access:  write_only
        .address_space:  global
        .offset:         104
        .size:           8
        .value_kind:     global_buffer
      - .actual_access:  read_only
        .address_space:  global
        .offset:         112
        .size:           8
        .value_kind:     global_buffer
      - .offset:         120
        .size:           4
        .value_kind:     by_value
      - .address_space:  global
        .offset:         128
        .size:           8
        .value_kind:     global_buffer
      - .address_space:  global
        .offset:         136
        .size:           8
        .value_kind:     global_buffer
      - .offset:         144
        .size:           4
        .value_kind:     hidden_block_count_x
      - .offset:         148
        .size:           4
        .value_kind:     hidden_block_count_y
      - .offset:         152
        .size:           4
        .value_kind:     hidden_block_count_z
      - .offset:         156
        .size:           2
        .value_kind:     hidden_group_size_x
      - .offset:         158
        .size:           2
        .value_kind:     hidden_group_size_y
      - .offset:         160
        .size:           2
        .value_kind:     hidden_group_size_z
      - .offset:         162
        .size:           2
        .value_kind:     hidden_remainder_x
      - .offset:         164
        .size:           2
        .value_kind:     hidden_remainder_y
      - .offset:         166
        .size:           2
        .value_kind:     hidden_remainder_z
      - .offset:         184
        .size:           8
        .value_kind:     hidden_global_offset_x
      - .offset:         192
        .size:           8
        .value_kind:     hidden_global_offset_y
      - .offset:         200
        .size:           8
        .value_kind:     hidden_global_offset_z
      - .offset:         208
        .size:           2
        .value_kind:     hidden_grid_dims
    .group_segment_fixed_size: 2720
    .kernarg_segment_align: 8
    .kernarg_segment_size: 400
    .language:       OpenCL C
    .language_version:
      - 2
      - 0
    .max_flat_workgroup_size: 256
    .name:           _Z38paged_attention_ll4mi_QKV_mfma4_kernelI14__hip_bfloat16S0_LN4vllm18Fp8KVCacheDataTypeE0ES0_Li16ELi64ELi256ELb1ELi3EEvPKT_PKT0_S8_ifPKiSA_SA_iPKfiiiPfSD_PS3_PT2_iSC_SC_
    .private_segment_fixed_size: 0
    .sgpr_count:     46
    .sgpr_spill_count: 0
    .symbol:         _Z38paged_attention_ll4mi_QKV_mfma4_kernelI14__hip_bfloat16S0_LN4vllm18Fp8KVCacheDataTypeE0ES0_Li16ELi64ELi256ELb1ELi3EEvPKT_PKT0_S8_ifPKiSA_SA_iPKfiiiPfSD_PS3_PT2_iSC_SC_.kd
    .uniform_work_group_size: 1
    .uses_dynamic_stack: false
    .vgpr_count:     72
    .vgpr_spill_count: 0
    .wavefront_size: 64
  - .agpr_count:     4
    .args:
      - .actual_access:  read_only
        .address_space:  global
        .offset:         0
        .size:           8
        .value_kind:     global_buffer
      - .actual_access:  read_only
        .address_space:  global
        .offset:         8
        .size:           8
        .value_kind:     global_buffer
      - .actual_access:  read_only
        .address_space:  global
        .offset:         16
        .size:           8
        .value_kind:     global_buffer
      - .offset:         24
        .size:           4
        .value_kind:     by_value
      - .offset:         28
        .size:           4
        .value_kind:     by_value
      - .actual_access:  read_only
        .address_space:  global
        .offset:         32
        .size:           8
        .value_kind:     global_buffer
      - .actual_access:  read_only
        .address_space:  global
        .offset:         40
        .size:           8
        .value_kind:     global_buffer
      - .actual_access:  read_only
        .address_space:  global
        .offset:         48
        .size:           8
        .value_kind:     global_buffer
      - .offset:         56
        .size:           4
        .value_kind:     by_value
      - .actual_access:  read_only
        .address_space:  global
        .offset:         64
        .size:           8
        .value_kind:     global_buffer
      - .offset:         72
        .size:           4
        .value_kind:     by_value
      - .offset:         76
        .size:           4
        .value_kind:     by_value
      - .offset:         80
        .size:           4
        .value_kind:     by_value
      - .actual_access:  write_only
        .address_space:  global
        .offset:         88
        .size:           8
        .value_kind:     global_buffer
      - .actual_access:  write_only
        .address_space:  global
        .offset:         96
        .size:           8
        .value_kind:     global_buffer
      - .actual_access:  write_only
        .address_space:  global
        .offset:         104
        .size:           8
        .value_kind:     global_buffer
      - .actual_access:  read_only
        .address_space:  global
        .offset:         112
        .size:           8
        .value_kind:     global_buffer
      - .offset:         120
        .size:           4
        .value_kind:     by_value
      - .address_space:  global
        .offset:         128
        .size:           8
        .value_kind:     global_buffer
      - .address_space:  global
        .offset:         136
        .size:           8
        .value_kind:     global_buffer
      - .offset:         144
        .size:           4
        .value_kind:     hidden_block_count_x
      - .offset:         148
        .size:           4
        .value_kind:     hidden_block_count_y
      - .offset:         152
        .size:           4
        .value_kind:     hidden_block_count_z
      - .offset:         156
        .size:           2
        .value_kind:     hidden_group_size_x
      - .offset:         158
        .size:           2
        .value_kind:     hidden_group_size_y
      - .offset:         160
        .size:           2
        .value_kind:     hidden_group_size_z
      - .offset:         162
        .size:           2
        .value_kind:     hidden_remainder_x
      - .offset:         164
        .size:           2
        .value_kind:     hidden_remainder_y
      - .offset:         166
        .size:           2
        .value_kind:     hidden_remainder_z
      - .offset:         184
        .size:           8
        .value_kind:     hidden_global_offset_x
      - .offset:         192
        .size:           8
        .value_kind:     hidden_global_offset_y
      - .offset:         200
        .size:           8
        .value_kind:     hidden_global_offset_z
      - .offset:         208
        .size:           2
        .value_kind:     hidden_grid_dims
    .group_segment_fixed_size: 2720
    .kernarg_segment_align: 8
    .kernarg_segment_size: 400
    .language:       OpenCL C
    .language_version:
      - 2
      - 0
    .max_flat_workgroup_size: 256
    .name:           _Z38paged_attention_ll4mi_QKV_mfma4_kernelI14__hip_bfloat16S0_LN4vllm18Fp8KVCacheDataTypeE0ES0_Li16ELi64ELi256ELb1ELi4EEvPKT_PKT0_S8_ifPKiSA_SA_iPKfiiiPfSD_PS3_PT2_iSC_SC_
    .private_segment_fixed_size: 0
    .sgpr_count:     47
    .sgpr_spill_count: 0
    .symbol:         _Z38paged_attention_ll4mi_QKV_mfma4_kernelI14__hip_bfloat16S0_LN4vllm18Fp8KVCacheDataTypeE0ES0_Li16ELi64ELi256ELb1ELi4EEvPKT_PKT0_S8_ifPKiSA_SA_iPKfiiiPfSD_PS3_PT2_iSC_SC_.kd
    .uniform_work_group_size: 1
    .uses_dynamic_stack: false
    .vgpr_count:     76
    .vgpr_spill_count: 0
    .wavefront_size: 64
  - .agpr_count:     0
    .args:
      - .actual_access:  read_only
        .address_space:  global
        .offset:         0
        .size:           8
        .value_kind:     global_buffer
      - .actual_access:  read_only
        .address_space:  global
        .offset:         8
        .size:           8
        .value_kind:     global_buffer
      - .actual_access:  read_only
        .address_space:  global
        .offset:         16
        .size:           8
        .value_kind:     global_buffer
      - .offset:         24
        .size:           4
        .value_kind:     by_value
      - .offset:         28
        .size:           4
        .value_kind:     by_value
      - .actual_access:  read_only
        .address_space:  global
        .offset:         32
        .size:           8
        .value_kind:     global_buffer
      - .actual_access:  read_only
        .address_space:  global
        .offset:         40
        .size:           8
        .value_kind:     global_buffer
      - .actual_access:  read_only
        .address_space:  global
        .offset:         48
        .size:           8
        .value_kind:     global_buffer
      - .offset:         56
        .size:           4
        .value_kind:     by_value
      - .actual_access:  read_only
        .address_space:  global
        .offset:         64
        .size:           8
        .value_kind:     global_buffer
      - .offset:         72
        .size:           4
        .value_kind:     by_value
      - .offset:         76
        .size:           4
        .value_kind:     by_value
      - .offset:         80
        .size:           4
        .value_kind:     by_value
      - .actual_access:  write_only
        .address_space:  global
        .offset:         88
        .size:           8
        .value_kind:     global_buffer
      - .actual_access:  write_only
        .address_space:  global
        .offset:         96
        .size:           8
        .value_kind:     global_buffer
      - .actual_access:  write_only
        .address_space:  global
        .offset:         104
        .size:           8
        .value_kind:     global_buffer
      - .actual_access:  read_only
        .address_space:  global
        .offset:         112
        .size:           8
        .value_kind:     global_buffer
      - .offset:         120
        .size:           4
        .value_kind:     by_value
      - .address_space:  global
        .offset:         128
        .size:           8
        .value_kind:     global_buffer
      - .address_space:  global
        .offset:         136
        .size:           8
        .value_kind:     global_buffer
      - .offset:         144
        .size:           4
        .value_kind:     hidden_block_count_x
      - .offset:         148
        .size:           4
        .value_kind:     hidden_block_count_y
      - .offset:         152
        .size:           4
        .value_kind:     hidden_block_count_z
      - .offset:         156
        .size:           2
        .value_kind:     hidden_group_size_x
      - .offset:         158
        .size:           2
        .value_kind:     hidden_group_size_y
      - .offset:         160
        .size:           2
        .value_kind:     hidden_group_size_z
      - .offset:         162
        .size:           2
        .value_kind:     hidden_remainder_x
      - .offset:         164
        .size:           2
        .value_kind:     hidden_remainder_y
      - .offset:         166
        .size:           2
        .value_kind:     hidden_remainder_z
      - .offset:         184
        .size:           8
        .value_kind:     hidden_global_offset_x
      - .offset:         192
        .size:           8
        .value_kind:     hidden_global_offset_y
      - .offset:         200
        .size:           8
        .value_kind:     hidden_global_offset_z
      - .offset:         208
        .size:           2
        .value_kind:     hidden_grid_dims
    .group_segment_fixed_size: 8192
    .kernarg_segment_align: 8
    .kernarg_segment_size: 400
    .language:       OpenCL C
    .language_version:
      - 2
      - 0
    .max_flat_workgroup_size: 256
    .name:           _Z39paged_attention_ll4mi_QKV_mfma16_kernelI14__hip_bfloat16S0_LN4vllm18Fp8KVCacheDataTypeE0ES0_Li16ELi64ELi256ELb1ELi5EEvPKT_PKT0_S8_ifPKiSA_SA_iPKfiiiPfSD_PS3_PT2_iSC_SC_
    .private_segment_fixed_size: 0
    .sgpr_count:     54
    .sgpr_spill_count: 0
    .symbol:         _Z39paged_attention_ll4mi_QKV_mfma16_kernelI14__hip_bfloat16S0_LN4vllm18Fp8KVCacheDataTypeE0ES0_Li16ELi64ELi256ELb1ELi5EEvPKT_PKT0_S8_ifPKiSA_SA_iPKfiiiPfSD_PS3_PT2_iSC_SC_.kd
    .uniform_work_group_size: 1
    .uses_dynamic_stack: false
    .vgpr_count:     72
    .vgpr_spill_count: 0
    .wavefront_size: 64
  - .agpr_count:     0
    .args:
      - .actual_access:  read_only
        .address_space:  global
        .offset:         0
        .size:           8
        .value_kind:     global_buffer
      - .actual_access:  read_only
        .address_space:  global
        .offset:         8
        .size:           8
        .value_kind:     global_buffer
      - .actual_access:  read_only
        .address_space:  global
        .offset:         16
        .size:           8
        .value_kind:     global_buffer
      - .offset:         24
        .size:           4
        .value_kind:     by_value
      - .offset:         28
        .size:           4
        .value_kind:     by_value
      - .actual_access:  read_only
        .address_space:  global
        .offset:         32
        .size:           8
        .value_kind:     global_buffer
      - .actual_access:  read_only
        .address_space:  global
        .offset:         40
        .size:           8
        .value_kind:     global_buffer
      - .actual_access:  read_only
        .address_space:  global
        .offset:         48
        .size:           8
        .value_kind:     global_buffer
      - .offset:         56
        .size:           4
        .value_kind:     by_value
      - .actual_access:  read_only
        .address_space:  global
        .offset:         64
        .size:           8
        .value_kind:     global_buffer
      - .offset:         72
        .size:           4
        .value_kind:     by_value
      - .offset:         76
        .size:           4
        .value_kind:     by_value
      - .offset:         80
        .size:           4
        .value_kind:     by_value
      - .actual_access:  write_only
        .address_space:  global
        .offset:         88
        .size:           8
        .value_kind:     global_buffer
      - .actual_access:  write_only
        .address_space:  global
        .offset:         96
        .size:           8
        .value_kind:     global_buffer
      - .actual_access:  write_only
        .address_space:  global
        .offset:         104
        .size:           8
        .value_kind:     global_buffer
      - .actual_access:  read_only
        .address_space:  global
        .offset:         112
        .size:           8
        .value_kind:     global_buffer
      - .offset:         120
        .size:           4
        .value_kind:     by_value
      - .address_space:  global
        .offset:         128
        .size:           8
        .value_kind:     global_buffer
      - .address_space:  global
        .offset:         136
        .size:           8
        .value_kind:     global_buffer
      - .offset:         144
        .size:           4
        .value_kind:     hidden_block_count_x
      - .offset:         148
        .size:           4
        .value_kind:     hidden_block_count_y
      - .offset:         152
        .size:           4
        .value_kind:     hidden_block_count_z
      - .offset:         156
        .size:           2
        .value_kind:     hidden_group_size_x
      - .offset:         158
        .size:           2
        .value_kind:     hidden_group_size_y
      - .offset:         160
        .size:           2
        .value_kind:     hidden_group_size_z
      - .offset:         162
        .size:           2
        .value_kind:     hidden_remainder_x
      - .offset:         164
        .size:           2
        .value_kind:     hidden_remainder_y
      - .offset:         166
        .size:           2
        .value_kind:     hidden_remainder_z
      - .offset:         184
        .size:           8
        .value_kind:     hidden_global_offset_x
      - .offset:         192
        .size:           8
        .value_kind:     hidden_global_offset_y
      - .offset:         200
        .size:           8
        .value_kind:     hidden_global_offset_z
      - .offset:         208
        .size:           2
        .value_kind:     hidden_grid_dims
    .group_segment_fixed_size: 8192
    .kernarg_segment_align: 8
    .kernarg_segment_size: 400
    .language:       OpenCL C
    .language_version:
      - 2
      - 0
    .max_flat_workgroup_size: 256
    .name:           _Z39paged_attention_ll4mi_QKV_mfma16_kernelI14__hip_bfloat16S0_LN4vllm18Fp8KVCacheDataTypeE0ES0_Li16ELi64ELi256ELb1ELi6EEvPKT_PKT0_S8_ifPKiSA_SA_iPKfiiiPfSD_PS3_PT2_iSC_SC_
    .private_segment_fixed_size: 0
    .sgpr_count:     54
    .sgpr_spill_count: 0
    .symbol:         _Z39paged_attention_ll4mi_QKV_mfma16_kernelI14__hip_bfloat16S0_LN4vllm18Fp8KVCacheDataTypeE0ES0_Li16ELi64ELi256ELb1ELi6EEvPKT_PKT0_S8_ifPKiSA_SA_iPKfiiiPfSD_PS3_PT2_iSC_SC_.kd
    .uniform_work_group_size: 1
    .uses_dynamic_stack: false
    .vgpr_count:     72
    .vgpr_spill_count: 0
    .wavefront_size: 64
  - .agpr_count:     0
    .args:
      - .actual_access:  read_only
        .address_space:  global
        .offset:         0
        .size:           8
        .value_kind:     global_buffer
      - .actual_access:  read_only
        .address_space:  global
        .offset:         8
        .size:           8
        .value_kind:     global_buffer
      - .actual_access:  read_only
        .address_space:  global
        .offset:         16
        .size:           8
        .value_kind:     global_buffer
      - .offset:         24
        .size:           4
        .value_kind:     by_value
      - .offset:         28
        .size:           4
        .value_kind:     by_value
      - .actual_access:  read_only
        .address_space:  global
        .offset:         32
        .size:           8
        .value_kind:     global_buffer
      - .actual_access:  read_only
        .address_space:  global
        .offset:         40
        .size:           8
        .value_kind:     global_buffer
      - .actual_access:  read_only
        .address_space:  global
        .offset:         48
        .size:           8
        .value_kind:     global_buffer
      - .offset:         56
        .size:           4
        .value_kind:     by_value
      - .actual_access:  read_only
        .address_space:  global
        .offset:         64
        .size:           8
        .value_kind:     global_buffer
      - .offset:         72
        .size:           4
        .value_kind:     by_value
      - .offset:         76
        .size:           4
        .value_kind:     by_value
      - .offset:         80
        .size:           4
        .value_kind:     by_value
      - .actual_access:  write_only
        .address_space:  global
        .offset:         88
        .size:           8
        .value_kind:     global_buffer
      - .actual_access:  write_only
        .address_space:  global
        .offset:         96
        .size:           8
        .value_kind:     global_buffer
      - .actual_access:  write_only
        .address_space:  global
        .offset:         104
        .size:           8
        .value_kind:     global_buffer
      - .actual_access:  read_only
        .address_space:  global
        .offset:         112
        .size:           8
        .value_kind:     global_buffer
      - .offset:         120
        .size:           4
        .value_kind:     by_value
      - .address_space:  global
        .offset:         128
        .size:           8
        .value_kind:     global_buffer
      - .address_space:  global
        .offset:         136
        .size:           8
        .value_kind:     global_buffer
      - .offset:         144
        .size:           4
        .value_kind:     hidden_block_count_x
      - .offset:         148
        .size:           4
        .value_kind:     hidden_block_count_y
      - .offset:         152
        .size:           4
        .value_kind:     hidden_block_count_z
      - .offset:         156
        .size:           2
        .value_kind:     hidden_group_size_x
      - .offset:         158
        .size:           2
        .value_kind:     hidden_group_size_y
      - .offset:         160
        .size:           2
        .value_kind:     hidden_group_size_z
      - .offset:         162
        .size:           2
        .value_kind:     hidden_remainder_x
      - .offset:         164
        .size:           2
        .value_kind:     hidden_remainder_y
      - .offset:         166
        .size:           2
        .value_kind:     hidden_remainder_z
      - .offset:         184
        .size:           8
        .value_kind:     hidden_global_offset_x
      - .offset:         192
        .size:           8
        .value_kind:     hidden_global_offset_y
      - .offset:         200
        .size:           8
        .value_kind:     hidden_global_offset_z
      - .offset:         208
        .size:           2
        .value_kind:     hidden_grid_dims
    .group_segment_fixed_size: 8192
    .kernarg_segment_align: 8
    .kernarg_segment_size: 400
    .language:       OpenCL C
    .language_version:
      - 2
      - 0
    .max_flat_workgroup_size: 256
    .name:           _Z39paged_attention_ll4mi_QKV_mfma16_kernelI14__hip_bfloat16S0_LN4vllm18Fp8KVCacheDataTypeE0ES0_Li16ELi64ELi256ELb1ELi7EEvPKT_PKT0_S8_ifPKiSA_SA_iPKfiiiPfSD_PS3_PT2_iSC_SC_
    .private_segment_fixed_size: 0
    .sgpr_count:     54
    .sgpr_spill_count: 0
    .symbol:         _Z39paged_attention_ll4mi_QKV_mfma16_kernelI14__hip_bfloat16S0_LN4vllm18Fp8KVCacheDataTypeE0ES0_Li16ELi64ELi256ELb1ELi7EEvPKT_PKT0_S8_ifPKiSA_SA_iPKfiiiPfSD_PS3_PT2_iSC_SC_.kd
    .uniform_work_group_size: 1
    .uses_dynamic_stack: false
    .vgpr_count:     72
    .vgpr_spill_count: 0
    .wavefront_size: 64
  - .agpr_count:     0
    .args:
      - .actual_access:  read_only
        .address_space:  global
        .offset:         0
        .size:           8
        .value_kind:     global_buffer
      - .actual_access:  read_only
        .address_space:  global
        .offset:         8
        .size:           8
        .value_kind:     global_buffer
      - .actual_access:  read_only
        .address_space:  global
        .offset:         16
        .size:           8
        .value_kind:     global_buffer
      - .offset:         24
        .size:           4
        .value_kind:     by_value
      - .offset:         28
        .size:           4
        .value_kind:     by_value
      - .actual_access:  read_only
        .address_space:  global
        .offset:         32
        .size:           8
        .value_kind:     global_buffer
      - .actual_access:  read_only
        .address_space:  global
        .offset:         40
        .size:           8
        .value_kind:     global_buffer
      - .actual_access:  read_only
        .address_space:  global
        .offset:         48
        .size:           8
        .value_kind:     global_buffer
      - .offset:         56
        .size:           4
        .value_kind:     by_value
      - .actual_access:  read_only
        .address_space:  global
        .offset:         64
        .size:           8
        .value_kind:     global_buffer
      - .offset:         72
        .size:           4
        .value_kind:     by_value
      - .offset:         76
        .size:           4
        .value_kind:     by_value
      - .offset:         80
        .size:           4
        .value_kind:     by_value
      - .actual_access:  write_only
        .address_space:  global
        .offset:         88
        .size:           8
        .value_kind:     global_buffer
      - .actual_access:  write_only
        .address_space:  global
        .offset:         96
        .size:           8
        .value_kind:     global_buffer
      - .actual_access:  write_only
        .address_space:  global
        .offset:         104
        .size:           8
        .value_kind:     global_buffer
      - .actual_access:  read_only
        .address_space:  global
        .offset:         112
        .size:           8
        .value_kind:     global_buffer
      - .offset:         120
        .size:           4
        .value_kind:     by_value
      - .address_space:  global
        .offset:         128
        .size:           8
        .value_kind:     global_buffer
      - .address_space:  global
        .offset:         136
        .size:           8
        .value_kind:     global_buffer
      - .offset:         144
        .size:           4
        .value_kind:     hidden_block_count_x
      - .offset:         148
        .size:           4
        .value_kind:     hidden_block_count_y
      - .offset:         152
        .size:           4
        .value_kind:     hidden_block_count_z
      - .offset:         156
        .size:           2
        .value_kind:     hidden_group_size_x
      - .offset:         158
        .size:           2
        .value_kind:     hidden_group_size_y
      - .offset:         160
        .size:           2
        .value_kind:     hidden_group_size_z
      - .offset:         162
        .size:           2
        .value_kind:     hidden_remainder_x
      - .offset:         164
        .size:           2
        .value_kind:     hidden_remainder_y
      - .offset:         166
        .size:           2
        .value_kind:     hidden_remainder_z
      - .offset:         184
        .size:           8
        .value_kind:     hidden_global_offset_x
      - .offset:         192
        .size:           8
        .value_kind:     hidden_global_offset_y
      - .offset:         200
        .size:           8
        .value_kind:     hidden_global_offset_z
      - .offset:         208
        .size:           2
        .value_kind:     hidden_grid_dims
    .group_segment_fixed_size: 8192
    .kernarg_segment_align: 8
    .kernarg_segment_size: 400
    .language:       OpenCL C
    .language_version:
      - 2
      - 0
    .max_flat_workgroup_size: 256
    .name:           _Z39paged_attention_ll4mi_QKV_mfma16_kernelI14__hip_bfloat16S0_LN4vllm18Fp8KVCacheDataTypeE0ES0_Li16ELi64ELi256ELb1ELi8EEvPKT_PKT0_S8_ifPKiSA_SA_iPKfiiiPfSD_PS3_PT2_iSC_SC_
    .private_segment_fixed_size: 0
    .sgpr_count:     54
    .sgpr_spill_count: 0
    .symbol:         _Z39paged_attention_ll4mi_QKV_mfma16_kernelI14__hip_bfloat16S0_LN4vllm18Fp8KVCacheDataTypeE0ES0_Li16ELi64ELi256ELb1ELi8EEvPKT_PKT0_S8_ifPKiSA_SA_iPKfiiiPfSD_PS3_PT2_iSC_SC_.kd
    .uniform_work_group_size: 1
    .uses_dynamic_stack: false
    .vgpr_count:     72
    .vgpr_spill_count: 0
    .wavefront_size: 64
  - .agpr_count:     0
    .args:
      - .actual_access:  read_only
        .address_space:  global
        .offset:         0
        .size:           8
        .value_kind:     global_buffer
      - .actual_access:  read_only
        .address_space:  global
        .offset:         8
        .size:           8
        .value_kind:     global_buffer
      - .actual_access:  read_only
        .address_space:  global
        .offset:         16
        .size:           8
        .value_kind:     global_buffer
      - .offset:         24
        .size:           4
        .value_kind:     by_value
      - .offset:         28
        .size:           4
        .value_kind:     by_value
      - .actual_access:  read_only
        .address_space:  global
        .offset:         32
        .size:           8
        .value_kind:     global_buffer
      - .actual_access:  read_only
        .address_space:  global
        .offset:         40
        .size:           8
        .value_kind:     global_buffer
      - .actual_access:  read_only
        .address_space:  global
        .offset:         48
        .size:           8
        .value_kind:     global_buffer
      - .offset:         56
        .size:           4
        .value_kind:     by_value
      - .actual_access:  read_only
        .address_space:  global
        .offset:         64
        .size:           8
        .value_kind:     global_buffer
      - .offset:         72
        .size:           4
        .value_kind:     by_value
      - .offset:         76
        .size:           4
        .value_kind:     by_value
      - .offset:         80
        .size:           4
        .value_kind:     by_value
      - .actual_access:  write_only
        .address_space:  global
        .offset:         88
        .size:           8
        .value_kind:     global_buffer
      - .actual_access:  write_only
        .address_space:  global
        .offset:         96
        .size:           8
        .value_kind:     global_buffer
      - .actual_access:  write_only
        .address_space:  global
        .offset:         104
        .size:           8
        .value_kind:     global_buffer
      - .actual_access:  read_only
        .address_space:  global
        .offset:         112
        .size:           8
        .value_kind:     global_buffer
      - .offset:         120
        .size:           4
        .value_kind:     by_value
      - .address_space:  global
        .offset:         128
        .size:           8
        .value_kind:     global_buffer
      - .address_space:  global
        .offset:         136
        .size:           8
        .value_kind:     global_buffer
      - .offset:         144
        .size:           4
        .value_kind:     hidden_block_count_x
      - .offset:         148
        .size:           4
        .value_kind:     hidden_block_count_y
      - .offset:         152
        .size:           4
        .value_kind:     hidden_block_count_z
      - .offset:         156
        .size:           2
        .value_kind:     hidden_group_size_x
      - .offset:         158
        .size:           2
        .value_kind:     hidden_group_size_y
      - .offset:         160
        .size:           2
        .value_kind:     hidden_group_size_z
      - .offset:         162
        .size:           2
        .value_kind:     hidden_remainder_x
      - .offset:         164
        .size:           2
        .value_kind:     hidden_remainder_y
      - .offset:         166
        .size:           2
        .value_kind:     hidden_remainder_z
      - .offset:         184
        .size:           8
        .value_kind:     hidden_global_offset_x
      - .offset:         192
        .size:           8
        .value_kind:     hidden_global_offset_y
      - .offset:         200
        .size:           8
        .value_kind:     hidden_global_offset_z
      - .offset:         208
        .size:           2
        .value_kind:     hidden_grid_dims
    .group_segment_fixed_size: 8192
    .kernarg_segment_align: 8
    .kernarg_segment_size: 400
    .language:       OpenCL C
    .language_version:
      - 2
      - 0
    .max_flat_workgroup_size: 256
    .name:           _Z39paged_attention_ll4mi_QKV_mfma16_kernelI14__hip_bfloat16S0_LN4vllm18Fp8KVCacheDataTypeE0ES0_Li16ELi64ELi256ELb1ELi9EEvPKT_PKT0_S8_ifPKiSA_SA_iPKfiiiPfSD_PS3_PT2_iSC_SC_
    .private_segment_fixed_size: 0
    .sgpr_count:     54
    .sgpr_spill_count: 0
    .symbol:         _Z39paged_attention_ll4mi_QKV_mfma16_kernelI14__hip_bfloat16S0_LN4vllm18Fp8KVCacheDataTypeE0ES0_Li16ELi64ELi256ELb1ELi9EEvPKT_PKT0_S8_ifPKiSA_SA_iPKfiiiPfSD_PS3_PT2_iSC_SC_.kd
    .uniform_work_group_size: 1
    .uses_dynamic_stack: false
    .vgpr_count:     72
    .vgpr_spill_count: 0
    .wavefront_size: 64
  - .agpr_count:     0
    .args:
      - .actual_access:  read_only
        .address_space:  global
        .offset:         0
        .size:           8
        .value_kind:     global_buffer
      - .actual_access:  read_only
        .address_space:  global
        .offset:         8
        .size:           8
        .value_kind:     global_buffer
      - .actual_access:  read_only
        .address_space:  global
        .offset:         16
        .size:           8
        .value_kind:     global_buffer
      - .offset:         24
        .size:           4
        .value_kind:     by_value
      - .offset:         28
        .size:           4
        .value_kind:     by_value
      - .actual_access:  read_only
        .address_space:  global
        .offset:         32
        .size:           8
        .value_kind:     global_buffer
      - .actual_access:  read_only
        .address_space:  global
        .offset:         40
        .size:           8
        .value_kind:     global_buffer
      - .actual_access:  read_only
        .address_space:  global
        .offset:         48
        .size:           8
        .value_kind:     global_buffer
      - .offset:         56
        .size:           4
        .value_kind:     by_value
      - .actual_access:  read_only
        .address_space:  global
        .offset:         64
        .size:           8
        .value_kind:     global_buffer
      - .offset:         72
        .size:           4
        .value_kind:     by_value
      - .offset:         76
        .size:           4
        .value_kind:     by_value
      - .offset:         80
        .size:           4
        .value_kind:     by_value
      - .actual_access:  write_only
        .address_space:  global
        .offset:         88
        .size:           8
        .value_kind:     global_buffer
      - .actual_access:  write_only
        .address_space:  global
        .offset:         96
        .size:           8
        .value_kind:     global_buffer
      - .actual_access:  write_only
        .address_space:  global
        .offset:         104
        .size:           8
        .value_kind:     global_buffer
      - .actual_access:  read_only
        .address_space:  global
        .offset:         112
        .size:           8
        .value_kind:     global_buffer
      - .offset:         120
        .size:           4
        .value_kind:     by_value
      - .address_space:  global
        .offset:         128
        .size:           8
        .value_kind:     global_buffer
      - .address_space:  global
        .offset:         136
        .size:           8
        .value_kind:     global_buffer
      - .offset:         144
        .size:           4
        .value_kind:     hidden_block_count_x
      - .offset:         148
        .size:           4
        .value_kind:     hidden_block_count_y
      - .offset:         152
        .size:           4
        .value_kind:     hidden_block_count_z
      - .offset:         156
        .size:           2
        .value_kind:     hidden_group_size_x
      - .offset:         158
        .size:           2
        .value_kind:     hidden_group_size_y
      - .offset:         160
        .size:           2
        .value_kind:     hidden_group_size_z
      - .offset:         162
        .size:           2
        .value_kind:     hidden_remainder_x
      - .offset:         164
        .size:           2
        .value_kind:     hidden_remainder_y
      - .offset:         166
        .size:           2
        .value_kind:     hidden_remainder_z
      - .offset:         184
        .size:           8
        .value_kind:     hidden_global_offset_x
      - .offset:         192
        .size:           8
        .value_kind:     hidden_global_offset_y
      - .offset:         200
        .size:           8
        .value_kind:     hidden_global_offset_z
      - .offset:         208
        .size:           2
        .value_kind:     hidden_grid_dims
    .group_segment_fixed_size: 8192
    .kernarg_segment_align: 8
    .kernarg_segment_size: 400
    .language:       OpenCL C
    .language_version:
      - 2
      - 0
    .max_flat_workgroup_size: 256
    .name:           _Z39paged_attention_ll4mi_QKV_mfma16_kernelI14__hip_bfloat16S0_LN4vllm18Fp8KVCacheDataTypeE0ES0_Li16ELi64ELi256ELb1ELi10EEvPKT_PKT0_S8_ifPKiSA_SA_iPKfiiiPfSD_PS3_PT2_iSC_SC_
    .private_segment_fixed_size: 0
    .sgpr_count:     54
    .sgpr_spill_count: 0
    .symbol:         _Z39paged_attention_ll4mi_QKV_mfma16_kernelI14__hip_bfloat16S0_LN4vllm18Fp8KVCacheDataTypeE0ES0_Li16ELi64ELi256ELb1ELi10EEvPKT_PKT0_S8_ifPKiSA_SA_iPKfiiiPfSD_PS3_PT2_iSC_SC_.kd
    .uniform_work_group_size: 1
    .uses_dynamic_stack: false
    .vgpr_count:     72
    .vgpr_spill_count: 0
    .wavefront_size: 64
  - .agpr_count:     0
    .args:
      - .actual_access:  read_only
        .address_space:  global
        .offset:         0
        .size:           8
        .value_kind:     global_buffer
      - .actual_access:  read_only
        .address_space:  global
        .offset:         8
        .size:           8
        .value_kind:     global_buffer
      - .actual_access:  read_only
        .address_space:  global
        .offset:         16
        .size:           8
        .value_kind:     global_buffer
      - .offset:         24
        .size:           4
        .value_kind:     by_value
      - .offset:         28
        .size:           4
        .value_kind:     by_value
      - .actual_access:  read_only
        .address_space:  global
        .offset:         32
        .size:           8
        .value_kind:     global_buffer
      - .actual_access:  read_only
        .address_space:  global
        .offset:         40
        .size:           8
        .value_kind:     global_buffer
      - .actual_access:  read_only
        .address_space:  global
        .offset:         48
        .size:           8
        .value_kind:     global_buffer
      - .offset:         56
        .size:           4
        .value_kind:     by_value
      - .actual_access:  read_only
        .address_space:  global
        .offset:         64
        .size:           8
        .value_kind:     global_buffer
      - .offset:         72
        .size:           4
        .value_kind:     by_value
      - .offset:         76
        .size:           4
        .value_kind:     by_value
      - .offset:         80
        .size:           4
        .value_kind:     by_value
      - .actual_access:  write_only
        .address_space:  global
        .offset:         88
        .size:           8
        .value_kind:     global_buffer
      - .actual_access:  write_only
        .address_space:  global
        .offset:         96
        .size:           8
        .value_kind:     global_buffer
      - .actual_access:  write_only
        .address_space:  global
        .offset:         104
        .size:           8
        .value_kind:     global_buffer
      - .actual_access:  read_only
        .address_space:  global
        .offset:         112
        .size:           8
        .value_kind:     global_buffer
      - .offset:         120
        .size:           4
        .value_kind:     by_value
      - .address_space:  global
        .offset:         128
        .size:           8
        .value_kind:     global_buffer
      - .address_space:  global
        .offset:         136
        .size:           8
        .value_kind:     global_buffer
      - .offset:         144
        .size:           4
        .value_kind:     hidden_block_count_x
      - .offset:         148
        .size:           4
        .value_kind:     hidden_block_count_y
      - .offset:         152
        .size:           4
        .value_kind:     hidden_block_count_z
      - .offset:         156
        .size:           2
        .value_kind:     hidden_group_size_x
      - .offset:         158
        .size:           2
        .value_kind:     hidden_group_size_y
      - .offset:         160
        .size:           2
        .value_kind:     hidden_group_size_z
      - .offset:         162
        .size:           2
        .value_kind:     hidden_remainder_x
      - .offset:         164
        .size:           2
        .value_kind:     hidden_remainder_y
      - .offset:         166
        .size:           2
        .value_kind:     hidden_remainder_z
      - .offset:         184
        .size:           8
        .value_kind:     hidden_global_offset_x
      - .offset:         192
        .size:           8
        .value_kind:     hidden_global_offset_y
      - .offset:         200
        .size:           8
        .value_kind:     hidden_global_offset_z
      - .offset:         208
        .size:           2
        .value_kind:     hidden_grid_dims
    .group_segment_fixed_size: 8192
    .kernarg_segment_align: 8
    .kernarg_segment_size: 400
    .language:       OpenCL C
    .language_version:
      - 2
      - 0
    .max_flat_workgroup_size: 256
    .name:           _Z39paged_attention_ll4mi_QKV_mfma16_kernelI14__hip_bfloat16S0_LN4vllm18Fp8KVCacheDataTypeE0ES0_Li16ELi64ELi256ELb1ELi11EEvPKT_PKT0_S8_ifPKiSA_SA_iPKfiiiPfSD_PS3_PT2_iSC_SC_
    .private_segment_fixed_size: 0
    .sgpr_count:     54
    .sgpr_spill_count: 0
    .symbol:         _Z39paged_attention_ll4mi_QKV_mfma16_kernelI14__hip_bfloat16S0_LN4vllm18Fp8KVCacheDataTypeE0ES0_Li16ELi64ELi256ELb1ELi11EEvPKT_PKT0_S8_ifPKiSA_SA_iPKfiiiPfSD_PS3_PT2_iSC_SC_.kd
    .uniform_work_group_size: 1
    .uses_dynamic_stack: false
    .vgpr_count:     72
    .vgpr_spill_count: 0
    .wavefront_size: 64
  - .agpr_count:     0
    .args:
      - .actual_access:  read_only
        .address_space:  global
        .offset:         0
        .size:           8
        .value_kind:     global_buffer
      - .actual_access:  read_only
        .address_space:  global
        .offset:         8
        .size:           8
        .value_kind:     global_buffer
      - .actual_access:  read_only
        .address_space:  global
        .offset:         16
        .size:           8
        .value_kind:     global_buffer
      - .offset:         24
        .size:           4
        .value_kind:     by_value
      - .offset:         28
        .size:           4
        .value_kind:     by_value
      - .actual_access:  read_only
        .address_space:  global
        .offset:         32
        .size:           8
        .value_kind:     global_buffer
      - .actual_access:  read_only
        .address_space:  global
        .offset:         40
        .size:           8
        .value_kind:     global_buffer
      - .actual_access:  read_only
        .address_space:  global
        .offset:         48
        .size:           8
        .value_kind:     global_buffer
      - .offset:         56
        .size:           4
        .value_kind:     by_value
      - .actual_access:  read_only
        .address_space:  global
        .offset:         64
        .size:           8
        .value_kind:     global_buffer
      - .offset:         72
        .size:           4
        .value_kind:     by_value
      - .offset:         76
        .size:           4
        .value_kind:     by_value
      - .offset:         80
        .size:           4
        .value_kind:     by_value
      - .actual_access:  write_only
        .address_space:  global
        .offset:         88
        .size:           8
        .value_kind:     global_buffer
      - .actual_access:  write_only
        .address_space:  global
        .offset:         96
        .size:           8
        .value_kind:     global_buffer
      - .actual_access:  write_only
        .address_space:  global
        .offset:         104
        .size:           8
        .value_kind:     global_buffer
      - .actual_access:  read_only
        .address_space:  global
        .offset:         112
        .size:           8
        .value_kind:     global_buffer
      - .offset:         120
        .size:           4
        .value_kind:     by_value
      - .address_space:  global
        .offset:         128
        .size:           8
        .value_kind:     global_buffer
      - .address_space:  global
        .offset:         136
        .size:           8
        .value_kind:     global_buffer
      - .offset:         144
        .size:           4
        .value_kind:     hidden_block_count_x
      - .offset:         148
        .size:           4
        .value_kind:     hidden_block_count_y
      - .offset:         152
        .size:           4
        .value_kind:     hidden_block_count_z
      - .offset:         156
        .size:           2
        .value_kind:     hidden_group_size_x
      - .offset:         158
        .size:           2
        .value_kind:     hidden_group_size_y
      - .offset:         160
        .size:           2
        .value_kind:     hidden_group_size_z
      - .offset:         162
        .size:           2
        .value_kind:     hidden_remainder_x
      - .offset:         164
        .size:           2
        .value_kind:     hidden_remainder_y
      - .offset:         166
        .size:           2
        .value_kind:     hidden_remainder_z
      - .offset:         184
        .size:           8
        .value_kind:     hidden_global_offset_x
      - .offset:         192
        .size:           8
        .value_kind:     hidden_global_offset_y
      - .offset:         200
        .size:           8
        .value_kind:     hidden_global_offset_z
      - .offset:         208
        .size:           2
        .value_kind:     hidden_grid_dims
    .group_segment_fixed_size: 8192
    .kernarg_segment_align: 8
    .kernarg_segment_size: 400
    .language:       OpenCL C
    .language_version:
      - 2
      - 0
    .max_flat_workgroup_size: 256
    .name:           _Z39paged_attention_ll4mi_QKV_mfma16_kernelI14__hip_bfloat16S0_LN4vllm18Fp8KVCacheDataTypeE0ES0_Li16ELi64ELi256ELb1ELi12EEvPKT_PKT0_S8_ifPKiSA_SA_iPKfiiiPfSD_PS3_PT2_iSC_SC_
    .private_segment_fixed_size: 0
    .sgpr_count:     54
    .sgpr_spill_count: 0
    .symbol:         _Z39paged_attention_ll4mi_QKV_mfma16_kernelI14__hip_bfloat16S0_LN4vllm18Fp8KVCacheDataTypeE0ES0_Li16ELi64ELi256ELb1ELi12EEvPKT_PKT0_S8_ifPKiSA_SA_iPKfiiiPfSD_PS3_PT2_iSC_SC_.kd
    .uniform_work_group_size: 1
    .uses_dynamic_stack: false
    .vgpr_count:     72
    .vgpr_spill_count: 0
    .wavefront_size: 64
  - .agpr_count:     0
    .args:
      - .actual_access:  read_only
        .address_space:  global
        .offset:         0
        .size:           8
        .value_kind:     global_buffer
      - .actual_access:  read_only
        .address_space:  global
        .offset:         8
        .size:           8
        .value_kind:     global_buffer
      - .actual_access:  read_only
        .address_space:  global
        .offset:         16
        .size:           8
        .value_kind:     global_buffer
      - .offset:         24
        .size:           4
        .value_kind:     by_value
      - .offset:         28
        .size:           4
        .value_kind:     by_value
      - .actual_access:  read_only
        .address_space:  global
        .offset:         32
        .size:           8
        .value_kind:     global_buffer
      - .actual_access:  read_only
        .address_space:  global
        .offset:         40
        .size:           8
        .value_kind:     global_buffer
      - .actual_access:  read_only
        .address_space:  global
        .offset:         48
        .size:           8
        .value_kind:     global_buffer
      - .offset:         56
        .size:           4
        .value_kind:     by_value
      - .actual_access:  read_only
        .address_space:  global
        .offset:         64
        .size:           8
        .value_kind:     global_buffer
      - .offset:         72
        .size:           4
        .value_kind:     by_value
      - .offset:         76
        .size:           4
        .value_kind:     by_value
      - .offset:         80
        .size:           4
        .value_kind:     by_value
      - .actual_access:  write_only
        .address_space:  global
        .offset:         88
        .size:           8
        .value_kind:     global_buffer
      - .actual_access:  write_only
        .address_space:  global
        .offset:         96
        .size:           8
        .value_kind:     global_buffer
      - .actual_access:  write_only
        .address_space:  global
        .offset:         104
        .size:           8
        .value_kind:     global_buffer
      - .actual_access:  read_only
        .address_space:  global
        .offset:         112
        .size:           8
        .value_kind:     global_buffer
      - .offset:         120
        .size:           4
        .value_kind:     by_value
      - .address_space:  global
        .offset:         128
        .size:           8
        .value_kind:     global_buffer
      - .address_space:  global
        .offset:         136
        .size:           8
        .value_kind:     global_buffer
      - .offset:         144
        .size:           4
        .value_kind:     hidden_block_count_x
      - .offset:         148
        .size:           4
        .value_kind:     hidden_block_count_y
      - .offset:         152
        .size:           4
        .value_kind:     hidden_block_count_z
      - .offset:         156
        .size:           2
        .value_kind:     hidden_group_size_x
      - .offset:         158
        .size:           2
        .value_kind:     hidden_group_size_y
      - .offset:         160
        .size:           2
        .value_kind:     hidden_group_size_z
      - .offset:         162
        .size:           2
        .value_kind:     hidden_remainder_x
      - .offset:         164
        .size:           2
        .value_kind:     hidden_remainder_y
      - .offset:         166
        .size:           2
        .value_kind:     hidden_remainder_z
      - .offset:         184
        .size:           8
        .value_kind:     hidden_global_offset_x
      - .offset:         192
        .size:           8
        .value_kind:     hidden_global_offset_y
      - .offset:         200
        .size:           8
        .value_kind:     hidden_global_offset_z
      - .offset:         208
        .size:           2
        .value_kind:     hidden_grid_dims
    .group_segment_fixed_size: 8192
    .kernarg_segment_align: 8
    .kernarg_segment_size: 400
    .language:       OpenCL C
    .language_version:
      - 2
      - 0
    .max_flat_workgroup_size: 256
    .name:           _Z39paged_attention_ll4mi_QKV_mfma16_kernelI14__hip_bfloat16S0_LN4vllm18Fp8KVCacheDataTypeE0ES0_Li16ELi64ELi256ELb1ELi13EEvPKT_PKT0_S8_ifPKiSA_SA_iPKfiiiPfSD_PS3_PT2_iSC_SC_
    .private_segment_fixed_size: 0
    .sgpr_count:     54
    .sgpr_spill_count: 0
    .symbol:         _Z39paged_attention_ll4mi_QKV_mfma16_kernelI14__hip_bfloat16S0_LN4vllm18Fp8KVCacheDataTypeE0ES0_Li16ELi64ELi256ELb1ELi13EEvPKT_PKT0_S8_ifPKiSA_SA_iPKfiiiPfSD_PS3_PT2_iSC_SC_.kd
    .uniform_work_group_size: 1
    .uses_dynamic_stack: false
    .vgpr_count:     72
    .vgpr_spill_count: 0
    .wavefront_size: 64
  - .agpr_count:     0
    .args:
      - .actual_access:  read_only
        .address_space:  global
        .offset:         0
        .size:           8
        .value_kind:     global_buffer
      - .actual_access:  read_only
        .address_space:  global
        .offset:         8
        .size:           8
        .value_kind:     global_buffer
      - .actual_access:  read_only
        .address_space:  global
        .offset:         16
        .size:           8
        .value_kind:     global_buffer
      - .offset:         24
        .size:           4
        .value_kind:     by_value
      - .offset:         28
        .size:           4
        .value_kind:     by_value
      - .actual_access:  read_only
        .address_space:  global
        .offset:         32
        .size:           8
        .value_kind:     global_buffer
      - .actual_access:  read_only
        .address_space:  global
        .offset:         40
        .size:           8
        .value_kind:     global_buffer
      - .actual_access:  read_only
        .address_space:  global
        .offset:         48
        .size:           8
        .value_kind:     global_buffer
      - .offset:         56
        .size:           4
        .value_kind:     by_value
      - .actual_access:  read_only
        .address_space:  global
        .offset:         64
        .size:           8
        .value_kind:     global_buffer
      - .offset:         72
        .size:           4
        .value_kind:     by_value
      - .offset:         76
        .size:           4
        .value_kind:     by_value
      - .offset:         80
        .size:           4
        .value_kind:     by_value
      - .actual_access:  write_only
        .address_space:  global
        .offset:         88
        .size:           8
        .value_kind:     global_buffer
      - .actual_access:  write_only
        .address_space:  global
        .offset:         96
        .size:           8
        .value_kind:     global_buffer
      - .actual_access:  write_only
        .address_space:  global
        .offset:         104
        .size:           8
        .value_kind:     global_buffer
      - .actual_access:  read_only
        .address_space:  global
        .offset:         112
        .size:           8
        .value_kind:     global_buffer
      - .offset:         120
        .size:           4
        .value_kind:     by_value
      - .address_space:  global
        .offset:         128
        .size:           8
        .value_kind:     global_buffer
      - .address_space:  global
        .offset:         136
        .size:           8
        .value_kind:     global_buffer
      - .offset:         144
        .size:           4
        .value_kind:     hidden_block_count_x
      - .offset:         148
        .size:           4
        .value_kind:     hidden_block_count_y
      - .offset:         152
        .size:           4
        .value_kind:     hidden_block_count_z
      - .offset:         156
        .size:           2
        .value_kind:     hidden_group_size_x
      - .offset:         158
        .size:           2
        .value_kind:     hidden_group_size_y
      - .offset:         160
        .size:           2
        .value_kind:     hidden_group_size_z
      - .offset:         162
        .size:           2
        .value_kind:     hidden_remainder_x
      - .offset:         164
        .size:           2
        .value_kind:     hidden_remainder_y
      - .offset:         166
        .size:           2
        .value_kind:     hidden_remainder_z
      - .offset:         184
        .size:           8
        .value_kind:     hidden_global_offset_x
      - .offset:         192
        .size:           8
        .value_kind:     hidden_global_offset_y
      - .offset:         200
        .size:           8
        .value_kind:     hidden_global_offset_z
      - .offset:         208
        .size:           2
        .value_kind:     hidden_grid_dims
    .group_segment_fixed_size: 8192
    .kernarg_segment_align: 8
    .kernarg_segment_size: 400
    .language:       OpenCL C
    .language_version:
      - 2
      - 0
    .max_flat_workgroup_size: 256
    .name:           _Z39paged_attention_ll4mi_QKV_mfma16_kernelI14__hip_bfloat16S0_LN4vllm18Fp8KVCacheDataTypeE0ES0_Li16ELi64ELi256ELb1ELi14EEvPKT_PKT0_S8_ifPKiSA_SA_iPKfiiiPfSD_PS3_PT2_iSC_SC_
    .private_segment_fixed_size: 0
    .sgpr_count:     54
    .sgpr_spill_count: 0
    .symbol:         _Z39paged_attention_ll4mi_QKV_mfma16_kernelI14__hip_bfloat16S0_LN4vllm18Fp8KVCacheDataTypeE0ES0_Li16ELi64ELi256ELb1ELi14EEvPKT_PKT0_S8_ifPKiSA_SA_iPKfiiiPfSD_PS3_PT2_iSC_SC_.kd
    .uniform_work_group_size: 1
    .uses_dynamic_stack: false
    .vgpr_count:     72
    .vgpr_spill_count: 0
    .wavefront_size: 64
  - .agpr_count:     0
    .args:
      - .actual_access:  read_only
        .address_space:  global
        .offset:         0
        .size:           8
        .value_kind:     global_buffer
      - .actual_access:  read_only
        .address_space:  global
        .offset:         8
        .size:           8
        .value_kind:     global_buffer
      - .actual_access:  read_only
        .address_space:  global
        .offset:         16
        .size:           8
        .value_kind:     global_buffer
      - .offset:         24
        .size:           4
        .value_kind:     by_value
      - .offset:         28
        .size:           4
        .value_kind:     by_value
      - .actual_access:  read_only
        .address_space:  global
        .offset:         32
        .size:           8
        .value_kind:     global_buffer
      - .actual_access:  read_only
        .address_space:  global
        .offset:         40
        .size:           8
        .value_kind:     global_buffer
      - .actual_access:  read_only
        .address_space:  global
        .offset:         48
        .size:           8
        .value_kind:     global_buffer
      - .offset:         56
        .size:           4
        .value_kind:     by_value
      - .actual_access:  read_only
        .address_space:  global
        .offset:         64
        .size:           8
        .value_kind:     global_buffer
      - .offset:         72
        .size:           4
        .value_kind:     by_value
      - .offset:         76
        .size:           4
        .value_kind:     by_value
      - .offset:         80
        .size:           4
        .value_kind:     by_value
      - .actual_access:  write_only
        .address_space:  global
        .offset:         88
        .size:           8
        .value_kind:     global_buffer
      - .actual_access:  write_only
        .address_space:  global
        .offset:         96
        .size:           8
        .value_kind:     global_buffer
      - .actual_access:  write_only
        .address_space:  global
        .offset:         104
        .size:           8
        .value_kind:     global_buffer
      - .actual_access:  read_only
        .address_space:  global
        .offset:         112
        .size:           8
        .value_kind:     global_buffer
      - .offset:         120
        .size:           4
        .value_kind:     by_value
      - .address_space:  global
        .offset:         128
        .size:           8
        .value_kind:     global_buffer
      - .address_space:  global
        .offset:         136
        .size:           8
        .value_kind:     global_buffer
      - .offset:         144
        .size:           4
        .value_kind:     hidden_block_count_x
      - .offset:         148
        .size:           4
        .value_kind:     hidden_block_count_y
      - .offset:         152
        .size:           4
        .value_kind:     hidden_block_count_z
      - .offset:         156
        .size:           2
        .value_kind:     hidden_group_size_x
      - .offset:         158
        .size:           2
        .value_kind:     hidden_group_size_y
      - .offset:         160
        .size:           2
        .value_kind:     hidden_group_size_z
      - .offset:         162
        .size:           2
        .value_kind:     hidden_remainder_x
      - .offset:         164
        .size:           2
        .value_kind:     hidden_remainder_y
      - .offset:         166
        .size:           2
        .value_kind:     hidden_remainder_z
      - .offset:         184
        .size:           8
        .value_kind:     hidden_global_offset_x
      - .offset:         192
        .size:           8
        .value_kind:     hidden_global_offset_y
      - .offset:         200
        .size:           8
        .value_kind:     hidden_global_offset_z
      - .offset:         208
        .size:           2
        .value_kind:     hidden_grid_dims
    .group_segment_fixed_size: 8192
    .kernarg_segment_align: 8
    .kernarg_segment_size: 400
    .language:       OpenCL C
    .language_version:
      - 2
      - 0
    .max_flat_workgroup_size: 256
    .name:           _Z39paged_attention_ll4mi_QKV_mfma16_kernelI14__hip_bfloat16S0_LN4vllm18Fp8KVCacheDataTypeE0ES0_Li16ELi64ELi256ELb1ELi15EEvPKT_PKT0_S8_ifPKiSA_SA_iPKfiiiPfSD_PS3_PT2_iSC_SC_
    .private_segment_fixed_size: 0
    .sgpr_count:     54
    .sgpr_spill_count: 0
    .symbol:         _Z39paged_attention_ll4mi_QKV_mfma16_kernelI14__hip_bfloat16S0_LN4vllm18Fp8KVCacheDataTypeE0ES0_Li16ELi64ELi256ELb1ELi15EEvPKT_PKT0_S8_ifPKiSA_SA_iPKfiiiPfSD_PS3_PT2_iSC_SC_.kd
    .uniform_work_group_size: 1
    .uses_dynamic_stack: false
    .vgpr_count:     72
    .vgpr_spill_count: 0
    .wavefront_size: 64
  - .agpr_count:     0
    .args:
      - .actual_access:  read_only
        .address_space:  global
        .offset:         0
        .size:           8
        .value_kind:     global_buffer
      - .actual_access:  read_only
        .address_space:  global
        .offset:         8
        .size:           8
        .value_kind:     global_buffer
      - .actual_access:  read_only
        .address_space:  global
        .offset:         16
        .size:           8
        .value_kind:     global_buffer
      - .offset:         24
        .size:           4
        .value_kind:     by_value
      - .offset:         28
        .size:           4
        .value_kind:     by_value
      - .actual_access:  read_only
        .address_space:  global
        .offset:         32
        .size:           8
        .value_kind:     global_buffer
      - .actual_access:  read_only
        .address_space:  global
        .offset:         40
        .size:           8
        .value_kind:     global_buffer
      - .actual_access:  read_only
        .address_space:  global
        .offset:         48
        .size:           8
        .value_kind:     global_buffer
      - .offset:         56
        .size:           4
        .value_kind:     by_value
      - .actual_access:  read_only
        .address_space:  global
        .offset:         64
        .size:           8
        .value_kind:     global_buffer
      - .offset:         72
        .size:           4
        .value_kind:     by_value
      - .offset:         76
        .size:           4
        .value_kind:     by_value
      - .offset:         80
        .size:           4
        .value_kind:     by_value
      - .actual_access:  write_only
        .address_space:  global
        .offset:         88
        .size:           8
        .value_kind:     global_buffer
      - .actual_access:  write_only
        .address_space:  global
        .offset:         96
        .size:           8
        .value_kind:     global_buffer
      - .actual_access:  write_only
        .address_space:  global
        .offset:         104
        .size:           8
        .value_kind:     global_buffer
      - .actual_access:  read_only
        .address_space:  global
        .offset:         112
        .size:           8
        .value_kind:     global_buffer
      - .offset:         120
        .size:           4
        .value_kind:     by_value
      - .address_space:  global
        .offset:         128
        .size:           8
        .value_kind:     global_buffer
      - .address_space:  global
        .offset:         136
        .size:           8
        .value_kind:     global_buffer
      - .offset:         144
        .size:           4
        .value_kind:     hidden_block_count_x
      - .offset:         148
        .size:           4
        .value_kind:     hidden_block_count_y
      - .offset:         152
        .size:           4
        .value_kind:     hidden_block_count_z
      - .offset:         156
        .size:           2
        .value_kind:     hidden_group_size_x
      - .offset:         158
        .size:           2
        .value_kind:     hidden_group_size_y
      - .offset:         160
        .size:           2
        .value_kind:     hidden_group_size_z
      - .offset:         162
        .size:           2
        .value_kind:     hidden_remainder_x
      - .offset:         164
        .size:           2
        .value_kind:     hidden_remainder_y
      - .offset:         166
        .size:           2
        .value_kind:     hidden_remainder_z
      - .offset:         184
        .size:           8
        .value_kind:     hidden_global_offset_x
      - .offset:         192
        .size:           8
        .value_kind:     hidden_global_offset_y
      - .offset:         200
        .size:           8
        .value_kind:     hidden_global_offset_z
      - .offset:         208
        .size:           2
        .value_kind:     hidden_grid_dims
    .group_segment_fixed_size: 8192
    .kernarg_segment_align: 8
    .kernarg_segment_size: 400
    .language:       OpenCL C
    .language_version:
      - 2
      - 0
    .max_flat_workgroup_size: 256
    .name:           _Z39paged_attention_ll4mi_QKV_mfma16_kernelI14__hip_bfloat16S0_LN4vllm18Fp8KVCacheDataTypeE0ES0_Li16ELi64ELi256ELb1ELi16EEvPKT_PKT0_S8_ifPKiSA_SA_iPKfiiiPfSD_PS3_PT2_iSC_SC_
    .private_segment_fixed_size: 0
    .sgpr_count:     54
    .sgpr_spill_count: 0
    .symbol:         _Z39paged_attention_ll4mi_QKV_mfma16_kernelI14__hip_bfloat16S0_LN4vllm18Fp8KVCacheDataTypeE0ES0_Li16ELi64ELi256ELb1ELi16EEvPKT_PKT0_S8_ifPKiSA_SA_iPKfiiiPfSD_PS3_PT2_iSC_SC_.kd
    .uniform_work_group_size: 1
    .uses_dynamic_stack: false
    .vgpr_count:     72
    .vgpr_spill_count: 0
    .wavefront_size: 64
  - .agpr_count:     0
    .args:
      - .actual_access:  write_only
        .address_space:  global
        .offset:         0
        .size:           8
        .value_kind:     global_buffer
      - .actual_access:  read_only
        .address_space:  global
        .offset:         8
        .size:           8
        .value_kind:     global_buffer
      - .actual_access:  read_only
        .address_space:  global
        .offset:         16
        .size:           8
        .value_kind:     global_buffer
      - .actual_access:  read_only
        .address_space:  global
        .offset:         24
        .size:           8
        .value_kind:     global_buffer
      - .actual_access:  read_only
        .address_space:  global
        .offset:         32
        .size:           8
        .value_kind:     global_buffer
      - .actual_access:  read_only
        .address_space:  global
        .offset:         40
        .size:           8
        .value_kind:     global_buffer
      - .offset:         48
        .size:           4
        .value_kind:     by_value
      - .actual_access:  read_only
        .address_space:  global
        .offset:         56
        .size:           8
        .value_kind:     global_buffer
      - .offset:         64
        .size:           4
        .value_kind:     hidden_block_count_x
      - .offset:         68
        .size:           4
        .value_kind:     hidden_block_count_y
      - .offset:         72
        .size:           4
        .value_kind:     hidden_block_count_z
      - .offset:         76
        .size:           2
        .value_kind:     hidden_group_size_x
      - .offset:         78
        .size:           2
        .value_kind:     hidden_group_size_y
      - .offset:         80
        .size:           2
        .value_kind:     hidden_group_size_z
      - .offset:         82
        .size:           2
        .value_kind:     hidden_remainder_x
      - .offset:         84
        .size:           2
        .value_kind:     hidden_remainder_y
      - .offset:         86
        .size:           2
        .value_kind:     hidden_remainder_z
      - .offset:         104
        .size:           8
        .value_kind:     hidden_global_offset_x
      - .offset:         112
        .size:           8
        .value_kind:     hidden_global_offset_y
      - .offset:         120
        .size:           8
        .value_kind:     hidden_global_offset_z
      - .offset:         128
        .size:           2
        .value_kind:     hidden_grid_dims
    .group_segment_fixed_size: 260
    .kernarg_segment_align: 8
    .kernarg_segment_size: 320
    .language:       OpenCL C
    .language_version:
      - 2
      - 0
    .max_flat_workgroup_size: 64
    .name:           _Z35paged_attention_ll4mi_reduce_kernelI14__hip_bfloat16S0_Li64ELi64ELi256ELi1EEvPT0_PKfS4_PKT_PKiS9_iS4_
    .private_segment_fixed_size: 0
    .sgpr_count:     36
    .sgpr_spill_count: 0
    .symbol:         _Z35paged_attention_ll4mi_reduce_kernelI14__hip_bfloat16S0_Li64ELi64ELi256ELi1EEvPT0_PKfS4_PKT_PKiS9_iS4_.kd
    .uniform_work_group_size: 1
    .uses_dynamic_stack: false
    .vgpr_count:     116
    .vgpr_spill_count: 0
    .wavefront_size: 64
  - .agpr_count:     0
    .args:
      - .actual_access:  write_only
        .address_space:  global
        .offset:         0
        .size:           8
        .value_kind:     global_buffer
      - .actual_access:  read_only
        .address_space:  global
        .offset:         8
        .size:           8
        .value_kind:     global_buffer
      - .actual_access:  read_only
        .address_space:  global
        .offset:         16
        .size:           8
        .value_kind:     global_buffer
      - .actual_access:  read_only
        .address_space:  global
        .offset:         24
        .size:           8
        .value_kind:     global_buffer
      - .actual_access:  read_only
        .address_space:  global
        .offset:         32
        .size:           8
        .value_kind:     global_buffer
      - .actual_access:  read_only
        .address_space:  global
        .offset:         40
        .size:           8
        .value_kind:     global_buffer
      - .offset:         48
        .size:           4
        .value_kind:     by_value
      - .actual_access:  read_only
        .address_space:  global
        .offset:         56
        .size:           8
        .value_kind:     global_buffer
      - .offset:         64
        .size:           4
        .value_kind:     hidden_block_count_x
      - .offset:         68
        .size:           4
        .value_kind:     hidden_block_count_y
      - .offset:         72
        .size:           4
        .value_kind:     hidden_block_count_z
      - .offset:         76
        .size:           2
        .value_kind:     hidden_group_size_x
      - .offset:         78
        .size:           2
        .value_kind:     hidden_group_size_y
      - .offset:         80
        .size:           2
        .value_kind:     hidden_group_size_z
      - .offset:         82
        .size:           2
        .value_kind:     hidden_remainder_x
      - .offset:         84
        .size:           2
        .value_kind:     hidden_remainder_y
      - .offset:         86
        .size:           2
        .value_kind:     hidden_remainder_z
      - .offset:         104
        .size:           8
        .value_kind:     hidden_global_offset_x
      - .offset:         112
        .size:           8
        .value_kind:     hidden_global_offset_y
      - .offset:         120
        .size:           8
        .value_kind:     hidden_global_offset_z
      - .offset:         128
        .size:           2
        .value_kind:     hidden_grid_dims
    .group_segment_fixed_size: 516
    .kernarg_segment_align: 8
    .kernarg_segment_size: 320
    .language:       OpenCL C
    .language_version:
      - 2
      - 0
    .max_flat_workgroup_size: 64
    .name:           _Z35paged_attention_ll4mi_reduce_kernelI14__hip_bfloat16S0_Li64ELi64ELi256ELi2EEvPT0_PKfS4_PKT_PKiS9_iS4_
    .private_segment_fixed_size: 0
    .sgpr_count:     38
    .sgpr_spill_count: 0
    .symbol:         _Z35paged_attention_ll4mi_reduce_kernelI14__hip_bfloat16S0_Li64ELi64ELi256ELi2EEvPT0_PKfS4_PKT_PKiS9_iS4_.kd
    .uniform_work_group_size: 1
    .uses_dynamic_stack: false
    .vgpr_count:     125
    .vgpr_spill_count: 0
    .wavefront_size: 64
  - .agpr_count:     0
    .args:
      - .actual_access:  write_only
        .address_space:  global
        .offset:         0
        .size:           8
        .value_kind:     global_buffer
      - .actual_access:  read_only
        .address_space:  global
        .offset:         8
        .size:           8
        .value_kind:     global_buffer
      - .actual_access:  read_only
        .address_space:  global
        .offset:         16
        .size:           8
        .value_kind:     global_buffer
      - .actual_access:  read_only
        .address_space:  global
        .offset:         24
        .size:           8
        .value_kind:     global_buffer
      - .actual_access:  read_only
        .address_space:  global
        .offset:         32
        .size:           8
        .value_kind:     global_buffer
      - .actual_access:  read_only
        .address_space:  global
        .offset:         40
        .size:           8
        .value_kind:     global_buffer
      - .offset:         48
        .size:           4
        .value_kind:     by_value
      - .actual_access:  read_only
        .address_space:  global
        .offset:         56
        .size:           8
        .value_kind:     global_buffer
      - .offset:         64
        .size:           4
        .value_kind:     hidden_block_count_x
      - .offset:         68
        .size:           4
        .value_kind:     hidden_block_count_y
      - .offset:         72
        .size:           4
        .value_kind:     hidden_block_count_z
      - .offset:         76
        .size:           2
        .value_kind:     hidden_group_size_x
      - .offset:         78
        .size:           2
        .value_kind:     hidden_group_size_y
      - .offset:         80
        .size:           2
        .value_kind:     hidden_group_size_z
      - .offset:         82
        .size:           2
        .value_kind:     hidden_remainder_x
      - .offset:         84
        .size:           2
        .value_kind:     hidden_remainder_y
      - .offset:         86
        .size:           2
        .value_kind:     hidden_remainder_z
      - .offset:         104
        .size:           8
        .value_kind:     hidden_global_offset_x
      - .offset:         112
        .size:           8
        .value_kind:     hidden_global_offset_y
      - .offset:         120
        .size:           8
        .value_kind:     hidden_global_offset_z
      - .offset:         128
        .size:           2
        .value_kind:     hidden_grid_dims
    .group_segment_fixed_size: 772
    .kernarg_segment_align: 8
    .kernarg_segment_size: 320
    .language:       OpenCL C
    .language_version:
      - 2
      - 0
    .max_flat_workgroup_size: 64
    .name:           _Z35paged_attention_ll4mi_reduce_kernelI14__hip_bfloat16S0_Li64ELi64ELi256ELi3EEvPT0_PKfS4_PKT_PKiS9_iS4_
    .private_segment_fixed_size: 0
    .sgpr_count:     42
    .sgpr_spill_count: 0
    .symbol:         _Z35paged_attention_ll4mi_reduce_kernelI14__hip_bfloat16S0_Li64ELi64ELi256ELi3EEvPT0_PKfS4_PKT_PKiS9_iS4_.kd
    .uniform_work_group_size: 1
    .uses_dynamic_stack: false
    .vgpr_count:     125
    .vgpr_spill_count: 0
    .wavefront_size: 64
  - .agpr_count:     0
    .args:
      - .actual_access:  write_only
        .address_space:  global
        .offset:         0
        .size:           8
        .value_kind:     global_buffer
      - .actual_access:  read_only
        .address_space:  global
        .offset:         8
        .size:           8
        .value_kind:     global_buffer
      - .actual_access:  read_only
        .address_space:  global
        .offset:         16
        .size:           8
        .value_kind:     global_buffer
      - .actual_access:  read_only
        .address_space:  global
        .offset:         24
        .size:           8
        .value_kind:     global_buffer
      - .actual_access:  read_only
        .address_space:  global
        .offset:         32
        .size:           8
        .value_kind:     global_buffer
      - .actual_access:  read_only
        .address_space:  global
        .offset:         40
        .size:           8
        .value_kind:     global_buffer
      - .offset:         48
        .size:           4
        .value_kind:     by_value
      - .actual_access:  read_only
        .address_space:  global
        .offset:         56
        .size:           8
        .value_kind:     global_buffer
      - .offset:         64
        .size:           4
        .value_kind:     hidden_block_count_x
      - .offset:         68
        .size:           4
        .value_kind:     hidden_block_count_y
      - .offset:         72
        .size:           4
        .value_kind:     hidden_block_count_z
      - .offset:         76
        .size:           2
        .value_kind:     hidden_group_size_x
      - .offset:         78
        .size:           2
        .value_kind:     hidden_group_size_y
      - .offset:         80
        .size:           2
        .value_kind:     hidden_group_size_z
      - .offset:         82
        .size:           2
        .value_kind:     hidden_remainder_x
      - .offset:         84
        .size:           2
        .value_kind:     hidden_remainder_y
      - .offset:         86
        .size:           2
        .value_kind:     hidden_remainder_z
      - .offset:         104
        .size:           8
        .value_kind:     hidden_global_offset_x
      - .offset:         112
        .size:           8
        .value_kind:     hidden_global_offset_y
      - .offset:         120
        .size:           8
        .value_kind:     hidden_global_offset_z
      - .offset:         128
        .size:           2
        .value_kind:     hidden_grid_dims
    .group_segment_fixed_size: 1028
    .kernarg_segment_align: 8
    .kernarg_segment_size: 320
    .language:       OpenCL C
    .language_version:
      - 2
      - 0
    .max_flat_workgroup_size: 64
    .name:           _Z35paged_attention_ll4mi_reduce_kernelI14__hip_bfloat16S0_Li64ELi64ELi256ELi4EEvPT0_PKfS4_PKT_PKiS9_iS4_
    .private_segment_fixed_size: 0
    .sgpr_count:     44
    .sgpr_spill_count: 0
    .symbol:         _Z35paged_attention_ll4mi_reduce_kernelI14__hip_bfloat16S0_Li64ELi64ELi256ELi4EEvPT0_PKfS4_PKT_PKiS9_iS4_.kd
    .uniform_work_group_size: 1
    .uses_dynamic_stack: false
    .vgpr_count:     126
    .vgpr_spill_count: 0
    .wavefront_size: 64
  - .agpr_count:     0
    .args:
      - .actual_access:  write_only
        .address_space:  global
        .offset:         0
        .size:           8
        .value_kind:     global_buffer
      - .actual_access:  read_only
        .address_space:  global
        .offset:         8
        .size:           8
        .value_kind:     global_buffer
      - .actual_access:  read_only
        .address_space:  global
        .offset:         16
        .size:           8
        .value_kind:     global_buffer
      - .actual_access:  read_only
        .address_space:  global
        .offset:         24
        .size:           8
        .value_kind:     global_buffer
      - .actual_access:  read_only
        .address_space:  global
        .offset:         32
        .size:           8
        .value_kind:     global_buffer
      - .actual_access:  read_only
        .address_space:  global
        .offset:         40
        .size:           8
        .value_kind:     global_buffer
      - .offset:         48
        .size:           4
        .value_kind:     by_value
      - .actual_access:  read_only
        .address_space:  global
        .offset:         56
        .size:           8
        .value_kind:     global_buffer
      - .offset:         64
        .size:           4
        .value_kind:     hidden_block_count_x
      - .offset:         68
        .size:           4
        .value_kind:     hidden_block_count_y
      - .offset:         72
        .size:           4
        .value_kind:     hidden_block_count_z
      - .offset:         76
        .size:           2
        .value_kind:     hidden_group_size_x
      - .offset:         78
        .size:           2
        .value_kind:     hidden_group_size_y
      - .offset:         80
        .size:           2
        .value_kind:     hidden_group_size_z
      - .offset:         82
        .size:           2
        .value_kind:     hidden_remainder_x
      - .offset:         84
        .size:           2
        .value_kind:     hidden_remainder_y
      - .offset:         86
        .size:           2
        .value_kind:     hidden_remainder_z
      - .offset:         104
        .size:           8
        .value_kind:     hidden_global_offset_x
      - .offset:         112
        .size:           8
        .value_kind:     hidden_global_offset_y
      - .offset:         120
        .size:           8
        .value_kind:     hidden_global_offset_z
      - .offset:         128
        .size:           2
        .value_kind:     hidden_grid_dims
    .group_segment_fixed_size: 1284
    .kernarg_segment_align: 8
    .kernarg_segment_size: 320
    .language:       OpenCL C
    .language_version:
      - 2
      - 0
    .max_flat_workgroup_size: 64
    .name:           _Z35paged_attention_ll4mi_reduce_kernelI14__hip_bfloat16S0_Li64ELi64ELi256ELi5EEvPT0_PKfS4_PKT_PKiS9_iS4_
    .private_segment_fixed_size: 0
    .sgpr_count:     46
    .sgpr_spill_count: 0
    .symbol:         _Z35paged_attention_ll4mi_reduce_kernelI14__hip_bfloat16S0_Li64ELi64ELi256ELi5EEvPT0_PKfS4_PKT_PKiS9_iS4_.kd
    .uniform_work_group_size: 1
    .uses_dynamic_stack: false
    .vgpr_count:     126
    .vgpr_spill_count: 0
    .wavefront_size: 64
  - .agpr_count:     0
    .args:
      - .actual_access:  write_only
        .address_space:  global
        .offset:         0
        .size:           8
        .value_kind:     global_buffer
      - .actual_access:  read_only
        .address_space:  global
        .offset:         8
        .size:           8
        .value_kind:     global_buffer
      - .actual_access:  read_only
        .address_space:  global
        .offset:         16
        .size:           8
        .value_kind:     global_buffer
      - .actual_access:  read_only
        .address_space:  global
        .offset:         24
        .size:           8
        .value_kind:     global_buffer
      - .actual_access:  read_only
        .address_space:  global
        .offset:         32
        .size:           8
        .value_kind:     global_buffer
      - .actual_access:  read_only
        .address_space:  global
        .offset:         40
        .size:           8
        .value_kind:     global_buffer
      - .offset:         48
        .size:           4
        .value_kind:     by_value
      - .actual_access:  read_only
        .address_space:  global
        .offset:         56
        .size:           8
        .value_kind:     global_buffer
      - .offset:         64
        .size:           4
        .value_kind:     hidden_block_count_x
      - .offset:         68
        .size:           4
        .value_kind:     hidden_block_count_y
      - .offset:         72
        .size:           4
        .value_kind:     hidden_block_count_z
      - .offset:         76
        .size:           2
        .value_kind:     hidden_group_size_x
      - .offset:         78
        .size:           2
        .value_kind:     hidden_group_size_y
      - .offset:         80
        .size:           2
        .value_kind:     hidden_group_size_z
      - .offset:         82
        .size:           2
        .value_kind:     hidden_remainder_x
      - .offset:         84
        .size:           2
        .value_kind:     hidden_remainder_y
      - .offset:         86
        .size:           2
        .value_kind:     hidden_remainder_z
      - .offset:         104
        .size:           8
        .value_kind:     hidden_global_offset_x
      - .offset:         112
        .size:           8
        .value_kind:     hidden_global_offset_y
      - .offset:         120
        .size:           8
        .value_kind:     hidden_global_offset_z
      - .offset:         128
        .size:           2
        .value_kind:     hidden_grid_dims
    .group_segment_fixed_size: 1540
    .kernarg_segment_align: 8
    .kernarg_segment_size: 320
    .language:       OpenCL C
    .language_version:
      - 2
      - 0
    .max_flat_workgroup_size: 64
    .name:           _Z35paged_attention_ll4mi_reduce_kernelI14__hip_bfloat16S0_Li64ELi64ELi256ELi6EEvPT0_PKfS4_PKT_PKiS9_iS4_
    .private_segment_fixed_size: 0
    .sgpr_count:     48
    .sgpr_spill_count: 0
    .symbol:         _Z35paged_attention_ll4mi_reduce_kernelI14__hip_bfloat16S0_Li64ELi64ELi256ELi6EEvPT0_PKfS4_PKT_PKiS9_iS4_.kd
    .uniform_work_group_size: 1
    .uses_dynamic_stack: false
    .vgpr_count:     126
    .vgpr_spill_count: 0
    .wavefront_size: 64
  - .agpr_count:     0
    .args:
      - .actual_access:  write_only
        .address_space:  global
        .offset:         0
        .size:           8
        .value_kind:     global_buffer
      - .actual_access:  read_only
        .address_space:  global
        .offset:         8
        .size:           8
        .value_kind:     global_buffer
      - .actual_access:  read_only
        .address_space:  global
        .offset:         16
        .size:           8
        .value_kind:     global_buffer
      - .actual_access:  read_only
        .address_space:  global
        .offset:         24
        .size:           8
        .value_kind:     global_buffer
      - .actual_access:  read_only
        .address_space:  global
        .offset:         32
        .size:           8
        .value_kind:     global_buffer
      - .actual_access:  read_only
        .address_space:  global
        .offset:         40
        .size:           8
        .value_kind:     global_buffer
      - .offset:         48
        .size:           4
        .value_kind:     by_value
      - .actual_access:  read_only
        .address_space:  global
        .offset:         56
        .size:           8
        .value_kind:     global_buffer
      - .offset:         64
        .size:           4
        .value_kind:     hidden_block_count_x
      - .offset:         68
        .size:           4
        .value_kind:     hidden_block_count_y
      - .offset:         72
        .size:           4
        .value_kind:     hidden_block_count_z
      - .offset:         76
        .size:           2
        .value_kind:     hidden_group_size_x
      - .offset:         78
        .size:           2
        .value_kind:     hidden_group_size_y
      - .offset:         80
        .size:           2
        .value_kind:     hidden_group_size_z
      - .offset:         82
        .size:           2
        .value_kind:     hidden_remainder_x
      - .offset:         84
        .size:           2
        .value_kind:     hidden_remainder_y
      - .offset:         86
        .size:           2
        .value_kind:     hidden_remainder_z
      - .offset:         104
        .size:           8
        .value_kind:     hidden_global_offset_x
      - .offset:         112
        .size:           8
        .value_kind:     hidden_global_offset_y
      - .offset:         120
        .size:           8
        .value_kind:     hidden_global_offset_z
      - .offset:         128
        .size:           2
        .value_kind:     hidden_grid_dims
    .group_segment_fixed_size: 1796
    .kernarg_segment_align: 8
    .kernarg_segment_size: 320
    .language:       OpenCL C
    .language_version:
      - 2
      - 0
    .max_flat_workgroup_size: 64
    .name:           _Z35paged_attention_ll4mi_reduce_kernelI14__hip_bfloat16S0_Li64ELi64ELi256ELi7EEvPT0_PKfS4_PKT_PKiS9_iS4_
    .private_segment_fixed_size: 0
    .sgpr_count:     50
    .sgpr_spill_count: 0
    .symbol:         _Z35paged_attention_ll4mi_reduce_kernelI14__hip_bfloat16S0_Li64ELi64ELi256ELi7EEvPT0_PKfS4_PKT_PKiS9_iS4_.kd
    .uniform_work_group_size: 1
    .uses_dynamic_stack: false
    .vgpr_count:     126
    .vgpr_spill_count: 0
    .wavefront_size: 64
  - .agpr_count:     0
    .args:
      - .actual_access:  write_only
        .address_space:  global
        .offset:         0
        .size:           8
        .value_kind:     global_buffer
      - .actual_access:  read_only
        .address_space:  global
        .offset:         8
        .size:           8
        .value_kind:     global_buffer
      - .actual_access:  read_only
        .address_space:  global
        .offset:         16
        .size:           8
        .value_kind:     global_buffer
      - .actual_access:  read_only
        .address_space:  global
        .offset:         24
        .size:           8
        .value_kind:     global_buffer
      - .actual_access:  read_only
        .address_space:  global
        .offset:         32
        .size:           8
        .value_kind:     global_buffer
      - .actual_access:  read_only
        .address_space:  global
        .offset:         40
        .size:           8
        .value_kind:     global_buffer
      - .offset:         48
        .size:           4
        .value_kind:     by_value
      - .actual_access:  read_only
        .address_space:  global
        .offset:         56
        .size:           8
        .value_kind:     global_buffer
      - .offset:         64
        .size:           4
        .value_kind:     hidden_block_count_x
      - .offset:         68
        .size:           4
        .value_kind:     hidden_block_count_y
      - .offset:         72
        .size:           4
        .value_kind:     hidden_block_count_z
      - .offset:         76
        .size:           2
        .value_kind:     hidden_group_size_x
      - .offset:         78
        .size:           2
        .value_kind:     hidden_group_size_y
      - .offset:         80
        .size:           2
        .value_kind:     hidden_group_size_z
      - .offset:         82
        .size:           2
        .value_kind:     hidden_remainder_x
      - .offset:         84
        .size:           2
        .value_kind:     hidden_remainder_y
      - .offset:         86
        .size:           2
        .value_kind:     hidden_remainder_z
      - .offset:         104
        .size:           8
        .value_kind:     hidden_global_offset_x
      - .offset:         112
        .size:           8
        .value_kind:     hidden_global_offset_y
      - .offset:         120
        .size:           8
        .value_kind:     hidden_global_offset_z
      - .offset:         128
        .size:           2
        .value_kind:     hidden_grid_dims
    .group_segment_fixed_size: 2052
    .kernarg_segment_align: 8
    .kernarg_segment_size: 320
    .language:       OpenCL C
    .language_version:
      - 2
      - 0
    .max_flat_workgroup_size: 64
    .name:           _Z35paged_attention_ll4mi_reduce_kernelI14__hip_bfloat16S0_Li64ELi64ELi256ELi8EEvPT0_PKfS4_PKT_PKiS9_iS4_
    .private_segment_fixed_size: 0
    .sgpr_count:     51
    .sgpr_spill_count: 0
    .symbol:         _Z35paged_attention_ll4mi_reduce_kernelI14__hip_bfloat16S0_Li64ELi64ELi256ELi8EEvPT0_PKfS4_PKT_PKiS9_iS4_.kd
    .uniform_work_group_size: 1
    .uses_dynamic_stack: false
    .vgpr_count:     126
    .vgpr_spill_count: 0
    .wavefront_size: 64
  - .agpr_count:     0
    .args:
      - .actual_access:  read_only
        .address_space:  global
        .offset:         0
        .size:           8
        .value_kind:     global_buffer
      - .actual_access:  read_only
        .address_space:  global
        .offset:         8
        .size:           8
        .value_kind:     global_buffer
      - .actual_access:  read_only
        .address_space:  global
        .offset:         16
        .size:           8
        .value_kind:     global_buffer
      - .offset:         24
        .size:           4
        .value_kind:     by_value
      - .offset:         28
        .size:           4
        .value_kind:     by_value
      - .actual_access:  read_only
        .address_space:  global
        .offset:         32
        .size:           8
        .value_kind:     global_buffer
      - .actual_access:  read_only
        .address_space:  global
        .offset:         40
        .size:           8
        .value_kind:     global_buffer
      - .actual_access:  read_only
        .address_space:  global
        .offset:         48
        .size:           8
        .value_kind:     global_buffer
      - .offset:         56
        .size:           4
        .value_kind:     by_value
      - .actual_access:  read_only
        .address_space:  global
        .offset:         64
        .size:           8
        .value_kind:     global_buffer
      - .offset:         72
        .size:           4
        .value_kind:     by_value
      - .offset:         76
        .size:           4
        .value_kind:     by_value
      - .offset:         80
        .size:           4
        .value_kind:     by_value
      - .actual_access:  write_only
        .address_space:  global
        .offset:         88
        .size:           8
        .value_kind:     global_buffer
      - .actual_access:  write_only
        .address_space:  global
        .offset:         96
        .size:           8
        .value_kind:     global_buffer
      - .actual_access:  write_only
        .address_space:  global
        .offset:         104
        .size:           8
        .value_kind:     global_buffer
      - .actual_access:  read_only
        .address_space:  global
        .offset:         112
        .size:           8
        .value_kind:     global_buffer
      - .offset:         120
        .size:           4
        .value_kind:     by_value
      - .address_space:  global
        .offset:         128
        .size:           8
        .value_kind:     global_buffer
      - .address_space:  global
        .offset:         136
        .size:           8
        .value_kind:     global_buffer
      - .offset:         144
        .size:           4
        .value_kind:     hidden_block_count_x
      - .offset:         148
        .size:           4
        .value_kind:     hidden_block_count_y
      - .offset:         152
        .size:           4
        .value_kind:     hidden_block_count_z
      - .offset:         156
        .size:           2
        .value_kind:     hidden_group_size_x
      - .offset:         158
        .size:           2
        .value_kind:     hidden_group_size_y
      - .offset:         160
        .size:           2
        .value_kind:     hidden_group_size_z
      - .offset:         162
        .size:           2
        .value_kind:     hidden_remainder_x
      - .offset:         164
        .size:           2
        .value_kind:     hidden_remainder_y
      - .offset:         166
        .size:           2
        .value_kind:     hidden_remainder_z
      - .offset:         184
        .size:           8
        .value_kind:     hidden_global_offset_x
      - .offset:         192
        .size:           8
        .value_kind:     hidden_global_offset_y
      - .offset:         200
        .size:           8
        .value_kind:     hidden_global_offset_z
      - .offset:         208
        .size:           2
        .value_kind:     hidden_grid_dims
    .group_segment_fixed_size: 8192
    .kernarg_segment_align: 8
    .kernarg_segment_size: 400
    .language:       OpenCL C
    .language_version:
      - 2
      - 0
    .max_flat_workgroup_size: 256
    .name:           _Z39paged_attention_ll4mi_QKV_mfma16_kernelI14__hip_bfloat16S0_LN4vllm18Fp8KVCacheDataTypeE0ES0_Li16ELi64ELi256ELb1ELi1EEvPKT_PKT0_S8_ifPKiSA_SA_iPKfiiiPfSD_PS3_PT2_iSC_SC_
    .private_segment_fixed_size: 0
    .sgpr_count:     54
    .sgpr_spill_count: 0
    .symbol:         _Z39paged_attention_ll4mi_QKV_mfma16_kernelI14__hip_bfloat16S0_LN4vllm18Fp8KVCacheDataTypeE0ES0_Li16ELi64ELi256ELb1ELi1EEvPKT_PKT0_S8_ifPKiSA_SA_iPKfiiiPfSD_PS3_PT2_iSC_SC_.kd
    .uniform_work_group_size: 1
    .uses_dynamic_stack: false
    .vgpr_count:     72
    .vgpr_spill_count: 0
    .wavefront_size: 64
  - .agpr_count:     0
    .args:
      - .actual_access:  read_only
        .address_space:  global
        .offset:         0
        .size:           8
        .value_kind:     global_buffer
      - .actual_access:  read_only
        .address_space:  global
        .offset:         8
        .size:           8
        .value_kind:     global_buffer
      - .actual_access:  read_only
        .address_space:  global
        .offset:         16
        .size:           8
        .value_kind:     global_buffer
      - .offset:         24
        .size:           4
        .value_kind:     by_value
      - .offset:         28
        .size:           4
        .value_kind:     by_value
      - .actual_access:  read_only
        .address_space:  global
        .offset:         32
        .size:           8
        .value_kind:     global_buffer
      - .actual_access:  read_only
        .address_space:  global
        .offset:         40
        .size:           8
        .value_kind:     global_buffer
      - .actual_access:  read_only
        .address_space:  global
        .offset:         48
        .size:           8
        .value_kind:     global_buffer
      - .offset:         56
        .size:           4
        .value_kind:     by_value
      - .actual_access:  read_only
        .address_space:  global
        .offset:         64
        .size:           8
        .value_kind:     global_buffer
      - .offset:         72
        .size:           4
        .value_kind:     by_value
      - .offset:         76
        .size:           4
        .value_kind:     by_value
      - .offset:         80
        .size:           4
        .value_kind:     by_value
      - .actual_access:  write_only
        .address_space:  global
        .offset:         88
        .size:           8
        .value_kind:     global_buffer
      - .actual_access:  write_only
        .address_space:  global
        .offset:         96
        .size:           8
        .value_kind:     global_buffer
      - .actual_access:  write_only
        .address_space:  global
        .offset:         104
        .size:           8
        .value_kind:     global_buffer
      - .actual_access:  read_only
        .address_space:  global
        .offset:         112
        .size:           8
        .value_kind:     global_buffer
      - .offset:         120
        .size:           4
        .value_kind:     by_value
      - .address_space:  global
        .offset:         128
        .size:           8
        .value_kind:     global_buffer
      - .address_space:  global
        .offset:         136
        .size:           8
        .value_kind:     global_buffer
      - .offset:         144
        .size:           4
        .value_kind:     hidden_block_count_x
      - .offset:         148
        .size:           4
        .value_kind:     hidden_block_count_y
      - .offset:         152
        .size:           4
        .value_kind:     hidden_block_count_z
      - .offset:         156
        .size:           2
        .value_kind:     hidden_group_size_x
      - .offset:         158
        .size:           2
        .value_kind:     hidden_group_size_y
      - .offset:         160
        .size:           2
        .value_kind:     hidden_group_size_z
      - .offset:         162
        .size:           2
        .value_kind:     hidden_remainder_x
      - .offset:         164
        .size:           2
        .value_kind:     hidden_remainder_y
      - .offset:         166
        .size:           2
        .value_kind:     hidden_remainder_z
      - .offset:         184
        .size:           8
        .value_kind:     hidden_global_offset_x
      - .offset:         192
        .size:           8
        .value_kind:     hidden_global_offset_y
      - .offset:         200
        .size:           8
        .value_kind:     hidden_global_offset_z
      - .offset:         208
        .size:           2
        .value_kind:     hidden_grid_dims
    .group_segment_fixed_size: 8192
    .kernarg_segment_align: 8
    .kernarg_segment_size: 400
    .language:       OpenCL C
    .language_version:
      - 2
      - 0
    .max_flat_workgroup_size: 256
    .name:           _Z39paged_attention_ll4mi_QKV_mfma16_kernelI14__hip_bfloat16S0_LN4vllm18Fp8KVCacheDataTypeE0ES0_Li16ELi64ELi256ELb1ELi2EEvPKT_PKT0_S8_ifPKiSA_SA_iPKfiiiPfSD_PS3_PT2_iSC_SC_
    .private_segment_fixed_size: 0
    .sgpr_count:     54
    .sgpr_spill_count: 0
    .symbol:         _Z39paged_attention_ll4mi_QKV_mfma16_kernelI14__hip_bfloat16S0_LN4vllm18Fp8KVCacheDataTypeE0ES0_Li16ELi64ELi256ELb1ELi2EEvPKT_PKT0_S8_ifPKiSA_SA_iPKfiiiPfSD_PS3_PT2_iSC_SC_.kd
    .uniform_work_group_size: 1
    .uses_dynamic_stack: false
    .vgpr_count:     72
    .vgpr_spill_count: 0
    .wavefront_size: 64
  - .agpr_count:     0
    .args:
      - .actual_access:  read_only
        .address_space:  global
        .offset:         0
        .size:           8
        .value_kind:     global_buffer
      - .actual_access:  read_only
        .address_space:  global
        .offset:         8
        .size:           8
        .value_kind:     global_buffer
      - .actual_access:  read_only
        .address_space:  global
        .offset:         16
        .size:           8
        .value_kind:     global_buffer
      - .offset:         24
        .size:           4
        .value_kind:     by_value
      - .offset:         28
        .size:           4
        .value_kind:     by_value
      - .actual_access:  read_only
        .address_space:  global
        .offset:         32
        .size:           8
        .value_kind:     global_buffer
      - .actual_access:  read_only
        .address_space:  global
        .offset:         40
        .size:           8
        .value_kind:     global_buffer
      - .actual_access:  read_only
        .address_space:  global
        .offset:         48
        .size:           8
        .value_kind:     global_buffer
      - .offset:         56
        .size:           4
        .value_kind:     by_value
      - .actual_access:  read_only
        .address_space:  global
        .offset:         64
        .size:           8
        .value_kind:     global_buffer
      - .offset:         72
        .size:           4
        .value_kind:     by_value
      - .offset:         76
        .size:           4
        .value_kind:     by_value
      - .offset:         80
        .size:           4
        .value_kind:     by_value
      - .actual_access:  write_only
        .address_space:  global
        .offset:         88
        .size:           8
        .value_kind:     global_buffer
      - .actual_access:  write_only
        .address_space:  global
        .offset:         96
        .size:           8
        .value_kind:     global_buffer
      - .actual_access:  write_only
        .address_space:  global
        .offset:         104
        .size:           8
        .value_kind:     global_buffer
      - .actual_access:  read_only
        .address_space:  global
        .offset:         112
        .size:           8
        .value_kind:     global_buffer
      - .offset:         120
        .size:           4
        .value_kind:     by_value
      - .address_space:  global
        .offset:         128
        .size:           8
        .value_kind:     global_buffer
      - .address_space:  global
        .offset:         136
        .size:           8
        .value_kind:     global_buffer
      - .offset:         144
        .size:           4
        .value_kind:     hidden_block_count_x
      - .offset:         148
        .size:           4
        .value_kind:     hidden_block_count_y
      - .offset:         152
        .size:           4
        .value_kind:     hidden_block_count_z
      - .offset:         156
        .size:           2
        .value_kind:     hidden_group_size_x
      - .offset:         158
        .size:           2
        .value_kind:     hidden_group_size_y
      - .offset:         160
        .size:           2
        .value_kind:     hidden_group_size_z
      - .offset:         162
        .size:           2
        .value_kind:     hidden_remainder_x
      - .offset:         164
        .size:           2
        .value_kind:     hidden_remainder_y
      - .offset:         166
        .size:           2
        .value_kind:     hidden_remainder_z
      - .offset:         184
        .size:           8
        .value_kind:     hidden_global_offset_x
      - .offset:         192
        .size:           8
        .value_kind:     hidden_global_offset_y
      - .offset:         200
        .size:           8
        .value_kind:     hidden_global_offset_z
      - .offset:         208
        .size:           2
        .value_kind:     hidden_grid_dims
    .group_segment_fixed_size: 8192
    .kernarg_segment_align: 8
    .kernarg_segment_size: 400
    .language:       OpenCL C
    .language_version:
      - 2
      - 0
    .max_flat_workgroup_size: 256
    .name:           _Z39paged_attention_ll4mi_QKV_mfma16_kernelI14__hip_bfloat16S0_LN4vllm18Fp8KVCacheDataTypeE0ES0_Li16ELi64ELi256ELb1ELi3EEvPKT_PKT0_S8_ifPKiSA_SA_iPKfiiiPfSD_PS3_PT2_iSC_SC_
    .private_segment_fixed_size: 0
    .sgpr_count:     54
    .sgpr_spill_count: 0
    .symbol:         _Z39paged_attention_ll4mi_QKV_mfma16_kernelI14__hip_bfloat16S0_LN4vllm18Fp8KVCacheDataTypeE0ES0_Li16ELi64ELi256ELb1ELi3EEvPKT_PKT0_S8_ifPKiSA_SA_iPKfiiiPfSD_PS3_PT2_iSC_SC_.kd
    .uniform_work_group_size: 1
    .uses_dynamic_stack: false
    .vgpr_count:     73
    .vgpr_spill_count: 0
    .wavefront_size: 64
  - .agpr_count:     0
    .args:
      - .actual_access:  read_only
        .address_space:  global
        .offset:         0
        .size:           8
        .value_kind:     global_buffer
      - .actual_access:  read_only
        .address_space:  global
        .offset:         8
        .size:           8
        .value_kind:     global_buffer
      - .actual_access:  read_only
        .address_space:  global
        .offset:         16
        .size:           8
        .value_kind:     global_buffer
      - .offset:         24
        .size:           4
        .value_kind:     by_value
      - .offset:         28
        .size:           4
        .value_kind:     by_value
      - .actual_access:  read_only
        .address_space:  global
        .offset:         32
        .size:           8
        .value_kind:     global_buffer
      - .actual_access:  read_only
        .address_space:  global
        .offset:         40
        .size:           8
        .value_kind:     global_buffer
      - .actual_access:  read_only
        .address_space:  global
        .offset:         48
        .size:           8
        .value_kind:     global_buffer
      - .offset:         56
        .size:           4
        .value_kind:     by_value
      - .actual_access:  read_only
        .address_space:  global
        .offset:         64
        .size:           8
        .value_kind:     global_buffer
      - .offset:         72
        .size:           4
        .value_kind:     by_value
      - .offset:         76
        .size:           4
        .value_kind:     by_value
      - .offset:         80
        .size:           4
        .value_kind:     by_value
      - .actual_access:  write_only
        .address_space:  global
        .offset:         88
        .size:           8
        .value_kind:     global_buffer
      - .actual_access:  write_only
        .address_space:  global
        .offset:         96
        .size:           8
        .value_kind:     global_buffer
      - .actual_access:  write_only
        .address_space:  global
        .offset:         104
        .size:           8
        .value_kind:     global_buffer
      - .actual_access:  read_only
        .address_space:  global
        .offset:         112
        .size:           8
        .value_kind:     global_buffer
      - .offset:         120
        .size:           4
        .value_kind:     by_value
      - .address_space:  global
        .offset:         128
        .size:           8
        .value_kind:     global_buffer
      - .address_space:  global
        .offset:         136
        .size:           8
        .value_kind:     global_buffer
      - .offset:         144
        .size:           4
        .value_kind:     hidden_block_count_x
      - .offset:         148
        .size:           4
        .value_kind:     hidden_block_count_y
      - .offset:         152
        .size:           4
        .value_kind:     hidden_block_count_z
      - .offset:         156
        .size:           2
        .value_kind:     hidden_group_size_x
      - .offset:         158
        .size:           2
        .value_kind:     hidden_group_size_y
      - .offset:         160
        .size:           2
        .value_kind:     hidden_group_size_z
      - .offset:         162
        .size:           2
        .value_kind:     hidden_remainder_x
      - .offset:         164
        .size:           2
        .value_kind:     hidden_remainder_y
      - .offset:         166
        .size:           2
        .value_kind:     hidden_remainder_z
      - .offset:         184
        .size:           8
        .value_kind:     hidden_global_offset_x
      - .offset:         192
        .size:           8
        .value_kind:     hidden_global_offset_y
      - .offset:         200
        .size:           8
        .value_kind:     hidden_global_offset_z
      - .offset:         208
        .size:           2
        .value_kind:     hidden_grid_dims
    .group_segment_fixed_size: 8192
    .kernarg_segment_align: 8
    .kernarg_segment_size: 400
    .language:       OpenCL C
    .language_version:
      - 2
      - 0
    .max_flat_workgroup_size: 256
    .name:           _Z39paged_attention_ll4mi_QKV_mfma16_kernelI14__hip_bfloat16S0_LN4vllm18Fp8KVCacheDataTypeE0ES0_Li16ELi64ELi256ELb1ELi4EEvPKT_PKT0_S8_ifPKiSA_SA_iPKfiiiPfSD_PS3_PT2_iSC_SC_
    .private_segment_fixed_size: 0
    .sgpr_count:     52
    .sgpr_spill_count: 0
    .symbol:         _Z39paged_attention_ll4mi_QKV_mfma16_kernelI14__hip_bfloat16S0_LN4vllm18Fp8KVCacheDataTypeE0ES0_Li16ELi64ELi256ELb1ELi4EEvPKT_PKT0_S8_ifPKiSA_SA_iPKfiiiPfSD_PS3_PT2_iSC_SC_.kd
    .uniform_work_group_size: 1
    .uses_dynamic_stack: false
    .vgpr_count:     74
    .vgpr_spill_count: 0
    .wavefront_size: 64
  - .agpr_count:     0
    .args:
      - .actual_access:  write_only
        .address_space:  global
        .offset:         0
        .size:           8
        .value_kind:     global_buffer
      - .actual_access:  read_only
        .address_space:  global
        .offset:         8
        .size:           8
        .value_kind:     global_buffer
      - .actual_access:  read_only
        .address_space:  global
        .offset:         16
        .size:           8
        .value_kind:     global_buffer
      - .actual_access:  read_only
        .address_space:  global
        .offset:         24
        .size:           8
        .value_kind:     global_buffer
      - .actual_access:  read_only
        .address_space:  global
        .offset:         32
        .size:           8
        .value_kind:     global_buffer
      - .actual_access:  read_only
        .address_space:  global
        .offset:         40
        .size:           8
        .value_kind:     global_buffer
      - .offset:         48
        .size:           4
        .value_kind:     by_value
      - .actual_access:  read_only
        .address_space:  global
        .offset:         56
        .size:           8
        .value_kind:     global_buffer
      - .offset:         64
        .size:           4
        .value_kind:     hidden_block_count_x
      - .offset:         68
        .size:           4
        .value_kind:     hidden_block_count_y
      - .offset:         72
        .size:           4
        .value_kind:     hidden_block_count_z
      - .offset:         76
        .size:           2
        .value_kind:     hidden_group_size_x
      - .offset:         78
        .size:           2
        .value_kind:     hidden_group_size_y
      - .offset:         80
        .size:           2
        .value_kind:     hidden_group_size_z
      - .offset:         82
        .size:           2
        .value_kind:     hidden_remainder_x
      - .offset:         84
        .size:           2
        .value_kind:     hidden_remainder_y
      - .offset:         86
        .size:           2
        .value_kind:     hidden_remainder_z
      - .offset:         104
        .size:           8
        .value_kind:     hidden_global_offset_x
      - .offset:         112
        .size:           8
        .value_kind:     hidden_global_offset_y
      - .offset:         120
        .size:           8
        .value_kind:     hidden_global_offset_z
      - .offset:         128
        .size:           2
        .value_kind:     hidden_grid_dims
    .group_segment_fixed_size: 2308
    .kernarg_segment_align: 8
    .kernarg_segment_size: 320
    .language:       OpenCL C
    .language_version:
      - 2
      - 0
    .max_flat_workgroup_size: 64
    .name:           _Z35paged_attention_ll4mi_reduce_kernelI14__hip_bfloat16S0_Li64ELi64ELi256ELi9EEvPT0_PKfS4_PKT_PKiS9_iS4_
    .private_segment_fixed_size: 0
    .sgpr_count:     53
    .sgpr_spill_count: 0
    .symbol:         _Z35paged_attention_ll4mi_reduce_kernelI14__hip_bfloat16S0_Li64ELi64ELi256ELi9EEvPT0_PKfS4_PKT_PKiS9_iS4_.kd
    .uniform_work_group_size: 1
    .uses_dynamic_stack: false
    .vgpr_count:     126
    .vgpr_spill_count: 0
    .wavefront_size: 64
  - .agpr_count:     0
    .args:
      - .actual_access:  write_only
        .address_space:  global
        .offset:         0
        .size:           8
        .value_kind:     global_buffer
      - .actual_access:  read_only
        .address_space:  global
        .offset:         8
        .size:           8
        .value_kind:     global_buffer
      - .actual_access:  read_only
        .address_space:  global
        .offset:         16
        .size:           8
        .value_kind:     global_buffer
      - .actual_access:  read_only
        .address_space:  global
        .offset:         24
        .size:           8
        .value_kind:     global_buffer
      - .actual_access:  read_only
        .address_space:  global
        .offset:         32
        .size:           8
        .value_kind:     global_buffer
      - .actual_access:  read_only
        .address_space:  global
        .offset:         40
        .size:           8
        .value_kind:     global_buffer
      - .offset:         48
        .size:           4
        .value_kind:     by_value
      - .actual_access:  read_only
        .address_space:  global
        .offset:         56
        .size:           8
        .value_kind:     global_buffer
      - .offset:         64
        .size:           4
        .value_kind:     hidden_block_count_x
      - .offset:         68
        .size:           4
        .value_kind:     hidden_block_count_y
      - .offset:         72
        .size:           4
        .value_kind:     hidden_block_count_z
      - .offset:         76
        .size:           2
        .value_kind:     hidden_group_size_x
      - .offset:         78
        .size:           2
        .value_kind:     hidden_group_size_y
      - .offset:         80
        .size:           2
        .value_kind:     hidden_group_size_z
      - .offset:         82
        .size:           2
        .value_kind:     hidden_remainder_x
      - .offset:         84
        .size:           2
        .value_kind:     hidden_remainder_y
      - .offset:         86
        .size:           2
        .value_kind:     hidden_remainder_z
      - .offset:         104
        .size:           8
        .value_kind:     hidden_global_offset_x
      - .offset:         112
        .size:           8
        .value_kind:     hidden_global_offset_y
      - .offset:         120
        .size:           8
        .value_kind:     hidden_global_offset_z
      - .offset:         128
        .size:           2
        .value_kind:     hidden_grid_dims
    .group_segment_fixed_size: 2564
    .kernarg_segment_align: 8
    .kernarg_segment_size: 320
    .language:       OpenCL C
    .language_version:
      - 2
      - 0
    .max_flat_workgroup_size: 64
    .name:           _Z35paged_attention_ll4mi_reduce_kernelI14__hip_bfloat16S0_Li64ELi64ELi256ELi10EEvPT0_PKfS4_PKT_PKiS9_iS4_
    .private_segment_fixed_size: 0
    .sgpr_count:     55
    .sgpr_spill_count: 0
    .symbol:         _Z35paged_attention_ll4mi_reduce_kernelI14__hip_bfloat16S0_Li64ELi64ELi256ELi10EEvPT0_PKfS4_PKT_PKiS9_iS4_.kd
    .uniform_work_group_size: 1
    .uses_dynamic_stack: false
    .vgpr_count:     126
    .vgpr_spill_count: 0
    .wavefront_size: 64
  - .agpr_count:     0
    .args:
      - .actual_access:  write_only
        .address_space:  global
        .offset:         0
        .size:           8
        .value_kind:     global_buffer
      - .actual_access:  read_only
        .address_space:  global
        .offset:         8
        .size:           8
        .value_kind:     global_buffer
      - .actual_access:  read_only
        .address_space:  global
        .offset:         16
        .size:           8
        .value_kind:     global_buffer
      - .actual_access:  read_only
        .address_space:  global
        .offset:         24
        .size:           8
        .value_kind:     global_buffer
      - .actual_access:  read_only
        .address_space:  global
        .offset:         32
        .size:           8
        .value_kind:     global_buffer
      - .actual_access:  read_only
        .address_space:  global
        .offset:         40
        .size:           8
        .value_kind:     global_buffer
      - .offset:         48
        .size:           4
        .value_kind:     by_value
      - .actual_access:  read_only
        .address_space:  global
        .offset:         56
        .size:           8
        .value_kind:     global_buffer
      - .offset:         64
        .size:           4
        .value_kind:     hidden_block_count_x
      - .offset:         68
        .size:           4
        .value_kind:     hidden_block_count_y
      - .offset:         72
        .size:           4
        .value_kind:     hidden_block_count_z
      - .offset:         76
        .size:           2
        .value_kind:     hidden_group_size_x
      - .offset:         78
        .size:           2
        .value_kind:     hidden_group_size_y
      - .offset:         80
        .size:           2
        .value_kind:     hidden_group_size_z
      - .offset:         82
        .size:           2
        .value_kind:     hidden_remainder_x
      - .offset:         84
        .size:           2
        .value_kind:     hidden_remainder_y
      - .offset:         86
        .size:           2
        .value_kind:     hidden_remainder_z
      - .offset:         104
        .size:           8
        .value_kind:     hidden_global_offset_x
      - .offset:         112
        .size:           8
        .value_kind:     hidden_global_offset_y
      - .offset:         120
        .size:           8
        .value_kind:     hidden_global_offset_z
      - .offset:         128
        .size:           2
        .value_kind:     hidden_grid_dims
    .group_segment_fixed_size: 2820
    .kernarg_segment_align: 8
    .kernarg_segment_size: 320
    .language:       OpenCL C
    .language_version:
      - 2
      - 0
    .max_flat_workgroup_size: 64
    .name:           _Z35paged_attention_ll4mi_reduce_kernelI14__hip_bfloat16S0_Li64ELi64ELi256ELi11EEvPT0_PKfS4_PKT_PKiS9_iS4_
    .private_segment_fixed_size: 0
    .sgpr_count:     57
    .sgpr_spill_count: 0
    .symbol:         _Z35paged_attention_ll4mi_reduce_kernelI14__hip_bfloat16S0_Li64ELi64ELi256ELi11EEvPT0_PKfS4_PKT_PKiS9_iS4_.kd
    .uniform_work_group_size: 1
    .uses_dynamic_stack: false
    .vgpr_count:     126
    .vgpr_spill_count: 0
    .wavefront_size: 64
  - .agpr_count:     0
    .args:
      - .actual_access:  write_only
        .address_space:  global
        .offset:         0
        .size:           8
        .value_kind:     global_buffer
      - .actual_access:  read_only
        .address_space:  global
        .offset:         8
        .size:           8
        .value_kind:     global_buffer
      - .actual_access:  read_only
        .address_space:  global
        .offset:         16
        .size:           8
        .value_kind:     global_buffer
      - .actual_access:  read_only
        .address_space:  global
        .offset:         24
        .size:           8
        .value_kind:     global_buffer
      - .actual_access:  read_only
        .address_space:  global
        .offset:         32
        .size:           8
        .value_kind:     global_buffer
      - .actual_access:  read_only
        .address_space:  global
        .offset:         40
        .size:           8
        .value_kind:     global_buffer
      - .offset:         48
        .size:           4
        .value_kind:     by_value
      - .actual_access:  read_only
        .address_space:  global
        .offset:         56
        .size:           8
        .value_kind:     global_buffer
      - .offset:         64
        .size:           4
        .value_kind:     hidden_block_count_x
      - .offset:         68
        .size:           4
        .value_kind:     hidden_block_count_y
      - .offset:         72
        .size:           4
        .value_kind:     hidden_block_count_z
      - .offset:         76
        .size:           2
        .value_kind:     hidden_group_size_x
      - .offset:         78
        .size:           2
        .value_kind:     hidden_group_size_y
      - .offset:         80
        .size:           2
        .value_kind:     hidden_group_size_z
      - .offset:         82
        .size:           2
        .value_kind:     hidden_remainder_x
      - .offset:         84
        .size:           2
        .value_kind:     hidden_remainder_y
      - .offset:         86
        .size:           2
        .value_kind:     hidden_remainder_z
      - .offset:         104
        .size:           8
        .value_kind:     hidden_global_offset_x
      - .offset:         112
        .size:           8
        .value_kind:     hidden_global_offset_y
      - .offset:         120
        .size:           8
        .value_kind:     hidden_global_offset_z
      - .offset:         128
        .size:           2
        .value_kind:     hidden_grid_dims
    .group_segment_fixed_size: 3076
    .kernarg_segment_align: 8
    .kernarg_segment_size: 320
    .language:       OpenCL C
    .language_version:
      - 2
      - 0
    .max_flat_workgroup_size: 64
    .name:           _Z35paged_attention_ll4mi_reduce_kernelI14__hip_bfloat16S0_Li64ELi64ELi256ELi12EEvPT0_PKfS4_PKT_PKiS9_iS4_
    .private_segment_fixed_size: 0
    .sgpr_count:     59
    .sgpr_spill_count: 0
    .symbol:         _Z35paged_attention_ll4mi_reduce_kernelI14__hip_bfloat16S0_Li64ELi64ELi256ELi12EEvPT0_PKfS4_PKT_PKiS9_iS4_.kd
    .uniform_work_group_size: 1
    .uses_dynamic_stack: false
    .vgpr_count:     126
    .vgpr_spill_count: 0
    .wavefront_size: 64
  - .agpr_count:     0
    .args:
      - .actual_access:  write_only
        .address_space:  global
        .offset:         0
        .size:           8
        .value_kind:     global_buffer
      - .actual_access:  read_only
        .address_space:  global
        .offset:         8
        .size:           8
        .value_kind:     global_buffer
      - .actual_access:  read_only
        .address_space:  global
        .offset:         16
        .size:           8
        .value_kind:     global_buffer
      - .actual_access:  read_only
        .address_space:  global
        .offset:         24
        .size:           8
        .value_kind:     global_buffer
      - .actual_access:  read_only
        .address_space:  global
        .offset:         32
        .size:           8
        .value_kind:     global_buffer
      - .actual_access:  read_only
        .address_space:  global
        .offset:         40
        .size:           8
        .value_kind:     global_buffer
      - .offset:         48
        .size:           4
        .value_kind:     by_value
      - .actual_access:  read_only
        .address_space:  global
        .offset:         56
        .size:           8
        .value_kind:     global_buffer
      - .offset:         64
        .size:           4
        .value_kind:     hidden_block_count_x
      - .offset:         68
        .size:           4
        .value_kind:     hidden_block_count_y
      - .offset:         72
        .size:           4
        .value_kind:     hidden_block_count_z
      - .offset:         76
        .size:           2
        .value_kind:     hidden_group_size_x
      - .offset:         78
        .size:           2
        .value_kind:     hidden_group_size_y
      - .offset:         80
        .size:           2
        .value_kind:     hidden_group_size_z
      - .offset:         82
        .size:           2
        .value_kind:     hidden_remainder_x
      - .offset:         84
        .size:           2
        .value_kind:     hidden_remainder_y
      - .offset:         86
        .size:           2
        .value_kind:     hidden_remainder_z
      - .offset:         104
        .size:           8
        .value_kind:     hidden_global_offset_x
      - .offset:         112
        .size:           8
        .value_kind:     hidden_global_offset_y
      - .offset:         120
        .size:           8
        .value_kind:     hidden_global_offset_z
      - .offset:         128
        .size:           2
        .value_kind:     hidden_grid_dims
    .group_segment_fixed_size: 3332
    .kernarg_segment_align: 8
    .kernarg_segment_size: 320
    .language:       OpenCL C
    .language_version:
      - 2
      - 0
    .max_flat_workgroup_size: 64
    .name:           _Z35paged_attention_ll4mi_reduce_kernelI14__hip_bfloat16S0_Li64ELi64ELi256ELi13EEvPT0_PKfS4_PKT_PKiS9_iS4_
    .private_segment_fixed_size: 0
    .sgpr_count:     61
    .sgpr_spill_count: 0
    .symbol:         _Z35paged_attention_ll4mi_reduce_kernelI14__hip_bfloat16S0_Li64ELi64ELi256ELi13EEvPT0_PKfS4_PKT_PKiS9_iS4_.kd
    .uniform_work_group_size: 1
    .uses_dynamic_stack: false
    .vgpr_count:     126
    .vgpr_spill_count: 0
    .wavefront_size: 64
  - .agpr_count:     0
    .args:
      - .actual_access:  write_only
        .address_space:  global
        .offset:         0
        .size:           8
        .value_kind:     global_buffer
      - .actual_access:  read_only
        .address_space:  global
        .offset:         8
        .size:           8
        .value_kind:     global_buffer
      - .actual_access:  read_only
        .address_space:  global
        .offset:         16
        .size:           8
        .value_kind:     global_buffer
      - .actual_access:  read_only
        .address_space:  global
        .offset:         24
        .size:           8
        .value_kind:     global_buffer
      - .actual_access:  read_only
        .address_space:  global
        .offset:         32
        .size:           8
        .value_kind:     global_buffer
      - .actual_access:  read_only
        .address_space:  global
        .offset:         40
        .size:           8
        .value_kind:     global_buffer
      - .offset:         48
        .size:           4
        .value_kind:     by_value
      - .actual_access:  read_only
        .address_space:  global
        .offset:         56
        .size:           8
        .value_kind:     global_buffer
      - .offset:         64
        .size:           4
        .value_kind:     hidden_block_count_x
      - .offset:         68
        .size:           4
        .value_kind:     hidden_block_count_y
      - .offset:         72
        .size:           4
        .value_kind:     hidden_block_count_z
      - .offset:         76
        .size:           2
        .value_kind:     hidden_group_size_x
      - .offset:         78
        .size:           2
        .value_kind:     hidden_group_size_y
      - .offset:         80
        .size:           2
        .value_kind:     hidden_group_size_z
      - .offset:         82
        .size:           2
        .value_kind:     hidden_remainder_x
      - .offset:         84
        .size:           2
        .value_kind:     hidden_remainder_y
      - .offset:         86
        .size:           2
        .value_kind:     hidden_remainder_z
      - .offset:         104
        .size:           8
        .value_kind:     hidden_global_offset_x
      - .offset:         112
        .size:           8
        .value_kind:     hidden_global_offset_y
      - .offset:         120
        .size:           8
        .value_kind:     hidden_global_offset_z
      - .offset:         128
        .size:           2
        .value_kind:     hidden_grid_dims
    .group_segment_fixed_size: 3588
    .kernarg_segment_align: 8
    .kernarg_segment_size: 320
    .language:       OpenCL C
    .language_version:
      - 2
      - 0
    .max_flat_workgroup_size: 64
    .name:           _Z35paged_attention_ll4mi_reduce_kernelI14__hip_bfloat16S0_Li64ELi64ELi256ELi14EEvPT0_PKfS4_PKT_PKiS9_iS4_
    .private_segment_fixed_size: 0
    .sgpr_count:     63
    .sgpr_spill_count: 0
    .symbol:         _Z35paged_attention_ll4mi_reduce_kernelI14__hip_bfloat16S0_Li64ELi64ELi256ELi14EEvPT0_PKfS4_PKT_PKiS9_iS4_.kd
    .uniform_work_group_size: 1
    .uses_dynamic_stack: false
    .vgpr_count:     126
    .vgpr_spill_count: 0
    .wavefront_size: 64
  - .agpr_count:     0
    .args:
      - .actual_access:  write_only
        .address_space:  global
        .offset:         0
        .size:           8
        .value_kind:     global_buffer
      - .actual_access:  read_only
        .address_space:  global
        .offset:         8
        .size:           8
        .value_kind:     global_buffer
      - .actual_access:  read_only
        .address_space:  global
        .offset:         16
        .size:           8
        .value_kind:     global_buffer
      - .actual_access:  read_only
        .address_space:  global
        .offset:         24
        .size:           8
        .value_kind:     global_buffer
      - .actual_access:  read_only
        .address_space:  global
        .offset:         32
        .size:           8
        .value_kind:     global_buffer
      - .actual_access:  read_only
        .address_space:  global
        .offset:         40
        .size:           8
        .value_kind:     global_buffer
      - .offset:         48
        .size:           4
        .value_kind:     by_value
      - .actual_access:  read_only
        .address_space:  global
        .offset:         56
        .size:           8
        .value_kind:     global_buffer
      - .offset:         64
        .size:           4
        .value_kind:     hidden_block_count_x
      - .offset:         68
        .size:           4
        .value_kind:     hidden_block_count_y
      - .offset:         72
        .size:           4
        .value_kind:     hidden_block_count_z
      - .offset:         76
        .size:           2
        .value_kind:     hidden_group_size_x
      - .offset:         78
        .size:           2
        .value_kind:     hidden_group_size_y
      - .offset:         80
        .size:           2
        .value_kind:     hidden_group_size_z
      - .offset:         82
        .size:           2
        .value_kind:     hidden_remainder_x
      - .offset:         84
        .size:           2
        .value_kind:     hidden_remainder_y
      - .offset:         86
        .size:           2
        .value_kind:     hidden_remainder_z
      - .offset:         104
        .size:           8
        .value_kind:     hidden_global_offset_x
      - .offset:         112
        .size:           8
        .value_kind:     hidden_global_offset_y
      - .offset:         120
        .size:           8
        .value_kind:     hidden_global_offset_z
      - .offset:         128
        .size:           2
        .value_kind:     hidden_grid_dims
    .group_segment_fixed_size: 3844
    .kernarg_segment_align: 8
    .kernarg_segment_size: 320
    .language:       OpenCL C
    .language_version:
      - 2
      - 0
    .max_flat_workgroup_size: 64
    .name:           _Z35paged_attention_ll4mi_reduce_kernelI14__hip_bfloat16S0_Li64ELi64ELi256ELi15EEvPT0_PKfS4_PKT_PKiS9_iS4_
    .private_segment_fixed_size: 0
    .sgpr_count:     65
    .sgpr_spill_count: 0
    .symbol:         _Z35paged_attention_ll4mi_reduce_kernelI14__hip_bfloat16S0_Li64ELi64ELi256ELi15EEvPT0_PKfS4_PKT_PKiS9_iS4_.kd
    .uniform_work_group_size: 1
    .uses_dynamic_stack: false
    .vgpr_count:     126
    .vgpr_spill_count: 0
    .wavefront_size: 64
  - .agpr_count:     0
    .args:
      - .actual_access:  write_only
        .address_space:  global
        .offset:         0
        .size:           8
        .value_kind:     global_buffer
      - .actual_access:  read_only
        .address_space:  global
        .offset:         8
        .size:           8
        .value_kind:     global_buffer
      - .actual_access:  read_only
        .address_space:  global
        .offset:         16
        .size:           8
        .value_kind:     global_buffer
      - .actual_access:  read_only
        .address_space:  global
        .offset:         24
        .size:           8
        .value_kind:     global_buffer
      - .actual_access:  read_only
        .address_space:  global
        .offset:         32
        .size:           8
        .value_kind:     global_buffer
      - .actual_access:  read_only
        .address_space:  global
        .offset:         40
        .size:           8
        .value_kind:     global_buffer
      - .offset:         48
        .size:           4
        .value_kind:     by_value
      - .actual_access:  read_only
        .address_space:  global
        .offset:         56
        .size:           8
        .value_kind:     global_buffer
      - .offset:         64
        .size:           4
        .value_kind:     hidden_block_count_x
      - .offset:         68
        .size:           4
        .value_kind:     hidden_block_count_y
      - .offset:         72
        .size:           4
        .value_kind:     hidden_block_count_z
      - .offset:         76
        .size:           2
        .value_kind:     hidden_group_size_x
      - .offset:         78
        .size:           2
        .value_kind:     hidden_group_size_y
      - .offset:         80
        .size:           2
        .value_kind:     hidden_group_size_z
      - .offset:         82
        .size:           2
        .value_kind:     hidden_remainder_x
      - .offset:         84
        .size:           2
        .value_kind:     hidden_remainder_y
      - .offset:         86
        .size:           2
        .value_kind:     hidden_remainder_z
      - .offset:         104
        .size:           8
        .value_kind:     hidden_global_offset_x
      - .offset:         112
        .size:           8
        .value_kind:     hidden_global_offset_y
      - .offset:         120
        .size:           8
        .value_kind:     hidden_global_offset_z
      - .offset:         128
        .size:           2
        .value_kind:     hidden_grid_dims
    .group_segment_fixed_size: 4100
    .kernarg_segment_align: 8
    .kernarg_segment_size: 320
    .language:       OpenCL C
    .language_version:
      - 2
      - 0
    .max_flat_workgroup_size: 64
    .name:           _Z35paged_attention_ll4mi_reduce_kernelI14__hip_bfloat16S0_Li64ELi64ELi256ELi16EEvPT0_PKfS4_PKT_PKiS9_iS4_
    .private_segment_fixed_size: 0
    .sgpr_count:     67
    .sgpr_spill_count: 0
    .symbol:         _Z35paged_attention_ll4mi_reduce_kernelI14__hip_bfloat16S0_Li64ELi64ELi256ELi16EEvPT0_PKfS4_PKT_PKiS9_iS4_.kd
    .uniform_work_group_size: 1
    .uses_dynamic_stack: false
    .vgpr_count:     123
    .vgpr_spill_count: 0
    .wavefront_size: 64
  - .agpr_count:     4
    .args:
      - .actual_access:  read_only
        .address_space:  global
        .offset:         0
        .size:           8
        .value_kind:     global_buffer
      - .actual_access:  read_only
        .address_space:  global
        .offset:         8
        .size:           8
        .value_kind:     global_buffer
      - .actual_access:  read_only
        .address_space:  global
        .offset:         16
        .size:           8
        .value_kind:     global_buffer
      - .offset:         24
        .size:           4
        .value_kind:     by_value
      - .offset:         28
        .size:           4
        .value_kind:     by_value
      - .actual_access:  read_only
        .address_space:  global
        .offset:         32
        .size:           8
        .value_kind:     global_buffer
      - .actual_access:  read_only
        .address_space:  global
        .offset:         40
        .size:           8
        .value_kind:     global_buffer
      - .actual_access:  read_only
        .address_space:  global
        .offset:         48
        .size:           8
        .value_kind:     global_buffer
      - .offset:         56
        .size:           4
        .value_kind:     by_value
      - .actual_access:  read_only
        .address_space:  global
        .offset:         64
        .size:           8
        .value_kind:     global_buffer
      - .offset:         72
        .size:           4
        .value_kind:     by_value
      - .offset:         76
        .size:           4
        .value_kind:     by_value
      - .offset:         80
        .size:           4
        .value_kind:     by_value
      - .actual_access:  write_only
        .address_space:  global
        .offset:         88
        .size:           8
        .value_kind:     global_buffer
      - .actual_access:  write_only
        .address_space:  global
        .offset:         96
        .size:           8
        .value_kind:     global_buffer
      - .actual_access:  write_only
        .address_space:  global
        .offset:         104
        .size:           8
        .value_kind:     global_buffer
      - .actual_access:  read_only
        .address_space:  global
        .offset:         112
        .size:           8
        .value_kind:     global_buffer
      - .offset:         120
        .size:           4
        .value_kind:     by_value
      - .address_space:  global
        .offset:         128
        .size:           8
        .value_kind:     global_buffer
      - .address_space:  global
        .offset:         136
        .size:           8
        .value_kind:     global_buffer
      - .offset:         144
        .size:           4
        .value_kind:     hidden_block_count_x
      - .offset:         148
        .size:           4
        .value_kind:     hidden_block_count_y
      - .offset:         152
        .size:           4
        .value_kind:     hidden_block_count_z
      - .offset:         156
        .size:           2
        .value_kind:     hidden_group_size_x
      - .offset:         158
        .size:           2
        .value_kind:     hidden_group_size_y
      - .offset:         160
        .size:           2
        .value_kind:     hidden_group_size_z
      - .offset:         162
        .size:           2
        .value_kind:     hidden_remainder_x
      - .offset:         164
        .size:           2
        .value_kind:     hidden_remainder_y
      - .offset:         166
        .size:           2
        .value_kind:     hidden_remainder_z
      - .offset:         184
        .size:           8
        .value_kind:     hidden_global_offset_x
      - .offset:         192
        .size:           8
        .value_kind:     hidden_global_offset_y
      - .offset:         200
        .size:           8
        .value_kind:     hidden_global_offset_z
      - .offset:         208
        .size:           2
        .value_kind:     hidden_grid_dims
    .group_segment_fixed_size: 2720
    .kernarg_segment_align: 8
    .kernarg_segment_size: 400
    .language:       OpenCL C
    .language_version:
      - 2
      - 0
    .max_flat_workgroup_size: 256
    .name:           _Z38paged_attention_ll4mi_QKV_mfma4_kernelI14__hip_bfloat16S0_LN4vllm18Fp8KVCacheDataTypeE0ES0_Li16ELi64ELi256ELb0ELi1EEvPKT_PKT0_S8_ifPKiSA_SA_iPKfiiiPfSD_PS3_PT2_iSC_SC_
    .private_segment_fixed_size: 0
    .sgpr_count:     44
    .sgpr_spill_count: 0
    .symbol:         _Z38paged_attention_ll4mi_QKV_mfma4_kernelI14__hip_bfloat16S0_LN4vllm18Fp8KVCacheDataTypeE0ES0_Li16ELi64ELi256ELb0ELi1EEvPKT_PKT0_S8_ifPKiSA_SA_iPKfiiiPfSD_PS3_PT2_iSC_SC_.kd
    .uniform_work_group_size: 1
    .uses_dynamic_stack: false
    .vgpr_count:     68
    .vgpr_spill_count: 0
    .wavefront_size: 64
  - .agpr_count:     4
    .args:
      - .actual_access:  read_only
        .address_space:  global
        .offset:         0
        .size:           8
        .value_kind:     global_buffer
      - .actual_access:  read_only
        .address_space:  global
        .offset:         8
        .size:           8
        .value_kind:     global_buffer
      - .actual_access:  read_only
        .address_space:  global
        .offset:         16
        .size:           8
        .value_kind:     global_buffer
      - .offset:         24
        .size:           4
        .value_kind:     by_value
      - .offset:         28
        .size:           4
        .value_kind:     by_value
      - .actual_access:  read_only
        .address_space:  global
        .offset:         32
        .size:           8
        .value_kind:     global_buffer
      - .actual_access:  read_only
        .address_space:  global
        .offset:         40
        .size:           8
        .value_kind:     global_buffer
      - .actual_access:  read_only
        .address_space:  global
        .offset:         48
        .size:           8
        .value_kind:     global_buffer
      - .offset:         56
        .size:           4
        .value_kind:     by_value
      - .actual_access:  read_only
        .address_space:  global
        .offset:         64
        .size:           8
        .value_kind:     global_buffer
      - .offset:         72
        .size:           4
        .value_kind:     by_value
      - .offset:         76
        .size:           4
        .value_kind:     by_value
      - .offset:         80
        .size:           4
        .value_kind:     by_value
      - .actual_access:  write_only
        .address_space:  global
        .offset:         88
        .size:           8
        .value_kind:     global_buffer
      - .actual_access:  write_only
        .address_space:  global
        .offset:         96
        .size:           8
        .value_kind:     global_buffer
      - .actual_access:  write_only
        .address_space:  global
        .offset:         104
        .size:           8
        .value_kind:     global_buffer
      - .actual_access:  read_only
        .address_space:  global
        .offset:         112
        .size:           8
        .value_kind:     global_buffer
      - .offset:         120
        .size:           4
        .value_kind:     by_value
      - .address_space:  global
        .offset:         128
        .size:           8
        .value_kind:     global_buffer
      - .address_space:  global
        .offset:         136
        .size:           8
        .value_kind:     global_buffer
      - .offset:         144
        .size:           4
        .value_kind:     hidden_block_count_x
      - .offset:         148
        .size:           4
        .value_kind:     hidden_block_count_y
      - .offset:         152
        .size:           4
        .value_kind:     hidden_block_count_z
      - .offset:         156
        .size:           2
        .value_kind:     hidden_group_size_x
      - .offset:         158
        .size:           2
        .value_kind:     hidden_group_size_y
      - .offset:         160
        .size:           2
        .value_kind:     hidden_group_size_z
      - .offset:         162
        .size:           2
        .value_kind:     hidden_remainder_x
      - .offset:         164
        .size:           2
        .value_kind:     hidden_remainder_y
      - .offset:         166
        .size:           2
        .value_kind:     hidden_remainder_z
      - .offset:         184
        .size:           8
        .value_kind:     hidden_global_offset_x
      - .offset:         192
        .size:           8
        .value_kind:     hidden_global_offset_y
      - .offset:         200
        .size:           8
        .value_kind:     hidden_global_offset_z
      - .offset:         208
        .size:           2
        .value_kind:     hidden_grid_dims
    .group_segment_fixed_size: 2720
    .kernarg_segment_align: 8
    .kernarg_segment_size: 400
    .language:       OpenCL C
    .language_version:
      - 2
      - 0
    .max_flat_workgroup_size: 256
    .name:           _Z38paged_attention_ll4mi_QKV_mfma4_kernelI14__hip_bfloat16S0_LN4vllm18Fp8KVCacheDataTypeE0ES0_Li16ELi64ELi256ELb0ELi2EEvPKT_PKT0_S8_ifPKiSA_SA_iPKfiiiPfSD_PS3_PT2_iSC_SC_
    .private_segment_fixed_size: 0
    .sgpr_count:     44
    .sgpr_spill_count: 0
    .symbol:         _Z38paged_attention_ll4mi_QKV_mfma4_kernelI14__hip_bfloat16S0_LN4vllm18Fp8KVCacheDataTypeE0ES0_Li16ELi64ELi256ELb0ELi2EEvPKT_PKT0_S8_ifPKiSA_SA_iPKfiiiPfSD_PS3_PT2_iSC_SC_.kd
    .uniform_work_group_size: 1
    .uses_dynamic_stack: false
    .vgpr_count:     68
    .vgpr_spill_count: 0
    .wavefront_size: 64
  - .agpr_count:     4
    .args:
      - .actual_access:  read_only
        .address_space:  global
        .offset:         0
        .size:           8
        .value_kind:     global_buffer
      - .actual_access:  read_only
        .address_space:  global
        .offset:         8
        .size:           8
        .value_kind:     global_buffer
      - .actual_access:  read_only
        .address_space:  global
        .offset:         16
        .size:           8
        .value_kind:     global_buffer
      - .offset:         24
        .size:           4
        .value_kind:     by_value
      - .offset:         28
        .size:           4
        .value_kind:     by_value
      - .actual_access:  read_only
        .address_space:  global
        .offset:         32
        .size:           8
        .value_kind:     global_buffer
      - .actual_access:  read_only
        .address_space:  global
        .offset:         40
        .size:           8
        .value_kind:     global_buffer
      - .actual_access:  read_only
        .address_space:  global
        .offset:         48
        .size:           8
        .value_kind:     global_buffer
      - .offset:         56
        .size:           4
        .value_kind:     by_value
      - .actual_access:  read_only
        .address_space:  global
        .offset:         64
        .size:           8
        .value_kind:     global_buffer
      - .offset:         72
        .size:           4
        .value_kind:     by_value
      - .offset:         76
        .size:           4
        .value_kind:     by_value
      - .offset:         80
        .size:           4
        .value_kind:     by_value
      - .actual_access:  write_only
        .address_space:  global
        .offset:         88
        .size:           8
        .value_kind:     global_buffer
      - .actual_access:  write_only
        .address_space:  global
        .offset:         96
        .size:           8
        .value_kind:     global_buffer
      - .actual_access:  write_only
        .address_space:  global
        .offset:         104
        .size:           8
        .value_kind:     global_buffer
      - .actual_access:  read_only
        .address_space:  global
        .offset:         112
        .size:           8
        .value_kind:     global_buffer
      - .offset:         120
        .size:           4
        .value_kind:     by_value
      - .address_space:  global
        .offset:         128
        .size:           8
        .value_kind:     global_buffer
      - .address_space:  global
        .offset:         136
        .size:           8
        .value_kind:     global_buffer
      - .offset:         144
        .size:           4
        .value_kind:     hidden_block_count_x
      - .offset:         148
        .size:           4
        .value_kind:     hidden_block_count_y
      - .offset:         152
        .size:           4
        .value_kind:     hidden_block_count_z
      - .offset:         156
        .size:           2
        .value_kind:     hidden_group_size_x
      - .offset:         158
        .size:           2
        .value_kind:     hidden_group_size_y
      - .offset:         160
        .size:           2
        .value_kind:     hidden_group_size_z
      - .offset:         162
        .size:           2
        .value_kind:     hidden_remainder_x
      - .offset:         164
        .size:           2
        .value_kind:     hidden_remainder_y
      - .offset:         166
        .size:           2
        .value_kind:     hidden_remainder_z
      - .offset:         184
        .size:           8
        .value_kind:     hidden_global_offset_x
      - .offset:         192
        .size:           8
        .value_kind:     hidden_global_offset_y
      - .offset:         200
        .size:           8
        .value_kind:     hidden_global_offset_z
      - .offset:         208
        .size:           2
        .value_kind:     hidden_grid_dims
    .group_segment_fixed_size: 2720
    .kernarg_segment_align: 8
    .kernarg_segment_size: 400
    .language:       OpenCL C
    .language_version:
      - 2
      - 0
    .max_flat_workgroup_size: 256
    .name:           _Z38paged_attention_ll4mi_QKV_mfma4_kernelI14__hip_bfloat16S0_LN4vllm18Fp8KVCacheDataTypeE0ES0_Li16ELi64ELi256ELb0ELi3EEvPKT_PKT0_S8_ifPKiSA_SA_iPKfiiiPfSD_PS3_PT2_iSC_SC_
    .private_segment_fixed_size: 0
    .sgpr_count:     44
    .sgpr_spill_count: 0
    .symbol:         _Z38paged_attention_ll4mi_QKV_mfma4_kernelI14__hip_bfloat16S0_LN4vllm18Fp8KVCacheDataTypeE0ES0_Li16ELi64ELi256ELb0ELi3EEvPKT_PKT0_S8_ifPKiSA_SA_iPKfiiiPfSD_PS3_PT2_iSC_SC_.kd
    .uniform_work_group_size: 1
    .uses_dynamic_stack: false
    .vgpr_count:     68
    .vgpr_spill_count: 0
    .wavefront_size: 64
  - .agpr_count:     4
    .args:
      - .actual_access:  read_only
        .address_space:  global
        .offset:         0
        .size:           8
        .value_kind:     global_buffer
      - .actual_access:  read_only
        .address_space:  global
        .offset:         8
        .size:           8
        .value_kind:     global_buffer
      - .actual_access:  read_only
        .address_space:  global
        .offset:         16
        .size:           8
        .value_kind:     global_buffer
      - .offset:         24
        .size:           4
        .value_kind:     by_value
      - .offset:         28
        .size:           4
        .value_kind:     by_value
      - .actual_access:  read_only
        .address_space:  global
        .offset:         32
        .size:           8
        .value_kind:     global_buffer
      - .actual_access:  read_only
        .address_space:  global
        .offset:         40
        .size:           8
        .value_kind:     global_buffer
      - .actual_access:  read_only
        .address_space:  global
        .offset:         48
        .size:           8
        .value_kind:     global_buffer
      - .offset:         56
        .size:           4
        .value_kind:     by_value
      - .actual_access:  read_only
        .address_space:  global
        .offset:         64
        .size:           8
        .value_kind:     global_buffer
      - .offset:         72
        .size:           4
        .value_kind:     by_value
      - .offset:         76
        .size:           4
        .value_kind:     by_value
      - .offset:         80
        .size:           4
        .value_kind:     by_value
      - .actual_access:  write_only
        .address_space:  global
        .offset:         88
        .size:           8
        .value_kind:     global_buffer
      - .actual_access:  write_only
        .address_space:  global
        .offset:         96
        .size:           8
        .value_kind:     global_buffer
      - .actual_access:  write_only
        .address_space:  global
        .offset:         104
        .size:           8
        .value_kind:     global_buffer
      - .actual_access:  read_only
        .address_space:  global
        .offset:         112
        .size:           8
        .value_kind:     global_buffer
      - .offset:         120
        .size:           4
        .value_kind:     by_value
      - .address_space:  global
        .offset:         128
        .size:           8
        .value_kind:     global_buffer
      - .address_space:  global
        .offset:         136
        .size:           8
        .value_kind:     global_buffer
      - .offset:         144
        .size:           4
        .value_kind:     hidden_block_count_x
      - .offset:         148
        .size:           4
        .value_kind:     hidden_block_count_y
      - .offset:         152
        .size:           4
        .value_kind:     hidden_block_count_z
      - .offset:         156
        .size:           2
        .value_kind:     hidden_group_size_x
      - .offset:         158
        .size:           2
        .value_kind:     hidden_group_size_y
      - .offset:         160
        .size:           2
        .value_kind:     hidden_group_size_z
      - .offset:         162
        .size:           2
        .value_kind:     hidden_remainder_x
      - .offset:         164
        .size:           2
        .value_kind:     hidden_remainder_y
      - .offset:         166
        .size:           2
        .value_kind:     hidden_remainder_z
      - .offset:         184
        .size:           8
        .value_kind:     hidden_global_offset_x
      - .offset:         192
        .size:           8
        .value_kind:     hidden_global_offset_y
      - .offset:         200
        .size:           8
        .value_kind:     hidden_global_offset_z
      - .offset:         208
        .size:           2
        .value_kind:     hidden_grid_dims
    .group_segment_fixed_size: 2720
    .kernarg_segment_align: 8
    .kernarg_segment_size: 400
    .language:       OpenCL C
    .language_version:
      - 2
      - 0
    .max_flat_workgroup_size: 256
    .name:           _Z38paged_attention_ll4mi_QKV_mfma4_kernelI14__hip_bfloat16S0_LN4vllm18Fp8KVCacheDataTypeE0ES0_Li16ELi64ELi256ELb0ELi4EEvPKT_PKT0_S8_ifPKiSA_SA_iPKfiiiPfSD_PS3_PT2_iSC_SC_
    .private_segment_fixed_size: 0
    .sgpr_count:     44
    .sgpr_spill_count: 0
    .symbol:         _Z38paged_attention_ll4mi_QKV_mfma4_kernelI14__hip_bfloat16S0_LN4vllm18Fp8KVCacheDataTypeE0ES0_Li16ELi64ELi256ELb0ELi4EEvPKT_PKT0_S8_ifPKiSA_SA_iPKfiiiPfSD_PS3_PT2_iSC_SC_.kd
    .uniform_work_group_size: 1
    .uses_dynamic_stack: false
    .vgpr_count:     68
    .vgpr_spill_count: 0
    .wavefront_size: 64
  - .agpr_count:     0
    .args:
      - .actual_access:  read_only
        .address_space:  global
        .offset:         0
        .size:           8
        .value_kind:     global_buffer
      - .actual_access:  read_only
        .address_space:  global
        .offset:         8
        .size:           8
        .value_kind:     global_buffer
      - .actual_access:  read_only
        .address_space:  global
        .offset:         16
        .size:           8
        .value_kind:     global_buffer
      - .offset:         24
        .size:           4
        .value_kind:     by_value
      - .offset:         28
        .size:           4
        .value_kind:     by_value
      - .actual_access:  read_only
        .address_space:  global
        .offset:         32
        .size:           8
        .value_kind:     global_buffer
      - .actual_access:  read_only
        .address_space:  global
        .offset:         40
        .size:           8
        .value_kind:     global_buffer
      - .actual_access:  read_only
        .address_space:  global
        .offset:         48
        .size:           8
        .value_kind:     global_buffer
      - .offset:         56
        .size:           4
        .value_kind:     by_value
      - .actual_access:  read_only
        .address_space:  global
        .offset:         64
        .size:           8
        .value_kind:     global_buffer
      - .offset:         72
        .size:           4
        .value_kind:     by_value
      - .offset:         76
        .size:           4
        .value_kind:     by_value
      - .offset:         80
        .size:           4
        .value_kind:     by_value
      - .actual_access:  write_only
        .address_space:  global
        .offset:         88
        .size:           8
        .value_kind:     global_buffer
      - .actual_access:  write_only
        .address_space:  global
        .offset:         96
        .size:           8
        .value_kind:     global_buffer
      - .actual_access:  write_only
        .address_space:  global
        .offset:         104
        .size:           8
        .value_kind:     global_buffer
      - .actual_access:  read_only
        .address_space:  global
        .offset:         112
        .size:           8
        .value_kind:     global_buffer
      - .offset:         120
        .size:           4
        .value_kind:     by_value
      - .address_space:  global
        .offset:         128
        .size:           8
        .value_kind:     global_buffer
      - .address_space:  global
        .offset:         136
        .size:           8
        .value_kind:     global_buffer
      - .offset:         144
        .size:           4
        .value_kind:     hidden_block_count_x
      - .offset:         148
        .size:           4
        .value_kind:     hidden_block_count_y
      - .offset:         152
        .size:           4
        .value_kind:     hidden_block_count_z
      - .offset:         156
        .size:           2
        .value_kind:     hidden_group_size_x
      - .offset:         158
        .size:           2
        .value_kind:     hidden_group_size_y
      - .offset:         160
        .size:           2
        .value_kind:     hidden_group_size_z
      - .offset:         162
        .size:           2
        .value_kind:     hidden_remainder_x
      - .offset:         164
        .size:           2
        .value_kind:     hidden_remainder_y
      - .offset:         166
        .size:           2
        .value_kind:     hidden_remainder_z
      - .offset:         184
        .size:           8
        .value_kind:     hidden_global_offset_x
      - .offset:         192
        .size:           8
        .value_kind:     hidden_global_offset_y
      - .offset:         200
        .size:           8
        .value_kind:     hidden_global_offset_z
      - .offset:         208
        .size:           2
        .value_kind:     hidden_grid_dims
    .group_segment_fixed_size: 8192
    .kernarg_segment_align: 8
    .kernarg_segment_size: 400
    .language:       OpenCL C
    .language_version:
      - 2
      - 0
    .max_flat_workgroup_size: 256
    .name:           _Z39paged_attention_ll4mi_QKV_mfma16_kernelI14__hip_bfloat16S0_LN4vllm18Fp8KVCacheDataTypeE0ES0_Li16ELi64ELi256ELb0ELi5EEvPKT_PKT0_S8_ifPKiSA_SA_iPKfiiiPfSD_PS3_PT2_iSC_SC_
    .private_segment_fixed_size: 0
    .sgpr_count:     54
    .sgpr_spill_count: 0
    .symbol:         _Z39paged_attention_ll4mi_QKV_mfma16_kernelI14__hip_bfloat16S0_LN4vllm18Fp8KVCacheDataTypeE0ES0_Li16ELi64ELi256ELb0ELi5EEvPKT_PKT0_S8_ifPKiSA_SA_iPKfiiiPfSD_PS3_PT2_iSC_SC_.kd
    .uniform_work_group_size: 1
    .uses_dynamic_stack: false
    .vgpr_count:     69
    .vgpr_spill_count: 0
    .wavefront_size: 64
  - .agpr_count:     0
    .args:
      - .actual_access:  read_only
        .address_space:  global
        .offset:         0
        .size:           8
        .value_kind:     global_buffer
      - .actual_access:  read_only
        .address_space:  global
        .offset:         8
        .size:           8
        .value_kind:     global_buffer
      - .actual_access:  read_only
        .address_space:  global
        .offset:         16
        .size:           8
        .value_kind:     global_buffer
      - .offset:         24
        .size:           4
        .value_kind:     by_value
      - .offset:         28
        .size:           4
        .value_kind:     by_value
      - .actual_access:  read_only
        .address_space:  global
        .offset:         32
        .size:           8
        .value_kind:     global_buffer
      - .actual_access:  read_only
        .address_space:  global
        .offset:         40
        .size:           8
        .value_kind:     global_buffer
      - .actual_access:  read_only
        .address_space:  global
        .offset:         48
        .size:           8
        .value_kind:     global_buffer
      - .offset:         56
        .size:           4
        .value_kind:     by_value
      - .actual_access:  read_only
        .address_space:  global
        .offset:         64
        .size:           8
        .value_kind:     global_buffer
      - .offset:         72
        .size:           4
        .value_kind:     by_value
      - .offset:         76
        .size:           4
        .value_kind:     by_value
      - .offset:         80
        .size:           4
        .value_kind:     by_value
      - .actual_access:  write_only
        .address_space:  global
        .offset:         88
        .size:           8
        .value_kind:     global_buffer
      - .actual_access:  write_only
        .address_space:  global
        .offset:         96
        .size:           8
        .value_kind:     global_buffer
      - .actual_access:  write_only
        .address_space:  global
        .offset:         104
        .size:           8
        .value_kind:     global_buffer
      - .actual_access:  read_only
        .address_space:  global
        .offset:         112
        .size:           8
        .value_kind:     global_buffer
      - .offset:         120
        .size:           4
        .value_kind:     by_value
      - .address_space:  global
        .offset:         128
        .size:           8
        .value_kind:     global_buffer
      - .address_space:  global
        .offset:         136
        .size:           8
        .value_kind:     global_buffer
      - .offset:         144
        .size:           4
        .value_kind:     hidden_block_count_x
      - .offset:         148
        .size:           4
        .value_kind:     hidden_block_count_y
      - .offset:         152
        .size:           4
        .value_kind:     hidden_block_count_z
      - .offset:         156
        .size:           2
        .value_kind:     hidden_group_size_x
      - .offset:         158
        .size:           2
        .value_kind:     hidden_group_size_y
      - .offset:         160
        .size:           2
        .value_kind:     hidden_group_size_z
      - .offset:         162
        .size:           2
        .value_kind:     hidden_remainder_x
      - .offset:         164
        .size:           2
        .value_kind:     hidden_remainder_y
      - .offset:         166
        .size:           2
        .value_kind:     hidden_remainder_z
      - .offset:         184
        .size:           8
        .value_kind:     hidden_global_offset_x
      - .offset:         192
        .size:           8
        .value_kind:     hidden_global_offset_y
      - .offset:         200
        .size:           8
        .value_kind:     hidden_global_offset_z
      - .offset:         208
        .size:           2
        .value_kind:     hidden_grid_dims
    .group_segment_fixed_size: 8192
    .kernarg_segment_align: 8
    .kernarg_segment_size: 400
    .language:       OpenCL C
    .language_version:
      - 2
      - 0
    .max_flat_workgroup_size: 256
    .name:           _Z39paged_attention_ll4mi_QKV_mfma16_kernelI14__hip_bfloat16S0_LN4vllm18Fp8KVCacheDataTypeE0ES0_Li16ELi64ELi256ELb0ELi6EEvPKT_PKT0_S8_ifPKiSA_SA_iPKfiiiPfSD_PS3_PT2_iSC_SC_
    .private_segment_fixed_size: 0
    .sgpr_count:     54
    .sgpr_spill_count: 0
    .symbol:         _Z39paged_attention_ll4mi_QKV_mfma16_kernelI14__hip_bfloat16S0_LN4vllm18Fp8KVCacheDataTypeE0ES0_Li16ELi64ELi256ELb0ELi6EEvPKT_PKT0_S8_ifPKiSA_SA_iPKfiiiPfSD_PS3_PT2_iSC_SC_.kd
    .uniform_work_group_size: 1
    .uses_dynamic_stack: false
    .vgpr_count:     69
    .vgpr_spill_count: 0
    .wavefront_size: 64
  - .agpr_count:     0
    .args:
      - .actual_access:  read_only
        .address_space:  global
        .offset:         0
        .size:           8
        .value_kind:     global_buffer
      - .actual_access:  read_only
        .address_space:  global
        .offset:         8
        .size:           8
        .value_kind:     global_buffer
      - .actual_access:  read_only
        .address_space:  global
        .offset:         16
        .size:           8
        .value_kind:     global_buffer
      - .offset:         24
        .size:           4
        .value_kind:     by_value
      - .offset:         28
        .size:           4
        .value_kind:     by_value
      - .actual_access:  read_only
        .address_space:  global
        .offset:         32
        .size:           8
        .value_kind:     global_buffer
      - .actual_access:  read_only
        .address_space:  global
        .offset:         40
        .size:           8
        .value_kind:     global_buffer
      - .actual_access:  read_only
        .address_space:  global
        .offset:         48
        .size:           8
        .value_kind:     global_buffer
      - .offset:         56
        .size:           4
        .value_kind:     by_value
      - .actual_access:  read_only
        .address_space:  global
        .offset:         64
        .size:           8
        .value_kind:     global_buffer
      - .offset:         72
        .size:           4
        .value_kind:     by_value
      - .offset:         76
        .size:           4
        .value_kind:     by_value
      - .offset:         80
        .size:           4
        .value_kind:     by_value
      - .actual_access:  write_only
        .address_space:  global
        .offset:         88
        .size:           8
        .value_kind:     global_buffer
      - .actual_access:  write_only
        .address_space:  global
        .offset:         96
        .size:           8
        .value_kind:     global_buffer
      - .actual_access:  write_only
        .address_space:  global
        .offset:         104
        .size:           8
        .value_kind:     global_buffer
      - .actual_access:  read_only
        .address_space:  global
        .offset:         112
        .size:           8
        .value_kind:     global_buffer
      - .offset:         120
        .size:           4
        .value_kind:     by_value
      - .address_space:  global
        .offset:         128
        .size:           8
        .value_kind:     global_buffer
      - .address_space:  global
        .offset:         136
        .size:           8
        .value_kind:     global_buffer
      - .offset:         144
        .size:           4
        .value_kind:     hidden_block_count_x
      - .offset:         148
        .size:           4
        .value_kind:     hidden_block_count_y
      - .offset:         152
        .size:           4
        .value_kind:     hidden_block_count_z
      - .offset:         156
        .size:           2
        .value_kind:     hidden_group_size_x
      - .offset:         158
        .size:           2
        .value_kind:     hidden_group_size_y
      - .offset:         160
        .size:           2
        .value_kind:     hidden_group_size_z
      - .offset:         162
        .size:           2
        .value_kind:     hidden_remainder_x
      - .offset:         164
        .size:           2
        .value_kind:     hidden_remainder_y
      - .offset:         166
        .size:           2
        .value_kind:     hidden_remainder_z
      - .offset:         184
        .size:           8
        .value_kind:     hidden_global_offset_x
      - .offset:         192
        .size:           8
        .value_kind:     hidden_global_offset_y
      - .offset:         200
        .size:           8
        .value_kind:     hidden_global_offset_z
      - .offset:         208
        .size:           2
        .value_kind:     hidden_grid_dims
    .group_segment_fixed_size: 8192
    .kernarg_segment_align: 8
    .kernarg_segment_size: 400
    .language:       OpenCL C
    .language_version:
      - 2
      - 0
    .max_flat_workgroup_size: 256
    .name:           _Z39paged_attention_ll4mi_QKV_mfma16_kernelI14__hip_bfloat16S0_LN4vllm18Fp8KVCacheDataTypeE0ES0_Li16ELi64ELi256ELb0ELi7EEvPKT_PKT0_S8_ifPKiSA_SA_iPKfiiiPfSD_PS3_PT2_iSC_SC_
    .private_segment_fixed_size: 0
    .sgpr_count:     54
    .sgpr_spill_count: 0
    .symbol:         _Z39paged_attention_ll4mi_QKV_mfma16_kernelI14__hip_bfloat16S0_LN4vllm18Fp8KVCacheDataTypeE0ES0_Li16ELi64ELi256ELb0ELi7EEvPKT_PKT0_S8_ifPKiSA_SA_iPKfiiiPfSD_PS3_PT2_iSC_SC_.kd
    .uniform_work_group_size: 1
    .uses_dynamic_stack: false
    .vgpr_count:     69
    .vgpr_spill_count: 0
    .wavefront_size: 64
  - .agpr_count:     0
    .args:
      - .actual_access:  read_only
        .address_space:  global
        .offset:         0
        .size:           8
        .value_kind:     global_buffer
      - .actual_access:  read_only
        .address_space:  global
        .offset:         8
        .size:           8
        .value_kind:     global_buffer
      - .actual_access:  read_only
        .address_space:  global
        .offset:         16
        .size:           8
        .value_kind:     global_buffer
      - .offset:         24
        .size:           4
        .value_kind:     by_value
      - .offset:         28
        .size:           4
        .value_kind:     by_value
      - .actual_access:  read_only
        .address_space:  global
        .offset:         32
        .size:           8
        .value_kind:     global_buffer
      - .actual_access:  read_only
        .address_space:  global
        .offset:         40
        .size:           8
        .value_kind:     global_buffer
      - .actual_access:  read_only
        .address_space:  global
        .offset:         48
        .size:           8
        .value_kind:     global_buffer
      - .offset:         56
        .size:           4
        .value_kind:     by_value
      - .actual_access:  read_only
        .address_space:  global
        .offset:         64
        .size:           8
        .value_kind:     global_buffer
      - .offset:         72
        .size:           4
        .value_kind:     by_value
      - .offset:         76
        .size:           4
        .value_kind:     by_value
      - .offset:         80
        .size:           4
        .value_kind:     by_value
      - .actual_access:  write_only
        .address_space:  global
        .offset:         88
        .size:           8
        .value_kind:     global_buffer
      - .actual_access:  write_only
        .address_space:  global
        .offset:         96
        .size:           8
        .value_kind:     global_buffer
      - .actual_access:  write_only
        .address_space:  global
        .offset:         104
        .size:           8
        .value_kind:     global_buffer
      - .actual_access:  read_only
        .address_space:  global
        .offset:         112
        .size:           8
        .value_kind:     global_buffer
      - .offset:         120
        .size:           4
        .value_kind:     by_value
      - .address_space:  global
        .offset:         128
        .size:           8
        .value_kind:     global_buffer
      - .address_space:  global
        .offset:         136
        .size:           8
        .value_kind:     global_buffer
      - .offset:         144
        .size:           4
        .value_kind:     hidden_block_count_x
      - .offset:         148
        .size:           4
        .value_kind:     hidden_block_count_y
      - .offset:         152
        .size:           4
        .value_kind:     hidden_block_count_z
      - .offset:         156
        .size:           2
        .value_kind:     hidden_group_size_x
      - .offset:         158
        .size:           2
        .value_kind:     hidden_group_size_y
      - .offset:         160
        .size:           2
        .value_kind:     hidden_group_size_z
      - .offset:         162
        .size:           2
        .value_kind:     hidden_remainder_x
      - .offset:         164
        .size:           2
        .value_kind:     hidden_remainder_y
      - .offset:         166
        .size:           2
        .value_kind:     hidden_remainder_z
      - .offset:         184
        .size:           8
        .value_kind:     hidden_global_offset_x
      - .offset:         192
        .size:           8
        .value_kind:     hidden_global_offset_y
      - .offset:         200
        .size:           8
        .value_kind:     hidden_global_offset_z
      - .offset:         208
        .size:           2
        .value_kind:     hidden_grid_dims
    .group_segment_fixed_size: 8192
    .kernarg_segment_align: 8
    .kernarg_segment_size: 400
    .language:       OpenCL C
    .language_version:
      - 2
      - 0
    .max_flat_workgroup_size: 256
    .name:           _Z39paged_attention_ll4mi_QKV_mfma16_kernelI14__hip_bfloat16S0_LN4vllm18Fp8KVCacheDataTypeE0ES0_Li16ELi64ELi256ELb0ELi8EEvPKT_PKT0_S8_ifPKiSA_SA_iPKfiiiPfSD_PS3_PT2_iSC_SC_
    .private_segment_fixed_size: 0
    .sgpr_count:     54
    .sgpr_spill_count: 0
    .symbol:         _Z39paged_attention_ll4mi_QKV_mfma16_kernelI14__hip_bfloat16S0_LN4vllm18Fp8KVCacheDataTypeE0ES0_Li16ELi64ELi256ELb0ELi8EEvPKT_PKT0_S8_ifPKiSA_SA_iPKfiiiPfSD_PS3_PT2_iSC_SC_.kd
    .uniform_work_group_size: 1
    .uses_dynamic_stack: false
    .vgpr_count:     69
    .vgpr_spill_count: 0
    .wavefront_size: 64
  - .agpr_count:     0
    .args:
      - .actual_access:  read_only
        .address_space:  global
        .offset:         0
        .size:           8
        .value_kind:     global_buffer
      - .actual_access:  read_only
        .address_space:  global
        .offset:         8
        .size:           8
        .value_kind:     global_buffer
      - .actual_access:  read_only
        .address_space:  global
        .offset:         16
        .size:           8
        .value_kind:     global_buffer
      - .offset:         24
        .size:           4
        .value_kind:     by_value
      - .offset:         28
        .size:           4
        .value_kind:     by_value
      - .actual_access:  read_only
        .address_space:  global
        .offset:         32
        .size:           8
        .value_kind:     global_buffer
      - .actual_access:  read_only
        .address_space:  global
        .offset:         40
        .size:           8
        .value_kind:     global_buffer
      - .actual_access:  read_only
        .address_space:  global
        .offset:         48
        .size:           8
        .value_kind:     global_buffer
      - .offset:         56
        .size:           4
        .value_kind:     by_value
      - .actual_access:  read_only
        .address_space:  global
        .offset:         64
        .size:           8
        .value_kind:     global_buffer
      - .offset:         72
        .size:           4
        .value_kind:     by_value
      - .offset:         76
        .size:           4
        .value_kind:     by_value
      - .offset:         80
        .size:           4
        .value_kind:     by_value
      - .actual_access:  write_only
        .address_space:  global
        .offset:         88
        .size:           8
        .value_kind:     global_buffer
      - .actual_access:  write_only
        .address_space:  global
        .offset:         96
        .size:           8
        .value_kind:     global_buffer
      - .actual_access:  write_only
        .address_space:  global
        .offset:         104
        .size:           8
        .value_kind:     global_buffer
      - .actual_access:  read_only
        .address_space:  global
        .offset:         112
        .size:           8
        .value_kind:     global_buffer
      - .offset:         120
        .size:           4
        .value_kind:     by_value
      - .address_space:  global
        .offset:         128
        .size:           8
        .value_kind:     global_buffer
      - .address_space:  global
        .offset:         136
        .size:           8
        .value_kind:     global_buffer
      - .offset:         144
        .size:           4
        .value_kind:     hidden_block_count_x
      - .offset:         148
        .size:           4
        .value_kind:     hidden_block_count_y
      - .offset:         152
        .size:           4
        .value_kind:     hidden_block_count_z
      - .offset:         156
        .size:           2
        .value_kind:     hidden_group_size_x
      - .offset:         158
        .size:           2
        .value_kind:     hidden_group_size_y
      - .offset:         160
        .size:           2
        .value_kind:     hidden_group_size_z
      - .offset:         162
        .size:           2
        .value_kind:     hidden_remainder_x
      - .offset:         164
        .size:           2
        .value_kind:     hidden_remainder_y
      - .offset:         166
        .size:           2
        .value_kind:     hidden_remainder_z
      - .offset:         184
        .size:           8
        .value_kind:     hidden_global_offset_x
      - .offset:         192
        .size:           8
        .value_kind:     hidden_global_offset_y
      - .offset:         200
        .size:           8
        .value_kind:     hidden_global_offset_z
      - .offset:         208
        .size:           2
        .value_kind:     hidden_grid_dims
    .group_segment_fixed_size: 8192
    .kernarg_segment_align: 8
    .kernarg_segment_size: 400
    .language:       OpenCL C
    .language_version:
      - 2
      - 0
    .max_flat_workgroup_size: 256
    .name:           _Z39paged_attention_ll4mi_QKV_mfma16_kernelI14__hip_bfloat16S0_LN4vllm18Fp8KVCacheDataTypeE0ES0_Li16ELi64ELi256ELb0ELi9EEvPKT_PKT0_S8_ifPKiSA_SA_iPKfiiiPfSD_PS3_PT2_iSC_SC_
    .private_segment_fixed_size: 0
    .sgpr_count:     54
    .sgpr_spill_count: 0
    .symbol:         _Z39paged_attention_ll4mi_QKV_mfma16_kernelI14__hip_bfloat16S0_LN4vllm18Fp8KVCacheDataTypeE0ES0_Li16ELi64ELi256ELb0ELi9EEvPKT_PKT0_S8_ifPKiSA_SA_iPKfiiiPfSD_PS3_PT2_iSC_SC_.kd
    .uniform_work_group_size: 1
    .uses_dynamic_stack: false
    .vgpr_count:     69
    .vgpr_spill_count: 0
    .wavefront_size: 64
  - .agpr_count:     0
    .args:
      - .actual_access:  read_only
        .address_space:  global
        .offset:         0
        .size:           8
        .value_kind:     global_buffer
      - .actual_access:  read_only
        .address_space:  global
        .offset:         8
        .size:           8
        .value_kind:     global_buffer
      - .actual_access:  read_only
        .address_space:  global
        .offset:         16
        .size:           8
        .value_kind:     global_buffer
      - .offset:         24
        .size:           4
        .value_kind:     by_value
      - .offset:         28
        .size:           4
        .value_kind:     by_value
      - .actual_access:  read_only
        .address_space:  global
        .offset:         32
        .size:           8
        .value_kind:     global_buffer
      - .actual_access:  read_only
        .address_space:  global
        .offset:         40
        .size:           8
        .value_kind:     global_buffer
      - .actual_access:  read_only
        .address_space:  global
        .offset:         48
        .size:           8
        .value_kind:     global_buffer
      - .offset:         56
        .size:           4
        .value_kind:     by_value
      - .actual_access:  read_only
        .address_space:  global
        .offset:         64
        .size:           8
        .value_kind:     global_buffer
      - .offset:         72
        .size:           4
        .value_kind:     by_value
      - .offset:         76
        .size:           4
        .value_kind:     by_value
      - .offset:         80
        .size:           4
        .value_kind:     by_value
      - .actual_access:  write_only
        .address_space:  global
        .offset:         88
        .size:           8
        .value_kind:     global_buffer
      - .actual_access:  write_only
        .address_space:  global
        .offset:         96
        .size:           8
        .value_kind:     global_buffer
      - .actual_access:  write_only
        .address_space:  global
        .offset:         104
        .size:           8
        .value_kind:     global_buffer
      - .actual_access:  read_only
        .address_space:  global
        .offset:         112
        .size:           8
        .value_kind:     global_buffer
      - .offset:         120
        .size:           4
        .value_kind:     by_value
      - .address_space:  global
        .offset:         128
        .size:           8
        .value_kind:     global_buffer
      - .address_space:  global
        .offset:         136
        .size:           8
        .value_kind:     global_buffer
      - .offset:         144
        .size:           4
        .value_kind:     hidden_block_count_x
      - .offset:         148
        .size:           4
        .value_kind:     hidden_block_count_y
      - .offset:         152
        .size:           4
        .value_kind:     hidden_block_count_z
      - .offset:         156
        .size:           2
        .value_kind:     hidden_group_size_x
      - .offset:         158
        .size:           2
        .value_kind:     hidden_group_size_y
      - .offset:         160
        .size:           2
        .value_kind:     hidden_group_size_z
      - .offset:         162
        .size:           2
        .value_kind:     hidden_remainder_x
      - .offset:         164
        .size:           2
        .value_kind:     hidden_remainder_y
      - .offset:         166
        .size:           2
        .value_kind:     hidden_remainder_z
      - .offset:         184
        .size:           8
        .value_kind:     hidden_global_offset_x
      - .offset:         192
        .size:           8
        .value_kind:     hidden_global_offset_y
      - .offset:         200
        .size:           8
        .value_kind:     hidden_global_offset_z
      - .offset:         208
        .size:           2
        .value_kind:     hidden_grid_dims
    .group_segment_fixed_size: 8192
    .kernarg_segment_align: 8
    .kernarg_segment_size: 400
    .language:       OpenCL C
    .language_version:
      - 2
      - 0
    .max_flat_workgroup_size: 256
    .name:           _Z39paged_attention_ll4mi_QKV_mfma16_kernelI14__hip_bfloat16S0_LN4vllm18Fp8KVCacheDataTypeE0ES0_Li16ELi64ELi256ELb0ELi10EEvPKT_PKT0_S8_ifPKiSA_SA_iPKfiiiPfSD_PS3_PT2_iSC_SC_
    .private_segment_fixed_size: 0
    .sgpr_count:     54
    .sgpr_spill_count: 0
    .symbol:         _Z39paged_attention_ll4mi_QKV_mfma16_kernelI14__hip_bfloat16S0_LN4vllm18Fp8KVCacheDataTypeE0ES0_Li16ELi64ELi256ELb0ELi10EEvPKT_PKT0_S8_ifPKiSA_SA_iPKfiiiPfSD_PS3_PT2_iSC_SC_.kd
    .uniform_work_group_size: 1
    .uses_dynamic_stack: false
    .vgpr_count:     69
    .vgpr_spill_count: 0
    .wavefront_size: 64
  - .agpr_count:     0
    .args:
      - .actual_access:  read_only
        .address_space:  global
        .offset:         0
        .size:           8
        .value_kind:     global_buffer
      - .actual_access:  read_only
        .address_space:  global
        .offset:         8
        .size:           8
        .value_kind:     global_buffer
      - .actual_access:  read_only
        .address_space:  global
        .offset:         16
        .size:           8
        .value_kind:     global_buffer
      - .offset:         24
        .size:           4
        .value_kind:     by_value
      - .offset:         28
        .size:           4
        .value_kind:     by_value
      - .actual_access:  read_only
        .address_space:  global
        .offset:         32
        .size:           8
        .value_kind:     global_buffer
      - .actual_access:  read_only
        .address_space:  global
        .offset:         40
        .size:           8
        .value_kind:     global_buffer
      - .actual_access:  read_only
        .address_space:  global
        .offset:         48
        .size:           8
        .value_kind:     global_buffer
      - .offset:         56
        .size:           4
        .value_kind:     by_value
      - .actual_access:  read_only
        .address_space:  global
        .offset:         64
        .size:           8
        .value_kind:     global_buffer
      - .offset:         72
        .size:           4
        .value_kind:     by_value
      - .offset:         76
        .size:           4
        .value_kind:     by_value
      - .offset:         80
        .size:           4
        .value_kind:     by_value
      - .actual_access:  write_only
        .address_space:  global
        .offset:         88
        .size:           8
        .value_kind:     global_buffer
      - .actual_access:  write_only
        .address_space:  global
        .offset:         96
        .size:           8
        .value_kind:     global_buffer
      - .actual_access:  write_only
        .address_space:  global
        .offset:         104
        .size:           8
        .value_kind:     global_buffer
      - .actual_access:  read_only
        .address_space:  global
        .offset:         112
        .size:           8
        .value_kind:     global_buffer
      - .offset:         120
        .size:           4
        .value_kind:     by_value
      - .address_space:  global
        .offset:         128
        .size:           8
        .value_kind:     global_buffer
      - .address_space:  global
        .offset:         136
        .size:           8
        .value_kind:     global_buffer
      - .offset:         144
        .size:           4
        .value_kind:     hidden_block_count_x
      - .offset:         148
        .size:           4
        .value_kind:     hidden_block_count_y
      - .offset:         152
        .size:           4
        .value_kind:     hidden_block_count_z
      - .offset:         156
        .size:           2
        .value_kind:     hidden_group_size_x
      - .offset:         158
        .size:           2
        .value_kind:     hidden_group_size_y
      - .offset:         160
        .size:           2
        .value_kind:     hidden_group_size_z
      - .offset:         162
        .size:           2
        .value_kind:     hidden_remainder_x
      - .offset:         164
        .size:           2
        .value_kind:     hidden_remainder_y
      - .offset:         166
        .size:           2
        .value_kind:     hidden_remainder_z
      - .offset:         184
        .size:           8
        .value_kind:     hidden_global_offset_x
      - .offset:         192
        .size:           8
        .value_kind:     hidden_global_offset_y
      - .offset:         200
        .size:           8
        .value_kind:     hidden_global_offset_z
      - .offset:         208
        .size:           2
        .value_kind:     hidden_grid_dims
    .group_segment_fixed_size: 8192
    .kernarg_segment_align: 8
    .kernarg_segment_size: 400
    .language:       OpenCL C
    .language_version:
      - 2
      - 0
    .max_flat_workgroup_size: 256
    .name:           _Z39paged_attention_ll4mi_QKV_mfma16_kernelI14__hip_bfloat16S0_LN4vllm18Fp8KVCacheDataTypeE0ES0_Li16ELi64ELi256ELb0ELi11EEvPKT_PKT0_S8_ifPKiSA_SA_iPKfiiiPfSD_PS3_PT2_iSC_SC_
    .private_segment_fixed_size: 0
    .sgpr_count:     54
    .sgpr_spill_count: 0
    .symbol:         _Z39paged_attention_ll4mi_QKV_mfma16_kernelI14__hip_bfloat16S0_LN4vllm18Fp8KVCacheDataTypeE0ES0_Li16ELi64ELi256ELb0ELi11EEvPKT_PKT0_S8_ifPKiSA_SA_iPKfiiiPfSD_PS3_PT2_iSC_SC_.kd
    .uniform_work_group_size: 1
    .uses_dynamic_stack: false
    .vgpr_count:     69
    .vgpr_spill_count: 0
    .wavefront_size: 64
  - .agpr_count:     0
    .args:
      - .actual_access:  read_only
        .address_space:  global
        .offset:         0
        .size:           8
        .value_kind:     global_buffer
      - .actual_access:  read_only
        .address_space:  global
        .offset:         8
        .size:           8
        .value_kind:     global_buffer
      - .actual_access:  read_only
        .address_space:  global
        .offset:         16
        .size:           8
        .value_kind:     global_buffer
      - .offset:         24
        .size:           4
        .value_kind:     by_value
      - .offset:         28
        .size:           4
        .value_kind:     by_value
      - .actual_access:  read_only
        .address_space:  global
        .offset:         32
        .size:           8
        .value_kind:     global_buffer
      - .actual_access:  read_only
        .address_space:  global
        .offset:         40
        .size:           8
        .value_kind:     global_buffer
      - .actual_access:  read_only
        .address_space:  global
        .offset:         48
        .size:           8
        .value_kind:     global_buffer
      - .offset:         56
        .size:           4
        .value_kind:     by_value
      - .actual_access:  read_only
        .address_space:  global
        .offset:         64
        .size:           8
        .value_kind:     global_buffer
      - .offset:         72
        .size:           4
        .value_kind:     by_value
      - .offset:         76
        .size:           4
        .value_kind:     by_value
      - .offset:         80
        .size:           4
        .value_kind:     by_value
      - .actual_access:  write_only
        .address_space:  global
        .offset:         88
        .size:           8
        .value_kind:     global_buffer
      - .actual_access:  write_only
        .address_space:  global
        .offset:         96
        .size:           8
        .value_kind:     global_buffer
      - .actual_access:  write_only
        .address_space:  global
        .offset:         104
        .size:           8
        .value_kind:     global_buffer
      - .actual_access:  read_only
        .address_space:  global
        .offset:         112
        .size:           8
        .value_kind:     global_buffer
      - .offset:         120
        .size:           4
        .value_kind:     by_value
      - .address_space:  global
        .offset:         128
        .size:           8
        .value_kind:     global_buffer
      - .address_space:  global
        .offset:         136
        .size:           8
        .value_kind:     global_buffer
      - .offset:         144
        .size:           4
        .value_kind:     hidden_block_count_x
      - .offset:         148
        .size:           4
        .value_kind:     hidden_block_count_y
      - .offset:         152
        .size:           4
        .value_kind:     hidden_block_count_z
      - .offset:         156
        .size:           2
        .value_kind:     hidden_group_size_x
      - .offset:         158
        .size:           2
        .value_kind:     hidden_group_size_y
      - .offset:         160
        .size:           2
        .value_kind:     hidden_group_size_z
      - .offset:         162
        .size:           2
        .value_kind:     hidden_remainder_x
      - .offset:         164
        .size:           2
        .value_kind:     hidden_remainder_y
      - .offset:         166
        .size:           2
        .value_kind:     hidden_remainder_z
      - .offset:         184
        .size:           8
        .value_kind:     hidden_global_offset_x
      - .offset:         192
        .size:           8
        .value_kind:     hidden_global_offset_y
      - .offset:         200
        .size:           8
        .value_kind:     hidden_global_offset_z
      - .offset:         208
        .size:           2
        .value_kind:     hidden_grid_dims
    .group_segment_fixed_size: 8192
    .kernarg_segment_align: 8
    .kernarg_segment_size: 400
    .language:       OpenCL C
    .language_version:
      - 2
      - 0
    .max_flat_workgroup_size: 256
    .name:           _Z39paged_attention_ll4mi_QKV_mfma16_kernelI14__hip_bfloat16S0_LN4vllm18Fp8KVCacheDataTypeE0ES0_Li16ELi64ELi256ELb0ELi12EEvPKT_PKT0_S8_ifPKiSA_SA_iPKfiiiPfSD_PS3_PT2_iSC_SC_
    .private_segment_fixed_size: 0
    .sgpr_count:     54
    .sgpr_spill_count: 0
    .symbol:         _Z39paged_attention_ll4mi_QKV_mfma16_kernelI14__hip_bfloat16S0_LN4vllm18Fp8KVCacheDataTypeE0ES0_Li16ELi64ELi256ELb0ELi12EEvPKT_PKT0_S8_ifPKiSA_SA_iPKfiiiPfSD_PS3_PT2_iSC_SC_.kd
    .uniform_work_group_size: 1
    .uses_dynamic_stack: false
    .vgpr_count:     69
    .vgpr_spill_count: 0
    .wavefront_size: 64
  - .agpr_count:     0
    .args:
      - .actual_access:  read_only
        .address_space:  global
        .offset:         0
        .size:           8
        .value_kind:     global_buffer
      - .actual_access:  read_only
        .address_space:  global
        .offset:         8
        .size:           8
        .value_kind:     global_buffer
      - .actual_access:  read_only
        .address_space:  global
        .offset:         16
        .size:           8
        .value_kind:     global_buffer
      - .offset:         24
        .size:           4
        .value_kind:     by_value
      - .offset:         28
        .size:           4
        .value_kind:     by_value
      - .actual_access:  read_only
        .address_space:  global
        .offset:         32
        .size:           8
        .value_kind:     global_buffer
      - .actual_access:  read_only
        .address_space:  global
        .offset:         40
        .size:           8
        .value_kind:     global_buffer
      - .actual_access:  read_only
        .address_space:  global
        .offset:         48
        .size:           8
        .value_kind:     global_buffer
      - .offset:         56
        .size:           4
        .value_kind:     by_value
      - .actual_access:  read_only
        .address_space:  global
        .offset:         64
        .size:           8
        .value_kind:     global_buffer
      - .offset:         72
        .size:           4
        .value_kind:     by_value
      - .offset:         76
        .size:           4
        .value_kind:     by_value
      - .offset:         80
        .size:           4
        .value_kind:     by_value
      - .actual_access:  write_only
        .address_space:  global
        .offset:         88
        .size:           8
        .value_kind:     global_buffer
      - .actual_access:  write_only
        .address_space:  global
        .offset:         96
        .size:           8
        .value_kind:     global_buffer
      - .actual_access:  write_only
        .address_space:  global
        .offset:         104
        .size:           8
        .value_kind:     global_buffer
      - .actual_access:  read_only
        .address_space:  global
        .offset:         112
        .size:           8
        .value_kind:     global_buffer
      - .offset:         120
        .size:           4
        .value_kind:     by_value
      - .address_space:  global
        .offset:         128
        .size:           8
        .value_kind:     global_buffer
      - .address_space:  global
        .offset:         136
        .size:           8
        .value_kind:     global_buffer
      - .offset:         144
        .size:           4
        .value_kind:     hidden_block_count_x
      - .offset:         148
        .size:           4
        .value_kind:     hidden_block_count_y
      - .offset:         152
        .size:           4
        .value_kind:     hidden_block_count_z
      - .offset:         156
        .size:           2
        .value_kind:     hidden_group_size_x
      - .offset:         158
        .size:           2
        .value_kind:     hidden_group_size_y
      - .offset:         160
        .size:           2
        .value_kind:     hidden_group_size_z
      - .offset:         162
        .size:           2
        .value_kind:     hidden_remainder_x
      - .offset:         164
        .size:           2
        .value_kind:     hidden_remainder_y
      - .offset:         166
        .size:           2
        .value_kind:     hidden_remainder_z
      - .offset:         184
        .size:           8
        .value_kind:     hidden_global_offset_x
      - .offset:         192
        .size:           8
        .value_kind:     hidden_global_offset_y
      - .offset:         200
        .size:           8
        .value_kind:     hidden_global_offset_z
      - .offset:         208
        .size:           2
        .value_kind:     hidden_grid_dims
    .group_segment_fixed_size: 8192
    .kernarg_segment_align: 8
    .kernarg_segment_size: 400
    .language:       OpenCL C
    .language_version:
      - 2
      - 0
    .max_flat_workgroup_size: 256
    .name:           _Z39paged_attention_ll4mi_QKV_mfma16_kernelI14__hip_bfloat16S0_LN4vllm18Fp8KVCacheDataTypeE0ES0_Li16ELi64ELi256ELb0ELi13EEvPKT_PKT0_S8_ifPKiSA_SA_iPKfiiiPfSD_PS3_PT2_iSC_SC_
    .private_segment_fixed_size: 0
    .sgpr_count:     54
    .sgpr_spill_count: 0
    .symbol:         _Z39paged_attention_ll4mi_QKV_mfma16_kernelI14__hip_bfloat16S0_LN4vllm18Fp8KVCacheDataTypeE0ES0_Li16ELi64ELi256ELb0ELi13EEvPKT_PKT0_S8_ifPKiSA_SA_iPKfiiiPfSD_PS3_PT2_iSC_SC_.kd
    .uniform_work_group_size: 1
    .uses_dynamic_stack: false
    .vgpr_count:     69
    .vgpr_spill_count: 0
    .wavefront_size: 64
  - .agpr_count:     0
    .args:
      - .actual_access:  read_only
        .address_space:  global
        .offset:         0
        .size:           8
        .value_kind:     global_buffer
      - .actual_access:  read_only
        .address_space:  global
        .offset:         8
        .size:           8
        .value_kind:     global_buffer
      - .actual_access:  read_only
        .address_space:  global
        .offset:         16
        .size:           8
        .value_kind:     global_buffer
      - .offset:         24
        .size:           4
        .value_kind:     by_value
      - .offset:         28
        .size:           4
        .value_kind:     by_value
      - .actual_access:  read_only
        .address_space:  global
        .offset:         32
        .size:           8
        .value_kind:     global_buffer
      - .actual_access:  read_only
        .address_space:  global
        .offset:         40
        .size:           8
        .value_kind:     global_buffer
      - .actual_access:  read_only
        .address_space:  global
        .offset:         48
        .size:           8
        .value_kind:     global_buffer
      - .offset:         56
        .size:           4
        .value_kind:     by_value
      - .actual_access:  read_only
        .address_space:  global
        .offset:         64
        .size:           8
        .value_kind:     global_buffer
      - .offset:         72
        .size:           4
        .value_kind:     by_value
      - .offset:         76
        .size:           4
        .value_kind:     by_value
      - .offset:         80
        .size:           4
        .value_kind:     by_value
      - .actual_access:  write_only
        .address_space:  global
        .offset:         88
        .size:           8
        .value_kind:     global_buffer
      - .actual_access:  write_only
        .address_space:  global
        .offset:         96
        .size:           8
        .value_kind:     global_buffer
      - .actual_access:  write_only
        .address_space:  global
        .offset:         104
        .size:           8
        .value_kind:     global_buffer
      - .actual_access:  read_only
        .address_space:  global
        .offset:         112
        .size:           8
        .value_kind:     global_buffer
      - .offset:         120
        .size:           4
        .value_kind:     by_value
      - .address_space:  global
        .offset:         128
        .size:           8
        .value_kind:     global_buffer
      - .address_space:  global
        .offset:         136
        .size:           8
        .value_kind:     global_buffer
      - .offset:         144
        .size:           4
        .value_kind:     hidden_block_count_x
      - .offset:         148
        .size:           4
        .value_kind:     hidden_block_count_y
      - .offset:         152
        .size:           4
        .value_kind:     hidden_block_count_z
      - .offset:         156
        .size:           2
        .value_kind:     hidden_group_size_x
      - .offset:         158
        .size:           2
        .value_kind:     hidden_group_size_y
      - .offset:         160
        .size:           2
        .value_kind:     hidden_group_size_z
      - .offset:         162
        .size:           2
        .value_kind:     hidden_remainder_x
      - .offset:         164
        .size:           2
        .value_kind:     hidden_remainder_y
      - .offset:         166
        .size:           2
        .value_kind:     hidden_remainder_z
      - .offset:         184
        .size:           8
        .value_kind:     hidden_global_offset_x
      - .offset:         192
        .size:           8
        .value_kind:     hidden_global_offset_y
      - .offset:         200
        .size:           8
        .value_kind:     hidden_global_offset_z
      - .offset:         208
        .size:           2
        .value_kind:     hidden_grid_dims
    .group_segment_fixed_size: 8192
    .kernarg_segment_align: 8
    .kernarg_segment_size: 400
    .language:       OpenCL C
    .language_version:
      - 2
      - 0
    .max_flat_workgroup_size: 256
    .name:           _Z39paged_attention_ll4mi_QKV_mfma16_kernelI14__hip_bfloat16S0_LN4vllm18Fp8KVCacheDataTypeE0ES0_Li16ELi64ELi256ELb0ELi14EEvPKT_PKT0_S8_ifPKiSA_SA_iPKfiiiPfSD_PS3_PT2_iSC_SC_
    .private_segment_fixed_size: 0
    .sgpr_count:     54
    .sgpr_spill_count: 0
    .symbol:         _Z39paged_attention_ll4mi_QKV_mfma16_kernelI14__hip_bfloat16S0_LN4vllm18Fp8KVCacheDataTypeE0ES0_Li16ELi64ELi256ELb0ELi14EEvPKT_PKT0_S8_ifPKiSA_SA_iPKfiiiPfSD_PS3_PT2_iSC_SC_.kd
    .uniform_work_group_size: 1
    .uses_dynamic_stack: false
    .vgpr_count:     69
    .vgpr_spill_count: 0
    .wavefront_size: 64
  - .agpr_count:     0
    .args:
      - .actual_access:  read_only
        .address_space:  global
        .offset:         0
        .size:           8
        .value_kind:     global_buffer
      - .actual_access:  read_only
        .address_space:  global
        .offset:         8
        .size:           8
        .value_kind:     global_buffer
      - .actual_access:  read_only
        .address_space:  global
        .offset:         16
        .size:           8
        .value_kind:     global_buffer
      - .offset:         24
        .size:           4
        .value_kind:     by_value
      - .offset:         28
        .size:           4
        .value_kind:     by_value
      - .actual_access:  read_only
        .address_space:  global
        .offset:         32
        .size:           8
        .value_kind:     global_buffer
      - .actual_access:  read_only
        .address_space:  global
        .offset:         40
        .size:           8
        .value_kind:     global_buffer
      - .actual_access:  read_only
        .address_space:  global
        .offset:         48
        .size:           8
        .value_kind:     global_buffer
      - .offset:         56
        .size:           4
        .value_kind:     by_value
      - .actual_access:  read_only
        .address_space:  global
        .offset:         64
        .size:           8
        .value_kind:     global_buffer
      - .offset:         72
        .size:           4
        .value_kind:     by_value
      - .offset:         76
        .size:           4
        .value_kind:     by_value
      - .offset:         80
        .size:           4
        .value_kind:     by_value
      - .actual_access:  write_only
        .address_space:  global
        .offset:         88
        .size:           8
        .value_kind:     global_buffer
      - .actual_access:  write_only
        .address_space:  global
        .offset:         96
        .size:           8
        .value_kind:     global_buffer
      - .actual_access:  write_only
        .address_space:  global
        .offset:         104
        .size:           8
        .value_kind:     global_buffer
      - .actual_access:  read_only
        .address_space:  global
        .offset:         112
        .size:           8
        .value_kind:     global_buffer
      - .offset:         120
        .size:           4
        .value_kind:     by_value
      - .address_space:  global
        .offset:         128
        .size:           8
        .value_kind:     global_buffer
      - .address_space:  global
        .offset:         136
        .size:           8
        .value_kind:     global_buffer
      - .offset:         144
        .size:           4
        .value_kind:     hidden_block_count_x
      - .offset:         148
        .size:           4
        .value_kind:     hidden_block_count_y
      - .offset:         152
        .size:           4
        .value_kind:     hidden_block_count_z
      - .offset:         156
        .size:           2
        .value_kind:     hidden_group_size_x
      - .offset:         158
        .size:           2
        .value_kind:     hidden_group_size_y
      - .offset:         160
        .size:           2
        .value_kind:     hidden_group_size_z
      - .offset:         162
        .size:           2
        .value_kind:     hidden_remainder_x
      - .offset:         164
        .size:           2
        .value_kind:     hidden_remainder_y
      - .offset:         166
        .size:           2
        .value_kind:     hidden_remainder_z
      - .offset:         184
        .size:           8
        .value_kind:     hidden_global_offset_x
      - .offset:         192
        .size:           8
        .value_kind:     hidden_global_offset_y
      - .offset:         200
        .size:           8
        .value_kind:     hidden_global_offset_z
      - .offset:         208
        .size:           2
        .value_kind:     hidden_grid_dims
    .group_segment_fixed_size: 8192
    .kernarg_segment_align: 8
    .kernarg_segment_size: 400
    .language:       OpenCL C
    .language_version:
      - 2
      - 0
    .max_flat_workgroup_size: 256
    .name:           _Z39paged_attention_ll4mi_QKV_mfma16_kernelI14__hip_bfloat16S0_LN4vllm18Fp8KVCacheDataTypeE0ES0_Li16ELi64ELi256ELb0ELi15EEvPKT_PKT0_S8_ifPKiSA_SA_iPKfiiiPfSD_PS3_PT2_iSC_SC_
    .private_segment_fixed_size: 0
    .sgpr_count:     54
    .sgpr_spill_count: 0
    .symbol:         _Z39paged_attention_ll4mi_QKV_mfma16_kernelI14__hip_bfloat16S0_LN4vllm18Fp8KVCacheDataTypeE0ES0_Li16ELi64ELi256ELb0ELi15EEvPKT_PKT0_S8_ifPKiSA_SA_iPKfiiiPfSD_PS3_PT2_iSC_SC_.kd
    .uniform_work_group_size: 1
    .uses_dynamic_stack: false
    .vgpr_count:     69
    .vgpr_spill_count: 0
    .wavefront_size: 64
  - .agpr_count:     0
    .args:
      - .actual_access:  read_only
        .address_space:  global
        .offset:         0
        .size:           8
        .value_kind:     global_buffer
      - .actual_access:  read_only
        .address_space:  global
        .offset:         8
        .size:           8
        .value_kind:     global_buffer
      - .actual_access:  read_only
        .address_space:  global
        .offset:         16
        .size:           8
        .value_kind:     global_buffer
      - .offset:         24
        .size:           4
        .value_kind:     by_value
      - .offset:         28
        .size:           4
        .value_kind:     by_value
      - .actual_access:  read_only
        .address_space:  global
        .offset:         32
        .size:           8
        .value_kind:     global_buffer
      - .actual_access:  read_only
        .address_space:  global
        .offset:         40
        .size:           8
        .value_kind:     global_buffer
      - .actual_access:  read_only
        .address_space:  global
        .offset:         48
        .size:           8
        .value_kind:     global_buffer
      - .offset:         56
        .size:           4
        .value_kind:     by_value
      - .actual_access:  read_only
        .address_space:  global
        .offset:         64
        .size:           8
        .value_kind:     global_buffer
      - .offset:         72
        .size:           4
        .value_kind:     by_value
      - .offset:         76
        .size:           4
        .value_kind:     by_value
      - .offset:         80
        .size:           4
        .value_kind:     by_value
      - .actual_access:  write_only
        .address_space:  global
        .offset:         88
        .size:           8
        .value_kind:     global_buffer
      - .actual_access:  write_only
        .address_space:  global
        .offset:         96
        .size:           8
        .value_kind:     global_buffer
      - .actual_access:  write_only
        .address_space:  global
        .offset:         104
        .size:           8
        .value_kind:     global_buffer
      - .actual_access:  read_only
        .address_space:  global
        .offset:         112
        .size:           8
        .value_kind:     global_buffer
      - .offset:         120
        .size:           4
        .value_kind:     by_value
      - .address_space:  global
        .offset:         128
        .size:           8
        .value_kind:     global_buffer
      - .address_space:  global
        .offset:         136
        .size:           8
        .value_kind:     global_buffer
      - .offset:         144
        .size:           4
        .value_kind:     hidden_block_count_x
      - .offset:         148
        .size:           4
        .value_kind:     hidden_block_count_y
      - .offset:         152
        .size:           4
        .value_kind:     hidden_block_count_z
      - .offset:         156
        .size:           2
        .value_kind:     hidden_group_size_x
      - .offset:         158
        .size:           2
        .value_kind:     hidden_group_size_y
      - .offset:         160
        .size:           2
        .value_kind:     hidden_group_size_z
      - .offset:         162
        .size:           2
        .value_kind:     hidden_remainder_x
      - .offset:         164
        .size:           2
        .value_kind:     hidden_remainder_y
      - .offset:         166
        .size:           2
        .value_kind:     hidden_remainder_z
      - .offset:         184
        .size:           8
        .value_kind:     hidden_global_offset_x
      - .offset:         192
        .size:           8
        .value_kind:     hidden_global_offset_y
      - .offset:         200
        .size:           8
        .value_kind:     hidden_global_offset_z
      - .offset:         208
        .size:           2
        .value_kind:     hidden_grid_dims
    .group_segment_fixed_size: 8192
    .kernarg_segment_align: 8
    .kernarg_segment_size: 400
    .language:       OpenCL C
    .language_version:
      - 2
      - 0
    .max_flat_workgroup_size: 256
    .name:           _Z39paged_attention_ll4mi_QKV_mfma16_kernelI14__hip_bfloat16S0_LN4vllm18Fp8KVCacheDataTypeE0ES0_Li16ELi64ELi256ELb0ELi16EEvPKT_PKT0_S8_ifPKiSA_SA_iPKfiiiPfSD_PS3_PT2_iSC_SC_
    .private_segment_fixed_size: 0
    .sgpr_count:     54
    .sgpr_spill_count: 0
    .symbol:         _Z39paged_attention_ll4mi_QKV_mfma16_kernelI14__hip_bfloat16S0_LN4vllm18Fp8KVCacheDataTypeE0ES0_Li16ELi64ELi256ELb0ELi16EEvPKT_PKT0_S8_ifPKiSA_SA_iPKfiiiPfSD_PS3_PT2_iSC_SC_.kd
    .uniform_work_group_size: 1
    .uses_dynamic_stack: false
    .vgpr_count:     70
    .vgpr_spill_count: 0
    .wavefront_size: 64
  - .agpr_count:     0
    .args:
      - .actual_access:  read_only
        .address_space:  global
        .offset:         0
        .size:           8
        .value_kind:     global_buffer
      - .actual_access:  read_only
        .address_space:  global
        .offset:         8
        .size:           8
        .value_kind:     global_buffer
      - .actual_access:  read_only
        .address_space:  global
        .offset:         16
        .size:           8
        .value_kind:     global_buffer
      - .offset:         24
        .size:           4
        .value_kind:     by_value
      - .offset:         28
        .size:           4
        .value_kind:     by_value
      - .actual_access:  read_only
        .address_space:  global
        .offset:         32
        .size:           8
        .value_kind:     global_buffer
      - .actual_access:  read_only
        .address_space:  global
        .offset:         40
        .size:           8
        .value_kind:     global_buffer
      - .actual_access:  read_only
        .address_space:  global
        .offset:         48
        .size:           8
        .value_kind:     global_buffer
      - .offset:         56
        .size:           4
        .value_kind:     by_value
      - .actual_access:  read_only
        .address_space:  global
        .offset:         64
        .size:           8
        .value_kind:     global_buffer
      - .offset:         72
        .size:           4
        .value_kind:     by_value
      - .offset:         76
        .size:           4
        .value_kind:     by_value
      - .offset:         80
        .size:           4
        .value_kind:     by_value
      - .actual_access:  write_only
        .address_space:  global
        .offset:         88
        .size:           8
        .value_kind:     global_buffer
      - .actual_access:  write_only
        .address_space:  global
        .offset:         96
        .size:           8
        .value_kind:     global_buffer
      - .actual_access:  write_only
        .address_space:  global
        .offset:         104
        .size:           8
        .value_kind:     global_buffer
      - .actual_access:  read_only
        .address_space:  global
        .offset:         112
        .size:           8
        .value_kind:     global_buffer
      - .offset:         120
        .size:           4
        .value_kind:     by_value
      - .address_space:  global
        .offset:         128
        .size:           8
        .value_kind:     global_buffer
      - .address_space:  global
        .offset:         136
        .size:           8
        .value_kind:     global_buffer
      - .offset:         144
        .size:           4
        .value_kind:     hidden_block_count_x
      - .offset:         148
        .size:           4
        .value_kind:     hidden_block_count_y
      - .offset:         152
        .size:           4
        .value_kind:     hidden_block_count_z
      - .offset:         156
        .size:           2
        .value_kind:     hidden_group_size_x
      - .offset:         158
        .size:           2
        .value_kind:     hidden_group_size_y
      - .offset:         160
        .size:           2
        .value_kind:     hidden_group_size_z
      - .offset:         162
        .size:           2
        .value_kind:     hidden_remainder_x
      - .offset:         164
        .size:           2
        .value_kind:     hidden_remainder_y
      - .offset:         166
        .size:           2
        .value_kind:     hidden_remainder_z
      - .offset:         184
        .size:           8
        .value_kind:     hidden_global_offset_x
      - .offset:         192
        .size:           8
        .value_kind:     hidden_global_offset_y
      - .offset:         200
        .size:           8
        .value_kind:     hidden_global_offset_z
      - .offset:         208
        .size:           2
        .value_kind:     hidden_grid_dims
    .group_segment_fixed_size: 8192
    .kernarg_segment_align: 8
    .kernarg_segment_size: 400
    .language:       OpenCL C
    .language_version:
      - 2
      - 0
    .max_flat_workgroup_size: 256
    .name:           _Z39paged_attention_ll4mi_QKV_mfma16_kernelI14__hip_bfloat16S0_LN4vllm18Fp8KVCacheDataTypeE0ES0_Li16ELi64ELi256ELb0ELi1EEvPKT_PKT0_S8_ifPKiSA_SA_iPKfiiiPfSD_PS3_PT2_iSC_SC_
    .private_segment_fixed_size: 0
    .sgpr_count:     54
    .sgpr_spill_count: 0
    .symbol:         _Z39paged_attention_ll4mi_QKV_mfma16_kernelI14__hip_bfloat16S0_LN4vllm18Fp8KVCacheDataTypeE0ES0_Li16ELi64ELi256ELb0ELi1EEvPKT_PKT0_S8_ifPKiSA_SA_iPKfiiiPfSD_PS3_PT2_iSC_SC_.kd
    .uniform_work_group_size: 1
    .uses_dynamic_stack: false
    .vgpr_count:     71
    .vgpr_spill_count: 0
    .wavefront_size: 64
  - .agpr_count:     0
    .args:
      - .actual_access:  read_only
        .address_space:  global
        .offset:         0
        .size:           8
        .value_kind:     global_buffer
      - .actual_access:  read_only
        .address_space:  global
        .offset:         8
        .size:           8
        .value_kind:     global_buffer
      - .actual_access:  read_only
        .address_space:  global
        .offset:         16
        .size:           8
        .value_kind:     global_buffer
      - .offset:         24
        .size:           4
        .value_kind:     by_value
      - .offset:         28
        .size:           4
        .value_kind:     by_value
      - .actual_access:  read_only
        .address_space:  global
        .offset:         32
        .size:           8
        .value_kind:     global_buffer
      - .actual_access:  read_only
        .address_space:  global
        .offset:         40
        .size:           8
        .value_kind:     global_buffer
      - .actual_access:  read_only
        .address_space:  global
        .offset:         48
        .size:           8
        .value_kind:     global_buffer
      - .offset:         56
        .size:           4
        .value_kind:     by_value
      - .actual_access:  read_only
        .address_space:  global
        .offset:         64
        .size:           8
        .value_kind:     global_buffer
      - .offset:         72
        .size:           4
        .value_kind:     by_value
      - .offset:         76
        .size:           4
        .value_kind:     by_value
      - .offset:         80
        .size:           4
        .value_kind:     by_value
      - .actual_access:  write_only
        .address_space:  global
        .offset:         88
        .size:           8
        .value_kind:     global_buffer
      - .actual_access:  write_only
        .address_space:  global
        .offset:         96
        .size:           8
        .value_kind:     global_buffer
      - .actual_access:  write_only
        .address_space:  global
        .offset:         104
        .size:           8
        .value_kind:     global_buffer
      - .actual_access:  read_only
        .address_space:  global
        .offset:         112
        .size:           8
        .value_kind:     global_buffer
      - .offset:         120
        .size:           4
        .value_kind:     by_value
      - .address_space:  global
        .offset:         128
        .size:           8
        .value_kind:     global_buffer
      - .address_space:  global
        .offset:         136
        .size:           8
        .value_kind:     global_buffer
      - .offset:         144
        .size:           4
        .value_kind:     hidden_block_count_x
      - .offset:         148
        .size:           4
        .value_kind:     hidden_block_count_y
      - .offset:         152
        .size:           4
        .value_kind:     hidden_block_count_z
      - .offset:         156
        .size:           2
        .value_kind:     hidden_group_size_x
      - .offset:         158
        .size:           2
        .value_kind:     hidden_group_size_y
      - .offset:         160
        .size:           2
        .value_kind:     hidden_group_size_z
      - .offset:         162
        .size:           2
        .value_kind:     hidden_remainder_x
      - .offset:         164
        .size:           2
        .value_kind:     hidden_remainder_y
      - .offset:         166
        .size:           2
        .value_kind:     hidden_remainder_z
      - .offset:         184
        .size:           8
        .value_kind:     hidden_global_offset_x
      - .offset:         192
        .size:           8
        .value_kind:     hidden_global_offset_y
      - .offset:         200
        .size:           8
        .value_kind:     hidden_global_offset_z
      - .offset:         208
        .size:           2
        .value_kind:     hidden_grid_dims
    .group_segment_fixed_size: 8192
    .kernarg_segment_align: 8
    .kernarg_segment_size: 400
    .language:       OpenCL C
    .language_version:
      - 2
      - 0
    .max_flat_workgroup_size: 256
    .name:           _Z39paged_attention_ll4mi_QKV_mfma16_kernelI14__hip_bfloat16S0_LN4vllm18Fp8KVCacheDataTypeE0ES0_Li16ELi64ELi256ELb0ELi2EEvPKT_PKT0_S8_ifPKiSA_SA_iPKfiiiPfSD_PS3_PT2_iSC_SC_
    .private_segment_fixed_size: 0
    .sgpr_count:     54
    .sgpr_spill_count: 0
    .symbol:         _Z39paged_attention_ll4mi_QKV_mfma16_kernelI14__hip_bfloat16S0_LN4vllm18Fp8KVCacheDataTypeE0ES0_Li16ELi64ELi256ELb0ELi2EEvPKT_PKT0_S8_ifPKiSA_SA_iPKfiiiPfSD_PS3_PT2_iSC_SC_.kd
    .uniform_work_group_size: 1
    .uses_dynamic_stack: false
    .vgpr_count:     69
    .vgpr_spill_count: 0
    .wavefront_size: 64
  - .agpr_count:     0
    .args:
      - .actual_access:  read_only
        .address_space:  global
        .offset:         0
        .size:           8
        .value_kind:     global_buffer
      - .actual_access:  read_only
        .address_space:  global
        .offset:         8
        .size:           8
        .value_kind:     global_buffer
      - .actual_access:  read_only
        .address_space:  global
        .offset:         16
        .size:           8
        .value_kind:     global_buffer
      - .offset:         24
        .size:           4
        .value_kind:     by_value
      - .offset:         28
        .size:           4
        .value_kind:     by_value
      - .actual_access:  read_only
        .address_space:  global
        .offset:         32
        .size:           8
        .value_kind:     global_buffer
      - .actual_access:  read_only
        .address_space:  global
        .offset:         40
        .size:           8
        .value_kind:     global_buffer
      - .actual_access:  read_only
        .address_space:  global
        .offset:         48
        .size:           8
        .value_kind:     global_buffer
      - .offset:         56
        .size:           4
        .value_kind:     by_value
      - .actual_access:  read_only
        .address_space:  global
        .offset:         64
        .size:           8
        .value_kind:     global_buffer
      - .offset:         72
        .size:           4
        .value_kind:     by_value
      - .offset:         76
        .size:           4
        .value_kind:     by_value
      - .offset:         80
        .size:           4
        .value_kind:     by_value
      - .actual_access:  write_only
        .address_space:  global
        .offset:         88
        .size:           8
        .value_kind:     global_buffer
      - .actual_access:  write_only
        .address_space:  global
        .offset:         96
        .size:           8
        .value_kind:     global_buffer
      - .actual_access:  write_only
        .address_space:  global
        .offset:         104
        .size:           8
        .value_kind:     global_buffer
      - .actual_access:  read_only
        .address_space:  global
        .offset:         112
        .size:           8
        .value_kind:     global_buffer
      - .offset:         120
        .size:           4
        .value_kind:     by_value
      - .address_space:  global
        .offset:         128
        .size:           8
        .value_kind:     global_buffer
      - .address_space:  global
        .offset:         136
        .size:           8
        .value_kind:     global_buffer
      - .offset:         144
        .size:           4
        .value_kind:     hidden_block_count_x
      - .offset:         148
        .size:           4
        .value_kind:     hidden_block_count_y
      - .offset:         152
        .size:           4
        .value_kind:     hidden_block_count_z
      - .offset:         156
        .size:           2
        .value_kind:     hidden_group_size_x
      - .offset:         158
        .size:           2
        .value_kind:     hidden_group_size_y
      - .offset:         160
        .size:           2
        .value_kind:     hidden_group_size_z
      - .offset:         162
        .size:           2
        .value_kind:     hidden_remainder_x
      - .offset:         164
        .size:           2
        .value_kind:     hidden_remainder_y
      - .offset:         166
        .size:           2
        .value_kind:     hidden_remainder_z
      - .offset:         184
        .size:           8
        .value_kind:     hidden_global_offset_x
      - .offset:         192
        .size:           8
        .value_kind:     hidden_global_offset_y
      - .offset:         200
        .size:           8
        .value_kind:     hidden_global_offset_z
      - .offset:         208
        .size:           2
        .value_kind:     hidden_grid_dims
    .group_segment_fixed_size: 8192
    .kernarg_segment_align: 8
    .kernarg_segment_size: 400
    .language:       OpenCL C
    .language_version:
      - 2
      - 0
    .max_flat_workgroup_size: 256
    .name:           _Z39paged_attention_ll4mi_QKV_mfma16_kernelI14__hip_bfloat16S0_LN4vllm18Fp8KVCacheDataTypeE0ES0_Li16ELi64ELi256ELb0ELi3EEvPKT_PKT0_S8_ifPKiSA_SA_iPKfiiiPfSD_PS3_PT2_iSC_SC_
    .private_segment_fixed_size: 0
    .sgpr_count:     54
    .sgpr_spill_count: 0
    .symbol:         _Z39paged_attention_ll4mi_QKV_mfma16_kernelI14__hip_bfloat16S0_LN4vllm18Fp8KVCacheDataTypeE0ES0_Li16ELi64ELi256ELb0ELi3EEvPKT_PKT0_S8_ifPKiSA_SA_iPKfiiiPfSD_PS3_PT2_iSC_SC_.kd
    .uniform_work_group_size: 1
    .uses_dynamic_stack: false
    .vgpr_count:     70
    .vgpr_spill_count: 0
    .wavefront_size: 64
  - .agpr_count:     0
    .args:
      - .actual_access:  read_only
        .address_space:  global
        .offset:         0
        .size:           8
        .value_kind:     global_buffer
      - .actual_access:  read_only
        .address_space:  global
        .offset:         8
        .size:           8
        .value_kind:     global_buffer
      - .actual_access:  read_only
        .address_space:  global
        .offset:         16
        .size:           8
        .value_kind:     global_buffer
      - .offset:         24
        .size:           4
        .value_kind:     by_value
      - .offset:         28
        .size:           4
        .value_kind:     by_value
      - .actual_access:  read_only
        .address_space:  global
        .offset:         32
        .size:           8
        .value_kind:     global_buffer
      - .actual_access:  read_only
        .address_space:  global
        .offset:         40
        .size:           8
        .value_kind:     global_buffer
      - .actual_access:  read_only
        .address_space:  global
        .offset:         48
        .size:           8
        .value_kind:     global_buffer
      - .offset:         56
        .size:           4
        .value_kind:     by_value
      - .actual_access:  read_only
        .address_space:  global
        .offset:         64
        .size:           8
        .value_kind:     global_buffer
      - .offset:         72
        .size:           4
        .value_kind:     by_value
      - .offset:         76
        .size:           4
        .value_kind:     by_value
      - .offset:         80
        .size:           4
        .value_kind:     by_value
      - .actual_access:  write_only
        .address_space:  global
        .offset:         88
        .size:           8
        .value_kind:     global_buffer
      - .actual_access:  write_only
        .address_space:  global
        .offset:         96
        .size:           8
        .value_kind:     global_buffer
      - .actual_access:  write_only
        .address_space:  global
        .offset:         104
        .size:           8
        .value_kind:     global_buffer
      - .actual_access:  read_only
        .address_space:  global
        .offset:         112
        .size:           8
        .value_kind:     global_buffer
      - .offset:         120
        .size:           4
        .value_kind:     by_value
      - .address_space:  global
        .offset:         128
        .size:           8
        .value_kind:     global_buffer
      - .address_space:  global
        .offset:         136
        .size:           8
        .value_kind:     global_buffer
      - .offset:         144
        .size:           4
        .value_kind:     hidden_block_count_x
      - .offset:         148
        .size:           4
        .value_kind:     hidden_block_count_y
      - .offset:         152
        .size:           4
        .value_kind:     hidden_block_count_z
      - .offset:         156
        .size:           2
        .value_kind:     hidden_group_size_x
      - .offset:         158
        .size:           2
        .value_kind:     hidden_group_size_y
      - .offset:         160
        .size:           2
        .value_kind:     hidden_group_size_z
      - .offset:         162
        .size:           2
        .value_kind:     hidden_remainder_x
      - .offset:         164
        .size:           2
        .value_kind:     hidden_remainder_y
      - .offset:         166
        .size:           2
        .value_kind:     hidden_remainder_z
      - .offset:         184
        .size:           8
        .value_kind:     hidden_global_offset_x
      - .offset:         192
        .size:           8
        .value_kind:     hidden_global_offset_y
      - .offset:         200
        .size:           8
        .value_kind:     hidden_global_offset_z
      - .offset:         208
        .size:           2
        .value_kind:     hidden_grid_dims
    .group_segment_fixed_size: 8192
    .kernarg_segment_align: 8
    .kernarg_segment_size: 400
    .language:       OpenCL C
    .language_version:
      - 2
      - 0
    .max_flat_workgroup_size: 256
    .name:           _Z39paged_attention_ll4mi_QKV_mfma16_kernelI14__hip_bfloat16S0_LN4vllm18Fp8KVCacheDataTypeE0ES0_Li16ELi64ELi256ELb0ELi4EEvPKT_PKT0_S8_ifPKiSA_SA_iPKfiiiPfSD_PS3_PT2_iSC_SC_
    .private_segment_fixed_size: 0
    .sgpr_count:     52
    .sgpr_spill_count: 0
    .symbol:         _Z39paged_attention_ll4mi_QKV_mfma16_kernelI14__hip_bfloat16S0_LN4vllm18Fp8KVCacheDataTypeE0ES0_Li16ELi64ELi256ELb0ELi4EEvPKT_PKT0_S8_ifPKiSA_SA_iPKfiiiPfSD_PS3_PT2_iSC_SC_.kd
    .uniform_work_group_size: 1
    .uses_dynamic_stack: false
    .vgpr_count:     71
    .vgpr_spill_count: 0
    .wavefront_size: 64
  - .agpr_count:     4
    .args:
      - .actual_access:  read_only
        .address_space:  global
        .offset:         0
        .size:           8
        .value_kind:     global_buffer
      - .actual_access:  read_only
        .address_space:  global
        .offset:         8
        .size:           8
        .value_kind:     global_buffer
      - .actual_access:  read_only
        .address_space:  global
        .offset:         16
        .size:           8
        .value_kind:     global_buffer
      - .offset:         24
        .size:           4
        .value_kind:     by_value
      - .offset:         28
        .size:           4
        .value_kind:     by_value
      - .actual_access:  read_only
        .address_space:  global
        .offset:         32
        .size:           8
        .value_kind:     global_buffer
      - .actual_access:  read_only
        .address_space:  global
        .offset:         40
        .size:           8
        .value_kind:     global_buffer
      - .actual_access:  read_only
        .address_space:  global
        .offset:         48
        .size:           8
        .value_kind:     global_buffer
      - .offset:         56
        .size:           4
        .value_kind:     by_value
      - .actual_access:  read_only
        .address_space:  global
        .offset:         64
        .size:           8
        .value_kind:     global_buffer
      - .offset:         72
        .size:           4
        .value_kind:     by_value
      - .offset:         76
        .size:           4
        .value_kind:     by_value
      - .offset:         80
        .size:           4
        .value_kind:     by_value
      - .actual_access:  write_only
        .address_space:  global
        .offset:         88
        .size:           8
        .value_kind:     global_buffer
      - .actual_access:  write_only
        .address_space:  global
        .offset:         96
        .size:           8
        .value_kind:     global_buffer
      - .actual_access:  write_only
        .address_space:  global
        .offset:         104
        .size:           8
        .value_kind:     global_buffer
      - .actual_access:  read_only
        .address_space:  global
        .offset:         112
        .size:           8
        .value_kind:     global_buffer
      - .offset:         120
        .size:           4
        .value_kind:     by_value
      - .address_space:  global
        .offset:         128
        .size:           8
        .value_kind:     global_buffer
      - .address_space:  global
        .offset:         136
        .size:           8
        .value_kind:     global_buffer
      - .offset:         144
        .size:           4
        .value_kind:     hidden_block_count_x
      - .offset:         148
        .size:           4
        .value_kind:     hidden_block_count_y
      - .offset:         152
        .size:           4
        .value_kind:     hidden_block_count_z
      - .offset:         156
        .size:           2
        .value_kind:     hidden_group_size_x
      - .offset:         158
        .size:           2
        .value_kind:     hidden_group_size_y
      - .offset:         160
        .size:           2
        .value_kind:     hidden_group_size_z
      - .offset:         162
        .size:           2
        .value_kind:     hidden_remainder_x
      - .offset:         164
        .size:           2
        .value_kind:     hidden_remainder_y
      - .offset:         166
        .size:           2
        .value_kind:     hidden_remainder_z
      - .offset:         184
        .size:           8
        .value_kind:     hidden_global_offset_x
      - .offset:         192
        .size:           8
        .value_kind:     hidden_global_offset_y
      - .offset:         200
        .size:           8
        .value_kind:     hidden_global_offset_z
      - .offset:         208
        .size:           2
        .value_kind:     hidden_grid_dims
    .group_segment_fixed_size: 2720
    .kernarg_segment_align: 8
    .kernarg_segment_size: 400
    .language:       OpenCL C
    .language_version:
      - 2
      - 0
    .max_flat_workgroup_size: 256
    .name:           _Z38paged_attention_ll4mi_QKV_mfma4_kernelI14__hip_bfloat16S0_LN4vllm18Fp8KVCacheDataTypeE0EhLi32ELi64ELi256ELb1ELi1EEvPKT_PKT0_S8_ifPKiSA_SA_iPKfiiiPfSD_PS3_PT2_iSC_SC_
    .private_segment_fixed_size: 0
    .sgpr_count:     44
    .sgpr_spill_count: 0
    .symbol:         _Z38paged_attention_ll4mi_QKV_mfma4_kernelI14__hip_bfloat16S0_LN4vllm18Fp8KVCacheDataTypeE0EhLi32ELi64ELi256ELb1ELi1EEvPKT_PKT0_S8_ifPKiSA_SA_iPKfiiiPfSD_PS3_PT2_iSC_SC_.kd
    .uniform_work_group_size: 1
    .uses_dynamic_stack: false
    .vgpr_count:     60
    .vgpr_spill_count: 0
    .wavefront_size: 64
  - .agpr_count:     4
    .args:
      - .actual_access:  read_only
        .address_space:  global
        .offset:         0
        .size:           8
        .value_kind:     global_buffer
      - .actual_access:  read_only
        .address_space:  global
        .offset:         8
        .size:           8
        .value_kind:     global_buffer
      - .actual_access:  read_only
        .address_space:  global
        .offset:         16
        .size:           8
        .value_kind:     global_buffer
      - .offset:         24
        .size:           4
        .value_kind:     by_value
      - .offset:         28
        .size:           4
        .value_kind:     by_value
      - .actual_access:  read_only
        .address_space:  global
        .offset:         32
        .size:           8
        .value_kind:     global_buffer
      - .actual_access:  read_only
        .address_space:  global
        .offset:         40
        .size:           8
        .value_kind:     global_buffer
      - .actual_access:  read_only
        .address_space:  global
        .offset:         48
        .size:           8
        .value_kind:     global_buffer
      - .offset:         56
        .size:           4
        .value_kind:     by_value
      - .actual_access:  read_only
        .address_space:  global
        .offset:         64
        .size:           8
        .value_kind:     global_buffer
      - .offset:         72
        .size:           4
        .value_kind:     by_value
      - .offset:         76
        .size:           4
        .value_kind:     by_value
      - .offset:         80
        .size:           4
        .value_kind:     by_value
      - .actual_access:  write_only
        .address_space:  global
        .offset:         88
        .size:           8
        .value_kind:     global_buffer
      - .actual_access:  write_only
        .address_space:  global
        .offset:         96
        .size:           8
        .value_kind:     global_buffer
      - .actual_access:  write_only
        .address_space:  global
        .offset:         104
        .size:           8
        .value_kind:     global_buffer
      - .actual_access:  read_only
        .address_space:  global
        .offset:         112
        .size:           8
        .value_kind:     global_buffer
      - .offset:         120
        .size:           4
        .value_kind:     by_value
      - .address_space:  global
        .offset:         128
        .size:           8
        .value_kind:     global_buffer
      - .address_space:  global
        .offset:         136
        .size:           8
        .value_kind:     global_buffer
      - .offset:         144
        .size:           4
        .value_kind:     hidden_block_count_x
      - .offset:         148
        .size:           4
        .value_kind:     hidden_block_count_y
      - .offset:         152
        .size:           4
        .value_kind:     hidden_block_count_z
      - .offset:         156
        .size:           2
        .value_kind:     hidden_group_size_x
      - .offset:         158
        .size:           2
        .value_kind:     hidden_group_size_y
      - .offset:         160
        .size:           2
        .value_kind:     hidden_group_size_z
      - .offset:         162
        .size:           2
        .value_kind:     hidden_remainder_x
      - .offset:         164
        .size:           2
        .value_kind:     hidden_remainder_y
      - .offset:         166
        .size:           2
        .value_kind:     hidden_remainder_z
      - .offset:         184
        .size:           8
        .value_kind:     hidden_global_offset_x
      - .offset:         192
        .size:           8
        .value_kind:     hidden_global_offset_y
      - .offset:         200
        .size:           8
        .value_kind:     hidden_global_offset_z
      - .offset:         208
        .size:           2
        .value_kind:     hidden_grid_dims
    .group_segment_fixed_size: 2720
    .kernarg_segment_align: 8
    .kernarg_segment_size: 400
    .language:       OpenCL C
    .language_version:
      - 2
      - 0
    .max_flat_workgroup_size: 256
    .name:           _Z38paged_attention_ll4mi_QKV_mfma4_kernelI14__hip_bfloat16S0_LN4vllm18Fp8KVCacheDataTypeE0EhLi32ELi64ELi256ELb1ELi2EEvPKT_PKT0_S8_ifPKiSA_SA_iPKfiiiPfSD_PS3_PT2_iSC_SC_
    .private_segment_fixed_size: 0
    .sgpr_count:     46
    .sgpr_spill_count: 0
    .symbol:         _Z38paged_attention_ll4mi_QKV_mfma4_kernelI14__hip_bfloat16S0_LN4vllm18Fp8KVCacheDataTypeE0EhLi32ELi64ELi256ELb1ELi2EEvPKT_PKT0_S8_ifPKiSA_SA_iPKfiiiPfSD_PS3_PT2_iSC_SC_.kd
    .uniform_work_group_size: 1
    .uses_dynamic_stack: false
    .vgpr_count:     60
    .vgpr_spill_count: 0
    .wavefront_size: 64
  - .agpr_count:     4
    .args:
      - .actual_access:  read_only
        .address_space:  global
        .offset:         0
        .size:           8
        .value_kind:     global_buffer
      - .actual_access:  read_only
        .address_space:  global
        .offset:         8
        .size:           8
        .value_kind:     global_buffer
      - .actual_access:  read_only
        .address_space:  global
        .offset:         16
        .size:           8
        .value_kind:     global_buffer
      - .offset:         24
        .size:           4
        .value_kind:     by_value
      - .offset:         28
        .size:           4
        .value_kind:     by_value
      - .actual_access:  read_only
        .address_space:  global
        .offset:         32
        .size:           8
        .value_kind:     global_buffer
      - .actual_access:  read_only
        .address_space:  global
        .offset:         40
        .size:           8
        .value_kind:     global_buffer
      - .actual_access:  read_only
        .address_space:  global
        .offset:         48
        .size:           8
        .value_kind:     global_buffer
      - .offset:         56
        .size:           4
        .value_kind:     by_value
      - .actual_access:  read_only
        .address_space:  global
        .offset:         64
        .size:           8
        .value_kind:     global_buffer
      - .offset:         72
        .size:           4
        .value_kind:     by_value
      - .offset:         76
        .size:           4
        .value_kind:     by_value
      - .offset:         80
        .size:           4
        .value_kind:     by_value
      - .actual_access:  write_only
        .address_space:  global
        .offset:         88
        .size:           8
        .value_kind:     global_buffer
      - .actual_access:  write_only
        .address_space:  global
        .offset:         96
        .size:           8
        .value_kind:     global_buffer
      - .actual_access:  write_only
        .address_space:  global
        .offset:         104
        .size:           8
        .value_kind:     global_buffer
      - .actual_access:  read_only
        .address_space:  global
        .offset:         112
        .size:           8
        .value_kind:     global_buffer
      - .offset:         120
        .size:           4
        .value_kind:     by_value
      - .address_space:  global
        .offset:         128
        .size:           8
        .value_kind:     global_buffer
      - .address_space:  global
        .offset:         136
        .size:           8
        .value_kind:     global_buffer
      - .offset:         144
        .size:           4
        .value_kind:     hidden_block_count_x
      - .offset:         148
        .size:           4
        .value_kind:     hidden_block_count_y
      - .offset:         152
        .size:           4
        .value_kind:     hidden_block_count_z
      - .offset:         156
        .size:           2
        .value_kind:     hidden_group_size_x
      - .offset:         158
        .size:           2
        .value_kind:     hidden_group_size_y
      - .offset:         160
        .size:           2
        .value_kind:     hidden_group_size_z
      - .offset:         162
        .size:           2
        .value_kind:     hidden_remainder_x
      - .offset:         164
        .size:           2
        .value_kind:     hidden_remainder_y
      - .offset:         166
        .size:           2
        .value_kind:     hidden_remainder_z
      - .offset:         184
        .size:           8
        .value_kind:     hidden_global_offset_x
      - .offset:         192
        .size:           8
        .value_kind:     hidden_global_offset_y
      - .offset:         200
        .size:           8
        .value_kind:     hidden_global_offset_z
      - .offset:         208
        .size:           2
        .value_kind:     hidden_grid_dims
    .group_segment_fixed_size: 2720
    .kernarg_segment_align: 8
    .kernarg_segment_size: 400
    .language:       OpenCL C
    .language_version:
      - 2
      - 0
    .max_flat_workgroup_size: 256
    .name:           _Z38paged_attention_ll4mi_QKV_mfma4_kernelI14__hip_bfloat16S0_LN4vllm18Fp8KVCacheDataTypeE0EhLi32ELi64ELi256ELb1ELi3EEvPKT_PKT0_S8_ifPKiSA_SA_iPKfiiiPfSD_PS3_PT2_iSC_SC_
    .private_segment_fixed_size: 0
    .sgpr_count:     46
    .sgpr_spill_count: 0
    .symbol:         _Z38paged_attention_ll4mi_QKV_mfma4_kernelI14__hip_bfloat16S0_LN4vllm18Fp8KVCacheDataTypeE0EhLi32ELi64ELi256ELb1ELi3EEvPKT_PKT0_S8_ifPKiSA_SA_iPKfiiiPfSD_PS3_PT2_iSC_SC_.kd
    .uniform_work_group_size: 1
    .uses_dynamic_stack: false
    .vgpr_count:     60
    .vgpr_spill_count: 0
    .wavefront_size: 64
  - .agpr_count:     4
    .args:
      - .actual_access:  read_only
        .address_space:  global
        .offset:         0
        .size:           8
        .value_kind:     global_buffer
      - .actual_access:  read_only
        .address_space:  global
        .offset:         8
        .size:           8
        .value_kind:     global_buffer
      - .actual_access:  read_only
        .address_space:  global
        .offset:         16
        .size:           8
        .value_kind:     global_buffer
      - .offset:         24
        .size:           4
        .value_kind:     by_value
      - .offset:         28
        .size:           4
        .value_kind:     by_value
      - .actual_access:  read_only
        .address_space:  global
        .offset:         32
        .size:           8
        .value_kind:     global_buffer
      - .actual_access:  read_only
        .address_space:  global
        .offset:         40
        .size:           8
        .value_kind:     global_buffer
      - .actual_access:  read_only
        .address_space:  global
        .offset:         48
        .size:           8
        .value_kind:     global_buffer
      - .offset:         56
        .size:           4
        .value_kind:     by_value
      - .actual_access:  read_only
        .address_space:  global
        .offset:         64
        .size:           8
        .value_kind:     global_buffer
      - .offset:         72
        .size:           4
        .value_kind:     by_value
      - .offset:         76
        .size:           4
        .value_kind:     by_value
      - .offset:         80
        .size:           4
        .value_kind:     by_value
      - .actual_access:  write_only
        .address_space:  global
        .offset:         88
        .size:           8
        .value_kind:     global_buffer
      - .actual_access:  write_only
        .address_space:  global
        .offset:         96
        .size:           8
        .value_kind:     global_buffer
      - .actual_access:  write_only
        .address_space:  global
        .offset:         104
        .size:           8
        .value_kind:     global_buffer
      - .actual_access:  read_only
        .address_space:  global
        .offset:         112
        .size:           8
        .value_kind:     global_buffer
      - .offset:         120
        .size:           4
        .value_kind:     by_value
      - .address_space:  global
        .offset:         128
        .size:           8
        .value_kind:     global_buffer
      - .address_space:  global
        .offset:         136
        .size:           8
        .value_kind:     global_buffer
      - .offset:         144
        .size:           4
        .value_kind:     hidden_block_count_x
      - .offset:         148
        .size:           4
        .value_kind:     hidden_block_count_y
      - .offset:         152
        .size:           4
        .value_kind:     hidden_block_count_z
      - .offset:         156
        .size:           2
        .value_kind:     hidden_group_size_x
      - .offset:         158
        .size:           2
        .value_kind:     hidden_group_size_y
      - .offset:         160
        .size:           2
        .value_kind:     hidden_group_size_z
      - .offset:         162
        .size:           2
        .value_kind:     hidden_remainder_x
      - .offset:         164
        .size:           2
        .value_kind:     hidden_remainder_y
      - .offset:         166
        .size:           2
        .value_kind:     hidden_remainder_z
      - .offset:         184
        .size:           8
        .value_kind:     hidden_global_offset_x
      - .offset:         192
        .size:           8
        .value_kind:     hidden_global_offset_y
      - .offset:         200
        .size:           8
        .value_kind:     hidden_global_offset_z
      - .offset:         208
        .size:           2
        .value_kind:     hidden_grid_dims
    .group_segment_fixed_size: 2720
    .kernarg_segment_align: 8
    .kernarg_segment_size: 400
    .language:       OpenCL C
    .language_version:
      - 2
      - 0
    .max_flat_workgroup_size: 256
    .name:           _Z38paged_attention_ll4mi_QKV_mfma4_kernelI14__hip_bfloat16S0_LN4vllm18Fp8KVCacheDataTypeE0EhLi32ELi64ELi256ELb1ELi4EEvPKT_PKT0_S8_ifPKiSA_SA_iPKfiiiPfSD_PS3_PT2_iSC_SC_
    .private_segment_fixed_size: 0
    .sgpr_count:     47
    .sgpr_spill_count: 0
    .symbol:         _Z38paged_attention_ll4mi_QKV_mfma4_kernelI14__hip_bfloat16S0_LN4vllm18Fp8KVCacheDataTypeE0EhLi32ELi64ELi256ELb1ELi4EEvPKT_PKT0_S8_ifPKiSA_SA_iPKfiiiPfSD_PS3_PT2_iSC_SC_.kd
    .uniform_work_group_size: 1
    .uses_dynamic_stack: false
    .vgpr_count:     72
    .vgpr_spill_count: 0
    .wavefront_size: 64
  - .agpr_count:     0
    .args:
      - .actual_access:  read_only
        .address_space:  global
        .offset:         0
        .size:           8
        .value_kind:     global_buffer
      - .actual_access:  read_only
        .address_space:  global
        .offset:         8
        .size:           8
        .value_kind:     global_buffer
      - .actual_access:  read_only
        .address_space:  global
        .offset:         16
        .size:           8
        .value_kind:     global_buffer
      - .offset:         24
        .size:           4
        .value_kind:     by_value
      - .offset:         28
        .size:           4
        .value_kind:     by_value
      - .actual_access:  read_only
        .address_space:  global
        .offset:         32
        .size:           8
        .value_kind:     global_buffer
      - .actual_access:  read_only
        .address_space:  global
        .offset:         40
        .size:           8
        .value_kind:     global_buffer
      - .actual_access:  read_only
        .address_space:  global
        .offset:         48
        .size:           8
        .value_kind:     global_buffer
      - .offset:         56
        .size:           4
        .value_kind:     by_value
      - .actual_access:  read_only
        .address_space:  global
        .offset:         64
        .size:           8
        .value_kind:     global_buffer
      - .offset:         72
        .size:           4
        .value_kind:     by_value
      - .offset:         76
        .size:           4
        .value_kind:     by_value
      - .offset:         80
        .size:           4
        .value_kind:     by_value
      - .actual_access:  write_only
        .address_space:  global
        .offset:         88
        .size:           8
        .value_kind:     global_buffer
      - .actual_access:  write_only
        .address_space:  global
        .offset:         96
        .size:           8
        .value_kind:     global_buffer
      - .actual_access:  write_only
        .address_space:  global
        .offset:         104
        .size:           8
        .value_kind:     global_buffer
      - .actual_access:  read_only
        .address_space:  global
        .offset:         112
        .size:           8
        .value_kind:     global_buffer
      - .offset:         120
        .size:           4
        .value_kind:     by_value
      - .address_space:  global
        .offset:         128
        .size:           8
        .value_kind:     global_buffer
      - .address_space:  global
        .offset:         136
        .size:           8
        .value_kind:     global_buffer
      - .offset:         144
        .size:           4
        .value_kind:     hidden_block_count_x
      - .offset:         148
        .size:           4
        .value_kind:     hidden_block_count_y
      - .offset:         152
        .size:           4
        .value_kind:     hidden_block_count_z
      - .offset:         156
        .size:           2
        .value_kind:     hidden_group_size_x
      - .offset:         158
        .size:           2
        .value_kind:     hidden_group_size_y
      - .offset:         160
        .size:           2
        .value_kind:     hidden_group_size_z
      - .offset:         162
        .size:           2
        .value_kind:     hidden_remainder_x
      - .offset:         164
        .size:           2
        .value_kind:     hidden_remainder_y
      - .offset:         166
        .size:           2
        .value_kind:     hidden_remainder_z
      - .offset:         184
        .size:           8
        .value_kind:     hidden_global_offset_x
      - .offset:         192
        .size:           8
        .value_kind:     hidden_global_offset_y
      - .offset:         200
        .size:           8
        .value_kind:     hidden_global_offset_z
      - .offset:         208
        .size:           2
        .value_kind:     hidden_grid_dims
    .group_segment_fixed_size: 8192
    .kernarg_segment_align: 8
    .kernarg_segment_size: 400
    .language:       OpenCL C
    .language_version:
      - 2
      - 0
    .max_flat_workgroup_size: 256
    .name:           _Z39paged_attention_ll4mi_QKV_mfma16_kernelI14__hip_bfloat16S0_LN4vllm18Fp8KVCacheDataTypeE0EhLi32ELi64ELi256ELb1ELi5EEvPKT_PKT0_S8_ifPKiSA_SA_iPKfiiiPfSD_PS3_PT2_iSC_SC_
    .private_segment_fixed_size: 0
    .sgpr_count:     54
    .sgpr_spill_count: 0
    .symbol:         _Z39paged_attention_ll4mi_QKV_mfma16_kernelI14__hip_bfloat16S0_LN4vllm18Fp8KVCacheDataTypeE0EhLi32ELi64ELi256ELb1ELi5EEvPKT_PKT0_S8_ifPKiSA_SA_iPKfiiiPfSD_PS3_PT2_iSC_SC_.kd
    .uniform_work_group_size: 1
    .uses_dynamic_stack: false
    .vgpr_count:     73
    .vgpr_spill_count: 0
    .wavefront_size: 64
  - .agpr_count:     0
    .args:
      - .actual_access:  read_only
        .address_space:  global
        .offset:         0
        .size:           8
        .value_kind:     global_buffer
      - .actual_access:  read_only
        .address_space:  global
        .offset:         8
        .size:           8
        .value_kind:     global_buffer
      - .actual_access:  read_only
        .address_space:  global
        .offset:         16
        .size:           8
        .value_kind:     global_buffer
      - .offset:         24
        .size:           4
        .value_kind:     by_value
      - .offset:         28
        .size:           4
        .value_kind:     by_value
      - .actual_access:  read_only
        .address_space:  global
        .offset:         32
        .size:           8
        .value_kind:     global_buffer
      - .actual_access:  read_only
        .address_space:  global
        .offset:         40
        .size:           8
        .value_kind:     global_buffer
      - .actual_access:  read_only
        .address_space:  global
        .offset:         48
        .size:           8
        .value_kind:     global_buffer
      - .offset:         56
        .size:           4
        .value_kind:     by_value
      - .actual_access:  read_only
        .address_space:  global
        .offset:         64
        .size:           8
        .value_kind:     global_buffer
      - .offset:         72
        .size:           4
        .value_kind:     by_value
      - .offset:         76
        .size:           4
        .value_kind:     by_value
      - .offset:         80
        .size:           4
        .value_kind:     by_value
      - .actual_access:  write_only
        .address_space:  global
        .offset:         88
        .size:           8
        .value_kind:     global_buffer
      - .actual_access:  write_only
        .address_space:  global
        .offset:         96
        .size:           8
        .value_kind:     global_buffer
      - .actual_access:  write_only
        .address_space:  global
        .offset:         104
        .size:           8
        .value_kind:     global_buffer
      - .actual_access:  read_only
        .address_space:  global
        .offset:         112
        .size:           8
        .value_kind:     global_buffer
      - .offset:         120
        .size:           4
        .value_kind:     by_value
      - .address_space:  global
        .offset:         128
        .size:           8
        .value_kind:     global_buffer
      - .address_space:  global
        .offset:         136
        .size:           8
        .value_kind:     global_buffer
      - .offset:         144
        .size:           4
        .value_kind:     hidden_block_count_x
      - .offset:         148
        .size:           4
        .value_kind:     hidden_block_count_y
      - .offset:         152
        .size:           4
        .value_kind:     hidden_block_count_z
      - .offset:         156
        .size:           2
        .value_kind:     hidden_group_size_x
      - .offset:         158
        .size:           2
        .value_kind:     hidden_group_size_y
      - .offset:         160
        .size:           2
        .value_kind:     hidden_group_size_z
      - .offset:         162
        .size:           2
        .value_kind:     hidden_remainder_x
      - .offset:         164
        .size:           2
        .value_kind:     hidden_remainder_y
      - .offset:         166
        .size:           2
        .value_kind:     hidden_remainder_z
      - .offset:         184
        .size:           8
        .value_kind:     hidden_global_offset_x
      - .offset:         192
        .size:           8
        .value_kind:     hidden_global_offset_y
      - .offset:         200
        .size:           8
        .value_kind:     hidden_global_offset_z
      - .offset:         208
        .size:           2
        .value_kind:     hidden_grid_dims
    .group_segment_fixed_size: 8192
    .kernarg_segment_align: 8
    .kernarg_segment_size: 400
    .language:       OpenCL C
    .language_version:
      - 2
      - 0
    .max_flat_workgroup_size: 256
    .name:           _Z39paged_attention_ll4mi_QKV_mfma16_kernelI14__hip_bfloat16S0_LN4vllm18Fp8KVCacheDataTypeE0EhLi32ELi64ELi256ELb1ELi6EEvPKT_PKT0_S8_ifPKiSA_SA_iPKfiiiPfSD_PS3_PT2_iSC_SC_
    .private_segment_fixed_size: 0
    .sgpr_count:     54
    .sgpr_spill_count: 0
    .symbol:         _Z39paged_attention_ll4mi_QKV_mfma16_kernelI14__hip_bfloat16S0_LN4vllm18Fp8KVCacheDataTypeE0EhLi32ELi64ELi256ELb1ELi6EEvPKT_PKT0_S8_ifPKiSA_SA_iPKfiiiPfSD_PS3_PT2_iSC_SC_.kd
    .uniform_work_group_size: 1
    .uses_dynamic_stack: false
    .vgpr_count:     73
    .vgpr_spill_count: 0
    .wavefront_size: 64
  - .agpr_count:     0
    .args:
      - .actual_access:  read_only
        .address_space:  global
        .offset:         0
        .size:           8
        .value_kind:     global_buffer
      - .actual_access:  read_only
        .address_space:  global
        .offset:         8
        .size:           8
        .value_kind:     global_buffer
      - .actual_access:  read_only
        .address_space:  global
        .offset:         16
        .size:           8
        .value_kind:     global_buffer
      - .offset:         24
        .size:           4
        .value_kind:     by_value
      - .offset:         28
        .size:           4
        .value_kind:     by_value
      - .actual_access:  read_only
        .address_space:  global
        .offset:         32
        .size:           8
        .value_kind:     global_buffer
      - .actual_access:  read_only
        .address_space:  global
        .offset:         40
        .size:           8
        .value_kind:     global_buffer
      - .actual_access:  read_only
        .address_space:  global
        .offset:         48
        .size:           8
        .value_kind:     global_buffer
      - .offset:         56
        .size:           4
        .value_kind:     by_value
      - .actual_access:  read_only
        .address_space:  global
        .offset:         64
        .size:           8
        .value_kind:     global_buffer
      - .offset:         72
        .size:           4
        .value_kind:     by_value
      - .offset:         76
        .size:           4
        .value_kind:     by_value
      - .offset:         80
        .size:           4
        .value_kind:     by_value
      - .actual_access:  write_only
        .address_space:  global
        .offset:         88
        .size:           8
        .value_kind:     global_buffer
      - .actual_access:  write_only
        .address_space:  global
        .offset:         96
        .size:           8
        .value_kind:     global_buffer
      - .actual_access:  write_only
        .address_space:  global
        .offset:         104
        .size:           8
        .value_kind:     global_buffer
      - .actual_access:  read_only
        .address_space:  global
        .offset:         112
        .size:           8
        .value_kind:     global_buffer
      - .offset:         120
        .size:           4
        .value_kind:     by_value
      - .address_space:  global
        .offset:         128
        .size:           8
        .value_kind:     global_buffer
      - .address_space:  global
        .offset:         136
        .size:           8
        .value_kind:     global_buffer
      - .offset:         144
        .size:           4
        .value_kind:     hidden_block_count_x
      - .offset:         148
        .size:           4
        .value_kind:     hidden_block_count_y
      - .offset:         152
        .size:           4
        .value_kind:     hidden_block_count_z
      - .offset:         156
        .size:           2
        .value_kind:     hidden_group_size_x
      - .offset:         158
        .size:           2
        .value_kind:     hidden_group_size_y
      - .offset:         160
        .size:           2
        .value_kind:     hidden_group_size_z
      - .offset:         162
        .size:           2
        .value_kind:     hidden_remainder_x
      - .offset:         164
        .size:           2
        .value_kind:     hidden_remainder_y
      - .offset:         166
        .size:           2
        .value_kind:     hidden_remainder_z
      - .offset:         184
        .size:           8
        .value_kind:     hidden_global_offset_x
      - .offset:         192
        .size:           8
        .value_kind:     hidden_global_offset_y
      - .offset:         200
        .size:           8
        .value_kind:     hidden_global_offset_z
      - .offset:         208
        .size:           2
        .value_kind:     hidden_grid_dims
    .group_segment_fixed_size: 8192
    .kernarg_segment_align: 8
    .kernarg_segment_size: 400
    .language:       OpenCL C
    .language_version:
      - 2
      - 0
    .max_flat_workgroup_size: 256
    .name:           _Z39paged_attention_ll4mi_QKV_mfma16_kernelI14__hip_bfloat16S0_LN4vllm18Fp8KVCacheDataTypeE0EhLi32ELi64ELi256ELb1ELi7EEvPKT_PKT0_S8_ifPKiSA_SA_iPKfiiiPfSD_PS3_PT2_iSC_SC_
    .private_segment_fixed_size: 0
    .sgpr_count:     54
    .sgpr_spill_count: 0
    .symbol:         _Z39paged_attention_ll4mi_QKV_mfma16_kernelI14__hip_bfloat16S0_LN4vllm18Fp8KVCacheDataTypeE0EhLi32ELi64ELi256ELb1ELi7EEvPKT_PKT0_S8_ifPKiSA_SA_iPKfiiiPfSD_PS3_PT2_iSC_SC_.kd
    .uniform_work_group_size: 1
    .uses_dynamic_stack: false
    .vgpr_count:     73
    .vgpr_spill_count: 0
    .wavefront_size: 64
  - .agpr_count:     0
    .args:
      - .actual_access:  read_only
        .address_space:  global
        .offset:         0
        .size:           8
        .value_kind:     global_buffer
      - .actual_access:  read_only
        .address_space:  global
        .offset:         8
        .size:           8
        .value_kind:     global_buffer
      - .actual_access:  read_only
        .address_space:  global
        .offset:         16
        .size:           8
        .value_kind:     global_buffer
      - .offset:         24
        .size:           4
        .value_kind:     by_value
      - .offset:         28
        .size:           4
        .value_kind:     by_value
      - .actual_access:  read_only
        .address_space:  global
        .offset:         32
        .size:           8
        .value_kind:     global_buffer
      - .actual_access:  read_only
        .address_space:  global
        .offset:         40
        .size:           8
        .value_kind:     global_buffer
      - .actual_access:  read_only
        .address_space:  global
        .offset:         48
        .size:           8
        .value_kind:     global_buffer
      - .offset:         56
        .size:           4
        .value_kind:     by_value
      - .actual_access:  read_only
        .address_space:  global
        .offset:         64
        .size:           8
        .value_kind:     global_buffer
      - .offset:         72
        .size:           4
        .value_kind:     by_value
      - .offset:         76
        .size:           4
        .value_kind:     by_value
      - .offset:         80
        .size:           4
        .value_kind:     by_value
      - .actual_access:  write_only
        .address_space:  global
        .offset:         88
        .size:           8
        .value_kind:     global_buffer
      - .actual_access:  write_only
        .address_space:  global
        .offset:         96
        .size:           8
        .value_kind:     global_buffer
      - .actual_access:  write_only
        .address_space:  global
        .offset:         104
        .size:           8
        .value_kind:     global_buffer
      - .actual_access:  read_only
        .address_space:  global
        .offset:         112
        .size:           8
        .value_kind:     global_buffer
      - .offset:         120
        .size:           4
        .value_kind:     by_value
      - .address_space:  global
        .offset:         128
        .size:           8
        .value_kind:     global_buffer
      - .address_space:  global
        .offset:         136
        .size:           8
        .value_kind:     global_buffer
      - .offset:         144
        .size:           4
        .value_kind:     hidden_block_count_x
      - .offset:         148
        .size:           4
        .value_kind:     hidden_block_count_y
      - .offset:         152
        .size:           4
        .value_kind:     hidden_block_count_z
      - .offset:         156
        .size:           2
        .value_kind:     hidden_group_size_x
      - .offset:         158
        .size:           2
        .value_kind:     hidden_group_size_y
      - .offset:         160
        .size:           2
        .value_kind:     hidden_group_size_z
      - .offset:         162
        .size:           2
        .value_kind:     hidden_remainder_x
      - .offset:         164
        .size:           2
        .value_kind:     hidden_remainder_y
      - .offset:         166
        .size:           2
        .value_kind:     hidden_remainder_z
      - .offset:         184
        .size:           8
        .value_kind:     hidden_global_offset_x
      - .offset:         192
        .size:           8
        .value_kind:     hidden_global_offset_y
      - .offset:         200
        .size:           8
        .value_kind:     hidden_global_offset_z
      - .offset:         208
        .size:           2
        .value_kind:     hidden_grid_dims
    .group_segment_fixed_size: 8192
    .kernarg_segment_align: 8
    .kernarg_segment_size: 400
    .language:       OpenCL C
    .language_version:
      - 2
      - 0
    .max_flat_workgroup_size: 256
    .name:           _Z39paged_attention_ll4mi_QKV_mfma16_kernelI14__hip_bfloat16S0_LN4vllm18Fp8KVCacheDataTypeE0EhLi32ELi64ELi256ELb1ELi8EEvPKT_PKT0_S8_ifPKiSA_SA_iPKfiiiPfSD_PS3_PT2_iSC_SC_
    .private_segment_fixed_size: 0
    .sgpr_count:     54
    .sgpr_spill_count: 0
    .symbol:         _Z39paged_attention_ll4mi_QKV_mfma16_kernelI14__hip_bfloat16S0_LN4vllm18Fp8KVCacheDataTypeE0EhLi32ELi64ELi256ELb1ELi8EEvPKT_PKT0_S8_ifPKiSA_SA_iPKfiiiPfSD_PS3_PT2_iSC_SC_.kd
    .uniform_work_group_size: 1
    .uses_dynamic_stack: false
    .vgpr_count:     73
    .vgpr_spill_count: 0
    .wavefront_size: 64
  - .agpr_count:     0
    .args:
      - .actual_access:  read_only
        .address_space:  global
        .offset:         0
        .size:           8
        .value_kind:     global_buffer
      - .actual_access:  read_only
        .address_space:  global
        .offset:         8
        .size:           8
        .value_kind:     global_buffer
      - .actual_access:  read_only
        .address_space:  global
        .offset:         16
        .size:           8
        .value_kind:     global_buffer
      - .offset:         24
        .size:           4
        .value_kind:     by_value
      - .offset:         28
        .size:           4
        .value_kind:     by_value
      - .actual_access:  read_only
        .address_space:  global
        .offset:         32
        .size:           8
        .value_kind:     global_buffer
      - .actual_access:  read_only
        .address_space:  global
        .offset:         40
        .size:           8
        .value_kind:     global_buffer
      - .actual_access:  read_only
        .address_space:  global
        .offset:         48
        .size:           8
        .value_kind:     global_buffer
      - .offset:         56
        .size:           4
        .value_kind:     by_value
      - .actual_access:  read_only
        .address_space:  global
        .offset:         64
        .size:           8
        .value_kind:     global_buffer
      - .offset:         72
        .size:           4
        .value_kind:     by_value
      - .offset:         76
        .size:           4
        .value_kind:     by_value
      - .offset:         80
        .size:           4
        .value_kind:     by_value
      - .actual_access:  write_only
        .address_space:  global
        .offset:         88
        .size:           8
        .value_kind:     global_buffer
      - .actual_access:  write_only
        .address_space:  global
        .offset:         96
        .size:           8
        .value_kind:     global_buffer
      - .actual_access:  write_only
        .address_space:  global
        .offset:         104
        .size:           8
        .value_kind:     global_buffer
      - .actual_access:  read_only
        .address_space:  global
        .offset:         112
        .size:           8
        .value_kind:     global_buffer
      - .offset:         120
        .size:           4
        .value_kind:     by_value
      - .address_space:  global
        .offset:         128
        .size:           8
        .value_kind:     global_buffer
      - .address_space:  global
        .offset:         136
        .size:           8
        .value_kind:     global_buffer
      - .offset:         144
        .size:           4
        .value_kind:     hidden_block_count_x
      - .offset:         148
        .size:           4
        .value_kind:     hidden_block_count_y
      - .offset:         152
        .size:           4
        .value_kind:     hidden_block_count_z
      - .offset:         156
        .size:           2
        .value_kind:     hidden_group_size_x
      - .offset:         158
        .size:           2
        .value_kind:     hidden_group_size_y
      - .offset:         160
        .size:           2
        .value_kind:     hidden_group_size_z
      - .offset:         162
        .size:           2
        .value_kind:     hidden_remainder_x
      - .offset:         164
        .size:           2
        .value_kind:     hidden_remainder_y
      - .offset:         166
        .size:           2
        .value_kind:     hidden_remainder_z
      - .offset:         184
        .size:           8
        .value_kind:     hidden_global_offset_x
      - .offset:         192
        .size:           8
        .value_kind:     hidden_global_offset_y
      - .offset:         200
        .size:           8
        .value_kind:     hidden_global_offset_z
      - .offset:         208
        .size:           2
        .value_kind:     hidden_grid_dims
    .group_segment_fixed_size: 8192
    .kernarg_segment_align: 8
    .kernarg_segment_size: 400
    .language:       OpenCL C
    .language_version:
      - 2
      - 0
    .max_flat_workgroup_size: 256
    .name:           _Z39paged_attention_ll4mi_QKV_mfma16_kernelI14__hip_bfloat16S0_LN4vllm18Fp8KVCacheDataTypeE0EhLi32ELi64ELi256ELb1ELi9EEvPKT_PKT0_S8_ifPKiSA_SA_iPKfiiiPfSD_PS3_PT2_iSC_SC_
    .private_segment_fixed_size: 0
    .sgpr_count:     54
    .sgpr_spill_count: 0
    .symbol:         _Z39paged_attention_ll4mi_QKV_mfma16_kernelI14__hip_bfloat16S0_LN4vllm18Fp8KVCacheDataTypeE0EhLi32ELi64ELi256ELb1ELi9EEvPKT_PKT0_S8_ifPKiSA_SA_iPKfiiiPfSD_PS3_PT2_iSC_SC_.kd
    .uniform_work_group_size: 1
    .uses_dynamic_stack: false
    .vgpr_count:     73
    .vgpr_spill_count: 0
    .wavefront_size: 64
  - .agpr_count:     0
    .args:
      - .actual_access:  read_only
        .address_space:  global
        .offset:         0
        .size:           8
        .value_kind:     global_buffer
      - .actual_access:  read_only
        .address_space:  global
        .offset:         8
        .size:           8
        .value_kind:     global_buffer
      - .actual_access:  read_only
        .address_space:  global
        .offset:         16
        .size:           8
        .value_kind:     global_buffer
      - .offset:         24
        .size:           4
        .value_kind:     by_value
      - .offset:         28
        .size:           4
        .value_kind:     by_value
      - .actual_access:  read_only
        .address_space:  global
        .offset:         32
        .size:           8
        .value_kind:     global_buffer
      - .actual_access:  read_only
        .address_space:  global
        .offset:         40
        .size:           8
        .value_kind:     global_buffer
      - .actual_access:  read_only
        .address_space:  global
        .offset:         48
        .size:           8
        .value_kind:     global_buffer
      - .offset:         56
        .size:           4
        .value_kind:     by_value
      - .actual_access:  read_only
        .address_space:  global
        .offset:         64
        .size:           8
        .value_kind:     global_buffer
      - .offset:         72
        .size:           4
        .value_kind:     by_value
      - .offset:         76
        .size:           4
        .value_kind:     by_value
      - .offset:         80
        .size:           4
        .value_kind:     by_value
      - .actual_access:  write_only
        .address_space:  global
        .offset:         88
        .size:           8
        .value_kind:     global_buffer
      - .actual_access:  write_only
        .address_space:  global
        .offset:         96
        .size:           8
        .value_kind:     global_buffer
      - .actual_access:  write_only
        .address_space:  global
        .offset:         104
        .size:           8
        .value_kind:     global_buffer
      - .actual_access:  read_only
        .address_space:  global
        .offset:         112
        .size:           8
        .value_kind:     global_buffer
      - .offset:         120
        .size:           4
        .value_kind:     by_value
      - .address_space:  global
        .offset:         128
        .size:           8
        .value_kind:     global_buffer
      - .address_space:  global
        .offset:         136
        .size:           8
        .value_kind:     global_buffer
      - .offset:         144
        .size:           4
        .value_kind:     hidden_block_count_x
      - .offset:         148
        .size:           4
        .value_kind:     hidden_block_count_y
      - .offset:         152
        .size:           4
        .value_kind:     hidden_block_count_z
      - .offset:         156
        .size:           2
        .value_kind:     hidden_group_size_x
      - .offset:         158
        .size:           2
        .value_kind:     hidden_group_size_y
      - .offset:         160
        .size:           2
        .value_kind:     hidden_group_size_z
      - .offset:         162
        .size:           2
        .value_kind:     hidden_remainder_x
      - .offset:         164
        .size:           2
        .value_kind:     hidden_remainder_y
      - .offset:         166
        .size:           2
        .value_kind:     hidden_remainder_z
      - .offset:         184
        .size:           8
        .value_kind:     hidden_global_offset_x
      - .offset:         192
        .size:           8
        .value_kind:     hidden_global_offset_y
      - .offset:         200
        .size:           8
        .value_kind:     hidden_global_offset_z
      - .offset:         208
        .size:           2
        .value_kind:     hidden_grid_dims
    .group_segment_fixed_size: 8192
    .kernarg_segment_align: 8
    .kernarg_segment_size: 400
    .language:       OpenCL C
    .language_version:
      - 2
      - 0
    .max_flat_workgroup_size: 256
    .name:           _Z39paged_attention_ll4mi_QKV_mfma16_kernelI14__hip_bfloat16S0_LN4vllm18Fp8KVCacheDataTypeE0EhLi32ELi64ELi256ELb1ELi10EEvPKT_PKT0_S8_ifPKiSA_SA_iPKfiiiPfSD_PS3_PT2_iSC_SC_
    .private_segment_fixed_size: 0
    .sgpr_count:     54
    .sgpr_spill_count: 0
    .symbol:         _Z39paged_attention_ll4mi_QKV_mfma16_kernelI14__hip_bfloat16S0_LN4vllm18Fp8KVCacheDataTypeE0EhLi32ELi64ELi256ELb1ELi10EEvPKT_PKT0_S8_ifPKiSA_SA_iPKfiiiPfSD_PS3_PT2_iSC_SC_.kd
    .uniform_work_group_size: 1
    .uses_dynamic_stack: false
    .vgpr_count:     73
    .vgpr_spill_count: 0
    .wavefront_size: 64
  - .agpr_count:     0
    .args:
      - .actual_access:  read_only
        .address_space:  global
        .offset:         0
        .size:           8
        .value_kind:     global_buffer
      - .actual_access:  read_only
        .address_space:  global
        .offset:         8
        .size:           8
        .value_kind:     global_buffer
      - .actual_access:  read_only
        .address_space:  global
        .offset:         16
        .size:           8
        .value_kind:     global_buffer
      - .offset:         24
        .size:           4
        .value_kind:     by_value
      - .offset:         28
        .size:           4
        .value_kind:     by_value
      - .actual_access:  read_only
        .address_space:  global
        .offset:         32
        .size:           8
        .value_kind:     global_buffer
      - .actual_access:  read_only
        .address_space:  global
        .offset:         40
        .size:           8
        .value_kind:     global_buffer
      - .actual_access:  read_only
        .address_space:  global
        .offset:         48
        .size:           8
        .value_kind:     global_buffer
      - .offset:         56
        .size:           4
        .value_kind:     by_value
      - .actual_access:  read_only
        .address_space:  global
        .offset:         64
        .size:           8
        .value_kind:     global_buffer
      - .offset:         72
        .size:           4
        .value_kind:     by_value
      - .offset:         76
        .size:           4
        .value_kind:     by_value
      - .offset:         80
        .size:           4
        .value_kind:     by_value
      - .actual_access:  write_only
        .address_space:  global
        .offset:         88
        .size:           8
        .value_kind:     global_buffer
      - .actual_access:  write_only
        .address_space:  global
        .offset:         96
        .size:           8
        .value_kind:     global_buffer
      - .actual_access:  write_only
        .address_space:  global
        .offset:         104
        .size:           8
        .value_kind:     global_buffer
      - .actual_access:  read_only
        .address_space:  global
        .offset:         112
        .size:           8
        .value_kind:     global_buffer
      - .offset:         120
        .size:           4
        .value_kind:     by_value
      - .address_space:  global
        .offset:         128
        .size:           8
        .value_kind:     global_buffer
      - .address_space:  global
        .offset:         136
        .size:           8
        .value_kind:     global_buffer
      - .offset:         144
        .size:           4
        .value_kind:     hidden_block_count_x
      - .offset:         148
        .size:           4
        .value_kind:     hidden_block_count_y
      - .offset:         152
        .size:           4
        .value_kind:     hidden_block_count_z
      - .offset:         156
        .size:           2
        .value_kind:     hidden_group_size_x
      - .offset:         158
        .size:           2
        .value_kind:     hidden_group_size_y
      - .offset:         160
        .size:           2
        .value_kind:     hidden_group_size_z
      - .offset:         162
        .size:           2
        .value_kind:     hidden_remainder_x
      - .offset:         164
        .size:           2
        .value_kind:     hidden_remainder_y
      - .offset:         166
        .size:           2
        .value_kind:     hidden_remainder_z
      - .offset:         184
        .size:           8
        .value_kind:     hidden_global_offset_x
      - .offset:         192
        .size:           8
        .value_kind:     hidden_global_offset_y
      - .offset:         200
        .size:           8
        .value_kind:     hidden_global_offset_z
      - .offset:         208
        .size:           2
        .value_kind:     hidden_grid_dims
    .group_segment_fixed_size: 8192
    .kernarg_segment_align: 8
    .kernarg_segment_size: 400
    .language:       OpenCL C
    .language_version:
      - 2
      - 0
    .max_flat_workgroup_size: 256
    .name:           _Z39paged_attention_ll4mi_QKV_mfma16_kernelI14__hip_bfloat16S0_LN4vllm18Fp8KVCacheDataTypeE0EhLi32ELi64ELi256ELb1ELi11EEvPKT_PKT0_S8_ifPKiSA_SA_iPKfiiiPfSD_PS3_PT2_iSC_SC_
    .private_segment_fixed_size: 0
    .sgpr_count:     54
    .sgpr_spill_count: 0
    .symbol:         _Z39paged_attention_ll4mi_QKV_mfma16_kernelI14__hip_bfloat16S0_LN4vllm18Fp8KVCacheDataTypeE0EhLi32ELi64ELi256ELb1ELi11EEvPKT_PKT0_S8_ifPKiSA_SA_iPKfiiiPfSD_PS3_PT2_iSC_SC_.kd
    .uniform_work_group_size: 1
    .uses_dynamic_stack: false
    .vgpr_count:     73
    .vgpr_spill_count: 0
    .wavefront_size: 64
  - .agpr_count:     0
    .args:
      - .actual_access:  read_only
        .address_space:  global
        .offset:         0
        .size:           8
        .value_kind:     global_buffer
      - .actual_access:  read_only
        .address_space:  global
        .offset:         8
        .size:           8
        .value_kind:     global_buffer
      - .actual_access:  read_only
        .address_space:  global
        .offset:         16
        .size:           8
        .value_kind:     global_buffer
      - .offset:         24
        .size:           4
        .value_kind:     by_value
      - .offset:         28
        .size:           4
        .value_kind:     by_value
      - .actual_access:  read_only
        .address_space:  global
        .offset:         32
        .size:           8
        .value_kind:     global_buffer
      - .actual_access:  read_only
        .address_space:  global
        .offset:         40
        .size:           8
        .value_kind:     global_buffer
      - .actual_access:  read_only
        .address_space:  global
        .offset:         48
        .size:           8
        .value_kind:     global_buffer
      - .offset:         56
        .size:           4
        .value_kind:     by_value
      - .actual_access:  read_only
        .address_space:  global
        .offset:         64
        .size:           8
        .value_kind:     global_buffer
      - .offset:         72
        .size:           4
        .value_kind:     by_value
      - .offset:         76
        .size:           4
        .value_kind:     by_value
      - .offset:         80
        .size:           4
        .value_kind:     by_value
      - .actual_access:  write_only
        .address_space:  global
        .offset:         88
        .size:           8
        .value_kind:     global_buffer
      - .actual_access:  write_only
        .address_space:  global
        .offset:         96
        .size:           8
        .value_kind:     global_buffer
      - .actual_access:  write_only
        .address_space:  global
        .offset:         104
        .size:           8
        .value_kind:     global_buffer
      - .actual_access:  read_only
        .address_space:  global
        .offset:         112
        .size:           8
        .value_kind:     global_buffer
      - .offset:         120
        .size:           4
        .value_kind:     by_value
      - .address_space:  global
        .offset:         128
        .size:           8
        .value_kind:     global_buffer
      - .address_space:  global
        .offset:         136
        .size:           8
        .value_kind:     global_buffer
      - .offset:         144
        .size:           4
        .value_kind:     hidden_block_count_x
      - .offset:         148
        .size:           4
        .value_kind:     hidden_block_count_y
      - .offset:         152
        .size:           4
        .value_kind:     hidden_block_count_z
      - .offset:         156
        .size:           2
        .value_kind:     hidden_group_size_x
      - .offset:         158
        .size:           2
        .value_kind:     hidden_group_size_y
      - .offset:         160
        .size:           2
        .value_kind:     hidden_group_size_z
      - .offset:         162
        .size:           2
        .value_kind:     hidden_remainder_x
      - .offset:         164
        .size:           2
        .value_kind:     hidden_remainder_y
      - .offset:         166
        .size:           2
        .value_kind:     hidden_remainder_z
      - .offset:         184
        .size:           8
        .value_kind:     hidden_global_offset_x
      - .offset:         192
        .size:           8
        .value_kind:     hidden_global_offset_y
      - .offset:         200
        .size:           8
        .value_kind:     hidden_global_offset_z
      - .offset:         208
        .size:           2
        .value_kind:     hidden_grid_dims
    .group_segment_fixed_size: 8192
    .kernarg_segment_align: 8
    .kernarg_segment_size: 400
    .language:       OpenCL C
    .language_version:
      - 2
      - 0
    .max_flat_workgroup_size: 256
    .name:           _Z39paged_attention_ll4mi_QKV_mfma16_kernelI14__hip_bfloat16S0_LN4vllm18Fp8KVCacheDataTypeE0EhLi32ELi64ELi256ELb1ELi12EEvPKT_PKT0_S8_ifPKiSA_SA_iPKfiiiPfSD_PS3_PT2_iSC_SC_
    .private_segment_fixed_size: 0
    .sgpr_count:     54
    .sgpr_spill_count: 0
    .symbol:         _Z39paged_attention_ll4mi_QKV_mfma16_kernelI14__hip_bfloat16S0_LN4vllm18Fp8KVCacheDataTypeE0EhLi32ELi64ELi256ELb1ELi12EEvPKT_PKT0_S8_ifPKiSA_SA_iPKfiiiPfSD_PS3_PT2_iSC_SC_.kd
    .uniform_work_group_size: 1
    .uses_dynamic_stack: false
    .vgpr_count:     73
    .vgpr_spill_count: 0
    .wavefront_size: 64
  - .agpr_count:     0
    .args:
      - .actual_access:  read_only
        .address_space:  global
        .offset:         0
        .size:           8
        .value_kind:     global_buffer
      - .actual_access:  read_only
        .address_space:  global
        .offset:         8
        .size:           8
        .value_kind:     global_buffer
      - .actual_access:  read_only
        .address_space:  global
        .offset:         16
        .size:           8
        .value_kind:     global_buffer
      - .offset:         24
        .size:           4
        .value_kind:     by_value
      - .offset:         28
        .size:           4
        .value_kind:     by_value
      - .actual_access:  read_only
        .address_space:  global
        .offset:         32
        .size:           8
        .value_kind:     global_buffer
      - .actual_access:  read_only
        .address_space:  global
        .offset:         40
        .size:           8
        .value_kind:     global_buffer
      - .actual_access:  read_only
        .address_space:  global
        .offset:         48
        .size:           8
        .value_kind:     global_buffer
      - .offset:         56
        .size:           4
        .value_kind:     by_value
      - .actual_access:  read_only
        .address_space:  global
        .offset:         64
        .size:           8
        .value_kind:     global_buffer
      - .offset:         72
        .size:           4
        .value_kind:     by_value
      - .offset:         76
        .size:           4
        .value_kind:     by_value
      - .offset:         80
        .size:           4
        .value_kind:     by_value
      - .actual_access:  write_only
        .address_space:  global
        .offset:         88
        .size:           8
        .value_kind:     global_buffer
      - .actual_access:  write_only
        .address_space:  global
        .offset:         96
        .size:           8
        .value_kind:     global_buffer
      - .actual_access:  write_only
        .address_space:  global
        .offset:         104
        .size:           8
        .value_kind:     global_buffer
      - .actual_access:  read_only
        .address_space:  global
        .offset:         112
        .size:           8
        .value_kind:     global_buffer
      - .offset:         120
        .size:           4
        .value_kind:     by_value
      - .address_space:  global
        .offset:         128
        .size:           8
        .value_kind:     global_buffer
      - .address_space:  global
        .offset:         136
        .size:           8
        .value_kind:     global_buffer
      - .offset:         144
        .size:           4
        .value_kind:     hidden_block_count_x
      - .offset:         148
        .size:           4
        .value_kind:     hidden_block_count_y
      - .offset:         152
        .size:           4
        .value_kind:     hidden_block_count_z
      - .offset:         156
        .size:           2
        .value_kind:     hidden_group_size_x
      - .offset:         158
        .size:           2
        .value_kind:     hidden_group_size_y
      - .offset:         160
        .size:           2
        .value_kind:     hidden_group_size_z
      - .offset:         162
        .size:           2
        .value_kind:     hidden_remainder_x
      - .offset:         164
        .size:           2
        .value_kind:     hidden_remainder_y
      - .offset:         166
        .size:           2
        .value_kind:     hidden_remainder_z
      - .offset:         184
        .size:           8
        .value_kind:     hidden_global_offset_x
      - .offset:         192
        .size:           8
        .value_kind:     hidden_global_offset_y
      - .offset:         200
        .size:           8
        .value_kind:     hidden_global_offset_z
      - .offset:         208
        .size:           2
        .value_kind:     hidden_grid_dims
    .group_segment_fixed_size: 8192
    .kernarg_segment_align: 8
    .kernarg_segment_size: 400
    .language:       OpenCL C
    .language_version:
      - 2
      - 0
    .max_flat_workgroup_size: 256
    .name:           _Z39paged_attention_ll4mi_QKV_mfma16_kernelI14__hip_bfloat16S0_LN4vllm18Fp8KVCacheDataTypeE0EhLi32ELi64ELi256ELb1ELi13EEvPKT_PKT0_S8_ifPKiSA_SA_iPKfiiiPfSD_PS3_PT2_iSC_SC_
    .private_segment_fixed_size: 0
    .sgpr_count:     54
    .sgpr_spill_count: 0
    .symbol:         _Z39paged_attention_ll4mi_QKV_mfma16_kernelI14__hip_bfloat16S0_LN4vllm18Fp8KVCacheDataTypeE0EhLi32ELi64ELi256ELb1ELi13EEvPKT_PKT0_S8_ifPKiSA_SA_iPKfiiiPfSD_PS3_PT2_iSC_SC_.kd
    .uniform_work_group_size: 1
    .uses_dynamic_stack: false
    .vgpr_count:     73
    .vgpr_spill_count: 0
    .wavefront_size: 64
  - .agpr_count:     0
    .args:
      - .actual_access:  read_only
        .address_space:  global
        .offset:         0
        .size:           8
        .value_kind:     global_buffer
      - .actual_access:  read_only
        .address_space:  global
        .offset:         8
        .size:           8
        .value_kind:     global_buffer
      - .actual_access:  read_only
        .address_space:  global
        .offset:         16
        .size:           8
        .value_kind:     global_buffer
      - .offset:         24
        .size:           4
        .value_kind:     by_value
      - .offset:         28
        .size:           4
        .value_kind:     by_value
      - .actual_access:  read_only
        .address_space:  global
        .offset:         32
        .size:           8
        .value_kind:     global_buffer
      - .actual_access:  read_only
        .address_space:  global
        .offset:         40
        .size:           8
        .value_kind:     global_buffer
      - .actual_access:  read_only
        .address_space:  global
        .offset:         48
        .size:           8
        .value_kind:     global_buffer
      - .offset:         56
        .size:           4
        .value_kind:     by_value
      - .actual_access:  read_only
        .address_space:  global
        .offset:         64
        .size:           8
        .value_kind:     global_buffer
      - .offset:         72
        .size:           4
        .value_kind:     by_value
      - .offset:         76
        .size:           4
        .value_kind:     by_value
      - .offset:         80
        .size:           4
        .value_kind:     by_value
      - .actual_access:  write_only
        .address_space:  global
        .offset:         88
        .size:           8
        .value_kind:     global_buffer
      - .actual_access:  write_only
        .address_space:  global
        .offset:         96
        .size:           8
        .value_kind:     global_buffer
      - .actual_access:  write_only
        .address_space:  global
        .offset:         104
        .size:           8
        .value_kind:     global_buffer
      - .actual_access:  read_only
        .address_space:  global
        .offset:         112
        .size:           8
        .value_kind:     global_buffer
      - .offset:         120
        .size:           4
        .value_kind:     by_value
      - .address_space:  global
        .offset:         128
        .size:           8
        .value_kind:     global_buffer
      - .address_space:  global
        .offset:         136
        .size:           8
        .value_kind:     global_buffer
      - .offset:         144
        .size:           4
        .value_kind:     hidden_block_count_x
      - .offset:         148
        .size:           4
        .value_kind:     hidden_block_count_y
      - .offset:         152
        .size:           4
        .value_kind:     hidden_block_count_z
      - .offset:         156
        .size:           2
        .value_kind:     hidden_group_size_x
      - .offset:         158
        .size:           2
        .value_kind:     hidden_group_size_y
      - .offset:         160
        .size:           2
        .value_kind:     hidden_group_size_z
      - .offset:         162
        .size:           2
        .value_kind:     hidden_remainder_x
      - .offset:         164
        .size:           2
        .value_kind:     hidden_remainder_y
      - .offset:         166
        .size:           2
        .value_kind:     hidden_remainder_z
      - .offset:         184
        .size:           8
        .value_kind:     hidden_global_offset_x
      - .offset:         192
        .size:           8
        .value_kind:     hidden_global_offset_y
      - .offset:         200
        .size:           8
        .value_kind:     hidden_global_offset_z
      - .offset:         208
        .size:           2
        .value_kind:     hidden_grid_dims
    .group_segment_fixed_size: 8192
    .kernarg_segment_align: 8
    .kernarg_segment_size: 400
    .language:       OpenCL C
    .language_version:
      - 2
      - 0
    .max_flat_workgroup_size: 256
    .name:           _Z39paged_attention_ll4mi_QKV_mfma16_kernelI14__hip_bfloat16S0_LN4vllm18Fp8KVCacheDataTypeE0EhLi32ELi64ELi256ELb1ELi14EEvPKT_PKT0_S8_ifPKiSA_SA_iPKfiiiPfSD_PS3_PT2_iSC_SC_
    .private_segment_fixed_size: 0
    .sgpr_count:     54
    .sgpr_spill_count: 0
    .symbol:         _Z39paged_attention_ll4mi_QKV_mfma16_kernelI14__hip_bfloat16S0_LN4vllm18Fp8KVCacheDataTypeE0EhLi32ELi64ELi256ELb1ELi14EEvPKT_PKT0_S8_ifPKiSA_SA_iPKfiiiPfSD_PS3_PT2_iSC_SC_.kd
    .uniform_work_group_size: 1
    .uses_dynamic_stack: false
    .vgpr_count:     73
    .vgpr_spill_count: 0
    .wavefront_size: 64
  - .agpr_count:     0
    .args:
      - .actual_access:  read_only
        .address_space:  global
        .offset:         0
        .size:           8
        .value_kind:     global_buffer
      - .actual_access:  read_only
        .address_space:  global
        .offset:         8
        .size:           8
        .value_kind:     global_buffer
      - .actual_access:  read_only
        .address_space:  global
        .offset:         16
        .size:           8
        .value_kind:     global_buffer
      - .offset:         24
        .size:           4
        .value_kind:     by_value
      - .offset:         28
        .size:           4
        .value_kind:     by_value
      - .actual_access:  read_only
        .address_space:  global
        .offset:         32
        .size:           8
        .value_kind:     global_buffer
      - .actual_access:  read_only
        .address_space:  global
        .offset:         40
        .size:           8
        .value_kind:     global_buffer
      - .actual_access:  read_only
        .address_space:  global
        .offset:         48
        .size:           8
        .value_kind:     global_buffer
      - .offset:         56
        .size:           4
        .value_kind:     by_value
      - .actual_access:  read_only
        .address_space:  global
        .offset:         64
        .size:           8
        .value_kind:     global_buffer
      - .offset:         72
        .size:           4
        .value_kind:     by_value
      - .offset:         76
        .size:           4
        .value_kind:     by_value
      - .offset:         80
        .size:           4
        .value_kind:     by_value
      - .actual_access:  write_only
        .address_space:  global
        .offset:         88
        .size:           8
        .value_kind:     global_buffer
      - .actual_access:  write_only
        .address_space:  global
        .offset:         96
        .size:           8
        .value_kind:     global_buffer
      - .actual_access:  write_only
        .address_space:  global
        .offset:         104
        .size:           8
        .value_kind:     global_buffer
      - .actual_access:  read_only
        .address_space:  global
        .offset:         112
        .size:           8
        .value_kind:     global_buffer
      - .offset:         120
        .size:           4
        .value_kind:     by_value
      - .address_space:  global
        .offset:         128
        .size:           8
        .value_kind:     global_buffer
      - .address_space:  global
        .offset:         136
        .size:           8
        .value_kind:     global_buffer
      - .offset:         144
        .size:           4
        .value_kind:     hidden_block_count_x
      - .offset:         148
        .size:           4
        .value_kind:     hidden_block_count_y
      - .offset:         152
        .size:           4
        .value_kind:     hidden_block_count_z
      - .offset:         156
        .size:           2
        .value_kind:     hidden_group_size_x
      - .offset:         158
        .size:           2
        .value_kind:     hidden_group_size_y
      - .offset:         160
        .size:           2
        .value_kind:     hidden_group_size_z
      - .offset:         162
        .size:           2
        .value_kind:     hidden_remainder_x
      - .offset:         164
        .size:           2
        .value_kind:     hidden_remainder_y
      - .offset:         166
        .size:           2
        .value_kind:     hidden_remainder_z
      - .offset:         184
        .size:           8
        .value_kind:     hidden_global_offset_x
      - .offset:         192
        .size:           8
        .value_kind:     hidden_global_offset_y
      - .offset:         200
        .size:           8
        .value_kind:     hidden_global_offset_z
      - .offset:         208
        .size:           2
        .value_kind:     hidden_grid_dims
    .group_segment_fixed_size: 8192
    .kernarg_segment_align: 8
    .kernarg_segment_size: 400
    .language:       OpenCL C
    .language_version:
      - 2
      - 0
    .max_flat_workgroup_size: 256
    .name:           _Z39paged_attention_ll4mi_QKV_mfma16_kernelI14__hip_bfloat16S0_LN4vllm18Fp8KVCacheDataTypeE0EhLi32ELi64ELi256ELb1ELi15EEvPKT_PKT0_S8_ifPKiSA_SA_iPKfiiiPfSD_PS3_PT2_iSC_SC_
    .private_segment_fixed_size: 0
    .sgpr_count:     54
    .sgpr_spill_count: 0
    .symbol:         _Z39paged_attention_ll4mi_QKV_mfma16_kernelI14__hip_bfloat16S0_LN4vllm18Fp8KVCacheDataTypeE0EhLi32ELi64ELi256ELb1ELi15EEvPKT_PKT0_S8_ifPKiSA_SA_iPKfiiiPfSD_PS3_PT2_iSC_SC_.kd
    .uniform_work_group_size: 1
    .uses_dynamic_stack: false
    .vgpr_count:     73
    .vgpr_spill_count: 0
    .wavefront_size: 64
  - .agpr_count:     0
    .args:
      - .actual_access:  read_only
        .address_space:  global
        .offset:         0
        .size:           8
        .value_kind:     global_buffer
      - .actual_access:  read_only
        .address_space:  global
        .offset:         8
        .size:           8
        .value_kind:     global_buffer
      - .actual_access:  read_only
        .address_space:  global
        .offset:         16
        .size:           8
        .value_kind:     global_buffer
      - .offset:         24
        .size:           4
        .value_kind:     by_value
      - .offset:         28
        .size:           4
        .value_kind:     by_value
      - .actual_access:  read_only
        .address_space:  global
        .offset:         32
        .size:           8
        .value_kind:     global_buffer
      - .actual_access:  read_only
        .address_space:  global
        .offset:         40
        .size:           8
        .value_kind:     global_buffer
      - .actual_access:  read_only
        .address_space:  global
        .offset:         48
        .size:           8
        .value_kind:     global_buffer
      - .offset:         56
        .size:           4
        .value_kind:     by_value
      - .actual_access:  read_only
        .address_space:  global
        .offset:         64
        .size:           8
        .value_kind:     global_buffer
      - .offset:         72
        .size:           4
        .value_kind:     by_value
      - .offset:         76
        .size:           4
        .value_kind:     by_value
      - .offset:         80
        .size:           4
        .value_kind:     by_value
      - .actual_access:  write_only
        .address_space:  global
        .offset:         88
        .size:           8
        .value_kind:     global_buffer
      - .actual_access:  write_only
        .address_space:  global
        .offset:         96
        .size:           8
        .value_kind:     global_buffer
      - .actual_access:  write_only
        .address_space:  global
        .offset:         104
        .size:           8
        .value_kind:     global_buffer
      - .actual_access:  read_only
        .address_space:  global
        .offset:         112
        .size:           8
        .value_kind:     global_buffer
      - .offset:         120
        .size:           4
        .value_kind:     by_value
      - .address_space:  global
        .offset:         128
        .size:           8
        .value_kind:     global_buffer
      - .address_space:  global
        .offset:         136
        .size:           8
        .value_kind:     global_buffer
      - .offset:         144
        .size:           4
        .value_kind:     hidden_block_count_x
      - .offset:         148
        .size:           4
        .value_kind:     hidden_block_count_y
      - .offset:         152
        .size:           4
        .value_kind:     hidden_block_count_z
      - .offset:         156
        .size:           2
        .value_kind:     hidden_group_size_x
      - .offset:         158
        .size:           2
        .value_kind:     hidden_group_size_y
      - .offset:         160
        .size:           2
        .value_kind:     hidden_group_size_z
      - .offset:         162
        .size:           2
        .value_kind:     hidden_remainder_x
      - .offset:         164
        .size:           2
        .value_kind:     hidden_remainder_y
      - .offset:         166
        .size:           2
        .value_kind:     hidden_remainder_z
      - .offset:         184
        .size:           8
        .value_kind:     hidden_global_offset_x
      - .offset:         192
        .size:           8
        .value_kind:     hidden_global_offset_y
      - .offset:         200
        .size:           8
        .value_kind:     hidden_global_offset_z
      - .offset:         208
        .size:           2
        .value_kind:     hidden_grid_dims
    .group_segment_fixed_size: 8192
    .kernarg_segment_align: 8
    .kernarg_segment_size: 400
    .language:       OpenCL C
    .language_version:
      - 2
      - 0
    .max_flat_workgroup_size: 256
    .name:           _Z39paged_attention_ll4mi_QKV_mfma16_kernelI14__hip_bfloat16S0_LN4vllm18Fp8KVCacheDataTypeE0EhLi32ELi64ELi256ELb1ELi16EEvPKT_PKT0_S8_ifPKiSA_SA_iPKfiiiPfSD_PS3_PT2_iSC_SC_
    .private_segment_fixed_size: 0
    .sgpr_count:     54
    .sgpr_spill_count: 0
    .symbol:         _Z39paged_attention_ll4mi_QKV_mfma16_kernelI14__hip_bfloat16S0_LN4vllm18Fp8KVCacheDataTypeE0EhLi32ELi64ELi256ELb1ELi16EEvPKT_PKT0_S8_ifPKiSA_SA_iPKfiiiPfSD_PS3_PT2_iSC_SC_.kd
    .uniform_work_group_size: 1
    .uses_dynamic_stack: false
    .vgpr_count:     68
    .vgpr_spill_count: 0
    .wavefront_size: 64
  - .agpr_count:     0
    .args:
      - .actual_access:  read_only
        .address_space:  global
        .offset:         0
        .size:           8
        .value_kind:     global_buffer
      - .actual_access:  read_only
        .address_space:  global
        .offset:         8
        .size:           8
        .value_kind:     global_buffer
      - .actual_access:  read_only
        .address_space:  global
        .offset:         16
        .size:           8
        .value_kind:     global_buffer
      - .offset:         24
        .size:           4
        .value_kind:     by_value
      - .offset:         28
        .size:           4
        .value_kind:     by_value
      - .actual_access:  read_only
        .address_space:  global
        .offset:         32
        .size:           8
        .value_kind:     global_buffer
      - .actual_access:  read_only
        .address_space:  global
        .offset:         40
        .size:           8
        .value_kind:     global_buffer
      - .actual_access:  read_only
        .address_space:  global
        .offset:         48
        .size:           8
        .value_kind:     global_buffer
      - .offset:         56
        .size:           4
        .value_kind:     by_value
      - .actual_access:  read_only
        .address_space:  global
        .offset:         64
        .size:           8
        .value_kind:     global_buffer
      - .offset:         72
        .size:           4
        .value_kind:     by_value
      - .offset:         76
        .size:           4
        .value_kind:     by_value
      - .offset:         80
        .size:           4
        .value_kind:     by_value
      - .actual_access:  write_only
        .address_space:  global
        .offset:         88
        .size:           8
        .value_kind:     global_buffer
      - .actual_access:  write_only
        .address_space:  global
        .offset:         96
        .size:           8
        .value_kind:     global_buffer
      - .actual_access:  write_only
        .address_space:  global
        .offset:         104
        .size:           8
        .value_kind:     global_buffer
      - .actual_access:  read_only
        .address_space:  global
        .offset:         112
        .size:           8
        .value_kind:     global_buffer
      - .offset:         120
        .size:           4
        .value_kind:     by_value
      - .address_space:  global
        .offset:         128
        .size:           8
        .value_kind:     global_buffer
      - .address_space:  global
        .offset:         136
        .size:           8
        .value_kind:     global_buffer
      - .offset:         144
        .size:           4
        .value_kind:     hidden_block_count_x
      - .offset:         148
        .size:           4
        .value_kind:     hidden_block_count_y
      - .offset:         152
        .size:           4
        .value_kind:     hidden_block_count_z
      - .offset:         156
        .size:           2
        .value_kind:     hidden_group_size_x
      - .offset:         158
        .size:           2
        .value_kind:     hidden_group_size_y
      - .offset:         160
        .size:           2
        .value_kind:     hidden_group_size_z
      - .offset:         162
        .size:           2
        .value_kind:     hidden_remainder_x
      - .offset:         164
        .size:           2
        .value_kind:     hidden_remainder_y
      - .offset:         166
        .size:           2
        .value_kind:     hidden_remainder_z
      - .offset:         184
        .size:           8
        .value_kind:     hidden_global_offset_x
      - .offset:         192
        .size:           8
        .value_kind:     hidden_global_offset_y
      - .offset:         200
        .size:           8
        .value_kind:     hidden_global_offset_z
      - .offset:         208
        .size:           2
        .value_kind:     hidden_grid_dims
    .group_segment_fixed_size: 8192
    .kernarg_segment_align: 8
    .kernarg_segment_size: 400
    .language:       OpenCL C
    .language_version:
      - 2
      - 0
    .max_flat_workgroup_size: 256
    .name:           _Z39paged_attention_ll4mi_QKV_mfma16_kernelI14__hip_bfloat16S0_LN4vllm18Fp8KVCacheDataTypeE0EhLi32ELi64ELi256ELb1ELi1EEvPKT_PKT0_S8_ifPKiSA_SA_iPKfiiiPfSD_PS3_PT2_iSC_SC_
    .private_segment_fixed_size: 0
    .sgpr_count:     54
    .sgpr_spill_count: 0
    .symbol:         _Z39paged_attention_ll4mi_QKV_mfma16_kernelI14__hip_bfloat16S0_LN4vllm18Fp8KVCacheDataTypeE0EhLi32ELi64ELi256ELb1ELi1EEvPKT_PKT0_S8_ifPKiSA_SA_iPKfiiiPfSD_PS3_PT2_iSC_SC_.kd
    .uniform_work_group_size: 1
    .uses_dynamic_stack: false
    .vgpr_count:     73
    .vgpr_spill_count: 0
    .wavefront_size: 64
  - .agpr_count:     0
    .args:
      - .actual_access:  read_only
        .address_space:  global
        .offset:         0
        .size:           8
        .value_kind:     global_buffer
      - .actual_access:  read_only
        .address_space:  global
        .offset:         8
        .size:           8
        .value_kind:     global_buffer
      - .actual_access:  read_only
        .address_space:  global
        .offset:         16
        .size:           8
        .value_kind:     global_buffer
      - .offset:         24
        .size:           4
        .value_kind:     by_value
      - .offset:         28
        .size:           4
        .value_kind:     by_value
      - .actual_access:  read_only
        .address_space:  global
        .offset:         32
        .size:           8
        .value_kind:     global_buffer
      - .actual_access:  read_only
        .address_space:  global
        .offset:         40
        .size:           8
        .value_kind:     global_buffer
      - .actual_access:  read_only
        .address_space:  global
        .offset:         48
        .size:           8
        .value_kind:     global_buffer
      - .offset:         56
        .size:           4
        .value_kind:     by_value
      - .actual_access:  read_only
        .address_space:  global
        .offset:         64
        .size:           8
        .value_kind:     global_buffer
      - .offset:         72
        .size:           4
        .value_kind:     by_value
      - .offset:         76
        .size:           4
        .value_kind:     by_value
      - .offset:         80
        .size:           4
        .value_kind:     by_value
      - .actual_access:  write_only
        .address_space:  global
        .offset:         88
        .size:           8
        .value_kind:     global_buffer
      - .actual_access:  write_only
        .address_space:  global
        .offset:         96
        .size:           8
        .value_kind:     global_buffer
      - .actual_access:  write_only
        .address_space:  global
        .offset:         104
        .size:           8
        .value_kind:     global_buffer
      - .actual_access:  read_only
        .address_space:  global
        .offset:         112
        .size:           8
        .value_kind:     global_buffer
      - .offset:         120
        .size:           4
        .value_kind:     by_value
      - .address_space:  global
        .offset:         128
        .size:           8
        .value_kind:     global_buffer
      - .address_space:  global
        .offset:         136
        .size:           8
        .value_kind:     global_buffer
      - .offset:         144
        .size:           4
        .value_kind:     hidden_block_count_x
      - .offset:         148
        .size:           4
        .value_kind:     hidden_block_count_y
      - .offset:         152
        .size:           4
        .value_kind:     hidden_block_count_z
      - .offset:         156
        .size:           2
        .value_kind:     hidden_group_size_x
      - .offset:         158
        .size:           2
        .value_kind:     hidden_group_size_y
      - .offset:         160
        .size:           2
        .value_kind:     hidden_group_size_z
      - .offset:         162
        .size:           2
        .value_kind:     hidden_remainder_x
      - .offset:         164
        .size:           2
        .value_kind:     hidden_remainder_y
      - .offset:         166
        .size:           2
        .value_kind:     hidden_remainder_z
      - .offset:         184
        .size:           8
        .value_kind:     hidden_global_offset_x
      - .offset:         192
        .size:           8
        .value_kind:     hidden_global_offset_y
      - .offset:         200
        .size:           8
        .value_kind:     hidden_global_offset_z
      - .offset:         208
        .size:           2
        .value_kind:     hidden_grid_dims
    .group_segment_fixed_size: 8192
    .kernarg_segment_align: 8
    .kernarg_segment_size: 400
    .language:       OpenCL C
    .language_version:
      - 2
      - 0
    .max_flat_workgroup_size: 256
    .name:           _Z39paged_attention_ll4mi_QKV_mfma16_kernelI14__hip_bfloat16S0_LN4vllm18Fp8KVCacheDataTypeE0EhLi32ELi64ELi256ELb1ELi2EEvPKT_PKT0_S8_ifPKiSA_SA_iPKfiiiPfSD_PS3_PT2_iSC_SC_
    .private_segment_fixed_size: 0
    .sgpr_count:     54
    .sgpr_spill_count: 0
    .symbol:         _Z39paged_attention_ll4mi_QKV_mfma16_kernelI14__hip_bfloat16S0_LN4vllm18Fp8KVCacheDataTypeE0EhLi32ELi64ELi256ELb1ELi2EEvPKT_PKT0_S8_ifPKiSA_SA_iPKfiiiPfSD_PS3_PT2_iSC_SC_.kd
    .uniform_work_group_size: 1
    .uses_dynamic_stack: false
    .vgpr_count:     73
    .vgpr_spill_count: 0
    .wavefront_size: 64
  - .agpr_count:     0
    .args:
      - .actual_access:  read_only
        .address_space:  global
        .offset:         0
        .size:           8
        .value_kind:     global_buffer
      - .actual_access:  read_only
        .address_space:  global
        .offset:         8
        .size:           8
        .value_kind:     global_buffer
      - .actual_access:  read_only
        .address_space:  global
        .offset:         16
        .size:           8
        .value_kind:     global_buffer
      - .offset:         24
        .size:           4
        .value_kind:     by_value
      - .offset:         28
        .size:           4
        .value_kind:     by_value
      - .actual_access:  read_only
        .address_space:  global
        .offset:         32
        .size:           8
        .value_kind:     global_buffer
      - .actual_access:  read_only
        .address_space:  global
        .offset:         40
        .size:           8
        .value_kind:     global_buffer
      - .actual_access:  read_only
        .address_space:  global
        .offset:         48
        .size:           8
        .value_kind:     global_buffer
      - .offset:         56
        .size:           4
        .value_kind:     by_value
      - .actual_access:  read_only
        .address_space:  global
        .offset:         64
        .size:           8
        .value_kind:     global_buffer
      - .offset:         72
        .size:           4
        .value_kind:     by_value
      - .offset:         76
        .size:           4
        .value_kind:     by_value
      - .offset:         80
        .size:           4
        .value_kind:     by_value
      - .actual_access:  write_only
        .address_space:  global
        .offset:         88
        .size:           8
        .value_kind:     global_buffer
      - .actual_access:  write_only
        .address_space:  global
        .offset:         96
        .size:           8
        .value_kind:     global_buffer
      - .actual_access:  write_only
        .address_space:  global
        .offset:         104
        .size:           8
        .value_kind:     global_buffer
      - .actual_access:  read_only
        .address_space:  global
        .offset:         112
        .size:           8
        .value_kind:     global_buffer
      - .offset:         120
        .size:           4
        .value_kind:     by_value
      - .address_space:  global
        .offset:         128
        .size:           8
        .value_kind:     global_buffer
      - .address_space:  global
        .offset:         136
        .size:           8
        .value_kind:     global_buffer
      - .offset:         144
        .size:           4
        .value_kind:     hidden_block_count_x
      - .offset:         148
        .size:           4
        .value_kind:     hidden_block_count_y
      - .offset:         152
        .size:           4
        .value_kind:     hidden_block_count_z
      - .offset:         156
        .size:           2
        .value_kind:     hidden_group_size_x
      - .offset:         158
        .size:           2
        .value_kind:     hidden_group_size_y
      - .offset:         160
        .size:           2
        .value_kind:     hidden_group_size_z
      - .offset:         162
        .size:           2
        .value_kind:     hidden_remainder_x
      - .offset:         164
        .size:           2
        .value_kind:     hidden_remainder_y
      - .offset:         166
        .size:           2
        .value_kind:     hidden_remainder_z
      - .offset:         184
        .size:           8
        .value_kind:     hidden_global_offset_x
      - .offset:         192
        .size:           8
        .value_kind:     hidden_global_offset_y
      - .offset:         200
        .size:           8
        .value_kind:     hidden_global_offset_z
      - .offset:         208
        .size:           2
        .value_kind:     hidden_grid_dims
    .group_segment_fixed_size: 8192
    .kernarg_segment_align: 8
    .kernarg_segment_size: 400
    .language:       OpenCL C
    .language_version:
      - 2
      - 0
    .max_flat_workgroup_size: 256
    .name:           _Z39paged_attention_ll4mi_QKV_mfma16_kernelI14__hip_bfloat16S0_LN4vllm18Fp8KVCacheDataTypeE0EhLi32ELi64ELi256ELb1ELi3EEvPKT_PKT0_S8_ifPKiSA_SA_iPKfiiiPfSD_PS3_PT2_iSC_SC_
    .private_segment_fixed_size: 0
    .sgpr_count:     54
    .sgpr_spill_count: 0
    .symbol:         _Z39paged_attention_ll4mi_QKV_mfma16_kernelI14__hip_bfloat16S0_LN4vllm18Fp8KVCacheDataTypeE0EhLi32ELi64ELi256ELb1ELi3EEvPKT_PKT0_S8_ifPKiSA_SA_iPKfiiiPfSD_PS3_PT2_iSC_SC_.kd
    .uniform_work_group_size: 1
    .uses_dynamic_stack: false
    .vgpr_count:     74
    .vgpr_spill_count: 0
    .wavefront_size: 64
  - .agpr_count:     0
    .args:
      - .actual_access:  read_only
        .address_space:  global
        .offset:         0
        .size:           8
        .value_kind:     global_buffer
      - .actual_access:  read_only
        .address_space:  global
        .offset:         8
        .size:           8
        .value_kind:     global_buffer
      - .actual_access:  read_only
        .address_space:  global
        .offset:         16
        .size:           8
        .value_kind:     global_buffer
      - .offset:         24
        .size:           4
        .value_kind:     by_value
      - .offset:         28
        .size:           4
        .value_kind:     by_value
      - .actual_access:  read_only
        .address_space:  global
        .offset:         32
        .size:           8
        .value_kind:     global_buffer
      - .actual_access:  read_only
        .address_space:  global
        .offset:         40
        .size:           8
        .value_kind:     global_buffer
      - .actual_access:  read_only
        .address_space:  global
        .offset:         48
        .size:           8
        .value_kind:     global_buffer
      - .offset:         56
        .size:           4
        .value_kind:     by_value
      - .actual_access:  read_only
        .address_space:  global
        .offset:         64
        .size:           8
        .value_kind:     global_buffer
      - .offset:         72
        .size:           4
        .value_kind:     by_value
      - .offset:         76
        .size:           4
        .value_kind:     by_value
      - .offset:         80
        .size:           4
        .value_kind:     by_value
      - .actual_access:  write_only
        .address_space:  global
        .offset:         88
        .size:           8
        .value_kind:     global_buffer
      - .actual_access:  write_only
        .address_space:  global
        .offset:         96
        .size:           8
        .value_kind:     global_buffer
      - .actual_access:  write_only
        .address_space:  global
        .offset:         104
        .size:           8
        .value_kind:     global_buffer
      - .actual_access:  read_only
        .address_space:  global
        .offset:         112
        .size:           8
        .value_kind:     global_buffer
      - .offset:         120
        .size:           4
        .value_kind:     by_value
      - .address_space:  global
        .offset:         128
        .size:           8
        .value_kind:     global_buffer
      - .address_space:  global
        .offset:         136
        .size:           8
        .value_kind:     global_buffer
      - .offset:         144
        .size:           4
        .value_kind:     hidden_block_count_x
      - .offset:         148
        .size:           4
        .value_kind:     hidden_block_count_y
      - .offset:         152
        .size:           4
        .value_kind:     hidden_block_count_z
      - .offset:         156
        .size:           2
        .value_kind:     hidden_group_size_x
      - .offset:         158
        .size:           2
        .value_kind:     hidden_group_size_y
      - .offset:         160
        .size:           2
        .value_kind:     hidden_group_size_z
      - .offset:         162
        .size:           2
        .value_kind:     hidden_remainder_x
      - .offset:         164
        .size:           2
        .value_kind:     hidden_remainder_y
      - .offset:         166
        .size:           2
        .value_kind:     hidden_remainder_z
      - .offset:         184
        .size:           8
        .value_kind:     hidden_global_offset_x
      - .offset:         192
        .size:           8
        .value_kind:     hidden_global_offset_y
      - .offset:         200
        .size:           8
        .value_kind:     hidden_global_offset_z
      - .offset:         208
        .size:           2
        .value_kind:     hidden_grid_dims
    .group_segment_fixed_size: 8192
    .kernarg_segment_align: 8
    .kernarg_segment_size: 400
    .language:       OpenCL C
    .language_version:
      - 2
      - 0
    .max_flat_workgroup_size: 256
    .name:           _Z39paged_attention_ll4mi_QKV_mfma16_kernelI14__hip_bfloat16S0_LN4vllm18Fp8KVCacheDataTypeE0EhLi32ELi64ELi256ELb1ELi4EEvPKT_PKT0_S8_ifPKiSA_SA_iPKfiiiPfSD_PS3_PT2_iSC_SC_
    .private_segment_fixed_size: 0
    .sgpr_count:     52
    .sgpr_spill_count: 0
    .symbol:         _Z39paged_attention_ll4mi_QKV_mfma16_kernelI14__hip_bfloat16S0_LN4vllm18Fp8KVCacheDataTypeE0EhLi32ELi64ELi256ELb1ELi4EEvPKT_PKT0_S8_ifPKiSA_SA_iPKfiiiPfSD_PS3_PT2_iSC_SC_.kd
    .uniform_work_group_size: 1
    .uses_dynamic_stack: false
    .vgpr_count:     75
    .vgpr_spill_count: 0
    .wavefront_size: 64
  - .agpr_count:     4
    .args:
      - .actual_access:  read_only
        .address_space:  global
        .offset:         0
        .size:           8
        .value_kind:     global_buffer
      - .actual_access:  read_only
        .address_space:  global
        .offset:         8
        .size:           8
        .value_kind:     global_buffer
      - .actual_access:  read_only
        .address_space:  global
        .offset:         16
        .size:           8
        .value_kind:     global_buffer
      - .offset:         24
        .size:           4
        .value_kind:     by_value
      - .offset:         28
        .size:           4
        .value_kind:     by_value
      - .actual_access:  read_only
        .address_space:  global
        .offset:         32
        .size:           8
        .value_kind:     global_buffer
      - .actual_access:  read_only
        .address_space:  global
        .offset:         40
        .size:           8
        .value_kind:     global_buffer
      - .actual_access:  read_only
        .address_space:  global
        .offset:         48
        .size:           8
        .value_kind:     global_buffer
      - .offset:         56
        .size:           4
        .value_kind:     by_value
      - .actual_access:  read_only
        .address_space:  global
        .offset:         64
        .size:           8
        .value_kind:     global_buffer
      - .offset:         72
        .size:           4
        .value_kind:     by_value
      - .offset:         76
        .size:           4
        .value_kind:     by_value
      - .offset:         80
        .size:           4
        .value_kind:     by_value
      - .actual_access:  write_only
        .address_space:  global
        .offset:         88
        .size:           8
        .value_kind:     global_buffer
      - .actual_access:  write_only
        .address_space:  global
        .offset:         96
        .size:           8
        .value_kind:     global_buffer
      - .actual_access:  write_only
        .address_space:  global
        .offset:         104
        .size:           8
        .value_kind:     global_buffer
      - .actual_access:  read_only
        .address_space:  global
        .offset:         112
        .size:           8
        .value_kind:     global_buffer
      - .offset:         120
        .size:           4
        .value_kind:     by_value
      - .address_space:  global
        .offset:         128
        .size:           8
        .value_kind:     global_buffer
      - .address_space:  global
        .offset:         136
        .size:           8
        .value_kind:     global_buffer
      - .offset:         144
        .size:           4
        .value_kind:     hidden_block_count_x
      - .offset:         148
        .size:           4
        .value_kind:     hidden_block_count_y
      - .offset:         152
        .size:           4
        .value_kind:     hidden_block_count_z
      - .offset:         156
        .size:           2
        .value_kind:     hidden_group_size_x
      - .offset:         158
        .size:           2
        .value_kind:     hidden_group_size_y
      - .offset:         160
        .size:           2
        .value_kind:     hidden_group_size_z
      - .offset:         162
        .size:           2
        .value_kind:     hidden_remainder_x
      - .offset:         164
        .size:           2
        .value_kind:     hidden_remainder_y
      - .offset:         166
        .size:           2
        .value_kind:     hidden_remainder_z
      - .offset:         184
        .size:           8
        .value_kind:     hidden_global_offset_x
      - .offset:         192
        .size:           8
        .value_kind:     hidden_global_offset_y
      - .offset:         200
        .size:           8
        .value_kind:     hidden_global_offset_z
      - .offset:         208
        .size:           2
        .value_kind:     hidden_grid_dims
    .group_segment_fixed_size: 2720
    .kernarg_segment_align: 8
    .kernarg_segment_size: 400
    .language:       OpenCL C
    .language_version:
      - 2
      - 0
    .max_flat_workgroup_size: 256
    .name:           _Z38paged_attention_ll4mi_QKV_mfma4_kernelI14__hip_bfloat16S0_LN4vllm18Fp8KVCacheDataTypeE0EhLi32ELi64ELi256ELb0ELi1EEvPKT_PKT0_S8_ifPKiSA_SA_iPKfiiiPfSD_PS3_PT2_iSC_SC_
    .private_segment_fixed_size: 0
    .sgpr_count:     44
    .sgpr_spill_count: 0
    .symbol:         _Z38paged_attention_ll4mi_QKV_mfma4_kernelI14__hip_bfloat16S0_LN4vllm18Fp8KVCacheDataTypeE0EhLi32ELi64ELi256ELb0ELi1EEvPKT_PKT0_S8_ifPKiSA_SA_iPKfiiiPfSD_PS3_PT2_iSC_SC_.kd
    .uniform_work_group_size: 1
    .uses_dynamic_stack: false
    .vgpr_count:     64
    .vgpr_spill_count: 0
    .wavefront_size: 64
  - .agpr_count:     4
    .args:
      - .actual_access:  read_only
        .address_space:  global
        .offset:         0
        .size:           8
        .value_kind:     global_buffer
      - .actual_access:  read_only
        .address_space:  global
        .offset:         8
        .size:           8
        .value_kind:     global_buffer
      - .actual_access:  read_only
        .address_space:  global
        .offset:         16
        .size:           8
        .value_kind:     global_buffer
      - .offset:         24
        .size:           4
        .value_kind:     by_value
      - .offset:         28
        .size:           4
        .value_kind:     by_value
      - .actual_access:  read_only
        .address_space:  global
        .offset:         32
        .size:           8
        .value_kind:     global_buffer
      - .actual_access:  read_only
        .address_space:  global
        .offset:         40
        .size:           8
        .value_kind:     global_buffer
      - .actual_access:  read_only
        .address_space:  global
        .offset:         48
        .size:           8
        .value_kind:     global_buffer
      - .offset:         56
        .size:           4
        .value_kind:     by_value
      - .actual_access:  read_only
        .address_space:  global
        .offset:         64
        .size:           8
        .value_kind:     global_buffer
      - .offset:         72
        .size:           4
        .value_kind:     by_value
      - .offset:         76
        .size:           4
        .value_kind:     by_value
      - .offset:         80
        .size:           4
        .value_kind:     by_value
      - .actual_access:  write_only
        .address_space:  global
        .offset:         88
        .size:           8
        .value_kind:     global_buffer
      - .actual_access:  write_only
        .address_space:  global
        .offset:         96
        .size:           8
        .value_kind:     global_buffer
      - .actual_access:  write_only
        .address_space:  global
        .offset:         104
        .size:           8
        .value_kind:     global_buffer
      - .actual_access:  read_only
        .address_space:  global
        .offset:         112
        .size:           8
        .value_kind:     global_buffer
      - .offset:         120
        .size:           4
        .value_kind:     by_value
      - .address_space:  global
        .offset:         128
        .size:           8
        .value_kind:     global_buffer
      - .address_space:  global
        .offset:         136
        .size:           8
        .value_kind:     global_buffer
      - .offset:         144
        .size:           4
        .value_kind:     hidden_block_count_x
      - .offset:         148
        .size:           4
        .value_kind:     hidden_block_count_y
      - .offset:         152
        .size:           4
        .value_kind:     hidden_block_count_z
      - .offset:         156
        .size:           2
        .value_kind:     hidden_group_size_x
      - .offset:         158
        .size:           2
        .value_kind:     hidden_group_size_y
      - .offset:         160
        .size:           2
        .value_kind:     hidden_group_size_z
      - .offset:         162
        .size:           2
        .value_kind:     hidden_remainder_x
      - .offset:         164
        .size:           2
        .value_kind:     hidden_remainder_y
      - .offset:         166
        .size:           2
        .value_kind:     hidden_remainder_z
      - .offset:         184
        .size:           8
        .value_kind:     hidden_global_offset_x
      - .offset:         192
        .size:           8
        .value_kind:     hidden_global_offset_y
      - .offset:         200
        .size:           8
        .value_kind:     hidden_global_offset_z
      - .offset:         208
        .size:           2
        .value_kind:     hidden_grid_dims
    .group_segment_fixed_size: 2720
    .kernarg_segment_align: 8
    .kernarg_segment_size: 400
    .language:       OpenCL C
    .language_version:
      - 2
      - 0
    .max_flat_workgroup_size: 256
    .name:           _Z38paged_attention_ll4mi_QKV_mfma4_kernelI14__hip_bfloat16S0_LN4vllm18Fp8KVCacheDataTypeE0EhLi32ELi64ELi256ELb0ELi2EEvPKT_PKT0_S8_ifPKiSA_SA_iPKfiiiPfSD_PS3_PT2_iSC_SC_
    .private_segment_fixed_size: 0
    .sgpr_count:     44
    .sgpr_spill_count: 0
    .symbol:         _Z38paged_attention_ll4mi_QKV_mfma4_kernelI14__hip_bfloat16S0_LN4vllm18Fp8KVCacheDataTypeE0EhLi32ELi64ELi256ELb0ELi2EEvPKT_PKT0_S8_ifPKiSA_SA_iPKfiiiPfSD_PS3_PT2_iSC_SC_.kd
    .uniform_work_group_size: 1
    .uses_dynamic_stack: false
    .vgpr_count:     64
    .vgpr_spill_count: 0
    .wavefront_size: 64
  - .agpr_count:     4
    .args:
      - .actual_access:  read_only
        .address_space:  global
        .offset:         0
        .size:           8
        .value_kind:     global_buffer
      - .actual_access:  read_only
        .address_space:  global
        .offset:         8
        .size:           8
        .value_kind:     global_buffer
      - .actual_access:  read_only
        .address_space:  global
        .offset:         16
        .size:           8
        .value_kind:     global_buffer
      - .offset:         24
        .size:           4
        .value_kind:     by_value
      - .offset:         28
        .size:           4
        .value_kind:     by_value
      - .actual_access:  read_only
        .address_space:  global
        .offset:         32
        .size:           8
        .value_kind:     global_buffer
      - .actual_access:  read_only
        .address_space:  global
        .offset:         40
        .size:           8
        .value_kind:     global_buffer
      - .actual_access:  read_only
        .address_space:  global
        .offset:         48
        .size:           8
        .value_kind:     global_buffer
      - .offset:         56
        .size:           4
        .value_kind:     by_value
      - .actual_access:  read_only
        .address_space:  global
        .offset:         64
        .size:           8
        .value_kind:     global_buffer
      - .offset:         72
        .size:           4
        .value_kind:     by_value
      - .offset:         76
        .size:           4
        .value_kind:     by_value
      - .offset:         80
        .size:           4
        .value_kind:     by_value
      - .actual_access:  write_only
        .address_space:  global
        .offset:         88
        .size:           8
        .value_kind:     global_buffer
      - .actual_access:  write_only
        .address_space:  global
        .offset:         96
        .size:           8
        .value_kind:     global_buffer
      - .actual_access:  write_only
        .address_space:  global
        .offset:         104
        .size:           8
        .value_kind:     global_buffer
      - .actual_access:  read_only
        .address_space:  global
        .offset:         112
        .size:           8
        .value_kind:     global_buffer
      - .offset:         120
        .size:           4
        .value_kind:     by_value
      - .address_space:  global
        .offset:         128
        .size:           8
        .value_kind:     global_buffer
      - .address_space:  global
        .offset:         136
        .size:           8
        .value_kind:     global_buffer
      - .offset:         144
        .size:           4
        .value_kind:     hidden_block_count_x
      - .offset:         148
        .size:           4
        .value_kind:     hidden_block_count_y
      - .offset:         152
        .size:           4
        .value_kind:     hidden_block_count_z
      - .offset:         156
        .size:           2
        .value_kind:     hidden_group_size_x
      - .offset:         158
        .size:           2
        .value_kind:     hidden_group_size_y
      - .offset:         160
        .size:           2
        .value_kind:     hidden_group_size_z
      - .offset:         162
        .size:           2
        .value_kind:     hidden_remainder_x
      - .offset:         164
        .size:           2
        .value_kind:     hidden_remainder_y
      - .offset:         166
        .size:           2
        .value_kind:     hidden_remainder_z
      - .offset:         184
        .size:           8
        .value_kind:     hidden_global_offset_x
      - .offset:         192
        .size:           8
        .value_kind:     hidden_global_offset_y
      - .offset:         200
        .size:           8
        .value_kind:     hidden_global_offset_z
      - .offset:         208
        .size:           2
        .value_kind:     hidden_grid_dims
    .group_segment_fixed_size: 2720
    .kernarg_segment_align: 8
    .kernarg_segment_size: 400
    .language:       OpenCL C
    .language_version:
      - 2
      - 0
    .max_flat_workgroup_size: 256
    .name:           _Z38paged_attention_ll4mi_QKV_mfma4_kernelI14__hip_bfloat16S0_LN4vllm18Fp8KVCacheDataTypeE0EhLi32ELi64ELi256ELb0ELi3EEvPKT_PKT0_S8_ifPKiSA_SA_iPKfiiiPfSD_PS3_PT2_iSC_SC_
    .private_segment_fixed_size: 0
    .sgpr_count:     44
    .sgpr_spill_count: 0
    .symbol:         _Z38paged_attention_ll4mi_QKV_mfma4_kernelI14__hip_bfloat16S0_LN4vllm18Fp8KVCacheDataTypeE0EhLi32ELi64ELi256ELb0ELi3EEvPKT_PKT0_S8_ifPKiSA_SA_iPKfiiiPfSD_PS3_PT2_iSC_SC_.kd
    .uniform_work_group_size: 1
    .uses_dynamic_stack: false
    .vgpr_count:     64
    .vgpr_spill_count: 0
    .wavefront_size: 64
  - .agpr_count:     4
    .args:
      - .actual_access:  read_only
        .address_space:  global
        .offset:         0
        .size:           8
        .value_kind:     global_buffer
      - .actual_access:  read_only
        .address_space:  global
        .offset:         8
        .size:           8
        .value_kind:     global_buffer
      - .actual_access:  read_only
        .address_space:  global
        .offset:         16
        .size:           8
        .value_kind:     global_buffer
      - .offset:         24
        .size:           4
        .value_kind:     by_value
      - .offset:         28
        .size:           4
        .value_kind:     by_value
      - .actual_access:  read_only
        .address_space:  global
        .offset:         32
        .size:           8
        .value_kind:     global_buffer
      - .actual_access:  read_only
        .address_space:  global
        .offset:         40
        .size:           8
        .value_kind:     global_buffer
      - .actual_access:  read_only
        .address_space:  global
        .offset:         48
        .size:           8
        .value_kind:     global_buffer
      - .offset:         56
        .size:           4
        .value_kind:     by_value
      - .actual_access:  read_only
        .address_space:  global
        .offset:         64
        .size:           8
        .value_kind:     global_buffer
      - .offset:         72
        .size:           4
        .value_kind:     by_value
      - .offset:         76
        .size:           4
        .value_kind:     by_value
      - .offset:         80
        .size:           4
        .value_kind:     by_value
      - .actual_access:  write_only
        .address_space:  global
        .offset:         88
        .size:           8
        .value_kind:     global_buffer
      - .actual_access:  write_only
        .address_space:  global
        .offset:         96
        .size:           8
        .value_kind:     global_buffer
      - .actual_access:  write_only
        .address_space:  global
        .offset:         104
        .size:           8
        .value_kind:     global_buffer
      - .actual_access:  read_only
        .address_space:  global
        .offset:         112
        .size:           8
        .value_kind:     global_buffer
      - .offset:         120
        .size:           4
        .value_kind:     by_value
      - .address_space:  global
        .offset:         128
        .size:           8
        .value_kind:     global_buffer
      - .address_space:  global
        .offset:         136
        .size:           8
        .value_kind:     global_buffer
      - .offset:         144
        .size:           4
        .value_kind:     hidden_block_count_x
      - .offset:         148
        .size:           4
        .value_kind:     hidden_block_count_y
      - .offset:         152
        .size:           4
        .value_kind:     hidden_block_count_z
      - .offset:         156
        .size:           2
        .value_kind:     hidden_group_size_x
      - .offset:         158
        .size:           2
        .value_kind:     hidden_group_size_y
      - .offset:         160
        .size:           2
        .value_kind:     hidden_group_size_z
      - .offset:         162
        .size:           2
        .value_kind:     hidden_remainder_x
      - .offset:         164
        .size:           2
        .value_kind:     hidden_remainder_y
      - .offset:         166
        .size:           2
        .value_kind:     hidden_remainder_z
      - .offset:         184
        .size:           8
        .value_kind:     hidden_global_offset_x
      - .offset:         192
        .size:           8
        .value_kind:     hidden_global_offset_y
      - .offset:         200
        .size:           8
        .value_kind:     hidden_global_offset_z
      - .offset:         208
        .size:           2
        .value_kind:     hidden_grid_dims
    .group_segment_fixed_size: 2720
    .kernarg_segment_align: 8
    .kernarg_segment_size: 400
    .language:       OpenCL C
    .language_version:
      - 2
      - 0
    .max_flat_workgroup_size: 256
    .name:           _Z38paged_attention_ll4mi_QKV_mfma4_kernelI14__hip_bfloat16S0_LN4vllm18Fp8KVCacheDataTypeE0EhLi32ELi64ELi256ELb0ELi4EEvPKT_PKT0_S8_ifPKiSA_SA_iPKfiiiPfSD_PS3_PT2_iSC_SC_
    .private_segment_fixed_size: 0
    .sgpr_count:     44
    .sgpr_spill_count: 0
    .symbol:         _Z38paged_attention_ll4mi_QKV_mfma4_kernelI14__hip_bfloat16S0_LN4vllm18Fp8KVCacheDataTypeE0EhLi32ELi64ELi256ELb0ELi4EEvPKT_PKT0_S8_ifPKiSA_SA_iPKfiiiPfSD_PS3_PT2_iSC_SC_.kd
    .uniform_work_group_size: 1
    .uses_dynamic_stack: false
    .vgpr_count:     64
    .vgpr_spill_count: 0
    .wavefront_size: 64
  - .agpr_count:     0
    .args:
      - .actual_access:  read_only
        .address_space:  global
        .offset:         0
        .size:           8
        .value_kind:     global_buffer
      - .actual_access:  read_only
        .address_space:  global
        .offset:         8
        .size:           8
        .value_kind:     global_buffer
      - .actual_access:  read_only
        .address_space:  global
        .offset:         16
        .size:           8
        .value_kind:     global_buffer
      - .offset:         24
        .size:           4
        .value_kind:     by_value
      - .offset:         28
        .size:           4
        .value_kind:     by_value
      - .actual_access:  read_only
        .address_space:  global
        .offset:         32
        .size:           8
        .value_kind:     global_buffer
      - .actual_access:  read_only
        .address_space:  global
        .offset:         40
        .size:           8
        .value_kind:     global_buffer
      - .actual_access:  read_only
        .address_space:  global
        .offset:         48
        .size:           8
        .value_kind:     global_buffer
      - .offset:         56
        .size:           4
        .value_kind:     by_value
      - .actual_access:  read_only
        .address_space:  global
        .offset:         64
        .size:           8
        .value_kind:     global_buffer
      - .offset:         72
        .size:           4
        .value_kind:     by_value
      - .offset:         76
        .size:           4
        .value_kind:     by_value
      - .offset:         80
        .size:           4
        .value_kind:     by_value
      - .actual_access:  write_only
        .address_space:  global
        .offset:         88
        .size:           8
        .value_kind:     global_buffer
      - .actual_access:  write_only
        .address_space:  global
        .offset:         96
        .size:           8
        .value_kind:     global_buffer
      - .actual_access:  write_only
        .address_space:  global
        .offset:         104
        .size:           8
        .value_kind:     global_buffer
      - .actual_access:  read_only
        .address_space:  global
        .offset:         112
        .size:           8
        .value_kind:     global_buffer
      - .offset:         120
        .size:           4
        .value_kind:     by_value
      - .address_space:  global
        .offset:         128
        .size:           8
        .value_kind:     global_buffer
      - .address_space:  global
        .offset:         136
        .size:           8
        .value_kind:     global_buffer
      - .offset:         144
        .size:           4
        .value_kind:     hidden_block_count_x
      - .offset:         148
        .size:           4
        .value_kind:     hidden_block_count_y
      - .offset:         152
        .size:           4
        .value_kind:     hidden_block_count_z
      - .offset:         156
        .size:           2
        .value_kind:     hidden_group_size_x
      - .offset:         158
        .size:           2
        .value_kind:     hidden_group_size_y
      - .offset:         160
        .size:           2
        .value_kind:     hidden_group_size_z
      - .offset:         162
        .size:           2
        .value_kind:     hidden_remainder_x
      - .offset:         164
        .size:           2
        .value_kind:     hidden_remainder_y
      - .offset:         166
        .size:           2
        .value_kind:     hidden_remainder_z
      - .offset:         184
        .size:           8
        .value_kind:     hidden_global_offset_x
      - .offset:         192
        .size:           8
        .value_kind:     hidden_global_offset_y
      - .offset:         200
        .size:           8
        .value_kind:     hidden_global_offset_z
      - .offset:         208
        .size:           2
        .value_kind:     hidden_grid_dims
    .group_segment_fixed_size: 8192
    .kernarg_segment_align: 8
    .kernarg_segment_size: 400
    .language:       OpenCL C
    .language_version:
      - 2
      - 0
    .max_flat_workgroup_size: 256
    .name:           _Z39paged_attention_ll4mi_QKV_mfma16_kernelI14__hip_bfloat16S0_LN4vllm18Fp8KVCacheDataTypeE0EhLi32ELi64ELi256ELb0ELi5EEvPKT_PKT0_S8_ifPKiSA_SA_iPKfiiiPfSD_PS3_PT2_iSC_SC_
    .private_segment_fixed_size: 0
    .sgpr_count:     54
    .sgpr_spill_count: 0
    .symbol:         _Z39paged_attention_ll4mi_QKV_mfma16_kernelI14__hip_bfloat16S0_LN4vllm18Fp8KVCacheDataTypeE0EhLi32ELi64ELi256ELb0ELi5EEvPKT_PKT0_S8_ifPKiSA_SA_iPKfiiiPfSD_PS3_PT2_iSC_SC_.kd
    .uniform_work_group_size: 1
    .uses_dynamic_stack: false
    .vgpr_count:     67
    .vgpr_spill_count: 0
    .wavefront_size: 64
  - .agpr_count:     0
    .args:
      - .actual_access:  read_only
        .address_space:  global
        .offset:         0
        .size:           8
        .value_kind:     global_buffer
      - .actual_access:  read_only
        .address_space:  global
        .offset:         8
        .size:           8
        .value_kind:     global_buffer
      - .actual_access:  read_only
        .address_space:  global
        .offset:         16
        .size:           8
        .value_kind:     global_buffer
      - .offset:         24
        .size:           4
        .value_kind:     by_value
      - .offset:         28
        .size:           4
        .value_kind:     by_value
      - .actual_access:  read_only
        .address_space:  global
        .offset:         32
        .size:           8
        .value_kind:     global_buffer
      - .actual_access:  read_only
        .address_space:  global
        .offset:         40
        .size:           8
        .value_kind:     global_buffer
      - .actual_access:  read_only
        .address_space:  global
        .offset:         48
        .size:           8
        .value_kind:     global_buffer
      - .offset:         56
        .size:           4
        .value_kind:     by_value
      - .actual_access:  read_only
        .address_space:  global
        .offset:         64
        .size:           8
        .value_kind:     global_buffer
      - .offset:         72
        .size:           4
        .value_kind:     by_value
      - .offset:         76
        .size:           4
        .value_kind:     by_value
      - .offset:         80
        .size:           4
        .value_kind:     by_value
      - .actual_access:  write_only
        .address_space:  global
        .offset:         88
        .size:           8
        .value_kind:     global_buffer
      - .actual_access:  write_only
        .address_space:  global
        .offset:         96
        .size:           8
        .value_kind:     global_buffer
      - .actual_access:  write_only
        .address_space:  global
        .offset:         104
        .size:           8
        .value_kind:     global_buffer
      - .actual_access:  read_only
        .address_space:  global
        .offset:         112
        .size:           8
        .value_kind:     global_buffer
      - .offset:         120
        .size:           4
        .value_kind:     by_value
      - .address_space:  global
        .offset:         128
        .size:           8
        .value_kind:     global_buffer
      - .address_space:  global
        .offset:         136
        .size:           8
        .value_kind:     global_buffer
      - .offset:         144
        .size:           4
        .value_kind:     hidden_block_count_x
      - .offset:         148
        .size:           4
        .value_kind:     hidden_block_count_y
      - .offset:         152
        .size:           4
        .value_kind:     hidden_block_count_z
      - .offset:         156
        .size:           2
        .value_kind:     hidden_group_size_x
      - .offset:         158
        .size:           2
        .value_kind:     hidden_group_size_y
      - .offset:         160
        .size:           2
        .value_kind:     hidden_group_size_z
      - .offset:         162
        .size:           2
        .value_kind:     hidden_remainder_x
      - .offset:         164
        .size:           2
        .value_kind:     hidden_remainder_y
      - .offset:         166
        .size:           2
        .value_kind:     hidden_remainder_z
      - .offset:         184
        .size:           8
        .value_kind:     hidden_global_offset_x
      - .offset:         192
        .size:           8
        .value_kind:     hidden_global_offset_y
      - .offset:         200
        .size:           8
        .value_kind:     hidden_global_offset_z
      - .offset:         208
        .size:           2
        .value_kind:     hidden_grid_dims
    .group_segment_fixed_size: 8192
    .kernarg_segment_align: 8
    .kernarg_segment_size: 400
    .language:       OpenCL C
    .language_version:
      - 2
      - 0
    .max_flat_workgroup_size: 256
    .name:           _Z39paged_attention_ll4mi_QKV_mfma16_kernelI14__hip_bfloat16S0_LN4vllm18Fp8KVCacheDataTypeE0EhLi32ELi64ELi256ELb0ELi6EEvPKT_PKT0_S8_ifPKiSA_SA_iPKfiiiPfSD_PS3_PT2_iSC_SC_
    .private_segment_fixed_size: 0
    .sgpr_count:     54
    .sgpr_spill_count: 0
    .symbol:         _Z39paged_attention_ll4mi_QKV_mfma16_kernelI14__hip_bfloat16S0_LN4vllm18Fp8KVCacheDataTypeE0EhLi32ELi64ELi256ELb0ELi6EEvPKT_PKT0_S8_ifPKiSA_SA_iPKfiiiPfSD_PS3_PT2_iSC_SC_.kd
    .uniform_work_group_size: 1
    .uses_dynamic_stack: false
    .vgpr_count:     67
    .vgpr_spill_count: 0
    .wavefront_size: 64
  - .agpr_count:     0
    .args:
      - .actual_access:  read_only
        .address_space:  global
        .offset:         0
        .size:           8
        .value_kind:     global_buffer
      - .actual_access:  read_only
        .address_space:  global
        .offset:         8
        .size:           8
        .value_kind:     global_buffer
      - .actual_access:  read_only
        .address_space:  global
        .offset:         16
        .size:           8
        .value_kind:     global_buffer
      - .offset:         24
        .size:           4
        .value_kind:     by_value
      - .offset:         28
        .size:           4
        .value_kind:     by_value
      - .actual_access:  read_only
        .address_space:  global
        .offset:         32
        .size:           8
        .value_kind:     global_buffer
      - .actual_access:  read_only
        .address_space:  global
        .offset:         40
        .size:           8
        .value_kind:     global_buffer
      - .actual_access:  read_only
        .address_space:  global
        .offset:         48
        .size:           8
        .value_kind:     global_buffer
      - .offset:         56
        .size:           4
        .value_kind:     by_value
      - .actual_access:  read_only
        .address_space:  global
        .offset:         64
        .size:           8
        .value_kind:     global_buffer
      - .offset:         72
        .size:           4
        .value_kind:     by_value
      - .offset:         76
        .size:           4
        .value_kind:     by_value
      - .offset:         80
        .size:           4
        .value_kind:     by_value
      - .actual_access:  write_only
        .address_space:  global
        .offset:         88
        .size:           8
        .value_kind:     global_buffer
      - .actual_access:  write_only
        .address_space:  global
        .offset:         96
        .size:           8
        .value_kind:     global_buffer
      - .actual_access:  write_only
        .address_space:  global
        .offset:         104
        .size:           8
        .value_kind:     global_buffer
      - .actual_access:  read_only
        .address_space:  global
        .offset:         112
        .size:           8
        .value_kind:     global_buffer
      - .offset:         120
        .size:           4
        .value_kind:     by_value
      - .address_space:  global
        .offset:         128
        .size:           8
        .value_kind:     global_buffer
      - .address_space:  global
        .offset:         136
        .size:           8
        .value_kind:     global_buffer
      - .offset:         144
        .size:           4
        .value_kind:     hidden_block_count_x
      - .offset:         148
        .size:           4
        .value_kind:     hidden_block_count_y
      - .offset:         152
        .size:           4
        .value_kind:     hidden_block_count_z
      - .offset:         156
        .size:           2
        .value_kind:     hidden_group_size_x
      - .offset:         158
        .size:           2
        .value_kind:     hidden_group_size_y
      - .offset:         160
        .size:           2
        .value_kind:     hidden_group_size_z
      - .offset:         162
        .size:           2
        .value_kind:     hidden_remainder_x
      - .offset:         164
        .size:           2
        .value_kind:     hidden_remainder_y
      - .offset:         166
        .size:           2
        .value_kind:     hidden_remainder_z
      - .offset:         184
        .size:           8
        .value_kind:     hidden_global_offset_x
      - .offset:         192
        .size:           8
        .value_kind:     hidden_global_offset_y
      - .offset:         200
        .size:           8
        .value_kind:     hidden_global_offset_z
      - .offset:         208
        .size:           2
        .value_kind:     hidden_grid_dims
    .group_segment_fixed_size: 8192
    .kernarg_segment_align: 8
    .kernarg_segment_size: 400
    .language:       OpenCL C
    .language_version:
      - 2
      - 0
    .max_flat_workgroup_size: 256
    .name:           _Z39paged_attention_ll4mi_QKV_mfma16_kernelI14__hip_bfloat16S0_LN4vllm18Fp8KVCacheDataTypeE0EhLi32ELi64ELi256ELb0ELi7EEvPKT_PKT0_S8_ifPKiSA_SA_iPKfiiiPfSD_PS3_PT2_iSC_SC_
    .private_segment_fixed_size: 0
    .sgpr_count:     54
    .sgpr_spill_count: 0
    .symbol:         _Z39paged_attention_ll4mi_QKV_mfma16_kernelI14__hip_bfloat16S0_LN4vllm18Fp8KVCacheDataTypeE0EhLi32ELi64ELi256ELb0ELi7EEvPKT_PKT0_S8_ifPKiSA_SA_iPKfiiiPfSD_PS3_PT2_iSC_SC_.kd
    .uniform_work_group_size: 1
    .uses_dynamic_stack: false
    .vgpr_count:     67
    .vgpr_spill_count: 0
    .wavefront_size: 64
  - .agpr_count:     0
    .args:
      - .actual_access:  read_only
        .address_space:  global
        .offset:         0
        .size:           8
        .value_kind:     global_buffer
      - .actual_access:  read_only
        .address_space:  global
        .offset:         8
        .size:           8
        .value_kind:     global_buffer
      - .actual_access:  read_only
        .address_space:  global
        .offset:         16
        .size:           8
        .value_kind:     global_buffer
      - .offset:         24
        .size:           4
        .value_kind:     by_value
      - .offset:         28
        .size:           4
        .value_kind:     by_value
      - .actual_access:  read_only
        .address_space:  global
        .offset:         32
        .size:           8
        .value_kind:     global_buffer
      - .actual_access:  read_only
        .address_space:  global
        .offset:         40
        .size:           8
        .value_kind:     global_buffer
      - .actual_access:  read_only
        .address_space:  global
        .offset:         48
        .size:           8
        .value_kind:     global_buffer
      - .offset:         56
        .size:           4
        .value_kind:     by_value
      - .actual_access:  read_only
        .address_space:  global
        .offset:         64
        .size:           8
        .value_kind:     global_buffer
      - .offset:         72
        .size:           4
        .value_kind:     by_value
      - .offset:         76
        .size:           4
        .value_kind:     by_value
      - .offset:         80
        .size:           4
        .value_kind:     by_value
      - .actual_access:  write_only
        .address_space:  global
        .offset:         88
        .size:           8
        .value_kind:     global_buffer
      - .actual_access:  write_only
        .address_space:  global
        .offset:         96
        .size:           8
        .value_kind:     global_buffer
      - .actual_access:  write_only
        .address_space:  global
        .offset:         104
        .size:           8
        .value_kind:     global_buffer
      - .actual_access:  read_only
        .address_space:  global
        .offset:         112
        .size:           8
        .value_kind:     global_buffer
      - .offset:         120
        .size:           4
        .value_kind:     by_value
      - .address_space:  global
        .offset:         128
        .size:           8
        .value_kind:     global_buffer
      - .address_space:  global
        .offset:         136
        .size:           8
        .value_kind:     global_buffer
      - .offset:         144
        .size:           4
        .value_kind:     hidden_block_count_x
      - .offset:         148
        .size:           4
        .value_kind:     hidden_block_count_y
      - .offset:         152
        .size:           4
        .value_kind:     hidden_block_count_z
      - .offset:         156
        .size:           2
        .value_kind:     hidden_group_size_x
      - .offset:         158
        .size:           2
        .value_kind:     hidden_group_size_y
      - .offset:         160
        .size:           2
        .value_kind:     hidden_group_size_z
      - .offset:         162
        .size:           2
        .value_kind:     hidden_remainder_x
      - .offset:         164
        .size:           2
        .value_kind:     hidden_remainder_y
      - .offset:         166
        .size:           2
        .value_kind:     hidden_remainder_z
      - .offset:         184
        .size:           8
        .value_kind:     hidden_global_offset_x
      - .offset:         192
        .size:           8
        .value_kind:     hidden_global_offset_y
      - .offset:         200
        .size:           8
        .value_kind:     hidden_global_offset_z
      - .offset:         208
        .size:           2
        .value_kind:     hidden_grid_dims
    .group_segment_fixed_size: 8192
    .kernarg_segment_align: 8
    .kernarg_segment_size: 400
    .language:       OpenCL C
    .language_version:
      - 2
      - 0
    .max_flat_workgroup_size: 256
    .name:           _Z39paged_attention_ll4mi_QKV_mfma16_kernelI14__hip_bfloat16S0_LN4vllm18Fp8KVCacheDataTypeE0EhLi32ELi64ELi256ELb0ELi8EEvPKT_PKT0_S8_ifPKiSA_SA_iPKfiiiPfSD_PS3_PT2_iSC_SC_
    .private_segment_fixed_size: 0
    .sgpr_count:     54
    .sgpr_spill_count: 0
    .symbol:         _Z39paged_attention_ll4mi_QKV_mfma16_kernelI14__hip_bfloat16S0_LN4vllm18Fp8KVCacheDataTypeE0EhLi32ELi64ELi256ELb0ELi8EEvPKT_PKT0_S8_ifPKiSA_SA_iPKfiiiPfSD_PS3_PT2_iSC_SC_.kd
    .uniform_work_group_size: 1
    .uses_dynamic_stack: false
    .vgpr_count:     67
    .vgpr_spill_count: 0
    .wavefront_size: 64
  - .agpr_count:     0
    .args:
      - .actual_access:  read_only
        .address_space:  global
        .offset:         0
        .size:           8
        .value_kind:     global_buffer
      - .actual_access:  read_only
        .address_space:  global
        .offset:         8
        .size:           8
        .value_kind:     global_buffer
      - .actual_access:  read_only
        .address_space:  global
        .offset:         16
        .size:           8
        .value_kind:     global_buffer
      - .offset:         24
        .size:           4
        .value_kind:     by_value
      - .offset:         28
        .size:           4
        .value_kind:     by_value
      - .actual_access:  read_only
        .address_space:  global
        .offset:         32
        .size:           8
        .value_kind:     global_buffer
      - .actual_access:  read_only
        .address_space:  global
        .offset:         40
        .size:           8
        .value_kind:     global_buffer
      - .actual_access:  read_only
        .address_space:  global
        .offset:         48
        .size:           8
        .value_kind:     global_buffer
      - .offset:         56
        .size:           4
        .value_kind:     by_value
      - .actual_access:  read_only
        .address_space:  global
        .offset:         64
        .size:           8
        .value_kind:     global_buffer
      - .offset:         72
        .size:           4
        .value_kind:     by_value
      - .offset:         76
        .size:           4
        .value_kind:     by_value
      - .offset:         80
        .size:           4
        .value_kind:     by_value
      - .actual_access:  write_only
        .address_space:  global
        .offset:         88
        .size:           8
        .value_kind:     global_buffer
      - .actual_access:  write_only
        .address_space:  global
        .offset:         96
        .size:           8
        .value_kind:     global_buffer
      - .actual_access:  write_only
        .address_space:  global
        .offset:         104
        .size:           8
        .value_kind:     global_buffer
      - .actual_access:  read_only
        .address_space:  global
        .offset:         112
        .size:           8
        .value_kind:     global_buffer
      - .offset:         120
        .size:           4
        .value_kind:     by_value
      - .address_space:  global
        .offset:         128
        .size:           8
        .value_kind:     global_buffer
      - .address_space:  global
        .offset:         136
        .size:           8
        .value_kind:     global_buffer
      - .offset:         144
        .size:           4
        .value_kind:     hidden_block_count_x
      - .offset:         148
        .size:           4
        .value_kind:     hidden_block_count_y
      - .offset:         152
        .size:           4
        .value_kind:     hidden_block_count_z
      - .offset:         156
        .size:           2
        .value_kind:     hidden_group_size_x
      - .offset:         158
        .size:           2
        .value_kind:     hidden_group_size_y
      - .offset:         160
        .size:           2
        .value_kind:     hidden_group_size_z
      - .offset:         162
        .size:           2
        .value_kind:     hidden_remainder_x
      - .offset:         164
        .size:           2
        .value_kind:     hidden_remainder_y
      - .offset:         166
        .size:           2
        .value_kind:     hidden_remainder_z
      - .offset:         184
        .size:           8
        .value_kind:     hidden_global_offset_x
      - .offset:         192
        .size:           8
        .value_kind:     hidden_global_offset_y
      - .offset:         200
        .size:           8
        .value_kind:     hidden_global_offset_z
      - .offset:         208
        .size:           2
        .value_kind:     hidden_grid_dims
    .group_segment_fixed_size: 8192
    .kernarg_segment_align: 8
    .kernarg_segment_size: 400
    .language:       OpenCL C
    .language_version:
      - 2
      - 0
    .max_flat_workgroup_size: 256
    .name:           _Z39paged_attention_ll4mi_QKV_mfma16_kernelI14__hip_bfloat16S0_LN4vllm18Fp8KVCacheDataTypeE0EhLi32ELi64ELi256ELb0ELi9EEvPKT_PKT0_S8_ifPKiSA_SA_iPKfiiiPfSD_PS3_PT2_iSC_SC_
    .private_segment_fixed_size: 0
    .sgpr_count:     54
    .sgpr_spill_count: 0
    .symbol:         _Z39paged_attention_ll4mi_QKV_mfma16_kernelI14__hip_bfloat16S0_LN4vllm18Fp8KVCacheDataTypeE0EhLi32ELi64ELi256ELb0ELi9EEvPKT_PKT0_S8_ifPKiSA_SA_iPKfiiiPfSD_PS3_PT2_iSC_SC_.kd
    .uniform_work_group_size: 1
    .uses_dynamic_stack: false
    .vgpr_count:     67
    .vgpr_spill_count: 0
    .wavefront_size: 64
  - .agpr_count:     0
    .args:
      - .actual_access:  read_only
        .address_space:  global
        .offset:         0
        .size:           8
        .value_kind:     global_buffer
      - .actual_access:  read_only
        .address_space:  global
        .offset:         8
        .size:           8
        .value_kind:     global_buffer
      - .actual_access:  read_only
        .address_space:  global
        .offset:         16
        .size:           8
        .value_kind:     global_buffer
      - .offset:         24
        .size:           4
        .value_kind:     by_value
      - .offset:         28
        .size:           4
        .value_kind:     by_value
      - .actual_access:  read_only
        .address_space:  global
        .offset:         32
        .size:           8
        .value_kind:     global_buffer
      - .actual_access:  read_only
        .address_space:  global
        .offset:         40
        .size:           8
        .value_kind:     global_buffer
      - .actual_access:  read_only
        .address_space:  global
        .offset:         48
        .size:           8
        .value_kind:     global_buffer
      - .offset:         56
        .size:           4
        .value_kind:     by_value
      - .actual_access:  read_only
        .address_space:  global
        .offset:         64
        .size:           8
        .value_kind:     global_buffer
      - .offset:         72
        .size:           4
        .value_kind:     by_value
      - .offset:         76
        .size:           4
        .value_kind:     by_value
      - .offset:         80
        .size:           4
        .value_kind:     by_value
      - .actual_access:  write_only
        .address_space:  global
        .offset:         88
        .size:           8
        .value_kind:     global_buffer
      - .actual_access:  write_only
        .address_space:  global
        .offset:         96
        .size:           8
        .value_kind:     global_buffer
      - .actual_access:  write_only
        .address_space:  global
        .offset:         104
        .size:           8
        .value_kind:     global_buffer
      - .actual_access:  read_only
        .address_space:  global
        .offset:         112
        .size:           8
        .value_kind:     global_buffer
      - .offset:         120
        .size:           4
        .value_kind:     by_value
      - .address_space:  global
        .offset:         128
        .size:           8
        .value_kind:     global_buffer
      - .address_space:  global
        .offset:         136
        .size:           8
        .value_kind:     global_buffer
      - .offset:         144
        .size:           4
        .value_kind:     hidden_block_count_x
      - .offset:         148
        .size:           4
        .value_kind:     hidden_block_count_y
      - .offset:         152
        .size:           4
        .value_kind:     hidden_block_count_z
      - .offset:         156
        .size:           2
        .value_kind:     hidden_group_size_x
      - .offset:         158
        .size:           2
        .value_kind:     hidden_group_size_y
      - .offset:         160
        .size:           2
        .value_kind:     hidden_group_size_z
      - .offset:         162
        .size:           2
        .value_kind:     hidden_remainder_x
      - .offset:         164
        .size:           2
        .value_kind:     hidden_remainder_y
      - .offset:         166
        .size:           2
        .value_kind:     hidden_remainder_z
      - .offset:         184
        .size:           8
        .value_kind:     hidden_global_offset_x
      - .offset:         192
        .size:           8
        .value_kind:     hidden_global_offset_y
      - .offset:         200
        .size:           8
        .value_kind:     hidden_global_offset_z
      - .offset:         208
        .size:           2
        .value_kind:     hidden_grid_dims
    .group_segment_fixed_size: 8192
    .kernarg_segment_align: 8
    .kernarg_segment_size: 400
    .language:       OpenCL C
    .language_version:
      - 2
      - 0
    .max_flat_workgroup_size: 256
    .name:           _Z39paged_attention_ll4mi_QKV_mfma16_kernelI14__hip_bfloat16S0_LN4vllm18Fp8KVCacheDataTypeE0EhLi32ELi64ELi256ELb0ELi10EEvPKT_PKT0_S8_ifPKiSA_SA_iPKfiiiPfSD_PS3_PT2_iSC_SC_
    .private_segment_fixed_size: 0
    .sgpr_count:     54
    .sgpr_spill_count: 0
    .symbol:         _Z39paged_attention_ll4mi_QKV_mfma16_kernelI14__hip_bfloat16S0_LN4vllm18Fp8KVCacheDataTypeE0EhLi32ELi64ELi256ELb0ELi10EEvPKT_PKT0_S8_ifPKiSA_SA_iPKfiiiPfSD_PS3_PT2_iSC_SC_.kd
    .uniform_work_group_size: 1
    .uses_dynamic_stack: false
    .vgpr_count:     67
    .vgpr_spill_count: 0
    .wavefront_size: 64
  - .agpr_count:     0
    .args:
      - .actual_access:  read_only
        .address_space:  global
        .offset:         0
        .size:           8
        .value_kind:     global_buffer
      - .actual_access:  read_only
        .address_space:  global
        .offset:         8
        .size:           8
        .value_kind:     global_buffer
      - .actual_access:  read_only
        .address_space:  global
        .offset:         16
        .size:           8
        .value_kind:     global_buffer
      - .offset:         24
        .size:           4
        .value_kind:     by_value
      - .offset:         28
        .size:           4
        .value_kind:     by_value
      - .actual_access:  read_only
        .address_space:  global
        .offset:         32
        .size:           8
        .value_kind:     global_buffer
      - .actual_access:  read_only
        .address_space:  global
        .offset:         40
        .size:           8
        .value_kind:     global_buffer
      - .actual_access:  read_only
        .address_space:  global
        .offset:         48
        .size:           8
        .value_kind:     global_buffer
      - .offset:         56
        .size:           4
        .value_kind:     by_value
      - .actual_access:  read_only
        .address_space:  global
        .offset:         64
        .size:           8
        .value_kind:     global_buffer
      - .offset:         72
        .size:           4
        .value_kind:     by_value
      - .offset:         76
        .size:           4
        .value_kind:     by_value
      - .offset:         80
        .size:           4
        .value_kind:     by_value
      - .actual_access:  write_only
        .address_space:  global
        .offset:         88
        .size:           8
        .value_kind:     global_buffer
      - .actual_access:  write_only
        .address_space:  global
        .offset:         96
        .size:           8
        .value_kind:     global_buffer
      - .actual_access:  write_only
        .address_space:  global
        .offset:         104
        .size:           8
        .value_kind:     global_buffer
      - .actual_access:  read_only
        .address_space:  global
        .offset:         112
        .size:           8
        .value_kind:     global_buffer
      - .offset:         120
        .size:           4
        .value_kind:     by_value
      - .address_space:  global
        .offset:         128
        .size:           8
        .value_kind:     global_buffer
      - .address_space:  global
        .offset:         136
        .size:           8
        .value_kind:     global_buffer
      - .offset:         144
        .size:           4
        .value_kind:     hidden_block_count_x
      - .offset:         148
        .size:           4
        .value_kind:     hidden_block_count_y
      - .offset:         152
        .size:           4
        .value_kind:     hidden_block_count_z
      - .offset:         156
        .size:           2
        .value_kind:     hidden_group_size_x
      - .offset:         158
        .size:           2
        .value_kind:     hidden_group_size_y
      - .offset:         160
        .size:           2
        .value_kind:     hidden_group_size_z
      - .offset:         162
        .size:           2
        .value_kind:     hidden_remainder_x
      - .offset:         164
        .size:           2
        .value_kind:     hidden_remainder_y
      - .offset:         166
        .size:           2
        .value_kind:     hidden_remainder_z
      - .offset:         184
        .size:           8
        .value_kind:     hidden_global_offset_x
      - .offset:         192
        .size:           8
        .value_kind:     hidden_global_offset_y
      - .offset:         200
        .size:           8
        .value_kind:     hidden_global_offset_z
      - .offset:         208
        .size:           2
        .value_kind:     hidden_grid_dims
    .group_segment_fixed_size: 8192
    .kernarg_segment_align: 8
    .kernarg_segment_size: 400
    .language:       OpenCL C
    .language_version:
      - 2
      - 0
    .max_flat_workgroup_size: 256
    .name:           _Z39paged_attention_ll4mi_QKV_mfma16_kernelI14__hip_bfloat16S0_LN4vllm18Fp8KVCacheDataTypeE0EhLi32ELi64ELi256ELb0ELi11EEvPKT_PKT0_S8_ifPKiSA_SA_iPKfiiiPfSD_PS3_PT2_iSC_SC_
    .private_segment_fixed_size: 0
    .sgpr_count:     54
    .sgpr_spill_count: 0
    .symbol:         _Z39paged_attention_ll4mi_QKV_mfma16_kernelI14__hip_bfloat16S0_LN4vllm18Fp8KVCacheDataTypeE0EhLi32ELi64ELi256ELb0ELi11EEvPKT_PKT0_S8_ifPKiSA_SA_iPKfiiiPfSD_PS3_PT2_iSC_SC_.kd
    .uniform_work_group_size: 1
    .uses_dynamic_stack: false
    .vgpr_count:     67
    .vgpr_spill_count: 0
    .wavefront_size: 64
  - .agpr_count:     0
    .args:
      - .actual_access:  read_only
        .address_space:  global
        .offset:         0
        .size:           8
        .value_kind:     global_buffer
      - .actual_access:  read_only
        .address_space:  global
        .offset:         8
        .size:           8
        .value_kind:     global_buffer
      - .actual_access:  read_only
        .address_space:  global
        .offset:         16
        .size:           8
        .value_kind:     global_buffer
      - .offset:         24
        .size:           4
        .value_kind:     by_value
      - .offset:         28
        .size:           4
        .value_kind:     by_value
      - .actual_access:  read_only
        .address_space:  global
        .offset:         32
        .size:           8
        .value_kind:     global_buffer
      - .actual_access:  read_only
        .address_space:  global
        .offset:         40
        .size:           8
        .value_kind:     global_buffer
      - .actual_access:  read_only
        .address_space:  global
        .offset:         48
        .size:           8
        .value_kind:     global_buffer
      - .offset:         56
        .size:           4
        .value_kind:     by_value
      - .actual_access:  read_only
        .address_space:  global
        .offset:         64
        .size:           8
        .value_kind:     global_buffer
      - .offset:         72
        .size:           4
        .value_kind:     by_value
      - .offset:         76
        .size:           4
        .value_kind:     by_value
      - .offset:         80
        .size:           4
        .value_kind:     by_value
      - .actual_access:  write_only
        .address_space:  global
        .offset:         88
        .size:           8
        .value_kind:     global_buffer
      - .actual_access:  write_only
        .address_space:  global
        .offset:         96
        .size:           8
        .value_kind:     global_buffer
      - .actual_access:  write_only
        .address_space:  global
        .offset:         104
        .size:           8
        .value_kind:     global_buffer
      - .actual_access:  read_only
        .address_space:  global
        .offset:         112
        .size:           8
        .value_kind:     global_buffer
      - .offset:         120
        .size:           4
        .value_kind:     by_value
      - .address_space:  global
        .offset:         128
        .size:           8
        .value_kind:     global_buffer
      - .address_space:  global
        .offset:         136
        .size:           8
        .value_kind:     global_buffer
      - .offset:         144
        .size:           4
        .value_kind:     hidden_block_count_x
      - .offset:         148
        .size:           4
        .value_kind:     hidden_block_count_y
      - .offset:         152
        .size:           4
        .value_kind:     hidden_block_count_z
      - .offset:         156
        .size:           2
        .value_kind:     hidden_group_size_x
      - .offset:         158
        .size:           2
        .value_kind:     hidden_group_size_y
      - .offset:         160
        .size:           2
        .value_kind:     hidden_group_size_z
      - .offset:         162
        .size:           2
        .value_kind:     hidden_remainder_x
      - .offset:         164
        .size:           2
        .value_kind:     hidden_remainder_y
      - .offset:         166
        .size:           2
        .value_kind:     hidden_remainder_z
      - .offset:         184
        .size:           8
        .value_kind:     hidden_global_offset_x
      - .offset:         192
        .size:           8
        .value_kind:     hidden_global_offset_y
      - .offset:         200
        .size:           8
        .value_kind:     hidden_global_offset_z
      - .offset:         208
        .size:           2
        .value_kind:     hidden_grid_dims
    .group_segment_fixed_size: 8192
    .kernarg_segment_align: 8
    .kernarg_segment_size: 400
    .language:       OpenCL C
    .language_version:
      - 2
      - 0
    .max_flat_workgroup_size: 256
    .name:           _Z39paged_attention_ll4mi_QKV_mfma16_kernelI14__hip_bfloat16S0_LN4vllm18Fp8KVCacheDataTypeE0EhLi32ELi64ELi256ELb0ELi12EEvPKT_PKT0_S8_ifPKiSA_SA_iPKfiiiPfSD_PS3_PT2_iSC_SC_
    .private_segment_fixed_size: 0
    .sgpr_count:     54
    .sgpr_spill_count: 0
    .symbol:         _Z39paged_attention_ll4mi_QKV_mfma16_kernelI14__hip_bfloat16S0_LN4vllm18Fp8KVCacheDataTypeE0EhLi32ELi64ELi256ELb0ELi12EEvPKT_PKT0_S8_ifPKiSA_SA_iPKfiiiPfSD_PS3_PT2_iSC_SC_.kd
    .uniform_work_group_size: 1
    .uses_dynamic_stack: false
    .vgpr_count:     67
    .vgpr_spill_count: 0
    .wavefront_size: 64
  - .agpr_count:     0
    .args:
      - .actual_access:  read_only
        .address_space:  global
        .offset:         0
        .size:           8
        .value_kind:     global_buffer
      - .actual_access:  read_only
        .address_space:  global
        .offset:         8
        .size:           8
        .value_kind:     global_buffer
      - .actual_access:  read_only
        .address_space:  global
        .offset:         16
        .size:           8
        .value_kind:     global_buffer
      - .offset:         24
        .size:           4
        .value_kind:     by_value
      - .offset:         28
        .size:           4
        .value_kind:     by_value
      - .actual_access:  read_only
        .address_space:  global
        .offset:         32
        .size:           8
        .value_kind:     global_buffer
      - .actual_access:  read_only
        .address_space:  global
        .offset:         40
        .size:           8
        .value_kind:     global_buffer
      - .actual_access:  read_only
        .address_space:  global
        .offset:         48
        .size:           8
        .value_kind:     global_buffer
      - .offset:         56
        .size:           4
        .value_kind:     by_value
      - .actual_access:  read_only
        .address_space:  global
        .offset:         64
        .size:           8
        .value_kind:     global_buffer
      - .offset:         72
        .size:           4
        .value_kind:     by_value
      - .offset:         76
        .size:           4
        .value_kind:     by_value
      - .offset:         80
        .size:           4
        .value_kind:     by_value
      - .actual_access:  write_only
        .address_space:  global
        .offset:         88
        .size:           8
        .value_kind:     global_buffer
      - .actual_access:  write_only
        .address_space:  global
        .offset:         96
        .size:           8
        .value_kind:     global_buffer
      - .actual_access:  write_only
        .address_space:  global
        .offset:         104
        .size:           8
        .value_kind:     global_buffer
      - .actual_access:  read_only
        .address_space:  global
        .offset:         112
        .size:           8
        .value_kind:     global_buffer
      - .offset:         120
        .size:           4
        .value_kind:     by_value
      - .address_space:  global
        .offset:         128
        .size:           8
        .value_kind:     global_buffer
      - .address_space:  global
        .offset:         136
        .size:           8
        .value_kind:     global_buffer
      - .offset:         144
        .size:           4
        .value_kind:     hidden_block_count_x
      - .offset:         148
        .size:           4
        .value_kind:     hidden_block_count_y
      - .offset:         152
        .size:           4
        .value_kind:     hidden_block_count_z
      - .offset:         156
        .size:           2
        .value_kind:     hidden_group_size_x
      - .offset:         158
        .size:           2
        .value_kind:     hidden_group_size_y
      - .offset:         160
        .size:           2
        .value_kind:     hidden_group_size_z
      - .offset:         162
        .size:           2
        .value_kind:     hidden_remainder_x
      - .offset:         164
        .size:           2
        .value_kind:     hidden_remainder_y
      - .offset:         166
        .size:           2
        .value_kind:     hidden_remainder_z
      - .offset:         184
        .size:           8
        .value_kind:     hidden_global_offset_x
      - .offset:         192
        .size:           8
        .value_kind:     hidden_global_offset_y
      - .offset:         200
        .size:           8
        .value_kind:     hidden_global_offset_z
      - .offset:         208
        .size:           2
        .value_kind:     hidden_grid_dims
    .group_segment_fixed_size: 8192
    .kernarg_segment_align: 8
    .kernarg_segment_size: 400
    .language:       OpenCL C
    .language_version:
      - 2
      - 0
    .max_flat_workgroup_size: 256
    .name:           _Z39paged_attention_ll4mi_QKV_mfma16_kernelI14__hip_bfloat16S0_LN4vllm18Fp8KVCacheDataTypeE0EhLi32ELi64ELi256ELb0ELi13EEvPKT_PKT0_S8_ifPKiSA_SA_iPKfiiiPfSD_PS3_PT2_iSC_SC_
    .private_segment_fixed_size: 0
    .sgpr_count:     54
    .sgpr_spill_count: 0
    .symbol:         _Z39paged_attention_ll4mi_QKV_mfma16_kernelI14__hip_bfloat16S0_LN4vllm18Fp8KVCacheDataTypeE0EhLi32ELi64ELi256ELb0ELi13EEvPKT_PKT0_S8_ifPKiSA_SA_iPKfiiiPfSD_PS3_PT2_iSC_SC_.kd
    .uniform_work_group_size: 1
    .uses_dynamic_stack: false
    .vgpr_count:     67
    .vgpr_spill_count: 0
    .wavefront_size: 64
  - .agpr_count:     0
    .args:
      - .actual_access:  read_only
        .address_space:  global
        .offset:         0
        .size:           8
        .value_kind:     global_buffer
      - .actual_access:  read_only
        .address_space:  global
        .offset:         8
        .size:           8
        .value_kind:     global_buffer
      - .actual_access:  read_only
        .address_space:  global
        .offset:         16
        .size:           8
        .value_kind:     global_buffer
      - .offset:         24
        .size:           4
        .value_kind:     by_value
      - .offset:         28
        .size:           4
        .value_kind:     by_value
      - .actual_access:  read_only
        .address_space:  global
        .offset:         32
        .size:           8
        .value_kind:     global_buffer
      - .actual_access:  read_only
        .address_space:  global
        .offset:         40
        .size:           8
        .value_kind:     global_buffer
      - .actual_access:  read_only
        .address_space:  global
        .offset:         48
        .size:           8
        .value_kind:     global_buffer
      - .offset:         56
        .size:           4
        .value_kind:     by_value
      - .actual_access:  read_only
        .address_space:  global
        .offset:         64
        .size:           8
        .value_kind:     global_buffer
      - .offset:         72
        .size:           4
        .value_kind:     by_value
      - .offset:         76
        .size:           4
        .value_kind:     by_value
      - .offset:         80
        .size:           4
        .value_kind:     by_value
      - .actual_access:  write_only
        .address_space:  global
        .offset:         88
        .size:           8
        .value_kind:     global_buffer
      - .actual_access:  write_only
        .address_space:  global
        .offset:         96
        .size:           8
        .value_kind:     global_buffer
      - .actual_access:  write_only
        .address_space:  global
        .offset:         104
        .size:           8
        .value_kind:     global_buffer
      - .actual_access:  read_only
        .address_space:  global
        .offset:         112
        .size:           8
        .value_kind:     global_buffer
      - .offset:         120
        .size:           4
        .value_kind:     by_value
      - .address_space:  global
        .offset:         128
        .size:           8
        .value_kind:     global_buffer
      - .address_space:  global
        .offset:         136
        .size:           8
        .value_kind:     global_buffer
      - .offset:         144
        .size:           4
        .value_kind:     hidden_block_count_x
      - .offset:         148
        .size:           4
        .value_kind:     hidden_block_count_y
      - .offset:         152
        .size:           4
        .value_kind:     hidden_block_count_z
      - .offset:         156
        .size:           2
        .value_kind:     hidden_group_size_x
      - .offset:         158
        .size:           2
        .value_kind:     hidden_group_size_y
      - .offset:         160
        .size:           2
        .value_kind:     hidden_group_size_z
      - .offset:         162
        .size:           2
        .value_kind:     hidden_remainder_x
      - .offset:         164
        .size:           2
        .value_kind:     hidden_remainder_y
      - .offset:         166
        .size:           2
        .value_kind:     hidden_remainder_z
      - .offset:         184
        .size:           8
        .value_kind:     hidden_global_offset_x
      - .offset:         192
        .size:           8
        .value_kind:     hidden_global_offset_y
      - .offset:         200
        .size:           8
        .value_kind:     hidden_global_offset_z
      - .offset:         208
        .size:           2
        .value_kind:     hidden_grid_dims
    .group_segment_fixed_size: 8192
    .kernarg_segment_align: 8
    .kernarg_segment_size: 400
    .language:       OpenCL C
    .language_version:
      - 2
      - 0
    .max_flat_workgroup_size: 256
    .name:           _Z39paged_attention_ll4mi_QKV_mfma16_kernelI14__hip_bfloat16S0_LN4vllm18Fp8KVCacheDataTypeE0EhLi32ELi64ELi256ELb0ELi14EEvPKT_PKT0_S8_ifPKiSA_SA_iPKfiiiPfSD_PS3_PT2_iSC_SC_
    .private_segment_fixed_size: 0
    .sgpr_count:     54
    .sgpr_spill_count: 0
    .symbol:         _Z39paged_attention_ll4mi_QKV_mfma16_kernelI14__hip_bfloat16S0_LN4vllm18Fp8KVCacheDataTypeE0EhLi32ELi64ELi256ELb0ELi14EEvPKT_PKT0_S8_ifPKiSA_SA_iPKfiiiPfSD_PS3_PT2_iSC_SC_.kd
    .uniform_work_group_size: 1
    .uses_dynamic_stack: false
    .vgpr_count:     67
    .vgpr_spill_count: 0
    .wavefront_size: 64
  - .agpr_count:     0
    .args:
      - .actual_access:  read_only
        .address_space:  global
        .offset:         0
        .size:           8
        .value_kind:     global_buffer
      - .actual_access:  read_only
        .address_space:  global
        .offset:         8
        .size:           8
        .value_kind:     global_buffer
      - .actual_access:  read_only
        .address_space:  global
        .offset:         16
        .size:           8
        .value_kind:     global_buffer
      - .offset:         24
        .size:           4
        .value_kind:     by_value
      - .offset:         28
        .size:           4
        .value_kind:     by_value
      - .actual_access:  read_only
        .address_space:  global
        .offset:         32
        .size:           8
        .value_kind:     global_buffer
      - .actual_access:  read_only
        .address_space:  global
        .offset:         40
        .size:           8
        .value_kind:     global_buffer
      - .actual_access:  read_only
        .address_space:  global
        .offset:         48
        .size:           8
        .value_kind:     global_buffer
      - .offset:         56
        .size:           4
        .value_kind:     by_value
      - .actual_access:  read_only
        .address_space:  global
        .offset:         64
        .size:           8
        .value_kind:     global_buffer
      - .offset:         72
        .size:           4
        .value_kind:     by_value
      - .offset:         76
        .size:           4
        .value_kind:     by_value
      - .offset:         80
        .size:           4
        .value_kind:     by_value
      - .actual_access:  write_only
        .address_space:  global
        .offset:         88
        .size:           8
        .value_kind:     global_buffer
      - .actual_access:  write_only
        .address_space:  global
        .offset:         96
        .size:           8
        .value_kind:     global_buffer
      - .actual_access:  write_only
        .address_space:  global
        .offset:         104
        .size:           8
        .value_kind:     global_buffer
      - .actual_access:  read_only
        .address_space:  global
        .offset:         112
        .size:           8
        .value_kind:     global_buffer
      - .offset:         120
        .size:           4
        .value_kind:     by_value
      - .address_space:  global
        .offset:         128
        .size:           8
        .value_kind:     global_buffer
      - .address_space:  global
        .offset:         136
        .size:           8
        .value_kind:     global_buffer
      - .offset:         144
        .size:           4
        .value_kind:     hidden_block_count_x
      - .offset:         148
        .size:           4
        .value_kind:     hidden_block_count_y
      - .offset:         152
        .size:           4
        .value_kind:     hidden_block_count_z
      - .offset:         156
        .size:           2
        .value_kind:     hidden_group_size_x
      - .offset:         158
        .size:           2
        .value_kind:     hidden_group_size_y
      - .offset:         160
        .size:           2
        .value_kind:     hidden_group_size_z
      - .offset:         162
        .size:           2
        .value_kind:     hidden_remainder_x
      - .offset:         164
        .size:           2
        .value_kind:     hidden_remainder_y
      - .offset:         166
        .size:           2
        .value_kind:     hidden_remainder_z
      - .offset:         184
        .size:           8
        .value_kind:     hidden_global_offset_x
      - .offset:         192
        .size:           8
        .value_kind:     hidden_global_offset_y
      - .offset:         200
        .size:           8
        .value_kind:     hidden_global_offset_z
      - .offset:         208
        .size:           2
        .value_kind:     hidden_grid_dims
    .group_segment_fixed_size: 8192
    .kernarg_segment_align: 8
    .kernarg_segment_size: 400
    .language:       OpenCL C
    .language_version:
      - 2
      - 0
    .max_flat_workgroup_size: 256
    .name:           _Z39paged_attention_ll4mi_QKV_mfma16_kernelI14__hip_bfloat16S0_LN4vllm18Fp8KVCacheDataTypeE0EhLi32ELi64ELi256ELb0ELi15EEvPKT_PKT0_S8_ifPKiSA_SA_iPKfiiiPfSD_PS3_PT2_iSC_SC_
    .private_segment_fixed_size: 0
    .sgpr_count:     54
    .sgpr_spill_count: 0
    .symbol:         _Z39paged_attention_ll4mi_QKV_mfma16_kernelI14__hip_bfloat16S0_LN4vllm18Fp8KVCacheDataTypeE0EhLi32ELi64ELi256ELb0ELi15EEvPKT_PKT0_S8_ifPKiSA_SA_iPKfiiiPfSD_PS3_PT2_iSC_SC_.kd
    .uniform_work_group_size: 1
    .uses_dynamic_stack: false
    .vgpr_count:     67
    .vgpr_spill_count: 0
    .wavefront_size: 64
  - .agpr_count:     0
    .args:
      - .actual_access:  read_only
        .address_space:  global
        .offset:         0
        .size:           8
        .value_kind:     global_buffer
      - .actual_access:  read_only
        .address_space:  global
        .offset:         8
        .size:           8
        .value_kind:     global_buffer
      - .actual_access:  read_only
        .address_space:  global
        .offset:         16
        .size:           8
        .value_kind:     global_buffer
      - .offset:         24
        .size:           4
        .value_kind:     by_value
      - .offset:         28
        .size:           4
        .value_kind:     by_value
      - .actual_access:  read_only
        .address_space:  global
        .offset:         32
        .size:           8
        .value_kind:     global_buffer
      - .actual_access:  read_only
        .address_space:  global
        .offset:         40
        .size:           8
        .value_kind:     global_buffer
      - .actual_access:  read_only
        .address_space:  global
        .offset:         48
        .size:           8
        .value_kind:     global_buffer
      - .offset:         56
        .size:           4
        .value_kind:     by_value
      - .actual_access:  read_only
        .address_space:  global
        .offset:         64
        .size:           8
        .value_kind:     global_buffer
      - .offset:         72
        .size:           4
        .value_kind:     by_value
      - .offset:         76
        .size:           4
        .value_kind:     by_value
      - .offset:         80
        .size:           4
        .value_kind:     by_value
      - .actual_access:  write_only
        .address_space:  global
        .offset:         88
        .size:           8
        .value_kind:     global_buffer
      - .actual_access:  write_only
        .address_space:  global
        .offset:         96
        .size:           8
        .value_kind:     global_buffer
      - .actual_access:  write_only
        .address_space:  global
        .offset:         104
        .size:           8
        .value_kind:     global_buffer
      - .actual_access:  read_only
        .address_space:  global
        .offset:         112
        .size:           8
        .value_kind:     global_buffer
      - .offset:         120
        .size:           4
        .value_kind:     by_value
      - .address_space:  global
        .offset:         128
        .size:           8
        .value_kind:     global_buffer
      - .address_space:  global
        .offset:         136
        .size:           8
        .value_kind:     global_buffer
      - .offset:         144
        .size:           4
        .value_kind:     hidden_block_count_x
      - .offset:         148
        .size:           4
        .value_kind:     hidden_block_count_y
      - .offset:         152
        .size:           4
        .value_kind:     hidden_block_count_z
      - .offset:         156
        .size:           2
        .value_kind:     hidden_group_size_x
      - .offset:         158
        .size:           2
        .value_kind:     hidden_group_size_y
      - .offset:         160
        .size:           2
        .value_kind:     hidden_group_size_z
      - .offset:         162
        .size:           2
        .value_kind:     hidden_remainder_x
      - .offset:         164
        .size:           2
        .value_kind:     hidden_remainder_y
      - .offset:         166
        .size:           2
        .value_kind:     hidden_remainder_z
      - .offset:         184
        .size:           8
        .value_kind:     hidden_global_offset_x
      - .offset:         192
        .size:           8
        .value_kind:     hidden_global_offset_y
      - .offset:         200
        .size:           8
        .value_kind:     hidden_global_offset_z
      - .offset:         208
        .size:           2
        .value_kind:     hidden_grid_dims
    .group_segment_fixed_size: 8192
    .kernarg_segment_align: 8
    .kernarg_segment_size: 400
    .language:       OpenCL C
    .language_version:
      - 2
      - 0
    .max_flat_workgroup_size: 256
    .name:           _Z39paged_attention_ll4mi_QKV_mfma16_kernelI14__hip_bfloat16S0_LN4vllm18Fp8KVCacheDataTypeE0EhLi32ELi64ELi256ELb0ELi16EEvPKT_PKT0_S8_ifPKiSA_SA_iPKfiiiPfSD_PS3_PT2_iSC_SC_
    .private_segment_fixed_size: 0
    .sgpr_count:     54
    .sgpr_spill_count: 0
    .symbol:         _Z39paged_attention_ll4mi_QKV_mfma16_kernelI14__hip_bfloat16S0_LN4vllm18Fp8KVCacheDataTypeE0EhLi32ELi64ELi256ELb0ELi16EEvPKT_PKT0_S8_ifPKiSA_SA_iPKfiiiPfSD_PS3_PT2_iSC_SC_.kd
    .uniform_work_group_size: 1
    .uses_dynamic_stack: false
    .vgpr_count:     68
    .vgpr_spill_count: 0
    .wavefront_size: 64
  - .agpr_count:     0
    .args:
      - .actual_access:  read_only
        .address_space:  global
        .offset:         0
        .size:           8
        .value_kind:     global_buffer
      - .actual_access:  read_only
        .address_space:  global
        .offset:         8
        .size:           8
        .value_kind:     global_buffer
      - .actual_access:  read_only
        .address_space:  global
        .offset:         16
        .size:           8
        .value_kind:     global_buffer
      - .offset:         24
        .size:           4
        .value_kind:     by_value
      - .offset:         28
        .size:           4
        .value_kind:     by_value
      - .actual_access:  read_only
        .address_space:  global
        .offset:         32
        .size:           8
        .value_kind:     global_buffer
      - .actual_access:  read_only
        .address_space:  global
        .offset:         40
        .size:           8
        .value_kind:     global_buffer
      - .actual_access:  read_only
        .address_space:  global
        .offset:         48
        .size:           8
        .value_kind:     global_buffer
      - .offset:         56
        .size:           4
        .value_kind:     by_value
      - .actual_access:  read_only
        .address_space:  global
        .offset:         64
        .size:           8
        .value_kind:     global_buffer
      - .offset:         72
        .size:           4
        .value_kind:     by_value
      - .offset:         76
        .size:           4
        .value_kind:     by_value
      - .offset:         80
        .size:           4
        .value_kind:     by_value
      - .actual_access:  write_only
        .address_space:  global
        .offset:         88
        .size:           8
        .value_kind:     global_buffer
      - .actual_access:  write_only
        .address_space:  global
        .offset:         96
        .size:           8
        .value_kind:     global_buffer
      - .actual_access:  write_only
        .address_space:  global
        .offset:         104
        .size:           8
        .value_kind:     global_buffer
      - .actual_access:  read_only
        .address_space:  global
        .offset:         112
        .size:           8
        .value_kind:     global_buffer
      - .offset:         120
        .size:           4
        .value_kind:     by_value
      - .address_space:  global
        .offset:         128
        .size:           8
        .value_kind:     global_buffer
      - .address_space:  global
        .offset:         136
        .size:           8
        .value_kind:     global_buffer
      - .offset:         144
        .size:           4
        .value_kind:     hidden_block_count_x
      - .offset:         148
        .size:           4
        .value_kind:     hidden_block_count_y
      - .offset:         152
        .size:           4
        .value_kind:     hidden_block_count_z
      - .offset:         156
        .size:           2
        .value_kind:     hidden_group_size_x
      - .offset:         158
        .size:           2
        .value_kind:     hidden_group_size_y
      - .offset:         160
        .size:           2
        .value_kind:     hidden_group_size_z
      - .offset:         162
        .size:           2
        .value_kind:     hidden_remainder_x
      - .offset:         164
        .size:           2
        .value_kind:     hidden_remainder_y
      - .offset:         166
        .size:           2
        .value_kind:     hidden_remainder_z
      - .offset:         184
        .size:           8
        .value_kind:     hidden_global_offset_x
      - .offset:         192
        .size:           8
        .value_kind:     hidden_global_offset_y
      - .offset:         200
        .size:           8
        .value_kind:     hidden_global_offset_z
      - .offset:         208
        .size:           2
        .value_kind:     hidden_grid_dims
    .group_segment_fixed_size: 8192
    .kernarg_segment_align: 8
    .kernarg_segment_size: 400
    .language:       OpenCL C
    .language_version:
      - 2
      - 0
    .max_flat_workgroup_size: 256
    .name:           _Z39paged_attention_ll4mi_QKV_mfma16_kernelI14__hip_bfloat16S0_LN4vllm18Fp8KVCacheDataTypeE0EhLi32ELi64ELi256ELb0ELi1EEvPKT_PKT0_S8_ifPKiSA_SA_iPKfiiiPfSD_PS3_PT2_iSC_SC_
    .private_segment_fixed_size: 0
    .sgpr_count:     54
    .sgpr_spill_count: 0
    .symbol:         _Z39paged_attention_ll4mi_QKV_mfma16_kernelI14__hip_bfloat16S0_LN4vllm18Fp8KVCacheDataTypeE0EhLi32ELi64ELi256ELb0ELi1EEvPKT_PKT0_S8_ifPKiSA_SA_iPKfiiiPfSD_PS3_PT2_iSC_SC_.kd
    .uniform_work_group_size: 1
    .uses_dynamic_stack: false
    .vgpr_count:     67
    .vgpr_spill_count: 0
    .wavefront_size: 64
  - .agpr_count:     0
    .args:
      - .actual_access:  read_only
        .address_space:  global
        .offset:         0
        .size:           8
        .value_kind:     global_buffer
      - .actual_access:  read_only
        .address_space:  global
        .offset:         8
        .size:           8
        .value_kind:     global_buffer
      - .actual_access:  read_only
        .address_space:  global
        .offset:         16
        .size:           8
        .value_kind:     global_buffer
      - .offset:         24
        .size:           4
        .value_kind:     by_value
      - .offset:         28
        .size:           4
        .value_kind:     by_value
      - .actual_access:  read_only
        .address_space:  global
        .offset:         32
        .size:           8
        .value_kind:     global_buffer
      - .actual_access:  read_only
        .address_space:  global
        .offset:         40
        .size:           8
        .value_kind:     global_buffer
      - .actual_access:  read_only
        .address_space:  global
        .offset:         48
        .size:           8
        .value_kind:     global_buffer
      - .offset:         56
        .size:           4
        .value_kind:     by_value
      - .actual_access:  read_only
        .address_space:  global
        .offset:         64
        .size:           8
        .value_kind:     global_buffer
      - .offset:         72
        .size:           4
        .value_kind:     by_value
      - .offset:         76
        .size:           4
        .value_kind:     by_value
      - .offset:         80
        .size:           4
        .value_kind:     by_value
      - .actual_access:  write_only
        .address_space:  global
        .offset:         88
        .size:           8
        .value_kind:     global_buffer
      - .actual_access:  write_only
        .address_space:  global
        .offset:         96
        .size:           8
        .value_kind:     global_buffer
      - .actual_access:  write_only
        .address_space:  global
        .offset:         104
        .size:           8
        .value_kind:     global_buffer
      - .actual_access:  read_only
        .address_space:  global
        .offset:         112
        .size:           8
        .value_kind:     global_buffer
      - .offset:         120
        .size:           4
        .value_kind:     by_value
      - .address_space:  global
        .offset:         128
        .size:           8
        .value_kind:     global_buffer
      - .address_space:  global
        .offset:         136
        .size:           8
        .value_kind:     global_buffer
      - .offset:         144
        .size:           4
        .value_kind:     hidden_block_count_x
      - .offset:         148
        .size:           4
        .value_kind:     hidden_block_count_y
      - .offset:         152
        .size:           4
        .value_kind:     hidden_block_count_z
      - .offset:         156
        .size:           2
        .value_kind:     hidden_group_size_x
      - .offset:         158
        .size:           2
        .value_kind:     hidden_group_size_y
      - .offset:         160
        .size:           2
        .value_kind:     hidden_group_size_z
      - .offset:         162
        .size:           2
        .value_kind:     hidden_remainder_x
      - .offset:         164
        .size:           2
        .value_kind:     hidden_remainder_y
      - .offset:         166
        .size:           2
        .value_kind:     hidden_remainder_z
      - .offset:         184
        .size:           8
        .value_kind:     hidden_global_offset_x
      - .offset:         192
        .size:           8
        .value_kind:     hidden_global_offset_y
      - .offset:         200
        .size:           8
        .value_kind:     hidden_global_offset_z
      - .offset:         208
        .size:           2
        .value_kind:     hidden_grid_dims
    .group_segment_fixed_size: 8192
    .kernarg_segment_align: 8
    .kernarg_segment_size: 400
    .language:       OpenCL C
    .language_version:
      - 2
      - 0
    .max_flat_workgroup_size: 256
    .name:           _Z39paged_attention_ll4mi_QKV_mfma16_kernelI14__hip_bfloat16S0_LN4vllm18Fp8KVCacheDataTypeE0EhLi32ELi64ELi256ELb0ELi2EEvPKT_PKT0_S8_ifPKiSA_SA_iPKfiiiPfSD_PS3_PT2_iSC_SC_
    .private_segment_fixed_size: 0
    .sgpr_count:     54
    .sgpr_spill_count: 0
    .symbol:         _Z39paged_attention_ll4mi_QKV_mfma16_kernelI14__hip_bfloat16S0_LN4vllm18Fp8KVCacheDataTypeE0EhLi32ELi64ELi256ELb0ELi2EEvPKT_PKT0_S8_ifPKiSA_SA_iPKfiiiPfSD_PS3_PT2_iSC_SC_.kd
    .uniform_work_group_size: 1
    .uses_dynamic_stack: false
    .vgpr_count:     67
    .vgpr_spill_count: 0
    .wavefront_size: 64
  - .agpr_count:     0
    .args:
      - .actual_access:  read_only
        .address_space:  global
        .offset:         0
        .size:           8
        .value_kind:     global_buffer
      - .actual_access:  read_only
        .address_space:  global
        .offset:         8
        .size:           8
        .value_kind:     global_buffer
      - .actual_access:  read_only
        .address_space:  global
        .offset:         16
        .size:           8
        .value_kind:     global_buffer
      - .offset:         24
        .size:           4
        .value_kind:     by_value
      - .offset:         28
        .size:           4
        .value_kind:     by_value
      - .actual_access:  read_only
        .address_space:  global
        .offset:         32
        .size:           8
        .value_kind:     global_buffer
      - .actual_access:  read_only
        .address_space:  global
        .offset:         40
        .size:           8
        .value_kind:     global_buffer
      - .actual_access:  read_only
        .address_space:  global
        .offset:         48
        .size:           8
        .value_kind:     global_buffer
      - .offset:         56
        .size:           4
        .value_kind:     by_value
      - .actual_access:  read_only
        .address_space:  global
        .offset:         64
        .size:           8
        .value_kind:     global_buffer
      - .offset:         72
        .size:           4
        .value_kind:     by_value
      - .offset:         76
        .size:           4
        .value_kind:     by_value
      - .offset:         80
        .size:           4
        .value_kind:     by_value
      - .actual_access:  write_only
        .address_space:  global
        .offset:         88
        .size:           8
        .value_kind:     global_buffer
      - .actual_access:  write_only
        .address_space:  global
        .offset:         96
        .size:           8
        .value_kind:     global_buffer
      - .actual_access:  write_only
        .address_space:  global
        .offset:         104
        .size:           8
        .value_kind:     global_buffer
      - .actual_access:  read_only
        .address_space:  global
        .offset:         112
        .size:           8
        .value_kind:     global_buffer
      - .offset:         120
        .size:           4
        .value_kind:     by_value
      - .address_space:  global
        .offset:         128
        .size:           8
        .value_kind:     global_buffer
      - .address_space:  global
        .offset:         136
        .size:           8
        .value_kind:     global_buffer
      - .offset:         144
        .size:           4
        .value_kind:     hidden_block_count_x
      - .offset:         148
        .size:           4
        .value_kind:     hidden_block_count_y
      - .offset:         152
        .size:           4
        .value_kind:     hidden_block_count_z
      - .offset:         156
        .size:           2
        .value_kind:     hidden_group_size_x
      - .offset:         158
        .size:           2
        .value_kind:     hidden_group_size_y
      - .offset:         160
        .size:           2
        .value_kind:     hidden_group_size_z
      - .offset:         162
        .size:           2
        .value_kind:     hidden_remainder_x
      - .offset:         164
        .size:           2
        .value_kind:     hidden_remainder_y
      - .offset:         166
        .size:           2
        .value_kind:     hidden_remainder_z
      - .offset:         184
        .size:           8
        .value_kind:     hidden_global_offset_x
      - .offset:         192
        .size:           8
        .value_kind:     hidden_global_offset_y
      - .offset:         200
        .size:           8
        .value_kind:     hidden_global_offset_z
      - .offset:         208
        .size:           2
        .value_kind:     hidden_grid_dims
    .group_segment_fixed_size: 8192
    .kernarg_segment_align: 8
    .kernarg_segment_size: 400
    .language:       OpenCL C
    .language_version:
      - 2
      - 0
    .max_flat_workgroup_size: 256
    .name:           _Z39paged_attention_ll4mi_QKV_mfma16_kernelI14__hip_bfloat16S0_LN4vllm18Fp8KVCacheDataTypeE0EhLi32ELi64ELi256ELb0ELi3EEvPKT_PKT0_S8_ifPKiSA_SA_iPKfiiiPfSD_PS3_PT2_iSC_SC_
    .private_segment_fixed_size: 0
    .sgpr_count:     54
    .sgpr_spill_count: 0
    .symbol:         _Z39paged_attention_ll4mi_QKV_mfma16_kernelI14__hip_bfloat16S0_LN4vllm18Fp8KVCacheDataTypeE0EhLi32ELi64ELi256ELb0ELi3EEvPKT_PKT0_S8_ifPKiSA_SA_iPKfiiiPfSD_PS3_PT2_iSC_SC_.kd
    .uniform_work_group_size: 1
    .uses_dynamic_stack: false
    .vgpr_count:     68
    .vgpr_spill_count: 0
    .wavefront_size: 64
  - .agpr_count:     0
    .args:
      - .actual_access:  read_only
        .address_space:  global
        .offset:         0
        .size:           8
        .value_kind:     global_buffer
      - .actual_access:  read_only
        .address_space:  global
        .offset:         8
        .size:           8
        .value_kind:     global_buffer
      - .actual_access:  read_only
        .address_space:  global
        .offset:         16
        .size:           8
        .value_kind:     global_buffer
      - .offset:         24
        .size:           4
        .value_kind:     by_value
      - .offset:         28
        .size:           4
        .value_kind:     by_value
      - .actual_access:  read_only
        .address_space:  global
        .offset:         32
        .size:           8
        .value_kind:     global_buffer
      - .actual_access:  read_only
        .address_space:  global
        .offset:         40
        .size:           8
        .value_kind:     global_buffer
      - .actual_access:  read_only
        .address_space:  global
        .offset:         48
        .size:           8
        .value_kind:     global_buffer
      - .offset:         56
        .size:           4
        .value_kind:     by_value
      - .actual_access:  read_only
        .address_space:  global
        .offset:         64
        .size:           8
        .value_kind:     global_buffer
      - .offset:         72
        .size:           4
        .value_kind:     by_value
      - .offset:         76
        .size:           4
        .value_kind:     by_value
      - .offset:         80
        .size:           4
        .value_kind:     by_value
      - .actual_access:  write_only
        .address_space:  global
        .offset:         88
        .size:           8
        .value_kind:     global_buffer
      - .actual_access:  write_only
        .address_space:  global
        .offset:         96
        .size:           8
        .value_kind:     global_buffer
      - .actual_access:  write_only
        .address_space:  global
        .offset:         104
        .size:           8
        .value_kind:     global_buffer
      - .actual_access:  read_only
        .address_space:  global
        .offset:         112
        .size:           8
        .value_kind:     global_buffer
      - .offset:         120
        .size:           4
        .value_kind:     by_value
      - .address_space:  global
        .offset:         128
        .size:           8
        .value_kind:     global_buffer
      - .address_space:  global
        .offset:         136
        .size:           8
        .value_kind:     global_buffer
      - .offset:         144
        .size:           4
        .value_kind:     hidden_block_count_x
      - .offset:         148
        .size:           4
        .value_kind:     hidden_block_count_y
      - .offset:         152
        .size:           4
        .value_kind:     hidden_block_count_z
      - .offset:         156
        .size:           2
        .value_kind:     hidden_group_size_x
      - .offset:         158
        .size:           2
        .value_kind:     hidden_group_size_y
      - .offset:         160
        .size:           2
        .value_kind:     hidden_group_size_z
      - .offset:         162
        .size:           2
        .value_kind:     hidden_remainder_x
      - .offset:         164
        .size:           2
        .value_kind:     hidden_remainder_y
      - .offset:         166
        .size:           2
        .value_kind:     hidden_remainder_z
      - .offset:         184
        .size:           8
        .value_kind:     hidden_global_offset_x
      - .offset:         192
        .size:           8
        .value_kind:     hidden_global_offset_y
      - .offset:         200
        .size:           8
        .value_kind:     hidden_global_offset_z
      - .offset:         208
        .size:           2
        .value_kind:     hidden_grid_dims
    .group_segment_fixed_size: 8192
    .kernarg_segment_align: 8
    .kernarg_segment_size: 400
    .language:       OpenCL C
    .language_version:
      - 2
      - 0
    .max_flat_workgroup_size: 256
    .name:           _Z39paged_attention_ll4mi_QKV_mfma16_kernelI14__hip_bfloat16S0_LN4vllm18Fp8KVCacheDataTypeE0EhLi32ELi64ELi256ELb0ELi4EEvPKT_PKT0_S8_ifPKiSA_SA_iPKfiiiPfSD_PS3_PT2_iSC_SC_
    .private_segment_fixed_size: 0
    .sgpr_count:     52
    .sgpr_spill_count: 0
    .symbol:         _Z39paged_attention_ll4mi_QKV_mfma16_kernelI14__hip_bfloat16S0_LN4vllm18Fp8KVCacheDataTypeE0EhLi32ELi64ELi256ELb0ELi4EEvPKT_PKT0_S8_ifPKiSA_SA_iPKfiiiPfSD_PS3_PT2_iSC_SC_.kd
    .uniform_work_group_size: 1
    .uses_dynamic_stack: false
    .vgpr_count:     69
    .vgpr_spill_count: 0
    .wavefront_size: 64
  - .agpr_count:     4
    .args:
      - .actual_access:  read_only
        .address_space:  global
        .offset:         0
        .size:           8
        .value_kind:     global_buffer
      - .actual_access:  read_only
        .address_space:  global
        .offset:         8
        .size:           8
        .value_kind:     global_buffer
      - .actual_access:  read_only
        .address_space:  global
        .offset:         16
        .size:           8
        .value_kind:     global_buffer
      - .offset:         24
        .size:           4
        .value_kind:     by_value
      - .offset:         28
        .size:           4
        .value_kind:     by_value
      - .actual_access:  read_only
        .address_space:  global
        .offset:         32
        .size:           8
        .value_kind:     global_buffer
      - .actual_access:  read_only
        .address_space:  global
        .offset:         40
        .size:           8
        .value_kind:     global_buffer
      - .actual_access:  read_only
        .address_space:  global
        .offset:         48
        .size:           8
        .value_kind:     global_buffer
      - .offset:         56
        .size:           4
        .value_kind:     by_value
      - .actual_access:  read_only
        .address_space:  global
        .offset:         64
        .size:           8
        .value_kind:     global_buffer
      - .offset:         72
        .size:           4
        .value_kind:     by_value
      - .offset:         76
        .size:           4
        .value_kind:     by_value
      - .offset:         80
        .size:           4
        .value_kind:     by_value
      - .actual_access:  write_only
        .address_space:  global
        .offset:         88
        .size:           8
        .value_kind:     global_buffer
      - .actual_access:  write_only
        .address_space:  global
        .offset:         96
        .size:           8
        .value_kind:     global_buffer
      - .actual_access:  write_only
        .address_space:  global
        .offset:         104
        .size:           8
        .value_kind:     global_buffer
      - .actual_access:  read_only
        .address_space:  global
        .offset:         112
        .size:           8
        .value_kind:     global_buffer
      - .offset:         120
        .size:           4
        .value_kind:     by_value
      - .address_space:  global
        .offset:         128
        .size:           8
        .value_kind:     global_buffer
      - .address_space:  global
        .offset:         136
        .size:           8
        .value_kind:     global_buffer
      - .offset:         144
        .size:           4
        .value_kind:     hidden_block_count_x
      - .offset:         148
        .size:           4
        .value_kind:     hidden_block_count_y
      - .offset:         152
        .size:           4
        .value_kind:     hidden_block_count_z
      - .offset:         156
        .size:           2
        .value_kind:     hidden_group_size_x
      - .offset:         158
        .size:           2
        .value_kind:     hidden_group_size_y
      - .offset:         160
        .size:           2
        .value_kind:     hidden_group_size_z
      - .offset:         162
        .size:           2
        .value_kind:     hidden_remainder_x
      - .offset:         164
        .size:           2
        .value_kind:     hidden_remainder_y
      - .offset:         166
        .size:           2
        .value_kind:     hidden_remainder_z
      - .offset:         184
        .size:           8
        .value_kind:     hidden_global_offset_x
      - .offset:         192
        .size:           8
        .value_kind:     hidden_global_offset_y
      - .offset:         200
        .size:           8
        .value_kind:     hidden_global_offset_z
      - .offset:         208
        .size:           2
        .value_kind:     hidden_grid_dims
    .group_segment_fixed_size: 2720
    .kernarg_segment_align: 8
    .kernarg_segment_size: 400
    .language:       OpenCL C
    .language_version:
      - 2
      - 0
    .max_flat_workgroup_size: 256
    .name:           _Z38paged_attention_ll4mi_QKV_mfma4_kernelI14__hip_bfloat16S0_LN4vllm18Fp8KVCacheDataTypeE0ES0_Li32ELi64ELi256ELb1ELi1EEvPKT_PKT0_S8_ifPKiSA_SA_iPKfiiiPfSD_PS3_PT2_iSC_SC_
    .private_segment_fixed_size: 0
    .sgpr_count:     44
    .sgpr_spill_count: 0
    .symbol:         _Z38paged_attention_ll4mi_QKV_mfma4_kernelI14__hip_bfloat16S0_LN4vllm18Fp8KVCacheDataTypeE0ES0_Li32ELi64ELi256ELb1ELi1EEvPKT_PKT0_S8_ifPKiSA_SA_iPKfiiiPfSD_PS3_PT2_iSC_SC_.kd
    .uniform_work_group_size: 1
    .uses_dynamic_stack: false
    .vgpr_count:     60
    .vgpr_spill_count: 0
    .wavefront_size: 64
  - .agpr_count:     4
    .args:
      - .actual_access:  read_only
        .address_space:  global
        .offset:         0
        .size:           8
        .value_kind:     global_buffer
      - .actual_access:  read_only
        .address_space:  global
        .offset:         8
        .size:           8
        .value_kind:     global_buffer
      - .actual_access:  read_only
        .address_space:  global
        .offset:         16
        .size:           8
        .value_kind:     global_buffer
      - .offset:         24
        .size:           4
        .value_kind:     by_value
      - .offset:         28
        .size:           4
        .value_kind:     by_value
      - .actual_access:  read_only
        .address_space:  global
        .offset:         32
        .size:           8
        .value_kind:     global_buffer
      - .actual_access:  read_only
        .address_space:  global
        .offset:         40
        .size:           8
        .value_kind:     global_buffer
      - .actual_access:  read_only
        .address_space:  global
        .offset:         48
        .size:           8
        .value_kind:     global_buffer
      - .offset:         56
        .size:           4
        .value_kind:     by_value
      - .actual_access:  read_only
        .address_space:  global
        .offset:         64
        .size:           8
        .value_kind:     global_buffer
      - .offset:         72
        .size:           4
        .value_kind:     by_value
      - .offset:         76
        .size:           4
        .value_kind:     by_value
      - .offset:         80
        .size:           4
        .value_kind:     by_value
      - .actual_access:  write_only
        .address_space:  global
        .offset:         88
        .size:           8
        .value_kind:     global_buffer
      - .actual_access:  write_only
        .address_space:  global
        .offset:         96
        .size:           8
        .value_kind:     global_buffer
      - .actual_access:  write_only
        .address_space:  global
        .offset:         104
        .size:           8
        .value_kind:     global_buffer
      - .actual_access:  read_only
        .address_space:  global
        .offset:         112
        .size:           8
        .value_kind:     global_buffer
      - .offset:         120
        .size:           4
        .value_kind:     by_value
      - .address_space:  global
        .offset:         128
        .size:           8
        .value_kind:     global_buffer
      - .address_space:  global
        .offset:         136
        .size:           8
        .value_kind:     global_buffer
      - .offset:         144
        .size:           4
        .value_kind:     hidden_block_count_x
      - .offset:         148
        .size:           4
        .value_kind:     hidden_block_count_y
      - .offset:         152
        .size:           4
        .value_kind:     hidden_block_count_z
      - .offset:         156
        .size:           2
        .value_kind:     hidden_group_size_x
      - .offset:         158
        .size:           2
        .value_kind:     hidden_group_size_y
      - .offset:         160
        .size:           2
        .value_kind:     hidden_group_size_z
      - .offset:         162
        .size:           2
        .value_kind:     hidden_remainder_x
      - .offset:         164
        .size:           2
        .value_kind:     hidden_remainder_y
      - .offset:         166
        .size:           2
        .value_kind:     hidden_remainder_z
      - .offset:         184
        .size:           8
        .value_kind:     hidden_global_offset_x
      - .offset:         192
        .size:           8
        .value_kind:     hidden_global_offset_y
      - .offset:         200
        .size:           8
        .value_kind:     hidden_global_offset_z
      - .offset:         208
        .size:           2
        .value_kind:     hidden_grid_dims
    .group_segment_fixed_size: 2720
    .kernarg_segment_align: 8
    .kernarg_segment_size: 400
    .language:       OpenCL C
    .language_version:
      - 2
      - 0
    .max_flat_workgroup_size: 256
    .name:           _Z38paged_attention_ll4mi_QKV_mfma4_kernelI14__hip_bfloat16S0_LN4vllm18Fp8KVCacheDataTypeE0ES0_Li32ELi64ELi256ELb1ELi2EEvPKT_PKT0_S8_ifPKiSA_SA_iPKfiiiPfSD_PS3_PT2_iSC_SC_
    .private_segment_fixed_size: 0
    .sgpr_count:     46
    .sgpr_spill_count: 0
    .symbol:         _Z38paged_attention_ll4mi_QKV_mfma4_kernelI14__hip_bfloat16S0_LN4vllm18Fp8KVCacheDataTypeE0ES0_Li32ELi64ELi256ELb1ELi2EEvPKT_PKT0_S8_ifPKiSA_SA_iPKfiiiPfSD_PS3_PT2_iSC_SC_.kd
    .uniform_work_group_size: 1
    .uses_dynamic_stack: false
    .vgpr_count:     60
    .vgpr_spill_count: 0
    .wavefront_size: 64
  - .agpr_count:     4
    .args:
      - .actual_access:  read_only
        .address_space:  global
        .offset:         0
        .size:           8
        .value_kind:     global_buffer
      - .actual_access:  read_only
        .address_space:  global
        .offset:         8
        .size:           8
        .value_kind:     global_buffer
      - .actual_access:  read_only
        .address_space:  global
        .offset:         16
        .size:           8
        .value_kind:     global_buffer
      - .offset:         24
        .size:           4
        .value_kind:     by_value
      - .offset:         28
        .size:           4
        .value_kind:     by_value
      - .actual_access:  read_only
        .address_space:  global
        .offset:         32
        .size:           8
        .value_kind:     global_buffer
      - .actual_access:  read_only
        .address_space:  global
        .offset:         40
        .size:           8
        .value_kind:     global_buffer
      - .actual_access:  read_only
        .address_space:  global
        .offset:         48
        .size:           8
        .value_kind:     global_buffer
      - .offset:         56
        .size:           4
        .value_kind:     by_value
      - .actual_access:  read_only
        .address_space:  global
        .offset:         64
        .size:           8
        .value_kind:     global_buffer
      - .offset:         72
        .size:           4
        .value_kind:     by_value
      - .offset:         76
        .size:           4
        .value_kind:     by_value
      - .offset:         80
        .size:           4
        .value_kind:     by_value
      - .actual_access:  write_only
        .address_space:  global
        .offset:         88
        .size:           8
        .value_kind:     global_buffer
      - .actual_access:  write_only
        .address_space:  global
        .offset:         96
        .size:           8
        .value_kind:     global_buffer
      - .actual_access:  write_only
        .address_space:  global
        .offset:         104
        .size:           8
        .value_kind:     global_buffer
      - .actual_access:  read_only
        .address_space:  global
        .offset:         112
        .size:           8
        .value_kind:     global_buffer
      - .offset:         120
        .size:           4
        .value_kind:     by_value
      - .address_space:  global
        .offset:         128
        .size:           8
        .value_kind:     global_buffer
      - .address_space:  global
        .offset:         136
        .size:           8
        .value_kind:     global_buffer
      - .offset:         144
        .size:           4
        .value_kind:     hidden_block_count_x
      - .offset:         148
        .size:           4
        .value_kind:     hidden_block_count_y
      - .offset:         152
        .size:           4
        .value_kind:     hidden_block_count_z
      - .offset:         156
        .size:           2
        .value_kind:     hidden_group_size_x
      - .offset:         158
        .size:           2
        .value_kind:     hidden_group_size_y
      - .offset:         160
        .size:           2
        .value_kind:     hidden_group_size_z
      - .offset:         162
        .size:           2
        .value_kind:     hidden_remainder_x
      - .offset:         164
        .size:           2
        .value_kind:     hidden_remainder_y
      - .offset:         166
        .size:           2
        .value_kind:     hidden_remainder_z
      - .offset:         184
        .size:           8
        .value_kind:     hidden_global_offset_x
      - .offset:         192
        .size:           8
        .value_kind:     hidden_global_offset_y
      - .offset:         200
        .size:           8
        .value_kind:     hidden_global_offset_z
      - .offset:         208
        .size:           2
        .value_kind:     hidden_grid_dims
    .group_segment_fixed_size: 2720
    .kernarg_segment_align: 8
    .kernarg_segment_size: 400
    .language:       OpenCL C
    .language_version:
      - 2
      - 0
    .max_flat_workgroup_size: 256
    .name:           _Z38paged_attention_ll4mi_QKV_mfma4_kernelI14__hip_bfloat16S0_LN4vllm18Fp8KVCacheDataTypeE0ES0_Li32ELi64ELi256ELb1ELi3EEvPKT_PKT0_S8_ifPKiSA_SA_iPKfiiiPfSD_PS3_PT2_iSC_SC_
    .private_segment_fixed_size: 0
    .sgpr_count:     46
    .sgpr_spill_count: 0
    .symbol:         _Z38paged_attention_ll4mi_QKV_mfma4_kernelI14__hip_bfloat16S0_LN4vllm18Fp8KVCacheDataTypeE0ES0_Li32ELi64ELi256ELb1ELi3EEvPKT_PKT0_S8_ifPKiSA_SA_iPKfiiiPfSD_PS3_PT2_iSC_SC_.kd
    .uniform_work_group_size: 1
    .uses_dynamic_stack: false
    .vgpr_count:     60
    .vgpr_spill_count: 0
    .wavefront_size: 64
  - .agpr_count:     4
    .args:
      - .actual_access:  read_only
        .address_space:  global
        .offset:         0
        .size:           8
        .value_kind:     global_buffer
      - .actual_access:  read_only
        .address_space:  global
        .offset:         8
        .size:           8
        .value_kind:     global_buffer
      - .actual_access:  read_only
        .address_space:  global
        .offset:         16
        .size:           8
        .value_kind:     global_buffer
      - .offset:         24
        .size:           4
        .value_kind:     by_value
      - .offset:         28
        .size:           4
        .value_kind:     by_value
      - .actual_access:  read_only
        .address_space:  global
        .offset:         32
        .size:           8
        .value_kind:     global_buffer
      - .actual_access:  read_only
        .address_space:  global
        .offset:         40
        .size:           8
        .value_kind:     global_buffer
      - .actual_access:  read_only
        .address_space:  global
        .offset:         48
        .size:           8
        .value_kind:     global_buffer
      - .offset:         56
        .size:           4
        .value_kind:     by_value
      - .actual_access:  read_only
        .address_space:  global
        .offset:         64
        .size:           8
        .value_kind:     global_buffer
      - .offset:         72
        .size:           4
        .value_kind:     by_value
      - .offset:         76
        .size:           4
        .value_kind:     by_value
      - .offset:         80
        .size:           4
        .value_kind:     by_value
      - .actual_access:  write_only
        .address_space:  global
        .offset:         88
        .size:           8
        .value_kind:     global_buffer
      - .actual_access:  write_only
        .address_space:  global
        .offset:         96
        .size:           8
        .value_kind:     global_buffer
      - .actual_access:  write_only
        .address_space:  global
        .offset:         104
        .size:           8
        .value_kind:     global_buffer
      - .actual_access:  read_only
        .address_space:  global
        .offset:         112
        .size:           8
        .value_kind:     global_buffer
      - .offset:         120
        .size:           4
        .value_kind:     by_value
      - .address_space:  global
        .offset:         128
        .size:           8
        .value_kind:     global_buffer
      - .address_space:  global
        .offset:         136
        .size:           8
        .value_kind:     global_buffer
      - .offset:         144
        .size:           4
        .value_kind:     hidden_block_count_x
      - .offset:         148
        .size:           4
        .value_kind:     hidden_block_count_y
      - .offset:         152
        .size:           4
        .value_kind:     hidden_block_count_z
      - .offset:         156
        .size:           2
        .value_kind:     hidden_group_size_x
      - .offset:         158
        .size:           2
        .value_kind:     hidden_group_size_y
      - .offset:         160
        .size:           2
        .value_kind:     hidden_group_size_z
      - .offset:         162
        .size:           2
        .value_kind:     hidden_remainder_x
      - .offset:         164
        .size:           2
        .value_kind:     hidden_remainder_y
      - .offset:         166
        .size:           2
        .value_kind:     hidden_remainder_z
      - .offset:         184
        .size:           8
        .value_kind:     hidden_global_offset_x
      - .offset:         192
        .size:           8
        .value_kind:     hidden_global_offset_y
      - .offset:         200
        .size:           8
        .value_kind:     hidden_global_offset_z
      - .offset:         208
        .size:           2
        .value_kind:     hidden_grid_dims
    .group_segment_fixed_size: 2720
    .kernarg_segment_align: 8
    .kernarg_segment_size: 400
    .language:       OpenCL C
    .language_version:
      - 2
      - 0
    .max_flat_workgroup_size: 256
    .name:           _Z38paged_attention_ll4mi_QKV_mfma4_kernelI14__hip_bfloat16S0_LN4vllm18Fp8KVCacheDataTypeE0ES0_Li32ELi64ELi256ELb1ELi4EEvPKT_PKT0_S8_ifPKiSA_SA_iPKfiiiPfSD_PS3_PT2_iSC_SC_
    .private_segment_fixed_size: 0
    .sgpr_count:     47
    .sgpr_spill_count: 0
    .symbol:         _Z38paged_attention_ll4mi_QKV_mfma4_kernelI14__hip_bfloat16S0_LN4vllm18Fp8KVCacheDataTypeE0ES0_Li32ELi64ELi256ELb1ELi4EEvPKT_PKT0_S8_ifPKiSA_SA_iPKfiiiPfSD_PS3_PT2_iSC_SC_.kd
    .uniform_work_group_size: 1
    .uses_dynamic_stack: false
    .vgpr_count:     72
    .vgpr_spill_count: 0
    .wavefront_size: 64
  - .agpr_count:     0
    .args:
      - .actual_access:  read_only
        .address_space:  global
        .offset:         0
        .size:           8
        .value_kind:     global_buffer
      - .actual_access:  read_only
        .address_space:  global
        .offset:         8
        .size:           8
        .value_kind:     global_buffer
      - .actual_access:  read_only
        .address_space:  global
        .offset:         16
        .size:           8
        .value_kind:     global_buffer
      - .offset:         24
        .size:           4
        .value_kind:     by_value
      - .offset:         28
        .size:           4
        .value_kind:     by_value
      - .actual_access:  read_only
        .address_space:  global
        .offset:         32
        .size:           8
        .value_kind:     global_buffer
      - .actual_access:  read_only
        .address_space:  global
        .offset:         40
        .size:           8
        .value_kind:     global_buffer
      - .actual_access:  read_only
        .address_space:  global
        .offset:         48
        .size:           8
        .value_kind:     global_buffer
      - .offset:         56
        .size:           4
        .value_kind:     by_value
      - .actual_access:  read_only
        .address_space:  global
        .offset:         64
        .size:           8
        .value_kind:     global_buffer
      - .offset:         72
        .size:           4
        .value_kind:     by_value
      - .offset:         76
        .size:           4
        .value_kind:     by_value
      - .offset:         80
        .size:           4
        .value_kind:     by_value
      - .actual_access:  write_only
        .address_space:  global
        .offset:         88
        .size:           8
        .value_kind:     global_buffer
      - .actual_access:  write_only
        .address_space:  global
        .offset:         96
        .size:           8
        .value_kind:     global_buffer
      - .actual_access:  write_only
        .address_space:  global
        .offset:         104
        .size:           8
        .value_kind:     global_buffer
      - .actual_access:  read_only
        .address_space:  global
        .offset:         112
        .size:           8
        .value_kind:     global_buffer
      - .offset:         120
        .size:           4
        .value_kind:     by_value
      - .address_space:  global
        .offset:         128
        .size:           8
        .value_kind:     global_buffer
      - .address_space:  global
        .offset:         136
        .size:           8
        .value_kind:     global_buffer
      - .offset:         144
        .size:           4
        .value_kind:     hidden_block_count_x
      - .offset:         148
        .size:           4
        .value_kind:     hidden_block_count_y
      - .offset:         152
        .size:           4
        .value_kind:     hidden_block_count_z
      - .offset:         156
        .size:           2
        .value_kind:     hidden_group_size_x
      - .offset:         158
        .size:           2
        .value_kind:     hidden_group_size_y
      - .offset:         160
        .size:           2
        .value_kind:     hidden_group_size_z
      - .offset:         162
        .size:           2
        .value_kind:     hidden_remainder_x
      - .offset:         164
        .size:           2
        .value_kind:     hidden_remainder_y
      - .offset:         166
        .size:           2
        .value_kind:     hidden_remainder_z
      - .offset:         184
        .size:           8
        .value_kind:     hidden_global_offset_x
      - .offset:         192
        .size:           8
        .value_kind:     hidden_global_offset_y
      - .offset:         200
        .size:           8
        .value_kind:     hidden_global_offset_z
      - .offset:         208
        .size:           2
        .value_kind:     hidden_grid_dims
    .group_segment_fixed_size: 8192
    .kernarg_segment_align: 8
    .kernarg_segment_size: 400
    .language:       OpenCL C
    .language_version:
      - 2
      - 0
    .max_flat_workgroup_size: 256
    .name:           _Z39paged_attention_ll4mi_QKV_mfma16_kernelI14__hip_bfloat16S0_LN4vllm18Fp8KVCacheDataTypeE0ES0_Li32ELi64ELi256ELb1ELi5EEvPKT_PKT0_S8_ifPKiSA_SA_iPKfiiiPfSD_PS3_PT2_iSC_SC_
    .private_segment_fixed_size: 0
    .sgpr_count:     54
    .sgpr_spill_count: 0
    .symbol:         _Z39paged_attention_ll4mi_QKV_mfma16_kernelI14__hip_bfloat16S0_LN4vllm18Fp8KVCacheDataTypeE0ES0_Li32ELi64ELi256ELb1ELi5EEvPKT_PKT0_S8_ifPKiSA_SA_iPKfiiiPfSD_PS3_PT2_iSC_SC_.kd
    .uniform_work_group_size: 1
    .uses_dynamic_stack: false
    .vgpr_count:     73
    .vgpr_spill_count: 0
    .wavefront_size: 64
  - .agpr_count:     0
    .args:
      - .actual_access:  read_only
        .address_space:  global
        .offset:         0
        .size:           8
        .value_kind:     global_buffer
      - .actual_access:  read_only
        .address_space:  global
        .offset:         8
        .size:           8
        .value_kind:     global_buffer
      - .actual_access:  read_only
        .address_space:  global
        .offset:         16
        .size:           8
        .value_kind:     global_buffer
      - .offset:         24
        .size:           4
        .value_kind:     by_value
      - .offset:         28
        .size:           4
        .value_kind:     by_value
      - .actual_access:  read_only
        .address_space:  global
        .offset:         32
        .size:           8
        .value_kind:     global_buffer
      - .actual_access:  read_only
        .address_space:  global
        .offset:         40
        .size:           8
        .value_kind:     global_buffer
      - .actual_access:  read_only
        .address_space:  global
        .offset:         48
        .size:           8
        .value_kind:     global_buffer
      - .offset:         56
        .size:           4
        .value_kind:     by_value
      - .actual_access:  read_only
        .address_space:  global
        .offset:         64
        .size:           8
        .value_kind:     global_buffer
      - .offset:         72
        .size:           4
        .value_kind:     by_value
      - .offset:         76
        .size:           4
        .value_kind:     by_value
      - .offset:         80
        .size:           4
        .value_kind:     by_value
      - .actual_access:  write_only
        .address_space:  global
        .offset:         88
        .size:           8
        .value_kind:     global_buffer
      - .actual_access:  write_only
        .address_space:  global
        .offset:         96
        .size:           8
        .value_kind:     global_buffer
      - .actual_access:  write_only
        .address_space:  global
        .offset:         104
        .size:           8
        .value_kind:     global_buffer
      - .actual_access:  read_only
        .address_space:  global
        .offset:         112
        .size:           8
        .value_kind:     global_buffer
      - .offset:         120
        .size:           4
        .value_kind:     by_value
      - .address_space:  global
        .offset:         128
        .size:           8
        .value_kind:     global_buffer
      - .address_space:  global
        .offset:         136
        .size:           8
        .value_kind:     global_buffer
      - .offset:         144
        .size:           4
        .value_kind:     hidden_block_count_x
      - .offset:         148
        .size:           4
        .value_kind:     hidden_block_count_y
      - .offset:         152
        .size:           4
        .value_kind:     hidden_block_count_z
      - .offset:         156
        .size:           2
        .value_kind:     hidden_group_size_x
      - .offset:         158
        .size:           2
        .value_kind:     hidden_group_size_y
      - .offset:         160
        .size:           2
        .value_kind:     hidden_group_size_z
      - .offset:         162
        .size:           2
        .value_kind:     hidden_remainder_x
      - .offset:         164
        .size:           2
        .value_kind:     hidden_remainder_y
      - .offset:         166
        .size:           2
        .value_kind:     hidden_remainder_z
      - .offset:         184
        .size:           8
        .value_kind:     hidden_global_offset_x
      - .offset:         192
        .size:           8
        .value_kind:     hidden_global_offset_y
      - .offset:         200
        .size:           8
        .value_kind:     hidden_global_offset_z
      - .offset:         208
        .size:           2
        .value_kind:     hidden_grid_dims
    .group_segment_fixed_size: 8192
    .kernarg_segment_align: 8
    .kernarg_segment_size: 400
    .language:       OpenCL C
    .language_version:
      - 2
      - 0
    .max_flat_workgroup_size: 256
    .name:           _Z39paged_attention_ll4mi_QKV_mfma16_kernelI14__hip_bfloat16S0_LN4vllm18Fp8KVCacheDataTypeE0ES0_Li32ELi64ELi256ELb1ELi6EEvPKT_PKT0_S8_ifPKiSA_SA_iPKfiiiPfSD_PS3_PT2_iSC_SC_
    .private_segment_fixed_size: 0
    .sgpr_count:     54
    .sgpr_spill_count: 0
    .symbol:         _Z39paged_attention_ll4mi_QKV_mfma16_kernelI14__hip_bfloat16S0_LN4vllm18Fp8KVCacheDataTypeE0ES0_Li32ELi64ELi256ELb1ELi6EEvPKT_PKT0_S8_ifPKiSA_SA_iPKfiiiPfSD_PS3_PT2_iSC_SC_.kd
    .uniform_work_group_size: 1
    .uses_dynamic_stack: false
    .vgpr_count:     73
    .vgpr_spill_count: 0
    .wavefront_size: 64
  - .agpr_count:     0
    .args:
      - .actual_access:  read_only
        .address_space:  global
        .offset:         0
        .size:           8
        .value_kind:     global_buffer
      - .actual_access:  read_only
        .address_space:  global
        .offset:         8
        .size:           8
        .value_kind:     global_buffer
      - .actual_access:  read_only
        .address_space:  global
        .offset:         16
        .size:           8
        .value_kind:     global_buffer
      - .offset:         24
        .size:           4
        .value_kind:     by_value
      - .offset:         28
        .size:           4
        .value_kind:     by_value
      - .actual_access:  read_only
        .address_space:  global
        .offset:         32
        .size:           8
        .value_kind:     global_buffer
      - .actual_access:  read_only
        .address_space:  global
        .offset:         40
        .size:           8
        .value_kind:     global_buffer
      - .actual_access:  read_only
        .address_space:  global
        .offset:         48
        .size:           8
        .value_kind:     global_buffer
      - .offset:         56
        .size:           4
        .value_kind:     by_value
      - .actual_access:  read_only
        .address_space:  global
        .offset:         64
        .size:           8
        .value_kind:     global_buffer
      - .offset:         72
        .size:           4
        .value_kind:     by_value
      - .offset:         76
        .size:           4
        .value_kind:     by_value
      - .offset:         80
        .size:           4
        .value_kind:     by_value
      - .actual_access:  write_only
        .address_space:  global
        .offset:         88
        .size:           8
        .value_kind:     global_buffer
      - .actual_access:  write_only
        .address_space:  global
        .offset:         96
        .size:           8
        .value_kind:     global_buffer
      - .actual_access:  write_only
        .address_space:  global
        .offset:         104
        .size:           8
        .value_kind:     global_buffer
      - .actual_access:  read_only
        .address_space:  global
        .offset:         112
        .size:           8
        .value_kind:     global_buffer
      - .offset:         120
        .size:           4
        .value_kind:     by_value
      - .address_space:  global
        .offset:         128
        .size:           8
        .value_kind:     global_buffer
      - .address_space:  global
        .offset:         136
        .size:           8
        .value_kind:     global_buffer
      - .offset:         144
        .size:           4
        .value_kind:     hidden_block_count_x
      - .offset:         148
        .size:           4
        .value_kind:     hidden_block_count_y
      - .offset:         152
        .size:           4
        .value_kind:     hidden_block_count_z
      - .offset:         156
        .size:           2
        .value_kind:     hidden_group_size_x
      - .offset:         158
        .size:           2
        .value_kind:     hidden_group_size_y
      - .offset:         160
        .size:           2
        .value_kind:     hidden_group_size_z
      - .offset:         162
        .size:           2
        .value_kind:     hidden_remainder_x
      - .offset:         164
        .size:           2
        .value_kind:     hidden_remainder_y
      - .offset:         166
        .size:           2
        .value_kind:     hidden_remainder_z
      - .offset:         184
        .size:           8
        .value_kind:     hidden_global_offset_x
      - .offset:         192
        .size:           8
        .value_kind:     hidden_global_offset_y
      - .offset:         200
        .size:           8
        .value_kind:     hidden_global_offset_z
      - .offset:         208
        .size:           2
        .value_kind:     hidden_grid_dims
    .group_segment_fixed_size: 8192
    .kernarg_segment_align: 8
    .kernarg_segment_size: 400
    .language:       OpenCL C
    .language_version:
      - 2
      - 0
    .max_flat_workgroup_size: 256
    .name:           _Z39paged_attention_ll4mi_QKV_mfma16_kernelI14__hip_bfloat16S0_LN4vllm18Fp8KVCacheDataTypeE0ES0_Li32ELi64ELi256ELb1ELi7EEvPKT_PKT0_S8_ifPKiSA_SA_iPKfiiiPfSD_PS3_PT2_iSC_SC_
    .private_segment_fixed_size: 0
    .sgpr_count:     54
    .sgpr_spill_count: 0
    .symbol:         _Z39paged_attention_ll4mi_QKV_mfma16_kernelI14__hip_bfloat16S0_LN4vllm18Fp8KVCacheDataTypeE0ES0_Li32ELi64ELi256ELb1ELi7EEvPKT_PKT0_S8_ifPKiSA_SA_iPKfiiiPfSD_PS3_PT2_iSC_SC_.kd
    .uniform_work_group_size: 1
    .uses_dynamic_stack: false
    .vgpr_count:     73
    .vgpr_spill_count: 0
    .wavefront_size: 64
  - .agpr_count:     0
    .args:
      - .actual_access:  read_only
        .address_space:  global
        .offset:         0
        .size:           8
        .value_kind:     global_buffer
      - .actual_access:  read_only
        .address_space:  global
        .offset:         8
        .size:           8
        .value_kind:     global_buffer
      - .actual_access:  read_only
        .address_space:  global
        .offset:         16
        .size:           8
        .value_kind:     global_buffer
      - .offset:         24
        .size:           4
        .value_kind:     by_value
      - .offset:         28
        .size:           4
        .value_kind:     by_value
      - .actual_access:  read_only
        .address_space:  global
        .offset:         32
        .size:           8
        .value_kind:     global_buffer
      - .actual_access:  read_only
        .address_space:  global
        .offset:         40
        .size:           8
        .value_kind:     global_buffer
      - .actual_access:  read_only
        .address_space:  global
        .offset:         48
        .size:           8
        .value_kind:     global_buffer
      - .offset:         56
        .size:           4
        .value_kind:     by_value
      - .actual_access:  read_only
        .address_space:  global
        .offset:         64
        .size:           8
        .value_kind:     global_buffer
      - .offset:         72
        .size:           4
        .value_kind:     by_value
      - .offset:         76
        .size:           4
        .value_kind:     by_value
      - .offset:         80
        .size:           4
        .value_kind:     by_value
      - .actual_access:  write_only
        .address_space:  global
        .offset:         88
        .size:           8
        .value_kind:     global_buffer
      - .actual_access:  write_only
        .address_space:  global
        .offset:         96
        .size:           8
        .value_kind:     global_buffer
      - .actual_access:  write_only
        .address_space:  global
        .offset:         104
        .size:           8
        .value_kind:     global_buffer
      - .actual_access:  read_only
        .address_space:  global
        .offset:         112
        .size:           8
        .value_kind:     global_buffer
      - .offset:         120
        .size:           4
        .value_kind:     by_value
      - .address_space:  global
        .offset:         128
        .size:           8
        .value_kind:     global_buffer
      - .address_space:  global
        .offset:         136
        .size:           8
        .value_kind:     global_buffer
      - .offset:         144
        .size:           4
        .value_kind:     hidden_block_count_x
      - .offset:         148
        .size:           4
        .value_kind:     hidden_block_count_y
      - .offset:         152
        .size:           4
        .value_kind:     hidden_block_count_z
      - .offset:         156
        .size:           2
        .value_kind:     hidden_group_size_x
      - .offset:         158
        .size:           2
        .value_kind:     hidden_group_size_y
      - .offset:         160
        .size:           2
        .value_kind:     hidden_group_size_z
      - .offset:         162
        .size:           2
        .value_kind:     hidden_remainder_x
      - .offset:         164
        .size:           2
        .value_kind:     hidden_remainder_y
      - .offset:         166
        .size:           2
        .value_kind:     hidden_remainder_z
      - .offset:         184
        .size:           8
        .value_kind:     hidden_global_offset_x
      - .offset:         192
        .size:           8
        .value_kind:     hidden_global_offset_y
      - .offset:         200
        .size:           8
        .value_kind:     hidden_global_offset_z
      - .offset:         208
        .size:           2
        .value_kind:     hidden_grid_dims
    .group_segment_fixed_size: 8192
    .kernarg_segment_align: 8
    .kernarg_segment_size: 400
    .language:       OpenCL C
    .language_version:
      - 2
      - 0
    .max_flat_workgroup_size: 256
    .name:           _Z39paged_attention_ll4mi_QKV_mfma16_kernelI14__hip_bfloat16S0_LN4vllm18Fp8KVCacheDataTypeE0ES0_Li32ELi64ELi256ELb1ELi8EEvPKT_PKT0_S8_ifPKiSA_SA_iPKfiiiPfSD_PS3_PT2_iSC_SC_
    .private_segment_fixed_size: 0
    .sgpr_count:     54
    .sgpr_spill_count: 0
    .symbol:         _Z39paged_attention_ll4mi_QKV_mfma16_kernelI14__hip_bfloat16S0_LN4vllm18Fp8KVCacheDataTypeE0ES0_Li32ELi64ELi256ELb1ELi8EEvPKT_PKT0_S8_ifPKiSA_SA_iPKfiiiPfSD_PS3_PT2_iSC_SC_.kd
    .uniform_work_group_size: 1
    .uses_dynamic_stack: false
    .vgpr_count:     73
    .vgpr_spill_count: 0
    .wavefront_size: 64
  - .agpr_count:     0
    .args:
      - .actual_access:  read_only
        .address_space:  global
        .offset:         0
        .size:           8
        .value_kind:     global_buffer
      - .actual_access:  read_only
        .address_space:  global
        .offset:         8
        .size:           8
        .value_kind:     global_buffer
      - .actual_access:  read_only
        .address_space:  global
        .offset:         16
        .size:           8
        .value_kind:     global_buffer
      - .offset:         24
        .size:           4
        .value_kind:     by_value
      - .offset:         28
        .size:           4
        .value_kind:     by_value
      - .actual_access:  read_only
        .address_space:  global
        .offset:         32
        .size:           8
        .value_kind:     global_buffer
      - .actual_access:  read_only
        .address_space:  global
        .offset:         40
        .size:           8
        .value_kind:     global_buffer
      - .actual_access:  read_only
        .address_space:  global
        .offset:         48
        .size:           8
        .value_kind:     global_buffer
      - .offset:         56
        .size:           4
        .value_kind:     by_value
      - .actual_access:  read_only
        .address_space:  global
        .offset:         64
        .size:           8
        .value_kind:     global_buffer
      - .offset:         72
        .size:           4
        .value_kind:     by_value
      - .offset:         76
        .size:           4
        .value_kind:     by_value
      - .offset:         80
        .size:           4
        .value_kind:     by_value
      - .actual_access:  write_only
        .address_space:  global
        .offset:         88
        .size:           8
        .value_kind:     global_buffer
      - .actual_access:  write_only
        .address_space:  global
        .offset:         96
        .size:           8
        .value_kind:     global_buffer
      - .actual_access:  write_only
        .address_space:  global
        .offset:         104
        .size:           8
        .value_kind:     global_buffer
      - .actual_access:  read_only
        .address_space:  global
        .offset:         112
        .size:           8
        .value_kind:     global_buffer
      - .offset:         120
        .size:           4
        .value_kind:     by_value
      - .address_space:  global
        .offset:         128
        .size:           8
        .value_kind:     global_buffer
      - .address_space:  global
        .offset:         136
        .size:           8
        .value_kind:     global_buffer
      - .offset:         144
        .size:           4
        .value_kind:     hidden_block_count_x
      - .offset:         148
        .size:           4
        .value_kind:     hidden_block_count_y
      - .offset:         152
        .size:           4
        .value_kind:     hidden_block_count_z
      - .offset:         156
        .size:           2
        .value_kind:     hidden_group_size_x
      - .offset:         158
        .size:           2
        .value_kind:     hidden_group_size_y
      - .offset:         160
        .size:           2
        .value_kind:     hidden_group_size_z
      - .offset:         162
        .size:           2
        .value_kind:     hidden_remainder_x
      - .offset:         164
        .size:           2
        .value_kind:     hidden_remainder_y
      - .offset:         166
        .size:           2
        .value_kind:     hidden_remainder_z
      - .offset:         184
        .size:           8
        .value_kind:     hidden_global_offset_x
      - .offset:         192
        .size:           8
        .value_kind:     hidden_global_offset_y
      - .offset:         200
        .size:           8
        .value_kind:     hidden_global_offset_z
      - .offset:         208
        .size:           2
        .value_kind:     hidden_grid_dims
    .group_segment_fixed_size: 8192
    .kernarg_segment_align: 8
    .kernarg_segment_size: 400
    .language:       OpenCL C
    .language_version:
      - 2
      - 0
    .max_flat_workgroup_size: 256
    .name:           _Z39paged_attention_ll4mi_QKV_mfma16_kernelI14__hip_bfloat16S0_LN4vllm18Fp8KVCacheDataTypeE0ES0_Li32ELi64ELi256ELb1ELi9EEvPKT_PKT0_S8_ifPKiSA_SA_iPKfiiiPfSD_PS3_PT2_iSC_SC_
    .private_segment_fixed_size: 0
    .sgpr_count:     54
    .sgpr_spill_count: 0
    .symbol:         _Z39paged_attention_ll4mi_QKV_mfma16_kernelI14__hip_bfloat16S0_LN4vllm18Fp8KVCacheDataTypeE0ES0_Li32ELi64ELi256ELb1ELi9EEvPKT_PKT0_S8_ifPKiSA_SA_iPKfiiiPfSD_PS3_PT2_iSC_SC_.kd
    .uniform_work_group_size: 1
    .uses_dynamic_stack: false
    .vgpr_count:     73
    .vgpr_spill_count: 0
    .wavefront_size: 64
  - .agpr_count:     0
    .args:
      - .actual_access:  read_only
        .address_space:  global
        .offset:         0
        .size:           8
        .value_kind:     global_buffer
      - .actual_access:  read_only
        .address_space:  global
        .offset:         8
        .size:           8
        .value_kind:     global_buffer
      - .actual_access:  read_only
        .address_space:  global
        .offset:         16
        .size:           8
        .value_kind:     global_buffer
      - .offset:         24
        .size:           4
        .value_kind:     by_value
      - .offset:         28
        .size:           4
        .value_kind:     by_value
      - .actual_access:  read_only
        .address_space:  global
        .offset:         32
        .size:           8
        .value_kind:     global_buffer
      - .actual_access:  read_only
        .address_space:  global
        .offset:         40
        .size:           8
        .value_kind:     global_buffer
      - .actual_access:  read_only
        .address_space:  global
        .offset:         48
        .size:           8
        .value_kind:     global_buffer
      - .offset:         56
        .size:           4
        .value_kind:     by_value
      - .actual_access:  read_only
        .address_space:  global
        .offset:         64
        .size:           8
        .value_kind:     global_buffer
      - .offset:         72
        .size:           4
        .value_kind:     by_value
      - .offset:         76
        .size:           4
        .value_kind:     by_value
      - .offset:         80
        .size:           4
        .value_kind:     by_value
      - .actual_access:  write_only
        .address_space:  global
        .offset:         88
        .size:           8
        .value_kind:     global_buffer
      - .actual_access:  write_only
        .address_space:  global
        .offset:         96
        .size:           8
        .value_kind:     global_buffer
      - .actual_access:  write_only
        .address_space:  global
        .offset:         104
        .size:           8
        .value_kind:     global_buffer
      - .actual_access:  read_only
        .address_space:  global
        .offset:         112
        .size:           8
        .value_kind:     global_buffer
      - .offset:         120
        .size:           4
        .value_kind:     by_value
      - .address_space:  global
        .offset:         128
        .size:           8
        .value_kind:     global_buffer
      - .address_space:  global
        .offset:         136
        .size:           8
        .value_kind:     global_buffer
      - .offset:         144
        .size:           4
        .value_kind:     hidden_block_count_x
      - .offset:         148
        .size:           4
        .value_kind:     hidden_block_count_y
      - .offset:         152
        .size:           4
        .value_kind:     hidden_block_count_z
      - .offset:         156
        .size:           2
        .value_kind:     hidden_group_size_x
      - .offset:         158
        .size:           2
        .value_kind:     hidden_group_size_y
      - .offset:         160
        .size:           2
        .value_kind:     hidden_group_size_z
      - .offset:         162
        .size:           2
        .value_kind:     hidden_remainder_x
      - .offset:         164
        .size:           2
        .value_kind:     hidden_remainder_y
      - .offset:         166
        .size:           2
        .value_kind:     hidden_remainder_z
      - .offset:         184
        .size:           8
        .value_kind:     hidden_global_offset_x
      - .offset:         192
        .size:           8
        .value_kind:     hidden_global_offset_y
      - .offset:         200
        .size:           8
        .value_kind:     hidden_global_offset_z
      - .offset:         208
        .size:           2
        .value_kind:     hidden_grid_dims
    .group_segment_fixed_size: 8192
    .kernarg_segment_align: 8
    .kernarg_segment_size: 400
    .language:       OpenCL C
    .language_version:
      - 2
      - 0
    .max_flat_workgroup_size: 256
    .name:           _Z39paged_attention_ll4mi_QKV_mfma16_kernelI14__hip_bfloat16S0_LN4vllm18Fp8KVCacheDataTypeE0ES0_Li32ELi64ELi256ELb1ELi10EEvPKT_PKT0_S8_ifPKiSA_SA_iPKfiiiPfSD_PS3_PT2_iSC_SC_
    .private_segment_fixed_size: 0
    .sgpr_count:     54
    .sgpr_spill_count: 0
    .symbol:         _Z39paged_attention_ll4mi_QKV_mfma16_kernelI14__hip_bfloat16S0_LN4vllm18Fp8KVCacheDataTypeE0ES0_Li32ELi64ELi256ELb1ELi10EEvPKT_PKT0_S8_ifPKiSA_SA_iPKfiiiPfSD_PS3_PT2_iSC_SC_.kd
    .uniform_work_group_size: 1
    .uses_dynamic_stack: false
    .vgpr_count:     73
    .vgpr_spill_count: 0
    .wavefront_size: 64
  - .agpr_count:     0
    .args:
      - .actual_access:  read_only
        .address_space:  global
        .offset:         0
        .size:           8
        .value_kind:     global_buffer
      - .actual_access:  read_only
        .address_space:  global
        .offset:         8
        .size:           8
        .value_kind:     global_buffer
      - .actual_access:  read_only
        .address_space:  global
        .offset:         16
        .size:           8
        .value_kind:     global_buffer
      - .offset:         24
        .size:           4
        .value_kind:     by_value
      - .offset:         28
        .size:           4
        .value_kind:     by_value
      - .actual_access:  read_only
        .address_space:  global
        .offset:         32
        .size:           8
        .value_kind:     global_buffer
      - .actual_access:  read_only
        .address_space:  global
        .offset:         40
        .size:           8
        .value_kind:     global_buffer
      - .actual_access:  read_only
        .address_space:  global
        .offset:         48
        .size:           8
        .value_kind:     global_buffer
      - .offset:         56
        .size:           4
        .value_kind:     by_value
      - .actual_access:  read_only
        .address_space:  global
        .offset:         64
        .size:           8
        .value_kind:     global_buffer
      - .offset:         72
        .size:           4
        .value_kind:     by_value
      - .offset:         76
        .size:           4
        .value_kind:     by_value
      - .offset:         80
        .size:           4
        .value_kind:     by_value
      - .actual_access:  write_only
        .address_space:  global
        .offset:         88
        .size:           8
        .value_kind:     global_buffer
      - .actual_access:  write_only
        .address_space:  global
        .offset:         96
        .size:           8
        .value_kind:     global_buffer
      - .actual_access:  write_only
        .address_space:  global
        .offset:         104
        .size:           8
        .value_kind:     global_buffer
      - .actual_access:  read_only
        .address_space:  global
        .offset:         112
        .size:           8
        .value_kind:     global_buffer
      - .offset:         120
        .size:           4
        .value_kind:     by_value
      - .address_space:  global
        .offset:         128
        .size:           8
        .value_kind:     global_buffer
      - .address_space:  global
        .offset:         136
        .size:           8
        .value_kind:     global_buffer
      - .offset:         144
        .size:           4
        .value_kind:     hidden_block_count_x
      - .offset:         148
        .size:           4
        .value_kind:     hidden_block_count_y
      - .offset:         152
        .size:           4
        .value_kind:     hidden_block_count_z
      - .offset:         156
        .size:           2
        .value_kind:     hidden_group_size_x
      - .offset:         158
        .size:           2
        .value_kind:     hidden_group_size_y
      - .offset:         160
        .size:           2
        .value_kind:     hidden_group_size_z
      - .offset:         162
        .size:           2
        .value_kind:     hidden_remainder_x
      - .offset:         164
        .size:           2
        .value_kind:     hidden_remainder_y
      - .offset:         166
        .size:           2
        .value_kind:     hidden_remainder_z
      - .offset:         184
        .size:           8
        .value_kind:     hidden_global_offset_x
      - .offset:         192
        .size:           8
        .value_kind:     hidden_global_offset_y
      - .offset:         200
        .size:           8
        .value_kind:     hidden_global_offset_z
      - .offset:         208
        .size:           2
        .value_kind:     hidden_grid_dims
    .group_segment_fixed_size: 8192
    .kernarg_segment_align: 8
    .kernarg_segment_size: 400
    .language:       OpenCL C
    .language_version:
      - 2
      - 0
    .max_flat_workgroup_size: 256
    .name:           _Z39paged_attention_ll4mi_QKV_mfma16_kernelI14__hip_bfloat16S0_LN4vllm18Fp8KVCacheDataTypeE0ES0_Li32ELi64ELi256ELb1ELi11EEvPKT_PKT0_S8_ifPKiSA_SA_iPKfiiiPfSD_PS3_PT2_iSC_SC_
    .private_segment_fixed_size: 0
    .sgpr_count:     54
    .sgpr_spill_count: 0
    .symbol:         _Z39paged_attention_ll4mi_QKV_mfma16_kernelI14__hip_bfloat16S0_LN4vllm18Fp8KVCacheDataTypeE0ES0_Li32ELi64ELi256ELb1ELi11EEvPKT_PKT0_S8_ifPKiSA_SA_iPKfiiiPfSD_PS3_PT2_iSC_SC_.kd
    .uniform_work_group_size: 1
    .uses_dynamic_stack: false
    .vgpr_count:     73
    .vgpr_spill_count: 0
    .wavefront_size: 64
  - .agpr_count:     0
    .args:
      - .actual_access:  read_only
        .address_space:  global
        .offset:         0
        .size:           8
        .value_kind:     global_buffer
      - .actual_access:  read_only
        .address_space:  global
        .offset:         8
        .size:           8
        .value_kind:     global_buffer
      - .actual_access:  read_only
        .address_space:  global
        .offset:         16
        .size:           8
        .value_kind:     global_buffer
      - .offset:         24
        .size:           4
        .value_kind:     by_value
      - .offset:         28
        .size:           4
        .value_kind:     by_value
      - .actual_access:  read_only
        .address_space:  global
        .offset:         32
        .size:           8
        .value_kind:     global_buffer
      - .actual_access:  read_only
        .address_space:  global
        .offset:         40
        .size:           8
        .value_kind:     global_buffer
      - .actual_access:  read_only
        .address_space:  global
        .offset:         48
        .size:           8
        .value_kind:     global_buffer
      - .offset:         56
        .size:           4
        .value_kind:     by_value
      - .actual_access:  read_only
        .address_space:  global
        .offset:         64
        .size:           8
        .value_kind:     global_buffer
      - .offset:         72
        .size:           4
        .value_kind:     by_value
      - .offset:         76
        .size:           4
        .value_kind:     by_value
      - .offset:         80
        .size:           4
        .value_kind:     by_value
      - .actual_access:  write_only
        .address_space:  global
        .offset:         88
        .size:           8
        .value_kind:     global_buffer
      - .actual_access:  write_only
        .address_space:  global
        .offset:         96
        .size:           8
        .value_kind:     global_buffer
      - .actual_access:  write_only
        .address_space:  global
        .offset:         104
        .size:           8
        .value_kind:     global_buffer
      - .actual_access:  read_only
        .address_space:  global
        .offset:         112
        .size:           8
        .value_kind:     global_buffer
      - .offset:         120
        .size:           4
        .value_kind:     by_value
      - .address_space:  global
        .offset:         128
        .size:           8
        .value_kind:     global_buffer
      - .address_space:  global
        .offset:         136
        .size:           8
        .value_kind:     global_buffer
      - .offset:         144
        .size:           4
        .value_kind:     hidden_block_count_x
      - .offset:         148
        .size:           4
        .value_kind:     hidden_block_count_y
      - .offset:         152
        .size:           4
        .value_kind:     hidden_block_count_z
      - .offset:         156
        .size:           2
        .value_kind:     hidden_group_size_x
      - .offset:         158
        .size:           2
        .value_kind:     hidden_group_size_y
      - .offset:         160
        .size:           2
        .value_kind:     hidden_group_size_z
      - .offset:         162
        .size:           2
        .value_kind:     hidden_remainder_x
      - .offset:         164
        .size:           2
        .value_kind:     hidden_remainder_y
      - .offset:         166
        .size:           2
        .value_kind:     hidden_remainder_z
      - .offset:         184
        .size:           8
        .value_kind:     hidden_global_offset_x
      - .offset:         192
        .size:           8
        .value_kind:     hidden_global_offset_y
      - .offset:         200
        .size:           8
        .value_kind:     hidden_global_offset_z
      - .offset:         208
        .size:           2
        .value_kind:     hidden_grid_dims
    .group_segment_fixed_size: 8192
    .kernarg_segment_align: 8
    .kernarg_segment_size: 400
    .language:       OpenCL C
    .language_version:
      - 2
      - 0
    .max_flat_workgroup_size: 256
    .name:           _Z39paged_attention_ll4mi_QKV_mfma16_kernelI14__hip_bfloat16S0_LN4vllm18Fp8KVCacheDataTypeE0ES0_Li32ELi64ELi256ELb1ELi12EEvPKT_PKT0_S8_ifPKiSA_SA_iPKfiiiPfSD_PS3_PT2_iSC_SC_
    .private_segment_fixed_size: 0
    .sgpr_count:     54
    .sgpr_spill_count: 0
    .symbol:         _Z39paged_attention_ll4mi_QKV_mfma16_kernelI14__hip_bfloat16S0_LN4vllm18Fp8KVCacheDataTypeE0ES0_Li32ELi64ELi256ELb1ELi12EEvPKT_PKT0_S8_ifPKiSA_SA_iPKfiiiPfSD_PS3_PT2_iSC_SC_.kd
    .uniform_work_group_size: 1
    .uses_dynamic_stack: false
    .vgpr_count:     73
    .vgpr_spill_count: 0
    .wavefront_size: 64
  - .agpr_count:     0
    .args:
      - .actual_access:  read_only
        .address_space:  global
        .offset:         0
        .size:           8
        .value_kind:     global_buffer
      - .actual_access:  read_only
        .address_space:  global
        .offset:         8
        .size:           8
        .value_kind:     global_buffer
      - .actual_access:  read_only
        .address_space:  global
        .offset:         16
        .size:           8
        .value_kind:     global_buffer
      - .offset:         24
        .size:           4
        .value_kind:     by_value
      - .offset:         28
        .size:           4
        .value_kind:     by_value
      - .actual_access:  read_only
        .address_space:  global
        .offset:         32
        .size:           8
        .value_kind:     global_buffer
      - .actual_access:  read_only
        .address_space:  global
        .offset:         40
        .size:           8
        .value_kind:     global_buffer
      - .actual_access:  read_only
        .address_space:  global
        .offset:         48
        .size:           8
        .value_kind:     global_buffer
      - .offset:         56
        .size:           4
        .value_kind:     by_value
      - .actual_access:  read_only
        .address_space:  global
        .offset:         64
        .size:           8
        .value_kind:     global_buffer
      - .offset:         72
        .size:           4
        .value_kind:     by_value
      - .offset:         76
        .size:           4
        .value_kind:     by_value
      - .offset:         80
        .size:           4
        .value_kind:     by_value
      - .actual_access:  write_only
        .address_space:  global
        .offset:         88
        .size:           8
        .value_kind:     global_buffer
      - .actual_access:  write_only
        .address_space:  global
        .offset:         96
        .size:           8
        .value_kind:     global_buffer
      - .actual_access:  write_only
        .address_space:  global
        .offset:         104
        .size:           8
        .value_kind:     global_buffer
      - .actual_access:  read_only
        .address_space:  global
        .offset:         112
        .size:           8
        .value_kind:     global_buffer
      - .offset:         120
        .size:           4
        .value_kind:     by_value
      - .address_space:  global
        .offset:         128
        .size:           8
        .value_kind:     global_buffer
      - .address_space:  global
        .offset:         136
        .size:           8
        .value_kind:     global_buffer
      - .offset:         144
        .size:           4
        .value_kind:     hidden_block_count_x
      - .offset:         148
        .size:           4
        .value_kind:     hidden_block_count_y
      - .offset:         152
        .size:           4
        .value_kind:     hidden_block_count_z
      - .offset:         156
        .size:           2
        .value_kind:     hidden_group_size_x
      - .offset:         158
        .size:           2
        .value_kind:     hidden_group_size_y
      - .offset:         160
        .size:           2
        .value_kind:     hidden_group_size_z
      - .offset:         162
        .size:           2
        .value_kind:     hidden_remainder_x
      - .offset:         164
        .size:           2
        .value_kind:     hidden_remainder_y
      - .offset:         166
        .size:           2
        .value_kind:     hidden_remainder_z
      - .offset:         184
        .size:           8
        .value_kind:     hidden_global_offset_x
      - .offset:         192
        .size:           8
        .value_kind:     hidden_global_offset_y
      - .offset:         200
        .size:           8
        .value_kind:     hidden_global_offset_z
      - .offset:         208
        .size:           2
        .value_kind:     hidden_grid_dims
    .group_segment_fixed_size: 8192
    .kernarg_segment_align: 8
    .kernarg_segment_size: 400
    .language:       OpenCL C
    .language_version:
      - 2
      - 0
    .max_flat_workgroup_size: 256
    .name:           _Z39paged_attention_ll4mi_QKV_mfma16_kernelI14__hip_bfloat16S0_LN4vllm18Fp8KVCacheDataTypeE0ES0_Li32ELi64ELi256ELb1ELi13EEvPKT_PKT0_S8_ifPKiSA_SA_iPKfiiiPfSD_PS3_PT2_iSC_SC_
    .private_segment_fixed_size: 0
    .sgpr_count:     54
    .sgpr_spill_count: 0
    .symbol:         _Z39paged_attention_ll4mi_QKV_mfma16_kernelI14__hip_bfloat16S0_LN4vllm18Fp8KVCacheDataTypeE0ES0_Li32ELi64ELi256ELb1ELi13EEvPKT_PKT0_S8_ifPKiSA_SA_iPKfiiiPfSD_PS3_PT2_iSC_SC_.kd
    .uniform_work_group_size: 1
    .uses_dynamic_stack: false
    .vgpr_count:     73
    .vgpr_spill_count: 0
    .wavefront_size: 64
  - .agpr_count:     0
    .args:
      - .actual_access:  read_only
        .address_space:  global
        .offset:         0
        .size:           8
        .value_kind:     global_buffer
      - .actual_access:  read_only
        .address_space:  global
        .offset:         8
        .size:           8
        .value_kind:     global_buffer
      - .actual_access:  read_only
        .address_space:  global
        .offset:         16
        .size:           8
        .value_kind:     global_buffer
      - .offset:         24
        .size:           4
        .value_kind:     by_value
      - .offset:         28
        .size:           4
        .value_kind:     by_value
      - .actual_access:  read_only
        .address_space:  global
        .offset:         32
        .size:           8
        .value_kind:     global_buffer
      - .actual_access:  read_only
        .address_space:  global
        .offset:         40
        .size:           8
        .value_kind:     global_buffer
      - .actual_access:  read_only
        .address_space:  global
        .offset:         48
        .size:           8
        .value_kind:     global_buffer
      - .offset:         56
        .size:           4
        .value_kind:     by_value
      - .actual_access:  read_only
        .address_space:  global
        .offset:         64
        .size:           8
        .value_kind:     global_buffer
      - .offset:         72
        .size:           4
        .value_kind:     by_value
      - .offset:         76
        .size:           4
        .value_kind:     by_value
      - .offset:         80
        .size:           4
        .value_kind:     by_value
      - .actual_access:  write_only
        .address_space:  global
        .offset:         88
        .size:           8
        .value_kind:     global_buffer
      - .actual_access:  write_only
        .address_space:  global
        .offset:         96
        .size:           8
        .value_kind:     global_buffer
      - .actual_access:  write_only
        .address_space:  global
        .offset:         104
        .size:           8
        .value_kind:     global_buffer
      - .actual_access:  read_only
        .address_space:  global
        .offset:         112
        .size:           8
        .value_kind:     global_buffer
      - .offset:         120
        .size:           4
        .value_kind:     by_value
      - .address_space:  global
        .offset:         128
        .size:           8
        .value_kind:     global_buffer
      - .address_space:  global
        .offset:         136
        .size:           8
        .value_kind:     global_buffer
      - .offset:         144
        .size:           4
        .value_kind:     hidden_block_count_x
      - .offset:         148
        .size:           4
        .value_kind:     hidden_block_count_y
      - .offset:         152
        .size:           4
        .value_kind:     hidden_block_count_z
      - .offset:         156
        .size:           2
        .value_kind:     hidden_group_size_x
      - .offset:         158
        .size:           2
        .value_kind:     hidden_group_size_y
      - .offset:         160
        .size:           2
        .value_kind:     hidden_group_size_z
      - .offset:         162
        .size:           2
        .value_kind:     hidden_remainder_x
      - .offset:         164
        .size:           2
        .value_kind:     hidden_remainder_y
      - .offset:         166
        .size:           2
        .value_kind:     hidden_remainder_z
      - .offset:         184
        .size:           8
        .value_kind:     hidden_global_offset_x
      - .offset:         192
        .size:           8
        .value_kind:     hidden_global_offset_y
      - .offset:         200
        .size:           8
        .value_kind:     hidden_global_offset_z
      - .offset:         208
        .size:           2
        .value_kind:     hidden_grid_dims
    .group_segment_fixed_size: 8192
    .kernarg_segment_align: 8
    .kernarg_segment_size: 400
    .language:       OpenCL C
    .language_version:
      - 2
      - 0
    .max_flat_workgroup_size: 256
    .name:           _Z39paged_attention_ll4mi_QKV_mfma16_kernelI14__hip_bfloat16S0_LN4vllm18Fp8KVCacheDataTypeE0ES0_Li32ELi64ELi256ELb1ELi14EEvPKT_PKT0_S8_ifPKiSA_SA_iPKfiiiPfSD_PS3_PT2_iSC_SC_
    .private_segment_fixed_size: 0
    .sgpr_count:     54
    .sgpr_spill_count: 0
    .symbol:         _Z39paged_attention_ll4mi_QKV_mfma16_kernelI14__hip_bfloat16S0_LN4vllm18Fp8KVCacheDataTypeE0ES0_Li32ELi64ELi256ELb1ELi14EEvPKT_PKT0_S8_ifPKiSA_SA_iPKfiiiPfSD_PS3_PT2_iSC_SC_.kd
    .uniform_work_group_size: 1
    .uses_dynamic_stack: false
    .vgpr_count:     73
    .vgpr_spill_count: 0
    .wavefront_size: 64
  - .agpr_count:     0
    .args:
      - .actual_access:  read_only
        .address_space:  global
        .offset:         0
        .size:           8
        .value_kind:     global_buffer
      - .actual_access:  read_only
        .address_space:  global
        .offset:         8
        .size:           8
        .value_kind:     global_buffer
      - .actual_access:  read_only
        .address_space:  global
        .offset:         16
        .size:           8
        .value_kind:     global_buffer
      - .offset:         24
        .size:           4
        .value_kind:     by_value
      - .offset:         28
        .size:           4
        .value_kind:     by_value
      - .actual_access:  read_only
        .address_space:  global
        .offset:         32
        .size:           8
        .value_kind:     global_buffer
      - .actual_access:  read_only
        .address_space:  global
        .offset:         40
        .size:           8
        .value_kind:     global_buffer
      - .actual_access:  read_only
        .address_space:  global
        .offset:         48
        .size:           8
        .value_kind:     global_buffer
      - .offset:         56
        .size:           4
        .value_kind:     by_value
      - .actual_access:  read_only
        .address_space:  global
        .offset:         64
        .size:           8
        .value_kind:     global_buffer
      - .offset:         72
        .size:           4
        .value_kind:     by_value
      - .offset:         76
        .size:           4
        .value_kind:     by_value
      - .offset:         80
        .size:           4
        .value_kind:     by_value
      - .actual_access:  write_only
        .address_space:  global
        .offset:         88
        .size:           8
        .value_kind:     global_buffer
      - .actual_access:  write_only
        .address_space:  global
        .offset:         96
        .size:           8
        .value_kind:     global_buffer
      - .actual_access:  write_only
        .address_space:  global
        .offset:         104
        .size:           8
        .value_kind:     global_buffer
      - .actual_access:  read_only
        .address_space:  global
        .offset:         112
        .size:           8
        .value_kind:     global_buffer
      - .offset:         120
        .size:           4
        .value_kind:     by_value
      - .address_space:  global
        .offset:         128
        .size:           8
        .value_kind:     global_buffer
      - .address_space:  global
        .offset:         136
        .size:           8
        .value_kind:     global_buffer
      - .offset:         144
        .size:           4
        .value_kind:     hidden_block_count_x
      - .offset:         148
        .size:           4
        .value_kind:     hidden_block_count_y
      - .offset:         152
        .size:           4
        .value_kind:     hidden_block_count_z
      - .offset:         156
        .size:           2
        .value_kind:     hidden_group_size_x
      - .offset:         158
        .size:           2
        .value_kind:     hidden_group_size_y
      - .offset:         160
        .size:           2
        .value_kind:     hidden_group_size_z
      - .offset:         162
        .size:           2
        .value_kind:     hidden_remainder_x
      - .offset:         164
        .size:           2
        .value_kind:     hidden_remainder_y
      - .offset:         166
        .size:           2
        .value_kind:     hidden_remainder_z
      - .offset:         184
        .size:           8
        .value_kind:     hidden_global_offset_x
      - .offset:         192
        .size:           8
        .value_kind:     hidden_global_offset_y
      - .offset:         200
        .size:           8
        .value_kind:     hidden_global_offset_z
      - .offset:         208
        .size:           2
        .value_kind:     hidden_grid_dims
    .group_segment_fixed_size: 8192
    .kernarg_segment_align: 8
    .kernarg_segment_size: 400
    .language:       OpenCL C
    .language_version:
      - 2
      - 0
    .max_flat_workgroup_size: 256
    .name:           _Z39paged_attention_ll4mi_QKV_mfma16_kernelI14__hip_bfloat16S0_LN4vllm18Fp8KVCacheDataTypeE0ES0_Li32ELi64ELi256ELb1ELi15EEvPKT_PKT0_S8_ifPKiSA_SA_iPKfiiiPfSD_PS3_PT2_iSC_SC_
    .private_segment_fixed_size: 0
    .sgpr_count:     54
    .sgpr_spill_count: 0
    .symbol:         _Z39paged_attention_ll4mi_QKV_mfma16_kernelI14__hip_bfloat16S0_LN4vllm18Fp8KVCacheDataTypeE0ES0_Li32ELi64ELi256ELb1ELi15EEvPKT_PKT0_S8_ifPKiSA_SA_iPKfiiiPfSD_PS3_PT2_iSC_SC_.kd
    .uniform_work_group_size: 1
    .uses_dynamic_stack: false
    .vgpr_count:     73
    .vgpr_spill_count: 0
    .wavefront_size: 64
  - .agpr_count:     0
    .args:
      - .actual_access:  read_only
        .address_space:  global
        .offset:         0
        .size:           8
        .value_kind:     global_buffer
      - .actual_access:  read_only
        .address_space:  global
        .offset:         8
        .size:           8
        .value_kind:     global_buffer
      - .actual_access:  read_only
        .address_space:  global
        .offset:         16
        .size:           8
        .value_kind:     global_buffer
      - .offset:         24
        .size:           4
        .value_kind:     by_value
      - .offset:         28
        .size:           4
        .value_kind:     by_value
      - .actual_access:  read_only
        .address_space:  global
        .offset:         32
        .size:           8
        .value_kind:     global_buffer
      - .actual_access:  read_only
        .address_space:  global
        .offset:         40
        .size:           8
        .value_kind:     global_buffer
      - .actual_access:  read_only
        .address_space:  global
        .offset:         48
        .size:           8
        .value_kind:     global_buffer
      - .offset:         56
        .size:           4
        .value_kind:     by_value
      - .actual_access:  read_only
        .address_space:  global
        .offset:         64
        .size:           8
        .value_kind:     global_buffer
      - .offset:         72
        .size:           4
        .value_kind:     by_value
      - .offset:         76
        .size:           4
        .value_kind:     by_value
      - .offset:         80
        .size:           4
        .value_kind:     by_value
      - .actual_access:  write_only
        .address_space:  global
        .offset:         88
        .size:           8
        .value_kind:     global_buffer
      - .actual_access:  write_only
        .address_space:  global
        .offset:         96
        .size:           8
        .value_kind:     global_buffer
      - .actual_access:  write_only
        .address_space:  global
        .offset:         104
        .size:           8
        .value_kind:     global_buffer
      - .actual_access:  read_only
        .address_space:  global
        .offset:         112
        .size:           8
        .value_kind:     global_buffer
      - .offset:         120
        .size:           4
        .value_kind:     by_value
      - .address_space:  global
        .offset:         128
        .size:           8
        .value_kind:     global_buffer
      - .address_space:  global
        .offset:         136
        .size:           8
        .value_kind:     global_buffer
      - .offset:         144
        .size:           4
        .value_kind:     hidden_block_count_x
      - .offset:         148
        .size:           4
        .value_kind:     hidden_block_count_y
      - .offset:         152
        .size:           4
        .value_kind:     hidden_block_count_z
      - .offset:         156
        .size:           2
        .value_kind:     hidden_group_size_x
      - .offset:         158
        .size:           2
        .value_kind:     hidden_group_size_y
      - .offset:         160
        .size:           2
        .value_kind:     hidden_group_size_z
      - .offset:         162
        .size:           2
        .value_kind:     hidden_remainder_x
      - .offset:         164
        .size:           2
        .value_kind:     hidden_remainder_y
      - .offset:         166
        .size:           2
        .value_kind:     hidden_remainder_z
      - .offset:         184
        .size:           8
        .value_kind:     hidden_global_offset_x
      - .offset:         192
        .size:           8
        .value_kind:     hidden_global_offset_y
      - .offset:         200
        .size:           8
        .value_kind:     hidden_global_offset_z
      - .offset:         208
        .size:           2
        .value_kind:     hidden_grid_dims
    .group_segment_fixed_size: 8192
    .kernarg_segment_align: 8
    .kernarg_segment_size: 400
    .language:       OpenCL C
    .language_version:
      - 2
      - 0
    .max_flat_workgroup_size: 256
    .name:           _Z39paged_attention_ll4mi_QKV_mfma16_kernelI14__hip_bfloat16S0_LN4vllm18Fp8KVCacheDataTypeE0ES0_Li32ELi64ELi256ELb1ELi16EEvPKT_PKT0_S8_ifPKiSA_SA_iPKfiiiPfSD_PS3_PT2_iSC_SC_
    .private_segment_fixed_size: 0
    .sgpr_count:     54
    .sgpr_spill_count: 0
    .symbol:         _Z39paged_attention_ll4mi_QKV_mfma16_kernelI14__hip_bfloat16S0_LN4vllm18Fp8KVCacheDataTypeE0ES0_Li32ELi64ELi256ELb1ELi16EEvPKT_PKT0_S8_ifPKiSA_SA_iPKfiiiPfSD_PS3_PT2_iSC_SC_.kd
    .uniform_work_group_size: 1
    .uses_dynamic_stack: false
    .vgpr_count:     68
    .vgpr_spill_count: 0
    .wavefront_size: 64
  - .agpr_count:     0
    .args:
      - .actual_access:  read_only
        .address_space:  global
        .offset:         0
        .size:           8
        .value_kind:     global_buffer
      - .actual_access:  read_only
        .address_space:  global
        .offset:         8
        .size:           8
        .value_kind:     global_buffer
      - .actual_access:  read_only
        .address_space:  global
        .offset:         16
        .size:           8
        .value_kind:     global_buffer
      - .offset:         24
        .size:           4
        .value_kind:     by_value
      - .offset:         28
        .size:           4
        .value_kind:     by_value
      - .actual_access:  read_only
        .address_space:  global
        .offset:         32
        .size:           8
        .value_kind:     global_buffer
      - .actual_access:  read_only
        .address_space:  global
        .offset:         40
        .size:           8
        .value_kind:     global_buffer
      - .actual_access:  read_only
        .address_space:  global
        .offset:         48
        .size:           8
        .value_kind:     global_buffer
      - .offset:         56
        .size:           4
        .value_kind:     by_value
      - .actual_access:  read_only
        .address_space:  global
        .offset:         64
        .size:           8
        .value_kind:     global_buffer
      - .offset:         72
        .size:           4
        .value_kind:     by_value
      - .offset:         76
        .size:           4
        .value_kind:     by_value
      - .offset:         80
        .size:           4
        .value_kind:     by_value
      - .actual_access:  write_only
        .address_space:  global
        .offset:         88
        .size:           8
        .value_kind:     global_buffer
      - .actual_access:  write_only
        .address_space:  global
        .offset:         96
        .size:           8
        .value_kind:     global_buffer
      - .actual_access:  write_only
        .address_space:  global
        .offset:         104
        .size:           8
        .value_kind:     global_buffer
      - .actual_access:  read_only
        .address_space:  global
        .offset:         112
        .size:           8
        .value_kind:     global_buffer
      - .offset:         120
        .size:           4
        .value_kind:     by_value
      - .address_space:  global
        .offset:         128
        .size:           8
        .value_kind:     global_buffer
      - .address_space:  global
        .offset:         136
        .size:           8
        .value_kind:     global_buffer
      - .offset:         144
        .size:           4
        .value_kind:     hidden_block_count_x
      - .offset:         148
        .size:           4
        .value_kind:     hidden_block_count_y
      - .offset:         152
        .size:           4
        .value_kind:     hidden_block_count_z
      - .offset:         156
        .size:           2
        .value_kind:     hidden_group_size_x
      - .offset:         158
        .size:           2
        .value_kind:     hidden_group_size_y
      - .offset:         160
        .size:           2
        .value_kind:     hidden_group_size_z
      - .offset:         162
        .size:           2
        .value_kind:     hidden_remainder_x
      - .offset:         164
        .size:           2
        .value_kind:     hidden_remainder_y
      - .offset:         166
        .size:           2
        .value_kind:     hidden_remainder_z
      - .offset:         184
        .size:           8
        .value_kind:     hidden_global_offset_x
      - .offset:         192
        .size:           8
        .value_kind:     hidden_global_offset_y
      - .offset:         200
        .size:           8
        .value_kind:     hidden_global_offset_z
      - .offset:         208
        .size:           2
        .value_kind:     hidden_grid_dims
    .group_segment_fixed_size: 8192
    .kernarg_segment_align: 8
    .kernarg_segment_size: 400
    .language:       OpenCL C
    .language_version:
      - 2
      - 0
    .max_flat_workgroup_size: 256
    .name:           _Z39paged_attention_ll4mi_QKV_mfma16_kernelI14__hip_bfloat16S0_LN4vllm18Fp8KVCacheDataTypeE0ES0_Li32ELi64ELi256ELb1ELi1EEvPKT_PKT0_S8_ifPKiSA_SA_iPKfiiiPfSD_PS3_PT2_iSC_SC_
    .private_segment_fixed_size: 0
    .sgpr_count:     54
    .sgpr_spill_count: 0
    .symbol:         _Z39paged_attention_ll4mi_QKV_mfma16_kernelI14__hip_bfloat16S0_LN4vllm18Fp8KVCacheDataTypeE0ES0_Li32ELi64ELi256ELb1ELi1EEvPKT_PKT0_S8_ifPKiSA_SA_iPKfiiiPfSD_PS3_PT2_iSC_SC_.kd
    .uniform_work_group_size: 1
    .uses_dynamic_stack: false
    .vgpr_count:     73
    .vgpr_spill_count: 0
    .wavefront_size: 64
  - .agpr_count:     0
    .args:
      - .actual_access:  read_only
        .address_space:  global
        .offset:         0
        .size:           8
        .value_kind:     global_buffer
      - .actual_access:  read_only
        .address_space:  global
        .offset:         8
        .size:           8
        .value_kind:     global_buffer
      - .actual_access:  read_only
        .address_space:  global
        .offset:         16
        .size:           8
        .value_kind:     global_buffer
      - .offset:         24
        .size:           4
        .value_kind:     by_value
      - .offset:         28
        .size:           4
        .value_kind:     by_value
      - .actual_access:  read_only
        .address_space:  global
        .offset:         32
        .size:           8
        .value_kind:     global_buffer
      - .actual_access:  read_only
        .address_space:  global
        .offset:         40
        .size:           8
        .value_kind:     global_buffer
      - .actual_access:  read_only
        .address_space:  global
        .offset:         48
        .size:           8
        .value_kind:     global_buffer
      - .offset:         56
        .size:           4
        .value_kind:     by_value
      - .actual_access:  read_only
        .address_space:  global
        .offset:         64
        .size:           8
        .value_kind:     global_buffer
      - .offset:         72
        .size:           4
        .value_kind:     by_value
      - .offset:         76
        .size:           4
        .value_kind:     by_value
      - .offset:         80
        .size:           4
        .value_kind:     by_value
      - .actual_access:  write_only
        .address_space:  global
        .offset:         88
        .size:           8
        .value_kind:     global_buffer
      - .actual_access:  write_only
        .address_space:  global
        .offset:         96
        .size:           8
        .value_kind:     global_buffer
      - .actual_access:  write_only
        .address_space:  global
        .offset:         104
        .size:           8
        .value_kind:     global_buffer
      - .actual_access:  read_only
        .address_space:  global
        .offset:         112
        .size:           8
        .value_kind:     global_buffer
      - .offset:         120
        .size:           4
        .value_kind:     by_value
      - .address_space:  global
        .offset:         128
        .size:           8
        .value_kind:     global_buffer
      - .address_space:  global
        .offset:         136
        .size:           8
        .value_kind:     global_buffer
      - .offset:         144
        .size:           4
        .value_kind:     hidden_block_count_x
      - .offset:         148
        .size:           4
        .value_kind:     hidden_block_count_y
      - .offset:         152
        .size:           4
        .value_kind:     hidden_block_count_z
      - .offset:         156
        .size:           2
        .value_kind:     hidden_group_size_x
      - .offset:         158
        .size:           2
        .value_kind:     hidden_group_size_y
      - .offset:         160
        .size:           2
        .value_kind:     hidden_group_size_z
      - .offset:         162
        .size:           2
        .value_kind:     hidden_remainder_x
      - .offset:         164
        .size:           2
        .value_kind:     hidden_remainder_y
      - .offset:         166
        .size:           2
        .value_kind:     hidden_remainder_z
      - .offset:         184
        .size:           8
        .value_kind:     hidden_global_offset_x
      - .offset:         192
        .size:           8
        .value_kind:     hidden_global_offset_y
      - .offset:         200
        .size:           8
        .value_kind:     hidden_global_offset_z
      - .offset:         208
        .size:           2
        .value_kind:     hidden_grid_dims
    .group_segment_fixed_size: 8192
    .kernarg_segment_align: 8
    .kernarg_segment_size: 400
    .language:       OpenCL C
    .language_version:
      - 2
      - 0
    .max_flat_workgroup_size: 256
    .name:           _Z39paged_attention_ll4mi_QKV_mfma16_kernelI14__hip_bfloat16S0_LN4vllm18Fp8KVCacheDataTypeE0ES0_Li32ELi64ELi256ELb1ELi2EEvPKT_PKT0_S8_ifPKiSA_SA_iPKfiiiPfSD_PS3_PT2_iSC_SC_
    .private_segment_fixed_size: 0
    .sgpr_count:     54
    .sgpr_spill_count: 0
    .symbol:         _Z39paged_attention_ll4mi_QKV_mfma16_kernelI14__hip_bfloat16S0_LN4vllm18Fp8KVCacheDataTypeE0ES0_Li32ELi64ELi256ELb1ELi2EEvPKT_PKT0_S8_ifPKiSA_SA_iPKfiiiPfSD_PS3_PT2_iSC_SC_.kd
    .uniform_work_group_size: 1
    .uses_dynamic_stack: false
    .vgpr_count:     73
    .vgpr_spill_count: 0
    .wavefront_size: 64
  - .agpr_count:     0
    .args:
      - .actual_access:  read_only
        .address_space:  global
        .offset:         0
        .size:           8
        .value_kind:     global_buffer
      - .actual_access:  read_only
        .address_space:  global
        .offset:         8
        .size:           8
        .value_kind:     global_buffer
      - .actual_access:  read_only
        .address_space:  global
        .offset:         16
        .size:           8
        .value_kind:     global_buffer
      - .offset:         24
        .size:           4
        .value_kind:     by_value
      - .offset:         28
        .size:           4
        .value_kind:     by_value
      - .actual_access:  read_only
        .address_space:  global
        .offset:         32
        .size:           8
        .value_kind:     global_buffer
      - .actual_access:  read_only
        .address_space:  global
        .offset:         40
        .size:           8
        .value_kind:     global_buffer
      - .actual_access:  read_only
        .address_space:  global
        .offset:         48
        .size:           8
        .value_kind:     global_buffer
      - .offset:         56
        .size:           4
        .value_kind:     by_value
      - .actual_access:  read_only
        .address_space:  global
        .offset:         64
        .size:           8
        .value_kind:     global_buffer
      - .offset:         72
        .size:           4
        .value_kind:     by_value
      - .offset:         76
        .size:           4
        .value_kind:     by_value
      - .offset:         80
        .size:           4
        .value_kind:     by_value
      - .actual_access:  write_only
        .address_space:  global
        .offset:         88
        .size:           8
        .value_kind:     global_buffer
      - .actual_access:  write_only
        .address_space:  global
        .offset:         96
        .size:           8
        .value_kind:     global_buffer
      - .actual_access:  write_only
        .address_space:  global
        .offset:         104
        .size:           8
        .value_kind:     global_buffer
      - .actual_access:  read_only
        .address_space:  global
        .offset:         112
        .size:           8
        .value_kind:     global_buffer
      - .offset:         120
        .size:           4
        .value_kind:     by_value
      - .address_space:  global
        .offset:         128
        .size:           8
        .value_kind:     global_buffer
      - .address_space:  global
        .offset:         136
        .size:           8
        .value_kind:     global_buffer
      - .offset:         144
        .size:           4
        .value_kind:     hidden_block_count_x
      - .offset:         148
        .size:           4
        .value_kind:     hidden_block_count_y
      - .offset:         152
        .size:           4
        .value_kind:     hidden_block_count_z
      - .offset:         156
        .size:           2
        .value_kind:     hidden_group_size_x
      - .offset:         158
        .size:           2
        .value_kind:     hidden_group_size_y
      - .offset:         160
        .size:           2
        .value_kind:     hidden_group_size_z
      - .offset:         162
        .size:           2
        .value_kind:     hidden_remainder_x
      - .offset:         164
        .size:           2
        .value_kind:     hidden_remainder_y
      - .offset:         166
        .size:           2
        .value_kind:     hidden_remainder_z
      - .offset:         184
        .size:           8
        .value_kind:     hidden_global_offset_x
      - .offset:         192
        .size:           8
        .value_kind:     hidden_global_offset_y
      - .offset:         200
        .size:           8
        .value_kind:     hidden_global_offset_z
      - .offset:         208
        .size:           2
        .value_kind:     hidden_grid_dims
    .group_segment_fixed_size: 8192
    .kernarg_segment_align: 8
    .kernarg_segment_size: 400
    .language:       OpenCL C
    .language_version:
      - 2
      - 0
    .max_flat_workgroup_size: 256
    .name:           _Z39paged_attention_ll4mi_QKV_mfma16_kernelI14__hip_bfloat16S0_LN4vllm18Fp8KVCacheDataTypeE0ES0_Li32ELi64ELi256ELb1ELi3EEvPKT_PKT0_S8_ifPKiSA_SA_iPKfiiiPfSD_PS3_PT2_iSC_SC_
    .private_segment_fixed_size: 0
    .sgpr_count:     54
    .sgpr_spill_count: 0
    .symbol:         _Z39paged_attention_ll4mi_QKV_mfma16_kernelI14__hip_bfloat16S0_LN4vllm18Fp8KVCacheDataTypeE0ES0_Li32ELi64ELi256ELb1ELi3EEvPKT_PKT0_S8_ifPKiSA_SA_iPKfiiiPfSD_PS3_PT2_iSC_SC_.kd
    .uniform_work_group_size: 1
    .uses_dynamic_stack: false
    .vgpr_count:     74
    .vgpr_spill_count: 0
    .wavefront_size: 64
  - .agpr_count:     0
    .args:
      - .actual_access:  read_only
        .address_space:  global
        .offset:         0
        .size:           8
        .value_kind:     global_buffer
      - .actual_access:  read_only
        .address_space:  global
        .offset:         8
        .size:           8
        .value_kind:     global_buffer
      - .actual_access:  read_only
        .address_space:  global
        .offset:         16
        .size:           8
        .value_kind:     global_buffer
      - .offset:         24
        .size:           4
        .value_kind:     by_value
      - .offset:         28
        .size:           4
        .value_kind:     by_value
      - .actual_access:  read_only
        .address_space:  global
        .offset:         32
        .size:           8
        .value_kind:     global_buffer
      - .actual_access:  read_only
        .address_space:  global
        .offset:         40
        .size:           8
        .value_kind:     global_buffer
      - .actual_access:  read_only
        .address_space:  global
        .offset:         48
        .size:           8
        .value_kind:     global_buffer
      - .offset:         56
        .size:           4
        .value_kind:     by_value
      - .actual_access:  read_only
        .address_space:  global
        .offset:         64
        .size:           8
        .value_kind:     global_buffer
      - .offset:         72
        .size:           4
        .value_kind:     by_value
      - .offset:         76
        .size:           4
        .value_kind:     by_value
      - .offset:         80
        .size:           4
        .value_kind:     by_value
      - .actual_access:  write_only
        .address_space:  global
        .offset:         88
        .size:           8
        .value_kind:     global_buffer
      - .actual_access:  write_only
        .address_space:  global
        .offset:         96
        .size:           8
        .value_kind:     global_buffer
      - .actual_access:  write_only
        .address_space:  global
        .offset:         104
        .size:           8
        .value_kind:     global_buffer
      - .actual_access:  read_only
        .address_space:  global
        .offset:         112
        .size:           8
        .value_kind:     global_buffer
      - .offset:         120
        .size:           4
        .value_kind:     by_value
      - .address_space:  global
        .offset:         128
        .size:           8
        .value_kind:     global_buffer
      - .address_space:  global
        .offset:         136
        .size:           8
        .value_kind:     global_buffer
      - .offset:         144
        .size:           4
        .value_kind:     hidden_block_count_x
      - .offset:         148
        .size:           4
        .value_kind:     hidden_block_count_y
      - .offset:         152
        .size:           4
        .value_kind:     hidden_block_count_z
      - .offset:         156
        .size:           2
        .value_kind:     hidden_group_size_x
      - .offset:         158
        .size:           2
        .value_kind:     hidden_group_size_y
      - .offset:         160
        .size:           2
        .value_kind:     hidden_group_size_z
      - .offset:         162
        .size:           2
        .value_kind:     hidden_remainder_x
      - .offset:         164
        .size:           2
        .value_kind:     hidden_remainder_y
      - .offset:         166
        .size:           2
        .value_kind:     hidden_remainder_z
      - .offset:         184
        .size:           8
        .value_kind:     hidden_global_offset_x
      - .offset:         192
        .size:           8
        .value_kind:     hidden_global_offset_y
      - .offset:         200
        .size:           8
        .value_kind:     hidden_global_offset_z
      - .offset:         208
        .size:           2
        .value_kind:     hidden_grid_dims
    .group_segment_fixed_size: 8192
    .kernarg_segment_align: 8
    .kernarg_segment_size: 400
    .language:       OpenCL C
    .language_version:
      - 2
      - 0
    .max_flat_workgroup_size: 256
    .name:           _Z39paged_attention_ll4mi_QKV_mfma16_kernelI14__hip_bfloat16S0_LN4vllm18Fp8KVCacheDataTypeE0ES0_Li32ELi64ELi256ELb1ELi4EEvPKT_PKT0_S8_ifPKiSA_SA_iPKfiiiPfSD_PS3_PT2_iSC_SC_
    .private_segment_fixed_size: 0
    .sgpr_count:     52
    .sgpr_spill_count: 0
    .symbol:         _Z39paged_attention_ll4mi_QKV_mfma16_kernelI14__hip_bfloat16S0_LN4vllm18Fp8KVCacheDataTypeE0ES0_Li32ELi64ELi256ELb1ELi4EEvPKT_PKT0_S8_ifPKiSA_SA_iPKfiiiPfSD_PS3_PT2_iSC_SC_.kd
    .uniform_work_group_size: 1
    .uses_dynamic_stack: false
    .vgpr_count:     75
    .vgpr_spill_count: 0
    .wavefront_size: 64
  - .agpr_count:     4
    .args:
      - .actual_access:  read_only
        .address_space:  global
        .offset:         0
        .size:           8
        .value_kind:     global_buffer
      - .actual_access:  read_only
        .address_space:  global
        .offset:         8
        .size:           8
        .value_kind:     global_buffer
      - .actual_access:  read_only
        .address_space:  global
        .offset:         16
        .size:           8
        .value_kind:     global_buffer
      - .offset:         24
        .size:           4
        .value_kind:     by_value
      - .offset:         28
        .size:           4
        .value_kind:     by_value
      - .actual_access:  read_only
        .address_space:  global
        .offset:         32
        .size:           8
        .value_kind:     global_buffer
      - .actual_access:  read_only
        .address_space:  global
        .offset:         40
        .size:           8
        .value_kind:     global_buffer
      - .actual_access:  read_only
        .address_space:  global
        .offset:         48
        .size:           8
        .value_kind:     global_buffer
      - .offset:         56
        .size:           4
        .value_kind:     by_value
      - .actual_access:  read_only
        .address_space:  global
        .offset:         64
        .size:           8
        .value_kind:     global_buffer
      - .offset:         72
        .size:           4
        .value_kind:     by_value
      - .offset:         76
        .size:           4
        .value_kind:     by_value
      - .offset:         80
        .size:           4
        .value_kind:     by_value
      - .actual_access:  write_only
        .address_space:  global
        .offset:         88
        .size:           8
        .value_kind:     global_buffer
      - .actual_access:  write_only
        .address_space:  global
        .offset:         96
        .size:           8
        .value_kind:     global_buffer
      - .actual_access:  write_only
        .address_space:  global
        .offset:         104
        .size:           8
        .value_kind:     global_buffer
      - .actual_access:  read_only
        .address_space:  global
        .offset:         112
        .size:           8
        .value_kind:     global_buffer
      - .offset:         120
        .size:           4
        .value_kind:     by_value
      - .address_space:  global
        .offset:         128
        .size:           8
        .value_kind:     global_buffer
      - .address_space:  global
        .offset:         136
        .size:           8
        .value_kind:     global_buffer
      - .offset:         144
        .size:           4
        .value_kind:     hidden_block_count_x
      - .offset:         148
        .size:           4
        .value_kind:     hidden_block_count_y
      - .offset:         152
        .size:           4
        .value_kind:     hidden_block_count_z
      - .offset:         156
        .size:           2
        .value_kind:     hidden_group_size_x
      - .offset:         158
        .size:           2
        .value_kind:     hidden_group_size_y
      - .offset:         160
        .size:           2
        .value_kind:     hidden_group_size_z
      - .offset:         162
        .size:           2
        .value_kind:     hidden_remainder_x
      - .offset:         164
        .size:           2
        .value_kind:     hidden_remainder_y
      - .offset:         166
        .size:           2
        .value_kind:     hidden_remainder_z
      - .offset:         184
        .size:           8
        .value_kind:     hidden_global_offset_x
      - .offset:         192
        .size:           8
        .value_kind:     hidden_global_offset_y
      - .offset:         200
        .size:           8
        .value_kind:     hidden_global_offset_z
      - .offset:         208
        .size:           2
        .value_kind:     hidden_grid_dims
    .group_segment_fixed_size: 2720
    .kernarg_segment_align: 8
    .kernarg_segment_size: 400
    .language:       OpenCL C
    .language_version:
      - 2
      - 0
    .max_flat_workgroup_size: 256
    .name:           _Z38paged_attention_ll4mi_QKV_mfma4_kernelI14__hip_bfloat16S0_LN4vllm18Fp8KVCacheDataTypeE0ES0_Li32ELi64ELi256ELb0ELi1EEvPKT_PKT0_S8_ifPKiSA_SA_iPKfiiiPfSD_PS3_PT2_iSC_SC_
    .private_segment_fixed_size: 0
    .sgpr_count:     44
    .sgpr_spill_count: 0
    .symbol:         _Z38paged_attention_ll4mi_QKV_mfma4_kernelI14__hip_bfloat16S0_LN4vllm18Fp8KVCacheDataTypeE0ES0_Li32ELi64ELi256ELb0ELi1EEvPKT_PKT0_S8_ifPKiSA_SA_iPKfiiiPfSD_PS3_PT2_iSC_SC_.kd
    .uniform_work_group_size: 1
    .uses_dynamic_stack: false
    .vgpr_count:     64
    .vgpr_spill_count: 0
    .wavefront_size: 64
  - .agpr_count:     4
    .args:
      - .actual_access:  read_only
        .address_space:  global
        .offset:         0
        .size:           8
        .value_kind:     global_buffer
      - .actual_access:  read_only
        .address_space:  global
        .offset:         8
        .size:           8
        .value_kind:     global_buffer
      - .actual_access:  read_only
        .address_space:  global
        .offset:         16
        .size:           8
        .value_kind:     global_buffer
      - .offset:         24
        .size:           4
        .value_kind:     by_value
      - .offset:         28
        .size:           4
        .value_kind:     by_value
      - .actual_access:  read_only
        .address_space:  global
        .offset:         32
        .size:           8
        .value_kind:     global_buffer
      - .actual_access:  read_only
        .address_space:  global
        .offset:         40
        .size:           8
        .value_kind:     global_buffer
      - .actual_access:  read_only
        .address_space:  global
        .offset:         48
        .size:           8
        .value_kind:     global_buffer
      - .offset:         56
        .size:           4
        .value_kind:     by_value
      - .actual_access:  read_only
        .address_space:  global
        .offset:         64
        .size:           8
        .value_kind:     global_buffer
      - .offset:         72
        .size:           4
        .value_kind:     by_value
      - .offset:         76
        .size:           4
        .value_kind:     by_value
      - .offset:         80
        .size:           4
        .value_kind:     by_value
      - .actual_access:  write_only
        .address_space:  global
        .offset:         88
        .size:           8
        .value_kind:     global_buffer
      - .actual_access:  write_only
        .address_space:  global
        .offset:         96
        .size:           8
        .value_kind:     global_buffer
      - .actual_access:  write_only
        .address_space:  global
        .offset:         104
        .size:           8
        .value_kind:     global_buffer
      - .actual_access:  read_only
        .address_space:  global
        .offset:         112
        .size:           8
        .value_kind:     global_buffer
      - .offset:         120
        .size:           4
        .value_kind:     by_value
      - .address_space:  global
        .offset:         128
        .size:           8
        .value_kind:     global_buffer
      - .address_space:  global
        .offset:         136
        .size:           8
        .value_kind:     global_buffer
      - .offset:         144
        .size:           4
        .value_kind:     hidden_block_count_x
      - .offset:         148
        .size:           4
        .value_kind:     hidden_block_count_y
      - .offset:         152
        .size:           4
        .value_kind:     hidden_block_count_z
      - .offset:         156
        .size:           2
        .value_kind:     hidden_group_size_x
      - .offset:         158
        .size:           2
        .value_kind:     hidden_group_size_y
      - .offset:         160
        .size:           2
        .value_kind:     hidden_group_size_z
      - .offset:         162
        .size:           2
        .value_kind:     hidden_remainder_x
      - .offset:         164
        .size:           2
        .value_kind:     hidden_remainder_y
      - .offset:         166
        .size:           2
        .value_kind:     hidden_remainder_z
      - .offset:         184
        .size:           8
        .value_kind:     hidden_global_offset_x
      - .offset:         192
        .size:           8
        .value_kind:     hidden_global_offset_y
      - .offset:         200
        .size:           8
        .value_kind:     hidden_global_offset_z
      - .offset:         208
        .size:           2
        .value_kind:     hidden_grid_dims
    .group_segment_fixed_size: 2720
    .kernarg_segment_align: 8
    .kernarg_segment_size: 400
    .language:       OpenCL C
    .language_version:
      - 2
      - 0
    .max_flat_workgroup_size: 256
    .name:           _Z38paged_attention_ll4mi_QKV_mfma4_kernelI14__hip_bfloat16S0_LN4vllm18Fp8KVCacheDataTypeE0ES0_Li32ELi64ELi256ELb0ELi2EEvPKT_PKT0_S8_ifPKiSA_SA_iPKfiiiPfSD_PS3_PT2_iSC_SC_
    .private_segment_fixed_size: 0
    .sgpr_count:     44
    .sgpr_spill_count: 0
    .symbol:         _Z38paged_attention_ll4mi_QKV_mfma4_kernelI14__hip_bfloat16S0_LN4vllm18Fp8KVCacheDataTypeE0ES0_Li32ELi64ELi256ELb0ELi2EEvPKT_PKT0_S8_ifPKiSA_SA_iPKfiiiPfSD_PS3_PT2_iSC_SC_.kd
    .uniform_work_group_size: 1
    .uses_dynamic_stack: false
    .vgpr_count:     64
    .vgpr_spill_count: 0
    .wavefront_size: 64
  - .agpr_count:     4
    .args:
      - .actual_access:  read_only
        .address_space:  global
        .offset:         0
        .size:           8
        .value_kind:     global_buffer
      - .actual_access:  read_only
        .address_space:  global
        .offset:         8
        .size:           8
        .value_kind:     global_buffer
      - .actual_access:  read_only
        .address_space:  global
        .offset:         16
        .size:           8
        .value_kind:     global_buffer
      - .offset:         24
        .size:           4
        .value_kind:     by_value
      - .offset:         28
        .size:           4
        .value_kind:     by_value
      - .actual_access:  read_only
        .address_space:  global
        .offset:         32
        .size:           8
        .value_kind:     global_buffer
      - .actual_access:  read_only
        .address_space:  global
        .offset:         40
        .size:           8
        .value_kind:     global_buffer
      - .actual_access:  read_only
        .address_space:  global
        .offset:         48
        .size:           8
        .value_kind:     global_buffer
      - .offset:         56
        .size:           4
        .value_kind:     by_value
      - .actual_access:  read_only
        .address_space:  global
        .offset:         64
        .size:           8
        .value_kind:     global_buffer
      - .offset:         72
        .size:           4
        .value_kind:     by_value
      - .offset:         76
        .size:           4
        .value_kind:     by_value
      - .offset:         80
        .size:           4
        .value_kind:     by_value
      - .actual_access:  write_only
        .address_space:  global
        .offset:         88
        .size:           8
        .value_kind:     global_buffer
      - .actual_access:  write_only
        .address_space:  global
        .offset:         96
        .size:           8
        .value_kind:     global_buffer
      - .actual_access:  write_only
        .address_space:  global
        .offset:         104
        .size:           8
        .value_kind:     global_buffer
      - .actual_access:  read_only
        .address_space:  global
        .offset:         112
        .size:           8
        .value_kind:     global_buffer
      - .offset:         120
        .size:           4
        .value_kind:     by_value
      - .address_space:  global
        .offset:         128
        .size:           8
        .value_kind:     global_buffer
      - .address_space:  global
        .offset:         136
        .size:           8
        .value_kind:     global_buffer
      - .offset:         144
        .size:           4
        .value_kind:     hidden_block_count_x
      - .offset:         148
        .size:           4
        .value_kind:     hidden_block_count_y
      - .offset:         152
        .size:           4
        .value_kind:     hidden_block_count_z
      - .offset:         156
        .size:           2
        .value_kind:     hidden_group_size_x
      - .offset:         158
        .size:           2
        .value_kind:     hidden_group_size_y
      - .offset:         160
        .size:           2
        .value_kind:     hidden_group_size_z
      - .offset:         162
        .size:           2
        .value_kind:     hidden_remainder_x
      - .offset:         164
        .size:           2
        .value_kind:     hidden_remainder_y
      - .offset:         166
        .size:           2
        .value_kind:     hidden_remainder_z
      - .offset:         184
        .size:           8
        .value_kind:     hidden_global_offset_x
      - .offset:         192
        .size:           8
        .value_kind:     hidden_global_offset_y
      - .offset:         200
        .size:           8
        .value_kind:     hidden_global_offset_z
      - .offset:         208
        .size:           2
        .value_kind:     hidden_grid_dims
    .group_segment_fixed_size: 2720
    .kernarg_segment_align: 8
    .kernarg_segment_size: 400
    .language:       OpenCL C
    .language_version:
      - 2
      - 0
    .max_flat_workgroup_size: 256
    .name:           _Z38paged_attention_ll4mi_QKV_mfma4_kernelI14__hip_bfloat16S0_LN4vllm18Fp8KVCacheDataTypeE0ES0_Li32ELi64ELi256ELb0ELi3EEvPKT_PKT0_S8_ifPKiSA_SA_iPKfiiiPfSD_PS3_PT2_iSC_SC_
    .private_segment_fixed_size: 0
    .sgpr_count:     44
    .sgpr_spill_count: 0
    .symbol:         _Z38paged_attention_ll4mi_QKV_mfma4_kernelI14__hip_bfloat16S0_LN4vllm18Fp8KVCacheDataTypeE0ES0_Li32ELi64ELi256ELb0ELi3EEvPKT_PKT0_S8_ifPKiSA_SA_iPKfiiiPfSD_PS3_PT2_iSC_SC_.kd
    .uniform_work_group_size: 1
    .uses_dynamic_stack: false
    .vgpr_count:     64
    .vgpr_spill_count: 0
    .wavefront_size: 64
  - .agpr_count:     4
    .args:
      - .actual_access:  read_only
        .address_space:  global
        .offset:         0
        .size:           8
        .value_kind:     global_buffer
      - .actual_access:  read_only
        .address_space:  global
        .offset:         8
        .size:           8
        .value_kind:     global_buffer
      - .actual_access:  read_only
        .address_space:  global
        .offset:         16
        .size:           8
        .value_kind:     global_buffer
      - .offset:         24
        .size:           4
        .value_kind:     by_value
      - .offset:         28
        .size:           4
        .value_kind:     by_value
      - .actual_access:  read_only
        .address_space:  global
        .offset:         32
        .size:           8
        .value_kind:     global_buffer
      - .actual_access:  read_only
        .address_space:  global
        .offset:         40
        .size:           8
        .value_kind:     global_buffer
      - .actual_access:  read_only
        .address_space:  global
        .offset:         48
        .size:           8
        .value_kind:     global_buffer
      - .offset:         56
        .size:           4
        .value_kind:     by_value
      - .actual_access:  read_only
        .address_space:  global
        .offset:         64
        .size:           8
        .value_kind:     global_buffer
      - .offset:         72
        .size:           4
        .value_kind:     by_value
      - .offset:         76
        .size:           4
        .value_kind:     by_value
      - .offset:         80
        .size:           4
        .value_kind:     by_value
      - .actual_access:  write_only
        .address_space:  global
        .offset:         88
        .size:           8
        .value_kind:     global_buffer
      - .actual_access:  write_only
        .address_space:  global
        .offset:         96
        .size:           8
        .value_kind:     global_buffer
      - .actual_access:  write_only
        .address_space:  global
        .offset:         104
        .size:           8
        .value_kind:     global_buffer
      - .actual_access:  read_only
        .address_space:  global
        .offset:         112
        .size:           8
        .value_kind:     global_buffer
      - .offset:         120
        .size:           4
        .value_kind:     by_value
      - .address_space:  global
        .offset:         128
        .size:           8
        .value_kind:     global_buffer
      - .address_space:  global
        .offset:         136
        .size:           8
        .value_kind:     global_buffer
      - .offset:         144
        .size:           4
        .value_kind:     hidden_block_count_x
      - .offset:         148
        .size:           4
        .value_kind:     hidden_block_count_y
      - .offset:         152
        .size:           4
        .value_kind:     hidden_block_count_z
      - .offset:         156
        .size:           2
        .value_kind:     hidden_group_size_x
      - .offset:         158
        .size:           2
        .value_kind:     hidden_group_size_y
      - .offset:         160
        .size:           2
        .value_kind:     hidden_group_size_z
      - .offset:         162
        .size:           2
        .value_kind:     hidden_remainder_x
      - .offset:         164
        .size:           2
        .value_kind:     hidden_remainder_y
      - .offset:         166
        .size:           2
        .value_kind:     hidden_remainder_z
      - .offset:         184
        .size:           8
        .value_kind:     hidden_global_offset_x
      - .offset:         192
        .size:           8
        .value_kind:     hidden_global_offset_y
      - .offset:         200
        .size:           8
        .value_kind:     hidden_global_offset_z
      - .offset:         208
        .size:           2
        .value_kind:     hidden_grid_dims
    .group_segment_fixed_size: 2720
    .kernarg_segment_align: 8
    .kernarg_segment_size: 400
    .language:       OpenCL C
    .language_version:
      - 2
      - 0
    .max_flat_workgroup_size: 256
    .name:           _Z38paged_attention_ll4mi_QKV_mfma4_kernelI14__hip_bfloat16S0_LN4vllm18Fp8KVCacheDataTypeE0ES0_Li32ELi64ELi256ELb0ELi4EEvPKT_PKT0_S8_ifPKiSA_SA_iPKfiiiPfSD_PS3_PT2_iSC_SC_
    .private_segment_fixed_size: 0
    .sgpr_count:     44
    .sgpr_spill_count: 0
    .symbol:         _Z38paged_attention_ll4mi_QKV_mfma4_kernelI14__hip_bfloat16S0_LN4vllm18Fp8KVCacheDataTypeE0ES0_Li32ELi64ELi256ELb0ELi4EEvPKT_PKT0_S8_ifPKiSA_SA_iPKfiiiPfSD_PS3_PT2_iSC_SC_.kd
    .uniform_work_group_size: 1
    .uses_dynamic_stack: false
    .vgpr_count:     64
    .vgpr_spill_count: 0
    .wavefront_size: 64
  - .agpr_count:     0
    .args:
      - .actual_access:  read_only
        .address_space:  global
        .offset:         0
        .size:           8
        .value_kind:     global_buffer
      - .actual_access:  read_only
        .address_space:  global
        .offset:         8
        .size:           8
        .value_kind:     global_buffer
      - .actual_access:  read_only
        .address_space:  global
        .offset:         16
        .size:           8
        .value_kind:     global_buffer
      - .offset:         24
        .size:           4
        .value_kind:     by_value
      - .offset:         28
        .size:           4
        .value_kind:     by_value
      - .actual_access:  read_only
        .address_space:  global
        .offset:         32
        .size:           8
        .value_kind:     global_buffer
      - .actual_access:  read_only
        .address_space:  global
        .offset:         40
        .size:           8
        .value_kind:     global_buffer
      - .actual_access:  read_only
        .address_space:  global
        .offset:         48
        .size:           8
        .value_kind:     global_buffer
      - .offset:         56
        .size:           4
        .value_kind:     by_value
      - .actual_access:  read_only
        .address_space:  global
        .offset:         64
        .size:           8
        .value_kind:     global_buffer
      - .offset:         72
        .size:           4
        .value_kind:     by_value
      - .offset:         76
        .size:           4
        .value_kind:     by_value
      - .offset:         80
        .size:           4
        .value_kind:     by_value
      - .actual_access:  write_only
        .address_space:  global
        .offset:         88
        .size:           8
        .value_kind:     global_buffer
      - .actual_access:  write_only
        .address_space:  global
        .offset:         96
        .size:           8
        .value_kind:     global_buffer
      - .actual_access:  write_only
        .address_space:  global
        .offset:         104
        .size:           8
        .value_kind:     global_buffer
      - .actual_access:  read_only
        .address_space:  global
        .offset:         112
        .size:           8
        .value_kind:     global_buffer
      - .offset:         120
        .size:           4
        .value_kind:     by_value
      - .address_space:  global
        .offset:         128
        .size:           8
        .value_kind:     global_buffer
      - .address_space:  global
        .offset:         136
        .size:           8
        .value_kind:     global_buffer
      - .offset:         144
        .size:           4
        .value_kind:     hidden_block_count_x
      - .offset:         148
        .size:           4
        .value_kind:     hidden_block_count_y
      - .offset:         152
        .size:           4
        .value_kind:     hidden_block_count_z
      - .offset:         156
        .size:           2
        .value_kind:     hidden_group_size_x
      - .offset:         158
        .size:           2
        .value_kind:     hidden_group_size_y
      - .offset:         160
        .size:           2
        .value_kind:     hidden_group_size_z
      - .offset:         162
        .size:           2
        .value_kind:     hidden_remainder_x
      - .offset:         164
        .size:           2
        .value_kind:     hidden_remainder_y
      - .offset:         166
        .size:           2
        .value_kind:     hidden_remainder_z
      - .offset:         184
        .size:           8
        .value_kind:     hidden_global_offset_x
      - .offset:         192
        .size:           8
        .value_kind:     hidden_global_offset_y
      - .offset:         200
        .size:           8
        .value_kind:     hidden_global_offset_z
      - .offset:         208
        .size:           2
        .value_kind:     hidden_grid_dims
    .group_segment_fixed_size: 8192
    .kernarg_segment_align: 8
    .kernarg_segment_size: 400
    .language:       OpenCL C
    .language_version:
      - 2
      - 0
    .max_flat_workgroup_size: 256
    .name:           _Z39paged_attention_ll4mi_QKV_mfma16_kernelI14__hip_bfloat16S0_LN4vllm18Fp8KVCacheDataTypeE0ES0_Li32ELi64ELi256ELb0ELi5EEvPKT_PKT0_S8_ifPKiSA_SA_iPKfiiiPfSD_PS3_PT2_iSC_SC_
    .private_segment_fixed_size: 0
    .sgpr_count:     54
    .sgpr_spill_count: 0
    .symbol:         _Z39paged_attention_ll4mi_QKV_mfma16_kernelI14__hip_bfloat16S0_LN4vllm18Fp8KVCacheDataTypeE0ES0_Li32ELi64ELi256ELb0ELi5EEvPKT_PKT0_S8_ifPKiSA_SA_iPKfiiiPfSD_PS3_PT2_iSC_SC_.kd
    .uniform_work_group_size: 1
    .uses_dynamic_stack: false
    .vgpr_count:     67
    .vgpr_spill_count: 0
    .wavefront_size: 64
  - .agpr_count:     0
    .args:
      - .actual_access:  read_only
        .address_space:  global
        .offset:         0
        .size:           8
        .value_kind:     global_buffer
      - .actual_access:  read_only
        .address_space:  global
        .offset:         8
        .size:           8
        .value_kind:     global_buffer
      - .actual_access:  read_only
        .address_space:  global
        .offset:         16
        .size:           8
        .value_kind:     global_buffer
      - .offset:         24
        .size:           4
        .value_kind:     by_value
      - .offset:         28
        .size:           4
        .value_kind:     by_value
      - .actual_access:  read_only
        .address_space:  global
        .offset:         32
        .size:           8
        .value_kind:     global_buffer
      - .actual_access:  read_only
        .address_space:  global
        .offset:         40
        .size:           8
        .value_kind:     global_buffer
      - .actual_access:  read_only
        .address_space:  global
        .offset:         48
        .size:           8
        .value_kind:     global_buffer
      - .offset:         56
        .size:           4
        .value_kind:     by_value
      - .actual_access:  read_only
        .address_space:  global
        .offset:         64
        .size:           8
        .value_kind:     global_buffer
      - .offset:         72
        .size:           4
        .value_kind:     by_value
      - .offset:         76
        .size:           4
        .value_kind:     by_value
      - .offset:         80
        .size:           4
        .value_kind:     by_value
      - .actual_access:  write_only
        .address_space:  global
        .offset:         88
        .size:           8
        .value_kind:     global_buffer
      - .actual_access:  write_only
        .address_space:  global
        .offset:         96
        .size:           8
        .value_kind:     global_buffer
      - .actual_access:  write_only
        .address_space:  global
        .offset:         104
        .size:           8
        .value_kind:     global_buffer
      - .actual_access:  read_only
        .address_space:  global
        .offset:         112
        .size:           8
        .value_kind:     global_buffer
      - .offset:         120
        .size:           4
        .value_kind:     by_value
      - .address_space:  global
        .offset:         128
        .size:           8
        .value_kind:     global_buffer
      - .address_space:  global
        .offset:         136
        .size:           8
        .value_kind:     global_buffer
      - .offset:         144
        .size:           4
        .value_kind:     hidden_block_count_x
      - .offset:         148
        .size:           4
        .value_kind:     hidden_block_count_y
      - .offset:         152
        .size:           4
        .value_kind:     hidden_block_count_z
      - .offset:         156
        .size:           2
        .value_kind:     hidden_group_size_x
      - .offset:         158
        .size:           2
        .value_kind:     hidden_group_size_y
      - .offset:         160
        .size:           2
        .value_kind:     hidden_group_size_z
      - .offset:         162
        .size:           2
        .value_kind:     hidden_remainder_x
      - .offset:         164
        .size:           2
        .value_kind:     hidden_remainder_y
      - .offset:         166
        .size:           2
        .value_kind:     hidden_remainder_z
      - .offset:         184
        .size:           8
        .value_kind:     hidden_global_offset_x
      - .offset:         192
        .size:           8
        .value_kind:     hidden_global_offset_y
      - .offset:         200
        .size:           8
        .value_kind:     hidden_global_offset_z
      - .offset:         208
        .size:           2
        .value_kind:     hidden_grid_dims
    .group_segment_fixed_size: 8192
    .kernarg_segment_align: 8
    .kernarg_segment_size: 400
    .language:       OpenCL C
    .language_version:
      - 2
      - 0
    .max_flat_workgroup_size: 256
    .name:           _Z39paged_attention_ll4mi_QKV_mfma16_kernelI14__hip_bfloat16S0_LN4vllm18Fp8KVCacheDataTypeE0ES0_Li32ELi64ELi256ELb0ELi6EEvPKT_PKT0_S8_ifPKiSA_SA_iPKfiiiPfSD_PS3_PT2_iSC_SC_
    .private_segment_fixed_size: 0
    .sgpr_count:     54
    .sgpr_spill_count: 0
    .symbol:         _Z39paged_attention_ll4mi_QKV_mfma16_kernelI14__hip_bfloat16S0_LN4vllm18Fp8KVCacheDataTypeE0ES0_Li32ELi64ELi256ELb0ELi6EEvPKT_PKT0_S8_ifPKiSA_SA_iPKfiiiPfSD_PS3_PT2_iSC_SC_.kd
    .uniform_work_group_size: 1
    .uses_dynamic_stack: false
    .vgpr_count:     67
    .vgpr_spill_count: 0
    .wavefront_size: 64
  - .agpr_count:     0
    .args:
      - .actual_access:  read_only
        .address_space:  global
        .offset:         0
        .size:           8
        .value_kind:     global_buffer
      - .actual_access:  read_only
        .address_space:  global
        .offset:         8
        .size:           8
        .value_kind:     global_buffer
      - .actual_access:  read_only
        .address_space:  global
        .offset:         16
        .size:           8
        .value_kind:     global_buffer
      - .offset:         24
        .size:           4
        .value_kind:     by_value
      - .offset:         28
        .size:           4
        .value_kind:     by_value
      - .actual_access:  read_only
        .address_space:  global
        .offset:         32
        .size:           8
        .value_kind:     global_buffer
      - .actual_access:  read_only
        .address_space:  global
        .offset:         40
        .size:           8
        .value_kind:     global_buffer
      - .actual_access:  read_only
        .address_space:  global
        .offset:         48
        .size:           8
        .value_kind:     global_buffer
      - .offset:         56
        .size:           4
        .value_kind:     by_value
      - .actual_access:  read_only
        .address_space:  global
        .offset:         64
        .size:           8
        .value_kind:     global_buffer
      - .offset:         72
        .size:           4
        .value_kind:     by_value
      - .offset:         76
        .size:           4
        .value_kind:     by_value
      - .offset:         80
        .size:           4
        .value_kind:     by_value
      - .actual_access:  write_only
        .address_space:  global
        .offset:         88
        .size:           8
        .value_kind:     global_buffer
      - .actual_access:  write_only
        .address_space:  global
        .offset:         96
        .size:           8
        .value_kind:     global_buffer
      - .actual_access:  write_only
        .address_space:  global
        .offset:         104
        .size:           8
        .value_kind:     global_buffer
      - .actual_access:  read_only
        .address_space:  global
        .offset:         112
        .size:           8
        .value_kind:     global_buffer
      - .offset:         120
        .size:           4
        .value_kind:     by_value
      - .address_space:  global
        .offset:         128
        .size:           8
        .value_kind:     global_buffer
      - .address_space:  global
        .offset:         136
        .size:           8
        .value_kind:     global_buffer
      - .offset:         144
        .size:           4
        .value_kind:     hidden_block_count_x
      - .offset:         148
        .size:           4
        .value_kind:     hidden_block_count_y
      - .offset:         152
        .size:           4
        .value_kind:     hidden_block_count_z
      - .offset:         156
        .size:           2
        .value_kind:     hidden_group_size_x
      - .offset:         158
        .size:           2
        .value_kind:     hidden_group_size_y
      - .offset:         160
        .size:           2
        .value_kind:     hidden_group_size_z
      - .offset:         162
        .size:           2
        .value_kind:     hidden_remainder_x
      - .offset:         164
        .size:           2
        .value_kind:     hidden_remainder_y
      - .offset:         166
        .size:           2
        .value_kind:     hidden_remainder_z
      - .offset:         184
        .size:           8
        .value_kind:     hidden_global_offset_x
      - .offset:         192
        .size:           8
        .value_kind:     hidden_global_offset_y
      - .offset:         200
        .size:           8
        .value_kind:     hidden_global_offset_z
      - .offset:         208
        .size:           2
        .value_kind:     hidden_grid_dims
    .group_segment_fixed_size: 8192
    .kernarg_segment_align: 8
    .kernarg_segment_size: 400
    .language:       OpenCL C
    .language_version:
      - 2
      - 0
    .max_flat_workgroup_size: 256
    .name:           _Z39paged_attention_ll4mi_QKV_mfma16_kernelI14__hip_bfloat16S0_LN4vllm18Fp8KVCacheDataTypeE0ES0_Li32ELi64ELi256ELb0ELi7EEvPKT_PKT0_S8_ifPKiSA_SA_iPKfiiiPfSD_PS3_PT2_iSC_SC_
    .private_segment_fixed_size: 0
    .sgpr_count:     54
    .sgpr_spill_count: 0
    .symbol:         _Z39paged_attention_ll4mi_QKV_mfma16_kernelI14__hip_bfloat16S0_LN4vllm18Fp8KVCacheDataTypeE0ES0_Li32ELi64ELi256ELb0ELi7EEvPKT_PKT0_S8_ifPKiSA_SA_iPKfiiiPfSD_PS3_PT2_iSC_SC_.kd
    .uniform_work_group_size: 1
    .uses_dynamic_stack: false
    .vgpr_count:     67
    .vgpr_spill_count: 0
    .wavefront_size: 64
  - .agpr_count:     0
    .args:
      - .actual_access:  read_only
        .address_space:  global
        .offset:         0
        .size:           8
        .value_kind:     global_buffer
      - .actual_access:  read_only
        .address_space:  global
        .offset:         8
        .size:           8
        .value_kind:     global_buffer
      - .actual_access:  read_only
        .address_space:  global
        .offset:         16
        .size:           8
        .value_kind:     global_buffer
      - .offset:         24
        .size:           4
        .value_kind:     by_value
      - .offset:         28
        .size:           4
        .value_kind:     by_value
      - .actual_access:  read_only
        .address_space:  global
        .offset:         32
        .size:           8
        .value_kind:     global_buffer
      - .actual_access:  read_only
        .address_space:  global
        .offset:         40
        .size:           8
        .value_kind:     global_buffer
      - .actual_access:  read_only
        .address_space:  global
        .offset:         48
        .size:           8
        .value_kind:     global_buffer
      - .offset:         56
        .size:           4
        .value_kind:     by_value
      - .actual_access:  read_only
        .address_space:  global
        .offset:         64
        .size:           8
        .value_kind:     global_buffer
      - .offset:         72
        .size:           4
        .value_kind:     by_value
      - .offset:         76
        .size:           4
        .value_kind:     by_value
      - .offset:         80
        .size:           4
        .value_kind:     by_value
      - .actual_access:  write_only
        .address_space:  global
        .offset:         88
        .size:           8
        .value_kind:     global_buffer
      - .actual_access:  write_only
        .address_space:  global
        .offset:         96
        .size:           8
        .value_kind:     global_buffer
      - .actual_access:  write_only
        .address_space:  global
        .offset:         104
        .size:           8
        .value_kind:     global_buffer
      - .actual_access:  read_only
        .address_space:  global
        .offset:         112
        .size:           8
        .value_kind:     global_buffer
      - .offset:         120
        .size:           4
        .value_kind:     by_value
      - .address_space:  global
        .offset:         128
        .size:           8
        .value_kind:     global_buffer
      - .address_space:  global
        .offset:         136
        .size:           8
        .value_kind:     global_buffer
      - .offset:         144
        .size:           4
        .value_kind:     hidden_block_count_x
      - .offset:         148
        .size:           4
        .value_kind:     hidden_block_count_y
      - .offset:         152
        .size:           4
        .value_kind:     hidden_block_count_z
      - .offset:         156
        .size:           2
        .value_kind:     hidden_group_size_x
      - .offset:         158
        .size:           2
        .value_kind:     hidden_group_size_y
      - .offset:         160
        .size:           2
        .value_kind:     hidden_group_size_z
      - .offset:         162
        .size:           2
        .value_kind:     hidden_remainder_x
      - .offset:         164
        .size:           2
        .value_kind:     hidden_remainder_y
      - .offset:         166
        .size:           2
        .value_kind:     hidden_remainder_z
      - .offset:         184
        .size:           8
        .value_kind:     hidden_global_offset_x
      - .offset:         192
        .size:           8
        .value_kind:     hidden_global_offset_y
      - .offset:         200
        .size:           8
        .value_kind:     hidden_global_offset_z
      - .offset:         208
        .size:           2
        .value_kind:     hidden_grid_dims
    .group_segment_fixed_size: 8192
    .kernarg_segment_align: 8
    .kernarg_segment_size: 400
    .language:       OpenCL C
    .language_version:
      - 2
      - 0
    .max_flat_workgroup_size: 256
    .name:           _Z39paged_attention_ll4mi_QKV_mfma16_kernelI14__hip_bfloat16S0_LN4vllm18Fp8KVCacheDataTypeE0ES0_Li32ELi64ELi256ELb0ELi8EEvPKT_PKT0_S8_ifPKiSA_SA_iPKfiiiPfSD_PS3_PT2_iSC_SC_
    .private_segment_fixed_size: 0
    .sgpr_count:     54
    .sgpr_spill_count: 0
    .symbol:         _Z39paged_attention_ll4mi_QKV_mfma16_kernelI14__hip_bfloat16S0_LN4vllm18Fp8KVCacheDataTypeE0ES0_Li32ELi64ELi256ELb0ELi8EEvPKT_PKT0_S8_ifPKiSA_SA_iPKfiiiPfSD_PS3_PT2_iSC_SC_.kd
    .uniform_work_group_size: 1
    .uses_dynamic_stack: false
    .vgpr_count:     67
    .vgpr_spill_count: 0
    .wavefront_size: 64
  - .agpr_count:     0
    .args:
      - .actual_access:  read_only
        .address_space:  global
        .offset:         0
        .size:           8
        .value_kind:     global_buffer
      - .actual_access:  read_only
        .address_space:  global
        .offset:         8
        .size:           8
        .value_kind:     global_buffer
      - .actual_access:  read_only
        .address_space:  global
        .offset:         16
        .size:           8
        .value_kind:     global_buffer
      - .offset:         24
        .size:           4
        .value_kind:     by_value
      - .offset:         28
        .size:           4
        .value_kind:     by_value
      - .actual_access:  read_only
        .address_space:  global
        .offset:         32
        .size:           8
        .value_kind:     global_buffer
      - .actual_access:  read_only
        .address_space:  global
        .offset:         40
        .size:           8
        .value_kind:     global_buffer
      - .actual_access:  read_only
        .address_space:  global
        .offset:         48
        .size:           8
        .value_kind:     global_buffer
      - .offset:         56
        .size:           4
        .value_kind:     by_value
      - .actual_access:  read_only
        .address_space:  global
        .offset:         64
        .size:           8
        .value_kind:     global_buffer
      - .offset:         72
        .size:           4
        .value_kind:     by_value
      - .offset:         76
        .size:           4
        .value_kind:     by_value
      - .offset:         80
        .size:           4
        .value_kind:     by_value
      - .actual_access:  write_only
        .address_space:  global
        .offset:         88
        .size:           8
        .value_kind:     global_buffer
      - .actual_access:  write_only
        .address_space:  global
        .offset:         96
        .size:           8
        .value_kind:     global_buffer
      - .actual_access:  write_only
        .address_space:  global
        .offset:         104
        .size:           8
        .value_kind:     global_buffer
      - .actual_access:  read_only
        .address_space:  global
        .offset:         112
        .size:           8
        .value_kind:     global_buffer
      - .offset:         120
        .size:           4
        .value_kind:     by_value
      - .address_space:  global
        .offset:         128
        .size:           8
        .value_kind:     global_buffer
      - .address_space:  global
        .offset:         136
        .size:           8
        .value_kind:     global_buffer
      - .offset:         144
        .size:           4
        .value_kind:     hidden_block_count_x
      - .offset:         148
        .size:           4
        .value_kind:     hidden_block_count_y
      - .offset:         152
        .size:           4
        .value_kind:     hidden_block_count_z
      - .offset:         156
        .size:           2
        .value_kind:     hidden_group_size_x
      - .offset:         158
        .size:           2
        .value_kind:     hidden_group_size_y
      - .offset:         160
        .size:           2
        .value_kind:     hidden_group_size_z
      - .offset:         162
        .size:           2
        .value_kind:     hidden_remainder_x
      - .offset:         164
        .size:           2
        .value_kind:     hidden_remainder_y
      - .offset:         166
        .size:           2
        .value_kind:     hidden_remainder_z
      - .offset:         184
        .size:           8
        .value_kind:     hidden_global_offset_x
      - .offset:         192
        .size:           8
        .value_kind:     hidden_global_offset_y
      - .offset:         200
        .size:           8
        .value_kind:     hidden_global_offset_z
      - .offset:         208
        .size:           2
        .value_kind:     hidden_grid_dims
    .group_segment_fixed_size: 8192
    .kernarg_segment_align: 8
    .kernarg_segment_size: 400
    .language:       OpenCL C
    .language_version:
      - 2
      - 0
    .max_flat_workgroup_size: 256
    .name:           _Z39paged_attention_ll4mi_QKV_mfma16_kernelI14__hip_bfloat16S0_LN4vllm18Fp8KVCacheDataTypeE0ES0_Li32ELi64ELi256ELb0ELi9EEvPKT_PKT0_S8_ifPKiSA_SA_iPKfiiiPfSD_PS3_PT2_iSC_SC_
    .private_segment_fixed_size: 0
    .sgpr_count:     54
    .sgpr_spill_count: 0
    .symbol:         _Z39paged_attention_ll4mi_QKV_mfma16_kernelI14__hip_bfloat16S0_LN4vllm18Fp8KVCacheDataTypeE0ES0_Li32ELi64ELi256ELb0ELi9EEvPKT_PKT0_S8_ifPKiSA_SA_iPKfiiiPfSD_PS3_PT2_iSC_SC_.kd
    .uniform_work_group_size: 1
    .uses_dynamic_stack: false
    .vgpr_count:     67
    .vgpr_spill_count: 0
    .wavefront_size: 64
  - .agpr_count:     0
    .args:
      - .actual_access:  read_only
        .address_space:  global
        .offset:         0
        .size:           8
        .value_kind:     global_buffer
      - .actual_access:  read_only
        .address_space:  global
        .offset:         8
        .size:           8
        .value_kind:     global_buffer
      - .actual_access:  read_only
        .address_space:  global
        .offset:         16
        .size:           8
        .value_kind:     global_buffer
      - .offset:         24
        .size:           4
        .value_kind:     by_value
      - .offset:         28
        .size:           4
        .value_kind:     by_value
      - .actual_access:  read_only
        .address_space:  global
        .offset:         32
        .size:           8
        .value_kind:     global_buffer
      - .actual_access:  read_only
        .address_space:  global
        .offset:         40
        .size:           8
        .value_kind:     global_buffer
      - .actual_access:  read_only
        .address_space:  global
        .offset:         48
        .size:           8
        .value_kind:     global_buffer
      - .offset:         56
        .size:           4
        .value_kind:     by_value
      - .actual_access:  read_only
        .address_space:  global
        .offset:         64
        .size:           8
        .value_kind:     global_buffer
      - .offset:         72
        .size:           4
        .value_kind:     by_value
      - .offset:         76
        .size:           4
        .value_kind:     by_value
      - .offset:         80
        .size:           4
        .value_kind:     by_value
      - .actual_access:  write_only
        .address_space:  global
        .offset:         88
        .size:           8
        .value_kind:     global_buffer
      - .actual_access:  write_only
        .address_space:  global
        .offset:         96
        .size:           8
        .value_kind:     global_buffer
      - .actual_access:  write_only
        .address_space:  global
        .offset:         104
        .size:           8
        .value_kind:     global_buffer
      - .actual_access:  read_only
        .address_space:  global
        .offset:         112
        .size:           8
        .value_kind:     global_buffer
      - .offset:         120
        .size:           4
        .value_kind:     by_value
      - .address_space:  global
        .offset:         128
        .size:           8
        .value_kind:     global_buffer
      - .address_space:  global
        .offset:         136
        .size:           8
        .value_kind:     global_buffer
      - .offset:         144
        .size:           4
        .value_kind:     hidden_block_count_x
      - .offset:         148
        .size:           4
        .value_kind:     hidden_block_count_y
      - .offset:         152
        .size:           4
        .value_kind:     hidden_block_count_z
      - .offset:         156
        .size:           2
        .value_kind:     hidden_group_size_x
      - .offset:         158
        .size:           2
        .value_kind:     hidden_group_size_y
      - .offset:         160
        .size:           2
        .value_kind:     hidden_group_size_z
      - .offset:         162
        .size:           2
        .value_kind:     hidden_remainder_x
      - .offset:         164
        .size:           2
        .value_kind:     hidden_remainder_y
      - .offset:         166
        .size:           2
        .value_kind:     hidden_remainder_z
      - .offset:         184
        .size:           8
        .value_kind:     hidden_global_offset_x
      - .offset:         192
        .size:           8
        .value_kind:     hidden_global_offset_y
      - .offset:         200
        .size:           8
        .value_kind:     hidden_global_offset_z
      - .offset:         208
        .size:           2
        .value_kind:     hidden_grid_dims
    .group_segment_fixed_size: 8192
    .kernarg_segment_align: 8
    .kernarg_segment_size: 400
    .language:       OpenCL C
    .language_version:
      - 2
      - 0
    .max_flat_workgroup_size: 256
    .name:           _Z39paged_attention_ll4mi_QKV_mfma16_kernelI14__hip_bfloat16S0_LN4vllm18Fp8KVCacheDataTypeE0ES0_Li32ELi64ELi256ELb0ELi10EEvPKT_PKT0_S8_ifPKiSA_SA_iPKfiiiPfSD_PS3_PT2_iSC_SC_
    .private_segment_fixed_size: 0
    .sgpr_count:     54
    .sgpr_spill_count: 0
    .symbol:         _Z39paged_attention_ll4mi_QKV_mfma16_kernelI14__hip_bfloat16S0_LN4vllm18Fp8KVCacheDataTypeE0ES0_Li32ELi64ELi256ELb0ELi10EEvPKT_PKT0_S8_ifPKiSA_SA_iPKfiiiPfSD_PS3_PT2_iSC_SC_.kd
    .uniform_work_group_size: 1
    .uses_dynamic_stack: false
    .vgpr_count:     67
    .vgpr_spill_count: 0
    .wavefront_size: 64
  - .agpr_count:     0
    .args:
      - .actual_access:  read_only
        .address_space:  global
        .offset:         0
        .size:           8
        .value_kind:     global_buffer
      - .actual_access:  read_only
        .address_space:  global
        .offset:         8
        .size:           8
        .value_kind:     global_buffer
      - .actual_access:  read_only
        .address_space:  global
        .offset:         16
        .size:           8
        .value_kind:     global_buffer
      - .offset:         24
        .size:           4
        .value_kind:     by_value
      - .offset:         28
        .size:           4
        .value_kind:     by_value
      - .actual_access:  read_only
        .address_space:  global
        .offset:         32
        .size:           8
        .value_kind:     global_buffer
      - .actual_access:  read_only
        .address_space:  global
        .offset:         40
        .size:           8
        .value_kind:     global_buffer
      - .actual_access:  read_only
        .address_space:  global
        .offset:         48
        .size:           8
        .value_kind:     global_buffer
      - .offset:         56
        .size:           4
        .value_kind:     by_value
      - .actual_access:  read_only
        .address_space:  global
        .offset:         64
        .size:           8
        .value_kind:     global_buffer
      - .offset:         72
        .size:           4
        .value_kind:     by_value
      - .offset:         76
        .size:           4
        .value_kind:     by_value
      - .offset:         80
        .size:           4
        .value_kind:     by_value
      - .actual_access:  write_only
        .address_space:  global
        .offset:         88
        .size:           8
        .value_kind:     global_buffer
      - .actual_access:  write_only
        .address_space:  global
        .offset:         96
        .size:           8
        .value_kind:     global_buffer
      - .actual_access:  write_only
        .address_space:  global
        .offset:         104
        .size:           8
        .value_kind:     global_buffer
      - .actual_access:  read_only
        .address_space:  global
        .offset:         112
        .size:           8
        .value_kind:     global_buffer
      - .offset:         120
        .size:           4
        .value_kind:     by_value
      - .address_space:  global
        .offset:         128
        .size:           8
        .value_kind:     global_buffer
      - .address_space:  global
        .offset:         136
        .size:           8
        .value_kind:     global_buffer
      - .offset:         144
        .size:           4
        .value_kind:     hidden_block_count_x
      - .offset:         148
        .size:           4
        .value_kind:     hidden_block_count_y
      - .offset:         152
        .size:           4
        .value_kind:     hidden_block_count_z
      - .offset:         156
        .size:           2
        .value_kind:     hidden_group_size_x
      - .offset:         158
        .size:           2
        .value_kind:     hidden_group_size_y
      - .offset:         160
        .size:           2
        .value_kind:     hidden_group_size_z
      - .offset:         162
        .size:           2
        .value_kind:     hidden_remainder_x
      - .offset:         164
        .size:           2
        .value_kind:     hidden_remainder_y
      - .offset:         166
        .size:           2
        .value_kind:     hidden_remainder_z
      - .offset:         184
        .size:           8
        .value_kind:     hidden_global_offset_x
      - .offset:         192
        .size:           8
        .value_kind:     hidden_global_offset_y
      - .offset:         200
        .size:           8
        .value_kind:     hidden_global_offset_z
      - .offset:         208
        .size:           2
        .value_kind:     hidden_grid_dims
    .group_segment_fixed_size: 8192
    .kernarg_segment_align: 8
    .kernarg_segment_size: 400
    .language:       OpenCL C
    .language_version:
      - 2
      - 0
    .max_flat_workgroup_size: 256
    .name:           _Z39paged_attention_ll4mi_QKV_mfma16_kernelI14__hip_bfloat16S0_LN4vllm18Fp8KVCacheDataTypeE0ES0_Li32ELi64ELi256ELb0ELi11EEvPKT_PKT0_S8_ifPKiSA_SA_iPKfiiiPfSD_PS3_PT2_iSC_SC_
    .private_segment_fixed_size: 0
    .sgpr_count:     54
    .sgpr_spill_count: 0
    .symbol:         _Z39paged_attention_ll4mi_QKV_mfma16_kernelI14__hip_bfloat16S0_LN4vllm18Fp8KVCacheDataTypeE0ES0_Li32ELi64ELi256ELb0ELi11EEvPKT_PKT0_S8_ifPKiSA_SA_iPKfiiiPfSD_PS3_PT2_iSC_SC_.kd
    .uniform_work_group_size: 1
    .uses_dynamic_stack: false
    .vgpr_count:     67
    .vgpr_spill_count: 0
    .wavefront_size: 64
  - .agpr_count:     0
    .args:
      - .actual_access:  read_only
        .address_space:  global
        .offset:         0
        .size:           8
        .value_kind:     global_buffer
      - .actual_access:  read_only
        .address_space:  global
        .offset:         8
        .size:           8
        .value_kind:     global_buffer
      - .actual_access:  read_only
        .address_space:  global
        .offset:         16
        .size:           8
        .value_kind:     global_buffer
      - .offset:         24
        .size:           4
        .value_kind:     by_value
      - .offset:         28
        .size:           4
        .value_kind:     by_value
      - .actual_access:  read_only
        .address_space:  global
        .offset:         32
        .size:           8
        .value_kind:     global_buffer
      - .actual_access:  read_only
        .address_space:  global
        .offset:         40
        .size:           8
        .value_kind:     global_buffer
      - .actual_access:  read_only
        .address_space:  global
        .offset:         48
        .size:           8
        .value_kind:     global_buffer
      - .offset:         56
        .size:           4
        .value_kind:     by_value
      - .actual_access:  read_only
        .address_space:  global
        .offset:         64
        .size:           8
        .value_kind:     global_buffer
      - .offset:         72
        .size:           4
        .value_kind:     by_value
      - .offset:         76
        .size:           4
        .value_kind:     by_value
      - .offset:         80
        .size:           4
        .value_kind:     by_value
      - .actual_access:  write_only
        .address_space:  global
        .offset:         88
        .size:           8
        .value_kind:     global_buffer
      - .actual_access:  write_only
        .address_space:  global
        .offset:         96
        .size:           8
        .value_kind:     global_buffer
      - .actual_access:  write_only
        .address_space:  global
        .offset:         104
        .size:           8
        .value_kind:     global_buffer
      - .actual_access:  read_only
        .address_space:  global
        .offset:         112
        .size:           8
        .value_kind:     global_buffer
      - .offset:         120
        .size:           4
        .value_kind:     by_value
      - .address_space:  global
        .offset:         128
        .size:           8
        .value_kind:     global_buffer
      - .address_space:  global
        .offset:         136
        .size:           8
        .value_kind:     global_buffer
      - .offset:         144
        .size:           4
        .value_kind:     hidden_block_count_x
      - .offset:         148
        .size:           4
        .value_kind:     hidden_block_count_y
      - .offset:         152
        .size:           4
        .value_kind:     hidden_block_count_z
      - .offset:         156
        .size:           2
        .value_kind:     hidden_group_size_x
      - .offset:         158
        .size:           2
        .value_kind:     hidden_group_size_y
      - .offset:         160
        .size:           2
        .value_kind:     hidden_group_size_z
      - .offset:         162
        .size:           2
        .value_kind:     hidden_remainder_x
      - .offset:         164
        .size:           2
        .value_kind:     hidden_remainder_y
      - .offset:         166
        .size:           2
        .value_kind:     hidden_remainder_z
      - .offset:         184
        .size:           8
        .value_kind:     hidden_global_offset_x
      - .offset:         192
        .size:           8
        .value_kind:     hidden_global_offset_y
      - .offset:         200
        .size:           8
        .value_kind:     hidden_global_offset_z
      - .offset:         208
        .size:           2
        .value_kind:     hidden_grid_dims
    .group_segment_fixed_size: 8192
    .kernarg_segment_align: 8
    .kernarg_segment_size: 400
    .language:       OpenCL C
    .language_version:
      - 2
      - 0
    .max_flat_workgroup_size: 256
    .name:           _Z39paged_attention_ll4mi_QKV_mfma16_kernelI14__hip_bfloat16S0_LN4vllm18Fp8KVCacheDataTypeE0ES0_Li32ELi64ELi256ELb0ELi12EEvPKT_PKT0_S8_ifPKiSA_SA_iPKfiiiPfSD_PS3_PT2_iSC_SC_
    .private_segment_fixed_size: 0
    .sgpr_count:     54
    .sgpr_spill_count: 0
    .symbol:         _Z39paged_attention_ll4mi_QKV_mfma16_kernelI14__hip_bfloat16S0_LN4vllm18Fp8KVCacheDataTypeE0ES0_Li32ELi64ELi256ELb0ELi12EEvPKT_PKT0_S8_ifPKiSA_SA_iPKfiiiPfSD_PS3_PT2_iSC_SC_.kd
    .uniform_work_group_size: 1
    .uses_dynamic_stack: false
    .vgpr_count:     67
    .vgpr_spill_count: 0
    .wavefront_size: 64
  - .agpr_count:     0
    .args:
      - .actual_access:  read_only
        .address_space:  global
        .offset:         0
        .size:           8
        .value_kind:     global_buffer
      - .actual_access:  read_only
        .address_space:  global
        .offset:         8
        .size:           8
        .value_kind:     global_buffer
      - .actual_access:  read_only
        .address_space:  global
        .offset:         16
        .size:           8
        .value_kind:     global_buffer
      - .offset:         24
        .size:           4
        .value_kind:     by_value
      - .offset:         28
        .size:           4
        .value_kind:     by_value
      - .actual_access:  read_only
        .address_space:  global
        .offset:         32
        .size:           8
        .value_kind:     global_buffer
      - .actual_access:  read_only
        .address_space:  global
        .offset:         40
        .size:           8
        .value_kind:     global_buffer
      - .actual_access:  read_only
        .address_space:  global
        .offset:         48
        .size:           8
        .value_kind:     global_buffer
      - .offset:         56
        .size:           4
        .value_kind:     by_value
      - .actual_access:  read_only
        .address_space:  global
        .offset:         64
        .size:           8
        .value_kind:     global_buffer
      - .offset:         72
        .size:           4
        .value_kind:     by_value
      - .offset:         76
        .size:           4
        .value_kind:     by_value
      - .offset:         80
        .size:           4
        .value_kind:     by_value
      - .actual_access:  write_only
        .address_space:  global
        .offset:         88
        .size:           8
        .value_kind:     global_buffer
      - .actual_access:  write_only
        .address_space:  global
        .offset:         96
        .size:           8
        .value_kind:     global_buffer
      - .actual_access:  write_only
        .address_space:  global
        .offset:         104
        .size:           8
        .value_kind:     global_buffer
      - .actual_access:  read_only
        .address_space:  global
        .offset:         112
        .size:           8
        .value_kind:     global_buffer
      - .offset:         120
        .size:           4
        .value_kind:     by_value
      - .address_space:  global
        .offset:         128
        .size:           8
        .value_kind:     global_buffer
      - .address_space:  global
        .offset:         136
        .size:           8
        .value_kind:     global_buffer
      - .offset:         144
        .size:           4
        .value_kind:     hidden_block_count_x
      - .offset:         148
        .size:           4
        .value_kind:     hidden_block_count_y
      - .offset:         152
        .size:           4
        .value_kind:     hidden_block_count_z
      - .offset:         156
        .size:           2
        .value_kind:     hidden_group_size_x
      - .offset:         158
        .size:           2
        .value_kind:     hidden_group_size_y
      - .offset:         160
        .size:           2
        .value_kind:     hidden_group_size_z
      - .offset:         162
        .size:           2
        .value_kind:     hidden_remainder_x
      - .offset:         164
        .size:           2
        .value_kind:     hidden_remainder_y
      - .offset:         166
        .size:           2
        .value_kind:     hidden_remainder_z
      - .offset:         184
        .size:           8
        .value_kind:     hidden_global_offset_x
      - .offset:         192
        .size:           8
        .value_kind:     hidden_global_offset_y
      - .offset:         200
        .size:           8
        .value_kind:     hidden_global_offset_z
      - .offset:         208
        .size:           2
        .value_kind:     hidden_grid_dims
    .group_segment_fixed_size: 8192
    .kernarg_segment_align: 8
    .kernarg_segment_size: 400
    .language:       OpenCL C
    .language_version:
      - 2
      - 0
    .max_flat_workgroup_size: 256
    .name:           _Z39paged_attention_ll4mi_QKV_mfma16_kernelI14__hip_bfloat16S0_LN4vllm18Fp8KVCacheDataTypeE0ES0_Li32ELi64ELi256ELb0ELi13EEvPKT_PKT0_S8_ifPKiSA_SA_iPKfiiiPfSD_PS3_PT2_iSC_SC_
    .private_segment_fixed_size: 0
    .sgpr_count:     54
    .sgpr_spill_count: 0
    .symbol:         _Z39paged_attention_ll4mi_QKV_mfma16_kernelI14__hip_bfloat16S0_LN4vllm18Fp8KVCacheDataTypeE0ES0_Li32ELi64ELi256ELb0ELi13EEvPKT_PKT0_S8_ifPKiSA_SA_iPKfiiiPfSD_PS3_PT2_iSC_SC_.kd
    .uniform_work_group_size: 1
    .uses_dynamic_stack: false
    .vgpr_count:     67
    .vgpr_spill_count: 0
    .wavefront_size: 64
  - .agpr_count:     0
    .args:
      - .actual_access:  read_only
        .address_space:  global
        .offset:         0
        .size:           8
        .value_kind:     global_buffer
      - .actual_access:  read_only
        .address_space:  global
        .offset:         8
        .size:           8
        .value_kind:     global_buffer
      - .actual_access:  read_only
        .address_space:  global
        .offset:         16
        .size:           8
        .value_kind:     global_buffer
      - .offset:         24
        .size:           4
        .value_kind:     by_value
      - .offset:         28
        .size:           4
        .value_kind:     by_value
      - .actual_access:  read_only
        .address_space:  global
        .offset:         32
        .size:           8
        .value_kind:     global_buffer
      - .actual_access:  read_only
        .address_space:  global
        .offset:         40
        .size:           8
        .value_kind:     global_buffer
      - .actual_access:  read_only
        .address_space:  global
        .offset:         48
        .size:           8
        .value_kind:     global_buffer
      - .offset:         56
        .size:           4
        .value_kind:     by_value
      - .actual_access:  read_only
        .address_space:  global
        .offset:         64
        .size:           8
        .value_kind:     global_buffer
      - .offset:         72
        .size:           4
        .value_kind:     by_value
      - .offset:         76
        .size:           4
        .value_kind:     by_value
      - .offset:         80
        .size:           4
        .value_kind:     by_value
      - .actual_access:  write_only
        .address_space:  global
        .offset:         88
        .size:           8
        .value_kind:     global_buffer
      - .actual_access:  write_only
        .address_space:  global
        .offset:         96
        .size:           8
        .value_kind:     global_buffer
      - .actual_access:  write_only
        .address_space:  global
        .offset:         104
        .size:           8
        .value_kind:     global_buffer
      - .actual_access:  read_only
        .address_space:  global
        .offset:         112
        .size:           8
        .value_kind:     global_buffer
      - .offset:         120
        .size:           4
        .value_kind:     by_value
      - .address_space:  global
        .offset:         128
        .size:           8
        .value_kind:     global_buffer
      - .address_space:  global
        .offset:         136
        .size:           8
        .value_kind:     global_buffer
      - .offset:         144
        .size:           4
        .value_kind:     hidden_block_count_x
      - .offset:         148
        .size:           4
        .value_kind:     hidden_block_count_y
      - .offset:         152
        .size:           4
        .value_kind:     hidden_block_count_z
      - .offset:         156
        .size:           2
        .value_kind:     hidden_group_size_x
      - .offset:         158
        .size:           2
        .value_kind:     hidden_group_size_y
      - .offset:         160
        .size:           2
        .value_kind:     hidden_group_size_z
      - .offset:         162
        .size:           2
        .value_kind:     hidden_remainder_x
      - .offset:         164
        .size:           2
        .value_kind:     hidden_remainder_y
      - .offset:         166
        .size:           2
        .value_kind:     hidden_remainder_z
      - .offset:         184
        .size:           8
        .value_kind:     hidden_global_offset_x
      - .offset:         192
        .size:           8
        .value_kind:     hidden_global_offset_y
      - .offset:         200
        .size:           8
        .value_kind:     hidden_global_offset_z
      - .offset:         208
        .size:           2
        .value_kind:     hidden_grid_dims
    .group_segment_fixed_size: 8192
    .kernarg_segment_align: 8
    .kernarg_segment_size: 400
    .language:       OpenCL C
    .language_version:
      - 2
      - 0
    .max_flat_workgroup_size: 256
    .name:           _Z39paged_attention_ll4mi_QKV_mfma16_kernelI14__hip_bfloat16S0_LN4vllm18Fp8KVCacheDataTypeE0ES0_Li32ELi64ELi256ELb0ELi14EEvPKT_PKT0_S8_ifPKiSA_SA_iPKfiiiPfSD_PS3_PT2_iSC_SC_
    .private_segment_fixed_size: 0
    .sgpr_count:     54
    .sgpr_spill_count: 0
    .symbol:         _Z39paged_attention_ll4mi_QKV_mfma16_kernelI14__hip_bfloat16S0_LN4vllm18Fp8KVCacheDataTypeE0ES0_Li32ELi64ELi256ELb0ELi14EEvPKT_PKT0_S8_ifPKiSA_SA_iPKfiiiPfSD_PS3_PT2_iSC_SC_.kd
    .uniform_work_group_size: 1
    .uses_dynamic_stack: false
    .vgpr_count:     67
    .vgpr_spill_count: 0
    .wavefront_size: 64
  - .agpr_count:     0
    .args:
      - .actual_access:  read_only
        .address_space:  global
        .offset:         0
        .size:           8
        .value_kind:     global_buffer
      - .actual_access:  read_only
        .address_space:  global
        .offset:         8
        .size:           8
        .value_kind:     global_buffer
      - .actual_access:  read_only
        .address_space:  global
        .offset:         16
        .size:           8
        .value_kind:     global_buffer
      - .offset:         24
        .size:           4
        .value_kind:     by_value
      - .offset:         28
        .size:           4
        .value_kind:     by_value
      - .actual_access:  read_only
        .address_space:  global
        .offset:         32
        .size:           8
        .value_kind:     global_buffer
      - .actual_access:  read_only
        .address_space:  global
        .offset:         40
        .size:           8
        .value_kind:     global_buffer
      - .actual_access:  read_only
        .address_space:  global
        .offset:         48
        .size:           8
        .value_kind:     global_buffer
      - .offset:         56
        .size:           4
        .value_kind:     by_value
      - .actual_access:  read_only
        .address_space:  global
        .offset:         64
        .size:           8
        .value_kind:     global_buffer
      - .offset:         72
        .size:           4
        .value_kind:     by_value
      - .offset:         76
        .size:           4
        .value_kind:     by_value
      - .offset:         80
        .size:           4
        .value_kind:     by_value
      - .actual_access:  write_only
        .address_space:  global
        .offset:         88
        .size:           8
        .value_kind:     global_buffer
      - .actual_access:  write_only
        .address_space:  global
        .offset:         96
        .size:           8
        .value_kind:     global_buffer
      - .actual_access:  write_only
        .address_space:  global
        .offset:         104
        .size:           8
        .value_kind:     global_buffer
      - .actual_access:  read_only
        .address_space:  global
        .offset:         112
        .size:           8
        .value_kind:     global_buffer
      - .offset:         120
        .size:           4
        .value_kind:     by_value
      - .address_space:  global
        .offset:         128
        .size:           8
        .value_kind:     global_buffer
      - .address_space:  global
        .offset:         136
        .size:           8
        .value_kind:     global_buffer
      - .offset:         144
        .size:           4
        .value_kind:     hidden_block_count_x
      - .offset:         148
        .size:           4
        .value_kind:     hidden_block_count_y
      - .offset:         152
        .size:           4
        .value_kind:     hidden_block_count_z
      - .offset:         156
        .size:           2
        .value_kind:     hidden_group_size_x
      - .offset:         158
        .size:           2
        .value_kind:     hidden_group_size_y
      - .offset:         160
        .size:           2
        .value_kind:     hidden_group_size_z
      - .offset:         162
        .size:           2
        .value_kind:     hidden_remainder_x
      - .offset:         164
        .size:           2
        .value_kind:     hidden_remainder_y
      - .offset:         166
        .size:           2
        .value_kind:     hidden_remainder_z
      - .offset:         184
        .size:           8
        .value_kind:     hidden_global_offset_x
      - .offset:         192
        .size:           8
        .value_kind:     hidden_global_offset_y
      - .offset:         200
        .size:           8
        .value_kind:     hidden_global_offset_z
      - .offset:         208
        .size:           2
        .value_kind:     hidden_grid_dims
    .group_segment_fixed_size: 8192
    .kernarg_segment_align: 8
    .kernarg_segment_size: 400
    .language:       OpenCL C
    .language_version:
      - 2
      - 0
    .max_flat_workgroup_size: 256
    .name:           _Z39paged_attention_ll4mi_QKV_mfma16_kernelI14__hip_bfloat16S0_LN4vllm18Fp8KVCacheDataTypeE0ES0_Li32ELi64ELi256ELb0ELi15EEvPKT_PKT0_S8_ifPKiSA_SA_iPKfiiiPfSD_PS3_PT2_iSC_SC_
    .private_segment_fixed_size: 0
    .sgpr_count:     54
    .sgpr_spill_count: 0
    .symbol:         _Z39paged_attention_ll4mi_QKV_mfma16_kernelI14__hip_bfloat16S0_LN4vllm18Fp8KVCacheDataTypeE0ES0_Li32ELi64ELi256ELb0ELi15EEvPKT_PKT0_S8_ifPKiSA_SA_iPKfiiiPfSD_PS3_PT2_iSC_SC_.kd
    .uniform_work_group_size: 1
    .uses_dynamic_stack: false
    .vgpr_count:     67
    .vgpr_spill_count: 0
    .wavefront_size: 64
  - .agpr_count:     0
    .args:
      - .actual_access:  read_only
        .address_space:  global
        .offset:         0
        .size:           8
        .value_kind:     global_buffer
      - .actual_access:  read_only
        .address_space:  global
        .offset:         8
        .size:           8
        .value_kind:     global_buffer
      - .actual_access:  read_only
        .address_space:  global
        .offset:         16
        .size:           8
        .value_kind:     global_buffer
      - .offset:         24
        .size:           4
        .value_kind:     by_value
      - .offset:         28
        .size:           4
        .value_kind:     by_value
      - .actual_access:  read_only
        .address_space:  global
        .offset:         32
        .size:           8
        .value_kind:     global_buffer
      - .actual_access:  read_only
        .address_space:  global
        .offset:         40
        .size:           8
        .value_kind:     global_buffer
      - .actual_access:  read_only
        .address_space:  global
        .offset:         48
        .size:           8
        .value_kind:     global_buffer
      - .offset:         56
        .size:           4
        .value_kind:     by_value
      - .actual_access:  read_only
        .address_space:  global
        .offset:         64
        .size:           8
        .value_kind:     global_buffer
      - .offset:         72
        .size:           4
        .value_kind:     by_value
      - .offset:         76
        .size:           4
        .value_kind:     by_value
      - .offset:         80
        .size:           4
        .value_kind:     by_value
      - .actual_access:  write_only
        .address_space:  global
        .offset:         88
        .size:           8
        .value_kind:     global_buffer
      - .actual_access:  write_only
        .address_space:  global
        .offset:         96
        .size:           8
        .value_kind:     global_buffer
      - .actual_access:  write_only
        .address_space:  global
        .offset:         104
        .size:           8
        .value_kind:     global_buffer
      - .actual_access:  read_only
        .address_space:  global
        .offset:         112
        .size:           8
        .value_kind:     global_buffer
      - .offset:         120
        .size:           4
        .value_kind:     by_value
      - .address_space:  global
        .offset:         128
        .size:           8
        .value_kind:     global_buffer
      - .address_space:  global
        .offset:         136
        .size:           8
        .value_kind:     global_buffer
      - .offset:         144
        .size:           4
        .value_kind:     hidden_block_count_x
      - .offset:         148
        .size:           4
        .value_kind:     hidden_block_count_y
      - .offset:         152
        .size:           4
        .value_kind:     hidden_block_count_z
      - .offset:         156
        .size:           2
        .value_kind:     hidden_group_size_x
      - .offset:         158
        .size:           2
        .value_kind:     hidden_group_size_y
      - .offset:         160
        .size:           2
        .value_kind:     hidden_group_size_z
      - .offset:         162
        .size:           2
        .value_kind:     hidden_remainder_x
      - .offset:         164
        .size:           2
        .value_kind:     hidden_remainder_y
      - .offset:         166
        .size:           2
        .value_kind:     hidden_remainder_z
      - .offset:         184
        .size:           8
        .value_kind:     hidden_global_offset_x
      - .offset:         192
        .size:           8
        .value_kind:     hidden_global_offset_y
      - .offset:         200
        .size:           8
        .value_kind:     hidden_global_offset_z
      - .offset:         208
        .size:           2
        .value_kind:     hidden_grid_dims
    .group_segment_fixed_size: 8192
    .kernarg_segment_align: 8
    .kernarg_segment_size: 400
    .language:       OpenCL C
    .language_version:
      - 2
      - 0
    .max_flat_workgroup_size: 256
    .name:           _Z39paged_attention_ll4mi_QKV_mfma16_kernelI14__hip_bfloat16S0_LN4vllm18Fp8KVCacheDataTypeE0ES0_Li32ELi64ELi256ELb0ELi16EEvPKT_PKT0_S8_ifPKiSA_SA_iPKfiiiPfSD_PS3_PT2_iSC_SC_
    .private_segment_fixed_size: 0
    .sgpr_count:     54
    .sgpr_spill_count: 0
    .symbol:         _Z39paged_attention_ll4mi_QKV_mfma16_kernelI14__hip_bfloat16S0_LN4vllm18Fp8KVCacheDataTypeE0ES0_Li32ELi64ELi256ELb0ELi16EEvPKT_PKT0_S8_ifPKiSA_SA_iPKfiiiPfSD_PS3_PT2_iSC_SC_.kd
    .uniform_work_group_size: 1
    .uses_dynamic_stack: false
    .vgpr_count:     68
    .vgpr_spill_count: 0
    .wavefront_size: 64
  - .agpr_count:     0
    .args:
      - .actual_access:  read_only
        .address_space:  global
        .offset:         0
        .size:           8
        .value_kind:     global_buffer
      - .actual_access:  read_only
        .address_space:  global
        .offset:         8
        .size:           8
        .value_kind:     global_buffer
      - .actual_access:  read_only
        .address_space:  global
        .offset:         16
        .size:           8
        .value_kind:     global_buffer
      - .offset:         24
        .size:           4
        .value_kind:     by_value
      - .offset:         28
        .size:           4
        .value_kind:     by_value
      - .actual_access:  read_only
        .address_space:  global
        .offset:         32
        .size:           8
        .value_kind:     global_buffer
      - .actual_access:  read_only
        .address_space:  global
        .offset:         40
        .size:           8
        .value_kind:     global_buffer
      - .actual_access:  read_only
        .address_space:  global
        .offset:         48
        .size:           8
        .value_kind:     global_buffer
      - .offset:         56
        .size:           4
        .value_kind:     by_value
      - .actual_access:  read_only
        .address_space:  global
        .offset:         64
        .size:           8
        .value_kind:     global_buffer
      - .offset:         72
        .size:           4
        .value_kind:     by_value
      - .offset:         76
        .size:           4
        .value_kind:     by_value
      - .offset:         80
        .size:           4
        .value_kind:     by_value
      - .actual_access:  write_only
        .address_space:  global
        .offset:         88
        .size:           8
        .value_kind:     global_buffer
      - .actual_access:  write_only
        .address_space:  global
        .offset:         96
        .size:           8
        .value_kind:     global_buffer
      - .actual_access:  write_only
        .address_space:  global
        .offset:         104
        .size:           8
        .value_kind:     global_buffer
      - .actual_access:  read_only
        .address_space:  global
        .offset:         112
        .size:           8
        .value_kind:     global_buffer
      - .offset:         120
        .size:           4
        .value_kind:     by_value
      - .address_space:  global
        .offset:         128
        .size:           8
        .value_kind:     global_buffer
      - .address_space:  global
        .offset:         136
        .size:           8
        .value_kind:     global_buffer
      - .offset:         144
        .size:           4
        .value_kind:     hidden_block_count_x
      - .offset:         148
        .size:           4
        .value_kind:     hidden_block_count_y
      - .offset:         152
        .size:           4
        .value_kind:     hidden_block_count_z
      - .offset:         156
        .size:           2
        .value_kind:     hidden_group_size_x
      - .offset:         158
        .size:           2
        .value_kind:     hidden_group_size_y
      - .offset:         160
        .size:           2
        .value_kind:     hidden_group_size_z
      - .offset:         162
        .size:           2
        .value_kind:     hidden_remainder_x
      - .offset:         164
        .size:           2
        .value_kind:     hidden_remainder_y
      - .offset:         166
        .size:           2
        .value_kind:     hidden_remainder_z
      - .offset:         184
        .size:           8
        .value_kind:     hidden_global_offset_x
      - .offset:         192
        .size:           8
        .value_kind:     hidden_global_offset_y
      - .offset:         200
        .size:           8
        .value_kind:     hidden_global_offset_z
      - .offset:         208
        .size:           2
        .value_kind:     hidden_grid_dims
    .group_segment_fixed_size: 8192
    .kernarg_segment_align: 8
    .kernarg_segment_size: 400
    .language:       OpenCL C
    .language_version:
      - 2
      - 0
    .max_flat_workgroup_size: 256
    .name:           _Z39paged_attention_ll4mi_QKV_mfma16_kernelI14__hip_bfloat16S0_LN4vllm18Fp8KVCacheDataTypeE0ES0_Li32ELi64ELi256ELb0ELi1EEvPKT_PKT0_S8_ifPKiSA_SA_iPKfiiiPfSD_PS3_PT2_iSC_SC_
    .private_segment_fixed_size: 0
    .sgpr_count:     54
    .sgpr_spill_count: 0
    .symbol:         _Z39paged_attention_ll4mi_QKV_mfma16_kernelI14__hip_bfloat16S0_LN4vllm18Fp8KVCacheDataTypeE0ES0_Li32ELi64ELi256ELb0ELi1EEvPKT_PKT0_S8_ifPKiSA_SA_iPKfiiiPfSD_PS3_PT2_iSC_SC_.kd
    .uniform_work_group_size: 1
    .uses_dynamic_stack: false
    .vgpr_count:     67
    .vgpr_spill_count: 0
    .wavefront_size: 64
  - .agpr_count:     0
    .args:
      - .actual_access:  read_only
        .address_space:  global
        .offset:         0
        .size:           8
        .value_kind:     global_buffer
      - .actual_access:  read_only
        .address_space:  global
        .offset:         8
        .size:           8
        .value_kind:     global_buffer
      - .actual_access:  read_only
        .address_space:  global
        .offset:         16
        .size:           8
        .value_kind:     global_buffer
      - .offset:         24
        .size:           4
        .value_kind:     by_value
      - .offset:         28
        .size:           4
        .value_kind:     by_value
      - .actual_access:  read_only
        .address_space:  global
        .offset:         32
        .size:           8
        .value_kind:     global_buffer
      - .actual_access:  read_only
        .address_space:  global
        .offset:         40
        .size:           8
        .value_kind:     global_buffer
      - .actual_access:  read_only
        .address_space:  global
        .offset:         48
        .size:           8
        .value_kind:     global_buffer
      - .offset:         56
        .size:           4
        .value_kind:     by_value
      - .actual_access:  read_only
        .address_space:  global
        .offset:         64
        .size:           8
        .value_kind:     global_buffer
      - .offset:         72
        .size:           4
        .value_kind:     by_value
      - .offset:         76
        .size:           4
        .value_kind:     by_value
      - .offset:         80
        .size:           4
        .value_kind:     by_value
      - .actual_access:  write_only
        .address_space:  global
        .offset:         88
        .size:           8
        .value_kind:     global_buffer
      - .actual_access:  write_only
        .address_space:  global
        .offset:         96
        .size:           8
        .value_kind:     global_buffer
      - .actual_access:  write_only
        .address_space:  global
        .offset:         104
        .size:           8
        .value_kind:     global_buffer
      - .actual_access:  read_only
        .address_space:  global
        .offset:         112
        .size:           8
        .value_kind:     global_buffer
      - .offset:         120
        .size:           4
        .value_kind:     by_value
      - .address_space:  global
        .offset:         128
        .size:           8
        .value_kind:     global_buffer
      - .address_space:  global
        .offset:         136
        .size:           8
        .value_kind:     global_buffer
      - .offset:         144
        .size:           4
        .value_kind:     hidden_block_count_x
      - .offset:         148
        .size:           4
        .value_kind:     hidden_block_count_y
      - .offset:         152
        .size:           4
        .value_kind:     hidden_block_count_z
      - .offset:         156
        .size:           2
        .value_kind:     hidden_group_size_x
      - .offset:         158
        .size:           2
        .value_kind:     hidden_group_size_y
      - .offset:         160
        .size:           2
        .value_kind:     hidden_group_size_z
      - .offset:         162
        .size:           2
        .value_kind:     hidden_remainder_x
      - .offset:         164
        .size:           2
        .value_kind:     hidden_remainder_y
      - .offset:         166
        .size:           2
        .value_kind:     hidden_remainder_z
      - .offset:         184
        .size:           8
        .value_kind:     hidden_global_offset_x
      - .offset:         192
        .size:           8
        .value_kind:     hidden_global_offset_y
      - .offset:         200
        .size:           8
        .value_kind:     hidden_global_offset_z
      - .offset:         208
        .size:           2
        .value_kind:     hidden_grid_dims
    .group_segment_fixed_size: 8192
    .kernarg_segment_align: 8
    .kernarg_segment_size: 400
    .language:       OpenCL C
    .language_version:
      - 2
      - 0
    .max_flat_workgroup_size: 256
    .name:           _Z39paged_attention_ll4mi_QKV_mfma16_kernelI14__hip_bfloat16S0_LN4vllm18Fp8KVCacheDataTypeE0ES0_Li32ELi64ELi256ELb0ELi2EEvPKT_PKT0_S8_ifPKiSA_SA_iPKfiiiPfSD_PS3_PT2_iSC_SC_
    .private_segment_fixed_size: 0
    .sgpr_count:     54
    .sgpr_spill_count: 0
    .symbol:         _Z39paged_attention_ll4mi_QKV_mfma16_kernelI14__hip_bfloat16S0_LN4vllm18Fp8KVCacheDataTypeE0ES0_Li32ELi64ELi256ELb0ELi2EEvPKT_PKT0_S8_ifPKiSA_SA_iPKfiiiPfSD_PS3_PT2_iSC_SC_.kd
    .uniform_work_group_size: 1
    .uses_dynamic_stack: false
    .vgpr_count:     67
    .vgpr_spill_count: 0
    .wavefront_size: 64
  - .agpr_count:     0
    .args:
      - .actual_access:  read_only
        .address_space:  global
        .offset:         0
        .size:           8
        .value_kind:     global_buffer
      - .actual_access:  read_only
        .address_space:  global
        .offset:         8
        .size:           8
        .value_kind:     global_buffer
      - .actual_access:  read_only
        .address_space:  global
        .offset:         16
        .size:           8
        .value_kind:     global_buffer
      - .offset:         24
        .size:           4
        .value_kind:     by_value
      - .offset:         28
        .size:           4
        .value_kind:     by_value
      - .actual_access:  read_only
        .address_space:  global
        .offset:         32
        .size:           8
        .value_kind:     global_buffer
      - .actual_access:  read_only
        .address_space:  global
        .offset:         40
        .size:           8
        .value_kind:     global_buffer
      - .actual_access:  read_only
        .address_space:  global
        .offset:         48
        .size:           8
        .value_kind:     global_buffer
      - .offset:         56
        .size:           4
        .value_kind:     by_value
      - .actual_access:  read_only
        .address_space:  global
        .offset:         64
        .size:           8
        .value_kind:     global_buffer
      - .offset:         72
        .size:           4
        .value_kind:     by_value
      - .offset:         76
        .size:           4
        .value_kind:     by_value
      - .offset:         80
        .size:           4
        .value_kind:     by_value
      - .actual_access:  write_only
        .address_space:  global
        .offset:         88
        .size:           8
        .value_kind:     global_buffer
      - .actual_access:  write_only
        .address_space:  global
        .offset:         96
        .size:           8
        .value_kind:     global_buffer
      - .actual_access:  write_only
        .address_space:  global
        .offset:         104
        .size:           8
        .value_kind:     global_buffer
      - .actual_access:  read_only
        .address_space:  global
        .offset:         112
        .size:           8
        .value_kind:     global_buffer
      - .offset:         120
        .size:           4
        .value_kind:     by_value
      - .address_space:  global
        .offset:         128
        .size:           8
        .value_kind:     global_buffer
      - .address_space:  global
        .offset:         136
        .size:           8
        .value_kind:     global_buffer
      - .offset:         144
        .size:           4
        .value_kind:     hidden_block_count_x
      - .offset:         148
        .size:           4
        .value_kind:     hidden_block_count_y
      - .offset:         152
        .size:           4
        .value_kind:     hidden_block_count_z
      - .offset:         156
        .size:           2
        .value_kind:     hidden_group_size_x
      - .offset:         158
        .size:           2
        .value_kind:     hidden_group_size_y
      - .offset:         160
        .size:           2
        .value_kind:     hidden_group_size_z
      - .offset:         162
        .size:           2
        .value_kind:     hidden_remainder_x
      - .offset:         164
        .size:           2
        .value_kind:     hidden_remainder_y
      - .offset:         166
        .size:           2
        .value_kind:     hidden_remainder_z
      - .offset:         184
        .size:           8
        .value_kind:     hidden_global_offset_x
      - .offset:         192
        .size:           8
        .value_kind:     hidden_global_offset_y
      - .offset:         200
        .size:           8
        .value_kind:     hidden_global_offset_z
      - .offset:         208
        .size:           2
        .value_kind:     hidden_grid_dims
    .group_segment_fixed_size: 8192
    .kernarg_segment_align: 8
    .kernarg_segment_size: 400
    .language:       OpenCL C
    .language_version:
      - 2
      - 0
    .max_flat_workgroup_size: 256
    .name:           _Z39paged_attention_ll4mi_QKV_mfma16_kernelI14__hip_bfloat16S0_LN4vllm18Fp8KVCacheDataTypeE0ES0_Li32ELi64ELi256ELb0ELi3EEvPKT_PKT0_S8_ifPKiSA_SA_iPKfiiiPfSD_PS3_PT2_iSC_SC_
    .private_segment_fixed_size: 0
    .sgpr_count:     54
    .sgpr_spill_count: 0
    .symbol:         _Z39paged_attention_ll4mi_QKV_mfma16_kernelI14__hip_bfloat16S0_LN4vllm18Fp8KVCacheDataTypeE0ES0_Li32ELi64ELi256ELb0ELi3EEvPKT_PKT0_S8_ifPKiSA_SA_iPKfiiiPfSD_PS3_PT2_iSC_SC_.kd
    .uniform_work_group_size: 1
    .uses_dynamic_stack: false
    .vgpr_count:     68
    .vgpr_spill_count: 0
    .wavefront_size: 64
  - .agpr_count:     0
    .args:
      - .actual_access:  read_only
        .address_space:  global
        .offset:         0
        .size:           8
        .value_kind:     global_buffer
      - .actual_access:  read_only
        .address_space:  global
        .offset:         8
        .size:           8
        .value_kind:     global_buffer
      - .actual_access:  read_only
        .address_space:  global
        .offset:         16
        .size:           8
        .value_kind:     global_buffer
      - .offset:         24
        .size:           4
        .value_kind:     by_value
      - .offset:         28
        .size:           4
        .value_kind:     by_value
      - .actual_access:  read_only
        .address_space:  global
        .offset:         32
        .size:           8
        .value_kind:     global_buffer
      - .actual_access:  read_only
        .address_space:  global
        .offset:         40
        .size:           8
        .value_kind:     global_buffer
      - .actual_access:  read_only
        .address_space:  global
        .offset:         48
        .size:           8
        .value_kind:     global_buffer
      - .offset:         56
        .size:           4
        .value_kind:     by_value
      - .actual_access:  read_only
        .address_space:  global
        .offset:         64
        .size:           8
        .value_kind:     global_buffer
      - .offset:         72
        .size:           4
        .value_kind:     by_value
      - .offset:         76
        .size:           4
        .value_kind:     by_value
      - .offset:         80
        .size:           4
        .value_kind:     by_value
      - .actual_access:  write_only
        .address_space:  global
        .offset:         88
        .size:           8
        .value_kind:     global_buffer
      - .actual_access:  write_only
        .address_space:  global
        .offset:         96
        .size:           8
        .value_kind:     global_buffer
      - .actual_access:  write_only
        .address_space:  global
        .offset:         104
        .size:           8
        .value_kind:     global_buffer
      - .actual_access:  read_only
        .address_space:  global
        .offset:         112
        .size:           8
        .value_kind:     global_buffer
      - .offset:         120
        .size:           4
        .value_kind:     by_value
      - .address_space:  global
        .offset:         128
        .size:           8
        .value_kind:     global_buffer
      - .address_space:  global
        .offset:         136
        .size:           8
        .value_kind:     global_buffer
      - .offset:         144
        .size:           4
        .value_kind:     hidden_block_count_x
      - .offset:         148
        .size:           4
        .value_kind:     hidden_block_count_y
      - .offset:         152
        .size:           4
        .value_kind:     hidden_block_count_z
      - .offset:         156
        .size:           2
        .value_kind:     hidden_group_size_x
      - .offset:         158
        .size:           2
        .value_kind:     hidden_group_size_y
      - .offset:         160
        .size:           2
        .value_kind:     hidden_group_size_z
      - .offset:         162
        .size:           2
        .value_kind:     hidden_remainder_x
      - .offset:         164
        .size:           2
        .value_kind:     hidden_remainder_y
      - .offset:         166
        .size:           2
        .value_kind:     hidden_remainder_z
      - .offset:         184
        .size:           8
        .value_kind:     hidden_global_offset_x
      - .offset:         192
        .size:           8
        .value_kind:     hidden_global_offset_y
      - .offset:         200
        .size:           8
        .value_kind:     hidden_global_offset_z
      - .offset:         208
        .size:           2
        .value_kind:     hidden_grid_dims
    .group_segment_fixed_size: 8192
    .kernarg_segment_align: 8
    .kernarg_segment_size: 400
    .language:       OpenCL C
    .language_version:
      - 2
      - 0
    .max_flat_workgroup_size: 256
    .name:           _Z39paged_attention_ll4mi_QKV_mfma16_kernelI14__hip_bfloat16S0_LN4vllm18Fp8KVCacheDataTypeE0ES0_Li32ELi64ELi256ELb0ELi4EEvPKT_PKT0_S8_ifPKiSA_SA_iPKfiiiPfSD_PS3_PT2_iSC_SC_
    .private_segment_fixed_size: 0
    .sgpr_count:     52
    .sgpr_spill_count: 0
    .symbol:         _Z39paged_attention_ll4mi_QKV_mfma16_kernelI14__hip_bfloat16S0_LN4vllm18Fp8KVCacheDataTypeE0ES0_Li32ELi64ELi256ELb0ELi4EEvPKT_PKT0_S8_ifPKiSA_SA_iPKfiiiPfSD_PS3_PT2_iSC_SC_.kd
    .uniform_work_group_size: 1
    .uses_dynamic_stack: false
    .vgpr_count:     69
    .vgpr_spill_count: 0
    .wavefront_size: 64
  - .agpr_count:     8
    .args:
      - .actual_access:  read_only
        .address_space:  global
        .offset:         0
        .size:           8
        .value_kind:     global_buffer
      - .actual_access:  read_only
        .address_space:  global
        .offset:         8
        .size:           8
        .value_kind:     global_buffer
      - .actual_access:  read_only
        .address_space:  global
        .offset:         16
        .size:           8
        .value_kind:     global_buffer
      - .offset:         24
        .size:           4
        .value_kind:     by_value
      - .offset:         28
        .size:           4
        .value_kind:     by_value
      - .actual_access:  read_only
        .address_space:  global
        .offset:         32
        .size:           8
        .value_kind:     global_buffer
      - .actual_access:  read_only
        .address_space:  global
        .offset:         40
        .size:           8
        .value_kind:     global_buffer
      - .actual_access:  read_only
        .address_space:  global
        .offset:         48
        .size:           8
        .value_kind:     global_buffer
      - .offset:         56
        .size:           4
        .value_kind:     by_value
      - .actual_access:  read_only
        .address_space:  global
        .offset:         64
        .size:           8
        .value_kind:     global_buffer
      - .offset:         72
        .size:           4
        .value_kind:     by_value
      - .offset:         76
        .size:           4
        .value_kind:     by_value
      - .offset:         80
        .size:           4
        .value_kind:     by_value
      - .actual_access:  write_only
        .address_space:  global
        .offset:         88
        .size:           8
        .value_kind:     global_buffer
      - .actual_access:  write_only
        .address_space:  global
        .offset:         96
        .size:           8
        .value_kind:     global_buffer
      - .actual_access:  write_only
        .address_space:  global
        .offset:         104
        .size:           8
        .value_kind:     global_buffer
      - .actual_access:  read_only
        .address_space:  global
        .offset:         112
        .size:           8
        .value_kind:     global_buffer
      - .offset:         120
        .size:           4
        .value_kind:     by_value
      - .address_space:  global
        .offset:         128
        .size:           8
        .value_kind:     global_buffer
      - .address_space:  global
        .offset:         136
        .size:           8
        .value_kind:     global_buffer
      - .offset:         144
        .size:           4
        .value_kind:     hidden_block_count_x
      - .offset:         148
        .size:           4
        .value_kind:     hidden_block_count_y
      - .offset:         152
        .size:           4
        .value_kind:     hidden_block_count_z
      - .offset:         156
        .size:           2
        .value_kind:     hidden_group_size_x
      - .offset:         158
        .size:           2
        .value_kind:     hidden_group_size_y
      - .offset:         160
        .size:           2
        .value_kind:     hidden_group_size_z
      - .offset:         162
        .size:           2
        .value_kind:     hidden_remainder_x
      - .offset:         164
        .size:           2
        .value_kind:     hidden_remainder_y
      - .offset:         166
        .size:           2
        .value_kind:     hidden_remainder_z
      - .offset:         184
        .size:           8
        .value_kind:     hidden_global_offset_x
      - .offset:         192
        .size:           8
        .value_kind:     hidden_global_offset_y
      - .offset:         200
        .size:           8
        .value_kind:     hidden_global_offset_z
      - .offset:         208
        .size:           2
        .value_kind:     hidden_grid_dims
    .group_segment_fixed_size: 5280
    .kernarg_segment_align: 8
    .kernarg_segment_size: 400
    .language:       OpenCL C
    .language_version:
      - 2
      - 0
    .max_flat_workgroup_size: 256
    .name:           _Z38paged_attention_ll4mi_QKV_mfma4_kernelI14__hip_bfloat16S0_LN4vllm18Fp8KVCacheDataTypeE0EhLi16ELi128ELi256ELb1ELi1EEvPKT_PKT0_S8_ifPKiSA_SA_iPKfiiiPfSD_PS3_PT2_iSC_SC_
    .private_segment_fixed_size: 0
    .sgpr_count:     44
    .sgpr_spill_count: 0
    .symbol:         _Z38paged_attention_ll4mi_QKV_mfma4_kernelI14__hip_bfloat16S0_LN4vllm18Fp8KVCacheDataTypeE0EhLi16ELi128ELi256ELb1ELi1EEvPKT_PKT0_S8_ifPKiSA_SA_iPKfiiiPfSD_PS3_PT2_iSC_SC_.kd
    .uniform_work_group_size: 1
    .uses_dynamic_stack: false
    .vgpr_count:     108
    .vgpr_spill_count: 0
    .wavefront_size: 64
  - .agpr_count:     8
    .args:
      - .actual_access:  read_only
        .address_space:  global
        .offset:         0
        .size:           8
        .value_kind:     global_buffer
      - .actual_access:  read_only
        .address_space:  global
        .offset:         8
        .size:           8
        .value_kind:     global_buffer
      - .actual_access:  read_only
        .address_space:  global
        .offset:         16
        .size:           8
        .value_kind:     global_buffer
      - .offset:         24
        .size:           4
        .value_kind:     by_value
      - .offset:         28
        .size:           4
        .value_kind:     by_value
      - .actual_access:  read_only
        .address_space:  global
        .offset:         32
        .size:           8
        .value_kind:     global_buffer
      - .actual_access:  read_only
        .address_space:  global
        .offset:         40
        .size:           8
        .value_kind:     global_buffer
      - .actual_access:  read_only
        .address_space:  global
        .offset:         48
        .size:           8
        .value_kind:     global_buffer
      - .offset:         56
        .size:           4
        .value_kind:     by_value
      - .actual_access:  read_only
        .address_space:  global
        .offset:         64
        .size:           8
        .value_kind:     global_buffer
      - .offset:         72
        .size:           4
        .value_kind:     by_value
      - .offset:         76
        .size:           4
        .value_kind:     by_value
      - .offset:         80
        .size:           4
        .value_kind:     by_value
      - .actual_access:  write_only
        .address_space:  global
        .offset:         88
        .size:           8
        .value_kind:     global_buffer
      - .actual_access:  write_only
        .address_space:  global
        .offset:         96
        .size:           8
        .value_kind:     global_buffer
      - .actual_access:  write_only
        .address_space:  global
        .offset:         104
        .size:           8
        .value_kind:     global_buffer
      - .actual_access:  read_only
        .address_space:  global
        .offset:         112
        .size:           8
        .value_kind:     global_buffer
      - .offset:         120
        .size:           4
        .value_kind:     by_value
      - .address_space:  global
        .offset:         128
        .size:           8
        .value_kind:     global_buffer
      - .address_space:  global
        .offset:         136
        .size:           8
        .value_kind:     global_buffer
      - .offset:         144
        .size:           4
        .value_kind:     hidden_block_count_x
      - .offset:         148
        .size:           4
        .value_kind:     hidden_block_count_y
      - .offset:         152
        .size:           4
        .value_kind:     hidden_block_count_z
      - .offset:         156
        .size:           2
        .value_kind:     hidden_group_size_x
      - .offset:         158
        .size:           2
        .value_kind:     hidden_group_size_y
      - .offset:         160
        .size:           2
        .value_kind:     hidden_group_size_z
      - .offset:         162
        .size:           2
        .value_kind:     hidden_remainder_x
      - .offset:         164
        .size:           2
        .value_kind:     hidden_remainder_y
      - .offset:         166
        .size:           2
        .value_kind:     hidden_remainder_z
      - .offset:         184
        .size:           8
        .value_kind:     hidden_global_offset_x
      - .offset:         192
        .size:           8
        .value_kind:     hidden_global_offset_y
      - .offset:         200
        .size:           8
        .value_kind:     hidden_global_offset_z
      - .offset:         208
        .size:           2
        .value_kind:     hidden_grid_dims
    .group_segment_fixed_size: 5280
    .kernarg_segment_align: 8
    .kernarg_segment_size: 400
    .language:       OpenCL C
    .language_version:
      - 2
      - 0
    .max_flat_workgroup_size: 256
    .name:           _Z38paged_attention_ll4mi_QKV_mfma4_kernelI14__hip_bfloat16S0_LN4vllm18Fp8KVCacheDataTypeE0EhLi16ELi128ELi256ELb1ELi2EEvPKT_PKT0_S8_ifPKiSA_SA_iPKfiiiPfSD_PS3_PT2_iSC_SC_
    .private_segment_fixed_size: 0
    .sgpr_count:     46
    .sgpr_spill_count: 0
    .symbol:         _Z38paged_attention_ll4mi_QKV_mfma4_kernelI14__hip_bfloat16S0_LN4vllm18Fp8KVCacheDataTypeE0EhLi16ELi128ELi256ELb1ELi2EEvPKT_PKT0_S8_ifPKiSA_SA_iPKfiiiPfSD_PS3_PT2_iSC_SC_.kd
    .uniform_work_group_size: 1
    .uses_dynamic_stack: false
    .vgpr_count:     108
    .vgpr_spill_count: 0
    .wavefront_size: 64
  - .agpr_count:     8
    .args:
      - .actual_access:  read_only
        .address_space:  global
        .offset:         0
        .size:           8
        .value_kind:     global_buffer
      - .actual_access:  read_only
        .address_space:  global
        .offset:         8
        .size:           8
        .value_kind:     global_buffer
      - .actual_access:  read_only
        .address_space:  global
        .offset:         16
        .size:           8
        .value_kind:     global_buffer
      - .offset:         24
        .size:           4
        .value_kind:     by_value
      - .offset:         28
        .size:           4
        .value_kind:     by_value
      - .actual_access:  read_only
        .address_space:  global
        .offset:         32
        .size:           8
        .value_kind:     global_buffer
      - .actual_access:  read_only
        .address_space:  global
        .offset:         40
        .size:           8
        .value_kind:     global_buffer
      - .actual_access:  read_only
        .address_space:  global
        .offset:         48
        .size:           8
        .value_kind:     global_buffer
      - .offset:         56
        .size:           4
        .value_kind:     by_value
      - .actual_access:  read_only
        .address_space:  global
        .offset:         64
        .size:           8
        .value_kind:     global_buffer
      - .offset:         72
        .size:           4
        .value_kind:     by_value
      - .offset:         76
        .size:           4
        .value_kind:     by_value
      - .offset:         80
        .size:           4
        .value_kind:     by_value
      - .actual_access:  write_only
        .address_space:  global
        .offset:         88
        .size:           8
        .value_kind:     global_buffer
      - .actual_access:  write_only
        .address_space:  global
        .offset:         96
        .size:           8
        .value_kind:     global_buffer
      - .actual_access:  write_only
        .address_space:  global
        .offset:         104
        .size:           8
        .value_kind:     global_buffer
      - .actual_access:  read_only
        .address_space:  global
        .offset:         112
        .size:           8
        .value_kind:     global_buffer
      - .offset:         120
        .size:           4
        .value_kind:     by_value
      - .address_space:  global
        .offset:         128
        .size:           8
        .value_kind:     global_buffer
      - .address_space:  global
        .offset:         136
        .size:           8
        .value_kind:     global_buffer
      - .offset:         144
        .size:           4
        .value_kind:     hidden_block_count_x
      - .offset:         148
        .size:           4
        .value_kind:     hidden_block_count_y
      - .offset:         152
        .size:           4
        .value_kind:     hidden_block_count_z
      - .offset:         156
        .size:           2
        .value_kind:     hidden_group_size_x
      - .offset:         158
        .size:           2
        .value_kind:     hidden_group_size_y
      - .offset:         160
        .size:           2
        .value_kind:     hidden_group_size_z
      - .offset:         162
        .size:           2
        .value_kind:     hidden_remainder_x
      - .offset:         164
        .size:           2
        .value_kind:     hidden_remainder_y
      - .offset:         166
        .size:           2
        .value_kind:     hidden_remainder_z
      - .offset:         184
        .size:           8
        .value_kind:     hidden_global_offset_x
      - .offset:         192
        .size:           8
        .value_kind:     hidden_global_offset_y
      - .offset:         200
        .size:           8
        .value_kind:     hidden_global_offset_z
      - .offset:         208
        .size:           2
        .value_kind:     hidden_grid_dims
    .group_segment_fixed_size: 5280
    .kernarg_segment_align: 8
    .kernarg_segment_size: 400
    .language:       OpenCL C
    .language_version:
      - 2
      - 0
    .max_flat_workgroup_size: 256
    .name:           _Z38paged_attention_ll4mi_QKV_mfma4_kernelI14__hip_bfloat16S0_LN4vllm18Fp8KVCacheDataTypeE0EhLi16ELi128ELi256ELb1ELi3EEvPKT_PKT0_S8_ifPKiSA_SA_iPKfiiiPfSD_PS3_PT2_iSC_SC_
    .private_segment_fixed_size: 0
    .sgpr_count:     46
    .sgpr_spill_count: 0
    .symbol:         _Z38paged_attention_ll4mi_QKV_mfma4_kernelI14__hip_bfloat16S0_LN4vllm18Fp8KVCacheDataTypeE0EhLi16ELi128ELi256ELb1ELi3EEvPKT_PKT0_S8_ifPKiSA_SA_iPKfiiiPfSD_PS3_PT2_iSC_SC_.kd
    .uniform_work_group_size: 1
    .uses_dynamic_stack: false
    .vgpr_count:     104
    .vgpr_spill_count: 0
    .wavefront_size: 64
  - .agpr_count:     8
    .args:
      - .actual_access:  read_only
        .address_space:  global
        .offset:         0
        .size:           8
        .value_kind:     global_buffer
      - .actual_access:  read_only
        .address_space:  global
        .offset:         8
        .size:           8
        .value_kind:     global_buffer
      - .actual_access:  read_only
        .address_space:  global
        .offset:         16
        .size:           8
        .value_kind:     global_buffer
      - .offset:         24
        .size:           4
        .value_kind:     by_value
      - .offset:         28
        .size:           4
        .value_kind:     by_value
      - .actual_access:  read_only
        .address_space:  global
        .offset:         32
        .size:           8
        .value_kind:     global_buffer
      - .actual_access:  read_only
        .address_space:  global
        .offset:         40
        .size:           8
        .value_kind:     global_buffer
      - .actual_access:  read_only
        .address_space:  global
        .offset:         48
        .size:           8
        .value_kind:     global_buffer
      - .offset:         56
        .size:           4
        .value_kind:     by_value
      - .actual_access:  read_only
        .address_space:  global
        .offset:         64
        .size:           8
        .value_kind:     global_buffer
      - .offset:         72
        .size:           4
        .value_kind:     by_value
      - .offset:         76
        .size:           4
        .value_kind:     by_value
      - .offset:         80
        .size:           4
        .value_kind:     by_value
      - .actual_access:  write_only
        .address_space:  global
        .offset:         88
        .size:           8
        .value_kind:     global_buffer
      - .actual_access:  write_only
        .address_space:  global
        .offset:         96
        .size:           8
        .value_kind:     global_buffer
      - .actual_access:  write_only
        .address_space:  global
        .offset:         104
        .size:           8
        .value_kind:     global_buffer
      - .actual_access:  read_only
        .address_space:  global
        .offset:         112
        .size:           8
        .value_kind:     global_buffer
      - .offset:         120
        .size:           4
        .value_kind:     by_value
      - .address_space:  global
        .offset:         128
        .size:           8
        .value_kind:     global_buffer
      - .address_space:  global
        .offset:         136
        .size:           8
        .value_kind:     global_buffer
      - .offset:         144
        .size:           4
        .value_kind:     hidden_block_count_x
      - .offset:         148
        .size:           4
        .value_kind:     hidden_block_count_y
      - .offset:         152
        .size:           4
        .value_kind:     hidden_block_count_z
      - .offset:         156
        .size:           2
        .value_kind:     hidden_group_size_x
      - .offset:         158
        .size:           2
        .value_kind:     hidden_group_size_y
      - .offset:         160
        .size:           2
        .value_kind:     hidden_group_size_z
      - .offset:         162
        .size:           2
        .value_kind:     hidden_remainder_x
      - .offset:         164
        .size:           2
        .value_kind:     hidden_remainder_y
      - .offset:         166
        .size:           2
        .value_kind:     hidden_remainder_z
      - .offset:         184
        .size:           8
        .value_kind:     hidden_global_offset_x
      - .offset:         192
        .size:           8
        .value_kind:     hidden_global_offset_y
      - .offset:         200
        .size:           8
        .value_kind:     hidden_global_offset_z
      - .offset:         208
        .size:           2
        .value_kind:     hidden_grid_dims
    .group_segment_fixed_size: 5280
    .kernarg_segment_align: 8
    .kernarg_segment_size: 400
    .language:       OpenCL C
    .language_version:
      - 2
      - 0
    .max_flat_workgroup_size: 256
    .name:           _Z38paged_attention_ll4mi_QKV_mfma4_kernelI14__hip_bfloat16S0_LN4vllm18Fp8KVCacheDataTypeE0EhLi16ELi128ELi256ELb1ELi4EEvPKT_PKT0_S8_ifPKiSA_SA_iPKfiiiPfSD_PS3_PT2_iSC_SC_
    .private_segment_fixed_size: 0
    .sgpr_count:     47
    .sgpr_spill_count: 0
    .symbol:         _Z38paged_attention_ll4mi_QKV_mfma4_kernelI14__hip_bfloat16S0_LN4vllm18Fp8KVCacheDataTypeE0EhLi16ELi128ELi256ELb1ELi4EEvPKT_PKT0_S8_ifPKiSA_SA_iPKfiiiPfSD_PS3_PT2_iSC_SC_.kd
    .uniform_work_group_size: 1
    .uses_dynamic_stack: false
    .vgpr_count:     112
    .vgpr_spill_count: 0
    .wavefront_size: 64
  - .agpr_count:     0
    .args:
      - .actual_access:  read_only
        .address_space:  global
        .offset:         0
        .size:           8
        .value_kind:     global_buffer
      - .actual_access:  read_only
        .address_space:  global
        .offset:         8
        .size:           8
        .value_kind:     global_buffer
      - .actual_access:  read_only
        .address_space:  global
        .offset:         16
        .size:           8
        .value_kind:     global_buffer
      - .offset:         24
        .size:           4
        .value_kind:     by_value
      - .offset:         28
        .size:           4
        .value_kind:     by_value
      - .actual_access:  read_only
        .address_space:  global
        .offset:         32
        .size:           8
        .value_kind:     global_buffer
      - .actual_access:  read_only
        .address_space:  global
        .offset:         40
        .size:           8
        .value_kind:     global_buffer
      - .actual_access:  read_only
        .address_space:  global
        .offset:         48
        .size:           8
        .value_kind:     global_buffer
      - .offset:         56
        .size:           4
        .value_kind:     by_value
      - .actual_access:  read_only
        .address_space:  global
        .offset:         64
        .size:           8
        .value_kind:     global_buffer
      - .offset:         72
        .size:           4
        .value_kind:     by_value
      - .offset:         76
        .size:           4
        .value_kind:     by_value
      - .offset:         80
        .size:           4
        .value_kind:     by_value
      - .actual_access:  write_only
        .address_space:  global
        .offset:         88
        .size:           8
        .value_kind:     global_buffer
      - .actual_access:  write_only
        .address_space:  global
        .offset:         96
        .size:           8
        .value_kind:     global_buffer
      - .actual_access:  write_only
        .address_space:  global
        .offset:         104
        .size:           8
        .value_kind:     global_buffer
      - .actual_access:  read_only
        .address_space:  global
        .offset:         112
        .size:           8
        .value_kind:     global_buffer
      - .offset:         120
        .size:           4
        .value_kind:     by_value
      - .address_space:  global
        .offset:         128
        .size:           8
        .value_kind:     global_buffer
      - .address_space:  global
        .offset:         136
        .size:           8
        .value_kind:     global_buffer
      - .offset:         144
        .size:           4
        .value_kind:     hidden_block_count_x
      - .offset:         148
        .size:           4
        .value_kind:     hidden_block_count_y
      - .offset:         152
        .size:           4
        .value_kind:     hidden_block_count_z
      - .offset:         156
        .size:           2
        .value_kind:     hidden_group_size_x
      - .offset:         158
        .size:           2
        .value_kind:     hidden_group_size_y
      - .offset:         160
        .size:           2
        .value_kind:     hidden_group_size_z
      - .offset:         162
        .size:           2
        .value_kind:     hidden_remainder_x
      - .offset:         164
        .size:           2
        .value_kind:     hidden_remainder_y
      - .offset:         166
        .size:           2
        .value_kind:     hidden_remainder_z
      - .offset:         184
        .size:           8
        .value_kind:     hidden_global_offset_x
      - .offset:         192
        .size:           8
        .value_kind:     hidden_global_offset_y
      - .offset:         200
        .size:           8
        .value_kind:     hidden_global_offset_z
      - .offset:         208
        .size:           2
        .value_kind:     hidden_grid_dims
    .group_segment_fixed_size: 8192
    .kernarg_segment_align: 8
    .kernarg_segment_size: 400
    .language:       OpenCL C
    .language_version:
      - 2
      - 0
    .max_flat_workgroup_size: 256
    .name:           _Z39paged_attention_ll4mi_QKV_mfma16_kernelI14__hip_bfloat16S0_LN4vllm18Fp8KVCacheDataTypeE0EhLi16ELi128ELi256ELb1ELi5EEvPKT_PKT0_S8_ifPKiSA_SA_iPKfiiiPfSD_PS3_PT2_iSC_SC_
    .private_segment_fixed_size: 0
    .sgpr_count:     48
    .sgpr_spill_count: 0
    .symbol:         _Z39paged_attention_ll4mi_QKV_mfma16_kernelI14__hip_bfloat16S0_LN4vllm18Fp8KVCacheDataTypeE0EhLi16ELi128ELi256ELb1ELi5EEvPKT_PKT0_S8_ifPKiSA_SA_iPKfiiiPfSD_PS3_PT2_iSC_SC_.kd
    .uniform_work_group_size: 1
    .uses_dynamic_stack: false
    .vgpr_count:     96
    .vgpr_spill_count: 0
    .wavefront_size: 64
  - .agpr_count:     0
    .args:
      - .actual_access:  read_only
        .address_space:  global
        .offset:         0
        .size:           8
        .value_kind:     global_buffer
      - .actual_access:  read_only
        .address_space:  global
        .offset:         8
        .size:           8
        .value_kind:     global_buffer
      - .actual_access:  read_only
        .address_space:  global
        .offset:         16
        .size:           8
        .value_kind:     global_buffer
      - .offset:         24
        .size:           4
        .value_kind:     by_value
      - .offset:         28
        .size:           4
        .value_kind:     by_value
      - .actual_access:  read_only
        .address_space:  global
        .offset:         32
        .size:           8
        .value_kind:     global_buffer
      - .actual_access:  read_only
        .address_space:  global
        .offset:         40
        .size:           8
        .value_kind:     global_buffer
      - .actual_access:  read_only
        .address_space:  global
        .offset:         48
        .size:           8
        .value_kind:     global_buffer
      - .offset:         56
        .size:           4
        .value_kind:     by_value
      - .actual_access:  read_only
        .address_space:  global
        .offset:         64
        .size:           8
        .value_kind:     global_buffer
      - .offset:         72
        .size:           4
        .value_kind:     by_value
      - .offset:         76
        .size:           4
        .value_kind:     by_value
      - .offset:         80
        .size:           4
        .value_kind:     by_value
      - .actual_access:  write_only
        .address_space:  global
        .offset:         88
        .size:           8
        .value_kind:     global_buffer
      - .actual_access:  write_only
        .address_space:  global
        .offset:         96
        .size:           8
        .value_kind:     global_buffer
      - .actual_access:  write_only
        .address_space:  global
        .offset:         104
        .size:           8
        .value_kind:     global_buffer
      - .actual_access:  read_only
        .address_space:  global
        .offset:         112
        .size:           8
        .value_kind:     global_buffer
      - .offset:         120
        .size:           4
        .value_kind:     by_value
      - .address_space:  global
        .offset:         128
        .size:           8
        .value_kind:     global_buffer
      - .address_space:  global
        .offset:         136
        .size:           8
        .value_kind:     global_buffer
      - .offset:         144
        .size:           4
        .value_kind:     hidden_block_count_x
      - .offset:         148
        .size:           4
        .value_kind:     hidden_block_count_y
      - .offset:         152
        .size:           4
        .value_kind:     hidden_block_count_z
      - .offset:         156
        .size:           2
        .value_kind:     hidden_group_size_x
      - .offset:         158
        .size:           2
        .value_kind:     hidden_group_size_y
      - .offset:         160
        .size:           2
        .value_kind:     hidden_group_size_z
      - .offset:         162
        .size:           2
        .value_kind:     hidden_remainder_x
      - .offset:         164
        .size:           2
        .value_kind:     hidden_remainder_y
      - .offset:         166
        .size:           2
        .value_kind:     hidden_remainder_z
      - .offset:         184
        .size:           8
        .value_kind:     hidden_global_offset_x
      - .offset:         192
        .size:           8
        .value_kind:     hidden_global_offset_y
      - .offset:         200
        .size:           8
        .value_kind:     hidden_global_offset_z
      - .offset:         208
        .size:           2
        .value_kind:     hidden_grid_dims
    .group_segment_fixed_size: 8192
    .kernarg_segment_align: 8
    .kernarg_segment_size: 400
    .language:       OpenCL C
    .language_version:
      - 2
      - 0
    .max_flat_workgroup_size: 256
    .name:           _Z39paged_attention_ll4mi_QKV_mfma16_kernelI14__hip_bfloat16S0_LN4vllm18Fp8KVCacheDataTypeE0EhLi16ELi128ELi256ELb1ELi6EEvPKT_PKT0_S8_ifPKiSA_SA_iPKfiiiPfSD_PS3_PT2_iSC_SC_
    .private_segment_fixed_size: 0
    .sgpr_count:     48
    .sgpr_spill_count: 0
    .symbol:         _Z39paged_attention_ll4mi_QKV_mfma16_kernelI14__hip_bfloat16S0_LN4vllm18Fp8KVCacheDataTypeE0EhLi16ELi128ELi256ELb1ELi6EEvPKT_PKT0_S8_ifPKiSA_SA_iPKfiiiPfSD_PS3_PT2_iSC_SC_.kd
    .uniform_work_group_size: 1
    .uses_dynamic_stack: false
    .vgpr_count:     96
    .vgpr_spill_count: 0
    .wavefront_size: 64
  - .agpr_count:     0
    .args:
      - .actual_access:  read_only
        .address_space:  global
        .offset:         0
        .size:           8
        .value_kind:     global_buffer
      - .actual_access:  read_only
        .address_space:  global
        .offset:         8
        .size:           8
        .value_kind:     global_buffer
      - .actual_access:  read_only
        .address_space:  global
        .offset:         16
        .size:           8
        .value_kind:     global_buffer
      - .offset:         24
        .size:           4
        .value_kind:     by_value
      - .offset:         28
        .size:           4
        .value_kind:     by_value
      - .actual_access:  read_only
        .address_space:  global
        .offset:         32
        .size:           8
        .value_kind:     global_buffer
      - .actual_access:  read_only
        .address_space:  global
        .offset:         40
        .size:           8
        .value_kind:     global_buffer
      - .actual_access:  read_only
        .address_space:  global
        .offset:         48
        .size:           8
        .value_kind:     global_buffer
      - .offset:         56
        .size:           4
        .value_kind:     by_value
      - .actual_access:  read_only
        .address_space:  global
        .offset:         64
        .size:           8
        .value_kind:     global_buffer
      - .offset:         72
        .size:           4
        .value_kind:     by_value
      - .offset:         76
        .size:           4
        .value_kind:     by_value
      - .offset:         80
        .size:           4
        .value_kind:     by_value
      - .actual_access:  write_only
        .address_space:  global
        .offset:         88
        .size:           8
        .value_kind:     global_buffer
      - .actual_access:  write_only
        .address_space:  global
        .offset:         96
        .size:           8
        .value_kind:     global_buffer
      - .actual_access:  write_only
        .address_space:  global
        .offset:         104
        .size:           8
        .value_kind:     global_buffer
      - .actual_access:  read_only
        .address_space:  global
        .offset:         112
        .size:           8
        .value_kind:     global_buffer
      - .offset:         120
        .size:           4
        .value_kind:     by_value
      - .address_space:  global
        .offset:         128
        .size:           8
        .value_kind:     global_buffer
      - .address_space:  global
        .offset:         136
        .size:           8
        .value_kind:     global_buffer
      - .offset:         144
        .size:           4
        .value_kind:     hidden_block_count_x
      - .offset:         148
        .size:           4
        .value_kind:     hidden_block_count_y
      - .offset:         152
        .size:           4
        .value_kind:     hidden_block_count_z
      - .offset:         156
        .size:           2
        .value_kind:     hidden_group_size_x
      - .offset:         158
        .size:           2
        .value_kind:     hidden_group_size_y
      - .offset:         160
        .size:           2
        .value_kind:     hidden_group_size_z
      - .offset:         162
        .size:           2
        .value_kind:     hidden_remainder_x
      - .offset:         164
        .size:           2
        .value_kind:     hidden_remainder_y
      - .offset:         166
        .size:           2
        .value_kind:     hidden_remainder_z
      - .offset:         184
        .size:           8
        .value_kind:     hidden_global_offset_x
      - .offset:         192
        .size:           8
        .value_kind:     hidden_global_offset_y
      - .offset:         200
        .size:           8
        .value_kind:     hidden_global_offset_z
      - .offset:         208
        .size:           2
        .value_kind:     hidden_grid_dims
    .group_segment_fixed_size: 8192
    .kernarg_segment_align: 8
    .kernarg_segment_size: 400
    .language:       OpenCL C
    .language_version:
      - 2
      - 0
    .max_flat_workgroup_size: 256
    .name:           _Z39paged_attention_ll4mi_QKV_mfma16_kernelI14__hip_bfloat16S0_LN4vllm18Fp8KVCacheDataTypeE0EhLi16ELi128ELi256ELb1ELi7EEvPKT_PKT0_S8_ifPKiSA_SA_iPKfiiiPfSD_PS3_PT2_iSC_SC_
    .private_segment_fixed_size: 0
    .sgpr_count:     48
    .sgpr_spill_count: 0
    .symbol:         _Z39paged_attention_ll4mi_QKV_mfma16_kernelI14__hip_bfloat16S0_LN4vllm18Fp8KVCacheDataTypeE0EhLi16ELi128ELi256ELb1ELi7EEvPKT_PKT0_S8_ifPKiSA_SA_iPKfiiiPfSD_PS3_PT2_iSC_SC_.kd
    .uniform_work_group_size: 1
    .uses_dynamic_stack: false
    .vgpr_count:     96
    .vgpr_spill_count: 0
    .wavefront_size: 64
  - .agpr_count:     0
    .args:
      - .actual_access:  read_only
        .address_space:  global
        .offset:         0
        .size:           8
        .value_kind:     global_buffer
      - .actual_access:  read_only
        .address_space:  global
        .offset:         8
        .size:           8
        .value_kind:     global_buffer
      - .actual_access:  read_only
        .address_space:  global
        .offset:         16
        .size:           8
        .value_kind:     global_buffer
      - .offset:         24
        .size:           4
        .value_kind:     by_value
      - .offset:         28
        .size:           4
        .value_kind:     by_value
      - .actual_access:  read_only
        .address_space:  global
        .offset:         32
        .size:           8
        .value_kind:     global_buffer
      - .actual_access:  read_only
        .address_space:  global
        .offset:         40
        .size:           8
        .value_kind:     global_buffer
      - .actual_access:  read_only
        .address_space:  global
        .offset:         48
        .size:           8
        .value_kind:     global_buffer
      - .offset:         56
        .size:           4
        .value_kind:     by_value
      - .actual_access:  read_only
        .address_space:  global
        .offset:         64
        .size:           8
        .value_kind:     global_buffer
      - .offset:         72
        .size:           4
        .value_kind:     by_value
      - .offset:         76
        .size:           4
        .value_kind:     by_value
      - .offset:         80
        .size:           4
        .value_kind:     by_value
      - .actual_access:  write_only
        .address_space:  global
        .offset:         88
        .size:           8
        .value_kind:     global_buffer
      - .actual_access:  write_only
        .address_space:  global
        .offset:         96
        .size:           8
        .value_kind:     global_buffer
      - .actual_access:  write_only
        .address_space:  global
        .offset:         104
        .size:           8
        .value_kind:     global_buffer
      - .actual_access:  read_only
        .address_space:  global
        .offset:         112
        .size:           8
        .value_kind:     global_buffer
      - .offset:         120
        .size:           4
        .value_kind:     by_value
      - .address_space:  global
        .offset:         128
        .size:           8
        .value_kind:     global_buffer
      - .address_space:  global
        .offset:         136
        .size:           8
        .value_kind:     global_buffer
      - .offset:         144
        .size:           4
        .value_kind:     hidden_block_count_x
      - .offset:         148
        .size:           4
        .value_kind:     hidden_block_count_y
      - .offset:         152
        .size:           4
        .value_kind:     hidden_block_count_z
      - .offset:         156
        .size:           2
        .value_kind:     hidden_group_size_x
      - .offset:         158
        .size:           2
        .value_kind:     hidden_group_size_y
      - .offset:         160
        .size:           2
        .value_kind:     hidden_group_size_z
      - .offset:         162
        .size:           2
        .value_kind:     hidden_remainder_x
      - .offset:         164
        .size:           2
        .value_kind:     hidden_remainder_y
      - .offset:         166
        .size:           2
        .value_kind:     hidden_remainder_z
      - .offset:         184
        .size:           8
        .value_kind:     hidden_global_offset_x
      - .offset:         192
        .size:           8
        .value_kind:     hidden_global_offset_y
      - .offset:         200
        .size:           8
        .value_kind:     hidden_global_offset_z
      - .offset:         208
        .size:           2
        .value_kind:     hidden_grid_dims
    .group_segment_fixed_size: 8192
    .kernarg_segment_align: 8
    .kernarg_segment_size: 400
    .language:       OpenCL C
    .language_version:
      - 2
      - 0
    .max_flat_workgroup_size: 256
    .name:           _Z39paged_attention_ll4mi_QKV_mfma16_kernelI14__hip_bfloat16S0_LN4vllm18Fp8KVCacheDataTypeE0EhLi16ELi128ELi256ELb1ELi8EEvPKT_PKT0_S8_ifPKiSA_SA_iPKfiiiPfSD_PS3_PT2_iSC_SC_
    .private_segment_fixed_size: 0
    .sgpr_count:     47
    .sgpr_spill_count: 0
    .symbol:         _Z39paged_attention_ll4mi_QKV_mfma16_kernelI14__hip_bfloat16S0_LN4vllm18Fp8KVCacheDataTypeE0EhLi16ELi128ELi256ELb1ELi8EEvPKT_PKT0_S8_ifPKiSA_SA_iPKfiiiPfSD_PS3_PT2_iSC_SC_.kd
    .uniform_work_group_size: 1
    .uses_dynamic_stack: false
    .vgpr_count:     96
    .vgpr_spill_count: 0
    .wavefront_size: 64
  - .agpr_count:     0
    .args:
      - .actual_access:  read_only
        .address_space:  global
        .offset:         0
        .size:           8
        .value_kind:     global_buffer
      - .actual_access:  read_only
        .address_space:  global
        .offset:         8
        .size:           8
        .value_kind:     global_buffer
      - .actual_access:  read_only
        .address_space:  global
        .offset:         16
        .size:           8
        .value_kind:     global_buffer
      - .offset:         24
        .size:           4
        .value_kind:     by_value
      - .offset:         28
        .size:           4
        .value_kind:     by_value
      - .actual_access:  read_only
        .address_space:  global
        .offset:         32
        .size:           8
        .value_kind:     global_buffer
      - .actual_access:  read_only
        .address_space:  global
        .offset:         40
        .size:           8
        .value_kind:     global_buffer
      - .actual_access:  read_only
        .address_space:  global
        .offset:         48
        .size:           8
        .value_kind:     global_buffer
      - .offset:         56
        .size:           4
        .value_kind:     by_value
      - .actual_access:  read_only
        .address_space:  global
        .offset:         64
        .size:           8
        .value_kind:     global_buffer
      - .offset:         72
        .size:           4
        .value_kind:     by_value
      - .offset:         76
        .size:           4
        .value_kind:     by_value
      - .offset:         80
        .size:           4
        .value_kind:     by_value
      - .actual_access:  write_only
        .address_space:  global
        .offset:         88
        .size:           8
        .value_kind:     global_buffer
      - .actual_access:  write_only
        .address_space:  global
        .offset:         96
        .size:           8
        .value_kind:     global_buffer
      - .actual_access:  write_only
        .address_space:  global
        .offset:         104
        .size:           8
        .value_kind:     global_buffer
      - .actual_access:  read_only
        .address_space:  global
        .offset:         112
        .size:           8
        .value_kind:     global_buffer
      - .offset:         120
        .size:           4
        .value_kind:     by_value
      - .address_space:  global
        .offset:         128
        .size:           8
        .value_kind:     global_buffer
      - .address_space:  global
        .offset:         136
        .size:           8
        .value_kind:     global_buffer
      - .offset:         144
        .size:           4
        .value_kind:     hidden_block_count_x
      - .offset:         148
        .size:           4
        .value_kind:     hidden_block_count_y
      - .offset:         152
        .size:           4
        .value_kind:     hidden_block_count_z
      - .offset:         156
        .size:           2
        .value_kind:     hidden_group_size_x
      - .offset:         158
        .size:           2
        .value_kind:     hidden_group_size_y
      - .offset:         160
        .size:           2
        .value_kind:     hidden_group_size_z
      - .offset:         162
        .size:           2
        .value_kind:     hidden_remainder_x
      - .offset:         164
        .size:           2
        .value_kind:     hidden_remainder_y
      - .offset:         166
        .size:           2
        .value_kind:     hidden_remainder_z
      - .offset:         184
        .size:           8
        .value_kind:     hidden_global_offset_x
      - .offset:         192
        .size:           8
        .value_kind:     hidden_global_offset_y
      - .offset:         200
        .size:           8
        .value_kind:     hidden_global_offset_z
      - .offset:         208
        .size:           2
        .value_kind:     hidden_grid_dims
    .group_segment_fixed_size: 8192
    .kernarg_segment_align: 8
    .kernarg_segment_size: 400
    .language:       OpenCL C
    .language_version:
      - 2
      - 0
    .max_flat_workgroup_size: 256
    .name:           _Z39paged_attention_ll4mi_QKV_mfma16_kernelI14__hip_bfloat16S0_LN4vllm18Fp8KVCacheDataTypeE0EhLi16ELi128ELi256ELb1ELi9EEvPKT_PKT0_S8_ifPKiSA_SA_iPKfiiiPfSD_PS3_PT2_iSC_SC_
    .private_segment_fixed_size: 0
    .sgpr_count:     48
    .sgpr_spill_count: 0
    .symbol:         _Z39paged_attention_ll4mi_QKV_mfma16_kernelI14__hip_bfloat16S0_LN4vllm18Fp8KVCacheDataTypeE0EhLi16ELi128ELi256ELb1ELi9EEvPKT_PKT0_S8_ifPKiSA_SA_iPKfiiiPfSD_PS3_PT2_iSC_SC_.kd
    .uniform_work_group_size: 1
    .uses_dynamic_stack: false
    .vgpr_count:     96
    .vgpr_spill_count: 0
    .wavefront_size: 64
  - .agpr_count:     0
    .args:
      - .actual_access:  read_only
        .address_space:  global
        .offset:         0
        .size:           8
        .value_kind:     global_buffer
      - .actual_access:  read_only
        .address_space:  global
        .offset:         8
        .size:           8
        .value_kind:     global_buffer
      - .actual_access:  read_only
        .address_space:  global
        .offset:         16
        .size:           8
        .value_kind:     global_buffer
      - .offset:         24
        .size:           4
        .value_kind:     by_value
      - .offset:         28
        .size:           4
        .value_kind:     by_value
      - .actual_access:  read_only
        .address_space:  global
        .offset:         32
        .size:           8
        .value_kind:     global_buffer
      - .actual_access:  read_only
        .address_space:  global
        .offset:         40
        .size:           8
        .value_kind:     global_buffer
      - .actual_access:  read_only
        .address_space:  global
        .offset:         48
        .size:           8
        .value_kind:     global_buffer
      - .offset:         56
        .size:           4
        .value_kind:     by_value
      - .actual_access:  read_only
        .address_space:  global
        .offset:         64
        .size:           8
        .value_kind:     global_buffer
      - .offset:         72
        .size:           4
        .value_kind:     by_value
      - .offset:         76
        .size:           4
        .value_kind:     by_value
      - .offset:         80
        .size:           4
        .value_kind:     by_value
      - .actual_access:  write_only
        .address_space:  global
        .offset:         88
        .size:           8
        .value_kind:     global_buffer
      - .actual_access:  write_only
        .address_space:  global
        .offset:         96
        .size:           8
        .value_kind:     global_buffer
      - .actual_access:  write_only
        .address_space:  global
        .offset:         104
        .size:           8
        .value_kind:     global_buffer
      - .actual_access:  read_only
        .address_space:  global
        .offset:         112
        .size:           8
        .value_kind:     global_buffer
      - .offset:         120
        .size:           4
        .value_kind:     by_value
      - .address_space:  global
        .offset:         128
        .size:           8
        .value_kind:     global_buffer
      - .address_space:  global
        .offset:         136
        .size:           8
        .value_kind:     global_buffer
      - .offset:         144
        .size:           4
        .value_kind:     hidden_block_count_x
      - .offset:         148
        .size:           4
        .value_kind:     hidden_block_count_y
      - .offset:         152
        .size:           4
        .value_kind:     hidden_block_count_z
      - .offset:         156
        .size:           2
        .value_kind:     hidden_group_size_x
      - .offset:         158
        .size:           2
        .value_kind:     hidden_group_size_y
      - .offset:         160
        .size:           2
        .value_kind:     hidden_group_size_z
      - .offset:         162
        .size:           2
        .value_kind:     hidden_remainder_x
      - .offset:         164
        .size:           2
        .value_kind:     hidden_remainder_y
      - .offset:         166
        .size:           2
        .value_kind:     hidden_remainder_z
      - .offset:         184
        .size:           8
        .value_kind:     hidden_global_offset_x
      - .offset:         192
        .size:           8
        .value_kind:     hidden_global_offset_y
      - .offset:         200
        .size:           8
        .value_kind:     hidden_global_offset_z
      - .offset:         208
        .size:           2
        .value_kind:     hidden_grid_dims
    .group_segment_fixed_size: 8192
    .kernarg_segment_align: 8
    .kernarg_segment_size: 400
    .language:       OpenCL C
    .language_version:
      - 2
      - 0
    .max_flat_workgroup_size: 256
    .name:           _Z39paged_attention_ll4mi_QKV_mfma16_kernelI14__hip_bfloat16S0_LN4vllm18Fp8KVCacheDataTypeE0EhLi16ELi128ELi256ELb1ELi10EEvPKT_PKT0_S8_ifPKiSA_SA_iPKfiiiPfSD_PS3_PT2_iSC_SC_
    .private_segment_fixed_size: 0
    .sgpr_count:     48
    .sgpr_spill_count: 0
    .symbol:         _Z39paged_attention_ll4mi_QKV_mfma16_kernelI14__hip_bfloat16S0_LN4vllm18Fp8KVCacheDataTypeE0EhLi16ELi128ELi256ELb1ELi10EEvPKT_PKT0_S8_ifPKiSA_SA_iPKfiiiPfSD_PS3_PT2_iSC_SC_.kd
    .uniform_work_group_size: 1
    .uses_dynamic_stack: false
    .vgpr_count:     96
    .vgpr_spill_count: 0
    .wavefront_size: 64
  - .agpr_count:     0
    .args:
      - .actual_access:  read_only
        .address_space:  global
        .offset:         0
        .size:           8
        .value_kind:     global_buffer
      - .actual_access:  read_only
        .address_space:  global
        .offset:         8
        .size:           8
        .value_kind:     global_buffer
      - .actual_access:  read_only
        .address_space:  global
        .offset:         16
        .size:           8
        .value_kind:     global_buffer
      - .offset:         24
        .size:           4
        .value_kind:     by_value
      - .offset:         28
        .size:           4
        .value_kind:     by_value
      - .actual_access:  read_only
        .address_space:  global
        .offset:         32
        .size:           8
        .value_kind:     global_buffer
      - .actual_access:  read_only
        .address_space:  global
        .offset:         40
        .size:           8
        .value_kind:     global_buffer
      - .actual_access:  read_only
        .address_space:  global
        .offset:         48
        .size:           8
        .value_kind:     global_buffer
      - .offset:         56
        .size:           4
        .value_kind:     by_value
      - .actual_access:  read_only
        .address_space:  global
        .offset:         64
        .size:           8
        .value_kind:     global_buffer
      - .offset:         72
        .size:           4
        .value_kind:     by_value
      - .offset:         76
        .size:           4
        .value_kind:     by_value
      - .offset:         80
        .size:           4
        .value_kind:     by_value
      - .actual_access:  write_only
        .address_space:  global
        .offset:         88
        .size:           8
        .value_kind:     global_buffer
      - .actual_access:  write_only
        .address_space:  global
        .offset:         96
        .size:           8
        .value_kind:     global_buffer
      - .actual_access:  write_only
        .address_space:  global
        .offset:         104
        .size:           8
        .value_kind:     global_buffer
      - .actual_access:  read_only
        .address_space:  global
        .offset:         112
        .size:           8
        .value_kind:     global_buffer
      - .offset:         120
        .size:           4
        .value_kind:     by_value
      - .address_space:  global
        .offset:         128
        .size:           8
        .value_kind:     global_buffer
      - .address_space:  global
        .offset:         136
        .size:           8
        .value_kind:     global_buffer
      - .offset:         144
        .size:           4
        .value_kind:     hidden_block_count_x
      - .offset:         148
        .size:           4
        .value_kind:     hidden_block_count_y
      - .offset:         152
        .size:           4
        .value_kind:     hidden_block_count_z
      - .offset:         156
        .size:           2
        .value_kind:     hidden_group_size_x
      - .offset:         158
        .size:           2
        .value_kind:     hidden_group_size_y
      - .offset:         160
        .size:           2
        .value_kind:     hidden_group_size_z
      - .offset:         162
        .size:           2
        .value_kind:     hidden_remainder_x
      - .offset:         164
        .size:           2
        .value_kind:     hidden_remainder_y
      - .offset:         166
        .size:           2
        .value_kind:     hidden_remainder_z
      - .offset:         184
        .size:           8
        .value_kind:     hidden_global_offset_x
      - .offset:         192
        .size:           8
        .value_kind:     hidden_global_offset_y
      - .offset:         200
        .size:           8
        .value_kind:     hidden_global_offset_z
      - .offset:         208
        .size:           2
        .value_kind:     hidden_grid_dims
    .group_segment_fixed_size: 8192
    .kernarg_segment_align: 8
    .kernarg_segment_size: 400
    .language:       OpenCL C
    .language_version:
      - 2
      - 0
    .max_flat_workgroup_size: 256
    .name:           _Z39paged_attention_ll4mi_QKV_mfma16_kernelI14__hip_bfloat16S0_LN4vllm18Fp8KVCacheDataTypeE0EhLi16ELi128ELi256ELb1ELi11EEvPKT_PKT0_S8_ifPKiSA_SA_iPKfiiiPfSD_PS3_PT2_iSC_SC_
    .private_segment_fixed_size: 0
    .sgpr_count:     48
    .sgpr_spill_count: 0
    .symbol:         _Z39paged_attention_ll4mi_QKV_mfma16_kernelI14__hip_bfloat16S0_LN4vllm18Fp8KVCacheDataTypeE0EhLi16ELi128ELi256ELb1ELi11EEvPKT_PKT0_S8_ifPKiSA_SA_iPKfiiiPfSD_PS3_PT2_iSC_SC_.kd
    .uniform_work_group_size: 1
    .uses_dynamic_stack: false
    .vgpr_count:     96
    .vgpr_spill_count: 0
    .wavefront_size: 64
  - .agpr_count:     0
    .args:
      - .actual_access:  read_only
        .address_space:  global
        .offset:         0
        .size:           8
        .value_kind:     global_buffer
      - .actual_access:  read_only
        .address_space:  global
        .offset:         8
        .size:           8
        .value_kind:     global_buffer
      - .actual_access:  read_only
        .address_space:  global
        .offset:         16
        .size:           8
        .value_kind:     global_buffer
      - .offset:         24
        .size:           4
        .value_kind:     by_value
      - .offset:         28
        .size:           4
        .value_kind:     by_value
      - .actual_access:  read_only
        .address_space:  global
        .offset:         32
        .size:           8
        .value_kind:     global_buffer
      - .actual_access:  read_only
        .address_space:  global
        .offset:         40
        .size:           8
        .value_kind:     global_buffer
      - .actual_access:  read_only
        .address_space:  global
        .offset:         48
        .size:           8
        .value_kind:     global_buffer
      - .offset:         56
        .size:           4
        .value_kind:     by_value
      - .actual_access:  read_only
        .address_space:  global
        .offset:         64
        .size:           8
        .value_kind:     global_buffer
      - .offset:         72
        .size:           4
        .value_kind:     by_value
      - .offset:         76
        .size:           4
        .value_kind:     by_value
      - .offset:         80
        .size:           4
        .value_kind:     by_value
      - .actual_access:  write_only
        .address_space:  global
        .offset:         88
        .size:           8
        .value_kind:     global_buffer
      - .actual_access:  write_only
        .address_space:  global
        .offset:         96
        .size:           8
        .value_kind:     global_buffer
      - .actual_access:  write_only
        .address_space:  global
        .offset:         104
        .size:           8
        .value_kind:     global_buffer
      - .actual_access:  read_only
        .address_space:  global
        .offset:         112
        .size:           8
        .value_kind:     global_buffer
      - .offset:         120
        .size:           4
        .value_kind:     by_value
      - .address_space:  global
        .offset:         128
        .size:           8
        .value_kind:     global_buffer
      - .address_space:  global
        .offset:         136
        .size:           8
        .value_kind:     global_buffer
      - .offset:         144
        .size:           4
        .value_kind:     hidden_block_count_x
      - .offset:         148
        .size:           4
        .value_kind:     hidden_block_count_y
      - .offset:         152
        .size:           4
        .value_kind:     hidden_block_count_z
      - .offset:         156
        .size:           2
        .value_kind:     hidden_group_size_x
      - .offset:         158
        .size:           2
        .value_kind:     hidden_group_size_y
      - .offset:         160
        .size:           2
        .value_kind:     hidden_group_size_z
      - .offset:         162
        .size:           2
        .value_kind:     hidden_remainder_x
      - .offset:         164
        .size:           2
        .value_kind:     hidden_remainder_y
      - .offset:         166
        .size:           2
        .value_kind:     hidden_remainder_z
      - .offset:         184
        .size:           8
        .value_kind:     hidden_global_offset_x
      - .offset:         192
        .size:           8
        .value_kind:     hidden_global_offset_y
      - .offset:         200
        .size:           8
        .value_kind:     hidden_global_offset_z
      - .offset:         208
        .size:           2
        .value_kind:     hidden_grid_dims
    .group_segment_fixed_size: 8192
    .kernarg_segment_align: 8
    .kernarg_segment_size: 400
    .language:       OpenCL C
    .language_version:
      - 2
      - 0
    .max_flat_workgroup_size: 256
    .name:           _Z39paged_attention_ll4mi_QKV_mfma16_kernelI14__hip_bfloat16S0_LN4vllm18Fp8KVCacheDataTypeE0EhLi16ELi128ELi256ELb1ELi12EEvPKT_PKT0_S8_ifPKiSA_SA_iPKfiiiPfSD_PS3_PT2_iSC_SC_
    .private_segment_fixed_size: 0
    .sgpr_count:     48
    .sgpr_spill_count: 0
    .symbol:         _Z39paged_attention_ll4mi_QKV_mfma16_kernelI14__hip_bfloat16S0_LN4vllm18Fp8KVCacheDataTypeE0EhLi16ELi128ELi256ELb1ELi12EEvPKT_PKT0_S8_ifPKiSA_SA_iPKfiiiPfSD_PS3_PT2_iSC_SC_.kd
    .uniform_work_group_size: 1
    .uses_dynamic_stack: false
    .vgpr_count:     96
    .vgpr_spill_count: 0
    .wavefront_size: 64
  - .agpr_count:     0
    .args:
      - .actual_access:  read_only
        .address_space:  global
        .offset:         0
        .size:           8
        .value_kind:     global_buffer
      - .actual_access:  read_only
        .address_space:  global
        .offset:         8
        .size:           8
        .value_kind:     global_buffer
      - .actual_access:  read_only
        .address_space:  global
        .offset:         16
        .size:           8
        .value_kind:     global_buffer
      - .offset:         24
        .size:           4
        .value_kind:     by_value
      - .offset:         28
        .size:           4
        .value_kind:     by_value
      - .actual_access:  read_only
        .address_space:  global
        .offset:         32
        .size:           8
        .value_kind:     global_buffer
      - .actual_access:  read_only
        .address_space:  global
        .offset:         40
        .size:           8
        .value_kind:     global_buffer
      - .actual_access:  read_only
        .address_space:  global
        .offset:         48
        .size:           8
        .value_kind:     global_buffer
      - .offset:         56
        .size:           4
        .value_kind:     by_value
      - .actual_access:  read_only
        .address_space:  global
        .offset:         64
        .size:           8
        .value_kind:     global_buffer
      - .offset:         72
        .size:           4
        .value_kind:     by_value
      - .offset:         76
        .size:           4
        .value_kind:     by_value
      - .offset:         80
        .size:           4
        .value_kind:     by_value
      - .actual_access:  write_only
        .address_space:  global
        .offset:         88
        .size:           8
        .value_kind:     global_buffer
      - .actual_access:  write_only
        .address_space:  global
        .offset:         96
        .size:           8
        .value_kind:     global_buffer
      - .actual_access:  write_only
        .address_space:  global
        .offset:         104
        .size:           8
        .value_kind:     global_buffer
      - .actual_access:  read_only
        .address_space:  global
        .offset:         112
        .size:           8
        .value_kind:     global_buffer
      - .offset:         120
        .size:           4
        .value_kind:     by_value
      - .address_space:  global
        .offset:         128
        .size:           8
        .value_kind:     global_buffer
      - .address_space:  global
        .offset:         136
        .size:           8
        .value_kind:     global_buffer
      - .offset:         144
        .size:           4
        .value_kind:     hidden_block_count_x
      - .offset:         148
        .size:           4
        .value_kind:     hidden_block_count_y
      - .offset:         152
        .size:           4
        .value_kind:     hidden_block_count_z
      - .offset:         156
        .size:           2
        .value_kind:     hidden_group_size_x
      - .offset:         158
        .size:           2
        .value_kind:     hidden_group_size_y
      - .offset:         160
        .size:           2
        .value_kind:     hidden_group_size_z
      - .offset:         162
        .size:           2
        .value_kind:     hidden_remainder_x
      - .offset:         164
        .size:           2
        .value_kind:     hidden_remainder_y
      - .offset:         166
        .size:           2
        .value_kind:     hidden_remainder_z
      - .offset:         184
        .size:           8
        .value_kind:     hidden_global_offset_x
      - .offset:         192
        .size:           8
        .value_kind:     hidden_global_offset_y
      - .offset:         200
        .size:           8
        .value_kind:     hidden_global_offset_z
      - .offset:         208
        .size:           2
        .value_kind:     hidden_grid_dims
    .group_segment_fixed_size: 8192
    .kernarg_segment_align: 8
    .kernarg_segment_size: 400
    .language:       OpenCL C
    .language_version:
      - 2
      - 0
    .max_flat_workgroup_size: 256
    .name:           _Z39paged_attention_ll4mi_QKV_mfma16_kernelI14__hip_bfloat16S0_LN4vllm18Fp8KVCacheDataTypeE0EhLi16ELi128ELi256ELb1ELi13EEvPKT_PKT0_S8_ifPKiSA_SA_iPKfiiiPfSD_PS3_PT2_iSC_SC_
    .private_segment_fixed_size: 0
    .sgpr_count:     48
    .sgpr_spill_count: 0
    .symbol:         _Z39paged_attention_ll4mi_QKV_mfma16_kernelI14__hip_bfloat16S0_LN4vllm18Fp8KVCacheDataTypeE0EhLi16ELi128ELi256ELb1ELi13EEvPKT_PKT0_S8_ifPKiSA_SA_iPKfiiiPfSD_PS3_PT2_iSC_SC_.kd
    .uniform_work_group_size: 1
    .uses_dynamic_stack: false
    .vgpr_count:     96
    .vgpr_spill_count: 0
    .wavefront_size: 64
  - .agpr_count:     0
    .args:
      - .actual_access:  read_only
        .address_space:  global
        .offset:         0
        .size:           8
        .value_kind:     global_buffer
      - .actual_access:  read_only
        .address_space:  global
        .offset:         8
        .size:           8
        .value_kind:     global_buffer
      - .actual_access:  read_only
        .address_space:  global
        .offset:         16
        .size:           8
        .value_kind:     global_buffer
      - .offset:         24
        .size:           4
        .value_kind:     by_value
      - .offset:         28
        .size:           4
        .value_kind:     by_value
      - .actual_access:  read_only
        .address_space:  global
        .offset:         32
        .size:           8
        .value_kind:     global_buffer
      - .actual_access:  read_only
        .address_space:  global
        .offset:         40
        .size:           8
        .value_kind:     global_buffer
      - .actual_access:  read_only
        .address_space:  global
        .offset:         48
        .size:           8
        .value_kind:     global_buffer
      - .offset:         56
        .size:           4
        .value_kind:     by_value
      - .actual_access:  read_only
        .address_space:  global
        .offset:         64
        .size:           8
        .value_kind:     global_buffer
      - .offset:         72
        .size:           4
        .value_kind:     by_value
      - .offset:         76
        .size:           4
        .value_kind:     by_value
      - .offset:         80
        .size:           4
        .value_kind:     by_value
      - .actual_access:  write_only
        .address_space:  global
        .offset:         88
        .size:           8
        .value_kind:     global_buffer
      - .actual_access:  write_only
        .address_space:  global
        .offset:         96
        .size:           8
        .value_kind:     global_buffer
      - .actual_access:  write_only
        .address_space:  global
        .offset:         104
        .size:           8
        .value_kind:     global_buffer
      - .actual_access:  read_only
        .address_space:  global
        .offset:         112
        .size:           8
        .value_kind:     global_buffer
      - .offset:         120
        .size:           4
        .value_kind:     by_value
      - .address_space:  global
        .offset:         128
        .size:           8
        .value_kind:     global_buffer
      - .address_space:  global
        .offset:         136
        .size:           8
        .value_kind:     global_buffer
      - .offset:         144
        .size:           4
        .value_kind:     hidden_block_count_x
      - .offset:         148
        .size:           4
        .value_kind:     hidden_block_count_y
      - .offset:         152
        .size:           4
        .value_kind:     hidden_block_count_z
      - .offset:         156
        .size:           2
        .value_kind:     hidden_group_size_x
      - .offset:         158
        .size:           2
        .value_kind:     hidden_group_size_y
      - .offset:         160
        .size:           2
        .value_kind:     hidden_group_size_z
      - .offset:         162
        .size:           2
        .value_kind:     hidden_remainder_x
      - .offset:         164
        .size:           2
        .value_kind:     hidden_remainder_y
      - .offset:         166
        .size:           2
        .value_kind:     hidden_remainder_z
      - .offset:         184
        .size:           8
        .value_kind:     hidden_global_offset_x
      - .offset:         192
        .size:           8
        .value_kind:     hidden_global_offset_y
      - .offset:         200
        .size:           8
        .value_kind:     hidden_global_offset_z
      - .offset:         208
        .size:           2
        .value_kind:     hidden_grid_dims
    .group_segment_fixed_size: 8192
    .kernarg_segment_align: 8
    .kernarg_segment_size: 400
    .language:       OpenCL C
    .language_version:
      - 2
      - 0
    .max_flat_workgroup_size: 256
    .name:           _Z39paged_attention_ll4mi_QKV_mfma16_kernelI14__hip_bfloat16S0_LN4vllm18Fp8KVCacheDataTypeE0EhLi16ELi128ELi256ELb1ELi14EEvPKT_PKT0_S8_ifPKiSA_SA_iPKfiiiPfSD_PS3_PT2_iSC_SC_
    .private_segment_fixed_size: 0
    .sgpr_count:     48
    .sgpr_spill_count: 0
    .symbol:         _Z39paged_attention_ll4mi_QKV_mfma16_kernelI14__hip_bfloat16S0_LN4vllm18Fp8KVCacheDataTypeE0EhLi16ELi128ELi256ELb1ELi14EEvPKT_PKT0_S8_ifPKiSA_SA_iPKfiiiPfSD_PS3_PT2_iSC_SC_.kd
    .uniform_work_group_size: 1
    .uses_dynamic_stack: false
    .vgpr_count:     96
    .vgpr_spill_count: 0
    .wavefront_size: 64
  - .agpr_count:     0
    .args:
      - .actual_access:  read_only
        .address_space:  global
        .offset:         0
        .size:           8
        .value_kind:     global_buffer
      - .actual_access:  read_only
        .address_space:  global
        .offset:         8
        .size:           8
        .value_kind:     global_buffer
      - .actual_access:  read_only
        .address_space:  global
        .offset:         16
        .size:           8
        .value_kind:     global_buffer
      - .offset:         24
        .size:           4
        .value_kind:     by_value
      - .offset:         28
        .size:           4
        .value_kind:     by_value
      - .actual_access:  read_only
        .address_space:  global
        .offset:         32
        .size:           8
        .value_kind:     global_buffer
      - .actual_access:  read_only
        .address_space:  global
        .offset:         40
        .size:           8
        .value_kind:     global_buffer
      - .actual_access:  read_only
        .address_space:  global
        .offset:         48
        .size:           8
        .value_kind:     global_buffer
      - .offset:         56
        .size:           4
        .value_kind:     by_value
      - .actual_access:  read_only
        .address_space:  global
        .offset:         64
        .size:           8
        .value_kind:     global_buffer
      - .offset:         72
        .size:           4
        .value_kind:     by_value
      - .offset:         76
        .size:           4
        .value_kind:     by_value
      - .offset:         80
        .size:           4
        .value_kind:     by_value
      - .actual_access:  write_only
        .address_space:  global
        .offset:         88
        .size:           8
        .value_kind:     global_buffer
      - .actual_access:  write_only
        .address_space:  global
        .offset:         96
        .size:           8
        .value_kind:     global_buffer
      - .actual_access:  write_only
        .address_space:  global
        .offset:         104
        .size:           8
        .value_kind:     global_buffer
      - .actual_access:  read_only
        .address_space:  global
        .offset:         112
        .size:           8
        .value_kind:     global_buffer
      - .offset:         120
        .size:           4
        .value_kind:     by_value
      - .address_space:  global
        .offset:         128
        .size:           8
        .value_kind:     global_buffer
      - .address_space:  global
        .offset:         136
        .size:           8
        .value_kind:     global_buffer
      - .offset:         144
        .size:           4
        .value_kind:     hidden_block_count_x
      - .offset:         148
        .size:           4
        .value_kind:     hidden_block_count_y
      - .offset:         152
        .size:           4
        .value_kind:     hidden_block_count_z
      - .offset:         156
        .size:           2
        .value_kind:     hidden_group_size_x
      - .offset:         158
        .size:           2
        .value_kind:     hidden_group_size_y
      - .offset:         160
        .size:           2
        .value_kind:     hidden_group_size_z
      - .offset:         162
        .size:           2
        .value_kind:     hidden_remainder_x
      - .offset:         164
        .size:           2
        .value_kind:     hidden_remainder_y
      - .offset:         166
        .size:           2
        .value_kind:     hidden_remainder_z
      - .offset:         184
        .size:           8
        .value_kind:     hidden_global_offset_x
      - .offset:         192
        .size:           8
        .value_kind:     hidden_global_offset_y
      - .offset:         200
        .size:           8
        .value_kind:     hidden_global_offset_z
      - .offset:         208
        .size:           2
        .value_kind:     hidden_grid_dims
    .group_segment_fixed_size: 8192
    .kernarg_segment_align: 8
    .kernarg_segment_size: 400
    .language:       OpenCL C
    .language_version:
      - 2
      - 0
    .max_flat_workgroup_size: 256
    .name:           _Z39paged_attention_ll4mi_QKV_mfma16_kernelI14__hip_bfloat16S0_LN4vllm18Fp8KVCacheDataTypeE0EhLi16ELi128ELi256ELb1ELi15EEvPKT_PKT0_S8_ifPKiSA_SA_iPKfiiiPfSD_PS3_PT2_iSC_SC_
    .private_segment_fixed_size: 0
    .sgpr_count:     48
    .sgpr_spill_count: 0
    .symbol:         _Z39paged_attention_ll4mi_QKV_mfma16_kernelI14__hip_bfloat16S0_LN4vllm18Fp8KVCacheDataTypeE0EhLi16ELi128ELi256ELb1ELi15EEvPKT_PKT0_S8_ifPKiSA_SA_iPKfiiiPfSD_PS3_PT2_iSC_SC_.kd
    .uniform_work_group_size: 1
    .uses_dynamic_stack: false
    .vgpr_count:     96
    .vgpr_spill_count: 0
    .wavefront_size: 64
  - .agpr_count:     0
    .args:
      - .actual_access:  read_only
        .address_space:  global
        .offset:         0
        .size:           8
        .value_kind:     global_buffer
      - .actual_access:  read_only
        .address_space:  global
        .offset:         8
        .size:           8
        .value_kind:     global_buffer
      - .actual_access:  read_only
        .address_space:  global
        .offset:         16
        .size:           8
        .value_kind:     global_buffer
      - .offset:         24
        .size:           4
        .value_kind:     by_value
      - .offset:         28
        .size:           4
        .value_kind:     by_value
      - .actual_access:  read_only
        .address_space:  global
        .offset:         32
        .size:           8
        .value_kind:     global_buffer
      - .actual_access:  read_only
        .address_space:  global
        .offset:         40
        .size:           8
        .value_kind:     global_buffer
      - .actual_access:  read_only
        .address_space:  global
        .offset:         48
        .size:           8
        .value_kind:     global_buffer
      - .offset:         56
        .size:           4
        .value_kind:     by_value
      - .actual_access:  read_only
        .address_space:  global
        .offset:         64
        .size:           8
        .value_kind:     global_buffer
      - .offset:         72
        .size:           4
        .value_kind:     by_value
      - .offset:         76
        .size:           4
        .value_kind:     by_value
      - .offset:         80
        .size:           4
        .value_kind:     by_value
      - .actual_access:  write_only
        .address_space:  global
        .offset:         88
        .size:           8
        .value_kind:     global_buffer
      - .actual_access:  write_only
        .address_space:  global
        .offset:         96
        .size:           8
        .value_kind:     global_buffer
      - .actual_access:  write_only
        .address_space:  global
        .offset:         104
        .size:           8
        .value_kind:     global_buffer
      - .actual_access:  read_only
        .address_space:  global
        .offset:         112
        .size:           8
        .value_kind:     global_buffer
      - .offset:         120
        .size:           4
        .value_kind:     by_value
      - .address_space:  global
        .offset:         128
        .size:           8
        .value_kind:     global_buffer
      - .address_space:  global
        .offset:         136
        .size:           8
        .value_kind:     global_buffer
      - .offset:         144
        .size:           4
        .value_kind:     hidden_block_count_x
      - .offset:         148
        .size:           4
        .value_kind:     hidden_block_count_y
      - .offset:         152
        .size:           4
        .value_kind:     hidden_block_count_z
      - .offset:         156
        .size:           2
        .value_kind:     hidden_group_size_x
      - .offset:         158
        .size:           2
        .value_kind:     hidden_group_size_y
      - .offset:         160
        .size:           2
        .value_kind:     hidden_group_size_z
      - .offset:         162
        .size:           2
        .value_kind:     hidden_remainder_x
      - .offset:         164
        .size:           2
        .value_kind:     hidden_remainder_y
      - .offset:         166
        .size:           2
        .value_kind:     hidden_remainder_z
      - .offset:         184
        .size:           8
        .value_kind:     hidden_global_offset_x
      - .offset:         192
        .size:           8
        .value_kind:     hidden_global_offset_y
      - .offset:         200
        .size:           8
        .value_kind:     hidden_global_offset_z
      - .offset:         208
        .size:           2
        .value_kind:     hidden_grid_dims
    .group_segment_fixed_size: 8192
    .kernarg_segment_align: 8
    .kernarg_segment_size: 400
    .language:       OpenCL C
    .language_version:
      - 2
      - 0
    .max_flat_workgroup_size: 256
    .name:           _Z39paged_attention_ll4mi_QKV_mfma16_kernelI14__hip_bfloat16S0_LN4vllm18Fp8KVCacheDataTypeE0EhLi16ELi128ELi256ELb1ELi16EEvPKT_PKT0_S8_ifPKiSA_SA_iPKfiiiPfSD_PS3_PT2_iSC_SC_
    .private_segment_fixed_size: 16
    .sgpr_count:     47
    .sgpr_spill_count: 0
    .symbol:         _Z39paged_attention_ll4mi_QKV_mfma16_kernelI14__hip_bfloat16S0_LN4vllm18Fp8KVCacheDataTypeE0EhLi16ELi128ELi256ELb1ELi16EEvPKT_PKT0_S8_ifPKiSA_SA_iPKfiiiPfSD_PS3_PT2_iSC_SC_.kd
    .uniform_work_group_size: 1
    .uses_dynamic_stack: false
    .vgpr_count:     96
    .vgpr_spill_count: 5
    .wavefront_size: 64
  - .agpr_count:     0
    .args:
      - .actual_access:  write_only
        .address_space:  global
        .offset:         0
        .size:           8
        .value_kind:     global_buffer
      - .actual_access:  read_only
        .address_space:  global
        .offset:         8
        .size:           8
        .value_kind:     global_buffer
      - .actual_access:  read_only
        .address_space:  global
        .offset:         16
        .size:           8
        .value_kind:     global_buffer
      - .actual_access:  read_only
        .address_space:  global
        .offset:         24
        .size:           8
        .value_kind:     global_buffer
      - .actual_access:  read_only
        .address_space:  global
        .offset:         32
        .size:           8
        .value_kind:     global_buffer
      - .actual_access:  read_only
        .address_space:  global
        .offset:         40
        .size:           8
        .value_kind:     global_buffer
      - .offset:         48
        .size:           4
        .value_kind:     by_value
      - .actual_access:  read_only
        .address_space:  global
        .offset:         56
        .size:           8
        .value_kind:     global_buffer
      - .offset:         64
        .size:           4
        .value_kind:     hidden_block_count_x
      - .offset:         68
        .size:           4
        .value_kind:     hidden_block_count_y
      - .offset:         72
        .size:           4
        .value_kind:     hidden_block_count_z
      - .offset:         76
        .size:           2
        .value_kind:     hidden_group_size_x
      - .offset:         78
        .size:           2
        .value_kind:     hidden_group_size_y
      - .offset:         80
        .size:           2
        .value_kind:     hidden_group_size_z
      - .offset:         82
        .size:           2
        .value_kind:     hidden_remainder_x
      - .offset:         84
        .size:           2
        .value_kind:     hidden_remainder_y
      - .offset:         86
        .size:           2
        .value_kind:     hidden_remainder_z
      - .offset:         104
        .size:           8
        .value_kind:     hidden_global_offset_x
      - .offset:         112
        .size:           8
        .value_kind:     hidden_global_offset_y
      - .offset:         120
        .size:           8
        .value_kind:     hidden_global_offset_z
      - .offset:         128
        .size:           2
        .value_kind:     hidden_grid_dims
    .group_segment_fixed_size: 260
    .kernarg_segment_align: 8
    .kernarg_segment_size: 320
    .language:       OpenCL C
    .language_version:
      - 2
      - 0
    .max_flat_workgroup_size: 128
    .name:           _Z35paged_attention_ll4mi_reduce_kernelI14__hip_bfloat16hLi128ELi128ELi256ELi1EEvPT0_PKfS4_PKT_PKiS9_iS4_
    .private_segment_fixed_size: 0
    .sgpr_count:     36
    .sgpr_spill_count: 0
    .symbol:         _Z35paged_attention_ll4mi_reduce_kernelI14__hip_bfloat16hLi128ELi128ELi256ELi1EEvPT0_PKfS4_PKT_PKiS9_iS4_.kd
    .uniform_work_group_size: 1
    .uses_dynamic_stack: false
    .vgpr_count:     116
    .vgpr_spill_count: 0
    .wavefront_size: 64
  - .agpr_count:     0
    .args:
      - .actual_access:  write_only
        .address_space:  global
        .offset:         0
        .size:           8
        .value_kind:     global_buffer
      - .actual_access:  read_only
        .address_space:  global
        .offset:         8
        .size:           8
        .value_kind:     global_buffer
      - .actual_access:  read_only
        .address_space:  global
        .offset:         16
        .size:           8
        .value_kind:     global_buffer
      - .actual_access:  read_only
        .address_space:  global
        .offset:         24
        .size:           8
        .value_kind:     global_buffer
      - .actual_access:  read_only
        .address_space:  global
        .offset:         32
        .size:           8
        .value_kind:     global_buffer
      - .actual_access:  read_only
        .address_space:  global
        .offset:         40
        .size:           8
        .value_kind:     global_buffer
      - .offset:         48
        .size:           4
        .value_kind:     by_value
      - .actual_access:  read_only
        .address_space:  global
        .offset:         56
        .size:           8
        .value_kind:     global_buffer
      - .offset:         64
        .size:           4
        .value_kind:     hidden_block_count_x
      - .offset:         68
        .size:           4
        .value_kind:     hidden_block_count_y
      - .offset:         72
        .size:           4
        .value_kind:     hidden_block_count_z
      - .offset:         76
        .size:           2
        .value_kind:     hidden_group_size_x
      - .offset:         78
        .size:           2
        .value_kind:     hidden_group_size_y
      - .offset:         80
        .size:           2
        .value_kind:     hidden_group_size_z
      - .offset:         82
        .size:           2
        .value_kind:     hidden_remainder_x
      - .offset:         84
        .size:           2
        .value_kind:     hidden_remainder_y
      - .offset:         86
        .size:           2
        .value_kind:     hidden_remainder_z
      - .offset:         104
        .size:           8
        .value_kind:     hidden_global_offset_x
      - .offset:         112
        .size:           8
        .value_kind:     hidden_global_offset_y
      - .offset:         120
        .size:           8
        .value_kind:     hidden_global_offset_z
      - .offset:         128
        .size:           2
        .value_kind:     hidden_grid_dims
    .group_segment_fixed_size: 516
    .kernarg_segment_align: 8
    .kernarg_segment_size: 320
    .language:       OpenCL C
    .language_version:
      - 2
      - 0
    .max_flat_workgroup_size: 128
    .name:           _Z35paged_attention_ll4mi_reduce_kernelI14__hip_bfloat16hLi128ELi128ELi256ELi2EEvPT0_PKfS4_PKT_PKiS9_iS4_
    .private_segment_fixed_size: 0
    .sgpr_count:     38
    .sgpr_spill_count: 0
    .symbol:         _Z35paged_attention_ll4mi_reduce_kernelI14__hip_bfloat16hLi128ELi128ELi256ELi2EEvPT0_PKfS4_PKT_PKiS9_iS4_.kd
    .uniform_work_group_size: 1
    .uses_dynamic_stack: false
    .vgpr_count:     126
    .vgpr_spill_count: 0
    .wavefront_size: 64
  - .agpr_count:     0
    .args:
      - .actual_access:  write_only
        .address_space:  global
        .offset:         0
        .size:           8
        .value_kind:     global_buffer
      - .actual_access:  read_only
        .address_space:  global
        .offset:         8
        .size:           8
        .value_kind:     global_buffer
      - .actual_access:  read_only
        .address_space:  global
        .offset:         16
        .size:           8
        .value_kind:     global_buffer
      - .actual_access:  read_only
        .address_space:  global
        .offset:         24
        .size:           8
        .value_kind:     global_buffer
      - .actual_access:  read_only
        .address_space:  global
        .offset:         32
        .size:           8
        .value_kind:     global_buffer
      - .actual_access:  read_only
        .address_space:  global
        .offset:         40
        .size:           8
        .value_kind:     global_buffer
      - .offset:         48
        .size:           4
        .value_kind:     by_value
      - .actual_access:  read_only
        .address_space:  global
        .offset:         56
        .size:           8
        .value_kind:     global_buffer
      - .offset:         64
        .size:           4
        .value_kind:     hidden_block_count_x
      - .offset:         68
        .size:           4
        .value_kind:     hidden_block_count_y
      - .offset:         72
        .size:           4
        .value_kind:     hidden_block_count_z
      - .offset:         76
        .size:           2
        .value_kind:     hidden_group_size_x
      - .offset:         78
        .size:           2
        .value_kind:     hidden_group_size_y
      - .offset:         80
        .size:           2
        .value_kind:     hidden_group_size_z
      - .offset:         82
        .size:           2
        .value_kind:     hidden_remainder_x
      - .offset:         84
        .size:           2
        .value_kind:     hidden_remainder_y
      - .offset:         86
        .size:           2
        .value_kind:     hidden_remainder_z
      - .offset:         104
        .size:           8
        .value_kind:     hidden_global_offset_x
      - .offset:         112
        .size:           8
        .value_kind:     hidden_global_offset_y
      - .offset:         120
        .size:           8
        .value_kind:     hidden_global_offset_z
      - .offset:         128
        .size:           2
        .value_kind:     hidden_grid_dims
    .group_segment_fixed_size: 772
    .kernarg_segment_align: 8
    .kernarg_segment_size: 320
    .language:       OpenCL C
    .language_version:
      - 2
      - 0
    .max_flat_workgroup_size: 128
    .name:           _Z35paged_attention_ll4mi_reduce_kernelI14__hip_bfloat16hLi128ELi128ELi256ELi3EEvPT0_PKfS4_PKT_PKiS9_iS4_
    .private_segment_fixed_size: 0
    .sgpr_count:     42
    .sgpr_spill_count: 0
    .symbol:         _Z35paged_attention_ll4mi_reduce_kernelI14__hip_bfloat16hLi128ELi128ELi256ELi3EEvPT0_PKfS4_PKT_PKiS9_iS4_.kd
    .uniform_work_group_size: 1
    .uses_dynamic_stack: false
    .vgpr_count:     126
    .vgpr_spill_count: 0
    .wavefront_size: 64
  - .agpr_count:     0
    .args:
      - .actual_access:  write_only
        .address_space:  global
        .offset:         0
        .size:           8
        .value_kind:     global_buffer
      - .actual_access:  read_only
        .address_space:  global
        .offset:         8
        .size:           8
        .value_kind:     global_buffer
      - .actual_access:  read_only
        .address_space:  global
        .offset:         16
        .size:           8
        .value_kind:     global_buffer
      - .actual_access:  read_only
        .address_space:  global
        .offset:         24
        .size:           8
        .value_kind:     global_buffer
      - .actual_access:  read_only
        .address_space:  global
        .offset:         32
        .size:           8
        .value_kind:     global_buffer
      - .actual_access:  read_only
        .address_space:  global
        .offset:         40
        .size:           8
        .value_kind:     global_buffer
      - .offset:         48
        .size:           4
        .value_kind:     by_value
      - .actual_access:  read_only
        .address_space:  global
        .offset:         56
        .size:           8
        .value_kind:     global_buffer
      - .offset:         64
        .size:           4
        .value_kind:     hidden_block_count_x
      - .offset:         68
        .size:           4
        .value_kind:     hidden_block_count_y
      - .offset:         72
        .size:           4
        .value_kind:     hidden_block_count_z
      - .offset:         76
        .size:           2
        .value_kind:     hidden_group_size_x
      - .offset:         78
        .size:           2
        .value_kind:     hidden_group_size_y
      - .offset:         80
        .size:           2
        .value_kind:     hidden_group_size_z
      - .offset:         82
        .size:           2
        .value_kind:     hidden_remainder_x
      - .offset:         84
        .size:           2
        .value_kind:     hidden_remainder_y
      - .offset:         86
        .size:           2
        .value_kind:     hidden_remainder_z
      - .offset:         104
        .size:           8
        .value_kind:     hidden_global_offset_x
      - .offset:         112
        .size:           8
        .value_kind:     hidden_global_offset_y
      - .offset:         120
        .size:           8
        .value_kind:     hidden_global_offset_z
      - .offset:         128
        .size:           2
        .value_kind:     hidden_grid_dims
    .group_segment_fixed_size: 1028
    .kernarg_segment_align: 8
    .kernarg_segment_size: 320
    .language:       OpenCL C
    .language_version:
      - 2
      - 0
    .max_flat_workgroup_size: 128
    .name:           _Z35paged_attention_ll4mi_reduce_kernelI14__hip_bfloat16hLi128ELi128ELi256ELi4EEvPT0_PKfS4_PKT_PKiS9_iS4_
    .private_segment_fixed_size: 0
    .sgpr_count:     44
    .sgpr_spill_count: 0
    .symbol:         _Z35paged_attention_ll4mi_reduce_kernelI14__hip_bfloat16hLi128ELi128ELi256ELi4EEvPT0_PKfS4_PKT_PKiS9_iS4_.kd
    .uniform_work_group_size: 1
    .uses_dynamic_stack: false
    .vgpr_count:     127
    .vgpr_spill_count: 0
    .wavefront_size: 64
  - .agpr_count:     0
    .args:
      - .actual_access:  write_only
        .address_space:  global
        .offset:         0
        .size:           8
        .value_kind:     global_buffer
      - .actual_access:  read_only
        .address_space:  global
        .offset:         8
        .size:           8
        .value_kind:     global_buffer
      - .actual_access:  read_only
        .address_space:  global
        .offset:         16
        .size:           8
        .value_kind:     global_buffer
      - .actual_access:  read_only
        .address_space:  global
        .offset:         24
        .size:           8
        .value_kind:     global_buffer
      - .actual_access:  read_only
        .address_space:  global
        .offset:         32
        .size:           8
        .value_kind:     global_buffer
      - .actual_access:  read_only
        .address_space:  global
        .offset:         40
        .size:           8
        .value_kind:     global_buffer
      - .offset:         48
        .size:           4
        .value_kind:     by_value
      - .actual_access:  read_only
        .address_space:  global
        .offset:         56
        .size:           8
        .value_kind:     global_buffer
      - .offset:         64
        .size:           4
        .value_kind:     hidden_block_count_x
      - .offset:         68
        .size:           4
        .value_kind:     hidden_block_count_y
      - .offset:         72
        .size:           4
        .value_kind:     hidden_block_count_z
      - .offset:         76
        .size:           2
        .value_kind:     hidden_group_size_x
      - .offset:         78
        .size:           2
        .value_kind:     hidden_group_size_y
      - .offset:         80
        .size:           2
        .value_kind:     hidden_group_size_z
      - .offset:         82
        .size:           2
        .value_kind:     hidden_remainder_x
      - .offset:         84
        .size:           2
        .value_kind:     hidden_remainder_y
      - .offset:         86
        .size:           2
        .value_kind:     hidden_remainder_z
      - .offset:         104
        .size:           8
        .value_kind:     hidden_global_offset_x
      - .offset:         112
        .size:           8
        .value_kind:     hidden_global_offset_y
      - .offset:         120
        .size:           8
        .value_kind:     hidden_global_offset_z
      - .offset:         128
        .size:           2
        .value_kind:     hidden_grid_dims
    .group_segment_fixed_size: 1284
    .kernarg_segment_align: 8
    .kernarg_segment_size: 320
    .language:       OpenCL C
    .language_version:
      - 2
      - 0
    .max_flat_workgroup_size: 128
    .name:           _Z35paged_attention_ll4mi_reduce_kernelI14__hip_bfloat16hLi128ELi128ELi256ELi5EEvPT0_PKfS4_PKT_PKiS9_iS4_
    .private_segment_fixed_size: 0
    .sgpr_count:     46
    .sgpr_spill_count: 0
    .symbol:         _Z35paged_attention_ll4mi_reduce_kernelI14__hip_bfloat16hLi128ELi128ELi256ELi5EEvPT0_PKfS4_PKT_PKiS9_iS4_.kd
    .uniform_work_group_size: 1
    .uses_dynamic_stack: false
    .vgpr_count:     127
    .vgpr_spill_count: 0
    .wavefront_size: 64
  - .agpr_count:     0
    .args:
      - .actual_access:  write_only
        .address_space:  global
        .offset:         0
        .size:           8
        .value_kind:     global_buffer
      - .actual_access:  read_only
        .address_space:  global
        .offset:         8
        .size:           8
        .value_kind:     global_buffer
      - .actual_access:  read_only
        .address_space:  global
        .offset:         16
        .size:           8
        .value_kind:     global_buffer
      - .actual_access:  read_only
        .address_space:  global
        .offset:         24
        .size:           8
        .value_kind:     global_buffer
      - .actual_access:  read_only
        .address_space:  global
        .offset:         32
        .size:           8
        .value_kind:     global_buffer
      - .actual_access:  read_only
        .address_space:  global
        .offset:         40
        .size:           8
        .value_kind:     global_buffer
      - .offset:         48
        .size:           4
        .value_kind:     by_value
      - .actual_access:  read_only
        .address_space:  global
        .offset:         56
        .size:           8
        .value_kind:     global_buffer
      - .offset:         64
        .size:           4
        .value_kind:     hidden_block_count_x
      - .offset:         68
        .size:           4
        .value_kind:     hidden_block_count_y
      - .offset:         72
        .size:           4
        .value_kind:     hidden_block_count_z
      - .offset:         76
        .size:           2
        .value_kind:     hidden_group_size_x
      - .offset:         78
        .size:           2
        .value_kind:     hidden_group_size_y
      - .offset:         80
        .size:           2
        .value_kind:     hidden_group_size_z
      - .offset:         82
        .size:           2
        .value_kind:     hidden_remainder_x
      - .offset:         84
        .size:           2
        .value_kind:     hidden_remainder_y
      - .offset:         86
        .size:           2
        .value_kind:     hidden_remainder_z
      - .offset:         104
        .size:           8
        .value_kind:     hidden_global_offset_x
      - .offset:         112
        .size:           8
        .value_kind:     hidden_global_offset_y
      - .offset:         120
        .size:           8
        .value_kind:     hidden_global_offset_z
      - .offset:         128
        .size:           2
        .value_kind:     hidden_grid_dims
    .group_segment_fixed_size: 1540
    .kernarg_segment_align: 8
    .kernarg_segment_size: 320
    .language:       OpenCL C
    .language_version:
      - 2
      - 0
    .max_flat_workgroup_size: 128
    .name:           _Z35paged_attention_ll4mi_reduce_kernelI14__hip_bfloat16hLi128ELi128ELi256ELi6EEvPT0_PKfS4_PKT_PKiS9_iS4_
    .private_segment_fixed_size: 0
    .sgpr_count:     48
    .sgpr_spill_count: 0
    .symbol:         _Z35paged_attention_ll4mi_reduce_kernelI14__hip_bfloat16hLi128ELi128ELi256ELi6EEvPT0_PKfS4_PKT_PKiS9_iS4_.kd
    .uniform_work_group_size: 1
    .uses_dynamic_stack: false
    .vgpr_count:     127
    .vgpr_spill_count: 0
    .wavefront_size: 64
  - .agpr_count:     0
    .args:
      - .actual_access:  write_only
        .address_space:  global
        .offset:         0
        .size:           8
        .value_kind:     global_buffer
      - .actual_access:  read_only
        .address_space:  global
        .offset:         8
        .size:           8
        .value_kind:     global_buffer
      - .actual_access:  read_only
        .address_space:  global
        .offset:         16
        .size:           8
        .value_kind:     global_buffer
      - .actual_access:  read_only
        .address_space:  global
        .offset:         24
        .size:           8
        .value_kind:     global_buffer
      - .actual_access:  read_only
        .address_space:  global
        .offset:         32
        .size:           8
        .value_kind:     global_buffer
      - .actual_access:  read_only
        .address_space:  global
        .offset:         40
        .size:           8
        .value_kind:     global_buffer
      - .offset:         48
        .size:           4
        .value_kind:     by_value
      - .actual_access:  read_only
        .address_space:  global
        .offset:         56
        .size:           8
        .value_kind:     global_buffer
      - .offset:         64
        .size:           4
        .value_kind:     hidden_block_count_x
      - .offset:         68
        .size:           4
        .value_kind:     hidden_block_count_y
      - .offset:         72
        .size:           4
        .value_kind:     hidden_block_count_z
      - .offset:         76
        .size:           2
        .value_kind:     hidden_group_size_x
      - .offset:         78
        .size:           2
        .value_kind:     hidden_group_size_y
      - .offset:         80
        .size:           2
        .value_kind:     hidden_group_size_z
      - .offset:         82
        .size:           2
        .value_kind:     hidden_remainder_x
      - .offset:         84
        .size:           2
        .value_kind:     hidden_remainder_y
      - .offset:         86
        .size:           2
        .value_kind:     hidden_remainder_z
      - .offset:         104
        .size:           8
        .value_kind:     hidden_global_offset_x
      - .offset:         112
        .size:           8
        .value_kind:     hidden_global_offset_y
      - .offset:         120
        .size:           8
        .value_kind:     hidden_global_offset_z
      - .offset:         128
        .size:           2
        .value_kind:     hidden_grid_dims
    .group_segment_fixed_size: 1796
    .kernarg_segment_align: 8
    .kernarg_segment_size: 320
    .language:       OpenCL C
    .language_version:
      - 2
      - 0
    .max_flat_workgroup_size: 128
    .name:           _Z35paged_attention_ll4mi_reduce_kernelI14__hip_bfloat16hLi128ELi128ELi256ELi7EEvPT0_PKfS4_PKT_PKiS9_iS4_
    .private_segment_fixed_size: 0
    .sgpr_count:     50
    .sgpr_spill_count: 0
    .symbol:         _Z35paged_attention_ll4mi_reduce_kernelI14__hip_bfloat16hLi128ELi128ELi256ELi7EEvPT0_PKfS4_PKT_PKiS9_iS4_.kd
    .uniform_work_group_size: 1
    .uses_dynamic_stack: false
    .vgpr_count:     127
    .vgpr_spill_count: 0
    .wavefront_size: 64
  - .agpr_count:     0
    .args:
      - .actual_access:  write_only
        .address_space:  global
        .offset:         0
        .size:           8
        .value_kind:     global_buffer
      - .actual_access:  read_only
        .address_space:  global
        .offset:         8
        .size:           8
        .value_kind:     global_buffer
      - .actual_access:  read_only
        .address_space:  global
        .offset:         16
        .size:           8
        .value_kind:     global_buffer
      - .actual_access:  read_only
        .address_space:  global
        .offset:         24
        .size:           8
        .value_kind:     global_buffer
      - .actual_access:  read_only
        .address_space:  global
        .offset:         32
        .size:           8
        .value_kind:     global_buffer
      - .actual_access:  read_only
        .address_space:  global
        .offset:         40
        .size:           8
        .value_kind:     global_buffer
      - .offset:         48
        .size:           4
        .value_kind:     by_value
      - .actual_access:  read_only
        .address_space:  global
        .offset:         56
        .size:           8
        .value_kind:     global_buffer
      - .offset:         64
        .size:           4
        .value_kind:     hidden_block_count_x
      - .offset:         68
        .size:           4
        .value_kind:     hidden_block_count_y
      - .offset:         72
        .size:           4
        .value_kind:     hidden_block_count_z
      - .offset:         76
        .size:           2
        .value_kind:     hidden_group_size_x
      - .offset:         78
        .size:           2
        .value_kind:     hidden_group_size_y
      - .offset:         80
        .size:           2
        .value_kind:     hidden_group_size_z
      - .offset:         82
        .size:           2
        .value_kind:     hidden_remainder_x
      - .offset:         84
        .size:           2
        .value_kind:     hidden_remainder_y
      - .offset:         86
        .size:           2
        .value_kind:     hidden_remainder_z
      - .offset:         104
        .size:           8
        .value_kind:     hidden_global_offset_x
      - .offset:         112
        .size:           8
        .value_kind:     hidden_global_offset_y
      - .offset:         120
        .size:           8
        .value_kind:     hidden_global_offset_z
      - .offset:         128
        .size:           2
        .value_kind:     hidden_grid_dims
    .group_segment_fixed_size: 2052
    .kernarg_segment_align: 8
    .kernarg_segment_size: 320
    .language:       OpenCL C
    .language_version:
      - 2
      - 0
    .max_flat_workgroup_size: 128
    .name:           _Z35paged_attention_ll4mi_reduce_kernelI14__hip_bfloat16hLi128ELi128ELi256ELi8EEvPT0_PKfS4_PKT_PKiS9_iS4_
    .private_segment_fixed_size: 0
    .sgpr_count:     51
    .sgpr_spill_count: 0
    .symbol:         _Z35paged_attention_ll4mi_reduce_kernelI14__hip_bfloat16hLi128ELi128ELi256ELi8EEvPT0_PKfS4_PKT_PKiS9_iS4_.kd
    .uniform_work_group_size: 1
    .uses_dynamic_stack: false
    .vgpr_count:     127
    .vgpr_spill_count: 0
    .wavefront_size: 64
  - .agpr_count:     0
    .args:
      - .actual_access:  read_only
        .address_space:  global
        .offset:         0
        .size:           8
        .value_kind:     global_buffer
      - .actual_access:  read_only
        .address_space:  global
        .offset:         8
        .size:           8
        .value_kind:     global_buffer
      - .actual_access:  read_only
        .address_space:  global
        .offset:         16
        .size:           8
        .value_kind:     global_buffer
      - .offset:         24
        .size:           4
        .value_kind:     by_value
      - .offset:         28
        .size:           4
        .value_kind:     by_value
      - .actual_access:  read_only
        .address_space:  global
        .offset:         32
        .size:           8
        .value_kind:     global_buffer
      - .actual_access:  read_only
        .address_space:  global
        .offset:         40
        .size:           8
        .value_kind:     global_buffer
      - .actual_access:  read_only
        .address_space:  global
        .offset:         48
        .size:           8
        .value_kind:     global_buffer
      - .offset:         56
        .size:           4
        .value_kind:     by_value
      - .actual_access:  read_only
        .address_space:  global
        .offset:         64
        .size:           8
        .value_kind:     global_buffer
      - .offset:         72
        .size:           4
        .value_kind:     by_value
      - .offset:         76
        .size:           4
        .value_kind:     by_value
      - .offset:         80
        .size:           4
        .value_kind:     by_value
      - .actual_access:  write_only
        .address_space:  global
        .offset:         88
        .size:           8
        .value_kind:     global_buffer
      - .actual_access:  write_only
        .address_space:  global
        .offset:         96
        .size:           8
        .value_kind:     global_buffer
      - .actual_access:  write_only
        .address_space:  global
        .offset:         104
        .size:           8
        .value_kind:     global_buffer
      - .actual_access:  read_only
        .address_space:  global
        .offset:         112
        .size:           8
        .value_kind:     global_buffer
      - .offset:         120
        .size:           4
        .value_kind:     by_value
      - .address_space:  global
        .offset:         128
        .size:           8
        .value_kind:     global_buffer
      - .address_space:  global
        .offset:         136
        .size:           8
        .value_kind:     global_buffer
      - .offset:         144
        .size:           4
        .value_kind:     hidden_block_count_x
      - .offset:         148
        .size:           4
        .value_kind:     hidden_block_count_y
      - .offset:         152
        .size:           4
        .value_kind:     hidden_block_count_z
      - .offset:         156
        .size:           2
        .value_kind:     hidden_group_size_x
      - .offset:         158
        .size:           2
        .value_kind:     hidden_group_size_y
      - .offset:         160
        .size:           2
        .value_kind:     hidden_group_size_z
      - .offset:         162
        .size:           2
        .value_kind:     hidden_remainder_x
      - .offset:         164
        .size:           2
        .value_kind:     hidden_remainder_y
      - .offset:         166
        .size:           2
        .value_kind:     hidden_remainder_z
      - .offset:         184
        .size:           8
        .value_kind:     hidden_global_offset_x
      - .offset:         192
        .size:           8
        .value_kind:     hidden_global_offset_y
      - .offset:         200
        .size:           8
        .value_kind:     hidden_global_offset_z
      - .offset:         208
        .size:           2
        .value_kind:     hidden_grid_dims
    .group_segment_fixed_size: 8192
    .kernarg_segment_align: 8
    .kernarg_segment_size: 400
    .language:       OpenCL C
    .language_version:
      - 2
      - 0
    .max_flat_workgroup_size: 256
    .name:           _Z39paged_attention_ll4mi_QKV_mfma16_kernelI14__hip_bfloat16S0_LN4vllm18Fp8KVCacheDataTypeE0EhLi16ELi128ELi256ELb1ELi1EEvPKT_PKT0_S8_ifPKiSA_SA_iPKfiiiPfSD_PS3_PT2_iSC_SC_
    .private_segment_fixed_size: 8
    .sgpr_count:     48
    .sgpr_spill_count: 0
    .symbol:         _Z39paged_attention_ll4mi_QKV_mfma16_kernelI14__hip_bfloat16S0_LN4vllm18Fp8KVCacheDataTypeE0EhLi16ELi128ELi256ELb1ELi1EEvPKT_PKT0_S8_ifPKiSA_SA_iPKfiiiPfSD_PS3_PT2_iSC_SC_.kd
    .uniform_work_group_size: 1
    .uses_dynamic_stack: false
    .vgpr_count:     96
    .vgpr_spill_count: 1
    .wavefront_size: 64
  - .agpr_count:     0
    .args:
      - .actual_access:  read_only
        .address_space:  global
        .offset:         0
        .size:           8
        .value_kind:     global_buffer
      - .actual_access:  read_only
        .address_space:  global
        .offset:         8
        .size:           8
        .value_kind:     global_buffer
      - .actual_access:  read_only
        .address_space:  global
        .offset:         16
        .size:           8
        .value_kind:     global_buffer
      - .offset:         24
        .size:           4
        .value_kind:     by_value
      - .offset:         28
        .size:           4
        .value_kind:     by_value
      - .actual_access:  read_only
        .address_space:  global
        .offset:         32
        .size:           8
        .value_kind:     global_buffer
      - .actual_access:  read_only
        .address_space:  global
        .offset:         40
        .size:           8
        .value_kind:     global_buffer
      - .actual_access:  read_only
        .address_space:  global
        .offset:         48
        .size:           8
        .value_kind:     global_buffer
      - .offset:         56
        .size:           4
        .value_kind:     by_value
      - .actual_access:  read_only
        .address_space:  global
        .offset:         64
        .size:           8
        .value_kind:     global_buffer
      - .offset:         72
        .size:           4
        .value_kind:     by_value
      - .offset:         76
        .size:           4
        .value_kind:     by_value
      - .offset:         80
        .size:           4
        .value_kind:     by_value
      - .actual_access:  write_only
        .address_space:  global
        .offset:         88
        .size:           8
        .value_kind:     global_buffer
      - .actual_access:  write_only
        .address_space:  global
        .offset:         96
        .size:           8
        .value_kind:     global_buffer
      - .actual_access:  write_only
        .address_space:  global
        .offset:         104
        .size:           8
        .value_kind:     global_buffer
      - .actual_access:  read_only
        .address_space:  global
        .offset:         112
        .size:           8
        .value_kind:     global_buffer
      - .offset:         120
        .size:           4
        .value_kind:     by_value
      - .address_space:  global
        .offset:         128
        .size:           8
        .value_kind:     global_buffer
      - .address_space:  global
        .offset:         136
        .size:           8
        .value_kind:     global_buffer
      - .offset:         144
        .size:           4
        .value_kind:     hidden_block_count_x
      - .offset:         148
        .size:           4
        .value_kind:     hidden_block_count_y
      - .offset:         152
        .size:           4
        .value_kind:     hidden_block_count_z
      - .offset:         156
        .size:           2
        .value_kind:     hidden_group_size_x
      - .offset:         158
        .size:           2
        .value_kind:     hidden_group_size_y
      - .offset:         160
        .size:           2
        .value_kind:     hidden_group_size_z
      - .offset:         162
        .size:           2
        .value_kind:     hidden_remainder_x
      - .offset:         164
        .size:           2
        .value_kind:     hidden_remainder_y
      - .offset:         166
        .size:           2
        .value_kind:     hidden_remainder_z
      - .offset:         184
        .size:           8
        .value_kind:     hidden_global_offset_x
      - .offset:         192
        .size:           8
        .value_kind:     hidden_global_offset_y
      - .offset:         200
        .size:           8
        .value_kind:     hidden_global_offset_z
      - .offset:         208
        .size:           2
        .value_kind:     hidden_grid_dims
    .group_segment_fixed_size: 8192
    .kernarg_segment_align: 8
    .kernarg_segment_size: 400
    .language:       OpenCL C
    .language_version:
      - 2
      - 0
    .max_flat_workgroup_size: 256
    .name:           _Z39paged_attention_ll4mi_QKV_mfma16_kernelI14__hip_bfloat16S0_LN4vllm18Fp8KVCacheDataTypeE0EhLi16ELi128ELi256ELb1ELi2EEvPKT_PKT0_S8_ifPKiSA_SA_iPKfiiiPfSD_PS3_PT2_iSC_SC_
    .private_segment_fixed_size: 0
    .sgpr_count:     47
    .sgpr_spill_count: 0
    .symbol:         _Z39paged_attention_ll4mi_QKV_mfma16_kernelI14__hip_bfloat16S0_LN4vllm18Fp8KVCacheDataTypeE0EhLi16ELi128ELi256ELb1ELi2EEvPKT_PKT0_S8_ifPKiSA_SA_iPKfiiiPfSD_PS3_PT2_iSC_SC_.kd
    .uniform_work_group_size: 1
    .uses_dynamic_stack: false
    .vgpr_count:     96
    .vgpr_spill_count: 0
    .wavefront_size: 64
  - .agpr_count:     0
    .args:
      - .actual_access:  read_only
        .address_space:  global
        .offset:         0
        .size:           8
        .value_kind:     global_buffer
      - .actual_access:  read_only
        .address_space:  global
        .offset:         8
        .size:           8
        .value_kind:     global_buffer
      - .actual_access:  read_only
        .address_space:  global
        .offset:         16
        .size:           8
        .value_kind:     global_buffer
      - .offset:         24
        .size:           4
        .value_kind:     by_value
      - .offset:         28
        .size:           4
        .value_kind:     by_value
      - .actual_access:  read_only
        .address_space:  global
        .offset:         32
        .size:           8
        .value_kind:     global_buffer
      - .actual_access:  read_only
        .address_space:  global
        .offset:         40
        .size:           8
        .value_kind:     global_buffer
      - .actual_access:  read_only
        .address_space:  global
        .offset:         48
        .size:           8
        .value_kind:     global_buffer
      - .offset:         56
        .size:           4
        .value_kind:     by_value
      - .actual_access:  read_only
        .address_space:  global
        .offset:         64
        .size:           8
        .value_kind:     global_buffer
      - .offset:         72
        .size:           4
        .value_kind:     by_value
      - .offset:         76
        .size:           4
        .value_kind:     by_value
      - .offset:         80
        .size:           4
        .value_kind:     by_value
      - .actual_access:  write_only
        .address_space:  global
        .offset:         88
        .size:           8
        .value_kind:     global_buffer
      - .actual_access:  write_only
        .address_space:  global
        .offset:         96
        .size:           8
        .value_kind:     global_buffer
      - .actual_access:  write_only
        .address_space:  global
        .offset:         104
        .size:           8
        .value_kind:     global_buffer
      - .actual_access:  read_only
        .address_space:  global
        .offset:         112
        .size:           8
        .value_kind:     global_buffer
      - .offset:         120
        .size:           4
        .value_kind:     by_value
      - .address_space:  global
        .offset:         128
        .size:           8
        .value_kind:     global_buffer
      - .address_space:  global
        .offset:         136
        .size:           8
        .value_kind:     global_buffer
      - .offset:         144
        .size:           4
        .value_kind:     hidden_block_count_x
      - .offset:         148
        .size:           4
        .value_kind:     hidden_block_count_y
      - .offset:         152
        .size:           4
        .value_kind:     hidden_block_count_z
      - .offset:         156
        .size:           2
        .value_kind:     hidden_group_size_x
      - .offset:         158
        .size:           2
        .value_kind:     hidden_group_size_y
      - .offset:         160
        .size:           2
        .value_kind:     hidden_group_size_z
      - .offset:         162
        .size:           2
        .value_kind:     hidden_remainder_x
      - .offset:         164
        .size:           2
        .value_kind:     hidden_remainder_y
      - .offset:         166
        .size:           2
        .value_kind:     hidden_remainder_z
      - .offset:         184
        .size:           8
        .value_kind:     hidden_global_offset_x
      - .offset:         192
        .size:           8
        .value_kind:     hidden_global_offset_y
      - .offset:         200
        .size:           8
        .value_kind:     hidden_global_offset_z
      - .offset:         208
        .size:           2
        .value_kind:     hidden_grid_dims
    .group_segment_fixed_size: 8192
    .kernarg_segment_align: 8
    .kernarg_segment_size: 400
    .language:       OpenCL C
    .language_version:
      - 2
      - 0
    .max_flat_workgroup_size: 256
    .name:           _Z39paged_attention_ll4mi_QKV_mfma16_kernelI14__hip_bfloat16S0_LN4vllm18Fp8KVCacheDataTypeE0EhLi16ELi128ELi256ELb1ELi3EEvPKT_PKT0_S8_ifPKiSA_SA_iPKfiiiPfSD_PS3_PT2_iSC_SC_
    .private_segment_fixed_size: 16
    .sgpr_count:     48
    .sgpr_spill_count: 0
    .symbol:         _Z39paged_attention_ll4mi_QKV_mfma16_kernelI14__hip_bfloat16S0_LN4vllm18Fp8KVCacheDataTypeE0EhLi16ELi128ELi256ELb1ELi3EEvPKT_PKT0_S8_ifPKiSA_SA_iPKfiiiPfSD_PS3_PT2_iSC_SC_.kd
    .uniform_work_group_size: 1
    .uses_dynamic_stack: false
    .vgpr_count:     96
    .vgpr_spill_count: 5
    .wavefront_size: 64
  - .agpr_count:     0
    .args:
      - .actual_access:  read_only
        .address_space:  global
        .offset:         0
        .size:           8
        .value_kind:     global_buffer
      - .actual_access:  read_only
        .address_space:  global
        .offset:         8
        .size:           8
        .value_kind:     global_buffer
      - .actual_access:  read_only
        .address_space:  global
        .offset:         16
        .size:           8
        .value_kind:     global_buffer
      - .offset:         24
        .size:           4
        .value_kind:     by_value
      - .offset:         28
        .size:           4
        .value_kind:     by_value
      - .actual_access:  read_only
        .address_space:  global
        .offset:         32
        .size:           8
        .value_kind:     global_buffer
      - .actual_access:  read_only
        .address_space:  global
        .offset:         40
        .size:           8
        .value_kind:     global_buffer
      - .actual_access:  read_only
        .address_space:  global
        .offset:         48
        .size:           8
        .value_kind:     global_buffer
      - .offset:         56
        .size:           4
        .value_kind:     by_value
      - .actual_access:  read_only
        .address_space:  global
        .offset:         64
        .size:           8
        .value_kind:     global_buffer
      - .offset:         72
        .size:           4
        .value_kind:     by_value
      - .offset:         76
        .size:           4
        .value_kind:     by_value
      - .offset:         80
        .size:           4
        .value_kind:     by_value
      - .actual_access:  write_only
        .address_space:  global
        .offset:         88
        .size:           8
        .value_kind:     global_buffer
      - .actual_access:  write_only
        .address_space:  global
        .offset:         96
        .size:           8
        .value_kind:     global_buffer
      - .actual_access:  write_only
        .address_space:  global
        .offset:         104
        .size:           8
        .value_kind:     global_buffer
      - .actual_access:  read_only
        .address_space:  global
        .offset:         112
        .size:           8
        .value_kind:     global_buffer
      - .offset:         120
        .size:           4
        .value_kind:     by_value
      - .address_space:  global
        .offset:         128
        .size:           8
        .value_kind:     global_buffer
      - .address_space:  global
        .offset:         136
        .size:           8
        .value_kind:     global_buffer
      - .offset:         144
        .size:           4
        .value_kind:     hidden_block_count_x
      - .offset:         148
        .size:           4
        .value_kind:     hidden_block_count_y
      - .offset:         152
        .size:           4
        .value_kind:     hidden_block_count_z
      - .offset:         156
        .size:           2
        .value_kind:     hidden_group_size_x
      - .offset:         158
        .size:           2
        .value_kind:     hidden_group_size_y
      - .offset:         160
        .size:           2
        .value_kind:     hidden_group_size_z
      - .offset:         162
        .size:           2
        .value_kind:     hidden_remainder_x
      - .offset:         164
        .size:           2
        .value_kind:     hidden_remainder_y
      - .offset:         166
        .size:           2
        .value_kind:     hidden_remainder_z
      - .offset:         184
        .size:           8
        .value_kind:     hidden_global_offset_x
      - .offset:         192
        .size:           8
        .value_kind:     hidden_global_offset_y
      - .offset:         200
        .size:           8
        .value_kind:     hidden_global_offset_z
      - .offset:         208
        .size:           2
        .value_kind:     hidden_grid_dims
    .group_segment_fixed_size: 8192
    .kernarg_segment_align: 8
    .kernarg_segment_size: 400
    .language:       OpenCL C
    .language_version:
      - 2
      - 0
    .max_flat_workgroup_size: 256
    .name:           _Z39paged_attention_ll4mi_QKV_mfma16_kernelI14__hip_bfloat16S0_LN4vllm18Fp8KVCacheDataTypeE0EhLi16ELi128ELi256ELb1ELi4EEvPKT_PKT0_S8_ifPKiSA_SA_iPKfiiiPfSD_PS3_PT2_iSC_SC_
    .private_segment_fixed_size: 12
    .sgpr_count:     49
    .sgpr_spill_count: 0
    .symbol:         _Z39paged_attention_ll4mi_QKV_mfma16_kernelI14__hip_bfloat16S0_LN4vllm18Fp8KVCacheDataTypeE0EhLi16ELi128ELi256ELb1ELi4EEvPKT_PKT0_S8_ifPKiSA_SA_iPKfiiiPfSD_PS3_PT2_iSC_SC_.kd
    .uniform_work_group_size: 1
    .uses_dynamic_stack: false
    .vgpr_count:     96
    .vgpr_spill_count: 2
    .wavefront_size: 64
  - .agpr_count:     0
    .args:
      - .actual_access:  write_only
        .address_space:  global
        .offset:         0
        .size:           8
        .value_kind:     global_buffer
      - .actual_access:  read_only
        .address_space:  global
        .offset:         8
        .size:           8
        .value_kind:     global_buffer
      - .actual_access:  read_only
        .address_space:  global
        .offset:         16
        .size:           8
        .value_kind:     global_buffer
      - .actual_access:  read_only
        .address_space:  global
        .offset:         24
        .size:           8
        .value_kind:     global_buffer
      - .actual_access:  read_only
        .address_space:  global
        .offset:         32
        .size:           8
        .value_kind:     global_buffer
      - .actual_access:  read_only
        .address_space:  global
        .offset:         40
        .size:           8
        .value_kind:     global_buffer
      - .offset:         48
        .size:           4
        .value_kind:     by_value
      - .actual_access:  read_only
        .address_space:  global
        .offset:         56
        .size:           8
        .value_kind:     global_buffer
      - .offset:         64
        .size:           4
        .value_kind:     hidden_block_count_x
      - .offset:         68
        .size:           4
        .value_kind:     hidden_block_count_y
      - .offset:         72
        .size:           4
        .value_kind:     hidden_block_count_z
      - .offset:         76
        .size:           2
        .value_kind:     hidden_group_size_x
      - .offset:         78
        .size:           2
        .value_kind:     hidden_group_size_y
      - .offset:         80
        .size:           2
        .value_kind:     hidden_group_size_z
      - .offset:         82
        .size:           2
        .value_kind:     hidden_remainder_x
      - .offset:         84
        .size:           2
        .value_kind:     hidden_remainder_y
      - .offset:         86
        .size:           2
        .value_kind:     hidden_remainder_z
      - .offset:         104
        .size:           8
        .value_kind:     hidden_global_offset_x
      - .offset:         112
        .size:           8
        .value_kind:     hidden_global_offset_y
      - .offset:         120
        .size:           8
        .value_kind:     hidden_global_offset_z
      - .offset:         128
        .size:           2
        .value_kind:     hidden_grid_dims
    .group_segment_fixed_size: 2308
    .kernarg_segment_align: 8
    .kernarg_segment_size: 320
    .language:       OpenCL C
    .language_version:
      - 2
      - 0
    .max_flat_workgroup_size: 128
    .name:           _Z35paged_attention_ll4mi_reduce_kernelI14__hip_bfloat16hLi128ELi128ELi256ELi9EEvPT0_PKfS4_PKT_PKiS9_iS4_
    .private_segment_fixed_size: 0
    .sgpr_count:     53
    .sgpr_spill_count: 0
    .symbol:         _Z35paged_attention_ll4mi_reduce_kernelI14__hip_bfloat16hLi128ELi128ELi256ELi9EEvPT0_PKfS4_PKT_PKiS9_iS4_.kd
    .uniform_work_group_size: 1
    .uses_dynamic_stack: false
    .vgpr_count:     127
    .vgpr_spill_count: 0
    .wavefront_size: 64
  - .agpr_count:     0
    .args:
      - .actual_access:  write_only
        .address_space:  global
        .offset:         0
        .size:           8
        .value_kind:     global_buffer
      - .actual_access:  read_only
        .address_space:  global
        .offset:         8
        .size:           8
        .value_kind:     global_buffer
      - .actual_access:  read_only
        .address_space:  global
        .offset:         16
        .size:           8
        .value_kind:     global_buffer
      - .actual_access:  read_only
        .address_space:  global
        .offset:         24
        .size:           8
        .value_kind:     global_buffer
      - .actual_access:  read_only
        .address_space:  global
        .offset:         32
        .size:           8
        .value_kind:     global_buffer
      - .actual_access:  read_only
        .address_space:  global
        .offset:         40
        .size:           8
        .value_kind:     global_buffer
      - .offset:         48
        .size:           4
        .value_kind:     by_value
      - .actual_access:  read_only
        .address_space:  global
        .offset:         56
        .size:           8
        .value_kind:     global_buffer
      - .offset:         64
        .size:           4
        .value_kind:     hidden_block_count_x
      - .offset:         68
        .size:           4
        .value_kind:     hidden_block_count_y
      - .offset:         72
        .size:           4
        .value_kind:     hidden_block_count_z
      - .offset:         76
        .size:           2
        .value_kind:     hidden_group_size_x
      - .offset:         78
        .size:           2
        .value_kind:     hidden_group_size_y
      - .offset:         80
        .size:           2
        .value_kind:     hidden_group_size_z
      - .offset:         82
        .size:           2
        .value_kind:     hidden_remainder_x
      - .offset:         84
        .size:           2
        .value_kind:     hidden_remainder_y
      - .offset:         86
        .size:           2
        .value_kind:     hidden_remainder_z
      - .offset:         104
        .size:           8
        .value_kind:     hidden_global_offset_x
      - .offset:         112
        .size:           8
        .value_kind:     hidden_global_offset_y
      - .offset:         120
        .size:           8
        .value_kind:     hidden_global_offset_z
      - .offset:         128
        .size:           2
        .value_kind:     hidden_grid_dims
    .group_segment_fixed_size: 2564
    .kernarg_segment_align: 8
    .kernarg_segment_size: 320
    .language:       OpenCL C
    .language_version:
      - 2
      - 0
    .max_flat_workgroup_size: 128
    .name:           _Z35paged_attention_ll4mi_reduce_kernelI14__hip_bfloat16hLi128ELi128ELi256ELi10EEvPT0_PKfS4_PKT_PKiS9_iS4_
    .private_segment_fixed_size: 0
    .sgpr_count:     55
    .sgpr_spill_count: 0
    .symbol:         _Z35paged_attention_ll4mi_reduce_kernelI14__hip_bfloat16hLi128ELi128ELi256ELi10EEvPT0_PKfS4_PKT_PKiS9_iS4_.kd
    .uniform_work_group_size: 1
    .uses_dynamic_stack: false
    .vgpr_count:     127
    .vgpr_spill_count: 0
    .wavefront_size: 64
  - .agpr_count:     0
    .args:
      - .actual_access:  write_only
        .address_space:  global
        .offset:         0
        .size:           8
        .value_kind:     global_buffer
      - .actual_access:  read_only
        .address_space:  global
        .offset:         8
        .size:           8
        .value_kind:     global_buffer
      - .actual_access:  read_only
        .address_space:  global
        .offset:         16
        .size:           8
        .value_kind:     global_buffer
      - .actual_access:  read_only
        .address_space:  global
        .offset:         24
        .size:           8
        .value_kind:     global_buffer
      - .actual_access:  read_only
        .address_space:  global
        .offset:         32
        .size:           8
        .value_kind:     global_buffer
      - .actual_access:  read_only
        .address_space:  global
        .offset:         40
        .size:           8
        .value_kind:     global_buffer
      - .offset:         48
        .size:           4
        .value_kind:     by_value
      - .actual_access:  read_only
        .address_space:  global
        .offset:         56
        .size:           8
        .value_kind:     global_buffer
      - .offset:         64
        .size:           4
        .value_kind:     hidden_block_count_x
      - .offset:         68
        .size:           4
        .value_kind:     hidden_block_count_y
      - .offset:         72
        .size:           4
        .value_kind:     hidden_block_count_z
      - .offset:         76
        .size:           2
        .value_kind:     hidden_group_size_x
      - .offset:         78
        .size:           2
        .value_kind:     hidden_group_size_y
      - .offset:         80
        .size:           2
        .value_kind:     hidden_group_size_z
      - .offset:         82
        .size:           2
        .value_kind:     hidden_remainder_x
      - .offset:         84
        .size:           2
        .value_kind:     hidden_remainder_y
      - .offset:         86
        .size:           2
        .value_kind:     hidden_remainder_z
      - .offset:         104
        .size:           8
        .value_kind:     hidden_global_offset_x
      - .offset:         112
        .size:           8
        .value_kind:     hidden_global_offset_y
      - .offset:         120
        .size:           8
        .value_kind:     hidden_global_offset_z
      - .offset:         128
        .size:           2
        .value_kind:     hidden_grid_dims
    .group_segment_fixed_size: 2820
    .kernarg_segment_align: 8
    .kernarg_segment_size: 320
    .language:       OpenCL C
    .language_version:
      - 2
      - 0
    .max_flat_workgroup_size: 128
    .name:           _Z35paged_attention_ll4mi_reduce_kernelI14__hip_bfloat16hLi128ELi128ELi256ELi11EEvPT0_PKfS4_PKT_PKiS9_iS4_
    .private_segment_fixed_size: 0
    .sgpr_count:     57
    .sgpr_spill_count: 0
    .symbol:         _Z35paged_attention_ll4mi_reduce_kernelI14__hip_bfloat16hLi128ELi128ELi256ELi11EEvPT0_PKfS4_PKT_PKiS9_iS4_.kd
    .uniform_work_group_size: 1
    .uses_dynamic_stack: false
    .vgpr_count:     127
    .vgpr_spill_count: 0
    .wavefront_size: 64
  - .agpr_count:     0
    .args:
      - .actual_access:  write_only
        .address_space:  global
        .offset:         0
        .size:           8
        .value_kind:     global_buffer
      - .actual_access:  read_only
        .address_space:  global
        .offset:         8
        .size:           8
        .value_kind:     global_buffer
      - .actual_access:  read_only
        .address_space:  global
        .offset:         16
        .size:           8
        .value_kind:     global_buffer
      - .actual_access:  read_only
        .address_space:  global
        .offset:         24
        .size:           8
        .value_kind:     global_buffer
      - .actual_access:  read_only
        .address_space:  global
        .offset:         32
        .size:           8
        .value_kind:     global_buffer
      - .actual_access:  read_only
        .address_space:  global
        .offset:         40
        .size:           8
        .value_kind:     global_buffer
      - .offset:         48
        .size:           4
        .value_kind:     by_value
      - .actual_access:  read_only
        .address_space:  global
        .offset:         56
        .size:           8
        .value_kind:     global_buffer
      - .offset:         64
        .size:           4
        .value_kind:     hidden_block_count_x
      - .offset:         68
        .size:           4
        .value_kind:     hidden_block_count_y
      - .offset:         72
        .size:           4
        .value_kind:     hidden_block_count_z
      - .offset:         76
        .size:           2
        .value_kind:     hidden_group_size_x
      - .offset:         78
        .size:           2
        .value_kind:     hidden_group_size_y
      - .offset:         80
        .size:           2
        .value_kind:     hidden_group_size_z
      - .offset:         82
        .size:           2
        .value_kind:     hidden_remainder_x
      - .offset:         84
        .size:           2
        .value_kind:     hidden_remainder_y
      - .offset:         86
        .size:           2
        .value_kind:     hidden_remainder_z
      - .offset:         104
        .size:           8
        .value_kind:     hidden_global_offset_x
      - .offset:         112
        .size:           8
        .value_kind:     hidden_global_offset_y
      - .offset:         120
        .size:           8
        .value_kind:     hidden_global_offset_z
      - .offset:         128
        .size:           2
        .value_kind:     hidden_grid_dims
    .group_segment_fixed_size: 3076
    .kernarg_segment_align: 8
    .kernarg_segment_size: 320
    .language:       OpenCL C
    .language_version:
      - 2
      - 0
    .max_flat_workgroup_size: 128
    .name:           _Z35paged_attention_ll4mi_reduce_kernelI14__hip_bfloat16hLi128ELi128ELi256ELi12EEvPT0_PKfS4_PKT_PKiS9_iS4_
    .private_segment_fixed_size: 0
    .sgpr_count:     59
    .sgpr_spill_count: 0
    .symbol:         _Z35paged_attention_ll4mi_reduce_kernelI14__hip_bfloat16hLi128ELi128ELi256ELi12EEvPT0_PKfS4_PKT_PKiS9_iS4_.kd
    .uniform_work_group_size: 1
    .uses_dynamic_stack: false
    .vgpr_count:     127
    .vgpr_spill_count: 0
    .wavefront_size: 64
  - .agpr_count:     0
    .args:
      - .actual_access:  write_only
        .address_space:  global
        .offset:         0
        .size:           8
        .value_kind:     global_buffer
      - .actual_access:  read_only
        .address_space:  global
        .offset:         8
        .size:           8
        .value_kind:     global_buffer
      - .actual_access:  read_only
        .address_space:  global
        .offset:         16
        .size:           8
        .value_kind:     global_buffer
      - .actual_access:  read_only
        .address_space:  global
        .offset:         24
        .size:           8
        .value_kind:     global_buffer
      - .actual_access:  read_only
        .address_space:  global
        .offset:         32
        .size:           8
        .value_kind:     global_buffer
      - .actual_access:  read_only
        .address_space:  global
        .offset:         40
        .size:           8
        .value_kind:     global_buffer
      - .offset:         48
        .size:           4
        .value_kind:     by_value
      - .actual_access:  read_only
        .address_space:  global
        .offset:         56
        .size:           8
        .value_kind:     global_buffer
      - .offset:         64
        .size:           4
        .value_kind:     hidden_block_count_x
      - .offset:         68
        .size:           4
        .value_kind:     hidden_block_count_y
      - .offset:         72
        .size:           4
        .value_kind:     hidden_block_count_z
      - .offset:         76
        .size:           2
        .value_kind:     hidden_group_size_x
      - .offset:         78
        .size:           2
        .value_kind:     hidden_group_size_y
      - .offset:         80
        .size:           2
        .value_kind:     hidden_group_size_z
      - .offset:         82
        .size:           2
        .value_kind:     hidden_remainder_x
      - .offset:         84
        .size:           2
        .value_kind:     hidden_remainder_y
      - .offset:         86
        .size:           2
        .value_kind:     hidden_remainder_z
      - .offset:         104
        .size:           8
        .value_kind:     hidden_global_offset_x
      - .offset:         112
        .size:           8
        .value_kind:     hidden_global_offset_y
      - .offset:         120
        .size:           8
        .value_kind:     hidden_global_offset_z
      - .offset:         128
        .size:           2
        .value_kind:     hidden_grid_dims
    .group_segment_fixed_size: 3332
    .kernarg_segment_align: 8
    .kernarg_segment_size: 320
    .language:       OpenCL C
    .language_version:
      - 2
      - 0
    .max_flat_workgroup_size: 128
    .name:           _Z35paged_attention_ll4mi_reduce_kernelI14__hip_bfloat16hLi128ELi128ELi256ELi13EEvPT0_PKfS4_PKT_PKiS9_iS4_
    .private_segment_fixed_size: 0
    .sgpr_count:     61
    .sgpr_spill_count: 0
    .symbol:         _Z35paged_attention_ll4mi_reduce_kernelI14__hip_bfloat16hLi128ELi128ELi256ELi13EEvPT0_PKfS4_PKT_PKiS9_iS4_.kd
    .uniform_work_group_size: 1
    .uses_dynamic_stack: false
    .vgpr_count:     127
    .vgpr_spill_count: 0
    .wavefront_size: 64
  - .agpr_count:     0
    .args:
      - .actual_access:  write_only
        .address_space:  global
        .offset:         0
        .size:           8
        .value_kind:     global_buffer
      - .actual_access:  read_only
        .address_space:  global
        .offset:         8
        .size:           8
        .value_kind:     global_buffer
      - .actual_access:  read_only
        .address_space:  global
        .offset:         16
        .size:           8
        .value_kind:     global_buffer
      - .actual_access:  read_only
        .address_space:  global
        .offset:         24
        .size:           8
        .value_kind:     global_buffer
      - .actual_access:  read_only
        .address_space:  global
        .offset:         32
        .size:           8
        .value_kind:     global_buffer
      - .actual_access:  read_only
        .address_space:  global
        .offset:         40
        .size:           8
        .value_kind:     global_buffer
      - .offset:         48
        .size:           4
        .value_kind:     by_value
      - .actual_access:  read_only
        .address_space:  global
        .offset:         56
        .size:           8
        .value_kind:     global_buffer
      - .offset:         64
        .size:           4
        .value_kind:     hidden_block_count_x
      - .offset:         68
        .size:           4
        .value_kind:     hidden_block_count_y
      - .offset:         72
        .size:           4
        .value_kind:     hidden_block_count_z
      - .offset:         76
        .size:           2
        .value_kind:     hidden_group_size_x
      - .offset:         78
        .size:           2
        .value_kind:     hidden_group_size_y
      - .offset:         80
        .size:           2
        .value_kind:     hidden_group_size_z
      - .offset:         82
        .size:           2
        .value_kind:     hidden_remainder_x
      - .offset:         84
        .size:           2
        .value_kind:     hidden_remainder_y
      - .offset:         86
        .size:           2
        .value_kind:     hidden_remainder_z
      - .offset:         104
        .size:           8
        .value_kind:     hidden_global_offset_x
      - .offset:         112
        .size:           8
        .value_kind:     hidden_global_offset_y
      - .offset:         120
        .size:           8
        .value_kind:     hidden_global_offset_z
      - .offset:         128
        .size:           2
        .value_kind:     hidden_grid_dims
    .group_segment_fixed_size: 3588
    .kernarg_segment_align: 8
    .kernarg_segment_size: 320
    .language:       OpenCL C
    .language_version:
      - 2
      - 0
    .max_flat_workgroup_size: 128
    .name:           _Z35paged_attention_ll4mi_reduce_kernelI14__hip_bfloat16hLi128ELi128ELi256ELi14EEvPT0_PKfS4_PKT_PKiS9_iS4_
    .private_segment_fixed_size: 0
    .sgpr_count:     63
    .sgpr_spill_count: 0
    .symbol:         _Z35paged_attention_ll4mi_reduce_kernelI14__hip_bfloat16hLi128ELi128ELi256ELi14EEvPT0_PKfS4_PKT_PKiS9_iS4_.kd
    .uniform_work_group_size: 1
    .uses_dynamic_stack: false
    .vgpr_count:     127
    .vgpr_spill_count: 0
    .wavefront_size: 64
  - .agpr_count:     0
    .args:
      - .actual_access:  write_only
        .address_space:  global
        .offset:         0
        .size:           8
        .value_kind:     global_buffer
      - .actual_access:  read_only
        .address_space:  global
        .offset:         8
        .size:           8
        .value_kind:     global_buffer
      - .actual_access:  read_only
        .address_space:  global
        .offset:         16
        .size:           8
        .value_kind:     global_buffer
      - .actual_access:  read_only
        .address_space:  global
        .offset:         24
        .size:           8
        .value_kind:     global_buffer
      - .actual_access:  read_only
        .address_space:  global
        .offset:         32
        .size:           8
        .value_kind:     global_buffer
      - .actual_access:  read_only
        .address_space:  global
        .offset:         40
        .size:           8
        .value_kind:     global_buffer
      - .offset:         48
        .size:           4
        .value_kind:     by_value
      - .actual_access:  read_only
        .address_space:  global
        .offset:         56
        .size:           8
        .value_kind:     global_buffer
      - .offset:         64
        .size:           4
        .value_kind:     hidden_block_count_x
      - .offset:         68
        .size:           4
        .value_kind:     hidden_block_count_y
      - .offset:         72
        .size:           4
        .value_kind:     hidden_block_count_z
      - .offset:         76
        .size:           2
        .value_kind:     hidden_group_size_x
      - .offset:         78
        .size:           2
        .value_kind:     hidden_group_size_y
      - .offset:         80
        .size:           2
        .value_kind:     hidden_group_size_z
      - .offset:         82
        .size:           2
        .value_kind:     hidden_remainder_x
      - .offset:         84
        .size:           2
        .value_kind:     hidden_remainder_y
      - .offset:         86
        .size:           2
        .value_kind:     hidden_remainder_z
      - .offset:         104
        .size:           8
        .value_kind:     hidden_global_offset_x
      - .offset:         112
        .size:           8
        .value_kind:     hidden_global_offset_y
      - .offset:         120
        .size:           8
        .value_kind:     hidden_global_offset_z
      - .offset:         128
        .size:           2
        .value_kind:     hidden_grid_dims
    .group_segment_fixed_size: 3844
    .kernarg_segment_align: 8
    .kernarg_segment_size: 320
    .language:       OpenCL C
    .language_version:
      - 2
      - 0
    .max_flat_workgroup_size: 128
    .name:           _Z35paged_attention_ll4mi_reduce_kernelI14__hip_bfloat16hLi128ELi128ELi256ELi15EEvPT0_PKfS4_PKT_PKiS9_iS4_
    .private_segment_fixed_size: 0
    .sgpr_count:     65
    .sgpr_spill_count: 0
    .symbol:         _Z35paged_attention_ll4mi_reduce_kernelI14__hip_bfloat16hLi128ELi128ELi256ELi15EEvPT0_PKfS4_PKT_PKiS9_iS4_.kd
    .uniform_work_group_size: 1
    .uses_dynamic_stack: false
    .vgpr_count:     127
    .vgpr_spill_count: 0
    .wavefront_size: 64
  - .agpr_count:     0
    .args:
      - .actual_access:  write_only
        .address_space:  global
        .offset:         0
        .size:           8
        .value_kind:     global_buffer
      - .actual_access:  read_only
        .address_space:  global
        .offset:         8
        .size:           8
        .value_kind:     global_buffer
      - .actual_access:  read_only
        .address_space:  global
        .offset:         16
        .size:           8
        .value_kind:     global_buffer
      - .actual_access:  read_only
        .address_space:  global
        .offset:         24
        .size:           8
        .value_kind:     global_buffer
      - .actual_access:  read_only
        .address_space:  global
        .offset:         32
        .size:           8
        .value_kind:     global_buffer
      - .actual_access:  read_only
        .address_space:  global
        .offset:         40
        .size:           8
        .value_kind:     global_buffer
      - .offset:         48
        .size:           4
        .value_kind:     by_value
      - .actual_access:  read_only
        .address_space:  global
        .offset:         56
        .size:           8
        .value_kind:     global_buffer
      - .offset:         64
        .size:           4
        .value_kind:     hidden_block_count_x
      - .offset:         68
        .size:           4
        .value_kind:     hidden_block_count_y
      - .offset:         72
        .size:           4
        .value_kind:     hidden_block_count_z
      - .offset:         76
        .size:           2
        .value_kind:     hidden_group_size_x
      - .offset:         78
        .size:           2
        .value_kind:     hidden_group_size_y
      - .offset:         80
        .size:           2
        .value_kind:     hidden_group_size_z
      - .offset:         82
        .size:           2
        .value_kind:     hidden_remainder_x
      - .offset:         84
        .size:           2
        .value_kind:     hidden_remainder_y
      - .offset:         86
        .size:           2
        .value_kind:     hidden_remainder_z
      - .offset:         104
        .size:           8
        .value_kind:     hidden_global_offset_x
      - .offset:         112
        .size:           8
        .value_kind:     hidden_global_offset_y
      - .offset:         120
        .size:           8
        .value_kind:     hidden_global_offset_z
      - .offset:         128
        .size:           2
        .value_kind:     hidden_grid_dims
    .group_segment_fixed_size: 4100
    .kernarg_segment_align: 8
    .kernarg_segment_size: 320
    .language:       OpenCL C
    .language_version:
      - 2
      - 0
    .max_flat_workgroup_size: 128
    .name:           _Z35paged_attention_ll4mi_reduce_kernelI14__hip_bfloat16hLi128ELi128ELi256ELi16EEvPT0_PKfS4_PKT_PKiS9_iS4_
    .private_segment_fixed_size: 0
    .sgpr_count:     67
    .sgpr_spill_count: 0
    .symbol:         _Z35paged_attention_ll4mi_reduce_kernelI14__hip_bfloat16hLi128ELi128ELi256ELi16EEvPT0_PKfS4_PKT_PKiS9_iS4_.kd
    .uniform_work_group_size: 1
    .uses_dynamic_stack: false
    .vgpr_count:     127
    .vgpr_spill_count: 0
    .wavefront_size: 64
  - .agpr_count:     8
    .args:
      - .actual_access:  read_only
        .address_space:  global
        .offset:         0
        .size:           8
        .value_kind:     global_buffer
      - .actual_access:  read_only
        .address_space:  global
        .offset:         8
        .size:           8
        .value_kind:     global_buffer
      - .actual_access:  read_only
        .address_space:  global
        .offset:         16
        .size:           8
        .value_kind:     global_buffer
      - .offset:         24
        .size:           4
        .value_kind:     by_value
      - .offset:         28
        .size:           4
        .value_kind:     by_value
      - .actual_access:  read_only
        .address_space:  global
        .offset:         32
        .size:           8
        .value_kind:     global_buffer
      - .actual_access:  read_only
        .address_space:  global
        .offset:         40
        .size:           8
        .value_kind:     global_buffer
      - .actual_access:  read_only
        .address_space:  global
        .offset:         48
        .size:           8
        .value_kind:     global_buffer
      - .offset:         56
        .size:           4
        .value_kind:     by_value
      - .actual_access:  read_only
        .address_space:  global
        .offset:         64
        .size:           8
        .value_kind:     global_buffer
      - .offset:         72
        .size:           4
        .value_kind:     by_value
      - .offset:         76
        .size:           4
        .value_kind:     by_value
      - .offset:         80
        .size:           4
        .value_kind:     by_value
      - .actual_access:  write_only
        .address_space:  global
        .offset:         88
        .size:           8
        .value_kind:     global_buffer
      - .actual_access:  write_only
        .address_space:  global
        .offset:         96
        .size:           8
        .value_kind:     global_buffer
      - .actual_access:  write_only
        .address_space:  global
        .offset:         104
        .size:           8
        .value_kind:     global_buffer
      - .actual_access:  read_only
        .address_space:  global
        .offset:         112
        .size:           8
        .value_kind:     global_buffer
      - .offset:         120
        .size:           4
        .value_kind:     by_value
      - .address_space:  global
        .offset:         128
        .size:           8
        .value_kind:     global_buffer
      - .address_space:  global
        .offset:         136
        .size:           8
        .value_kind:     global_buffer
      - .offset:         144
        .size:           4
        .value_kind:     hidden_block_count_x
      - .offset:         148
        .size:           4
        .value_kind:     hidden_block_count_y
      - .offset:         152
        .size:           4
        .value_kind:     hidden_block_count_z
      - .offset:         156
        .size:           2
        .value_kind:     hidden_group_size_x
      - .offset:         158
        .size:           2
        .value_kind:     hidden_group_size_y
      - .offset:         160
        .size:           2
        .value_kind:     hidden_group_size_z
      - .offset:         162
        .size:           2
        .value_kind:     hidden_remainder_x
      - .offset:         164
        .size:           2
        .value_kind:     hidden_remainder_y
      - .offset:         166
        .size:           2
        .value_kind:     hidden_remainder_z
      - .offset:         184
        .size:           8
        .value_kind:     hidden_global_offset_x
      - .offset:         192
        .size:           8
        .value_kind:     hidden_global_offset_y
      - .offset:         200
        .size:           8
        .value_kind:     hidden_global_offset_z
      - .offset:         208
        .size:           2
        .value_kind:     hidden_grid_dims
    .group_segment_fixed_size: 5280
    .kernarg_segment_align: 8
    .kernarg_segment_size: 400
    .language:       OpenCL C
    .language_version:
      - 2
      - 0
    .max_flat_workgroup_size: 256
    .name:           _Z38paged_attention_ll4mi_QKV_mfma4_kernelI14__hip_bfloat16S0_LN4vllm18Fp8KVCacheDataTypeE0EhLi16ELi128ELi256ELb0ELi1EEvPKT_PKT0_S8_ifPKiSA_SA_iPKfiiiPfSD_PS3_PT2_iSC_SC_
    .private_segment_fixed_size: 0
    .sgpr_count:     44
    .sgpr_spill_count: 0
    .symbol:         _Z38paged_attention_ll4mi_QKV_mfma4_kernelI14__hip_bfloat16S0_LN4vllm18Fp8KVCacheDataTypeE0EhLi16ELi128ELi256ELb0ELi1EEvPKT_PKT0_S8_ifPKiSA_SA_iPKfiiiPfSD_PS3_PT2_iSC_SC_.kd
    .uniform_work_group_size: 1
    .uses_dynamic_stack: false
    .vgpr_count:     104
    .vgpr_spill_count: 0
    .wavefront_size: 64
  - .agpr_count:     8
    .args:
      - .actual_access:  read_only
        .address_space:  global
        .offset:         0
        .size:           8
        .value_kind:     global_buffer
      - .actual_access:  read_only
        .address_space:  global
        .offset:         8
        .size:           8
        .value_kind:     global_buffer
      - .actual_access:  read_only
        .address_space:  global
        .offset:         16
        .size:           8
        .value_kind:     global_buffer
      - .offset:         24
        .size:           4
        .value_kind:     by_value
      - .offset:         28
        .size:           4
        .value_kind:     by_value
      - .actual_access:  read_only
        .address_space:  global
        .offset:         32
        .size:           8
        .value_kind:     global_buffer
      - .actual_access:  read_only
        .address_space:  global
        .offset:         40
        .size:           8
        .value_kind:     global_buffer
      - .actual_access:  read_only
        .address_space:  global
        .offset:         48
        .size:           8
        .value_kind:     global_buffer
      - .offset:         56
        .size:           4
        .value_kind:     by_value
      - .actual_access:  read_only
        .address_space:  global
        .offset:         64
        .size:           8
        .value_kind:     global_buffer
      - .offset:         72
        .size:           4
        .value_kind:     by_value
      - .offset:         76
        .size:           4
        .value_kind:     by_value
      - .offset:         80
        .size:           4
        .value_kind:     by_value
      - .actual_access:  write_only
        .address_space:  global
        .offset:         88
        .size:           8
        .value_kind:     global_buffer
      - .actual_access:  write_only
        .address_space:  global
        .offset:         96
        .size:           8
        .value_kind:     global_buffer
      - .actual_access:  write_only
        .address_space:  global
        .offset:         104
        .size:           8
        .value_kind:     global_buffer
      - .actual_access:  read_only
        .address_space:  global
        .offset:         112
        .size:           8
        .value_kind:     global_buffer
      - .offset:         120
        .size:           4
        .value_kind:     by_value
      - .address_space:  global
        .offset:         128
        .size:           8
        .value_kind:     global_buffer
      - .address_space:  global
        .offset:         136
        .size:           8
        .value_kind:     global_buffer
      - .offset:         144
        .size:           4
        .value_kind:     hidden_block_count_x
      - .offset:         148
        .size:           4
        .value_kind:     hidden_block_count_y
      - .offset:         152
        .size:           4
        .value_kind:     hidden_block_count_z
      - .offset:         156
        .size:           2
        .value_kind:     hidden_group_size_x
      - .offset:         158
        .size:           2
        .value_kind:     hidden_group_size_y
      - .offset:         160
        .size:           2
        .value_kind:     hidden_group_size_z
      - .offset:         162
        .size:           2
        .value_kind:     hidden_remainder_x
      - .offset:         164
        .size:           2
        .value_kind:     hidden_remainder_y
      - .offset:         166
        .size:           2
        .value_kind:     hidden_remainder_z
      - .offset:         184
        .size:           8
        .value_kind:     hidden_global_offset_x
      - .offset:         192
        .size:           8
        .value_kind:     hidden_global_offset_y
      - .offset:         200
        .size:           8
        .value_kind:     hidden_global_offset_z
      - .offset:         208
        .size:           2
        .value_kind:     hidden_grid_dims
    .group_segment_fixed_size: 5280
    .kernarg_segment_align: 8
    .kernarg_segment_size: 400
    .language:       OpenCL C
    .language_version:
      - 2
      - 0
    .max_flat_workgroup_size: 256
    .name:           _Z38paged_attention_ll4mi_QKV_mfma4_kernelI14__hip_bfloat16S0_LN4vllm18Fp8KVCacheDataTypeE0EhLi16ELi128ELi256ELb0ELi2EEvPKT_PKT0_S8_ifPKiSA_SA_iPKfiiiPfSD_PS3_PT2_iSC_SC_
    .private_segment_fixed_size: 0
    .sgpr_count:     44
    .sgpr_spill_count: 0
    .symbol:         _Z38paged_attention_ll4mi_QKV_mfma4_kernelI14__hip_bfloat16S0_LN4vllm18Fp8KVCacheDataTypeE0EhLi16ELi128ELi256ELb0ELi2EEvPKT_PKT0_S8_ifPKiSA_SA_iPKfiiiPfSD_PS3_PT2_iSC_SC_.kd
    .uniform_work_group_size: 1
    .uses_dynamic_stack: false
    .vgpr_count:     104
    .vgpr_spill_count: 0
    .wavefront_size: 64
  - .agpr_count:     8
    .args:
      - .actual_access:  read_only
        .address_space:  global
        .offset:         0
        .size:           8
        .value_kind:     global_buffer
      - .actual_access:  read_only
        .address_space:  global
        .offset:         8
        .size:           8
        .value_kind:     global_buffer
      - .actual_access:  read_only
        .address_space:  global
        .offset:         16
        .size:           8
        .value_kind:     global_buffer
      - .offset:         24
        .size:           4
        .value_kind:     by_value
      - .offset:         28
        .size:           4
        .value_kind:     by_value
      - .actual_access:  read_only
        .address_space:  global
        .offset:         32
        .size:           8
        .value_kind:     global_buffer
      - .actual_access:  read_only
        .address_space:  global
        .offset:         40
        .size:           8
        .value_kind:     global_buffer
      - .actual_access:  read_only
        .address_space:  global
        .offset:         48
        .size:           8
        .value_kind:     global_buffer
      - .offset:         56
        .size:           4
        .value_kind:     by_value
      - .actual_access:  read_only
        .address_space:  global
        .offset:         64
        .size:           8
        .value_kind:     global_buffer
      - .offset:         72
        .size:           4
        .value_kind:     by_value
      - .offset:         76
        .size:           4
        .value_kind:     by_value
      - .offset:         80
        .size:           4
        .value_kind:     by_value
      - .actual_access:  write_only
        .address_space:  global
        .offset:         88
        .size:           8
        .value_kind:     global_buffer
      - .actual_access:  write_only
        .address_space:  global
        .offset:         96
        .size:           8
        .value_kind:     global_buffer
      - .actual_access:  write_only
        .address_space:  global
        .offset:         104
        .size:           8
        .value_kind:     global_buffer
      - .actual_access:  read_only
        .address_space:  global
        .offset:         112
        .size:           8
        .value_kind:     global_buffer
      - .offset:         120
        .size:           4
        .value_kind:     by_value
      - .address_space:  global
        .offset:         128
        .size:           8
        .value_kind:     global_buffer
      - .address_space:  global
        .offset:         136
        .size:           8
        .value_kind:     global_buffer
      - .offset:         144
        .size:           4
        .value_kind:     hidden_block_count_x
      - .offset:         148
        .size:           4
        .value_kind:     hidden_block_count_y
      - .offset:         152
        .size:           4
        .value_kind:     hidden_block_count_z
      - .offset:         156
        .size:           2
        .value_kind:     hidden_group_size_x
      - .offset:         158
        .size:           2
        .value_kind:     hidden_group_size_y
      - .offset:         160
        .size:           2
        .value_kind:     hidden_group_size_z
      - .offset:         162
        .size:           2
        .value_kind:     hidden_remainder_x
      - .offset:         164
        .size:           2
        .value_kind:     hidden_remainder_y
      - .offset:         166
        .size:           2
        .value_kind:     hidden_remainder_z
      - .offset:         184
        .size:           8
        .value_kind:     hidden_global_offset_x
      - .offset:         192
        .size:           8
        .value_kind:     hidden_global_offset_y
      - .offset:         200
        .size:           8
        .value_kind:     hidden_global_offset_z
      - .offset:         208
        .size:           2
        .value_kind:     hidden_grid_dims
    .group_segment_fixed_size: 5280
    .kernarg_segment_align: 8
    .kernarg_segment_size: 400
    .language:       OpenCL C
    .language_version:
      - 2
      - 0
    .max_flat_workgroup_size: 256
    .name:           _Z38paged_attention_ll4mi_QKV_mfma4_kernelI14__hip_bfloat16S0_LN4vllm18Fp8KVCacheDataTypeE0EhLi16ELi128ELi256ELb0ELi3EEvPKT_PKT0_S8_ifPKiSA_SA_iPKfiiiPfSD_PS3_PT2_iSC_SC_
    .private_segment_fixed_size: 0
    .sgpr_count:     44
    .sgpr_spill_count: 0
    .symbol:         _Z38paged_attention_ll4mi_QKV_mfma4_kernelI14__hip_bfloat16S0_LN4vllm18Fp8KVCacheDataTypeE0EhLi16ELi128ELi256ELb0ELi3EEvPKT_PKT0_S8_ifPKiSA_SA_iPKfiiiPfSD_PS3_PT2_iSC_SC_.kd
    .uniform_work_group_size: 1
    .uses_dynamic_stack: false
    .vgpr_count:     104
    .vgpr_spill_count: 0
    .wavefront_size: 64
  - .agpr_count:     8
    .args:
      - .actual_access:  read_only
        .address_space:  global
        .offset:         0
        .size:           8
        .value_kind:     global_buffer
      - .actual_access:  read_only
        .address_space:  global
        .offset:         8
        .size:           8
        .value_kind:     global_buffer
      - .actual_access:  read_only
        .address_space:  global
        .offset:         16
        .size:           8
        .value_kind:     global_buffer
      - .offset:         24
        .size:           4
        .value_kind:     by_value
      - .offset:         28
        .size:           4
        .value_kind:     by_value
      - .actual_access:  read_only
        .address_space:  global
        .offset:         32
        .size:           8
        .value_kind:     global_buffer
      - .actual_access:  read_only
        .address_space:  global
        .offset:         40
        .size:           8
        .value_kind:     global_buffer
      - .actual_access:  read_only
        .address_space:  global
        .offset:         48
        .size:           8
        .value_kind:     global_buffer
      - .offset:         56
        .size:           4
        .value_kind:     by_value
      - .actual_access:  read_only
        .address_space:  global
        .offset:         64
        .size:           8
        .value_kind:     global_buffer
      - .offset:         72
        .size:           4
        .value_kind:     by_value
      - .offset:         76
        .size:           4
        .value_kind:     by_value
      - .offset:         80
        .size:           4
        .value_kind:     by_value
      - .actual_access:  write_only
        .address_space:  global
        .offset:         88
        .size:           8
        .value_kind:     global_buffer
      - .actual_access:  write_only
        .address_space:  global
        .offset:         96
        .size:           8
        .value_kind:     global_buffer
      - .actual_access:  write_only
        .address_space:  global
        .offset:         104
        .size:           8
        .value_kind:     global_buffer
      - .actual_access:  read_only
        .address_space:  global
        .offset:         112
        .size:           8
        .value_kind:     global_buffer
      - .offset:         120
        .size:           4
        .value_kind:     by_value
      - .address_space:  global
        .offset:         128
        .size:           8
        .value_kind:     global_buffer
      - .address_space:  global
        .offset:         136
        .size:           8
        .value_kind:     global_buffer
      - .offset:         144
        .size:           4
        .value_kind:     hidden_block_count_x
      - .offset:         148
        .size:           4
        .value_kind:     hidden_block_count_y
      - .offset:         152
        .size:           4
        .value_kind:     hidden_block_count_z
      - .offset:         156
        .size:           2
        .value_kind:     hidden_group_size_x
      - .offset:         158
        .size:           2
        .value_kind:     hidden_group_size_y
      - .offset:         160
        .size:           2
        .value_kind:     hidden_group_size_z
      - .offset:         162
        .size:           2
        .value_kind:     hidden_remainder_x
      - .offset:         164
        .size:           2
        .value_kind:     hidden_remainder_y
      - .offset:         166
        .size:           2
        .value_kind:     hidden_remainder_z
      - .offset:         184
        .size:           8
        .value_kind:     hidden_global_offset_x
      - .offset:         192
        .size:           8
        .value_kind:     hidden_global_offset_y
      - .offset:         200
        .size:           8
        .value_kind:     hidden_global_offset_z
      - .offset:         208
        .size:           2
        .value_kind:     hidden_grid_dims
    .group_segment_fixed_size: 5280
    .kernarg_segment_align: 8
    .kernarg_segment_size: 400
    .language:       OpenCL C
    .language_version:
      - 2
      - 0
    .max_flat_workgroup_size: 256
    .name:           _Z38paged_attention_ll4mi_QKV_mfma4_kernelI14__hip_bfloat16S0_LN4vllm18Fp8KVCacheDataTypeE0EhLi16ELi128ELi256ELb0ELi4EEvPKT_PKT0_S8_ifPKiSA_SA_iPKfiiiPfSD_PS3_PT2_iSC_SC_
    .private_segment_fixed_size: 0
    .sgpr_count:     44
    .sgpr_spill_count: 0
    .symbol:         _Z38paged_attention_ll4mi_QKV_mfma4_kernelI14__hip_bfloat16S0_LN4vllm18Fp8KVCacheDataTypeE0EhLi16ELi128ELi256ELb0ELi4EEvPKT_PKT0_S8_ifPKiSA_SA_iPKfiiiPfSD_PS3_PT2_iSC_SC_.kd
    .uniform_work_group_size: 1
    .uses_dynamic_stack: false
    .vgpr_count:     104
    .vgpr_spill_count: 0
    .wavefront_size: 64
  - .agpr_count:     0
    .args:
      - .actual_access:  read_only
        .address_space:  global
        .offset:         0
        .size:           8
        .value_kind:     global_buffer
      - .actual_access:  read_only
        .address_space:  global
        .offset:         8
        .size:           8
        .value_kind:     global_buffer
      - .actual_access:  read_only
        .address_space:  global
        .offset:         16
        .size:           8
        .value_kind:     global_buffer
      - .offset:         24
        .size:           4
        .value_kind:     by_value
      - .offset:         28
        .size:           4
        .value_kind:     by_value
      - .actual_access:  read_only
        .address_space:  global
        .offset:         32
        .size:           8
        .value_kind:     global_buffer
      - .actual_access:  read_only
        .address_space:  global
        .offset:         40
        .size:           8
        .value_kind:     global_buffer
      - .actual_access:  read_only
        .address_space:  global
        .offset:         48
        .size:           8
        .value_kind:     global_buffer
      - .offset:         56
        .size:           4
        .value_kind:     by_value
      - .actual_access:  read_only
        .address_space:  global
        .offset:         64
        .size:           8
        .value_kind:     global_buffer
      - .offset:         72
        .size:           4
        .value_kind:     by_value
      - .offset:         76
        .size:           4
        .value_kind:     by_value
      - .offset:         80
        .size:           4
        .value_kind:     by_value
      - .actual_access:  write_only
        .address_space:  global
        .offset:         88
        .size:           8
        .value_kind:     global_buffer
      - .actual_access:  write_only
        .address_space:  global
        .offset:         96
        .size:           8
        .value_kind:     global_buffer
      - .actual_access:  write_only
        .address_space:  global
        .offset:         104
        .size:           8
        .value_kind:     global_buffer
      - .actual_access:  read_only
        .address_space:  global
        .offset:         112
        .size:           8
        .value_kind:     global_buffer
      - .offset:         120
        .size:           4
        .value_kind:     by_value
      - .address_space:  global
        .offset:         128
        .size:           8
        .value_kind:     global_buffer
      - .address_space:  global
        .offset:         136
        .size:           8
        .value_kind:     global_buffer
      - .offset:         144
        .size:           4
        .value_kind:     hidden_block_count_x
      - .offset:         148
        .size:           4
        .value_kind:     hidden_block_count_y
      - .offset:         152
        .size:           4
        .value_kind:     hidden_block_count_z
      - .offset:         156
        .size:           2
        .value_kind:     hidden_group_size_x
      - .offset:         158
        .size:           2
        .value_kind:     hidden_group_size_y
      - .offset:         160
        .size:           2
        .value_kind:     hidden_group_size_z
      - .offset:         162
        .size:           2
        .value_kind:     hidden_remainder_x
      - .offset:         164
        .size:           2
        .value_kind:     hidden_remainder_y
      - .offset:         166
        .size:           2
        .value_kind:     hidden_remainder_z
      - .offset:         184
        .size:           8
        .value_kind:     hidden_global_offset_x
      - .offset:         192
        .size:           8
        .value_kind:     hidden_global_offset_y
      - .offset:         200
        .size:           8
        .value_kind:     hidden_global_offset_z
      - .offset:         208
        .size:           2
        .value_kind:     hidden_grid_dims
    .group_segment_fixed_size: 8192
    .kernarg_segment_align: 8
    .kernarg_segment_size: 400
    .language:       OpenCL C
    .language_version:
      - 2
      - 0
    .max_flat_workgroup_size: 256
    .name:           _Z39paged_attention_ll4mi_QKV_mfma16_kernelI14__hip_bfloat16S0_LN4vllm18Fp8KVCacheDataTypeE0EhLi16ELi128ELi256ELb0ELi5EEvPKT_PKT0_S8_ifPKiSA_SA_iPKfiiiPfSD_PS3_PT2_iSC_SC_
    .private_segment_fixed_size: 0
    .sgpr_count:     48
    .sgpr_spill_count: 0
    .symbol:         _Z39paged_attention_ll4mi_QKV_mfma16_kernelI14__hip_bfloat16S0_LN4vllm18Fp8KVCacheDataTypeE0EhLi16ELi128ELi256ELb0ELi5EEvPKT_PKT0_S8_ifPKiSA_SA_iPKfiiiPfSD_PS3_PT2_iSC_SC_.kd
    .uniform_work_group_size: 1
    .uses_dynamic_stack: false
    .vgpr_count:     96
    .vgpr_spill_count: 0
    .wavefront_size: 64
  - .agpr_count:     0
    .args:
      - .actual_access:  read_only
        .address_space:  global
        .offset:         0
        .size:           8
        .value_kind:     global_buffer
      - .actual_access:  read_only
        .address_space:  global
        .offset:         8
        .size:           8
        .value_kind:     global_buffer
      - .actual_access:  read_only
        .address_space:  global
        .offset:         16
        .size:           8
        .value_kind:     global_buffer
      - .offset:         24
        .size:           4
        .value_kind:     by_value
      - .offset:         28
        .size:           4
        .value_kind:     by_value
      - .actual_access:  read_only
        .address_space:  global
        .offset:         32
        .size:           8
        .value_kind:     global_buffer
      - .actual_access:  read_only
        .address_space:  global
        .offset:         40
        .size:           8
        .value_kind:     global_buffer
      - .actual_access:  read_only
        .address_space:  global
        .offset:         48
        .size:           8
        .value_kind:     global_buffer
      - .offset:         56
        .size:           4
        .value_kind:     by_value
      - .actual_access:  read_only
        .address_space:  global
        .offset:         64
        .size:           8
        .value_kind:     global_buffer
      - .offset:         72
        .size:           4
        .value_kind:     by_value
      - .offset:         76
        .size:           4
        .value_kind:     by_value
      - .offset:         80
        .size:           4
        .value_kind:     by_value
      - .actual_access:  write_only
        .address_space:  global
        .offset:         88
        .size:           8
        .value_kind:     global_buffer
      - .actual_access:  write_only
        .address_space:  global
        .offset:         96
        .size:           8
        .value_kind:     global_buffer
      - .actual_access:  write_only
        .address_space:  global
        .offset:         104
        .size:           8
        .value_kind:     global_buffer
      - .actual_access:  read_only
        .address_space:  global
        .offset:         112
        .size:           8
        .value_kind:     global_buffer
      - .offset:         120
        .size:           4
        .value_kind:     by_value
      - .address_space:  global
        .offset:         128
        .size:           8
        .value_kind:     global_buffer
      - .address_space:  global
        .offset:         136
        .size:           8
        .value_kind:     global_buffer
      - .offset:         144
        .size:           4
        .value_kind:     hidden_block_count_x
      - .offset:         148
        .size:           4
        .value_kind:     hidden_block_count_y
      - .offset:         152
        .size:           4
        .value_kind:     hidden_block_count_z
      - .offset:         156
        .size:           2
        .value_kind:     hidden_group_size_x
      - .offset:         158
        .size:           2
        .value_kind:     hidden_group_size_y
      - .offset:         160
        .size:           2
        .value_kind:     hidden_group_size_z
      - .offset:         162
        .size:           2
        .value_kind:     hidden_remainder_x
      - .offset:         164
        .size:           2
        .value_kind:     hidden_remainder_y
      - .offset:         166
        .size:           2
        .value_kind:     hidden_remainder_z
      - .offset:         184
        .size:           8
        .value_kind:     hidden_global_offset_x
      - .offset:         192
        .size:           8
        .value_kind:     hidden_global_offset_y
      - .offset:         200
        .size:           8
        .value_kind:     hidden_global_offset_z
      - .offset:         208
        .size:           2
        .value_kind:     hidden_grid_dims
    .group_segment_fixed_size: 8192
    .kernarg_segment_align: 8
    .kernarg_segment_size: 400
    .language:       OpenCL C
    .language_version:
      - 2
      - 0
    .max_flat_workgroup_size: 256
    .name:           _Z39paged_attention_ll4mi_QKV_mfma16_kernelI14__hip_bfloat16S0_LN4vllm18Fp8KVCacheDataTypeE0EhLi16ELi128ELi256ELb0ELi6EEvPKT_PKT0_S8_ifPKiSA_SA_iPKfiiiPfSD_PS3_PT2_iSC_SC_
    .private_segment_fixed_size: 12
    .sgpr_count:     48
    .sgpr_spill_count: 0
    .symbol:         _Z39paged_attention_ll4mi_QKV_mfma16_kernelI14__hip_bfloat16S0_LN4vllm18Fp8KVCacheDataTypeE0EhLi16ELi128ELi256ELb0ELi6EEvPKT_PKT0_S8_ifPKiSA_SA_iPKfiiiPfSD_PS3_PT2_iSC_SC_.kd
    .uniform_work_group_size: 1
    .uses_dynamic_stack: false
    .vgpr_count:     96
    .vgpr_spill_count: 4
    .wavefront_size: 64
  - .agpr_count:     0
    .args:
      - .actual_access:  read_only
        .address_space:  global
        .offset:         0
        .size:           8
        .value_kind:     global_buffer
      - .actual_access:  read_only
        .address_space:  global
        .offset:         8
        .size:           8
        .value_kind:     global_buffer
      - .actual_access:  read_only
        .address_space:  global
        .offset:         16
        .size:           8
        .value_kind:     global_buffer
      - .offset:         24
        .size:           4
        .value_kind:     by_value
      - .offset:         28
        .size:           4
        .value_kind:     by_value
      - .actual_access:  read_only
        .address_space:  global
        .offset:         32
        .size:           8
        .value_kind:     global_buffer
      - .actual_access:  read_only
        .address_space:  global
        .offset:         40
        .size:           8
        .value_kind:     global_buffer
      - .actual_access:  read_only
        .address_space:  global
        .offset:         48
        .size:           8
        .value_kind:     global_buffer
      - .offset:         56
        .size:           4
        .value_kind:     by_value
      - .actual_access:  read_only
        .address_space:  global
        .offset:         64
        .size:           8
        .value_kind:     global_buffer
      - .offset:         72
        .size:           4
        .value_kind:     by_value
      - .offset:         76
        .size:           4
        .value_kind:     by_value
      - .offset:         80
        .size:           4
        .value_kind:     by_value
      - .actual_access:  write_only
        .address_space:  global
        .offset:         88
        .size:           8
        .value_kind:     global_buffer
      - .actual_access:  write_only
        .address_space:  global
        .offset:         96
        .size:           8
        .value_kind:     global_buffer
      - .actual_access:  write_only
        .address_space:  global
        .offset:         104
        .size:           8
        .value_kind:     global_buffer
      - .actual_access:  read_only
        .address_space:  global
        .offset:         112
        .size:           8
        .value_kind:     global_buffer
      - .offset:         120
        .size:           4
        .value_kind:     by_value
      - .address_space:  global
        .offset:         128
        .size:           8
        .value_kind:     global_buffer
      - .address_space:  global
        .offset:         136
        .size:           8
        .value_kind:     global_buffer
      - .offset:         144
        .size:           4
        .value_kind:     hidden_block_count_x
      - .offset:         148
        .size:           4
        .value_kind:     hidden_block_count_y
      - .offset:         152
        .size:           4
        .value_kind:     hidden_block_count_z
      - .offset:         156
        .size:           2
        .value_kind:     hidden_group_size_x
      - .offset:         158
        .size:           2
        .value_kind:     hidden_group_size_y
      - .offset:         160
        .size:           2
        .value_kind:     hidden_group_size_z
      - .offset:         162
        .size:           2
        .value_kind:     hidden_remainder_x
      - .offset:         164
        .size:           2
        .value_kind:     hidden_remainder_y
      - .offset:         166
        .size:           2
        .value_kind:     hidden_remainder_z
      - .offset:         184
        .size:           8
        .value_kind:     hidden_global_offset_x
      - .offset:         192
        .size:           8
        .value_kind:     hidden_global_offset_y
      - .offset:         200
        .size:           8
        .value_kind:     hidden_global_offset_z
      - .offset:         208
        .size:           2
        .value_kind:     hidden_grid_dims
    .group_segment_fixed_size: 8192
    .kernarg_segment_align: 8
    .kernarg_segment_size: 400
    .language:       OpenCL C
    .language_version:
      - 2
      - 0
    .max_flat_workgroup_size: 256
    .name:           _Z39paged_attention_ll4mi_QKV_mfma16_kernelI14__hip_bfloat16S0_LN4vllm18Fp8KVCacheDataTypeE0EhLi16ELi128ELi256ELb0ELi7EEvPKT_PKT0_S8_ifPKiSA_SA_iPKfiiiPfSD_PS3_PT2_iSC_SC_
    .private_segment_fixed_size: 12
    .sgpr_count:     48
    .sgpr_spill_count: 0
    .symbol:         _Z39paged_attention_ll4mi_QKV_mfma16_kernelI14__hip_bfloat16S0_LN4vllm18Fp8KVCacheDataTypeE0EhLi16ELi128ELi256ELb0ELi7EEvPKT_PKT0_S8_ifPKiSA_SA_iPKfiiiPfSD_PS3_PT2_iSC_SC_.kd
    .uniform_work_group_size: 1
    .uses_dynamic_stack: false
    .vgpr_count:     96
    .vgpr_spill_count: 4
    .wavefront_size: 64
  - .agpr_count:     0
    .args:
      - .actual_access:  read_only
        .address_space:  global
        .offset:         0
        .size:           8
        .value_kind:     global_buffer
      - .actual_access:  read_only
        .address_space:  global
        .offset:         8
        .size:           8
        .value_kind:     global_buffer
      - .actual_access:  read_only
        .address_space:  global
        .offset:         16
        .size:           8
        .value_kind:     global_buffer
      - .offset:         24
        .size:           4
        .value_kind:     by_value
      - .offset:         28
        .size:           4
        .value_kind:     by_value
      - .actual_access:  read_only
        .address_space:  global
        .offset:         32
        .size:           8
        .value_kind:     global_buffer
      - .actual_access:  read_only
        .address_space:  global
        .offset:         40
        .size:           8
        .value_kind:     global_buffer
      - .actual_access:  read_only
        .address_space:  global
        .offset:         48
        .size:           8
        .value_kind:     global_buffer
      - .offset:         56
        .size:           4
        .value_kind:     by_value
      - .actual_access:  read_only
        .address_space:  global
        .offset:         64
        .size:           8
        .value_kind:     global_buffer
      - .offset:         72
        .size:           4
        .value_kind:     by_value
      - .offset:         76
        .size:           4
        .value_kind:     by_value
      - .offset:         80
        .size:           4
        .value_kind:     by_value
      - .actual_access:  write_only
        .address_space:  global
        .offset:         88
        .size:           8
        .value_kind:     global_buffer
      - .actual_access:  write_only
        .address_space:  global
        .offset:         96
        .size:           8
        .value_kind:     global_buffer
      - .actual_access:  write_only
        .address_space:  global
        .offset:         104
        .size:           8
        .value_kind:     global_buffer
      - .actual_access:  read_only
        .address_space:  global
        .offset:         112
        .size:           8
        .value_kind:     global_buffer
      - .offset:         120
        .size:           4
        .value_kind:     by_value
      - .address_space:  global
        .offset:         128
        .size:           8
        .value_kind:     global_buffer
      - .address_space:  global
        .offset:         136
        .size:           8
        .value_kind:     global_buffer
      - .offset:         144
        .size:           4
        .value_kind:     hidden_block_count_x
      - .offset:         148
        .size:           4
        .value_kind:     hidden_block_count_y
      - .offset:         152
        .size:           4
        .value_kind:     hidden_block_count_z
      - .offset:         156
        .size:           2
        .value_kind:     hidden_group_size_x
      - .offset:         158
        .size:           2
        .value_kind:     hidden_group_size_y
      - .offset:         160
        .size:           2
        .value_kind:     hidden_group_size_z
      - .offset:         162
        .size:           2
        .value_kind:     hidden_remainder_x
      - .offset:         164
        .size:           2
        .value_kind:     hidden_remainder_y
      - .offset:         166
        .size:           2
        .value_kind:     hidden_remainder_z
      - .offset:         184
        .size:           8
        .value_kind:     hidden_global_offset_x
      - .offset:         192
        .size:           8
        .value_kind:     hidden_global_offset_y
      - .offset:         200
        .size:           8
        .value_kind:     hidden_global_offset_z
      - .offset:         208
        .size:           2
        .value_kind:     hidden_grid_dims
    .group_segment_fixed_size: 8192
    .kernarg_segment_align: 8
    .kernarg_segment_size: 400
    .language:       OpenCL C
    .language_version:
      - 2
      - 0
    .max_flat_workgroup_size: 256
    .name:           _Z39paged_attention_ll4mi_QKV_mfma16_kernelI14__hip_bfloat16S0_LN4vllm18Fp8KVCacheDataTypeE0EhLi16ELi128ELi256ELb0ELi8EEvPKT_PKT0_S8_ifPKiSA_SA_iPKfiiiPfSD_PS3_PT2_iSC_SC_
    .private_segment_fixed_size: 0
    .sgpr_count:     47
    .sgpr_spill_count: 0
    .symbol:         _Z39paged_attention_ll4mi_QKV_mfma16_kernelI14__hip_bfloat16S0_LN4vllm18Fp8KVCacheDataTypeE0EhLi16ELi128ELi256ELb0ELi8EEvPKT_PKT0_S8_ifPKiSA_SA_iPKfiiiPfSD_PS3_PT2_iSC_SC_.kd
    .uniform_work_group_size: 1
    .uses_dynamic_stack: false
    .vgpr_count:     96
    .vgpr_spill_count: 0
    .wavefront_size: 64
  - .agpr_count:     0
    .args:
      - .actual_access:  read_only
        .address_space:  global
        .offset:         0
        .size:           8
        .value_kind:     global_buffer
      - .actual_access:  read_only
        .address_space:  global
        .offset:         8
        .size:           8
        .value_kind:     global_buffer
      - .actual_access:  read_only
        .address_space:  global
        .offset:         16
        .size:           8
        .value_kind:     global_buffer
      - .offset:         24
        .size:           4
        .value_kind:     by_value
      - .offset:         28
        .size:           4
        .value_kind:     by_value
      - .actual_access:  read_only
        .address_space:  global
        .offset:         32
        .size:           8
        .value_kind:     global_buffer
      - .actual_access:  read_only
        .address_space:  global
        .offset:         40
        .size:           8
        .value_kind:     global_buffer
      - .actual_access:  read_only
        .address_space:  global
        .offset:         48
        .size:           8
        .value_kind:     global_buffer
      - .offset:         56
        .size:           4
        .value_kind:     by_value
      - .actual_access:  read_only
        .address_space:  global
        .offset:         64
        .size:           8
        .value_kind:     global_buffer
      - .offset:         72
        .size:           4
        .value_kind:     by_value
      - .offset:         76
        .size:           4
        .value_kind:     by_value
      - .offset:         80
        .size:           4
        .value_kind:     by_value
      - .actual_access:  write_only
        .address_space:  global
        .offset:         88
        .size:           8
        .value_kind:     global_buffer
      - .actual_access:  write_only
        .address_space:  global
        .offset:         96
        .size:           8
        .value_kind:     global_buffer
      - .actual_access:  write_only
        .address_space:  global
        .offset:         104
        .size:           8
        .value_kind:     global_buffer
      - .actual_access:  read_only
        .address_space:  global
        .offset:         112
        .size:           8
        .value_kind:     global_buffer
      - .offset:         120
        .size:           4
        .value_kind:     by_value
      - .address_space:  global
        .offset:         128
        .size:           8
        .value_kind:     global_buffer
      - .address_space:  global
        .offset:         136
        .size:           8
        .value_kind:     global_buffer
      - .offset:         144
        .size:           4
        .value_kind:     hidden_block_count_x
      - .offset:         148
        .size:           4
        .value_kind:     hidden_block_count_y
      - .offset:         152
        .size:           4
        .value_kind:     hidden_block_count_z
      - .offset:         156
        .size:           2
        .value_kind:     hidden_group_size_x
      - .offset:         158
        .size:           2
        .value_kind:     hidden_group_size_y
      - .offset:         160
        .size:           2
        .value_kind:     hidden_group_size_z
      - .offset:         162
        .size:           2
        .value_kind:     hidden_remainder_x
      - .offset:         164
        .size:           2
        .value_kind:     hidden_remainder_y
      - .offset:         166
        .size:           2
        .value_kind:     hidden_remainder_z
      - .offset:         184
        .size:           8
        .value_kind:     hidden_global_offset_x
      - .offset:         192
        .size:           8
        .value_kind:     hidden_global_offset_y
      - .offset:         200
        .size:           8
        .value_kind:     hidden_global_offset_z
      - .offset:         208
        .size:           2
        .value_kind:     hidden_grid_dims
    .group_segment_fixed_size: 8192
    .kernarg_segment_align: 8
    .kernarg_segment_size: 400
    .language:       OpenCL C
    .language_version:
      - 2
      - 0
    .max_flat_workgroup_size: 256
    .name:           _Z39paged_attention_ll4mi_QKV_mfma16_kernelI14__hip_bfloat16S0_LN4vllm18Fp8KVCacheDataTypeE0EhLi16ELi128ELi256ELb0ELi9EEvPKT_PKT0_S8_ifPKiSA_SA_iPKfiiiPfSD_PS3_PT2_iSC_SC_
    .private_segment_fixed_size: 0
    .sgpr_count:     48
    .sgpr_spill_count: 0
    .symbol:         _Z39paged_attention_ll4mi_QKV_mfma16_kernelI14__hip_bfloat16S0_LN4vllm18Fp8KVCacheDataTypeE0EhLi16ELi128ELi256ELb0ELi9EEvPKT_PKT0_S8_ifPKiSA_SA_iPKfiiiPfSD_PS3_PT2_iSC_SC_.kd
    .uniform_work_group_size: 1
    .uses_dynamic_stack: false
    .vgpr_count:     96
    .vgpr_spill_count: 0
    .wavefront_size: 64
  - .agpr_count:     0
    .args:
      - .actual_access:  read_only
        .address_space:  global
        .offset:         0
        .size:           8
        .value_kind:     global_buffer
      - .actual_access:  read_only
        .address_space:  global
        .offset:         8
        .size:           8
        .value_kind:     global_buffer
      - .actual_access:  read_only
        .address_space:  global
        .offset:         16
        .size:           8
        .value_kind:     global_buffer
      - .offset:         24
        .size:           4
        .value_kind:     by_value
      - .offset:         28
        .size:           4
        .value_kind:     by_value
      - .actual_access:  read_only
        .address_space:  global
        .offset:         32
        .size:           8
        .value_kind:     global_buffer
      - .actual_access:  read_only
        .address_space:  global
        .offset:         40
        .size:           8
        .value_kind:     global_buffer
      - .actual_access:  read_only
        .address_space:  global
        .offset:         48
        .size:           8
        .value_kind:     global_buffer
      - .offset:         56
        .size:           4
        .value_kind:     by_value
      - .actual_access:  read_only
        .address_space:  global
        .offset:         64
        .size:           8
        .value_kind:     global_buffer
      - .offset:         72
        .size:           4
        .value_kind:     by_value
      - .offset:         76
        .size:           4
        .value_kind:     by_value
      - .offset:         80
        .size:           4
        .value_kind:     by_value
      - .actual_access:  write_only
        .address_space:  global
        .offset:         88
        .size:           8
        .value_kind:     global_buffer
      - .actual_access:  write_only
        .address_space:  global
        .offset:         96
        .size:           8
        .value_kind:     global_buffer
      - .actual_access:  write_only
        .address_space:  global
        .offset:         104
        .size:           8
        .value_kind:     global_buffer
      - .actual_access:  read_only
        .address_space:  global
        .offset:         112
        .size:           8
        .value_kind:     global_buffer
      - .offset:         120
        .size:           4
        .value_kind:     by_value
      - .address_space:  global
        .offset:         128
        .size:           8
        .value_kind:     global_buffer
      - .address_space:  global
        .offset:         136
        .size:           8
        .value_kind:     global_buffer
      - .offset:         144
        .size:           4
        .value_kind:     hidden_block_count_x
      - .offset:         148
        .size:           4
        .value_kind:     hidden_block_count_y
      - .offset:         152
        .size:           4
        .value_kind:     hidden_block_count_z
      - .offset:         156
        .size:           2
        .value_kind:     hidden_group_size_x
      - .offset:         158
        .size:           2
        .value_kind:     hidden_group_size_y
      - .offset:         160
        .size:           2
        .value_kind:     hidden_group_size_z
      - .offset:         162
        .size:           2
        .value_kind:     hidden_remainder_x
      - .offset:         164
        .size:           2
        .value_kind:     hidden_remainder_y
      - .offset:         166
        .size:           2
        .value_kind:     hidden_remainder_z
      - .offset:         184
        .size:           8
        .value_kind:     hidden_global_offset_x
      - .offset:         192
        .size:           8
        .value_kind:     hidden_global_offset_y
      - .offset:         200
        .size:           8
        .value_kind:     hidden_global_offset_z
      - .offset:         208
        .size:           2
        .value_kind:     hidden_grid_dims
    .group_segment_fixed_size: 8192
    .kernarg_segment_align: 8
    .kernarg_segment_size: 400
    .language:       OpenCL C
    .language_version:
      - 2
      - 0
    .max_flat_workgroup_size: 256
    .name:           _Z39paged_attention_ll4mi_QKV_mfma16_kernelI14__hip_bfloat16S0_LN4vllm18Fp8KVCacheDataTypeE0EhLi16ELi128ELi256ELb0ELi10EEvPKT_PKT0_S8_ifPKiSA_SA_iPKfiiiPfSD_PS3_PT2_iSC_SC_
    .private_segment_fixed_size: 0
    .sgpr_count:     48
    .sgpr_spill_count: 0
    .symbol:         _Z39paged_attention_ll4mi_QKV_mfma16_kernelI14__hip_bfloat16S0_LN4vllm18Fp8KVCacheDataTypeE0EhLi16ELi128ELi256ELb0ELi10EEvPKT_PKT0_S8_ifPKiSA_SA_iPKfiiiPfSD_PS3_PT2_iSC_SC_.kd
    .uniform_work_group_size: 1
    .uses_dynamic_stack: false
    .vgpr_count:     96
    .vgpr_spill_count: 0
    .wavefront_size: 64
  - .agpr_count:     0
    .args:
      - .actual_access:  read_only
        .address_space:  global
        .offset:         0
        .size:           8
        .value_kind:     global_buffer
      - .actual_access:  read_only
        .address_space:  global
        .offset:         8
        .size:           8
        .value_kind:     global_buffer
      - .actual_access:  read_only
        .address_space:  global
        .offset:         16
        .size:           8
        .value_kind:     global_buffer
      - .offset:         24
        .size:           4
        .value_kind:     by_value
      - .offset:         28
        .size:           4
        .value_kind:     by_value
      - .actual_access:  read_only
        .address_space:  global
        .offset:         32
        .size:           8
        .value_kind:     global_buffer
      - .actual_access:  read_only
        .address_space:  global
        .offset:         40
        .size:           8
        .value_kind:     global_buffer
      - .actual_access:  read_only
        .address_space:  global
        .offset:         48
        .size:           8
        .value_kind:     global_buffer
      - .offset:         56
        .size:           4
        .value_kind:     by_value
      - .actual_access:  read_only
        .address_space:  global
        .offset:         64
        .size:           8
        .value_kind:     global_buffer
      - .offset:         72
        .size:           4
        .value_kind:     by_value
      - .offset:         76
        .size:           4
        .value_kind:     by_value
      - .offset:         80
        .size:           4
        .value_kind:     by_value
      - .actual_access:  write_only
        .address_space:  global
        .offset:         88
        .size:           8
        .value_kind:     global_buffer
      - .actual_access:  write_only
        .address_space:  global
        .offset:         96
        .size:           8
        .value_kind:     global_buffer
      - .actual_access:  write_only
        .address_space:  global
        .offset:         104
        .size:           8
        .value_kind:     global_buffer
      - .actual_access:  read_only
        .address_space:  global
        .offset:         112
        .size:           8
        .value_kind:     global_buffer
      - .offset:         120
        .size:           4
        .value_kind:     by_value
      - .address_space:  global
        .offset:         128
        .size:           8
        .value_kind:     global_buffer
      - .address_space:  global
        .offset:         136
        .size:           8
        .value_kind:     global_buffer
      - .offset:         144
        .size:           4
        .value_kind:     hidden_block_count_x
      - .offset:         148
        .size:           4
        .value_kind:     hidden_block_count_y
      - .offset:         152
        .size:           4
        .value_kind:     hidden_block_count_z
      - .offset:         156
        .size:           2
        .value_kind:     hidden_group_size_x
      - .offset:         158
        .size:           2
        .value_kind:     hidden_group_size_y
      - .offset:         160
        .size:           2
        .value_kind:     hidden_group_size_z
      - .offset:         162
        .size:           2
        .value_kind:     hidden_remainder_x
      - .offset:         164
        .size:           2
        .value_kind:     hidden_remainder_y
      - .offset:         166
        .size:           2
        .value_kind:     hidden_remainder_z
      - .offset:         184
        .size:           8
        .value_kind:     hidden_global_offset_x
      - .offset:         192
        .size:           8
        .value_kind:     hidden_global_offset_y
      - .offset:         200
        .size:           8
        .value_kind:     hidden_global_offset_z
      - .offset:         208
        .size:           2
        .value_kind:     hidden_grid_dims
    .group_segment_fixed_size: 8192
    .kernarg_segment_align: 8
    .kernarg_segment_size: 400
    .language:       OpenCL C
    .language_version:
      - 2
      - 0
    .max_flat_workgroup_size: 256
    .name:           _Z39paged_attention_ll4mi_QKV_mfma16_kernelI14__hip_bfloat16S0_LN4vllm18Fp8KVCacheDataTypeE0EhLi16ELi128ELi256ELb0ELi11EEvPKT_PKT0_S8_ifPKiSA_SA_iPKfiiiPfSD_PS3_PT2_iSC_SC_
    .private_segment_fixed_size: 0
    .sgpr_count:     48
    .sgpr_spill_count: 0
    .symbol:         _Z39paged_attention_ll4mi_QKV_mfma16_kernelI14__hip_bfloat16S0_LN4vllm18Fp8KVCacheDataTypeE0EhLi16ELi128ELi256ELb0ELi11EEvPKT_PKT0_S8_ifPKiSA_SA_iPKfiiiPfSD_PS3_PT2_iSC_SC_.kd
    .uniform_work_group_size: 1
    .uses_dynamic_stack: false
    .vgpr_count:     96
    .vgpr_spill_count: 0
    .wavefront_size: 64
  - .agpr_count:     0
    .args:
      - .actual_access:  read_only
        .address_space:  global
        .offset:         0
        .size:           8
        .value_kind:     global_buffer
      - .actual_access:  read_only
        .address_space:  global
        .offset:         8
        .size:           8
        .value_kind:     global_buffer
      - .actual_access:  read_only
        .address_space:  global
        .offset:         16
        .size:           8
        .value_kind:     global_buffer
      - .offset:         24
        .size:           4
        .value_kind:     by_value
      - .offset:         28
        .size:           4
        .value_kind:     by_value
      - .actual_access:  read_only
        .address_space:  global
        .offset:         32
        .size:           8
        .value_kind:     global_buffer
      - .actual_access:  read_only
        .address_space:  global
        .offset:         40
        .size:           8
        .value_kind:     global_buffer
      - .actual_access:  read_only
        .address_space:  global
        .offset:         48
        .size:           8
        .value_kind:     global_buffer
      - .offset:         56
        .size:           4
        .value_kind:     by_value
      - .actual_access:  read_only
        .address_space:  global
        .offset:         64
        .size:           8
        .value_kind:     global_buffer
      - .offset:         72
        .size:           4
        .value_kind:     by_value
      - .offset:         76
        .size:           4
        .value_kind:     by_value
      - .offset:         80
        .size:           4
        .value_kind:     by_value
      - .actual_access:  write_only
        .address_space:  global
        .offset:         88
        .size:           8
        .value_kind:     global_buffer
      - .actual_access:  write_only
        .address_space:  global
        .offset:         96
        .size:           8
        .value_kind:     global_buffer
      - .actual_access:  write_only
        .address_space:  global
        .offset:         104
        .size:           8
        .value_kind:     global_buffer
      - .actual_access:  read_only
        .address_space:  global
        .offset:         112
        .size:           8
        .value_kind:     global_buffer
      - .offset:         120
        .size:           4
        .value_kind:     by_value
      - .address_space:  global
        .offset:         128
        .size:           8
        .value_kind:     global_buffer
      - .address_space:  global
        .offset:         136
        .size:           8
        .value_kind:     global_buffer
      - .offset:         144
        .size:           4
        .value_kind:     hidden_block_count_x
      - .offset:         148
        .size:           4
        .value_kind:     hidden_block_count_y
      - .offset:         152
        .size:           4
        .value_kind:     hidden_block_count_z
      - .offset:         156
        .size:           2
        .value_kind:     hidden_group_size_x
      - .offset:         158
        .size:           2
        .value_kind:     hidden_group_size_y
      - .offset:         160
        .size:           2
        .value_kind:     hidden_group_size_z
      - .offset:         162
        .size:           2
        .value_kind:     hidden_remainder_x
      - .offset:         164
        .size:           2
        .value_kind:     hidden_remainder_y
      - .offset:         166
        .size:           2
        .value_kind:     hidden_remainder_z
      - .offset:         184
        .size:           8
        .value_kind:     hidden_global_offset_x
      - .offset:         192
        .size:           8
        .value_kind:     hidden_global_offset_y
      - .offset:         200
        .size:           8
        .value_kind:     hidden_global_offset_z
      - .offset:         208
        .size:           2
        .value_kind:     hidden_grid_dims
    .group_segment_fixed_size: 8192
    .kernarg_segment_align: 8
    .kernarg_segment_size: 400
    .language:       OpenCL C
    .language_version:
      - 2
      - 0
    .max_flat_workgroup_size: 256
    .name:           _Z39paged_attention_ll4mi_QKV_mfma16_kernelI14__hip_bfloat16S0_LN4vllm18Fp8KVCacheDataTypeE0EhLi16ELi128ELi256ELb0ELi12EEvPKT_PKT0_S8_ifPKiSA_SA_iPKfiiiPfSD_PS3_PT2_iSC_SC_
    .private_segment_fixed_size: 12
    .sgpr_count:     48
    .sgpr_spill_count: 0
    .symbol:         _Z39paged_attention_ll4mi_QKV_mfma16_kernelI14__hip_bfloat16S0_LN4vllm18Fp8KVCacheDataTypeE0EhLi16ELi128ELi256ELb0ELi12EEvPKT_PKT0_S8_ifPKiSA_SA_iPKfiiiPfSD_PS3_PT2_iSC_SC_.kd
    .uniform_work_group_size: 1
    .uses_dynamic_stack: false
    .vgpr_count:     96
    .vgpr_spill_count: 4
    .wavefront_size: 64
  - .agpr_count:     0
    .args:
      - .actual_access:  read_only
        .address_space:  global
        .offset:         0
        .size:           8
        .value_kind:     global_buffer
      - .actual_access:  read_only
        .address_space:  global
        .offset:         8
        .size:           8
        .value_kind:     global_buffer
      - .actual_access:  read_only
        .address_space:  global
        .offset:         16
        .size:           8
        .value_kind:     global_buffer
      - .offset:         24
        .size:           4
        .value_kind:     by_value
      - .offset:         28
        .size:           4
        .value_kind:     by_value
      - .actual_access:  read_only
        .address_space:  global
        .offset:         32
        .size:           8
        .value_kind:     global_buffer
      - .actual_access:  read_only
        .address_space:  global
        .offset:         40
        .size:           8
        .value_kind:     global_buffer
      - .actual_access:  read_only
        .address_space:  global
        .offset:         48
        .size:           8
        .value_kind:     global_buffer
      - .offset:         56
        .size:           4
        .value_kind:     by_value
      - .actual_access:  read_only
        .address_space:  global
        .offset:         64
        .size:           8
        .value_kind:     global_buffer
      - .offset:         72
        .size:           4
        .value_kind:     by_value
      - .offset:         76
        .size:           4
        .value_kind:     by_value
      - .offset:         80
        .size:           4
        .value_kind:     by_value
      - .actual_access:  write_only
        .address_space:  global
        .offset:         88
        .size:           8
        .value_kind:     global_buffer
      - .actual_access:  write_only
        .address_space:  global
        .offset:         96
        .size:           8
        .value_kind:     global_buffer
      - .actual_access:  write_only
        .address_space:  global
        .offset:         104
        .size:           8
        .value_kind:     global_buffer
      - .actual_access:  read_only
        .address_space:  global
        .offset:         112
        .size:           8
        .value_kind:     global_buffer
      - .offset:         120
        .size:           4
        .value_kind:     by_value
      - .address_space:  global
        .offset:         128
        .size:           8
        .value_kind:     global_buffer
      - .address_space:  global
        .offset:         136
        .size:           8
        .value_kind:     global_buffer
      - .offset:         144
        .size:           4
        .value_kind:     hidden_block_count_x
      - .offset:         148
        .size:           4
        .value_kind:     hidden_block_count_y
      - .offset:         152
        .size:           4
        .value_kind:     hidden_block_count_z
      - .offset:         156
        .size:           2
        .value_kind:     hidden_group_size_x
      - .offset:         158
        .size:           2
        .value_kind:     hidden_group_size_y
      - .offset:         160
        .size:           2
        .value_kind:     hidden_group_size_z
      - .offset:         162
        .size:           2
        .value_kind:     hidden_remainder_x
      - .offset:         164
        .size:           2
        .value_kind:     hidden_remainder_y
      - .offset:         166
        .size:           2
        .value_kind:     hidden_remainder_z
      - .offset:         184
        .size:           8
        .value_kind:     hidden_global_offset_x
      - .offset:         192
        .size:           8
        .value_kind:     hidden_global_offset_y
      - .offset:         200
        .size:           8
        .value_kind:     hidden_global_offset_z
      - .offset:         208
        .size:           2
        .value_kind:     hidden_grid_dims
    .group_segment_fixed_size: 8192
    .kernarg_segment_align: 8
    .kernarg_segment_size: 400
    .language:       OpenCL C
    .language_version:
      - 2
      - 0
    .max_flat_workgroup_size: 256
    .name:           _Z39paged_attention_ll4mi_QKV_mfma16_kernelI14__hip_bfloat16S0_LN4vllm18Fp8KVCacheDataTypeE0EhLi16ELi128ELi256ELb0ELi13EEvPKT_PKT0_S8_ifPKiSA_SA_iPKfiiiPfSD_PS3_PT2_iSC_SC_
    .private_segment_fixed_size: 0
    .sgpr_count:     48
    .sgpr_spill_count: 0
    .symbol:         _Z39paged_attention_ll4mi_QKV_mfma16_kernelI14__hip_bfloat16S0_LN4vllm18Fp8KVCacheDataTypeE0EhLi16ELi128ELi256ELb0ELi13EEvPKT_PKT0_S8_ifPKiSA_SA_iPKfiiiPfSD_PS3_PT2_iSC_SC_.kd
    .uniform_work_group_size: 1
    .uses_dynamic_stack: false
    .vgpr_count:     96
    .vgpr_spill_count: 0
    .wavefront_size: 64
  - .agpr_count:     0
    .args:
      - .actual_access:  read_only
        .address_space:  global
        .offset:         0
        .size:           8
        .value_kind:     global_buffer
      - .actual_access:  read_only
        .address_space:  global
        .offset:         8
        .size:           8
        .value_kind:     global_buffer
      - .actual_access:  read_only
        .address_space:  global
        .offset:         16
        .size:           8
        .value_kind:     global_buffer
      - .offset:         24
        .size:           4
        .value_kind:     by_value
      - .offset:         28
        .size:           4
        .value_kind:     by_value
      - .actual_access:  read_only
        .address_space:  global
        .offset:         32
        .size:           8
        .value_kind:     global_buffer
      - .actual_access:  read_only
        .address_space:  global
        .offset:         40
        .size:           8
        .value_kind:     global_buffer
      - .actual_access:  read_only
        .address_space:  global
        .offset:         48
        .size:           8
        .value_kind:     global_buffer
      - .offset:         56
        .size:           4
        .value_kind:     by_value
      - .actual_access:  read_only
        .address_space:  global
        .offset:         64
        .size:           8
        .value_kind:     global_buffer
      - .offset:         72
        .size:           4
        .value_kind:     by_value
      - .offset:         76
        .size:           4
        .value_kind:     by_value
      - .offset:         80
        .size:           4
        .value_kind:     by_value
      - .actual_access:  write_only
        .address_space:  global
        .offset:         88
        .size:           8
        .value_kind:     global_buffer
      - .actual_access:  write_only
        .address_space:  global
        .offset:         96
        .size:           8
        .value_kind:     global_buffer
      - .actual_access:  write_only
        .address_space:  global
        .offset:         104
        .size:           8
        .value_kind:     global_buffer
      - .actual_access:  read_only
        .address_space:  global
        .offset:         112
        .size:           8
        .value_kind:     global_buffer
      - .offset:         120
        .size:           4
        .value_kind:     by_value
      - .address_space:  global
        .offset:         128
        .size:           8
        .value_kind:     global_buffer
      - .address_space:  global
        .offset:         136
        .size:           8
        .value_kind:     global_buffer
      - .offset:         144
        .size:           4
        .value_kind:     hidden_block_count_x
      - .offset:         148
        .size:           4
        .value_kind:     hidden_block_count_y
      - .offset:         152
        .size:           4
        .value_kind:     hidden_block_count_z
      - .offset:         156
        .size:           2
        .value_kind:     hidden_group_size_x
      - .offset:         158
        .size:           2
        .value_kind:     hidden_group_size_y
      - .offset:         160
        .size:           2
        .value_kind:     hidden_group_size_z
      - .offset:         162
        .size:           2
        .value_kind:     hidden_remainder_x
      - .offset:         164
        .size:           2
        .value_kind:     hidden_remainder_y
      - .offset:         166
        .size:           2
        .value_kind:     hidden_remainder_z
      - .offset:         184
        .size:           8
        .value_kind:     hidden_global_offset_x
      - .offset:         192
        .size:           8
        .value_kind:     hidden_global_offset_y
      - .offset:         200
        .size:           8
        .value_kind:     hidden_global_offset_z
      - .offset:         208
        .size:           2
        .value_kind:     hidden_grid_dims
    .group_segment_fixed_size: 8192
    .kernarg_segment_align: 8
    .kernarg_segment_size: 400
    .language:       OpenCL C
    .language_version:
      - 2
      - 0
    .max_flat_workgroup_size: 256
    .name:           _Z39paged_attention_ll4mi_QKV_mfma16_kernelI14__hip_bfloat16S0_LN4vllm18Fp8KVCacheDataTypeE0EhLi16ELi128ELi256ELb0ELi14EEvPKT_PKT0_S8_ifPKiSA_SA_iPKfiiiPfSD_PS3_PT2_iSC_SC_
    .private_segment_fixed_size: 0
    .sgpr_count:     48
    .sgpr_spill_count: 0
    .symbol:         _Z39paged_attention_ll4mi_QKV_mfma16_kernelI14__hip_bfloat16S0_LN4vllm18Fp8KVCacheDataTypeE0EhLi16ELi128ELi256ELb0ELi14EEvPKT_PKT0_S8_ifPKiSA_SA_iPKfiiiPfSD_PS3_PT2_iSC_SC_.kd
    .uniform_work_group_size: 1
    .uses_dynamic_stack: false
    .vgpr_count:     96
    .vgpr_spill_count: 0
    .wavefront_size: 64
  - .agpr_count:     0
    .args:
      - .actual_access:  read_only
        .address_space:  global
        .offset:         0
        .size:           8
        .value_kind:     global_buffer
      - .actual_access:  read_only
        .address_space:  global
        .offset:         8
        .size:           8
        .value_kind:     global_buffer
      - .actual_access:  read_only
        .address_space:  global
        .offset:         16
        .size:           8
        .value_kind:     global_buffer
      - .offset:         24
        .size:           4
        .value_kind:     by_value
      - .offset:         28
        .size:           4
        .value_kind:     by_value
      - .actual_access:  read_only
        .address_space:  global
        .offset:         32
        .size:           8
        .value_kind:     global_buffer
      - .actual_access:  read_only
        .address_space:  global
        .offset:         40
        .size:           8
        .value_kind:     global_buffer
      - .actual_access:  read_only
        .address_space:  global
        .offset:         48
        .size:           8
        .value_kind:     global_buffer
      - .offset:         56
        .size:           4
        .value_kind:     by_value
      - .actual_access:  read_only
        .address_space:  global
        .offset:         64
        .size:           8
        .value_kind:     global_buffer
      - .offset:         72
        .size:           4
        .value_kind:     by_value
      - .offset:         76
        .size:           4
        .value_kind:     by_value
      - .offset:         80
        .size:           4
        .value_kind:     by_value
      - .actual_access:  write_only
        .address_space:  global
        .offset:         88
        .size:           8
        .value_kind:     global_buffer
      - .actual_access:  write_only
        .address_space:  global
        .offset:         96
        .size:           8
        .value_kind:     global_buffer
      - .actual_access:  write_only
        .address_space:  global
        .offset:         104
        .size:           8
        .value_kind:     global_buffer
      - .actual_access:  read_only
        .address_space:  global
        .offset:         112
        .size:           8
        .value_kind:     global_buffer
      - .offset:         120
        .size:           4
        .value_kind:     by_value
      - .address_space:  global
        .offset:         128
        .size:           8
        .value_kind:     global_buffer
      - .address_space:  global
        .offset:         136
        .size:           8
        .value_kind:     global_buffer
      - .offset:         144
        .size:           4
        .value_kind:     hidden_block_count_x
      - .offset:         148
        .size:           4
        .value_kind:     hidden_block_count_y
      - .offset:         152
        .size:           4
        .value_kind:     hidden_block_count_z
      - .offset:         156
        .size:           2
        .value_kind:     hidden_group_size_x
      - .offset:         158
        .size:           2
        .value_kind:     hidden_group_size_y
      - .offset:         160
        .size:           2
        .value_kind:     hidden_group_size_z
      - .offset:         162
        .size:           2
        .value_kind:     hidden_remainder_x
      - .offset:         164
        .size:           2
        .value_kind:     hidden_remainder_y
      - .offset:         166
        .size:           2
        .value_kind:     hidden_remainder_z
      - .offset:         184
        .size:           8
        .value_kind:     hidden_global_offset_x
      - .offset:         192
        .size:           8
        .value_kind:     hidden_global_offset_y
      - .offset:         200
        .size:           8
        .value_kind:     hidden_global_offset_z
      - .offset:         208
        .size:           2
        .value_kind:     hidden_grid_dims
    .group_segment_fixed_size: 8192
    .kernarg_segment_align: 8
    .kernarg_segment_size: 400
    .language:       OpenCL C
    .language_version:
      - 2
      - 0
    .max_flat_workgroup_size: 256
    .name:           _Z39paged_attention_ll4mi_QKV_mfma16_kernelI14__hip_bfloat16S0_LN4vllm18Fp8KVCacheDataTypeE0EhLi16ELi128ELi256ELb0ELi15EEvPKT_PKT0_S8_ifPKiSA_SA_iPKfiiiPfSD_PS3_PT2_iSC_SC_
    .private_segment_fixed_size: 0
    .sgpr_count:     48
    .sgpr_spill_count: 0
    .symbol:         _Z39paged_attention_ll4mi_QKV_mfma16_kernelI14__hip_bfloat16S0_LN4vllm18Fp8KVCacheDataTypeE0EhLi16ELi128ELi256ELb0ELi15EEvPKT_PKT0_S8_ifPKiSA_SA_iPKfiiiPfSD_PS3_PT2_iSC_SC_.kd
    .uniform_work_group_size: 1
    .uses_dynamic_stack: false
    .vgpr_count:     96
    .vgpr_spill_count: 0
    .wavefront_size: 64
  - .agpr_count:     0
    .args:
      - .actual_access:  read_only
        .address_space:  global
        .offset:         0
        .size:           8
        .value_kind:     global_buffer
      - .actual_access:  read_only
        .address_space:  global
        .offset:         8
        .size:           8
        .value_kind:     global_buffer
      - .actual_access:  read_only
        .address_space:  global
        .offset:         16
        .size:           8
        .value_kind:     global_buffer
      - .offset:         24
        .size:           4
        .value_kind:     by_value
      - .offset:         28
        .size:           4
        .value_kind:     by_value
      - .actual_access:  read_only
        .address_space:  global
        .offset:         32
        .size:           8
        .value_kind:     global_buffer
      - .actual_access:  read_only
        .address_space:  global
        .offset:         40
        .size:           8
        .value_kind:     global_buffer
      - .actual_access:  read_only
        .address_space:  global
        .offset:         48
        .size:           8
        .value_kind:     global_buffer
      - .offset:         56
        .size:           4
        .value_kind:     by_value
      - .actual_access:  read_only
        .address_space:  global
        .offset:         64
        .size:           8
        .value_kind:     global_buffer
      - .offset:         72
        .size:           4
        .value_kind:     by_value
      - .offset:         76
        .size:           4
        .value_kind:     by_value
      - .offset:         80
        .size:           4
        .value_kind:     by_value
      - .actual_access:  write_only
        .address_space:  global
        .offset:         88
        .size:           8
        .value_kind:     global_buffer
      - .actual_access:  write_only
        .address_space:  global
        .offset:         96
        .size:           8
        .value_kind:     global_buffer
      - .actual_access:  write_only
        .address_space:  global
        .offset:         104
        .size:           8
        .value_kind:     global_buffer
      - .actual_access:  read_only
        .address_space:  global
        .offset:         112
        .size:           8
        .value_kind:     global_buffer
      - .offset:         120
        .size:           4
        .value_kind:     by_value
      - .address_space:  global
        .offset:         128
        .size:           8
        .value_kind:     global_buffer
      - .address_space:  global
        .offset:         136
        .size:           8
        .value_kind:     global_buffer
      - .offset:         144
        .size:           4
        .value_kind:     hidden_block_count_x
      - .offset:         148
        .size:           4
        .value_kind:     hidden_block_count_y
      - .offset:         152
        .size:           4
        .value_kind:     hidden_block_count_z
      - .offset:         156
        .size:           2
        .value_kind:     hidden_group_size_x
      - .offset:         158
        .size:           2
        .value_kind:     hidden_group_size_y
      - .offset:         160
        .size:           2
        .value_kind:     hidden_group_size_z
      - .offset:         162
        .size:           2
        .value_kind:     hidden_remainder_x
      - .offset:         164
        .size:           2
        .value_kind:     hidden_remainder_y
      - .offset:         166
        .size:           2
        .value_kind:     hidden_remainder_z
      - .offset:         184
        .size:           8
        .value_kind:     hidden_global_offset_x
      - .offset:         192
        .size:           8
        .value_kind:     hidden_global_offset_y
      - .offset:         200
        .size:           8
        .value_kind:     hidden_global_offset_z
      - .offset:         208
        .size:           2
        .value_kind:     hidden_grid_dims
    .group_segment_fixed_size: 8192
    .kernarg_segment_align: 8
    .kernarg_segment_size: 400
    .language:       OpenCL C
    .language_version:
      - 2
      - 0
    .max_flat_workgroup_size: 256
    .name:           _Z39paged_attention_ll4mi_QKV_mfma16_kernelI14__hip_bfloat16S0_LN4vllm18Fp8KVCacheDataTypeE0EhLi16ELi128ELi256ELb0ELi16EEvPKT_PKT0_S8_ifPKiSA_SA_iPKfiiiPfSD_PS3_PT2_iSC_SC_
    .private_segment_fixed_size: 16
    .sgpr_count:     47
    .sgpr_spill_count: 0
    .symbol:         _Z39paged_attention_ll4mi_QKV_mfma16_kernelI14__hip_bfloat16S0_LN4vllm18Fp8KVCacheDataTypeE0EhLi16ELi128ELi256ELb0ELi16EEvPKT_PKT0_S8_ifPKiSA_SA_iPKfiiiPfSD_PS3_PT2_iSC_SC_.kd
    .uniform_work_group_size: 1
    .uses_dynamic_stack: false
    .vgpr_count:     96
    .vgpr_spill_count: 5
    .wavefront_size: 64
  - .agpr_count:     0
    .args:
      - .actual_access:  read_only
        .address_space:  global
        .offset:         0
        .size:           8
        .value_kind:     global_buffer
      - .actual_access:  read_only
        .address_space:  global
        .offset:         8
        .size:           8
        .value_kind:     global_buffer
      - .actual_access:  read_only
        .address_space:  global
        .offset:         16
        .size:           8
        .value_kind:     global_buffer
      - .offset:         24
        .size:           4
        .value_kind:     by_value
      - .offset:         28
        .size:           4
        .value_kind:     by_value
      - .actual_access:  read_only
        .address_space:  global
        .offset:         32
        .size:           8
        .value_kind:     global_buffer
      - .actual_access:  read_only
        .address_space:  global
        .offset:         40
        .size:           8
        .value_kind:     global_buffer
      - .actual_access:  read_only
        .address_space:  global
        .offset:         48
        .size:           8
        .value_kind:     global_buffer
      - .offset:         56
        .size:           4
        .value_kind:     by_value
      - .actual_access:  read_only
        .address_space:  global
        .offset:         64
        .size:           8
        .value_kind:     global_buffer
      - .offset:         72
        .size:           4
        .value_kind:     by_value
      - .offset:         76
        .size:           4
        .value_kind:     by_value
      - .offset:         80
        .size:           4
        .value_kind:     by_value
      - .actual_access:  write_only
        .address_space:  global
        .offset:         88
        .size:           8
        .value_kind:     global_buffer
      - .actual_access:  write_only
        .address_space:  global
        .offset:         96
        .size:           8
        .value_kind:     global_buffer
      - .actual_access:  write_only
        .address_space:  global
        .offset:         104
        .size:           8
        .value_kind:     global_buffer
      - .actual_access:  read_only
        .address_space:  global
        .offset:         112
        .size:           8
        .value_kind:     global_buffer
      - .offset:         120
        .size:           4
        .value_kind:     by_value
      - .address_space:  global
        .offset:         128
        .size:           8
        .value_kind:     global_buffer
      - .address_space:  global
        .offset:         136
        .size:           8
        .value_kind:     global_buffer
      - .offset:         144
        .size:           4
        .value_kind:     hidden_block_count_x
      - .offset:         148
        .size:           4
        .value_kind:     hidden_block_count_y
      - .offset:         152
        .size:           4
        .value_kind:     hidden_block_count_z
      - .offset:         156
        .size:           2
        .value_kind:     hidden_group_size_x
      - .offset:         158
        .size:           2
        .value_kind:     hidden_group_size_y
      - .offset:         160
        .size:           2
        .value_kind:     hidden_group_size_z
      - .offset:         162
        .size:           2
        .value_kind:     hidden_remainder_x
      - .offset:         164
        .size:           2
        .value_kind:     hidden_remainder_y
      - .offset:         166
        .size:           2
        .value_kind:     hidden_remainder_z
      - .offset:         184
        .size:           8
        .value_kind:     hidden_global_offset_x
      - .offset:         192
        .size:           8
        .value_kind:     hidden_global_offset_y
      - .offset:         200
        .size:           8
        .value_kind:     hidden_global_offset_z
      - .offset:         208
        .size:           2
        .value_kind:     hidden_grid_dims
    .group_segment_fixed_size: 8192
    .kernarg_segment_align: 8
    .kernarg_segment_size: 400
    .language:       OpenCL C
    .language_version:
      - 2
      - 0
    .max_flat_workgroup_size: 256
    .name:           _Z39paged_attention_ll4mi_QKV_mfma16_kernelI14__hip_bfloat16S0_LN4vllm18Fp8KVCacheDataTypeE0EhLi16ELi128ELi256ELb0ELi1EEvPKT_PKT0_S8_ifPKiSA_SA_iPKfiiiPfSD_PS3_PT2_iSC_SC_
    .private_segment_fixed_size: 8
    .sgpr_count:     46
    .sgpr_spill_count: 0
    .symbol:         _Z39paged_attention_ll4mi_QKV_mfma16_kernelI14__hip_bfloat16S0_LN4vllm18Fp8KVCacheDataTypeE0EhLi16ELi128ELi256ELb0ELi1EEvPKT_PKT0_S8_ifPKiSA_SA_iPKfiiiPfSD_PS3_PT2_iSC_SC_.kd
    .uniform_work_group_size: 1
    .uses_dynamic_stack: false
    .vgpr_count:     96
    .vgpr_spill_count: 1
    .wavefront_size: 64
  - .agpr_count:     0
    .args:
      - .actual_access:  read_only
        .address_space:  global
        .offset:         0
        .size:           8
        .value_kind:     global_buffer
      - .actual_access:  read_only
        .address_space:  global
        .offset:         8
        .size:           8
        .value_kind:     global_buffer
      - .actual_access:  read_only
        .address_space:  global
        .offset:         16
        .size:           8
        .value_kind:     global_buffer
      - .offset:         24
        .size:           4
        .value_kind:     by_value
      - .offset:         28
        .size:           4
        .value_kind:     by_value
      - .actual_access:  read_only
        .address_space:  global
        .offset:         32
        .size:           8
        .value_kind:     global_buffer
      - .actual_access:  read_only
        .address_space:  global
        .offset:         40
        .size:           8
        .value_kind:     global_buffer
      - .actual_access:  read_only
        .address_space:  global
        .offset:         48
        .size:           8
        .value_kind:     global_buffer
      - .offset:         56
        .size:           4
        .value_kind:     by_value
      - .actual_access:  read_only
        .address_space:  global
        .offset:         64
        .size:           8
        .value_kind:     global_buffer
      - .offset:         72
        .size:           4
        .value_kind:     by_value
      - .offset:         76
        .size:           4
        .value_kind:     by_value
      - .offset:         80
        .size:           4
        .value_kind:     by_value
      - .actual_access:  write_only
        .address_space:  global
        .offset:         88
        .size:           8
        .value_kind:     global_buffer
      - .actual_access:  write_only
        .address_space:  global
        .offset:         96
        .size:           8
        .value_kind:     global_buffer
      - .actual_access:  write_only
        .address_space:  global
        .offset:         104
        .size:           8
        .value_kind:     global_buffer
      - .actual_access:  read_only
        .address_space:  global
        .offset:         112
        .size:           8
        .value_kind:     global_buffer
      - .offset:         120
        .size:           4
        .value_kind:     by_value
      - .address_space:  global
        .offset:         128
        .size:           8
        .value_kind:     global_buffer
      - .address_space:  global
        .offset:         136
        .size:           8
        .value_kind:     global_buffer
      - .offset:         144
        .size:           4
        .value_kind:     hidden_block_count_x
      - .offset:         148
        .size:           4
        .value_kind:     hidden_block_count_y
      - .offset:         152
        .size:           4
        .value_kind:     hidden_block_count_z
      - .offset:         156
        .size:           2
        .value_kind:     hidden_group_size_x
      - .offset:         158
        .size:           2
        .value_kind:     hidden_group_size_y
      - .offset:         160
        .size:           2
        .value_kind:     hidden_group_size_z
      - .offset:         162
        .size:           2
        .value_kind:     hidden_remainder_x
      - .offset:         164
        .size:           2
        .value_kind:     hidden_remainder_y
      - .offset:         166
        .size:           2
        .value_kind:     hidden_remainder_z
      - .offset:         184
        .size:           8
        .value_kind:     hidden_global_offset_x
      - .offset:         192
        .size:           8
        .value_kind:     hidden_global_offset_y
      - .offset:         200
        .size:           8
        .value_kind:     hidden_global_offset_z
      - .offset:         208
        .size:           2
        .value_kind:     hidden_grid_dims
    .group_segment_fixed_size: 8192
    .kernarg_segment_align: 8
    .kernarg_segment_size: 400
    .language:       OpenCL C
    .language_version:
      - 2
      - 0
    .max_flat_workgroup_size: 256
    .name:           _Z39paged_attention_ll4mi_QKV_mfma16_kernelI14__hip_bfloat16S0_LN4vllm18Fp8KVCacheDataTypeE0EhLi16ELi128ELi256ELb0ELi2EEvPKT_PKT0_S8_ifPKiSA_SA_iPKfiiiPfSD_PS3_PT2_iSC_SC_
    .private_segment_fixed_size: 0
    .sgpr_count:     47
    .sgpr_spill_count: 0
    .symbol:         _Z39paged_attention_ll4mi_QKV_mfma16_kernelI14__hip_bfloat16S0_LN4vllm18Fp8KVCacheDataTypeE0EhLi16ELi128ELi256ELb0ELi2EEvPKT_PKT0_S8_ifPKiSA_SA_iPKfiiiPfSD_PS3_PT2_iSC_SC_.kd
    .uniform_work_group_size: 1
    .uses_dynamic_stack: false
    .vgpr_count:     96
    .vgpr_spill_count: 0
    .wavefront_size: 64
  - .agpr_count:     0
    .args:
      - .actual_access:  read_only
        .address_space:  global
        .offset:         0
        .size:           8
        .value_kind:     global_buffer
      - .actual_access:  read_only
        .address_space:  global
        .offset:         8
        .size:           8
        .value_kind:     global_buffer
      - .actual_access:  read_only
        .address_space:  global
        .offset:         16
        .size:           8
        .value_kind:     global_buffer
      - .offset:         24
        .size:           4
        .value_kind:     by_value
      - .offset:         28
        .size:           4
        .value_kind:     by_value
      - .actual_access:  read_only
        .address_space:  global
        .offset:         32
        .size:           8
        .value_kind:     global_buffer
      - .actual_access:  read_only
        .address_space:  global
        .offset:         40
        .size:           8
        .value_kind:     global_buffer
      - .actual_access:  read_only
        .address_space:  global
        .offset:         48
        .size:           8
        .value_kind:     global_buffer
      - .offset:         56
        .size:           4
        .value_kind:     by_value
      - .actual_access:  read_only
        .address_space:  global
        .offset:         64
        .size:           8
        .value_kind:     global_buffer
      - .offset:         72
        .size:           4
        .value_kind:     by_value
      - .offset:         76
        .size:           4
        .value_kind:     by_value
      - .offset:         80
        .size:           4
        .value_kind:     by_value
      - .actual_access:  write_only
        .address_space:  global
        .offset:         88
        .size:           8
        .value_kind:     global_buffer
      - .actual_access:  write_only
        .address_space:  global
        .offset:         96
        .size:           8
        .value_kind:     global_buffer
      - .actual_access:  write_only
        .address_space:  global
        .offset:         104
        .size:           8
        .value_kind:     global_buffer
      - .actual_access:  read_only
        .address_space:  global
        .offset:         112
        .size:           8
        .value_kind:     global_buffer
      - .offset:         120
        .size:           4
        .value_kind:     by_value
      - .address_space:  global
        .offset:         128
        .size:           8
        .value_kind:     global_buffer
      - .address_space:  global
        .offset:         136
        .size:           8
        .value_kind:     global_buffer
      - .offset:         144
        .size:           4
        .value_kind:     hidden_block_count_x
      - .offset:         148
        .size:           4
        .value_kind:     hidden_block_count_y
      - .offset:         152
        .size:           4
        .value_kind:     hidden_block_count_z
      - .offset:         156
        .size:           2
        .value_kind:     hidden_group_size_x
      - .offset:         158
        .size:           2
        .value_kind:     hidden_group_size_y
      - .offset:         160
        .size:           2
        .value_kind:     hidden_group_size_z
      - .offset:         162
        .size:           2
        .value_kind:     hidden_remainder_x
      - .offset:         164
        .size:           2
        .value_kind:     hidden_remainder_y
      - .offset:         166
        .size:           2
        .value_kind:     hidden_remainder_z
      - .offset:         184
        .size:           8
        .value_kind:     hidden_global_offset_x
      - .offset:         192
        .size:           8
        .value_kind:     hidden_global_offset_y
      - .offset:         200
        .size:           8
        .value_kind:     hidden_global_offset_z
      - .offset:         208
        .size:           2
        .value_kind:     hidden_grid_dims
    .group_segment_fixed_size: 8192
    .kernarg_segment_align: 8
    .kernarg_segment_size: 400
    .language:       OpenCL C
    .language_version:
      - 2
      - 0
    .max_flat_workgroup_size: 256
    .name:           _Z39paged_attention_ll4mi_QKV_mfma16_kernelI14__hip_bfloat16S0_LN4vllm18Fp8KVCacheDataTypeE0EhLi16ELi128ELi256ELb0ELi3EEvPKT_PKT0_S8_ifPKiSA_SA_iPKfiiiPfSD_PS3_PT2_iSC_SC_
    .private_segment_fixed_size: 16
    .sgpr_count:     48
    .sgpr_spill_count: 0
    .symbol:         _Z39paged_attention_ll4mi_QKV_mfma16_kernelI14__hip_bfloat16S0_LN4vllm18Fp8KVCacheDataTypeE0EhLi16ELi128ELi256ELb0ELi3EEvPKT_PKT0_S8_ifPKiSA_SA_iPKfiiiPfSD_PS3_PT2_iSC_SC_.kd
    .uniform_work_group_size: 1
    .uses_dynamic_stack: false
    .vgpr_count:     96
    .vgpr_spill_count: 5
    .wavefront_size: 64
  - .agpr_count:     0
    .args:
      - .actual_access:  read_only
        .address_space:  global
        .offset:         0
        .size:           8
        .value_kind:     global_buffer
      - .actual_access:  read_only
        .address_space:  global
        .offset:         8
        .size:           8
        .value_kind:     global_buffer
      - .actual_access:  read_only
        .address_space:  global
        .offset:         16
        .size:           8
        .value_kind:     global_buffer
      - .offset:         24
        .size:           4
        .value_kind:     by_value
      - .offset:         28
        .size:           4
        .value_kind:     by_value
      - .actual_access:  read_only
        .address_space:  global
        .offset:         32
        .size:           8
        .value_kind:     global_buffer
      - .actual_access:  read_only
        .address_space:  global
        .offset:         40
        .size:           8
        .value_kind:     global_buffer
      - .actual_access:  read_only
        .address_space:  global
        .offset:         48
        .size:           8
        .value_kind:     global_buffer
      - .offset:         56
        .size:           4
        .value_kind:     by_value
      - .actual_access:  read_only
        .address_space:  global
        .offset:         64
        .size:           8
        .value_kind:     global_buffer
      - .offset:         72
        .size:           4
        .value_kind:     by_value
      - .offset:         76
        .size:           4
        .value_kind:     by_value
      - .offset:         80
        .size:           4
        .value_kind:     by_value
      - .actual_access:  write_only
        .address_space:  global
        .offset:         88
        .size:           8
        .value_kind:     global_buffer
      - .actual_access:  write_only
        .address_space:  global
        .offset:         96
        .size:           8
        .value_kind:     global_buffer
      - .actual_access:  write_only
        .address_space:  global
        .offset:         104
        .size:           8
        .value_kind:     global_buffer
      - .actual_access:  read_only
        .address_space:  global
        .offset:         112
        .size:           8
        .value_kind:     global_buffer
      - .offset:         120
        .size:           4
        .value_kind:     by_value
      - .address_space:  global
        .offset:         128
        .size:           8
        .value_kind:     global_buffer
      - .address_space:  global
        .offset:         136
        .size:           8
        .value_kind:     global_buffer
      - .offset:         144
        .size:           4
        .value_kind:     hidden_block_count_x
      - .offset:         148
        .size:           4
        .value_kind:     hidden_block_count_y
      - .offset:         152
        .size:           4
        .value_kind:     hidden_block_count_z
      - .offset:         156
        .size:           2
        .value_kind:     hidden_group_size_x
      - .offset:         158
        .size:           2
        .value_kind:     hidden_group_size_y
      - .offset:         160
        .size:           2
        .value_kind:     hidden_group_size_z
      - .offset:         162
        .size:           2
        .value_kind:     hidden_remainder_x
      - .offset:         164
        .size:           2
        .value_kind:     hidden_remainder_y
      - .offset:         166
        .size:           2
        .value_kind:     hidden_remainder_z
      - .offset:         184
        .size:           8
        .value_kind:     hidden_global_offset_x
      - .offset:         192
        .size:           8
        .value_kind:     hidden_global_offset_y
      - .offset:         200
        .size:           8
        .value_kind:     hidden_global_offset_z
      - .offset:         208
        .size:           2
        .value_kind:     hidden_grid_dims
    .group_segment_fixed_size: 8192
    .kernarg_segment_align: 8
    .kernarg_segment_size: 400
    .language:       OpenCL C
    .language_version:
      - 2
      - 0
    .max_flat_workgroup_size: 256
    .name:           _Z39paged_attention_ll4mi_QKV_mfma16_kernelI14__hip_bfloat16S0_LN4vllm18Fp8KVCacheDataTypeE0EhLi16ELi128ELi256ELb0ELi4EEvPKT_PKT0_S8_ifPKiSA_SA_iPKfiiiPfSD_PS3_PT2_iSC_SC_
    .private_segment_fixed_size: 20
    .sgpr_count:     49
    .sgpr_spill_count: 0
    .symbol:         _Z39paged_attention_ll4mi_QKV_mfma16_kernelI14__hip_bfloat16S0_LN4vllm18Fp8KVCacheDataTypeE0EhLi16ELi128ELi256ELb0ELi4EEvPKT_PKT0_S8_ifPKiSA_SA_iPKfiiiPfSD_PS3_PT2_iSC_SC_.kd
    .uniform_work_group_size: 1
    .uses_dynamic_stack: false
    .vgpr_count:     96
    .vgpr_spill_count: 6
    .wavefront_size: 64
  - .agpr_count:     8
    .args:
      - .actual_access:  read_only
        .address_space:  global
        .offset:         0
        .size:           8
        .value_kind:     global_buffer
      - .actual_access:  read_only
        .address_space:  global
        .offset:         8
        .size:           8
        .value_kind:     global_buffer
      - .actual_access:  read_only
        .address_space:  global
        .offset:         16
        .size:           8
        .value_kind:     global_buffer
      - .offset:         24
        .size:           4
        .value_kind:     by_value
      - .offset:         28
        .size:           4
        .value_kind:     by_value
      - .actual_access:  read_only
        .address_space:  global
        .offset:         32
        .size:           8
        .value_kind:     global_buffer
      - .actual_access:  read_only
        .address_space:  global
        .offset:         40
        .size:           8
        .value_kind:     global_buffer
      - .actual_access:  read_only
        .address_space:  global
        .offset:         48
        .size:           8
        .value_kind:     global_buffer
      - .offset:         56
        .size:           4
        .value_kind:     by_value
      - .actual_access:  read_only
        .address_space:  global
        .offset:         64
        .size:           8
        .value_kind:     global_buffer
      - .offset:         72
        .size:           4
        .value_kind:     by_value
      - .offset:         76
        .size:           4
        .value_kind:     by_value
      - .offset:         80
        .size:           4
        .value_kind:     by_value
      - .actual_access:  write_only
        .address_space:  global
        .offset:         88
        .size:           8
        .value_kind:     global_buffer
      - .actual_access:  write_only
        .address_space:  global
        .offset:         96
        .size:           8
        .value_kind:     global_buffer
      - .actual_access:  write_only
        .address_space:  global
        .offset:         104
        .size:           8
        .value_kind:     global_buffer
      - .actual_access:  read_only
        .address_space:  global
        .offset:         112
        .size:           8
        .value_kind:     global_buffer
      - .offset:         120
        .size:           4
        .value_kind:     by_value
      - .address_space:  global
        .offset:         128
        .size:           8
        .value_kind:     global_buffer
      - .address_space:  global
        .offset:         136
        .size:           8
        .value_kind:     global_buffer
      - .offset:         144
        .size:           4
        .value_kind:     hidden_block_count_x
      - .offset:         148
        .size:           4
        .value_kind:     hidden_block_count_y
      - .offset:         152
        .size:           4
        .value_kind:     hidden_block_count_z
      - .offset:         156
        .size:           2
        .value_kind:     hidden_group_size_x
      - .offset:         158
        .size:           2
        .value_kind:     hidden_group_size_y
      - .offset:         160
        .size:           2
        .value_kind:     hidden_group_size_z
      - .offset:         162
        .size:           2
        .value_kind:     hidden_remainder_x
      - .offset:         164
        .size:           2
        .value_kind:     hidden_remainder_y
      - .offset:         166
        .size:           2
        .value_kind:     hidden_remainder_z
      - .offset:         184
        .size:           8
        .value_kind:     hidden_global_offset_x
      - .offset:         192
        .size:           8
        .value_kind:     hidden_global_offset_y
      - .offset:         200
        .size:           8
        .value_kind:     hidden_global_offset_z
      - .offset:         208
        .size:           2
        .value_kind:     hidden_grid_dims
    .group_segment_fixed_size: 5280
    .kernarg_segment_align: 8
    .kernarg_segment_size: 400
    .language:       OpenCL C
    .language_version:
      - 2
      - 0
    .max_flat_workgroup_size: 256
    .name:           _Z38paged_attention_ll4mi_QKV_mfma4_kernelI14__hip_bfloat16S0_LN4vllm18Fp8KVCacheDataTypeE0ES0_Li16ELi128ELi256ELb1ELi1EEvPKT_PKT0_S8_ifPKiSA_SA_iPKfiiiPfSD_PS3_PT2_iSC_SC_
    .private_segment_fixed_size: 0
    .sgpr_count:     44
    .sgpr_spill_count: 0
    .symbol:         _Z38paged_attention_ll4mi_QKV_mfma4_kernelI14__hip_bfloat16S0_LN4vllm18Fp8KVCacheDataTypeE0ES0_Li16ELi128ELi256ELb1ELi1EEvPKT_PKT0_S8_ifPKiSA_SA_iPKfiiiPfSD_PS3_PT2_iSC_SC_.kd
    .uniform_work_group_size: 1
    .uses_dynamic_stack: false
    .vgpr_count:     108
    .vgpr_spill_count: 0
    .wavefront_size: 64
  - .agpr_count:     8
    .args:
      - .actual_access:  read_only
        .address_space:  global
        .offset:         0
        .size:           8
        .value_kind:     global_buffer
      - .actual_access:  read_only
        .address_space:  global
        .offset:         8
        .size:           8
        .value_kind:     global_buffer
      - .actual_access:  read_only
        .address_space:  global
        .offset:         16
        .size:           8
        .value_kind:     global_buffer
      - .offset:         24
        .size:           4
        .value_kind:     by_value
      - .offset:         28
        .size:           4
        .value_kind:     by_value
      - .actual_access:  read_only
        .address_space:  global
        .offset:         32
        .size:           8
        .value_kind:     global_buffer
      - .actual_access:  read_only
        .address_space:  global
        .offset:         40
        .size:           8
        .value_kind:     global_buffer
      - .actual_access:  read_only
        .address_space:  global
        .offset:         48
        .size:           8
        .value_kind:     global_buffer
      - .offset:         56
        .size:           4
        .value_kind:     by_value
      - .actual_access:  read_only
        .address_space:  global
        .offset:         64
        .size:           8
        .value_kind:     global_buffer
      - .offset:         72
        .size:           4
        .value_kind:     by_value
      - .offset:         76
        .size:           4
        .value_kind:     by_value
      - .offset:         80
        .size:           4
        .value_kind:     by_value
      - .actual_access:  write_only
        .address_space:  global
        .offset:         88
        .size:           8
        .value_kind:     global_buffer
      - .actual_access:  write_only
        .address_space:  global
        .offset:         96
        .size:           8
        .value_kind:     global_buffer
      - .actual_access:  write_only
        .address_space:  global
        .offset:         104
        .size:           8
        .value_kind:     global_buffer
      - .actual_access:  read_only
        .address_space:  global
        .offset:         112
        .size:           8
        .value_kind:     global_buffer
      - .offset:         120
        .size:           4
        .value_kind:     by_value
      - .address_space:  global
        .offset:         128
        .size:           8
        .value_kind:     global_buffer
      - .address_space:  global
        .offset:         136
        .size:           8
        .value_kind:     global_buffer
      - .offset:         144
        .size:           4
        .value_kind:     hidden_block_count_x
      - .offset:         148
        .size:           4
        .value_kind:     hidden_block_count_y
      - .offset:         152
        .size:           4
        .value_kind:     hidden_block_count_z
      - .offset:         156
        .size:           2
        .value_kind:     hidden_group_size_x
      - .offset:         158
        .size:           2
        .value_kind:     hidden_group_size_y
      - .offset:         160
        .size:           2
        .value_kind:     hidden_group_size_z
      - .offset:         162
        .size:           2
        .value_kind:     hidden_remainder_x
      - .offset:         164
        .size:           2
        .value_kind:     hidden_remainder_y
      - .offset:         166
        .size:           2
        .value_kind:     hidden_remainder_z
      - .offset:         184
        .size:           8
        .value_kind:     hidden_global_offset_x
      - .offset:         192
        .size:           8
        .value_kind:     hidden_global_offset_y
      - .offset:         200
        .size:           8
        .value_kind:     hidden_global_offset_z
      - .offset:         208
        .size:           2
        .value_kind:     hidden_grid_dims
    .group_segment_fixed_size: 5280
    .kernarg_segment_align: 8
    .kernarg_segment_size: 400
    .language:       OpenCL C
    .language_version:
      - 2
      - 0
    .max_flat_workgroup_size: 256
    .name:           _Z38paged_attention_ll4mi_QKV_mfma4_kernelI14__hip_bfloat16S0_LN4vllm18Fp8KVCacheDataTypeE0ES0_Li16ELi128ELi256ELb1ELi2EEvPKT_PKT0_S8_ifPKiSA_SA_iPKfiiiPfSD_PS3_PT2_iSC_SC_
    .private_segment_fixed_size: 0
    .sgpr_count:     46
    .sgpr_spill_count: 0
    .symbol:         _Z38paged_attention_ll4mi_QKV_mfma4_kernelI14__hip_bfloat16S0_LN4vllm18Fp8KVCacheDataTypeE0ES0_Li16ELi128ELi256ELb1ELi2EEvPKT_PKT0_S8_ifPKiSA_SA_iPKfiiiPfSD_PS3_PT2_iSC_SC_.kd
    .uniform_work_group_size: 1
    .uses_dynamic_stack: false
    .vgpr_count:     108
    .vgpr_spill_count: 0
    .wavefront_size: 64
  - .agpr_count:     8
    .args:
      - .actual_access:  read_only
        .address_space:  global
        .offset:         0
        .size:           8
        .value_kind:     global_buffer
      - .actual_access:  read_only
        .address_space:  global
        .offset:         8
        .size:           8
        .value_kind:     global_buffer
      - .actual_access:  read_only
        .address_space:  global
        .offset:         16
        .size:           8
        .value_kind:     global_buffer
      - .offset:         24
        .size:           4
        .value_kind:     by_value
      - .offset:         28
        .size:           4
        .value_kind:     by_value
      - .actual_access:  read_only
        .address_space:  global
        .offset:         32
        .size:           8
        .value_kind:     global_buffer
      - .actual_access:  read_only
        .address_space:  global
        .offset:         40
        .size:           8
        .value_kind:     global_buffer
      - .actual_access:  read_only
        .address_space:  global
        .offset:         48
        .size:           8
        .value_kind:     global_buffer
      - .offset:         56
        .size:           4
        .value_kind:     by_value
      - .actual_access:  read_only
        .address_space:  global
        .offset:         64
        .size:           8
        .value_kind:     global_buffer
      - .offset:         72
        .size:           4
        .value_kind:     by_value
      - .offset:         76
        .size:           4
        .value_kind:     by_value
      - .offset:         80
        .size:           4
        .value_kind:     by_value
      - .actual_access:  write_only
        .address_space:  global
        .offset:         88
        .size:           8
        .value_kind:     global_buffer
      - .actual_access:  write_only
        .address_space:  global
        .offset:         96
        .size:           8
        .value_kind:     global_buffer
      - .actual_access:  write_only
        .address_space:  global
        .offset:         104
        .size:           8
        .value_kind:     global_buffer
      - .actual_access:  read_only
        .address_space:  global
        .offset:         112
        .size:           8
        .value_kind:     global_buffer
      - .offset:         120
        .size:           4
        .value_kind:     by_value
      - .address_space:  global
        .offset:         128
        .size:           8
        .value_kind:     global_buffer
      - .address_space:  global
        .offset:         136
        .size:           8
        .value_kind:     global_buffer
      - .offset:         144
        .size:           4
        .value_kind:     hidden_block_count_x
      - .offset:         148
        .size:           4
        .value_kind:     hidden_block_count_y
      - .offset:         152
        .size:           4
        .value_kind:     hidden_block_count_z
      - .offset:         156
        .size:           2
        .value_kind:     hidden_group_size_x
      - .offset:         158
        .size:           2
        .value_kind:     hidden_group_size_y
      - .offset:         160
        .size:           2
        .value_kind:     hidden_group_size_z
      - .offset:         162
        .size:           2
        .value_kind:     hidden_remainder_x
      - .offset:         164
        .size:           2
        .value_kind:     hidden_remainder_y
      - .offset:         166
        .size:           2
        .value_kind:     hidden_remainder_z
      - .offset:         184
        .size:           8
        .value_kind:     hidden_global_offset_x
      - .offset:         192
        .size:           8
        .value_kind:     hidden_global_offset_y
      - .offset:         200
        .size:           8
        .value_kind:     hidden_global_offset_z
      - .offset:         208
        .size:           2
        .value_kind:     hidden_grid_dims
    .group_segment_fixed_size: 5280
    .kernarg_segment_align: 8
    .kernarg_segment_size: 400
    .language:       OpenCL C
    .language_version:
      - 2
      - 0
    .max_flat_workgroup_size: 256
    .name:           _Z38paged_attention_ll4mi_QKV_mfma4_kernelI14__hip_bfloat16S0_LN4vllm18Fp8KVCacheDataTypeE0ES0_Li16ELi128ELi256ELb1ELi3EEvPKT_PKT0_S8_ifPKiSA_SA_iPKfiiiPfSD_PS3_PT2_iSC_SC_
    .private_segment_fixed_size: 0
    .sgpr_count:     46
    .sgpr_spill_count: 0
    .symbol:         _Z38paged_attention_ll4mi_QKV_mfma4_kernelI14__hip_bfloat16S0_LN4vllm18Fp8KVCacheDataTypeE0ES0_Li16ELi128ELi256ELb1ELi3EEvPKT_PKT0_S8_ifPKiSA_SA_iPKfiiiPfSD_PS3_PT2_iSC_SC_.kd
    .uniform_work_group_size: 1
    .uses_dynamic_stack: false
    .vgpr_count:     104
    .vgpr_spill_count: 0
    .wavefront_size: 64
  - .agpr_count:     8
    .args:
      - .actual_access:  read_only
        .address_space:  global
        .offset:         0
        .size:           8
        .value_kind:     global_buffer
      - .actual_access:  read_only
        .address_space:  global
        .offset:         8
        .size:           8
        .value_kind:     global_buffer
      - .actual_access:  read_only
        .address_space:  global
        .offset:         16
        .size:           8
        .value_kind:     global_buffer
      - .offset:         24
        .size:           4
        .value_kind:     by_value
      - .offset:         28
        .size:           4
        .value_kind:     by_value
      - .actual_access:  read_only
        .address_space:  global
        .offset:         32
        .size:           8
        .value_kind:     global_buffer
      - .actual_access:  read_only
        .address_space:  global
        .offset:         40
        .size:           8
        .value_kind:     global_buffer
      - .actual_access:  read_only
        .address_space:  global
        .offset:         48
        .size:           8
        .value_kind:     global_buffer
      - .offset:         56
        .size:           4
        .value_kind:     by_value
      - .actual_access:  read_only
        .address_space:  global
        .offset:         64
        .size:           8
        .value_kind:     global_buffer
      - .offset:         72
        .size:           4
        .value_kind:     by_value
      - .offset:         76
        .size:           4
        .value_kind:     by_value
      - .offset:         80
        .size:           4
        .value_kind:     by_value
      - .actual_access:  write_only
        .address_space:  global
        .offset:         88
        .size:           8
        .value_kind:     global_buffer
      - .actual_access:  write_only
        .address_space:  global
        .offset:         96
        .size:           8
        .value_kind:     global_buffer
      - .actual_access:  write_only
        .address_space:  global
        .offset:         104
        .size:           8
        .value_kind:     global_buffer
      - .actual_access:  read_only
        .address_space:  global
        .offset:         112
        .size:           8
        .value_kind:     global_buffer
      - .offset:         120
        .size:           4
        .value_kind:     by_value
      - .address_space:  global
        .offset:         128
        .size:           8
        .value_kind:     global_buffer
      - .address_space:  global
        .offset:         136
        .size:           8
        .value_kind:     global_buffer
      - .offset:         144
        .size:           4
        .value_kind:     hidden_block_count_x
      - .offset:         148
        .size:           4
        .value_kind:     hidden_block_count_y
      - .offset:         152
        .size:           4
        .value_kind:     hidden_block_count_z
      - .offset:         156
        .size:           2
        .value_kind:     hidden_group_size_x
      - .offset:         158
        .size:           2
        .value_kind:     hidden_group_size_y
      - .offset:         160
        .size:           2
        .value_kind:     hidden_group_size_z
      - .offset:         162
        .size:           2
        .value_kind:     hidden_remainder_x
      - .offset:         164
        .size:           2
        .value_kind:     hidden_remainder_y
      - .offset:         166
        .size:           2
        .value_kind:     hidden_remainder_z
      - .offset:         184
        .size:           8
        .value_kind:     hidden_global_offset_x
      - .offset:         192
        .size:           8
        .value_kind:     hidden_global_offset_y
      - .offset:         200
        .size:           8
        .value_kind:     hidden_global_offset_z
      - .offset:         208
        .size:           2
        .value_kind:     hidden_grid_dims
    .group_segment_fixed_size: 5280
    .kernarg_segment_align: 8
    .kernarg_segment_size: 400
    .language:       OpenCL C
    .language_version:
      - 2
      - 0
    .max_flat_workgroup_size: 256
    .name:           _Z38paged_attention_ll4mi_QKV_mfma4_kernelI14__hip_bfloat16S0_LN4vllm18Fp8KVCacheDataTypeE0ES0_Li16ELi128ELi256ELb1ELi4EEvPKT_PKT0_S8_ifPKiSA_SA_iPKfiiiPfSD_PS3_PT2_iSC_SC_
    .private_segment_fixed_size: 0
    .sgpr_count:     47
    .sgpr_spill_count: 0
    .symbol:         _Z38paged_attention_ll4mi_QKV_mfma4_kernelI14__hip_bfloat16S0_LN4vllm18Fp8KVCacheDataTypeE0ES0_Li16ELi128ELi256ELb1ELi4EEvPKT_PKT0_S8_ifPKiSA_SA_iPKfiiiPfSD_PS3_PT2_iSC_SC_.kd
    .uniform_work_group_size: 1
    .uses_dynamic_stack: false
    .vgpr_count:     112
    .vgpr_spill_count: 0
    .wavefront_size: 64
  - .agpr_count:     0
    .args:
      - .actual_access:  read_only
        .address_space:  global
        .offset:         0
        .size:           8
        .value_kind:     global_buffer
      - .actual_access:  read_only
        .address_space:  global
        .offset:         8
        .size:           8
        .value_kind:     global_buffer
      - .actual_access:  read_only
        .address_space:  global
        .offset:         16
        .size:           8
        .value_kind:     global_buffer
      - .offset:         24
        .size:           4
        .value_kind:     by_value
      - .offset:         28
        .size:           4
        .value_kind:     by_value
      - .actual_access:  read_only
        .address_space:  global
        .offset:         32
        .size:           8
        .value_kind:     global_buffer
      - .actual_access:  read_only
        .address_space:  global
        .offset:         40
        .size:           8
        .value_kind:     global_buffer
      - .actual_access:  read_only
        .address_space:  global
        .offset:         48
        .size:           8
        .value_kind:     global_buffer
      - .offset:         56
        .size:           4
        .value_kind:     by_value
      - .actual_access:  read_only
        .address_space:  global
        .offset:         64
        .size:           8
        .value_kind:     global_buffer
      - .offset:         72
        .size:           4
        .value_kind:     by_value
      - .offset:         76
        .size:           4
        .value_kind:     by_value
      - .offset:         80
        .size:           4
        .value_kind:     by_value
      - .actual_access:  write_only
        .address_space:  global
        .offset:         88
        .size:           8
        .value_kind:     global_buffer
      - .actual_access:  write_only
        .address_space:  global
        .offset:         96
        .size:           8
        .value_kind:     global_buffer
      - .actual_access:  write_only
        .address_space:  global
        .offset:         104
        .size:           8
        .value_kind:     global_buffer
      - .actual_access:  read_only
        .address_space:  global
        .offset:         112
        .size:           8
        .value_kind:     global_buffer
      - .offset:         120
        .size:           4
        .value_kind:     by_value
      - .address_space:  global
        .offset:         128
        .size:           8
        .value_kind:     global_buffer
      - .address_space:  global
        .offset:         136
        .size:           8
        .value_kind:     global_buffer
      - .offset:         144
        .size:           4
        .value_kind:     hidden_block_count_x
      - .offset:         148
        .size:           4
        .value_kind:     hidden_block_count_y
      - .offset:         152
        .size:           4
        .value_kind:     hidden_block_count_z
      - .offset:         156
        .size:           2
        .value_kind:     hidden_group_size_x
      - .offset:         158
        .size:           2
        .value_kind:     hidden_group_size_y
      - .offset:         160
        .size:           2
        .value_kind:     hidden_group_size_z
      - .offset:         162
        .size:           2
        .value_kind:     hidden_remainder_x
      - .offset:         164
        .size:           2
        .value_kind:     hidden_remainder_y
      - .offset:         166
        .size:           2
        .value_kind:     hidden_remainder_z
      - .offset:         184
        .size:           8
        .value_kind:     hidden_global_offset_x
      - .offset:         192
        .size:           8
        .value_kind:     hidden_global_offset_y
      - .offset:         200
        .size:           8
        .value_kind:     hidden_global_offset_z
      - .offset:         208
        .size:           2
        .value_kind:     hidden_grid_dims
    .group_segment_fixed_size: 8192
    .kernarg_segment_align: 8
    .kernarg_segment_size: 400
    .language:       OpenCL C
    .language_version:
      - 2
      - 0
    .max_flat_workgroup_size: 256
    .name:           _Z39paged_attention_ll4mi_QKV_mfma16_kernelI14__hip_bfloat16S0_LN4vllm18Fp8KVCacheDataTypeE0ES0_Li16ELi128ELi256ELb1ELi5EEvPKT_PKT0_S8_ifPKiSA_SA_iPKfiiiPfSD_PS3_PT2_iSC_SC_
    .private_segment_fixed_size: 0
    .sgpr_count:     48
    .sgpr_spill_count: 0
    .symbol:         _Z39paged_attention_ll4mi_QKV_mfma16_kernelI14__hip_bfloat16S0_LN4vllm18Fp8KVCacheDataTypeE0ES0_Li16ELi128ELi256ELb1ELi5EEvPKT_PKT0_S8_ifPKiSA_SA_iPKfiiiPfSD_PS3_PT2_iSC_SC_.kd
    .uniform_work_group_size: 1
    .uses_dynamic_stack: false
    .vgpr_count:     96
    .vgpr_spill_count: 0
    .wavefront_size: 64
  - .agpr_count:     0
    .args:
      - .actual_access:  read_only
        .address_space:  global
        .offset:         0
        .size:           8
        .value_kind:     global_buffer
      - .actual_access:  read_only
        .address_space:  global
        .offset:         8
        .size:           8
        .value_kind:     global_buffer
      - .actual_access:  read_only
        .address_space:  global
        .offset:         16
        .size:           8
        .value_kind:     global_buffer
      - .offset:         24
        .size:           4
        .value_kind:     by_value
      - .offset:         28
        .size:           4
        .value_kind:     by_value
      - .actual_access:  read_only
        .address_space:  global
        .offset:         32
        .size:           8
        .value_kind:     global_buffer
      - .actual_access:  read_only
        .address_space:  global
        .offset:         40
        .size:           8
        .value_kind:     global_buffer
      - .actual_access:  read_only
        .address_space:  global
        .offset:         48
        .size:           8
        .value_kind:     global_buffer
      - .offset:         56
        .size:           4
        .value_kind:     by_value
      - .actual_access:  read_only
        .address_space:  global
        .offset:         64
        .size:           8
        .value_kind:     global_buffer
      - .offset:         72
        .size:           4
        .value_kind:     by_value
      - .offset:         76
        .size:           4
        .value_kind:     by_value
      - .offset:         80
        .size:           4
        .value_kind:     by_value
      - .actual_access:  write_only
        .address_space:  global
        .offset:         88
        .size:           8
        .value_kind:     global_buffer
      - .actual_access:  write_only
        .address_space:  global
        .offset:         96
        .size:           8
        .value_kind:     global_buffer
      - .actual_access:  write_only
        .address_space:  global
        .offset:         104
        .size:           8
        .value_kind:     global_buffer
      - .actual_access:  read_only
        .address_space:  global
        .offset:         112
        .size:           8
        .value_kind:     global_buffer
      - .offset:         120
        .size:           4
        .value_kind:     by_value
      - .address_space:  global
        .offset:         128
        .size:           8
        .value_kind:     global_buffer
      - .address_space:  global
        .offset:         136
        .size:           8
        .value_kind:     global_buffer
      - .offset:         144
        .size:           4
        .value_kind:     hidden_block_count_x
      - .offset:         148
        .size:           4
        .value_kind:     hidden_block_count_y
      - .offset:         152
        .size:           4
        .value_kind:     hidden_block_count_z
      - .offset:         156
        .size:           2
        .value_kind:     hidden_group_size_x
      - .offset:         158
        .size:           2
        .value_kind:     hidden_group_size_y
      - .offset:         160
        .size:           2
        .value_kind:     hidden_group_size_z
      - .offset:         162
        .size:           2
        .value_kind:     hidden_remainder_x
      - .offset:         164
        .size:           2
        .value_kind:     hidden_remainder_y
      - .offset:         166
        .size:           2
        .value_kind:     hidden_remainder_z
      - .offset:         184
        .size:           8
        .value_kind:     hidden_global_offset_x
      - .offset:         192
        .size:           8
        .value_kind:     hidden_global_offset_y
      - .offset:         200
        .size:           8
        .value_kind:     hidden_global_offset_z
      - .offset:         208
        .size:           2
        .value_kind:     hidden_grid_dims
    .group_segment_fixed_size: 8192
    .kernarg_segment_align: 8
    .kernarg_segment_size: 400
    .language:       OpenCL C
    .language_version:
      - 2
      - 0
    .max_flat_workgroup_size: 256
    .name:           _Z39paged_attention_ll4mi_QKV_mfma16_kernelI14__hip_bfloat16S0_LN4vllm18Fp8KVCacheDataTypeE0ES0_Li16ELi128ELi256ELb1ELi6EEvPKT_PKT0_S8_ifPKiSA_SA_iPKfiiiPfSD_PS3_PT2_iSC_SC_
    .private_segment_fixed_size: 0
    .sgpr_count:     48
    .sgpr_spill_count: 0
    .symbol:         _Z39paged_attention_ll4mi_QKV_mfma16_kernelI14__hip_bfloat16S0_LN4vllm18Fp8KVCacheDataTypeE0ES0_Li16ELi128ELi256ELb1ELi6EEvPKT_PKT0_S8_ifPKiSA_SA_iPKfiiiPfSD_PS3_PT2_iSC_SC_.kd
    .uniform_work_group_size: 1
    .uses_dynamic_stack: false
    .vgpr_count:     96
    .vgpr_spill_count: 0
    .wavefront_size: 64
  - .agpr_count:     0
    .args:
      - .actual_access:  read_only
        .address_space:  global
        .offset:         0
        .size:           8
        .value_kind:     global_buffer
      - .actual_access:  read_only
        .address_space:  global
        .offset:         8
        .size:           8
        .value_kind:     global_buffer
      - .actual_access:  read_only
        .address_space:  global
        .offset:         16
        .size:           8
        .value_kind:     global_buffer
      - .offset:         24
        .size:           4
        .value_kind:     by_value
      - .offset:         28
        .size:           4
        .value_kind:     by_value
      - .actual_access:  read_only
        .address_space:  global
        .offset:         32
        .size:           8
        .value_kind:     global_buffer
      - .actual_access:  read_only
        .address_space:  global
        .offset:         40
        .size:           8
        .value_kind:     global_buffer
      - .actual_access:  read_only
        .address_space:  global
        .offset:         48
        .size:           8
        .value_kind:     global_buffer
      - .offset:         56
        .size:           4
        .value_kind:     by_value
      - .actual_access:  read_only
        .address_space:  global
        .offset:         64
        .size:           8
        .value_kind:     global_buffer
      - .offset:         72
        .size:           4
        .value_kind:     by_value
      - .offset:         76
        .size:           4
        .value_kind:     by_value
      - .offset:         80
        .size:           4
        .value_kind:     by_value
      - .actual_access:  write_only
        .address_space:  global
        .offset:         88
        .size:           8
        .value_kind:     global_buffer
      - .actual_access:  write_only
        .address_space:  global
        .offset:         96
        .size:           8
        .value_kind:     global_buffer
      - .actual_access:  write_only
        .address_space:  global
        .offset:         104
        .size:           8
        .value_kind:     global_buffer
      - .actual_access:  read_only
        .address_space:  global
        .offset:         112
        .size:           8
        .value_kind:     global_buffer
      - .offset:         120
        .size:           4
        .value_kind:     by_value
      - .address_space:  global
        .offset:         128
        .size:           8
        .value_kind:     global_buffer
      - .address_space:  global
        .offset:         136
        .size:           8
        .value_kind:     global_buffer
      - .offset:         144
        .size:           4
        .value_kind:     hidden_block_count_x
      - .offset:         148
        .size:           4
        .value_kind:     hidden_block_count_y
      - .offset:         152
        .size:           4
        .value_kind:     hidden_block_count_z
      - .offset:         156
        .size:           2
        .value_kind:     hidden_group_size_x
      - .offset:         158
        .size:           2
        .value_kind:     hidden_group_size_y
      - .offset:         160
        .size:           2
        .value_kind:     hidden_group_size_z
      - .offset:         162
        .size:           2
        .value_kind:     hidden_remainder_x
      - .offset:         164
        .size:           2
        .value_kind:     hidden_remainder_y
      - .offset:         166
        .size:           2
        .value_kind:     hidden_remainder_z
      - .offset:         184
        .size:           8
        .value_kind:     hidden_global_offset_x
      - .offset:         192
        .size:           8
        .value_kind:     hidden_global_offset_y
      - .offset:         200
        .size:           8
        .value_kind:     hidden_global_offset_z
      - .offset:         208
        .size:           2
        .value_kind:     hidden_grid_dims
    .group_segment_fixed_size: 8192
    .kernarg_segment_align: 8
    .kernarg_segment_size: 400
    .language:       OpenCL C
    .language_version:
      - 2
      - 0
    .max_flat_workgroup_size: 256
    .name:           _Z39paged_attention_ll4mi_QKV_mfma16_kernelI14__hip_bfloat16S0_LN4vllm18Fp8KVCacheDataTypeE0ES0_Li16ELi128ELi256ELb1ELi7EEvPKT_PKT0_S8_ifPKiSA_SA_iPKfiiiPfSD_PS3_PT2_iSC_SC_
    .private_segment_fixed_size: 0
    .sgpr_count:     48
    .sgpr_spill_count: 0
    .symbol:         _Z39paged_attention_ll4mi_QKV_mfma16_kernelI14__hip_bfloat16S0_LN4vllm18Fp8KVCacheDataTypeE0ES0_Li16ELi128ELi256ELb1ELi7EEvPKT_PKT0_S8_ifPKiSA_SA_iPKfiiiPfSD_PS3_PT2_iSC_SC_.kd
    .uniform_work_group_size: 1
    .uses_dynamic_stack: false
    .vgpr_count:     96
    .vgpr_spill_count: 0
    .wavefront_size: 64
  - .agpr_count:     0
    .args:
      - .actual_access:  read_only
        .address_space:  global
        .offset:         0
        .size:           8
        .value_kind:     global_buffer
      - .actual_access:  read_only
        .address_space:  global
        .offset:         8
        .size:           8
        .value_kind:     global_buffer
      - .actual_access:  read_only
        .address_space:  global
        .offset:         16
        .size:           8
        .value_kind:     global_buffer
      - .offset:         24
        .size:           4
        .value_kind:     by_value
      - .offset:         28
        .size:           4
        .value_kind:     by_value
      - .actual_access:  read_only
        .address_space:  global
        .offset:         32
        .size:           8
        .value_kind:     global_buffer
      - .actual_access:  read_only
        .address_space:  global
        .offset:         40
        .size:           8
        .value_kind:     global_buffer
      - .actual_access:  read_only
        .address_space:  global
        .offset:         48
        .size:           8
        .value_kind:     global_buffer
      - .offset:         56
        .size:           4
        .value_kind:     by_value
      - .actual_access:  read_only
        .address_space:  global
        .offset:         64
        .size:           8
        .value_kind:     global_buffer
      - .offset:         72
        .size:           4
        .value_kind:     by_value
      - .offset:         76
        .size:           4
        .value_kind:     by_value
      - .offset:         80
        .size:           4
        .value_kind:     by_value
      - .actual_access:  write_only
        .address_space:  global
        .offset:         88
        .size:           8
        .value_kind:     global_buffer
      - .actual_access:  write_only
        .address_space:  global
        .offset:         96
        .size:           8
        .value_kind:     global_buffer
      - .actual_access:  write_only
        .address_space:  global
        .offset:         104
        .size:           8
        .value_kind:     global_buffer
      - .actual_access:  read_only
        .address_space:  global
        .offset:         112
        .size:           8
        .value_kind:     global_buffer
      - .offset:         120
        .size:           4
        .value_kind:     by_value
      - .address_space:  global
        .offset:         128
        .size:           8
        .value_kind:     global_buffer
      - .address_space:  global
        .offset:         136
        .size:           8
        .value_kind:     global_buffer
      - .offset:         144
        .size:           4
        .value_kind:     hidden_block_count_x
      - .offset:         148
        .size:           4
        .value_kind:     hidden_block_count_y
      - .offset:         152
        .size:           4
        .value_kind:     hidden_block_count_z
      - .offset:         156
        .size:           2
        .value_kind:     hidden_group_size_x
      - .offset:         158
        .size:           2
        .value_kind:     hidden_group_size_y
      - .offset:         160
        .size:           2
        .value_kind:     hidden_group_size_z
      - .offset:         162
        .size:           2
        .value_kind:     hidden_remainder_x
      - .offset:         164
        .size:           2
        .value_kind:     hidden_remainder_y
      - .offset:         166
        .size:           2
        .value_kind:     hidden_remainder_z
      - .offset:         184
        .size:           8
        .value_kind:     hidden_global_offset_x
      - .offset:         192
        .size:           8
        .value_kind:     hidden_global_offset_y
      - .offset:         200
        .size:           8
        .value_kind:     hidden_global_offset_z
      - .offset:         208
        .size:           2
        .value_kind:     hidden_grid_dims
    .group_segment_fixed_size: 8192
    .kernarg_segment_align: 8
    .kernarg_segment_size: 400
    .language:       OpenCL C
    .language_version:
      - 2
      - 0
    .max_flat_workgroup_size: 256
    .name:           _Z39paged_attention_ll4mi_QKV_mfma16_kernelI14__hip_bfloat16S0_LN4vllm18Fp8KVCacheDataTypeE0ES0_Li16ELi128ELi256ELb1ELi8EEvPKT_PKT0_S8_ifPKiSA_SA_iPKfiiiPfSD_PS3_PT2_iSC_SC_
    .private_segment_fixed_size: 0
    .sgpr_count:     47
    .sgpr_spill_count: 0
    .symbol:         _Z39paged_attention_ll4mi_QKV_mfma16_kernelI14__hip_bfloat16S0_LN4vllm18Fp8KVCacheDataTypeE0ES0_Li16ELi128ELi256ELb1ELi8EEvPKT_PKT0_S8_ifPKiSA_SA_iPKfiiiPfSD_PS3_PT2_iSC_SC_.kd
    .uniform_work_group_size: 1
    .uses_dynamic_stack: false
    .vgpr_count:     96
    .vgpr_spill_count: 0
    .wavefront_size: 64
  - .agpr_count:     0
    .args:
      - .actual_access:  read_only
        .address_space:  global
        .offset:         0
        .size:           8
        .value_kind:     global_buffer
      - .actual_access:  read_only
        .address_space:  global
        .offset:         8
        .size:           8
        .value_kind:     global_buffer
      - .actual_access:  read_only
        .address_space:  global
        .offset:         16
        .size:           8
        .value_kind:     global_buffer
      - .offset:         24
        .size:           4
        .value_kind:     by_value
      - .offset:         28
        .size:           4
        .value_kind:     by_value
      - .actual_access:  read_only
        .address_space:  global
        .offset:         32
        .size:           8
        .value_kind:     global_buffer
      - .actual_access:  read_only
        .address_space:  global
        .offset:         40
        .size:           8
        .value_kind:     global_buffer
      - .actual_access:  read_only
        .address_space:  global
        .offset:         48
        .size:           8
        .value_kind:     global_buffer
      - .offset:         56
        .size:           4
        .value_kind:     by_value
      - .actual_access:  read_only
        .address_space:  global
        .offset:         64
        .size:           8
        .value_kind:     global_buffer
      - .offset:         72
        .size:           4
        .value_kind:     by_value
      - .offset:         76
        .size:           4
        .value_kind:     by_value
      - .offset:         80
        .size:           4
        .value_kind:     by_value
      - .actual_access:  write_only
        .address_space:  global
        .offset:         88
        .size:           8
        .value_kind:     global_buffer
      - .actual_access:  write_only
        .address_space:  global
        .offset:         96
        .size:           8
        .value_kind:     global_buffer
      - .actual_access:  write_only
        .address_space:  global
        .offset:         104
        .size:           8
        .value_kind:     global_buffer
      - .actual_access:  read_only
        .address_space:  global
        .offset:         112
        .size:           8
        .value_kind:     global_buffer
      - .offset:         120
        .size:           4
        .value_kind:     by_value
      - .address_space:  global
        .offset:         128
        .size:           8
        .value_kind:     global_buffer
      - .address_space:  global
        .offset:         136
        .size:           8
        .value_kind:     global_buffer
      - .offset:         144
        .size:           4
        .value_kind:     hidden_block_count_x
      - .offset:         148
        .size:           4
        .value_kind:     hidden_block_count_y
      - .offset:         152
        .size:           4
        .value_kind:     hidden_block_count_z
      - .offset:         156
        .size:           2
        .value_kind:     hidden_group_size_x
      - .offset:         158
        .size:           2
        .value_kind:     hidden_group_size_y
      - .offset:         160
        .size:           2
        .value_kind:     hidden_group_size_z
      - .offset:         162
        .size:           2
        .value_kind:     hidden_remainder_x
      - .offset:         164
        .size:           2
        .value_kind:     hidden_remainder_y
      - .offset:         166
        .size:           2
        .value_kind:     hidden_remainder_z
      - .offset:         184
        .size:           8
        .value_kind:     hidden_global_offset_x
      - .offset:         192
        .size:           8
        .value_kind:     hidden_global_offset_y
      - .offset:         200
        .size:           8
        .value_kind:     hidden_global_offset_z
      - .offset:         208
        .size:           2
        .value_kind:     hidden_grid_dims
    .group_segment_fixed_size: 8192
    .kernarg_segment_align: 8
    .kernarg_segment_size: 400
    .language:       OpenCL C
    .language_version:
      - 2
      - 0
    .max_flat_workgroup_size: 256
    .name:           _Z39paged_attention_ll4mi_QKV_mfma16_kernelI14__hip_bfloat16S0_LN4vllm18Fp8KVCacheDataTypeE0ES0_Li16ELi128ELi256ELb1ELi9EEvPKT_PKT0_S8_ifPKiSA_SA_iPKfiiiPfSD_PS3_PT2_iSC_SC_
    .private_segment_fixed_size: 0
    .sgpr_count:     48
    .sgpr_spill_count: 0
    .symbol:         _Z39paged_attention_ll4mi_QKV_mfma16_kernelI14__hip_bfloat16S0_LN4vllm18Fp8KVCacheDataTypeE0ES0_Li16ELi128ELi256ELb1ELi9EEvPKT_PKT0_S8_ifPKiSA_SA_iPKfiiiPfSD_PS3_PT2_iSC_SC_.kd
    .uniform_work_group_size: 1
    .uses_dynamic_stack: false
    .vgpr_count:     96
    .vgpr_spill_count: 0
    .wavefront_size: 64
  - .agpr_count:     0
    .args:
      - .actual_access:  read_only
        .address_space:  global
        .offset:         0
        .size:           8
        .value_kind:     global_buffer
      - .actual_access:  read_only
        .address_space:  global
        .offset:         8
        .size:           8
        .value_kind:     global_buffer
      - .actual_access:  read_only
        .address_space:  global
        .offset:         16
        .size:           8
        .value_kind:     global_buffer
      - .offset:         24
        .size:           4
        .value_kind:     by_value
      - .offset:         28
        .size:           4
        .value_kind:     by_value
      - .actual_access:  read_only
        .address_space:  global
        .offset:         32
        .size:           8
        .value_kind:     global_buffer
      - .actual_access:  read_only
        .address_space:  global
        .offset:         40
        .size:           8
        .value_kind:     global_buffer
      - .actual_access:  read_only
        .address_space:  global
        .offset:         48
        .size:           8
        .value_kind:     global_buffer
      - .offset:         56
        .size:           4
        .value_kind:     by_value
      - .actual_access:  read_only
        .address_space:  global
        .offset:         64
        .size:           8
        .value_kind:     global_buffer
      - .offset:         72
        .size:           4
        .value_kind:     by_value
      - .offset:         76
        .size:           4
        .value_kind:     by_value
      - .offset:         80
        .size:           4
        .value_kind:     by_value
      - .actual_access:  write_only
        .address_space:  global
        .offset:         88
        .size:           8
        .value_kind:     global_buffer
      - .actual_access:  write_only
        .address_space:  global
        .offset:         96
        .size:           8
        .value_kind:     global_buffer
      - .actual_access:  write_only
        .address_space:  global
        .offset:         104
        .size:           8
        .value_kind:     global_buffer
      - .actual_access:  read_only
        .address_space:  global
        .offset:         112
        .size:           8
        .value_kind:     global_buffer
      - .offset:         120
        .size:           4
        .value_kind:     by_value
      - .address_space:  global
        .offset:         128
        .size:           8
        .value_kind:     global_buffer
      - .address_space:  global
        .offset:         136
        .size:           8
        .value_kind:     global_buffer
      - .offset:         144
        .size:           4
        .value_kind:     hidden_block_count_x
      - .offset:         148
        .size:           4
        .value_kind:     hidden_block_count_y
      - .offset:         152
        .size:           4
        .value_kind:     hidden_block_count_z
      - .offset:         156
        .size:           2
        .value_kind:     hidden_group_size_x
      - .offset:         158
        .size:           2
        .value_kind:     hidden_group_size_y
      - .offset:         160
        .size:           2
        .value_kind:     hidden_group_size_z
      - .offset:         162
        .size:           2
        .value_kind:     hidden_remainder_x
      - .offset:         164
        .size:           2
        .value_kind:     hidden_remainder_y
      - .offset:         166
        .size:           2
        .value_kind:     hidden_remainder_z
      - .offset:         184
        .size:           8
        .value_kind:     hidden_global_offset_x
      - .offset:         192
        .size:           8
        .value_kind:     hidden_global_offset_y
      - .offset:         200
        .size:           8
        .value_kind:     hidden_global_offset_z
      - .offset:         208
        .size:           2
        .value_kind:     hidden_grid_dims
    .group_segment_fixed_size: 8192
    .kernarg_segment_align: 8
    .kernarg_segment_size: 400
    .language:       OpenCL C
    .language_version:
      - 2
      - 0
    .max_flat_workgroup_size: 256
    .name:           _Z39paged_attention_ll4mi_QKV_mfma16_kernelI14__hip_bfloat16S0_LN4vllm18Fp8KVCacheDataTypeE0ES0_Li16ELi128ELi256ELb1ELi10EEvPKT_PKT0_S8_ifPKiSA_SA_iPKfiiiPfSD_PS3_PT2_iSC_SC_
    .private_segment_fixed_size: 0
    .sgpr_count:     48
    .sgpr_spill_count: 0
    .symbol:         _Z39paged_attention_ll4mi_QKV_mfma16_kernelI14__hip_bfloat16S0_LN4vllm18Fp8KVCacheDataTypeE0ES0_Li16ELi128ELi256ELb1ELi10EEvPKT_PKT0_S8_ifPKiSA_SA_iPKfiiiPfSD_PS3_PT2_iSC_SC_.kd
    .uniform_work_group_size: 1
    .uses_dynamic_stack: false
    .vgpr_count:     96
    .vgpr_spill_count: 0
    .wavefront_size: 64
  - .agpr_count:     0
    .args:
      - .actual_access:  read_only
        .address_space:  global
        .offset:         0
        .size:           8
        .value_kind:     global_buffer
      - .actual_access:  read_only
        .address_space:  global
        .offset:         8
        .size:           8
        .value_kind:     global_buffer
      - .actual_access:  read_only
        .address_space:  global
        .offset:         16
        .size:           8
        .value_kind:     global_buffer
      - .offset:         24
        .size:           4
        .value_kind:     by_value
      - .offset:         28
        .size:           4
        .value_kind:     by_value
      - .actual_access:  read_only
        .address_space:  global
        .offset:         32
        .size:           8
        .value_kind:     global_buffer
      - .actual_access:  read_only
        .address_space:  global
        .offset:         40
        .size:           8
        .value_kind:     global_buffer
      - .actual_access:  read_only
        .address_space:  global
        .offset:         48
        .size:           8
        .value_kind:     global_buffer
      - .offset:         56
        .size:           4
        .value_kind:     by_value
      - .actual_access:  read_only
        .address_space:  global
        .offset:         64
        .size:           8
        .value_kind:     global_buffer
      - .offset:         72
        .size:           4
        .value_kind:     by_value
      - .offset:         76
        .size:           4
        .value_kind:     by_value
      - .offset:         80
        .size:           4
        .value_kind:     by_value
      - .actual_access:  write_only
        .address_space:  global
        .offset:         88
        .size:           8
        .value_kind:     global_buffer
      - .actual_access:  write_only
        .address_space:  global
        .offset:         96
        .size:           8
        .value_kind:     global_buffer
      - .actual_access:  write_only
        .address_space:  global
        .offset:         104
        .size:           8
        .value_kind:     global_buffer
      - .actual_access:  read_only
        .address_space:  global
        .offset:         112
        .size:           8
        .value_kind:     global_buffer
      - .offset:         120
        .size:           4
        .value_kind:     by_value
      - .address_space:  global
        .offset:         128
        .size:           8
        .value_kind:     global_buffer
      - .address_space:  global
        .offset:         136
        .size:           8
        .value_kind:     global_buffer
      - .offset:         144
        .size:           4
        .value_kind:     hidden_block_count_x
      - .offset:         148
        .size:           4
        .value_kind:     hidden_block_count_y
      - .offset:         152
        .size:           4
        .value_kind:     hidden_block_count_z
      - .offset:         156
        .size:           2
        .value_kind:     hidden_group_size_x
      - .offset:         158
        .size:           2
        .value_kind:     hidden_group_size_y
      - .offset:         160
        .size:           2
        .value_kind:     hidden_group_size_z
      - .offset:         162
        .size:           2
        .value_kind:     hidden_remainder_x
      - .offset:         164
        .size:           2
        .value_kind:     hidden_remainder_y
      - .offset:         166
        .size:           2
        .value_kind:     hidden_remainder_z
      - .offset:         184
        .size:           8
        .value_kind:     hidden_global_offset_x
      - .offset:         192
        .size:           8
        .value_kind:     hidden_global_offset_y
      - .offset:         200
        .size:           8
        .value_kind:     hidden_global_offset_z
      - .offset:         208
        .size:           2
        .value_kind:     hidden_grid_dims
    .group_segment_fixed_size: 8192
    .kernarg_segment_align: 8
    .kernarg_segment_size: 400
    .language:       OpenCL C
    .language_version:
      - 2
      - 0
    .max_flat_workgroup_size: 256
    .name:           _Z39paged_attention_ll4mi_QKV_mfma16_kernelI14__hip_bfloat16S0_LN4vllm18Fp8KVCacheDataTypeE0ES0_Li16ELi128ELi256ELb1ELi11EEvPKT_PKT0_S8_ifPKiSA_SA_iPKfiiiPfSD_PS3_PT2_iSC_SC_
    .private_segment_fixed_size: 0
    .sgpr_count:     48
    .sgpr_spill_count: 0
    .symbol:         _Z39paged_attention_ll4mi_QKV_mfma16_kernelI14__hip_bfloat16S0_LN4vllm18Fp8KVCacheDataTypeE0ES0_Li16ELi128ELi256ELb1ELi11EEvPKT_PKT0_S8_ifPKiSA_SA_iPKfiiiPfSD_PS3_PT2_iSC_SC_.kd
    .uniform_work_group_size: 1
    .uses_dynamic_stack: false
    .vgpr_count:     96
    .vgpr_spill_count: 0
    .wavefront_size: 64
  - .agpr_count:     0
    .args:
      - .actual_access:  read_only
        .address_space:  global
        .offset:         0
        .size:           8
        .value_kind:     global_buffer
      - .actual_access:  read_only
        .address_space:  global
        .offset:         8
        .size:           8
        .value_kind:     global_buffer
      - .actual_access:  read_only
        .address_space:  global
        .offset:         16
        .size:           8
        .value_kind:     global_buffer
      - .offset:         24
        .size:           4
        .value_kind:     by_value
      - .offset:         28
        .size:           4
        .value_kind:     by_value
      - .actual_access:  read_only
        .address_space:  global
        .offset:         32
        .size:           8
        .value_kind:     global_buffer
      - .actual_access:  read_only
        .address_space:  global
        .offset:         40
        .size:           8
        .value_kind:     global_buffer
      - .actual_access:  read_only
        .address_space:  global
        .offset:         48
        .size:           8
        .value_kind:     global_buffer
      - .offset:         56
        .size:           4
        .value_kind:     by_value
      - .actual_access:  read_only
        .address_space:  global
        .offset:         64
        .size:           8
        .value_kind:     global_buffer
      - .offset:         72
        .size:           4
        .value_kind:     by_value
      - .offset:         76
        .size:           4
        .value_kind:     by_value
      - .offset:         80
        .size:           4
        .value_kind:     by_value
      - .actual_access:  write_only
        .address_space:  global
        .offset:         88
        .size:           8
        .value_kind:     global_buffer
      - .actual_access:  write_only
        .address_space:  global
        .offset:         96
        .size:           8
        .value_kind:     global_buffer
      - .actual_access:  write_only
        .address_space:  global
        .offset:         104
        .size:           8
        .value_kind:     global_buffer
      - .actual_access:  read_only
        .address_space:  global
        .offset:         112
        .size:           8
        .value_kind:     global_buffer
      - .offset:         120
        .size:           4
        .value_kind:     by_value
      - .address_space:  global
        .offset:         128
        .size:           8
        .value_kind:     global_buffer
      - .address_space:  global
        .offset:         136
        .size:           8
        .value_kind:     global_buffer
      - .offset:         144
        .size:           4
        .value_kind:     hidden_block_count_x
      - .offset:         148
        .size:           4
        .value_kind:     hidden_block_count_y
      - .offset:         152
        .size:           4
        .value_kind:     hidden_block_count_z
      - .offset:         156
        .size:           2
        .value_kind:     hidden_group_size_x
      - .offset:         158
        .size:           2
        .value_kind:     hidden_group_size_y
      - .offset:         160
        .size:           2
        .value_kind:     hidden_group_size_z
      - .offset:         162
        .size:           2
        .value_kind:     hidden_remainder_x
      - .offset:         164
        .size:           2
        .value_kind:     hidden_remainder_y
      - .offset:         166
        .size:           2
        .value_kind:     hidden_remainder_z
      - .offset:         184
        .size:           8
        .value_kind:     hidden_global_offset_x
      - .offset:         192
        .size:           8
        .value_kind:     hidden_global_offset_y
      - .offset:         200
        .size:           8
        .value_kind:     hidden_global_offset_z
      - .offset:         208
        .size:           2
        .value_kind:     hidden_grid_dims
    .group_segment_fixed_size: 8192
    .kernarg_segment_align: 8
    .kernarg_segment_size: 400
    .language:       OpenCL C
    .language_version:
      - 2
      - 0
    .max_flat_workgroup_size: 256
    .name:           _Z39paged_attention_ll4mi_QKV_mfma16_kernelI14__hip_bfloat16S0_LN4vllm18Fp8KVCacheDataTypeE0ES0_Li16ELi128ELi256ELb1ELi12EEvPKT_PKT0_S8_ifPKiSA_SA_iPKfiiiPfSD_PS3_PT2_iSC_SC_
    .private_segment_fixed_size: 0
    .sgpr_count:     48
    .sgpr_spill_count: 0
    .symbol:         _Z39paged_attention_ll4mi_QKV_mfma16_kernelI14__hip_bfloat16S0_LN4vllm18Fp8KVCacheDataTypeE0ES0_Li16ELi128ELi256ELb1ELi12EEvPKT_PKT0_S8_ifPKiSA_SA_iPKfiiiPfSD_PS3_PT2_iSC_SC_.kd
    .uniform_work_group_size: 1
    .uses_dynamic_stack: false
    .vgpr_count:     96
    .vgpr_spill_count: 0
    .wavefront_size: 64
  - .agpr_count:     0
    .args:
      - .actual_access:  read_only
        .address_space:  global
        .offset:         0
        .size:           8
        .value_kind:     global_buffer
      - .actual_access:  read_only
        .address_space:  global
        .offset:         8
        .size:           8
        .value_kind:     global_buffer
      - .actual_access:  read_only
        .address_space:  global
        .offset:         16
        .size:           8
        .value_kind:     global_buffer
      - .offset:         24
        .size:           4
        .value_kind:     by_value
      - .offset:         28
        .size:           4
        .value_kind:     by_value
      - .actual_access:  read_only
        .address_space:  global
        .offset:         32
        .size:           8
        .value_kind:     global_buffer
      - .actual_access:  read_only
        .address_space:  global
        .offset:         40
        .size:           8
        .value_kind:     global_buffer
      - .actual_access:  read_only
        .address_space:  global
        .offset:         48
        .size:           8
        .value_kind:     global_buffer
      - .offset:         56
        .size:           4
        .value_kind:     by_value
      - .actual_access:  read_only
        .address_space:  global
        .offset:         64
        .size:           8
        .value_kind:     global_buffer
      - .offset:         72
        .size:           4
        .value_kind:     by_value
      - .offset:         76
        .size:           4
        .value_kind:     by_value
      - .offset:         80
        .size:           4
        .value_kind:     by_value
      - .actual_access:  write_only
        .address_space:  global
        .offset:         88
        .size:           8
        .value_kind:     global_buffer
      - .actual_access:  write_only
        .address_space:  global
        .offset:         96
        .size:           8
        .value_kind:     global_buffer
      - .actual_access:  write_only
        .address_space:  global
        .offset:         104
        .size:           8
        .value_kind:     global_buffer
      - .actual_access:  read_only
        .address_space:  global
        .offset:         112
        .size:           8
        .value_kind:     global_buffer
      - .offset:         120
        .size:           4
        .value_kind:     by_value
      - .address_space:  global
        .offset:         128
        .size:           8
        .value_kind:     global_buffer
      - .address_space:  global
        .offset:         136
        .size:           8
        .value_kind:     global_buffer
      - .offset:         144
        .size:           4
        .value_kind:     hidden_block_count_x
      - .offset:         148
        .size:           4
        .value_kind:     hidden_block_count_y
      - .offset:         152
        .size:           4
        .value_kind:     hidden_block_count_z
      - .offset:         156
        .size:           2
        .value_kind:     hidden_group_size_x
      - .offset:         158
        .size:           2
        .value_kind:     hidden_group_size_y
      - .offset:         160
        .size:           2
        .value_kind:     hidden_group_size_z
      - .offset:         162
        .size:           2
        .value_kind:     hidden_remainder_x
      - .offset:         164
        .size:           2
        .value_kind:     hidden_remainder_y
      - .offset:         166
        .size:           2
        .value_kind:     hidden_remainder_z
      - .offset:         184
        .size:           8
        .value_kind:     hidden_global_offset_x
      - .offset:         192
        .size:           8
        .value_kind:     hidden_global_offset_y
      - .offset:         200
        .size:           8
        .value_kind:     hidden_global_offset_z
      - .offset:         208
        .size:           2
        .value_kind:     hidden_grid_dims
    .group_segment_fixed_size: 8192
    .kernarg_segment_align: 8
    .kernarg_segment_size: 400
    .language:       OpenCL C
    .language_version:
      - 2
      - 0
    .max_flat_workgroup_size: 256
    .name:           _Z39paged_attention_ll4mi_QKV_mfma16_kernelI14__hip_bfloat16S0_LN4vllm18Fp8KVCacheDataTypeE0ES0_Li16ELi128ELi256ELb1ELi13EEvPKT_PKT0_S8_ifPKiSA_SA_iPKfiiiPfSD_PS3_PT2_iSC_SC_
    .private_segment_fixed_size: 0
    .sgpr_count:     48
    .sgpr_spill_count: 0
    .symbol:         _Z39paged_attention_ll4mi_QKV_mfma16_kernelI14__hip_bfloat16S0_LN4vllm18Fp8KVCacheDataTypeE0ES0_Li16ELi128ELi256ELb1ELi13EEvPKT_PKT0_S8_ifPKiSA_SA_iPKfiiiPfSD_PS3_PT2_iSC_SC_.kd
    .uniform_work_group_size: 1
    .uses_dynamic_stack: false
    .vgpr_count:     96
    .vgpr_spill_count: 0
    .wavefront_size: 64
  - .agpr_count:     0
    .args:
      - .actual_access:  read_only
        .address_space:  global
        .offset:         0
        .size:           8
        .value_kind:     global_buffer
      - .actual_access:  read_only
        .address_space:  global
        .offset:         8
        .size:           8
        .value_kind:     global_buffer
      - .actual_access:  read_only
        .address_space:  global
        .offset:         16
        .size:           8
        .value_kind:     global_buffer
      - .offset:         24
        .size:           4
        .value_kind:     by_value
      - .offset:         28
        .size:           4
        .value_kind:     by_value
      - .actual_access:  read_only
        .address_space:  global
        .offset:         32
        .size:           8
        .value_kind:     global_buffer
      - .actual_access:  read_only
        .address_space:  global
        .offset:         40
        .size:           8
        .value_kind:     global_buffer
      - .actual_access:  read_only
        .address_space:  global
        .offset:         48
        .size:           8
        .value_kind:     global_buffer
      - .offset:         56
        .size:           4
        .value_kind:     by_value
      - .actual_access:  read_only
        .address_space:  global
        .offset:         64
        .size:           8
        .value_kind:     global_buffer
      - .offset:         72
        .size:           4
        .value_kind:     by_value
      - .offset:         76
        .size:           4
        .value_kind:     by_value
      - .offset:         80
        .size:           4
        .value_kind:     by_value
      - .actual_access:  write_only
        .address_space:  global
        .offset:         88
        .size:           8
        .value_kind:     global_buffer
      - .actual_access:  write_only
        .address_space:  global
        .offset:         96
        .size:           8
        .value_kind:     global_buffer
      - .actual_access:  write_only
        .address_space:  global
        .offset:         104
        .size:           8
        .value_kind:     global_buffer
      - .actual_access:  read_only
        .address_space:  global
        .offset:         112
        .size:           8
        .value_kind:     global_buffer
      - .offset:         120
        .size:           4
        .value_kind:     by_value
      - .address_space:  global
        .offset:         128
        .size:           8
        .value_kind:     global_buffer
      - .address_space:  global
        .offset:         136
        .size:           8
        .value_kind:     global_buffer
      - .offset:         144
        .size:           4
        .value_kind:     hidden_block_count_x
      - .offset:         148
        .size:           4
        .value_kind:     hidden_block_count_y
      - .offset:         152
        .size:           4
        .value_kind:     hidden_block_count_z
      - .offset:         156
        .size:           2
        .value_kind:     hidden_group_size_x
      - .offset:         158
        .size:           2
        .value_kind:     hidden_group_size_y
      - .offset:         160
        .size:           2
        .value_kind:     hidden_group_size_z
      - .offset:         162
        .size:           2
        .value_kind:     hidden_remainder_x
      - .offset:         164
        .size:           2
        .value_kind:     hidden_remainder_y
      - .offset:         166
        .size:           2
        .value_kind:     hidden_remainder_z
      - .offset:         184
        .size:           8
        .value_kind:     hidden_global_offset_x
      - .offset:         192
        .size:           8
        .value_kind:     hidden_global_offset_y
      - .offset:         200
        .size:           8
        .value_kind:     hidden_global_offset_z
      - .offset:         208
        .size:           2
        .value_kind:     hidden_grid_dims
    .group_segment_fixed_size: 8192
    .kernarg_segment_align: 8
    .kernarg_segment_size: 400
    .language:       OpenCL C
    .language_version:
      - 2
      - 0
    .max_flat_workgroup_size: 256
    .name:           _Z39paged_attention_ll4mi_QKV_mfma16_kernelI14__hip_bfloat16S0_LN4vllm18Fp8KVCacheDataTypeE0ES0_Li16ELi128ELi256ELb1ELi14EEvPKT_PKT0_S8_ifPKiSA_SA_iPKfiiiPfSD_PS3_PT2_iSC_SC_
    .private_segment_fixed_size: 0
    .sgpr_count:     48
    .sgpr_spill_count: 0
    .symbol:         _Z39paged_attention_ll4mi_QKV_mfma16_kernelI14__hip_bfloat16S0_LN4vllm18Fp8KVCacheDataTypeE0ES0_Li16ELi128ELi256ELb1ELi14EEvPKT_PKT0_S8_ifPKiSA_SA_iPKfiiiPfSD_PS3_PT2_iSC_SC_.kd
    .uniform_work_group_size: 1
    .uses_dynamic_stack: false
    .vgpr_count:     96
    .vgpr_spill_count: 0
    .wavefront_size: 64
  - .agpr_count:     0
    .args:
      - .actual_access:  read_only
        .address_space:  global
        .offset:         0
        .size:           8
        .value_kind:     global_buffer
      - .actual_access:  read_only
        .address_space:  global
        .offset:         8
        .size:           8
        .value_kind:     global_buffer
      - .actual_access:  read_only
        .address_space:  global
        .offset:         16
        .size:           8
        .value_kind:     global_buffer
      - .offset:         24
        .size:           4
        .value_kind:     by_value
      - .offset:         28
        .size:           4
        .value_kind:     by_value
      - .actual_access:  read_only
        .address_space:  global
        .offset:         32
        .size:           8
        .value_kind:     global_buffer
      - .actual_access:  read_only
        .address_space:  global
        .offset:         40
        .size:           8
        .value_kind:     global_buffer
      - .actual_access:  read_only
        .address_space:  global
        .offset:         48
        .size:           8
        .value_kind:     global_buffer
      - .offset:         56
        .size:           4
        .value_kind:     by_value
      - .actual_access:  read_only
        .address_space:  global
        .offset:         64
        .size:           8
        .value_kind:     global_buffer
      - .offset:         72
        .size:           4
        .value_kind:     by_value
      - .offset:         76
        .size:           4
        .value_kind:     by_value
      - .offset:         80
        .size:           4
        .value_kind:     by_value
      - .actual_access:  write_only
        .address_space:  global
        .offset:         88
        .size:           8
        .value_kind:     global_buffer
      - .actual_access:  write_only
        .address_space:  global
        .offset:         96
        .size:           8
        .value_kind:     global_buffer
      - .actual_access:  write_only
        .address_space:  global
        .offset:         104
        .size:           8
        .value_kind:     global_buffer
      - .actual_access:  read_only
        .address_space:  global
        .offset:         112
        .size:           8
        .value_kind:     global_buffer
      - .offset:         120
        .size:           4
        .value_kind:     by_value
      - .address_space:  global
        .offset:         128
        .size:           8
        .value_kind:     global_buffer
      - .address_space:  global
        .offset:         136
        .size:           8
        .value_kind:     global_buffer
      - .offset:         144
        .size:           4
        .value_kind:     hidden_block_count_x
      - .offset:         148
        .size:           4
        .value_kind:     hidden_block_count_y
      - .offset:         152
        .size:           4
        .value_kind:     hidden_block_count_z
      - .offset:         156
        .size:           2
        .value_kind:     hidden_group_size_x
      - .offset:         158
        .size:           2
        .value_kind:     hidden_group_size_y
      - .offset:         160
        .size:           2
        .value_kind:     hidden_group_size_z
      - .offset:         162
        .size:           2
        .value_kind:     hidden_remainder_x
      - .offset:         164
        .size:           2
        .value_kind:     hidden_remainder_y
      - .offset:         166
        .size:           2
        .value_kind:     hidden_remainder_z
      - .offset:         184
        .size:           8
        .value_kind:     hidden_global_offset_x
      - .offset:         192
        .size:           8
        .value_kind:     hidden_global_offset_y
      - .offset:         200
        .size:           8
        .value_kind:     hidden_global_offset_z
      - .offset:         208
        .size:           2
        .value_kind:     hidden_grid_dims
    .group_segment_fixed_size: 8192
    .kernarg_segment_align: 8
    .kernarg_segment_size: 400
    .language:       OpenCL C
    .language_version:
      - 2
      - 0
    .max_flat_workgroup_size: 256
    .name:           _Z39paged_attention_ll4mi_QKV_mfma16_kernelI14__hip_bfloat16S0_LN4vllm18Fp8KVCacheDataTypeE0ES0_Li16ELi128ELi256ELb1ELi15EEvPKT_PKT0_S8_ifPKiSA_SA_iPKfiiiPfSD_PS3_PT2_iSC_SC_
    .private_segment_fixed_size: 0
    .sgpr_count:     48
    .sgpr_spill_count: 0
    .symbol:         _Z39paged_attention_ll4mi_QKV_mfma16_kernelI14__hip_bfloat16S0_LN4vllm18Fp8KVCacheDataTypeE0ES0_Li16ELi128ELi256ELb1ELi15EEvPKT_PKT0_S8_ifPKiSA_SA_iPKfiiiPfSD_PS3_PT2_iSC_SC_.kd
    .uniform_work_group_size: 1
    .uses_dynamic_stack: false
    .vgpr_count:     96
    .vgpr_spill_count: 0
    .wavefront_size: 64
  - .agpr_count:     0
    .args:
      - .actual_access:  read_only
        .address_space:  global
        .offset:         0
        .size:           8
        .value_kind:     global_buffer
      - .actual_access:  read_only
        .address_space:  global
        .offset:         8
        .size:           8
        .value_kind:     global_buffer
      - .actual_access:  read_only
        .address_space:  global
        .offset:         16
        .size:           8
        .value_kind:     global_buffer
      - .offset:         24
        .size:           4
        .value_kind:     by_value
      - .offset:         28
        .size:           4
        .value_kind:     by_value
      - .actual_access:  read_only
        .address_space:  global
        .offset:         32
        .size:           8
        .value_kind:     global_buffer
      - .actual_access:  read_only
        .address_space:  global
        .offset:         40
        .size:           8
        .value_kind:     global_buffer
      - .actual_access:  read_only
        .address_space:  global
        .offset:         48
        .size:           8
        .value_kind:     global_buffer
      - .offset:         56
        .size:           4
        .value_kind:     by_value
      - .actual_access:  read_only
        .address_space:  global
        .offset:         64
        .size:           8
        .value_kind:     global_buffer
      - .offset:         72
        .size:           4
        .value_kind:     by_value
      - .offset:         76
        .size:           4
        .value_kind:     by_value
      - .offset:         80
        .size:           4
        .value_kind:     by_value
      - .actual_access:  write_only
        .address_space:  global
        .offset:         88
        .size:           8
        .value_kind:     global_buffer
      - .actual_access:  write_only
        .address_space:  global
        .offset:         96
        .size:           8
        .value_kind:     global_buffer
      - .actual_access:  write_only
        .address_space:  global
        .offset:         104
        .size:           8
        .value_kind:     global_buffer
      - .actual_access:  read_only
        .address_space:  global
        .offset:         112
        .size:           8
        .value_kind:     global_buffer
      - .offset:         120
        .size:           4
        .value_kind:     by_value
      - .address_space:  global
        .offset:         128
        .size:           8
        .value_kind:     global_buffer
      - .address_space:  global
        .offset:         136
        .size:           8
        .value_kind:     global_buffer
      - .offset:         144
        .size:           4
        .value_kind:     hidden_block_count_x
      - .offset:         148
        .size:           4
        .value_kind:     hidden_block_count_y
      - .offset:         152
        .size:           4
        .value_kind:     hidden_block_count_z
      - .offset:         156
        .size:           2
        .value_kind:     hidden_group_size_x
      - .offset:         158
        .size:           2
        .value_kind:     hidden_group_size_y
      - .offset:         160
        .size:           2
        .value_kind:     hidden_group_size_z
      - .offset:         162
        .size:           2
        .value_kind:     hidden_remainder_x
      - .offset:         164
        .size:           2
        .value_kind:     hidden_remainder_y
      - .offset:         166
        .size:           2
        .value_kind:     hidden_remainder_z
      - .offset:         184
        .size:           8
        .value_kind:     hidden_global_offset_x
      - .offset:         192
        .size:           8
        .value_kind:     hidden_global_offset_y
      - .offset:         200
        .size:           8
        .value_kind:     hidden_global_offset_z
      - .offset:         208
        .size:           2
        .value_kind:     hidden_grid_dims
    .group_segment_fixed_size: 8192
    .kernarg_segment_align: 8
    .kernarg_segment_size: 400
    .language:       OpenCL C
    .language_version:
      - 2
      - 0
    .max_flat_workgroup_size: 256
    .name:           _Z39paged_attention_ll4mi_QKV_mfma16_kernelI14__hip_bfloat16S0_LN4vllm18Fp8KVCacheDataTypeE0ES0_Li16ELi128ELi256ELb1ELi16EEvPKT_PKT0_S8_ifPKiSA_SA_iPKfiiiPfSD_PS3_PT2_iSC_SC_
    .private_segment_fixed_size: 16
    .sgpr_count:     47
    .sgpr_spill_count: 0
    .symbol:         _Z39paged_attention_ll4mi_QKV_mfma16_kernelI14__hip_bfloat16S0_LN4vllm18Fp8KVCacheDataTypeE0ES0_Li16ELi128ELi256ELb1ELi16EEvPKT_PKT0_S8_ifPKiSA_SA_iPKfiiiPfSD_PS3_PT2_iSC_SC_.kd
    .uniform_work_group_size: 1
    .uses_dynamic_stack: false
    .vgpr_count:     96
    .vgpr_spill_count: 5
    .wavefront_size: 64
  - .agpr_count:     0
    .args:
      - .actual_access:  write_only
        .address_space:  global
        .offset:         0
        .size:           8
        .value_kind:     global_buffer
      - .actual_access:  read_only
        .address_space:  global
        .offset:         8
        .size:           8
        .value_kind:     global_buffer
      - .actual_access:  read_only
        .address_space:  global
        .offset:         16
        .size:           8
        .value_kind:     global_buffer
      - .actual_access:  read_only
        .address_space:  global
        .offset:         24
        .size:           8
        .value_kind:     global_buffer
      - .actual_access:  read_only
        .address_space:  global
        .offset:         32
        .size:           8
        .value_kind:     global_buffer
      - .actual_access:  read_only
        .address_space:  global
        .offset:         40
        .size:           8
        .value_kind:     global_buffer
      - .offset:         48
        .size:           4
        .value_kind:     by_value
      - .actual_access:  read_only
        .address_space:  global
        .offset:         56
        .size:           8
        .value_kind:     global_buffer
      - .offset:         64
        .size:           4
        .value_kind:     hidden_block_count_x
      - .offset:         68
        .size:           4
        .value_kind:     hidden_block_count_y
      - .offset:         72
        .size:           4
        .value_kind:     hidden_block_count_z
      - .offset:         76
        .size:           2
        .value_kind:     hidden_group_size_x
      - .offset:         78
        .size:           2
        .value_kind:     hidden_group_size_y
      - .offset:         80
        .size:           2
        .value_kind:     hidden_group_size_z
      - .offset:         82
        .size:           2
        .value_kind:     hidden_remainder_x
      - .offset:         84
        .size:           2
        .value_kind:     hidden_remainder_y
      - .offset:         86
        .size:           2
        .value_kind:     hidden_remainder_z
      - .offset:         104
        .size:           8
        .value_kind:     hidden_global_offset_x
      - .offset:         112
        .size:           8
        .value_kind:     hidden_global_offset_y
      - .offset:         120
        .size:           8
        .value_kind:     hidden_global_offset_z
      - .offset:         128
        .size:           2
        .value_kind:     hidden_grid_dims
    .group_segment_fixed_size: 260
    .kernarg_segment_align: 8
    .kernarg_segment_size: 320
    .language:       OpenCL C
    .language_version:
      - 2
      - 0
    .max_flat_workgroup_size: 128
    .name:           _Z35paged_attention_ll4mi_reduce_kernelI14__hip_bfloat16S0_Li128ELi128ELi256ELi1EEvPT0_PKfS4_PKT_PKiS9_iS4_
    .private_segment_fixed_size: 0
    .sgpr_count:     36
    .sgpr_spill_count: 0
    .symbol:         _Z35paged_attention_ll4mi_reduce_kernelI14__hip_bfloat16S0_Li128ELi128ELi256ELi1EEvPT0_PKfS4_PKT_PKiS9_iS4_.kd
    .uniform_work_group_size: 1
    .uses_dynamic_stack: false
    .vgpr_count:     116
    .vgpr_spill_count: 0
    .wavefront_size: 64
  - .agpr_count:     0
    .args:
      - .actual_access:  write_only
        .address_space:  global
        .offset:         0
        .size:           8
        .value_kind:     global_buffer
      - .actual_access:  read_only
        .address_space:  global
        .offset:         8
        .size:           8
        .value_kind:     global_buffer
      - .actual_access:  read_only
        .address_space:  global
        .offset:         16
        .size:           8
        .value_kind:     global_buffer
      - .actual_access:  read_only
        .address_space:  global
        .offset:         24
        .size:           8
        .value_kind:     global_buffer
      - .actual_access:  read_only
        .address_space:  global
        .offset:         32
        .size:           8
        .value_kind:     global_buffer
      - .actual_access:  read_only
        .address_space:  global
        .offset:         40
        .size:           8
        .value_kind:     global_buffer
      - .offset:         48
        .size:           4
        .value_kind:     by_value
      - .actual_access:  read_only
        .address_space:  global
        .offset:         56
        .size:           8
        .value_kind:     global_buffer
      - .offset:         64
        .size:           4
        .value_kind:     hidden_block_count_x
      - .offset:         68
        .size:           4
        .value_kind:     hidden_block_count_y
      - .offset:         72
        .size:           4
        .value_kind:     hidden_block_count_z
      - .offset:         76
        .size:           2
        .value_kind:     hidden_group_size_x
      - .offset:         78
        .size:           2
        .value_kind:     hidden_group_size_y
      - .offset:         80
        .size:           2
        .value_kind:     hidden_group_size_z
      - .offset:         82
        .size:           2
        .value_kind:     hidden_remainder_x
      - .offset:         84
        .size:           2
        .value_kind:     hidden_remainder_y
      - .offset:         86
        .size:           2
        .value_kind:     hidden_remainder_z
      - .offset:         104
        .size:           8
        .value_kind:     hidden_global_offset_x
      - .offset:         112
        .size:           8
        .value_kind:     hidden_global_offset_y
      - .offset:         120
        .size:           8
        .value_kind:     hidden_global_offset_z
      - .offset:         128
        .size:           2
        .value_kind:     hidden_grid_dims
    .group_segment_fixed_size: 516
    .kernarg_segment_align: 8
    .kernarg_segment_size: 320
    .language:       OpenCL C
    .language_version:
      - 2
      - 0
    .max_flat_workgroup_size: 128
    .name:           _Z35paged_attention_ll4mi_reduce_kernelI14__hip_bfloat16S0_Li128ELi128ELi256ELi2EEvPT0_PKfS4_PKT_PKiS9_iS4_
    .private_segment_fixed_size: 0
    .sgpr_count:     38
    .sgpr_spill_count: 0
    .symbol:         _Z35paged_attention_ll4mi_reduce_kernelI14__hip_bfloat16S0_Li128ELi128ELi256ELi2EEvPT0_PKfS4_PKT_PKiS9_iS4_.kd
    .uniform_work_group_size: 1
    .uses_dynamic_stack: false
    .vgpr_count:     125
    .vgpr_spill_count: 0
    .wavefront_size: 64
  - .agpr_count:     0
    .args:
      - .actual_access:  write_only
        .address_space:  global
        .offset:         0
        .size:           8
        .value_kind:     global_buffer
      - .actual_access:  read_only
        .address_space:  global
        .offset:         8
        .size:           8
        .value_kind:     global_buffer
      - .actual_access:  read_only
        .address_space:  global
        .offset:         16
        .size:           8
        .value_kind:     global_buffer
      - .actual_access:  read_only
        .address_space:  global
        .offset:         24
        .size:           8
        .value_kind:     global_buffer
      - .actual_access:  read_only
        .address_space:  global
        .offset:         32
        .size:           8
        .value_kind:     global_buffer
      - .actual_access:  read_only
        .address_space:  global
        .offset:         40
        .size:           8
        .value_kind:     global_buffer
      - .offset:         48
        .size:           4
        .value_kind:     by_value
      - .actual_access:  read_only
        .address_space:  global
        .offset:         56
        .size:           8
        .value_kind:     global_buffer
      - .offset:         64
        .size:           4
        .value_kind:     hidden_block_count_x
      - .offset:         68
        .size:           4
        .value_kind:     hidden_block_count_y
      - .offset:         72
        .size:           4
        .value_kind:     hidden_block_count_z
      - .offset:         76
        .size:           2
        .value_kind:     hidden_group_size_x
      - .offset:         78
        .size:           2
        .value_kind:     hidden_group_size_y
      - .offset:         80
        .size:           2
        .value_kind:     hidden_group_size_z
      - .offset:         82
        .size:           2
        .value_kind:     hidden_remainder_x
      - .offset:         84
        .size:           2
        .value_kind:     hidden_remainder_y
      - .offset:         86
        .size:           2
        .value_kind:     hidden_remainder_z
      - .offset:         104
        .size:           8
        .value_kind:     hidden_global_offset_x
      - .offset:         112
        .size:           8
        .value_kind:     hidden_global_offset_y
      - .offset:         120
        .size:           8
        .value_kind:     hidden_global_offset_z
      - .offset:         128
        .size:           2
        .value_kind:     hidden_grid_dims
    .group_segment_fixed_size: 772
    .kernarg_segment_align: 8
    .kernarg_segment_size: 320
    .language:       OpenCL C
    .language_version:
      - 2
      - 0
    .max_flat_workgroup_size: 128
    .name:           _Z35paged_attention_ll4mi_reduce_kernelI14__hip_bfloat16S0_Li128ELi128ELi256ELi3EEvPT0_PKfS4_PKT_PKiS9_iS4_
    .private_segment_fixed_size: 0
    .sgpr_count:     42
    .sgpr_spill_count: 0
    .symbol:         _Z35paged_attention_ll4mi_reduce_kernelI14__hip_bfloat16S0_Li128ELi128ELi256ELi3EEvPT0_PKfS4_PKT_PKiS9_iS4_.kd
    .uniform_work_group_size: 1
    .uses_dynamic_stack: false
    .vgpr_count:     125
    .vgpr_spill_count: 0
    .wavefront_size: 64
  - .agpr_count:     0
    .args:
      - .actual_access:  write_only
        .address_space:  global
        .offset:         0
        .size:           8
        .value_kind:     global_buffer
      - .actual_access:  read_only
        .address_space:  global
        .offset:         8
        .size:           8
        .value_kind:     global_buffer
      - .actual_access:  read_only
        .address_space:  global
        .offset:         16
        .size:           8
        .value_kind:     global_buffer
      - .actual_access:  read_only
        .address_space:  global
        .offset:         24
        .size:           8
        .value_kind:     global_buffer
      - .actual_access:  read_only
        .address_space:  global
        .offset:         32
        .size:           8
        .value_kind:     global_buffer
      - .actual_access:  read_only
        .address_space:  global
        .offset:         40
        .size:           8
        .value_kind:     global_buffer
      - .offset:         48
        .size:           4
        .value_kind:     by_value
      - .actual_access:  read_only
        .address_space:  global
        .offset:         56
        .size:           8
        .value_kind:     global_buffer
      - .offset:         64
        .size:           4
        .value_kind:     hidden_block_count_x
      - .offset:         68
        .size:           4
        .value_kind:     hidden_block_count_y
      - .offset:         72
        .size:           4
        .value_kind:     hidden_block_count_z
      - .offset:         76
        .size:           2
        .value_kind:     hidden_group_size_x
      - .offset:         78
        .size:           2
        .value_kind:     hidden_group_size_y
      - .offset:         80
        .size:           2
        .value_kind:     hidden_group_size_z
      - .offset:         82
        .size:           2
        .value_kind:     hidden_remainder_x
      - .offset:         84
        .size:           2
        .value_kind:     hidden_remainder_y
      - .offset:         86
        .size:           2
        .value_kind:     hidden_remainder_z
      - .offset:         104
        .size:           8
        .value_kind:     hidden_global_offset_x
      - .offset:         112
        .size:           8
        .value_kind:     hidden_global_offset_y
      - .offset:         120
        .size:           8
        .value_kind:     hidden_global_offset_z
      - .offset:         128
        .size:           2
        .value_kind:     hidden_grid_dims
    .group_segment_fixed_size: 1028
    .kernarg_segment_align: 8
    .kernarg_segment_size: 320
    .language:       OpenCL C
    .language_version:
      - 2
      - 0
    .max_flat_workgroup_size: 128
    .name:           _Z35paged_attention_ll4mi_reduce_kernelI14__hip_bfloat16S0_Li128ELi128ELi256ELi4EEvPT0_PKfS4_PKT_PKiS9_iS4_
    .private_segment_fixed_size: 0
    .sgpr_count:     44
    .sgpr_spill_count: 0
    .symbol:         _Z35paged_attention_ll4mi_reduce_kernelI14__hip_bfloat16S0_Li128ELi128ELi256ELi4EEvPT0_PKfS4_PKT_PKiS9_iS4_.kd
    .uniform_work_group_size: 1
    .uses_dynamic_stack: false
    .vgpr_count:     126
    .vgpr_spill_count: 0
    .wavefront_size: 64
  - .agpr_count:     0
    .args:
      - .actual_access:  write_only
        .address_space:  global
        .offset:         0
        .size:           8
        .value_kind:     global_buffer
      - .actual_access:  read_only
        .address_space:  global
        .offset:         8
        .size:           8
        .value_kind:     global_buffer
      - .actual_access:  read_only
        .address_space:  global
        .offset:         16
        .size:           8
        .value_kind:     global_buffer
      - .actual_access:  read_only
        .address_space:  global
        .offset:         24
        .size:           8
        .value_kind:     global_buffer
      - .actual_access:  read_only
        .address_space:  global
        .offset:         32
        .size:           8
        .value_kind:     global_buffer
      - .actual_access:  read_only
        .address_space:  global
        .offset:         40
        .size:           8
        .value_kind:     global_buffer
      - .offset:         48
        .size:           4
        .value_kind:     by_value
      - .actual_access:  read_only
        .address_space:  global
        .offset:         56
        .size:           8
        .value_kind:     global_buffer
      - .offset:         64
        .size:           4
        .value_kind:     hidden_block_count_x
      - .offset:         68
        .size:           4
        .value_kind:     hidden_block_count_y
      - .offset:         72
        .size:           4
        .value_kind:     hidden_block_count_z
      - .offset:         76
        .size:           2
        .value_kind:     hidden_group_size_x
      - .offset:         78
        .size:           2
        .value_kind:     hidden_group_size_y
      - .offset:         80
        .size:           2
        .value_kind:     hidden_group_size_z
      - .offset:         82
        .size:           2
        .value_kind:     hidden_remainder_x
      - .offset:         84
        .size:           2
        .value_kind:     hidden_remainder_y
      - .offset:         86
        .size:           2
        .value_kind:     hidden_remainder_z
      - .offset:         104
        .size:           8
        .value_kind:     hidden_global_offset_x
      - .offset:         112
        .size:           8
        .value_kind:     hidden_global_offset_y
      - .offset:         120
        .size:           8
        .value_kind:     hidden_global_offset_z
      - .offset:         128
        .size:           2
        .value_kind:     hidden_grid_dims
    .group_segment_fixed_size: 1284
    .kernarg_segment_align: 8
    .kernarg_segment_size: 320
    .language:       OpenCL C
    .language_version:
      - 2
      - 0
    .max_flat_workgroup_size: 128
    .name:           _Z35paged_attention_ll4mi_reduce_kernelI14__hip_bfloat16S0_Li128ELi128ELi256ELi5EEvPT0_PKfS4_PKT_PKiS9_iS4_
    .private_segment_fixed_size: 0
    .sgpr_count:     46
    .sgpr_spill_count: 0
    .symbol:         _Z35paged_attention_ll4mi_reduce_kernelI14__hip_bfloat16S0_Li128ELi128ELi256ELi5EEvPT0_PKfS4_PKT_PKiS9_iS4_.kd
    .uniform_work_group_size: 1
    .uses_dynamic_stack: false
    .vgpr_count:     126
    .vgpr_spill_count: 0
    .wavefront_size: 64
  - .agpr_count:     0
    .args:
      - .actual_access:  write_only
        .address_space:  global
        .offset:         0
        .size:           8
        .value_kind:     global_buffer
      - .actual_access:  read_only
        .address_space:  global
        .offset:         8
        .size:           8
        .value_kind:     global_buffer
      - .actual_access:  read_only
        .address_space:  global
        .offset:         16
        .size:           8
        .value_kind:     global_buffer
      - .actual_access:  read_only
        .address_space:  global
        .offset:         24
        .size:           8
        .value_kind:     global_buffer
      - .actual_access:  read_only
        .address_space:  global
        .offset:         32
        .size:           8
        .value_kind:     global_buffer
      - .actual_access:  read_only
        .address_space:  global
        .offset:         40
        .size:           8
        .value_kind:     global_buffer
      - .offset:         48
        .size:           4
        .value_kind:     by_value
      - .actual_access:  read_only
        .address_space:  global
        .offset:         56
        .size:           8
        .value_kind:     global_buffer
      - .offset:         64
        .size:           4
        .value_kind:     hidden_block_count_x
      - .offset:         68
        .size:           4
        .value_kind:     hidden_block_count_y
      - .offset:         72
        .size:           4
        .value_kind:     hidden_block_count_z
      - .offset:         76
        .size:           2
        .value_kind:     hidden_group_size_x
      - .offset:         78
        .size:           2
        .value_kind:     hidden_group_size_y
      - .offset:         80
        .size:           2
        .value_kind:     hidden_group_size_z
      - .offset:         82
        .size:           2
        .value_kind:     hidden_remainder_x
      - .offset:         84
        .size:           2
        .value_kind:     hidden_remainder_y
      - .offset:         86
        .size:           2
        .value_kind:     hidden_remainder_z
      - .offset:         104
        .size:           8
        .value_kind:     hidden_global_offset_x
      - .offset:         112
        .size:           8
        .value_kind:     hidden_global_offset_y
      - .offset:         120
        .size:           8
        .value_kind:     hidden_global_offset_z
      - .offset:         128
        .size:           2
        .value_kind:     hidden_grid_dims
    .group_segment_fixed_size: 1540
    .kernarg_segment_align: 8
    .kernarg_segment_size: 320
    .language:       OpenCL C
    .language_version:
      - 2
      - 0
    .max_flat_workgroup_size: 128
    .name:           _Z35paged_attention_ll4mi_reduce_kernelI14__hip_bfloat16S0_Li128ELi128ELi256ELi6EEvPT0_PKfS4_PKT_PKiS9_iS4_
    .private_segment_fixed_size: 0
    .sgpr_count:     48
    .sgpr_spill_count: 0
    .symbol:         _Z35paged_attention_ll4mi_reduce_kernelI14__hip_bfloat16S0_Li128ELi128ELi256ELi6EEvPT0_PKfS4_PKT_PKiS9_iS4_.kd
    .uniform_work_group_size: 1
    .uses_dynamic_stack: false
    .vgpr_count:     126
    .vgpr_spill_count: 0
    .wavefront_size: 64
  - .agpr_count:     0
    .args:
      - .actual_access:  write_only
        .address_space:  global
        .offset:         0
        .size:           8
        .value_kind:     global_buffer
      - .actual_access:  read_only
        .address_space:  global
        .offset:         8
        .size:           8
        .value_kind:     global_buffer
      - .actual_access:  read_only
        .address_space:  global
        .offset:         16
        .size:           8
        .value_kind:     global_buffer
      - .actual_access:  read_only
        .address_space:  global
        .offset:         24
        .size:           8
        .value_kind:     global_buffer
      - .actual_access:  read_only
        .address_space:  global
        .offset:         32
        .size:           8
        .value_kind:     global_buffer
      - .actual_access:  read_only
        .address_space:  global
        .offset:         40
        .size:           8
        .value_kind:     global_buffer
      - .offset:         48
        .size:           4
        .value_kind:     by_value
      - .actual_access:  read_only
        .address_space:  global
        .offset:         56
        .size:           8
        .value_kind:     global_buffer
      - .offset:         64
        .size:           4
        .value_kind:     hidden_block_count_x
      - .offset:         68
        .size:           4
        .value_kind:     hidden_block_count_y
      - .offset:         72
        .size:           4
        .value_kind:     hidden_block_count_z
      - .offset:         76
        .size:           2
        .value_kind:     hidden_group_size_x
      - .offset:         78
        .size:           2
        .value_kind:     hidden_group_size_y
      - .offset:         80
        .size:           2
        .value_kind:     hidden_group_size_z
      - .offset:         82
        .size:           2
        .value_kind:     hidden_remainder_x
      - .offset:         84
        .size:           2
        .value_kind:     hidden_remainder_y
      - .offset:         86
        .size:           2
        .value_kind:     hidden_remainder_z
      - .offset:         104
        .size:           8
        .value_kind:     hidden_global_offset_x
      - .offset:         112
        .size:           8
        .value_kind:     hidden_global_offset_y
      - .offset:         120
        .size:           8
        .value_kind:     hidden_global_offset_z
      - .offset:         128
        .size:           2
        .value_kind:     hidden_grid_dims
    .group_segment_fixed_size: 1796
    .kernarg_segment_align: 8
    .kernarg_segment_size: 320
    .language:       OpenCL C
    .language_version:
      - 2
      - 0
    .max_flat_workgroup_size: 128
    .name:           _Z35paged_attention_ll4mi_reduce_kernelI14__hip_bfloat16S0_Li128ELi128ELi256ELi7EEvPT0_PKfS4_PKT_PKiS9_iS4_
    .private_segment_fixed_size: 0
    .sgpr_count:     50
    .sgpr_spill_count: 0
    .symbol:         _Z35paged_attention_ll4mi_reduce_kernelI14__hip_bfloat16S0_Li128ELi128ELi256ELi7EEvPT0_PKfS4_PKT_PKiS9_iS4_.kd
    .uniform_work_group_size: 1
    .uses_dynamic_stack: false
    .vgpr_count:     126
    .vgpr_spill_count: 0
    .wavefront_size: 64
  - .agpr_count:     0
    .args:
      - .actual_access:  write_only
        .address_space:  global
        .offset:         0
        .size:           8
        .value_kind:     global_buffer
      - .actual_access:  read_only
        .address_space:  global
        .offset:         8
        .size:           8
        .value_kind:     global_buffer
      - .actual_access:  read_only
        .address_space:  global
        .offset:         16
        .size:           8
        .value_kind:     global_buffer
      - .actual_access:  read_only
        .address_space:  global
        .offset:         24
        .size:           8
        .value_kind:     global_buffer
      - .actual_access:  read_only
        .address_space:  global
        .offset:         32
        .size:           8
        .value_kind:     global_buffer
      - .actual_access:  read_only
        .address_space:  global
        .offset:         40
        .size:           8
        .value_kind:     global_buffer
      - .offset:         48
        .size:           4
        .value_kind:     by_value
      - .actual_access:  read_only
        .address_space:  global
        .offset:         56
        .size:           8
        .value_kind:     global_buffer
      - .offset:         64
        .size:           4
        .value_kind:     hidden_block_count_x
      - .offset:         68
        .size:           4
        .value_kind:     hidden_block_count_y
      - .offset:         72
        .size:           4
        .value_kind:     hidden_block_count_z
      - .offset:         76
        .size:           2
        .value_kind:     hidden_group_size_x
      - .offset:         78
        .size:           2
        .value_kind:     hidden_group_size_y
      - .offset:         80
        .size:           2
        .value_kind:     hidden_group_size_z
      - .offset:         82
        .size:           2
        .value_kind:     hidden_remainder_x
      - .offset:         84
        .size:           2
        .value_kind:     hidden_remainder_y
      - .offset:         86
        .size:           2
        .value_kind:     hidden_remainder_z
      - .offset:         104
        .size:           8
        .value_kind:     hidden_global_offset_x
      - .offset:         112
        .size:           8
        .value_kind:     hidden_global_offset_y
      - .offset:         120
        .size:           8
        .value_kind:     hidden_global_offset_z
      - .offset:         128
        .size:           2
        .value_kind:     hidden_grid_dims
    .group_segment_fixed_size: 2052
    .kernarg_segment_align: 8
    .kernarg_segment_size: 320
    .language:       OpenCL C
    .language_version:
      - 2
      - 0
    .max_flat_workgroup_size: 128
    .name:           _Z35paged_attention_ll4mi_reduce_kernelI14__hip_bfloat16S0_Li128ELi128ELi256ELi8EEvPT0_PKfS4_PKT_PKiS9_iS4_
    .private_segment_fixed_size: 0
    .sgpr_count:     51
    .sgpr_spill_count: 0
    .symbol:         _Z35paged_attention_ll4mi_reduce_kernelI14__hip_bfloat16S0_Li128ELi128ELi256ELi8EEvPT0_PKfS4_PKT_PKiS9_iS4_.kd
    .uniform_work_group_size: 1
    .uses_dynamic_stack: false
    .vgpr_count:     126
    .vgpr_spill_count: 0
    .wavefront_size: 64
  - .agpr_count:     0
    .args:
      - .actual_access:  read_only
        .address_space:  global
        .offset:         0
        .size:           8
        .value_kind:     global_buffer
      - .actual_access:  read_only
        .address_space:  global
        .offset:         8
        .size:           8
        .value_kind:     global_buffer
      - .actual_access:  read_only
        .address_space:  global
        .offset:         16
        .size:           8
        .value_kind:     global_buffer
      - .offset:         24
        .size:           4
        .value_kind:     by_value
      - .offset:         28
        .size:           4
        .value_kind:     by_value
      - .actual_access:  read_only
        .address_space:  global
        .offset:         32
        .size:           8
        .value_kind:     global_buffer
      - .actual_access:  read_only
        .address_space:  global
        .offset:         40
        .size:           8
        .value_kind:     global_buffer
      - .actual_access:  read_only
        .address_space:  global
        .offset:         48
        .size:           8
        .value_kind:     global_buffer
      - .offset:         56
        .size:           4
        .value_kind:     by_value
      - .actual_access:  read_only
        .address_space:  global
        .offset:         64
        .size:           8
        .value_kind:     global_buffer
      - .offset:         72
        .size:           4
        .value_kind:     by_value
      - .offset:         76
        .size:           4
        .value_kind:     by_value
      - .offset:         80
        .size:           4
        .value_kind:     by_value
      - .actual_access:  write_only
        .address_space:  global
        .offset:         88
        .size:           8
        .value_kind:     global_buffer
      - .actual_access:  write_only
        .address_space:  global
        .offset:         96
        .size:           8
        .value_kind:     global_buffer
      - .actual_access:  write_only
        .address_space:  global
        .offset:         104
        .size:           8
        .value_kind:     global_buffer
      - .actual_access:  read_only
        .address_space:  global
        .offset:         112
        .size:           8
        .value_kind:     global_buffer
      - .offset:         120
        .size:           4
        .value_kind:     by_value
      - .address_space:  global
        .offset:         128
        .size:           8
        .value_kind:     global_buffer
      - .address_space:  global
        .offset:         136
        .size:           8
        .value_kind:     global_buffer
      - .offset:         144
        .size:           4
        .value_kind:     hidden_block_count_x
      - .offset:         148
        .size:           4
        .value_kind:     hidden_block_count_y
      - .offset:         152
        .size:           4
        .value_kind:     hidden_block_count_z
      - .offset:         156
        .size:           2
        .value_kind:     hidden_group_size_x
      - .offset:         158
        .size:           2
        .value_kind:     hidden_group_size_y
      - .offset:         160
        .size:           2
        .value_kind:     hidden_group_size_z
      - .offset:         162
        .size:           2
        .value_kind:     hidden_remainder_x
      - .offset:         164
        .size:           2
        .value_kind:     hidden_remainder_y
      - .offset:         166
        .size:           2
        .value_kind:     hidden_remainder_z
      - .offset:         184
        .size:           8
        .value_kind:     hidden_global_offset_x
      - .offset:         192
        .size:           8
        .value_kind:     hidden_global_offset_y
      - .offset:         200
        .size:           8
        .value_kind:     hidden_global_offset_z
      - .offset:         208
        .size:           2
        .value_kind:     hidden_grid_dims
    .group_segment_fixed_size: 8192
    .kernarg_segment_align: 8
    .kernarg_segment_size: 400
    .language:       OpenCL C
    .language_version:
      - 2
      - 0
    .max_flat_workgroup_size: 256
    .name:           _Z39paged_attention_ll4mi_QKV_mfma16_kernelI14__hip_bfloat16S0_LN4vllm18Fp8KVCacheDataTypeE0ES0_Li16ELi128ELi256ELb1ELi1EEvPKT_PKT0_S8_ifPKiSA_SA_iPKfiiiPfSD_PS3_PT2_iSC_SC_
    .private_segment_fixed_size: 8
    .sgpr_count:     48
    .sgpr_spill_count: 0
    .symbol:         _Z39paged_attention_ll4mi_QKV_mfma16_kernelI14__hip_bfloat16S0_LN4vllm18Fp8KVCacheDataTypeE0ES0_Li16ELi128ELi256ELb1ELi1EEvPKT_PKT0_S8_ifPKiSA_SA_iPKfiiiPfSD_PS3_PT2_iSC_SC_.kd
    .uniform_work_group_size: 1
    .uses_dynamic_stack: false
    .vgpr_count:     96
    .vgpr_spill_count: 1
    .wavefront_size: 64
  - .agpr_count:     0
    .args:
      - .actual_access:  read_only
        .address_space:  global
        .offset:         0
        .size:           8
        .value_kind:     global_buffer
      - .actual_access:  read_only
        .address_space:  global
        .offset:         8
        .size:           8
        .value_kind:     global_buffer
      - .actual_access:  read_only
        .address_space:  global
        .offset:         16
        .size:           8
        .value_kind:     global_buffer
      - .offset:         24
        .size:           4
        .value_kind:     by_value
      - .offset:         28
        .size:           4
        .value_kind:     by_value
      - .actual_access:  read_only
        .address_space:  global
        .offset:         32
        .size:           8
        .value_kind:     global_buffer
      - .actual_access:  read_only
        .address_space:  global
        .offset:         40
        .size:           8
        .value_kind:     global_buffer
      - .actual_access:  read_only
        .address_space:  global
        .offset:         48
        .size:           8
        .value_kind:     global_buffer
      - .offset:         56
        .size:           4
        .value_kind:     by_value
      - .actual_access:  read_only
        .address_space:  global
        .offset:         64
        .size:           8
        .value_kind:     global_buffer
      - .offset:         72
        .size:           4
        .value_kind:     by_value
      - .offset:         76
        .size:           4
        .value_kind:     by_value
      - .offset:         80
        .size:           4
        .value_kind:     by_value
      - .actual_access:  write_only
        .address_space:  global
        .offset:         88
        .size:           8
        .value_kind:     global_buffer
      - .actual_access:  write_only
        .address_space:  global
        .offset:         96
        .size:           8
        .value_kind:     global_buffer
      - .actual_access:  write_only
        .address_space:  global
        .offset:         104
        .size:           8
        .value_kind:     global_buffer
      - .actual_access:  read_only
        .address_space:  global
        .offset:         112
        .size:           8
        .value_kind:     global_buffer
      - .offset:         120
        .size:           4
        .value_kind:     by_value
      - .address_space:  global
        .offset:         128
        .size:           8
        .value_kind:     global_buffer
      - .address_space:  global
        .offset:         136
        .size:           8
        .value_kind:     global_buffer
      - .offset:         144
        .size:           4
        .value_kind:     hidden_block_count_x
      - .offset:         148
        .size:           4
        .value_kind:     hidden_block_count_y
      - .offset:         152
        .size:           4
        .value_kind:     hidden_block_count_z
      - .offset:         156
        .size:           2
        .value_kind:     hidden_group_size_x
      - .offset:         158
        .size:           2
        .value_kind:     hidden_group_size_y
      - .offset:         160
        .size:           2
        .value_kind:     hidden_group_size_z
      - .offset:         162
        .size:           2
        .value_kind:     hidden_remainder_x
      - .offset:         164
        .size:           2
        .value_kind:     hidden_remainder_y
      - .offset:         166
        .size:           2
        .value_kind:     hidden_remainder_z
      - .offset:         184
        .size:           8
        .value_kind:     hidden_global_offset_x
      - .offset:         192
        .size:           8
        .value_kind:     hidden_global_offset_y
      - .offset:         200
        .size:           8
        .value_kind:     hidden_global_offset_z
      - .offset:         208
        .size:           2
        .value_kind:     hidden_grid_dims
    .group_segment_fixed_size: 8192
    .kernarg_segment_align: 8
    .kernarg_segment_size: 400
    .language:       OpenCL C
    .language_version:
      - 2
      - 0
    .max_flat_workgroup_size: 256
    .name:           _Z39paged_attention_ll4mi_QKV_mfma16_kernelI14__hip_bfloat16S0_LN4vllm18Fp8KVCacheDataTypeE0ES0_Li16ELi128ELi256ELb1ELi2EEvPKT_PKT0_S8_ifPKiSA_SA_iPKfiiiPfSD_PS3_PT2_iSC_SC_
    .private_segment_fixed_size: 0
    .sgpr_count:     47
    .sgpr_spill_count: 0
    .symbol:         _Z39paged_attention_ll4mi_QKV_mfma16_kernelI14__hip_bfloat16S0_LN4vllm18Fp8KVCacheDataTypeE0ES0_Li16ELi128ELi256ELb1ELi2EEvPKT_PKT0_S8_ifPKiSA_SA_iPKfiiiPfSD_PS3_PT2_iSC_SC_.kd
    .uniform_work_group_size: 1
    .uses_dynamic_stack: false
    .vgpr_count:     96
    .vgpr_spill_count: 0
    .wavefront_size: 64
  - .agpr_count:     0
    .args:
      - .actual_access:  read_only
        .address_space:  global
        .offset:         0
        .size:           8
        .value_kind:     global_buffer
      - .actual_access:  read_only
        .address_space:  global
        .offset:         8
        .size:           8
        .value_kind:     global_buffer
      - .actual_access:  read_only
        .address_space:  global
        .offset:         16
        .size:           8
        .value_kind:     global_buffer
      - .offset:         24
        .size:           4
        .value_kind:     by_value
      - .offset:         28
        .size:           4
        .value_kind:     by_value
      - .actual_access:  read_only
        .address_space:  global
        .offset:         32
        .size:           8
        .value_kind:     global_buffer
      - .actual_access:  read_only
        .address_space:  global
        .offset:         40
        .size:           8
        .value_kind:     global_buffer
      - .actual_access:  read_only
        .address_space:  global
        .offset:         48
        .size:           8
        .value_kind:     global_buffer
      - .offset:         56
        .size:           4
        .value_kind:     by_value
      - .actual_access:  read_only
        .address_space:  global
        .offset:         64
        .size:           8
        .value_kind:     global_buffer
      - .offset:         72
        .size:           4
        .value_kind:     by_value
      - .offset:         76
        .size:           4
        .value_kind:     by_value
      - .offset:         80
        .size:           4
        .value_kind:     by_value
      - .actual_access:  write_only
        .address_space:  global
        .offset:         88
        .size:           8
        .value_kind:     global_buffer
      - .actual_access:  write_only
        .address_space:  global
        .offset:         96
        .size:           8
        .value_kind:     global_buffer
      - .actual_access:  write_only
        .address_space:  global
        .offset:         104
        .size:           8
        .value_kind:     global_buffer
      - .actual_access:  read_only
        .address_space:  global
        .offset:         112
        .size:           8
        .value_kind:     global_buffer
      - .offset:         120
        .size:           4
        .value_kind:     by_value
      - .address_space:  global
        .offset:         128
        .size:           8
        .value_kind:     global_buffer
      - .address_space:  global
        .offset:         136
        .size:           8
        .value_kind:     global_buffer
      - .offset:         144
        .size:           4
        .value_kind:     hidden_block_count_x
      - .offset:         148
        .size:           4
        .value_kind:     hidden_block_count_y
      - .offset:         152
        .size:           4
        .value_kind:     hidden_block_count_z
      - .offset:         156
        .size:           2
        .value_kind:     hidden_group_size_x
      - .offset:         158
        .size:           2
        .value_kind:     hidden_group_size_y
      - .offset:         160
        .size:           2
        .value_kind:     hidden_group_size_z
      - .offset:         162
        .size:           2
        .value_kind:     hidden_remainder_x
      - .offset:         164
        .size:           2
        .value_kind:     hidden_remainder_y
      - .offset:         166
        .size:           2
        .value_kind:     hidden_remainder_z
      - .offset:         184
        .size:           8
        .value_kind:     hidden_global_offset_x
      - .offset:         192
        .size:           8
        .value_kind:     hidden_global_offset_y
      - .offset:         200
        .size:           8
        .value_kind:     hidden_global_offset_z
      - .offset:         208
        .size:           2
        .value_kind:     hidden_grid_dims
    .group_segment_fixed_size: 8192
    .kernarg_segment_align: 8
    .kernarg_segment_size: 400
    .language:       OpenCL C
    .language_version:
      - 2
      - 0
    .max_flat_workgroup_size: 256
    .name:           _Z39paged_attention_ll4mi_QKV_mfma16_kernelI14__hip_bfloat16S0_LN4vllm18Fp8KVCacheDataTypeE0ES0_Li16ELi128ELi256ELb1ELi3EEvPKT_PKT0_S8_ifPKiSA_SA_iPKfiiiPfSD_PS3_PT2_iSC_SC_
    .private_segment_fixed_size: 16
    .sgpr_count:     48
    .sgpr_spill_count: 0
    .symbol:         _Z39paged_attention_ll4mi_QKV_mfma16_kernelI14__hip_bfloat16S0_LN4vllm18Fp8KVCacheDataTypeE0ES0_Li16ELi128ELi256ELb1ELi3EEvPKT_PKT0_S8_ifPKiSA_SA_iPKfiiiPfSD_PS3_PT2_iSC_SC_.kd
    .uniform_work_group_size: 1
    .uses_dynamic_stack: false
    .vgpr_count:     96
    .vgpr_spill_count: 5
    .wavefront_size: 64
  - .agpr_count:     0
    .args:
      - .actual_access:  read_only
        .address_space:  global
        .offset:         0
        .size:           8
        .value_kind:     global_buffer
      - .actual_access:  read_only
        .address_space:  global
        .offset:         8
        .size:           8
        .value_kind:     global_buffer
      - .actual_access:  read_only
        .address_space:  global
        .offset:         16
        .size:           8
        .value_kind:     global_buffer
      - .offset:         24
        .size:           4
        .value_kind:     by_value
      - .offset:         28
        .size:           4
        .value_kind:     by_value
      - .actual_access:  read_only
        .address_space:  global
        .offset:         32
        .size:           8
        .value_kind:     global_buffer
      - .actual_access:  read_only
        .address_space:  global
        .offset:         40
        .size:           8
        .value_kind:     global_buffer
      - .actual_access:  read_only
        .address_space:  global
        .offset:         48
        .size:           8
        .value_kind:     global_buffer
      - .offset:         56
        .size:           4
        .value_kind:     by_value
      - .actual_access:  read_only
        .address_space:  global
        .offset:         64
        .size:           8
        .value_kind:     global_buffer
      - .offset:         72
        .size:           4
        .value_kind:     by_value
      - .offset:         76
        .size:           4
        .value_kind:     by_value
      - .offset:         80
        .size:           4
        .value_kind:     by_value
      - .actual_access:  write_only
        .address_space:  global
        .offset:         88
        .size:           8
        .value_kind:     global_buffer
      - .actual_access:  write_only
        .address_space:  global
        .offset:         96
        .size:           8
        .value_kind:     global_buffer
      - .actual_access:  write_only
        .address_space:  global
        .offset:         104
        .size:           8
        .value_kind:     global_buffer
      - .actual_access:  read_only
        .address_space:  global
        .offset:         112
        .size:           8
        .value_kind:     global_buffer
      - .offset:         120
        .size:           4
        .value_kind:     by_value
      - .address_space:  global
        .offset:         128
        .size:           8
        .value_kind:     global_buffer
      - .address_space:  global
        .offset:         136
        .size:           8
        .value_kind:     global_buffer
      - .offset:         144
        .size:           4
        .value_kind:     hidden_block_count_x
      - .offset:         148
        .size:           4
        .value_kind:     hidden_block_count_y
      - .offset:         152
        .size:           4
        .value_kind:     hidden_block_count_z
      - .offset:         156
        .size:           2
        .value_kind:     hidden_group_size_x
      - .offset:         158
        .size:           2
        .value_kind:     hidden_group_size_y
      - .offset:         160
        .size:           2
        .value_kind:     hidden_group_size_z
      - .offset:         162
        .size:           2
        .value_kind:     hidden_remainder_x
      - .offset:         164
        .size:           2
        .value_kind:     hidden_remainder_y
      - .offset:         166
        .size:           2
        .value_kind:     hidden_remainder_z
      - .offset:         184
        .size:           8
        .value_kind:     hidden_global_offset_x
      - .offset:         192
        .size:           8
        .value_kind:     hidden_global_offset_y
      - .offset:         200
        .size:           8
        .value_kind:     hidden_global_offset_z
      - .offset:         208
        .size:           2
        .value_kind:     hidden_grid_dims
    .group_segment_fixed_size: 8192
    .kernarg_segment_align: 8
    .kernarg_segment_size: 400
    .language:       OpenCL C
    .language_version:
      - 2
      - 0
    .max_flat_workgroup_size: 256
    .name:           _Z39paged_attention_ll4mi_QKV_mfma16_kernelI14__hip_bfloat16S0_LN4vllm18Fp8KVCacheDataTypeE0ES0_Li16ELi128ELi256ELb1ELi4EEvPKT_PKT0_S8_ifPKiSA_SA_iPKfiiiPfSD_PS3_PT2_iSC_SC_
    .private_segment_fixed_size: 12
    .sgpr_count:     49
    .sgpr_spill_count: 0
    .symbol:         _Z39paged_attention_ll4mi_QKV_mfma16_kernelI14__hip_bfloat16S0_LN4vllm18Fp8KVCacheDataTypeE0ES0_Li16ELi128ELi256ELb1ELi4EEvPKT_PKT0_S8_ifPKiSA_SA_iPKfiiiPfSD_PS3_PT2_iSC_SC_.kd
    .uniform_work_group_size: 1
    .uses_dynamic_stack: false
    .vgpr_count:     96
    .vgpr_spill_count: 2
    .wavefront_size: 64
  - .agpr_count:     0
    .args:
      - .actual_access:  write_only
        .address_space:  global
        .offset:         0
        .size:           8
        .value_kind:     global_buffer
      - .actual_access:  read_only
        .address_space:  global
        .offset:         8
        .size:           8
        .value_kind:     global_buffer
      - .actual_access:  read_only
        .address_space:  global
        .offset:         16
        .size:           8
        .value_kind:     global_buffer
      - .actual_access:  read_only
        .address_space:  global
        .offset:         24
        .size:           8
        .value_kind:     global_buffer
      - .actual_access:  read_only
        .address_space:  global
        .offset:         32
        .size:           8
        .value_kind:     global_buffer
      - .actual_access:  read_only
        .address_space:  global
        .offset:         40
        .size:           8
        .value_kind:     global_buffer
      - .offset:         48
        .size:           4
        .value_kind:     by_value
      - .actual_access:  read_only
        .address_space:  global
        .offset:         56
        .size:           8
        .value_kind:     global_buffer
      - .offset:         64
        .size:           4
        .value_kind:     hidden_block_count_x
      - .offset:         68
        .size:           4
        .value_kind:     hidden_block_count_y
      - .offset:         72
        .size:           4
        .value_kind:     hidden_block_count_z
      - .offset:         76
        .size:           2
        .value_kind:     hidden_group_size_x
      - .offset:         78
        .size:           2
        .value_kind:     hidden_group_size_y
      - .offset:         80
        .size:           2
        .value_kind:     hidden_group_size_z
      - .offset:         82
        .size:           2
        .value_kind:     hidden_remainder_x
      - .offset:         84
        .size:           2
        .value_kind:     hidden_remainder_y
      - .offset:         86
        .size:           2
        .value_kind:     hidden_remainder_z
      - .offset:         104
        .size:           8
        .value_kind:     hidden_global_offset_x
      - .offset:         112
        .size:           8
        .value_kind:     hidden_global_offset_y
      - .offset:         120
        .size:           8
        .value_kind:     hidden_global_offset_z
      - .offset:         128
        .size:           2
        .value_kind:     hidden_grid_dims
    .group_segment_fixed_size: 2308
    .kernarg_segment_align: 8
    .kernarg_segment_size: 320
    .language:       OpenCL C
    .language_version:
      - 2
      - 0
    .max_flat_workgroup_size: 128
    .name:           _Z35paged_attention_ll4mi_reduce_kernelI14__hip_bfloat16S0_Li128ELi128ELi256ELi9EEvPT0_PKfS4_PKT_PKiS9_iS4_
    .private_segment_fixed_size: 0
    .sgpr_count:     53
    .sgpr_spill_count: 0
    .symbol:         _Z35paged_attention_ll4mi_reduce_kernelI14__hip_bfloat16S0_Li128ELi128ELi256ELi9EEvPT0_PKfS4_PKT_PKiS9_iS4_.kd
    .uniform_work_group_size: 1
    .uses_dynamic_stack: false
    .vgpr_count:     126
    .vgpr_spill_count: 0
    .wavefront_size: 64
  - .agpr_count:     0
    .args:
      - .actual_access:  write_only
        .address_space:  global
        .offset:         0
        .size:           8
        .value_kind:     global_buffer
      - .actual_access:  read_only
        .address_space:  global
        .offset:         8
        .size:           8
        .value_kind:     global_buffer
      - .actual_access:  read_only
        .address_space:  global
        .offset:         16
        .size:           8
        .value_kind:     global_buffer
      - .actual_access:  read_only
        .address_space:  global
        .offset:         24
        .size:           8
        .value_kind:     global_buffer
      - .actual_access:  read_only
        .address_space:  global
        .offset:         32
        .size:           8
        .value_kind:     global_buffer
      - .actual_access:  read_only
        .address_space:  global
        .offset:         40
        .size:           8
        .value_kind:     global_buffer
      - .offset:         48
        .size:           4
        .value_kind:     by_value
      - .actual_access:  read_only
        .address_space:  global
        .offset:         56
        .size:           8
        .value_kind:     global_buffer
      - .offset:         64
        .size:           4
        .value_kind:     hidden_block_count_x
      - .offset:         68
        .size:           4
        .value_kind:     hidden_block_count_y
      - .offset:         72
        .size:           4
        .value_kind:     hidden_block_count_z
      - .offset:         76
        .size:           2
        .value_kind:     hidden_group_size_x
      - .offset:         78
        .size:           2
        .value_kind:     hidden_group_size_y
      - .offset:         80
        .size:           2
        .value_kind:     hidden_group_size_z
      - .offset:         82
        .size:           2
        .value_kind:     hidden_remainder_x
      - .offset:         84
        .size:           2
        .value_kind:     hidden_remainder_y
      - .offset:         86
        .size:           2
        .value_kind:     hidden_remainder_z
      - .offset:         104
        .size:           8
        .value_kind:     hidden_global_offset_x
      - .offset:         112
        .size:           8
        .value_kind:     hidden_global_offset_y
      - .offset:         120
        .size:           8
        .value_kind:     hidden_global_offset_z
      - .offset:         128
        .size:           2
        .value_kind:     hidden_grid_dims
    .group_segment_fixed_size: 2564
    .kernarg_segment_align: 8
    .kernarg_segment_size: 320
    .language:       OpenCL C
    .language_version:
      - 2
      - 0
    .max_flat_workgroup_size: 128
    .name:           _Z35paged_attention_ll4mi_reduce_kernelI14__hip_bfloat16S0_Li128ELi128ELi256ELi10EEvPT0_PKfS4_PKT_PKiS9_iS4_
    .private_segment_fixed_size: 0
    .sgpr_count:     55
    .sgpr_spill_count: 0
    .symbol:         _Z35paged_attention_ll4mi_reduce_kernelI14__hip_bfloat16S0_Li128ELi128ELi256ELi10EEvPT0_PKfS4_PKT_PKiS9_iS4_.kd
    .uniform_work_group_size: 1
    .uses_dynamic_stack: false
    .vgpr_count:     126
    .vgpr_spill_count: 0
    .wavefront_size: 64
  - .agpr_count:     0
    .args:
      - .actual_access:  write_only
        .address_space:  global
        .offset:         0
        .size:           8
        .value_kind:     global_buffer
      - .actual_access:  read_only
        .address_space:  global
        .offset:         8
        .size:           8
        .value_kind:     global_buffer
      - .actual_access:  read_only
        .address_space:  global
        .offset:         16
        .size:           8
        .value_kind:     global_buffer
      - .actual_access:  read_only
        .address_space:  global
        .offset:         24
        .size:           8
        .value_kind:     global_buffer
      - .actual_access:  read_only
        .address_space:  global
        .offset:         32
        .size:           8
        .value_kind:     global_buffer
      - .actual_access:  read_only
        .address_space:  global
        .offset:         40
        .size:           8
        .value_kind:     global_buffer
      - .offset:         48
        .size:           4
        .value_kind:     by_value
      - .actual_access:  read_only
        .address_space:  global
        .offset:         56
        .size:           8
        .value_kind:     global_buffer
      - .offset:         64
        .size:           4
        .value_kind:     hidden_block_count_x
      - .offset:         68
        .size:           4
        .value_kind:     hidden_block_count_y
      - .offset:         72
        .size:           4
        .value_kind:     hidden_block_count_z
      - .offset:         76
        .size:           2
        .value_kind:     hidden_group_size_x
      - .offset:         78
        .size:           2
        .value_kind:     hidden_group_size_y
      - .offset:         80
        .size:           2
        .value_kind:     hidden_group_size_z
      - .offset:         82
        .size:           2
        .value_kind:     hidden_remainder_x
      - .offset:         84
        .size:           2
        .value_kind:     hidden_remainder_y
      - .offset:         86
        .size:           2
        .value_kind:     hidden_remainder_z
      - .offset:         104
        .size:           8
        .value_kind:     hidden_global_offset_x
      - .offset:         112
        .size:           8
        .value_kind:     hidden_global_offset_y
      - .offset:         120
        .size:           8
        .value_kind:     hidden_global_offset_z
      - .offset:         128
        .size:           2
        .value_kind:     hidden_grid_dims
    .group_segment_fixed_size: 2820
    .kernarg_segment_align: 8
    .kernarg_segment_size: 320
    .language:       OpenCL C
    .language_version:
      - 2
      - 0
    .max_flat_workgroup_size: 128
    .name:           _Z35paged_attention_ll4mi_reduce_kernelI14__hip_bfloat16S0_Li128ELi128ELi256ELi11EEvPT0_PKfS4_PKT_PKiS9_iS4_
    .private_segment_fixed_size: 0
    .sgpr_count:     57
    .sgpr_spill_count: 0
    .symbol:         _Z35paged_attention_ll4mi_reduce_kernelI14__hip_bfloat16S0_Li128ELi128ELi256ELi11EEvPT0_PKfS4_PKT_PKiS9_iS4_.kd
    .uniform_work_group_size: 1
    .uses_dynamic_stack: false
    .vgpr_count:     126
    .vgpr_spill_count: 0
    .wavefront_size: 64
  - .agpr_count:     0
    .args:
      - .actual_access:  write_only
        .address_space:  global
        .offset:         0
        .size:           8
        .value_kind:     global_buffer
      - .actual_access:  read_only
        .address_space:  global
        .offset:         8
        .size:           8
        .value_kind:     global_buffer
      - .actual_access:  read_only
        .address_space:  global
        .offset:         16
        .size:           8
        .value_kind:     global_buffer
      - .actual_access:  read_only
        .address_space:  global
        .offset:         24
        .size:           8
        .value_kind:     global_buffer
      - .actual_access:  read_only
        .address_space:  global
        .offset:         32
        .size:           8
        .value_kind:     global_buffer
      - .actual_access:  read_only
        .address_space:  global
        .offset:         40
        .size:           8
        .value_kind:     global_buffer
      - .offset:         48
        .size:           4
        .value_kind:     by_value
      - .actual_access:  read_only
        .address_space:  global
        .offset:         56
        .size:           8
        .value_kind:     global_buffer
      - .offset:         64
        .size:           4
        .value_kind:     hidden_block_count_x
      - .offset:         68
        .size:           4
        .value_kind:     hidden_block_count_y
      - .offset:         72
        .size:           4
        .value_kind:     hidden_block_count_z
      - .offset:         76
        .size:           2
        .value_kind:     hidden_group_size_x
      - .offset:         78
        .size:           2
        .value_kind:     hidden_group_size_y
      - .offset:         80
        .size:           2
        .value_kind:     hidden_group_size_z
      - .offset:         82
        .size:           2
        .value_kind:     hidden_remainder_x
      - .offset:         84
        .size:           2
        .value_kind:     hidden_remainder_y
      - .offset:         86
        .size:           2
        .value_kind:     hidden_remainder_z
      - .offset:         104
        .size:           8
        .value_kind:     hidden_global_offset_x
      - .offset:         112
        .size:           8
        .value_kind:     hidden_global_offset_y
      - .offset:         120
        .size:           8
        .value_kind:     hidden_global_offset_z
      - .offset:         128
        .size:           2
        .value_kind:     hidden_grid_dims
    .group_segment_fixed_size: 3076
    .kernarg_segment_align: 8
    .kernarg_segment_size: 320
    .language:       OpenCL C
    .language_version:
      - 2
      - 0
    .max_flat_workgroup_size: 128
    .name:           _Z35paged_attention_ll4mi_reduce_kernelI14__hip_bfloat16S0_Li128ELi128ELi256ELi12EEvPT0_PKfS4_PKT_PKiS9_iS4_
    .private_segment_fixed_size: 0
    .sgpr_count:     59
    .sgpr_spill_count: 0
    .symbol:         _Z35paged_attention_ll4mi_reduce_kernelI14__hip_bfloat16S0_Li128ELi128ELi256ELi12EEvPT0_PKfS4_PKT_PKiS9_iS4_.kd
    .uniform_work_group_size: 1
    .uses_dynamic_stack: false
    .vgpr_count:     126
    .vgpr_spill_count: 0
    .wavefront_size: 64
  - .agpr_count:     0
    .args:
      - .actual_access:  write_only
        .address_space:  global
        .offset:         0
        .size:           8
        .value_kind:     global_buffer
      - .actual_access:  read_only
        .address_space:  global
        .offset:         8
        .size:           8
        .value_kind:     global_buffer
      - .actual_access:  read_only
        .address_space:  global
        .offset:         16
        .size:           8
        .value_kind:     global_buffer
      - .actual_access:  read_only
        .address_space:  global
        .offset:         24
        .size:           8
        .value_kind:     global_buffer
      - .actual_access:  read_only
        .address_space:  global
        .offset:         32
        .size:           8
        .value_kind:     global_buffer
      - .actual_access:  read_only
        .address_space:  global
        .offset:         40
        .size:           8
        .value_kind:     global_buffer
      - .offset:         48
        .size:           4
        .value_kind:     by_value
      - .actual_access:  read_only
        .address_space:  global
        .offset:         56
        .size:           8
        .value_kind:     global_buffer
      - .offset:         64
        .size:           4
        .value_kind:     hidden_block_count_x
      - .offset:         68
        .size:           4
        .value_kind:     hidden_block_count_y
      - .offset:         72
        .size:           4
        .value_kind:     hidden_block_count_z
      - .offset:         76
        .size:           2
        .value_kind:     hidden_group_size_x
      - .offset:         78
        .size:           2
        .value_kind:     hidden_group_size_y
      - .offset:         80
        .size:           2
        .value_kind:     hidden_group_size_z
      - .offset:         82
        .size:           2
        .value_kind:     hidden_remainder_x
      - .offset:         84
        .size:           2
        .value_kind:     hidden_remainder_y
      - .offset:         86
        .size:           2
        .value_kind:     hidden_remainder_z
      - .offset:         104
        .size:           8
        .value_kind:     hidden_global_offset_x
      - .offset:         112
        .size:           8
        .value_kind:     hidden_global_offset_y
      - .offset:         120
        .size:           8
        .value_kind:     hidden_global_offset_z
      - .offset:         128
        .size:           2
        .value_kind:     hidden_grid_dims
    .group_segment_fixed_size: 3332
    .kernarg_segment_align: 8
    .kernarg_segment_size: 320
    .language:       OpenCL C
    .language_version:
      - 2
      - 0
    .max_flat_workgroup_size: 128
    .name:           _Z35paged_attention_ll4mi_reduce_kernelI14__hip_bfloat16S0_Li128ELi128ELi256ELi13EEvPT0_PKfS4_PKT_PKiS9_iS4_
    .private_segment_fixed_size: 0
    .sgpr_count:     61
    .sgpr_spill_count: 0
    .symbol:         _Z35paged_attention_ll4mi_reduce_kernelI14__hip_bfloat16S0_Li128ELi128ELi256ELi13EEvPT0_PKfS4_PKT_PKiS9_iS4_.kd
    .uniform_work_group_size: 1
    .uses_dynamic_stack: false
    .vgpr_count:     126
    .vgpr_spill_count: 0
    .wavefront_size: 64
  - .agpr_count:     0
    .args:
      - .actual_access:  write_only
        .address_space:  global
        .offset:         0
        .size:           8
        .value_kind:     global_buffer
      - .actual_access:  read_only
        .address_space:  global
        .offset:         8
        .size:           8
        .value_kind:     global_buffer
      - .actual_access:  read_only
        .address_space:  global
        .offset:         16
        .size:           8
        .value_kind:     global_buffer
      - .actual_access:  read_only
        .address_space:  global
        .offset:         24
        .size:           8
        .value_kind:     global_buffer
      - .actual_access:  read_only
        .address_space:  global
        .offset:         32
        .size:           8
        .value_kind:     global_buffer
      - .actual_access:  read_only
        .address_space:  global
        .offset:         40
        .size:           8
        .value_kind:     global_buffer
      - .offset:         48
        .size:           4
        .value_kind:     by_value
      - .actual_access:  read_only
        .address_space:  global
        .offset:         56
        .size:           8
        .value_kind:     global_buffer
      - .offset:         64
        .size:           4
        .value_kind:     hidden_block_count_x
      - .offset:         68
        .size:           4
        .value_kind:     hidden_block_count_y
      - .offset:         72
        .size:           4
        .value_kind:     hidden_block_count_z
      - .offset:         76
        .size:           2
        .value_kind:     hidden_group_size_x
      - .offset:         78
        .size:           2
        .value_kind:     hidden_group_size_y
      - .offset:         80
        .size:           2
        .value_kind:     hidden_group_size_z
      - .offset:         82
        .size:           2
        .value_kind:     hidden_remainder_x
      - .offset:         84
        .size:           2
        .value_kind:     hidden_remainder_y
      - .offset:         86
        .size:           2
        .value_kind:     hidden_remainder_z
      - .offset:         104
        .size:           8
        .value_kind:     hidden_global_offset_x
      - .offset:         112
        .size:           8
        .value_kind:     hidden_global_offset_y
      - .offset:         120
        .size:           8
        .value_kind:     hidden_global_offset_z
      - .offset:         128
        .size:           2
        .value_kind:     hidden_grid_dims
    .group_segment_fixed_size: 3588
    .kernarg_segment_align: 8
    .kernarg_segment_size: 320
    .language:       OpenCL C
    .language_version:
      - 2
      - 0
    .max_flat_workgroup_size: 128
    .name:           _Z35paged_attention_ll4mi_reduce_kernelI14__hip_bfloat16S0_Li128ELi128ELi256ELi14EEvPT0_PKfS4_PKT_PKiS9_iS4_
    .private_segment_fixed_size: 0
    .sgpr_count:     63
    .sgpr_spill_count: 0
    .symbol:         _Z35paged_attention_ll4mi_reduce_kernelI14__hip_bfloat16S0_Li128ELi128ELi256ELi14EEvPT0_PKfS4_PKT_PKiS9_iS4_.kd
    .uniform_work_group_size: 1
    .uses_dynamic_stack: false
    .vgpr_count:     126
    .vgpr_spill_count: 0
    .wavefront_size: 64
  - .agpr_count:     0
    .args:
      - .actual_access:  write_only
        .address_space:  global
        .offset:         0
        .size:           8
        .value_kind:     global_buffer
      - .actual_access:  read_only
        .address_space:  global
        .offset:         8
        .size:           8
        .value_kind:     global_buffer
      - .actual_access:  read_only
        .address_space:  global
        .offset:         16
        .size:           8
        .value_kind:     global_buffer
      - .actual_access:  read_only
        .address_space:  global
        .offset:         24
        .size:           8
        .value_kind:     global_buffer
      - .actual_access:  read_only
        .address_space:  global
        .offset:         32
        .size:           8
        .value_kind:     global_buffer
      - .actual_access:  read_only
        .address_space:  global
        .offset:         40
        .size:           8
        .value_kind:     global_buffer
      - .offset:         48
        .size:           4
        .value_kind:     by_value
      - .actual_access:  read_only
        .address_space:  global
        .offset:         56
        .size:           8
        .value_kind:     global_buffer
      - .offset:         64
        .size:           4
        .value_kind:     hidden_block_count_x
      - .offset:         68
        .size:           4
        .value_kind:     hidden_block_count_y
      - .offset:         72
        .size:           4
        .value_kind:     hidden_block_count_z
      - .offset:         76
        .size:           2
        .value_kind:     hidden_group_size_x
      - .offset:         78
        .size:           2
        .value_kind:     hidden_group_size_y
      - .offset:         80
        .size:           2
        .value_kind:     hidden_group_size_z
      - .offset:         82
        .size:           2
        .value_kind:     hidden_remainder_x
      - .offset:         84
        .size:           2
        .value_kind:     hidden_remainder_y
      - .offset:         86
        .size:           2
        .value_kind:     hidden_remainder_z
      - .offset:         104
        .size:           8
        .value_kind:     hidden_global_offset_x
      - .offset:         112
        .size:           8
        .value_kind:     hidden_global_offset_y
      - .offset:         120
        .size:           8
        .value_kind:     hidden_global_offset_z
      - .offset:         128
        .size:           2
        .value_kind:     hidden_grid_dims
    .group_segment_fixed_size: 3844
    .kernarg_segment_align: 8
    .kernarg_segment_size: 320
    .language:       OpenCL C
    .language_version:
      - 2
      - 0
    .max_flat_workgroup_size: 128
    .name:           _Z35paged_attention_ll4mi_reduce_kernelI14__hip_bfloat16S0_Li128ELi128ELi256ELi15EEvPT0_PKfS4_PKT_PKiS9_iS4_
    .private_segment_fixed_size: 0
    .sgpr_count:     65
    .sgpr_spill_count: 0
    .symbol:         _Z35paged_attention_ll4mi_reduce_kernelI14__hip_bfloat16S0_Li128ELi128ELi256ELi15EEvPT0_PKfS4_PKT_PKiS9_iS4_.kd
    .uniform_work_group_size: 1
    .uses_dynamic_stack: false
    .vgpr_count:     126
    .vgpr_spill_count: 0
    .wavefront_size: 64
  - .agpr_count:     0
    .args:
      - .actual_access:  write_only
        .address_space:  global
        .offset:         0
        .size:           8
        .value_kind:     global_buffer
      - .actual_access:  read_only
        .address_space:  global
        .offset:         8
        .size:           8
        .value_kind:     global_buffer
      - .actual_access:  read_only
        .address_space:  global
        .offset:         16
        .size:           8
        .value_kind:     global_buffer
      - .actual_access:  read_only
        .address_space:  global
        .offset:         24
        .size:           8
        .value_kind:     global_buffer
      - .actual_access:  read_only
        .address_space:  global
        .offset:         32
        .size:           8
        .value_kind:     global_buffer
      - .actual_access:  read_only
        .address_space:  global
        .offset:         40
        .size:           8
        .value_kind:     global_buffer
      - .offset:         48
        .size:           4
        .value_kind:     by_value
      - .actual_access:  read_only
        .address_space:  global
        .offset:         56
        .size:           8
        .value_kind:     global_buffer
      - .offset:         64
        .size:           4
        .value_kind:     hidden_block_count_x
      - .offset:         68
        .size:           4
        .value_kind:     hidden_block_count_y
      - .offset:         72
        .size:           4
        .value_kind:     hidden_block_count_z
      - .offset:         76
        .size:           2
        .value_kind:     hidden_group_size_x
      - .offset:         78
        .size:           2
        .value_kind:     hidden_group_size_y
      - .offset:         80
        .size:           2
        .value_kind:     hidden_group_size_z
      - .offset:         82
        .size:           2
        .value_kind:     hidden_remainder_x
      - .offset:         84
        .size:           2
        .value_kind:     hidden_remainder_y
      - .offset:         86
        .size:           2
        .value_kind:     hidden_remainder_z
      - .offset:         104
        .size:           8
        .value_kind:     hidden_global_offset_x
      - .offset:         112
        .size:           8
        .value_kind:     hidden_global_offset_y
      - .offset:         120
        .size:           8
        .value_kind:     hidden_global_offset_z
      - .offset:         128
        .size:           2
        .value_kind:     hidden_grid_dims
    .group_segment_fixed_size: 4100
    .kernarg_segment_align: 8
    .kernarg_segment_size: 320
    .language:       OpenCL C
    .language_version:
      - 2
      - 0
    .max_flat_workgroup_size: 128
    .name:           _Z35paged_attention_ll4mi_reduce_kernelI14__hip_bfloat16S0_Li128ELi128ELi256ELi16EEvPT0_PKfS4_PKT_PKiS9_iS4_
    .private_segment_fixed_size: 0
    .sgpr_count:     67
    .sgpr_spill_count: 0
    .symbol:         _Z35paged_attention_ll4mi_reduce_kernelI14__hip_bfloat16S0_Li128ELi128ELi256ELi16EEvPT0_PKfS4_PKT_PKiS9_iS4_.kd
    .uniform_work_group_size: 1
    .uses_dynamic_stack: false
    .vgpr_count:     126
    .vgpr_spill_count: 0
    .wavefront_size: 64
  - .agpr_count:     8
    .args:
      - .actual_access:  read_only
        .address_space:  global
        .offset:         0
        .size:           8
        .value_kind:     global_buffer
      - .actual_access:  read_only
        .address_space:  global
        .offset:         8
        .size:           8
        .value_kind:     global_buffer
      - .actual_access:  read_only
        .address_space:  global
        .offset:         16
        .size:           8
        .value_kind:     global_buffer
      - .offset:         24
        .size:           4
        .value_kind:     by_value
      - .offset:         28
        .size:           4
        .value_kind:     by_value
      - .actual_access:  read_only
        .address_space:  global
        .offset:         32
        .size:           8
        .value_kind:     global_buffer
      - .actual_access:  read_only
        .address_space:  global
        .offset:         40
        .size:           8
        .value_kind:     global_buffer
      - .actual_access:  read_only
        .address_space:  global
        .offset:         48
        .size:           8
        .value_kind:     global_buffer
      - .offset:         56
        .size:           4
        .value_kind:     by_value
      - .actual_access:  read_only
        .address_space:  global
        .offset:         64
        .size:           8
        .value_kind:     global_buffer
      - .offset:         72
        .size:           4
        .value_kind:     by_value
      - .offset:         76
        .size:           4
        .value_kind:     by_value
      - .offset:         80
        .size:           4
        .value_kind:     by_value
      - .actual_access:  write_only
        .address_space:  global
        .offset:         88
        .size:           8
        .value_kind:     global_buffer
      - .actual_access:  write_only
        .address_space:  global
        .offset:         96
        .size:           8
        .value_kind:     global_buffer
      - .actual_access:  write_only
        .address_space:  global
        .offset:         104
        .size:           8
        .value_kind:     global_buffer
      - .actual_access:  read_only
        .address_space:  global
        .offset:         112
        .size:           8
        .value_kind:     global_buffer
      - .offset:         120
        .size:           4
        .value_kind:     by_value
      - .address_space:  global
        .offset:         128
        .size:           8
        .value_kind:     global_buffer
      - .address_space:  global
        .offset:         136
        .size:           8
        .value_kind:     global_buffer
      - .offset:         144
        .size:           4
        .value_kind:     hidden_block_count_x
      - .offset:         148
        .size:           4
        .value_kind:     hidden_block_count_y
      - .offset:         152
        .size:           4
        .value_kind:     hidden_block_count_z
      - .offset:         156
        .size:           2
        .value_kind:     hidden_group_size_x
      - .offset:         158
        .size:           2
        .value_kind:     hidden_group_size_y
      - .offset:         160
        .size:           2
        .value_kind:     hidden_group_size_z
      - .offset:         162
        .size:           2
        .value_kind:     hidden_remainder_x
      - .offset:         164
        .size:           2
        .value_kind:     hidden_remainder_y
      - .offset:         166
        .size:           2
        .value_kind:     hidden_remainder_z
      - .offset:         184
        .size:           8
        .value_kind:     hidden_global_offset_x
      - .offset:         192
        .size:           8
        .value_kind:     hidden_global_offset_y
      - .offset:         200
        .size:           8
        .value_kind:     hidden_global_offset_z
      - .offset:         208
        .size:           2
        .value_kind:     hidden_grid_dims
    .group_segment_fixed_size: 5280
    .kernarg_segment_align: 8
    .kernarg_segment_size: 400
    .language:       OpenCL C
    .language_version:
      - 2
      - 0
    .max_flat_workgroup_size: 256
    .name:           _Z38paged_attention_ll4mi_QKV_mfma4_kernelI14__hip_bfloat16S0_LN4vllm18Fp8KVCacheDataTypeE0ES0_Li16ELi128ELi256ELb0ELi1EEvPKT_PKT0_S8_ifPKiSA_SA_iPKfiiiPfSD_PS3_PT2_iSC_SC_
    .private_segment_fixed_size: 0
    .sgpr_count:     44
    .sgpr_spill_count: 0
    .symbol:         _Z38paged_attention_ll4mi_QKV_mfma4_kernelI14__hip_bfloat16S0_LN4vllm18Fp8KVCacheDataTypeE0ES0_Li16ELi128ELi256ELb0ELi1EEvPKT_PKT0_S8_ifPKiSA_SA_iPKfiiiPfSD_PS3_PT2_iSC_SC_.kd
    .uniform_work_group_size: 1
    .uses_dynamic_stack: false
    .vgpr_count:     104
    .vgpr_spill_count: 0
    .wavefront_size: 64
  - .agpr_count:     8
    .args:
      - .actual_access:  read_only
        .address_space:  global
        .offset:         0
        .size:           8
        .value_kind:     global_buffer
      - .actual_access:  read_only
        .address_space:  global
        .offset:         8
        .size:           8
        .value_kind:     global_buffer
      - .actual_access:  read_only
        .address_space:  global
        .offset:         16
        .size:           8
        .value_kind:     global_buffer
      - .offset:         24
        .size:           4
        .value_kind:     by_value
      - .offset:         28
        .size:           4
        .value_kind:     by_value
      - .actual_access:  read_only
        .address_space:  global
        .offset:         32
        .size:           8
        .value_kind:     global_buffer
      - .actual_access:  read_only
        .address_space:  global
        .offset:         40
        .size:           8
        .value_kind:     global_buffer
      - .actual_access:  read_only
        .address_space:  global
        .offset:         48
        .size:           8
        .value_kind:     global_buffer
      - .offset:         56
        .size:           4
        .value_kind:     by_value
      - .actual_access:  read_only
        .address_space:  global
        .offset:         64
        .size:           8
        .value_kind:     global_buffer
      - .offset:         72
        .size:           4
        .value_kind:     by_value
      - .offset:         76
        .size:           4
        .value_kind:     by_value
      - .offset:         80
        .size:           4
        .value_kind:     by_value
      - .actual_access:  write_only
        .address_space:  global
        .offset:         88
        .size:           8
        .value_kind:     global_buffer
      - .actual_access:  write_only
        .address_space:  global
        .offset:         96
        .size:           8
        .value_kind:     global_buffer
      - .actual_access:  write_only
        .address_space:  global
        .offset:         104
        .size:           8
        .value_kind:     global_buffer
      - .actual_access:  read_only
        .address_space:  global
        .offset:         112
        .size:           8
        .value_kind:     global_buffer
      - .offset:         120
        .size:           4
        .value_kind:     by_value
      - .address_space:  global
        .offset:         128
        .size:           8
        .value_kind:     global_buffer
      - .address_space:  global
        .offset:         136
        .size:           8
        .value_kind:     global_buffer
      - .offset:         144
        .size:           4
        .value_kind:     hidden_block_count_x
      - .offset:         148
        .size:           4
        .value_kind:     hidden_block_count_y
      - .offset:         152
        .size:           4
        .value_kind:     hidden_block_count_z
      - .offset:         156
        .size:           2
        .value_kind:     hidden_group_size_x
      - .offset:         158
        .size:           2
        .value_kind:     hidden_group_size_y
      - .offset:         160
        .size:           2
        .value_kind:     hidden_group_size_z
      - .offset:         162
        .size:           2
        .value_kind:     hidden_remainder_x
      - .offset:         164
        .size:           2
        .value_kind:     hidden_remainder_y
      - .offset:         166
        .size:           2
        .value_kind:     hidden_remainder_z
      - .offset:         184
        .size:           8
        .value_kind:     hidden_global_offset_x
      - .offset:         192
        .size:           8
        .value_kind:     hidden_global_offset_y
      - .offset:         200
        .size:           8
        .value_kind:     hidden_global_offset_z
      - .offset:         208
        .size:           2
        .value_kind:     hidden_grid_dims
    .group_segment_fixed_size: 5280
    .kernarg_segment_align: 8
    .kernarg_segment_size: 400
    .language:       OpenCL C
    .language_version:
      - 2
      - 0
    .max_flat_workgroup_size: 256
    .name:           _Z38paged_attention_ll4mi_QKV_mfma4_kernelI14__hip_bfloat16S0_LN4vllm18Fp8KVCacheDataTypeE0ES0_Li16ELi128ELi256ELb0ELi2EEvPKT_PKT0_S8_ifPKiSA_SA_iPKfiiiPfSD_PS3_PT2_iSC_SC_
    .private_segment_fixed_size: 0
    .sgpr_count:     44
    .sgpr_spill_count: 0
    .symbol:         _Z38paged_attention_ll4mi_QKV_mfma4_kernelI14__hip_bfloat16S0_LN4vllm18Fp8KVCacheDataTypeE0ES0_Li16ELi128ELi256ELb0ELi2EEvPKT_PKT0_S8_ifPKiSA_SA_iPKfiiiPfSD_PS3_PT2_iSC_SC_.kd
    .uniform_work_group_size: 1
    .uses_dynamic_stack: false
    .vgpr_count:     104
    .vgpr_spill_count: 0
    .wavefront_size: 64
  - .agpr_count:     8
    .args:
      - .actual_access:  read_only
        .address_space:  global
        .offset:         0
        .size:           8
        .value_kind:     global_buffer
      - .actual_access:  read_only
        .address_space:  global
        .offset:         8
        .size:           8
        .value_kind:     global_buffer
      - .actual_access:  read_only
        .address_space:  global
        .offset:         16
        .size:           8
        .value_kind:     global_buffer
      - .offset:         24
        .size:           4
        .value_kind:     by_value
      - .offset:         28
        .size:           4
        .value_kind:     by_value
      - .actual_access:  read_only
        .address_space:  global
        .offset:         32
        .size:           8
        .value_kind:     global_buffer
      - .actual_access:  read_only
        .address_space:  global
        .offset:         40
        .size:           8
        .value_kind:     global_buffer
      - .actual_access:  read_only
        .address_space:  global
        .offset:         48
        .size:           8
        .value_kind:     global_buffer
      - .offset:         56
        .size:           4
        .value_kind:     by_value
      - .actual_access:  read_only
        .address_space:  global
        .offset:         64
        .size:           8
        .value_kind:     global_buffer
      - .offset:         72
        .size:           4
        .value_kind:     by_value
      - .offset:         76
        .size:           4
        .value_kind:     by_value
      - .offset:         80
        .size:           4
        .value_kind:     by_value
      - .actual_access:  write_only
        .address_space:  global
        .offset:         88
        .size:           8
        .value_kind:     global_buffer
      - .actual_access:  write_only
        .address_space:  global
        .offset:         96
        .size:           8
        .value_kind:     global_buffer
      - .actual_access:  write_only
        .address_space:  global
        .offset:         104
        .size:           8
        .value_kind:     global_buffer
      - .actual_access:  read_only
        .address_space:  global
        .offset:         112
        .size:           8
        .value_kind:     global_buffer
      - .offset:         120
        .size:           4
        .value_kind:     by_value
      - .address_space:  global
        .offset:         128
        .size:           8
        .value_kind:     global_buffer
      - .address_space:  global
        .offset:         136
        .size:           8
        .value_kind:     global_buffer
      - .offset:         144
        .size:           4
        .value_kind:     hidden_block_count_x
      - .offset:         148
        .size:           4
        .value_kind:     hidden_block_count_y
      - .offset:         152
        .size:           4
        .value_kind:     hidden_block_count_z
      - .offset:         156
        .size:           2
        .value_kind:     hidden_group_size_x
      - .offset:         158
        .size:           2
        .value_kind:     hidden_group_size_y
      - .offset:         160
        .size:           2
        .value_kind:     hidden_group_size_z
      - .offset:         162
        .size:           2
        .value_kind:     hidden_remainder_x
      - .offset:         164
        .size:           2
        .value_kind:     hidden_remainder_y
      - .offset:         166
        .size:           2
        .value_kind:     hidden_remainder_z
      - .offset:         184
        .size:           8
        .value_kind:     hidden_global_offset_x
      - .offset:         192
        .size:           8
        .value_kind:     hidden_global_offset_y
      - .offset:         200
        .size:           8
        .value_kind:     hidden_global_offset_z
      - .offset:         208
        .size:           2
        .value_kind:     hidden_grid_dims
    .group_segment_fixed_size: 5280
    .kernarg_segment_align: 8
    .kernarg_segment_size: 400
    .language:       OpenCL C
    .language_version:
      - 2
      - 0
    .max_flat_workgroup_size: 256
    .name:           _Z38paged_attention_ll4mi_QKV_mfma4_kernelI14__hip_bfloat16S0_LN4vllm18Fp8KVCacheDataTypeE0ES0_Li16ELi128ELi256ELb0ELi3EEvPKT_PKT0_S8_ifPKiSA_SA_iPKfiiiPfSD_PS3_PT2_iSC_SC_
    .private_segment_fixed_size: 0
    .sgpr_count:     44
    .sgpr_spill_count: 0
    .symbol:         _Z38paged_attention_ll4mi_QKV_mfma4_kernelI14__hip_bfloat16S0_LN4vllm18Fp8KVCacheDataTypeE0ES0_Li16ELi128ELi256ELb0ELi3EEvPKT_PKT0_S8_ifPKiSA_SA_iPKfiiiPfSD_PS3_PT2_iSC_SC_.kd
    .uniform_work_group_size: 1
    .uses_dynamic_stack: false
    .vgpr_count:     104
    .vgpr_spill_count: 0
    .wavefront_size: 64
  - .agpr_count:     8
    .args:
      - .actual_access:  read_only
        .address_space:  global
        .offset:         0
        .size:           8
        .value_kind:     global_buffer
      - .actual_access:  read_only
        .address_space:  global
        .offset:         8
        .size:           8
        .value_kind:     global_buffer
      - .actual_access:  read_only
        .address_space:  global
        .offset:         16
        .size:           8
        .value_kind:     global_buffer
      - .offset:         24
        .size:           4
        .value_kind:     by_value
      - .offset:         28
        .size:           4
        .value_kind:     by_value
      - .actual_access:  read_only
        .address_space:  global
        .offset:         32
        .size:           8
        .value_kind:     global_buffer
      - .actual_access:  read_only
        .address_space:  global
        .offset:         40
        .size:           8
        .value_kind:     global_buffer
      - .actual_access:  read_only
        .address_space:  global
        .offset:         48
        .size:           8
        .value_kind:     global_buffer
      - .offset:         56
        .size:           4
        .value_kind:     by_value
      - .actual_access:  read_only
        .address_space:  global
        .offset:         64
        .size:           8
        .value_kind:     global_buffer
      - .offset:         72
        .size:           4
        .value_kind:     by_value
      - .offset:         76
        .size:           4
        .value_kind:     by_value
      - .offset:         80
        .size:           4
        .value_kind:     by_value
      - .actual_access:  write_only
        .address_space:  global
        .offset:         88
        .size:           8
        .value_kind:     global_buffer
      - .actual_access:  write_only
        .address_space:  global
        .offset:         96
        .size:           8
        .value_kind:     global_buffer
      - .actual_access:  write_only
        .address_space:  global
        .offset:         104
        .size:           8
        .value_kind:     global_buffer
      - .actual_access:  read_only
        .address_space:  global
        .offset:         112
        .size:           8
        .value_kind:     global_buffer
      - .offset:         120
        .size:           4
        .value_kind:     by_value
      - .address_space:  global
        .offset:         128
        .size:           8
        .value_kind:     global_buffer
      - .address_space:  global
        .offset:         136
        .size:           8
        .value_kind:     global_buffer
      - .offset:         144
        .size:           4
        .value_kind:     hidden_block_count_x
      - .offset:         148
        .size:           4
        .value_kind:     hidden_block_count_y
      - .offset:         152
        .size:           4
        .value_kind:     hidden_block_count_z
      - .offset:         156
        .size:           2
        .value_kind:     hidden_group_size_x
      - .offset:         158
        .size:           2
        .value_kind:     hidden_group_size_y
      - .offset:         160
        .size:           2
        .value_kind:     hidden_group_size_z
      - .offset:         162
        .size:           2
        .value_kind:     hidden_remainder_x
      - .offset:         164
        .size:           2
        .value_kind:     hidden_remainder_y
      - .offset:         166
        .size:           2
        .value_kind:     hidden_remainder_z
      - .offset:         184
        .size:           8
        .value_kind:     hidden_global_offset_x
      - .offset:         192
        .size:           8
        .value_kind:     hidden_global_offset_y
      - .offset:         200
        .size:           8
        .value_kind:     hidden_global_offset_z
      - .offset:         208
        .size:           2
        .value_kind:     hidden_grid_dims
    .group_segment_fixed_size: 5280
    .kernarg_segment_align: 8
    .kernarg_segment_size: 400
    .language:       OpenCL C
    .language_version:
      - 2
      - 0
    .max_flat_workgroup_size: 256
    .name:           _Z38paged_attention_ll4mi_QKV_mfma4_kernelI14__hip_bfloat16S0_LN4vllm18Fp8KVCacheDataTypeE0ES0_Li16ELi128ELi256ELb0ELi4EEvPKT_PKT0_S8_ifPKiSA_SA_iPKfiiiPfSD_PS3_PT2_iSC_SC_
    .private_segment_fixed_size: 0
    .sgpr_count:     44
    .sgpr_spill_count: 0
    .symbol:         _Z38paged_attention_ll4mi_QKV_mfma4_kernelI14__hip_bfloat16S0_LN4vllm18Fp8KVCacheDataTypeE0ES0_Li16ELi128ELi256ELb0ELi4EEvPKT_PKT0_S8_ifPKiSA_SA_iPKfiiiPfSD_PS3_PT2_iSC_SC_.kd
    .uniform_work_group_size: 1
    .uses_dynamic_stack: false
    .vgpr_count:     104
    .vgpr_spill_count: 0
    .wavefront_size: 64
  - .agpr_count:     0
    .args:
      - .actual_access:  read_only
        .address_space:  global
        .offset:         0
        .size:           8
        .value_kind:     global_buffer
      - .actual_access:  read_only
        .address_space:  global
        .offset:         8
        .size:           8
        .value_kind:     global_buffer
      - .actual_access:  read_only
        .address_space:  global
        .offset:         16
        .size:           8
        .value_kind:     global_buffer
      - .offset:         24
        .size:           4
        .value_kind:     by_value
      - .offset:         28
        .size:           4
        .value_kind:     by_value
      - .actual_access:  read_only
        .address_space:  global
        .offset:         32
        .size:           8
        .value_kind:     global_buffer
      - .actual_access:  read_only
        .address_space:  global
        .offset:         40
        .size:           8
        .value_kind:     global_buffer
      - .actual_access:  read_only
        .address_space:  global
        .offset:         48
        .size:           8
        .value_kind:     global_buffer
      - .offset:         56
        .size:           4
        .value_kind:     by_value
      - .actual_access:  read_only
        .address_space:  global
        .offset:         64
        .size:           8
        .value_kind:     global_buffer
      - .offset:         72
        .size:           4
        .value_kind:     by_value
      - .offset:         76
        .size:           4
        .value_kind:     by_value
      - .offset:         80
        .size:           4
        .value_kind:     by_value
      - .actual_access:  write_only
        .address_space:  global
        .offset:         88
        .size:           8
        .value_kind:     global_buffer
      - .actual_access:  write_only
        .address_space:  global
        .offset:         96
        .size:           8
        .value_kind:     global_buffer
      - .actual_access:  write_only
        .address_space:  global
        .offset:         104
        .size:           8
        .value_kind:     global_buffer
      - .actual_access:  read_only
        .address_space:  global
        .offset:         112
        .size:           8
        .value_kind:     global_buffer
      - .offset:         120
        .size:           4
        .value_kind:     by_value
      - .address_space:  global
        .offset:         128
        .size:           8
        .value_kind:     global_buffer
      - .address_space:  global
        .offset:         136
        .size:           8
        .value_kind:     global_buffer
      - .offset:         144
        .size:           4
        .value_kind:     hidden_block_count_x
      - .offset:         148
        .size:           4
        .value_kind:     hidden_block_count_y
      - .offset:         152
        .size:           4
        .value_kind:     hidden_block_count_z
      - .offset:         156
        .size:           2
        .value_kind:     hidden_group_size_x
      - .offset:         158
        .size:           2
        .value_kind:     hidden_group_size_y
      - .offset:         160
        .size:           2
        .value_kind:     hidden_group_size_z
      - .offset:         162
        .size:           2
        .value_kind:     hidden_remainder_x
      - .offset:         164
        .size:           2
        .value_kind:     hidden_remainder_y
      - .offset:         166
        .size:           2
        .value_kind:     hidden_remainder_z
      - .offset:         184
        .size:           8
        .value_kind:     hidden_global_offset_x
      - .offset:         192
        .size:           8
        .value_kind:     hidden_global_offset_y
      - .offset:         200
        .size:           8
        .value_kind:     hidden_global_offset_z
      - .offset:         208
        .size:           2
        .value_kind:     hidden_grid_dims
    .group_segment_fixed_size: 8192
    .kernarg_segment_align: 8
    .kernarg_segment_size: 400
    .language:       OpenCL C
    .language_version:
      - 2
      - 0
    .max_flat_workgroup_size: 256
    .name:           _Z39paged_attention_ll4mi_QKV_mfma16_kernelI14__hip_bfloat16S0_LN4vllm18Fp8KVCacheDataTypeE0ES0_Li16ELi128ELi256ELb0ELi5EEvPKT_PKT0_S8_ifPKiSA_SA_iPKfiiiPfSD_PS3_PT2_iSC_SC_
    .private_segment_fixed_size: 0
    .sgpr_count:     48
    .sgpr_spill_count: 0
    .symbol:         _Z39paged_attention_ll4mi_QKV_mfma16_kernelI14__hip_bfloat16S0_LN4vllm18Fp8KVCacheDataTypeE0ES0_Li16ELi128ELi256ELb0ELi5EEvPKT_PKT0_S8_ifPKiSA_SA_iPKfiiiPfSD_PS3_PT2_iSC_SC_.kd
    .uniform_work_group_size: 1
    .uses_dynamic_stack: false
    .vgpr_count:     96
    .vgpr_spill_count: 0
    .wavefront_size: 64
  - .agpr_count:     0
    .args:
      - .actual_access:  read_only
        .address_space:  global
        .offset:         0
        .size:           8
        .value_kind:     global_buffer
      - .actual_access:  read_only
        .address_space:  global
        .offset:         8
        .size:           8
        .value_kind:     global_buffer
      - .actual_access:  read_only
        .address_space:  global
        .offset:         16
        .size:           8
        .value_kind:     global_buffer
      - .offset:         24
        .size:           4
        .value_kind:     by_value
      - .offset:         28
        .size:           4
        .value_kind:     by_value
      - .actual_access:  read_only
        .address_space:  global
        .offset:         32
        .size:           8
        .value_kind:     global_buffer
      - .actual_access:  read_only
        .address_space:  global
        .offset:         40
        .size:           8
        .value_kind:     global_buffer
      - .actual_access:  read_only
        .address_space:  global
        .offset:         48
        .size:           8
        .value_kind:     global_buffer
      - .offset:         56
        .size:           4
        .value_kind:     by_value
      - .actual_access:  read_only
        .address_space:  global
        .offset:         64
        .size:           8
        .value_kind:     global_buffer
      - .offset:         72
        .size:           4
        .value_kind:     by_value
      - .offset:         76
        .size:           4
        .value_kind:     by_value
      - .offset:         80
        .size:           4
        .value_kind:     by_value
      - .actual_access:  write_only
        .address_space:  global
        .offset:         88
        .size:           8
        .value_kind:     global_buffer
      - .actual_access:  write_only
        .address_space:  global
        .offset:         96
        .size:           8
        .value_kind:     global_buffer
      - .actual_access:  write_only
        .address_space:  global
        .offset:         104
        .size:           8
        .value_kind:     global_buffer
      - .actual_access:  read_only
        .address_space:  global
        .offset:         112
        .size:           8
        .value_kind:     global_buffer
      - .offset:         120
        .size:           4
        .value_kind:     by_value
      - .address_space:  global
        .offset:         128
        .size:           8
        .value_kind:     global_buffer
      - .address_space:  global
        .offset:         136
        .size:           8
        .value_kind:     global_buffer
      - .offset:         144
        .size:           4
        .value_kind:     hidden_block_count_x
      - .offset:         148
        .size:           4
        .value_kind:     hidden_block_count_y
      - .offset:         152
        .size:           4
        .value_kind:     hidden_block_count_z
      - .offset:         156
        .size:           2
        .value_kind:     hidden_group_size_x
      - .offset:         158
        .size:           2
        .value_kind:     hidden_group_size_y
      - .offset:         160
        .size:           2
        .value_kind:     hidden_group_size_z
      - .offset:         162
        .size:           2
        .value_kind:     hidden_remainder_x
      - .offset:         164
        .size:           2
        .value_kind:     hidden_remainder_y
      - .offset:         166
        .size:           2
        .value_kind:     hidden_remainder_z
      - .offset:         184
        .size:           8
        .value_kind:     hidden_global_offset_x
      - .offset:         192
        .size:           8
        .value_kind:     hidden_global_offset_y
      - .offset:         200
        .size:           8
        .value_kind:     hidden_global_offset_z
      - .offset:         208
        .size:           2
        .value_kind:     hidden_grid_dims
    .group_segment_fixed_size: 8192
    .kernarg_segment_align: 8
    .kernarg_segment_size: 400
    .language:       OpenCL C
    .language_version:
      - 2
      - 0
    .max_flat_workgroup_size: 256
    .name:           _Z39paged_attention_ll4mi_QKV_mfma16_kernelI14__hip_bfloat16S0_LN4vllm18Fp8KVCacheDataTypeE0ES0_Li16ELi128ELi256ELb0ELi6EEvPKT_PKT0_S8_ifPKiSA_SA_iPKfiiiPfSD_PS3_PT2_iSC_SC_
    .private_segment_fixed_size: 12
    .sgpr_count:     48
    .sgpr_spill_count: 0
    .symbol:         _Z39paged_attention_ll4mi_QKV_mfma16_kernelI14__hip_bfloat16S0_LN4vllm18Fp8KVCacheDataTypeE0ES0_Li16ELi128ELi256ELb0ELi6EEvPKT_PKT0_S8_ifPKiSA_SA_iPKfiiiPfSD_PS3_PT2_iSC_SC_.kd
    .uniform_work_group_size: 1
    .uses_dynamic_stack: false
    .vgpr_count:     96
    .vgpr_spill_count: 4
    .wavefront_size: 64
  - .agpr_count:     0
    .args:
      - .actual_access:  read_only
        .address_space:  global
        .offset:         0
        .size:           8
        .value_kind:     global_buffer
      - .actual_access:  read_only
        .address_space:  global
        .offset:         8
        .size:           8
        .value_kind:     global_buffer
      - .actual_access:  read_only
        .address_space:  global
        .offset:         16
        .size:           8
        .value_kind:     global_buffer
      - .offset:         24
        .size:           4
        .value_kind:     by_value
      - .offset:         28
        .size:           4
        .value_kind:     by_value
      - .actual_access:  read_only
        .address_space:  global
        .offset:         32
        .size:           8
        .value_kind:     global_buffer
      - .actual_access:  read_only
        .address_space:  global
        .offset:         40
        .size:           8
        .value_kind:     global_buffer
      - .actual_access:  read_only
        .address_space:  global
        .offset:         48
        .size:           8
        .value_kind:     global_buffer
      - .offset:         56
        .size:           4
        .value_kind:     by_value
      - .actual_access:  read_only
        .address_space:  global
        .offset:         64
        .size:           8
        .value_kind:     global_buffer
      - .offset:         72
        .size:           4
        .value_kind:     by_value
      - .offset:         76
        .size:           4
        .value_kind:     by_value
      - .offset:         80
        .size:           4
        .value_kind:     by_value
      - .actual_access:  write_only
        .address_space:  global
        .offset:         88
        .size:           8
        .value_kind:     global_buffer
      - .actual_access:  write_only
        .address_space:  global
        .offset:         96
        .size:           8
        .value_kind:     global_buffer
      - .actual_access:  write_only
        .address_space:  global
        .offset:         104
        .size:           8
        .value_kind:     global_buffer
      - .actual_access:  read_only
        .address_space:  global
        .offset:         112
        .size:           8
        .value_kind:     global_buffer
      - .offset:         120
        .size:           4
        .value_kind:     by_value
      - .address_space:  global
        .offset:         128
        .size:           8
        .value_kind:     global_buffer
      - .address_space:  global
        .offset:         136
        .size:           8
        .value_kind:     global_buffer
      - .offset:         144
        .size:           4
        .value_kind:     hidden_block_count_x
      - .offset:         148
        .size:           4
        .value_kind:     hidden_block_count_y
      - .offset:         152
        .size:           4
        .value_kind:     hidden_block_count_z
      - .offset:         156
        .size:           2
        .value_kind:     hidden_group_size_x
      - .offset:         158
        .size:           2
        .value_kind:     hidden_group_size_y
      - .offset:         160
        .size:           2
        .value_kind:     hidden_group_size_z
      - .offset:         162
        .size:           2
        .value_kind:     hidden_remainder_x
      - .offset:         164
        .size:           2
        .value_kind:     hidden_remainder_y
      - .offset:         166
        .size:           2
        .value_kind:     hidden_remainder_z
      - .offset:         184
        .size:           8
        .value_kind:     hidden_global_offset_x
      - .offset:         192
        .size:           8
        .value_kind:     hidden_global_offset_y
      - .offset:         200
        .size:           8
        .value_kind:     hidden_global_offset_z
      - .offset:         208
        .size:           2
        .value_kind:     hidden_grid_dims
    .group_segment_fixed_size: 8192
    .kernarg_segment_align: 8
    .kernarg_segment_size: 400
    .language:       OpenCL C
    .language_version:
      - 2
      - 0
    .max_flat_workgroup_size: 256
    .name:           _Z39paged_attention_ll4mi_QKV_mfma16_kernelI14__hip_bfloat16S0_LN4vllm18Fp8KVCacheDataTypeE0ES0_Li16ELi128ELi256ELb0ELi7EEvPKT_PKT0_S8_ifPKiSA_SA_iPKfiiiPfSD_PS3_PT2_iSC_SC_
    .private_segment_fixed_size: 12
    .sgpr_count:     48
    .sgpr_spill_count: 0
    .symbol:         _Z39paged_attention_ll4mi_QKV_mfma16_kernelI14__hip_bfloat16S0_LN4vllm18Fp8KVCacheDataTypeE0ES0_Li16ELi128ELi256ELb0ELi7EEvPKT_PKT0_S8_ifPKiSA_SA_iPKfiiiPfSD_PS3_PT2_iSC_SC_.kd
    .uniform_work_group_size: 1
    .uses_dynamic_stack: false
    .vgpr_count:     96
    .vgpr_spill_count: 4
    .wavefront_size: 64
  - .agpr_count:     0
    .args:
      - .actual_access:  read_only
        .address_space:  global
        .offset:         0
        .size:           8
        .value_kind:     global_buffer
      - .actual_access:  read_only
        .address_space:  global
        .offset:         8
        .size:           8
        .value_kind:     global_buffer
      - .actual_access:  read_only
        .address_space:  global
        .offset:         16
        .size:           8
        .value_kind:     global_buffer
      - .offset:         24
        .size:           4
        .value_kind:     by_value
      - .offset:         28
        .size:           4
        .value_kind:     by_value
      - .actual_access:  read_only
        .address_space:  global
        .offset:         32
        .size:           8
        .value_kind:     global_buffer
      - .actual_access:  read_only
        .address_space:  global
        .offset:         40
        .size:           8
        .value_kind:     global_buffer
      - .actual_access:  read_only
        .address_space:  global
        .offset:         48
        .size:           8
        .value_kind:     global_buffer
      - .offset:         56
        .size:           4
        .value_kind:     by_value
      - .actual_access:  read_only
        .address_space:  global
        .offset:         64
        .size:           8
        .value_kind:     global_buffer
      - .offset:         72
        .size:           4
        .value_kind:     by_value
      - .offset:         76
        .size:           4
        .value_kind:     by_value
      - .offset:         80
        .size:           4
        .value_kind:     by_value
      - .actual_access:  write_only
        .address_space:  global
        .offset:         88
        .size:           8
        .value_kind:     global_buffer
      - .actual_access:  write_only
        .address_space:  global
        .offset:         96
        .size:           8
        .value_kind:     global_buffer
      - .actual_access:  write_only
        .address_space:  global
        .offset:         104
        .size:           8
        .value_kind:     global_buffer
      - .actual_access:  read_only
        .address_space:  global
        .offset:         112
        .size:           8
        .value_kind:     global_buffer
      - .offset:         120
        .size:           4
        .value_kind:     by_value
      - .address_space:  global
        .offset:         128
        .size:           8
        .value_kind:     global_buffer
      - .address_space:  global
        .offset:         136
        .size:           8
        .value_kind:     global_buffer
      - .offset:         144
        .size:           4
        .value_kind:     hidden_block_count_x
      - .offset:         148
        .size:           4
        .value_kind:     hidden_block_count_y
      - .offset:         152
        .size:           4
        .value_kind:     hidden_block_count_z
      - .offset:         156
        .size:           2
        .value_kind:     hidden_group_size_x
      - .offset:         158
        .size:           2
        .value_kind:     hidden_group_size_y
      - .offset:         160
        .size:           2
        .value_kind:     hidden_group_size_z
      - .offset:         162
        .size:           2
        .value_kind:     hidden_remainder_x
      - .offset:         164
        .size:           2
        .value_kind:     hidden_remainder_y
      - .offset:         166
        .size:           2
        .value_kind:     hidden_remainder_z
      - .offset:         184
        .size:           8
        .value_kind:     hidden_global_offset_x
      - .offset:         192
        .size:           8
        .value_kind:     hidden_global_offset_y
      - .offset:         200
        .size:           8
        .value_kind:     hidden_global_offset_z
      - .offset:         208
        .size:           2
        .value_kind:     hidden_grid_dims
    .group_segment_fixed_size: 8192
    .kernarg_segment_align: 8
    .kernarg_segment_size: 400
    .language:       OpenCL C
    .language_version:
      - 2
      - 0
    .max_flat_workgroup_size: 256
    .name:           _Z39paged_attention_ll4mi_QKV_mfma16_kernelI14__hip_bfloat16S0_LN4vllm18Fp8KVCacheDataTypeE0ES0_Li16ELi128ELi256ELb0ELi8EEvPKT_PKT0_S8_ifPKiSA_SA_iPKfiiiPfSD_PS3_PT2_iSC_SC_
    .private_segment_fixed_size: 0
    .sgpr_count:     47
    .sgpr_spill_count: 0
    .symbol:         _Z39paged_attention_ll4mi_QKV_mfma16_kernelI14__hip_bfloat16S0_LN4vllm18Fp8KVCacheDataTypeE0ES0_Li16ELi128ELi256ELb0ELi8EEvPKT_PKT0_S8_ifPKiSA_SA_iPKfiiiPfSD_PS3_PT2_iSC_SC_.kd
    .uniform_work_group_size: 1
    .uses_dynamic_stack: false
    .vgpr_count:     96
    .vgpr_spill_count: 0
    .wavefront_size: 64
  - .agpr_count:     0
    .args:
      - .actual_access:  read_only
        .address_space:  global
        .offset:         0
        .size:           8
        .value_kind:     global_buffer
      - .actual_access:  read_only
        .address_space:  global
        .offset:         8
        .size:           8
        .value_kind:     global_buffer
      - .actual_access:  read_only
        .address_space:  global
        .offset:         16
        .size:           8
        .value_kind:     global_buffer
      - .offset:         24
        .size:           4
        .value_kind:     by_value
      - .offset:         28
        .size:           4
        .value_kind:     by_value
      - .actual_access:  read_only
        .address_space:  global
        .offset:         32
        .size:           8
        .value_kind:     global_buffer
      - .actual_access:  read_only
        .address_space:  global
        .offset:         40
        .size:           8
        .value_kind:     global_buffer
      - .actual_access:  read_only
        .address_space:  global
        .offset:         48
        .size:           8
        .value_kind:     global_buffer
      - .offset:         56
        .size:           4
        .value_kind:     by_value
      - .actual_access:  read_only
        .address_space:  global
        .offset:         64
        .size:           8
        .value_kind:     global_buffer
      - .offset:         72
        .size:           4
        .value_kind:     by_value
      - .offset:         76
        .size:           4
        .value_kind:     by_value
      - .offset:         80
        .size:           4
        .value_kind:     by_value
      - .actual_access:  write_only
        .address_space:  global
        .offset:         88
        .size:           8
        .value_kind:     global_buffer
      - .actual_access:  write_only
        .address_space:  global
        .offset:         96
        .size:           8
        .value_kind:     global_buffer
      - .actual_access:  write_only
        .address_space:  global
        .offset:         104
        .size:           8
        .value_kind:     global_buffer
      - .actual_access:  read_only
        .address_space:  global
        .offset:         112
        .size:           8
        .value_kind:     global_buffer
      - .offset:         120
        .size:           4
        .value_kind:     by_value
      - .address_space:  global
        .offset:         128
        .size:           8
        .value_kind:     global_buffer
      - .address_space:  global
        .offset:         136
        .size:           8
        .value_kind:     global_buffer
      - .offset:         144
        .size:           4
        .value_kind:     hidden_block_count_x
      - .offset:         148
        .size:           4
        .value_kind:     hidden_block_count_y
      - .offset:         152
        .size:           4
        .value_kind:     hidden_block_count_z
      - .offset:         156
        .size:           2
        .value_kind:     hidden_group_size_x
      - .offset:         158
        .size:           2
        .value_kind:     hidden_group_size_y
      - .offset:         160
        .size:           2
        .value_kind:     hidden_group_size_z
      - .offset:         162
        .size:           2
        .value_kind:     hidden_remainder_x
      - .offset:         164
        .size:           2
        .value_kind:     hidden_remainder_y
      - .offset:         166
        .size:           2
        .value_kind:     hidden_remainder_z
      - .offset:         184
        .size:           8
        .value_kind:     hidden_global_offset_x
      - .offset:         192
        .size:           8
        .value_kind:     hidden_global_offset_y
      - .offset:         200
        .size:           8
        .value_kind:     hidden_global_offset_z
      - .offset:         208
        .size:           2
        .value_kind:     hidden_grid_dims
    .group_segment_fixed_size: 8192
    .kernarg_segment_align: 8
    .kernarg_segment_size: 400
    .language:       OpenCL C
    .language_version:
      - 2
      - 0
    .max_flat_workgroup_size: 256
    .name:           _Z39paged_attention_ll4mi_QKV_mfma16_kernelI14__hip_bfloat16S0_LN4vllm18Fp8KVCacheDataTypeE0ES0_Li16ELi128ELi256ELb0ELi9EEvPKT_PKT0_S8_ifPKiSA_SA_iPKfiiiPfSD_PS3_PT2_iSC_SC_
    .private_segment_fixed_size: 0
    .sgpr_count:     48
    .sgpr_spill_count: 0
    .symbol:         _Z39paged_attention_ll4mi_QKV_mfma16_kernelI14__hip_bfloat16S0_LN4vllm18Fp8KVCacheDataTypeE0ES0_Li16ELi128ELi256ELb0ELi9EEvPKT_PKT0_S8_ifPKiSA_SA_iPKfiiiPfSD_PS3_PT2_iSC_SC_.kd
    .uniform_work_group_size: 1
    .uses_dynamic_stack: false
    .vgpr_count:     96
    .vgpr_spill_count: 0
    .wavefront_size: 64
  - .agpr_count:     0
    .args:
      - .actual_access:  read_only
        .address_space:  global
        .offset:         0
        .size:           8
        .value_kind:     global_buffer
      - .actual_access:  read_only
        .address_space:  global
        .offset:         8
        .size:           8
        .value_kind:     global_buffer
      - .actual_access:  read_only
        .address_space:  global
        .offset:         16
        .size:           8
        .value_kind:     global_buffer
      - .offset:         24
        .size:           4
        .value_kind:     by_value
      - .offset:         28
        .size:           4
        .value_kind:     by_value
      - .actual_access:  read_only
        .address_space:  global
        .offset:         32
        .size:           8
        .value_kind:     global_buffer
      - .actual_access:  read_only
        .address_space:  global
        .offset:         40
        .size:           8
        .value_kind:     global_buffer
      - .actual_access:  read_only
        .address_space:  global
        .offset:         48
        .size:           8
        .value_kind:     global_buffer
      - .offset:         56
        .size:           4
        .value_kind:     by_value
      - .actual_access:  read_only
        .address_space:  global
        .offset:         64
        .size:           8
        .value_kind:     global_buffer
      - .offset:         72
        .size:           4
        .value_kind:     by_value
      - .offset:         76
        .size:           4
        .value_kind:     by_value
      - .offset:         80
        .size:           4
        .value_kind:     by_value
      - .actual_access:  write_only
        .address_space:  global
        .offset:         88
        .size:           8
        .value_kind:     global_buffer
      - .actual_access:  write_only
        .address_space:  global
        .offset:         96
        .size:           8
        .value_kind:     global_buffer
      - .actual_access:  write_only
        .address_space:  global
        .offset:         104
        .size:           8
        .value_kind:     global_buffer
      - .actual_access:  read_only
        .address_space:  global
        .offset:         112
        .size:           8
        .value_kind:     global_buffer
      - .offset:         120
        .size:           4
        .value_kind:     by_value
      - .address_space:  global
        .offset:         128
        .size:           8
        .value_kind:     global_buffer
      - .address_space:  global
        .offset:         136
        .size:           8
        .value_kind:     global_buffer
      - .offset:         144
        .size:           4
        .value_kind:     hidden_block_count_x
      - .offset:         148
        .size:           4
        .value_kind:     hidden_block_count_y
      - .offset:         152
        .size:           4
        .value_kind:     hidden_block_count_z
      - .offset:         156
        .size:           2
        .value_kind:     hidden_group_size_x
      - .offset:         158
        .size:           2
        .value_kind:     hidden_group_size_y
      - .offset:         160
        .size:           2
        .value_kind:     hidden_group_size_z
      - .offset:         162
        .size:           2
        .value_kind:     hidden_remainder_x
      - .offset:         164
        .size:           2
        .value_kind:     hidden_remainder_y
      - .offset:         166
        .size:           2
        .value_kind:     hidden_remainder_z
      - .offset:         184
        .size:           8
        .value_kind:     hidden_global_offset_x
      - .offset:         192
        .size:           8
        .value_kind:     hidden_global_offset_y
      - .offset:         200
        .size:           8
        .value_kind:     hidden_global_offset_z
      - .offset:         208
        .size:           2
        .value_kind:     hidden_grid_dims
    .group_segment_fixed_size: 8192
    .kernarg_segment_align: 8
    .kernarg_segment_size: 400
    .language:       OpenCL C
    .language_version:
      - 2
      - 0
    .max_flat_workgroup_size: 256
    .name:           _Z39paged_attention_ll4mi_QKV_mfma16_kernelI14__hip_bfloat16S0_LN4vllm18Fp8KVCacheDataTypeE0ES0_Li16ELi128ELi256ELb0ELi10EEvPKT_PKT0_S8_ifPKiSA_SA_iPKfiiiPfSD_PS3_PT2_iSC_SC_
    .private_segment_fixed_size: 0
    .sgpr_count:     48
    .sgpr_spill_count: 0
    .symbol:         _Z39paged_attention_ll4mi_QKV_mfma16_kernelI14__hip_bfloat16S0_LN4vllm18Fp8KVCacheDataTypeE0ES0_Li16ELi128ELi256ELb0ELi10EEvPKT_PKT0_S8_ifPKiSA_SA_iPKfiiiPfSD_PS3_PT2_iSC_SC_.kd
    .uniform_work_group_size: 1
    .uses_dynamic_stack: false
    .vgpr_count:     96
    .vgpr_spill_count: 0
    .wavefront_size: 64
  - .agpr_count:     0
    .args:
      - .actual_access:  read_only
        .address_space:  global
        .offset:         0
        .size:           8
        .value_kind:     global_buffer
      - .actual_access:  read_only
        .address_space:  global
        .offset:         8
        .size:           8
        .value_kind:     global_buffer
      - .actual_access:  read_only
        .address_space:  global
        .offset:         16
        .size:           8
        .value_kind:     global_buffer
      - .offset:         24
        .size:           4
        .value_kind:     by_value
      - .offset:         28
        .size:           4
        .value_kind:     by_value
      - .actual_access:  read_only
        .address_space:  global
        .offset:         32
        .size:           8
        .value_kind:     global_buffer
      - .actual_access:  read_only
        .address_space:  global
        .offset:         40
        .size:           8
        .value_kind:     global_buffer
      - .actual_access:  read_only
        .address_space:  global
        .offset:         48
        .size:           8
        .value_kind:     global_buffer
      - .offset:         56
        .size:           4
        .value_kind:     by_value
      - .actual_access:  read_only
        .address_space:  global
        .offset:         64
        .size:           8
        .value_kind:     global_buffer
      - .offset:         72
        .size:           4
        .value_kind:     by_value
      - .offset:         76
        .size:           4
        .value_kind:     by_value
      - .offset:         80
        .size:           4
        .value_kind:     by_value
      - .actual_access:  write_only
        .address_space:  global
        .offset:         88
        .size:           8
        .value_kind:     global_buffer
      - .actual_access:  write_only
        .address_space:  global
        .offset:         96
        .size:           8
        .value_kind:     global_buffer
      - .actual_access:  write_only
        .address_space:  global
        .offset:         104
        .size:           8
        .value_kind:     global_buffer
      - .actual_access:  read_only
        .address_space:  global
        .offset:         112
        .size:           8
        .value_kind:     global_buffer
      - .offset:         120
        .size:           4
        .value_kind:     by_value
      - .address_space:  global
        .offset:         128
        .size:           8
        .value_kind:     global_buffer
      - .address_space:  global
        .offset:         136
        .size:           8
        .value_kind:     global_buffer
      - .offset:         144
        .size:           4
        .value_kind:     hidden_block_count_x
      - .offset:         148
        .size:           4
        .value_kind:     hidden_block_count_y
      - .offset:         152
        .size:           4
        .value_kind:     hidden_block_count_z
      - .offset:         156
        .size:           2
        .value_kind:     hidden_group_size_x
      - .offset:         158
        .size:           2
        .value_kind:     hidden_group_size_y
      - .offset:         160
        .size:           2
        .value_kind:     hidden_group_size_z
      - .offset:         162
        .size:           2
        .value_kind:     hidden_remainder_x
      - .offset:         164
        .size:           2
        .value_kind:     hidden_remainder_y
      - .offset:         166
        .size:           2
        .value_kind:     hidden_remainder_z
      - .offset:         184
        .size:           8
        .value_kind:     hidden_global_offset_x
      - .offset:         192
        .size:           8
        .value_kind:     hidden_global_offset_y
      - .offset:         200
        .size:           8
        .value_kind:     hidden_global_offset_z
      - .offset:         208
        .size:           2
        .value_kind:     hidden_grid_dims
    .group_segment_fixed_size: 8192
    .kernarg_segment_align: 8
    .kernarg_segment_size: 400
    .language:       OpenCL C
    .language_version:
      - 2
      - 0
    .max_flat_workgroup_size: 256
    .name:           _Z39paged_attention_ll4mi_QKV_mfma16_kernelI14__hip_bfloat16S0_LN4vllm18Fp8KVCacheDataTypeE0ES0_Li16ELi128ELi256ELb0ELi11EEvPKT_PKT0_S8_ifPKiSA_SA_iPKfiiiPfSD_PS3_PT2_iSC_SC_
    .private_segment_fixed_size: 0
    .sgpr_count:     48
    .sgpr_spill_count: 0
    .symbol:         _Z39paged_attention_ll4mi_QKV_mfma16_kernelI14__hip_bfloat16S0_LN4vllm18Fp8KVCacheDataTypeE0ES0_Li16ELi128ELi256ELb0ELi11EEvPKT_PKT0_S8_ifPKiSA_SA_iPKfiiiPfSD_PS3_PT2_iSC_SC_.kd
    .uniform_work_group_size: 1
    .uses_dynamic_stack: false
    .vgpr_count:     96
    .vgpr_spill_count: 0
    .wavefront_size: 64
  - .agpr_count:     0
    .args:
      - .actual_access:  read_only
        .address_space:  global
        .offset:         0
        .size:           8
        .value_kind:     global_buffer
      - .actual_access:  read_only
        .address_space:  global
        .offset:         8
        .size:           8
        .value_kind:     global_buffer
      - .actual_access:  read_only
        .address_space:  global
        .offset:         16
        .size:           8
        .value_kind:     global_buffer
      - .offset:         24
        .size:           4
        .value_kind:     by_value
      - .offset:         28
        .size:           4
        .value_kind:     by_value
      - .actual_access:  read_only
        .address_space:  global
        .offset:         32
        .size:           8
        .value_kind:     global_buffer
      - .actual_access:  read_only
        .address_space:  global
        .offset:         40
        .size:           8
        .value_kind:     global_buffer
      - .actual_access:  read_only
        .address_space:  global
        .offset:         48
        .size:           8
        .value_kind:     global_buffer
      - .offset:         56
        .size:           4
        .value_kind:     by_value
      - .actual_access:  read_only
        .address_space:  global
        .offset:         64
        .size:           8
        .value_kind:     global_buffer
      - .offset:         72
        .size:           4
        .value_kind:     by_value
      - .offset:         76
        .size:           4
        .value_kind:     by_value
      - .offset:         80
        .size:           4
        .value_kind:     by_value
      - .actual_access:  write_only
        .address_space:  global
        .offset:         88
        .size:           8
        .value_kind:     global_buffer
      - .actual_access:  write_only
        .address_space:  global
        .offset:         96
        .size:           8
        .value_kind:     global_buffer
      - .actual_access:  write_only
        .address_space:  global
        .offset:         104
        .size:           8
        .value_kind:     global_buffer
      - .actual_access:  read_only
        .address_space:  global
        .offset:         112
        .size:           8
        .value_kind:     global_buffer
      - .offset:         120
        .size:           4
        .value_kind:     by_value
      - .address_space:  global
        .offset:         128
        .size:           8
        .value_kind:     global_buffer
      - .address_space:  global
        .offset:         136
        .size:           8
        .value_kind:     global_buffer
      - .offset:         144
        .size:           4
        .value_kind:     hidden_block_count_x
      - .offset:         148
        .size:           4
        .value_kind:     hidden_block_count_y
      - .offset:         152
        .size:           4
        .value_kind:     hidden_block_count_z
      - .offset:         156
        .size:           2
        .value_kind:     hidden_group_size_x
      - .offset:         158
        .size:           2
        .value_kind:     hidden_group_size_y
      - .offset:         160
        .size:           2
        .value_kind:     hidden_group_size_z
      - .offset:         162
        .size:           2
        .value_kind:     hidden_remainder_x
      - .offset:         164
        .size:           2
        .value_kind:     hidden_remainder_y
      - .offset:         166
        .size:           2
        .value_kind:     hidden_remainder_z
      - .offset:         184
        .size:           8
        .value_kind:     hidden_global_offset_x
      - .offset:         192
        .size:           8
        .value_kind:     hidden_global_offset_y
      - .offset:         200
        .size:           8
        .value_kind:     hidden_global_offset_z
      - .offset:         208
        .size:           2
        .value_kind:     hidden_grid_dims
    .group_segment_fixed_size: 8192
    .kernarg_segment_align: 8
    .kernarg_segment_size: 400
    .language:       OpenCL C
    .language_version:
      - 2
      - 0
    .max_flat_workgroup_size: 256
    .name:           _Z39paged_attention_ll4mi_QKV_mfma16_kernelI14__hip_bfloat16S0_LN4vllm18Fp8KVCacheDataTypeE0ES0_Li16ELi128ELi256ELb0ELi12EEvPKT_PKT0_S8_ifPKiSA_SA_iPKfiiiPfSD_PS3_PT2_iSC_SC_
    .private_segment_fixed_size: 12
    .sgpr_count:     48
    .sgpr_spill_count: 0
    .symbol:         _Z39paged_attention_ll4mi_QKV_mfma16_kernelI14__hip_bfloat16S0_LN4vllm18Fp8KVCacheDataTypeE0ES0_Li16ELi128ELi256ELb0ELi12EEvPKT_PKT0_S8_ifPKiSA_SA_iPKfiiiPfSD_PS3_PT2_iSC_SC_.kd
    .uniform_work_group_size: 1
    .uses_dynamic_stack: false
    .vgpr_count:     96
    .vgpr_spill_count: 4
    .wavefront_size: 64
  - .agpr_count:     0
    .args:
      - .actual_access:  read_only
        .address_space:  global
        .offset:         0
        .size:           8
        .value_kind:     global_buffer
      - .actual_access:  read_only
        .address_space:  global
        .offset:         8
        .size:           8
        .value_kind:     global_buffer
      - .actual_access:  read_only
        .address_space:  global
        .offset:         16
        .size:           8
        .value_kind:     global_buffer
      - .offset:         24
        .size:           4
        .value_kind:     by_value
      - .offset:         28
        .size:           4
        .value_kind:     by_value
      - .actual_access:  read_only
        .address_space:  global
        .offset:         32
        .size:           8
        .value_kind:     global_buffer
      - .actual_access:  read_only
        .address_space:  global
        .offset:         40
        .size:           8
        .value_kind:     global_buffer
      - .actual_access:  read_only
        .address_space:  global
        .offset:         48
        .size:           8
        .value_kind:     global_buffer
      - .offset:         56
        .size:           4
        .value_kind:     by_value
      - .actual_access:  read_only
        .address_space:  global
        .offset:         64
        .size:           8
        .value_kind:     global_buffer
      - .offset:         72
        .size:           4
        .value_kind:     by_value
      - .offset:         76
        .size:           4
        .value_kind:     by_value
      - .offset:         80
        .size:           4
        .value_kind:     by_value
      - .actual_access:  write_only
        .address_space:  global
        .offset:         88
        .size:           8
        .value_kind:     global_buffer
      - .actual_access:  write_only
        .address_space:  global
        .offset:         96
        .size:           8
        .value_kind:     global_buffer
      - .actual_access:  write_only
        .address_space:  global
        .offset:         104
        .size:           8
        .value_kind:     global_buffer
      - .actual_access:  read_only
        .address_space:  global
        .offset:         112
        .size:           8
        .value_kind:     global_buffer
      - .offset:         120
        .size:           4
        .value_kind:     by_value
      - .address_space:  global
        .offset:         128
        .size:           8
        .value_kind:     global_buffer
      - .address_space:  global
        .offset:         136
        .size:           8
        .value_kind:     global_buffer
      - .offset:         144
        .size:           4
        .value_kind:     hidden_block_count_x
      - .offset:         148
        .size:           4
        .value_kind:     hidden_block_count_y
      - .offset:         152
        .size:           4
        .value_kind:     hidden_block_count_z
      - .offset:         156
        .size:           2
        .value_kind:     hidden_group_size_x
      - .offset:         158
        .size:           2
        .value_kind:     hidden_group_size_y
      - .offset:         160
        .size:           2
        .value_kind:     hidden_group_size_z
      - .offset:         162
        .size:           2
        .value_kind:     hidden_remainder_x
      - .offset:         164
        .size:           2
        .value_kind:     hidden_remainder_y
      - .offset:         166
        .size:           2
        .value_kind:     hidden_remainder_z
      - .offset:         184
        .size:           8
        .value_kind:     hidden_global_offset_x
      - .offset:         192
        .size:           8
        .value_kind:     hidden_global_offset_y
      - .offset:         200
        .size:           8
        .value_kind:     hidden_global_offset_z
      - .offset:         208
        .size:           2
        .value_kind:     hidden_grid_dims
    .group_segment_fixed_size: 8192
    .kernarg_segment_align: 8
    .kernarg_segment_size: 400
    .language:       OpenCL C
    .language_version:
      - 2
      - 0
    .max_flat_workgroup_size: 256
    .name:           _Z39paged_attention_ll4mi_QKV_mfma16_kernelI14__hip_bfloat16S0_LN4vllm18Fp8KVCacheDataTypeE0ES0_Li16ELi128ELi256ELb0ELi13EEvPKT_PKT0_S8_ifPKiSA_SA_iPKfiiiPfSD_PS3_PT2_iSC_SC_
    .private_segment_fixed_size: 0
    .sgpr_count:     48
    .sgpr_spill_count: 0
    .symbol:         _Z39paged_attention_ll4mi_QKV_mfma16_kernelI14__hip_bfloat16S0_LN4vllm18Fp8KVCacheDataTypeE0ES0_Li16ELi128ELi256ELb0ELi13EEvPKT_PKT0_S8_ifPKiSA_SA_iPKfiiiPfSD_PS3_PT2_iSC_SC_.kd
    .uniform_work_group_size: 1
    .uses_dynamic_stack: false
    .vgpr_count:     96
    .vgpr_spill_count: 0
    .wavefront_size: 64
  - .agpr_count:     0
    .args:
      - .actual_access:  read_only
        .address_space:  global
        .offset:         0
        .size:           8
        .value_kind:     global_buffer
      - .actual_access:  read_only
        .address_space:  global
        .offset:         8
        .size:           8
        .value_kind:     global_buffer
      - .actual_access:  read_only
        .address_space:  global
        .offset:         16
        .size:           8
        .value_kind:     global_buffer
      - .offset:         24
        .size:           4
        .value_kind:     by_value
      - .offset:         28
        .size:           4
        .value_kind:     by_value
      - .actual_access:  read_only
        .address_space:  global
        .offset:         32
        .size:           8
        .value_kind:     global_buffer
      - .actual_access:  read_only
        .address_space:  global
        .offset:         40
        .size:           8
        .value_kind:     global_buffer
      - .actual_access:  read_only
        .address_space:  global
        .offset:         48
        .size:           8
        .value_kind:     global_buffer
      - .offset:         56
        .size:           4
        .value_kind:     by_value
      - .actual_access:  read_only
        .address_space:  global
        .offset:         64
        .size:           8
        .value_kind:     global_buffer
      - .offset:         72
        .size:           4
        .value_kind:     by_value
      - .offset:         76
        .size:           4
        .value_kind:     by_value
      - .offset:         80
        .size:           4
        .value_kind:     by_value
      - .actual_access:  write_only
        .address_space:  global
        .offset:         88
        .size:           8
        .value_kind:     global_buffer
      - .actual_access:  write_only
        .address_space:  global
        .offset:         96
        .size:           8
        .value_kind:     global_buffer
      - .actual_access:  write_only
        .address_space:  global
        .offset:         104
        .size:           8
        .value_kind:     global_buffer
      - .actual_access:  read_only
        .address_space:  global
        .offset:         112
        .size:           8
        .value_kind:     global_buffer
      - .offset:         120
        .size:           4
        .value_kind:     by_value
      - .address_space:  global
        .offset:         128
        .size:           8
        .value_kind:     global_buffer
      - .address_space:  global
        .offset:         136
        .size:           8
        .value_kind:     global_buffer
      - .offset:         144
        .size:           4
        .value_kind:     hidden_block_count_x
      - .offset:         148
        .size:           4
        .value_kind:     hidden_block_count_y
      - .offset:         152
        .size:           4
        .value_kind:     hidden_block_count_z
      - .offset:         156
        .size:           2
        .value_kind:     hidden_group_size_x
      - .offset:         158
        .size:           2
        .value_kind:     hidden_group_size_y
      - .offset:         160
        .size:           2
        .value_kind:     hidden_group_size_z
      - .offset:         162
        .size:           2
        .value_kind:     hidden_remainder_x
      - .offset:         164
        .size:           2
        .value_kind:     hidden_remainder_y
      - .offset:         166
        .size:           2
        .value_kind:     hidden_remainder_z
      - .offset:         184
        .size:           8
        .value_kind:     hidden_global_offset_x
      - .offset:         192
        .size:           8
        .value_kind:     hidden_global_offset_y
      - .offset:         200
        .size:           8
        .value_kind:     hidden_global_offset_z
      - .offset:         208
        .size:           2
        .value_kind:     hidden_grid_dims
    .group_segment_fixed_size: 8192
    .kernarg_segment_align: 8
    .kernarg_segment_size: 400
    .language:       OpenCL C
    .language_version:
      - 2
      - 0
    .max_flat_workgroup_size: 256
    .name:           _Z39paged_attention_ll4mi_QKV_mfma16_kernelI14__hip_bfloat16S0_LN4vllm18Fp8KVCacheDataTypeE0ES0_Li16ELi128ELi256ELb0ELi14EEvPKT_PKT0_S8_ifPKiSA_SA_iPKfiiiPfSD_PS3_PT2_iSC_SC_
    .private_segment_fixed_size: 0
    .sgpr_count:     48
    .sgpr_spill_count: 0
    .symbol:         _Z39paged_attention_ll4mi_QKV_mfma16_kernelI14__hip_bfloat16S0_LN4vllm18Fp8KVCacheDataTypeE0ES0_Li16ELi128ELi256ELb0ELi14EEvPKT_PKT0_S8_ifPKiSA_SA_iPKfiiiPfSD_PS3_PT2_iSC_SC_.kd
    .uniform_work_group_size: 1
    .uses_dynamic_stack: false
    .vgpr_count:     96
    .vgpr_spill_count: 0
    .wavefront_size: 64
  - .agpr_count:     0
    .args:
      - .actual_access:  read_only
        .address_space:  global
        .offset:         0
        .size:           8
        .value_kind:     global_buffer
      - .actual_access:  read_only
        .address_space:  global
        .offset:         8
        .size:           8
        .value_kind:     global_buffer
      - .actual_access:  read_only
        .address_space:  global
        .offset:         16
        .size:           8
        .value_kind:     global_buffer
      - .offset:         24
        .size:           4
        .value_kind:     by_value
      - .offset:         28
        .size:           4
        .value_kind:     by_value
      - .actual_access:  read_only
        .address_space:  global
        .offset:         32
        .size:           8
        .value_kind:     global_buffer
      - .actual_access:  read_only
        .address_space:  global
        .offset:         40
        .size:           8
        .value_kind:     global_buffer
      - .actual_access:  read_only
        .address_space:  global
        .offset:         48
        .size:           8
        .value_kind:     global_buffer
      - .offset:         56
        .size:           4
        .value_kind:     by_value
      - .actual_access:  read_only
        .address_space:  global
        .offset:         64
        .size:           8
        .value_kind:     global_buffer
      - .offset:         72
        .size:           4
        .value_kind:     by_value
      - .offset:         76
        .size:           4
        .value_kind:     by_value
      - .offset:         80
        .size:           4
        .value_kind:     by_value
      - .actual_access:  write_only
        .address_space:  global
        .offset:         88
        .size:           8
        .value_kind:     global_buffer
      - .actual_access:  write_only
        .address_space:  global
        .offset:         96
        .size:           8
        .value_kind:     global_buffer
      - .actual_access:  write_only
        .address_space:  global
        .offset:         104
        .size:           8
        .value_kind:     global_buffer
      - .actual_access:  read_only
        .address_space:  global
        .offset:         112
        .size:           8
        .value_kind:     global_buffer
      - .offset:         120
        .size:           4
        .value_kind:     by_value
      - .address_space:  global
        .offset:         128
        .size:           8
        .value_kind:     global_buffer
      - .address_space:  global
        .offset:         136
        .size:           8
        .value_kind:     global_buffer
      - .offset:         144
        .size:           4
        .value_kind:     hidden_block_count_x
      - .offset:         148
        .size:           4
        .value_kind:     hidden_block_count_y
      - .offset:         152
        .size:           4
        .value_kind:     hidden_block_count_z
      - .offset:         156
        .size:           2
        .value_kind:     hidden_group_size_x
      - .offset:         158
        .size:           2
        .value_kind:     hidden_group_size_y
      - .offset:         160
        .size:           2
        .value_kind:     hidden_group_size_z
      - .offset:         162
        .size:           2
        .value_kind:     hidden_remainder_x
      - .offset:         164
        .size:           2
        .value_kind:     hidden_remainder_y
      - .offset:         166
        .size:           2
        .value_kind:     hidden_remainder_z
      - .offset:         184
        .size:           8
        .value_kind:     hidden_global_offset_x
      - .offset:         192
        .size:           8
        .value_kind:     hidden_global_offset_y
      - .offset:         200
        .size:           8
        .value_kind:     hidden_global_offset_z
      - .offset:         208
        .size:           2
        .value_kind:     hidden_grid_dims
    .group_segment_fixed_size: 8192
    .kernarg_segment_align: 8
    .kernarg_segment_size: 400
    .language:       OpenCL C
    .language_version:
      - 2
      - 0
    .max_flat_workgroup_size: 256
    .name:           _Z39paged_attention_ll4mi_QKV_mfma16_kernelI14__hip_bfloat16S0_LN4vllm18Fp8KVCacheDataTypeE0ES0_Li16ELi128ELi256ELb0ELi15EEvPKT_PKT0_S8_ifPKiSA_SA_iPKfiiiPfSD_PS3_PT2_iSC_SC_
    .private_segment_fixed_size: 0
    .sgpr_count:     48
    .sgpr_spill_count: 0
    .symbol:         _Z39paged_attention_ll4mi_QKV_mfma16_kernelI14__hip_bfloat16S0_LN4vllm18Fp8KVCacheDataTypeE0ES0_Li16ELi128ELi256ELb0ELi15EEvPKT_PKT0_S8_ifPKiSA_SA_iPKfiiiPfSD_PS3_PT2_iSC_SC_.kd
    .uniform_work_group_size: 1
    .uses_dynamic_stack: false
    .vgpr_count:     96
    .vgpr_spill_count: 0
    .wavefront_size: 64
  - .agpr_count:     0
    .args:
      - .actual_access:  read_only
        .address_space:  global
        .offset:         0
        .size:           8
        .value_kind:     global_buffer
      - .actual_access:  read_only
        .address_space:  global
        .offset:         8
        .size:           8
        .value_kind:     global_buffer
      - .actual_access:  read_only
        .address_space:  global
        .offset:         16
        .size:           8
        .value_kind:     global_buffer
      - .offset:         24
        .size:           4
        .value_kind:     by_value
      - .offset:         28
        .size:           4
        .value_kind:     by_value
      - .actual_access:  read_only
        .address_space:  global
        .offset:         32
        .size:           8
        .value_kind:     global_buffer
      - .actual_access:  read_only
        .address_space:  global
        .offset:         40
        .size:           8
        .value_kind:     global_buffer
      - .actual_access:  read_only
        .address_space:  global
        .offset:         48
        .size:           8
        .value_kind:     global_buffer
      - .offset:         56
        .size:           4
        .value_kind:     by_value
      - .actual_access:  read_only
        .address_space:  global
        .offset:         64
        .size:           8
        .value_kind:     global_buffer
      - .offset:         72
        .size:           4
        .value_kind:     by_value
      - .offset:         76
        .size:           4
        .value_kind:     by_value
      - .offset:         80
        .size:           4
        .value_kind:     by_value
      - .actual_access:  write_only
        .address_space:  global
        .offset:         88
        .size:           8
        .value_kind:     global_buffer
      - .actual_access:  write_only
        .address_space:  global
        .offset:         96
        .size:           8
        .value_kind:     global_buffer
      - .actual_access:  write_only
        .address_space:  global
        .offset:         104
        .size:           8
        .value_kind:     global_buffer
      - .actual_access:  read_only
        .address_space:  global
        .offset:         112
        .size:           8
        .value_kind:     global_buffer
      - .offset:         120
        .size:           4
        .value_kind:     by_value
      - .address_space:  global
        .offset:         128
        .size:           8
        .value_kind:     global_buffer
      - .address_space:  global
        .offset:         136
        .size:           8
        .value_kind:     global_buffer
      - .offset:         144
        .size:           4
        .value_kind:     hidden_block_count_x
      - .offset:         148
        .size:           4
        .value_kind:     hidden_block_count_y
      - .offset:         152
        .size:           4
        .value_kind:     hidden_block_count_z
      - .offset:         156
        .size:           2
        .value_kind:     hidden_group_size_x
      - .offset:         158
        .size:           2
        .value_kind:     hidden_group_size_y
      - .offset:         160
        .size:           2
        .value_kind:     hidden_group_size_z
      - .offset:         162
        .size:           2
        .value_kind:     hidden_remainder_x
      - .offset:         164
        .size:           2
        .value_kind:     hidden_remainder_y
      - .offset:         166
        .size:           2
        .value_kind:     hidden_remainder_z
      - .offset:         184
        .size:           8
        .value_kind:     hidden_global_offset_x
      - .offset:         192
        .size:           8
        .value_kind:     hidden_global_offset_y
      - .offset:         200
        .size:           8
        .value_kind:     hidden_global_offset_z
      - .offset:         208
        .size:           2
        .value_kind:     hidden_grid_dims
    .group_segment_fixed_size: 8192
    .kernarg_segment_align: 8
    .kernarg_segment_size: 400
    .language:       OpenCL C
    .language_version:
      - 2
      - 0
    .max_flat_workgroup_size: 256
    .name:           _Z39paged_attention_ll4mi_QKV_mfma16_kernelI14__hip_bfloat16S0_LN4vllm18Fp8KVCacheDataTypeE0ES0_Li16ELi128ELi256ELb0ELi16EEvPKT_PKT0_S8_ifPKiSA_SA_iPKfiiiPfSD_PS3_PT2_iSC_SC_
    .private_segment_fixed_size: 16
    .sgpr_count:     47
    .sgpr_spill_count: 0
    .symbol:         _Z39paged_attention_ll4mi_QKV_mfma16_kernelI14__hip_bfloat16S0_LN4vllm18Fp8KVCacheDataTypeE0ES0_Li16ELi128ELi256ELb0ELi16EEvPKT_PKT0_S8_ifPKiSA_SA_iPKfiiiPfSD_PS3_PT2_iSC_SC_.kd
    .uniform_work_group_size: 1
    .uses_dynamic_stack: false
    .vgpr_count:     96
    .vgpr_spill_count: 5
    .wavefront_size: 64
  - .agpr_count:     0
    .args:
      - .actual_access:  read_only
        .address_space:  global
        .offset:         0
        .size:           8
        .value_kind:     global_buffer
      - .actual_access:  read_only
        .address_space:  global
        .offset:         8
        .size:           8
        .value_kind:     global_buffer
      - .actual_access:  read_only
        .address_space:  global
        .offset:         16
        .size:           8
        .value_kind:     global_buffer
      - .offset:         24
        .size:           4
        .value_kind:     by_value
      - .offset:         28
        .size:           4
        .value_kind:     by_value
      - .actual_access:  read_only
        .address_space:  global
        .offset:         32
        .size:           8
        .value_kind:     global_buffer
      - .actual_access:  read_only
        .address_space:  global
        .offset:         40
        .size:           8
        .value_kind:     global_buffer
      - .actual_access:  read_only
        .address_space:  global
        .offset:         48
        .size:           8
        .value_kind:     global_buffer
      - .offset:         56
        .size:           4
        .value_kind:     by_value
      - .actual_access:  read_only
        .address_space:  global
        .offset:         64
        .size:           8
        .value_kind:     global_buffer
      - .offset:         72
        .size:           4
        .value_kind:     by_value
      - .offset:         76
        .size:           4
        .value_kind:     by_value
      - .offset:         80
        .size:           4
        .value_kind:     by_value
      - .actual_access:  write_only
        .address_space:  global
        .offset:         88
        .size:           8
        .value_kind:     global_buffer
      - .actual_access:  write_only
        .address_space:  global
        .offset:         96
        .size:           8
        .value_kind:     global_buffer
      - .actual_access:  write_only
        .address_space:  global
        .offset:         104
        .size:           8
        .value_kind:     global_buffer
      - .actual_access:  read_only
        .address_space:  global
        .offset:         112
        .size:           8
        .value_kind:     global_buffer
      - .offset:         120
        .size:           4
        .value_kind:     by_value
      - .address_space:  global
        .offset:         128
        .size:           8
        .value_kind:     global_buffer
      - .address_space:  global
        .offset:         136
        .size:           8
        .value_kind:     global_buffer
      - .offset:         144
        .size:           4
        .value_kind:     hidden_block_count_x
      - .offset:         148
        .size:           4
        .value_kind:     hidden_block_count_y
      - .offset:         152
        .size:           4
        .value_kind:     hidden_block_count_z
      - .offset:         156
        .size:           2
        .value_kind:     hidden_group_size_x
      - .offset:         158
        .size:           2
        .value_kind:     hidden_group_size_y
      - .offset:         160
        .size:           2
        .value_kind:     hidden_group_size_z
      - .offset:         162
        .size:           2
        .value_kind:     hidden_remainder_x
      - .offset:         164
        .size:           2
        .value_kind:     hidden_remainder_y
      - .offset:         166
        .size:           2
        .value_kind:     hidden_remainder_z
      - .offset:         184
        .size:           8
        .value_kind:     hidden_global_offset_x
      - .offset:         192
        .size:           8
        .value_kind:     hidden_global_offset_y
      - .offset:         200
        .size:           8
        .value_kind:     hidden_global_offset_z
      - .offset:         208
        .size:           2
        .value_kind:     hidden_grid_dims
    .group_segment_fixed_size: 8192
    .kernarg_segment_align: 8
    .kernarg_segment_size: 400
    .language:       OpenCL C
    .language_version:
      - 2
      - 0
    .max_flat_workgroup_size: 256
    .name:           _Z39paged_attention_ll4mi_QKV_mfma16_kernelI14__hip_bfloat16S0_LN4vllm18Fp8KVCacheDataTypeE0ES0_Li16ELi128ELi256ELb0ELi1EEvPKT_PKT0_S8_ifPKiSA_SA_iPKfiiiPfSD_PS3_PT2_iSC_SC_
    .private_segment_fixed_size: 8
    .sgpr_count:     46
    .sgpr_spill_count: 0
    .symbol:         _Z39paged_attention_ll4mi_QKV_mfma16_kernelI14__hip_bfloat16S0_LN4vllm18Fp8KVCacheDataTypeE0ES0_Li16ELi128ELi256ELb0ELi1EEvPKT_PKT0_S8_ifPKiSA_SA_iPKfiiiPfSD_PS3_PT2_iSC_SC_.kd
    .uniform_work_group_size: 1
    .uses_dynamic_stack: false
    .vgpr_count:     96
    .vgpr_spill_count: 1
    .wavefront_size: 64
  - .agpr_count:     0
    .args:
      - .actual_access:  read_only
        .address_space:  global
        .offset:         0
        .size:           8
        .value_kind:     global_buffer
      - .actual_access:  read_only
        .address_space:  global
        .offset:         8
        .size:           8
        .value_kind:     global_buffer
      - .actual_access:  read_only
        .address_space:  global
        .offset:         16
        .size:           8
        .value_kind:     global_buffer
      - .offset:         24
        .size:           4
        .value_kind:     by_value
      - .offset:         28
        .size:           4
        .value_kind:     by_value
      - .actual_access:  read_only
        .address_space:  global
        .offset:         32
        .size:           8
        .value_kind:     global_buffer
      - .actual_access:  read_only
        .address_space:  global
        .offset:         40
        .size:           8
        .value_kind:     global_buffer
      - .actual_access:  read_only
        .address_space:  global
        .offset:         48
        .size:           8
        .value_kind:     global_buffer
      - .offset:         56
        .size:           4
        .value_kind:     by_value
      - .actual_access:  read_only
        .address_space:  global
        .offset:         64
        .size:           8
        .value_kind:     global_buffer
      - .offset:         72
        .size:           4
        .value_kind:     by_value
      - .offset:         76
        .size:           4
        .value_kind:     by_value
      - .offset:         80
        .size:           4
        .value_kind:     by_value
      - .actual_access:  write_only
        .address_space:  global
        .offset:         88
        .size:           8
        .value_kind:     global_buffer
      - .actual_access:  write_only
        .address_space:  global
        .offset:         96
        .size:           8
        .value_kind:     global_buffer
      - .actual_access:  write_only
        .address_space:  global
        .offset:         104
        .size:           8
        .value_kind:     global_buffer
      - .actual_access:  read_only
        .address_space:  global
        .offset:         112
        .size:           8
        .value_kind:     global_buffer
      - .offset:         120
        .size:           4
        .value_kind:     by_value
      - .address_space:  global
        .offset:         128
        .size:           8
        .value_kind:     global_buffer
      - .address_space:  global
        .offset:         136
        .size:           8
        .value_kind:     global_buffer
      - .offset:         144
        .size:           4
        .value_kind:     hidden_block_count_x
      - .offset:         148
        .size:           4
        .value_kind:     hidden_block_count_y
      - .offset:         152
        .size:           4
        .value_kind:     hidden_block_count_z
      - .offset:         156
        .size:           2
        .value_kind:     hidden_group_size_x
      - .offset:         158
        .size:           2
        .value_kind:     hidden_group_size_y
      - .offset:         160
        .size:           2
        .value_kind:     hidden_group_size_z
      - .offset:         162
        .size:           2
        .value_kind:     hidden_remainder_x
      - .offset:         164
        .size:           2
        .value_kind:     hidden_remainder_y
      - .offset:         166
        .size:           2
        .value_kind:     hidden_remainder_z
      - .offset:         184
        .size:           8
        .value_kind:     hidden_global_offset_x
      - .offset:         192
        .size:           8
        .value_kind:     hidden_global_offset_y
      - .offset:         200
        .size:           8
        .value_kind:     hidden_global_offset_z
      - .offset:         208
        .size:           2
        .value_kind:     hidden_grid_dims
    .group_segment_fixed_size: 8192
    .kernarg_segment_align: 8
    .kernarg_segment_size: 400
    .language:       OpenCL C
    .language_version:
      - 2
      - 0
    .max_flat_workgroup_size: 256
    .name:           _Z39paged_attention_ll4mi_QKV_mfma16_kernelI14__hip_bfloat16S0_LN4vllm18Fp8KVCacheDataTypeE0ES0_Li16ELi128ELi256ELb0ELi2EEvPKT_PKT0_S8_ifPKiSA_SA_iPKfiiiPfSD_PS3_PT2_iSC_SC_
    .private_segment_fixed_size: 0
    .sgpr_count:     47
    .sgpr_spill_count: 0
    .symbol:         _Z39paged_attention_ll4mi_QKV_mfma16_kernelI14__hip_bfloat16S0_LN4vllm18Fp8KVCacheDataTypeE0ES0_Li16ELi128ELi256ELb0ELi2EEvPKT_PKT0_S8_ifPKiSA_SA_iPKfiiiPfSD_PS3_PT2_iSC_SC_.kd
    .uniform_work_group_size: 1
    .uses_dynamic_stack: false
    .vgpr_count:     96
    .vgpr_spill_count: 0
    .wavefront_size: 64
  - .agpr_count:     0
    .args:
      - .actual_access:  read_only
        .address_space:  global
        .offset:         0
        .size:           8
        .value_kind:     global_buffer
      - .actual_access:  read_only
        .address_space:  global
        .offset:         8
        .size:           8
        .value_kind:     global_buffer
      - .actual_access:  read_only
        .address_space:  global
        .offset:         16
        .size:           8
        .value_kind:     global_buffer
      - .offset:         24
        .size:           4
        .value_kind:     by_value
      - .offset:         28
        .size:           4
        .value_kind:     by_value
      - .actual_access:  read_only
        .address_space:  global
        .offset:         32
        .size:           8
        .value_kind:     global_buffer
      - .actual_access:  read_only
        .address_space:  global
        .offset:         40
        .size:           8
        .value_kind:     global_buffer
      - .actual_access:  read_only
        .address_space:  global
        .offset:         48
        .size:           8
        .value_kind:     global_buffer
      - .offset:         56
        .size:           4
        .value_kind:     by_value
      - .actual_access:  read_only
        .address_space:  global
        .offset:         64
        .size:           8
        .value_kind:     global_buffer
      - .offset:         72
        .size:           4
        .value_kind:     by_value
      - .offset:         76
        .size:           4
        .value_kind:     by_value
      - .offset:         80
        .size:           4
        .value_kind:     by_value
      - .actual_access:  write_only
        .address_space:  global
        .offset:         88
        .size:           8
        .value_kind:     global_buffer
      - .actual_access:  write_only
        .address_space:  global
        .offset:         96
        .size:           8
        .value_kind:     global_buffer
      - .actual_access:  write_only
        .address_space:  global
        .offset:         104
        .size:           8
        .value_kind:     global_buffer
      - .actual_access:  read_only
        .address_space:  global
        .offset:         112
        .size:           8
        .value_kind:     global_buffer
      - .offset:         120
        .size:           4
        .value_kind:     by_value
      - .address_space:  global
        .offset:         128
        .size:           8
        .value_kind:     global_buffer
      - .address_space:  global
        .offset:         136
        .size:           8
        .value_kind:     global_buffer
      - .offset:         144
        .size:           4
        .value_kind:     hidden_block_count_x
      - .offset:         148
        .size:           4
        .value_kind:     hidden_block_count_y
      - .offset:         152
        .size:           4
        .value_kind:     hidden_block_count_z
      - .offset:         156
        .size:           2
        .value_kind:     hidden_group_size_x
      - .offset:         158
        .size:           2
        .value_kind:     hidden_group_size_y
      - .offset:         160
        .size:           2
        .value_kind:     hidden_group_size_z
      - .offset:         162
        .size:           2
        .value_kind:     hidden_remainder_x
      - .offset:         164
        .size:           2
        .value_kind:     hidden_remainder_y
      - .offset:         166
        .size:           2
        .value_kind:     hidden_remainder_z
      - .offset:         184
        .size:           8
        .value_kind:     hidden_global_offset_x
      - .offset:         192
        .size:           8
        .value_kind:     hidden_global_offset_y
      - .offset:         200
        .size:           8
        .value_kind:     hidden_global_offset_z
      - .offset:         208
        .size:           2
        .value_kind:     hidden_grid_dims
    .group_segment_fixed_size: 8192
    .kernarg_segment_align: 8
    .kernarg_segment_size: 400
    .language:       OpenCL C
    .language_version:
      - 2
      - 0
    .max_flat_workgroup_size: 256
    .name:           _Z39paged_attention_ll4mi_QKV_mfma16_kernelI14__hip_bfloat16S0_LN4vllm18Fp8KVCacheDataTypeE0ES0_Li16ELi128ELi256ELb0ELi3EEvPKT_PKT0_S8_ifPKiSA_SA_iPKfiiiPfSD_PS3_PT2_iSC_SC_
    .private_segment_fixed_size: 16
    .sgpr_count:     48
    .sgpr_spill_count: 0
    .symbol:         _Z39paged_attention_ll4mi_QKV_mfma16_kernelI14__hip_bfloat16S0_LN4vllm18Fp8KVCacheDataTypeE0ES0_Li16ELi128ELi256ELb0ELi3EEvPKT_PKT0_S8_ifPKiSA_SA_iPKfiiiPfSD_PS3_PT2_iSC_SC_.kd
    .uniform_work_group_size: 1
    .uses_dynamic_stack: false
    .vgpr_count:     96
    .vgpr_spill_count: 5
    .wavefront_size: 64
  - .agpr_count:     0
    .args:
      - .actual_access:  read_only
        .address_space:  global
        .offset:         0
        .size:           8
        .value_kind:     global_buffer
      - .actual_access:  read_only
        .address_space:  global
        .offset:         8
        .size:           8
        .value_kind:     global_buffer
      - .actual_access:  read_only
        .address_space:  global
        .offset:         16
        .size:           8
        .value_kind:     global_buffer
      - .offset:         24
        .size:           4
        .value_kind:     by_value
      - .offset:         28
        .size:           4
        .value_kind:     by_value
      - .actual_access:  read_only
        .address_space:  global
        .offset:         32
        .size:           8
        .value_kind:     global_buffer
      - .actual_access:  read_only
        .address_space:  global
        .offset:         40
        .size:           8
        .value_kind:     global_buffer
      - .actual_access:  read_only
        .address_space:  global
        .offset:         48
        .size:           8
        .value_kind:     global_buffer
      - .offset:         56
        .size:           4
        .value_kind:     by_value
      - .actual_access:  read_only
        .address_space:  global
        .offset:         64
        .size:           8
        .value_kind:     global_buffer
      - .offset:         72
        .size:           4
        .value_kind:     by_value
      - .offset:         76
        .size:           4
        .value_kind:     by_value
      - .offset:         80
        .size:           4
        .value_kind:     by_value
      - .actual_access:  write_only
        .address_space:  global
        .offset:         88
        .size:           8
        .value_kind:     global_buffer
      - .actual_access:  write_only
        .address_space:  global
        .offset:         96
        .size:           8
        .value_kind:     global_buffer
      - .actual_access:  write_only
        .address_space:  global
        .offset:         104
        .size:           8
        .value_kind:     global_buffer
      - .actual_access:  read_only
        .address_space:  global
        .offset:         112
        .size:           8
        .value_kind:     global_buffer
      - .offset:         120
        .size:           4
        .value_kind:     by_value
      - .address_space:  global
        .offset:         128
        .size:           8
        .value_kind:     global_buffer
      - .address_space:  global
        .offset:         136
        .size:           8
        .value_kind:     global_buffer
      - .offset:         144
        .size:           4
        .value_kind:     hidden_block_count_x
      - .offset:         148
        .size:           4
        .value_kind:     hidden_block_count_y
      - .offset:         152
        .size:           4
        .value_kind:     hidden_block_count_z
      - .offset:         156
        .size:           2
        .value_kind:     hidden_group_size_x
      - .offset:         158
        .size:           2
        .value_kind:     hidden_group_size_y
      - .offset:         160
        .size:           2
        .value_kind:     hidden_group_size_z
      - .offset:         162
        .size:           2
        .value_kind:     hidden_remainder_x
      - .offset:         164
        .size:           2
        .value_kind:     hidden_remainder_y
      - .offset:         166
        .size:           2
        .value_kind:     hidden_remainder_z
      - .offset:         184
        .size:           8
        .value_kind:     hidden_global_offset_x
      - .offset:         192
        .size:           8
        .value_kind:     hidden_global_offset_y
      - .offset:         200
        .size:           8
        .value_kind:     hidden_global_offset_z
      - .offset:         208
        .size:           2
        .value_kind:     hidden_grid_dims
    .group_segment_fixed_size: 8192
    .kernarg_segment_align: 8
    .kernarg_segment_size: 400
    .language:       OpenCL C
    .language_version:
      - 2
      - 0
    .max_flat_workgroup_size: 256
    .name:           _Z39paged_attention_ll4mi_QKV_mfma16_kernelI14__hip_bfloat16S0_LN4vllm18Fp8KVCacheDataTypeE0ES0_Li16ELi128ELi256ELb0ELi4EEvPKT_PKT0_S8_ifPKiSA_SA_iPKfiiiPfSD_PS3_PT2_iSC_SC_
    .private_segment_fixed_size: 20
    .sgpr_count:     49
    .sgpr_spill_count: 0
    .symbol:         _Z39paged_attention_ll4mi_QKV_mfma16_kernelI14__hip_bfloat16S0_LN4vllm18Fp8KVCacheDataTypeE0ES0_Li16ELi128ELi256ELb0ELi4EEvPKT_PKT0_S8_ifPKiSA_SA_iPKfiiiPfSD_PS3_PT2_iSC_SC_.kd
    .uniform_work_group_size: 1
    .uses_dynamic_stack: false
    .vgpr_count:     96
    .vgpr_spill_count: 6
    .wavefront_size: 64
  - .agpr_count:     8
    .args:
      - .actual_access:  read_only
        .address_space:  global
        .offset:         0
        .size:           8
        .value_kind:     global_buffer
      - .actual_access:  read_only
        .address_space:  global
        .offset:         8
        .size:           8
        .value_kind:     global_buffer
      - .actual_access:  read_only
        .address_space:  global
        .offset:         16
        .size:           8
        .value_kind:     global_buffer
      - .offset:         24
        .size:           4
        .value_kind:     by_value
      - .offset:         28
        .size:           4
        .value_kind:     by_value
      - .actual_access:  read_only
        .address_space:  global
        .offset:         32
        .size:           8
        .value_kind:     global_buffer
      - .actual_access:  read_only
        .address_space:  global
        .offset:         40
        .size:           8
        .value_kind:     global_buffer
      - .actual_access:  read_only
        .address_space:  global
        .offset:         48
        .size:           8
        .value_kind:     global_buffer
      - .offset:         56
        .size:           4
        .value_kind:     by_value
      - .actual_access:  read_only
        .address_space:  global
        .offset:         64
        .size:           8
        .value_kind:     global_buffer
      - .offset:         72
        .size:           4
        .value_kind:     by_value
      - .offset:         76
        .size:           4
        .value_kind:     by_value
      - .offset:         80
        .size:           4
        .value_kind:     by_value
      - .actual_access:  write_only
        .address_space:  global
        .offset:         88
        .size:           8
        .value_kind:     global_buffer
      - .actual_access:  write_only
        .address_space:  global
        .offset:         96
        .size:           8
        .value_kind:     global_buffer
      - .actual_access:  write_only
        .address_space:  global
        .offset:         104
        .size:           8
        .value_kind:     global_buffer
      - .actual_access:  read_only
        .address_space:  global
        .offset:         112
        .size:           8
        .value_kind:     global_buffer
      - .offset:         120
        .size:           4
        .value_kind:     by_value
      - .address_space:  global
        .offset:         128
        .size:           8
        .value_kind:     global_buffer
      - .address_space:  global
        .offset:         136
        .size:           8
        .value_kind:     global_buffer
      - .offset:         144
        .size:           4
        .value_kind:     hidden_block_count_x
      - .offset:         148
        .size:           4
        .value_kind:     hidden_block_count_y
      - .offset:         152
        .size:           4
        .value_kind:     hidden_block_count_z
      - .offset:         156
        .size:           2
        .value_kind:     hidden_group_size_x
      - .offset:         158
        .size:           2
        .value_kind:     hidden_group_size_y
      - .offset:         160
        .size:           2
        .value_kind:     hidden_group_size_z
      - .offset:         162
        .size:           2
        .value_kind:     hidden_remainder_x
      - .offset:         164
        .size:           2
        .value_kind:     hidden_remainder_y
      - .offset:         166
        .size:           2
        .value_kind:     hidden_remainder_z
      - .offset:         184
        .size:           8
        .value_kind:     hidden_global_offset_x
      - .offset:         192
        .size:           8
        .value_kind:     hidden_global_offset_y
      - .offset:         200
        .size:           8
        .value_kind:     hidden_global_offset_z
      - .offset:         208
        .size:           2
        .value_kind:     hidden_grid_dims
    .group_segment_fixed_size: 5280
    .kernarg_segment_align: 8
    .kernarg_segment_size: 400
    .language:       OpenCL C
    .language_version:
      - 2
      - 0
    .max_flat_workgroup_size: 256
    .name:           _Z38paged_attention_ll4mi_QKV_mfma4_kernelI14__hip_bfloat16S0_LN4vllm18Fp8KVCacheDataTypeE0EhLi32ELi128ELi256ELb1ELi1EEvPKT_PKT0_S8_ifPKiSA_SA_iPKfiiiPfSD_PS3_PT2_iSC_SC_
    .private_segment_fixed_size: 0
    .sgpr_count:     44
    .sgpr_spill_count: 0
    .symbol:         _Z38paged_attention_ll4mi_QKV_mfma4_kernelI14__hip_bfloat16S0_LN4vllm18Fp8KVCacheDataTypeE0EhLi32ELi128ELi256ELb1ELi1EEvPKT_PKT0_S8_ifPKiSA_SA_iPKfiiiPfSD_PS3_PT2_iSC_SC_.kd
    .uniform_work_group_size: 1
    .uses_dynamic_stack: false
    .vgpr_count:     92
    .vgpr_spill_count: 0
    .wavefront_size: 64
  - .agpr_count:     8
    .args:
      - .actual_access:  read_only
        .address_space:  global
        .offset:         0
        .size:           8
        .value_kind:     global_buffer
      - .actual_access:  read_only
        .address_space:  global
        .offset:         8
        .size:           8
        .value_kind:     global_buffer
      - .actual_access:  read_only
        .address_space:  global
        .offset:         16
        .size:           8
        .value_kind:     global_buffer
      - .offset:         24
        .size:           4
        .value_kind:     by_value
      - .offset:         28
        .size:           4
        .value_kind:     by_value
      - .actual_access:  read_only
        .address_space:  global
        .offset:         32
        .size:           8
        .value_kind:     global_buffer
      - .actual_access:  read_only
        .address_space:  global
        .offset:         40
        .size:           8
        .value_kind:     global_buffer
      - .actual_access:  read_only
        .address_space:  global
        .offset:         48
        .size:           8
        .value_kind:     global_buffer
      - .offset:         56
        .size:           4
        .value_kind:     by_value
      - .actual_access:  read_only
        .address_space:  global
        .offset:         64
        .size:           8
        .value_kind:     global_buffer
      - .offset:         72
        .size:           4
        .value_kind:     by_value
      - .offset:         76
        .size:           4
        .value_kind:     by_value
      - .offset:         80
        .size:           4
        .value_kind:     by_value
      - .actual_access:  write_only
        .address_space:  global
        .offset:         88
        .size:           8
        .value_kind:     global_buffer
      - .actual_access:  write_only
        .address_space:  global
        .offset:         96
        .size:           8
        .value_kind:     global_buffer
      - .actual_access:  write_only
        .address_space:  global
        .offset:         104
        .size:           8
        .value_kind:     global_buffer
      - .actual_access:  read_only
        .address_space:  global
        .offset:         112
        .size:           8
        .value_kind:     global_buffer
      - .offset:         120
        .size:           4
        .value_kind:     by_value
      - .address_space:  global
        .offset:         128
        .size:           8
        .value_kind:     global_buffer
      - .address_space:  global
        .offset:         136
        .size:           8
        .value_kind:     global_buffer
      - .offset:         144
        .size:           4
        .value_kind:     hidden_block_count_x
      - .offset:         148
        .size:           4
        .value_kind:     hidden_block_count_y
      - .offset:         152
        .size:           4
        .value_kind:     hidden_block_count_z
      - .offset:         156
        .size:           2
        .value_kind:     hidden_group_size_x
      - .offset:         158
        .size:           2
        .value_kind:     hidden_group_size_y
      - .offset:         160
        .size:           2
        .value_kind:     hidden_group_size_z
      - .offset:         162
        .size:           2
        .value_kind:     hidden_remainder_x
      - .offset:         164
        .size:           2
        .value_kind:     hidden_remainder_y
      - .offset:         166
        .size:           2
        .value_kind:     hidden_remainder_z
      - .offset:         184
        .size:           8
        .value_kind:     hidden_global_offset_x
      - .offset:         192
        .size:           8
        .value_kind:     hidden_global_offset_y
      - .offset:         200
        .size:           8
        .value_kind:     hidden_global_offset_z
      - .offset:         208
        .size:           2
        .value_kind:     hidden_grid_dims
    .group_segment_fixed_size: 5280
    .kernarg_segment_align: 8
    .kernarg_segment_size: 400
    .language:       OpenCL C
    .language_version:
      - 2
      - 0
    .max_flat_workgroup_size: 256
    .name:           _Z38paged_attention_ll4mi_QKV_mfma4_kernelI14__hip_bfloat16S0_LN4vllm18Fp8KVCacheDataTypeE0EhLi32ELi128ELi256ELb1ELi2EEvPKT_PKT0_S8_ifPKiSA_SA_iPKfiiiPfSD_PS3_PT2_iSC_SC_
    .private_segment_fixed_size: 0
    .sgpr_count:     46
    .sgpr_spill_count: 0
    .symbol:         _Z38paged_attention_ll4mi_QKV_mfma4_kernelI14__hip_bfloat16S0_LN4vllm18Fp8KVCacheDataTypeE0EhLi32ELi128ELi256ELb1ELi2EEvPKT_PKT0_S8_ifPKiSA_SA_iPKfiiiPfSD_PS3_PT2_iSC_SC_.kd
    .uniform_work_group_size: 1
    .uses_dynamic_stack: false
    .vgpr_count:     92
    .vgpr_spill_count: 0
    .wavefront_size: 64
  - .agpr_count:     8
    .args:
      - .actual_access:  read_only
        .address_space:  global
        .offset:         0
        .size:           8
        .value_kind:     global_buffer
      - .actual_access:  read_only
        .address_space:  global
        .offset:         8
        .size:           8
        .value_kind:     global_buffer
      - .actual_access:  read_only
        .address_space:  global
        .offset:         16
        .size:           8
        .value_kind:     global_buffer
      - .offset:         24
        .size:           4
        .value_kind:     by_value
      - .offset:         28
        .size:           4
        .value_kind:     by_value
      - .actual_access:  read_only
        .address_space:  global
        .offset:         32
        .size:           8
        .value_kind:     global_buffer
      - .actual_access:  read_only
        .address_space:  global
        .offset:         40
        .size:           8
        .value_kind:     global_buffer
      - .actual_access:  read_only
        .address_space:  global
        .offset:         48
        .size:           8
        .value_kind:     global_buffer
      - .offset:         56
        .size:           4
        .value_kind:     by_value
      - .actual_access:  read_only
        .address_space:  global
        .offset:         64
        .size:           8
        .value_kind:     global_buffer
      - .offset:         72
        .size:           4
        .value_kind:     by_value
      - .offset:         76
        .size:           4
        .value_kind:     by_value
      - .offset:         80
        .size:           4
        .value_kind:     by_value
      - .actual_access:  write_only
        .address_space:  global
        .offset:         88
        .size:           8
        .value_kind:     global_buffer
      - .actual_access:  write_only
        .address_space:  global
        .offset:         96
        .size:           8
        .value_kind:     global_buffer
      - .actual_access:  write_only
        .address_space:  global
        .offset:         104
        .size:           8
        .value_kind:     global_buffer
      - .actual_access:  read_only
        .address_space:  global
        .offset:         112
        .size:           8
        .value_kind:     global_buffer
      - .offset:         120
        .size:           4
        .value_kind:     by_value
      - .address_space:  global
        .offset:         128
        .size:           8
        .value_kind:     global_buffer
      - .address_space:  global
        .offset:         136
        .size:           8
        .value_kind:     global_buffer
      - .offset:         144
        .size:           4
        .value_kind:     hidden_block_count_x
      - .offset:         148
        .size:           4
        .value_kind:     hidden_block_count_y
      - .offset:         152
        .size:           4
        .value_kind:     hidden_block_count_z
      - .offset:         156
        .size:           2
        .value_kind:     hidden_group_size_x
      - .offset:         158
        .size:           2
        .value_kind:     hidden_group_size_y
      - .offset:         160
        .size:           2
        .value_kind:     hidden_group_size_z
      - .offset:         162
        .size:           2
        .value_kind:     hidden_remainder_x
      - .offset:         164
        .size:           2
        .value_kind:     hidden_remainder_y
      - .offset:         166
        .size:           2
        .value_kind:     hidden_remainder_z
      - .offset:         184
        .size:           8
        .value_kind:     hidden_global_offset_x
      - .offset:         192
        .size:           8
        .value_kind:     hidden_global_offset_y
      - .offset:         200
        .size:           8
        .value_kind:     hidden_global_offset_z
      - .offset:         208
        .size:           2
        .value_kind:     hidden_grid_dims
    .group_segment_fixed_size: 5280
    .kernarg_segment_align: 8
    .kernarg_segment_size: 400
    .language:       OpenCL C
    .language_version:
      - 2
      - 0
    .max_flat_workgroup_size: 256
    .name:           _Z38paged_attention_ll4mi_QKV_mfma4_kernelI14__hip_bfloat16S0_LN4vllm18Fp8KVCacheDataTypeE0EhLi32ELi128ELi256ELb1ELi3EEvPKT_PKT0_S8_ifPKiSA_SA_iPKfiiiPfSD_PS3_PT2_iSC_SC_
    .private_segment_fixed_size: 0
    .sgpr_count:     46
    .sgpr_spill_count: 0
    .symbol:         _Z38paged_attention_ll4mi_QKV_mfma4_kernelI14__hip_bfloat16S0_LN4vllm18Fp8KVCacheDataTypeE0EhLi32ELi128ELi256ELb1ELi3EEvPKT_PKT0_S8_ifPKiSA_SA_iPKfiiiPfSD_PS3_PT2_iSC_SC_.kd
    .uniform_work_group_size: 1
    .uses_dynamic_stack: false
    .vgpr_count:     92
    .vgpr_spill_count: 0
    .wavefront_size: 64
  - .agpr_count:     8
    .args:
      - .actual_access:  read_only
        .address_space:  global
        .offset:         0
        .size:           8
        .value_kind:     global_buffer
      - .actual_access:  read_only
        .address_space:  global
        .offset:         8
        .size:           8
        .value_kind:     global_buffer
      - .actual_access:  read_only
        .address_space:  global
        .offset:         16
        .size:           8
        .value_kind:     global_buffer
      - .offset:         24
        .size:           4
        .value_kind:     by_value
      - .offset:         28
        .size:           4
        .value_kind:     by_value
      - .actual_access:  read_only
        .address_space:  global
        .offset:         32
        .size:           8
        .value_kind:     global_buffer
      - .actual_access:  read_only
        .address_space:  global
        .offset:         40
        .size:           8
        .value_kind:     global_buffer
      - .actual_access:  read_only
        .address_space:  global
        .offset:         48
        .size:           8
        .value_kind:     global_buffer
      - .offset:         56
        .size:           4
        .value_kind:     by_value
      - .actual_access:  read_only
        .address_space:  global
        .offset:         64
        .size:           8
        .value_kind:     global_buffer
      - .offset:         72
        .size:           4
        .value_kind:     by_value
      - .offset:         76
        .size:           4
        .value_kind:     by_value
      - .offset:         80
        .size:           4
        .value_kind:     by_value
      - .actual_access:  write_only
        .address_space:  global
        .offset:         88
        .size:           8
        .value_kind:     global_buffer
      - .actual_access:  write_only
        .address_space:  global
        .offset:         96
        .size:           8
        .value_kind:     global_buffer
      - .actual_access:  write_only
        .address_space:  global
        .offset:         104
        .size:           8
        .value_kind:     global_buffer
      - .actual_access:  read_only
        .address_space:  global
        .offset:         112
        .size:           8
        .value_kind:     global_buffer
      - .offset:         120
        .size:           4
        .value_kind:     by_value
      - .address_space:  global
        .offset:         128
        .size:           8
        .value_kind:     global_buffer
      - .address_space:  global
        .offset:         136
        .size:           8
        .value_kind:     global_buffer
      - .offset:         144
        .size:           4
        .value_kind:     hidden_block_count_x
      - .offset:         148
        .size:           4
        .value_kind:     hidden_block_count_y
      - .offset:         152
        .size:           4
        .value_kind:     hidden_block_count_z
      - .offset:         156
        .size:           2
        .value_kind:     hidden_group_size_x
      - .offset:         158
        .size:           2
        .value_kind:     hidden_group_size_y
      - .offset:         160
        .size:           2
        .value_kind:     hidden_group_size_z
      - .offset:         162
        .size:           2
        .value_kind:     hidden_remainder_x
      - .offset:         164
        .size:           2
        .value_kind:     hidden_remainder_y
      - .offset:         166
        .size:           2
        .value_kind:     hidden_remainder_z
      - .offset:         184
        .size:           8
        .value_kind:     hidden_global_offset_x
      - .offset:         192
        .size:           8
        .value_kind:     hidden_global_offset_y
      - .offset:         200
        .size:           8
        .value_kind:     hidden_global_offset_z
      - .offset:         208
        .size:           2
        .value_kind:     hidden_grid_dims
    .group_segment_fixed_size: 5280
    .kernarg_segment_align: 8
    .kernarg_segment_size: 400
    .language:       OpenCL C
    .language_version:
      - 2
      - 0
    .max_flat_workgroup_size: 256
    .name:           _Z38paged_attention_ll4mi_QKV_mfma4_kernelI14__hip_bfloat16S0_LN4vllm18Fp8KVCacheDataTypeE0EhLi32ELi128ELi256ELb1ELi4EEvPKT_PKT0_S8_ifPKiSA_SA_iPKfiiiPfSD_PS3_PT2_iSC_SC_
    .private_segment_fixed_size: 0
    .sgpr_count:     47
    .sgpr_spill_count: 0
    .symbol:         _Z38paged_attention_ll4mi_QKV_mfma4_kernelI14__hip_bfloat16S0_LN4vllm18Fp8KVCacheDataTypeE0EhLi32ELi128ELi256ELb1ELi4EEvPKT_PKT0_S8_ifPKiSA_SA_iPKfiiiPfSD_PS3_PT2_iSC_SC_.kd
    .uniform_work_group_size: 1
    .uses_dynamic_stack: false
    .vgpr_count:     104
    .vgpr_spill_count: 0
    .wavefront_size: 64
  - .agpr_count:     0
    .args:
      - .actual_access:  read_only
        .address_space:  global
        .offset:         0
        .size:           8
        .value_kind:     global_buffer
      - .actual_access:  read_only
        .address_space:  global
        .offset:         8
        .size:           8
        .value_kind:     global_buffer
      - .actual_access:  read_only
        .address_space:  global
        .offset:         16
        .size:           8
        .value_kind:     global_buffer
      - .offset:         24
        .size:           4
        .value_kind:     by_value
      - .offset:         28
        .size:           4
        .value_kind:     by_value
      - .actual_access:  read_only
        .address_space:  global
        .offset:         32
        .size:           8
        .value_kind:     global_buffer
      - .actual_access:  read_only
        .address_space:  global
        .offset:         40
        .size:           8
        .value_kind:     global_buffer
      - .actual_access:  read_only
        .address_space:  global
        .offset:         48
        .size:           8
        .value_kind:     global_buffer
      - .offset:         56
        .size:           4
        .value_kind:     by_value
      - .actual_access:  read_only
        .address_space:  global
        .offset:         64
        .size:           8
        .value_kind:     global_buffer
      - .offset:         72
        .size:           4
        .value_kind:     by_value
      - .offset:         76
        .size:           4
        .value_kind:     by_value
      - .offset:         80
        .size:           4
        .value_kind:     by_value
      - .actual_access:  write_only
        .address_space:  global
        .offset:         88
        .size:           8
        .value_kind:     global_buffer
      - .actual_access:  write_only
        .address_space:  global
        .offset:         96
        .size:           8
        .value_kind:     global_buffer
      - .actual_access:  write_only
        .address_space:  global
        .offset:         104
        .size:           8
        .value_kind:     global_buffer
      - .actual_access:  read_only
        .address_space:  global
        .offset:         112
        .size:           8
        .value_kind:     global_buffer
      - .offset:         120
        .size:           4
        .value_kind:     by_value
      - .address_space:  global
        .offset:         128
        .size:           8
        .value_kind:     global_buffer
      - .address_space:  global
        .offset:         136
        .size:           8
        .value_kind:     global_buffer
      - .offset:         144
        .size:           4
        .value_kind:     hidden_block_count_x
      - .offset:         148
        .size:           4
        .value_kind:     hidden_block_count_y
      - .offset:         152
        .size:           4
        .value_kind:     hidden_block_count_z
      - .offset:         156
        .size:           2
        .value_kind:     hidden_group_size_x
      - .offset:         158
        .size:           2
        .value_kind:     hidden_group_size_y
      - .offset:         160
        .size:           2
        .value_kind:     hidden_group_size_z
      - .offset:         162
        .size:           2
        .value_kind:     hidden_remainder_x
      - .offset:         164
        .size:           2
        .value_kind:     hidden_remainder_y
      - .offset:         166
        .size:           2
        .value_kind:     hidden_remainder_z
      - .offset:         184
        .size:           8
        .value_kind:     hidden_global_offset_x
      - .offset:         192
        .size:           8
        .value_kind:     hidden_global_offset_y
      - .offset:         200
        .size:           8
        .value_kind:     hidden_global_offset_z
      - .offset:         208
        .size:           2
        .value_kind:     hidden_grid_dims
    .group_segment_fixed_size: 8192
    .kernarg_segment_align: 8
    .kernarg_segment_size: 400
    .language:       OpenCL C
    .language_version:
      - 2
      - 0
    .max_flat_workgroup_size: 256
    .name:           _Z39paged_attention_ll4mi_QKV_mfma16_kernelI14__hip_bfloat16S0_LN4vllm18Fp8KVCacheDataTypeE0EhLi32ELi128ELi256ELb1ELi5EEvPKT_PKT0_S8_ifPKiSA_SA_iPKfiiiPfSD_PS3_PT2_iSC_SC_
    .private_segment_fixed_size: 0
    .sgpr_count:     48
    .sgpr_spill_count: 0
    .symbol:         _Z39paged_attention_ll4mi_QKV_mfma16_kernelI14__hip_bfloat16S0_LN4vllm18Fp8KVCacheDataTypeE0EhLi32ELi128ELi256ELb1ELi5EEvPKT_PKT0_S8_ifPKiSA_SA_iPKfiiiPfSD_PS3_PT2_iSC_SC_.kd
    .uniform_work_group_size: 1
    .uses_dynamic_stack: false
    .vgpr_count:     96
    .vgpr_spill_count: 0
    .wavefront_size: 64
  - .agpr_count:     0
    .args:
      - .actual_access:  read_only
        .address_space:  global
        .offset:         0
        .size:           8
        .value_kind:     global_buffer
      - .actual_access:  read_only
        .address_space:  global
        .offset:         8
        .size:           8
        .value_kind:     global_buffer
      - .actual_access:  read_only
        .address_space:  global
        .offset:         16
        .size:           8
        .value_kind:     global_buffer
      - .offset:         24
        .size:           4
        .value_kind:     by_value
      - .offset:         28
        .size:           4
        .value_kind:     by_value
      - .actual_access:  read_only
        .address_space:  global
        .offset:         32
        .size:           8
        .value_kind:     global_buffer
      - .actual_access:  read_only
        .address_space:  global
        .offset:         40
        .size:           8
        .value_kind:     global_buffer
      - .actual_access:  read_only
        .address_space:  global
        .offset:         48
        .size:           8
        .value_kind:     global_buffer
      - .offset:         56
        .size:           4
        .value_kind:     by_value
      - .actual_access:  read_only
        .address_space:  global
        .offset:         64
        .size:           8
        .value_kind:     global_buffer
      - .offset:         72
        .size:           4
        .value_kind:     by_value
      - .offset:         76
        .size:           4
        .value_kind:     by_value
      - .offset:         80
        .size:           4
        .value_kind:     by_value
      - .actual_access:  write_only
        .address_space:  global
        .offset:         88
        .size:           8
        .value_kind:     global_buffer
      - .actual_access:  write_only
        .address_space:  global
        .offset:         96
        .size:           8
        .value_kind:     global_buffer
      - .actual_access:  write_only
        .address_space:  global
        .offset:         104
        .size:           8
        .value_kind:     global_buffer
      - .actual_access:  read_only
        .address_space:  global
        .offset:         112
        .size:           8
        .value_kind:     global_buffer
      - .offset:         120
        .size:           4
        .value_kind:     by_value
      - .address_space:  global
        .offset:         128
        .size:           8
        .value_kind:     global_buffer
      - .address_space:  global
        .offset:         136
        .size:           8
        .value_kind:     global_buffer
      - .offset:         144
        .size:           4
        .value_kind:     hidden_block_count_x
      - .offset:         148
        .size:           4
        .value_kind:     hidden_block_count_y
      - .offset:         152
        .size:           4
        .value_kind:     hidden_block_count_z
      - .offset:         156
        .size:           2
        .value_kind:     hidden_group_size_x
      - .offset:         158
        .size:           2
        .value_kind:     hidden_group_size_y
      - .offset:         160
        .size:           2
        .value_kind:     hidden_group_size_z
      - .offset:         162
        .size:           2
        .value_kind:     hidden_remainder_x
      - .offset:         164
        .size:           2
        .value_kind:     hidden_remainder_y
      - .offset:         166
        .size:           2
        .value_kind:     hidden_remainder_z
      - .offset:         184
        .size:           8
        .value_kind:     hidden_global_offset_x
      - .offset:         192
        .size:           8
        .value_kind:     hidden_global_offset_y
      - .offset:         200
        .size:           8
        .value_kind:     hidden_global_offset_z
      - .offset:         208
        .size:           2
        .value_kind:     hidden_grid_dims
    .group_segment_fixed_size: 8192
    .kernarg_segment_align: 8
    .kernarg_segment_size: 400
    .language:       OpenCL C
    .language_version:
      - 2
      - 0
    .max_flat_workgroup_size: 256
    .name:           _Z39paged_attention_ll4mi_QKV_mfma16_kernelI14__hip_bfloat16S0_LN4vllm18Fp8KVCacheDataTypeE0EhLi32ELi128ELi256ELb1ELi6EEvPKT_PKT0_S8_ifPKiSA_SA_iPKfiiiPfSD_PS3_PT2_iSC_SC_
    .private_segment_fixed_size: 0
    .sgpr_count:     48
    .sgpr_spill_count: 0
    .symbol:         _Z39paged_attention_ll4mi_QKV_mfma16_kernelI14__hip_bfloat16S0_LN4vllm18Fp8KVCacheDataTypeE0EhLi32ELi128ELi256ELb1ELi6EEvPKT_PKT0_S8_ifPKiSA_SA_iPKfiiiPfSD_PS3_PT2_iSC_SC_.kd
    .uniform_work_group_size: 1
    .uses_dynamic_stack: false
    .vgpr_count:     96
    .vgpr_spill_count: 0
    .wavefront_size: 64
  - .agpr_count:     0
    .args:
      - .actual_access:  read_only
        .address_space:  global
        .offset:         0
        .size:           8
        .value_kind:     global_buffer
      - .actual_access:  read_only
        .address_space:  global
        .offset:         8
        .size:           8
        .value_kind:     global_buffer
      - .actual_access:  read_only
        .address_space:  global
        .offset:         16
        .size:           8
        .value_kind:     global_buffer
      - .offset:         24
        .size:           4
        .value_kind:     by_value
      - .offset:         28
        .size:           4
        .value_kind:     by_value
      - .actual_access:  read_only
        .address_space:  global
        .offset:         32
        .size:           8
        .value_kind:     global_buffer
      - .actual_access:  read_only
        .address_space:  global
        .offset:         40
        .size:           8
        .value_kind:     global_buffer
      - .actual_access:  read_only
        .address_space:  global
        .offset:         48
        .size:           8
        .value_kind:     global_buffer
      - .offset:         56
        .size:           4
        .value_kind:     by_value
      - .actual_access:  read_only
        .address_space:  global
        .offset:         64
        .size:           8
        .value_kind:     global_buffer
      - .offset:         72
        .size:           4
        .value_kind:     by_value
      - .offset:         76
        .size:           4
        .value_kind:     by_value
      - .offset:         80
        .size:           4
        .value_kind:     by_value
      - .actual_access:  write_only
        .address_space:  global
        .offset:         88
        .size:           8
        .value_kind:     global_buffer
      - .actual_access:  write_only
        .address_space:  global
        .offset:         96
        .size:           8
        .value_kind:     global_buffer
      - .actual_access:  write_only
        .address_space:  global
        .offset:         104
        .size:           8
        .value_kind:     global_buffer
      - .actual_access:  read_only
        .address_space:  global
        .offset:         112
        .size:           8
        .value_kind:     global_buffer
      - .offset:         120
        .size:           4
        .value_kind:     by_value
      - .address_space:  global
        .offset:         128
        .size:           8
        .value_kind:     global_buffer
      - .address_space:  global
        .offset:         136
        .size:           8
        .value_kind:     global_buffer
      - .offset:         144
        .size:           4
        .value_kind:     hidden_block_count_x
      - .offset:         148
        .size:           4
        .value_kind:     hidden_block_count_y
      - .offset:         152
        .size:           4
        .value_kind:     hidden_block_count_z
      - .offset:         156
        .size:           2
        .value_kind:     hidden_group_size_x
      - .offset:         158
        .size:           2
        .value_kind:     hidden_group_size_y
      - .offset:         160
        .size:           2
        .value_kind:     hidden_group_size_z
      - .offset:         162
        .size:           2
        .value_kind:     hidden_remainder_x
      - .offset:         164
        .size:           2
        .value_kind:     hidden_remainder_y
      - .offset:         166
        .size:           2
        .value_kind:     hidden_remainder_z
      - .offset:         184
        .size:           8
        .value_kind:     hidden_global_offset_x
      - .offset:         192
        .size:           8
        .value_kind:     hidden_global_offset_y
      - .offset:         200
        .size:           8
        .value_kind:     hidden_global_offset_z
      - .offset:         208
        .size:           2
        .value_kind:     hidden_grid_dims
    .group_segment_fixed_size: 8192
    .kernarg_segment_align: 8
    .kernarg_segment_size: 400
    .language:       OpenCL C
    .language_version:
      - 2
      - 0
    .max_flat_workgroup_size: 256
    .name:           _Z39paged_attention_ll4mi_QKV_mfma16_kernelI14__hip_bfloat16S0_LN4vllm18Fp8KVCacheDataTypeE0EhLi32ELi128ELi256ELb1ELi7EEvPKT_PKT0_S8_ifPKiSA_SA_iPKfiiiPfSD_PS3_PT2_iSC_SC_
    .private_segment_fixed_size: 0
    .sgpr_count:     48
    .sgpr_spill_count: 0
    .symbol:         _Z39paged_attention_ll4mi_QKV_mfma16_kernelI14__hip_bfloat16S0_LN4vllm18Fp8KVCacheDataTypeE0EhLi32ELi128ELi256ELb1ELi7EEvPKT_PKT0_S8_ifPKiSA_SA_iPKfiiiPfSD_PS3_PT2_iSC_SC_.kd
    .uniform_work_group_size: 1
    .uses_dynamic_stack: false
    .vgpr_count:     96
    .vgpr_spill_count: 0
    .wavefront_size: 64
  - .agpr_count:     0
    .args:
      - .actual_access:  read_only
        .address_space:  global
        .offset:         0
        .size:           8
        .value_kind:     global_buffer
      - .actual_access:  read_only
        .address_space:  global
        .offset:         8
        .size:           8
        .value_kind:     global_buffer
      - .actual_access:  read_only
        .address_space:  global
        .offset:         16
        .size:           8
        .value_kind:     global_buffer
      - .offset:         24
        .size:           4
        .value_kind:     by_value
      - .offset:         28
        .size:           4
        .value_kind:     by_value
      - .actual_access:  read_only
        .address_space:  global
        .offset:         32
        .size:           8
        .value_kind:     global_buffer
      - .actual_access:  read_only
        .address_space:  global
        .offset:         40
        .size:           8
        .value_kind:     global_buffer
      - .actual_access:  read_only
        .address_space:  global
        .offset:         48
        .size:           8
        .value_kind:     global_buffer
      - .offset:         56
        .size:           4
        .value_kind:     by_value
      - .actual_access:  read_only
        .address_space:  global
        .offset:         64
        .size:           8
        .value_kind:     global_buffer
      - .offset:         72
        .size:           4
        .value_kind:     by_value
      - .offset:         76
        .size:           4
        .value_kind:     by_value
      - .offset:         80
        .size:           4
        .value_kind:     by_value
      - .actual_access:  write_only
        .address_space:  global
        .offset:         88
        .size:           8
        .value_kind:     global_buffer
      - .actual_access:  write_only
        .address_space:  global
        .offset:         96
        .size:           8
        .value_kind:     global_buffer
      - .actual_access:  write_only
        .address_space:  global
        .offset:         104
        .size:           8
        .value_kind:     global_buffer
      - .actual_access:  read_only
        .address_space:  global
        .offset:         112
        .size:           8
        .value_kind:     global_buffer
      - .offset:         120
        .size:           4
        .value_kind:     by_value
      - .address_space:  global
        .offset:         128
        .size:           8
        .value_kind:     global_buffer
      - .address_space:  global
        .offset:         136
        .size:           8
        .value_kind:     global_buffer
      - .offset:         144
        .size:           4
        .value_kind:     hidden_block_count_x
      - .offset:         148
        .size:           4
        .value_kind:     hidden_block_count_y
      - .offset:         152
        .size:           4
        .value_kind:     hidden_block_count_z
      - .offset:         156
        .size:           2
        .value_kind:     hidden_group_size_x
      - .offset:         158
        .size:           2
        .value_kind:     hidden_group_size_y
      - .offset:         160
        .size:           2
        .value_kind:     hidden_group_size_z
      - .offset:         162
        .size:           2
        .value_kind:     hidden_remainder_x
      - .offset:         164
        .size:           2
        .value_kind:     hidden_remainder_y
      - .offset:         166
        .size:           2
        .value_kind:     hidden_remainder_z
      - .offset:         184
        .size:           8
        .value_kind:     hidden_global_offset_x
      - .offset:         192
        .size:           8
        .value_kind:     hidden_global_offset_y
      - .offset:         200
        .size:           8
        .value_kind:     hidden_global_offset_z
      - .offset:         208
        .size:           2
        .value_kind:     hidden_grid_dims
    .group_segment_fixed_size: 8192
    .kernarg_segment_align: 8
    .kernarg_segment_size: 400
    .language:       OpenCL C
    .language_version:
      - 2
      - 0
    .max_flat_workgroup_size: 256
    .name:           _Z39paged_attention_ll4mi_QKV_mfma16_kernelI14__hip_bfloat16S0_LN4vllm18Fp8KVCacheDataTypeE0EhLi32ELi128ELi256ELb1ELi8EEvPKT_PKT0_S8_ifPKiSA_SA_iPKfiiiPfSD_PS3_PT2_iSC_SC_
    .private_segment_fixed_size: 0
    .sgpr_count:     47
    .sgpr_spill_count: 0
    .symbol:         _Z39paged_attention_ll4mi_QKV_mfma16_kernelI14__hip_bfloat16S0_LN4vllm18Fp8KVCacheDataTypeE0EhLi32ELi128ELi256ELb1ELi8EEvPKT_PKT0_S8_ifPKiSA_SA_iPKfiiiPfSD_PS3_PT2_iSC_SC_.kd
    .uniform_work_group_size: 1
    .uses_dynamic_stack: false
    .vgpr_count:     96
    .vgpr_spill_count: 0
    .wavefront_size: 64
  - .agpr_count:     0
    .args:
      - .actual_access:  read_only
        .address_space:  global
        .offset:         0
        .size:           8
        .value_kind:     global_buffer
      - .actual_access:  read_only
        .address_space:  global
        .offset:         8
        .size:           8
        .value_kind:     global_buffer
      - .actual_access:  read_only
        .address_space:  global
        .offset:         16
        .size:           8
        .value_kind:     global_buffer
      - .offset:         24
        .size:           4
        .value_kind:     by_value
      - .offset:         28
        .size:           4
        .value_kind:     by_value
      - .actual_access:  read_only
        .address_space:  global
        .offset:         32
        .size:           8
        .value_kind:     global_buffer
      - .actual_access:  read_only
        .address_space:  global
        .offset:         40
        .size:           8
        .value_kind:     global_buffer
      - .actual_access:  read_only
        .address_space:  global
        .offset:         48
        .size:           8
        .value_kind:     global_buffer
      - .offset:         56
        .size:           4
        .value_kind:     by_value
      - .actual_access:  read_only
        .address_space:  global
        .offset:         64
        .size:           8
        .value_kind:     global_buffer
      - .offset:         72
        .size:           4
        .value_kind:     by_value
      - .offset:         76
        .size:           4
        .value_kind:     by_value
      - .offset:         80
        .size:           4
        .value_kind:     by_value
      - .actual_access:  write_only
        .address_space:  global
        .offset:         88
        .size:           8
        .value_kind:     global_buffer
      - .actual_access:  write_only
        .address_space:  global
        .offset:         96
        .size:           8
        .value_kind:     global_buffer
      - .actual_access:  write_only
        .address_space:  global
        .offset:         104
        .size:           8
        .value_kind:     global_buffer
      - .actual_access:  read_only
        .address_space:  global
        .offset:         112
        .size:           8
        .value_kind:     global_buffer
      - .offset:         120
        .size:           4
        .value_kind:     by_value
      - .address_space:  global
        .offset:         128
        .size:           8
        .value_kind:     global_buffer
      - .address_space:  global
        .offset:         136
        .size:           8
        .value_kind:     global_buffer
      - .offset:         144
        .size:           4
        .value_kind:     hidden_block_count_x
      - .offset:         148
        .size:           4
        .value_kind:     hidden_block_count_y
      - .offset:         152
        .size:           4
        .value_kind:     hidden_block_count_z
      - .offset:         156
        .size:           2
        .value_kind:     hidden_group_size_x
      - .offset:         158
        .size:           2
        .value_kind:     hidden_group_size_y
      - .offset:         160
        .size:           2
        .value_kind:     hidden_group_size_z
      - .offset:         162
        .size:           2
        .value_kind:     hidden_remainder_x
      - .offset:         164
        .size:           2
        .value_kind:     hidden_remainder_y
      - .offset:         166
        .size:           2
        .value_kind:     hidden_remainder_z
      - .offset:         184
        .size:           8
        .value_kind:     hidden_global_offset_x
      - .offset:         192
        .size:           8
        .value_kind:     hidden_global_offset_y
      - .offset:         200
        .size:           8
        .value_kind:     hidden_global_offset_z
      - .offset:         208
        .size:           2
        .value_kind:     hidden_grid_dims
    .group_segment_fixed_size: 8192
    .kernarg_segment_align: 8
    .kernarg_segment_size: 400
    .language:       OpenCL C
    .language_version:
      - 2
      - 0
    .max_flat_workgroup_size: 256
    .name:           _Z39paged_attention_ll4mi_QKV_mfma16_kernelI14__hip_bfloat16S0_LN4vllm18Fp8KVCacheDataTypeE0EhLi32ELi128ELi256ELb1ELi9EEvPKT_PKT0_S8_ifPKiSA_SA_iPKfiiiPfSD_PS3_PT2_iSC_SC_
    .private_segment_fixed_size: 0
    .sgpr_count:     48
    .sgpr_spill_count: 0
    .symbol:         _Z39paged_attention_ll4mi_QKV_mfma16_kernelI14__hip_bfloat16S0_LN4vllm18Fp8KVCacheDataTypeE0EhLi32ELi128ELi256ELb1ELi9EEvPKT_PKT0_S8_ifPKiSA_SA_iPKfiiiPfSD_PS3_PT2_iSC_SC_.kd
    .uniform_work_group_size: 1
    .uses_dynamic_stack: false
    .vgpr_count:     96
    .vgpr_spill_count: 0
    .wavefront_size: 64
  - .agpr_count:     0
    .args:
      - .actual_access:  read_only
        .address_space:  global
        .offset:         0
        .size:           8
        .value_kind:     global_buffer
      - .actual_access:  read_only
        .address_space:  global
        .offset:         8
        .size:           8
        .value_kind:     global_buffer
      - .actual_access:  read_only
        .address_space:  global
        .offset:         16
        .size:           8
        .value_kind:     global_buffer
      - .offset:         24
        .size:           4
        .value_kind:     by_value
      - .offset:         28
        .size:           4
        .value_kind:     by_value
      - .actual_access:  read_only
        .address_space:  global
        .offset:         32
        .size:           8
        .value_kind:     global_buffer
      - .actual_access:  read_only
        .address_space:  global
        .offset:         40
        .size:           8
        .value_kind:     global_buffer
      - .actual_access:  read_only
        .address_space:  global
        .offset:         48
        .size:           8
        .value_kind:     global_buffer
      - .offset:         56
        .size:           4
        .value_kind:     by_value
      - .actual_access:  read_only
        .address_space:  global
        .offset:         64
        .size:           8
        .value_kind:     global_buffer
      - .offset:         72
        .size:           4
        .value_kind:     by_value
      - .offset:         76
        .size:           4
        .value_kind:     by_value
      - .offset:         80
        .size:           4
        .value_kind:     by_value
      - .actual_access:  write_only
        .address_space:  global
        .offset:         88
        .size:           8
        .value_kind:     global_buffer
      - .actual_access:  write_only
        .address_space:  global
        .offset:         96
        .size:           8
        .value_kind:     global_buffer
      - .actual_access:  write_only
        .address_space:  global
        .offset:         104
        .size:           8
        .value_kind:     global_buffer
      - .actual_access:  read_only
        .address_space:  global
        .offset:         112
        .size:           8
        .value_kind:     global_buffer
      - .offset:         120
        .size:           4
        .value_kind:     by_value
      - .address_space:  global
        .offset:         128
        .size:           8
        .value_kind:     global_buffer
      - .address_space:  global
        .offset:         136
        .size:           8
        .value_kind:     global_buffer
      - .offset:         144
        .size:           4
        .value_kind:     hidden_block_count_x
      - .offset:         148
        .size:           4
        .value_kind:     hidden_block_count_y
      - .offset:         152
        .size:           4
        .value_kind:     hidden_block_count_z
      - .offset:         156
        .size:           2
        .value_kind:     hidden_group_size_x
      - .offset:         158
        .size:           2
        .value_kind:     hidden_group_size_y
      - .offset:         160
        .size:           2
        .value_kind:     hidden_group_size_z
      - .offset:         162
        .size:           2
        .value_kind:     hidden_remainder_x
      - .offset:         164
        .size:           2
        .value_kind:     hidden_remainder_y
      - .offset:         166
        .size:           2
        .value_kind:     hidden_remainder_z
      - .offset:         184
        .size:           8
        .value_kind:     hidden_global_offset_x
      - .offset:         192
        .size:           8
        .value_kind:     hidden_global_offset_y
      - .offset:         200
        .size:           8
        .value_kind:     hidden_global_offset_z
      - .offset:         208
        .size:           2
        .value_kind:     hidden_grid_dims
    .group_segment_fixed_size: 8192
    .kernarg_segment_align: 8
    .kernarg_segment_size: 400
    .language:       OpenCL C
    .language_version:
      - 2
      - 0
    .max_flat_workgroup_size: 256
    .name:           _Z39paged_attention_ll4mi_QKV_mfma16_kernelI14__hip_bfloat16S0_LN4vllm18Fp8KVCacheDataTypeE0EhLi32ELi128ELi256ELb1ELi10EEvPKT_PKT0_S8_ifPKiSA_SA_iPKfiiiPfSD_PS3_PT2_iSC_SC_
    .private_segment_fixed_size: 0
    .sgpr_count:     48
    .sgpr_spill_count: 0
    .symbol:         _Z39paged_attention_ll4mi_QKV_mfma16_kernelI14__hip_bfloat16S0_LN4vllm18Fp8KVCacheDataTypeE0EhLi32ELi128ELi256ELb1ELi10EEvPKT_PKT0_S8_ifPKiSA_SA_iPKfiiiPfSD_PS3_PT2_iSC_SC_.kd
    .uniform_work_group_size: 1
    .uses_dynamic_stack: false
    .vgpr_count:     96
    .vgpr_spill_count: 0
    .wavefront_size: 64
  - .agpr_count:     0
    .args:
      - .actual_access:  read_only
        .address_space:  global
        .offset:         0
        .size:           8
        .value_kind:     global_buffer
      - .actual_access:  read_only
        .address_space:  global
        .offset:         8
        .size:           8
        .value_kind:     global_buffer
      - .actual_access:  read_only
        .address_space:  global
        .offset:         16
        .size:           8
        .value_kind:     global_buffer
      - .offset:         24
        .size:           4
        .value_kind:     by_value
      - .offset:         28
        .size:           4
        .value_kind:     by_value
      - .actual_access:  read_only
        .address_space:  global
        .offset:         32
        .size:           8
        .value_kind:     global_buffer
      - .actual_access:  read_only
        .address_space:  global
        .offset:         40
        .size:           8
        .value_kind:     global_buffer
      - .actual_access:  read_only
        .address_space:  global
        .offset:         48
        .size:           8
        .value_kind:     global_buffer
      - .offset:         56
        .size:           4
        .value_kind:     by_value
      - .actual_access:  read_only
        .address_space:  global
        .offset:         64
        .size:           8
        .value_kind:     global_buffer
      - .offset:         72
        .size:           4
        .value_kind:     by_value
      - .offset:         76
        .size:           4
        .value_kind:     by_value
      - .offset:         80
        .size:           4
        .value_kind:     by_value
      - .actual_access:  write_only
        .address_space:  global
        .offset:         88
        .size:           8
        .value_kind:     global_buffer
      - .actual_access:  write_only
        .address_space:  global
        .offset:         96
        .size:           8
        .value_kind:     global_buffer
      - .actual_access:  write_only
        .address_space:  global
        .offset:         104
        .size:           8
        .value_kind:     global_buffer
      - .actual_access:  read_only
        .address_space:  global
        .offset:         112
        .size:           8
        .value_kind:     global_buffer
      - .offset:         120
        .size:           4
        .value_kind:     by_value
      - .address_space:  global
        .offset:         128
        .size:           8
        .value_kind:     global_buffer
      - .address_space:  global
        .offset:         136
        .size:           8
        .value_kind:     global_buffer
      - .offset:         144
        .size:           4
        .value_kind:     hidden_block_count_x
      - .offset:         148
        .size:           4
        .value_kind:     hidden_block_count_y
      - .offset:         152
        .size:           4
        .value_kind:     hidden_block_count_z
      - .offset:         156
        .size:           2
        .value_kind:     hidden_group_size_x
      - .offset:         158
        .size:           2
        .value_kind:     hidden_group_size_y
      - .offset:         160
        .size:           2
        .value_kind:     hidden_group_size_z
      - .offset:         162
        .size:           2
        .value_kind:     hidden_remainder_x
      - .offset:         164
        .size:           2
        .value_kind:     hidden_remainder_y
      - .offset:         166
        .size:           2
        .value_kind:     hidden_remainder_z
      - .offset:         184
        .size:           8
        .value_kind:     hidden_global_offset_x
      - .offset:         192
        .size:           8
        .value_kind:     hidden_global_offset_y
      - .offset:         200
        .size:           8
        .value_kind:     hidden_global_offset_z
      - .offset:         208
        .size:           2
        .value_kind:     hidden_grid_dims
    .group_segment_fixed_size: 8192
    .kernarg_segment_align: 8
    .kernarg_segment_size: 400
    .language:       OpenCL C
    .language_version:
      - 2
      - 0
    .max_flat_workgroup_size: 256
    .name:           _Z39paged_attention_ll4mi_QKV_mfma16_kernelI14__hip_bfloat16S0_LN4vllm18Fp8KVCacheDataTypeE0EhLi32ELi128ELi256ELb1ELi11EEvPKT_PKT0_S8_ifPKiSA_SA_iPKfiiiPfSD_PS3_PT2_iSC_SC_
    .private_segment_fixed_size: 0
    .sgpr_count:     48
    .sgpr_spill_count: 0
    .symbol:         _Z39paged_attention_ll4mi_QKV_mfma16_kernelI14__hip_bfloat16S0_LN4vllm18Fp8KVCacheDataTypeE0EhLi32ELi128ELi256ELb1ELi11EEvPKT_PKT0_S8_ifPKiSA_SA_iPKfiiiPfSD_PS3_PT2_iSC_SC_.kd
    .uniform_work_group_size: 1
    .uses_dynamic_stack: false
    .vgpr_count:     96
    .vgpr_spill_count: 0
    .wavefront_size: 64
  - .agpr_count:     0
    .args:
      - .actual_access:  read_only
        .address_space:  global
        .offset:         0
        .size:           8
        .value_kind:     global_buffer
      - .actual_access:  read_only
        .address_space:  global
        .offset:         8
        .size:           8
        .value_kind:     global_buffer
      - .actual_access:  read_only
        .address_space:  global
        .offset:         16
        .size:           8
        .value_kind:     global_buffer
      - .offset:         24
        .size:           4
        .value_kind:     by_value
      - .offset:         28
        .size:           4
        .value_kind:     by_value
      - .actual_access:  read_only
        .address_space:  global
        .offset:         32
        .size:           8
        .value_kind:     global_buffer
      - .actual_access:  read_only
        .address_space:  global
        .offset:         40
        .size:           8
        .value_kind:     global_buffer
      - .actual_access:  read_only
        .address_space:  global
        .offset:         48
        .size:           8
        .value_kind:     global_buffer
      - .offset:         56
        .size:           4
        .value_kind:     by_value
      - .actual_access:  read_only
        .address_space:  global
        .offset:         64
        .size:           8
        .value_kind:     global_buffer
      - .offset:         72
        .size:           4
        .value_kind:     by_value
      - .offset:         76
        .size:           4
        .value_kind:     by_value
      - .offset:         80
        .size:           4
        .value_kind:     by_value
      - .actual_access:  write_only
        .address_space:  global
        .offset:         88
        .size:           8
        .value_kind:     global_buffer
      - .actual_access:  write_only
        .address_space:  global
        .offset:         96
        .size:           8
        .value_kind:     global_buffer
      - .actual_access:  write_only
        .address_space:  global
        .offset:         104
        .size:           8
        .value_kind:     global_buffer
      - .actual_access:  read_only
        .address_space:  global
        .offset:         112
        .size:           8
        .value_kind:     global_buffer
      - .offset:         120
        .size:           4
        .value_kind:     by_value
      - .address_space:  global
        .offset:         128
        .size:           8
        .value_kind:     global_buffer
      - .address_space:  global
        .offset:         136
        .size:           8
        .value_kind:     global_buffer
      - .offset:         144
        .size:           4
        .value_kind:     hidden_block_count_x
      - .offset:         148
        .size:           4
        .value_kind:     hidden_block_count_y
      - .offset:         152
        .size:           4
        .value_kind:     hidden_block_count_z
      - .offset:         156
        .size:           2
        .value_kind:     hidden_group_size_x
      - .offset:         158
        .size:           2
        .value_kind:     hidden_group_size_y
      - .offset:         160
        .size:           2
        .value_kind:     hidden_group_size_z
      - .offset:         162
        .size:           2
        .value_kind:     hidden_remainder_x
      - .offset:         164
        .size:           2
        .value_kind:     hidden_remainder_y
      - .offset:         166
        .size:           2
        .value_kind:     hidden_remainder_z
      - .offset:         184
        .size:           8
        .value_kind:     hidden_global_offset_x
      - .offset:         192
        .size:           8
        .value_kind:     hidden_global_offset_y
      - .offset:         200
        .size:           8
        .value_kind:     hidden_global_offset_z
      - .offset:         208
        .size:           2
        .value_kind:     hidden_grid_dims
    .group_segment_fixed_size: 8192
    .kernarg_segment_align: 8
    .kernarg_segment_size: 400
    .language:       OpenCL C
    .language_version:
      - 2
      - 0
    .max_flat_workgroup_size: 256
    .name:           _Z39paged_attention_ll4mi_QKV_mfma16_kernelI14__hip_bfloat16S0_LN4vllm18Fp8KVCacheDataTypeE0EhLi32ELi128ELi256ELb1ELi12EEvPKT_PKT0_S8_ifPKiSA_SA_iPKfiiiPfSD_PS3_PT2_iSC_SC_
    .private_segment_fixed_size: 0
    .sgpr_count:     48
    .sgpr_spill_count: 0
    .symbol:         _Z39paged_attention_ll4mi_QKV_mfma16_kernelI14__hip_bfloat16S0_LN4vllm18Fp8KVCacheDataTypeE0EhLi32ELi128ELi256ELb1ELi12EEvPKT_PKT0_S8_ifPKiSA_SA_iPKfiiiPfSD_PS3_PT2_iSC_SC_.kd
    .uniform_work_group_size: 1
    .uses_dynamic_stack: false
    .vgpr_count:     96
    .vgpr_spill_count: 0
    .wavefront_size: 64
  - .agpr_count:     0
    .args:
      - .actual_access:  read_only
        .address_space:  global
        .offset:         0
        .size:           8
        .value_kind:     global_buffer
      - .actual_access:  read_only
        .address_space:  global
        .offset:         8
        .size:           8
        .value_kind:     global_buffer
      - .actual_access:  read_only
        .address_space:  global
        .offset:         16
        .size:           8
        .value_kind:     global_buffer
      - .offset:         24
        .size:           4
        .value_kind:     by_value
      - .offset:         28
        .size:           4
        .value_kind:     by_value
      - .actual_access:  read_only
        .address_space:  global
        .offset:         32
        .size:           8
        .value_kind:     global_buffer
      - .actual_access:  read_only
        .address_space:  global
        .offset:         40
        .size:           8
        .value_kind:     global_buffer
      - .actual_access:  read_only
        .address_space:  global
        .offset:         48
        .size:           8
        .value_kind:     global_buffer
      - .offset:         56
        .size:           4
        .value_kind:     by_value
      - .actual_access:  read_only
        .address_space:  global
        .offset:         64
        .size:           8
        .value_kind:     global_buffer
      - .offset:         72
        .size:           4
        .value_kind:     by_value
      - .offset:         76
        .size:           4
        .value_kind:     by_value
      - .offset:         80
        .size:           4
        .value_kind:     by_value
      - .actual_access:  write_only
        .address_space:  global
        .offset:         88
        .size:           8
        .value_kind:     global_buffer
      - .actual_access:  write_only
        .address_space:  global
        .offset:         96
        .size:           8
        .value_kind:     global_buffer
      - .actual_access:  write_only
        .address_space:  global
        .offset:         104
        .size:           8
        .value_kind:     global_buffer
      - .actual_access:  read_only
        .address_space:  global
        .offset:         112
        .size:           8
        .value_kind:     global_buffer
      - .offset:         120
        .size:           4
        .value_kind:     by_value
      - .address_space:  global
        .offset:         128
        .size:           8
        .value_kind:     global_buffer
      - .address_space:  global
        .offset:         136
        .size:           8
        .value_kind:     global_buffer
      - .offset:         144
        .size:           4
        .value_kind:     hidden_block_count_x
      - .offset:         148
        .size:           4
        .value_kind:     hidden_block_count_y
      - .offset:         152
        .size:           4
        .value_kind:     hidden_block_count_z
      - .offset:         156
        .size:           2
        .value_kind:     hidden_group_size_x
      - .offset:         158
        .size:           2
        .value_kind:     hidden_group_size_y
      - .offset:         160
        .size:           2
        .value_kind:     hidden_group_size_z
      - .offset:         162
        .size:           2
        .value_kind:     hidden_remainder_x
      - .offset:         164
        .size:           2
        .value_kind:     hidden_remainder_y
      - .offset:         166
        .size:           2
        .value_kind:     hidden_remainder_z
      - .offset:         184
        .size:           8
        .value_kind:     hidden_global_offset_x
      - .offset:         192
        .size:           8
        .value_kind:     hidden_global_offset_y
      - .offset:         200
        .size:           8
        .value_kind:     hidden_global_offset_z
      - .offset:         208
        .size:           2
        .value_kind:     hidden_grid_dims
    .group_segment_fixed_size: 8192
    .kernarg_segment_align: 8
    .kernarg_segment_size: 400
    .language:       OpenCL C
    .language_version:
      - 2
      - 0
    .max_flat_workgroup_size: 256
    .name:           _Z39paged_attention_ll4mi_QKV_mfma16_kernelI14__hip_bfloat16S0_LN4vllm18Fp8KVCacheDataTypeE0EhLi32ELi128ELi256ELb1ELi13EEvPKT_PKT0_S8_ifPKiSA_SA_iPKfiiiPfSD_PS3_PT2_iSC_SC_
    .private_segment_fixed_size: 0
    .sgpr_count:     48
    .sgpr_spill_count: 0
    .symbol:         _Z39paged_attention_ll4mi_QKV_mfma16_kernelI14__hip_bfloat16S0_LN4vllm18Fp8KVCacheDataTypeE0EhLi32ELi128ELi256ELb1ELi13EEvPKT_PKT0_S8_ifPKiSA_SA_iPKfiiiPfSD_PS3_PT2_iSC_SC_.kd
    .uniform_work_group_size: 1
    .uses_dynamic_stack: false
    .vgpr_count:     96
    .vgpr_spill_count: 0
    .wavefront_size: 64
  - .agpr_count:     0
    .args:
      - .actual_access:  read_only
        .address_space:  global
        .offset:         0
        .size:           8
        .value_kind:     global_buffer
      - .actual_access:  read_only
        .address_space:  global
        .offset:         8
        .size:           8
        .value_kind:     global_buffer
      - .actual_access:  read_only
        .address_space:  global
        .offset:         16
        .size:           8
        .value_kind:     global_buffer
      - .offset:         24
        .size:           4
        .value_kind:     by_value
      - .offset:         28
        .size:           4
        .value_kind:     by_value
      - .actual_access:  read_only
        .address_space:  global
        .offset:         32
        .size:           8
        .value_kind:     global_buffer
      - .actual_access:  read_only
        .address_space:  global
        .offset:         40
        .size:           8
        .value_kind:     global_buffer
      - .actual_access:  read_only
        .address_space:  global
        .offset:         48
        .size:           8
        .value_kind:     global_buffer
      - .offset:         56
        .size:           4
        .value_kind:     by_value
      - .actual_access:  read_only
        .address_space:  global
        .offset:         64
        .size:           8
        .value_kind:     global_buffer
      - .offset:         72
        .size:           4
        .value_kind:     by_value
      - .offset:         76
        .size:           4
        .value_kind:     by_value
      - .offset:         80
        .size:           4
        .value_kind:     by_value
      - .actual_access:  write_only
        .address_space:  global
        .offset:         88
        .size:           8
        .value_kind:     global_buffer
      - .actual_access:  write_only
        .address_space:  global
        .offset:         96
        .size:           8
        .value_kind:     global_buffer
      - .actual_access:  write_only
        .address_space:  global
        .offset:         104
        .size:           8
        .value_kind:     global_buffer
      - .actual_access:  read_only
        .address_space:  global
        .offset:         112
        .size:           8
        .value_kind:     global_buffer
      - .offset:         120
        .size:           4
        .value_kind:     by_value
      - .address_space:  global
        .offset:         128
        .size:           8
        .value_kind:     global_buffer
      - .address_space:  global
        .offset:         136
        .size:           8
        .value_kind:     global_buffer
      - .offset:         144
        .size:           4
        .value_kind:     hidden_block_count_x
      - .offset:         148
        .size:           4
        .value_kind:     hidden_block_count_y
      - .offset:         152
        .size:           4
        .value_kind:     hidden_block_count_z
      - .offset:         156
        .size:           2
        .value_kind:     hidden_group_size_x
      - .offset:         158
        .size:           2
        .value_kind:     hidden_group_size_y
      - .offset:         160
        .size:           2
        .value_kind:     hidden_group_size_z
      - .offset:         162
        .size:           2
        .value_kind:     hidden_remainder_x
      - .offset:         164
        .size:           2
        .value_kind:     hidden_remainder_y
      - .offset:         166
        .size:           2
        .value_kind:     hidden_remainder_z
      - .offset:         184
        .size:           8
        .value_kind:     hidden_global_offset_x
      - .offset:         192
        .size:           8
        .value_kind:     hidden_global_offset_y
      - .offset:         200
        .size:           8
        .value_kind:     hidden_global_offset_z
      - .offset:         208
        .size:           2
        .value_kind:     hidden_grid_dims
    .group_segment_fixed_size: 8192
    .kernarg_segment_align: 8
    .kernarg_segment_size: 400
    .language:       OpenCL C
    .language_version:
      - 2
      - 0
    .max_flat_workgroup_size: 256
    .name:           _Z39paged_attention_ll4mi_QKV_mfma16_kernelI14__hip_bfloat16S0_LN4vllm18Fp8KVCacheDataTypeE0EhLi32ELi128ELi256ELb1ELi14EEvPKT_PKT0_S8_ifPKiSA_SA_iPKfiiiPfSD_PS3_PT2_iSC_SC_
    .private_segment_fixed_size: 0
    .sgpr_count:     48
    .sgpr_spill_count: 0
    .symbol:         _Z39paged_attention_ll4mi_QKV_mfma16_kernelI14__hip_bfloat16S0_LN4vllm18Fp8KVCacheDataTypeE0EhLi32ELi128ELi256ELb1ELi14EEvPKT_PKT0_S8_ifPKiSA_SA_iPKfiiiPfSD_PS3_PT2_iSC_SC_.kd
    .uniform_work_group_size: 1
    .uses_dynamic_stack: false
    .vgpr_count:     96
    .vgpr_spill_count: 0
    .wavefront_size: 64
  - .agpr_count:     0
    .args:
      - .actual_access:  read_only
        .address_space:  global
        .offset:         0
        .size:           8
        .value_kind:     global_buffer
      - .actual_access:  read_only
        .address_space:  global
        .offset:         8
        .size:           8
        .value_kind:     global_buffer
      - .actual_access:  read_only
        .address_space:  global
        .offset:         16
        .size:           8
        .value_kind:     global_buffer
      - .offset:         24
        .size:           4
        .value_kind:     by_value
      - .offset:         28
        .size:           4
        .value_kind:     by_value
      - .actual_access:  read_only
        .address_space:  global
        .offset:         32
        .size:           8
        .value_kind:     global_buffer
      - .actual_access:  read_only
        .address_space:  global
        .offset:         40
        .size:           8
        .value_kind:     global_buffer
      - .actual_access:  read_only
        .address_space:  global
        .offset:         48
        .size:           8
        .value_kind:     global_buffer
      - .offset:         56
        .size:           4
        .value_kind:     by_value
      - .actual_access:  read_only
        .address_space:  global
        .offset:         64
        .size:           8
        .value_kind:     global_buffer
      - .offset:         72
        .size:           4
        .value_kind:     by_value
      - .offset:         76
        .size:           4
        .value_kind:     by_value
      - .offset:         80
        .size:           4
        .value_kind:     by_value
      - .actual_access:  write_only
        .address_space:  global
        .offset:         88
        .size:           8
        .value_kind:     global_buffer
      - .actual_access:  write_only
        .address_space:  global
        .offset:         96
        .size:           8
        .value_kind:     global_buffer
      - .actual_access:  write_only
        .address_space:  global
        .offset:         104
        .size:           8
        .value_kind:     global_buffer
      - .actual_access:  read_only
        .address_space:  global
        .offset:         112
        .size:           8
        .value_kind:     global_buffer
      - .offset:         120
        .size:           4
        .value_kind:     by_value
      - .address_space:  global
        .offset:         128
        .size:           8
        .value_kind:     global_buffer
      - .address_space:  global
        .offset:         136
        .size:           8
        .value_kind:     global_buffer
      - .offset:         144
        .size:           4
        .value_kind:     hidden_block_count_x
      - .offset:         148
        .size:           4
        .value_kind:     hidden_block_count_y
      - .offset:         152
        .size:           4
        .value_kind:     hidden_block_count_z
      - .offset:         156
        .size:           2
        .value_kind:     hidden_group_size_x
      - .offset:         158
        .size:           2
        .value_kind:     hidden_group_size_y
      - .offset:         160
        .size:           2
        .value_kind:     hidden_group_size_z
      - .offset:         162
        .size:           2
        .value_kind:     hidden_remainder_x
      - .offset:         164
        .size:           2
        .value_kind:     hidden_remainder_y
      - .offset:         166
        .size:           2
        .value_kind:     hidden_remainder_z
      - .offset:         184
        .size:           8
        .value_kind:     hidden_global_offset_x
      - .offset:         192
        .size:           8
        .value_kind:     hidden_global_offset_y
      - .offset:         200
        .size:           8
        .value_kind:     hidden_global_offset_z
      - .offset:         208
        .size:           2
        .value_kind:     hidden_grid_dims
    .group_segment_fixed_size: 8192
    .kernarg_segment_align: 8
    .kernarg_segment_size: 400
    .language:       OpenCL C
    .language_version:
      - 2
      - 0
    .max_flat_workgroup_size: 256
    .name:           _Z39paged_attention_ll4mi_QKV_mfma16_kernelI14__hip_bfloat16S0_LN4vllm18Fp8KVCacheDataTypeE0EhLi32ELi128ELi256ELb1ELi15EEvPKT_PKT0_S8_ifPKiSA_SA_iPKfiiiPfSD_PS3_PT2_iSC_SC_
    .private_segment_fixed_size: 0
    .sgpr_count:     48
    .sgpr_spill_count: 0
    .symbol:         _Z39paged_attention_ll4mi_QKV_mfma16_kernelI14__hip_bfloat16S0_LN4vllm18Fp8KVCacheDataTypeE0EhLi32ELi128ELi256ELb1ELi15EEvPKT_PKT0_S8_ifPKiSA_SA_iPKfiiiPfSD_PS3_PT2_iSC_SC_.kd
    .uniform_work_group_size: 1
    .uses_dynamic_stack: false
    .vgpr_count:     96
    .vgpr_spill_count: 0
    .wavefront_size: 64
  - .agpr_count:     0
    .args:
      - .actual_access:  read_only
        .address_space:  global
        .offset:         0
        .size:           8
        .value_kind:     global_buffer
      - .actual_access:  read_only
        .address_space:  global
        .offset:         8
        .size:           8
        .value_kind:     global_buffer
      - .actual_access:  read_only
        .address_space:  global
        .offset:         16
        .size:           8
        .value_kind:     global_buffer
      - .offset:         24
        .size:           4
        .value_kind:     by_value
      - .offset:         28
        .size:           4
        .value_kind:     by_value
      - .actual_access:  read_only
        .address_space:  global
        .offset:         32
        .size:           8
        .value_kind:     global_buffer
      - .actual_access:  read_only
        .address_space:  global
        .offset:         40
        .size:           8
        .value_kind:     global_buffer
      - .actual_access:  read_only
        .address_space:  global
        .offset:         48
        .size:           8
        .value_kind:     global_buffer
      - .offset:         56
        .size:           4
        .value_kind:     by_value
      - .actual_access:  read_only
        .address_space:  global
        .offset:         64
        .size:           8
        .value_kind:     global_buffer
      - .offset:         72
        .size:           4
        .value_kind:     by_value
      - .offset:         76
        .size:           4
        .value_kind:     by_value
      - .offset:         80
        .size:           4
        .value_kind:     by_value
      - .actual_access:  write_only
        .address_space:  global
        .offset:         88
        .size:           8
        .value_kind:     global_buffer
      - .actual_access:  write_only
        .address_space:  global
        .offset:         96
        .size:           8
        .value_kind:     global_buffer
      - .actual_access:  write_only
        .address_space:  global
        .offset:         104
        .size:           8
        .value_kind:     global_buffer
      - .actual_access:  read_only
        .address_space:  global
        .offset:         112
        .size:           8
        .value_kind:     global_buffer
      - .offset:         120
        .size:           4
        .value_kind:     by_value
      - .address_space:  global
        .offset:         128
        .size:           8
        .value_kind:     global_buffer
      - .address_space:  global
        .offset:         136
        .size:           8
        .value_kind:     global_buffer
      - .offset:         144
        .size:           4
        .value_kind:     hidden_block_count_x
      - .offset:         148
        .size:           4
        .value_kind:     hidden_block_count_y
      - .offset:         152
        .size:           4
        .value_kind:     hidden_block_count_z
      - .offset:         156
        .size:           2
        .value_kind:     hidden_group_size_x
      - .offset:         158
        .size:           2
        .value_kind:     hidden_group_size_y
      - .offset:         160
        .size:           2
        .value_kind:     hidden_group_size_z
      - .offset:         162
        .size:           2
        .value_kind:     hidden_remainder_x
      - .offset:         164
        .size:           2
        .value_kind:     hidden_remainder_y
      - .offset:         166
        .size:           2
        .value_kind:     hidden_remainder_z
      - .offset:         184
        .size:           8
        .value_kind:     hidden_global_offset_x
      - .offset:         192
        .size:           8
        .value_kind:     hidden_global_offset_y
      - .offset:         200
        .size:           8
        .value_kind:     hidden_global_offset_z
      - .offset:         208
        .size:           2
        .value_kind:     hidden_grid_dims
    .group_segment_fixed_size: 8192
    .kernarg_segment_align: 8
    .kernarg_segment_size: 400
    .language:       OpenCL C
    .language_version:
      - 2
      - 0
    .max_flat_workgroup_size: 256
    .name:           _Z39paged_attention_ll4mi_QKV_mfma16_kernelI14__hip_bfloat16S0_LN4vllm18Fp8KVCacheDataTypeE0EhLi32ELi128ELi256ELb1ELi16EEvPKT_PKT0_S8_ifPKiSA_SA_iPKfiiiPfSD_PS3_PT2_iSC_SC_
    .private_segment_fixed_size: 12
    .sgpr_count:     47
    .sgpr_spill_count: 0
    .symbol:         _Z39paged_attention_ll4mi_QKV_mfma16_kernelI14__hip_bfloat16S0_LN4vllm18Fp8KVCacheDataTypeE0EhLi32ELi128ELi256ELb1ELi16EEvPKT_PKT0_S8_ifPKiSA_SA_iPKfiiiPfSD_PS3_PT2_iSC_SC_.kd
    .uniform_work_group_size: 1
    .uses_dynamic_stack: false
    .vgpr_count:     96
    .vgpr_spill_count: 2
    .wavefront_size: 64
  - .agpr_count:     0
    .args:
      - .actual_access:  read_only
        .address_space:  global
        .offset:         0
        .size:           8
        .value_kind:     global_buffer
      - .actual_access:  read_only
        .address_space:  global
        .offset:         8
        .size:           8
        .value_kind:     global_buffer
      - .actual_access:  read_only
        .address_space:  global
        .offset:         16
        .size:           8
        .value_kind:     global_buffer
      - .offset:         24
        .size:           4
        .value_kind:     by_value
      - .offset:         28
        .size:           4
        .value_kind:     by_value
      - .actual_access:  read_only
        .address_space:  global
        .offset:         32
        .size:           8
        .value_kind:     global_buffer
      - .actual_access:  read_only
        .address_space:  global
        .offset:         40
        .size:           8
        .value_kind:     global_buffer
      - .actual_access:  read_only
        .address_space:  global
        .offset:         48
        .size:           8
        .value_kind:     global_buffer
      - .offset:         56
        .size:           4
        .value_kind:     by_value
      - .actual_access:  read_only
        .address_space:  global
        .offset:         64
        .size:           8
        .value_kind:     global_buffer
      - .offset:         72
        .size:           4
        .value_kind:     by_value
      - .offset:         76
        .size:           4
        .value_kind:     by_value
      - .offset:         80
        .size:           4
        .value_kind:     by_value
      - .actual_access:  write_only
        .address_space:  global
        .offset:         88
        .size:           8
        .value_kind:     global_buffer
      - .actual_access:  write_only
        .address_space:  global
        .offset:         96
        .size:           8
        .value_kind:     global_buffer
      - .actual_access:  write_only
        .address_space:  global
        .offset:         104
        .size:           8
        .value_kind:     global_buffer
      - .actual_access:  read_only
        .address_space:  global
        .offset:         112
        .size:           8
        .value_kind:     global_buffer
      - .offset:         120
        .size:           4
        .value_kind:     by_value
      - .address_space:  global
        .offset:         128
        .size:           8
        .value_kind:     global_buffer
      - .address_space:  global
        .offset:         136
        .size:           8
        .value_kind:     global_buffer
      - .offset:         144
        .size:           4
        .value_kind:     hidden_block_count_x
      - .offset:         148
        .size:           4
        .value_kind:     hidden_block_count_y
      - .offset:         152
        .size:           4
        .value_kind:     hidden_block_count_z
      - .offset:         156
        .size:           2
        .value_kind:     hidden_group_size_x
      - .offset:         158
        .size:           2
        .value_kind:     hidden_group_size_y
      - .offset:         160
        .size:           2
        .value_kind:     hidden_group_size_z
      - .offset:         162
        .size:           2
        .value_kind:     hidden_remainder_x
      - .offset:         164
        .size:           2
        .value_kind:     hidden_remainder_y
      - .offset:         166
        .size:           2
        .value_kind:     hidden_remainder_z
      - .offset:         184
        .size:           8
        .value_kind:     hidden_global_offset_x
      - .offset:         192
        .size:           8
        .value_kind:     hidden_global_offset_y
      - .offset:         200
        .size:           8
        .value_kind:     hidden_global_offset_z
      - .offset:         208
        .size:           2
        .value_kind:     hidden_grid_dims
    .group_segment_fixed_size: 8192
    .kernarg_segment_align: 8
    .kernarg_segment_size: 400
    .language:       OpenCL C
    .language_version:
      - 2
      - 0
    .max_flat_workgroup_size: 256
    .name:           _Z39paged_attention_ll4mi_QKV_mfma16_kernelI14__hip_bfloat16S0_LN4vllm18Fp8KVCacheDataTypeE0EhLi32ELi128ELi256ELb1ELi1EEvPKT_PKT0_S8_ifPKiSA_SA_iPKfiiiPfSD_PS3_PT2_iSC_SC_
    .private_segment_fixed_size: 12
    .sgpr_count:     48
    .sgpr_spill_count: 0
    .symbol:         _Z39paged_attention_ll4mi_QKV_mfma16_kernelI14__hip_bfloat16S0_LN4vllm18Fp8KVCacheDataTypeE0EhLi32ELi128ELi256ELb1ELi1EEvPKT_PKT0_S8_ifPKiSA_SA_iPKfiiiPfSD_PS3_PT2_iSC_SC_.kd
    .uniform_work_group_size: 1
    .uses_dynamic_stack: false
    .vgpr_count:     96
    .vgpr_spill_count: 2
    .wavefront_size: 64
  - .agpr_count:     0
    .args:
      - .actual_access:  read_only
        .address_space:  global
        .offset:         0
        .size:           8
        .value_kind:     global_buffer
      - .actual_access:  read_only
        .address_space:  global
        .offset:         8
        .size:           8
        .value_kind:     global_buffer
      - .actual_access:  read_only
        .address_space:  global
        .offset:         16
        .size:           8
        .value_kind:     global_buffer
      - .offset:         24
        .size:           4
        .value_kind:     by_value
      - .offset:         28
        .size:           4
        .value_kind:     by_value
      - .actual_access:  read_only
        .address_space:  global
        .offset:         32
        .size:           8
        .value_kind:     global_buffer
      - .actual_access:  read_only
        .address_space:  global
        .offset:         40
        .size:           8
        .value_kind:     global_buffer
      - .actual_access:  read_only
        .address_space:  global
        .offset:         48
        .size:           8
        .value_kind:     global_buffer
      - .offset:         56
        .size:           4
        .value_kind:     by_value
      - .actual_access:  read_only
        .address_space:  global
        .offset:         64
        .size:           8
        .value_kind:     global_buffer
      - .offset:         72
        .size:           4
        .value_kind:     by_value
      - .offset:         76
        .size:           4
        .value_kind:     by_value
      - .offset:         80
        .size:           4
        .value_kind:     by_value
      - .actual_access:  write_only
        .address_space:  global
        .offset:         88
        .size:           8
        .value_kind:     global_buffer
      - .actual_access:  write_only
        .address_space:  global
        .offset:         96
        .size:           8
        .value_kind:     global_buffer
      - .actual_access:  write_only
        .address_space:  global
        .offset:         104
        .size:           8
        .value_kind:     global_buffer
      - .actual_access:  read_only
        .address_space:  global
        .offset:         112
        .size:           8
        .value_kind:     global_buffer
      - .offset:         120
        .size:           4
        .value_kind:     by_value
      - .address_space:  global
        .offset:         128
        .size:           8
        .value_kind:     global_buffer
      - .address_space:  global
        .offset:         136
        .size:           8
        .value_kind:     global_buffer
      - .offset:         144
        .size:           4
        .value_kind:     hidden_block_count_x
      - .offset:         148
        .size:           4
        .value_kind:     hidden_block_count_y
      - .offset:         152
        .size:           4
        .value_kind:     hidden_block_count_z
      - .offset:         156
        .size:           2
        .value_kind:     hidden_group_size_x
      - .offset:         158
        .size:           2
        .value_kind:     hidden_group_size_y
      - .offset:         160
        .size:           2
        .value_kind:     hidden_group_size_z
      - .offset:         162
        .size:           2
        .value_kind:     hidden_remainder_x
      - .offset:         164
        .size:           2
        .value_kind:     hidden_remainder_y
      - .offset:         166
        .size:           2
        .value_kind:     hidden_remainder_z
      - .offset:         184
        .size:           8
        .value_kind:     hidden_global_offset_x
      - .offset:         192
        .size:           8
        .value_kind:     hidden_global_offset_y
      - .offset:         200
        .size:           8
        .value_kind:     hidden_global_offset_z
      - .offset:         208
        .size:           2
        .value_kind:     hidden_grid_dims
    .group_segment_fixed_size: 8192
    .kernarg_segment_align: 8
    .kernarg_segment_size: 400
    .language:       OpenCL C
    .language_version:
      - 2
      - 0
    .max_flat_workgroup_size: 256
    .name:           _Z39paged_attention_ll4mi_QKV_mfma16_kernelI14__hip_bfloat16S0_LN4vllm18Fp8KVCacheDataTypeE0EhLi32ELi128ELi256ELb1ELi2EEvPKT_PKT0_S8_ifPKiSA_SA_iPKfiiiPfSD_PS3_PT2_iSC_SC_
    .private_segment_fixed_size: 0
    .sgpr_count:     47
    .sgpr_spill_count: 0
    .symbol:         _Z39paged_attention_ll4mi_QKV_mfma16_kernelI14__hip_bfloat16S0_LN4vllm18Fp8KVCacheDataTypeE0EhLi32ELi128ELi256ELb1ELi2EEvPKT_PKT0_S8_ifPKiSA_SA_iPKfiiiPfSD_PS3_PT2_iSC_SC_.kd
    .uniform_work_group_size: 1
    .uses_dynamic_stack: false
    .vgpr_count:     96
    .vgpr_spill_count: 0
    .wavefront_size: 64
  - .agpr_count:     0
    .args:
      - .actual_access:  read_only
        .address_space:  global
        .offset:         0
        .size:           8
        .value_kind:     global_buffer
      - .actual_access:  read_only
        .address_space:  global
        .offset:         8
        .size:           8
        .value_kind:     global_buffer
      - .actual_access:  read_only
        .address_space:  global
        .offset:         16
        .size:           8
        .value_kind:     global_buffer
      - .offset:         24
        .size:           4
        .value_kind:     by_value
      - .offset:         28
        .size:           4
        .value_kind:     by_value
      - .actual_access:  read_only
        .address_space:  global
        .offset:         32
        .size:           8
        .value_kind:     global_buffer
      - .actual_access:  read_only
        .address_space:  global
        .offset:         40
        .size:           8
        .value_kind:     global_buffer
      - .actual_access:  read_only
        .address_space:  global
        .offset:         48
        .size:           8
        .value_kind:     global_buffer
      - .offset:         56
        .size:           4
        .value_kind:     by_value
      - .actual_access:  read_only
        .address_space:  global
        .offset:         64
        .size:           8
        .value_kind:     global_buffer
      - .offset:         72
        .size:           4
        .value_kind:     by_value
      - .offset:         76
        .size:           4
        .value_kind:     by_value
      - .offset:         80
        .size:           4
        .value_kind:     by_value
      - .actual_access:  write_only
        .address_space:  global
        .offset:         88
        .size:           8
        .value_kind:     global_buffer
      - .actual_access:  write_only
        .address_space:  global
        .offset:         96
        .size:           8
        .value_kind:     global_buffer
      - .actual_access:  write_only
        .address_space:  global
        .offset:         104
        .size:           8
        .value_kind:     global_buffer
      - .actual_access:  read_only
        .address_space:  global
        .offset:         112
        .size:           8
        .value_kind:     global_buffer
      - .offset:         120
        .size:           4
        .value_kind:     by_value
      - .address_space:  global
        .offset:         128
        .size:           8
        .value_kind:     global_buffer
      - .address_space:  global
        .offset:         136
        .size:           8
        .value_kind:     global_buffer
      - .offset:         144
        .size:           4
        .value_kind:     hidden_block_count_x
      - .offset:         148
        .size:           4
        .value_kind:     hidden_block_count_y
      - .offset:         152
        .size:           4
        .value_kind:     hidden_block_count_z
      - .offset:         156
        .size:           2
        .value_kind:     hidden_group_size_x
      - .offset:         158
        .size:           2
        .value_kind:     hidden_group_size_y
      - .offset:         160
        .size:           2
        .value_kind:     hidden_group_size_z
      - .offset:         162
        .size:           2
        .value_kind:     hidden_remainder_x
      - .offset:         164
        .size:           2
        .value_kind:     hidden_remainder_y
      - .offset:         166
        .size:           2
        .value_kind:     hidden_remainder_z
      - .offset:         184
        .size:           8
        .value_kind:     hidden_global_offset_x
      - .offset:         192
        .size:           8
        .value_kind:     hidden_global_offset_y
      - .offset:         200
        .size:           8
        .value_kind:     hidden_global_offset_z
      - .offset:         208
        .size:           2
        .value_kind:     hidden_grid_dims
    .group_segment_fixed_size: 8192
    .kernarg_segment_align: 8
    .kernarg_segment_size: 400
    .language:       OpenCL C
    .language_version:
      - 2
      - 0
    .max_flat_workgroup_size: 256
    .name:           _Z39paged_attention_ll4mi_QKV_mfma16_kernelI14__hip_bfloat16S0_LN4vllm18Fp8KVCacheDataTypeE0EhLi32ELi128ELi256ELb1ELi3EEvPKT_PKT0_S8_ifPKiSA_SA_iPKfiiiPfSD_PS3_PT2_iSC_SC_
    .private_segment_fixed_size: 8
    .sgpr_count:     48
    .sgpr_spill_count: 0
    .symbol:         _Z39paged_attention_ll4mi_QKV_mfma16_kernelI14__hip_bfloat16S0_LN4vllm18Fp8KVCacheDataTypeE0EhLi32ELi128ELi256ELb1ELi3EEvPKT_PKT0_S8_ifPKiSA_SA_iPKfiiiPfSD_PS3_PT2_iSC_SC_.kd
    .uniform_work_group_size: 1
    .uses_dynamic_stack: false
    .vgpr_count:     96
    .vgpr_spill_count: 1
    .wavefront_size: 64
  - .agpr_count:     0
    .args:
      - .actual_access:  read_only
        .address_space:  global
        .offset:         0
        .size:           8
        .value_kind:     global_buffer
      - .actual_access:  read_only
        .address_space:  global
        .offset:         8
        .size:           8
        .value_kind:     global_buffer
      - .actual_access:  read_only
        .address_space:  global
        .offset:         16
        .size:           8
        .value_kind:     global_buffer
      - .offset:         24
        .size:           4
        .value_kind:     by_value
      - .offset:         28
        .size:           4
        .value_kind:     by_value
      - .actual_access:  read_only
        .address_space:  global
        .offset:         32
        .size:           8
        .value_kind:     global_buffer
      - .actual_access:  read_only
        .address_space:  global
        .offset:         40
        .size:           8
        .value_kind:     global_buffer
      - .actual_access:  read_only
        .address_space:  global
        .offset:         48
        .size:           8
        .value_kind:     global_buffer
      - .offset:         56
        .size:           4
        .value_kind:     by_value
      - .actual_access:  read_only
        .address_space:  global
        .offset:         64
        .size:           8
        .value_kind:     global_buffer
      - .offset:         72
        .size:           4
        .value_kind:     by_value
      - .offset:         76
        .size:           4
        .value_kind:     by_value
      - .offset:         80
        .size:           4
        .value_kind:     by_value
      - .actual_access:  write_only
        .address_space:  global
        .offset:         88
        .size:           8
        .value_kind:     global_buffer
      - .actual_access:  write_only
        .address_space:  global
        .offset:         96
        .size:           8
        .value_kind:     global_buffer
      - .actual_access:  write_only
        .address_space:  global
        .offset:         104
        .size:           8
        .value_kind:     global_buffer
      - .actual_access:  read_only
        .address_space:  global
        .offset:         112
        .size:           8
        .value_kind:     global_buffer
      - .offset:         120
        .size:           4
        .value_kind:     by_value
      - .address_space:  global
        .offset:         128
        .size:           8
        .value_kind:     global_buffer
      - .address_space:  global
        .offset:         136
        .size:           8
        .value_kind:     global_buffer
      - .offset:         144
        .size:           4
        .value_kind:     hidden_block_count_x
      - .offset:         148
        .size:           4
        .value_kind:     hidden_block_count_y
      - .offset:         152
        .size:           4
        .value_kind:     hidden_block_count_z
      - .offset:         156
        .size:           2
        .value_kind:     hidden_group_size_x
      - .offset:         158
        .size:           2
        .value_kind:     hidden_group_size_y
      - .offset:         160
        .size:           2
        .value_kind:     hidden_group_size_z
      - .offset:         162
        .size:           2
        .value_kind:     hidden_remainder_x
      - .offset:         164
        .size:           2
        .value_kind:     hidden_remainder_y
      - .offset:         166
        .size:           2
        .value_kind:     hidden_remainder_z
      - .offset:         184
        .size:           8
        .value_kind:     hidden_global_offset_x
      - .offset:         192
        .size:           8
        .value_kind:     hidden_global_offset_y
      - .offset:         200
        .size:           8
        .value_kind:     hidden_global_offset_z
      - .offset:         208
        .size:           2
        .value_kind:     hidden_grid_dims
    .group_segment_fixed_size: 8192
    .kernarg_segment_align: 8
    .kernarg_segment_size: 400
    .language:       OpenCL C
    .language_version:
      - 2
      - 0
    .max_flat_workgroup_size: 256
    .name:           _Z39paged_attention_ll4mi_QKV_mfma16_kernelI14__hip_bfloat16S0_LN4vllm18Fp8KVCacheDataTypeE0EhLi32ELi128ELi256ELb1ELi4EEvPKT_PKT0_S8_ifPKiSA_SA_iPKfiiiPfSD_PS3_PT2_iSC_SC_
    .private_segment_fixed_size: 12
    .sgpr_count:     49
    .sgpr_spill_count: 0
    .symbol:         _Z39paged_attention_ll4mi_QKV_mfma16_kernelI14__hip_bfloat16S0_LN4vllm18Fp8KVCacheDataTypeE0EhLi32ELi128ELi256ELb1ELi4EEvPKT_PKT0_S8_ifPKiSA_SA_iPKfiiiPfSD_PS3_PT2_iSC_SC_.kd
    .uniform_work_group_size: 1
    .uses_dynamic_stack: false
    .vgpr_count:     96
    .vgpr_spill_count: 2
    .wavefront_size: 64
  - .agpr_count:     8
    .args:
      - .actual_access:  read_only
        .address_space:  global
        .offset:         0
        .size:           8
        .value_kind:     global_buffer
      - .actual_access:  read_only
        .address_space:  global
        .offset:         8
        .size:           8
        .value_kind:     global_buffer
      - .actual_access:  read_only
        .address_space:  global
        .offset:         16
        .size:           8
        .value_kind:     global_buffer
      - .offset:         24
        .size:           4
        .value_kind:     by_value
      - .offset:         28
        .size:           4
        .value_kind:     by_value
      - .actual_access:  read_only
        .address_space:  global
        .offset:         32
        .size:           8
        .value_kind:     global_buffer
      - .actual_access:  read_only
        .address_space:  global
        .offset:         40
        .size:           8
        .value_kind:     global_buffer
      - .actual_access:  read_only
        .address_space:  global
        .offset:         48
        .size:           8
        .value_kind:     global_buffer
      - .offset:         56
        .size:           4
        .value_kind:     by_value
      - .actual_access:  read_only
        .address_space:  global
        .offset:         64
        .size:           8
        .value_kind:     global_buffer
      - .offset:         72
        .size:           4
        .value_kind:     by_value
      - .offset:         76
        .size:           4
        .value_kind:     by_value
      - .offset:         80
        .size:           4
        .value_kind:     by_value
      - .actual_access:  write_only
        .address_space:  global
        .offset:         88
        .size:           8
        .value_kind:     global_buffer
      - .actual_access:  write_only
        .address_space:  global
        .offset:         96
        .size:           8
        .value_kind:     global_buffer
      - .actual_access:  write_only
        .address_space:  global
        .offset:         104
        .size:           8
        .value_kind:     global_buffer
      - .actual_access:  read_only
        .address_space:  global
        .offset:         112
        .size:           8
        .value_kind:     global_buffer
      - .offset:         120
        .size:           4
        .value_kind:     by_value
      - .address_space:  global
        .offset:         128
        .size:           8
        .value_kind:     global_buffer
      - .address_space:  global
        .offset:         136
        .size:           8
        .value_kind:     global_buffer
      - .offset:         144
        .size:           4
        .value_kind:     hidden_block_count_x
      - .offset:         148
        .size:           4
        .value_kind:     hidden_block_count_y
      - .offset:         152
        .size:           4
        .value_kind:     hidden_block_count_z
      - .offset:         156
        .size:           2
        .value_kind:     hidden_group_size_x
      - .offset:         158
        .size:           2
        .value_kind:     hidden_group_size_y
      - .offset:         160
        .size:           2
        .value_kind:     hidden_group_size_z
      - .offset:         162
        .size:           2
        .value_kind:     hidden_remainder_x
      - .offset:         164
        .size:           2
        .value_kind:     hidden_remainder_y
      - .offset:         166
        .size:           2
        .value_kind:     hidden_remainder_z
      - .offset:         184
        .size:           8
        .value_kind:     hidden_global_offset_x
      - .offset:         192
        .size:           8
        .value_kind:     hidden_global_offset_y
      - .offset:         200
        .size:           8
        .value_kind:     hidden_global_offset_z
      - .offset:         208
        .size:           2
        .value_kind:     hidden_grid_dims
    .group_segment_fixed_size: 5280
    .kernarg_segment_align: 8
    .kernarg_segment_size: 400
    .language:       OpenCL C
    .language_version:
      - 2
      - 0
    .max_flat_workgroup_size: 256
    .name:           _Z38paged_attention_ll4mi_QKV_mfma4_kernelI14__hip_bfloat16S0_LN4vllm18Fp8KVCacheDataTypeE0EhLi32ELi128ELi256ELb0ELi1EEvPKT_PKT0_S8_ifPKiSA_SA_iPKfiiiPfSD_PS3_PT2_iSC_SC_
    .private_segment_fixed_size: 0
    .sgpr_count:     44
    .sgpr_spill_count: 0
    .symbol:         _Z38paged_attention_ll4mi_QKV_mfma4_kernelI14__hip_bfloat16S0_LN4vllm18Fp8KVCacheDataTypeE0EhLi32ELi128ELi256ELb0ELi1EEvPKT_PKT0_S8_ifPKiSA_SA_iPKfiiiPfSD_PS3_PT2_iSC_SC_.kd
    .uniform_work_group_size: 1
    .uses_dynamic_stack: false
    .vgpr_count:     100
    .vgpr_spill_count: 0
    .wavefront_size: 64
  - .agpr_count:     8
    .args:
      - .actual_access:  read_only
        .address_space:  global
        .offset:         0
        .size:           8
        .value_kind:     global_buffer
      - .actual_access:  read_only
        .address_space:  global
        .offset:         8
        .size:           8
        .value_kind:     global_buffer
      - .actual_access:  read_only
        .address_space:  global
        .offset:         16
        .size:           8
        .value_kind:     global_buffer
      - .offset:         24
        .size:           4
        .value_kind:     by_value
      - .offset:         28
        .size:           4
        .value_kind:     by_value
      - .actual_access:  read_only
        .address_space:  global
        .offset:         32
        .size:           8
        .value_kind:     global_buffer
      - .actual_access:  read_only
        .address_space:  global
        .offset:         40
        .size:           8
        .value_kind:     global_buffer
      - .actual_access:  read_only
        .address_space:  global
        .offset:         48
        .size:           8
        .value_kind:     global_buffer
      - .offset:         56
        .size:           4
        .value_kind:     by_value
      - .actual_access:  read_only
        .address_space:  global
        .offset:         64
        .size:           8
        .value_kind:     global_buffer
      - .offset:         72
        .size:           4
        .value_kind:     by_value
      - .offset:         76
        .size:           4
        .value_kind:     by_value
      - .offset:         80
        .size:           4
        .value_kind:     by_value
      - .actual_access:  write_only
        .address_space:  global
        .offset:         88
        .size:           8
        .value_kind:     global_buffer
      - .actual_access:  write_only
        .address_space:  global
        .offset:         96
        .size:           8
        .value_kind:     global_buffer
      - .actual_access:  write_only
        .address_space:  global
        .offset:         104
        .size:           8
        .value_kind:     global_buffer
      - .actual_access:  read_only
        .address_space:  global
        .offset:         112
        .size:           8
        .value_kind:     global_buffer
      - .offset:         120
        .size:           4
        .value_kind:     by_value
      - .address_space:  global
        .offset:         128
        .size:           8
        .value_kind:     global_buffer
      - .address_space:  global
        .offset:         136
        .size:           8
        .value_kind:     global_buffer
      - .offset:         144
        .size:           4
        .value_kind:     hidden_block_count_x
      - .offset:         148
        .size:           4
        .value_kind:     hidden_block_count_y
      - .offset:         152
        .size:           4
        .value_kind:     hidden_block_count_z
      - .offset:         156
        .size:           2
        .value_kind:     hidden_group_size_x
      - .offset:         158
        .size:           2
        .value_kind:     hidden_group_size_y
      - .offset:         160
        .size:           2
        .value_kind:     hidden_group_size_z
      - .offset:         162
        .size:           2
        .value_kind:     hidden_remainder_x
      - .offset:         164
        .size:           2
        .value_kind:     hidden_remainder_y
      - .offset:         166
        .size:           2
        .value_kind:     hidden_remainder_z
      - .offset:         184
        .size:           8
        .value_kind:     hidden_global_offset_x
      - .offset:         192
        .size:           8
        .value_kind:     hidden_global_offset_y
      - .offset:         200
        .size:           8
        .value_kind:     hidden_global_offset_z
      - .offset:         208
        .size:           2
        .value_kind:     hidden_grid_dims
    .group_segment_fixed_size: 5280
    .kernarg_segment_align: 8
    .kernarg_segment_size: 400
    .language:       OpenCL C
    .language_version:
      - 2
      - 0
    .max_flat_workgroup_size: 256
    .name:           _Z38paged_attention_ll4mi_QKV_mfma4_kernelI14__hip_bfloat16S0_LN4vllm18Fp8KVCacheDataTypeE0EhLi32ELi128ELi256ELb0ELi2EEvPKT_PKT0_S8_ifPKiSA_SA_iPKfiiiPfSD_PS3_PT2_iSC_SC_
    .private_segment_fixed_size: 0
    .sgpr_count:     44
    .sgpr_spill_count: 0
    .symbol:         _Z38paged_attention_ll4mi_QKV_mfma4_kernelI14__hip_bfloat16S0_LN4vllm18Fp8KVCacheDataTypeE0EhLi32ELi128ELi256ELb0ELi2EEvPKT_PKT0_S8_ifPKiSA_SA_iPKfiiiPfSD_PS3_PT2_iSC_SC_.kd
    .uniform_work_group_size: 1
    .uses_dynamic_stack: false
    .vgpr_count:     100
    .vgpr_spill_count: 0
    .wavefront_size: 64
  - .agpr_count:     8
    .args:
      - .actual_access:  read_only
        .address_space:  global
        .offset:         0
        .size:           8
        .value_kind:     global_buffer
      - .actual_access:  read_only
        .address_space:  global
        .offset:         8
        .size:           8
        .value_kind:     global_buffer
      - .actual_access:  read_only
        .address_space:  global
        .offset:         16
        .size:           8
        .value_kind:     global_buffer
      - .offset:         24
        .size:           4
        .value_kind:     by_value
      - .offset:         28
        .size:           4
        .value_kind:     by_value
      - .actual_access:  read_only
        .address_space:  global
        .offset:         32
        .size:           8
        .value_kind:     global_buffer
      - .actual_access:  read_only
        .address_space:  global
        .offset:         40
        .size:           8
        .value_kind:     global_buffer
      - .actual_access:  read_only
        .address_space:  global
        .offset:         48
        .size:           8
        .value_kind:     global_buffer
      - .offset:         56
        .size:           4
        .value_kind:     by_value
      - .actual_access:  read_only
        .address_space:  global
        .offset:         64
        .size:           8
        .value_kind:     global_buffer
      - .offset:         72
        .size:           4
        .value_kind:     by_value
      - .offset:         76
        .size:           4
        .value_kind:     by_value
      - .offset:         80
        .size:           4
        .value_kind:     by_value
      - .actual_access:  write_only
        .address_space:  global
        .offset:         88
        .size:           8
        .value_kind:     global_buffer
      - .actual_access:  write_only
        .address_space:  global
        .offset:         96
        .size:           8
        .value_kind:     global_buffer
      - .actual_access:  write_only
        .address_space:  global
        .offset:         104
        .size:           8
        .value_kind:     global_buffer
      - .actual_access:  read_only
        .address_space:  global
        .offset:         112
        .size:           8
        .value_kind:     global_buffer
      - .offset:         120
        .size:           4
        .value_kind:     by_value
      - .address_space:  global
        .offset:         128
        .size:           8
        .value_kind:     global_buffer
      - .address_space:  global
        .offset:         136
        .size:           8
        .value_kind:     global_buffer
      - .offset:         144
        .size:           4
        .value_kind:     hidden_block_count_x
      - .offset:         148
        .size:           4
        .value_kind:     hidden_block_count_y
      - .offset:         152
        .size:           4
        .value_kind:     hidden_block_count_z
      - .offset:         156
        .size:           2
        .value_kind:     hidden_group_size_x
      - .offset:         158
        .size:           2
        .value_kind:     hidden_group_size_y
      - .offset:         160
        .size:           2
        .value_kind:     hidden_group_size_z
      - .offset:         162
        .size:           2
        .value_kind:     hidden_remainder_x
      - .offset:         164
        .size:           2
        .value_kind:     hidden_remainder_y
      - .offset:         166
        .size:           2
        .value_kind:     hidden_remainder_z
      - .offset:         184
        .size:           8
        .value_kind:     hidden_global_offset_x
      - .offset:         192
        .size:           8
        .value_kind:     hidden_global_offset_y
      - .offset:         200
        .size:           8
        .value_kind:     hidden_global_offset_z
      - .offset:         208
        .size:           2
        .value_kind:     hidden_grid_dims
    .group_segment_fixed_size: 5280
    .kernarg_segment_align: 8
    .kernarg_segment_size: 400
    .language:       OpenCL C
    .language_version:
      - 2
      - 0
    .max_flat_workgroup_size: 256
    .name:           _Z38paged_attention_ll4mi_QKV_mfma4_kernelI14__hip_bfloat16S0_LN4vllm18Fp8KVCacheDataTypeE0EhLi32ELi128ELi256ELb0ELi3EEvPKT_PKT0_S8_ifPKiSA_SA_iPKfiiiPfSD_PS3_PT2_iSC_SC_
    .private_segment_fixed_size: 0
    .sgpr_count:     44
    .sgpr_spill_count: 0
    .symbol:         _Z38paged_attention_ll4mi_QKV_mfma4_kernelI14__hip_bfloat16S0_LN4vllm18Fp8KVCacheDataTypeE0EhLi32ELi128ELi256ELb0ELi3EEvPKT_PKT0_S8_ifPKiSA_SA_iPKfiiiPfSD_PS3_PT2_iSC_SC_.kd
    .uniform_work_group_size: 1
    .uses_dynamic_stack: false
    .vgpr_count:     100
    .vgpr_spill_count: 0
    .wavefront_size: 64
  - .agpr_count:     8
    .args:
      - .actual_access:  read_only
        .address_space:  global
        .offset:         0
        .size:           8
        .value_kind:     global_buffer
      - .actual_access:  read_only
        .address_space:  global
        .offset:         8
        .size:           8
        .value_kind:     global_buffer
      - .actual_access:  read_only
        .address_space:  global
        .offset:         16
        .size:           8
        .value_kind:     global_buffer
      - .offset:         24
        .size:           4
        .value_kind:     by_value
      - .offset:         28
        .size:           4
        .value_kind:     by_value
      - .actual_access:  read_only
        .address_space:  global
        .offset:         32
        .size:           8
        .value_kind:     global_buffer
      - .actual_access:  read_only
        .address_space:  global
        .offset:         40
        .size:           8
        .value_kind:     global_buffer
      - .actual_access:  read_only
        .address_space:  global
        .offset:         48
        .size:           8
        .value_kind:     global_buffer
      - .offset:         56
        .size:           4
        .value_kind:     by_value
      - .actual_access:  read_only
        .address_space:  global
        .offset:         64
        .size:           8
        .value_kind:     global_buffer
      - .offset:         72
        .size:           4
        .value_kind:     by_value
      - .offset:         76
        .size:           4
        .value_kind:     by_value
      - .offset:         80
        .size:           4
        .value_kind:     by_value
      - .actual_access:  write_only
        .address_space:  global
        .offset:         88
        .size:           8
        .value_kind:     global_buffer
      - .actual_access:  write_only
        .address_space:  global
        .offset:         96
        .size:           8
        .value_kind:     global_buffer
      - .actual_access:  write_only
        .address_space:  global
        .offset:         104
        .size:           8
        .value_kind:     global_buffer
      - .actual_access:  read_only
        .address_space:  global
        .offset:         112
        .size:           8
        .value_kind:     global_buffer
      - .offset:         120
        .size:           4
        .value_kind:     by_value
      - .address_space:  global
        .offset:         128
        .size:           8
        .value_kind:     global_buffer
      - .address_space:  global
        .offset:         136
        .size:           8
        .value_kind:     global_buffer
      - .offset:         144
        .size:           4
        .value_kind:     hidden_block_count_x
      - .offset:         148
        .size:           4
        .value_kind:     hidden_block_count_y
      - .offset:         152
        .size:           4
        .value_kind:     hidden_block_count_z
      - .offset:         156
        .size:           2
        .value_kind:     hidden_group_size_x
      - .offset:         158
        .size:           2
        .value_kind:     hidden_group_size_y
      - .offset:         160
        .size:           2
        .value_kind:     hidden_group_size_z
      - .offset:         162
        .size:           2
        .value_kind:     hidden_remainder_x
      - .offset:         164
        .size:           2
        .value_kind:     hidden_remainder_y
      - .offset:         166
        .size:           2
        .value_kind:     hidden_remainder_z
      - .offset:         184
        .size:           8
        .value_kind:     hidden_global_offset_x
      - .offset:         192
        .size:           8
        .value_kind:     hidden_global_offset_y
      - .offset:         200
        .size:           8
        .value_kind:     hidden_global_offset_z
      - .offset:         208
        .size:           2
        .value_kind:     hidden_grid_dims
    .group_segment_fixed_size: 5280
    .kernarg_segment_align: 8
    .kernarg_segment_size: 400
    .language:       OpenCL C
    .language_version:
      - 2
      - 0
    .max_flat_workgroup_size: 256
    .name:           _Z38paged_attention_ll4mi_QKV_mfma4_kernelI14__hip_bfloat16S0_LN4vllm18Fp8KVCacheDataTypeE0EhLi32ELi128ELi256ELb0ELi4EEvPKT_PKT0_S8_ifPKiSA_SA_iPKfiiiPfSD_PS3_PT2_iSC_SC_
    .private_segment_fixed_size: 0
    .sgpr_count:     44
    .sgpr_spill_count: 0
    .symbol:         _Z38paged_attention_ll4mi_QKV_mfma4_kernelI14__hip_bfloat16S0_LN4vllm18Fp8KVCacheDataTypeE0EhLi32ELi128ELi256ELb0ELi4EEvPKT_PKT0_S8_ifPKiSA_SA_iPKfiiiPfSD_PS3_PT2_iSC_SC_.kd
    .uniform_work_group_size: 1
    .uses_dynamic_stack: false
    .vgpr_count:     100
    .vgpr_spill_count: 0
    .wavefront_size: 64
  - .agpr_count:     0
    .args:
      - .actual_access:  read_only
        .address_space:  global
        .offset:         0
        .size:           8
        .value_kind:     global_buffer
      - .actual_access:  read_only
        .address_space:  global
        .offset:         8
        .size:           8
        .value_kind:     global_buffer
      - .actual_access:  read_only
        .address_space:  global
        .offset:         16
        .size:           8
        .value_kind:     global_buffer
      - .offset:         24
        .size:           4
        .value_kind:     by_value
      - .offset:         28
        .size:           4
        .value_kind:     by_value
      - .actual_access:  read_only
        .address_space:  global
        .offset:         32
        .size:           8
        .value_kind:     global_buffer
      - .actual_access:  read_only
        .address_space:  global
        .offset:         40
        .size:           8
        .value_kind:     global_buffer
      - .actual_access:  read_only
        .address_space:  global
        .offset:         48
        .size:           8
        .value_kind:     global_buffer
      - .offset:         56
        .size:           4
        .value_kind:     by_value
      - .actual_access:  read_only
        .address_space:  global
        .offset:         64
        .size:           8
        .value_kind:     global_buffer
      - .offset:         72
        .size:           4
        .value_kind:     by_value
      - .offset:         76
        .size:           4
        .value_kind:     by_value
      - .offset:         80
        .size:           4
        .value_kind:     by_value
      - .actual_access:  write_only
        .address_space:  global
        .offset:         88
        .size:           8
        .value_kind:     global_buffer
      - .actual_access:  write_only
        .address_space:  global
        .offset:         96
        .size:           8
        .value_kind:     global_buffer
      - .actual_access:  write_only
        .address_space:  global
        .offset:         104
        .size:           8
        .value_kind:     global_buffer
      - .actual_access:  read_only
        .address_space:  global
        .offset:         112
        .size:           8
        .value_kind:     global_buffer
      - .offset:         120
        .size:           4
        .value_kind:     by_value
      - .address_space:  global
        .offset:         128
        .size:           8
        .value_kind:     global_buffer
      - .address_space:  global
        .offset:         136
        .size:           8
        .value_kind:     global_buffer
      - .offset:         144
        .size:           4
        .value_kind:     hidden_block_count_x
      - .offset:         148
        .size:           4
        .value_kind:     hidden_block_count_y
      - .offset:         152
        .size:           4
        .value_kind:     hidden_block_count_z
      - .offset:         156
        .size:           2
        .value_kind:     hidden_group_size_x
      - .offset:         158
        .size:           2
        .value_kind:     hidden_group_size_y
      - .offset:         160
        .size:           2
        .value_kind:     hidden_group_size_z
      - .offset:         162
        .size:           2
        .value_kind:     hidden_remainder_x
      - .offset:         164
        .size:           2
        .value_kind:     hidden_remainder_y
      - .offset:         166
        .size:           2
        .value_kind:     hidden_remainder_z
      - .offset:         184
        .size:           8
        .value_kind:     hidden_global_offset_x
      - .offset:         192
        .size:           8
        .value_kind:     hidden_global_offset_y
      - .offset:         200
        .size:           8
        .value_kind:     hidden_global_offset_z
      - .offset:         208
        .size:           2
        .value_kind:     hidden_grid_dims
    .group_segment_fixed_size: 8192
    .kernarg_segment_align: 8
    .kernarg_segment_size: 400
    .language:       OpenCL C
    .language_version:
      - 2
      - 0
    .max_flat_workgroup_size: 256
    .name:           _Z39paged_attention_ll4mi_QKV_mfma16_kernelI14__hip_bfloat16S0_LN4vllm18Fp8KVCacheDataTypeE0EhLi32ELi128ELi256ELb0ELi5EEvPKT_PKT0_S8_ifPKiSA_SA_iPKfiiiPfSD_PS3_PT2_iSC_SC_
    .private_segment_fixed_size: 0
    .sgpr_count:     48
    .sgpr_spill_count: 0
    .symbol:         _Z39paged_attention_ll4mi_QKV_mfma16_kernelI14__hip_bfloat16S0_LN4vllm18Fp8KVCacheDataTypeE0EhLi32ELi128ELi256ELb0ELi5EEvPKT_PKT0_S8_ifPKiSA_SA_iPKfiiiPfSD_PS3_PT2_iSC_SC_.kd
    .uniform_work_group_size: 1
    .uses_dynamic_stack: false
    .vgpr_count:     96
    .vgpr_spill_count: 0
    .wavefront_size: 64
  - .agpr_count:     0
    .args:
      - .actual_access:  read_only
        .address_space:  global
        .offset:         0
        .size:           8
        .value_kind:     global_buffer
      - .actual_access:  read_only
        .address_space:  global
        .offset:         8
        .size:           8
        .value_kind:     global_buffer
      - .actual_access:  read_only
        .address_space:  global
        .offset:         16
        .size:           8
        .value_kind:     global_buffer
      - .offset:         24
        .size:           4
        .value_kind:     by_value
      - .offset:         28
        .size:           4
        .value_kind:     by_value
      - .actual_access:  read_only
        .address_space:  global
        .offset:         32
        .size:           8
        .value_kind:     global_buffer
      - .actual_access:  read_only
        .address_space:  global
        .offset:         40
        .size:           8
        .value_kind:     global_buffer
      - .actual_access:  read_only
        .address_space:  global
        .offset:         48
        .size:           8
        .value_kind:     global_buffer
      - .offset:         56
        .size:           4
        .value_kind:     by_value
      - .actual_access:  read_only
        .address_space:  global
        .offset:         64
        .size:           8
        .value_kind:     global_buffer
      - .offset:         72
        .size:           4
        .value_kind:     by_value
      - .offset:         76
        .size:           4
        .value_kind:     by_value
      - .offset:         80
        .size:           4
        .value_kind:     by_value
      - .actual_access:  write_only
        .address_space:  global
        .offset:         88
        .size:           8
        .value_kind:     global_buffer
      - .actual_access:  write_only
        .address_space:  global
        .offset:         96
        .size:           8
        .value_kind:     global_buffer
      - .actual_access:  write_only
        .address_space:  global
        .offset:         104
        .size:           8
        .value_kind:     global_buffer
      - .actual_access:  read_only
        .address_space:  global
        .offset:         112
        .size:           8
        .value_kind:     global_buffer
      - .offset:         120
        .size:           4
        .value_kind:     by_value
      - .address_space:  global
        .offset:         128
        .size:           8
        .value_kind:     global_buffer
      - .address_space:  global
        .offset:         136
        .size:           8
        .value_kind:     global_buffer
      - .offset:         144
        .size:           4
        .value_kind:     hidden_block_count_x
      - .offset:         148
        .size:           4
        .value_kind:     hidden_block_count_y
      - .offset:         152
        .size:           4
        .value_kind:     hidden_block_count_z
      - .offset:         156
        .size:           2
        .value_kind:     hidden_group_size_x
      - .offset:         158
        .size:           2
        .value_kind:     hidden_group_size_y
      - .offset:         160
        .size:           2
        .value_kind:     hidden_group_size_z
      - .offset:         162
        .size:           2
        .value_kind:     hidden_remainder_x
      - .offset:         164
        .size:           2
        .value_kind:     hidden_remainder_y
      - .offset:         166
        .size:           2
        .value_kind:     hidden_remainder_z
      - .offset:         184
        .size:           8
        .value_kind:     hidden_global_offset_x
      - .offset:         192
        .size:           8
        .value_kind:     hidden_global_offset_y
      - .offset:         200
        .size:           8
        .value_kind:     hidden_global_offset_z
      - .offset:         208
        .size:           2
        .value_kind:     hidden_grid_dims
    .group_segment_fixed_size: 8192
    .kernarg_segment_align: 8
    .kernarg_segment_size: 400
    .language:       OpenCL C
    .language_version:
      - 2
      - 0
    .max_flat_workgroup_size: 256
    .name:           _Z39paged_attention_ll4mi_QKV_mfma16_kernelI14__hip_bfloat16S0_LN4vllm18Fp8KVCacheDataTypeE0EhLi32ELi128ELi256ELb0ELi6EEvPKT_PKT0_S8_ifPKiSA_SA_iPKfiiiPfSD_PS3_PT2_iSC_SC_
    .private_segment_fixed_size: 0
    .sgpr_count:     48
    .sgpr_spill_count: 0
    .symbol:         _Z39paged_attention_ll4mi_QKV_mfma16_kernelI14__hip_bfloat16S0_LN4vllm18Fp8KVCacheDataTypeE0EhLi32ELi128ELi256ELb0ELi6EEvPKT_PKT0_S8_ifPKiSA_SA_iPKfiiiPfSD_PS3_PT2_iSC_SC_.kd
    .uniform_work_group_size: 1
    .uses_dynamic_stack: false
    .vgpr_count:     96
    .vgpr_spill_count: 0
    .wavefront_size: 64
  - .agpr_count:     0
    .args:
      - .actual_access:  read_only
        .address_space:  global
        .offset:         0
        .size:           8
        .value_kind:     global_buffer
      - .actual_access:  read_only
        .address_space:  global
        .offset:         8
        .size:           8
        .value_kind:     global_buffer
      - .actual_access:  read_only
        .address_space:  global
        .offset:         16
        .size:           8
        .value_kind:     global_buffer
      - .offset:         24
        .size:           4
        .value_kind:     by_value
      - .offset:         28
        .size:           4
        .value_kind:     by_value
      - .actual_access:  read_only
        .address_space:  global
        .offset:         32
        .size:           8
        .value_kind:     global_buffer
      - .actual_access:  read_only
        .address_space:  global
        .offset:         40
        .size:           8
        .value_kind:     global_buffer
      - .actual_access:  read_only
        .address_space:  global
        .offset:         48
        .size:           8
        .value_kind:     global_buffer
      - .offset:         56
        .size:           4
        .value_kind:     by_value
      - .actual_access:  read_only
        .address_space:  global
        .offset:         64
        .size:           8
        .value_kind:     global_buffer
      - .offset:         72
        .size:           4
        .value_kind:     by_value
      - .offset:         76
        .size:           4
        .value_kind:     by_value
      - .offset:         80
        .size:           4
        .value_kind:     by_value
      - .actual_access:  write_only
        .address_space:  global
        .offset:         88
        .size:           8
        .value_kind:     global_buffer
      - .actual_access:  write_only
        .address_space:  global
        .offset:         96
        .size:           8
        .value_kind:     global_buffer
      - .actual_access:  write_only
        .address_space:  global
        .offset:         104
        .size:           8
        .value_kind:     global_buffer
      - .actual_access:  read_only
        .address_space:  global
        .offset:         112
        .size:           8
        .value_kind:     global_buffer
      - .offset:         120
        .size:           4
        .value_kind:     by_value
      - .address_space:  global
        .offset:         128
        .size:           8
        .value_kind:     global_buffer
      - .address_space:  global
        .offset:         136
        .size:           8
        .value_kind:     global_buffer
      - .offset:         144
        .size:           4
        .value_kind:     hidden_block_count_x
      - .offset:         148
        .size:           4
        .value_kind:     hidden_block_count_y
      - .offset:         152
        .size:           4
        .value_kind:     hidden_block_count_z
      - .offset:         156
        .size:           2
        .value_kind:     hidden_group_size_x
      - .offset:         158
        .size:           2
        .value_kind:     hidden_group_size_y
      - .offset:         160
        .size:           2
        .value_kind:     hidden_group_size_z
      - .offset:         162
        .size:           2
        .value_kind:     hidden_remainder_x
      - .offset:         164
        .size:           2
        .value_kind:     hidden_remainder_y
      - .offset:         166
        .size:           2
        .value_kind:     hidden_remainder_z
      - .offset:         184
        .size:           8
        .value_kind:     hidden_global_offset_x
      - .offset:         192
        .size:           8
        .value_kind:     hidden_global_offset_y
      - .offset:         200
        .size:           8
        .value_kind:     hidden_global_offset_z
      - .offset:         208
        .size:           2
        .value_kind:     hidden_grid_dims
    .group_segment_fixed_size: 8192
    .kernarg_segment_align: 8
    .kernarg_segment_size: 400
    .language:       OpenCL C
    .language_version:
      - 2
      - 0
    .max_flat_workgroup_size: 256
    .name:           _Z39paged_attention_ll4mi_QKV_mfma16_kernelI14__hip_bfloat16S0_LN4vllm18Fp8KVCacheDataTypeE0EhLi32ELi128ELi256ELb0ELi7EEvPKT_PKT0_S8_ifPKiSA_SA_iPKfiiiPfSD_PS3_PT2_iSC_SC_
    .private_segment_fixed_size: 0
    .sgpr_count:     48
    .sgpr_spill_count: 0
    .symbol:         _Z39paged_attention_ll4mi_QKV_mfma16_kernelI14__hip_bfloat16S0_LN4vllm18Fp8KVCacheDataTypeE0EhLi32ELi128ELi256ELb0ELi7EEvPKT_PKT0_S8_ifPKiSA_SA_iPKfiiiPfSD_PS3_PT2_iSC_SC_.kd
    .uniform_work_group_size: 1
    .uses_dynamic_stack: false
    .vgpr_count:     96
    .vgpr_spill_count: 0
    .wavefront_size: 64
  - .agpr_count:     0
    .args:
      - .actual_access:  read_only
        .address_space:  global
        .offset:         0
        .size:           8
        .value_kind:     global_buffer
      - .actual_access:  read_only
        .address_space:  global
        .offset:         8
        .size:           8
        .value_kind:     global_buffer
      - .actual_access:  read_only
        .address_space:  global
        .offset:         16
        .size:           8
        .value_kind:     global_buffer
      - .offset:         24
        .size:           4
        .value_kind:     by_value
      - .offset:         28
        .size:           4
        .value_kind:     by_value
      - .actual_access:  read_only
        .address_space:  global
        .offset:         32
        .size:           8
        .value_kind:     global_buffer
      - .actual_access:  read_only
        .address_space:  global
        .offset:         40
        .size:           8
        .value_kind:     global_buffer
      - .actual_access:  read_only
        .address_space:  global
        .offset:         48
        .size:           8
        .value_kind:     global_buffer
      - .offset:         56
        .size:           4
        .value_kind:     by_value
      - .actual_access:  read_only
        .address_space:  global
        .offset:         64
        .size:           8
        .value_kind:     global_buffer
      - .offset:         72
        .size:           4
        .value_kind:     by_value
      - .offset:         76
        .size:           4
        .value_kind:     by_value
      - .offset:         80
        .size:           4
        .value_kind:     by_value
      - .actual_access:  write_only
        .address_space:  global
        .offset:         88
        .size:           8
        .value_kind:     global_buffer
      - .actual_access:  write_only
        .address_space:  global
        .offset:         96
        .size:           8
        .value_kind:     global_buffer
      - .actual_access:  write_only
        .address_space:  global
        .offset:         104
        .size:           8
        .value_kind:     global_buffer
      - .actual_access:  read_only
        .address_space:  global
        .offset:         112
        .size:           8
        .value_kind:     global_buffer
      - .offset:         120
        .size:           4
        .value_kind:     by_value
      - .address_space:  global
        .offset:         128
        .size:           8
        .value_kind:     global_buffer
      - .address_space:  global
        .offset:         136
        .size:           8
        .value_kind:     global_buffer
      - .offset:         144
        .size:           4
        .value_kind:     hidden_block_count_x
      - .offset:         148
        .size:           4
        .value_kind:     hidden_block_count_y
      - .offset:         152
        .size:           4
        .value_kind:     hidden_block_count_z
      - .offset:         156
        .size:           2
        .value_kind:     hidden_group_size_x
      - .offset:         158
        .size:           2
        .value_kind:     hidden_group_size_y
      - .offset:         160
        .size:           2
        .value_kind:     hidden_group_size_z
      - .offset:         162
        .size:           2
        .value_kind:     hidden_remainder_x
      - .offset:         164
        .size:           2
        .value_kind:     hidden_remainder_y
      - .offset:         166
        .size:           2
        .value_kind:     hidden_remainder_z
      - .offset:         184
        .size:           8
        .value_kind:     hidden_global_offset_x
      - .offset:         192
        .size:           8
        .value_kind:     hidden_global_offset_y
      - .offset:         200
        .size:           8
        .value_kind:     hidden_global_offset_z
      - .offset:         208
        .size:           2
        .value_kind:     hidden_grid_dims
    .group_segment_fixed_size: 8192
    .kernarg_segment_align: 8
    .kernarg_segment_size: 400
    .language:       OpenCL C
    .language_version:
      - 2
      - 0
    .max_flat_workgroup_size: 256
    .name:           _Z39paged_attention_ll4mi_QKV_mfma16_kernelI14__hip_bfloat16S0_LN4vllm18Fp8KVCacheDataTypeE0EhLi32ELi128ELi256ELb0ELi8EEvPKT_PKT0_S8_ifPKiSA_SA_iPKfiiiPfSD_PS3_PT2_iSC_SC_
    .private_segment_fixed_size: 0
    .sgpr_count:     47
    .sgpr_spill_count: 0
    .symbol:         _Z39paged_attention_ll4mi_QKV_mfma16_kernelI14__hip_bfloat16S0_LN4vllm18Fp8KVCacheDataTypeE0EhLi32ELi128ELi256ELb0ELi8EEvPKT_PKT0_S8_ifPKiSA_SA_iPKfiiiPfSD_PS3_PT2_iSC_SC_.kd
    .uniform_work_group_size: 1
    .uses_dynamic_stack: false
    .vgpr_count:     96
    .vgpr_spill_count: 0
    .wavefront_size: 64
  - .agpr_count:     0
    .args:
      - .actual_access:  read_only
        .address_space:  global
        .offset:         0
        .size:           8
        .value_kind:     global_buffer
      - .actual_access:  read_only
        .address_space:  global
        .offset:         8
        .size:           8
        .value_kind:     global_buffer
      - .actual_access:  read_only
        .address_space:  global
        .offset:         16
        .size:           8
        .value_kind:     global_buffer
      - .offset:         24
        .size:           4
        .value_kind:     by_value
      - .offset:         28
        .size:           4
        .value_kind:     by_value
      - .actual_access:  read_only
        .address_space:  global
        .offset:         32
        .size:           8
        .value_kind:     global_buffer
      - .actual_access:  read_only
        .address_space:  global
        .offset:         40
        .size:           8
        .value_kind:     global_buffer
      - .actual_access:  read_only
        .address_space:  global
        .offset:         48
        .size:           8
        .value_kind:     global_buffer
      - .offset:         56
        .size:           4
        .value_kind:     by_value
      - .actual_access:  read_only
        .address_space:  global
        .offset:         64
        .size:           8
        .value_kind:     global_buffer
      - .offset:         72
        .size:           4
        .value_kind:     by_value
      - .offset:         76
        .size:           4
        .value_kind:     by_value
      - .offset:         80
        .size:           4
        .value_kind:     by_value
      - .actual_access:  write_only
        .address_space:  global
        .offset:         88
        .size:           8
        .value_kind:     global_buffer
      - .actual_access:  write_only
        .address_space:  global
        .offset:         96
        .size:           8
        .value_kind:     global_buffer
      - .actual_access:  write_only
        .address_space:  global
        .offset:         104
        .size:           8
        .value_kind:     global_buffer
      - .actual_access:  read_only
        .address_space:  global
        .offset:         112
        .size:           8
        .value_kind:     global_buffer
      - .offset:         120
        .size:           4
        .value_kind:     by_value
      - .address_space:  global
        .offset:         128
        .size:           8
        .value_kind:     global_buffer
      - .address_space:  global
        .offset:         136
        .size:           8
        .value_kind:     global_buffer
      - .offset:         144
        .size:           4
        .value_kind:     hidden_block_count_x
      - .offset:         148
        .size:           4
        .value_kind:     hidden_block_count_y
      - .offset:         152
        .size:           4
        .value_kind:     hidden_block_count_z
      - .offset:         156
        .size:           2
        .value_kind:     hidden_group_size_x
      - .offset:         158
        .size:           2
        .value_kind:     hidden_group_size_y
      - .offset:         160
        .size:           2
        .value_kind:     hidden_group_size_z
      - .offset:         162
        .size:           2
        .value_kind:     hidden_remainder_x
      - .offset:         164
        .size:           2
        .value_kind:     hidden_remainder_y
      - .offset:         166
        .size:           2
        .value_kind:     hidden_remainder_z
      - .offset:         184
        .size:           8
        .value_kind:     hidden_global_offset_x
      - .offset:         192
        .size:           8
        .value_kind:     hidden_global_offset_y
      - .offset:         200
        .size:           8
        .value_kind:     hidden_global_offset_z
      - .offset:         208
        .size:           2
        .value_kind:     hidden_grid_dims
    .group_segment_fixed_size: 8192
    .kernarg_segment_align: 8
    .kernarg_segment_size: 400
    .language:       OpenCL C
    .language_version:
      - 2
      - 0
    .max_flat_workgroup_size: 256
    .name:           _Z39paged_attention_ll4mi_QKV_mfma16_kernelI14__hip_bfloat16S0_LN4vllm18Fp8KVCacheDataTypeE0EhLi32ELi128ELi256ELb0ELi9EEvPKT_PKT0_S8_ifPKiSA_SA_iPKfiiiPfSD_PS3_PT2_iSC_SC_
    .private_segment_fixed_size: 0
    .sgpr_count:     48
    .sgpr_spill_count: 0
    .symbol:         _Z39paged_attention_ll4mi_QKV_mfma16_kernelI14__hip_bfloat16S0_LN4vllm18Fp8KVCacheDataTypeE0EhLi32ELi128ELi256ELb0ELi9EEvPKT_PKT0_S8_ifPKiSA_SA_iPKfiiiPfSD_PS3_PT2_iSC_SC_.kd
    .uniform_work_group_size: 1
    .uses_dynamic_stack: false
    .vgpr_count:     96
    .vgpr_spill_count: 0
    .wavefront_size: 64
  - .agpr_count:     0
    .args:
      - .actual_access:  read_only
        .address_space:  global
        .offset:         0
        .size:           8
        .value_kind:     global_buffer
      - .actual_access:  read_only
        .address_space:  global
        .offset:         8
        .size:           8
        .value_kind:     global_buffer
      - .actual_access:  read_only
        .address_space:  global
        .offset:         16
        .size:           8
        .value_kind:     global_buffer
      - .offset:         24
        .size:           4
        .value_kind:     by_value
      - .offset:         28
        .size:           4
        .value_kind:     by_value
      - .actual_access:  read_only
        .address_space:  global
        .offset:         32
        .size:           8
        .value_kind:     global_buffer
      - .actual_access:  read_only
        .address_space:  global
        .offset:         40
        .size:           8
        .value_kind:     global_buffer
      - .actual_access:  read_only
        .address_space:  global
        .offset:         48
        .size:           8
        .value_kind:     global_buffer
      - .offset:         56
        .size:           4
        .value_kind:     by_value
      - .actual_access:  read_only
        .address_space:  global
        .offset:         64
        .size:           8
        .value_kind:     global_buffer
      - .offset:         72
        .size:           4
        .value_kind:     by_value
      - .offset:         76
        .size:           4
        .value_kind:     by_value
      - .offset:         80
        .size:           4
        .value_kind:     by_value
      - .actual_access:  write_only
        .address_space:  global
        .offset:         88
        .size:           8
        .value_kind:     global_buffer
      - .actual_access:  write_only
        .address_space:  global
        .offset:         96
        .size:           8
        .value_kind:     global_buffer
      - .actual_access:  write_only
        .address_space:  global
        .offset:         104
        .size:           8
        .value_kind:     global_buffer
      - .actual_access:  read_only
        .address_space:  global
        .offset:         112
        .size:           8
        .value_kind:     global_buffer
      - .offset:         120
        .size:           4
        .value_kind:     by_value
      - .address_space:  global
        .offset:         128
        .size:           8
        .value_kind:     global_buffer
      - .address_space:  global
        .offset:         136
        .size:           8
        .value_kind:     global_buffer
      - .offset:         144
        .size:           4
        .value_kind:     hidden_block_count_x
      - .offset:         148
        .size:           4
        .value_kind:     hidden_block_count_y
      - .offset:         152
        .size:           4
        .value_kind:     hidden_block_count_z
      - .offset:         156
        .size:           2
        .value_kind:     hidden_group_size_x
      - .offset:         158
        .size:           2
        .value_kind:     hidden_group_size_y
      - .offset:         160
        .size:           2
        .value_kind:     hidden_group_size_z
      - .offset:         162
        .size:           2
        .value_kind:     hidden_remainder_x
      - .offset:         164
        .size:           2
        .value_kind:     hidden_remainder_y
      - .offset:         166
        .size:           2
        .value_kind:     hidden_remainder_z
      - .offset:         184
        .size:           8
        .value_kind:     hidden_global_offset_x
      - .offset:         192
        .size:           8
        .value_kind:     hidden_global_offset_y
      - .offset:         200
        .size:           8
        .value_kind:     hidden_global_offset_z
      - .offset:         208
        .size:           2
        .value_kind:     hidden_grid_dims
    .group_segment_fixed_size: 8192
    .kernarg_segment_align: 8
    .kernarg_segment_size: 400
    .language:       OpenCL C
    .language_version:
      - 2
      - 0
    .max_flat_workgroup_size: 256
    .name:           _Z39paged_attention_ll4mi_QKV_mfma16_kernelI14__hip_bfloat16S0_LN4vllm18Fp8KVCacheDataTypeE0EhLi32ELi128ELi256ELb0ELi10EEvPKT_PKT0_S8_ifPKiSA_SA_iPKfiiiPfSD_PS3_PT2_iSC_SC_
    .private_segment_fixed_size: 0
    .sgpr_count:     48
    .sgpr_spill_count: 0
    .symbol:         _Z39paged_attention_ll4mi_QKV_mfma16_kernelI14__hip_bfloat16S0_LN4vllm18Fp8KVCacheDataTypeE0EhLi32ELi128ELi256ELb0ELi10EEvPKT_PKT0_S8_ifPKiSA_SA_iPKfiiiPfSD_PS3_PT2_iSC_SC_.kd
    .uniform_work_group_size: 1
    .uses_dynamic_stack: false
    .vgpr_count:     96
    .vgpr_spill_count: 0
    .wavefront_size: 64
  - .agpr_count:     0
    .args:
      - .actual_access:  read_only
        .address_space:  global
        .offset:         0
        .size:           8
        .value_kind:     global_buffer
      - .actual_access:  read_only
        .address_space:  global
        .offset:         8
        .size:           8
        .value_kind:     global_buffer
      - .actual_access:  read_only
        .address_space:  global
        .offset:         16
        .size:           8
        .value_kind:     global_buffer
      - .offset:         24
        .size:           4
        .value_kind:     by_value
      - .offset:         28
        .size:           4
        .value_kind:     by_value
      - .actual_access:  read_only
        .address_space:  global
        .offset:         32
        .size:           8
        .value_kind:     global_buffer
      - .actual_access:  read_only
        .address_space:  global
        .offset:         40
        .size:           8
        .value_kind:     global_buffer
      - .actual_access:  read_only
        .address_space:  global
        .offset:         48
        .size:           8
        .value_kind:     global_buffer
      - .offset:         56
        .size:           4
        .value_kind:     by_value
      - .actual_access:  read_only
        .address_space:  global
        .offset:         64
        .size:           8
        .value_kind:     global_buffer
      - .offset:         72
        .size:           4
        .value_kind:     by_value
      - .offset:         76
        .size:           4
        .value_kind:     by_value
      - .offset:         80
        .size:           4
        .value_kind:     by_value
      - .actual_access:  write_only
        .address_space:  global
        .offset:         88
        .size:           8
        .value_kind:     global_buffer
      - .actual_access:  write_only
        .address_space:  global
        .offset:         96
        .size:           8
        .value_kind:     global_buffer
      - .actual_access:  write_only
        .address_space:  global
        .offset:         104
        .size:           8
        .value_kind:     global_buffer
      - .actual_access:  read_only
        .address_space:  global
        .offset:         112
        .size:           8
        .value_kind:     global_buffer
      - .offset:         120
        .size:           4
        .value_kind:     by_value
      - .address_space:  global
        .offset:         128
        .size:           8
        .value_kind:     global_buffer
      - .address_space:  global
        .offset:         136
        .size:           8
        .value_kind:     global_buffer
      - .offset:         144
        .size:           4
        .value_kind:     hidden_block_count_x
      - .offset:         148
        .size:           4
        .value_kind:     hidden_block_count_y
      - .offset:         152
        .size:           4
        .value_kind:     hidden_block_count_z
      - .offset:         156
        .size:           2
        .value_kind:     hidden_group_size_x
      - .offset:         158
        .size:           2
        .value_kind:     hidden_group_size_y
      - .offset:         160
        .size:           2
        .value_kind:     hidden_group_size_z
      - .offset:         162
        .size:           2
        .value_kind:     hidden_remainder_x
      - .offset:         164
        .size:           2
        .value_kind:     hidden_remainder_y
      - .offset:         166
        .size:           2
        .value_kind:     hidden_remainder_z
      - .offset:         184
        .size:           8
        .value_kind:     hidden_global_offset_x
      - .offset:         192
        .size:           8
        .value_kind:     hidden_global_offset_y
      - .offset:         200
        .size:           8
        .value_kind:     hidden_global_offset_z
      - .offset:         208
        .size:           2
        .value_kind:     hidden_grid_dims
    .group_segment_fixed_size: 8192
    .kernarg_segment_align: 8
    .kernarg_segment_size: 400
    .language:       OpenCL C
    .language_version:
      - 2
      - 0
    .max_flat_workgroup_size: 256
    .name:           _Z39paged_attention_ll4mi_QKV_mfma16_kernelI14__hip_bfloat16S0_LN4vllm18Fp8KVCacheDataTypeE0EhLi32ELi128ELi256ELb0ELi11EEvPKT_PKT0_S8_ifPKiSA_SA_iPKfiiiPfSD_PS3_PT2_iSC_SC_
    .private_segment_fixed_size: 0
    .sgpr_count:     48
    .sgpr_spill_count: 0
    .symbol:         _Z39paged_attention_ll4mi_QKV_mfma16_kernelI14__hip_bfloat16S0_LN4vllm18Fp8KVCacheDataTypeE0EhLi32ELi128ELi256ELb0ELi11EEvPKT_PKT0_S8_ifPKiSA_SA_iPKfiiiPfSD_PS3_PT2_iSC_SC_.kd
    .uniform_work_group_size: 1
    .uses_dynamic_stack: false
    .vgpr_count:     96
    .vgpr_spill_count: 0
    .wavefront_size: 64
  - .agpr_count:     0
    .args:
      - .actual_access:  read_only
        .address_space:  global
        .offset:         0
        .size:           8
        .value_kind:     global_buffer
      - .actual_access:  read_only
        .address_space:  global
        .offset:         8
        .size:           8
        .value_kind:     global_buffer
      - .actual_access:  read_only
        .address_space:  global
        .offset:         16
        .size:           8
        .value_kind:     global_buffer
      - .offset:         24
        .size:           4
        .value_kind:     by_value
      - .offset:         28
        .size:           4
        .value_kind:     by_value
      - .actual_access:  read_only
        .address_space:  global
        .offset:         32
        .size:           8
        .value_kind:     global_buffer
      - .actual_access:  read_only
        .address_space:  global
        .offset:         40
        .size:           8
        .value_kind:     global_buffer
      - .actual_access:  read_only
        .address_space:  global
        .offset:         48
        .size:           8
        .value_kind:     global_buffer
      - .offset:         56
        .size:           4
        .value_kind:     by_value
      - .actual_access:  read_only
        .address_space:  global
        .offset:         64
        .size:           8
        .value_kind:     global_buffer
      - .offset:         72
        .size:           4
        .value_kind:     by_value
      - .offset:         76
        .size:           4
        .value_kind:     by_value
      - .offset:         80
        .size:           4
        .value_kind:     by_value
      - .actual_access:  write_only
        .address_space:  global
        .offset:         88
        .size:           8
        .value_kind:     global_buffer
      - .actual_access:  write_only
        .address_space:  global
        .offset:         96
        .size:           8
        .value_kind:     global_buffer
      - .actual_access:  write_only
        .address_space:  global
        .offset:         104
        .size:           8
        .value_kind:     global_buffer
      - .actual_access:  read_only
        .address_space:  global
        .offset:         112
        .size:           8
        .value_kind:     global_buffer
      - .offset:         120
        .size:           4
        .value_kind:     by_value
      - .address_space:  global
        .offset:         128
        .size:           8
        .value_kind:     global_buffer
      - .address_space:  global
        .offset:         136
        .size:           8
        .value_kind:     global_buffer
      - .offset:         144
        .size:           4
        .value_kind:     hidden_block_count_x
      - .offset:         148
        .size:           4
        .value_kind:     hidden_block_count_y
      - .offset:         152
        .size:           4
        .value_kind:     hidden_block_count_z
      - .offset:         156
        .size:           2
        .value_kind:     hidden_group_size_x
      - .offset:         158
        .size:           2
        .value_kind:     hidden_group_size_y
      - .offset:         160
        .size:           2
        .value_kind:     hidden_group_size_z
      - .offset:         162
        .size:           2
        .value_kind:     hidden_remainder_x
      - .offset:         164
        .size:           2
        .value_kind:     hidden_remainder_y
      - .offset:         166
        .size:           2
        .value_kind:     hidden_remainder_z
      - .offset:         184
        .size:           8
        .value_kind:     hidden_global_offset_x
      - .offset:         192
        .size:           8
        .value_kind:     hidden_global_offset_y
      - .offset:         200
        .size:           8
        .value_kind:     hidden_global_offset_z
      - .offset:         208
        .size:           2
        .value_kind:     hidden_grid_dims
    .group_segment_fixed_size: 8192
    .kernarg_segment_align: 8
    .kernarg_segment_size: 400
    .language:       OpenCL C
    .language_version:
      - 2
      - 0
    .max_flat_workgroup_size: 256
    .name:           _Z39paged_attention_ll4mi_QKV_mfma16_kernelI14__hip_bfloat16S0_LN4vllm18Fp8KVCacheDataTypeE0EhLi32ELi128ELi256ELb0ELi12EEvPKT_PKT0_S8_ifPKiSA_SA_iPKfiiiPfSD_PS3_PT2_iSC_SC_
    .private_segment_fixed_size: 0
    .sgpr_count:     48
    .sgpr_spill_count: 0
    .symbol:         _Z39paged_attention_ll4mi_QKV_mfma16_kernelI14__hip_bfloat16S0_LN4vllm18Fp8KVCacheDataTypeE0EhLi32ELi128ELi256ELb0ELi12EEvPKT_PKT0_S8_ifPKiSA_SA_iPKfiiiPfSD_PS3_PT2_iSC_SC_.kd
    .uniform_work_group_size: 1
    .uses_dynamic_stack: false
    .vgpr_count:     96
    .vgpr_spill_count: 0
    .wavefront_size: 64
  - .agpr_count:     0
    .args:
      - .actual_access:  read_only
        .address_space:  global
        .offset:         0
        .size:           8
        .value_kind:     global_buffer
      - .actual_access:  read_only
        .address_space:  global
        .offset:         8
        .size:           8
        .value_kind:     global_buffer
      - .actual_access:  read_only
        .address_space:  global
        .offset:         16
        .size:           8
        .value_kind:     global_buffer
      - .offset:         24
        .size:           4
        .value_kind:     by_value
      - .offset:         28
        .size:           4
        .value_kind:     by_value
      - .actual_access:  read_only
        .address_space:  global
        .offset:         32
        .size:           8
        .value_kind:     global_buffer
      - .actual_access:  read_only
        .address_space:  global
        .offset:         40
        .size:           8
        .value_kind:     global_buffer
      - .actual_access:  read_only
        .address_space:  global
        .offset:         48
        .size:           8
        .value_kind:     global_buffer
      - .offset:         56
        .size:           4
        .value_kind:     by_value
      - .actual_access:  read_only
        .address_space:  global
        .offset:         64
        .size:           8
        .value_kind:     global_buffer
      - .offset:         72
        .size:           4
        .value_kind:     by_value
      - .offset:         76
        .size:           4
        .value_kind:     by_value
      - .offset:         80
        .size:           4
        .value_kind:     by_value
      - .actual_access:  write_only
        .address_space:  global
        .offset:         88
        .size:           8
        .value_kind:     global_buffer
      - .actual_access:  write_only
        .address_space:  global
        .offset:         96
        .size:           8
        .value_kind:     global_buffer
      - .actual_access:  write_only
        .address_space:  global
        .offset:         104
        .size:           8
        .value_kind:     global_buffer
      - .actual_access:  read_only
        .address_space:  global
        .offset:         112
        .size:           8
        .value_kind:     global_buffer
      - .offset:         120
        .size:           4
        .value_kind:     by_value
      - .address_space:  global
        .offset:         128
        .size:           8
        .value_kind:     global_buffer
      - .address_space:  global
        .offset:         136
        .size:           8
        .value_kind:     global_buffer
      - .offset:         144
        .size:           4
        .value_kind:     hidden_block_count_x
      - .offset:         148
        .size:           4
        .value_kind:     hidden_block_count_y
      - .offset:         152
        .size:           4
        .value_kind:     hidden_block_count_z
      - .offset:         156
        .size:           2
        .value_kind:     hidden_group_size_x
      - .offset:         158
        .size:           2
        .value_kind:     hidden_group_size_y
      - .offset:         160
        .size:           2
        .value_kind:     hidden_group_size_z
      - .offset:         162
        .size:           2
        .value_kind:     hidden_remainder_x
      - .offset:         164
        .size:           2
        .value_kind:     hidden_remainder_y
      - .offset:         166
        .size:           2
        .value_kind:     hidden_remainder_z
      - .offset:         184
        .size:           8
        .value_kind:     hidden_global_offset_x
      - .offset:         192
        .size:           8
        .value_kind:     hidden_global_offset_y
      - .offset:         200
        .size:           8
        .value_kind:     hidden_global_offset_z
      - .offset:         208
        .size:           2
        .value_kind:     hidden_grid_dims
    .group_segment_fixed_size: 8192
    .kernarg_segment_align: 8
    .kernarg_segment_size: 400
    .language:       OpenCL C
    .language_version:
      - 2
      - 0
    .max_flat_workgroup_size: 256
    .name:           _Z39paged_attention_ll4mi_QKV_mfma16_kernelI14__hip_bfloat16S0_LN4vllm18Fp8KVCacheDataTypeE0EhLi32ELi128ELi256ELb0ELi13EEvPKT_PKT0_S8_ifPKiSA_SA_iPKfiiiPfSD_PS3_PT2_iSC_SC_
    .private_segment_fixed_size: 0
    .sgpr_count:     48
    .sgpr_spill_count: 0
    .symbol:         _Z39paged_attention_ll4mi_QKV_mfma16_kernelI14__hip_bfloat16S0_LN4vllm18Fp8KVCacheDataTypeE0EhLi32ELi128ELi256ELb0ELi13EEvPKT_PKT0_S8_ifPKiSA_SA_iPKfiiiPfSD_PS3_PT2_iSC_SC_.kd
    .uniform_work_group_size: 1
    .uses_dynamic_stack: false
    .vgpr_count:     96
    .vgpr_spill_count: 0
    .wavefront_size: 64
  - .agpr_count:     0
    .args:
      - .actual_access:  read_only
        .address_space:  global
        .offset:         0
        .size:           8
        .value_kind:     global_buffer
      - .actual_access:  read_only
        .address_space:  global
        .offset:         8
        .size:           8
        .value_kind:     global_buffer
      - .actual_access:  read_only
        .address_space:  global
        .offset:         16
        .size:           8
        .value_kind:     global_buffer
      - .offset:         24
        .size:           4
        .value_kind:     by_value
      - .offset:         28
        .size:           4
        .value_kind:     by_value
      - .actual_access:  read_only
        .address_space:  global
        .offset:         32
        .size:           8
        .value_kind:     global_buffer
      - .actual_access:  read_only
        .address_space:  global
        .offset:         40
        .size:           8
        .value_kind:     global_buffer
      - .actual_access:  read_only
        .address_space:  global
        .offset:         48
        .size:           8
        .value_kind:     global_buffer
      - .offset:         56
        .size:           4
        .value_kind:     by_value
      - .actual_access:  read_only
        .address_space:  global
        .offset:         64
        .size:           8
        .value_kind:     global_buffer
      - .offset:         72
        .size:           4
        .value_kind:     by_value
      - .offset:         76
        .size:           4
        .value_kind:     by_value
      - .offset:         80
        .size:           4
        .value_kind:     by_value
      - .actual_access:  write_only
        .address_space:  global
        .offset:         88
        .size:           8
        .value_kind:     global_buffer
      - .actual_access:  write_only
        .address_space:  global
        .offset:         96
        .size:           8
        .value_kind:     global_buffer
      - .actual_access:  write_only
        .address_space:  global
        .offset:         104
        .size:           8
        .value_kind:     global_buffer
      - .actual_access:  read_only
        .address_space:  global
        .offset:         112
        .size:           8
        .value_kind:     global_buffer
      - .offset:         120
        .size:           4
        .value_kind:     by_value
      - .address_space:  global
        .offset:         128
        .size:           8
        .value_kind:     global_buffer
      - .address_space:  global
        .offset:         136
        .size:           8
        .value_kind:     global_buffer
      - .offset:         144
        .size:           4
        .value_kind:     hidden_block_count_x
      - .offset:         148
        .size:           4
        .value_kind:     hidden_block_count_y
      - .offset:         152
        .size:           4
        .value_kind:     hidden_block_count_z
      - .offset:         156
        .size:           2
        .value_kind:     hidden_group_size_x
      - .offset:         158
        .size:           2
        .value_kind:     hidden_group_size_y
      - .offset:         160
        .size:           2
        .value_kind:     hidden_group_size_z
      - .offset:         162
        .size:           2
        .value_kind:     hidden_remainder_x
      - .offset:         164
        .size:           2
        .value_kind:     hidden_remainder_y
      - .offset:         166
        .size:           2
        .value_kind:     hidden_remainder_z
      - .offset:         184
        .size:           8
        .value_kind:     hidden_global_offset_x
      - .offset:         192
        .size:           8
        .value_kind:     hidden_global_offset_y
      - .offset:         200
        .size:           8
        .value_kind:     hidden_global_offset_z
      - .offset:         208
        .size:           2
        .value_kind:     hidden_grid_dims
    .group_segment_fixed_size: 8192
    .kernarg_segment_align: 8
    .kernarg_segment_size: 400
    .language:       OpenCL C
    .language_version:
      - 2
      - 0
    .max_flat_workgroup_size: 256
    .name:           _Z39paged_attention_ll4mi_QKV_mfma16_kernelI14__hip_bfloat16S0_LN4vllm18Fp8KVCacheDataTypeE0EhLi32ELi128ELi256ELb0ELi14EEvPKT_PKT0_S8_ifPKiSA_SA_iPKfiiiPfSD_PS3_PT2_iSC_SC_
    .private_segment_fixed_size: 0
    .sgpr_count:     48
    .sgpr_spill_count: 0
    .symbol:         _Z39paged_attention_ll4mi_QKV_mfma16_kernelI14__hip_bfloat16S0_LN4vllm18Fp8KVCacheDataTypeE0EhLi32ELi128ELi256ELb0ELi14EEvPKT_PKT0_S8_ifPKiSA_SA_iPKfiiiPfSD_PS3_PT2_iSC_SC_.kd
    .uniform_work_group_size: 1
    .uses_dynamic_stack: false
    .vgpr_count:     96
    .vgpr_spill_count: 0
    .wavefront_size: 64
  - .agpr_count:     0
    .args:
      - .actual_access:  read_only
        .address_space:  global
        .offset:         0
        .size:           8
        .value_kind:     global_buffer
      - .actual_access:  read_only
        .address_space:  global
        .offset:         8
        .size:           8
        .value_kind:     global_buffer
      - .actual_access:  read_only
        .address_space:  global
        .offset:         16
        .size:           8
        .value_kind:     global_buffer
      - .offset:         24
        .size:           4
        .value_kind:     by_value
      - .offset:         28
        .size:           4
        .value_kind:     by_value
      - .actual_access:  read_only
        .address_space:  global
        .offset:         32
        .size:           8
        .value_kind:     global_buffer
      - .actual_access:  read_only
        .address_space:  global
        .offset:         40
        .size:           8
        .value_kind:     global_buffer
      - .actual_access:  read_only
        .address_space:  global
        .offset:         48
        .size:           8
        .value_kind:     global_buffer
      - .offset:         56
        .size:           4
        .value_kind:     by_value
      - .actual_access:  read_only
        .address_space:  global
        .offset:         64
        .size:           8
        .value_kind:     global_buffer
      - .offset:         72
        .size:           4
        .value_kind:     by_value
      - .offset:         76
        .size:           4
        .value_kind:     by_value
      - .offset:         80
        .size:           4
        .value_kind:     by_value
      - .actual_access:  write_only
        .address_space:  global
        .offset:         88
        .size:           8
        .value_kind:     global_buffer
      - .actual_access:  write_only
        .address_space:  global
        .offset:         96
        .size:           8
        .value_kind:     global_buffer
      - .actual_access:  write_only
        .address_space:  global
        .offset:         104
        .size:           8
        .value_kind:     global_buffer
      - .actual_access:  read_only
        .address_space:  global
        .offset:         112
        .size:           8
        .value_kind:     global_buffer
      - .offset:         120
        .size:           4
        .value_kind:     by_value
      - .address_space:  global
        .offset:         128
        .size:           8
        .value_kind:     global_buffer
      - .address_space:  global
        .offset:         136
        .size:           8
        .value_kind:     global_buffer
      - .offset:         144
        .size:           4
        .value_kind:     hidden_block_count_x
      - .offset:         148
        .size:           4
        .value_kind:     hidden_block_count_y
      - .offset:         152
        .size:           4
        .value_kind:     hidden_block_count_z
      - .offset:         156
        .size:           2
        .value_kind:     hidden_group_size_x
      - .offset:         158
        .size:           2
        .value_kind:     hidden_group_size_y
      - .offset:         160
        .size:           2
        .value_kind:     hidden_group_size_z
      - .offset:         162
        .size:           2
        .value_kind:     hidden_remainder_x
      - .offset:         164
        .size:           2
        .value_kind:     hidden_remainder_y
      - .offset:         166
        .size:           2
        .value_kind:     hidden_remainder_z
      - .offset:         184
        .size:           8
        .value_kind:     hidden_global_offset_x
      - .offset:         192
        .size:           8
        .value_kind:     hidden_global_offset_y
      - .offset:         200
        .size:           8
        .value_kind:     hidden_global_offset_z
      - .offset:         208
        .size:           2
        .value_kind:     hidden_grid_dims
    .group_segment_fixed_size: 8192
    .kernarg_segment_align: 8
    .kernarg_segment_size: 400
    .language:       OpenCL C
    .language_version:
      - 2
      - 0
    .max_flat_workgroup_size: 256
    .name:           _Z39paged_attention_ll4mi_QKV_mfma16_kernelI14__hip_bfloat16S0_LN4vllm18Fp8KVCacheDataTypeE0EhLi32ELi128ELi256ELb0ELi15EEvPKT_PKT0_S8_ifPKiSA_SA_iPKfiiiPfSD_PS3_PT2_iSC_SC_
    .private_segment_fixed_size: 12
    .sgpr_count:     48
    .sgpr_spill_count: 0
    .symbol:         _Z39paged_attention_ll4mi_QKV_mfma16_kernelI14__hip_bfloat16S0_LN4vllm18Fp8KVCacheDataTypeE0EhLi32ELi128ELi256ELb0ELi15EEvPKT_PKT0_S8_ifPKiSA_SA_iPKfiiiPfSD_PS3_PT2_iSC_SC_.kd
    .uniform_work_group_size: 1
    .uses_dynamic_stack: false
    .vgpr_count:     96
    .vgpr_spill_count: 2
    .wavefront_size: 64
  - .agpr_count:     0
    .args:
      - .actual_access:  read_only
        .address_space:  global
        .offset:         0
        .size:           8
        .value_kind:     global_buffer
      - .actual_access:  read_only
        .address_space:  global
        .offset:         8
        .size:           8
        .value_kind:     global_buffer
      - .actual_access:  read_only
        .address_space:  global
        .offset:         16
        .size:           8
        .value_kind:     global_buffer
      - .offset:         24
        .size:           4
        .value_kind:     by_value
      - .offset:         28
        .size:           4
        .value_kind:     by_value
      - .actual_access:  read_only
        .address_space:  global
        .offset:         32
        .size:           8
        .value_kind:     global_buffer
      - .actual_access:  read_only
        .address_space:  global
        .offset:         40
        .size:           8
        .value_kind:     global_buffer
      - .actual_access:  read_only
        .address_space:  global
        .offset:         48
        .size:           8
        .value_kind:     global_buffer
      - .offset:         56
        .size:           4
        .value_kind:     by_value
      - .actual_access:  read_only
        .address_space:  global
        .offset:         64
        .size:           8
        .value_kind:     global_buffer
      - .offset:         72
        .size:           4
        .value_kind:     by_value
      - .offset:         76
        .size:           4
        .value_kind:     by_value
      - .offset:         80
        .size:           4
        .value_kind:     by_value
      - .actual_access:  write_only
        .address_space:  global
        .offset:         88
        .size:           8
        .value_kind:     global_buffer
      - .actual_access:  write_only
        .address_space:  global
        .offset:         96
        .size:           8
        .value_kind:     global_buffer
      - .actual_access:  write_only
        .address_space:  global
        .offset:         104
        .size:           8
        .value_kind:     global_buffer
      - .actual_access:  read_only
        .address_space:  global
        .offset:         112
        .size:           8
        .value_kind:     global_buffer
      - .offset:         120
        .size:           4
        .value_kind:     by_value
      - .address_space:  global
        .offset:         128
        .size:           8
        .value_kind:     global_buffer
      - .address_space:  global
        .offset:         136
        .size:           8
        .value_kind:     global_buffer
      - .offset:         144
        .size:           4
        .value_kind:     hidden_block_count_x
      - .offset:         148
        .size:           4
        .value_kind:     hidden_block_count_y
      - .offset:         152
        .size:           4
        .value_kind:     hidden_block_count_z
      - .offset:         156
        .size:           2
        .value_kind:     hidden_group_size_x
      - .offset:         158
        .size:           2
        .value_kind:     hidden_group_size_y
      - .offset:         160
        .size:           2
        .value_kind:     hidden_group_size_z
      - .offset:         162
        .size:           2
        .value_kind:     hidden_remainder_x
      - .offset:         164
        .size:           2
        .value_kind:     hidden_remainder_y
      - .offset:         166
        .size:           2
        .value_kind:     hidden_remainder_z
      - .offset:         184
        .size:           8
        .value_kind:     hidden_global_offset_x
      - .offset:         192
        .size:           8
        .value_kind:     hidden_global_offset_y
      - .offset:         200
        .size:           8
        .value_kind:     hidden_global_offset_z
      - .offset:         208
        .size:           2
        .value_kind:     hidden_grid_dims
    .group_segment_fixed_size: 8192
    .kernarg_segment_align: 8
    .kernarg_segment_size: 400
    .language:       OpenCL C
    .language_version:
      - 2
      - 0
    .max_flat_workgroup_size: 256
    .name:           _Z39paged_attention_ll4mi_QKV_mfma16_kernelI14__hip_bfloat16S0_LN4vllm18Fp8KVCacheDataTypeE0EhLi32ELi128ELi256ELb0ELi16EEvPKT_PKT0_S8_ifPKiSA_SA_iPKfiiiPfSD_PS3_PT2_iSC_SC_
    .private_segment_fixed_size: 16
    .sgpr_count:     47
    .sgpr_spill_count: 0
    .symbol:         _Z39paged_attention_ll4mi_QKV_mfma16_kernelI14__hip_bfloat16S0_LN4vllm18Fp8KVCacheDataTypeE0EhLi32ELi128ELi256ELb0ELi16EEvPKT_PKT0_S8_ifPKiSA_SA_iPKfiiiPfSD_PS3_PT2_iSC_SC_.kd
    .uniform_work_group_size: 1
    .uses_dynamic_stack: false
    .vgpr_count:     96
    .vgpr_spill_count: 3
    .wavefront_size: 64
  - .agpr_count:     0
    .args:
      - .actual_access:  read_only
        .address_space:  global
        .offset:         0
        .size:           8
        .value_kind:     global_buffer
      - .actual_access:  read_only
        .address_space:  global
        .offset:         8
        .size:           8
        .value_kind:     global_buffer
      - .actual_access:  read_only
        .address_space:  global
        .offset:         16
        .size:           8
        .value_kind:     global_buffer
      - .offset:         24
        .size:           4
        .value_kind:     by_value
      - .offset:         28
        .size:           4
        .value_kind:     by_value
      - .actual_access:  read_only
        .address_space:  global
        .offset:         32
        .size:           8
        .value_kind:     global_buffer
      - .actual_access:  read_only
        .address_space:  global
        .offset:         40
        .size:           8
        .value_kind:     global_buffer
      - .actual_access:  read_only
        .address_space:  global
        .offset:         48
        .size:           8
        .value_kind:     global_buffer
      - .offset:         56
        .size:           4
        .value_kind:     by_value
      - .actual_access:  read_only
        .address_space:  global
        .offset:         64
        .size:           8
        .value_kind:     global_buffer
      - .offset:         72
        .size:           4
        .value_kind:     by_value
      - .offset:         76
        .size:           4
        .value_kind:     by_value
      - .offset:         80
        .size:           4
        .value_kind:     by_value
      - .actual_access:  write_only
        .address_space:  global
        .offset:         88
        .size:           8
        .value_kind:     global_buffer
      - .actual_access:  write_only
        .address_space:  global
        .offset:         96
        .size:           8
        .value_kind:     global_buffer
      - .actual_access:  write_only
        .address_space:  global
        .offset:         104
        .size:           8
        .value_kind:     global_buffer
      - .actual_access:  read_only
        .address_space:  global
        .offset:         112
        .size:           8
        .value_kind:     global_buffer
      - .offset:         120
        .size:           4
        .value_kind:     by_value
      - .address_space:  global
        .offset:         128
        .size:           8
        .value_kind:     global_buffer
      - .address_space:  global
        .offset:         136
        .size:           8
        .value_kind:     global_buffer
      - .offset:         144
        .size:           4
        .value_kind:     hidden_block_count_x
      - .offset:         148
        .size:           4
        .value_kind:     hidden_block_count_y
      - .offset:         152
        .size:           4
        .value_kind:     hidden_block_count_z
      - .offset:         156
        .size:           2
        .value_kind:     hidden_group_size_x
      - .offset:         158
        .size:           2
        .value_kind:     hidden_group_size_y
      - .offset:         160
        .size:           2
        .value_kind:     hidden_group_size_z
      - .offset:         162
        .size:           2
        .value_kind:     hidden_remainder_x
      - .offset:         164
        .size:           2
        .value_kind:     hidden_remainder_y
      - .offset:         166
        .size:           2
        .value_kind:     hidden_remainder_z
      - .offset:         184
        .size:           8
        .value_kind:     hidden_global_offset_x
      - .offset:         192
        .size:           8
        .value_kind:     hidden_global_offset_y
      - .offset:         200
        .size:           8
        .value_kind:     hidden_global_offset_z
      - .offset:         208
        .size:           2
        .value_kind:     hidden_grid_dims
    .group_segment_fixed_size: 8192
    .kernarg_segment_align: 8
    .kernarg_segment_size: 400
    .language:       OpenCL C
    .language_version:
      - 2
      - 0
    .max_flat_workgroup_size: 256
    .name:           _Z39paged_attention_ll4mi_QKV_mfma16_kernelI14__hip_bfloat16S0_LN4vllm18Fp8KVCacheDataTypeE0EhLi32ELi128ELi256ELb0ELi1EEvPKT_PKT0_S8_ifPKiSA_SA_iPKfiiiPfSD_PS3_PT2_iSC_SC_
    .private_segment_fixed_size: 28
    .sgpr_count:     46
    .sgpr_spill_count: 0
    .symbol:         _Z39paged_attention_ll4mi_QKV_mfma16_kernelI14__hip_bfloat16S0_LN4vllm18Fp8KVCacheDataTypeE0EhLi32ELi128ELi256ELb0ELi1EEvPKT_PKT0_S8_ifPKiSA_SA_iPKfiiiPfSD_PS3_PT2_iSC_SC_.kd
    .uniform_work_group_size: 1
    .uses_dynamic_stack: false
    .vgpr_count:     96
    .vgpr_spill_count: 10
    .wavefront_size: 64
  - .agpr_count:     0
    .args:
      - .actual_access:  read_only
        .address_space:  global
        .offset:         0
        .size:           8
        .value_kind:     global_buffer
      - .actual_access:  read_only
        .address_space:  global
        .offset:         8
        .size:           8
        .value_kind:     global_buffer
      - .actual_access:  read_only
        .address_space:  global
        .offset:         16
        .size:           8
        .value_kind:     global_buffer
      - .offset:         24
        .size:           4
        .value_kind:     by_value
      - .offset:         28
        .size:           4
        .value_kind:     by_value
      - .actual_access:  read_only
        .address_space:  global
        .offset:         32
        .size:           8
        .value_kind:     global_buffer
      - .actual_access:  read_only
        .address_space:  global
        .offset:         40
        .size:           8
        .value_kind:     global_buffer
      - .actual_access:  read_only
        .address_space:  global
        .offset:         48
        .size:           8
        .value_kind:     global_buffer
      - .offset:         56
        .size:           4
        .value_kind:     by_value
      - .actual_access:  read_only
        .address_space:  global
        .offset:         64
        .size:           8
        .value_kind:     global_buffer
      - .offset:         72
        .size:           4
        .value_kind:     by_value
      - .offset:         76
        .size:           4
        .value_kind:     by_value
      - .offset:         80
        .size:           4
        .value_kind:     by_value
      - .actual_access:  write_only
        .address_space:  global
        .offset:         88
        .size:           8
        .value_kind:     global_buffer
      - .actual_access:  write_only
        .address_space:  global
        .offset:         96
        .size:           8
        .value_kind:     global_buffer
      - .actual_access:  write_only
        .address_space:  global
        .offset:         104
        .size:           8
        .value_kind:     global_buffer
      - .actual_access:  read_only
        .address_space:  global
        .offset:         112
        .size:           8
        .value_kind:     global_buffer
      - .offset:         120
        .size:           4
        .value_kind:     by_value
      - .address_space:  global
        .offset:         128
        .size:           8
        .value_kind:     global_buffer
      - .address_space:  global
        .offset:         136
        .size:           8
        .value_kind:     global_buffer
      - .offset:         144
        .size:           4
        .value_kind:     hidden_block_count_x
      - .offset:         148
        .size:           4
        .value_kind:     hidden_block_count_y
      - .offset:         152
        .size:           4
        .value_kind:     hidden_block_count_z
      - .offset:         156
        .size:           2
        .value_kind:     hidden_group_size_x
      - .offset:         158
        .size:           2
        .value_kind:     hidden_group_size_y
      - .offset:         160
        .size:           2
        .value_kind:     hidden_group_size_z
      - .offset:         162
        .size:           2
        .value_kind:     hidden_remainder_x
      - .offset:         164
        .size:           2
        .value_kind:     hidden_remainder_y
      - .offset:         166
        .size:           2
        .value_kind:     hidden_remainder_z
      - .offset:         184
        .size:           8
        .value_kind:     hidden_global_offset_x
      - .offset:         192
        .size:           8
        .value_kind:     hidden_global_offset_y
      - .offset:         200
        .size:           8
        .value_kind:     hidden_global_offset_z
      - .offset:         208
        .size:           2
        .value_kind:     hidden_grid_dims
    .group_segment_fixed_size: 8192
    .kernarg_segment_align: 8
    .kernarg_segment_size: 400
    .language:       OpenCL C
    .language_version:
      - 2
      - 0
    .max_flat_workgroup_size: 256
    .name:           _Z39paged_attention_ll4mi_QKV_mfma16_kernelI14__hip_bfloat16S0_LN4vllm18Fp8KVCacheDataTypeE0EhLi32ELi128ELi256ELb0ELi2EEvPKT_PKT0_S8_ifPKiSA_SA_iPKfiiiPfSD_PS3_PT2_iSC_SC_
    .private_segment_fixed_size: 12
    .sgpr_count:     47
    .sgpr_spill_count: 0
    .symbol:         _Z39paged_attention_ll4mi_QKV_mfma16_kernelI14__hip_bfloat16S0_LN4vllm18Fp8KVCacheDataTypeE0EhLi32ELi128ELi256ELb0ELi2EEvPKT_PKT0_S8_ifPKiSA_SA_iPKfiiiPfSD_PS3_PT2_iSC_SC_.kd
    .uniform_work_group_size: 1
    .uses_dynamic_stack: false
    .vgpr_count:     96
    .vgpr_spill_count: 2
    .wavefront_size: 64
  - .agpr_count:     0
    .args:
      - .actual_access:  read_only
        .address_space:  global
        .offset:         0
        .size:           8
        .value_kind:     global_buffer
      - .actual_access:  read_only
        .address_space:  global
        .offset:         8
        .size:           8
        .value_kind:     global_buffer
      - .actual_access:  read_only
        .address_space:  global
        .offset:         16
        .size:           8
        .value_kind:     global_buffer
      - .offset:         24
        .size:           4
        .value_kind:     by_value
      - .offset:         28
        .size:           4
        .value_kind:     by_value
      - .actual_access:  read_only
        .address_space:  global
        .offset:         32
        .size:           8
        .value_kind:     global_buffer
      - .actual_access:  read_only
        .address_space:  global
        .offset:         40
        .size:           8
        .value_kind:     global_buffer
      - .actual_access:  read_only
        .address_space:  global
        .offset:         48
        .size:           8
        .value_kind:     global_buffer
      - .offset:         56
        .size:           4
        .value_kind:     by_value
      - .actual_access:  read_only
        .address_space:  global
        .offset:         64
        .size:           8
        .value_kind:     global_buffer
      - .offset:         72
        .size:           4
        .value_kind:     by_value
      - .offset:         76
        .size:           4
        .value_kind:     by_value
      - .offset:         80
        .size:           4
        .value_kind:     by_value
      - .actual_access:  write_only
        .address_space:  global
        .offset:         88
        .size:           8
        .value_kind:     global_buffer
      - .actual_access:  write_only
        .address_space:  global
        .offset:         96
        .size:           8
        .value_kind:     global_buffer
      - .actual_access:  write_only
        .address_space:  global
        .offset:         104
        .size:           8
        .value_kind:     global_buffer
      - .actual_access:  read_only
        .address_space:  global
        .offset:         112
        .size:           8
        .value_kind:     global_buffer
      - .offset:         120
        .size:           4
        .value_kind:     by_value
      - .address_space:  global
        .offset:         128
        .size:           8
        .value_kind:     global_buffer
      - .address_space:  global
        .offset:         136
        .size:           8
        .value_kind:     global_buffer
      - .offset:         144
        .size:           4
        .value_kind:     hidden_block_count_x
      - .offset:         148
        .size:           4
        .value_kind:     hidden_block_count_y
      - .offset:         152
        .size:           4
        .value_kind:     hidden_block_count_z
      - .offset:         156
        .size:           2
        .value_kind:     hidden_group_size_x
      - .offset:         158
        .size:           2
        .value_kind:     hidden_group_size_y
      - .offset:         160
        .size:           2
        .value_kind:     hidden_group_size_z
      - .offset:         162
        .size:           2
        .value_kind:     hidden_remainder_x
      - .offset:         164
        .size:           2
        .value_kind:     hidden_remainder_y
      - .offset:         166
        .size:           2
        .value_kind:     hidden_remainder_z
      - .offset:         184
        .size:           8
        .value_kind:     hidden_global_offset_x
      - .offset:         192
        .size:           8
        .value_kind:     hidden_global_offset_y
      - .offset:         200
        .size:           8
        .value_kind:     hidden_global_offset_z
      - .offset:         208
        .size:           2
        .value_kind:     hidden_grid_dims
    .group_segment_fixed_size: 8192
    .kernarg_segment_align: 8
    .kernarg_segment_size: 400
    .language:       OpenCL C
    .language_version:
      - 2
      - 0
    .max_flat_workgroup_size: 256
    .name:           _Z39paged_attention_ll4mi_QKV_mfma16_kernelI14__hip_bfloat16S0_LN4vllm18Fp8KVCacheDataTypeE0EhLi32ELi128ELi256ELb0ELi3EEvPKT_PKT0_S8_ifPKiSA_SA_iPKfiiiPfSD_PS3_PT2_iSC_SC_
    .private_segment_fixed_size: 8
    .sgpr_count:     48
    .sgpr_spill_count: 0
    .symbol:         _Z39paged_attention_ll4mi_QKV_mfma16_kernelI14__hip_bfloat16S0_LN4vllm18Fp8KVCacheDataTypeE0EhLi32ELi128ELi256ELb0ELi3EEvPKT_PKT0_S8_ifPKiSA_SA_iPKfiiiPfSD_PS3_PT2_iSC_SC_.kd
    .uniform_work_group_size: 1
    .uses_dynamic_stack: false
    .vgpr_count:     96
    .vgpr_spill_count: 1
    .wavefront_size: 64
  - .agpr_count:     0
    .args:
      - .actual_access:  read_only
        .address_space:  global
        .offset:         0
        .size:           8
        .value_kind:     global_buffer
      - .actual_access:  read_only
        .address_space:  global
        .offset:         8
        .size:           8
        .value_kind:     global_buffer
      - .actual_access:  read_only
        .address_space:  global
        .offset:         16
        .size:           8
        .value_kind:     global_buffer
      - .offset:         24
        .size:           4
        .value_kind:     by_value
      - .offset:         28
        .size:           4
        .value_kind:     by_value
      - .actual_access:  read_only
        .address_space:  global
        .offset:         32
        .size:           8
        .value_kind:     global_buffer
      - .actual_access:  read_only
        .address_space:  global
        .offset:         40
        .size:           8
        .value_kind:     global_buffer
      - .actual_access:  read_only
        .address_space:  global
        .offset:         48
        .size:           8
        .value_kind:     global_buffer
      - .offset:         56
        .size:           4
        .value_kind:     by_value
      - .actual_access:  read_only
        .address_space:  global
        .offset:         64
        .size:           8
        .value_kind:     global_buffer
      - .offset:         72
        .size:           4
        .value_kind:     by_value
      - .offset:         76
        .size:           4
        .value_kind:     by_value
      - .offset:         80
        .size:           4
        .value_kind:     by_value
      - .actual_access:  write_only
        .address_space:  global
        .offset:         88
        .size:           8
        .value_kind:     global_buffer
      - .actual_access:  write_only
        .address_space:  global
        .offset:         96
        .size:           8
        .value_kind:     global_buffer
      - .actual_access:  write_only
        .address_space:  global
        .offset:         104
        .size:           8
        .value_kind:     global_buffer
      - .actual_access:  read_only
        .address_space:  global
        .offset:         112
        .size:           8
        .value_kind:     global_buffer
      - .offset:         120
        .size:           4
        .value_kind:     by_value
      - .address_space:  global
        .offset:         128
        .size:           8
        .value_kind:     global_buffer
      - .address_space:  global
        .offset:         136
        .size:           8
        .value_kind:     global_buffer
      - .offset:         144
        .size:           4
        .value_kind:     hidden_block_count_x
      - .offset:         148
        .size:           4
        .value_kind:     hidden_block_count_y
      - .offset:         152
        .size:           4
        .value_kind:     hidden_block_count_z
      - .offset:         156
        .size:           2
        .value_kind:     hidden_group_size_x
      - .offset:         158
        .size:           2
        .value_kind:     hidden_group_size_y
      - .offset:         160
        .size:           2
        .value_kind:     hidden_group_size_z
      - .offset:         162
        .size:           2
        .value_kind:     hidden_remainder_x
      - .offset:         164
        .size:           2
        .value_kind:     hidden_remainder_y
      - .offset:         166
        .size:           2
        .value_kind:     hidden_remainder_z
      - .offset:         184
        .size:           8
        .value_kind:     hidden_global_offset_x
      - .offset:         192
        .size:           8
        .value_kind:     hidden_global_offset_y
      - .offset:         200
        .size:           8
        .value_kind:     hidden_global_offset_z
      - .offset:         208
        .size:           2
        .value_kind:     hidden_grid_dims
    .group_segment_fixed_size: 8192
    .kernarg_segment_align: 8
    .kernarg_segment_size: 400
    .language:       OpenCL C
    .language_version:
      - 2
      - 0
    .max_flat_workgroup_size: 256
    .name:           _Z39paged_attention_ll4mi_QKV_mfma16_kernelI14__hip_bfloat16S0_LN4vllm18Fp8KVCacheDataTypeE0EhLi32ELi128ELi256ELb0ELi4EEvPKT_PKT0_S8_ifPKiSA_SA_iPKfiiiPfSD_PS3_PT2_iSC_SC_
    .private_segment_fixed_size: 12
    .sgpr_count:     49
    .sgpr_spill_count: 0
    .symbol:         _Z39paged_attention_ll4mi_QKV_mfma16_kernelI14__hip_bfloat16S0_LN4vllm18Fp8KVCacheDataTypeE0EhLi32ELi128ELi256ELb0ELi4EEvPKT_PKT0_S8_ifPKiSA_SA_iPKfiiiPfSD_PS3_PT2_iSC_SC_.kd
    .uniform_work_group_size: 1
    .uses_dynamic_stack: false
    .vgpr_count:     96
    .vgpr_spill_count: 2
    .wavefront_size: 64
  - .agpr_count:     8
    .args:
      - .actual_access:  read_only
        .address_space:  global
        .offset:         0
        .size:           8
        .value_kind:     global_buffer
      - .actual_access:  read_only
        .address_space:  global
        .offset:         8
        .size:           8
        .value_kind:     global_buffer
      - .actual_access:  read_only
        .address_space:  global
        .offset:         16
        .size:           8
        .value_kind:     global_buffer
      - .offset:         24
        .size:           4
        .value_kind:     by_value
      - .offset:         28
        .size:           4
        .value_kind:     by_value
      - .actual_access:  read_only
        .address_space:  global
        .offset:         32
        .size:           8
        .value_kind:     global_buffer
      - .actual_access:  read_only
        .address_space:  global
        .offset:         40
        .size:           8
        .value_kind:     global_buffer
      - .actual_access:  read_only
        .address_space:  global
        .offset:         48
        .size:           8
        .value_kind:     global_buffer
      - .offset:         56
        .size:           4
        .value_kind:     by_value
      - .actual_access:  read_only
        .address_space:  global
        .offset:         64
        .size:           8
        .value_kind:     global_buffer
      - .offset:         72
        .size:           4
        .value_kind:     by_value
      - .offset:         76
        .size:           4
        .value_kind:     by_value
      - .offset:         80
        .size:           4
        .value_kind:     by_value
      - .actual_access:  write_only
        .address_space:  global
        .offset:         88
        .size:           8
        .value_kind:     global_buffer
      - .actual_access:  write_only
        .address_space:  global
        .offset:         96
        .size:           8
        .value_kind:     global_buffer
      - .actual_access:  write_only
        .address_space:  global
        .offset:         104
        .size:           8
        .value_kind:     global_buffer
      - .actual_access:  read_only
        .address_space:  global
        .offset:         112
        .size:           8
        .value_kind:     global_buffer
      - .offset:         120
        .size:           4
        .value_kind:     by_value
      - .address_space:  global
        .offset:         128
        .size:           8
        .value_kind:     global_buffer
      - .address_space:  global
        .offset:         136
        .size:           8
        .value_kind:     global_buffer
      - .offset:         144
        .size:           4
        .value_kind:     hidden_block_count_x
      - .offset:         148
        .size:           4
        .value_kind:     hidden_block_count_y
      - .offset:         152
        .size:           4
        .value_kind:     hidden_block_count_z
      - .offset:         156
        .size:           2
        .value_kind:     hidden_group_size_x
      - .offset:         158
        .size:           2
        .value_kind:     hidden_group_size_y
      - .offset:         160
        .size:           2
        .value_kind:     hidden_group_size_z
      - .offset:         162
        .size:           2
        .value_kind:     hidden_remainder_x
      - .offset:         164
        .size:           2
        .value_kind:     hidden_remainder_y
      - .offset:         166
        .size:           2
        .value_kind:     hidden_remainder_z
      - .offset:         184
        .size:           8
        .value_kind:     hidden_global_offset_x
      - .offset:         192
        .size:           8
        .value_kind:     hidden_global_offset_y
      - .offset:         200
        .size:           8
        .value_kind:     hidden_global_offset_z
      - .offset:         208
        .size:           2
        .value_kind:     hidden_grid_dims
    .group_segment_fixed_size: 5280
    .kernarg_segment_align: 8
    .kernarg_segment_size: 400
    .language:       OpenCL C
    .language_version:
      - 2
      - 0
    .max_flat_workgroup_size: 256
    .name:           _Z38paged_attention_ll4mi_QKV_mfma4_kernelI14__hip_bfloat16S0_LN4vllm18Fp8KVCacheDataTypeE0ES0_Li32ELi128ELi256ELb1ELi1EEvPKT_PKT0_S8_ifPKiSA_SA_iPKfiiiPfSD_PS3_PT2_iSC_SC_
    .private_segment_fixed_size: 0
    .sgpr_count:     44
    .sgpr_spill_count: 0
    .symbol:         _Z38paged_attention_ll4mi_QKV_mfma4_kernelI14__hip_bfloat16S0_LN4vllm18Fp8KVCacheDataTypeE0ES0_Li32ELi128ELi256ELb1ELi1EEvPKT_PKT0_S8_ifPKiSA_SA_iPKfiiiPfSD_PS3_PT2_iSC_SC_.kd
    .uniform_work_group_size: 1
    .uses_dynamic_stack: false
    .vgpr_count:     92
    .vgpr_spill_count: 0
    .wavefront_size: 64
  - .agpr_count:     8
    .args:
      - .actual_access:  read_only
        .address_space:  global
        .offset:         0
        .size:           8
        .value_kind:     global_buffer
      - .actual_access:  read_only
        .address_space:  global
        .offset:         8
        .size:           8
        .value_kind:     global_buffer
      - .actual_access:  read_only
        .address_space:  global
        .offset:         16
        .size:           8
        .value_kind:     global_buffer
      - .offset:         24
        .size:           4
        .value_kind:     by_value
      - .offset:         28
        .size:           4
        .value_kind:     by_value
      - .actual_access:  read_only
        .address_space:  global
        .offset:         32
        .size:           8
        .value_kind:     global_buffer
      - .actual_access:  read_only
        .address_space:  global
        .offset:         40
        .size:           8
        .value_kind:     global_buffer
      - .actual_access:  read_only
        .address_space:  global
        .offset:         48
        .size:           8
        .value_kind:     global_buffer
      - .offset:         56
        .size:           4
        .value_kind:     by_value
      - .actual_access:  read_only
        .address_space:  global
        .offset:         64
        .size:           8
        .value_kind:     global_buffer
      - .offset:         72
        .size:           4
        .value_kind:     by_value
      - .offset:         76
        .size:           4
        .value_kind:     by_value
      - .offset:         80
        .size:           4
        .value_kind:     by_value
      - .actual_access:  write_only
        .address_space:  global
        .offset:         88
        .size:           8
        .value_kind:     global_buffer
      - .actual_access:  write_only
        .address_space:  global
        .offset:         96
        .size:           8
        .value_kind:     global_buffer
      - .actual_access:  write_only
        .address_space:  global
        .offset:         104
        .size:           8
        .value_kind:     global_buffer
      - .actual_access:  read_only
        .address_space:  global
        .offset:         112
        .size:           8
        .value_kind:     global_buffer
      - .offset:         120
        .size:           4
        .value_kind:     by_value
      - .address_space:  global
        .offset:         128
        .size:           8
        .value_kind:     global_buffer
      - .address_space:  global
        .offset:         136
        .size:           8
        .value_kind:     global_buffer
      - .offset:         144
        .size:           4
        .value_kind:     hidden_block_count_x
      - .offset:         148
        .size:           4
        .value_kind:     hidden_block_count_y
      - .offset:         152
        .size:           4
        .value_kind:     hidden_block_count_z
      - .offset:         156
        .size:           2
        .value_kind:     hidden_group_size_x
      - .offset:         158
        .size:           2
        .value_kind:     hidden_group_size_y
      - .offset:         160
        .size:           2
        .value_kind:     hidden_group_size_z
      - .offset:         162
        .size:           2
        .value_kind:     hidden_remainder_x
      - .offset:         164
        .size:           2
        .value_kind:     hidden_remainder_y
      - .offset:         166
        .size:           2
        .value_kind:     hidden_remainder_z
      - .offset:         184
        .size:           8
        .value_kind:     hidden_global_offset_x
      - .offset:         192
        .size:           8
        .value_kind:     hidden_global_offset_y
      - .offset:         200
        .size:           8
        .value_kind:     hidden_global_offset_z
      - .offset:         208
        .size:           2
        .value_kind:     hidden_grid_dims
    .group_segment_fixed_size: 5280
    .kernarg_segment_align: 8
    .kernarg_segment_size: 400
    .language:       OpenCL C
    .language_version:
      - 2
      - 0
    .max_flat_workgroup_size: 256
    .name:           _Z38paged_attention_ll4mi_QKV_mfma4_kernelI14__hip_bfloat16S0_LN4vllm18Fp8KVCacheDataTypeE0ES0_Li32ELi128ELi256ELb1ELi2EEvPKT_PKT0_S8_ifPKiSA_SA_iPKfiiiPfSD_PS3_PT2_iSC_SC_
    .private_segment_fixed_size: 0
    .sgpr_count:     46
    .sgpr_spill_count: 0
    .symbol:         _Z38paged_attention_ll4mi_QKV_mfma4_kernelI14__hip_bfloat16S0_LN4vllm18Fp8KVCacheDataTypeE0ES0_Li32ELi128ELi256ELb1ELi2EEvPKT_PKT0_S8_ifPKiSA_SA_iPKfiiiPfSD_PS3_PT2_iSC_SC_.kd
    .uniform_work_group_size: 1
    .uses_dynamic_stack: false
    .vgpr_count:     92
    .vgpr_spill_count: 0
    .wavefront_size: 64
  - .agpr_count:     8
    .args:
      - .actual_access:  read_only
        .address_space:  global
        .offset:         0
        .size:           8
        .value_kind:     global_buffer
      - .actual_access:  read_only
        .address_space:  global
        .offset:         8
        .size:           8
        .value_kind:     global_buffer
      - .actual_access:  read_only
        .address_space:  global
        .offset:         16
        .size:           8
        .value_kind:     global_buffer
      - .offset:         24
        .size:           4
        .value_kind:     by_value
      - .offset:         28
        .size:           4
        .value_kind:     by_value
      - .actual_access:  read_only
        .address_space:  global
        .offset:         32
        .size:           8
        .value_kind:     global_buffer
      - .actual_access:  read_only
        .address_space:  global
        .offset:         40
        .size:           8
        .value_kind:     global_buffer
      - .actual_access:  read_only
        .address_space:  global
        .offset:         48
        .size:           8
        .value_kind:     global_buffer
      - .offset:         56
        .size:           4
        .value_kind:     by_value
      - .actual_access:  read_only
        .address_space:  global
        .offset:         64
        .size:           8
        .value_kind:     global_buffer
      - .offset:         72
        .size:           4
        .value_kind:     by_value
      - .offset:         76
        .size:           4
        .value_kind:     by_value
      - .offset:         80
        .size:           4
        .value_kind:     by_value
      - .actual_access:  write_only
        .address_space:  global
        .offset:         88
        .size:           8
        .value_kind:     global_buffer
      - .actual_access:  write_only
        .address_space:  global
        .offset:         96
        .size:           8
        .value_kind:     global_buffer
      - .actual_access:  write_only
        .address_space:  global
        .offset:         104
        .size:           8
        .value_kind:     global_buffer
      - .actual_access:  read_only
        .address_space:  global
        .offset:         112
        .size:           8
        .value_kind:     global_buffer
      - .offset:         120
        .size:           4
        .value_kind:     by_value
      - .address_space:  global
        .offset:         128
        .size:           8
        .value_kind:     global_buffer
      - .address_space:  global
        .offset:         136
        .size:           8
        .value_kind:     global_buffer
      - .offset:         144
        .size:           4
        .value_kind:     hidden_block_count_x
      - .offset:         148
        .size:           4
        .value_kind:     hidden_block_count_y
      - .offset:         152
        .size:           4
        .value_kind:     hidden_block_count_z
      - .offset:         156
        .size:           2
        .value_kind:     hidden_group_size_x
      - .offset:         158
        .size:           2
        .value_kind:     hidden_group_size_y
      - .offset:         160
        .size:           2
        .value_kind:     hidden_group_size_z
      - .offset:         162
        .size:           2
        .value_kind:     hidden_remainder_x
      - .offset:         164
        .size:           2
        .value_kind:     hidden_remainder_y
      - .offset:         166
        .size:           2
        .value_kind:     hidden_remainder_z
      - .offset:         184
        .size:           8
        .value_kind:     hidden_global_offset_x
      - .offset:         192
        .size:           8
        .value_kind:     hidden_global_offset_y
      - .offset:         200
        .size:           8
        .value_kind:     hidden_global_offset_z
      - .offset:         208
        .size:           2
        .value_kind:     hidden_grid_dims
    .group_segment_fixed_size: 5280
    .kernarg_segment_align: 8
    .kernarg_segment_size: 400
    .language:       OpenCL C
    .language_version:
      - 2
      - 0
    .max_flat_workgroup_size: 256
    .name:           _Z38paged_attention_ll4mi_QKV_mfma4_kernelI14__hip_bfloat16S0_LN4vllm18Fp8KVCacheDataTypeE0ES0_Li32ELi128ELi256ELb1ELi3EEvPKT_PKT0_S8_ifPKiSA_SA_iPKfiiiPfSD_PS3_PT2_iSC_SC_
    .private_segment_fixed_size: 0
    .sgpr_count:     46
    .sgpr_spill_count: 0
    .symbol:         _Z38paged_attention_ll4mi_QKV_mfma4_kernelI14__hip_bfloat16S0_LN4vllm18Fp8KVCacheDataTypeE0ES0_Li32ELi128ELi256ELb1ELi3EEvPKT_PKT0_S8_ifPKiSA_SA_iPKfiiiPfSD_PS3_PT2_iSC_SC_.kd
    .uniform_work_group_size: 1
    .uses_dynamic_stack: false
    .vgpr_count:     92
    .vgpr_spill_count: 0
    .wavefront_size: 64
  - .agpr_count:     8
    .args:
      - .actual_access:  read_only
        .address_space:  global
        .offset:         0
        .size:           8
        .value_kind:     global_buffer
      - .actual_access:  read_only
        .address_space:  global
        .offset:         8
        .size:           8
        .value_kind:     global_buffer
      - .actual_access:  read_only
        .address_space:  global
        .offset:         16
        .size:           8
        .value_kind:     global_buffer
      - .offset:         24
        .size:           4
        .value_kind:     by_value
      - .offset:         28
        .size:           4
        .value_kind:     by_value
      - .actual_access:  read_only
        .address_space:  global
        .offset:         32
        .size:           8
        .value_kind:     global_buffer
      - .actual_access:  read_only
        .address_space:  global
        .offset:         40
        .size:           8
        .value_kind:     global_buffer
      - .actual_access:  read_only
        .address_space:  global
        .offset:         48
        .size:           8
        .value_kind:     global_buffer
      - .offset:         56
        .size:           4
        .value_kind:     by_value
      - .actual_access:  read_only
        .address_space:  global
        .offset:         64
        .size:           8
        .value_kind:     global_buffer
      - .offset:         72
        .size:           4
        .value_kind:     by_value
      - .offset:         76
        .size:           4
        .value_kind:     by_value
      - .offset:         80
        .size:           4
        .value_kind:     by_value
      - .actual_access:  write_only
        .address_space:  global
        .offset:         88
        .size:           8
        .value_kind:     global_buffer
      - .actual_access:  write_only
        .address_space:  global
        .offset:         96
        .size:           8
        .value_kind:     global_buffer
      - .actual_access:  write_only
        .address_space:  global
        .offset:         104
        .size:           8
        .value_kind:     global_buffer
      - .actual_access:  read_only
        .address_space:  global
        .offset:         112
        .size:           8
        .value_kind:     global_buffer
      - .offset:         120
        .size:           4
        .value_kind:     by_value
      - .address_space:  global
        .offset:         128
        .size:           8
        .value_kind:     global_buffer
      - .address_space:  global
        .offset:         136
        .size:           8
        .value_kind:     global_buffer
      - .offset:         144
        .size:           4
        .value_kind:     hidden_block_count_x
      - .offset:         148
        .size:           4
        .value_kind:     hidden_block_count_y
      - .offset:         152
        .size:           4
        .value_kind:     hidden_block_count_z
      - .offset:         156
        .size:           2
        .value_kind:     hidden_group_size_x
      - .offset:         158
        .size:           2
        .value_kind:     hidden_group_size_y
      - .offset:         160
        .size:           2
        .value_kind:     hidden_group_size_z
      - .offset:         162
        .size:           2
        .value_kind:     hidden_remainder_x
      - .offset:         164
        .size:           2
        .value_kind:     hidden_remainder_y
      - .offset:         166
        .size:           2
        .value_kind:     hidden_remainder_z
      - .offset:         184
        .size:           8
        .value_kind:     hidden_global_offset_x
      - .offset:         192
        .size:           8
        .value_kind:     hidden_global_offset_y
      - .offset:         200
        .size:           8
        .value_kind:     hidden_global_offset_z
      - .offset:         208
        .size:           2
        .value_kind:     hidden_grid_dims
    .group_segment_fixed_size: 5280
    .kernarg_segment_align: 8
    .kernarg_segment_size: 400
    .language:       OpenCL C
    .language_version:
      - 2
      - 0
    .max_flat_workgroup_size: 256
    .name:           _Z38paged_attention_ll4mi_QKV_mfma4_kernelI14__hip_bfloat16S0_LN4vllm18Fp8KVCacheDataTypeE0ES0_Li32ELi128ELi256ELb1ELi4EEvPKT_PKT0_S8_ifPKiSA_SA_iPKfiiiPfSD_PS3_PT2_iSC_SC_
    .private_segment_fixed_size: 0
    .sgpr_count:     47
    .sgpr_spill_count: 0
    .symbol:         _Z38paged_attention_ll4mi_QKV_mfma4_kernelI14__hip_bfloat16S0_LN4vllm18Fp8KVCacheDataTypeE0ES0_Li32ELi128ELi256ELb1ELi4EEvPKT_PKT0_S8_ifPKiSA_SA_iPKfiiiPfSD_PS3_PT2_iSC_SC_.kd
    .uniform_work_group_size: 1
    .uses_dynamic_stack: false
    .vgpr_count:     104
    .vgpr_spill_count: 0
    .wavefront_size: 64
  - .agpr_count:     0
    .args:
      - .actual_access:  read_only
        .address_space:  global
        .offset:         0
        .size:           8
        .value_kind:     global_buffer
      - .actual_access:  read_only
        .address_space:  global
        .offset:         8
        .size:           8
        .value_kind:     global_buffer
      - .actual_access:  read_only
        .address_space:  global
        .offset:         16
        .size:           8
        .value_kind:     global_buffer
      - .offset:         24
        .size:           4
        .value_kind:     by_value
      - .offset:         28
        .size:           4
        .value_kind:     by_value
      - .actual_access:  read_only
        .address_space:  global
        .offset:         32
        .size:           8
        .value_kind:     global_buffer
      - .actual_access:  read_only
        .address_space:  global
        .offset:         40
        .size:           8
        .value_kind:     global_buffer
      - .actual_access:  read_only
        .address_space:  global
        .offset:         48
        .size:           8
        .value_kind:     global_buffer
      - .offset:         56
        .size:           4
        .value_kind:     by_value
      - .actual_access:  read_only
        .address_space:  global
        .offset:         64
        .size:           8
        .value_kind:     global_buffer
      - .offset:         72
        .size:           4
        .value_kind:     by_value
      - .offset:         76
        .size:           4
        .value_kind:     by_value
      - .offset:         80
        .size:           4
        .value_kind:     by_value
      - .actual_access:  write_only
        .address_space:  global
        .offset:         88
        .size:           8
        .value_kind:     global_buffer
      - .actual_access:  write_only
        .address_space:  global
        .offset:         96
        .size:           8
        .value_kind:     global_buffer
      - .actual_access:  write_only
        .address_space:  global
        .offset:         104
        .size:           8
        .value_kind:     global_buffer
      - .actual_access:  read_only
        .address_space:  global
        .offset:         112
        .size:           8
        .value_kind:     global_buffer
      - .offset:         120
        .size:           4
        .value_kind:     by_value
      - .address_space:  global
        .offset:         128
        .size:           8
        .value_kind:     global_buffer
      - .address_space:  global
        .offset:         136
        .size:           8
        .value_kind:     global_buffer
      - .offset:         144
        .size:           4
        .value_kind:     hidden_block_count_x
      - .offset:         148
        .size:           4
        .value_kind:     hidden_block_count_y
      - .offset:         152
        .size:           4
        .value_kind:     hidden_block_count_z
      - .offset:         156
        .size:           2
        .value_kind:     hidden_group_size_x
      - .offset:         158
        .size:           2
        .value_kind:     hidden_group_size_y
      - .offset:         160
        .size:           2
        .value_kind:     hidden_group_size_z
      - .offset:         162
        .size:           2
        .value_kind:     hidden_remainder_x
      - .offset:         164
        .size:           2
        .value_kind:     hidden_remainder_y
      - .offset:         166
        .size:           2
        .value_kind:     hidden_remainder_z
      - .offset:         184
        .size:           8
        .value_kind:     hidden_global_offset_x
      - .offset:         192
        .size:           8
        .value_kind:     hidden_global_offset_y
      - .offset:         200
        .size:           8
        .value_kind:     hidden_global_offset_z
      - .offset:         208
        .size:           2
        .value_kind:     hidden_grid_dims
    .group_segment_fixed_size: 8192
    .kernarg_segment_align: 8
    .kernarg_segment_size: 400
    .language:       OpenCL C
    .language_version:
      - 2
      - 0
    .max_flat_workgroup_size: 256
    .name:           _Z39paged_attention_ll4mi_QKV_mfma16_kernelI14__hip_bfloat16S0_LN4vllm18Fp8KVCacheDataTypeE0ES0_Li32ELi128ELi256ELb1ELi5EEvPKT_PKT0_S8_ifPKiSA_SA_iPKfiiiPfSD_PS3_PT2_iSC_SC_
    .private_segment_fixed_size: 0
    .sgpr_count:     48
    .sgpr_spill_count: 0
    .symbol:         _Z39paged_attention_ll4mi_QKV_mfma16_kernelI14__hip_bfloat16S0_LN4vllm18Fp8KVCacheDataTypeE0ES0_Li32ELi128ELi256ELb1ELi5EEvPKT_PKT0_S8_ifPKiSA_SA_iPKfiiiPfSD_PS3_PT2_iSC_SC_.kd
    .uniform_work_group_size: 1
    .uses_dynamic_stack: false
    .vgpr_count:     96
    .vgpr_spill_count: 0
    .wavefront_size: 64
  - .agpr_count:     0
    .args:
      - .actual_access:  read_only
        .address_space:  global
        .offset:         0
        .size:           8
        .value_kind:     global_buffer
      - .actual_access:  read_only
        .address_space:  global
        .offset:         8
        .size:           8
        .value_kind:     global_buffer
      - .actual_access:  read_only
        .address_space:  global
        .offset:         16
        .size:           8
        .value_kind:     global_buffer
      - .offset:         24
        .size:           4
        .value_kind:     by_value
      - .offset:         28
        .size:           4
        .value_kind:     by_value
      - .actual_access:  read_only
        .address_space:  global
        .offset:         32
        .size:           8
        .value_kind:     global_buffer
      - .actual_access:  read_only
        .address_space:  global
        .offset:         40
        .size:           8
        .value_kind:     global_buffer
      - .actual_access:  read_only
        .address_space:  global
        .offset:         48
        .size:           8
        .value_kind:     global_buffer
      - .offset:         56
        .size:           4
        .value_kind:     by_value
      - .actual_access:  read_only
        .address_space:  global
        .offset:         64
        .size:           8
        .value_kind:     global_buffer
      - .offset:         72
        .size:           4
        .value_kind:     by_value
      - .offset:         76
        .size:           4
        .value_kind:     by_value
      - .offset:         80
        .size:           4
        .value_kind:     by_value
      - .actual_access:  write_only
        .address_space:  global
        .offset:         88
        .size:           8
        .value_kind:     global_buffer
      - .actual_access:  write_only
        .address_space:  global
        .offset:         96
        .size:           8
        .value_kind:     global_buffer
      - .actual_access:  write_only
        .address_space:  global
        .offset:         104
        .size:           8
        .value_kind:     global_buffer
      - .actual_access:  read_only
        .address_space:  global
        .offset:         112
        .size:           8
        .value_kind:     global_buffer
      - .offset:         120
        .size:           4
        .value_kind:     by_value
      - .address_space:  global
        .offset:         128
        .size:           8
        .value_kind:     global_buffer
      - .address_space:  global
        .offset:         136
        .size:           8
        .value_kind:     global_buffer
      - .offset:         144
        .size:           4
        .value_kind:     hidden_block_count_x
      - .offset:         148
        .size:           4
        .value_kind:     hidden_block_count_y
      - .offset:         152
        .size:           4
        .value_kind:     hidden_block_count_z
      - .offset:         156
        .size:           2
        .value_kind:     hidden_group_size_x
      - .offset:         158
        .size:           2
        .value_kind:     hidden_group_size_y
      - .offset:         160
        .size:           2
        .value_kind:     hidden_group_size_z
      - .offset:         162
        .size:           2
        .value_kind:     hidden_remainder_x
      - .offset:         164
        .size:           2
        .value_kind:     hidden_remainder_y
      - .offset:         166
        .size:           2
        .value_kind:     hidden_remainder_z
      - .offset:         184
        .size:           8
        .value_kind:     hidden_global_offset_x
      - .offset:         192
        .size:           8
        .value_kind:     hidden_global_offset_y
      - .offset:         200
        .size:           8
        .value_kind:     hidden_global_offset_z
      - .offset:         208
        .size:           2
        .value_kind:     hidden_grid_dims
    .group_segment_fixed_size: 8192
    .kernarg_segment_align: 8
    .kernarg_segment_size: 400
    .language:       OpenCL C
    .language_version:
      - 2
      - 0
    .max_flat_workgroup_size: 256
    .name:           _Z39paged_attention_ll4mi_QKV_mfma16_kernelI14__hip_bfloat16S0_LN4vllm18Fp8KVCacheDataTypeE0ES0_Li32ELi128ELi256ELb1ELi6EEvPKT_PKT0_S8_ifPKiSA_SA_iPKfiiiPfSD_PS3_PT2_iSC_SC_
    .private_segment_fixed_size: 0
    .sgpr_count:     48
    .sgpr_spill_count: 0
    .symbol:         _Z39paged_attention_ll4mi_QKV_mfma16_kernelI14__hip_bfloat16S0_LN4vllm18Fp8KVCacheDataTypeE0ES0_Li32ELi128ELi256ELb1ELi6EEvPKT_PKT0_S8_ifPKiSA_SA_iPKfiiiPfSD_PS3_PT2_iSC_SC_.kd
    .uniform_work_group_size: 1
    .uses_dynamic_stack: false
    .vgpr_count:     96
    .vgpr_spill_count: 0
    .wavefront_size: 64
  - .agpr_count:     0
    .args:
      - .actual_access:  read_only
        .address_space:  global
        .offset:         0
        .size:           8
        .value_kind:     global_buffer
      - .actual_access:  read_only
        .address_space:  global
        .offset:         8
        .size:           8
        .value_kind:     global_buffer
      - .actual_access:  read_only
        .address_space:  global
        .offset:         16
        .size:           8
        .value_kind:     global_buffer
      - .offset:         24
        .size:           4
        .value_kind:     by_value
      - .offset:         28
        .size:           4
        .value_kind:     by_value
      - .actual_access:  read_only
        .address_space:  global
        .offset:         32
        .size:           8
        .value_kind:     global_buffer
      - .actual_access:  read_only
        .address_space:  global
        .offset:         40
        .size:           8
        .value_kind:     global_buffer
      - .actual_access:  read_only
        .address_space:  global
        .offset:         48
        .size:           8
        .value_kind:     global_buffer
      - .offset:         56
        .size:           4
        .value_kind:     by_value
      - .actual_access:  read_only
        .address_space:  global
        .offset:         64
        .size:           8
        .value_kind:     global_buffer
      - .offset:         72
        .size:           4
        .value_kind:     by_value
      - .offset:         76
        .size:           4
        .value_kind:     by_value
      - .offset:         80
        .size:           4
        .value_kind:     by_value
      - .actual_access:  write_only
        .address_space:  global
        .offset:         88
        .size:           8
        .value_kind:     global_buffer
      - .actual_access:  write_only
        .address_space:  global
        .offset:         96
        .size:           8
        .value_kind:     global_buffer
      - .actual_access:  write_only
        .address_space:  global
        .offset:         104
        .size:           8
        .value_kind:     global_buffer
      - .actual_access:  read_only
        .address_space:  global
        .offset:         112
        .size:           8
        .value_kind:     global_buffer
      - .offset:         120
        .size:           4
        .value_kind:     by_value
      - .address_space:  global
        .offset:         128
        .size:           8
        .value_kind:     global_buffer
      - .address_space:  global
        .offset:         136
        .size:           8
        .value_kind:     global_buffer
      - .offset:         144
        .size:           4
        .value_kind:     hidden_block_count_x
      - .offset:         148
        .size:           4
        .value_kind:     hidden_block_count_y
      - .offset:         152
        .size:           4
        .value_kind:     hidden_block_count_z
      - .offset:         156
        .size:           2
        .value_kind:     hidden_group_size_x
      - .offset:         158
        .size:           2
        .value_kind:     hidden_group_size_y
      - .offset:         160
        .size:           2
        .value_kind:     hidden_group_size_z
      - .offset:         162
        .size:           2
        .value_kind:     hidden_remainder_x
      - .offset:         164
        .size:           2
        .value_kind:     hidden_remainder_y
      - .offset:         166
        .size:           2
        .value_kind:     hidden_remainder_z
      - .offset:         184
        .size:           8
        .value_kind:     hidden_global_offset_x
      - .offset:         192
        .size:           8
        .value_kind:     hidden_global_offset_y
      - .offset:         200
        .size:           8
        .value_kind:     hidden_global_offset_z
      - .offset:         208
        .size:           2
        .value_kind:     hidden_grid_dims
    .group_segment_fixed_size: 8192
    .kernarg_segment_align: 8
    .kernarg_segment_size: 400
    .language:       OpenCL C
    .language_version:
      - 2
      - 0
    .max_flat_workgroup_size: 256
    .name:           _Z39paged_attention_ll4mi_QKV_mfma16_kernelI14__hip_bfloat16S0_LN4vllm18Fp8KVCacheDataTypeE0ES0_Li32ELi128ELi256ELb1ELi7EEvPKT_PKT0_S8_ifPKiSA_SA_iPKfiiiPfSD_PS3_PT2_iSC_SC_
    .private_segment_fixed_size: 0
    .sgpr_count:     48
    .sgpr_spill_count: 0
    .symbol:         _Z39paged_attention_ll4mi_QKV_mfma16_kernelI14__hip_bfloat16S0_LN4vllm18Fp8KVCacheDataTypeE0ES0_Li32ELi128ELi256ELb1ELi7EEvPKT_PKT0_S8_ifPKiSA_SA_iPKfiiiPfSD_PS3_PT2_iSC_SC_.kd
    .uniform_work_group_size: 1
    .uses_dynamic_stack: false
    .vgpr_count:     96
    .vgpr_spill_count: 0
    .wavefront_size: 64
  - .agpr_count:     0
    .args:
      - .actual_access:  read_only
        .address_space:  global
        .offset:         0
        .size:           8
        .value_kind:     global_buffer
      - .actual_access:  read_only
        .address_space:  global
        .offset:         8
        .size:           8
        .value_kind:     global_buffer
      - .actual_access:  read_only
        .address_space:  global
        .offset:         16
        .size:           8
        .value_kind:     global_buffer
      - .offset:         24
        .size:           4
        .value_kind:     by_value
      - .offset:         28
        .size:           4
        .value_kind:     by_value
      - .actual_access:  read_only
        .address_space:  global
        .offset:         32
        .size:           8
        .value_kind:     global_buffer
      - .actual_access:  read_only
        .address_space:  global
        .offset:         40
        .size:           8
        .value_kind:     global_buffer
      - .actual_access:  read_only
        .address_space:  global
        .offset:         48
        .size:           8
        .value_kind:     global_buffer
      - .offset:         56
        .size:           4
        .value_kind:     by_value
      - .actual_access:  read_only
        .address_space:  global
        .offset:         64
        .size:           8
        .value_kind:     global_buffer
      - .offset:         72
        .size:           4
        .value_kind:     by_value
      - .offset:         76
        .size:           4
        .value_kind:     by_value
      - .offset:         80
        .size:           4
        .value_kind:     by_value
      - .actual_access:  write_only
        .address_space:  global
        .offset:         88
        .size:           8
        .value_kind:     global_buffer
      - .actual_access:  write_only
        .address_space:  global
        .offset:         96
        .size:           8
        .value_kind:     global_buffer
      - .actual_access:  write_only
        .address_space:  global
        .offset:         104
        .size:           8
        .value_kind:     global_buffer
      - .actual_access:  read_only
        .address_space:  global
        .offset:         112
        .size:           8
        .value_kind:     global_buffer
      - .offset:         120
        .size:           4
        .value_kind:     by_value
      - .address_space:  global
        .offset:         128
        .size:           8
        .value_kind:     global_buffer
      - .address_space:  global
        .offset:         136
        .size:           8
        .value_kind:     global_buffer
      - .offset:         144
        .size:           4
        .value_kind:     hidden_block_count_x
      - .offset:         148
        .size:           4
        .value_kind:     hidden_block_count_y
      - .offset:         152
        .size:           4
        .value_kind:     hidden_block_count_z
      - .offset:         156
        .size:           2
        .value_kind:     hidden_group_size_x
      - .offset:         158
        .size:           2
        .value_kind:     hidden_group_size_y
      - .offset:         160
        .size:           2
        .value_kind:     hidden_group_size_z
      - .offset:         162
        .size:           2
        .value_kind:     hidden_remainder_x
      - .offset:         164
        .size:           2
        .value_kind:     hidden_remainder_y
      - .offset:         166
        .size:           2
        .value_kind:     hidden_remainder_z
      - .offset:         184
        .size:           8
        .value_kind:     hidden_global_offset_x
      - .offset:         192
        .size:           8
        .value_kind:     hidden_global_offset_y
      - .offset:         200
        .size:           8
        .value_kind:     hidden_global_offset_z
      - .offset:         208
        .size:           2
        .value_kind:     hidden_grid_dims
    .group_segment_fixed_size: 8192
    .kernarg_segment_align: 8
    .kernarg_segment_size: 400
    .language:       OpenCL C
    .language_version:
      - 2
      - 0
    .max_flat_workgroup_size: 256
    .name:           _Z39paged_attention_ll4mi_QKV_mfma16_kernelI14__hip_bfloat16S0_LN4vllm18Fp8KVCacheDataTypeE0ES0_Li32ELi128ELi256ELb1ELi8EEvPKT_PKT0_S8_ifPKiSA_SA_iPKfiiiPfSD_PS3_PT2_iSC_SC_
    .private_segment_fixed_size: 0
    .sgpr_count:     47
    .sgpr_spill_count: 0
    .symbol:         _Z39paged_attention_ll4mi_QKV_mfma16_kernelI14__hip_bfloat16S0_LN4vllm18Fp8KVCacheDataTypeE0ES0_Li32ELi128ELi256ELb1ELi8EEvPKT_PKT0_S8_ifPKiSA_SA_iPKfiiiPfSD_PS3_PT2_iSC_SC_.kd
    .uniform_work_group_size: 1
    .uses_dynamic_stack: false
    .vgpr_count:     96
    .vgpr_spill_count: 0
    .wavefront_size: 64
  - .agpr_count:     0
    .args:
      - .actual_access:  read_only
        .address_space:  global
        .offset:         0
        .size:           8
        .value_kind:     global_buffer
      - .actual_access:  read_only
        .address_space:  global
        .offset:         8
        .size:           8
        .value_kind:     global_buffer
      - .actual_access:  read_only
        .address_space:  global
        .offset:         16
        .size:           8
        .value_kind:     global_buffer
      - .offset:         24
        .size:           4
        .value_kind:     by_value
      - .offset:         28
        .size:           4
        .value_kind:     by_value
      - .actual_access:  read_only
        .address_space:  global
        .offset:         32
        .size:           8
        .value_kind:     global_buffer
      - .actual_access:  read_only
        .address_space:  global
        .offset:         40
        .size:           8
        .value_kind:     global_buffer
      - .actual_access:  read_only
        .address_space:  global
        .offset:         48
        .size:           8
        .value_kind:     global_buffer
      - .offset:         56
        .size:           4
        .value_kind:     by_value
      - .actual_access:  read_only
        .address_space:  global
        .offset:         64
        .size:           8
        .value_kind:     global_buffer
      - .offset:         72
        .size:           4
        .value_kind:     by_value
      - .offset:         76
        .size:           4
        .value_kind:     by_value
      - .offset:         80
        .size:           4
        .value_kind:     by_value
      - .actual_access:  write_only
        .address_space:  global
        .offset:         88
        .size:           8
        .value_kind:     global_buffer
      - .actual_access:  write_only
        .address_space:  global
        .offset:         96
        .size:           8
        .value_kind:     global_buffer
      - .actual_access:  write_only
        .address_space:  global
        .offset:         104
        .size:           8
        .value_kind:     global_buffer
      - .actual_access:  read_only
        .address_space:  global
        .offset:         112
        .size:           8
        .value_kind:     global_buffer
      - .offset:         120
        .size:           4
        .value_kind:     by_value
      - .address_space:  global
        .offset:         128
        .size:           8
        .value_kind:     global_buffer
      - .address_space:  global
        .offset:         136
        .size:           8
        .value_kind:     global_buffer
      - .offset:         144
        .size:           4
        .value_kind:     hidden_block_count_x
      - .offset:         148
        .size:           4
        .value_kind:     hidden_block_count_y
      - .offset:         152
        .size:           4
        .value_kind:     hidden_block_count_z
      - .offset:         156
        .size:           2
        .value_kind:     hidden_group_size_x
      - .offset:         158
        .size:           2
        .value_kind:     hidden_group_size_y
      - .offset:         160
        .size:           2
        .value_kind:     hidden_group_size_z
      - .offset:         162
        .size:           2
        .value_kind:     hidden_remainder_x
      - .offset:         164
        .size:           2
        .value_kind:     hidden_remainder_y
      - .offset:         166
        .size:           2
        .value_kind:     hidden_remainder_z
      - .offset:         184
        .size:           8
        .value_kind:     hidden_global_offset_x
      - .offset:         192
        .size:           8
        .value_kind:     hidden_global_offset_y
      - .offset:         200
        .size:           8
        .value_kind:     hidden_global_offset_z
      - .offset:         208
        .size:           2
        .value_kind:     hidden_grid_dims
    .group_segment_fixed_size: 8192
    .kernarg_segment_align: 8
    .kernarg_segment_size: 400
    .language:       OpenCL C
    .language_version:
      - 2
      - 0
    .max_flat_workgroup_size: 256
    .name:           _Z39paged_attention_ll4mi_QKV_mfma16_kernelI14__hip_bfloat16S0_LN4vllm18Fp8KVCacheDataTypeE0ES0_Li32ELi128ELi256ELb1ELi9EEvPKT_PKT0_S8_ifPKiSA_SA_iPKfiiiPfSD_PS3_PT2_iSC_SC_
    .private_segment_fixed_size: 0
    .sgpr_count:     48
    .sgpr_spill_count: 0
    .symbol:         _Z39paged_attention_ll4mi_QKV_mfma16_kernelI14__hip_bfloat16S0_LN4vllm18Fp8KVCacheDataTypeE0ES0_Li32ELi128ELi256ELb1ELi9EEvPKT_PKT0_S8_ifPKiSA_SA_iPKfiiiPfSD_PS3_PT2_iSC_SC_.kd
    .uniform_work_group_size: 1
    .uses_dynamic_stack: false
    .vgpr_count:     96
    .vgpr_spill_count: 0
    .wavefront_size: 64
  - .agpr_count:     0
    .args:
      - .actual_access:  read_only
        .address_space:  global
        .offset:         0
        .size:           8
        .value_kind:     global_buffer
      - .actual_access:  read_only
        .address_space:  global
        .offset:         8
        .size:           8
        .value_kind:     global_buffer
      - .actual_access:  read_only
        .address_space:  global
        .offset:         16
        .size:           8
        .value_kind:     global_buffer
      - .offset:         24
        .size:           4
        .value_kind:     by_value
      - .offset:         28
        .size:           4
        .value_kind:     by_value
      - .actual_access:  read_only
        .address_space:  global
        .offset:         32
        .size:           8
        .value_kind:     global_buffer
      - .actual_access:  read_only
        .address_space:  global
        .offset:         40
        .size:           8
        .value_kind:     global_buffer
      - .actual_access:  read_only
        .address_space:  global
        .offset:         48
        .size:           8
        .value_kind:     global_buffer
      - .offset:         56
        .size:           4
        .value_kind:     by_value
      - .actual_access:  read_only
        .address_space:  global
        .offset:         64
        .size:           8
        .value_kind:     global_buffer
      - .offset:         72
        .size:           4
        .value_kind:     by_value
      - .offset:         76
        .size:           4
        .value_kind:     by_value
      - .offset:         80
        .size:           4
        .value_kind:     by_value
      - .actual_access:  write_only
        .address_space:  global
        .offset:         88
        .size:           8
        .value_kind:     global_buffer
      - .actual_access:  write_only
        .address_space:  global
        .offset:         96
        .size:           8
        .value_kind:     global_buffer
      - .actual_access:  write_only
        .address_space:  global
        .offset:         104
        .size:           8
        .value_kind:     global_buffer
      - .actual_access:  read_only
        .address_space:  global
        .offset:         112
        .size:           8
        .value_kind:     global_buffer
      - .offset:         120
        .size:           4
        .value_kind:     by_value
      - .address_space:  global
        .offset:         128
        .size:           8
        .value_kind:     global_buffer
      - .address_space:  global
        .offset:         136
        .size:           8
        .value_kind:     global_buffer
      - .offset:         144
        .size:           4
        .value_kind:     hidden_block_count_x
      - .offset:         148
        .size:           4
        .value_kind:     hidden_block_count_y
      - .offset:         152
        .size:           4
        .value_kind:     hidden_block_count_z
      - .offset:         156
        .size:           2
        .value_kind:     hidden_group_size_x
      - .offset:         158
        .size:           2
        .value_kind:     hidden_group_size_y
      - .offset:         160
        .size:           2
        .value_kind:     hidden_group_size_z
      - .offset:         162
        .size:           2
        .value_kind:     hidden_remainder_x
      - .offset:         164
        .size:           2
        .value_kind:     hidden_remainder_y
      - .offset:         166
        .size:           2
        .value_kind:     hidden_remainder_z
      - .offset:         184
        .size:           8
        .value_kind:     hidden_global_offset_x
      - .offset:         192
        .size:           8
        .value_kind:     hidden_global_offset_y
      - .offset:         200
        .size:           8
        .value_kind:     hidden_global_offset_z
      - .offset:         208
        .size:           2
        .value_kind:     hidden_grid_dims
    .group_segment_fixed_size: 8192
    .kernarg_segment_align: 8
    .kernarg_segment_size: 400
    .language:       OpenCL C
    .language_version:
      - 2
      - 0
    .max_flat_workgroup_size: 256
    .name:           _Z39paged_attention_ll4mi_QKV_mfma16_kernelI14__hip_bfloat16S0_LN4vllm18Fp8KVCacheDataTypeE0ES0_Li32ELi128ELi256ELb1ELi10EEvPKT_PKT0_S8_ifPKiSA_SA_iPKfiiiPfSD_PS3_PT2_iSC_SC_
    .private_segment_fixed_size: 0
    .sgpr_count:     48
    .sgpr_spill_count: 0
    .symbol:         _Z39paged_attention_ll4mi_QKV_mfma16_kernelI14__hip_bfloat16S0_LN4vllm18Fp8KVCacheDataTypeE0ES0_Li32ELi128ELi256ELb1ELi10EEvPKT_PKT0_S8_ifPKiSA_SA_iPKfiiiPfSD_PS3_PT2_iSC_SC_.kd
    .uniform_work_group_size: 1
    .uses_dynamic_stack: false
    .vgpr_count:     96
    .vgpr_spill_count: 0
    .wavefront_size: 64
  - .agpr_count:     0
    .args:
      - .actual_access:  read_only
        .address_space:  global
        .offset:         0
        .size:           8
        .value_kind:     global_buffer
      - .actual_access:  read_only
        .address_space:  global
        .offset:         8
        .size:           8
        .value_kind:     global_buffer
      - .actual_access:  read_only
        .address_space:  global
        .offset:         16
        .size:           8
        .value_kind:     global_buffer
      - .offset:         24
        .size:           4
        .value_kind:     by_value
      - .offset:         28
        .size:           4
        .value_kind:     by_value
      - .actual_access:  read_only
        .address_space:  global
        .offset:         32
        .size:           8
        .value_kind:     global_buffer
      - .actual_access:  read_only
        .address_space:  global
        .offset:         40
        .size:           8
        .value_kind:     global_buffer
      - .actual_access:  read_only
        .address_space:  global
        .offset:         48
        .size:           8
        .value_kind:     global_buffer
      - .offset:         56
        .size:           4
        .value_kind:     by_value
      - .actual_access:  read_only
        .address_space:  global
        .offset:         64
        .size:           8
        .value_kind:     global_buffer
      - .offset:         72
        .size:           4
        .value_kind:     by_value
      - .offset:         76
        .size:           4
        .value_kind:     by_value
      - .offset:         80
        .size:           4
        .value_kind:     by_value
      - .actual_access:  write_only
        .address_space:  global
        .offset:         88
        .size:           8
        .value_kind:     global_buffer
      - .actual_access:  write_only
        .address_space:  global
        .offset:         96
        .size:           8
        .value_kind:     global_buffer
      - .actual_access:  write_only
        .address_space:  global
        .offset:         104
        .size:           8
        .value_kind:     global_buffer
      - .actual_access:  read_only
        .address_space:  global
        .offset:         112
        .size:           8
        .value_kind:     global_buffer
      - .offset:         120
        .size:           4
        .value_kind:     by_value
      - .address_space:  global
        .offset:         128
        .size:           8
        .value_kind:     global_buffer
      - .address_space:  global
        .offset:         136
        .size:           8
        .value_kind:     global_buffer
      - .offset:         144
        .size:           4
        .value_kind:     hidden_block_count_x
      - .offset:         148
        .size:           4
        .value_kind:     hidden_block_count_y
      - .offset:         152
        .size:           4
        .value_kind:     hidden_block_count_z
      - .offset:         156
        .size:           2
        .value_kind:     hidden_group_size_x
      - .offset:         158
        .size:           2
        .value_kind:     hidden_group_size_y
      - .offset:         160
        .size:           2
        .value_kind:     hidden_group_size_z
      - .offset:         162
        .size:           2
        .value_kind:     hidden_remainder_x
      - .offset:         164
        .size:           2
        .value_kind:     hidden_remainder_y
      - .offset:         166
        .size:           2
        .value_kind:     hidden_remainder_z
      - .offset:         184
        .size:           8
        .value_kind:     hidden_global_offset_x
      - .offset:         192
        .size:           8
        .value_kind:     hidden_global_offset_y
      - .offset:         200
        .size:           8
        .value_kind:     hidden_global_offset_z
      - .offset:         208
        .size:           2
        .value_kind:     hidden_grid_dims
    .group_segment_fixed_size: 8192
    .kernarg_segment_align: 8
    .kernarg_segment_size: 400
    .language:       OpenCL C
    .language_version:
      - 2
      - 0
    .max_flat_workgroup_size: 256
    .name:           _Z39paged_attention_ll4mi_QKV_mfma16_kernelI14__hip_bfloat16S0_LN4vllm18Fp8KVCacheDataTypeE0ES0_Li32ELi128ELi256ELb1ELi11EEvPKT_PKT0_S8_ifPKiSA_SA_iPKfiiiPfSD_PS3_PT2_iSC_SC_
    .private_segment_fixed_size: 0
    .sgpr_count:     48
    .sgpr_spill_count: 0
    .symbol:         _Z39paged_attention_ll4mi_QKV_mfma16_kernelI14__hip_bfloat16S0_LN4vllm18Fp8KVCacheDataTypeE0ES0_Li32ELi128ELi256ELb1ELi11EEvPKT_PKT0_S8_ifPKiSA_SA_iPKfiiiPfSD_PS3_PT2_iSC_SC_.kd
    .uniform_work_group_size: 1
    .uses_dynamic_stack: false
    .vgpr_count:     96
    .vgpr_spill_count: 0
    .wavefront_size: 64
  - .agpr_count:     0
    .args:
      - .actual_access:  read_only
        .address_space:  global
        .offset:         0
        .size:           8
        .value_kind:     global_buffer
      - .actual_access:  read_only
        .address_space:  global
        .offset:         8
        .size:           8
        .value_kind:     global_buffer
      - .actual_access:  read_only
        .address_space:  global
        .offset:         16
        .size:           8
        .value_kind:     global_buffer
      - .offset:         24
        .size:           4
        .value_kind:     by_value
      - .offset:         28
        .size:           4
        .value_kind:     by_value
      - .actual_access:  read_only
        .address_space:  global
        .offset:         32
        .size:           8
        .value_kind:     global_buffer
      - .actual_access:  read_only
        .address_space:  global
        .offset:         40
        .size:           8
        .value_kind:     global_buffer
      - .actual_access:  read_only
        .address_space:  global
        .offset:         48
        .size:           8
        .value_kind:     global_buffer
      - .offset:         56
        .size:           4
        .value_kind:     by_value
      - .actual_access:  read_only
        .address_space:  global
        .offset:         64
        .size:           8
        .value_kind:     global_buffer
      - .offset:         72
        .size:           4
        .value_kind:     by_value
      - .offset:         76
        .size:           4
        .value_kind:     by_value
      - .offset:         80
        .size:           4
        .value_kind:     by_value
      - .actual_access:  write_only
        .address_space:  global
        .offset:         88
        .size:           8
        .value_kind:     global_buffer
      - .actual_access:  write_only
        .address_space:  global
        .offset:         96
        .size:           8
        .value_kind:     global_buffer
      - .actual_access:  write_only
        .address_space:  global
        .offset:         104
        .size:           8
        .value_kind:     global_buffer
      - .actual_access:  read_only
        .address_space:  global
        .offset:         112
        .size:           8
        .value_kind:     global_buffer
      - .offset:         120
        .size:           4
        .value_kind:     by_value
      - .address_space:  global
        .offset:         128
        .size:           8
        .value_kind:     global_buffer
      - .address_space:  global
        .offset:         136
        .size:           8
        .value_kind:     global_buffer
      - .offset:         144
        .size:           4
        .value_kind:     hidden_block_count_x
      - .offset:         148
        .size:           4
        .value_kind:     hidden_block_count_y
      - .offset:         152
        .size:           4
        .value_kind:     hidden_block_count_z
      - .offset:         156
        .size:           2
        .value_kind:     hidden_group_size_x
      - .offset:         158
        .size:           2
        .value_kind:     hidden_group_size_y
      - .offset:         160
        .size:           2
        .value_kind:     hidden_group_size_z
      - .offset:         162
        .size:           2
        .value_kind:     hidden_remainder_x
      - .offset:         164
        .size:           2
        .value_kind:     hidden_remainder_y
      - .offset:         166
        .size:           2
        .value_kind:     hidden_remainder_z
      - .offset:         184
        .size:           8
        .value_kind:     hidden_global_offset_x
      - .offset:         192
        .size:           8
        .value_kind:     hidden_global_offset_y
      - .offset:         200
        .size:           8
        .value_kind:     hidden_global_offset_z
      - .offset:         208
        .size:           2
        .value_kind:     hidden_grid_dims
    .group_segment_fixed_size: 8192
    .kernarg_segment_align: 8
    .kernarg_segment_size: 400
    .language:       OpenCL C
    .language_version:
      - 2
      - 0
    .max_flat_workgroup_size: 256
    .name:           _Z39paged_attention_ll4mi_QKV_mfma16_kernelI14__hip_bfloat16S0_LN4vllm18Fp8KVCacheDataTypeE0ES0_Li32ELi128ELi256ELb1ELi12EEvPKT_PKT0_S8_ifPKiSA_SA_iPKfiiiPfSD_PS3_PT2_iSC_SC_
    .private_segment_fixed_size: 0
    .sgpr_count:     48
    .sgpr_spill_count: 0
    .symbol:         _Z39paged_attention_ll4mi_QKV_mfma16_kernelI14__hip_bfloat16S0_LN4vllm18Fp8KVCacheDataTypeE0ES0_Li32ELi128ELi256ELb1ELi12EEvPKT_PKT0_S8_ifPKiSA_SA_iPKfiiiPfSD_PS3_PT2_iSC_SC_.kd
    .uniform_work_group_size: 1
    .uses_dynamic_stack: false
    .vgpr_count:     96
    .vgpr_spill_count: 0
    .wavefront_size: 64
  - .agpr_count:     0
    .args:
      - .actual_access:  read_only
        .address_space:  global
        .offset:         0
        .size:           8
        .value_kind:     global_buffer
      - .actual_access:  read_only
        .address_space:  global
        .offset:         8
        .size:           8
        .value_kind:     global_buffer
      - .actual_access:  read_only
        .address_space:  global
        .offset:         16
        .size:           8
        .value_kind:     global_buffer
      - .offset:         24
        .size:           4
        .value_kind:     by_value
      - .offset:         28
        .size:           4
        .value_kind:     by_value
      - .actual_access:  read_only
        .address_space:  global
        .offset:         32
        .size:           8
        .value_kind:     global_buffer
      - .actual_access:  read_only
        .address_space:  global
        .offset:         40
        .size:           8
        .value_kind:     global_buffer
      - .actual_access:  read_only
        .address_space:  global
        .offset:         48
        .size:           8
        .value_kind:     global_buffer
      - .offset:         56
        .size:           4
        .value_kind:     by_value
      - .actual_access:  read_only
        .address_space:  global
        .offset:         64
        .size:           8
        .value_kind:     global_buffer
      - .offset:         72
        .size:           4
        .value_kind:     by_value
      - .offset:         76
        .size:           4
        .value_kind:     by_value
      - .offset:         80
        .size:           4
        .value_kind:     by_value
      - .actual_access:  write_only
        .address_space:  global
        .offset:         88
        .size:           8
        .value_kind:     global_buffer
      - .actual_access:  write_only
        .address_space:  global
        .offset:         96
        .size:           8
        .value_kind:     global_buffer
      - .actual_access:  write_only
        .address_space:  global
        .offset:         104
        .size:           8
        .value_kind:     global_buffer
      - .actual_access:  read_only
        .address_space:  global
        .offset:         112
        .size:           8
        .value_kind:     global_buffer
      - .offset:         120
        .size:           4
        .value_kind:     by_value
      - .address_space:  global
        .offset:         128
        .size:           8
        .value_kind:     global_buffer
      - .address_space:  global
        .offset:         136
        .size:           8
        .value_kind:     global_buffer
      - .offset:         144
        .size:           4
        .value_kind:     hidden_block_count_x
      - .offset:         148
        .size:           4
        .value_kind:     hidden_block_count_y
      - .offset:         152
        .size:           4
        .value_kind:     hidden_block_count_z
      - .offset:         156
        .size:           2
        .value_kind:     hidden_group_size_x
      - .offset:         158
        .size:           2
        .value_kind:     hidden_group_size_y
      - .offset:         160
        .size:           2
        .value_kind:     hidden_group_size_z
      - .offset:         162
        .size:           2
        .value_kind:     hidden_remainder_x
      - .offset:         164
        .size:           2
        .value_kind:     hidden_remainder_y
      - .offset:         166
        .size:           2
        .value_kind:     hidden_remainder_z
      - .offset:         184
        .size:           8
        .value_kind:     hidden_global_offset_x
      - .offset:         192
        .size:           8
        .value_kind:     hidden_global_offset_y
      - .offset:         200
        .size:           8
        .value_kind:     hidden_global_offset_z
      - .offset:         208
        .size:           2
        .value_kind:     hidden_grid_dims
    .group_segment_fixed_size: 8192
    .kernarg_segment_align: 8
    .kernarg_segment_size: 400
    .language:       OpenCL C
    .language_version:
      - 2
      - 0
    .max_flat_workgroup_size: 256
    .name:           _Z39paged_attention_ll4mi_QKV_mfma16_kernelI14__hip_bfloat16S0_LN4vllm18Fp8KVCacheDataTypeE0ES0_Li32ELi128ELi256ELb1ELi13EEvPKT_PKT0_S8_ifPKiSA_SA_iPKfiiiPfSD_PS3_PT2_iSC_SC_
    .private_segment_fixed_size: 0
    .sgpr_count:     48
    .sgpr_spill_count: 0
    .symbol:         _Z39paged_attention_ll4mi_QKV_mfma16_kernelI14__hip_bfloat16S0_LN4vllm18Fp8KVCacheDataTypeE0ES0_Li32ELi128ELi256ELb1ELi13EEvPKT_PKT0_S8_ifPKiSA_SA_iPKfiiiPfSD_PS3_PT2_iSC_SC_.kd
    .uniform_work_group_size: 1
    .uses_dynamic_stack: false
    .vgpr_count:     96
    .vgpr_spill_count: 0
    .wavefront_size: 64
  - .agpr_count:     0
    .args:
      - .actual_access:  read_only
        .address_space:  global
        .offset:         0
        .size:           8
        .value_kind:     global_buffer
      - .actual_access:  read_only
        .address_space:  global
        .offset:         8
        .size:           8
        .value_kind:     global_buffer
      - .actual_access:  read_only
        .address_space:  global
        .offset:         16
        .size:           8
        .value_kind:     global_buffer
      - .offset:         24
        .size:           4
        .value_kind:     by_value
      - .offset:         28
        .size:           4
        .value_kind:     by_value
      - .actual_access:  read_only
        .address_space:  global
        .offset:         32
        .size:           8
        .value_kind:     global_buffer
      - .actual_access:  read_only
        .address_space:  global
        .offset:         40
        .size:           8
        .value_kind:     global_buffer
      - .actual_access:  read_only
        .address_space:  global
        .offset:         48
        .size:           8
        .value_kind:     global_buffer
      - .offset:         56
        .size:           4
        .value_kind:     by_value
      - .actual_access:  read_only
        .address_space:  global
        .offset:         64
        .size:           8
        .value_kind:     global_buffer
      - .offset:         72
        .size:           4
        .value_kind:     by_value
      - .offset:         76
        .size:           4
        .value_kind:     by_value
      - .offset:         80
        .size:           4
        .value_kind:     by_value
      - .actual_access:  write_only
        .address_space:  global
        .offset:         88
        .size:           8
        .value_kind:     global_buffer
      - .actual_access:  write_only
        .address_space:  global
        .offset:         96
        .size:           8
        .value_kind:     global_buffer
      - .actual_access:  write_only
        .address_space:  global
        .offset:         104
        .size:           8
        .value_kind:     global_buffer
      - .actual_access:  read_only
        .address_space:  global
        .offset:         112
        .size:           8
        .value_kind:     global_buffer
      - .offset:         120
        .size:           4
        .value_kind:     by_value
      - .address_space:  global
        .offset:         128
        .size:           8
        .value_kind:     global_buffer
      - .address_space:  global
        .offset:         136
        .size:           8
        .value_kind:     global_buffer
      - .offset:         144
        .size:           4
        .value_kind:     hidden_block_count_x
      - .offset:         148
        .size:           4
        .value_kind:     hidden_block_count_y
      - .offset:         152
        .size:           4
        .value_kind:     hidden_block_count_z
      - .offset:         156
        .size:           2
        .value_kind:     hidden_group_size_x
      - .offset:         158
        .size:           2
        .value_kind:     hidden_group_size_y
      - .offset:         160
        .size:           2
        .value_kind:     hidden_group_size_z
      - .offset:         162
        .size:           2
        .value_kind:     hidden_remainder_x
      - .offset:         164
        .size:           2
        .value_kind:     hidden_remainder_y
      - .offset:         166
        .size:           2
        .value_kind:     hidden_remainder_z
      - .offset:         184
        .size:           8
        .value_kind:     hidden_global_offset_x
      - .offset:         192
        .size:           8
        .value_kind:     hidden_global_offset_y
      - .offset:         200
        .size:           8
        .value_kind:     hidden_global_offset_z
      - .offset:         208
        .size:           2
        .value_kind:     hidden_grid_dims
    .group_segment_fixed_size: 8192
    .kernarg_segment_align: 8
    .kernarg_segment_size: 400
    .language:       OpenCL C
    .language_version:
      - 2
      - 0
    .max_flat_workgroup_size: 256
    .name:           _Z39paged_attention_ll4mi_QKV_mfma16_kernelI14__hip_bfloat16S0_LN4vllm18Fp8KVCacheDataTypeE0ES0_Li32ELi128ELi256ELb1ELi14EEvPKT_PKT0_S8_ifPKiSA_SA_iPKfiiiPfSD_PS3_PT2_iSC_SC_
    .private_segment_fixed_size: 0
    .sgpr_count:     48
    .sgpr_spill_count: 0
    .symbol:         _Z39paged_attention_ll4mi_QKV_mfma16_kernelI14__hip_bfloat16S0_LN4vllm18Fp8KVCacheDataTypeE0ES0_Li32ELi128ELi256ELb1ELi14EEvPKT_PKT0_S8_ifPKiSA_SA_iPKfiiiPfSD_PS3_PT2_iSC_SC_.kd
    .uniform_work_group_size: 1
    .uses_dynamic_stack: false
    .vgpr_count:     96
    .vgpr_spill_count: 0
    .wavefront_size: 64
  - .agpr_count:     0
    .args:
      - .actual_access:  read_only
        .address_space:  global
        .offset:         0
        .size:           8
        .value_kind:     global_buffer
      - .actual_access:  read_only
        .address_space:  global
        .offset:         8
        .size:           8
        .value_kind:     global_buffer
      - .actual_access:  read_only
        .address_space:  global
        .offset:         16
        .size:           8
        .value_kind:     global_buffer
      - .offset:         24
        .size:           4
        .value_kind:     by_value
      - .offset:         28
        .size:           4
        .value_kind:     by_value
      - .actual_access:  read_only
        .address_space:  global
        .offset:         32
        .size:           8
        .value_kind:     global_buffer
      - .actual_access:  read_only
        .address_space:  global
        .offset:         40
        .size:           8
        .value_kind:     global_buffer
      - .actual_access:  read_only
        .address_space:  global
        .offset:         48
        .size:           8
        .value_kind:     global_buffer
      - .offset:         56
        .size:           4
        .value_kind:     by_value
      - .actual_access:  read_only
        .address_space:  global
        .offset:         64
        .size:           8
        .value_kind:     global_buffer
      - .offset:         72
        .size:           4
        .value_kind:     by_value
      - .offset:         76
        .size:           4
        .value_kind:     by_value
      - .offset:         80
        .size:           4
        .value_kind:     by_value
      - .actual_access:  write_only
        .address_space:  global
        .offset:         88
        .size:           8
        .value_kind:     global_buffer
      - .actual_access:  write_only
        .address_space:  global
        .offset:         96
        .size:           8
        .value_kind:     global_buffer
      - .actual_access:  write_only
        .address_space:  global
        .offset:         104
        .size:           8
        .value_kind:     global_buffer
      - .actual_access:  read_only
        .address_space:  global
        .offset:         112
        .size:           8
        .value_kind:     global_buffer
      - .offset:         120
        .size:           4
        .value_kind:     by_value
      - .address_space:  global
        .offset:         128
        .size:           8
        .value_kind:     global_buffer
      - .address_space:  global
        .offset:         136
        .size:           8
        .value_kind:     global_buffer
      - .offset:         144
        .size:           4
        .value_kind:     hidden_block_count_x
      - .offset:         148
        .size:           4
        .value_kind:     hidden_block_count_y
      - .offset:         152
        .size:           4
        .value_kind:     hidden_block_count_z
      - .offset:         156
        .size:           2
        .value_kind:     hidden_group_size_x
      - .offset:         158
        .size:           2
        .value_kind:     hidden_group_size_y
      - .offset:         160
        .size:           2
        .value_kind:     hidden_group_size_z
      - .offset:         162
        .size:           2
        .value_kind:     hidden_remainder_x
      - .offset:         164
        .size:           2
        .value_kind:     hidden_remainder_y
      - .offset:         166
        .size:           2
        .value_kind:     hidden_remainder_z
      - .offset:         184
        .size:           8
        .value_kind:     hidden_global_offset_x
      - .offset:         192
        .size:           8
        .value_kind:     hidden_global_offset_y
      - .offset:         200
        .size:           8
        .value_kind:     hidden_global_offset_z
      - .offset:         208
        .size:           2
        .value_kind:     hidden_grid_dims
    .group_segment_fixed_size: 8192
    .kernarg_segment_align: 8
    .kernarg_segment_size: 400
    .language:       OpenCL C
    .language_version:
      - 2
      - 0
    .max_flat_workgroup_size: 256
    .name:           _Z39paged_attention_ll4mi_QKV_mfma16_kernelI14__hip_bfloat16S0_LN4vllm18Fp8KVCacheDataTypeE0ES0_Li32ELi128ELi256ELb1ELi15EEvPKT_PKT0_S8_ifPKiSA_SA_iPKfiiiPfSD_PS3_PT2_iSC_SC_
    .private_segment_fixed_size: 0
    .sgpr_count:     48
    .sgpr_spill_count: 0
    .symbol:         _Z39paged_attention_ll4mi_QKV_mfma16_kernelI14__hip_bfloat16S0_LN4vllm18Fp8KVCacheDataTypeE0ES0_Li32ELi128ELi256ELb1ELi15EEvPKT_PKT0_S8_ifPKiSA_SA_iPKfiiiPfSD_PS3_PT2_iSC_SC_.kd
    .uniform_work_group_size: 1
    .uses_dynamic_stack: false
    .vgpr_count:     96
    .vgpr_spill_count: 0
    .wavefront_size: 64
  - .agpr_count:     0
    .args:
      - .actual_access:  read_only
        .address_space:  global
        .offset:         0
        .size:           8
        .value_kind:     global_buffer
      - .actual_access:  read_only
        .address_space:  global
        .offset:         8
        .size:           8
        .value_kind:     global_buffer
      - .actual_access:  read_only
        .address_space:  global
        .offset:         16
        .size:           8
        .value_kind:     global_buffer
      - .offset:         24
        .size:           4
        .value_kind:     by_value
      - .offset:         28
        .size:           4
        .value_kind:     by_value
      - .actual_access:  read_only
        .address_space:  global
        .offset:         32
        .size:           8
        .value_kind:     global_buffer
      - .actual_access:  read_only
        .address_space:  global
        .offset:         40
        .size:           8
        .value_kind:     global_buffer
      - .actual_access:  read_only
        .address_space:  global
        .offset:         48
        .size:           8
        .value_kind:     global_buffer
      - .offset:         56
        .size:           4
        .value_kind:     by_value
      - .actual_access:  read_only
        .address_space:  global
        .offset:         64
        .size:           8
        .value_kind:     global_buffer
      - .offset:         72
        .size:           4
        .value_kind:     by_value
      - .offset:         76
        .size:           4
        .value_kind:     by_value
      - .offset:         80
        .size:           4
        .value_kind:     by_value
      - .actual_access:  write_only
        .address_space:  global
        .offset:         88
        .size:           8
        .value_kind:     global_buffer
      - .actual_access:  write_only
        .address_space:  global
        .offset:         96
        .size:           8
        .value_kind:     global_buffer
      - .actual_access:  write_only
        .address_space:  global
        .offset:         104
        .size:           8
        .value_kind:     global_buffer
      - .actual_access:  read_only
        .address_space:  global
        .offset:         112
        .size:           8
        .value_kind:     global_buffer
      - .offset:         120
        .size:           4
        .value_kind:     by_value
      - .address_space:  global
        .offset:         128
        .size:           8
        .value_kind:     global_buffer
      - .address_space:  global
        .offset:         136
        .size:           8
        .value_kind:     global_buffer
      - .offset:         144
        .size:           4
        .value_kind:     hidden_block_count_x
      - .offset:         148
        .size:           4
        .value_kind:     hidden_block_count_y
      - .offset:         152
        .size:           4
        .value_kind:     hidden_block_count_z
      - .offset:         156
        .size:           2
        .value_kind:     hidden_group_size_x
      - .offset:         158
        .size:           2
        .value_kind:     hidden_group_size_y
      - .offset:         160
        .size:           2
        .value_kind:     hidden_group_size_z
      - .offset:         162
        .size:           2
        .value_kind:     hidden_remainder_x
      - .offset:         164
        .size:           2
        .value_kind:     hidden_remainder_y
      - .offset:         166
        .size:           2
        .value_kind:     hidden_remainder_z
      - .offset:         184
        .size:           8
        .value_kind:     hidden_global_offset_x
      - .offset:         192
        .size:           8
        .value_kind:     hidden_global_offset_y
      - .offset:         200
        .size:           8
        .value_kind:     hidden_global_offset_z
      - .offset:         208
        .size:           2
        .value_kind:     hidden_grid_dims
    .group_segment_fixed_size: 8192
    .kernarg_segment_align: 8
    .kernarg_segment_size: 400
    .language:       OpenCL C
    .language_version:
      - 2
      - 0
    .max_flat_workgroup_size: 256
    .name:           _Z39paged_attention_ll4mi_QKV_mfma16_kernelI14__hip_bfloat16S0_LN4vllm18Fp8KVCacheDataTypeE0ES0_Li32ELi128ELi256ELb1ELi16EEvPKT_PKT0_S8_ifPKiSA_SA_iPKfiiiPfSD_PS3_PT2_iSC_SC_
    .private_segment_fixed_size: 12
    .sgpr_count:     47
    .sgpr_spill_count: 0
    .symbol:         _Z39paged_attention_ll4mi_QKV_mfma16_kernelI14__hip_bfloat16S0_LN4vllm18Fp8KVCacheDataTypeE0ES0_Li32ELi128ELi256ELb1ELi16EEvPKT_PKT0_S8_ifPKiSA_SA_iPKfiiiPfSD_PS3_PT2_iSC_SC_.kd
    .uniform_work_group_size: 1
    .uses_dynamic_stack: false
    .vgpr_count:     96
    .vgpr_spill_count: 2
    .wavefront_size: 64
  - .agpr_count:     0
    .args:
      - .actual_access:  read_only
        .address_space:  global
        .offset:         0
        .size:           8
        .value_kind:     global_buffer
      - .actual_access:  read_only
        .address_space:  global
        .offset:         8
        .size:           8
        .value_kind:     global_buffer
      - .actual_access:  read_only
        .address_space:  global
        .offset:         16
        .size:           8
        .value_kind:     global_buffer
      - .offset:         24
        .size:           4
        .value_kind:     by_value
      - .offset:         28
        .size:           4
        .value_kind:     by_value
      - .actual_access:  read_only
        .address_space:  global
        .offset:         32
        .size:           8
        .value_kind:     global_buffer
      - .actual_access:  read_only
        .address_space:  global
        .offset:         40
        .size:           8
        .value_kind:     global_buffer
      - .actual_access:  read_only
        .address_space:  global
        .offset:         48
        .size:           8
        .value_kind:     global_buffer
      - .offset:         56
        .size:           4
        .value_kind:     by_value
      - .actual_access:  read_only
        .address_space:  global
        .offset:         64
        .size:           8
        .value_kind:     global_buffer
      - .offset:         72
        .size:           4
        .value_kind:     by_value
      - .offset:         76
        .size:           4
        .value_kind:     by_value
      - .offset:         80
        .size:           4
        .value_kind:     by_value
      - .actual_access:  write_only
        .address_space:  global
        .offset:         88
        .size:           8
        .value_kind:     global_buffer
      - .actual_access:  write_only
        .address_space:  global
        .offset:         96
        .size:           8
        .value_kind:     global_buffer
      - .actual_access:  write_only
        .address_space:  global
        .offset:         104
        .size:           8
        .value_kind:     global_buffer
      - .actual_access:  read_only
        .address_space:  global
        .offset:         112
        .size:           8
        .value_kind:     global_buffer
      - .offset:         120
        .size:           4
        .value_kind:     by_value
      - .address_space:  global
        .offset:         128
        .size:           8
        .value_kind:     global_buffer
      - .address_space:  global
        .offset:         136
        .size:           8
        .value_kind:     global_buffer
      - .offset:         144
        .size:           4
        .value_kind:     hidden_block_count_x
      - .offset:         148
        .size:           4
        .value_kind:     hidden_block_count_y
      - .offset:         152
        .size:           4
        .value_kind:     hidden_block_count_z
      - .offset:         156
        .size:           2
        .value_kind:     hidden_group_size_x
      - .offset:         158
        .size:           2
        .value_kind:     hidden_group_size_y
      - .offset:         160
        .size:           2
        .value_kind:     hidden_group_size_z
      - .offset:         162
        .size:           2
        .value_kind:     hidden_remainder_x
      - .offset:         164
        .size:           2
        .value_kind:     hidden_remainder_y
      - .offset:         166
        .size:           2
        .value_kind:     hidden_remainder_z
      - .offset:         184
        .size:           8
        .value_kind:     hidden_global_offset_x
      - .offset:         192
        .size:           8
        .value_kind:     hidden_global_offset_y
      - .offset:         200
        .size:           8
        .value_kind:     hidden_global_offset_z
      - .offset:         208
        .size:           2
        .value_kind:     hidden_grid_dims
    .group_segment_fixed_size: 8192
    .kernarg_segment_align: 8
    .kernarg_segment_size: 400
    .language:       OpenCL C
    .language_version:
      - 2
      - 0
    .max_flat_workgroup_size: 256
    .name:           _Z39paged_attention_ll4mi_QKV_mfma16_kernelI14__hip_bfloat16S0_LN4vllm18Fp8KVCacheDataTypeE0ES0_Li32ELi128ELi256ELb1ELi1EEvPKT_PKT0_S8_ifPKiSA_SA_iPKfiiiPfSD_PS3_PT2_iSC_SC_
    .private_segment_fixed_size: 12
    .sgpr_count:     48
    .sgpr_spill_count: 0
    .symbol:         _Z39paged_attention_ll4mi_QKV_mfma16_kernelI14__hip_bfloat16S0_LN4vllm18Fp8KVCacheDataTypeE0ES0_Li32ELi128ELi256ELb1ELi1EEvPKT_PKT0_S8_ifPKiSA_SA_iPKfiiiPfSD_PS3_PT2_iSC_SC_.kd
    .uniform_work_group_size: 1
    .uses_dynamic_stack: false
    .vgpr_count:     96
    .vgpr_spill_count: 2
    .wavefront_size: 64
  - .agpr_count:     0
    .args:
      - .actual_access:  read_only
        .address_space:  global
        .offset:         0
        .size:           8
        .value_kind:     global_buffer
      - .actual_access:  read_only
        .address_space:  global
        .offset:         8
        .size:           8
        .value_kind:     global_buffer
      - .actual_access:  read_only
        .address_space:  global
        .offset:         16
        .size:           8
        .value_kind:     global_buffer
      - .offset:         24
        .size:           4
        .value_kind:     by_value
      - .offset:         28
        .size:           4
        .value_kind:     by_value
      - .actual_access:  read_only
        .address_space:  global
        .offset:         32
        .size:           8
        .value_kind:     global_buffer
      - .actual_access:  read_only
        .address_space:  global
        .offset:         40
        .size:           8
        .value_kind:     global_buffer
      - .actual_access:  read_only
        .address_space:  global
        .offset:         48
        .size:           8
        .value_kind:     global_buffer
      - .offset:         56
        .size:           4
        .value_kind:     by_value
      - .actual_access:  read_only
        .address_space:  global
        .offset:         64
        .size:           8
        .value_kind:     global_buffer
      - .offset:         72
        .size:           4
        .value_kind:     by_value
      - .offset:         76
        .size:           4
        .value_kind:     by_value
      - .offset:         80
        .size:           4
        .value_kind:     by_value
      - .actual_access:  write_only
        .address_space:  global
        .offset:         88
        .size:           8
        .value_kind:     global_buffer
      - .actual_access:  write_only
        .address_space:  global
        .offset:         96
        .size:           8
        .value_kind:     global_buffer
      - .actual_access:  write_only
        .address_space:  global
        .offset:         104
        .size:           8
        .value_kind:     global_buffer
      - .actual_access:  read_only
        .address_space:  global
        .offset:         112
        .size:           8
        .value_kind:     global_buffer
      - .offset:         120
        .size:           4
        .value_kind:     by_value
      - .address_space:  global
        .offset:         128
        .size:           8
        .value_kind:     global_buffer
      - .address_space:  global
        .offset:         136
        .size:           8
        .value_kind:     global_buffer
      - .offset:         144
        .size:           4
        .value_kind:     hidden_block_count_x
      - .offset:         148
        .size:           4
        .value_kind:     hidden_block_count_y
      - .offset:         152
        .size:           4
        .value_kind:     hidden_block_count_z
      - .offset:         156
        .size:           2
        .value_kind:     hidden_group_size_x
      - .offset:         158
        .size:           2
        .value_kind:     hidden_group_size_y
      - .offset:         160
        .size:           2
        .value_kind:     hidden_group_size_z
      - .offset:         162
        .size:           2
        .value_kind:     hidden_remainder_x
      - .offset:         164
        .size:           2
        .value_kind:     hidden_remainder_y
      - .offset:         166
        .size:           2
        .value_kind:     hidden_remainder_z
      - .offset:         184
        .size:           8
        .value_kind:     hidden_global_offset_x
      - .offset:         192
        .size:           8
        .value_kind:     hidden_global_offset_y
      - .offset:         200
        .size:           8
        .value_kind:     hidden_global_offset_z
      - .offset:         208
        .size:           2
        .value_kind:     hidden_grid_dims
    .group_segment_fixed_size: 8192
    .kernarg_segment_align: 8
    .kernarg_segment_size: 400
    .language:       OpenCL C
    .language_version:
      - 2
      - 0
    .max_flat_workgroup_size: 256
    .name:           _Z39paged_attention_ll4mi_QKV_mfma16_kernelI14__hip_bfloat16S0_LN4vllm18Fp8KVCacheDataTypeE0ES0_Li32ELi128ELi256ELb1ELi2EEvPKT_PKT0_S8_ifPKiSA_SA_iPKfiiiPfSD_PS3_PT2_iSC_SC_
    .private_segment_fixed_size: 0
    .sgpr_count:     47
    .sgpr_spill_count: 0
    .symbol:         _Z39paged_attention_ll4mi_QKV_mfma16_kernelI14__hip_bfloat16S0_LN4vllm18Fp8KVCacheDataTypeE0ES0_Li32ELi128ELi256ELb1ELi2EEvPKT_PKT0_S8_ifPKiSA_SA_iPKfiiiPfSD_PS3_PT2_iSC_SC_.kd
    .uniform_work_group_size: 1
    .uses_dynamic_stack: false
    .vgpr_count:     96
    .vgpr_spill_count: 0
    .wavefront_size: 64
  - .agpr_count:     0
    .args:
      - .actual_access:  read_only
        .address_space:  global
        .offset:         0
        .size:           8
        .value_kind:     global_buffer
      - .actual_access:  read_only
        .address_space:  global
        .offset:         8
        .size:           8
        .value_kind:     global_buffer
      - .actual_access:  read_only
        .address_space:  global
        .offset:         16
        .size:           8
        .value_kind:     global_buffer
      - .offset:         24
        .size:           4
        .value_kind:     by_value
      - .offset:         28
        .size:           4
        .value_kind:     by_value
      - .actual_access:  read_only
        .address_space:  global
        .offset:         32
        .size:           8
        .value_kind:     global_buffer
      - .actual_access:  read_only
        .address_space:  global
        .offset:         40
        .size:           8
        .value_kind:     global_buffer
      - .actual_access:  read_only
        .address_space:  global
        .offset:         48
        .size:           8
        .value_kind:     global_buffer
      - .offset:         56
        .size:           4
        .value_kind:     by_value
      - .actual_access:  read_only
        .address_space:  global
        .offset:         64
        .size:           8
        .value_kind:     global_buffer
      - .offset:         72
        .size:           4
        .value_kind:     by_value
      - .offset:         76
        .size:           4
        .value_kind:     by_value
      - .offset:         80
        .size:           4
        .value_kind:     by_value
      - .actual_access:  write_only
        .address_space:  global
        .offset:         88
        .size:           8
        .value_kind:     global_buffer
      - .actual_access:  write_only
        .address_space:  global
        .offset:         96
        .size:           8
        .value_kind:     global_buffer
      - .actual_access:  write_only
        .address_space:  global
        .offset:         104
        .size:           8
        .value_kind:     global_buffer
      - .actual_access:  read_only
        .address_space:  global
        .offset:         112
        .size:           8
        .value_kind:     global_buffer
      - .offset:         120
        .size:           4
        .value_kind:     by_value
      - .address_space:  global
        .offset:         128
        .size:           8
        .value_kind:     global_buffer
      - .address_space:  global
        .offset:         136
        .size:           8
        .value_kind:     global_buffer
      - .offset:         144
        .size:           4
        .value_kind:     hidden_block_count_x
      - .offset:         148
        .size:           4
        .value_kind:     hidden_block_count_y
      - .offset:         152
        .size:           4
        .value_kind:     hidden_block_count_z
      - .offset:         156
        .size:           2
        .value_kind:     hidden_group_size_x
      - .offset:         158
        .size:           2
        .value_kind:     hidden_group_size_y
      - .offset:         160
        .size:           2
        .value_kind:     hidden_group_size_z
      - .offset:         162
        .size:           2
        .value_kind:     hidden_remainder_x
      - .offset:         164
        .size:           2
        .value_kind:     hidden_remainder_y
      - .offset:         166
        .size:           2
        .value_kind:     hidden_remainder_z
      - .offset:         184
        .size:           8
        .value_kind:     hidden_global_offset_x
      - .offset:         192
        .size:           8
        .value_kind:     hidden_global_offset_y
      - .offset:         200
        .size:           8
        .value_kind:     hidden_global_offset_z
      - .offset:         208
        .size:           2
        .value_kind:     hidden_grid_dims
    .group_segment_fixed_size: 8192
    .kernarg_segment_align: 8
    .kernarg_segment_size: 400
    .language:       OpenCL C
    .language_version:
      - 2
      - 0
    .max_flat_workgroup_size: 256
    .name:           _Z39paged_attention_ll4mi_QKV_mfma16_kernelI14__hip_bfloat16S0_LN4vllm18Fp8KVCacheDataTypeE0ES0_Li32ELi128ELi256ELb1ELi3EEvPKT_PKT0_S8_ifPKiSA_SA_iPKfiiiPfSD_PS3_PT2_iSC_SC_
    .private_segment_fixed_size: 8
    .sgpr_count:     48
    .sgpr_spill_count: 0
    .symbol:         _Z39paged_attention_ll4mi_QKV_mfma16_kernelI14__hip_bfloat16S0_LN4vllm18Fp8KVCacheDataTypeE0ES0_Li32ELi128ELi256ELb1ELi3EEvPKT_PKT0_S8_ifPKiSA_SA_iPKfiiiPfSD_PS3_PT2_iSC_SC_.kd
    .uniform_work_group_size: 1
    .uses_dynamic_stack: false
    .vgpr_count:     96
    .vgpr_spill_count: 1
    .wavefront_size: 64
  - .agpr_count:     0
    .args:
      - .actual_access:  read_only
        .address_space:  global
        .offset:         0
        .size:           8
        .value_kind:     global_buffer
      - .actual_access:  read_only
        .address_space:  global
        .offset:         8
        .size:           8
        .value_kind:     global_buffer
      - .actual_access:  read_only
        .address_space:  global
        .offset:         16
        .size:           8
        .value_kind:     global_buffer
      - .offset:         24
        .size:           4
        .value_kind:     by_value
      - .offset:         28
        .size:           4
        .value_kind:     by_value
      - .actual_access:  read_only
        .address_space:  global
        .offset:         32
        .size:           8
        .value_kind:     global_buffer
      - .actual_access:  read_only
        .address_space:  global
        .offset:         40
        .size:           8
        .value_kind:     global_buffer
      - .actual_access:  read_only
        .address_space:  global
        .offset:         48
        .size:           8
        .value_kind:     global_buffer
      - .offset:         56
        .size:           4
        .value_kind:     by_value
      - .actual_access:  read_only
        .address_space:  global
        .offset:         64
        .size:           8
        .value_kind:     global_buffer
      - .offset:         72
        .size:           4
        .value_kind:     by_value
      - .offset:         76
        .size:           4
        .value_kind:     by_value
      - .offset:         80
        .size:           4
        .value_kind:     by_value
      - .actual_access:  write_only
        .address_space:  global
        .offset:         88
        .size:           8
        .value_kind:     global_buffer
      - .actual_access:  write_only
        .address_space:  global
        .offset:         96
        .size:           8
        .value_kind:     global_buffer
      - .actual_access:  write_only
        .address_space:  global
        .offset:         104
        .size:           8
        .value_kind:     global_buffer
      - .actual_access:  read_only
        .address_space:  global
        .offset:         112
        .size:           8
        .value_kind:     global_buffer
      - .offset:         120
        .size:           4
        .value_kind:     by_value
      - .address_space:  global
        .offset:         128
        .size:           8
        .value_kind:     global_buffer
      - .address_space:  global
        .offset:         136
        .size:           8
        .value_kind:     global_buffer
      - .offset:         144
        .size:           4
        .value_kind:     hidden_block_count_x
      - .offset:         148
        .size:           4
        .value_kind:     hidden_block_count_y
      - .offset:         152
        .size:           4
        .value_kind:     hidden_block_count_z
      - .offset:         156
        .size:           2
        .value_kind:     hidden_group_size_x
      - .offset:         158
        .size:           2
        .value_kind:     hidden_group_size_y
      - .offset:         160
        .size:           2
        .value_kind:     hidden_group_size_z
      - .offset:         162
        .size:           2
        .value_kind:     hidden_remainder_x
      - .offset:         164
        .size:           2
        .value_kind:     hidden_remainder_y
      - .offset:         166
        .size:           2
        .value_kind:     hidden_remainder_z
      - .offset:         184
        .size:           8
        .value_kind:     hidden_global_offset_x
      - .offset:         192
        .size:           8
        .value_kind:     hidden_global_offset_y
      - .offset:         200
        .size:           8
        .value_kind:     hidden_global_offset_z
      - .offset:         208
        .size:           2
        .value_kind:     hidden_grid_dims
    .group_segment_fixed_size: 8192
    .kernarg_segment_align: 8
    .kernarg_segment_size: 400
    .language:       OpenCL C
    .language_version:
      - 2
      - 0
    .max_flat_workgroup_size: 256
    .name:           _Z39paged_attention_ll4mi_QKV_mfma16_kernelI14__hip_bfloat16S0_LN4vllm18Fp8KVCacheDataTypeE0ES0_Li32ELi128ELi256ELb1ELi4EEvPKT_PKT0_S8_ifPKiSA_SA_iPKfiiiPfSD_PS3_PT2_iSC_SC_
    .private_segment_fixed_size: 12
    .sgpr_count:     49
    .sgpr_spill_count: 0
    .symbol:         _Z39paged_attention_ll4mi_QKV_mfma16_kernelI14__hip_bfloat16S0_LN4vllm18Fp8KVCacheDataTypeE0ES0_Li32ELi128ELi256ELb1ELi4EEvPKT_PKT0_S8_ifPKiSA_SA_iPKfiiiPfSD_PS3_PT2_iSC_SC_.kd
    .uniform_work_group_size: 1
    .uses_dynamic_stack: false
    .vgpr_count:     96
    .vgpr_spill_count: 2
    .wavefront_size: 64
  - .agpr_count:     8
    .args:
      - .actual_access:  read_only
        .address_space:  global
        .offset:         0
        .size:           8
        .value_kind:     global_buffer
      - .actual_access:  read_only
        .address_space:  global
        .offset:         8
        .size:           8
        .value_kind:     global_buffer
      - .actual_access:  read_only
        .address_space:  global
        .offset:         16
        .size:           8
        .value_kind:     global_buffer
      - .offset:         24
        .size:           4
        .value_kind:     by_value
      - .offset:         28
        .size:           4
        .value_kind:     by_value
      - .actual_access:  read_only
        .address_space:  global
        .offset:         32
        .size:           8
        .value_kind:     global_buffer
      - .actual_access:  read_only
        .address_space:  global
        .offset:         40
        .size:           8
        .value_kind:     global_buffer
      - .actual_access:  read_only
        .address_space:  global
        .offset:         48
        .size:           8
        .value_kind:     global_buffer
      - .offset:         56
        .size:           4
        .value_kind:     by_value
      - .actual_access:  read_only
        .address_space:  global
        .offset:         64
        .size:           8
        .value_kind:     global_buffer
      - .offset:         72
        .size:           4
        .value_kind:     by_value
      - .offset:         76
        .size:           4
        .value_kind:     by_value
      - .offset:         80
        .size:           4
        .value_kind:     by_value
      - .actual_access:  write_only
        .address_space:  global
        .offset:         88
        .size:           8
        .value_kind:     global_buffer
      - .actual_access:  write_only
        .address_space:  global
        .offset:         96
        .size:           8
        .value_kind:     global_buffer
      - .actual_access:  write_only
        .address_space:  global
        .offset:         104
        .size:           8
        .value_kind:     global_buffer
      - .actual_access:  read_only
        .address_space:  global
        .offset:         112
        .size:           8
        .value_kind:     global_buffer
      - .offset:         120
        .size:           4
        .value_kind:     by_value
      - .address_space:  global
        .offset:         128
        .size:           8
        .value_kind:     global_buffer
      - .address_space:  global
        .offset:         136
        .size:           8
        .value_kind:     global_buffer
      - .offset:         144
        .size:           4
        .value_kind:     hidden_block_count_x
      - .offset:         148
        .size:           4
        .value_kind:     hidden_block_count_y
      - .offset:         152
        .size:           4
        .value_kind:     hidden_block_count_z
      - .offset:         156
        .size:           2
        .value_kind:     hidden_group_size_x
      - .offset:         158
        .size:           2
        .value_kind:     hidden_group_size_y
      - .offset:         160
        .size:           2
        .value_kind:     hidden_group_size_z
      - .offset:         162
        .size:           2
        .value_kind:     hidden_remainder_x
      - .offset:         164
        .size:           2
        .value_kind:     hidden_remainder_y
      - .offset:         166
        .size:           2
        .value_kind:     hidden_remainder_z
      - .offset:         184
        .size:           8
        .value_kind:     hidden_global_offset_x
      - .offset:         192
        .size:           8
        .value_kind:     hidden_global_offset_y
      - .offset:         200
        .size:           8
        .value_kind:     hidden_global_offset_z
      - .offset:         208
        .size:           2
        .value_kind:     hidden_grid_dims
    .group_segment_fixed_size: 5280
    .kernarg_segment_align: 8
    .kernarg_segment_size: 400
    .language:       OpenCL C
    .language_version:
      - 2
      - 0
    .max_flat_workgroup_size: 256
    .name:           _Z38paged_attention_ll4mi_QKV_mfma4_kernelI14__hip_bfloat16S0_LN4vllm18Fp8KVCacheDataTypeE0ES0_Li32ELi128ELi256ELb0ELi1EEvPKT_PKT0_S8_ifPKiSA_SA_iPKfiiiPfSD_PS3_PT2_iSC_SC_
    .private_segment_fixed_size: 0
    .sgpr_count:     44
    .sgpr_spill_count: 0
    .symbol:         _Z38paged_attention_ll4mi_QKV_mfma4_kernelI14__hip_bfloat16S0_LN4vllm18Fp8KVCacheDataTypeE0ES0_Li32ELi128ELi256ELb0ELi1EEvPKT_PKT0_S8_ifPKiSA_SA_iPKfiiiPfSD_PS3_PT2_iSC_SC_.kd
    .uniform_work_group_size: 1
    .uses_dynamic_stack: false
    .vgpr_count:     100
    .vgpr_spill_count: 0
    .wavefront_size: 64
  - .agpr_count:     8
    .args:
      - .actual_access:  read_only
        .address_space:  global
        .offset:         0
        .size:           8
        .value_kind:     global_buffer
      - .actual_access:  read_only
        .address_space:  global
        .offset:         8
        .size:           8
        .value_kind:     global_buffer
      - .actual_access:  read_only
        .address_space:  global
        .offset:         16
        .size:           8
        .value_kind:     global_buffer
      - .offset:         24
        .size:           4
        .value_kind:     by_value
      - .offset:         28
        .size:           4
        .value_kind:     by_value
      - .actual_access:  read_only
        .address_space:  global
        .offset:         32
        .size:           8
        .value_kind:     global_buffer
      - .actual_access:  read_only
        .address_space:  global
        .offset:         40
        .size:           8
        .value_kind:     global_buffer
      - .actual_access:  read_only
        .address_space:  global
        .offset:         48
        .size:           8
        .value_kind:     global_buffer
      - .offset:         56
        .size:           4
        .value_kind:     by_value
      - .actual_access:  read_only
        .address_space:  global
        .offset:         64
        .size:           8
        .value_kind:     global_buffer
      - .offset:         72
        .size:           4
        .value_kind:     by_value
      - .offset:         76
        .size:           4
        .value_kind:     by_value
      - .offset:         80
        .size:           4
        .value_kind:     by_value
      - .actual_access:  write_only
        .address_space:  global
        .offset:         88
        .size:           8
        .value_kind:     global_buffer
      - .actual_access:  write_only
        .address_space:  global
        .offset:         96
        .size:           8
        .value_kind:     global_buffer
      - .actual_access:  write_only
        .address_space:  global
        .offset:         104
        .size:           8
        .value_kind:     global_buffer
      - .actual_access:  read_only
        .address_space:  global
        .offset:         112
        .size:           8
        .value_kind:     global_buffer
      - .offset:         120
        .size:           4
        .value_kind:     by_value
      - .address_space:  global
        .offset:         128
        .size:           8
        .value_kind:     global_buffer
      - .address_space:  global
        .offset:         136
        .size:           8
        .value_kind:     global_buffer
      - .offset:         144
        .size:           4
        .value_kind:     hidden_block_count_x
      - .offset:         148
        .size:           4
        .value_kind:     hidden_block_count_y
      - .offset:         152
        .size:           4
        .value_kind:     hidden_block_count_z
      - .offset:         156
        .size:           2
        .value_kind:     hidden_group_size_x
      - .offset:         158
        .size:           2
        .value_kind:     hidden_group_size_y
      - .offset:         160
        .size:           2
        .value_kind:     hidden_group_size_z
      - .offset:         162
        .size:           2
        .value_kind:     hidden_remainder_x
      - .offset:         164
        .size:           2
        .value_kind:     hidden_remainder_y
      - .offset:         166
        .size:           2
        .value_kind:     hidden_remainder_z
      - .offset:         184
        .size:           8
        .value_kind:     hidden_global_offset_x
      - .offset:         192
        .size:           8
        .value_kind:     hidden_global_offset_y
      - .offset:         200
        .size:           8
        .value_kind:     hidden_global_offset_z
      - .offset:         208
        .size:           2
        .value_kind:     hidden_grid_dims
    .group_segment_fixed_size: 5280
    .kernarg_segment_align: 8
    .kernarg_segment_size: 400
    .language:       OpenCL C
    .language_version:
      - 2
      - 0
    .max_flat_workgroup_size: 256
    .name:           _Z38paged_attention_ll4mi_QKV_mfma4_kernelI14__hip_bfloat16S0_LN4vllm18Fp8KVCacheDataTypeE0ES0_Li32ELi128ELi256ELb0ELi2EEvPKT_PKT0_S8_ifPKiSA_SA_iPKfiiiPfSD_PS3_PT2_iSC_SC_
    .private_segment_fixed_size: 0
    .sgpr_count:     44
    .sgpr_spill_count: 0
    .symbol:         _Z38paged_attention_ll4mi_QKV_mfma4_kernelI14__hip_bfloat16S0_LN4vllm18Fp8KVCacheDataTypeE0ES0_Li32ELi128ELi256ELb0ELi2EEvPKT_PKT0_S8_ifPKiSA_SA_iPKfiiiPfSD_PS3_PT2_iSC_SC_.kd
    .uniform_work_group_size: 1
    .uses_dynamic_stack: false
    .vgpr_count:     100
    .vgpr_spill_count: 0
    .wavefront_size: 64
  - .agpr_count:     8
    .args:
      - .actual_access:  read_only
        .address_space:  global
        .offset:         0
        .size:           8
        .value_kind:     global_buffer
      - .actual_access:  read_only
        .address_space:  global
        .offset:         8
        .size:           8
        .value_kind:     global_buffer
      - .actual_access:  read_only
        .address_space:  global
        .offset:         16
        .size:           8
        .value_kind:     global_buffer
      - .offset:         24
        .size:           4
        .value_kind:     by_value
      - .offset:         28
        .size:           4
        .value_kind:     by_value
      - .actual_access:  read_only
        .address_space:  global
        .offset:         32
        .size:           8
        .value_kind:     global_buffer
      - .actual_access:  read_only
        .address_space:  global
        .offset:         40
        .size:           8
        .value_kind:     global_buffer
      - .actual_access:  read_only
        .address_space:  global
        .offset:         48
        .size:           8
        .value_kind:     global_buffer
      - .offset:         56
        .size:           4
        .value_kind:     by_value
      - .actual_access:  read_only
        .address_space:  global
        .offset:         64
        .size:           8
        .value_kind:     global_buffer
      - .offset:         72
        .size:           4
        .value_kind:     by_value
      - .offset:         76
        .size:           4
        .value_kind:     by_value
      - .offset:         80
        .size:           4
        .value_kind:     by_value
      - .actual_access:  write_only
        .address_space:  global
        .offset:         88
        .size:           8
        .value_kind:     global_buffer
      - .actual_access:  write_only
        .address_space:  global
        .offset:         96
        .size:           8
        .value_kind:     global_buffer
      - .actual_access:  write_only
        .address_space:  global
        .offset:         104
        .size:           8
        .value_kind:     global_buffer
      - .actual_access:  read_only
        .address_space:  global
        .offset:         112
        .size:           8
        .value_kind:     global_buffer
      - .offset:         120
        .size:           4
        .value_kind:     by_value
      - .address_space:  global
        .offset:         128
        .size:           8
        .value_kind:     global_buffer
      - .address_space:  global
        .offset:         136
        .size:           8
        .value_kind:     global_buffer
      - .offset:         144
        .size:           4
        .value_kind:     hidden_block_count_x
      - .offset:         148
        .size:           4
        .value_kind:     hidden_block_count_y
      - .offset:         152
        .size:           4
        .value_kind:     hidden_block_count_z
      - .offset:         156
        .size:           2
        .value_kind:     hidden_group_size_x
      - .offset:         158
        .size:           2
        .value_kind:     hidden_group_size_y
      - .offset:         160
        .size:           2
        .value_kind:     hidden_group_size_z
      - .offset:         162
        .size:           2
        .value_kind:     hidden_remainder_x
      - .offset:         164
        .size:           2
        .value_kind:     hidden_remainder_y
      - .offset:         166
        .size:           2
        .value_kind:     hidden_remainder_z
      - .offset:         184
        .size:           8
        .value_kind:     hidden_global_offset_x
      - .offset:         192
        .size:           8
        .value_kind:     hidden_global_offset_y
      - .offset:         200
        .size:           8
        .value_kind:     hidden_global_offset_z
      - .offset:         208
        .size:           2
        .value_kind:     hidden_grid_dims
    .group_segment_fixed_size: 5280
    .kernarg_segment_align: 8
    .kernarg_segment_size: 400
    .language:       OpenCL C
    .language_version:
      - 2
      - 0
    .max_flat_workgroup_size: 256
    .name:           _Z38paged_attention_ll4mi_QKV_mfma4_kernelI14__hip_bfloat16S0_LN4vllm18Fp8KVCacheDataTypeE0ES0_Li32ELi128ELi256ELb0ELi3EEvPKT_PKT0_S8_ifPKiSA_SA_iPKfiiiPfSD_PS3_PT2_iSC_SC_
    .private_segment_fixed_size: 0
    .sgpr_count:     44
    .sgpr_spill_count: 0
    .symbol:         _Z38paged_attention_ll4mi_QKV_mfma4_kernelI14__hip_bfloat16S0_LN4vllm18Fp8KVCacheDataTypeE0ES0_Li32ELi128ELi256ELb0ELi3EEvPKT_PKT0_S8_ifPKiSA_SA_iPKfiiiPfSD_PS3_PT2_iSC_SC_.kd
    .uniform_work_group_size: 1
    .uses_dynamic_stack: false
    .vgpr_count:     100
    .vgpr_spill_count: 0
    .wavefront_size: 64
  - .agpr_count:     8
    .args:
      - .actual_access:  read_only
        .address_space:  global
        .offset:         0
        .size:           8
        .value_kind:     global_buffer
      - .actual_access:  read_only
        .address_space:  global
        .offset:         8
        .size:           8
        .value_kind:     global_buffer
      - .actual_access:  read_only
        .address_space:  global
        .offset:         16
        .size:           8
        .value_kind:     global_buffer
      - .offset:         24
        .size:           4
        .value_kind:     by_value
      - .offset:         28
        .size:           4
        .value_kind:     by_value
      - .actual_access:  read_only
        .address_space:  global
        .offset:         32
        .size:           8
        .value_kind:     global_buffer
      - .actual_access:  read_only
        .address_space:  global
        .offset:         40
        .size:           8
        .value_kind:     global_buffer
      - .actual_access:  read_only
        .address_space:  global
        .offset:         48
        .size:           8
        .value_kind:     global_buffer
      - .offset:         56
        .size:           4
        .value_kind:     by_value
      - .actual_access:  read_only
        .address_space:  global
        .offset:         64
        .size:           8
        .value_kind:     global_buffer
      - .offset:         72
        .size:           4
        .value_kind:     by_value
      - .offset:         76
        .size:           4
        .value_kind:     by_value
      - .offset:         80
        .size:           4
        .value_kind:     by_value
      - .actual_access:  write_only
        .address_space:  global
        .offset:         88
        .size:           8
        .value_kind:     global_buffer
      - .actual_access:  write_only
        .address_space:  global
        .offset:         96
        .size:           8
        .value_kind:     global_buffer
      - .actual_access:  write_only
        .address_space:  global
        .offset:         104
        .size:           8
        .value_kind:     global_buffer
      - .actual_access:  read_only
        .address_space:  global
        .offset:         112
        .size:           8
        .value_kind:     global_buffer
      - .offset:         120
        .size:           4
        .value_kind:     by_value
      - .address_space:  global
        .offset:         128
        .size:           8
        .value_kind:     global_buffer
      - .address_space:  global
        .offset:         136
        .size:           8
        .value_kind:     global_buffer
      - .offset:         144
        .size:           4
        .value_kind:     hidden_block_count_x
      - .offset:         148
        .size:           4
        .value_kind:     hidden_block_count_y
      - .offset:         152
        .size:           4
        .value_kind:     hidden_block_count_z
      - .offset:         156
        .size:           2
        .value_kind:     hidden_group_size_x
      - .offset:         158
        .size:           2
        .value_kind:     hidden_group_size_y
      - .offset:         160
        .size:           2
        .value_kind:     hidden_group_size_z
      - .offset:         162
        .size:           2
        .value_kind:     hidden_remainder_x
      - .offset:         164
        .size:           2
        .value_kind:     hidden_remainder_y
      - .offset:         166
        .size:           2
        .value_kind:     hidden_remainder_z
      - .offset:         184
        .size:           8
        .value_kind:     hidden_global_offset_x
      - .offset:         192
        .size:           8
        .value_kind:     hidden_global_offset_y
      - .offset:         200
        .size:           8
        .value_kind:     hidden_global_offset_z
      - .offset:         208
        .size:           2
        .value_kind:     hidden_grid_dims
    .group_segment_fixed_size: 5280
    .kernarg_segment_align: 8
    .kernarg_segment_size: 400
    .language:       OpenCL C
    .language_version:
      - 2
      - 0
    .max_flat_workgroup_size: 256
    .name:           _Z38paged_attention_ll4mi_QKV_mfma4_kernelI14__hip_bfloat16S0_LN4vllm18Fp8KVCacheDataTypeE0ES0_Li32ELi128ELi256ELb0ELi4EEvPKT_PKT0_S8_ifPKiSA_SA_iPKfiiiPfSD_PS3_PT2_iSC_SC_
    .private_segment_fixed_size: 0
    .sgpr_count:     44
    .sgpr_spill_count: 0
    .symbol:         _Z38paged_attention_ll4mi_QKV_mfma4_kernelI14__hip_bfloat16S0_LN4vllm18Fp8KVCacheDataTypeE0ES0_Li32ELi128ELi256ELb0ELi4EEvPKT_PKT0_S8_ifPKiSA_SA_iPKfiiiPfSD_PS3_PT2_iSC_SC_.kd
    .uniform_work_group_size: 1
    .uses_dynamic_stack: false
    .vgpr_count:     100
    .vgpr_spill_count: 0
    .wavefront_size: 64
  - .agpr_count:     0
    .args:
      - .actual_access:  read_only
        .address_space:  global
        .offset:         0
        .size:           8
        .value_kind:     global_buffer
      - .actual_access:  read_only
        .address_space:  global
        .offset:         8
        .size:           8
        .value_kind:     global_buffer
      - .actual_access:  read_only
        .address_space:  global
        .offset:         16
        .size:           8
        .value_kind:     global_buffer
      - .offset:         24
        .size:           4
        .value_kind:     by_value
      - .offset:         28
        .size:           4
        .value_kind:     by_value
      - .actual_access:  read_only
        .address_space:  global
        .offset:         32
        .size:           8
        .value_kind:     global_buffer
      - .actual_access:  read_only
        .address_space:  global
        .offset:         40
        .size:           8
        .value_kind:     global_buffer
      - .actual_access:  read_only
        .address_space:  global
        .offset:         48
        .size:           8
        .value_kind:     global_buffer
      - .offset:         56
        .size:           4
        .value_kind:     by_value
      - .actual_access:  read_only
        .address_space:  global
        .offset:         64
        .size:           8
        .value_kind:     global_buffer
      - .offset:         72
        .size:           4
        .value_kind:     by_value
      - .offset:         76
        .size:           4
        .value_kind:     by_value
      - .offset:         80
        .size:           4
        .value_kind:     by_value
      - .actual_access:  write_only
        .address_space:  global
        .offset:         88
        .size:           8
        .value_kind:     global_buffer
      - .actual_access:  write_only
        .address_space:  global
        .offset:         96
        .size:           8
        .value_kind:     global_buffer
      - .actual_access:  write_only
        .address_space:  global
        .offset:         104
        .size:           8
        .value_kind:     global_buffer
      - .actual_access:  read_only
        .address_space:  global
        .offset:         112
        .size:           8
        .value_kind:     global_buffer
      - .offset:         120
        .size:           4
        .value_kind:     by_value
      - .address_space:  global
        .offset:         128
        .size:           8
        .value_kind:     global_buffer
      - .address_space:  global
        .offset:         136
        .size:           8
        .value_kind:     global_buffer
      - .offset:         144
        .size:           4
        .value_kind:     hidden_block_count_x
      - .offset:         148
        .size:           4
        .value_kind:     hidden_block_count_y
      - .offset:         152
        .size:           4
        .value_kind:     hidden_block_count_z
      - .offset:         156
        .size:           2
        .value_kind:     hidden_group_size_x
      - .offset:         158
        .size:           2
        .value_kind:     hidden_group_size_y
      - .offset:         160
        .size:           2
        .value_kind:     hidden_group_size_z
      - .offset:         162
        .size:           2
        .value_kind:     hidden_remainder_x
      - .offset:         164
        .size:           2
        .value_kind:     hidden_remainder_y
      - .offset:         166
        .size:           2
        .value_kind:     hidden_remainder_z
      - .offset:         184
        .size:           8
        .value_kind:     hidden_global_offset_x
      - .offset:         192
        .size:           8
        .value_kind:     hidden_global_offset_y
      - .offset:         200
        .size:           8
        .value_kind:     hidden_global_offset_z
      - .offset:         208
        .size:           2
        .value_kind:     hidden_grid_dims
    .group_segment_fixed_size: 8192
    .kernarg_segment_align: 8
    .kernarg_segment_size: 400
    .language:       OpenCL C
    .language_version:
      - 2
      - 0
    .max_flat_workgroup_size: 256
    .name:           _Z39paged_attention_ll4mi_QKV_mfma16_kernelI14__hip_bfloat16S0_LN4vllm18Fp8KVCacheDataTypeE0ES0_Li32ELi128ELi256ELb0ELi5EEvPKT_PKT0_S8_ifPKiSA_SA_iPKfiiiPfSD_PS3_PT2_iSC_SC_
    .private_segment_fixed_size: 0
    .sgpr_count:     48
    .sgpr_spill_count: 0
    .symbol:         _Z39paged_attention_ll4mi_QKV_mfma16_kernelI14__hip_bfloat16S0_LN4vllm18Fp8KVCacheDataTypeE0ES0_Li32ELi128ELi256ELb0ELi5EEvPKT_PKT0_S8_ifPKiSA_SA_iPKfiiiPfSD_PS3_PT2_iSC_SC_.kd
    .uniform_work_group_size: 1
    .uses_dynamic_stack: false
    .vgpr_count:     96
    .vgpr_spill_count: 0
    .wavefront_size: 64
  - .agpr_count:     0
    .args:
      - .actual_access:  read_only
        .address_space:  global
        .offset:         0
        .size:           8
        .value_kind:     global_buffer
      - .actual_access:  read_only
        .address_space:  global
        .offset:         8
        .size:           8
        .value_kind:     global_buffer
      - .actual_access:  read_only
        .address_space:  global
        .offset:         16
        .size:           8
        .value_kind:     global_buffer
      - .offset:         24
        .size:           4
        .value_kind:     by_value
      - .offset:         28
        .size:           4
        .value_kind:     by_value
      - .actual_access:  read_only
        .address_space:  global
        .offset:         32
        .size:           8
        .value_kind:     global_buffer
      - .actual_access:  read_only
        .address_space:  global
        .offset:         40
        .size:           8
        .value_kind:     global_buffer
      - .actual_access:  read_only
        .address_space:  global
        .offset:         48
        .size:           8
        .value_kind:     global_buffer
      - .offset:         56
        .size:           4
        .value_kind:     by_value
      - .actual_access:  read_only
        .address_space:  global
        .offset:         64
        .size:           8
        .value_kind:     global_buffer
      - .offset:         72
        .size:           4
        .value_kind:     by_value
      - .offset:         76
        .size:           4
        .value_kind:     by_value
      - .offset:         80
        .size:           4
        .value_kind:     by_value
      - .actual_access:  write_only
        .address_space:  global
        .offset:         88
        .size:           8
        .value_kind:     global_buffer
      - .actual_access:  write_only
        .address_space:  global
        .offset:         96
        .size:           8
        .value_kind:     global_buffer
      - .actual_access:  write_only
        .address_space:  global
        .offset:         104
        .size:           8
        .value_kind:     global_buffer
      - .actual_access:  read_only
        .address_space:  global
        .offset:         112
        .size:           8
        .value_kind:     global_buffer
      - .offset:         120
        .size:           4
        .value_kind:     by_value
      - .address_space:  global
        .offset:         128
        .size:           8
        .value_kind:     global_buffer
      - .address_space:  global
        .offset:         136
        .size:           8
        .value_kind:     global_buffer
      - .offset:         144
        .size:           4
        .value_kind:     hidden_block_count_x
      - .offset:         148
        .size:           4
        .value_kind:     hidden_block_count_y
      - .offset:         152
        .size:           4
        .value_kind:     hidden_block_count_z
      - .offset:         156
        .size:           2
        .value_kind:     hidden_group_size_x
      - .offset:         158
        .size:           2
        .value_kind:     hidden_group_size_y
      - .offset:         160
        .size:           2
        .value_kind:     hidden_group_size_z
      - .offset:         162
        .size:           2
        .value_kind:     hidden_remainder_x
      - .offset:         164
        .size:           2
        .value_kind:     hidden_remainder_y
      - .offset:         166
        .size:           2
        .value_kind:     hidden_remainder_z
      - .offset:         184
        .size:           8
        .value_kind:     hidden_global_offset_x
      - .offset:         192
        .size:           8
        .value_kind:     hidden_global_offset_y
      - .offset:         200
        .size:           8
        .value_kind:     hidden_global_offset_z
      - .offset:         208
        .size:           2
        .value_kind:     hidden_grid_dims
    .group_segment_fixed_size: 8192
    .kernarg_segment_align: 8
    .kernarg_segment_size: 400
    .language:       OpenCL C
    .language_version:
      - 2
      - 0
    .max_flat_workgroup_size: 256
    .name:           _Z39paged_attention_ll4mi_QKV_mfma16_kernelI14__hip_bfloat16S0_LN4vllm18Fp8KVCacheDataTypeE0ES0_Li32ELi128ELi256ELb0ELi6EEvPKT_PKT0_S8_ifPKiSA_SA_iPKfiiiPfSD_PS3_PT2_iSC_SC_
    .private_segment_fixed_size: 0
    .sgpr_count:     48
    .sgpr_spill_count: 0
    .symbol:         _Z39paged_attention_ll4mi_QKV_mfma16_kernelI14__hip_bfloat16S0_LN4vllm18Fp8KVCacheDataTypeE0ES0_Li32ELi128ELi256ELb0ELi6EEvPKT_PKT0_S8_ifPKiSA_SA_iPKfiiiPfSD_PS3_PT2_iSC_SC_.kd
    .uniform_work_group_size: 1
    .uses_dynamic_stack: false
    .vgpr_count:     96
    .vgpr_spill_count: 0
    .wavefront_size: 64
  - .agpr_count:     0
    .args:
      - .actual_access:  read_only
        .address_space:  global
        .offset:         0
        .size:           8
        .value_kind:     global_buffer
      - .actual_access:  read_only
        .address_space:  global
        .offset:         8
        .size:           8
        .value_kind:     global_buffer
      - .actual_access:  read_only
        .address_space:  global
        .offset:         16
        .size:           8
        .value_kind:     global_buffer
      - .offset:         24
        .size:           4
        .value_kind:     by_value
      - .offset:         28
        .size:           4
        .value_kind:     by_value
      - .actual_access:  read_only
        .address_space:  global
        .offset:         32
        .size:           8
        .value_kind:     global_buffer
      - .actual_access:  read_only
        .address_space:  global
        .offset:         40
        .size:           8
        .value_kind:     global_buffer
      - .actual_access:  read_only
        .address_space:  global
        .offset:         48
        .size:           8
        .value_kind:     global_buffer
      - .offset:         56
        .size:           4
        .value_kind:     by_value
      - .actual_access:  read_only
        .address_space:  global
        .offset:         64
        .size:           8
        .value_kind:     global_buffer
      - .offset:         72
        .size:           4
        .value_kind:     by_value
      - .offset:         76
        .size:           4
        .value_kind:     by_value
      - .offset:         80
        .size:           4
        .value_kind:     by_value
      - .actual_access:  write_only
        .address_space:  global
        .offset:         88
        .size:           8
        .value_kind:     global_buffer
      - .actual_access:  write_only
        .address_space:  global
        .offset:         96
        .size:           8
        .value_kind:     global_buffer
      - .actual_access:  write_only
        .address_space:  global
        .offset:         104
        .size:           8
        .value_kind:     global_buffer
      - .actual_access:  read_only
        .address_space:  global
        .offset:         112
        .size:           8
        .value_kind:     global_buffer
      - .offset:         120
        .size:           4
        .value_kind:     by_value
      - .address_space:  global
        .offset:         128
        .size:           8
        .value_kind:     global_buffer
      - .address_space:  global
        .offset:         136
        .size:           8
        .value_kind:     global_buffer
      - .offset:         144
        .size:           4
        .value_kind:     hidden_block_count_x
      - .offset:         148
        .size:           4
        .value_kind:     hidden_block_count_y
      - .offset:         152
        .size:           4
        .value_kind:     hidden_block_count_z
      - .offset:         156
        .size:           2
        .value_kind:     hidden_group_size_x
      - .offset:         158
        .size:           2
        .value_kind:     hidden_group_size_y
      - .offset:         160
        .size:           2
        .value_kind:     hidden_group_size_z
      - .offset:         162
        .size:           2
        .value_kind:     hidden_remainder_x
      - .offset:         164
        .size:           2
        .value_kind:     hidden_remainder_y
      - .offset:         166
        .size:           2
        .value_kind:     hidden_remainder_z
      - .offset:         184
        .size:           8
        .value_kind:     hidden_global_offset_x
      - .offset:         192
        .size:           8
        .value_kind:     hidden_global_offset_y
      - .offset:         200
        .size:           8
        .value_kind:     hidden_global_offset_z
      - .offset:         208
        .size:           2
        .value_kind:     hidden_grid_dims
    .group_segment_fixed_size: 8192
    .kernarg_segment_align: 8
    .kernarg_segment_size: 400
    .language:       OpenCL C
    .language_version:
      - 2
      - 0
    .max_flat_workgroup_size: 256
    .name:           _Z39paged_attention_ll4mi_QKV_mfma16_kernelI14__hip_bfloat16S0_LN4vllm18Fp8KVCacheDataTypeE0ES0_Li32ELi128ELi256ELb0ELi7EEvPKT_PKT0_S8_ifPKiSA_SA_iPKfiiiPfSD_PS3_PT2_iSC_SC_
    .private_segment_fixed_size: 0
    .sgpr_count:     48
    .sgpr_spill_count: 0
    .symbol:         _Z39paged_attention_ll4mi_QKV_mfma16_kernelI14__hip_bfloat16S0_LN4vllm18Fp8KVCacheDataTypeE0ES0_Li32ELi128ELi256ELb0ELi7EEvPKT_PKT0_S8_ifPKiSA_SA_iPKfiiiPfSD_PS3_PT2_iSC_SC_.kd
    .uniform_work_group_size: 1
    .uses_dynamic_stack: false
    .vgpr_count:     96
    .vgpr_spill_count: 0
    .wavefront_size: 64
  - .agpr_count:     0
    .args:
      - .actual_access:  read_only
        .address_space:  global
        .offset:         0
        .size:           8
        .value_kind:     global_buffer
      - .actual_access:  read_only
        .address_space:  global
        .offset:         8
        .size:           8
        .value_kind:     global_buffer
      - .actual_access:  read_only
        .address_space:  global
        .offset:         16
        .size:           8
        .value_kind:     global_buffer
      - .offset:         24
        .size:           4
        .value_kind:     by_value
      - .offset:         28
        .size:           4
        .value_kind:     by_value
      - .actual_access:  read_only
        .address_space:  global
        .offset:         32
        .size:           8
        .value_kind:     global_buffer
      - .actual_access:  read_only
        .address_space:  global
        .offset:         40
        .size:           8
        .value_kind:     global_buffer
      - .actual_access:  read_only
        .address_space:  global
        .offset:         48
        .size:           8
        .value_kind:     global_buffer
      - .offset:         56
        .size:           4
        .value_kind:     by_value
      - .actual_access:  read_only
        .address_space:  global
        .offset:         64
        .size:           8
        .value_kind:     global_buffer
      - .offset:         72
        .size:           4
        .value_kind:     by_value
      - .offset:         76
        .size:           4
        .value_kind:     by_value
      - .offset:         80
        .size:           4
        .value_kind:     by_value
      - .actual_access:  write_only
        .address_space:  global
        .offset:         88
        .size:           8
        .value_kind:     global_buffer
      - .actual_access:  write_only
        .address_space:  global
        .offset:         96
        .size:           8
        .value_kind:     global_buffer
      - .actual_access:  write_only
        .address_space:  global
        .offset:         104
        .size:           8
        .value_kind:     global_buffer
      - .actual_access:  read_only
        .address_space:  global
        .offset:         112
        .size:           8
        .value_kind:     global_buffer
      - .offset:         120
        .size:           4
        .value_kind:     by_value
      - .address_space:  global
        .offset:         128
        .size:           8
        .value_kind:     global_buffer
      - .address_space:  global
        .offset:         136
        .size:           8
        .value_kind:     global_buffer
      - .offset:         144
        .size:           4
        .value_kind:     hidden_block_count_x
      - .offset:         148
        .size:           4
        .value_kind:     hidden_block_count_y
      - .offset:         152
        .size:           4
        .value_kind:     hidden_block_count_z
      - .offset:         156
        .size:           2
        .value_kind:     hidden_group_size_x
      - .offset:         158
        .size:           2
        .value_kind:     hidden_group_size_y
      - .offset:         160
        .size:           2
        .value_kind:     hidden_group_size_z
      - .offset:         162
        .size:           2
        .value_kind:     hidden_remainder_x
      - .offset:         164
        .size:           2
        .value_kind:     hidden_remainder_y
      - .offset:         166
        .size:           2
        .value_kind:     hidden_remainder_z
      - .offset:         184
        .size:           8
        .value_kind:     hidden_global_offset_x
      - .offset:         192
        .size:           8
        .value_kind:     hidden_global_offset_y
      - .offset:         200
        .size:           8
        .value_kind:     hidden_global_offset_z
      - .offset:         208
        .size:           2
        .value_kind:     hidden_grid_dims
    .group_segment_fixed_size: 8192
    .kernarg_segment_align: 8
    .kernarg_segment_size: 400
    .language:       OpenCL C
    .language_version:
      - 2
      - 0
    .max_flat_workgroup_size: 256
    .name:           _Z39paged_attention_ll4mi_QKV_mfma16_kernelI14__hip_bfloat16S0_LN4vllm18Fp8KVCacheDataTypeE0ES0_Li32ELi128ELi256ELb0ELi8EEvPKT_PKT0_S8_ifPKiSA_SA_iPKfiiiPfSD_PS3_PT2_iSC_SC_
    .private_segment_fixed_size: 0
    .sgpr_count:     47
    .sgpr_spill_count: 0
    .symbol:         _Z39paged_attention_ll4mi_QKV_mfma16_kernelI14__hip_bfloat16S0_LN4vllm18Fp8KVCacheDataTypeE0ES0_Li32ELi128ELi256ELb0ELi8EEvPKT_PKT0_S8_ifPKiSA_SA_iPKfiiiPfSD_PS3_PT2_iSC_SC_.kd
    .uniform_work_group_size: 1
    .uses_dynamic_stack: false
    .vgpr_count:     96
    .vgpr_spill_count: 0
    .wavefront_size: 64
  - .agpr_count:     0
    .args:
      - .actual_access:  read_only
        .address_space:  global
        .offset:         0
        .size:           8
        .value_kind:     global_buffer
      - .actual_access:  read_only
        .address_space:  global
        .offset:         8
        .size:           8
        .value_kind:     global_buffer
      - .actual_access:  read_only
        .address_space:  global
        .offset:         16
        .size:           8
        .value_kind:     global_buffer
      - .offset:         24
        .size:           4
        .value_kind:     by_value
      - .offset:         28
        .size:           4
        .value_kind:     by_value
      - .actual_access:  read_only
        .address_space:  global
        .offset:         32
        .size:           8
        .value_kind:     global_buffer
      - .actual_access:  read_only
        .address_space:  global
        .offset:         40
        .size:           8
        .value_kind:     global_buffer
      - .actual_access:  read_only
        .address_space:  global
        .offset:         48
        .size:           8
        .value_kind:     global_buffer
      - .offset:         56
        .size:           4
        .value_kind:     by_value
      - .actual_access:  read_only
        .address_space:  global
        .offset:         64
        .size:           8
        .value_kind:     global_buffer
      - .offset:         72
        .size:           4
        .value_kind:     by_value
      - .offset:         76
        .size:           4
        .value_kind:     by_value
      - .offset:         80
        .size:           4
        .value_kind:     by_value
      - .actual_access:  write_only
        .address_space:  global
        .offset:         88
        .size:           8
        .value_kind:     global_buffer
      - .actual_access:  write_only
        .address_space:  global
        .offset:         96
        .size:           8
        .value_kind:     global_buffer
      - .actual_access:  write_only
        .address_space:  global
        .offset:         104
        .size:           8
        .value_kind:     global_buffer
      - .actual_access:  read_only
        .address_space:  global
        .offset:         112
        .size:           8
        .value_kind:     global_buffer
      - .offset:         120
        .size:           4
        .value_kind:     by_value
      - .address_space:  global
        .offset:         128
        .size:           8
        .value_kind:     global_buffer
      - .address_space:  global
        .offset:         136
        .size:           8
        .value_kind:     global_buffer
      - .offset:         144
        .size:           4
        .value_kind:     hidden_block_count_x
      - .offset:         148
        .size:           4
        .value_kind:     hidden_block_count_y
      - .offset:         152
        .size:           4
        .value_kind:     hidden_block_count_z
      - .offset:         156
        .size:           2
        .value_kind:     hidden_group_size_x
      - .offset:         158
        .size:           2
        .value_kind:     hidden_group_size_y
      - .offset:         160
        .size:           2
        .value_kind:     hidden_group_size_z
      - .offset:         162
        .size:           2
        .value_kind:     hidden_remainder_x
      - .offset:         164
        .size:           2
        .value_kind:     hidden_remainder_y
      - .offset:         166
        .size:           2
        .value_kind:     hidden_remainder_z
      - .offset:         184
        .size:           8
        .value_kind:     hidden_global_offset_x
      - .offset:         192
        .size:           8
        .value_kind:     hidden_global_offset_y
      - .offset:         200
        .size:           8
        .value_kind:     hidden_global_offset_z
      - .offset:         208
        .size:           2
        .value_kind:     hidden_grid_dims
    .group_segment_fixed_size: 8192
    .kernarg_segment_align: 8
    .kernarg_segment_size: 400
    .language:       OpenCL C
    .language_version:
      - 2
      - 0
    .max_flat_workgroup_size: 256
    .name:           _Z39paged_attention_ll4mi_QKV_mfma16_kernelI14__hip_bfloat16S0_LN4vllm18Fp8KVCacheDataTypeE0ES0_Li32ELi128ELi256ELb0ELi9EEvPKT_PKT0_S8_ifPKiSA_SA_iPKfiiiPfSD_PS3_PT2_iSC_SC_
    .private_segment_fixed_size: 0
    .sgpr_count:     48
    .sgpr_spill_count: 0
    .symbol:         _Z39paged_attention_ll4mi_QKV_mfma16_kernelI14__hip_bfloat16S0_LN4vllm18Fp8KVCacheDataTypeE0ES0_Li32ELi128ELi256ELb0ELi9EEvPKT_PKT0_S8_ifPKiSA_SA_iPKfiiiPfSD_PS3_PT2_iSC_SC_.kd
    .uniform_work_group_size: 1
    .uses_dynamic_stack: false
    .vgpr_count:     96
    .vgpr_spill_count: 0
    .wavefront_size: 64
  - .agpr_count:     0
    .args:
      - .actual_access:  read_only
        .address_space:  global
        .offset:         0
        .size:           8
        .value_kind:     global_buffer
      - .actual_access:  read_only
        .address_space:  global
        .offset:         8
        .size:           8
        .value_kind:     global_buffer
      - .actual_access:  read_only
        .address_space:  global
        .offset:         16
        .size:           8
        .value_kind:     global_buffer
      - .offset:         24
        .size:           4
        .value_kind:     by_value
      - .offset:         28
        .size:           4
        .value_kind:     by_value
      - .actual_access:  read_only
        .address_space:  global
        .offset:         32
        .size:           8
        .value_kind:     global_buffer
      - .actual_access:  read_only
        .address_space:  global
        .offset:         40
        .size:           8
        .value_kind:     global_buffer
      - .actual_access:  read_only
        .address_space:  global
        .offset:         48
        .size:           8
        .value_kind:     global_buffer
      - .offset:         56
        .size:           4
        .value_kind:     by_value
      - .actual_access:  read_only
        .address_space:  global
        .offset:         64
        .size:           8
        .value_kind:     global_buffer
      - .offset:         72
        .size:           4
        .value_kind:     by_value
      - .offset:         76
        .size:           4
        .value_kind:     by_value
      - .offset:         80
        .size:           4
        .value_kind:     by_value
      - .actual_access:  write_only
        .address_space:  global
        .offset:         88
        .size:           8
        .value_kind:     global_buffer
      - .actual_access:  write_only
        .address_space:  global
        .offset:         96
        .size:           8
        .value_kind:     global_buffer
      - .actual_access:  write_only
        .address_space:  global
        .offset:         104
        .size:           8
        .value_kind:     global_buffer
      - .actual_access:  read_only
        .address_space:  global
        .offset:         112
        .size:           8
        .value_kind:     global_buffer
      - .offset:         120
        .size:           4
        .value_kind:     by_value
      - .address_space:  global
        .offset:         128
        .size:           8
        .value_kind:     global_buffer
      - .address_space:  global
        .offset:         136
        .size:           8
        .value_kind:     global_buffer
      - .offset:         144
        .size:           4
        .value_kind:     hidden_block_count_x
      - .offset:         148
        .size:           4
        .value_kind:     hidden_block_count_y
      - .offset:         152
        .size:           4
        .value_kind:     hidden_block_count_z
      - .offset:         156
        .size:           2
        .value_kind:     hidden_group_size_x
      - .offset:         158
        .size:           2
        .value_kind:     hidden_group_size_y
      - .offset:         160
        .size:           2
        .value_kind:     hidden_group_size_z
      - .offset:         162
        .size:           2
        .value_kind:     hidden_remainder_x
      - .offset:         164
        .size:           2
        .value_kind:     hidden_remainder_y
      - .offset:         166
        .size:           2
        .value_kind:     hidden_remainder_z
      - .offset:         184
        .size:           8
        .value_kind:     hidden_global_offset_x
      - .offset:         192
        .size:           8
        .value_kind:     hidden_global_offset_y
      - .offset:         200
        .size:           8
        .value_kind:     hidden_global_offset_z
      - .offset:         208
        .size:           2
        .value_kind:     hidden_grid_dims
    .group_segment_fixed_size: 8192
    .kernarg_segment_align: 8
    .kernarg_segment_size: 400
    .language:       OpenCL C
    .language_version:
      - 2
      - 0
    .max_flat_workgroup_size: 256
    .name:           _Z39paged_attention_ll4mi_QKV_mfma16_kernelI14__hip_bfloat16S0_LN4vllm18Fp8KVCacheDataTypeE0ES0_Li32ELi128ELi256ELb0ELi10EEvPKT_PKT0_S8_ifPKiSA_SA_iPKfiiiPfSD_PS3_PT2_iSC_SC_
    .private_segment_fixed_size: 0
    .sgpr_count:     48
    .sgpr_spill_count: 0
    .symbol:         _Z39paged_attention_ll4mi_QKV_mfma16_kernelI14__hip_bfloat16S0_LN4vllm18Fp8KVCacheDataTypeE0ES0_Li32ELi128ELi256ELb0ELi10EEvPKT_PKT0_S8_ifPKiSA_SA_iPKfiiiPfSD_PS3_PT2_iSC_SC_.kd
    .uniform_work_group_size: 1
    .uses_dynamic_stack: false
    .vgpr_count:     96
    .vgpr_spill_count: 0
    .wavefront_size: 64
  - .agpr_count:     0
    .args:
      - .actual_access:  read_only
        .address_space:  global
        .offset:         0
        .size:           8
        .value_kind:     global_buffer
      - .actual_access:  read_only
        .address_space:  global
        .offset:         8
        .size:           8
        .value_kind:     global_buffer
      - .actual_access:  read_only
        .address_space:  global
        .offset:         16
        .size:           8
        .value_kind:     global_buffer
      - .offset:         24
        .size:           4
        .value_kind:     by_value
      - .offset:         28
        .size:           4
        .value_kind:     by_value
      - .actual_access:  read_only
        .address_space:  global
        .offset:         32
        .size:           8
        .value_kind:     global_buffer
      - .actual_access:  read_only
        .address_space:  global
        .offset:         40
        .size:           8
        .value_kind:     global_buffer
      - .actual_access:  read_only
        .address_space:  global
        .offset:         48
        .size:           8
        .value_kind:     global_buffer
      - .offset:         56
        .size:           4
        .value_kind:     by_value
      - .actual_access:  read_only
        .address_space:  global
        .offset:         64
        .size:           8
        .value_kind:     global_buffer
      - .offset:         72
        .size:           4
        .value_kind:     by_value
      - .offset:         76
        .size:           4
        .value_kind:     by_value
      - .offset:         80
        .size:           4
        .value_kind:     by_value
      - .actual_access:  write_only
        .address_space:  global
        .offset:         88
        .size:           8
        .value_kind:     global_buffer
      - .actual_access:  write_only
        .address_space:  global
        .offset:         96
        .size:           8
        .value_kind:     global_buffer
      - .actual_access:  write_only
        .address_space:  global
        .offset:         104
        .size:           8
        .value_kind:     global_buffer
      - .actual_access:  read_only
        .address_space:  global
        .offset:         112
        .size:           8
        .value_kind:     global_buffer
      - .offset:         120
        .size:           4
        .value_kind:     by_value
      - .address_space:  global
        .offset:         128
        .size:           8
        .value_kind:     global_buffer
      - .address_space:  global
        .offset:         136
        .size:           8
        .value_kind:     global_buffer
      - .offset:         144
        .size:           4
        .value_kind:     hidden_block_count_x
      - .offset:         148
        .size:           4
        .value_kind:     hidden_block_count_y
      - .offset:         152
        .size:           4
        .value_kind:     hidden_block_count_z
      - .offset:         156
        .size:           2
        .value_kind:     hidden_group_size_x
      - .offset:         158
        .size:           2
        .value_kind:     hidden_group_size_y
      - .offset:         160
        .size:           2
        .value_kind:     hidden_group_size_z
      - .offset:         162
        .size:           2
        .value_kind:     hidden_remainder_x
      - .offset:         164
        .size:           2
        .value_kind:     hidden_remainder_y
      - .offset:         166
        .size:           2
        .value_kind:     hidden_remainder_z
      - .offset:         184
        .size:           8
        .value_kind:     hidden_global_offset_x
      - .offset:         192
        .size:           8
        .value_kind:     hidden_global_offset_y
      - .offset:         200
        .size:           8
        .value_kind:     hidden_global_offset_z
      - .offset:         208
        .size:           2
        .value_kind:     hidden_grid_dims
    .group_segment_fixed_size: 8192
    .kernarg_segment_align: 8
    .kernarg_segment_size: 400
    .language:       OpenCL C
    .language_version:
      - 2
      - 0
    .max_flat_workgroup_size: 256
    .name:           _Z39paged_attention_ll4mi_QKV_mfma16_kernelI14__hip_bfloat16S0_LN4vllm18Fp8KVCacheDataTypeE0ES0_Li32ELi128ELi256ELb0ELi11EEvPKT_PKT0_S8_ifPKiSA_SA_iPKfiiiPfSD_PS3_PT2_iSC_SC_
    .private_segment_fixed_size: 0
    .sgpr_count:     48
    .sgpr_spill_count: 0
    .symbol:         _Z39paged_attention_ll4mi_QKV_mfma16_kernelI14__hip_bfloat16S0_LN4vllm18Fp8KVCacheDataTypeE0ES0_Li32ELi128ELi256ELb0ELi11EEvPKT_PKT0_S8_ifPKiSA_SA_iPKfiiiPfSD_PS3_PT2_iSC_SC_.kd
    .uniform_work_group_size: 1
    .uses_dynamic_stack: false
    .vgpr_count:     96
    .vgpr_spill_count: 0
    .wavefront_size: 64
  - .agpr_count:     0
    .args:
      - .actual_access:  read_only
        .address_space:  global
        .offset:         0
        .size:           8
        .value_kind:     global_buffer
      - .actual_access:  read_only
        .address_space:  global
        .offset:         8
        .size:           8
        .value_kind:     global_buffer
      - .actual_access:  read_only
        .address_space:  global
        .offset:         16
        .size:           8
        .value_kind:     global_buffer
      - .offset:         24
        .size:           4
        .value_kind:     by_value
      - .offset:         28
        .size:           4
        .value_kind:     by_value
      - .actual_access:  read_only
        .address_space:  global
        .offset:         32
        .size:           8
        .value_kind:     global_buffer
      - .actual_access:  read_only
        .address_space:  global
        .offset:         40
        .size:           8
        .value_kind:     global_buffer
      - .actual_access:  read_only
        .address_space:  global
        .offset:         48
        .size:           8
        .value_kind:     global_buffer
      - .offset:         56
        .size:           4
        .value_kind:     by_value
      - .actual_access:  read_only
        .address_space:  global
        .offset:         64
        .size:           8
        .value_kind:     global_buffer
      - .offset:         72
        .size:           4
        .value_kind:     by_value
      - .offset:         76
        .size:           4
        .value_kind:     by_value
      - .offset:         80
        .size:           4
        .value_kind:     by_value
      - .actual_access:  write_only
        .address_space:  global
        .offset:         88
        .size:           8
        .value_kind:     global_buffer
      - .actual_access:  write_only
        .address_space:  global
        .offset:         96
        .size:           8
        .value_kind:     global_buffer
      - .actual_access:  write_only
        .address_space:  global
        .offset:         104
        .size:           8
        .value_kind:     global_buffer
      - .actual_access:  read_only
        .address_space:  global
        .offset:         112
        .size:           8
        .value_kind:     global_buffer
      - .offset:         120
        .size:           4
        .value_kind:     by_value
      - .address_space:  global
        .offset:         128
        .size:           8
        .value_kind:     global_buffer
      - .address_space:  global
        .offset:         136
        .size:           8
        .value_kind:     global_buffer
      - .offset:         144
        .size:           4
        .value_kind:     hidden_block_count_x
      - .offset:         148
        .size:           4
        .value_kind:     hidden_block_count_y
      - .offset:         152
        .size:           4
        .value_kind:     hidden_block_count_z
      - .offset:         156
        .size:           2
        .value_kind:     hidden_group_size_x
      - .offset:         158
        .size:           2
        .value_kind:     hidden_group_size_y
      - .offset:         160
        .size:           2
        .value_kind:     hidden_group_size_z
      - .offset:         162
        .size:           2
        .value_kind:     hidden_remainder_x
      - .offset:         164
        .size:           2
        .value_kind:     hidden_remainder_y
      - .offset:         166
        .size:           2
        .value_kind:     hidden_remainder_z
      - .offset:         184
        .size:           8
        .value_kind:     hidden_global_offset_x
      - .offset:         192
        .size:           8
        .value_kind:     hidden_global_offset_y
      - .offset:         200
        .size:           8
        .value_kind:     hidden_global_offset_z
      - .offset:         208
        .size:           2
        .value_kind:     hidden_grid_dims
    .group_segment_fixed_size: 8192
    .kernarg_segment_align: 8
    .kernarg_segment_size: 400
    .language:       OpenCL C
    .language_version:
      - 2
      - 0
    .max_flat_workgroup_size: 256
    .name:           _Z39paged_attention_ll4mi_QKV_mfma16_kernelI14__hip_bfloat16S0_LN4vllm18Fp8KVCacheDataTypeE0ES0_Li32ELi128ELi256ELb0ELi12EEvPKT_PKT0_S8_ifPKiSA_SA_iPKfiiiPfSD_PS3_PT2_iSC_SC_
    .private_segment_fixed_size: 0
    .sgpr_count:     48
    .sgpr_spill_count: 0
    .symbol:         _Z39paged_attention_ll4mi_QKV_mfma16_kernelI14__hip_bfloat16S0_LN4vllm18Fp8KVCacheDataTypeE0ES0_Li32ELi128ELi256ELb0ELi12EEvPKT_PKT0_S8_ifPKiSA_SA_iPKfiiiPfSD_PS3_PT2_iSC_SC_.kd
    .uniform_work_group_size: 1
    .uses_dynamic_stack: false
    .vgpr_count:     96
    .vgpr_spill_count: 0
    .wavefront_size: 64
  - .agpr_count:     0
    .args:
      - .actual_access:  read_only
        .address_space:  global
        .offset:         0
        .size:           8
        .value_kind:     global_buffer
      - .actual_access:  read_only
        .address_space:  global
        .offset:         8
        .size:           8
        .value_kind:     global_buffer
      - .actual_access:  read_only
        .address_space:  global
        .offset:         16
        .size:           8
        .value_kind:     global_buffer
      - .offset:         24
        .size:           4
        .value_kind:     by_value
      - .offset:         28
        .size:           4
        .value_kind:     by_value
      - .actual_access:  read_only
        .address_space:  global
        .offset:         32
        .size:           8
        .value_kind:     global_buffer
      - .actual_access:  read_only
        .address_space:  global
        .offset:         40
        .size:           8
        .value_kind:     global_buffer
      - .actual_access:  read_only
        .address_space:  global
        .offset:         48
        .size:           8
        .value_kind:     global_buffer
      - .offset:         56
        .size:           4
        .value_kind:     by_value
      - .actual_access:  read_only
        .address_space:  global
        .offset:         64
        .size:           8
        .value_kind:     global_buffer
      - .offset:         72
        .size:           4
        .value_kind:     by_value
      - .offset:         76
        .size:           4
        .value_kind:     by_value
      - .offset:         80
        .size:           4
        .value_kind:     by_value
      - .actual_access:  write_only
        .address_space:  global
        .offset:         88
        .size:           8
        .value_kind:     global_buffer
      - .actual_access:  write_only
        .address_space:  global
        .offset:         96
        .size:           8
        .value_kind:     global_buffer
      - .actual_access:  write_only
        .address_space:  global
        .offset:         104
        .size:           8
        .value_kind:     global_buffer
      - .actual_access:  read_only
        .address_space:  global
        .offset:         112
        .size:           8
        .value_kind:     global_buffer
      - .offset:         120
        .size:           4
        .value_kind:     by_value
      - .address_space:  global
        .offset:         128
        .size:           8
        .value_kind:     global_buffer
      - .address_space:  global
        .offset:         136
        .size:           8
        .value_kind:     global_buffer
      - .offset:         144
        .size:           4
        .value_kind:     hidden_block_count_x
      - .offset:         148
        .size:           4
        .value_kind:     hidden_block_count_y
      - .offset:         152
        .size:           4
        .value_kind:     hidden_block_count_z
      - .offset:         156
        .size:           2
        .value_kind:     hidden_group_size_x
      - .offset:         158
        .size:           2
        .value_kind:     hidden_group_size_y
      - .offset:         160
        .size:           2
        .value_kind:     hidden_group_size_z
      - .offset:         162
        .size:           2
        .value_kind:     hidden_remainder_x
      - .offset:         164
        .size:           2
        .value_kind:     hidden_remainder_y
      - .offset:         166
        .size:           2
        .value_kind:     hidden_remainder_z
      - .offset:         184
        .size:           8
        .value_kind:     hidden_global_offset_x
      - .offset:         192
        .size:           8
        .value_kind:     hidden_global_offset_y
      - .offset:         200
        .size:           8
        .value_kind:     hidden_global_offset_z
      - .offset:         208
        .size:           2
        .value_kind:     hidden_grid_dims
    .group_segment_fixed_size: 8192
    .kernarg_segment_align: 8
    .kernarg_segment_size: 400
    .language:       OpenCL C
    .language_version:
      - 2
      - 0
    .max_flat_workgroup_size: 256
    .name:           _Z39paged_attention_ll4mi_QKV_mfma16_kernelI14__hip_bfloat16S0_LN4vllm18Fp8KVCacheDataTypeE0ES0_Li32ELi128ELi256ELb0ELi13EEvPKT_PKT0_S8_ifPKiSA_SA_iPKfiiiPfSD_PS3_PT2_iSC_SC_
    .private_segment_fixed_size: 0
    .sgpr_count:     48
    .sgpr_spill_count: 0
    .symbol:         _Z39paged_attention_ll4mi_QKV_mfma16_kernelI14__hip_bfloat16S0_LN4vllm18Fp8KVCacheDataTypeE0ES0_Li32ELi128ELi256ELb0ELi13EEvPKT_PKT0_S8_ifPKiSA_SA_iPKfiiiPfSD_PS3_PT2_iSC_SC_.kd
    .uniform_work_group_size: 1
    .uses_dynamic_stack: false
    .vgpr_count:     96
    .vgpr_spill_count: 0
    .wavefront_size: 64
  - .agpr_count:     0
    .args:
      - .actual_access:  read_only
        .address_space:  global
        .offset:         0
        .size:           8
        .value_kind:     global_buffer
      - .actual_access:  read_only
        .address_space:  global
        .offset:         8
        .size:           8
        .value_kind:     global_buffer
      - .actual_access:  read_only
        .address_space:  global
        .offset:         16
        .size:           8
        .value_kind:     global_buffer
      - .offset:         24
        .size:           4
        .value_kind:     by_value
      - .offset:         28
        .size:           4
        .value_kind:     by_value
      - .actual_access:  read_only
        .address_space:  global
        .offset:         32
        .size:           8
        .value_kind:     global_buffer
      - .actual_access:  read_only
        .address_space:  global
        .offset:         40
        .size:           8
        .value_kind:     global_buffer
      - .actual_access:  read_only
        .address_space:  global
        .offset:         48
        .size:           8
        .value_kind:     global_buffer
      - .offset:         56
        .size:           4
        .value_kind:     by_value
      - .actual_access:  read_only
        .address_space:  global
        .offset:         64
        .size:           8
        .value_kind:     global_buffer
      - .offset:         72
        .size:           4
        .value_kind:     by_value
      - .offset:         76
        .size:           4
        .value_kind:     by_value
      - .offset:         80
        .size:           4
        .value_kind:     by_value
      - .actual_access:  write_only
        .address_space:  global
        .offset:         88
        .size:           8
        .value_kind:     global_buffer
      - .actual_access:  write_only
        .address_space:  global
        .offset:         96
        .size:           8
        .value_kind:     global_buffer
      - .actual_access:  write_only
        .address_space:  global
        .offset:         104
        .size:           8
        .value_kind:     global_buffer
      - .actual_access:  read_only
        .address_space:  global
        .offset:         112
        .size:           8
        .value_kind:     global_buffer
      - .offset:         120
        .size:           4
        .value_kind:     by_value
      - .address_space:  global
        .offset:         128
        .size:           8
        .value_kind:     global_buffer
      - .address_space:  global
        .offset:         136
        .size:           8
        .value_kind:     global_buffer
      - .offset:         144
        .size:           4
        .value_kind:     hidden_block_count_x
      - .offset:         148
        .size:           4
        .value_kind:     hidden_block_count_y
      - .offset:         152
        .size:           4
        .value_kind:     hidden_block_count_z
      - .offset:         156
        .size:           2
        .value_kind:     hidden_group_size_x
      - .offset:         158
        .size:           2
        .value_kind:     hidden_group_size_y
      - .offset:         160
        .size:           2
        .value_kind:     hidden_group_size_z
      - .offset:         162
        .size:           2
        .value_kind:     hidden_remainder_x
      - .offset:         164
        .size:           2
        .value_kind:     hidden_remainder_y
      - .offset:         166
        .size:           2
        .value_kind:     hidden_remainder_z
      - .offset:         184
        .size:           8
        .value_kind:     hidden_global_offset_x
      - .offset:         192
        .size:           8
        .value_kind:     hidden_global_offset_y
      - .offset:         200
        .size:           8
        .value_kind:     hidden_global_offset_z
      - .offset:         208
        .size:           2
        .value_kind:     hidden_grid_dims
    .group_segment_fixed_size: 8192
    .kernarg_segment_align: 8
    .kernarg_segment_size: 400
    .language:       OpenCL C
    .language_version:
      - 2
      - 0
    .max_flat_workgroup_size: 256
    .name:           _Z39paged_attention_ll4mi_QKV_mfma16_kernelI14__hip_bfloat16S0_LN4vllm18Fp8KVCacheDataTypeE0ES0_Li32ELi128ELi256ELb0ELi14EEvPKT_PKT0_S8_ifPKiSA_SA_iPKfiiiPfSD_PS3_PT2_iSC_SC_
    .private_segment_fixed_size: 0
    .sgpr_count:     48
    .sgpr_spill_count: 0
    .symbol:         _Z39paged_attention_ll4mi_QKV_mfma16_kernelI14__hip_bfloat16S0_LN4vllm18Fp8KVCacheDataTypeE0ES0_Li32ELi128ELi256ELb0ELi14EEvPKT_PKT0_S8_ifPKiSA_SA_iPKfiiiPfSD_PS3_PT2_iSC_SC_.kd
    .uniform_work_group_size: 1
    .uses_dynamic_stack: false
    .vgpr_count:     96
    .vgpr_spill_count: 0
    .wavefront_size: 64
  - .agpr_count:     0
    .args:
      - .actual_access:  read_only
        .address_space:  global
        .offset:         0
        .size:           8
        .value_kind:     global_buffer
      - .actual_access:  read_only
        .address_space:  global
        .offset:         8
        .size:           8
        .value_kind:     global_buffer
      - .actual_access:  read_only
        .address_space:  global
        .offset:         16
        .size:           8
        .value_kind:     global_buffer
      - .offset:         24
        .size:           4
        .value_kind:     by_value
      - .offset:         28
        .size:           4
        .value_kind:     by_value
      - .actual_access:  read_only
        .address_space:  global
        .offset:         32
        .size:           8
        .value_kind:     global_buffer
      - .actual_access:  read_only
        .address_space:  global
        .offset:         40
        .size:           8
        .value_kind:     global_buffer
      - .actual_access:  read_only
        .address_space:  global
        .offset:         48
        .size:           8
        .value_kind:     global_buffer
      - .offset:         56
        .size:           4
        .value_kind:     by_value
      - .actual_access:  read_only
        .address_space:  global
        .offset:         64
        .size:           8
        .value_kind:     global_buffer
      - .offset:         72
        .size:           4
        .value_kind:     by_value
      - .offset:         76
        .size:           4
        .value_kind:     by_value
      - .offset:         80
        .size:           4
        .value_kind:     by_value
      - .actual_access:  write_only
        .address_space:  global
        .offset:         88
        .size:           8
        .value_kind:     global_buffer
      - .actual_access:  write_only
        .address_space:  global
        .offset:         96
        .size:           8
        .value_kind:     global_buffer
      - .actual_access:  write_only
        .address_space:  global
        .offset:         104
        .size:           8
        .value_kind:     global_buffer
      - .actual_access:  read_only
        .address_space:  global
        .offset:         112
        .size:           8
        .value_kind:     global_buffer
      - .offset:         120
        .size:           4
        .value_kind:     by_value
      - .address_space:  global
        .offset:         128
        .size:           8
        .value_kind:     global_buffer
      - .address_space:  global
        .offset:         136
        .size:           8
        .value_kind:     global_buffer
      - .offset:         144
        .size:           4
        .value_kind:     hidden_block_count_x
      - .offset:         148
        .size:           4
        .value_kind:     hidden_block_count_y
      - .offset:         152
        .size:           4
        .value_kind:     hidden_block_count_z
      - .offset:         156
        .size:           2
        .value_kind:     hidden_group_size_x
      - .offset:         158
        .size:           2
        .value_kind:     hidden_group_size_y
      - .offset:         160
        .size:           2
        .value_kind:     hidden_group_size_z
      - .offset:         162
        .size:           2
        .value_kind:     hidden_remainder_x
      - .offset:         164
        .size:           2
        .value_kind:     hidden_remainder_y
      - .offset:         166
        .size:           2
        .value_kind:     hidden_remainder_z
      - .offset:         184
        .size:           8
        .value_kind:     hidden_global_offset_x
      - .offset:         192
        .size:           8
        .value_kind:     hidden_global_offset_y
      - .offset:         200
        .size:           8
        .value_kind:     hidden_global_offset_z
      - .offset:         208
        .size:           2
        .value_kind:     hidden_grid_dims
    .group_segment_fixed_size: 8192
    .kernarg_segment_align: 8
    .kernarg_segment_size: 400
    .language:       OpenCL C
    .language_version:
      - 2
      - 0
    .max_flat_workgroup_size: 256
    .name:           _Z39paged_attention_ll4mi_QKV_mfma16_kernelI14__hip_bfloat16S0_LN4vllm18Fp8KVCacheDataTypeE0ES0_Li32ELi128ELi256ELb0ELi15EEvPKT_PKT0_S8_ifPKiSA_SA_iPKfiiiPfSD_PS3_PT2_iSC_SC_
    .private_segment_fixed_size: 12
    .sgpr_count:     48
    .sgpr_spill_count: 0
    .symbol:         _Z39paged_attention_ll4mi_QKV_mfma16_kernelI14__hip_bfloat16S0_LN4vllm18Fp8KVCacheDataTypeE0ES0_Li32ELi128ELi256ELb0ELi15EEvPKT_PKT0_S8_ifPKiSA_SA_iPKfiiiPfSD_PS3_PT2_iSC_SC_.kd
    .uniform_work_group_size: 1
    .uses_dynamic_stack: false
    .vgpr_count:     96
    .vgpr_spill_count: 2
    .wavefront_size: 64
  - .agpr_count:     0
    .args:
      - .actual_access:  read_only
        .address_space:  global
        .offset:         0
        .size:           8
        .value_kind:     global_buffer
      - .actual_access:  read_only
        .address_space:  global
        .offset:         8
        .size:           8
        .value_kind:     global_buffer
      - .actual_access:  read_only
        .address_space:  global
        .offset:         16
        .size:           8
        .value_kind:     global_buffer
      - .offset:         24
        .size:           4
        .value_kind:     by_value
      - .offset:         28
        .size:           4
        .value_kind:     by_value
      - .actual_access:  read_only
        .address_space:  global
        .offset:         32
        .size:           8
        .value_kind:     global_buffer
      - .actual_access:  read_only
        .address_space:  global
        .offset:         40
        .size:           8
        .value_kind:     global_buffer
      - .actual_access:  read_only
        .address_space:  global
        .offset:         48
        .size:           8
        .value_kind:     global_buffer
      - .offset:         56
        .size:           4
        .value_kind:     by_value
      - .actual_access:  read_only
        .address_space:  global
        .offset:         64
        .size:           8
        .value_kind:     global_buffer
      - .offset:         72
        .size:           4
        .value_kind:     by_value
      - .offset:         76
        .size:           4
        .value_kind:     by_value
      - .offset:         80
        .size:           4
        .value_kind:     by_value
      - .actual_access:  write_only
        .address_space:  global
        .offset:         88
        .size:           8
        .value_kind:     global_buffer
      - .actual_access:  write_only
        .address_space:  global
        .offset:         96
        .size:           8
        .value_kind:     global_buffer
      - .actual_access:  write_only
        .address_space:  global
        .offset:         104
        .size:           8
        .value_kind:     global_buffer
      - .actual_access:  read_only
        .address_space:  global
        .offset:         112
        .size:           8
        .value_kind:     global_buffer
      - .offset:         120
        .size:           4
        .value_kind:     by_value
      - .address_space:  global
        .offset:         128
        .size:           8
        .value_kind:     global_buffer
      - .address_space:  global
        .offset:         136
        .size:           8
        .value_kind:     global_buffer
      - .offset:         144
        .size:           4
        .value_kind:     hidden_block_count_x
      - .offset:         148
        .size:           4
        .value_kind:     hidden_block_count_y
      - .offset:         152
        .size:           4
        .value_kind:     hidden_block_count_z
      - .offset:         156
        .size:           2
        .value_kind:     hidden_group_size_x
      - .offset:         158
        .size:           2
        .value_kind:     hidden_group_size_y
      - .offset:         160
        .size:           2
        .value_kind:     hidden_group_size_z
      - .offset:         162
        .size:           2
        .value_kind:     hidden_remainder_x
      - .offset:         164
        .size:           2
        .value_kind:     hidden_remainder_y
      - .offset:         166
        .size:           2
        .value_kind:     hidden_remainder_z
      - .offset:         184
        .size:           8
        .value_kind:     hidden_global_offset_x
      - .offset:         192
        .size:           8
        .value_kind:     hidden_global_offset_y
      - .offset:         200
        .size:           8
        .value_kind:     hidden_global_offset_z
      - .offset:         208
        .size:           2
        .value_kind:     hidden_grid_dims
    .group_segment_fixed_size: 8192
    .kernarg_segment_align: 8
    .kernarg_segment_size: 400
    .language:       OpenCL C
    .language_version:
      - 2
      - 0
    .max_flat_workgroup_size: 256
    .name:           _Z39paged_attention_ll4mi_QKV_mfma16_kernelI14__hip_bfloat16S0_LN4vllm18Fp8KVCacheDataTypeE0ES0_Li32ELi128ELi256ELb0ELi16EEvPKT_PKT0_S8_ifPKiSA_SA_iPKfiiiPfSD_PS3_PT2_iSC_SC_
    .private_segment_fixed_size: 16
    .sgpr_count:     47
    .sgpr_spill_count: 0
    .symbol:         _Z39paged_attention_ll4mi_QKV_mfma16_kernelI14__hip_bfloat16S0_LN4vllm18Fp8KVCacheDataTypeE0ES0_Li32ELi128ELi256ELb0ELi16EEvPKT_PKT0_S8_ifPKiSA_SA_iPKfiiiPfSD_PS3_PT2_iSC_SC_.kd
    .uniform_work_group_size: 1
    .uses_dynamic_stack: false
    .vgpr_count:     96
    .vgpr_spill_count: 3
    .wavefront_size: 64
  - .agpr_count:     0
    .args:
      - .actual_access:  read_only
        .address_space:  global
        .offset:         0
        .size:           8
        .value_kind:     global_buffer
      - .actual_access:  read_only
        .address_space:  global
        .offset:         8
        .size:           8
        .value_kind:     global_buffer
      - .actual_access:  read_only
        .address_space:  global
        .offset:         16
        .size:           8
        .value_kind:     global_buffer
      - .offset:         24
        .size:           4
        .value_kind:     by_value
      - .offset:         28
        .size:           4
        .value_kind:     by_value
      - .actual_access:  read_only
        .address_space:  global
        .offset:         32
        .size:           8
        .value_kind:     global_buffer
      - .actual_access:  read_only
        .address_space:  global
        .offset:         40
        .size:           8
        .value_kind:     global_buffer
      - .actual_access:  read_only
        .address_space:  global
        .offset:         48
        .size:           8
        .value_kind:     global_buffer
      - .offset:         56
        .size:           4
        .value_kind:     by_value
      - .actual_access:  read_only
        .address_space:  global
        .offset:         64
        .size:           8
        .value_kind:     global_buffer
      - .offset:         72
        .size:           4
        .value_kind:     by_value
      - .offset:         76
        .size:           4
        .value_kind:     by_value
      - .offset:         80
        .size:           4
        .value_kind:     by_value
      - .actual_access:  write_only
        .address_space:  global
        .offset:         88
        .size:           8
        .value_kind:     global_buffer
      - .actual_access:  write_only
        .address_space:  global
        .offset:         96
        .size:           8
        .value_kind:     global_buffer
      - .actual_access:  write_only
        .address_space:  global
        .offset:         104
        .size:           8
        .value_kind:     global_buffer
      - .actual_access:  read_only
        .address_space:  global
        .offset:         112
        .size:           8
        .value_kind:     global_buffer
      - .offset:         120
        .size:           4
        .value_kind:     by_value
      - .address_space:  global
        .offset:         128
        .size:           8
        .value_kind:     global_buffer
      - .address_space:  global
        .offset:         136
        .size:           8
        .value_kind:     global_buffer
      - .offset:         144
        .size:           4
        .value_kind:     hidden_block_count_x
      - .offset:         148
        .size:           4
        .value_kind:     hidden_block_count_y
      - .offset:         152
        .size:           4
        .value_kind:     hidden_block_count_z
      - .offset:         156
        .size:           2
        .value_kind:     hidden_group_size_x
      - .offset:         158
        .size:           2
        .value_kind:     hidden_group_size_y
      - .offset:         160
        .size:           2
        .value_kind:     hidden_group_size_z
      - .offset:         162
        .size:           2
        .value_kind:     hidden_remainder_x
      - .offset:         164
        .size:           2
        .value_kind:     hidden_remainder_y
      - .offset:         166
        .size:           2
        .value_kind:     hidden_remainder_z
      - .offset:         184
        .size:           8
        .value_kind:     hidden_global_offset_x
      - .offset:         192
        .size:           8
        .value_kind:     hidden_global_offset_y
      - .offset:         200
        .size:           8
        .value_kind:     hidden_global_offset_z
      - .offset:         208
        .size:           2
        .value_kind:     hidden_grid_dims
    .group_segment_fixed_size: 8192
    .kernarg_segment_align: 8
    .kernarg_segment_size: 400
    .language:       OpenCL C
    .language_version:
      - 2
      - 0
    .max_flat_workgroup_size: 256
    .name:           _Z39paged_attention_ll4mi_QKV_mfma16_kernelI14__hip_bfloat16S0_LN4vllm18Fp8KVCacheDataTypeE0ES0_Li32ELi128ELi256ELb0ELi1EEvPKT_PKT0_S8_ifPKiSA_SA_iPKfiiiPfSD_PS3_PT2_iSC_SC_
    .private_segment_fixed_size: 28
    .sgpr_count:     46
    .sgpr_spill_count: 0
    .symbol:         _Z39paged_attention_ll4mi_QKV_mfma16_kernelI14__hip_bfloat16S0_LN4vllm18Fp8KVCacheDataTypeE0ES0_Li32ELi128ELi256ELb0ELi1EEvPKT_PKT0_S8_ifPKiSA_SA_iPKfiiiPfSD_PS3_PT2_iSC_SC_.kd
    .uniform_work_group_size: 1
    .uses_dynamic_stack: false
    .vgpr_count:     96
    .vgpr_spill_count: 10
    .wavefront_size: 64
  - .agpr_count:     0
    .args:
      - .actual_access:  read_only
        .address_space:  global
        .offset:         0
        .size:           8
        .value_kind:     global_buffer
      - .actual_access:  read_only
        .address_space:  global
        .offset:         8
        .size:           8
        .value_kind:     global_buffer
      - .actual_access:  read_only
        .address_space:  global
        .offset:         16
        .size:           8
        .value_kind:     global_buffer
      - .offset:         24
        .size:           4
        .value_kind:     by_value
      - .offset:         28
        .size:           4
        .value_kind:     by_value
      - .actual_access:  read_only
        .address_space:  global
        .offset:         32
        .size:           8
        .value_kind:     global_buffer
      - .actual_access:  read_only
        .address_space:  global
        .offset:         40
        .size:           8
        .value_kind:     global_buffer
      - .actual_access:  read_only
        .address_space:  global
        .offset:         48
        .size:           8
        .value_kind:     global_buffer
      - .offset:         56
        .size:           4
        .value_kind:     by_value
      - .actual_access:  read_only
        .address_space:  global
        .offset:         64
        .size:           8
        .value_kind:     global_buffer
      - .offset:         72
        .size:           4
        .value_kind:     by_value
      - .offset:         76
        .size:           4
        .value_kind:     by_value
      - .offset:         80
        .size:           4
        .value_kind:     by_value
      - .actual_access:  write_only
        .address_space:  global
        .offset:         88
        .size:           8
        .value_kind:     global_buffer
      - .actual_access:  write_only
        .address_space:  global
        .offset:         96
        .size:           8
        .value_kind:     global_buffer
      - .actual_access:  write_only
        .address_space:  global
        .offset:         104
        .size:           8
        .value_kind:     global_buffer
      - .actual_access:  read_only
        .address_space:  global
        .offset:         112
        .size:           8
        .value_kind:     global_buffer
      - .offset:         120
        .size:           4
        .value_kind:     by_value
      - .address_space:  global
        .offset:         128
        .size:           8
        .value_kind:     global_buffer
      - .address_space:  global
        .offset:         136
        .size:           8
        .value_kind:     global_buffer
      - .offset:         144
        .size:           4
        .value_kind:     hidden_block_count_x
      - .offset:         148
        .size:           4
        .value_kind:     hidden_block_count_y
      - .offset:         152
        .size:           4
        .value_kind:     hidden_block_count_z
      - .offset:         156
        .size:           2
        .value_kind:     hidden_group_size_x
      - .offset:         158
        .size:           2
        .value_kind:     hidden_group_size_y
      - .offset:         160
        .size:           2
        .value_kind:     hidden_group_size_z
      - .offset:         162
        .size:           2
        .value_kind:     hidden_remainder_x
      - .offset:         164
        .size:           2
        .value_kind:     hidden_remainder_y
      - .offset:         166
        .size:           2
        .value_kind:     hidden_remainder_z
      - .offset:         184
        .size:           8
        .value_kind:     hidden_global_offset_x
      - .offset:         192
        .size:           8
        .value_kind:     hidden_global_offset_y
      - .offset:         200
        .size:           8
        .value_kind:     hidden_global_offset_z
      - .offset:         208
        .size:           2
        .value_kind:     hidden_grid_dims
    .group_segment_fixed_size: 8192
    .kernarg_segment_align: 8
    .kernarg_segment_size: 400
    .language:       OpenCL C
    .language_version:
      - 2
      - 0
    .max_flat_workgroup_size: 256
    .name:           _Z39paged_attention_ll4mi_QKV_mfma16_kernelI14__hip_bfloat16S0_LN4vllm18Fp8KVCacheDataTypeE0ES0_Li32ELi128ELi256ELb0ELi2EEvPKT_PKT0_S8_ifPKiSA_SA_iPKfiiiPfSD_PS3_PT2_iSC_SC_
    .private_segment_fixed_size: 12
    .sgpr_count:     47
    .sgpr_spill_count: 0
    .symbol:         _Z39paged_attention_ll4mi_QKV_mfma16_kernelI14__hip_bfloat16S0_LN4vllm18Fp8KVCacheDataTypeE0ES0_Li32ELi128ELi256ELb0ELi2EEvPKT_PKT0_S8_ifPKiSA_SA_iPKfiiiPfSD_PS3_PT2_iSC_SC_.kd
    .uniform_work_group_size: 1
    .uses_dynamic_stack: false
    .vgpr_count:     96
    .vgpr_spill_count: 2
    .wavefront_size: 64
  - .agpr_count:     0
    .args:
      - .actual_access:  read_only
        .address_space:  global
        .offset:         0
        .size:           8
        .value_kind:     global_buffer
      - .actual_access:  read_only
        .address_space:  global
        .offset:         8
        .size:           8
        .value_kind:     global_buffer
      - .actual_access:  read_only
        .address_space:  global
        .offset:         16
        .size:           8
        .value_kind:     global_buffer
      - .offset:         24
        .size:           4
        .value_kind:     by_value
      - .offset:         28
        .size:           4
        .value_kind:     by_value
      - .actual_access:  read_only
        .address_space:  global
        .offset:         32
        .size:           8
        .value_kind:     global_buffer
      - .actual_access:  read_only
        .address_space:  global
        .offset:         40
        .size:           8
        .value_kind:     global_buffer
      - .actual_access:  read_only
        .address_space:  global
        .offset:         48
        .size:           8
        .value_kind:     global_buffer
      - .offset:         56
        .size:           4
        .value_kind:     by_value
      - .actual_access:  read_only
        .address_space:  global
        .offset:         64
        .size:           8
        .value_kind:     global_buffer
      - .offset:         72
        .size:           4
        .value_kind:     by_value
      - .offset:         76
        .size:           4
        .value_kind:     by_value
      - .offset:         80
        .size:           4
        .value_kind:     by_value
      - .actual_access:  write_only
        .address_space:  global
        .offset:         88
        .size:           8
        .value_kind:     global_buffer
      - .actual_access:  write_only
        .address_space:  global
        .offset:         96
        .size:           8
        .value_kind:     global_buffer
      - .actual_access:  write_only
        .address_space:  global
        .offset:         104
        .size:           8
        .value_kind:     global_buffer
      - .actual_access:  read_only
        .address_space:  global
        .offset:         112
        .size:           8
        .value_kind:     global_buffer
      - .offset:         120
        .size:           4
        .value_kind:     by_value
      - .address_space:  global
        .offset:         128
        .size:           8
        .value_kind:     global_buffer
      - .address_space:  global
        .offset:         136
        .size:           8
        .value_kind:     global_buffer
      - .offset:         144
        .size:           4
        .value_kind:     hidden_block_count_x
      - .offset:         148
        .size:           4
        .value_kind:     hidden_block_count_y
      - .offset:         152
        .size:           4
        .value_kind:     hidden_block_count_z
      - .offset:         156
        .size:           2
        .value_kind:     hidden_group_size_x
      - .offset:         158
        .size:           2
        .value_kind:     hidden_group_size_y
      - .offset:         160
        .size:           2
        .value_kind:     hidden_group_size_z
      - .offset:         162
        .size:           2
        .value_kind:     hidden_remainder_x
      - .offset:         164
        .size:           2
        .value_kind:     hidden_remainder_y
      - .offset:         166
        .size:           2
        .value_kind:     hidden_remainder_z
      - .offset:         184
        .size:           8
        .value_kind:     hidden_global_offset_x
      - .offset:         192
        .size:           8
        .value_kind:     hidden_global_offset_y
      - .offset:         200
        .size:           8
        .value_kind:     hidden_global_offset_z
      - .offset:         208
        .size:           2
        .value_kind:     hidden_grid_dims
    .group_segment_fixed_size: 8192
    .kernarg_segment_align: 8
    .kernarg_segment_size: 400
    .language:       OpenCL C
    .language_version:
      - 2
      - 0
    .max_flat_workgroup_size: 256
    .name:           _Z39paged_attention_ll4mi_QKV_mfma16_kernelI14__hip_bfloat16S0_LN4vllm18Fp8KVCacheDataTypeE0ES0_Li32ELi128ELi256ELb0ELi3EEvPKT_PKT0_S8_ifPKiSA_SA_iPKfiiiPfSD_PS3_PT2_iSC_SC_
    .private_segment_fixed_size: 8
    .sgpr_count:     48
    .sgpr_spill_count: 0
    .symbol:         _Z39paged_attention_ll4mi_QKV_mfma16_kernelI14__hip_bfloat16S0_LN4vllm18Fp8KVCacheDataTypeE0ES0_Li32ELi128ELi256ELb0ELi3EEvPKT_PKT0_S8_ifPKiSA_SA_iPKfiiiPfSD_PS3_PT2_iSC_SC_.kd
    .uniform_work_group_size: 1
    .uses_dynamic_stack: false
    .vgpr_count:     96
    .vgpr_spill_count: 1
    .wavefront_size: 64
  - .agpr_count:     0
    .args:
      - .actual_access:  read_only
        .address_space:  global
        .offset:         0
        .size:           8
        .value_kind:     global_buffer
      - .actual_access:  read_only
        .address_space:  global
        .offset:         8
        .size:           8
        .value_kind:     global_buffer
      - .actual_access:  read_only
        .address_space:  global
        .offset:         16
        .size:           8
        .value_kind:     global_buffer
      - .offset:         24
        .size:           4
        .value_kind:     by_value
      - .offset:         28
        .size:           4
        .value_kind:     by_value
      - .actual_access:  read_only
        .address_space:  global
        .offset:         32
        .size:           8
        .value_kind:     global_buffer
      - .actual_access:  read_only
        .address_space:  global
        .offset:         40
        .size:           8
        .value_kind:     global_buffer
      - .actual_access:  read_only
        .address_space:  global
        .offset:         48
        .size:           8
        .value_kind:     global_buffer
      - .offset:         56
        .size:           4
        .value_kind:     by_value
      - .actual_access:  read_only
        .address_space:  global
        .offset:         64
        .size:           8
        .value_kind:     global_buffer
      - .offset:         72
        .size:           4
        .value_kind:     by_value
      - .offset:         76
        .size:           4
        .value_kind:     by_value
      - .offset:         80
        .size:           4
        .value_kind:     by_value
      - .actual_access:  write_only
        .address_space:  global
        .offset:         88
        .size:           8
        .value_kind:     global_buffer
      - .actual_access:  write_only
        .address_space:  global
        .offset:         96
        .size:           8
        .value_kind:     global_buffer
      - .actual_access:  write_only
        .address_space:  global
        .offset:         104
        .size:           8
        .value_kind:     global_buffer
      - .actual_access:  read_only
        .address_space:  global
        .offset:         112
        .size:           8
        .value_kind:     global_buffer
      - .offset:         120
        .size:           4
        .value_kind:     by_value
      - .address_space:  global
        .offset:         128
        .size:           8
        .value_kind:     global_buffer
      - .address_space:  global
        .offset:         136
        .size:           8
        .value_kind:     global_buffer
      - .offset:         144
        .size:           4
        .value_kind:     hidden_block_count_x
      - .offset:         148
        .size:           4
        .value_kind:     hidden_block_count_y
      - .offset:         152
        .size:           4
        .value_kind:     hidden_block_count_z
      - .offset:         156
        .size:           2
        .value_kind:     hidden_group_size_x
      - .offset:         158
        .size:           2
        .value_kind:     hidden_group_size_y
      - .offset:         160
        .size:           2
        .value_kind:     hidden_group_size_z
      - .offset:         162
        .size:           2
        .value_kind:     hidden_remainder_x
      - .offset:         164
        .size:           2
        .value_kind:     hidden_remainder_y
      - .offset:         166
        .size:           2
        .value_kind:     hidden_remainder_z
      - .offset:         184
        .size:           8
        .value_kind:     hidden_global_offset_x
      - .offset:         192
        .size:           8
        .value_kind:     hidden_global_offset_y
      - .offset:         200
        .size:           8
        .value_kind:     hidden_global_offset_z
      - .offset:         208
        .size:           2
        .value_kind:     hidden_grid_dims
    .group_segment_fixed_size: 8192
    .kernarg_segment_align: 8
    .kernarg_segment_size: 400
    .language:       OpenCL C
    .language_version:
      - 2
      - 0
    .max_flat_workgroup_size: 256
    .name:           _Z39paged_attention_ll4mi_QKV_mfma16_kernelI14__hip_bfloat16S0_LN4vllm18Fp8KVCacheDataTypeE0ES0_Li32ELi128ELi256ELb0ELi4EEvPKT_PKT0_S8_ifPKiSA_SA_iPKfiiiPfSD_PS3_PT2_iSC_SC_
    .private_segment_fixed_size: 12
    .sgpr_count:     49
    .sgpr_spill_count: 0
    .symbol:         _Z39paged_attention_ll4mi_QKV_mfma16_kernelI14__hip_bfloat16S0_LN4vllm18Fp8KVCacheDataTypeE0ES0_Li32ELi128ELi256ELb0ELi4EEvPKT_PKT0_S8_ifPKiSA_SA_iPKfiiiPfSD_PS3_PT2_iSC_SC_.kd
    .uniform_work_group_size: 1
    .uses_dynamic_stack: false
    .vgpr_count:     96
    .vgpr_spill_count: 2
    .wavefront_size: 64
  - .agpr_count:     4
    .args:
      - .actual_access:  read_only
        .address_space:  global
        .offset:         0
        .size:           8
        .value_kind:     global_buffer
      - .actual_access:  read_only
        .address_space:  global
        .offset:         8
        .size:           8
        .value_kind:     global_buffer
      - .actual_access:  read_only
        .address_space:  global
        .offset:         16
        .size:           8
        .value_kind:     global_buffer
      - .offset:         24
        .size:           4
        .value_kind:     by_value
      - .offset:         28
        .size:           4
        .value_kind:     by_value
      - .actual_access:  read_only
        .address_space:  global
        .offset:         32
        .size:           8
        .value_kind:     global_buffer
      - .actual_access:  read_only
        .address_space:  global
        .offset:         40
        .size:           8
        .value_kind:     global_buffer
      - .actual_access:  read_only
        .address_space:  global
        .offset:         48
        .size:           8
        .value_kind:     global_buffer
      - .offset:         56
        .size:           4
        .value_kind:     by_value
      - .actual_access:  read_only
        .address_space:  global
        .offset:         64
        .size:           8
        .value_kind:     global_buffer
      - .offset:         72
        .size:           4
        .value_kind:     by_value
      - .offset:         76
        .size:           4
        .value_kind:     by_value
      - .offset:         80
        .size:           4
        .value_kind:     by_value
      - .actual_access:  write_only
        .address_space:  global
        .offset:         88
        .size:           8
        .value_kind:     global_buffer
      - .actual_access:  write_only
        .address_space:  global
        .offset:         96
        .size:           8
        .value_kind:     global_buffer
      - .actual_access:  write_only
        .address_space:  global
        .offset:         104
        .size:           8
        .value_kind:     global_buffer
      - .actual_access:  read_only
        .address_space:  global
        .offset:         112
        .size:           8
        .value_kind:     global_buffer
      - .offset:         120
        .size:           4
        .value_kind:     by_value
      - .address_space:  global
        .offset:         128
        .size:           8
        .value_kind:     global_buffer
      - .address_space:  global
        .offset:         136
        .size:           8
        .value_kind:     global_buffer
      - .offset:         144
        .size:           4
        .value_kind:     hidden_block_count_x
      - .offset:         148
        .size:           4
        .value_kind:     hidden_block_count_y
      - .offset:         152
        .size:           4
        .value_kind:     hidden_block_count_z
      - .offset:         156
        .size:           2
        .value_kind:     hidden_group_size_x
      - .offset:         158
        .size:           2
        .value_kind:     hidden_group_size_y
      - .offset:         160
        .size:           2
        .value_kind:     hidden_group_size_z
      - .offset:         162
        .size:           2
        .value_kind:     hidden_remainder_x
      - .offset:         164
        .size:           2
        .value_kind:     hidden_remainder_y
      - .offset:         166
        .size:           2
        .value_kind:     hidden_remainder_z
      - .offset:         184
        .size:           8
        .value_kind:     hidden_global_offset_x
      - .offset:         192
        .size:           8
        .value_kind:     hidden_global_offset_y
      - .offset:         200
        .size:           8
        .value_kind:     hidden_global_offset_z
      - .offset:         208
        .size:           2
        .value_kind:     hidden_grid_dims
    .group_segment_fixed_size: 2720
    .kernarg_segment_align: 8
    .kernarg_segment_size: 400
    .language:       OpenCL C
    .language_version:
      - 2
      - 0
    .max_flat_workgroup_size: 256
    .name:           _Z38paged_attention_ll4mi_QKV_mfma4_kernelIDF16_hLN4vllm18Fp8KVCacheDataTypeE1EhLi16ELi64ELi256ELb1ELi1EEvPKT_PKT0_S7_ifPKiS9_S9_iPKfiiiPfSC_PS2_PT2_iSB_SB_
    .private_segment_fixed_size: 0
    .sgpr_count:     48
    .sgpr_spill_count: 0
    .symbol:         _Z38paged_attention_ll4mi_QKV_mfma4_kernelIDF16_hLN4vllm18Fp8KVCacheDataTypeE1EhLi16ELi64ELi256ELb1ELi1EEvPKT_PKT0_S7_ifPKiS9_S9_iPKfiiiPfSC_PS2_PT2_iSB_SB_.kd
    .uniform_work_group_size: 1
    .uses_dynamic_stack: false
    .vgpr_count:     52
    .vgpr_spill_count: 0
    .wavefront_size: 64
  - .agpr_count:     4
    .args:
      - .actual_access:  read_only
        .address_space:  global
        .offset:         0
        .size:           8
        .value_kind:     global_buffer
      - .actual_access:  read_only
        .address_space:  global
        .offset:         8
        .size:           8
        .value_kind:     global_buffer
      - .actual_access:  read_only
        .address_space:  global
        .offset:         16
        .size:           8
        .value_kind:     global_buffer
      - .offset:         24
        .size:           4
        .value_kind:     by_value
      - .offset:         28
        .size:           4
        .value_kind:     by_value
      - .actual_access:  read_only
        .address_space:  global
        .offset:         32
        .size:           8
        .value_kind:     global_buffer
      - .actual_access:  read_only
        .address_space:  global
        .offset:         40
        .size:           8
        .value_kind:     global_buffer
      - .actual_access:  read_only
        .address_space:  global
        .offset:         48
        .size:           8
        .value_kind:     global_buffer
      - .offset:         56
        .size:           4
        .value_kind:     by_value
      - .actual_access:  read_only
        .address_space:  global
        .offset:         64
        .size:           8
        .value_kind:     global_buffer
      - .offset:         72
        .size:           4
        .value_kind:     by_value
      - .offset:         76
        .size:           4
        .value_kind:     by_value
      - .offset:         80
        .size:           4
        .value_kind:     by_value
      - .actual_access:  write_only
        .address_space:  global
        .offset:         88
        .size:           8
        .value_kind:     global_buffer
      - .actual_access:  write_only
        .address_space:  global
        .offset:         96
        .size:           8
        .value_kind:     global_buffer
      - .actual_access:  write_only
        .address_space:  global
        .offset:         104
        .size:           8
        .value_kind:     global_buffer
      - .actual_access:  read_only
        .address_space:  global
        .offset:         112
        .size:           8
        .value_kind:     global_buffer
      - .offset:         120
        .size:           4
        .value_kind:     by_value
      - .address_space:  global
        .offset:         128
        .size:           8
        .value_kind:     global_buffer
      - .address_space:  global
        .offset:         136
        .size:           8
        .value_kind:     global_buffer
      - .offset:         144
        .size:           4
        .value_kind:     hidden_block_count_x
      - .offset:         148
        .size:           4
        .value_kind:     hidden_block_count_y
      - .offset:         152
        .size:           4
        .value_kind:     hidden_block_count_z
      - .offset:         156
        .size:           2
        .value_kind:     hidden_group_size_x
      - .offset:         158
        .size:           2
        .value_kind:     hidden_group_size_y
      - .offset:         160
        .size:           2
        .value_kind:     hidden_group_size_z
      - .offset:         162
        .size:           2
        .value_kind:     hidden_remainder_x
      - .offset:         164
        .size:           2
        .value_kind:     hidden_remainder_y
      - .offset:         166
        .size:           2
        .value_kind:     hidden_remainder_z
      - .offset:         184
        .size:           8
        .value_kind:     hidden_global_offset_x
      - .offset:         192
        .size:           8
        .value_kind:     hidden_global_offset_y
      - .offset:         200
        .size:           8
        .value_kind:     hidden_global_offset_z
      - .offset:         208
        .size:           2
        .value_kind:     hidden_grid_dims
    .group_segment_fixed_size: 2720
    .kernarg_segment_align: 8
    .kernarg_segment_size: 400
    .language:       OpenCL C
    .language_version:
      - 2
      - 0
    .max_flat_workgroup_size: 256
    .name:           _Z38paged_attention_ll4mi_QKV_mfma4_kernelIDF16_hLN4vllm18Fp8KVCacheDataTypeE1EhLi16ELi64ELi256ELb1ELi2EEvPKT_PKT0_S7_ifPKiS9_S9_iPKfiiiPfSC_PS2_PT2_iSB_SB_
    .private_segment_fixed_size: 0
    .sgpr_count:     50
    .sgpr_spill_count: 0
    .symbol:         _Z38paged_attention_ll4mi_QKV_mfma4_kernelIDF16_hLN4vllm18Fp8KVCacheDataTypeE1EhLi16ELi64ELi256ELb1ELi2EEvPKT_PKT0_S7_ifPKiS9_S9_iPKfiiiPfSC_PS2_PT2_iSB_SB_.kd
    .uniform_work_group_size: 1
    .uses_dynamic_stack: false
    .vgpr_count:     52
    .vgpr_spill_count: 0
    .wavefront_size: 64
  - .agpr_count:     4
    .args:
      - .actual_access:  read_only
        .address_space:  global
        .offset:         0
        .size:           8
        .value_kind:     global_buffer
      - .actual_access:  read_only
        .address_space:  global
        .offset:         8
        .size:           8
        .value_kind:     global_buffer
      - .actual_access:  read_only
        .address_space:  global
        .offset:         16
        .size:           8
        .value_kind:     global_buffer
      - .offset:         24
        .size:           4
        .value_kind:     by_value
      - .offset:         28
        .size:           4
        .value_kind:     by_value
      - .actual_access:  read_only
        .address_space:  global
        .offset:         32
        .size:           8
        .value_kind:     global_buffer
      - .actual_access:  read_only
        .address_space:  global
        .offset:         40
        .size:           8
        .value_kind:     global_buffer
      - .actual_access:  read_only
        .address_space:  global
        .offset:         48
        .size:           8
        .value_kind:     global_buffer
      - .offset:         56
        .size:           4
        .value_kind:     by_value
      - .actual_access:  read_only
        .address_space:  global
        .offset:         64
        .size:           8
        .value_kind:     global_buffer
      - .offset:         72
        .size:           4
        .value_kind:     by_value
      - .offset:         76
        .size:           4
        .value_kind:     by_value
      - .offset:         80
        .size:           4
        .value_kind:     by_value
      - .actual_access:  write_only
        .address_space:  global
        .offset:         88
        .size:           8
        .value_kind:     global_buffer
      - .actual_access:  write_only
        .address_space:  global
        .offset:         96
        .size:           8
        .value_kind:     global_buffer
      - .actual_access:  write_only
        .address_space:  global
        .offset:         104
        .size:           8
        .value_kind:     global_buffer
      - .actual_access:  read_only
        .address_space:  global
        .offset:         112
        .size:           8
        .value_kind:     global_buffer
      - .offset:         120
        .size:           4
        .value_kind:     by_value
      - .address_space:  global
        .offset:         128
        .size:           8
        .value_kind:     global_buffer
      - .address_space:  global
        .offset:         136
        .size:           8
        .value_kind:     global_buffer
      - .offset:         144
        .size:           4
        .value_kind:     hidden_block_count_x
      - .offset:         148
        .size:           4
        .value_kind:     hidden_block_count_y
      - .offset:         152
        .size:           4
        .value_kind:     hidden_block_count_z
      - .offset:         156
        .size:           2
        .value_kind:     hidden_group_size_x
      - .offset:         158
        .size:           2
        .value_kind:     hidden_group_size_y
      - .offset:         160
        .size:           2
        .value_kind:     hidden_group_size_z
      - .offset:         162
        .size:           2
        .value_kind:     hidden_remainder_x
      - .offset:         164
        .size:           2
        .value_kind:     hidden_remainder_y
      - .offset:         166
        .size:           2
        .value_kind:     hidden_remainder_z
      - .offset:         184
        .size:           8
        .value_kind:     hidden_global_offset_x
      - .offset:         192
        .size:           8
        .value_kind:     hidden_global_offset_y
      - .offset:         200
        .size:           8
        .value_kind:     hidden_global_offset_z
      - .offset:         208
        .size:           2
        .value_kind:     hidden_grid_dims
    .group_segment_fixed_size: 2720
    .kernarg_segment_align: 8
    .kernarg_segment_size: 400
    .language:       OpenCL C
    .language_version:
      - 2
      - 0
    .max_flat_workgroup_size: 256
    .name:           _Z38paged_attention_ll4mi_QKV_mfma4_kernelIDF16_hLN4vllm18Fp8KVCacheDataTypeE1EhLi16ELi64ELi256ELb1ELi3EEvPKT_PKT0_S7_ifPKiS9_S9_iPKfiiiPfSC_PS2_PT2_iSB_SB_
    .private_segment_fixed_size: 0
    .sgpr_count:     50
    .sgpr_spill_count: 0
    .symbol:         _Z38paged_attention_ll4mi_QKV_mfma4_kernelIDF16_hLN4vllm18Fp8KVCacheDataTypeE1EhLi16ELi64ELi256ELb1ELi3EEvPKT_PKT0_S7_ifPKiS9_S9_iPKfiiiPfSC_PS2_PT2_iSB_SB_.kd
    .uniform_work_group_size: 1
    .uses_dynamic_stack: false
    .vgpr_count:     52
    .vgpr_spill_count: 0
    .wavefront_size: 64
  - .agpr_count:     4
    .args:
      - .actual_access:  read_only
        .address_space:  global
        .offset:         0
        .size:           8
        .value_kind:     global_buffer
      - .actual_access:  read_only
        .address_space:  global
        .offset:         8
        .size:           8
        .value_kind:     global_buffer
      - .actual_access:  read_only
        .address_space:  global
        .offset:         16
        .size:           8
        .value_kind:     global_buffer
      - .offset:         24
        .size:           4
        .value_kind:     by_value
      - .offset:         28
        .size:           4
        .value_kind:     by_value
      - .actual_access:  read_only
        .address_space:  global
        .offset:         32
        .size:           8
        .value_kind:     global_buffer
      - .actual_access:  read_only
        .address_space:  global
        .offset:         40
        .size:           8
        .value_kind:     global_buffer
      - .actual_access:  read_only
        .address_space:  global
        .offset:         48
        .size:           8
        .value_kind:     global_buffer
      - .offset:         56
        .size:           4
        .value_kind:     by_value
      - .actual_access:  read_only
        .address_space:  global
        .offset:         64
        .size:           8
        .value_kind:     global_buffer
      - .offset:         72
        .size:           4
        .value_kind:     by_value
      - .offset:         76
        .size:           4
        .value_kind:     by_value
      - .offset:         80
        .size:           4
        .value_kind:     by_value
      - .actual_access:  write_only
        .address_space:  global
        .offset:         88
        .size:           8
        .value_kind:     global_buffer
      - .actual_access:  write_only
        .address_space:  global
        .offset:         96
        .size:           8
        .value_kind:     global_buffer
      - .actual_access:  write_only
        .address_space:  global
        .offset:         104
        .size:           8
        .value_kind:     global_buffer
      - .actual_access:  read_only
        .address_space:  global
        .offset:         112
        .size:           8
        .value_kind:     global_buffer
      - .offset:         120
        .size:           4
        .value_kind:     by_value
      - .address_space:  global
        .offset:         128
        .size:           8
        .value_kind:     global_buffer
      - .address_space:  global
        .offset:         136
        .size:           8
        .value_kind:     global_buffer
      - .offset:         144
        .size:           4
        .value_kind:     hidden_block_count_x
      - .offset:         148
        .size:           4
        .value_kind:     hidden_block_count_y
      - .offset:         152
        .size:           4
        .value_kind:     hidden_block_count_z
      - .offset:         156
        .size:           2
        .value_kind:     hidden_group_size_x
      - .offset:         158
        .size:           2
        .value_kind:     hidden_group_size_y
      - .offset:         160
        .size:           2
        .value_kind:     hidden_group_size_z
      - .offset:         162
        .size:           2
        .value_kind:     hidden_remainder_x
      - .offset:         164
        .size:           2
        .value_kind:     hidden_remainder_y
      - .offset:         166
        .size:           2
        .value_kind:     hidden_remainder_z
      - .offset:         184
        .size:           8
        .value_kind:     hidden_global_offset_x
      - .offset:         192
        .size:           8
        .value_kind:     hidden_global_offset_y
      - .offset:         200
        .size:           8
        .value_kind:     hidden_global_offset_z
      - .offset:         208
        .size:           2
        .value_kind:     hidden_grid_dims
    .group_segment_fixed_size: 2720
    .kernarg_segment_align: 8
    .kernarg_segment_size: 400
    .language:       OpenCL C
    .language_version:
      - 2
      - 0
    .max_flat_workgroup_size: 256
    .name:           _Z38paged_attention_ll4mi_QKV_mfma4_kernelIDF16_hLN4vllm18Fp8KVCacheDataTypeE1EhLi16ELi64ELi256ELb1ELi4EEvPKT_PKT0_S7_ifPKiS9_S9_iPKfiiiPfSC_PS2_PT2_iSB_SB_
    .private_segment_fixed_size: 0
    .sgpr_count:     51
    .sgpr_spill_count: 0
    .symbol:         _Z38paged_attention_ll4mi_QKV_mfma4_kernelIDF16_hLN4vllm18Fp8KVCacheDataTypeE1EhLi16ELi64ELi256ELb1ELi4EEvPKT_PKT0_S7_ifPKiS9_S9_iPKfiiiPfSC_PS2_PT2_iSB_SB_.kd
    .uniform_work_group_size: 1
    .uses_dynamic_stack: false
    .vgpr_count:     80
    .vgpr_spill_count: 0
    .wavefront_size: 64
  - .agpr_count:     0
    .args:
      - .actual_access:  read_only
        .address_space:  global
        .offset:         0
        .size:           8
        .value_kind:     global_buffer
      - .actual_access:  read_only
        .address_space:  global
        .offset:         8
        .size:           8
        .value_kind:     global_buffer
      - .actual_access:  read_only
        .address_space:  global
        .offset:         16
        .size:           8
        .value_kind:     global_buffer
      - .offset:         24
        .size:           4
        .value_kind:     by_value
      - .offset:         28
        .size:           4
        .value_kind:     by_value
      - .actual_access:  read_only
        .address_space:  global
        .offset:         32
        .size:           8
        .value_kind:     global_buffer
      - .actual_access:  read_only
        .address_space:  global
        .offset:         40
        .size:           8
        .value_kind:     global_buffer
      - .actual_access:  read_only
        .address_space:  global
        .offset:         48
        .size:           8
        .value_kind:     global_buffer
      - .offset:         56
        .size:           4
        .value_kind:     by_value
      - .actual_access:  read_only
        .address_space:  global
        .offset:         64
        .size:           8
        .value_kind:     global_buffer
      - .offset:         72
        .size:           4
        .value_kind:     by_value
      - .offset:         76
        .size:           4
        .value_kind:     by_value
      - .offset:         80
        .size:           4
        .value_kind:     by_value
      - .actual_access:  write_only
        .address_space:  global
        .offset:         88
        .size:           8
        .value_kind:     global_buffer
      - .actual_access:  write_only
        .address_space:  global
        .offset:         96
        .size:           8
        .value_kind:     global_buffer
      - .actual_access:  write_only
        .address_space:  global
        .offset:         104
        .size:           8
        .value_kind:     global_buffer
      - .actual_access:  read_only
        .address_space:  global
        .offset:         112
        .size:           8
        .value_kind:     global_buffer
      - .offset:         120
        .size:           4
        .value_kind:     by_value
      - .address_space:  global
        .offset:         128
        .size:           8
        .value_kind:     global_buffer
      - .address_space:  global
        .offset:         136
        .size:           8
        .value_kind:     global_buffer
      - .offset:         144
        .size:           4
        .value_kind:     hidden_block_count_x
      - .offset:         148
        .size:           4
        .value_kind:     hidden_block_count_y
      - .offset:         152
        .size:           4
        .value_kind:     hidden_block_count_z
      - .offset:         156
        .size:           2
        .value_kind:     hidden_group_size_x
      - .offset:         158
        .size:           2
        .value_kind:     hidden_group_size_y
      - .offset:         160
        .size:           2
        .value_kind:     hidden_group_size_z
      - .offset:         162
        .size:           2
        .value_kind:     hidden_remainder_x
      - .offset:         164
        .size:           2
        .value_kind:     hidden_remainder_y
      - .offset:         166
        .size:           2
        .value_kind:     hidden_remainder_z
      - .offset:         184
        .size:           8
        .value_kind:     hidden_global_offset_x
      - .offset:         192
        .size:           8
        .value_kind:     hidden_global_offset_y
      - .offset:         200
        .size:           8
        .value_kind:     hidden_global_offset_z
      - .offset:         208
        .size:           2
        .value_kind:     hidden_grid_dims
    .group_segment_fixed_size: 8192
    .kernarg_segment_align: 8
    .kernarg_segment_size: 400
    .language:       OpenCL C
    .language_version:
      - 2
      - 0
    .max_flat_workgroup_size: 256
    .name:           _Z39paged_attention_ll4mi_QKV_mfma16_kernelIDF16_hLN4vllm18Fp8KVCacheDataTypeE1EhLi16ELi64ELi256ELb1ELi5EEvPKT_PKT0_S7_ifPKiS9_S9_iPKfiiiPfSC_PS2_PT2_iSB_SB_
    .private_segment_fixed_size: 0
    .sgpr_count:     56
    .sgpr_spill_count: 0
    .symbol:         _Z39paged_attention_ll4mi_QKV_mfma16_kernelIDF16_hLN4vllm18Fp8KVCacheDataTypeE1EhLi16ELi64ELi256ELb1ELi5EEvPKT_PKT0_S7_ifPKiS9_S9_iPKfiiiPfSC_PS2_PT2_iSB_SB_.kd
    .uniform_work_group_size: 1
    .uses_dynamic_stack: false
    .vgpr_count:     67
    .vgpr_spill_count: 0
    .wavefront_size: 64
  - .agpr_count:     0
    .args:
      - .actual_access:  read_only
        .address_space:  global
        .offset:         0
        .size:           8
        .value_kind:     global_buffer
      - .actual_access:  read_only
        .address_space:  global
        .offset:         8
        .size:           8
        .value_kind:     global_buffer
      - .actual_access:  read_only
        .address_space:  global
        .offset:         16
        .size:           8
        .value_kind:     global_buffer
      - .offset:         24
        .size:           4
        .value_kind:     by_value
      - .offset:         28
        .size:           4
        .value_kind:     by_value
      - .actual_access:  read_only
        .address_space:  global
        .offset:         32
        .size:           8
        .value_kind:     global_buffer
      - .actual_access:  read_only
        .address_space:  global
        .offset:         40
        .size:           8
        .value_kind:     global_buffer
      - .actual_access:  read_only
        .address_space:  global
        .offset:         48
        .size:           8
        .value_kind:     global_buffer
      - .offset:         56
        .size:           4
        .value_kind:     by_value
      - .actual_access:  read_only
        .address_space:  global
        .offset:         64
        .size:           8
        .value_kind:     global_buffer
      - .offset:         72
        .size:           4
        .value_kind:     by_value
      - .offset:         76
        .size:           4
        .value_kind:     by_value
      - .offset:         80
        .size:           4
        .value_kind:     by_value
      - .actual_access:  write_only
        .address_space:  global
        .offset:         88
        .size:           8
        .value_kind:     global_buffer
      - .actual_access:  write_only
        .address_space:  global
        .offset:         96
        .size:           8
        .value_kind:     global_buffer
      - .actual_access:  write_only
        .address_space:  global
        .offset:         104
        .size:           8
        .value_kind:     global_buffer
      - .actual_access:  read_only
        .address_space:  global
        .offset:         112
        .size:           8
        .value_kind:     global_buffer
      - .offset:         120
        .size:           4
        .value_kind:     by_value
      - .address_space:  global
        .offset:         128
        .size:           8
        .value_kind:     global_buffer
      - .address_space:  global
        .offset:         136
        .size:           8
        .value_kind:     global_buffer
      - .offset:         144
        .size:           4
        .value_kind:     hidden_block_count_x
      - .offset:         148
        .size:           4
        .value_kind:     hidden_block_count_y
      - .offset:         152
        .size:           4
        .value_kind:     hidden_block_count_z
      - .offset:         156
        .size:           2
        .value_kind:     hidden_group_size_x
      - .offset:         158
        .size:           2
        .value_kind:     hidden_group_size_y
      - .offset:         160
        .size:           2
        .value_kind:     hidden_group_size_z
      - .offset:         162
        .size:           2
        .value_kind:     hidden_remainder_x
      - .offset:         164
        .size:           2
        .value_kind:     hidden_remainder_y
      - .offset:         166
        .size:           2
        .value_kind:     hidden_remainder_z
      - .offset:         184
        .size:           8
        .value_kind:     hidden_global_offset_x
      - .offset:         192
        .size:           8
        .value_kind:     hidden_global_offset_y
      - .offset:         200
        .size:           8
        .value_kind:     hidden_global_offset_z
      - .offset:         208
        .size:           2
        .value_kind:     hidden_grid_dims
    .group_segment_fixed_size: 8192
    .kernarg_segment_align: 8
    .kernarg_segment_size: 400
    .language:       OpenCL C
    .language_version:
      - 2
      - 0
    .max_flat_workgroup_size: 256
    .name:           _Z39paged_attention_ll4mi_QKV_mfma16_kernelIDF16_hLN4vllm18Fp8KVCacheDataTypeE1EhLi16ELi64ELi256ELb1ELi6EEvPKT_PKT0_S7_ifPKiS9_S9_iPKfiiiPfSC_PS2_PT2_iSB_SB_
    .private_segment_fixed_size: 0
    .sgpr_count:     56
    .sgpr_spill_count: 0
    .symbol:         _Z39paged_attention_ll4mi_QKV_mfma16_kernelIDF16_hLN4vllm18Fp8KVCacheDataTypeE1EhLi16ELi64ELi256ELb1ELi6EEvPKT_PKT0_S7_ifPKiS9_S9_iPKfiiiPfSC_PS2_PT2_iSB_SB_.kd
    .uniform_work_group_size: 1
    .uses_dynamic_stack: false
    .vgpr_count:     67
    .vgpr_spill_count: 0
    .wavefront_size: 64
  - .agpr_count:     0
    .args:
      - .actual_access:  read_only
        .address_space:  global
        .offset:         0
        .size:           8
        .value_kind:     global_buffer
      - .actual_access:  read_only
        .address_space:  global
        .offset:         8
        .size:           8
        .value_kind:     global_buffer
      - .actual_access:  read_only
        .address_space:  global
        .offset:         16
        .size:           8
        .value_kind:     global_buffer
      - .offset:         24
        .size:           4
        .value_kind:     by_value
      - .offset:         28
        .size:           4
        .value_kind:     by_value
      - .actual_access:  read_only
        .address_space:  global
        .offset:         32
        .size:           8
        .value_kind:     global_buffer
      - .actual_access:  read_only
        .address_space:  global
        .offset:         40
        .size:           8
        .value_kind:     global_buffer
      - .actual_access:  read_only
        .address_space:  global
        .offset:         48
        .size:           8
        .value_kind:     global_buffer
      - .offset:         56
        .size:           4
        .value_kind:     by_value
      - .actual_access:  read_only
        .address_space:  global
        .offset:         64
        .size:           8
        .value_kind:     global_buffer
      - .offset:         72
        .size:           4
        .value_kind:     by_value
      - .offset:         76
        .size:           4
        .value_kind:     by_value
      - .offset:         80
        .size:           4
        .value_kind:     by_value
      - .actual_access:  write_only
        .address_space:  global
        .offset:         88
        .size:           8
        .value_kind:     global_buffer
      - .actual_access:  write_only
        .address_space:  global
        .offset:         96
        .size:           8
        .value_kind:     global_buffer
      - .actual_access:  write_only
        .address_space:  global
        .offset:         104
        .size:           8
        .value_kind:     global_buffer
      - .actual_access:  read_only
        .address_space:  global
        .offset:         112
        .size:           8
        .value_kind:     global_buffer
      - .offset:         120
        .size:           4
        .value_kind:     by_value
      - .address_space:  global
        .offset:         128
        .size:           8
        .value_kind:     global_buffer
      - .address_space:  global
        .offset:         136
        .size:           8
        .value_kind:     global_buffer
      - .offset:         144
        .size:           4
        .value_kind:     hidden_block_count_x
      - .offset:         148
        .size:           4
        .value_kind:     hidden_block_count_y
      - .offset:         152
        .size:           4
        .value_kind:     hidden_block_count_z
      - .offset:         156
        .size:           2
        .value_kind:     hidden_group_size_x
      - .offset:         158
        .size:           2
        .value_kind:     hidden_group_size_y
      - .offset:         160
        .size:           2
        .value_kind:     hidden_group_size_z
      - .offset:         162
        .size:           2
        .value_kind:     hidden_remainder_x
      - .offset:         164
        .size:           2
        .value_kind:     hidden_remainder_y
      - .offset:         166
        .size:           2
        .value_kind:     hidden_remainder_z
      - .offset:         184
        .size:           8
        .value_kind:     hidden_global_offset_x
      - .offset:         192
        .size:           8
        .value_kind:     hidden_global_offset_y
      - .offset:         200
        .size:           8
        .value_kind:     hidden_global_offset_z
      - .offset:         208
        .size:           2
        .value_kind:     hidden_grid_dims
    .group_segment_fixed_size: 8192
    .kernarg_segment_align: 8
    .kernarg_segment_size: 400
    .language:       OpenCL C
    .language_version:
      - 2
      - 0
    .max_flat_workgroup_size: 256
    .name:           _Z39paged_attention_ll4mi_QKV_mfma16_kernelIDF16_hLN4vllm18Fp8KVCacheDataTypeE1EhLi16ELi64ELi256ELb1ELi7EEvPKT_PKT0_S7_ifPKiS9_S9_iPKfiiiPfSC_PS2_PT2_iSB_SB_
    .private_segment_fixed_size: 0
    .sgpr_count:     56
    .sgpr_spill_count: 0
    .symbol:         _Z39paged_attention_ll4mi_QKV_mfma16_kernelIDF16_hLN4vllm18Fp8KVCacheDataTypeE1EhLi16ELi64ELi256ELb1ELi7EEvPKT_PKT0_S7_ifPKiS9_S9_iPKfiiiPfSC_PS2_PT2_iSB_SB_.kd
    .uniform_work_group_size: 1
    .uses_dynamic_stack: false
    .vgpr_count:     67
    .vgpr_spill_count: 0
    .wavefront_size: 64
  - .agpr_count:     0
    .args:
      - .actual_access:  read_only
        .address_space:  global
        .offset:         0
        .size:           8
        .value_kind:     global_buffer
      - .actual_access:  read_only
        .address_space:  global
        .offset:         8
        .size:           8
        .value_kind:     global_buffer
      - .actual_access:  read_only
        .address_space:  global
        .offset:         16
        .size:           8
        .value_kind:     global_buffer
      - .offset:         24
        .size:           4
        .value_kind:     by_value
      - .offset:         28
        .size:           4
        .value_kind:     by_value
      - .actual_access:  read_only
        .address_space:  global
        .offset:         32
        .size:           8
        .value_kind:     global_buffer
      - .actual_access:  read_only
        .address_space:  global
        .offset:         40
        .size:           8
        .value_kind:     global_buffer
      - .actual_access:  read_only
        .address_space:  global
        .offset:         48
        .size:           8
        .value_kind:     global_buffer
      - .offset:         56
        .size:           4
        .value_kind:     by_value
      - .actual_access:  read_only
        .address_space:  global
        .offset:         64
        .size:           8
        .value_kind:     global_buffer
      - .offset:         72
        .size:           4
        .value_kind:     by_value
      - .offset:         76
        .size:           4
        .value_kind:     by_value
      - .offset:         80
        .size:           4
        .value_kind:     by_value
      - .actual_access:  write_only
        .address_space:  global
        .offset:         88
        .size:           8
        .value_kind:     global_buffer
      - .actual_access:  write_only
        .address_space:  global
        .offset:         96
        .size:           8
        .value_kind:     global_buffer
      - .actual_access:  write_only
        .address_space:  global
        .offset:         104
        .size:           8
        .value_kind:     global_buffer
      - .actual_access:  read_only
        .address_space:  global
        .offset:         112
        .size:           8
        .value_kind:     global_buffer
      - .offset:         120
        .size:           4
        .value_kind:     by_value
      - .address_space:  global
        .offset:         128
        .size:           8
        .value_kind:     global_buffer
      - .address_space:  global
        .offset:         136
        .size:           8
        .value_kind:     global_buffer
      - .offset:         144
        .size:           4
        .value_kind:     hidden_block_count_x
      - .offset:         148
        .size:           4
        .value_kind:     hidden_block_count_y
      - .offset:         152
        .size:           4
        .value_kind:     hidden_block_count_z
      - .offset:         156
        .size:           2
        .value_kind:     hidden_group_size_x
      - .offset:         158
        .size:           2
        .value_kind:     hidden_group_size_y
      - .offset:         160
        .size:           2
        .value_kind:     hidden_group_size_z
      - .offset:         162
        .size:           2
        .value_kind:     hidden_remainder_x
      - .offset:         164
        .size:           2
        .value_kind:     hidden_remainder_y
      - .offset:         166
        .size:           2
        .value_kind:     hidden_remainder_z
      - .offset:         184
        .size:           8
        .value_kind:     hidden_global_offset_x
      - .offset:         192
        .size:           8
        .value_kind:     hidden_global_offset_y
      - .offset:         200
        .size:           8
        .value_kind:     hidden_global_offset_z
      - .offset:         208
        .size:           2
        .value_kind:     hidden_grid_dims
    .group_segment_fixed_size: 8192
    .kernarg_segment_align: 8
    .kernarg_segment_size: 400
    .language:       OpenCL C
    .language_version:
      - 2
      - 0
    .max_flat_workgroup_size: 256
    .name:           _Z39paged_attention_ll4mi_QKV_mfma16_kernelIDF16_hLN4vllm18Fp8KVCacheDataTypeE1EhLi16ELi64ELi256ELb1ELi8EEvPKT_PKT0_S7_ifPKiS9_S9_iPKfiiiPfSC_PS2_PT2_iSB_SB_
    .private_segment_fixed_size: 0
    .sgpr_count:     54
    .sgpr_spill_count: 0
    .symbol:         _Z39paged_attention_ll4mi_QKV_mfma16_kernelIDF16_hLN4vllm18Fp8KVCacheDataTypeE1EhLi16ELi64ELi256ELb1ELi8EEvPKT_PKT0_S7_ifPKiS9_S9_iPKfiiiPfSC_PS2_PT2_iSB_SB_.kd
    .uniform_work_group_size: 1
    .uses_dynamic_stack: false
    .vgpr_count:     68
    .vgpr_spill_count: 0
    .wavefront_size: 64
  - .agpr_count:     0
    .args:
      - .actual_access:  read_only
        .address_space:  global
        .offset:         0
        .size:           8
        .value_kind:     global_buffer
      - .actual_access:  read_only
        .address_space:  global
        .offset:         8
        .size:           8
        .value_kind:     global_buffer
      - .actual_access:  read_only
        .address_space:  global
        .offset:         16
        .size:           8
        .value_kind:     global_buffer
      - .offset:         24
        .size:           4
        .value_kind:     by_value
      - .offset:         28
        .size:           4
        .value_kind:     by_value
      - .actual_access:  read_only
        .address_space:  global
        .offset:         32
        .size:           8
        .value_kind:     global_buffer
      - .actual_access:  read_only
        .address_space:  global
        .offset:         40
        .size:           8
        .value_kind:     global_buffer
      - .actual_access:  read_only
        .address_space:  global
        .offset:         48
        .size:           8
        .value_kind:     global_buffer
      - .offset:         56
        .size:           4
        .value_kind:     by_value
      - .actual_access:  read_only
        .address_space:  global
        .offset:         64
        .size:           8
        .value_kind:     global_buffer
      - .offset:         72
        .size:           4
        .value_kind:     by_value
      - .offset:         76
        .size:           4
        .value_kind:     by_value
      - .offset:         80
        .size:           4
        .value_kind:     by_value
      - .actual_access:  write_only
        .address_space:  global
        .offset:         88
        .size:           8
        .value_kind:     global_buffer
      - .actual_access:  write_only
        .address_space:  global
        .offset:         96
        .size:           8
        .value_kind:     global_buffer
      - .actual_access:  write_only
        .address_space:  global
        .offset:         104
        .size:           8
        .value_kind:     global_buffer
      - .actual_access:  read_only
        .address_space:  global
        .offset:         112
        .size:           8
        .value_kind:     global_buffer
      - .offset:         120
        .size:           4
        .value_kind:     by_value
      - .address_space:  global
        .offset:         128
        .size:           8
        .value_kind:     global_buffer
      - .address_space:  global
        .offset:         136
        .size:           8
        .value_kind:     global_buffer
      - .offset:         144
        .size:           4
        .value_kind:     hidden_block_count_x
      - .offset:         148
        .size:           4
        .value_kind:     hidden_block_count_y
      - .offset:         152
        .size:           4
        .value_kind:     hidden_block_count_z
      - .offset:         156
        .size:           2
        .value_kind:     hidden_group_size_x
      - .offset:         158
        .size:           2
        .value_kind:     hidden_group_size_y
      - .offset:         160
        .size:           2
        .value_kind:     hidden_group_size_z
      - .offset:         162
        .size:           2
        .value_kind:     hidden_remainder_x
      - .offset:         164
        .size:           2
        .value_kind:     hidden_remainder_y
      - .offset:         166
        .size:           2
        .value_kind:     hidden_remainder_z
      - .offset:         184
        .size:           8
        .value_kind:     hidden_global_offset_x
      - .offset:         192
        .size:           8
        .value_kind:     hidden_global_offset_y
      - .offset:         200
        .size:           8
        .value_kind:     hidden_global_offset_z
      - .offset:         208
        .size:           2
        .value_kind:     hidden_grid_dims
    .group_segment_fixed_size: 8192
    .kernarg_segment_align: 8
    .kernarg_segment_size: 400
    .language:       OpenCL C
    .language_version:
      - 2
      - 0
    .max_flat_workgroup_size: 256
    .name:           _Z39paged_attention_ll4mi_QKV_mfma16_kernelIDF16_hLN4vllm18Fp8KVCacheDataTypeE1EhLi16ELi64ELi256ELb1ELi9EEvPKT_PKT0_S7_ifPKiS9_S9_iPKfiiiPfSC_PS2_PT2_iSB_SB_
    .private_segment_fixed_size: 0
    .sgpr_count:     56
    .sgpr_spill_count: 0
    .symbol:         _Z39paged_attention_ll4mi_QKV_mfma16_kernelIDF16_hLN4vllm18Fp8KVCacheDataTypeE1EhLi16ELi64ELi256ELb1ELi9EEvPKT_PKT0_S7_ifPKiS9_S9_iPKfiiiPfSC_PS2_PT2_iSB_SB_.kd
    .uniform_work_group_size: 1
    .uses_dynamic_stack: false
    .vgpr_count:     67
    .vgpr_spill_count: 0
    .wavefront_size: 64
  - .agpr_count:     0
    .args:
      - .actual_access:  read_only
        .address_space:  global
        .offset:         0
        .size:           8
        .value_kind:     global_buffer
      - .actual_access:  read_only
        .address_space:  global
        .offset:         8
        .size:           8
        .value_kind:     global_buffer
      - .actual_access:  read_only
        .address_space:  global
        .offset:         16
        .size:           8
        .value_kind:     global_buffer
      - .offset:         24
        .size:           4
        .value_kind:     by_value
      - .offset:         28
        .size:           4
        .value_kind:     by_value
      - .actual_access:  read_only
        .address_space:  global
        .offset:         32
        .size:           8
        .value_kind:     global_buffer
      - .actual_access:  read_only
        .address_space:  global
        .offset:         40
        .size:           8
        .value_kind:     global_buffer
      - .actual_access:  read_only
        .address_space:  global
        .offset:         48
        .size:           8
        .value_kind:     global_buffer
      - .offset:         56
        .size:           4
        .value_kind:     by_value
      - .actual_access:  read_only
        .address_space:  global
        .offset:         64
        .size:           8
        .value_kind:     global_buffer
      - .offset:         72
        .size:           4
        .value_kind:     by_value
      - .offset:         76
        .size:           4
        .value_kind:     by_value
      - .offset:         80
        .size:           4
        .value_kind:     by_value
      - .actual_access:  write_only
        .address_space:  global
        .offset:         88
        .size:           8
        .value_kind:     global_buffer
      - .actual_access:  write_only
        .address_space:  global
        .offset:         96
        .size:           8
        .value_kind:     global_buffer
      - .actual_access:  write_only
        .address_space:  global
        .offset:         104
        .size:           8
        .value_kind:     global_buffer
      - .actual_access:  read_only
        .address_space:  global
        .offset:         112
        .size:           8
        .value_kind:     global_buffer
      - .offset:         120
        .size:           4
        .value_kind:     by_value
      - .address_space:  global
        .offset:         128
        .size:           8
        .value_kind:     global_buffer
      - .address_space:  global
        .offset:         136
        .size:           8
        .value_kind:     global_buffer
      - .offset:         144
        .size:           4
        .value_kind:     hidden_block_count_x
      - .offset:         148
        .size:           4
        .value_kind:     hidden_block_count_y
      - .offset:         152
        .size:           4
        .value_kind:     hidden_block_count_z
      - .offset:         156
        .size:           2
        .value_kind:     hidden_group_size_x
      - .offset:         158
        .size:           2
        .value_kind:     hidden_group_size_y
      - .offset:         160
        .size:           2
        .value_kind:     hidden_group_size_z
      - .offset:         162
        .size:           2
        .value_kind:     hidden_remainder_x
      - .offset:         164
        .size:           2
        .value_kind:     hidden_remainder_y
      - .offset:         166
        .size:           2
        .value_kind:     hidden_remainder_z
      - .offset:         184
        .size:           8
        .value_kind:     hidden_global_offset_x
      - .offset:         192
        .size:           8
        .value_kind:     hidden_global_offset_y
      - .offset:         200
        .size:           8
        .value_kind:     hidden_global_offset_z
      - .offset:         208
        .size:           2
        .value_kind:     hidden_grid_dims
    .group_segment_fixed_size: 8192
    .kernarg_segment_align: 8
    .kernarg_segment_size: 400
    .language:       OpenCL C
    .language_version:
      - 2
      - 0
    .max_flat_workgroup_size: 256
    .name:           _Z39paged_attention_ll4mi_QKV_mfma16_kernelIDF16_hLN4vllm18Fp8KVCacheDataTypeE1EhLi16ELi64ELi256ELb1ELi10EEvPKT_PKT0_S7_ifPKiS9_S9_iPKfiiiPfSC_PS2_PT2_iSB_SB_
    .private_segment_fixed_size: 0
    .sgpr_count:     56
    .sgpr_spill_count: 0
    .symbol:         _Z39paged_attention_ll4mi_QKV_mfma16_kernelIDF16_hLN4vllm18Fp8KVCacheDataTypeE1EhLi16ELi64ELi256ELb1ELi10EEvPKT_PKT0_S7_ifPKiS9_S9_iPKfiiiPfSC_PS2_PT2_iSB_SB_.kd
    .uniform_work_group_size: 1
    .uses_dynamic_stack: false
    .vgpr_count:     67
    .vgpr_spill_count: 0
    .wavefront_size: 64
  - .agpr_count:     0
    .args:
      - .actual_access:  read_only
        .address_space:  global
        .offset:         0
        .size:           8
        .value_kind:     global_buffer
      - .actual_access:  read_only
        .address_space:  global
        .offset:         8
        .size:           8
        .value_kind:     global_buffer
      - .actual_access:  read_only
        .address_space:  global
        .offset:         16
        .size:           8
        .value_kind:     global_buffer
      - .offset:         24
        .size:           4
        .value_kind:     by_value
      - .offset:         28
        .size:           4
        .value_kind:     by_value
      - .actual_access:  read_only
        .address_space:  global
        .offset:         32
        .size:           8
        .value_kind:     global_buffer
      - .actual_access:  read_only
        .address_space:  global
        .offset:         40
        .size:           8
        .value_kind:     global_buffer
      - .actual_access:  read_only
        .address_space:  global
        .offset:         48
        .size:           8
        .value_kind:     global_buffer
      - .offset:         56
        .size:           4
        .value_kind:     by_value
      - .actual_access:  read_only
        .address_space:  global
        .offset:         64
        .size:           8
        .value_kind:     global_buffer
      - .offset:         72
        .size:           4
        .value_kind:     by_value
      - .offset:         76
        .size:           4
        .value_kind:     by_value
      - .offset:         80
        .size:           4
        .value_kind:     by_value
      - .actual_access:  write_only
        .address_space:  global
        .offset:         88
        .size:           8
        .value_kind:     global_buffer
      - .actual_access:  write_only
        .address_space:  global
        .offset:         96
        .size:           8
        .value_kind:     global_buffer
      - .actual_access:  write_only
        .address_space:  global
        .offset:         104
        .size:           8
        .value_kind:     global_buffer
      - .actual_access:  read_only
        .address_space:  global
        .offset:         112
        .size:           8
        .value_kind:     global_buffer
      - .offset:         120
        .size:           4
        .value_kind:     by_value
      - .address_space:  global
        .offset:         128
        .size:           8
        .value_kind:     global_buffer
      - .address_space:  global
        .offset:         136
        .size:           8
        .value_kind:     global_buffer
      - .offset:         144
        .size:           4
        .value_kind:     hidden_block_count_x
      - .offset:         148
        .size:           4
        .value_kind:     hidden_block_count_y
      - .offset:         152
        .size:           4
        .value_kind:     hidden_block_count_z
      - .offset:         156
        .size:           2
        .value_kind:     hidden_group_size_x
      - .offset:         158
        .size:           2
        .value_kind:     hidden_group_size_y
      - .offset:         160
        .size:           2
        .value_kind:     hidden_group_size_z
      - .offset:         162
        .size:           2
        .value_kind:     hidden_remainder_x
      - .offset:         164
        .size:           2
        .value_kind:     hidden_remainder_y
      - .offset:         166
        .size:           2
        .value_kind:     hidden_remainder_z
      - .offset:         184
        .size:           8
        .value_kind:     hidden_global_offset_x
      - .offset:         192
        .size:           8
        .value_kind:     hidden_global_offset_y
      - .offset:         200
        .size:           8
        .value_kind:     hidden_global_offset_z
      - .offset:         208
        .size:           2
        .value_kind:     hidden_grid_dims
    .group_segment_fixed_size: 8192
    .kernarg_segment_align: 8
    .kernarg_segment_size: 400
    .language:       OpenCL C
    .language_version:
      - 2
      - 0
    .max_flat_workgroup_size: 256
    .name:           _Z39paged_attention_ll4mi_QKV_mfma16_kernelIDF16_hLN4vllm18Fp8KVCacheDataTypeE1EhLi16ELi64ELi256ELb1ELi11EEvPKT_PKT0_S7_ifPKiS9_S9_iPKfiiiPfSC_PS2_PT2_iSB_SB_
    .private_segment_fixed_size: 0
    .sgpr_count:     56
    .sgpr_spill_count: 0
    .symbol:         _Z39paged_attention_ll4mi_QKV_mfma16_kernelIDF16_hLN4vllm18Fp8KVCacheDataTypeE1EhLi16ELi64ELi256ELb1ELi11EEvPKT_PKT0_S7_ifPKiS9_S9_iPKfiiiPfSC_PS2_PT2_iSB_SB_.kd
    .uniform_work_group_size: 1
    .uses_dynamic_stack: false
    .vgpr_count:     67
    .vgpr_spill_count: 0
    .wavefront_size: 64
  - .agpr_count:     0
    .args:
      - .actual_access:  read_only
        .address_space:  global
        .offset:         0
        .size:           8
        .value_kind:     global_buffer
      - .actual_access:  read_only
        .address_space:  global
        .offset:         8
        .size:           8
        .value_kind:     global_buffer
      - .actual_access:  read_only
        .address_space:  global
        .offset:         16
        .size:           8
        .value_kind:     global_buffer
      - .offset:         24
        .size:           4
        .value_kind:     by_value
      - .offset:         28
        .size:           4
        .value_kind:     by_value
      - .actual_access:  read_only
        .address_space:  global
        .offset:         32
        .size:           8
        .value_kind:     global_buffer
      - .actual_access:  read_only
        .address_space:  global
        .offset:         40
        .size:           8
        .value_kind:     global_buffer
      - .actual_access:  read_only
        .address_space:  global
        .offset:         48
        .size:           8
        .value_kind:     global_buffer
      - .offset:         56
        .size:           4
        .value_kind:     by_value
      - .actual_access:  read_only
        .address_space:  global
        .offset:         64
        .size:           8
        .value_kind:     global_buffer
      - .offset:         72
        .size:           4
        .value_kind:     by_value
      - .offset:         76
        .size:           4
        .value_kind:     by_value
      - .offset:         80
        .size:           4
        .value_kind:     by_value
      - .actual_access:  write_only
        .address_space:  global
        .offset:         88
        .size:           8
        .value_kind:     global_buffer
      - .actual_access:  write_only
        .address_space:  global
        .offset:         96
        .size:           8
        .value_kind:     global_buffer
      - .actual_access:  write_only
        .address_space:  global
        .offset:         104
        .size:           8
        .value_kind:     global_buffer
      - .actual_access:  read_only
        .address_space:  global
        .offset:         112
        .size:           8
        .value_kind:     global_buffer
      - .offset:         120
        .size:           4
        .value_kind:     by_value
      - .address_space:  global
        .offset:         128
        .size:           8
        .value_kind:     global_buffer
      - .address_space:  global
        .offset:         136
        .size:           8
        .value_kind:     global_buffer
      - .offset:         144
        .size:           4
        .value_kind:     hidden_block_count_x
      - .offset:         148
        .size:           4
        .value_kind:     hidden_block_count_y
      - .offset:         152
        .size:           4
        .value_kind:     hidden_block_count_z
      - .offset:         156
        .size:           2
        .value_kind:     hidden_group_size_x
      - .offset:         158
        .size:           2
        .value_kind:     hidden_group_size_y
      - .offset:         160
        .size:           2
        .value_kind:     hidden_group_size_z
      - .offset:         162
        .size:           2
        .value_kind:     hidden_remainder_x
      - .offset:         164
        .size:           2
        .value_kind:     hidden_remainder_y
      - .offset:         166
        .size:           2
        .value_kind:     hidden_remainder_z
      - .offset:         184
        .size:           8
        .value_kind:     hidden_global_offset_x
      - .offset:         192
        .size:           8
        .value_kind:     hidden_global_offset_y
      - .offset:         200
        .size:           8
        .value_kind:     hidden_global_offset_z
      - .offset:         208
        .size:           2
        .value_kind:     hidden_grid_dims
    .group_segment_fixed_size: 8192
    .kernarg_segment_align: 8
    .kernarg_segment_size: 400
    .language:       OpenCL C
    .language_version:
      - 2
      - 0
    .max_flat_workgroup_size: 256
    .name:           _Z39paged_attention_ll4mi_QKV_mfma16_kernelIDF16_hLN4vllm18Fp8KVCacheDataTypeE1EhLi16ELi64ELi256ELb1ELi12EEvPKT_PKT0_S7_ifPKiS9_S9_iPKfiiiPfSC_PS2_PT2_iSB_SB_
    .private_segment_fixed_size: 0
    .sgpr_count:     56
    .sgpr_spill_count: 0
    .symbol:         _Z39paged_attention_ll4mi_QKV_mfma16_kernelIDF16_hLN4vllm18Fp8KVCacheDataTypeE1EhLi16ELi64ELi256ELb1ELi12EEvPKT_PKT0_S7_ifPKiS9_S9_iPKfiiiPfSC_PS2_PT2_iSB_SB_.kd
    .uniform_work_group_size: 1
    .uses_dynamic_stack: false
    .vgpr_count:     67
    .vgpr_spill_count: 0
    .wavefront_size: 64
  - .agpr_count:     0
    .args:
      - .actual_access:  read_only
        .address_space:  global
        .offset:         0
        .size:           8
        .value_kind:     global_buffer
      - .actual_access:  read_only
        .address_space:  global
        .offset:         8
        .size:           8
        .value_kind:     global_buffer
      - .actual_access:  read_only
        .address_space:  global
        .offset:         16
        .size:           8
        .value_kind:     global_buffer
      - .offset:         24
        .size:           4
        .value_kind:     by_value
      - .offset:         28
        .size:           4
        .value_kind:     by_value
      - .actual_access:  read_only
        .address_space:  global
        .offset:         32
        .size:           8
        .value_kind:     global_buffer
      - .actual_access:  read_only
        .address_space:  global
        .offset:         40
        .size:           8
        .value_kind:     global_buffer
      - .actual_access:  read_only
        .address_space:  global
        .offset:         48
        .size:           8
        .value_kind:     global_buffer
      - .offset:         56
        .size:           4
        .value_kind:     by_value
      - .actual_access:  read_only
        .address_space:  global
        .offset:         64
        .size:           8
        .value_kind:     global_buffer
      - .offset:         72
        .size:           4
        .value_kind:     by_value
      - .offset:         76
        .size:           4
        .value_kind:     by_value
      - .offset:         80
        .size:           4
        .value_kind:     by_value
      - .actual_access:  write_only
        .address_space:  global
        .offset:         88
        .size:           8
        .value_kind:     global_buffer
      - .actual_access:  write_only
        .address_space:  global
        .offset:         96
        .size:           8
        .value_kind:     global_buffer
      - .actual_access:  write_only
        .address_space:  global
        .offset:         104
        .size:           8
        .value_kind:     global_buffer
      - .actual_access:  read_only
        .address_space:  global
        .offset:         112
        .size:           8
        .value_kind:     global_buffer
      - .offset:         120
        .size:           4
        .value_kind:     by_value
      - .address_space:  global
        .offset:         128
        .size:           8
        .value_kind:     global_buffer
      - .address_space:  global
        .offset:         136
        .size:           8
        .value_kind:     global_buffer
      - .offset:         144
        .size:           4
        .value_kind:     hidden_block_count_x
      - .offset:         148
        .size:           4
        .value_kind:     hidden_block_count_y
      - .offset:         152
        .size:           4
        .value_kind:     hidden_block_count_z
      - .offset:         156
        .size:           2
        .value_kind:     hidden_group_size_x
      - .offset:         158
        .size:           2
        .value_kind:     hidden_group_size_y
      - .offset:         160
        .size:           2
        .value_kind:     hidden_group_size_z
      - .offset:         162
        .size:           2
        .value_kind:     hidden_remainder_x
      - .offset:         164
        .size:           2
        .value_kind:     hidden_remainder_y
      - .offset:         166
        .size:           2
        .value_kind:     hidden_remainder_z
      - .offset:         184
        .size:           8
        .value_kind:     hidden_global_offset_x
      - .offset:         192
        .size:           8
        .value_kind:     hidden_global_offset_y
      - .offset:         200
        .size:           8
        .value_kind:     hidden_global_offset_z
      - .offset:         208
        .size:           2
        .value_kind:     hidden_grid_dims
    .group_segment_fixed_size: 8192
    .kernarg_segment_align: 8
    .kernarg_segment_size: 400
    .language:       OpenCL C
    .language_version:
      - 2
      - 0
    .max_flat_workgroup_size: 256
    .name:           _Z39paged_attention_ll4mi_QKV_mfma16_kernelIDF16_hLN4vllm18Fp8KVCacheDataTypeE1EhLi16ELi64ELi256ELb1ELi13EEvPKT_PKT0_S7_ifPKiS9_S9_iPKfiiiPfSC_PS2_PT2_iSB_SB_
    .private_segment_fixed_size: 0
    .sgpr_count:     56
    .sgpr_spill_count: 0
    .symbol:         _Z39paged_attention_ll4mi_QKV_mfma16_kernelIDF16_hLN4vllm18Fp8KVCacheDataTypeE1EhLi16ELi64ELi256ELb1ELi13EEvPKT_PKT0_S7_ifPKiS9_S9_iPKfiiiPfSC_PS2_PT2_iSB_SB_.kd
    .uniform_work_group_size: 1
    .uses_dynamic_stack: false
    .vgpr_count:     67
    .vgpr_spill_count: 0
    .wavefront_size: 64
  - .agpr_count:     0
    .args:
      - .actual_access:  read_only
        .address_space:  global
        .offset:         0
        .size:           8
        .value_kind:     global_buffer
      - .actual_access:  read_only
        .address_space:  global
        .offset:         8
        .size:           8
        .value_kind:     global_buffer
      - .actual_access:  read_only
        .address_space:  global
        .offset:         16
        .size:           8
        .value_kind:     global_buffer
      - .offset:         24
        .size:           4
        .value_kind:     by_value
      - .offset:         28
        .size:           4
        .value_kind:     by_value
      - .actual_access:  read_only
        .address_space:  global
        .offset:         32
        .size:           8
        .value_kind:     global_buffer
      - .actual_access:  read_only
        .address_space:  global
        .offset:         40
        .size:           8
        .value_kind:     global_buffer
      - .actual_access:  read_only
        .address_space:  global
        .offset:         48
        .size:           8
        .value_kind:     global_buffer
      - .offset:         56
        .size:           4
        .value_kind:     by_value
      - .actual_access:  read_only
        .address_space:  global
        .offset:         64
        .size:           8
        .value_kind:     global_buffer
      - .offset:         72
        .size:           4
        .value_kind:     by_value
      - .offset:         76
        .size:           4
        .value_kind:     by_value
      - .offset:         80
        .size:           4
        .value_kind:     by_value
      - .actual_access:  write_only
        .address_space:  global
        .offset:         88
        .size:           8
        .value_kind:     global_buffer
      - .actual_access:  write_only
        .address_space:  global
        .offset:         96
        .size:           8
        .value_kind:     global_buffer
      - .actual_access:  write_only
        .address_space:  global
        .offset:         104
        .size:           8
        .value_kind:     global_buffer
      - .actual_access:  read_only
        .address_space:  global
        .offset:         112
        .size:           8
        .value_kind:     global_buffer
      - .offset:         120
        .size:           4
        .value_kind:     by_value
      - .address_space:  global
        .offset:         128
        .size:           8
        .value_kind:     global_buffer
      - .address_space:  global
        .offset:         136
        .size:           8
        .value_kind:     global_buffer
      - .offset:         144
        .size:           4
        .value_kind:     hidden_block_count_x
      - .offset:         148
        .size:           4
        .value_kind:     hidden_block_count_y
      - .offset:         152
        .size:           4
        .value_kind:     hidden_block_count_z
      - .offset:         156
        .size:           2
        .value_kind:     hidden_group_size_x
      - .offset:         158
        .size:           2
        .value_kind:     hidden_group_size_y
      - .offset:         160
        .size:           2
        .value_kind:     hidden_group_size_z
      - .offset:         162
        .size:           2
        .value_kind:     hidden_remainder_x
      - .offset:         164
        .size:           2
        .value_kind:     hidden_remainder_y
      - .offset:         166
        .size:           2
        .value_kind:     hidden_remainder_z
      - .offset:         184
        .size:           8
        .value_kind:     hidden_global_offset_x
      - .offset:         192
        .size:           8
        .value_kind:     hidden_global_offset_y
      - .offset:         200
        .size:           8
        .value_kind:     hidden_global_offset_z
      - .offset:         208
        .size:           2
        .value_kind:     hidden_grid_dims
    .group_segment_fixed_size: 8192
    .kernarg_segment_align: 8
    .kernarg_segment_size: 400
    .language:       OpenCL C
    .language_version:
      - 2
      - 0
    .max_flat_workgroup_size: 256
    .name:           _Z39paged_attention_ll4mi_QKV_mfma16_kernelIDF16_hLN4vllm18Fp8KVCacheDataTypeE1EhLi16ELi64ELi256ELb1ELi14EEvPKT_PKT0_S7_ifPKiS9_S9_iPKfiiiPfSC_PS2_PT2_iSB_SB_
    .private_segment_fixed_size: 0
    .sgpr_count:     56
    .sgpr_spill_count: 0
    .symbol:         _Z39paged_attention_ll4mi_QKV_mfma16_kernelIDF16_hLN4vllm18Fp8KVCacheDataTypeE1EhLi16ELi64ELi256ELb1ELi14EEvPKT_PKT0_S7_ifPKiS9_S9_iPKfiiiPfSC_PS2_PT2_iSB_SB_.kd
    .uniform_work_group_size: 1
    .uses_dynamic_stack: false
    .vgpr_count:     67
    .vgpr_spill_count: 0
    .wavefront_size: 64
  - .agpr_count:     0
    .args:
      - .actual_access:  read_only
        .address_space:  global
        .offset:         0
        .size:           8
        .value_kind:     global_buffer
      - .actual_access:  read_only
        .address_space:  global
        .offset:         8
        .size:           8
        .value_kind:     global_buffer
      - .actual_access:  read_only
        .address_space:  global
        .offset:         16
        .size:           8
        .value_kind:     global_buffer
      - .offset:         24
        .size:           4
        .value_kind:     by_value
      - .offset:         28
        .size:           4
        .value_kind:     by_value
      - .actual_access:  read_only
        .address_space:  global
        .offset:         32
        .size:           8
        .value_kind:     global_buffer
      - .actual_access:  read_only
        .address_space:  global
        .offset:         40
        .size:           8
        .value_kind:     global_buffer
      - .actual_access:  read_only
        .address_space:  global
        .offset:         48
        .size:           8
        .value_kind:     global_buffer
      - .offset:         56
        .size:           4
        .value_kind:     by_value
      - .actual_access:  read_only
        .address_space:  global
        .offset:         64
        .size:           8
        .value_kind:     global_buffer
      - .offset:         72
        .size:           4
        .value_kind:     by_value
      - .offset:         76
        .size:           4
        .value_kind:     by_value
      - .offset:         80
        .size:           4
        .value_kind:     by_value
      - .actual_access:  write_only
        .address_space:  global
        .offset:         88
        .size:           8
        .value_kind:     global_buffer
      - .actual_access:  write_only
        .address_space:  global
        .offset:         96
        .size:           8
        .value_kind:     global_buffer
      - .actual_access:  write_only
        .address_space:  global
        .offset:         104
        .size:           8
        .value_kind:     global_buffer
      - .actual_access:  read_only
        .address_space:  global
        .offset:         112
        .size:           8
        .value_kind:     global_buffer
      - .offset:         120
        .size:           4
        .value_kind:     by_value
      - .address_space:  global
        .offset:         128
        .size:           8
        .value_kind:     global_buffer
      - .address_space:  global
        .offset:         136
        .size:           8
        .value_kind:     global_buffer
      - .offset:         144
        .size:           4
        .value_kind:     hidden_block_count_x
      - .offset:         148
        .size:           4
        .value_kind:     hidden_block_count_y
      - .offset:         152
        .size:           4
        .value_kind:     hidden_block_count_z
      - .offset:         156
        .size:           2
        .value_kind:     hidden_group_size_x
      - .offset:         158
        .size:           2
        .value_kind:     hidden_group_size_y
      - .offset:         160
        .size:           2
        .value_kind:     hidden_group_size_z
      - .offset:         162
        .size:           2
        .value_kind:     hidden_remainder_x
      - .offset:         164
        .size:           2
        .value_kind:     hidden_remainder_y
      - .offset:         166
        .size:           2
        .value_kind:     hidden_remainder_z
      - .offset:         184
        .size:           8
        .value_kind:     hidden_global_offset_x
      - .offset:         192
        .size:           8
        .value_kind:     hidden_global_offset_y
      - .offset:         200
        .size:           8
        .value_kind:     hidden_global_offset_z
      - .offset:         208
        .size:           2
        .value_kind:     hidden_grid_dims
    .group_segment_fixed_size: 8192
    .kernarg_segment_align: 8
    .kernarg_segment_size: 400
    .language:       OpenCL C
    .language_version:
      - 2
      - 0
    .max_flat_workgroup_size: 256
    .name:           _Z39paged_attention_ll4mi_QKV_mfma16_kernelIDF16_hLN4vllm18Fp8KVCacheDataTypeE1EhLi16ELi64ELi256ELb1ELi15EEvPKT_PKT0_S7_ifPKiS9_S9_iPKfiiiPfSC_PS2_PT2_iSB_SB_
    .private_segment_fixed_size: 0
    .sgpr_count:     56
    .sgpr_spill_count: 0
    .symbol:         _Z39paged_attention_ll4mi_QKV_mfma16_kernelIDF16_hLN4vllm18Fp8KVCacheDataTypeE1EhLi16ELi64ELi256ELb1ELi15EEvPKT_PKT0_S7_ifPKiS9_S9_iPKfiiiPfSC_PS2_PT2_iSB_SB_.kd
    .uniform_work_group_size: 1
    .uses_dynamic_stack: false
    .vgpr_count:     67
    .vgpr_spill_count: 0
    .wavefront_size: 64
  - .agpr_count:     0
    .args:
      - .actual_access:  read_only
        .address_space:  global
        .offset:         0
        .size:           8
        .value_kind:     global_buffer
      - .actual_access:  read_only
        .address_space:  global
        .offset:         8
        .size:           8
        .value_kind:     global_buffer
      - .actual_access:  read_only
        .address_space:  global
        .offset:         16
        .size:           8
        .value_kind:     global_buffer
      - .offset:         24
        .size:           4
        .value_kind:     by_value
      - .offset:         28
        .size:           4
        .value_kind:     by_value
      - .actual_access:  read_only
        .address_space:  global
        .offset:         32
        .size:           8
        .value_kind:     global_buffer
      - .actual_access:  read_only
        .address_space:  global
        .offset:         40
        .size:           8
        .value_kind:     global_buffer
      - .actual_access:  read_only
        .address_space:  global
        .offset:         48
        .size:           8
        .value_kind:     global_buffer
      - .offset:         56
        .size:           4
        .value_kind:     by_value
      - .actual_access:  read_only
        .address_space:  global
        .offset:         64
        .size:           8
        .value_kind:     global_buffer
      - .offset:         72
        .size:           4
        .value_kind:     by_value
      - .offset:         76
        .size:           4
        .value_kind:     by_value
      - .offset:         80
        .size:           4
        .value_kind:     by_value
      - .actual_access:  write_only
        .address_space:  global
        .offset:         88
        .size:           8
        .value_kind:     global_buffer
      - .actual_access:  write_only
        .address_space:  global
        .offset:         96
        .size:           8
        .value_kind:     global_buffer
      - .actual_access:  write_only
        .address_space:  global
        .offset:         104
        .size:           8
        .value_kind:     global_buffer
      - .actual_access:  read_only
        .address_space:  global
        .offset:         112
        .size:           8
        .value_kind:     global_buffer
      - .offset:         120
        .size:           4
        .value_kind:     by_value
      - .address_space:  global
        .offset:         128
        .size:           8
        .value_kind:     global_buffer
      - .address_space:  global
        .offset:         136
        .size:           8
        .value_kind:     global_buffer
      - .offset:         144
        .size:           4
        .value_kind:     hidden_block_count_x
      - .offset:         148
        .size:           4
        .value_kind:     hidden_block_count_y
      - .offset:         152
        .size:           4
        .value_kind:     hidden_block_count_z
      - .offset:         156
        .size:           2
        .value_kind:     hidden_group_size_x
      - .offset:         158
        .size:           2
        .value_kind:     hidden_group_size_y
      - .offset:         160
        .size:           2
        .value_kind:     hidden_group_size_z
      - .offset:         162
        .size:           2
        .value_kind:     hidden_remainder_x
      - .offset:         164
        .size:           2
        .value_kind:     hidden_remainder_y
      - .offset:         166
        .size:           2
        .value_kind:     hidden_remainder_z
      - .offset:         184
        .size:           8
        .value_kind:     hidden_global_offset_x
      - .offset:         192
        .size:           8
        .value_kind:     hidden_global_offset_y
      - .offset:         200
        .size:           8
        .value_kind:     hidden_global_offset_z
      - .offset:         208
        .size:           2
        .value_kind:     hidden_grid_dims
    .group_segment_fixed_size: 8192
    .kernarg_segment_align: 8
    .kernarg_segment_size: 400
    .language:       OpenCL C
    .language_version:
      - 2
      - 0
    .max_flat_workgroup_size: 256
    .name:           _Z39paged_attention_ll4mi_QKV_mfma16_kernelIDF16_hLN4vllm18Fp8KVCacheDataTypeE1EhLi16ELi64ELi256ELb1ELi16EEvPKT_PKT0_S7_ifPKiS9_S9_iPKfiiiPfSC_PS2_PT2_iSB_SB_
    .private_segment_fixed_size: 0
    .sgpr_count:     55
    .sgpr_spill_count: 0
    .symbol:         _Z39paged_attention_ll4mi_QKV_mfma16_kernelIDF16_hLN4vllm18Fp8KVCacheDataTypeE1EhLi16ELi64ELi256ELb1ELi16EEvPKT_PKT0_S7_ifPKiS9_S9_iPKfiiiPfSC_PS2_PT2_iSB_SB_.kd
    .uniform_work_group_size: 1
    .uses_dynamic_stack: false
    .vgpr_count:     62
    .vgpr_spill_count: 0
    .wavefront_size: 64
  - .agpr_count:     0
    .args:
      - .actual_access:  read_only
        .address_space:  global
        .offset:         0
        .size:           8
        .value_kind:     global_buffer
      - .actual_access:  read_only
        .address_space:  global
        .offset:         8
        .size:           8
        .value_kind:     global_buffer
      - .actual_access:  read_only
        .address_space:  global
        .offset:         16
        .size:           8
        .value_kind:     global_buffer
      - .offset:         24
        .size:           4
        .value_kind:     by_value
      - .offset:         28
        .size:           4
        .value_kind:     by_value
      - .actual_access:  read_only
        .address_space:  global
        .offset:         32
        .size:           8
        .value_kind:     global_buffer
      - .actual_access:  read_only
        .address_space:  global
        .offset:         40
        .size:           8
        .value_kind:     global_buffer
      - .actual_access:  read_only
        .address_space:  global
        .offset:         48
        .size:           8
        .value_kind:     global_buffer
      - .offset:         56
        .size:           4
        .value_kind:     by_value
      - .actual_access:  read_only
        .address_space:  global
        .offset:         64
        .size:           8
        .value_kind:     global_buffer
      - .offset:         72
        .size:           4
        .value_kind:     by_value
      - .offset:         76
        .size:           4
        .value_kind:     by_value
      - .offset:         80
        .size:           4
        .value_kind:     by_value
      - .actual_access:  write_only
        .address_space:  global
        .offset:         88
        .size:           8
        .value_kind:     global_buffer
      - .actual_access:  write_only
        .address_space:  global
        .offset:         96
        .size:           8
        .value_kind:     global_buffer
      - .actual_access:  write_only
        .address_space:  global
        .offset:         104
        .size:           8
        .value_kind:     global_buffer
      - .actual_access:  read_only
        .address_space:  global
        .offset:         112
        .size:           8
        .value_kind:     global_buffer
      - .offset:         120
        .size:           4
        .value_kind:     by_value
      - .address_space:  global
        .offset:         128
        .size:           8
        .value_kind:     global_buffer
      - .address_space:  global
        .offset:         136
        .size:           8
        .value_kind:     global_buffer
      - .offset:         144
        .size:           4
        .value_kind:     hidden_block_count_x
      - .offset:         148
        .size:           4
        .value_kind:     hidden_block_count_y
      - .offset:         152
        .size:           4
        .value_kind:     hidden_block_count_z
      - .offset:         156
        .size:           2
        .value_kind:     hidden_group_size_x
      - .offset:         158
        .size:           2
        .value_kind:     hidden_group_size_y
      - .offset:         160
        .size:           2
        .value_kind:     hidden_group_size_z
      - .offset:         162
        .size:           2
        .value_kind:     hidden_remainder_x
      - .offset:         164
        .size:           2
        .value_kind:     hidden_remainder_y
      - .offset:         166
        .size:           2
        .value_kind:     hidden_remainder_z
      - .offset:         184
        .size:           8
        .value_kind:     hidden_global_offset_x
      - .offset:         192
        .size:           8
        .value_kind:     hidden_global_offset_y
      - .offset:         200
        .size:           8
        .value_kind:     hidden_global_offset_z
      - .offset:         208
        .size:           2
        .value_kind:     hidden_grid_dims
    .group_segment_fixed_size: 8192
    .kernarg_segment_align: 8
    .kernarg_segment_size: 400
    .language:       OpenCL C
    .language_version:
      - 2
      - 0
    .max_flat_workgroup_size: 256
    .name:           _Z39paged_attention_ll4mi_QKV_mfma16_kernelIDF16_hLN4vllm18Fp8KVCacheDataTypeE1EhLi16ELi64ELi256ELb1ELi1EEvPKT_PKT0_S7_ifPKiS9_S9_iPKfiiiPfSC_PS2_PT2_iSB_SB_
    .private_segment_fixed_size: 0
    .sgpr_count:     58
    .sgpr_spill_count: 0
    .symbol:         _Z39paged_attention_ll4mi_QKV_mfma16_kernelIDF16_hLN4vllm18Fp8KVCacheDataTypeE1EhLi16ELi64ELi256ELb1ELi1EEvPKT_PKT0_S7_ifPKiS9_S9_iPKfiiiPfSC_PS2_PT2_iSB_SB_.kd
    .uniform_work_group_size: 1
    .uses_dynamic_stack: false
    .vgpr_count:     74
    .vgpr_spill_count: 0
    .wavefront_size: 64
  - .agpr_count:     0
    .args:
      - .actual_access:  read_only
        .address_space:  global
        .offset:         0
        .size:           8
        .value_kind:     global_buffer
      - .actual_access:  read_only
        .address_space:  global
        .offset:         8
        .size:           8
        .value_kind:     global_buffer
      - .actual_access:  read_only
        .address_space:  global
        .offset:         16
        .size:           8
        .value_kind:     global_buffer
      - .offset:         24
        .size:           4
        .value_kind:     by_value
      - .offset:         28
        .size:           4
        .value_kind:     by_value
      - .actual_access:  read_only
        .address_space:  global
        .offset:         32
        .size:           8
        .value_kind:     global_buffer
      - .actual_access:  read_only
        .address_space:  global
        .offset:         40
        .size:           8
        .value_kind:     global_buffer
      - .actual_access:  read_only
        .address_space:  global
        .offset:         48
        .size:           8
        .value_kind:     global_buffer
      - .offset:         56
        .size:           4
        .value_kind:     by_value
      - .actual_access:  read_only
        .address_space:  global
        .offset:         64
        .size:           8
        .value_kind:     global_buffer
      - .offset:         72
        .size:           4
        .value_kind:     by_value
      - .offset:         76
        .size:           4
        .value_kind:     by_value
      - .offset:         80
        .size:           4
        .value_kind:     by_value
      - .actual_access:  write_only
        .address_space:  global
        .offset:         88
        .size:           8
        .value_kind:     global_buffer
      - .actual_access:  write_only
        .address_space:  global
        .offset:         96
        .size:           8
        .value_kind:     global_buffer
      - .actual_access:  write_only
        .address_space:  global
        .offset:         104
        .size:           8
        .value_kind:     global_buffer
      - .actual_access:  read_only
        .address_space:  global
        .offset:         112
        .size:           8
        .value_kind:     global_buffer
      - .offset:         120
        .size:           4
        .value_kind:     by_value
      - .address_space:  global
        .offset:         128
        .size:           8
        .value_kind:     global_buffer
      - .address_space:  global
        .offset:         136
        .size:           8
        .value_kind:     global_buffer
      - .offset:         144
        .size:           4
        .value_kind:     hidden_block_count_x
      - .offset:         148
        .size:           4
        .value_kind:     hidden_block_count_y
      - .offset:         152
        .size:           4
        .value_kind:     hidden_block_count_z
      - .offset:         156
        .size:           2
        .value_kind:     hidden_group_size_x
      - .offset:         158
        .size:           2
        .value_kind:     hidden_group_size_y
      - .offset:         160
        .size:           2
        .value_kind:     hidden_group_size_z
      - .offset:         162
        .size:           2
        .value_kind:     hidden_remainder_x
      - .offset:         164
        .size:           2
        .value_kind:     hidden_remainder_y
      - .offset:         166
        .size:           2
        .value_kind:     hidden_remainder_z
      - .offset:         184
        .size:           8
        .value_kind:     hidden_global_offset_x
      - .offset:         192
        .size:           8
        .value_kind:     hidden_global_offset_y
      - .offset:         200
        .size:           8
        .value_kind:     hidden_global_offset_z
      - .offset:         208
        .size:           2
        .value_kind:     hidden_grid_dims
    .group_segment_fixed_size: 8192
    .kernarg_segment_align: 8
    .kernarg_segment_size: 400
    .language:       OpenCL C
    .language_version:
      - 2
      - 0
    .max_flat_workgroup_size: 256
    .name:           _Z39paged_attention_ll4mi_QKV_mfma16_kernelIDF16_hLN4vllm18Fp8KVCacheDataTypeE1EhLi16ELi64ELi256ELb1ELi2EEvPKT_PKT0_S7_ifPKiS9_S9_iPKfiiiPfSC_PS2_PT2_iSB_SB_
    .private_segment_fixed_size: 0
    .sgpr_count:     54
    .sgpr_spill_count: 0
    .symbol:         _Z39paged_attention_ll4mi_QKV_mfma16_kernelIDF16_hLN4vllm18Fp8KVCacheDataTypeE1EhLi16ELi64ELi256ELb1ELi2EEvPKT_PKT0_S7_ifPKiS9_S9_iPKfiiiPfSC_PS2_PT2_iSB_SB_.kd
    .uniform_work_group_size: 1
    .uses_dynamic_stack: false
    .vgpr_count:     68
    .vgpr_spill_count: 0
    .wavefront_size: 64
  - .agpr_count:     0
    .args:
      - .actual_access:  read_only
        .address_space:  global
        .offset:         0
        .size:           8
        .value_kind:     global_buffer
      - .actual_access:  read_only
        .address_space:  global
        .offset:         8
        .size:           8
        .value_kind:     global_buffer
      - .actual_access:  read_only
        .address_space:  global
        .offset:         16
        .size:           8
        .value_kind:     global_buffer
      - .offset:         24
        .size:           4
        .value_kind:     by_value
      - .offset:         28
        .size:           4
        .value_kind:     by_value
      - .actual_access:  read_only
        .address_space:  global
        .offset:         32
        .size:           8
        .value_kind:     global_buffer
      - .actual_access:  read_only
        .address_space:  global
        .offset:         40
        .size:           8
        .value_kind:     global_buffer
      - .actual_access:  read_only
        .address_space:  global
        .offset:         48
        .size:           8
        .value_kind:     global_buffer
      - .offset:         56
        .size:           4
        .value_kind:     by_value
      - .actual_access:  read_only
        .address_space:  global
        .offset:         64
        .size:           8
        .value_kind:     global_buffer
      - .offset:         72
        .size:           4
        .value_kind:     by_value
      - .offset:         76
        .size:           4
        .value_kind:     by_value
      - .offset:         80
        .size:           4
        .value_kind:     by_value
      - .actual_access:  write_only
        .address_space:  global
        .offset:         88
        .size:           8
        .value_kind:     global_buffer
      - .actual_access:  write_only
        .address_space:  global
        .offset:         96
        .size:           8
        .value_kind:     global_buffer
      - .actual_access:  write_only
        .address_space:  global
        .offset:         104
        .size:           8
        .value_kind:     global_buffer
      - .actual_access:  read_only
        .address_space:  global
        .offset:         112
        .size:           8
        .value_kind:     global_buffer
      - .offset:         120
        .size:           4
        .value_kind:     by_value
      - .address_space:  global
        .offset:         128
        .size:           8
        .value_kind:     global_buffer
      - .address_space:  global
        .offset:         136
        .size:           8
        .value_kind:     global_buffer
      - .offset:         144
        .size:           4
        .value_kind:     hidden_block_count_x
      - .offset:         148
        .size:           4
        .value_kind:     hidden_block_count_y
      - .offset:         152
        .size:           4
        .value_kind:     hidden_block_count_z
      - .offset:         156
        .size:           2
        .value_kind:     hidden_group_size_x
      - .offset:         158
        .size:           2
        .value_kind:     hidden_group_size_y
      - .offset:         160
        .size:           2
        .value_kind:     hidden_group_size_z
      - .offset:         162
        .size:           2
        .value_kind:     hidden_remainder_x
      - .offset:         164
        .size:           2
        .value_kind:     hidden_remainder_y
      - .offset:         166
        .size:           2
        .value_kind:     hidden_remainder_z
      - .offset:         184
        .size:           8
        .value_kind:     hidden_global_offset_x
      - .offset:         192
        .size:           8
        .value_kind:     hidden_global_offset_y
      - .offset:         200
        .size:           8
        .value_kind:     hidden_global_offset_z
      - .offset:         208
        .size:           2
        .value_kind:     hidden_grid_dims
    .group_segment_fixed_size: 8192
    .kernarg_segment_align: 8
    .kernarg_segment_size: 400
    .language:       OpenCL C
    .language_version:
      - 2
      - 0
    .max_flat_workgroup_size: 256
    .name:           _Z39paged_attention_ll4mi_QKV_mfma16_kernelIDF16_hLN4vllm18Fp8KVCacheDataTypeE1EhLi16ELi64ELi256ELb1ELi3EEvPKT_PKT0_S7_ifPKiS9_S9_iPKfiiiPfSC_PS2_PT2_iSB_SB_
    .private_segment_fixed_size: 0
    .sgpr_count:     56
    .sgpr_spill_count: 0
    .symbol:         _Z39paged_attention_ll4mi_QKV_mfma16_kernelIDF16_hLN4vllm18Fp8KVCacheDataTypeE1EhLi16ELi64ELi256ELb1ELi3EEvPKT_PKT0_S7_ifPKiS9_S9_iPKfiiiPfSC_PS2_PT2_iSB_SB_.kd
    .uniform_work_group_size: 1
    .uses_dynamic_stack: false
    .vgpr_count:     68
    .vgpr_spill_count: 0
    .wavefront_size: 64
  - .agpr_count:     0
    .args:
      - .actual_access:  read_only
        .address_space:  global
        .offset:         0
        .size:           8
        .value_kind:     global_buffer
      - .actual_access:  read_only
        .address_space:  global
        .offset:         8
        .size:           8
        .value_kind:     global_buffer
      - .actual_access:  read_only
        .address_space:  global
        .offset:         16
        .size:           8
        .value_kind:     global_buffer
      - .offset:         24
        .size:           4
        .value_kind:     by_value
      - .offset:         28
        .size:           4
        .value_kind:     by_value
      - .actual_access:  read_only
        .address_space:  global
        .offset:         32
        .size:           8
        .value_kind:     global_buffer
      - .actual_access:  read_only
        .address_space:  global
        .offset:         40
        .size:           8
        .value_kind:     global_buffer
      - .actual_access:  read_only
        .address_space:  global
        .offset:         48
        .size:           8
        .value_kind:     global_buffer
      - .offset:         56
        .size:           4
        .value_kind:     by_value
      - .actual_access:  read_only
        .address_space:  global
        .offset:         64
        .size:           8
        .value_kind:     global_buffer
      - .offset:         72
        .size:           4
        .value_kind:     by_value
      - .offset:         76
        .size:           4
        .value_kind:     by_value
      - .offset:         80
        .size:           4
        .value_kind:     by_value
      - .actual_access:  write_only
        .address_space:  global
        .offset:         88
        .size:           8
        .value_kind:     global_buffer
      - .actual_access:  write_only
        .address_space:  global
        .offset:         96
        .size:           8
        .value_kind:     global_buffer
      - .actual_access:  write_only
        .address_space:  global
        .offset:         104
        .size:           8
        .value_kind:     global_buffer
      - .actual_access:  read_only
        .address_space:  global
        .offset:         112
        .size:           8
        .value_kind:     global_buffer
      - .offset:         120
        .size:           4
        .value_kind:     by_value
      - .address_space:  global
        .offset:         128
        .size:           8
        .value_kind:     global_buffer
      - .address_space:  global
        .offset:         136
        .size:           8
        .value_kind:     global_buffer
      - .offset:         144
        .size:           4
        .value_kind:     hidden_block_count_x
      - .offset:         148
        .size:           4
        .value_kind:     hidden_block_count_y
      - .offset:         152
        .size:           4
        .value_kind:     hidden_block_count_z
      - .offset:         156
        .size:           2
        .value_kind:     hidden_group_size_x
      - .offset:         158
        .size:           2
        .value_kind:     hidden_group_size_y
      - .offset:         160
        .size:           2
        .value_kind:     hidden_group_size_z
      - .offset:         162
        .size:           2
        .value_kind:     hidden_remainder_x
      - .offset:         164
        .size:           2
        .value_kind:     hidden_remainder_y
      - .offset:         166
        .size:           2
        .value_kind:     hidden_remainder_z
      - .offset:         184
        .size:           8
        .value_kind:     hidden_global_offset_x
      - .offset:         192
        .size:           8
        .value_kind:     hidden_global_offset_y
      - .offset:         200
        .size:           8
        .value_kind:     hidden_global_offset_z
      - .offset:         208
        .size:           2
        .value_kind:     hidden_grid_dims
    .group_segment_fixed_size: 8192
    .kernarg_segment_align: 8
    .kernarg_segment_size: 400
    .language:       OpenCL C
    .language_version:
      - 2
      - 0
    .max_flat_workgroup_size: 256
    .name:           _Z39paged_attention_ll4mi_QKV_mfma16_kernelIDF16_hLN4vllm18Fp8KVCacheDataTypeE1EhLi16ELi64ELi256ELb1ELi4EEvPKT_PKT0_S7_ifPKiS9_S9_iPKfiiiPfSC_PS2_PT2_iSB_SB_
    .private_segment_fixed_size: 0
    .sgpr_count:     56
    .sgpr_spill_count: 0
    .symbol:         _Z39paged_attention_ll4mi_QKV_mfma16_kernelIDF16_hLN4vllm18Fp8KVCacheDataTypeE1EhLi16ELi64ELi256ELb1ELi4EEvPKT_PKT0_S7_ifPKiS9_S9_iPKfiiiPfSC_PS2_PT2_iSB_SB_.kd
    .uniform_work_group_size: 1
    .uses_dynamic_stack: false
    .vgpr_count:     78
    .vgpr_spill_count: 0
    .wavefront_size: 64
  - .agpr_count:     4
    .args:
      - .actual_access:  read_only
        .address_space:  global
        .offset:         0
        .size:           8
        .value_kind:     global_buffer
      - .actual_access:  read_only
        .address_space:  global
        .offset:         8
        .size:           8
        .value_kind:     global_buffer
      - .actual_access:  read_only
        .address_space:  global
        .offset:         16
        .size:           8
        .value_kind:     global_buffer
      - .offset:         24
        .size:           4
        .value_kind:     by_value
      - .offset:         28
        .size:           4
        .value_kind:     by_value
      - .actual_access:  read_only
        .address_space:  global
        .offset:         32
        .size:           8
        .value_kind:     global_buffer
      - .actual_access:  read_only
        .address_space:  global
        .offset:         40
        .size:           8
        .value_kind:     global_buffer
      - .actual_access:  read_only
        .address_space:  global
        .offset:         48
        .size:           8
        .value_kind:     global_buffer
      - .offset:         56
        .size:           4
        .value_kind:     by_value
      - .actual_access:  read_only
        .address_space:  global
        .offset:         64
        .size:           8
        .value_kind:     global_buffer
      - .offset:         72
        .size:           4
        .value_kind:     by_value
      - .offset:         76
        .size:           4
        .value_kind:     by_value
      - .offset:         80
        .size:           4
        .value_kind:     by_value
      - .actual_access:  write_only
        .address_space:  global
        .offset:         88
        .size:           8
        .value_kind:     global_buffer
      - .actual_access:  write_only
        .address_space:  global
        .offset:         96
        .size:           8
        .value_kind:     global_buffer
      - .actual_access:  write_only
        .address_space:  global
        .offset:         104
        .size:           8
        .value_kind:     global_buffer
      - .actual_access:  read_only
        .address_space:  global
        .offset:         112
        .size:           8
        .value_kind:     global_buffer
      - .offset:         120
        .size:           4
        .value_kind:     by_value
      - .address_space:  global
        .offset:         128
        .size:           8
        .value_kind:     global_buffer
      - .address_space:  global
        .offset:         136
        .size:           8
        .value_kind:     global_buffer
      - .offset:         144
        .size:           4
        .value_kind:     hidden_block_count_x
      - .offset:         148
        .size:           4
        .value_kind:     hidden_block_count_y
      - .offset:         152
        .size:           4
        .value_kind:     hidden_block_count_z
      - .offset:         156
        .size:           2
        .value_kind:     hidden_group_size_x
      - .offset:         158
        .size:           2
        .value_kind:     hidden_group_size_y
      - .offset:         160
        .size:           2
        .value_kind:     hidden_group_size_z
      - .offset:         162
        .size:           2
        .value_kind:     hidden_remainder_x
      - .offset:         164
        .size:           2
        .value_kind:     hidden_remainder_y
      - .offset:         166
        .size:           2
        .value_kind:     hidden_remainder_z
      - .offset:         184
        .size:           8
        .value_kind:     hidden_global_offset_x
      - .offset:         192
        .size:           8
        .value_kind:     hidden_global_offset_y
      - .offset:         200
        .size:           8
        .value_kind:     hidden_global_offset_z
      - .offset:         208
        .size:           2
        .value_kind:     hidden_grid_dims
    .group_segment_fixed_size: 2720
    .kernarg_segment_align: 8
    .kernarg_segment_size: 400
    .language:       OpenCL C
    .language_version:
      - 2
      - 0
    .max_flat_workgroup_size: 256
    .name:           _Z38paged_attention_ll4mi_QKV_mfma4_kernelIDF16_hLN4vllm18Fp8KVCacheDataTypeE1EhLi16ELi64ELi256ELb0ELi1EEvPKT_PKT0_S7_ifPKiS9_S9_iPKfiiiPfSC_PS2_PT2_iSB_SB_
    .private_segment_fixed_size: 0
    .sgpr_count:     48
    .sgpr_spill_count: 0
    .symbol:         _Z38paged_attention_ll4mi_QKV_mfma4_kernelIDF16_hLN4vllm18Fp8KVCacheDataTypeE1EhLi16ELi64ELi256ELb0ELi1EEvPKT_PKT0_S7_ifPKiS9_S9_iPKfiiiPfSC_PS2_PT2_iSB_SB_.kd
    .uniform_work_group_size: 1
    .uses_dynamic_stack: false
    .vgpr_count:     84
    .vgpr_spill_count: 0
    .wavefront_size: 64
  - .agpr_count:     4
    .args:
      - .actual_access:  read_only
        .address_space:  global
        .offset:         0
        .size:           8
        .value_kind:     global_buffer
      - .actual_access:  read_only
        .address_space:  global
        .offset:         8
        .size:           8
        .value_kind:     global_buffer
      - .actual_access:  read_only
        .address_space:  global
        .offset:         16
        .size:           8
        .value_kind:     global_buffer
      - .offset:         24
        .size:           4
        .value_kind:     by_value
      - .offset:         28
        .size:           4
        .value_kind:     by_value
      - .actual_access:  read_only
        .address_space:  global
        .offset:         32
        .size:           8
        .value_kind:     global_buffer
      - .actual_access:  read_only
        .address_space:  global
        .offset:         40
        .size:           8
        .value_kind:     global_buffer
      - .actual_access:  read_only
        .address_space:  global
        .offset:         48
        .size:           8
        .value_kind:     global_buffer
      - .offset:         56
        .size:           4
        .value_kind:     by_value
      - .actual_access:  read_only
        .address_space:  global
        .offset:         64
        .size:           8
        .value_kind:     global_buffer
      - .offset:         72
        .size:           4
        .value_kind:     by_value
      - .offset:         76
        .size:           4
        .value_kind:     by_value
      - .offset:         80
        .size:           4
        .value_kind:     by_value
      - .actual_access:  write_only
        .address_space:  global
        .offset:         88
        .size:           8
        .value_kind:     global_buffer
      - .actual_access:  write_only
        .address_space:  global
        .offset:         96
        .size:           8
        .value_kind:     global_buffer
      - .actual_access:  write_only
        .address_space:  global
        .offset:         104
        .size:           8
        .value_kind:     global_buffer
      - .actual_access:  read_only
        .address_space:  global
        .offset:         112
        .size:           8
        .value_kind:     global_buffer
      - .offset:         120
        .size:           4
        .value_kind:     by_value
      - .address_space:  global
        .offset:         128
        .size:           8
        .value_kind:     global_buffer
      - .address_space:  global
        .offset:         136
        .size:           8
        .value_kind:     global_buffer
      - .offset:         144
        .size:           4
        .value_kind:     hidden_block_count_x
      - .offset:         148
        .size:           4
        .value_kind:     hidden_block_count_y
      - .offset:         152
        .size:           4
        .value_kind:     hidden_block_count_z
      - .offset:         156
        .size:           2
        .value_kind:     hidden_group_size_x
      - .offset:         158
        .size:           2
        .value_kind:     hidden_group_size_y
      - .offset:         160
        .size:           2
        .value_kind:     hidden_group_size_z
      - .offset:         162
        .size:           2
        .value_kind:     hidden_remainder_x
      - .offset:         164
        .size:           2
        .value_kind:     hidden_remainder_y
      - .offset:         166
        .size:           2
        .value_kind:     hidden_remainder_z
      - .offset:         184
        .size:           8
        .value_kind:     hidden_global_offset_x
      - .offset:         192
        .size:           8
        .value_kind:     hidden_global_offset_y
      - .offset:         200
        .size:           8
        .value_kind:     hidden_global_offset_z
      - .offset:         208
        .size:           2
        .value_kind:     hidden_grid_dims
    .group_segment_fixed_size: 2720
    .kernarg_segment_align: 8
    .kernarg_segment_size: 400
    .language:       OpenCL C
    .language_version:
      - 2
      - 0
    .max_flat_workgroup_size: 256
    .name:           _Z38paged_attention_ll4mi_QKV_mfma4_kernelIDF16_hLN4vllm18Fp8KVCacheDataTypeE1EhLi16ELi64ELi256ELb0ELi2EEvPKT_PKT0_S7_ifPKiS9_S9_iPKfiiiPfSC_PS2_PT2_iSB_SB_
    .private_segment_fixed_size: 0
    .sgpr_count:     48
    .sgpr_spill_count: 0
    .symbol:         _Z38paged_attention_ll4mi_QKV_mfma4_kernelIDF16_hLN4vllm18Fp8KVCacheDataTypeE1EhLi16ELi64ELi256ELb0ELi2EEvPKT_PKT0_S7_ifPKiS9_S9_iPKfiiiPfSC_PS2_PT2_iSB_SB_.kd
    .uniform_work_group_size: 1
    .uses_dynamic_stack: false
    .vgpr_count:     88
    .vgpr_spill_count: 0
    .wavefront_size: 64
  - .agpr_count:     4
    .args:
      - .actual_access:  read_only
        .address_space:  global
        .offset:         0
        .size:           8
        .value_kind:     global_buffer
      - .actual_access:  read_only
        .address_space:  global
        .offset:         8
        .size:           8
        .value_kind:     global_buffer
      - .actual_access:  read_only
        .address_space:  global
        .offset:         16
        .size:           8
        .value_kind:     global_buffer
      - .offset:         24
        .size:           4
        .value_kind:     by_value
      - .offset:         28
        .size:           4
        .value_kind:     by_value
      - .actual_access:  read_only
        .address_space:  global
        .offset:         32
        .size:           8
        .value_kind:     global_buffer
      - .actual_access:  read_only
        .address_space:  global
        .offset:         40
        .size:           8
        .value_kind:     global_buffer
      - .actual_access:  read_only
        .address_space:  global
        .offset:         48
        .size:           8
        .value_kind:     global_buffer
      - .offset:         56
        .size:           4
        .value_kind:     by_value
      - .actual_access:  read_only
        .address_space:  global
        .offset:         64
        .size:           8
        .value_kind:     global_buffer
      - .offset:         72
        .size:           4
        .value_kind:     by_value
      - .offset:         76
        .size:           4
        .value_kind:     by_value
      - .offset:         80
        .size:           4
        .value_kind:     by_value
      - .actual_access:  write_only
        .address_space:  global
        .offset:         88
        .size:           8
        .value_kind:     global_buffer
      - .actual_access:  write_only
        .address_space:  global
        .offset:         96
        .size:           8
        .value_kind:     global_buffer
      - .actual_access:  write_only
        .address_space:  global
        .offset:         104
        .size:           8
        .value_kind:     global_buffer
      - .actual_access:  read_only
        .address_space:  global
        .offset:         112
        .size:           8
        .value_kind:     global_buffer
      - .offset:         120
        .size:           4
        .value_kind:     by_value
      - .address_space:  global
        .offset:         128
        .size:           8
        .value_kind:     global_buffer
      - .address_space:  global
        .offset:         136
        .size:           8
        .value_kind:     global_buffer
      - .offset:         144
        .size:           4
        .value_kind:     hidden_block_count_x
      - .offset:         148
        .size:           4
        .value_kind:     hidden_block_count_y
      - .offset:         152
        .size:           4
        .value_kind:     hidden_block_count_z
      - .offset:         156
        .size:           2
        .value_kind:     hidden_group_size_x
      - .offset:         158
        .size:           2
        .value_kind:     hidden_group_size_y
      - .offset:         160
        .size:           2
        .value_kind:     hidden_group_size_z
      - .offset:         162
        .size:           2
        .value_kind:     hidden_remainder_x
      - .offset:         164
        .size:           2
        .value_kind:     hidden_remainder_y
      - .offset:         166
        .size:           2
        .value_kind:     hidden_remainder_z
      - .offset:         184
        .size:           8
        .value_kind:     hidden_global_offset_x
      - .offset:         192
        .size:           8
        .value_kind:     hidden_global_offset_y
      - .offset:         200
        .size:           8
        .value_kind:     hidden_global_offset_z
      - .offset:         208
        .size:           2
        .value_kind:     hidden_grid_dims
    .group_segment_fixed_size: 2720
    .kernarg_segment_align: 8
    .kernarg_segment_size: 400
    .language:       OpenCL C
    .language_version:
      - 2
      - 0
    .max_flat_workgroup_size: 256
    .name:           _Z38paged_attention_ll4mi_QKV_mfma4_kernelIDF16_hLN4vllm18Fp8KVCacheDataTypeE1EhLi16ELi64ELi256ELb0ELi3EEvPKT_PKT0_S7_ifPKiS9_S9_iPKfiiiPfSC_PS2_PT2_iSB_SB_
    .private_segment_fixed_size: 0
    .sgpr_count:     48
    .sgpr_spill_count: 0
    .symbol:         _Z38paged_attention_ll4mi_QKV_mfma4_kernelIDF16_hLN4vllm18Fp8KVCacheDataTypeE1EhLi16ELi64ELi256ELb0ELi3EEvPKT_PKT0_S7_ifPKiS9_S9_iPKfiiiPfSC_PS2_PT2_iSB_SB_.kd
    .uniform_work_group_size: 1
    .uses_dynamic_stack: false
    .vgpr_count:     84
    .vgpr_spill_count: 0
    .wavefront_size: 64
  - .agpr_count:     4
    .args:
      - .actual_access:  read_only
        .address_space:  global
        .offset:         0
        .size:           8
        .value_kind:     global_buffer
      - .actual_access:  read_only
        .address_space:  global
        .offset:         8
        .size:           8
        .value_kind:     global_buffer
      - .actual_access:  read_only
        .address_space:  global
        .offset:         16
        .size:           8
        .value_kind:     global_buffer
      - .offset:         24
        .size:           4
        .value_kind:     by_value
      - .offset:         28
        .size:           4
        .value_kind:     by_value
      - .actual_access:  read_only
        .address_space:  global
        .offset:         32
        .size:           8
        .value_kind:     global_buffer
      - .actual_access:  read_only
        .address_space:  global
        .offset:         40
        .size:           8
        .value_kind:     global_buffer
      - .actual_access:  read_only
        .address_space:  global
        .offset:         48
        .size:           8
        .value_kind:     global_buffer
      - .offset:         56
        .size:           4
        .value_kind:     by_value
      - .actual_access:  read_only
        .address_space:  global
        .offset:         64
        .size:           8
        .value_kind:     global_buffer
      - .offset:         72
        .size:           4
        .value_kind:     by_value
      - .offset:         76
        .size:           4
        .value_kind:     by_value
      - .offset:         80
        .size:           4
        .value_kind:     by_value
      - .actual_access:  write_only
        .address_space:  global
        .offset:         88
        .size:           8
        .value_kind:     global_buffer
      - .actual_access:  write_only
        .address_space:  global
        .offset:         96
        .size:           8
        .value_kind:     global_buffer
      - .actual_access:  write_only
        .address_space:  global
        .offset:         104
        .size:           8
        .value_kind:     global_buffer
      - .actual_access:  read_only
        .address_space:  global
        .offset:         112
        .size:           8
        .value_kind:     global_buffer
      - .offset:         120
        .size:           4
        .value_kind:     by_value
      - .address_space:  global
        .offset:         128
        .size:           8
        .value_kind:     global_buffer
      - .address_space:  global
        .offset:         136
        .size:           8
        .value_kind:     global_buffer
      - .offset:         144
        .size:           4
        .value_kind:     hidden_block_count_x
      - .offset:         148
        .size:           4
        .value_kind:     hidden_block_count_y
      - .offset:         152
        .size:           4
        .value_kind:     hidden_block_count_z
      - .offset:         156
        .size:           2
        .value_kind:     hidden_group_size_x
      - .offset:         158
        .size:           2
        .value_kind:     hidden_group_size_y
      - .offset:         160
        .size:           2
        .value_kind:     hidden_group_size_z
      - .offset:         162
        .size:           2
        .value_kind:     hidden_remainder_x
      - .offset:         164
        .size:           2
        .value_kind:     hidden_remainder_y
      - .offset:         166
        .size:           2
        .value_kind:     hidden_remainder_z
      - .offset:         184
        .size:           8
        .value_kind:     hidden_global_offset_x
      - .offset:         192
        .size:           8
        .value_kind:     hidden_global_offset_y
      - .offset:         200
        .size:           8
        .value_kind:     hidden_global_offset_z
      - .offset:         208
        .size:           2
        .value_kind:     hidden_grid_dims
    .group_segment_fixed_size: 2720
    .kernarg_segment_align: 8
    .kernarg_segment_size: 400
    .language:       OpenCL C
    .language_version:
      - 2
      - 0
    .max_flat_workgroup_size: 256
    .name:           _Z38paged_attention_ll4mi_QKV_mfma4_kernelIDF16_hLN4vllm18Fp8KVCacheDataTypeE1EhLi16ELi64ELi256ELb0ELi4EEvPKT_PKT0_S7_ifPKiS9_S9_iPKfiiiPfSC_PS2_PT2_iSB_SB_
    .private_segment_fixed_size: 0
    .sgpr_count:     48
    .sgpr_spill_count: 0
    .symbol:         _Z38paged_attention_ll4mi_QKV_mfma4_kernelIDF16_hLN4vllm18Fp8KVCacheDataTypeE1EhLi16ELi64ELi256ELb0ELi4EEvPKT_PKT0_S7_ifPKiS9_S9_iPKfiiiPfSC_PS2_PT2_iSB_SB_.kd
    .uniform_work_group_size: 1
    .uses_dynamic_stack: false
    .vgpr_count:     84
    .vgpr_spill_count: 0
    .wavefront_size: 64
  - .agpr_count:     0
    .args:
      - .actual_access:  read_only
        .address_space:  global
        .offset:         0
        .size:           8
        .value_kind:     global_buffer
      - .actual_access:  read_only
        .address_space:  global
        .offset:         8
        .size:           8
        .value_kind:     global_buffer
      - .actual_access:  read_only
        .address_space:  global
        .offset:         16
        .size:           8
        .value_kind:     global_buffer
      - .offset:         24
        .size:           4
        .value_kind:     by_value
      - .offset:         28
        .size:           4
        .value_kind:     by_value
      - .actual_access:  read_only
        .address_space:  global
        .offset:         32
        .size:           8
        .value_kind:     global_buffer
      - .actual_access:  read_only
        .address_space:  global
        .offset:         40
        .size:           8
        .value_kind:     global_buffer
      - .actual_access:  read_only
        .address_space:  global
        .offset:         48
        .size:           8
        .value_kind:     global_buffer
      - .offset:         56
        .size:           4
        .value_kind:     by_value
      - .actual_access:  read_only
        .address_space:  global
        .offset:         64
        .size:           8
        .value_kind:     global_buffer
      - .offset:         72
        .size:           4
        .value_kind:     by_value
      - .offset:         76
        .size:           4
        .value_kind:     by_value
      - .offset:         80
        .size:           4
        .value_kind:     by_value
      - .actual_access:  write_only
        .address_space:  global
        .offset:         88
        .size:           8
        .value_kind:     global_buffer
      - .actual_access:  write_only
        .address_space:  global
        .offset:         96
        .size:           8
        .value_kind:     global_buffer
      - .actual_access:  write_only
        .address_space:  global
        .offset:         104
        .size:           8
        .value_kind:     global_buffer
      - .actual_access:  read_only
        .address_space:  global
        .offset:         112
        .size:           8
        .value_kind:     global_buffer
      - .offset:         120
        .size:           4
        .value_kind:     by_value
      - .address_space:  global
        .offset:         128
        .size:           8
        .value_kind:     global_buffer
      - .address_space:  global
        .offset:         136
        .size:           8
        .value_kind:     global_buffer
      - .offset:         144
        .size:           4
        .value_kind:     hidden_block_count_x
      - .offset:         148
        .size:           4
        .value_kind:     hidden_block_count_y
      - .offset:         152
        .size:           4
        .value_kind:     hidden_block_count_z
      - .offset:         156
        .size:           2
        .value_kind:     hidden_group_size_x
      - .offset:         158
        .size:           2
        .value_kind:     hidden_group_size_y
      - .offset:         160
        .size:           2
        .value_kind:     hidden_group_size_z
      - .offset:         162
        .size:           2
        .value_kind:     hidden_remainder_x
      - .offset:         164
        .size:           2
        .value_kind:     hidden_remainder_y
      - .offset:         166
        .size:           2
        .value_kind:     hidden_remainder_z
      - .offset:         184
        .size:           8
        .value_kind:     hidden_global_offset_x
      - .offset:         192
        .size:           8
        .value_kind:     hidden_global_offset_y
      - .offset:         200
        .size:           8
        .value_kind:     hidden_global_offset_z
      - .offset:         208
        .size:           2
        .value_kind:     hidden_grid_dims
    .group_segment_fixed_size: 8192
    .kernarg_segment_align: 8
    .kernarg_segment_size: 400
    .language:       OpenCL C
    .language_version:
      - 2
      - 0
    .max_flat_workgroup_size: 256
    .name:           _Z39paged_attention_ll4mi_QKV_mfma16_kernelIDF16_hLN4vllm18Fp8KVCacheDataTypeE1EhLi16ELi64ELi256ELb0ELi5EEvPKT_PKT0_S7_ifPKiS9_S9_iPKfiiiPfSC_PS2_PT2_iSB_SB_
    .private_segment_fixed_size: 0
    .sgpr_count:     56
    .sgpr_spill_count: 0
    .symbol:         _Z39paged_attention_ll4mi_QKV_mfma16_kernelIDF16_hLN4vllm18Fp8KVCacheDataTypeE1EhLi16ELi64ELi256ELb0ELi5EEvPKT_PKT0_S7_ifPKiS9_S9_iPKfiiiPfSC_PS2_PT2_iSB_SB_.kd
    .uniform_work_group_size: 1
    .uses_dynamic_stack: false
    .vgpr_count:     58
    .vgpr_spill_count: 0
    .wavefront_size: 64
  - .agpr_count:     0
    .args:
      - .actual_access:  read_only
        .address_space:  global
        .offset:         0
        .size:           8
        .value_kind:     global_buffer
      - .actual_access:  read_only
        .address_space:  global
        .offset:         8
        .size:           8
        .value_kind:     global_buffer
      - .actual_access:  read_only
        .address_space:  global
        .offset:         16
        .size:           8
        .value_kind:     global_buffer
      - .offset:         24
        .size:           4
        .value_kind:     by_value
      - .offset:         28
        .size:           4
        .value_kind:     by_value
      - .actual_access:  read_only
        .address_space:  global
        .offset:         32
        .size:           8
        .value_kind:     global_buffer
      - .actual_access:  read_only
        .address_space:  global
        .offset:         40
        .size:           8
        .value_kind:     global_buffer
      - .actual_access:  read_only
        .address_space:  global
        .offset:         48
        .size:           8
        .value_kind:     global_buffer
      - .offset:         56
        .size:           4
        .value_kind:     by_value
      - .actual_access:  read_only
        .address_space:  global
        .offset:         64
        .size:           8
        .value_kind:     global_buffer
      - .offset:         72
        .size:           4
        .value_kind:     by_value
      - .offset:         76
        .size:           4
        .value_kind:     by_value
      - .offset:         80
        .size:           4
        .value_kind:     by_value
      - .actual_access:  write_only
        .address_space:  global
        .offset:         88
        .size:           8
        .value_kind:     global_buffer
      - .actual_access:  write_only
        .address_space:  global
        .offset:         96
        .size:           8
        .value_kind:     global_buffer
      - .actual_access:  write_only
        .address_space:  global
        .offset:         104
        .size:           8
        .value_kind:     global_buffer
      - .actual_access:  read_only
        .address_space:  global
        .offset:         112
        .size:           8
        .value_kind:     global_buffer
      - .offset:         120
        .size:           4
        .value_kind:     by_value
      - .address_space:  global
        .offset:         128
        .size:           8
        .value_kind:     global_buffer
      - .address_space:  global
        .offset:         136
        .size:           8
        .value_kind:     global_buffer
      - .offset:         144
        .size:           4
        .value_kind:     hidden_block_count_x
      - .offset:         148
        .size:           4
        .value_kind:     hidden_block_count_y
      - .offset:         152
        .size:           4
        .value_kind:     hidden_block_count_z
      - .offset:         156
        .size:           2
        .value_kind:     hidden_group_size_x
      - .offset:         158
        .size:           2
        .value_kind:     hidden_group_size_y
      - .offset:         160
        .size:           2
        .value_kind:     hidden_group_size_z
      - .offset:         162
        .size:           2
        .value_kind:     hidden_remainder_x
      - .offset:         164
        .size:           2
        .value_kind:     hidden_remainder_y
      - .offset:         166
        .size:           2
        .value_kind:     hidden_remainder_z
      - .offset:         184
        .size:           8
        .value_kind:     hidden_global_offset_x
      - .offset:         192
        .size:           8
        .value_kind:     hidden_global_offset_y
      - .offset:         200
        .size:           8
        .value_kind:     hidden_global_offset_z
      - .offset:         208
        .size:           2
        .value_kind:     hidden_grid_dims
    .group_segment_fixed_size: 8192
    .kernarg_segment_align: 8
    .kernarg_segment_size: 400
    .language:       OpenCL C
    .language_version:
      - 2
      - 0
    .max_flat_workgroup_size: 256
    .name:           _Z39paged_attention_ll4mi_QKV_mfma16_kernelIDF16_hLN4vllm18Fp8KVCacheDataTypeE1EhLi16ELi64ELi256ELb0ELi6EEvPKT_PKT0_S7_ifPKiS9_S9_iPKfiiiPfSC_PS2_PT2_iSB_SB_
    .private_segment_fixed_size: 0
    .sgpr_count:     56
    .sgpr_spill_count: 0
    .symbol:         _Z39paged_attention_ll4mi_QKV_mfma16_kernelIDF16_hLN4vllm18Fp8KVCacheDataTypeE1EhLi16ELi64ELi256ELb0ELi6EEvPKT_PKT0_S7_ifPKiS9_S9_iPKfiiiPfSC_PS2_PT2_iSB_SB_.kd
    .uniform_work_group_size: 1
    .uses_dynamic_stack: false
    .vgpr_count:     58
    .vgpr_spill_count: 0
    .wavefront_size: 64
  - .agpr_count:     0
    .args:
      - .actual_access:  read_only
        .address_space:  global
        .offset:         0
        .size:           8
        .value_kind:     global_buffer
      - .actual_access:  read_only
        .address_space:  global
        .offset:         8
        .size:           8
        .value_kind:     global_buffer
      - .actual_access:  read_only
        .address_space:  global
        .offset:         16
        .size:           8
        .value_kind:     global_buffer
      - .offset:         24
        .size:           4
        .value_kind:     by_value
      - .offset:         28
        .size:           4
        .value_kind:     by_value
      - .actual_access:  read_only
        .address_space:  global
        .offset:         32
        .size:           8
        .value_kind:     global_buffer
      - .actual_access:  read_only
        .address_space:  global
        .offset:         40
        .size:           8
        .value_kind:     global_buffer
      - .actual_access:  read_only
        .address_space:  global
        .offset:         48
        .size:           8
        .value_kind:     global_buffer
      - .offset:         56
        .size:           4
        .value_kind:     by_value
      - .actual_access:  read_only
        .address_space:  global
        .offset:         64
        .size:           8
        .value_kind:     global_buffer
      - .offset:         72
        .size:           4
        .value_kind:     by_value
      - .offset:         76
        .size:           4
        .value_kind:     by_value
      - .offset:         80
        .size:           4
        .value_kind:     by_value
      - .actual_access:  write_only
        .address_space:  global
        .offset:         88
        .size:           8
        .value_kind:     global_buffer
      - .actual_access:  write_only
        .address_space:  global
        .offset:         96
        .size:           8
        .value_kind:     global_buffer
      - .actual_access:  write_only
        .address_space:  global
        .offset:         104
        .size:           8
        .value_kind:     global_buffer
      - .actual_access:  read_only
        .address_space:  global
        .offset:         112
        .size:           8
        .value_kind:     global_buffer
      - .offset:         120
        .size:           4
        .value_kind:     by_value
      - .address_space:  global
        .offset:         128
        .size:           8
        .value_kind:     global_buffer
      - .address_space:  global
        .offset:         136
        .size:           8
        .value_kind:     global_buffer
      - .offset:         144
        .size:           4
        .value_kind:     hidden_block_count_x
      - .offset:         148
        .size:           4
        .value_kind:     hidden_block_count_y
      - .offset:         152
        .size:           4
        .value_kind:     hidden_block_count_z
      - .offset:         156
        .size:           2
        .value_kind:     hidden_group_size_x
      - .offset:         158
        .size:           2
        .value_kind:     hidden_group_size_y
      - .offset:         160
        .size:           2
        .value_kind:     hidden_group_size_z
      - .offset:         162
        .size:           2
        .value_kind:     hidden_remainder_x
      - .offset:         164
        .size:           2
        .value_kind:     hidden_remainder_y
      - .offset:         166
        .size:           2
        .value_kind:     hidden_remainder_z
      - .offset:         184
        .size:           8
        .value_kind:     hidden_global_offset_x
      - .offset:         192
        .size:           8
        .value_kind:     hidden_global_offset_y
      - .offset:         200
        .size:           8
        .value_kind:     hidden_global_offset_z
      - .offset:         208
        .size:           2
        .value_kind:     hidden_grid_dims
    .group_segment_fixed_size: 8192
    .kernarg_segment_align: 8
    .kernarg_segment_size: 400
    .language:       OpenCL C
    .language_version:
      - 2
      - 0
    .max_flat_workgroup_size: 256
    .name:           _Z39paged_attention_ll4mi_QKV_mfma16_kernelIDF16_hLN4vllm18Fp8KVCacheDataTypeE1EhLi16ELi64ELi256ELb0ELi7EEvPKT_PKT0_S7_ifPKiS9_S9_iPKfiiiPfSC_PS2_PT2_iSB_SB_
    .private_segment_fixed_size: 0
    .sgpr_count:     56
    .sgpr_spill_count: 0
    .symbol:         _Z39paged_attention_ll4mi_QKV_mfma16_kernelIDF16_hLN4vllm18Fp8KVCacheDataTypeE1EhLi16ELi64ELi256ELb0ELi7EEvPKT_PKT0_S7_ifPKiS9_S9_iPKfiiiPfSC_PS2_PT2_iSB_SB_.kd
    .uniform_work_group_size: 1
    .uses_dynamic_stack: false
    .vgpr_count:     58
    .vgpr_spill_count: 0
    .wavefront_size: 64
  - .agpr_count:     0
    .args:
      - .actual_access:  read_only
        .address_space:  global
        .offset:         0
        .size:           8
        .value_kind:     global_buffer
      - .actual_access:  read_only
        .address_space:  global
        .offset:         8
        .size:           8
        .value_kind:     global_buffer
      - .actual_access:  read_only
        .address_space:  global
        .offset:         16
        .size:           8
        .value_kind:     global_buffer
      - .offset:         24
        .size:           4
        .value_kind:     by_value
      - .offset:         28
        .size:           4
        .value_kind:     by_value
      - .actual_access:  read_only
        .address_space:  global
        .offset:         32
        .size:           8
        .value_kind:     global_buffer
      - .actual_access:  read_only
        .address_space:  global
        .offset:         40
        .size:           8
        .value_kind:     global_buffer
      - .actual_access:  read_only
        .address_space:  global
        .offset:         48
        .size:           8
        .value_kind:     global_buffer
      - .offset:         56
        .size:           4
        .value_kind:     by_value
      - .actual_access:  read_only
        .address_space:  global
        .offset:         64
        .size:           8
        .value_kind:     global_buffer
      - .offset:         72
        .size:           4
        .value_kind:     by_value
      - .offset:         76
        .size:           4
        .value_kind:     by_value
      - .offset:         80
        .size:           4
        .value_kind:     by_value
      - .actual_access:  write_only
        .address_space:  global
        .offset:         88
        .size:           8
        .value_kind:     global_buffer
      - .actual_access:  write_only
        .address_space:  global
        .offset:         96
        .size:           8
        .value_kind:     global_buffer
      - .actual_access:  write_only
        .address_space:  global
        .offset:         104
        .size:           8
        .value_kind:     global_buffer
      - .actual_access:  read_only
        .address_space:  global
        .offset:         112
        .size:           8
        .value_kind:     global_buffer
      - .offset:         120
        .size:           4
        .value_kind:     by_value
      - .address_space:  global
        .offset:         128
        .size:           8
        .value_kind:     global_buffer
      - .address_space:  global
        .offset:         136
        .size:           8
        .value_kind:     global_buffer
      - .offset:         144
        .size:           4
        .value_kind:     hidden_block_count_x
      - .offset:         148
        .size:           4
        .value_kind:     hidden_block_count_y
      - .offset:         152
        .size:           4
        .value_kind:     hidden_block_count_z
      - .offset:         156
        .size:           2
        .value_kind:     hidden_group_size_x
      - .offset:         158
        .size:           2
        .value_kind:     hidden_group_size_y
      - .offset:         160
        .size:           2
        .value_kind:     hidden_group_size_z
      - .offset:         162
        .size:           2
        .value_kind:     hidden_remainder_x
      - .offset:         164
        .size:           2
        .value_kind:     hidden_remainder_y
      - .offset:         166
        .size:           2
        .value_kind:     hidden_remainder_z
      - .offset:         184
        .size:           8
        .value_kind:     hidden_global_offset_x
      - .offset:         192
        .size:           8
        .value_kind:     hidden_global_offset_y
      - .offset:         200
        .size:           8
        .value_kind:     hidden_global_offset_z
      - .offset:         208
        .size:           2
        .value_kind:     hidden_grid_dims
    .group_segment_fixed_size: 8192
    .kernarg_segment_align: 8
    .kernarg_segment_size: 400
    .language:       OpenCL C
    .language_version:
      - 2
      - 0
    .max_flat_workgroup_size: 256
    .name:           _Z39paged_attention_ll4mi_QKV_mfma16_kernelIDF16_hLN4vllm18Fp8KVCacheDataTypeE1EhLi16ELi64ELi256ELb0ELi8EEvPKT_PKT0_S7_ifPKiS9_S9_iPKfiiiPfSC_PS2_PT2_iSB_SB_
    .private_segment_fixed_size: 0
    .sgpr_count:     55
    .sgpr_spill_count: 0
    .symbol:         _Z39paged_attention_ll4mi_QKV_mfma16_kernelIDF16_hLN4vllm18Fp8KVCacheDataTypeE1EhLi16ELi64ELi256ELb0ELi8EEvPKT_PKT0_S7_ifPKiS9_S9_iPKfiiiPfSC_PS2_PT2_iSB_SB_.kd
    .uniform_work_group_size: 1
    .uses_dynamic_stack: false
    .vgpr_count:     58
    .vgpr_spill_count: 0
    .wavefront_size: 64
  - .agpr_count:     0
    .args:
      - .actual_access:  read_only
        .address_space:  global
        .offset:         0
        .size:           8
        .value_kind:     global_buffer
      - .actual_access:  read_only
        .address_space:  global
        .offset:         8
        .size:           8
        .value_kind:     global_buffer
      - .actual_access:  read_only
        .address_space:  global
        .offset:         16
        .size:           8
        .value_kind:     global_buffer
      - .offset:         24
        .size:           4
        .value_kind:     by_value
      - .offset:         28
        .size:           4
        .value_kind:     by_value
      - .actual_access:  read_only
        .address_space:  global
        .offset:         32
        .size:           8
        .value_kind:     global_buffer
      - .actual_access:  read_only
        .address_space:  global
        .offset:         40
        .size:           8
        .value_kind:     global_buffer
      - .actual_access:  read_only
        .address_space:  global
        .offset:         48
        .size:           8
        .value_kind:     global_buffer
      - .offset:         56
        .size:           4
        .value_kind:     by_value
      - .actual_access:  read_only
        .address_space:  global
        .offset:         64
        .size:           8
        .value_kind:     global_buffer
      - .offset:         72
        .size:           4
        .value_kind:     by_value
      - .offset:         76
        .size:           4
        .value_kind:     by_value
      - .offset:         80
        .size:           4
        .value_kind:     by_value
      - .actual_access:  write_only
        .address_space:  global
        .offset:         88
        .size:           8
        .value_kind:     global_buffer
      - .actual_access:  write_only
        .address_space:  global
        .offset:         96
        .size:           8
        .value_kind:     global_buffer
      - .actual_access:  write_only
        .address_space:  global
        .offset:         104
        .size:           8
        .value_kind:     global_buffer
      - .actual_access:  read_only
        .address_space:  global
        .offset:         112
        .size:           8
        .value_kind:     global_buffer
      - .offset:         120
        .size:           4
        .value_kind:     by_value
      - .address_space:  global
        .offset:         128
        .size:           8
        .value_kind:     global_buffer
      - .address_space:  global
        .offset:         136
        .size:           8
        .value_kind:     global_buffer
      - .offset:         144
        .size:           4
        .value_kind:     hidden_block_count_x
      - .offset:         148
        .size:           4
        .value_kind:     hidden_block_count_y
      - .offset:         152
        .size:           4
        .value_kind:     hidden_block_count_z
      - .offset:         156
        .size:           2
        .value_kind:     hidden_group_size_x
      - .offset:         158
        .size:           2
        .value_kind:     hidden_group_size_y
      - .offset:         160
        .size:           2
        .value_kind:     hidden_group_size_z
      - .offset:         162
        .size:           2
        .value_kind:     hidden_remainder_x
      - .offset:         164
        .size:           2
        .value_kind:     hidden_remainder_y
      - .offset:         166
        .size:           2
        .value_kind:     hidden_remainder_z
      - .offset:         184
        .size:           8
        .value_kind:     hidden_global_offset_x
      - .offset:         192
        .size:           8
        .value_kind:     hidden_global_offset_y
      - .offset:         200
        .size:           8
        .value_kind:     hidden_global_offset_z
      - .offset:         208
        .size:           2
        .value_kind:     hidden_grid_dims
    .group_segment_fixed_size: 8192
    .kernarg_segment_align: 8
    .kernarg_segment_size: 400
    .language:       OpenCL C
    .language_version:
      - 2
      - 0
    .max_flat_workgroup_size: 256
    .name:           _Z39paged_attention_ll4mi_QKV_mfma16_kernelIDF16_hLN4vllm18Fp8KVCacheDataTypeE1EhLi16ELi64ELi256ELb0ELi9EEvPKT_PKT0_S7_ifPKiS9_S9_iPKfiiiPfSC_PS2_PT2_iSB_SB_
    .private_segment_fixed_size: 0
    .sgpr_count:     56
    .sgpr_spill_count: 0
    .symbol:         _Z39paged_attention_ll4mi_QKV_mfma16_kernelIDF16_hLN4vllm18Fp8KVCacheDataTypeE1EhLi16ELi64ELi256ELb0ELi9EEvPKT_PKT0_S7_ifPKiS9_S9_iPKfiiiPfSC_PS2_PT2_iSB_SB_.kd
    .uniform_work_group_size: 1
    .uses_dynamic_stack: false
    .vgpr_count:     58
    .vgpr_spill_count: 0
    .wavefront_size: 64
  - .agpr_count:     0
    .args:
      - .actual_access:  read_only
        .address_space:  global
        .offset:         0
        .size:           8
        .value_kind:     global_buffer
      - .actual_access:  read_only
        .address_space:  global
        .offset:         8
        .size:           8
        .value_kind:     global_buffer
      - .actual_access:  read_only
        .address_space:  global
        .offset:         16
        .size:           8
        .value_kind:     global_buffer
      - .offset:         24
        .size:           4
        .value_kind:     by_value
      - .offset:         28
        .size:           4
        .value_kind:     by_value
      - .actual_access:  read_only
        .address_space:  global
        .offset:         32
        .size:           8
        .value_kind:     global_buffer
      - .actual_access:  read_only
        .address_space:  global
        .offset:         40
        .size:           8
        .value_kind:     global_buffer
      - .actual_access:  read_only
        .address_space:  global
        .offset:         48
        .size:           8
        .value_kind:     global_buffer
      - .offset:         56
        .size:           4
        .value_kind:     by_value
      - .actual_access:  read_only
        .address_space:  global
        .offset:         64
        .size:           8
        .value_kind:     global_buffer
      - .offset:         72
        .size:           4
        .value_kind:     by_value
      - .offset:         76
        .size:           4
        .value_kind:     by_value
      - .offset:         80
        .size:           4
        .value_kind:     by_value
      - .actual_access:  write_only
        .address_space:  global
        .offset:         88
        .size:           8
        .value_kind:     global_buffer
      - .actual_access:  write_only
        .address_space:  global
        .offset:         96
        .size:           8
        .value_kind:     global_buffer
      - .actual_access:  write_only
        .address_space:  global
        .offset:         104
        .size:           8
        .value_kind:     global_buffer
      - .actual_access:  read_only
        .address_space:  global
        .offset:         112
        .size:           8
        .value_kind:     global_buffer
      - .offset:         120
        .size:           4
        .value_kind:     by_value
      - .address_space:  global
        .offset:         128
        .size:           8
        .value_kind:     global_buffer
      - .address_space:  global
        .offset:         136
        .size:           8
        .value_kind:     global_buffer
      - .offset:         144
        .size:           4
        .value_kind:     hidden_block_count_x
      - .offset:         148
        .size:           4
        .value_kind:     hidden_block_count_y
      - .offset:         152
        .size:           4
        .value_kind:     hidden_block_count_z
      - .offset:         156
        .size:           2
        .value_kind:     hidden_group_size_x
      - .offset:         158
        .size:           2
        .value_kind:     hidden_group_size_y
      - .offset:         160
        .size:           2
        .value_kind:     hidden_group_size_z
      - .offset:         162
        .size:           2
        .value_kind:     hidden_remainder_x
      - .offset:         164
        .size:           2
        .value_kind:     hidden_remainder_y
      - .offset:         166
        .size:           2
        .value_kind:     hidden_remainder_z
      - .offset:         184
        .size:           8
        .value_kind:     hidden_global_offset_x
      - .offset:         192
        .size:           8
        .value_kind:     hidden_global_offset_y
      - .offset:         200
        .size:           8
        .value_kind:     hidden_global_offset_z
      - .offset:         208
        .size:           2
        .value_kind:     hidden_grid_dims
    .group_segment_fixed_size: 8192
    .kernarg_segment_align: 8
    .kernarg_segment_size: 400
    .language:       OpenCL C
    .language_version:
      - 2
      - 0
    .max_flat_workgroup_size: 256
    .name:           _Z39paged_attention_ll4mi_QKV_mfma16_kernelIDF16_hLN4vllm18Fp8KVCacheDataTypeE1EhLi16ELi64ELi256ELb0ELi10EEvPKT_PKT0_S7_ifPKiS9_S9_iPKfiiiPfSC_PS2_PT2_iSB_SB_
    .private_segment_fixed_size: 0
    .sgpr_count:     56
    .sgpr_spill_count: 0
    .symbol:         _Z39paged_attention_ll4mi_QKV_mfma16_kernelIDF16_hLN4vllm18Fp8KVCacheDataTypeE1EhLi16ELi64ELi256ELb0ELi10EEvPKT_PKT0_S7_ifPKiS9_S9_iPKfiiiPfSC_PS2_PT2_iSB_SB_.kd
    .uniform_work_group_size: 1
    .uses_dynamic_stack: false
    .vgpr_count:     58
    .vgpr_spill_count: 0
    .wavefront_size: 64
  - .agpr_count:     0
    .args:
      - .actual_access:  read_only
        .address_space:  global
        .offset:         0
        .size:           8
        .value_kind:     global_buffer
      - .actual_access:  read_only
        .address_space:  global
        .offset:         8
        .size:           8
        .value_kind:     global_buffer
      - .actual_access:  read_only
        .address_space:  global
        .offset:         16
        .size:           8
        .value_kind:     global_buffer
      - .offset:         24
        .size:           4
        .value_kind:     by_value
      - .offset:         28
        .size:           4
        .value_kind:     by_value
      - .actual_access:  read_only
        .address_space:  global
        .offset:         32
        .size:           8
        .value_kind:     global_buffer
      - .actual_access:  read_only
        .address_space:  global
        .offset:         40
        .size:           8
        .value_kind:     global_buffer
      - .actual_access:  read_only
        .address_space:  global
        .offset:         48
        .size:           8
        .value_kind:     global_buffer
      - .offset:         56
        .size:           4
        .value_kind:     by_value
      - .actual_access:  read_only
        .address_space:  global
        .offset:         64
        .size:           8
        .value_kind:     global_buffer
      - .offset:         72
        .size:           4
        .value_kind:     by_value
      - .offset:         76
        .size:           4
        .value_kind:     by_value
      - .offset:         80
        .size:           4
        .value_kind:     by_value
      - .actual_access:  write_only
        .address_space:  global
        .offset:         88
        .size:           8
        .value_kind:     global_buffer
      - .actual_access:  write_only
        .address_space:  global
        .offset:         96
        .size:           8
        .value_kind:     global_buffer
      - .actual_access:  write_only
        .address_space:  global
        .offset:         104
        .size:           8
        .value_kind:     global_buffer
      - .actual_access:  read_only
        .address_space:  global
        .offset:         112
        .size:           8
        .value_kind:     global_buffer
      - .offset:         120
        .size:           4
        .value_kind:     by_value
      - .address_space:  global
        .offset:         128
        .size:           8
        .value_kind:     global_buffer
      - .address_space:  global
        .offset:         136
        .size:           8
        .value_kind:     global_buffer
      - .offset:         144
        .size:           4
        .value_kind:     hidden_block_count_x
      - .offset:         148
        .size:           4
        .value_kind:     hidden_block_count_y
      - .offset:         152
        .size:           4
        .value_kind:     hidden_block_count_z
      - .offset:         156
        .size:           2
        .value_kind:     hidden_group_size_x
      - .offset:         158
        .size:           2
        .value_kind:     hidden_group_size_y
      - .offset:         160
        .size:           2
        .value_kind:     hidden_group_size_z
      - .offset:         162
        .size:           2
        .value_kind:     hidden_remainder_x
      - .offset:         164
        .size:           2
        .value_kind:     hidden_remainder_y
      - .offset:         166
        .size:           2
        .value_kind:     hidden_remainder_z
      - .offset:         184
        .size:           8
        .value_kind:     hidden_global_offset_x
      - .offset:         192
        .size:           8
        .value_kind:     hidden_global_offset_y
      - .offset:         200
        .size:           8
        .value_kind:     hidden_global_offset_z
      - .offset:         208
        .size:           2
        .value_kind:     hidden_grid_dims
    .group_segment_fixed_size: 8192
    .kernarg_segment_align: 8
    .kernarg_segment_size: 400
    .language:       OpenCL C
    .language_version:
      - 2
      - 0
    .max_flat_workgroup_size: 256
    .name:           _Z39paged_attention_ll4mi_QKV_mfma16_kernelIDF16_hLN4vllm18Fp8KVCacheDataTypeE1EhLi16ELi64ELi256ELb0ELi11EEvPKT_PKT0_S7_ifPKiS9_S9_iPKfiiiPfSC_PS2_PT2_iSB_SB_
    .private_segment_fixed_size: 0
    .sgpr_count:     56
    .sgpr_spill_count: 0
    .symbol:         _Z39paged_attention_ll4mi_QKV_mfma16_kernelIDF16_hLN4vllm18Fp8KVCacheDataTypeE1EhLi16ELi64ELi256ELb0ELi11EEvPKT_PKT0_S7_ifPKiS9_S9_iPKfiiiPfSC_PS2_PT2_iSB_SB_.kd
    .uniform_work_group_size: 1
    .uses_dynamic_stack: false
    .vgpr_count:     58
    .vgpr_spill_count: 0
    .wavefront_size: 64
  - .agpr_count:     0
    .args:
      - .actual_access:  read_only
        .address_space:  global
        .offset:         0
        .size:           8
        .value_kind:     global_buffer
      - .actual_access:  read_only
        .address_space:  global
        .offset:         8
        .size:           8
        .value_kind:     global_buffer
      - .actual_access:  read_only
        .address_space:  global
        .offset:         16
        .size:           8
        .value_kind:     global_buffer
      - .offset:         24
        .size:           4
        .value_kind:     by_value
      - .offset:         28
        .size:           4
        .value_kind:     by_value
      - .actual_access:  read_only
        .address_space:  global
        .offset:         32
        .size:           8
        .value_kind:     global_buffer
      - .actual_access:  read_only
        .address_space:  global
        .offset:         40
        .size:           8
        .value_kind:     global_buffer
      - .actual_access:  read_only
        .address_space:  global
        .offset:         48
        .size:           8
        .value_kind:     global_buffer
      - .offset:         56
        .size:           4
        .value_kind:     by_value
      - .actual_access:  read_only
        .address_space:  global
        .offset:         64
        .size:           8
        .value_kind:     global_buffer
      - .offset:         72
        .size:           4
        .value_kind:     by_value
      - .offset:         76
        .size:           4
        .value_kind:     by_value
      - .offset:         80
        .size:           4
        .value_kind:     by_value
      - .actual_access:  write_only
        .address_space:  global
        .offset:         88
        .size:           8
        .value_kind:     global_buffer
      - .actual_access:  write_only
        .address_space:  global
        .offset:         96
        .size:           8
        .value_kind:     global_buffer
      - .actual_access:  write_only
        .address_space:  global
        .offset:         104
        .size:           8
        .value_kind:     global_buffer
      - .actual_access:  read_only
        .address_space:  global
        .offset:         112
        .size:           8
        .value_kind:     global_buffer
      - .offset:         120
        .size:           4
        .value_kind:     by_value
      - .address_space:  global
        .offset:         128
        .size:           8
        .value_kind:     global_buffer
      - .address_space:  global
        .offset:         136
        .size:           8
        .value_kind:     global_buffer
      - .offset:         144
        .size:           4
        .value_kind:     hidden_block_count_x
      - .offset:         148
        .size:           4
        .value_kind:     hidden_block_count_y
      - .offset:         152
        .size:           4
        .value_kind:     hidden_block_count_z
      - .offset:         156
        .size:           2
        .value_kind:     hidden_group_size_x
      - .offset:         158
        .size:           2
        .value_kind:     hidden_group_size_y
      - .offset:         160
        .size:           2
        .value_kind:     hidden_group_size_z
      - .offset:         162
        .size:           2
        .value_kind:     hidden_remainder_x
      - .offset:         164
        .size:           2
        .value_kind:     hidden_remainder_y
      - .offset:         166
        .size:           2
        .value_kind:     hidden_remainder_z
      - .offset:         184
        .size:           8
        .value_kind:     hidden_global_offset_x
      - .offset:         192
        .size:           8
        .value_kind:     hidden_global_offset_y
      - .offset:         200
        .size:           8
        .value_kind:     hidden_global_offset_z
      - .offset:         208
        .size:           2
        .value_kind:     hidden_grid_dims
    .group_segment_fixed_size: 8192
    .kernarg_segment_align: 8
    .kernarg_segment_size: 400
    .language:       OpenCL C
    .language_version:
      - 2
      - 0
    .max_flat_workgroup_size: 256
    .name:           _Z39paged_attention_ll4mi_QKV_mfma16_kernelIDF16_hLN4vllm18Fp8KVCacheDataTypeE1EhLi16ELi64ELi256ELb0ELi12EEvPKT_PKT0_S7_ifPKiS9_S9_iPKfiiiPfSC_PS2_PT2_iSB_SB_
    .private_segment_fixed_size: 0
    .sgpr_count:     56
    .sgpr_spill_count: 0
    .symbol:         _Z39paged_attention_ll4mi_QKV_mfma16_kernelIDF16_hLN4vllm18Fp8KVCacheDataTypeE1EhLi16ELi64ELi256ELb0ELi12EEvPKT_PKT0_S7_ifPKiS9_S9_iPKfiiiPfSC_PS2_PT2_iSB_SB_.kd
    .uniform_work_group_size: 1
    .uses_dynamic_stack: false
    .vgpr_count:     58
    .vgpr_spill_count: 0
    .wavefront_size: 64
  - .agpr_count:     0
    .args:
      - .actual_access:  read_only
        .address_space:  global
        .offset:         0
        .size:           8
        .value_kind:     global_buffer
      - .actual_access:  read_only
        .address_space:  global
        .offset:         8
        .size:           8
        .value_kind:     global_buffer
      - .actual_access:  read_only
        .address_space:  global
        .offset:         16
        .size:           8
        .value_kind:     global_buffer
      - .offset:         24
        .size:           4
        .value_kind:     by_value
      - .offset:         28
        .size:           4
        .value_kind:     by_value
      - .actual_access:  read_only
        .address_space:  global
        .offset:         32
        .size:           8
        .value_kind:     global_buffer
      - .actual_access:  read_only
        .address_space:  global
        .offset:         40
        .size:           8
        .value_kind:     global_buffer
      - .actual_access:  read_only
        .address_space:  global
        .offset:         48
        .size:           8
        .value_kind:     global_buffer
      - .offset:         56
        .size:           4
        .value_kind:     by_value
      - .actual_access:  read_only
        .address_space:  global
        .offset:         64
        .size:           8
        .value_kind:     global_buffer
      - .offset:         72
        .size:           4
        .value_kind:     by_value
      - .offset:         76
        .size:           4
        .value_kind:     by_value
      - .offset:         80
        .size:           4
        .value_kind:     by_value
      - .actual_access:  write_only
        .address_space:  global
        .offset:         88
        .size:           8
        .value_kind:     global_buffer
      - .actual_access:  write_only
        .address_space:  global
        .offset:         96
        .size:           8
        .value_kind:     global_buffer
      - .actual_access:  write_only
        .address_space:  global
        .offset:         104
        .size:           8
        .value_kind:     global_buffer
      - .actual_access:  read_only
        .address_space:  global
        .offset:         112
        .size:           8
        .value_kind:     global_buffer
      - .offset:         120
        .size:           4
        .value_kind:     by_value
      - .address_space:  global
        .offset:         128
        .size:           8
        .value_kind:     global_buffer
      - .address_space:  global
        .offset:         136
        .size:           8
        .value_kind:     global_buffer
      - .offset:         144
        .size:           4
        .value_kind:     hidden_block_count_x
      - .offset:         148
        .size:           4
        .value_kind:     hidden_block_count_y
      - .offset:         152
        .size:           4
        .value_kind:     hidden_block_count_z
      - .offset:         156
        .size:           2
        .value_kind:     hidden_group_size_x
      - .offset:         158
        .size:           2
        .value_kind:     hidden_group_size_y
      - .offset:         160
        .size:           2
        .value_kind:     hidden_group_size_z
      - .offset:         162
        .size:           2
        .value_kind:     hidden_remainder_x
      - .offset:         164
        .size:           2
        .value_kind:     hidden_remainder_y
      - .offset:         166
        .size:           2
        .value_kind:     hidden_remainder_z
      - .offset:         184
        .size:           8
        .value_kind:     hidden_global_offset_x
      - .offset:         192
        .size:           8
        .value_kind:     hidden_global_offset_y
      - .offset:         200
        .size:           8
        .value_kind:     hidden_global_offset_z
      - .offset:         208
        .size:           2
        .value_kind:     hidden_grid_dims
    .group_segment_fixed_size: 8192
    .kernarg_segment_align: 8
    .kernarg_segment_size: 400
    .language:       OpenCL C
    .language_version:
      - 2
      - 0
    .max_flat_workgroup_size: 256
    .name:           _Z39paged_attention_ll4mi_QKV_mfma16_kernelIDF16_hLN4vllm18Fp8KVCacheDataTypeE1EhLi16ELi64ELi256ELb0ELi13EEvPKT_PKT0_S7_ifPKiS9_S9_iPKfiiiPfSC_PS2_PT2_iSB_SB_
    .private_segment_fixed_size: 0
    .sgpr_count:     56
    .sgpr_spill_count: 0
    .symbol:         _Z39paged_attention_ll4mi_QKV_mfma16_kernelIDF16_hLN4vllm18Fp8KVCacheDataTypeE1EhLi16ELi64ELi256ELb0ELi13EEvPKT_PKT0_S7_ifPKiS9_S9_iPKfiiiPfSC_PS2_PT2_iSB_SB_.kd
    .uniform_work_group_size: 1
    .uses_dynamic_stack: false
    .vgpr_count:     58
    .vgpr_spill_count: 0
    .wavefront_size: 64
  - .agpr_count:     0
    .args:
      - .actual_access:  read_only
        .address_space:  global
        .offset:         0
        .size:           8
        .value_kind:     global_buffer
      - .actual_access:  read_only
        .address_space:  global
        .offset:         8
        .size:           8
        .value_kind:     global_buffer
      - .actual_access:  read_only
        .address_space:  global
        .offset:         16
        .size:           8
        .value_kind:     global_buffer
      - .offset:         24
        .size:           4
        .value_kind:     by_value
      - .offset:         28
        .size:           4
        .value_kind:     by_value
      - .actual_access:  read_only
        .address_space:  global
        .offset:         32
        .size:           8
        .value_kind:     global_buffer
      - .actual_access:  read_only
        .address_space:  global
        .offset:         40
        .size:           8
        .value_kind:     global_buffer
      - .actual_access:  read_only
        .address_space:  global
        .offset:         48
        .size:           8
        .value_kind:     global_buffer
      - .offset:         56
        .size:           4
        .value_kind:     by_value
      - .actual_access:  read_only
        .address_space:  global
        .offset:         64
        .size:           8
        .value_kind:     global_buffer
      - .offset:         72
        .size:           4
        .value_kind:     by_value
      - .offset:         76
        .size:           4
        .value_kind:     by_value
      - .offset:         80
        .size:           4
        .value_kind:     by_value
      - .actual_access:  write_only
        .address_space:  global
        .offset:         88
        .size:           8
        .value_kind:     global_buffer
      - .actual_access:  write_only
        .address_space:  global
        .offset:         96
        .size:           8
        .value_kind:     global_buffer
      - .actual_access:  write_only
        .address_space:  global
        .offset:         104
        .size:           8
        .value_kind:     global_buffer
      - .actual_access:  read_only
        .address_space:  global
        .offset:         112
        .size:           8
        .value_kind:     global_buffer
      - .offset:         120
        .size:           4
        .value_kind:     by_value
      - .address_space:  global
        .offset:         128
        .size:           8
        .value_kind:     global_buffer
      - .address_space:  global
        .offset:         136
        .size:           8
        .value_kind:     global_buffer
      - .offset:         144
        .size:           4
        .value_kind:     hidden_block_count_x
      - .offset:         148
        .size:           4
        .value_kind:     hidden_block_count_y
      - .offset:         152
        .size:           4
        .value_kind:     hidden_block_count_z
      - .offset:         156
        .size:           2
        .value_kind:     hidden_group_size_x
      - .offset:         158
        .size:           2
        .value_kind:     hidden_group_size_y
      - .offset:         160
        .size:           2
        .value_kind:     hidden_group_size_z
      - .offset:         162
        .size:           2
        .value_kind:     hidden_remainder_x
      - .offset:         164
        .size:           2
        .value_kind:     hidden_remainder_y
      - .offset:         166
        .size:           2
        .value_kind:     hidden_remainder_z
      - .offset:         184
        .size:           8
        .value_kind:     hidden_global_offset_x
      - .offset:         192
        .size:           8
        .value_kind:     hidden_global_offset_y
      - .offset:         200
        .size:           8
        .value_kind:     hidden_global_offset_z
      - .offset:         208
        .size:           2
        .value_kind:     hidden_grid_dims
    .group_segment_fixed_size: 8192
    .kernarg_segment_align: 8
    .kernarg_segment_size: 400
    .language:       OpenCL C
    .language_version:
      - 2
      - 0
    .max_flat_workgroup_size: 256
    .name:           _Z39paged_attention_ll4mi_QKV_mfma16_kernelIDF16_hLN4vllm18Fp8KVCacheDataTypeE1EhLi16ELi64ELi256ELb0ELi14EEvPKT_PKT0_S7_ifPKiS9_S9_iPKfiiiPfSC_PS2_PT2_iSB_SB_
    .private_segment_fixed_size: 0
    .sgpr_count:     56
    .sgpr_spill_count: 0
    .symbol:         _Z39paged_attention_ll4mi_QKV_mfma16_kernelIDF16_hLN4vllm18Fp8KVCacheDataTypeE1EhLi16ELi64ELi256ELb0ELi14EEvPKT_PKT0_S7_ifPKiS9_S9_iPKfiiiPfSC_PS2_PT2_iSB_SB_.kd
    .uniform_work_group_size: 1
    .uses_dynamic_stack: false
    .vgpr_count:     58
    .vgpr_spill_count: 0
    .wavefront_size: 64
  - .agpr_count:     0
    .args:
      - .actual_access:  read_only
        .address_space:  global
        .offset:         0
        .size:           8
        .value_kind:     global_buffer
      - .actual_access:  read_only
        .address_space:  global
        .offset:         8
        .size:           8
        .value_kind:     global_buffer
      - .actual_access:  read_only
        .address_space:  global
        .offset:         16
        .size:           8
        .value_kind:     global_buffer
      - .offset:         24
        .size:           4
        .value_kind:     by_value
      - .offset:         28
        .size:           4
        .value_kind:     by_value
      - .actual_access:  read_only
        .address_space:  global
        .offset:         32
        .size:           8
        .value_kind:     global_buffer
      - .actual_access:  read_only
        .address_space:  global
        .offset:         40
        .size:           8
        .value_kind:     global_buffer
      - .actual_access:  read_only
        .address_space:  global
        .offset:         48
        .size:           8
        .value_kind:     global_buffer
      - .offset:         56
        .size:           4
        .value_kind:     by_value
      - .actual_access:  read_only
        .address_space:  global
        .offset:         64
        .size:           8
        .value_kind:     global_buffer
      - .offset:         72
        .size:           4
        .value_kind:     by_value
      - .offset:         76
        .size:           4
        .value_kind:     by_value
      - .offset:         80
        .size:           4
        .value_kind:     by_value
      - .actual_access:  write_only
        .address_space:  global
        .offset:         88
        .size:           8
        .value_kind:     global_buffer
      - .actual_access:  write_only
        .address_space:  global
        .offset:         96
        .size:           8
        .value_kind:     global_buffer
      - .actual_access:  write_only
        .address_space:  global
        .offset:         104
        .size:           8
        .value_kind:     global_buffer
      - .actual_access:  read_only
        .address_space:  global
        .offset:         112
        .size:           8
        .value_kind:     global_buffer
      - .offset:         120
        .size:           4
        .value_kind:     by_value
      - .address_space:  global
        .offset:         128
        .size:           8
        .value_kind:     global_buffer
      - .address_space:  global
        .offset:         136
        .size:           8
        .value_kind:     global_buffer
      - .offset:         144
        .size:           4
        .value_kind:     hidden_block_count_x
      - .offset:         148
        .size:           4
        .value_kind:     hidden_block_count_y
      - .offset:         152
        .size:           4
        .value_kind:     hidden_block_count_z
      - .offset:         156
        .size:           2
        .value_kind:     hidden_group_size_x
      - .offset:         158
        .size:           2
        .value_kind:     hidden_group_size_y
      - .offset:         160
        .size:           2
        .value_kind:     hidden_group_size_z
      - .offset:         162
        .size:           2
        .value_kind:     hidden_remainder_x
      - .offset:         164
        .size:           2
        .value_kind:     hidden_remainder_y
      - .offset:         166
        .size:           2
        .value_kind:     hidden_remainder_z
      - .offset:         184
        .size:           8
        .value_kind:     hidden_global_offset_x
      - .offset:         192
        .size:           8
        .value_kind:     hidden_global_offset_y
      - .offset:         200
        .size:           8
        .value_kind:     hidden_global_offset_z
      - .offset:         208
        .size:           2
        .value_kind:     hidden_grid_dims
    .group_segment_fixed_size: 8192
    .kernarg_segment_align: 8
    .kernarg_segment_size: 400
    .language:       OpenCL C
    .language_version:
      - 2
      - 0
    .max_flat_workgroup_size: 256
    .name:           _Z39paged_attention_ll4mi_QKV_mfma16_kernelIDF16_hLN4vllm18Fp8KVCacheDataTypeE1EhLi16ELi64ELi256ELb0ELi15EEvPKT_PKT0_S7_ifPKiS9_S9_iPKfiiiPfSC_PS2_PT2_iSB_SB_
    .private_segment_fixed_size: 0
    .sgpr_count:     56
    .sgpr_spill_count: 0
    .symbol:         _Z39paged_attention_ll4mi_QKV_mfma16_kernelIDF16_hLN4vllm18Fp8KVCacheDataTypeE1EhLi16ELi64ELi256ELb0ELi15EEvPKT_PKT0_S7_ifPKiS9_S9_iPKfiiiPfSC_PS2_PT2_iSB_SB_.kd
    .uniform_work_group_size: 1
    .uses_dynamic_stack: false
    .vgpr_count:     58
    .vgpr_spill_count: 0
    .wavefront_size: 64
  - .agpr_count:     0
    .args:
      - .actual_access:  read_only
        .address_space:  global
        .offset:         0
        .size:           8
        .value_kind:     global_buffer
      - .actual_access:  read_only
        .address_space:  global
        .offset:         8
        .size:           8
        .value_kind:     global_buffer
      - .actual_access:  read_only
        .address_space:  global
        .offset:         16
        .size:           8
        .value_kind:     global_buffer
      - .offset:         24
        .size:           4
        .value_kind:     by_value
      - .offset:         28
        .size:           4
        .value_kind:     by_value
      - .actual_access:  read_only
        .address_space:  global
        .offset:         32
        .size:           8
        .value_kind:     global_buffer
      - .actual_access:  read_only
        .address_space:  global
        .offset:         40
        .size:           8
        .value_kind:     global_buffer
      - .actual_access:  read_only
        .address_space:  global
        .offset:         48
        .size:           8
        .value_kind:     global_buffer
      - .offset:         56
        .size:           4
        .value_kind:     by_value
      - .actual_access:  read_only
        .address_space:  global
        .offset:         64
        .size:           8
        .value_kind:     global_buffer
      - .offset:         72
        .size:           4
        .value_kind:     by_value
      - .offset:         76
        .size:           4
        .value_kind:     by_value
      - .offset:         80
        .size:           4
        .value_kind:     by_value
      - .actual_access:  write_only
        .address_space:  global
        .offset:         88
        .size:           8
        .value_kind:     global_buffer
      - .actual_access:  write_only
        .address_space:  global
        .offset:         96
        .size:           8
        .value_kind:     global_buffer
      - .actual_access:  write_only
        .address_space:  global
        .offset:         104
        .size:           8
        .value_kind:     global_buffer
      - .actual_access:  read_only
        .address_space:  global
        .offset:         112
        .size:           8
        .value_kind:     global_buffer
      - .offset:         120
        .size:           4
        .value_kind:     by_value
      - .address_space:  global
        .offset:         128
        .size:           8
        .value_kind:     global_buffer
      - .address_space:  global
        .offset:         136
        .size:           8
        .value_kind:     global_buffer
      - .offset:         144
        .size:           4
        .value_kind:     hidden_block_count_x
      - .offset:         148
        .size:           4
        .value_kind:     hidden_block_count_y
      - .offset:         152
        .size:           4
        .value_kind:     hidden_block_count_z
      - .offset:         156
        .size:           2
        .value_kind:     hidden_group_size_x
      - .offset:         158
        .size:           2
        .value_kind:     hidden_group_size_y
      - .offset:         160
        .size:           2
        .value_kind:     hidden_group_size_z
      - .offset:         162
        .size:           2
        .value_kind:     hidden_remainder_x
      - .offset:         164
        .size:           2
        .value_kind:     hidden_remainder_y
      - .offset:         166
        .size:           2
        .value_kind:     hidden_remainder_z
      - .offset:         184
        .size:           8
        .value_kind:     hidden_global_offset_x
      - .offset:         192
        .size:           8
        .value_kind:     hidden_global_offset_y
      - .offset:         200
        .size:           8
        .value_kind:     hidden_global_offset_z
      - .offset:         208
        .size:           2
        .value_kind:     hidden_grid_dims
    .group_segment_fixed_size: 8192
    .kernarg_segment_align: 8
    .kernarg_segment_size: 400
    .language:       OpenCL C
    .language_version:
      - 2
      - 0
    .max_flat_workgroup_size: 256
    .name:           _Z39paged_attention_ll4mi_QKV_mfma16_kernelIDF16_hLN4vllm18Fp8KVCacheDataTypeE1EhLi16ELi64ELi256ELb0ELi16EEvPKT_PKT0_S7_ifPKiS9_S9_iPKfiiiPfSC_PS2_PT2_iSB_SB_
    .private_segment_fixed_size: 0
    .sgpr_count:     55
    .sgpr_spill_count: 0
    .symbol:         _Z39paged_attention_ll4mi_QKV_mfma16_kernelIDF16_hLN4vllm18Fp8KVCacheDataTypeE1EhLi16ELi64ELi256ELb0ELi16EEvPKT_PKT0_S7_ifPKiS9_S9_iPKfiiiPfSC_PS2_PT2_iSB_SB_.kd
    .uniform_work_group_size: 1
    .uses_dynamic_stack: false
    .vgpr_count:     60
    .vgpr_spill_count: 0
    .wavefront_size: 64
  - .agpr_count:     0
    .args:
      - .actual_access:  read_only
        .address_space:  global
        .offset:         0
        .size:           8
        .value_kind:     global_buffer
      - .actual_access:  read_only
        .address_space:  global
        .offset:         8
        .size:           8
        .value_kind:     global_buffer
      - .actual_access:  read_only
        .address_space:  global
        .offset:         16
        .size:           8
        .value_kind:     global_buffer
      - .offset:         24
        .size:           4
        .value_kind:     by_value
      - .offset:         28
        .size:           4
        .value_kind:     by_value
      - .actual_access:  read_only
        .address_space:  global
        .offset:         32
        .size:           8
        .value_kind:     global_buffer
      - .actual_access:  read_only
        .address_space:  global
        .offset:         40
        .size:           8
        .value_kind:     global_buffer
      - .actual_access:  read_only
        .address_space:  global
        .offset:         48
        .size:           8
        .value_kind:     global_buffer
      - .offset:         56
        .size:           4
        .value_kind:     by_value
      - .actual_access:  read_only
        .address_space:  global
        .offset:         64
        .size:           8
        .value_kind:     global_buffer
      - .offset:         72
        .size:           4
        .value_kind:     by_value
      - .offset:         76
        .size:           4
        .value_kind:     by_value
      - .offset:         80
        .size:           4
        .value_kind:     by_value
      - .actual_access:  write_only
        .address_space:  global
        .offset:         88
        .size:           8
        .value_kind:     global_buffer
      - .actual_access:  write_only
        .address_space:  global
        .offset:         96
        .size:           8
        .value_kind:     global_buffer
      - .actual_access:  write_only
        .address_space:  global
        .offset:         104
        .size:           8
        .value_kind:     global_buffer
      - .actual_access:  read_only
        .address_space:  global
        .offset:         112
        .size:           8
        .value_kind:     global_buffer
      - .offset:         120
        .size:           4
        .value_kind:     by_value
      - .address_space:  global
        .offset:         128
        .size:           8
        .value_kind:     global_buffer
      - .address_space:  global
        .offset:         136
        .size:           8
        .value_kind:     global_buffer
      - .offset:         144
        .size:           4
        .value_kind:     hidden_block_count_x
      - .offset:         148
        .size:           4
        .value_kind:     hidden_block_count_y
      - .offset:         152
        .size:           4
        .value_kind:     hidden_block_count_z
      - .offset:         156
        .size:           2
        .value_kind:     hidden_group_size_x
      - .offset:         158
        .size:           2
        .value_kind:     hidden_group_size_y
      - .offset:         160
        .size:           2
        .value_kind:     hidden_group_size_z
      - .offset:         162
        .size:           2
        .value_kind:     hidden_remainder_x
      - .offset:         164
        .size:           2
        .value_kind:     hidden_remainder_y
      - .offset:         166
        .size:           2
        .value_kind:     hidden_remainder_z
      - .offset:         184
        .size:           8
        .value_kind:     hidden_global_offset_x
      - .offset:         192
        .size:           8
        .value_kind:     hidden_global_offset_y
      - .offset:         200
        .size:           8
        .value_kind:     hidden_global_offset_z
      - .offset:         208
        .size:           2
        .value_kind:     hidden_grid_dims
    .group_segment_fixed_size: 8192
    .kernarg_segment_align: 8
    .kernarg_segment_size: 400
    .language:       OpenCL C
    .language_version:
      - 2
      - 0
    .max_flat_workgroup_size: 256
    .name:           _Z39paged_attention_ll4mi_QKV_mfma16_kernelIDF16_hLN4vllm18Fp8KVCacheDataTypeE1EhLi16ELi64ELi256ELb0ELi1EEvPKT_PKT0_S7_ifPKiS9_S9_iPKfiiiPfSC_PS2_PT2_iSB_SB_
    .private_segment_fixed_size: 0
    .sgpr_count:     54
    .sgpr_spill_count: 0
    .symbol:         _Z39paged_attention_ll4mi_QKV_mfma16_kernelIDF16_hLN4vllm18Fp8KVCacheDataTypeE1EhLi16ELi64ELi256ELb0ELi1EEvPKT_PKT0_S7_ifPKiS9_S9_iPKfiiiPfSC_PS2_PT2_iSB_SB_.kd
    .uniform_work_group_size: 1
    .uses_dynamic_stack: false
    .vgpr_count:     59
    .vgpr_spill_count: 0
    .wavefront_size: 64
  - .agpr_count:     0
    .args:
      - .actual_access:  read_only
        .address_space:  global
        .offset:         0
        .size:           8
        .value_kind:     global_buffer
      - .actual_access:  read_only
        .address_space:  global
        .offset:         8
        .size:           8
        .value_kind:     global_buffer
      - .actual_access:  read_only
        .address_space:  global
        .offset:         16
        .size:           8
        .value_kind:     global_buffer
      - .offset:         24
        .size:           4
        .value_kind:     by_value
      - .offset:         28
        .size:           4
        .value_kind:     by_value
      - .actual_access:  read_only
        .address_space:  global
        .offset:         32
        .size:           8
        .value_kind:     global_buffer
      - .actual_access:  read_only
        .address_space:  global
        .offset:         40
        .size:           8
        .value_kind:     global_buffer
      - .actual_access:  read_only
        .address_space:  global
        .offset:         48
        .size:           8
        .value_kind:     global_buffer
      - .offset:         56
        .size:           4
        .value_kind:     by_value
      - .actual_access:  read_only
        .address_space:  global
        .offset:         64
        .size:           8
        .value_kind:     global_buffer
      - .offset:         72
        .size:           4
        .value_kind:     by_value
      - .offset:         76
        .size:           4
        .value_kind:     by_value
      - .offset:         80
        .size:           4
        .value_kind:     by_value
      - .actual_access:  write_only
        .address_space:  global
        .offset:         88
        .size:           8
        .value_kind:     global_buffer
      - .actual_access:  write_only
        .address_space:  global
        .offset:         96
        .size:           8
        .value_kind:     global_buffer
      - .actual_access:  write_only
        .address_space:  global
        .offset:         104
        .size:           8
        .value_kind:     global_buffer
      - .actual_access:  read_only
        .address_space:  global
        .offset:         112
        .size:           8
        .value_kind:     global_buffer
      - .offset:         120
        .size:           4
        .value_kind:     by_value
      - .address_space:  global
        .offset:         128
        .size:           8
        .value_kind:     global_buffer
      - .address_space:  global
        .offset:         136
        .size:           8
        .value_kind:     global_buffer
      - .offset:         144
        .size:           4
        .value_kind:     hidden_block_count_x
      - .offset:         148
        .size:           4
        .value_kind:     hidden_block_count_y
      - .offset:         152
        .size:           4
        .value_kind:     hidden_block_count_z
      - .offset:         156
        .size:           2
        .value_kind:     hidden_group_size_x
      - .offset:         158
        .size:           2
        .value_kind:     hidden_group_size_y
      - .offset:         160
        .size:           2
        .value_kind:     hidden_group_size_z
      - .offset:         162
        .size:           2
        .value_kind:     hidden_remainder_x
      - .offset:         164
        .size:           2
        .value_kind:     hidden_remainder_y
      - .offset:         166
        .size:           2
        .value_kind:     hidden_remainder_z
      - .offset:         184
        .size:           8
        .value_kind:     hidden_global_offset_x
      - .offset:         192
        .size:           8
        .value_kind:     hidden_global_offset_y
      - .offset:         200
        .size:           8
        .value_kind:     hidden_global_offset_z
      - .offset:         208
        .size:           2
        .value_kind:     hidden_grid_dims
    .group_segment_fixed_size: 8192
    .kernarg_segment_align: 8
    .kernarg_segment_size: 400
    .language:       OpenCL C
    .language_version:
      - 2
      - 0
    .max_flat_workgroup_size: 256
    .name:           _Z39paged_attention_ll4mi_QKV_mfma16_kernelIDF16_hLN4vllm18Fp8KVCacheDataTypeE1EhLi16ELi64ELi256ELb0ELi2EEvPKT_PKT0_S7_ifPKiS9_S9_iPKfiiiPfSC_PS2_PT2_iSB_SB_
    .private_segment_fixed_size: 0
    .sgpr_count:     55
    .sgpr_spill_count: 0
    .symbol:         _Z39paged_attention_ll4mi_QKV_mfma16_kernelIDF16_hLN4vllm18Fp8KVCacheDataTypeE1EhLi16ELi64ELi256ELb0ELi2EEvPKT_PKT0_S7_ifPKiS9_S9_iPKfiiiPfSC_PS2_PT2_iSB_SB_.kd
    .uniform_work_group_size: 1
    .uses_dynamic_stack: false
    .vgpr_count:     58
    .vgpr_spill_count: 0
    .wavefront_size: 64
  - .agpr_count:     0
    .args:
      - .actual_access:  read_only
        .address_space:  global
        .offset:         0
        .size:           8
        .value_kind:     global_buffer
      - .actual_access:  read_only
        .address_space:  global
        .offset:         8
        .size:           8
        .value_kind:     global_buffer
      - .actual_access:  read_only
        .address_space:  global
        .offset:         16
        .size:           8
        .value_kind:     global_buffer
      - .offset:         24
        .size:           4
        .value_kind:     by_value
      - .offset:         28
        .size:           4
        .value_kind:     by_value
      - .actual_access:  read_only
        .address_space:  global
        .offset:         32
        .size:           8
        .value_kind:     global_buffer
      - .actual_access:  read_only
        .address_space:  global
        .offset:         40
        .size:           8
        .value_kind:     global_buffer
      - .actual_access:  read_only
        .address_space:  global
        .offset:         48
        .size:           8
        .value_kind:     global_buffer
      - .offset:         56
        .size:           4
        .value_kind:     by_value
      - .actual_access:  read_only
        .address_space:  global
        .offset:         64
        .size:           8
        .value_kind:     global_buffer
      - .offset:         72
        .size:           4
        .value_kind:     by_value
      - .offset:         76
        .size:           4
        .value_kind:     by_value
      - .offset:         80
        .size:           4
        .value_kind:     by_value
      - .actual_access:  write_only
        .address_space:  global
        .offset:         88
        .size:           8
        .value_kind:     global_buffer
      - .actual_access:  write_only
        .address_space:  global
        .offset:         96
        .size:           8
        .value_kind:     global_buffer
      - .actual_access:  write_only
        .address_space:  global
        .offset:         104
        .size:           8
        .value_kind:     global_buffer
      - .actual_access:  read_only
        .address_space:  global
        .offset:         112
        .size:           8
        .value_kind:     global_buffer
      - .offset:         120
        .size:           4
        .value_kind:     by_value
      - .address_space:  global
        .offset:         128
        .size:           8
        .value_kind:     global_buffer
      - .address_space:  global
        .offset:         136
        .size:           8
        .value_kind:     global_buffer
      - .offset:         144
        .size:           4
        .value_kind:     hidden_block_count_x
      - .offset:         148
        .size:           4
        .value_kind:     hidden_block_count_y
      - .offset:         152
        .size:           4
        .value_kind:     hidden_block_count_z
      - .offset:         156
        .size:           2
        .value_kind:     hidden_group_size_x
      - .offset:         158
        .size:           2
        .value_kind:     hidden_group_size_y
      - .offset:         160
        .size:           2
        .value_kind:     hidden_group_size_z
      - .offset:         162
        .size:           2
        .value_kind:     hidden_remainder_x
      - .offset:         164
        .size:           2
        .value_kind:     hidden_remainder_y
      - .offset:         166
        .size:           2
        .value_kind:     hidden_remainder_z
      - .offset:         184
        .size:           8
        .value_kind:     hidden_global_offset_x
      - .offset:         192
        .size:           8
        .value_kind:     hidden_global_offset_y
      - .offset:         200
        .size:           8
        .value_kind:     hidden_global_offset_z
      - .offset:         208
        .size:           2
        .value_kind:     hidden_grid_dims
    .group_segment_fixed_size: 8192
    .kernarg_segment_align: 8
    .kernarg_segment_size: 400
    .language:       OpenCL C
    .language_version:
      - 2
      - 0
    .max_flat_workgroup_size: 256
    .name:           _Z39paged_attention_ll4mi_QKV_mfma16_kernelIDF16_hLN4vllm18Fp8KVCacheDataTypeE1EhLi16ELi64ELi256ELb0ELi3EEvPKT_PKT0_S7_ifPKiS9_S9_iPKfiiiPfSC_PS2_PT2_iSB_SB_
    .private_segment_fixed_size: 0
    .sgpr_count:     56
    .sgpr_spill_count: 0
    .symbol:         _Z39paged_attention_ll4mi_QKV_mfma16_kernelIDF16_hLN4vllm18Fp8KVCacheDataTypeE1EhLi16ELi64ELi256ELb0ELi3EEvPKT_PKT0_S7_ifPKiS9_S9_iPKfiiiPfSC_PS2_PT2_iSB_SB_.kd
    .uniform_work_group_size: 1
    .uses_dynamic_stack: false
    .vgpr_count:     60
    .vgpr_spill_count: 0
    .wavefront_size: 64
  - .agpr_count:     0
    .args:
      - .actual_access:  read_only
        .address_space:  global
        .offset:         0
        .size:           8
        .value_kind:     global_buffer
      - .actual_access:  read_only
        .address_space:  global
        .offset:         8
        .size:           8
        .value_kind:     global_buffer
      - .actual_access:  read_only
        .address_space:  global
        .offset:         16
        .size:           8
        .value_kind:     global_buffer
      - .offset:         24
        .size:           4
        .value_kind:     by_value
      - .offset:         28
        .size:           4
        .value_kind:     by_value
      - .actual_access:  read_only
        .address_space:  global
        .offset:         32
        .size:           8
        .value_kind:     global_buffer
      - .actual_access:  read_only
        .address_space:  global
        .offset:         40
        .size:           8
        .value_kind:     global_buffer
      - .actual_access:  read_only
        .address_space:  global
        .offset:         48
        .size:           8
        .value_kind:     global_buffer
      - .offset:         56
        .size:           4
        .value_kind:     by_value
      - .actual_access:  read_only
        .address_space:  global
        .offset:         64
        .size:           8
        .value_kind:     global_buffer
      - .offset:         72
        .size:           4
        .value_kind:     by_value
      - .offset:         76
        .size:           4
        .value_kind:     by_value
      - .offset:         80
        .size:           4
        .value_kind:     by_value
      - .actual_access:  write_only
        .address_space:  global
        .offset:         88
        .size:           8
        .value_kind:     global_buffer
      - .actual_access:  write_only
        .address_space:  global
        .offset:         96
        .size:           8
        .value_kind:     global_buffer
      - .actual_access:  write_only
        .address_space:  global
        .offset:         104
        .size:           8
        .value_kind:     global_buffer
      - .actual_access:  read_only
        .address_space:  global
        .offset:         112
        .size:           8
        .value_kind:     global_buffer
      - .offset:         120
        .size:           4
        .value_kind:     by_value
      - .address_space:  global
        .offset:         128
        .size:           8
        .value_kind:     global_buffer
      - .address_space:  global
        .offset:         136
        .size:           8
        .value_kind:     global_buffer
      - .offset:         144
        .size:           4
        .value_kind:     hidden_block_count_x
      - .offset:         148
        .size:           4
        .value_kind:     hidden_block_count_y
      - .offset:         152
        .size:           4
        .value_kind:     hidden_block_count_z
      - .offset:         156
        .size:           2
        .value_kind:     hidden_group_size_x
      - .offset:         158
        .size:           2
        .value_kind:     hidden_group_size_y
      - .offset:         160
        .size:           2
        .value_kind:     hidden_group_size_z
      - .offset:         162
        .size:           2
        .value_kind:     hidden_remainder_x
      - .offset:         164
        .size:           2
        .value_kind:     hidden_remainder_y
      - .offset:         166
        .size:           2
        .value_kind:     hidden_remainder_z
      - .offset:         184
        .size:           8
        .value_kind:     hidden_global_offset_x
      - .offset:         192
        .size:           8
        .value_kind:     hidden_global_offset_y
      - .offset:         200
        .size:           8
        .value_kind:     hidden_global_offset_z
      - .offset:         208
        .size:           2
        .value_kind:     hidden_grid_dims
    .group_segment_fixed_size: 8192
    .kernarg_segment_align: 8
    .kernarg_segment_size: 400
    .language:       OpenCL C
    .language_version:
      - 2
      - 0
    .max_flat_workgroup_size: 256
    .name:           _Z39paged_attention_ll4mi_QKV_mfma16_kernelIDF16_hLN4vllm18Fp8KVCacheDataTypeE1EhLi16ELi64ELi256ELb0ELi4EEvPKT_PKT0_S7_ifPKiS9_S9_iPKfiiiPfSC_PS2_PT2_iSB_SB_
    .private_segment_fixed_size: 0
    .sgpr_count:     56
    .sgpr_spill_count: 0
    .symbol:         _Z39paged_attention_ll4mi_QKV_mfma16_kernelIDF16_hLN4vllm18Fp8KVCacheDataTypeE1EhLi16ELi64ELi256ELb0ELi4EEvPKT_PKT0_S7_ifPKiS9_S9_iPKfiiiPfSC_PS2_PT2_iSB_SB_.kd
    .uniform_work_group_size: 1
    .uses_dynamic_stack: false
    .vgpr_count:     60
    .vgpr_spill_count: 0
    .wavefront_size: 64
  - .agpr_count:     4
    .args:
      - .actual_access:  read_only
        .address_space:  global
        .offset:         0
        .size:           8
        .value_kind:     global_buffer
      - .actual_access:  read_only
        .address_space:  global
        .offset:         8
        .size:           8
        .value_kind:     global_buffer
      - .actual_access:  read_only
        .address_space:  global
        .offset:         16
        .size:           8
        .value_kind:     global_buffer
      - .offset:         24
        .size:           4
        .value_kind:     by_value
      - .offset:         28
        .size:           4
        .value_kind:     by_value
      - .actual_access:  read_only
        .address_space:  global
        .offset:         32
        .size:           8
        .value_kind:     global_buffer
      - .actual_access:  read_only
        .address_space:  global
        .offset:         40
        .size:           8
        .value_kind:     global_buffer
      - .actual_access:  read_only
        .address_space:  global
        .offset:         48
        .size:           8
        .value_kind:     global_buffer
      - .offset:         56
        .size:           4
        .value_kind:     by_value
      - .actual_access:  read_only
        .address_space:  global
        .offset:         64
        .size:           8
        .value_kind:     global_buffer
      - .offset:         72
        .size:           4
        .value_kind:     by_value
      - .offset:         76
        .size:           4
        .value_kind:     by_value
      - .offset:         80
        .size:           4
        .value_kind:     by_value
      - .actual_access:  write_only
        .address_space:  global
        .offset:         88
        .size:           8
        .value_kind:     global_buffer
      - .actual_access:  write_only
        .address_space:  global
        .offset:         96
        .size:           8
        .value_kind:     global_buffer
      - .actual_access:  write_only
        .address_space:  global
        .offset:         104
        .size:           8
        .value_kind:     global_buffer
      - .actual_access:  read_only
        .address_space:  global
        .offset:         112
        .size:           8
        .value_kind:     global_buffer
      - .offset:         120
        .size:           4
        .value_kind:     by_value
      - .address_space:  global
        .offset:         128
        .size:           8
        .value_kind:     global_buffer
      - .address_space:  global
        .offset:         136
        .size:           8
        .value_kind:     global_buffer
      - .offset:         144
        .size:           4
        .value_kind:     hidden_block_count_x
      - .offset:         148
        .size:           4
        .value_kind:     hidden_block_count_y
      - .offset:         152
        .size:           4
        .value_kind:     hidden_block_count_z
      - .offset:         156
        .size:           2
        .value_kind:     hidden_group_size_x
      - .offset:         158
        .size:           2
        .value_kind:     hidden_group_size_y
      - .offset:         160
        .size:           2
        .value_kind:     hidden_group_size_z
      - .offset:         162
        .size:           2
        .value_kind:     hidden_remainder_x
      - .offset:         164
        .size:           2
        .value_kind:     hidden_remainder_y
      - .offset:         166
        .size:           2
        .value_kind:     hidden_remainder_z
      - .offset:         184
        .size:           8
        .value_kind:     hidden_global_offset_x
      - .offset:         192
        .size:           8
        .value_kind:     hidden_global_offset_y
      - .offset:         200
        .size:           8
        .value_kind:     hidden_global_offset_z
      - .offset:         208
        .size:           2
        .value_kind:     hidden_grid_dims
    .group_segment_fixed_size: 2720
    .kernarg_segment_align: 8
    .kernarg_segment_size: 400
    .language:       OpenCL C
    .language_version:
      - 2
      - 0
    .max_flat_workgroup_size: 256
    .name:           _Z38paged_attention_ll4mi_QKV_mfma4_kernelIDF16_hLN4vllm18Fp8KVCacheDataTypeE1EDF16_Li16ELi64ELi256ELb1ELi1EEvPKT_PKT0_S7_ifPKiS9_S9_iPKfiiiPfSC_PS2_PT2_iSB_SB_
    .private_segment_fixed_size: 0
    .sgpr_count:     48
    .sgpr_spill_count: 0
    .symbol:         _Z38paged_attention_ll4mi_QKV_mfma4_kernelIDF16_hLN4vllm18Fp8KVCacheDataTypeE1EDF16_Li16ELi64ELi256ELb1ELi1EEvPKT_PKT0_S7_ifPKiS9_S9_iPKfiiiPfSC_PS2_PT2_iSB_SB_.kd
    .uniform_work_group_size: 1
    .uses_dynamic_stack: false
    .vgpr_count:     52
    .vgpr_spill_count: 0
    .wavefront_size: 64
  - .agpr_count:     4
    .args:
      - .actual_access:  read_only
        .address_space:  global
        .offset:         0
        .size:           8
        .value_kind:     global_buffer
      - .actual_access:  read_only
        .address_space:  global
        .offset:         8
        .size:           8
        .value_kind:     global_buffer
      - .actual_access:  read_only
        .address_space:  global
        .offset:         16
        .size:           8
        .value_kind:     global_buffer
      - .offset:         24
        .size:           4
        .value_kind:     by_value
      - .offset:         28
        .size:           4
        .value_kind:     by_value
      - .actual_access:  read_only
        .address_space:  global
        .offset:         32
        .size:           8
        .value_kind:     global_buffer
      - .actual_access:  read_only
        .address_space:  global
        .offset:         40
        .size:           8
        .value_kind:     global_buffer
      - .actual_access:  read_only
        .address_space:  global
        .offset:         48
        .size:           8
        .value_kind:     global_buffer
      - .offset:         56
        .size:           4
        .value_kind:     by_value
      - .actual_access:  read_only
        .address_space:  global
        .offset:         64
        .size:           8
        .value_kind:     global_buffer
      - .offset:         72
        .size:           4
        .value_kind:     by_value
      - .offset:         76
        .size:           4
        .value_kind:     by_value
      - .offset:         80
        .size:           4
        .value_kind:     by_value
      - .actual_access:  write_only
        .address_space:  global
        .offset:         88
        .size:           8
        .value_kind:     global_buffer
      - .actual_access:  write_only
        .address_space:  global
        .offset:         96
        .size:           8
        .value_kind:     global_buffer
      - .actual_access:  write_only
        .address_space:  global
        .offset:         104
        .size:           8
        .value_kind:     global_buffer
      - .actual_access:  read_only
        .address_space:  global
        .offset:         112
        .size:           8
        .value_kind:     global_buffer
      - .offset:         120
        .size:           4
        .value_kind:     by_value
      - .address_space:  global
        .offset:         128
        .size:           8
        .value_kind:     global_buffer
      - .address_space:  global
        .offset:         136
        .size:           8
        .value_kind:     global_buffer
      - .offset:         144
        .size:           4
        .value_kind:     hidden_block_count_x
      - .offset:         148
        .size:           4
        .value_kind:     hidden_block_count_y
      - .offset:         152
        .size:           4
        .value_kind:     hidden_block_count_z
      - .offset:         156
        .size:           2
        .value_kind:     hidden_group_size_x
      - .offset:         158
        .size:           2
        .value_kind:     hidden_group_size_y
      - .offset:         160
        .size:           2
        .value_kind:     hidden_group_size_z
      - .offset:         162
        .size:           2
        .value_kind:     hidden_remainder_x
      - .offset:         164
        .size:           2
        .value_kind:     hidden_remainder_y
      - .offset:         166
        .size:           2
        .value_kind:     hidden_remainder_z
      - .offset:         184
        .size:           8
        .value_kind:     hidden_global_offset_x
      - .offset:         192
        .size:           8
        .value_kind:     hidden_global_offset_y
      - .offset:         200
        .size:           8
        .value_kind:     hidden_global_offset_z
      - .offset:         208
        .size:           2
        .value_kind:     hidden_grid_dims
    .group_segment_fixed_size: 2720
    .kernarg_segment_align: 8
    .kernarg_segment_size: 400
    .language:       OpenCL C
    .language_version:
      - 2
      - 0
    .max_flat_workgroup_size: 256
    .name:           _Z38paged_attention_ll4mi_QKV_mfma4_kernelIDF16_hLN4vllm18Fp8KVCacheDataTypeE1EDF16_Li16ELi64ELi256ELb1ELi2EEvPKT_PKT0_S7_ifPKiS9_S9_iPKfiiiPfSC_PS2_PT2_iSB_SB_
    .private_segment_fixed_size: 0
    .sgpr_count:     50
    .sgpr_spill_count: 0
    .symbol:         _Z38paged_attention_ll4mi_QKV_mfma4_kernelIDF16_hLN4vllm18Fp8KVCacheDataTypeE1EDF16_Li16ELi64ELi256ELb1ELi2EEvPKT_PKT0_S7_ifPKiS9_S9_iPKfiiiPfSC_PS2_PT2_iSB_SB_.kd
    .uniform_work_group_size: 1
    .uses_dynamic_stack: false
    .vgpr_count:     52
    .vgpr_spill_count: 0
    .wavefront_size: 64
  - .agpr_count:     4
    .args:
      - .actual_access:  read_only
        .address_space:  global
        .offset:         0
        .size:           8
        .value_kind:     global_buffer
      - .actual_access:  read_only
        .address_space:  global
        .offset:         8
        .size:           8
        .value_kind:     global_buffer
      - .actual_access:  read_only
        .address_space:  global
        .offset:         16
        .size:           8
        .value_kind:     global_buffer
      - .offset:         24
        .size:           4
        .value_kind:     by_value
      - .offset:         28
        .size:           4
        .value_kind:     by_value
      - .actual_access:  read_only
        .address_space:  global
        .offset:         32
        .size:           8
        .value_kind:     global_buffer
      - .actual_access:  read_only
        .address_space:  global
        .offset:         40
        .size:           8
        .value_kind:     global_buffer
      - .actual_access:  read_only
        .address_space:  global
        .offset:         48
        .size:           8
        .value_kind:     global_buffer
      - .offset:         56
        .size:           4
        .value_kind:     by_value
      - .actual_access:  read_only
        .address_space:  global
        .offset:         64
        .size:           8
        .value_kind:     global_buffer
      - .offset:         72
        .size:           4
        .value_kind:     by_value
      - .offset:         76
        .size:           4
        .value_kind:     by_value
      - .offset:         80
        .size:           4
        .value_kind:     by_value
      - .actual_access:  write_only
        .address_space:  global
        .offset:         88
        .size:           8
        .value_kind:     global_buffer
      - .actual_access:  write_only
        .address_space:  global
        .offset:         96
        .size:           8
        .value_kind:     global_buffer
      - .actual_access:  write_only
        .address_space:  global
        .offset:         104
        .size:           8
        .value_kind:     global_buffer
      - .actual_access:  read_only
        .address_space:  global
        .offset:         112
        .size:           8
        .value_kind:     global_buffer
      - .offset:         120
        .size:           4
        .value_kind:     by_value
      - .address_space:  global
        .offset:         128
        .size:           8
        .value_kind:     global_buffer
      - .address_space:  global
        .offset:         136
        .size:           8
        .value_kind:     global_buffer
      - .offset:         144
        .size:           4
        .value_kind:     hidden_block_count_x
      - .offset:         148
        .size:           4
        .value_kind:     hidden_block_count_y
      - .offset:         152
        .size:           4
        .value_kind:     hidden_block_count_z
      - .offset:         156
        .size:           2
        .value_kind:     hidden_group_size_x
      - .offset:         158
        .size:           2
        .value_kind:     hidden_group_size_y
      - .offset:         160
        .size:           2
        .value_kind:     hidden_group_size_z
      - .offset:         162
        .size:           2
        .value_kind:     hidden_remainder_x
      - .offset:         164
        .size:           2
        .value_kind:     hidden_remainder_y
      - .offset:         166
        .size:           2
        .value_kind:     hidden_remainder_z
      - .offset:         184
        .size:           8
        .value_kind:     hidden_global_offset_x
      - .offset:         192
        .size:           8
        .value_kind:     hidden_global_offset_y
      - .offset:         200
        .size:           8
        .value_kind:     hidden_global_offset_z
      - .offset:         208
        .size:           2
        .value_kind:     hidden_grid_dims
    .group_segment_fixed_size: 2720
    .kernarg_segment_align: 8
    .kernarg_segment_size: 400
    .language:       OpenCL C
    .language_version:
      - 2
      - 0
    .max_flat_workgroup_size: 256
    .name:           _Z38paged_attention_ll4mi_QKV_mfma4_kernelIDF16_hLN4vllm18Fp8KVCacheDataTypeE1EDF16_Li16ELi64ELi256ELb1ELi3EEvPKT_PKT0_S7_ifPKiS9_S9_iPKfiiiPfSC_PS2_PT2_iSB_SB_
    .private_segment_fixed_size: 0
    .sgpr_count:     50
    .sgpr_spill_count: 0
    .symbol:         _Z38paged_attention_ll4mi_QKV_mfma4_kernelIDF16_hLN4vllm18Fp8KVCacheDataTypeE1EDF16_Li16ELi64ELi256ELb1ELi3EEvPKT_PKT0_S7_ifPKiS9_S9_iPKfiiiPfSC_PS2_PT2_iSB_SB_.kd
    .uniform_work_group_size: 1
    .uses_dynamic_stack: false
    .vgpr_count:     52
    .vgpr_spill_count: 0
    .wavefront_size: 64
  - .agpr_count:     4
    .args:
      - .actual_access:  read_only
        .address_space:  global
        .offset:         0
        .size:           8
        .value_kind:     global_buffer
      - .actual_access:  read_only
        .address_space:  global
        .offset:         8
        .size:           8
        .value_kind:     global_buffer
      - .actual_access:  read_only
        .address_space:  global
        .offset:         16
        .size:           8
        .value_kind:     global_buffer
      - .offset:         24
        .size:           4
        .value_kind:     by_value
      - .offset:         28
        .size:           4
        .value_kind:     by_value
      - .actual_access:  read_only
        .address_space:  global
        .offset:         32
        .size:           8
        .value_kind:     global_buffer
      - .actual_access:  read_only
        .address_space:  global
        .offset:         40
        .size:           8
        .value_kind:     global_buffer
      - .actual_access:  read_only
        .address_space:  global
        .offset:         48
        .size:           8
        .value_kind:     global_buffer
      - .offset:         56
        .size:           4
        .value_kind:     by_value
      - .actual_access:  read_only
        .address_space:  global
        .offset:         64
        .size:           8
        .value_kind:     global_buffer
      - .offset:         72
        .size:           4
        .value_kind:     by_value
      - .offset:         76
        .size:           4
        .value_kind:     by_value
      - .offset:         80
        .size:           4
        .value_kind:     by_value
      - .actual_access:  write_only
        .address_space:  global
        .offset:         88
        .size:           8
        .value_kind:     global_buffer
      - .actual_access:  write_only
        .address_space:  global
        .offset:         96
        .size:           8
        .value_kind:     global_buffer
      - .actual_access:  write_only
        .address_space:  global
        .offset:         104
        .size:           8
        .value_kind:     global_buffer
      - .actual_access:  read_only
        .address_space:  global
        .offset:         112
        .size:           8
        .value_kind:     global_buffer
      - .offset:         120
        .size:           4
        .value_kind:     by_value
      - .address_space:  global
        .offset:         128
        .size:           8
        .value_kind:     global_buffer
      - .address_space:  global
        .offset:         136
        .size:           8
        .value_kind:     global_buffer
      - .offset:         144
        .size:           4
        .value_kind:     hidden_block_count_x
      - .offset:         148
        .size:           4
        .value_kind:     hidden_block_count_y
      - .offset:         152
        .size:           4
        .value_kind:     hidden_block_count_z
      - .offset:         156
        .size:           2
        .value_kind:     hidden_group_size_x
      - .offset:         158
        .size:           2
        .value_kind:     hidden_group_size_y
      - .offset:         160
        .size:           2
        .value_kind:     hidden_group_size_z
      - .offset:         162
        .size:           2
        .value_kind:     hidden_remainder_x
      - .offset:         164
        .size:           2
        .value_kind:     hidden_remainder_y
      - .offset:         166
        .size:           2
        .value_kind:     hidden_remainder_z
      - .offset:         184
        .size:           8
        .value_kind:     hidden_global_offset_x
      - .offset:         192
        .size:           8
        .value_kind:     hidden_global_offset_y
      - .offset:         200
        .size:           8
        .value_kind:     hidden_global_offset_z
      - .offset:         208
        .size:           2
        .value_kind:     hidden_grid_dims
    .group_segment_fixed_size: 2720
    .kernarg_segment_align: 8
    .kernarg_segment_size: 400
    .language:       OpenCL C
    .language_version:
      - 2
      - 0
    .max_flat_workgroup_size: 256
    .name:           _Z38paged_attention_ll4mi_QKV_mfma4_kernelIDF16_hLN4vllm18Fp8KVCacheDataTypeE1EDF16_Li16ELi64ELi256ELb1ELi4EEvPKT_PKT0_S7_ifPKiS9_S9_iPKfiiiPfSC_PS2_PT2_iSB_SB_
    .private_segment_fixed_size: 0
    .sgpr_count:     51
    .sgpr_spill_count: 0
    .symbol:         _Z38paged_attention_ll4mi_QKV_mfma4_kernelIDF16_hLN4vllm18Fp8KVCacheDataTypeE1EDF16_Li16ELi64ELi256ELb1ELi4EEvPKT_PKT0_S7_ifPKiS9_S9_iPKfiiiPfSC_PS2_PT2_iSB_SB_.kd
    .uniform_work_group_size: 1
    .uses_dynamic_stack: false
    .vgpr_count:     80
    .vgpr_spill_count: 0
    .wavefront_size: 64
  - .agpr_count:     0
    .args:
      - .actual_access:  read_only
        .address_space:  global
        .offset:         0
        .size:           8
        .value_kind:     global_buffer
      - .actual_access:  read_only
        .address_space:  global
        .offset:         8
        .size:           8
        .value_kind:     global_buffer
      - .actual_access:  read_only
        .address_space:  global
        .offset:         16
        .size:           8
        .value_kind:     global_buffer
      - .offset:         24
        .size:           4
        .value_kind:     by_value
      - .offset:         28
        .size:           4
        .value_kind:     by_value
      - .actual_access:  read_only
        .address_space:  global
        .offset:         32
        .size:           8
        .value_kind:     global_buffer
      - .actual_access:  read_only
        .address_space:  global
        .offset:         40
        .size:           8
        .value_kind:     global_buffer
      - .actual_access:  read_only
        .address_space:  global
        .offset:         48
        .size:           8
        .value_kind:     global_buffer
      - .offset:         56
        .size:           4
        .value_kind:     by_value
      - .actual_access:  read_only
        .address_space:  global
        .offset:         64
        .size:           8
        .value_kind:     global_buffer
      - .offset:         72
        .size:           4
        .value_kind:     by_value
      - .offset:         76
        .size:           4
        .value_kind:     by_value
      - .offset:         80
        .size:           4
        .value_kind:     by_value
      - .actual_access:  write_only
        .address_space:  global
        .offset:         88
        .size:           8
        .value_kind:     global_buffer
      - .actual_access:  write_only
        .address_space:  global
        .offset:         96
        .size:           8
        .value_kind:     global_buffer
      - .actual_access:  write_only
        .address_space:  global
        .offset:         104
        .size:           8
        .value_kind:     global_buffer
      - .actual_access:  read_only
        .address_space:  global
        .offset:         112
        .size:           8
        .value_kind:     global_buffer
      - .offset:         120
        .size:           4
        .value_kind:     by_value
      - .address_space:  global
        .offset:         128
        .size:           8
        .value_kind:     global_buffer
      - .address_space:  global
        .offset:         136
        .size:           8
        .value_kind:     global_buffer
      - .offset:         144
        .size:           4
        .value_kind:     hidden_block_count_x
      - .offset:         148
        .size:           4
        .value_kind:     hidden_block_count_y
      - .offset:         152
        .size:           4
        .value_kind:     hidden_block_count_z
      - .offset:         156
        .size:           2
        .value_kind:     hidden_group_size_x
      - .offset:         158
        .size:           2
        .value_kind:     hidden_group_size_y
      - .offset:         160
        .size:           2
        .value_kind:     hidden_group_size_z
      - .offset:         162
        .size:           2
        .value_kind:     hidden_remainder_x
      - .offset:         164
        .size:           2
        .value_kind:     hidden_remainder_y
      - .offset:         166
        .size:           2
        .value_kind:     hidden_remainder_z
      - .offset:         184
        .size:           8
        .value_kind:     hidden_global_offset_x
      - .offset:         192
        .size:           8
        .value_kind:     hidden_global_offset_y
      - .offset:         200
        .size:           8
        .value_kind:     hidden_global_offset_z
      - .offset:         208
        .size:           2
        .value_kind:     hidden_grid_dims
    .group_segment_fixed_size: 8192
    .kernarg_segment_align: 8
    .kernarg_segment_size: 400
    .language:       OpenCL C
    .language_version:
      - 2
      - 0
    .max_flat_workgroup_size: 256
    .name:           _Z39paged_attention_ll4mi_QKV_mfma16_kernelIDF16_hLN4vllm18Fp8KVCacheDataTypeE1EDF16_Li16ELi64ELi256ELb1ELi5EEvPKT_PKT0_S7_ifPKiS9_S9_iPKfiiiPfSC_PS2_PT2_iSB_SB_
    .private_segment_fixed_size: 0
    .sgpr_count:     56
    .sgpr_spill_count: 0
    .symbol:         _Z39paged_attention_ll4mi_QKV_mfma16_kernelIDF16_hLN4vllm18Fp8KVCacheDataTypeE1EDF16_Li16ELi64ELi256ELb1ELi5EEvPKT_PKT0_S7_ifPKiS9_S9_iPKfiiiPfSC_PS2_PT2_iSB_SB_.kd
    .uniform_work_group_size: 1
    .uses_dynamic_stack: false
    .vgpr_count:     67
    .vgpr_spill_count: 0
    .wavefront_size: 64
  - .agpr_count:     0
    .args:
      - .actual_access:  read_only
        .address_space:  global
        .offset:         0
        .size:           8
        .value_kind:     global_buffer
      - .actual_access:  read_only
        .address_space:  global
        .offset:         8
        .size:           8
        .value_kind:     global_buffer
      - .actual_access:  read_only
        .address_space:  global
        .offset:         16
        .size:           8
        .value_kind:     global_buffer
      - .offset:         24
        .size:           4
        .value_kind:     by_value
      - .offset:         28
        .size:           4
        .value_kind:     by_value
      - .actual_access:  read_only
        .address_space:  global
        .offset:         32
        .size:           8
        .value_kind:     global_buffer
      - .actual_access:  read_only
        .address_space:  global
        .offset:         40
        .size:           8
        .value_kind:     global_buffer
      - .actual_access:  read_only
        .address_space:  global
        .offset:         48
        .size:           8
        .value_kind:     global_buffer
      - .offset:         56
        .size:           4
        .value_kind:     by_value
      - .actual_access:  read_only
        .address_space:  global
        .offset:         64
        .size:           8
        .value_kind:     global_buffer
      - .offset:         72
        .size:           4
        .value_kind:     by_value
      - .offset:         76
        .size:           4
        .value_kind:     by_value
      - .offset:         80
        .size:           4
        .value_kind:     by_value
      - .actual_access:  write_only
        .address_space:  global
        .offset:         88
        .size:           8
        .value_kind:     global_buffer
      - .actual_access:  write_only
        .address_space:  global
        .offset:         96
        .size:           8
        .value_kind:     global_buffer
      - .actual_access:  write_only
        .address_space:  global
        .offset:         104
        .size:           8
        .value_kind:     global_buffer
      - .actual_access:  read_only
        .address_space:  global
        .offset:         112
        .size:           8
        .value_kind:     global_buffer
      - .offset:         120
        .size:           4
        .value_kind:     by_value
      - .address_space:  global
        .offset:         128
        .size:           8
        .value_kind:     global_buffer
      - .address_space:  global
        .offset:         136
        .size:           8
        .value_kind:     global_buffer
      - .offset:         144
        .size:           4
        .value_kind:     hidden_block_count_x
      - .offset:         148
        .size:           4
        .value_kind:     hidden_block_count_y
      - .offset:         152
        .size:           4
        .value_kind:     hidden_block_count_z
      - .offset:         156
        .size:           2
        .value_kind:     hidden_group_size_x
      - .offset:         158
        .size:           2
        .value_kind:     hidden_group_size_y
      - .offset:         160
        .size:           2
        .value_kind:     hidden_group_size_z
      - .offset:         162
        .size:           2
        .value_kind:     hidden_remainder_x
      - .offset:         164
        .size:           2
        .value_kind:     hidden_remainder_y
      - .offset:         166
        .size:           2
        .value_kind:     hidden_remainder_z
      - .offset:         184
        .size:           8
        .value_kind:     hidden_global_offset_x
      - .offset:         192
        .size:           8
        .value_kind:     hidden_global_offset_y
      - .offset:         200
        .size:           8
        .value_kind:     hidden_global_offset_z
      - .offset:         208
        .size:           2
        .value_kind:     hidden_grid_dims
    .group_segment_fixed_size: 8192
    .kernarg_segment_align: 8
    .kernarg_segment_size: 400
    .language:       OpenCL C
    .language_version:
      - 2
      - 0
    .max_flat_workgroup_size: 256
    .name:           _Z39paged_attention_ll4mi_QKV_mfma16_kernelIDF16_hLN4vllm18Fp8KVCacheDataTypeE1EDF16_Li16ELi64ELi256ELb1ELi6EEvPKT_PKT0_S7_ifPKiS9_S9_iPKfiiiPfSC_PS2_PT2_iSB_SB_
    .private_segment_fixed_size: 0
    .sgpr_count:     56
    .sgpr_spill_count: 0
    .symbol:         _Z39paged_attention_ll4mi_QKV_mfma16_kernelIDF16_hLN4vllm18Fp8KVCacheDataTypeE1EDF16_Li16ELi64ELi256ELb1ELi6EEvPKT_PKT0_S7_ifPKiS9_S9_iPKfiiiPfSC_PS2_PT2_iSB_SB_.kd
    .uniform_work_group_size: 1
    .uses_dynamic_stack: false
    .vgpr_count:     67
    .vgpr_spill_count: 0
    .wavefront_size: 64
  - .agpr_count:     0
    .args:
      - .actual_access:  read_only
        .address_space:  global
        .offset:         0
        .size:           8
        .value_kind:     global_buffer
      - .actual_access:  read_only
        .address_space:  global
        .offset:         8
        .size:           8
        .value_kind:     global_buffer
      - .actual_access:  read_only
        .address_space:  global
        .offset:         16
        .size:           8
        .value_kind:     global_buffer
      - .offset:         24
        .size:           4
        .value_kind:     by_value
      - .offset:         28
        .size:           4
        .value_kind:     by_value
      - .actual_access:  read_only
        .address_space:  global
        .offset:         32
        .size:           8
        .value_kind:     global_buffer
      - .actual_access:  read_only
        .address_space:  global
        .offset:         40
        .size:           8
        .value_kind:     global_buffer
      - .actual_access:  read_only
        .address_space:  global
        .offset:         48
        .size:           8
        .value_kind:     global_buffer
      - .offset:         56
        .size:           4
        .value_kind:     by_value
      - .actual_access:  read_only
        .address_space:  global
        .offset:         64
        .size:           8
        .value_kind:     global_buffer
      - .offset:         72
        .size:           4
        .value_kind:     by_value
      - .offset:         76
        .size:           4
        .value_kind:     by_value
      - .offset:         80
        .size:           4
        .value_kind:     by_value
      - .actual_access:  write_only
        .address_space:  global
        .offset:         88
        .size:           8
        .value_kind:     global_buffer
      - .actual_access:  write_only
        .address_space:  global
        .offset:         96
        .size:           8
        .value_kind:     global_buffer
      - .actual_access:  write_only
        .address_space:  global
        .offset:         104
        .size:           8
        .value_kind:     global_buffer
      - .actual_access:  read_only
        .address_space:  global
        .offset:         112
        .size:           8
        .value_kind:     global_buffer
      - .offset:         120
        .size:           4
        .value_kind:     by_value
      - .address_space:  global
        .offset:         128
        .size:           8
        .value_kind:     global_buffer
      - .address_space:  global
        .offset:         136
        .size:           8
        .value_kind:     global_buffer
      - .offset:         144
        .size:           4
        .value_kind:     hidden_block_count_x
      - .offset:         148
        .size:           4
        .value_kind:     hidden_block_count_y
      - .offset:         152
        .size:           4
        .value_kind:     hidden_block_count_z
      - .offset:         156
        .size:           2
        .value_kind:     hidden_group_size_x
      - .offset:         158
        .size:           2
        .value_kind:     hidden_group_size_y
      - .offset:         160
        .size:           2
        .value_kind:     hidden_group_size_z
      - .offset:         162
        .size:           2
        .value_kind:     hidden_remainder_x
      - .offset:         164
        .size:           2
        .value_kind:     hidden_remainder_y
      - .offset:         166
        .size:           2
        .value_kind:     hidden_remainder_z
      - .offset:         184
        .size:           8
        .value_kind:     hidden_global_offset_x
      - .offset:         192
        .size:           8
        .value_kind:     hidden_global_offset_y
      - .offset:         200
        .size:           8
        .value_kind:     hidden_global_offset_z
      - .offset:         208
        .size:           2
        .value_kind:     hidden_grid_dims
    .group_segment_fixed_size: 8192
    .kernarg_segment_align: 8
    .kernarg_segment_size: 400
    .language:       OpenCL C
    .language_version:
      - 2
      - 0
    .max_flat_workgroup_size: 256
    .name:           _Z39paged_attention_ll4mi_QKV_mfma16_kernelIDF16_hLN4vllm18Fp8KVCacheDataTypeE1EDF16_Li16ELi64ELi256ELb1ELi7EEvPKT_PKT0_S7_ifPKiS9_S9_iPKfiiiPfSC_PS2_PT2_iSB_SB_
    .private_segment_fixed_size: 0
    .sgpr_count:     56
    .sgpr_spill_count: 0
    .symbol:         _Z39paged_attention_ll4mi_QKV_mfma16_kernelIDF16_hLN4vllm18Fp8KVCacheDataTypeE1EDF16_Li16ELi64ELi256ELb1ELi7EEvPKT_PKT0_S7_ifPKiS9_S9_iPKfiiiPfSC_PS2_PT2_iSB_SB_.kd
    .uniform_work_group_size: 1
    .uses_dynamic_stack: false
    .vgpr_count:     67
    .vgpr_spill_count: 0
    .wavefront_size: 64
  - .agpr_count:     0
    .args:
      - .actual_access:  read_only
        .address_space:  global
        .offset:         0
        .size:           8
        .value_kind:     global_buffer
      - .actual_access:  read_only
        .address_space:  global
        .offset:         8
        .size:           8
        .value_kind:     global_buffer
      - .actual_access:  read_only
        .address_space:  global
        .offset:         16
        .size:           8
        .value_kind:     global_buffer
      - .offset:         24
        .size:           4
        .value_kind:     by_value
      - .offset:         28
        .size:           4
        .value_kind:     by_value
      - .actual_access:  read_only
        .address_space:  global
        .offset:         32
        .size:           8
        .value_kind:     global_buffer
      - .actual_access:  read_only
        .address_space:  global
        .offset:         40
        .size:           8
        .value_kind:     global_buffer
      - .actual_access:  read_only
        .address_space:  global
        .offset:         48
        .size:           8
        .value_kind:     global_buffer
      - .offset:         56
        .size:           4
        .value_kind:     by_value
      - .actual_access:  read_only
        .address_space:  global
        .offset:         64
        .size:           8
        .value_kind:     global_buffer
      - .offset:         72
        .size:           4
        .value_kind:     by_value
      - .offset:         76
        .size:           4
        .value_kind:     by_value
      - .offset:         80
        .size:           4
        .value_kind:     by_value
      - .actual_access:  write_only
        .address_space:  global
        .offset:         88
        .size:           8
        .value_kind:     global_buffer
      - .actual_access:  write_only
        .address_space:  global
        .offset:         96
        .size:           8
        .value_kind:     global_buffer
      - .actual_access:  write_only
        .address_space:  global
        .offset:         104
        .size:           8
        .value_kind:     global_buffer
      - .actual_access:  read_only
        .address_space:  global
        .offset:         112
        .size:           8
        .value_kind:     global_buffer
      - .offset:         120
        .size:           4
        .value_kind:     by_value
      - .address_space:  global
        .offset:         128
        .size:           8
        .value_kind:     global_buffer
      - .address_space:  global
        .offset:         136
        .size:           8
        .value_kind:     global_buffer
      - .offset:         144
        .size:           4
        .value_kind:     hidden_block_count_x
      - .offset:         148
        .size:           4
        .value_kind:     hidden_block_count_y
      - .offset:         152
        .size:           4
        .value_kind:     hidden_block_count_z
      - .offset:         156
        .size:           2
        .value_kind:     hidden_group_size_x
      - .offset:         158
        .size:           2
        .value_kind:     hidden_group_size_y
      - .offset:         160
        .size:           2
        .value_kind:     hidden_group_size_z
      - .offset:         162
        .size:           2
        .value_kind:     hidden_remainder_x
      - .offset:         164
        .size:           2
        .value_kind:     hidden_remainder_y
      - .offset:         166
        .size:           2
        .value_kind:     hidden_remainder_z
      - .offset:         184
        .size:           8
        .value_kind:     hidden_global_offset_x
      - .offset:         192
        .size:           8
        .value_kind:     hidden_global_offset_y
      - .offset:         200
        .size:           8
        .value_kind:     hidden_global_offset_z
      - .offset:         208
        .size:           2
        .value_kind:     hidden_grid_dims
    .group_segment_fixed_size: 8192
    .kernarg_segment_align: 8
    .kernarg_segment_size: 400
    .language:       OpenCL C
    .language_version:
      - 2
      - 0
    .max_flat_workgroup_size: 256
    .name:           _Z39paged_attention_ll4mi_QKV_mfma16_kernelIDF16_hLN4vllm18Fp8KVCacheDataTypeE1EDF16_Li16ELi64ELi256ELb1ELi8EEvPKT_PKT0_S7_ifPKiS9_S9_iPKfiiiPfSC_PS2_PT2_iSB_SB_
    .private_segment_fixed_size: 0
    .sgpr_count:     54
    .sgpr_spill_count: 0
    .symbol:         _Z39paged_attention_ll4mi_QKV_mfma16_kernelIDF16_hLN4vllm18Fp8KVCacheDataTypeE1EDF16_Li16ELi64ELi256ELb1ELi8EEvPKT_PKT0_S7_ifPKiS9_S9_iPKfiiiPfSC_PS2_PT2_iSB_SB_.kd
    .uniform_work_group_size: 1
    .uses_dynamic_stack: false
    .vgpr_count:     68
    .vgpr_spill_count: 0
    .wavefront_size: 64
  - .agpr_count:     0
    .args:
      - .actual_access:  read_only
        .address_space:  global
        .offset:         0
        .size:           8
        .value_kind:     global_buffer
      - .actual_access:  read_only
        .address_space:  global
        .offset:         8
        .size:           8
        .value_kind:     global_buffer
      - .actual_access:  read_only
        .address_space:  global
        .offset:         16
        .size:           8
        .value_kind:     global_buffer
      - .offset:         24
        .size:           4
        .value_kind:     by_value
      - .offset:         28
        .size:           4
        .value_kind:     by_value
      - .actual_access:  read_only
        .address_space:  global
        .offset:         32
        .size:           8
        .value_kind:     global_buffer
      - .actual_access:  read_only
        .address_space:  global
        .offset:         40
        .size:           8
        .value_kind:     global_buffer
      - .actual_access:  read_only
        .address_space:  global
        .offset:         48
        .size:           8
        .value_kind:     global_buffer
      - .offset:         56
        .size:           4
        .value_kind:     by_value
      - .actual_access:  read_only
        .address_space:  global
        .offset:         64
        .size:           8
        .value_kind:     global_buffer
      - .offset:         72
        .size:           4
        .value_kind:     by_value
      - .offset:         76
        .size:           4
        .value_kind:     by_value
      - .offset:         80
        .size:           4
        .value_kind:     by_value
      - .actual_access:  write_only
        .address_space:  global
        .offset:         88
        .size:           8
        .value_kind:     global_buffer
      - .actual_access:  write_only
        .address_space:  global
        .offset:         96
        .size:           8
        .value_kind:     global_buffer
      - .actual_access:  write_only
        .address_space:  global
        .offset:         104
        .size:           8
        .value_kind:     global_buffer
      - .actual_access:  read_only
        .address_space:  global
        .offset:         112
        .size:           8
        .value_kind:     global_buffer
      - .offset:         120
        .size:           4
        .value_kind:     by_value
      - .address_space:  global
        .offset:         128
        .size:           8
        .value_kind:     global_buffer
      - .address_space:  global
        .offset:         136
        .size:           8
        .value_kind:     global_buffer
      - .offset:         144
        .size:           4
        .value_kind:     hidden_block_count_x
      - .offset:         148
        .size:           4
        .value_kind:     hidden_block_count_y
      - .offset:         152
        .size:           4
        .value_kind:     hidden_block_count_z
      - .offset:         156
        .size:           2
        .value_kind:     hidden_group_size_x
      - .offset:         158
        .size:           2
        .value_kind:     hidden_group_size_y
      - .offset:         160
        .size:           2
        .value_kind:     hidden_group_size_z
      - .offset:         162
        .size:           2
        .value_kind:     hidden_remainder_x
      - .offset:         164
        .size:           2
        .value_kind:     hidden_remainder_y
      - .offset:         166
        .size:           2
        .value_kind:     hidden_remainder_z
      - .offset:         184
        .size:           8
        .value_kind:     hidden_global_offset_x
      - .offset:         192
        .size:           8
        .value_kind:     hidden_global_offset_y
      - .offset:         200
        .size:           8
        .value_kind:     hidden_global_offset_z
      - .offset:         208
        .size:           2
        .value_kind:     hidden_grid_dims
    .group_segment_fixed_size: 8192
    .kernarg_segment_align: 8
    .kernarg_segment_size: 400
    .language:       OpenCL C
    .language_version:
      - 2
      - 0
    .max_flat_workgroup_size: 256
    .name:           _Z39paged_attention_ll4mi_QKV_mfma16_kernelIDF16_hLN4vllm18Fp8KVCacheDataTypeE1EDF16_Li16ELi64ELi256ELb1ELi9EEvPKT_PKT0_S7_ifPKiS9_S9_iPKfiiiPfSC_PS2_PT2_iSB_SB_
    .private_segment_fixed_size: 0
    .sgpr_count:     56
    .sgpr_spill_count: 0
    .symbol:         _Z39paged_attention_ll4mi_QKV_mfma16_kernelIDF16_hLN4vllm18Fp8KVCacheDataTypeE1EDF16_Li16ELi64ELi256ELb1ELi9EEvPKT_PKT0_S7_ifPKiS9_S9_iPKfiiiPfSC_PS2_PT2_iSB_SB_.kd
    .uniform_work_group_size: 1
    .uses_dynamic_stack: false
    .vgpr_count:     67
    .vgpr_spill_count: 0
    .wavefront_size: 64
  - .agpr_count:     0
    .args:
      - .actual_access:  read_only
        .address_space:  global
        .offset:         0
        .size:           8
        .value_kind:     global_buffer
      - .actual_access:  read_only
        .address_space:  global
        .offset:         8
        .size:           8
        .value_kind:     global_buffer
      - .actual_access:  read_only
        .address_space:  global
        .offset:         16
        .size:           8
        .value_kind:     global_buffer
      - .offset:         24
        .size:           4
        .value_kind:     by_value
      - .offset:         28
        .size:           4
        .value_kind:     by_value
      - .actual_access:  read_only
        .address_space:  global
        .offset:         32
        .size:           8
        .value_kind:     global_buffer
      - .actual_access:  read_only
        .address_space:  global
        .offset:         40
        .size:           8
        .value_kind:     global_buffer
      - .actual_access:  read_only
        .address_space:  global
        .offset:         48
        .size:           8
        .value_kind:     global_buffer
      - .offset:         56
        .size:           4
        .value_kind:     by_value
      - .actual_access:  read_only
        .address_space:  global
        .offset:         64
        .size:           8
        .value_kind:     global_buffer
      - .offset:         72
        .size:           4
        .value_kind:     by_value
      - .offset:         76
        .size:           4
        .value_kind:     by_value
      - .offset:         80
        .size:           4
        .value_kind:     by_value
      - .actual_access:  write_only
        .address_space:  global
        .offset:         88
        .size:           8
        .value_kind:     global_buffer
      - .actual_access:  write_only
        .address_space:  global
        .offset:         96
        .size:           8
        .value_kind:     global_buffer
      - .actual_access:  write_only
        .address_space:  global
        .offset:         104
        .size:           8
        .value_kind:     global_buffer
      - .actual_access:  read_only
        .address_space:  global
        .offset:         112
        .size:           8
        .value_kind:     global_buffer
      - .offset:         120
        .size:           4
        .value_kind:     by_value
      - .address_space:  global
        .offset:         128
        .size:           8
        .value_kind:     global_buffer
      - .address_space:  global
        .offset:         136
        .size:           8
        .value_kind:     global_buffer
      - .offset:         144
        .size:           4
        .value_kind:     hidden_block_count_x
      - .offset:         148
        .size:           4
        .value_kind:     hidden_block_count_y
      - .offset:         152
        .size:           4
        .value_kind:     hidden_block_count_z
      - .offset:         156
        .size:           2
        .value_kind:     hidden_group_size_x
      - .offset:         158
        .size:           2
        .value_kind:     hidden_group_size_y
      - .offset:         160
        .size:           2
        .value_kind:     hidden_group_size_z
      - .offset:         162
        .size:           2
        .value_kind:     hidden_remainder_x
      - .offset:         164
        .size:           2
        .value_kind:     hidden_remainder_y
      - .offset:         166
        .size:           2
        .value_kind:     hidden_remainder_z
      - .offset:         184
        .size:           8
        .value_kind:     hidden_global_offset_x
      - .offset:         192
        .size:           8
        .value_kind:     hidden_global_offset_y
      - .offset:         200
        .size:           8
        .value_kind:     hidden_global_offset_z
      - .offset:         208
        .size:           2
        .value_kind:     hidden_grid_dims
    .group_segment_fixed_size: 8192
    .kernarg_segment_align: 8
    .kernarg_segment_size: 400
    .language:       OpenCL C
    .language_version:
      - 2
      - 0
    .max_flat_workgroup_size: 256
    .name:           _Z39paged_attention_ll4mi_QKV_mfma16_kernelIDF16_hLN4vllm18Fp8KVCacheDataTypeE1EDF16_Li16ELi64ELi256ELb1ELi10EEvPKT_PKT0_S7_ifPKiS9_S9_iPKfiiiPfSC_PS2_PT2_iSB_SB_
    .private_segment_fixed_size: 0
    .sgpr_count:     56
    .sgpr_spill_count: 0
    .symbol:         _Z39paged_attention_ll4mi_QKV_mfma16_kernelIDF16_hLN4vllm18Fp8KVCacheDataTypeE1EDF16_Li16ELi64ELi256ELb1ELi10EEvPKT_PKT0_S7_ifPKiS9_S9_iPKfiiiPfSC_PS2_PT2_iSB_SB_.kd
    .uniform_work_group_size: 1
    .uses_dynamic_stack: false
    .vgpr_count:     67
    .vgpr_spill_count: 0
    .wavefront_size: 64
  - .agpr_count:     0
    .args:
      - .actual_access:  read_only
        .address_space:  global
        .offset:         0
        .size:           8
        .value_kind:     global_buffer
      - .actual_access:  read_only
        .address_space:  global
        .offset:         8
        .size:           8
        .value_kind:     global_buffer
      - .actual_access:  read_only
        .address_space:  global
        .offset:         16
        .size:           8
        .value_kind:     global_buffer
      - .offset:         24
        .size:           4
        .value_kind:     by_value
      - .offset:         28
        .size:           4
        .value_kind:     by_value
      - .actual_access:  read_only
        .address_space:  global
        .offset:         32
        .size:           8
        .value_kind:     global_buffer
      - .actual_access:  read_only
        .address_space:  global
        .offset:         40
        .size:           8
        .value_kind:     global_buffer
      - .actual_access:  read_only
        .address_space:  global
        .offset:         48
        .size:           8
        .value_kind:     global_buffer
      - .offset:         56
        .size:           4
        .value_kind:     by_value
      - .actual_access:  read_only
        .address_space:  global
        .offset:         64
        .size:           8
        .value_kind:     global_buffer
      - .offset:         72
        .size:           4
        .value_kind:     by_value
      - .offset:         76
        .size:           4
        .value_kind:     by_value
      - .offset:         80
        .size:           4
        .value_kind:     by_value
      - .actual_access:  write_only
        .address_space:  global
        .offset:         88
        .size:           8
        .value_kind:     global_buffer
      - .actual_access:  write_only
        .address_space:  global
        .offset:         96
        .size:           8
        .value_kind:     global_buffer
      - .actual_access:  write_only
        .address_space:  global
        .offset:         104
        .size:           8
        .value_kind:     global_buffer
      - .actual_access:  read_only
        .address_space:  global
        .offset:         112
        .size:           8
        .value_kind:     global_buffer
      - .offset:         120
        .size:           4
        .value_kind:     by_value
      - .address_space:  global
        .offset:         128
        .size:           8
        .value_kind:     global_buffer
      - .address_space:  global
        .offset:         136
        .size:           8
        .value_kind:     global_buffer
      - .offset:         144
        .size:           4
        .value_kind:     hidden_block_count_x
      - .offset:         148
        .size:           4
        .value_kind:     hidden_block_count_y
      - .offset:         152
        .size:           4
        .value_kind:     hidden_block_count_z
      - .offset:         156
        .size:           2
        .value_kind:     hidden_group_size_x
      - .offset:         158
        .size:           2
        .value_kind:     hidden_group_size_y
      - .offset:         160
        .size:           2
        .value_kind:     hidden_group_size_z
      - .offset:         162
        .size:           2
        .value_kind:     hidden_remainder_x
      - .offset:         164
        .size:           2
        .value_kind:     hidden_remainder_y
      - .offset:         166
        .size:           2
        .value_kind:     hidden_remainder_z
      - .offset:         184
        .size:           8
        .value_kind:     hidden_global_offset_x
      - .offset:         192
        .size:           8
        .value_kind:     hidden_global_offset_y
      - .offset:         200
        .size:           8
        .value_kind:     hidden_global_offset_z
      - .offset:         208
        .size:           2
        .value_kind:     hidden_grid_dims
    .group_segment_fixed_size: 8192
    .kernarg_segment_align: 8
    .kernarg_segment_size: 400
    .language:       OpenCL C
    .language_version:
      - 2
      - 0
    .max_flat_workgroup_size: 256
    .name:           _Z39paged_attention_ll4mi_QKV_mfma16_kernelIDF16_hLN4vllm18Fp8KVCacheDataTypeE1EDF16_Li16ELi64ELi256ELb1ELi11EEvPKT_PKT0_S7_ifPKiS9_S9_iPKfiiiPfSC_PS2_PT2_iSB_SB_
    .private_segment_fixed_size: 0
    .sgpr_count:     56
    .sgpr_spill_count: 0
    .symbol:         _Z39paged_attention_ll4mi_QKV_mfma16_kernelIDF16_hLN4vllm18Fp8KVCacheDataTypeE1EDF16_Li16ELi64ELi256ELb1ELi11EEvPKT_PKT0_S7_ifPKiS9_S9_iPKfiiiPfSC_PS2_PT2_iSB_SB_.kd
    .uniform_work_group_size: 1
    .uses_dynamic_stack: false
    .vgpr_count:     67
    .vgpr_spill_count: 0
    .wavefront_size: 64
  - .agpr_count:     0
    .args:
      - .actual_access:  read_only
        .address_space:  global
        .offset:         0
        .size:           8
        .value_kind:     global_buffer
      - .actual_access:  read_only
        .address_space:  global
        .offset:         8
        .size:           8
        .value_kind:     global_buffer
      - .actual_access:  read_only
        .address_space:  global
        .offset:         16
        .size:           8
        .value_kind:     global_buffer
      - .offset:         24
        .size:           4
        .value_kind:     by_value
      - .offset:         28
        .size:           4
        .value_kind:     by_value
      - .actual_access:  read_only
        .address_space:  global
        .offset:         32
        .size:           8
        .value_kind:     global_buffer
      - .actual_access:  read_only
        .address_space:  global
        .offset:         40
        .size:           8
        .value_kind:     global_buffer
      - .actual_access:  read_only
        .address_space:  global
        .offset:         48
        .size:           8
        .value_kind:     global_buffer
      - .offset:         56
        .size:           4
        .value_kind:     by_value
      - .actual_access:  read_only
        .address_space:  global
        .offset:         64
        .size:           8
        .value_kind:     global_buffer
      - .offset:         72
        .size:           4
        .value_kind:     by_value
      - .offset:         76
        .size:           4
        .value_kind:     by_value
      - .offset:         80
        .size:           4
        .value_kind:     by_value
      - .actual_access:  write_only
        .address_space:  global
        .offset:         88
        .size:           8
        .value_kind:     global_buffer
      - .actual_access:  write_only
        .address_space:  global
        .offset:         96
        .size:           8
        .value_kind:     global_buffer
      - .actual_access:  write_only
        .address_space:  global
        .offset:         104
        .size:           8
        .value_kind:     global_buffer
      - .actual_access:  read_only
        .address_space:  global
        .offset:         112
        .size:           8
        .value_kind:     global_buffer
      - .offset:         120
        .size:           4
        .value_kind:     by_value
      - .address_space:  global
        .offset:         128
        .size:           8
        .value_kind:     global_buffer
      - .address_space:  global
        .offset:         136
        .size:           8
        .value_kind:     global_buffer
      - .offset:         144
        .size:           4
        .value_kind:     hidden_block_count_x
      - .offset:         148
        .size:           4
        .value_kind:     hidden_block_count_y
      - .offset:         152
        .size:           4
        .value_kind:     hidden_block_count_z
      - .offset:         156
        .size:           2
        .value_kind:     hidden_group_size_x
      - .offset:         158
        .size:           2
        .value_kind:     hidden_group_size_y
      - .offset:         160
        .size:           2
        .value_kind:     hidden_group_size_z
      - .offset:         162
        .size:           2
        .value_kind:     hidden_remainder_x
      - .offset:         164
        .size:           2
        .value_kind:     hidden_remainder_y
      - .offset:         166
        .size:           2
        .value_kind:     hidden_remainder_z
      - .offset:         184
        .size:           8
        .value_kind:     hidden_global_offset_x
      - .offset:         192
        .size:           8
        .value_kind:     hidden_global_offset_y
      - .offset:         200
        .size:           8
        .value_kind:     hidden_global_offset_z
      - .offset:         208
        .size:           2
        .value_kind:     hidden_grid_dims
    .group_segment_fixed_size: 8192
    .kernarg_segment_align: 8
    .kernarg_segment_size: 400
    .language:       OpenCL C
    .language_version:
      - 2
      - 0
    .max_flat_workgroup_size: 256
    .name:           _Z39paged_attention_ll4mi_QKV_mfma16_kernelIDF16_hLN4vllm18Fp8KVCacheDataTypeE1EDF16_Li16ELi64ELi256ELb1ELi12EEvPKT_PKT0_S7_ifPKiS9_S9_iPKfiiiPfSC_PS2_PT2_iSB_SB_
    .private_segment_fixed_size: 0
    .sgpr_count:     56
    .sgpr_spill_count: 0
    .symbol:         _Z39paged_attention_ll4mi_QKV_mfma16_kernelIDF16_hLN4vllm18Fp8KVCacheDataTypeE1EDF16_Li16ELi64ELi256ELb1ELi12EEvPKT_PKT0_S7_ifPKiS9_S9_iPKfiiiPfSC_PS2_PT2_iSB_SB_.kd
    .uniform_work_group_size: 1
    .uses_dynamic_stack: false
    .vgpr_count:     67
    .vgpr_spill_count: 0
    .wavefront_size: 64
  - .agpr_count:     0
    .args:
      - .actual_access:  read_only
        .address_space:  global
        .offset:         0
        .size:           8
        .value_kind:     global_buffer
      - .actual_access:  read_only
        .address_space:  global
        .offset:         8
        .size:           8
        .value_kind:     global_buffer
      - .actual_access:  read_only
        .address_space:  global
        .offset:         16
        .size:           8
        .value_kind:     global_buffer
      - .offset:         24
        .size:           4
        .value_kind:     by_value
      - .offset:         28
        .size:           4
        .value_kind:     by_value
      - .actual_access:  read_only
        .address_space:  global
        .offset:         32
        .size:           8
        .value_kind:     global_buffer
      - .actual_access:  read_only
        .address_space:  global
        .offset:         40
        .size:           8
        .value_kind:     global_buffer
      - .actual_access:  read_only
        .address_space:  global
        .offset:         48
        .size:           8
        .value_kind:     global_buffer
      - .offset:         56
        .size:           4
        .value_kind:     by_value
      - .actual_access:  read_only
        .address_space:  global
        .offset:         64
        .size:           8
        .value_kind:     global_buffer
      - .offset:         72
        .size:           4
        .value_kind:     by_value
      - .offset:         76
        .size:           4
        .value_kind:     by_value
      - .offset:         80
        .size:           4
        .value_kind:     by_value
      - .actual_access:  write_only
        .address_space:  global
        .offset:         88
        .size:           8
        .value_kind:     global_buffer
      - .actual_access:  write_only
        .address_space:  global
        .offset:         96
        .size:           8
        .value_kind:     global_buffer
      - .actual_access:  write_only
        .address_space:  global
        .offset:         104
        .size:           8
        .value_kind:     global_buffer
      - .actual_access:  read_only
        .address_space:  global
        .offset:         112
        .size:           8
        .value_kind:     global_buffer
      - .offset:         120
        .size:           4
        .value_kind:     by_value
      - .address_space:  global
        .offset:         128
        .size:           8
        .value_kind:     global_buffer
      - .address_space:  global
        .offset:         136
        .size:           8
        .value_kind:     global_buffer
      - .offset:         144
        .size:           4
        .value_kind:     hidden_block_count_x
      - .offset:         148
        .size:           4
        .value_kind:     hidden_block_count_y
      - .offset:         152
        .size:           4
        .value_kind:     hidden_block_count_z
      - .offset:         156
        .size:           2
        .value_kind:     hidden_group_size_x
      - .offset:         158
        .size:           2
        .value_kind:     hidden_group_size_y
      - .offset:         160
        .size:           2
        .value_kind:     hidden_group_size_z
      - .offset:         162
        .size:           2
        .value_kind:     hidden_remainder_x
      - .offset:         164
        .size:           2
        .value_kind:     hidden_remainder_y
      - .offset:         166
        .size:           2
        .value_kind:     hidden_remainder_z
      - .offset:         184
        .size:           8
        .value_kind:     hidden_global_offset_x
      - .offset:         192
        .size:           8
        .value_kind:     hidden_global_offset_y
      - .offset:         200
        .size:           8
        .value_kind:     hidden_global_offset_z
      - .offset:         208
        .size:           2
        .value_kind:     hidden_grid_dims
    .group_segment_fixed_size: 8192
    .kernarg_segment_align: 8
    .kernarg_segment_size: 400
    .language:       OpenCL C
    .language_version:
      - 2
      - 0
    .max_flat_workgroup_size: 256
    .name:           _Z39paged_attention_ll4mi_QKV_mfma16_kernelIDF16_hLN4vllm18Fp8KVCacheDataTypeE1EDF16_Li16ELi64ELi256ELb1ELi13EEvPKT_PKT0_S7_ifPKiS9_S9_iPKfiiiPfSC_PS2_PT2_iSB_SB_
    .private_segment_fixed_size: 0
    .sgpr_count:     56
    .sgpr_spill_count: 0
    .symbol:         _Z39paged_attention_ll4mi_QKV_mfma16_kernelIDF16_hLN4vllm18Fp8KVCacheDataTypeE1EDF16_Li16ELi64ELi256ELb1ELi13EEvPKT_PKT0_S7_ifPKiS9_S9_iPKfiiiPfSC_PS2_PT2_iSB_SB_.kd
    .uniform_work_group_size: 1
    .uses_dynamic_stack: false
    .vgpr_count:     67
    .vgpr_spill_count: 0
    .wavefront_size: 64
  - .agpr_count:     0
    .args:
      - .actual_access:  read_only
        .address_space:  global
        .offset:         0
        .size:           8
        .value_kind:     global_buffer
      - .actual_access:  read_only
        .address_space:  global
        .offset:         8
        .size:           8
        .value_kind:     global_buffer
      - .actual_access:  read_only
        .address_space:  global
        .offset:         16
        .size:           8
        .value_kind:     global_buffer
      - .offset:         24
        .size:           4
        .value_kind:     by_value
      - .offset:         28
        .size:           4
        .value_kind:     by_value
      - .actual_access:  read_only
        .address_space:  global
        .offset:         32
        .size:           8
        .value_kind:     global_buffer
      - .actual_access:  read_only
        .address_space:  global
        .offset:         40
        .size:           8
        .value_kind:     global_buffer
      - .actual_access:  read_only
        .address_space:  global
        .offset:         48
        .size:           8
        .value_kind:     global_buffer
      - .offset:         56
        .size:           4
        .value_kind:     by_value
      - .actual_access:  read_only
        .address_space:  global
        .offset:         64
        .size:           8
        .value_kind:     global_buffer
      - .offset:         72
        .size:           4
        .value_kind:     by_value
      - .offset:         76
        .size:           4
        .value_kind:     by_value
      - .offset:         80
        .size:           4
        .value_kind:     by_value
      - .actual_access:  write_only
        .address_space:  global
        .offset:         88
        .size:           8
        .value_kind:     global_buffer
      - .actual_access:  write_only
        .address_space:  global
        .offset:         96
        .size:           8
        .value_kind:     global_buffer
      - .actual_access:  write_only
        .address_space:  global
        .offset:         104
        .size:           8
        .value_kind:     global_buffer
      - .actual_access:  read_only
        .address_space:  global
        .offset:         112
        .size:           8
        .value_kind:     global_buffer
      - .offset:         120
        .size:           4
        .value_kind:     by_value
      - .address_space:  global
        .offset:         128
        .size:           8
        .value_kind:     global_buffer
      - .address_space:  global
        .offset:         136
        .size:           8
        .value_kind:     global_buffer
      - .offset:         144
        .size:           4
        .value_kind:     hidden_block_count_x
      - .offset:         148
        .size:           4
        .value_kind:     hidden_block_count_y
      - .offset:         152
        .size:           4
        .value_kind:     hidden_block_count_z
      - .offset:         156
        .size:           2
        .value_kind:     hidden_group_size_x
      - .offset:         158
        .size:           2
        .value_kind:     hidden_group_size_y
      - .offset:         160
        .size:           2
        .value_kind:     hidden_group_size_z
      - .offset:         162
        .size:           2
        .value_kind:     hidden_remainder_x
      - .offset:         164
        .size:           2
        .value_kind:     hidden_remainder_y
      - .offset:         166
        .size:           2
        .value_kind:     hidden_remainder_z
      - .offset:         184
        .size:           8
        .value_kind:     hidden_global_offset_x
      - .offset:         192
        .size:           8
        .value_kind:     hidden_global_offset_y
      - .offset:         200
        .size:           8
        .value_kind:     hidden_global_offset_z
      - .offset:         208
        .size:           2
        .value_kind:     hidden_grid_dims
    .group_segment_fixed_size: 8192
    .kernarg_segment_align: 8
    .kernarg_segment_size: 400
    .language:       OpenCL C
    .language_version:
      - 2
      - 0
    .max_flat_workgroup_size: 256
    .name:           _Z39paged_attention_ll4mi_QKV_mfma16_kernelIDF16_hLN4vllm18Fp8KVCacheDataTypeE1EDF16_Li16ELi64ELi256ELb1ELi14EEvPKT_PKT0_S7_ifPKiS9_S9_iPKfiiiPfSC_PS2_PT2_iSB_SB_
    .private_segment_fixed_size: 0
    .sgpr_count:     56
    .sgpr_spill_count: 0
    .symbol:         _Z39paged_attention_ll4mi_QKV_mfma16_kernelIDF16_hLN4vllm18Fp8KVCacheDataTypeE1EDF16_Li16ELi64ELi256ELb1ELi14EEvPKT_PKT0_S7_ifPKiS9_S9_iPKfiiiPfSC_PS2_PT2_iSB_SB_.kd
    .uniform_work_group_size: 1
    .uses_dynamic_stack: false
    .vgpr_count:     67
    .vgpr_spill_count: 0
    .wavefront_size: 64
  - .agpr_count:     0
    .args:
      - .actual_access:  read_only
        .address_space:  global
        .offset:         0
        .size:           8
        .value_kind:     global_buffer
      - .actual_access:  read_only
        .address_space:  global
        .offset:         8
        .size:           8
        .value_kind:     global_buffer
      - .actual_access:  read_only
        .address_space:  global
        .offset:         16
        .size:           8
        .value_kind:     global_buffer
      - .offset:         24
        .size:           4
        .value_kind:     by_value
      - .offset:         28
        .size:           4
        .value_kind:     by_value
      - .actual_access:  read_only
        .address_space:  global
        .offset:         32
        .size:           8
        .value_kind:     global_buffer
      - .actual_access:  read_only
        .address_space:  global
        .offset:         40
        .size:           8
        .value_kind:     global_buffer
      - .actual_access:  read_only
        .address_space:  global
        .offset:         48
        .size:           8
        .value_kind:     global_buffer
      - .offset:         56
        .size:           4
        .value_kind:     by_value
      - .actual_access:  read_only
        .address_space:  global
        .offset:         64
        .size:           8
        .value_kind:     global_buffer
      - .offset:         72
        .size:           4
        .value_kind:     by_value
      - .offset:         76
        .size:           4
        .value_kind:     by_value
      - .offset:         80
        .size:           4
        .value_kind:     by_value
      - .actual_access:  write_only
        .address_space:  global
        .offset:         88
        .size:           8
        .value_kind:     global_buffer
      - .actual_access:  write_only
        .address_space:  global
        .offset:         96
        .size:           8
        .value_kind:     global_buffer
      - .actual_access:  write_only
        .address_space:  global
        .offset:         104
        .size:           8
        .value_kind:     global_buffer
      - .actual_access:  read_only
        .address_space:  global
        .offset:         112
        .size:           8
        .value_kind:     global_buffer
      - .offset:         120
        .size:           4
        .value_kind:     by_value
      - .address_space:  global
        .offset:         128
        .size:           8
        .value_kind:     global_buffer
      - .address_space:  global
        .offset:         136
        .size:           8
        .value_kind:     global_buffer
      - .offset:         144
        .size:           4
        .value_kind:     hidden_block_count_x
      - .offset:         148
        .size:           4
        .value_kind:     hidden_block_count_y
      - .offset:         152
        .size:           4
        .value_kind:     hidden_block_count_z
      - .offset:         156
        .size:           2
        .value_kind:     hidden_group_size_x
      - .offset:         158
        .size:           2
        .value_kind:     hidden_group_size_y
      - .offset:         160
        .size:           2
        .value_kind:     hidden_group_size_z
      - .offset:         162
        .size:           2
        .value_kind:     hidden_remainder_x
      - .offset:         164
        .size:           2
        .value_kind:     hidden_remainder_y
      - .offset:         166
        .size:           2
        .value_kind:     hidden_remainder_z
      - .offset:         184
        .size:           8
        .value_kind:     hidden_global_offset_x
      - .offset:         192
        .size:           8
        .value_kind:     hidden_global_offset_y
      - .offset:         200
        .size:           8
        .value_kind:     hidden_global_offset_z
      - .offset:         208
        .size:           2
        .value_kind:     hidden_grid_dims
    .group_segment_fixed_size: 8192
    .kernarg_segment_align: 8
    .kernarg_segment_size: 400
    .language:       OpenCL C
    .language_version:
      - 2
      - 0
    .max_flat_workgroup_size: 256
    .name:           _Z39paged_attention_ll4mi_QKV_mfma16_kernelIDF16_hLN4vllm18Fp8KVCacheDataTypeE1EDF16_Li16ELi64ELi256ELb1ELi15EEvPKT_PKT0_S7_ifPKiS9_S9_iPKfiiiPfSC_PS2_PT2_iSB_SB_
    .private_segment_fixed_size: 0
    .sgpr_count:     56
    .sgpr_spill_count: 0
    .symbol:         _Z39paged_attention_ll4mi_QKV_mfma16_kernelIDF16_hLN4vllm18Fp8KVCacheDataTypeE1EDF16_Li16ELi64ELi256ELb1ELi15EEvPKT_PKT0_S7_ifPKiS9_S9_iPKfiiiPfSC_PS2_PT2_iSB_SB_.kd
    .uniform_work_group_size: 1
    .uses_dynamic_stack: false
    .vgpr_count:     67
    .vgpr_spill_count: 0
    .wavefront_size: 64
  - .agpr_count:     0
    .args:
      - .actual_access:  read_only
        .address_space:  global
        .offset:         0
        .size:           8
        .value_kind:     global_buffer
      - .actual_access:  read_only
        .address_space:  global
        .offset:         8
        .size:           8
        .value_kind:     global_buffer
      - .actual_access:  read_only
        .address_space:  global
        .offset:         16
        .size:           8
        .value_kind:     global_buffer
      - .offset:         24
        .size:           4
        .value_kind:     by_value
      - .offset:         28
        .size:           4
        .value_kind:     by_value
      - .actual_access:  read_only
        .address_space:  global
        .offset:         32
        .size:           8
        .value_kind:     global_buffer
      - .actual_access:  read_only
        .address_space:  global
        .offset:         40
        .size:           8
        .value_kind:     global_buffer
      - .actual_access:  read_only
        .address_space:  global
        .offset:         48
        .size:           8
        .value_kind:     global_buffer
      - .offset:         56
        .size:           4
        .value_kind:     by_value
      - .actual_access:  read_only
        .address_space:  global
        .offset:         64
        .size:           8
        .value_kind:     global_buffer
      - .offset:         72
        .size:           4
        .value_kind:     by_value
      - .offset:         76
        .size:           4
        .value_kind:     by_value
      - .offset:         80
        .size:           4
        .value_kind:     by_value
      - .actual_access:  write_only
        .address_space:  global
        .offset:         88
        .size:           8
        .value_kind:     global_buffer
      - .actual_access:  write_only
        .address_space:  global
        .offset:         96
        .size:           8
        .value_kind:     global_buffer
      - .actual_access:  write_only
        .address_space:  global
        .offset:         104
        .size:           8
        .value_kind:     global_buffer
      - .actual_access:  read_only
        .address_space:  global
        .offset:         112
        .size:           8
        .value_kind:     global_buffer
      - .offset:         120
        .size:           4
        .value_kind:     by_value
      - .address_space:  global
        .offset:         128
        .size:           8
        .value_kind:     global_buffer
      - .address_space:  global
        .offset:         136
        .size:           8
        .value_kind:     global_buffer
      - .offset:         144
        .size:           4
        .value_kind:     hidden_block_count_x
      - .offset:         148
        .size:           4
        .value_kind:     hidden_block_count_y
      - .offset:         152
        .size:           4
        .value_kind:     hidden_block_count_z
      - .offset:         156
        .size:           2
        .value_kind:     hidden_group_size_x
      - .offset:         158
        .size:           2
        .value_kind:     hidden_group_size_y
      - .offset:         160
        .size:           2
        .value_kind:     hidden_group_size_z
      - .offset:         162
        .size:           2
        .value_kind:     hidden_remainder_x
      - .offset:         164
        .size:           2
        .value_kind:     hidden_remainder_y
      - .offset:         166
        .size:           2
        .value_kind:     hidden_remainder_z
      - .offset:         184
        .size:           8
        .value_kind:     hidden_global_offset_x
      - .offset:         192
        .size:           8
        .value_kind:     hidden_global_offset_y
      - .offset:         200
        .size:           8
        .value_kind:     hidden_global_offset_z
      - .offset:         208
        .size:           2
        .value_kind:     hidden_grid_dims
    .group_segment_fixed_size: 8192
    .kernarg_segment_align: 8
    .kernarg_segment_size: 400
    .language:       OpenCL C
    .language_version:
      - 2
      - 0
    .max_flat_workgroup_size: 256
    .name:           _Z39paged_attention_ll4mi_QKV_mfma16_kernelIDF16_hLN4vllm18Fp8KVCacheDataTypeE1EDF16_Li16ELi64ELi256ELb1ELi16EEvPKT_PKT0_S7_ifPKiS9_S9_iPKfiiiPfSC_PS2_PT2_iSB_SB_
    .private_segment_fixed_size: 0
    .sgpr_count:     55
    .sgpr_spill_count: 0
    .symbol:         _Z39paged_attention_ll4mi_QKV_mfma16_kernelIDF16_hLN4vllm18Fp8KVCacheDataTypeE1EDF16_Li16ELi64ELi256ELb1ELi16EEvPKT_PKT0_S7_ifPKiS9_S9_iPKfiiiPfSC_PS2_PT2_iSB_SB_.kd
    .uniform_work_group_size: 1
    .uses_dynamic_stack: false
    .vgpr_count:     62
    .vgpr_spill_count: 0
    .wavefront_size: 64
  - .agpr_count:     0
    .args:
      - .actual_access:  read_only
        .address_space:  global
        .offset:         0
        .size:           8
        .value_kind:     global_buffer
      - .actual_access:  read_only
        .address_space:  global
        .offset:         8
        .size:           8
        .value_kind:     global_buffer
      - .actual_access:  read_only
        .address_space:  global
        .offset:         16
        .size:           8
        .value_kind:     global_buffer
      - .offset:         24
        .size:           4
        .value_kind:     by_value
      - .offset:         28
        .size:           4
        .value_kind:     by_value
      - .actual_access:  read_only
        .address_space:  global
        .offset:         32
        .size:           8
        .value_kind:     global_buffer
      - .actual_access:  read_only
        .address_space:  global
        .offset:         40
        .size:           8
        .value_kind:     global_buffer
      - .actual_access:  read_only
        .address_space:  global
        .offset:         48
        .size:           8
        .value_kind:     global_buffer
      - .offset:         56
        .size:           4
        .value_kind:     by_value
      - .actual_access:  read_only
        .address_space:  global
        .offset:         64
        .size:           8
        .value_kind:     global_buffer
      - .offset:         72
        .size:           4
        .value_kind:     by_value
      - .offset:         76
        .size:           4
        .value_kind:     by_value
      - .offset:         80
        .size:           4
        .value_kind:     by_value
      - .actual_access:  write_only
        .address_space:  global
        .offset:         88
        .size:           8
        .value_kind:     global_buffer
      - .actual_access:  write_only
        .address_space:  global
        .offset:         96
        .size:           8
        .value_kind:     global_buffer
      - .actual_access:  write_only
        .address_space:  global
        .offset:         104
        .size:           8
        .value_kind:     global_buffer
      - .actual_access:  read_only
        .address_space:  global
        .offset:         112
        .size:           8
        .value_kind:     global_buffer
      - .offset:         120
        .size:           4
        .value_kind:     by_value
      - .address_space:  global
        .offset:         128
        .size:           8
        .value_kind:     global_buffer
      - .address_space:  global
        .offset:         136
        .size:           8
        .value_kind:     global_buffer
      - .offset:         144
        .size:           4
        .value_kind:     hidden_block_count_x
      - .offset:         148
        .size:           4
        .value_kind:     hidden_block_count_y
      - .offset:         152
        .size:           4
        .value_kind:     hidden_block_count_z
      - .offset:         156
        .size:           2
        .value_kind:     hidden_group_size_x
      - .offset:         158
        .size:           2
        .value_kind:     hidden_group_size_y
      - .offset:         160
        .size:           2
        .value_kind:     hidden_group_size_z
      - .offset:         162
        .size:           2
        .value_kind:     hidden_remainder_x
      - .offset:         164
        .size:           2
        .value_kind:     hidden_remainder_y
      - .offset:         166
        .size:           2
        .value_kind:     hidden_remainder_z
      - .offset:         184
        .size:           8
        .value_kind:     hidden_global_offset_x
      - .offset:         192
        .size:           8
        .value_kind:     hidden_global_offset_y
      - .offset:         200
        .size:           8
        .value_kind:     hidden_global_offset_z
      - .offset:         208
        .size:           2
        .value_kind:     hidden_grid_dims
    .group_segment_fixed_size: 8192
    .kernarg_segment_align: 8
    .kernarg_segment_size: 400
    .language:       OpenCL C
    .language_version:
      - 2
      - 0
    .max_flat_workgroup_size: 256
    .name:           _Z39paged_attention_ll4mi_QKV_mfma16_kernelIDF16_hLN4vllm18Fp8KVCacheDataTypeE1EDF16_Li16ELi64ELi256ELb1ELi1EEvPKT_PKT0_S7_ifPKiS9_S9_iPKfiiiPfSC_PS2_PT2_iSB_SB_
    .private_segment_fixed_size: 0
    .sgpr_count:     58
    .sgpr_spill_count: 0
    .symbol:         _Z39paged_attention_ll4mi_QKV_mfma16_kernelIDF16_hLN4vllm18Fp8KVCacheDataTypeE1EDF16_Li16ELi64ELi256ELb1ELi1EEvPKT_PKT0_S7_ifPKiS9_S9_iPKfiiiPfSC_PS2_PT2_iSB_SB_.kd
    .uniform_work_group_size: 1
    .uses_dynamic_stack: false
    .vgpr_count:     74
    .vgpr_spill_count: 0
    .wavefront_size: 64
  - .agpr_count:     0
    .args:
      - .actual_access:  read_only
        .address_space:  global
        .offset:         0
        .size:           8
        .value_kind:     global_buffer
      - .actual_access:  read_only
        .address_space:  global
        .offset:         8
        .size:           8
        .value_kind:     global_buffer
      - .actual_access:  read_only
        .address_space:  global
        .offset:         16
        .size:           8
        .value_kind:     global_buffer
      - .offset:         24
        .size:           4
        .value_kind:     by_value
      - .offset:         28
        .size:           4
        .value_kind:     by_value
      - .actual_access:  read_only
        .address_space:  global
        .offset:         32
        .size:           8
        .value_kind:     global_buffer
      - .actual_access:  read_only
        .address_space:  global
        .offset:         40
        .size:           8
        .value_kind:     global_buffer
      - .actual_access:  read_only
        .address_space:  global
        .offset:         48
        .size:           8
        .value_kind:     global_buffer
      - .offset:         56
        .size:           4
        .value_kind:     by_value
      - .actual_access:  read_only
        .address_space:  global
        .offset:         64
        .size:           8
        .value_kind:     global_buffer
      - .offset:         72
        .size:           4
        .value_kind:     by_value
      - .offset:         76
        .size:           4
        .value_kind:     by_value
      - .offset:         80
        .size:           4
        .value_kind:     by_value
      - .actual_access:  write_only
        .address_space:  global
        .offset:         88
        .size:           8
        .value_kind:     global_buffer
      - .actual_access:  write_only
        .address_space:  global
        .offset:         96
        .size:           8
        .value_kind:     global_buffer
      - .actual_access:  write_only
        .address_space:  global
        .offset:         104
        .size:           8
        .value_kind:     global_buffer
      - .actual_access:  read_only
        .address_space:  global
        .offset:         112
        .size:           8
        .value_kind:     global_buffer
      - .offset:         120
        .size:           4
        .value_kind:     by_value
      - .address_space:  global
        .offset:         128
        .size:           8
        .value_kind:     global_buffer
      - .address_space:  global
        .offset:         136
        .size:           8
        .value_kind:     global_buffer
      - .offset:         144
        .size:           4
        .value_kind:     hidden_block_count_x
      - .offset:         148
        .size:           4
        .value_kind:     hidden_block_count_y
      - .offset:         152
        .size:           4
        .value_kind:     hidden_block_count_z
      - .offset:         156
        .size:           2
        .value_kind:     hidden_group_size_x
      - .offset:         158
        .size:           2
        .value_kind:     hidden_group_size_y
      - .offset:         160
        .size:           2
        .value_kind:     hidden_group_size_z
      - .offset:         162
        .size:           2
        .value_kind:     hidden_remainder_x
      - .offset:         164
        .size:           2
        .value_kind:     hidden_remainder_y
      - .offset:         166
        .size:           2
        .value_kind:     hidden_remainder_z
      - .offset:         184
        .size:           8
        .value_kind:     hidden_global_offset_x
      - .offset:         192
        .size:           8
        .value_kind:     hidden_global_offset_y
      - .offset:         200
        .size:           8
        .value_kind:     hidden_global_offset_z
      - .offset:         208
        .size:           2
        .value_kind:     hidden_grid_dims
    .group_segment_fixed_size: 8192
    .kernarg_segment_align: 8
    .kernarg_segment_size: 400
    .language:       OpenCL C
    .language_version:
      - 2
      - 0
    .max_flat_workgroup_size: 256
    .name:           _Z39paged_attention_ll4mi_QKV_mfma16_kernelIDF16_hLN4vllm18Fp8KVCacheDataTypeE1EDF16_Li16ELi64ELi256ELb1ELi2EEvPKT_PKT0_S7_ifPKiS9_S9_iPKfiiiPfSC_PS2_PT2_iSB_SB_
    .private_segment_fixed_size: 0
    .sgpr_count:     54
    .sgpr_spill_count: 0
    .symbol:         _Z39paged_attention_ll4mi_QKV_mfma16_kernelIDF16_hLN4vllm18Fp8KVCacheDataTypeE1EDF16_Li16ELi64ELi256ELb1ELi2EEvPKT_PKT0_S7_ifPKiS9_S9_iPKfiiiPfSC_PS2_PT2_iSB_SB_.kd
    .uniform_work_group_size: 1
    .uses_dynamic_stack: false
    .vgpr_count:     68
    .vgpr_spill_count: 0
    .wavefront_size: 64
  - .agpr_count:     0
    .args:
      - .actual_access:  read_only
        .address_space:  global
        .offset:         0
        .size:           8
        .value_kind:     global_buffer
      - .actual_access:  read_only
        .address_space:  global
        .offset:         8
        .size:           8
        .value_kind:     global_buffer
      - .actual_access:  read_only
        .address_space:  global
        .offset:         16
        .size:           8
        .value_kind:     global_buffer
      - .offset:         24
        .size:           4
        .value_kind:     by_value
      - .offset:         28
        .size:           4
        .value_kind:     by_value
      - .actual_access:  read_only
        .address_space:  global
        .offset:         32
        .size:           8
        .value_kind:     global_buffer
      - .actual_access:  read_only
        .address_space:  global
        .offset:         40
        .size:           8
        .value_kind:     global_buffer
      - .actual_access:  read_only
        .address_space:  global
        .offset:         48
        .size:           8
        .value_kind:     global_buffer
      - .offset:         56
        .size:           4
        .value_kind:     by_value
      - .actual_access:  read_only
        .address_space:  global
        .offset:         64
        .size:           8
        .value_kind:     global_buffer
      - .offset:         72
        .size:           4
        .value_kind:     by_value
      - .offset:         76
        .size:           4
        .value_kind:     by_value
      - .offset:         80
        .size:           4
        .value_kind:     by_value
      - .actual_access:  write_only
        .address_space:  global
        .offset:         88
        .size:           8
        .value_kind:     global_buffer
      - .actual_access:  write_only
        .address_space:  global
        .offset:         96
        .size:           8
        .value_kind:     global_buffer
      - .actual_access:  write_only
        .address_space:  global
        .offset:         104
        .size:           8
        .value_kind:     global_buffer
      - .actual_access:  read_only
        .address_space:  global
        .offset:         112
        .size:           8
        .value_kind:     global_buffer
      - .offset:         120
        .size:           4
        .value_kind:     by_value
      - .address_space:  global
        .offset:         128
        .size:           8
        .value_kind:     global_buffer
      - .address_space:  global
        .offset:         136
        .size:           8
        .value_kind:     global_buffer
      - .offset:         144
        .size:           4
        .value_kind:     hidden_block_count_x
      - .offset:         148
        .size:           4
        .value_kind:     hidden_block_count_y
      - .offset:         152
        .size:           4
        .value_kind:     hidden_block_count_z
      - .offset:         156
        .size:           2
        .value_kind:     hidden_group_size_x
      - .offset:         158
        .size:           2
        .value_kind:     hidden_group_size_y
      - .offset:         160
        .size:           2
        .value_kind:     hidden_group_size_z
      - .offset:         162
        .size:           2
        .value_kind:     hidden_remainder_x
      - .offset:         164
        .size:           2
        .value_kind:     hidden_remainder_y
      - .offset:         166
        .size:           2
        .value_kind:     hidden_remainder_z
      - .offset:         184
        .size:           8
        .value_kind:     hidden_global_offset_x
      - .offset:         192
        .size:           8
        .value_kind:     hidden_global_offset_y
      - .offset:         200
        .size:           8
        .value_kind:     hidden_global_offset_z
      - .offset:         208
        .size:           2
        .value_kind:     hidden_grid_dims
    .group_segment_fixed_size: 8192
    .kernarg_segment_align: 8
    .kernarg_segment_size: 400
    .language:       OpenCL C
    .language_version:
      - 2
      - 0
    .max_flat_workgroup_size: 256
    .name:           _Z39paged_attention_ll4mi_QKV_mfma16_kernelIDF16_hLN4vllm18Fp8KVCacheDataTypeE1EDF16_Li16ELi64ELi256ELb1ELi3EEvPKT_PKT0_S7_ifPKiS9_S9_iPKfiiiPfSC_PS2_PT2_iSB_SB_
    .private_segment_fixed_size: 0
    .sgpr_count:     56
    .sgpr_spill_count: 0
    .symbol:         _Z39paged_attention_ll4mi_QKV_mfma16_kernelIDF16_hLN4vllm18Fp8KVCacheDataTypeE1EDF16_Li16ELi64ELi256ELb1ELi3EEvPKT_PKT0_S7_ifPKiS9_S9_iPKfiiiPfSC_PS2_PT2_iSB_SB_.kd
    .uniform_work_group_size: 1
    .uses_dynamic_stack: false
    .vgpr_count:     68
    .vgpr_spill_count: 0
    .wavefront_size: 64
  - .agpr_count:     0
    .args:
      - .actual_access:  read_only
        .address_space:  global
        .offset:         0
        .size:           8
        .value_kind:     global_buffer
      - .actual_access:  read_only
        .address_space:  global
        .offset:         8
        .size:           8
        .value_kind:     global_buffer
      - .actual_access:  read_only
        .address_space:  global
        .offset:         16
        .size:           8
        .value_kind:     global_buffer
      - .offset:         24
        .size:           4
        .value_kind:     by_value
      - .offset:         28
        .size:           4
        .value_kind:     by_value
      - .actual_access:  read_only
        .address_space:  global
        .offset:         32
        .size:           8
        .value_kind:     global_buffer
      - .actual_access:  read_only
        .address_space:  global
        .offset:         40
        .size:           8
        .value_kind:     global_buffer
      - .actual_access:  read_only
        .address_space:  global
        .offset:         48
        .size:           8
        .value_kind:     global_buffer
      - .offset:         56
        .size:           4
        .value_kind:     by_value
      - .actual_access:  read_only
        .address_space:  global
        .offset:         64
        .size:           8
        .value_kind:     global_buffer
      - .offset:         72
        .size:           4
        .value_kind:     by_value
      - .offset:         76
        .size:           4
        .value_kind:     by_value
      - .offset:         80
        .size:           4
        .value_kind:     by_value
      - .actual_access:  write_only
        .address_space:  global
        .offset:         88
        .size:           8
        .value_kind:     global_buffer
      - .actual_access:  write_only
        .address_space:  global
        .offset:         96
        .size:           8
        .value_kind:     global_buffer
      - .actual_access:  write_only
        .address_space:  global
        .offset:         104
        .size:           8
        .value_kind:     global_buffer
      - .actual_access:  read_only
        .address_space:  global
        .offset:         112
        .size:           8
        .value_kind:     global_buffer
      - .offset:         120
        .size:           4
        .value_kind:     by_value
      - .address_space:  global
        .offset:         128
        .size:           8
        .value_kind:     global_buffer
      - .address_space:  global
        .offset:         136
        .size:           8
        .value_kind:     global_buffer
      - .offset:         144
        .size:           4
        .value_kind:     hidden_block_count_x
      - .offset:         148
        .size:           4
        .value_kind:     hidden_block_count_y
      - .offset:         152
        .size:           4
        .value_kind:     hidden_block_count_z
      - .offset:         156
        .size:           2
        .value_kind:     hidden_group_size_x
      - .offset:         158
        .size:           2
        .value_kind:     hidden_group_size_y
      - .offset:         160
        .size:           2
        .value_kind:     hidden_group_size_z
      - .offset:         162
        .size:           2
        .value_kind:     hidden_remainder_x
      - .offset:         164
        .size:           2
        .value_kind:     hidden_remainder_y
      - .offset:         166
        .size:           2
        .value_kind:     hidden_remainder_z
      - .offset:         184
        .size:           8
        .value_kind:     hidden_global_offset_x
      - .offset:         192
        .size:           8
        .value_kind:     hidden_global_offset_y
      - .offset:         200
        .size:           8
        .value_kind:     hidden_global_offset_z
      - .offset:         208
        .size:           2
        .value_kind:     hidden_grid_dims
    .group_segment_fixed_size: 8192
    .kernarg_segment_align: 8
    .kernarg_segment_size: 400
    .language:       OpenCL C
    .language_version:
      - 2
      - 0
    .max_flat_workgroup_size: 256
    .name:           _Z39paged_attention_ll4mi_QKV_mfma16_kernelIDF16_hLN4vllm18Fp8KVCacheDataTypeE1EDF16_Li16ELi64ELi256ELb1ELi4EEvPKT_PKT0_S7_ifPKiS9_S9_iPKfiiiPfSC_PS2_PT2_iSB_SB_
    .private_segment_fixed_size: 0
    .sgpr_count:     56
    .sgpr_spill_count: 0
    .symbol:         _Z39paged_attention_ll4mi_QKV_mfma16_kernelIDF16_hLN4vllm18Fp8KVCacheDataTypeE1EDF16_Li16ELi64ELi256ELb1ELi4EEvPKT_PKT0_S7_ifPKiS9_S9_iPKfiiiPfSC_PS2_PT2_iSB_SB_.kd
    .uniform_work_group_size: 1
    .uses_dynamic_stack: false
    .vgpr_count:     78
    .vgpr_spill_count: 0
    .wavefront_size: 64
  - .agpr_count:     4
    .args:
      - .actual_access:  read_only
        .address_space:  global
        .offset:         0
        .size:           8
        .value_kind:     global_buffer
      - .actual_access:  read_only
        .address_space:  global
        .offset:         8
        .size:           8
        .value_kind:     global_buffer
      - .actual_access:  read_only
        .address_space:  global
        .offset:         16
        .size:           8
        .value_kind:     global_buffer
      - .offset:         24
        .size:           4
        .value_kind:     by_value
      - .offset:         28
        .size:           4
        .value_kind:     by_value
      - .actual_access:  read_only
        .address_space:  global
        .offset:         32
        .size:           8
        .value_kind:     global_buffer
      - .actual_access:  read_only
        .address_space:  global
        .offset:         40
        .size:           8
        .value_kind:     global_buffer
      - .actual_access:  read_only
        .address_space:  global
        .offset:         48
        .size:           8
        .value_kind:     global_buffer
      - .offset:         56
        .size:           4
        .value_kind:     by_value
      - .actual_access:  read_only
        .address_space:  global
        .offset:         64
        .size:           8
        .value_kind:     global_buffer
      - .offset:         72
        .size:           4
        .value_kind:     by_value
      - .offset:         76
        .size:           4
        .value_kind:     by_value
      - .offset:         80
        .size:           4
        .value_kind:     by_value
      - .actual_access:  write_only
        .address_space:  global
        .offset:         88
        .size:           8
        .value_kind:     global_buffer
      - .actual_access:  write_only
        .address_space:  global
        .offset:         96
        .size:           8
        .value_kind:     global_buffer
      - .actual_access:  write_only
        .address_space:  global
        .offset:         104
        .size:           8
        .value_kind:     global_buffer
      - .actual_access:  read_only
        .address_space:  global
        .offset:         112
        .size:           8
        .value_kind:     global_buffer
      - .offset:         120
        .size:           4
        .value_kind:     by_value
      - .address_space:  global
        .offset:         128
        .size:           8
        .value_kind:     global_buffer
      - .address_space:  global
        .offset:         136
        .size:           8
        .value_kind:     global_buffer
      - .offset:         144
        .size:           4
        .value_kind:     hidden_block_count_x
      - .offset:         148
        .size:           4
        .value_kind:     hidden_block_count_y
      - .offset:         152
        .size:           4
        .value_kind:     hidden_block_count_z
      - .offset:         156
        .size:           2
        .value_kind:     hidden_group_size_x
      - .offset:         158
        .size:           2
        .value_kind:     hidden_group_size_y
      - .offset:         160
        .size:           2
        .value_kind:     hidden_group_size_z
      - .offset:         162
        .size:           2
        .value_kind:     hidden_remainder_x
      - .offset:         164
        .size:           2
        .value_kind:     hidden_remainder_y
      - .offset:         166
        .size:           2
        .value_kind:     hidden_remainder_z
      - .offset:         184
        .size:           8
        .value_kind:     hidden_global_offset_x
      - .offset:         192
        .size:           8
        .value_kind:     hidden_global_offset_y
      - .offset:         200
        .size:           8
        .value_kind:     hidden_global_offset_z
      - .offset:         208
        .size:           2
        .value_kind:     hidden_grid_dims
    .group_segment_fixed_size: 2720
    .kernarg_segment_align: 8
    .kernarg_segment_size: 400
    .language:       OpenCL C
    .language_version:
      - 2
      - 0
    .max_flat_workgroup_size: 256
    .name:           _Z38paged_attention_ll4mi_QKV_mfma4_kernelIDF16_hLN4vllm18Fp8KVCacheDataTypeE1EDF16_Li16ELi64ELi256ELb0ELi1EEvPKT_PKT0_S7_ifPKiS9_S9_iPKfiiiPfSC_PS2_PT2_iSB_SB_
    .private_segment_fixed_size: 0
    .sgpr_count:     48
    .sgpr_spill_count: 0
    .symbol:         _Z38paged_attention_ll4mi_QKV_mfma4_kernelIDF16_hLN4vllm18Fp8KVCacheDataTypeE1EDF16_Li16ELi64ELi256ELb0ELi1EEvPKT_PKT0_S7_ifPKiS9_S9_iPKfiiiPfSC_PS2_PT2_iSB_SB_.kd
    .uniform_work_group_size: 1
    .uses_dynamic_stack: false
    .vgpr_count:     84
    .vgpr_spill_count: 0
    .wavefront_size: 64
  - .agpr_count:     4
    .args:
      - .actual_access:  read_only
        .address_space:  global
        .offset:         0
        .size:           8
        .value_kind:     global_buffer
      - .actual_access:  read_only
        .address_space:  global
        .offset:         8
        .size:           8
        .value_kind:     global_buffer
      - .actual_access:  read_only
        .address_space:  global
        .offset:         16
        .size:           8
        .value_kind:     global_buffer
      - .offset:         24
        .size:           4
        .value_kind:     by_value
      - .offset:         28
        .size:           4
        .value_kind:     by_value
      - .actual_access:  read_only
        .address_space:  global
        .offset:         32
        .size:           8
        .value_kind:     global_buffer
      - .actual_access:  read_only
        .address_space:  global
        .offset:         40
        .size:           8
        .value_kind:     global_buffer
      - .actual_access:  read_only
        .address_space:  global
        .offset:         48
        .size:           8
        .value_kind:     global_buffer
      - .offset:         56
        .size:           4
        .value_kind:     by_value
      - .actual_access:  read_only
        .address_space:  global
        .offset:         64
        .size:           8
        .value_kind:     global_buffer
      - .offset:         72
        .size:           4
        .value_kind:     by_value
      - .offset:         76
        .size:           4
        .value_kind:     by_value
      - .offset:         80
        .size:           4
        .value_kind:     by_value
      - .actual_access:  write_only
        .address_space:  global
        .offset:         88
        .size:           8
        .value_kind:     global_buffer
      - .actual_access:  write_only
        .address_space:  global
        .offset:         96
        .size:           8
        .value_kind:     global_buffer
      - .actual_access:  write_only
        .address_space:  global
        .offset:         104
        .size:           8
        .value_kind:     global_buffer
      - .actual_access:  read_only
        .address_space:  global
        .offset:         112
        .size:           8
        .value_kind:     global_buffer
      - .offset:         120
        .size:           4
        .value_kind:     by_value
      - .address_space:  global
        .offset:         128
        .size:           8
        .value_kind:     global_buffer
      - .address_space:  global
        .offset:         136
        .size:           8
        .value_kind:     global_buffer
      - .offset:         144
        .size:           4
        .value_kind:     hidden_block_count_x
      - .offset:         148
        .size:           4
        .value_kind:     hidden_block_count_y
      - .offset:         152
        .size:           4
        .value_kind:     hidden_block_count_z
      - .offset:         156
        .size:           2
        .value_kind:     hidden_group_size_x
      - .offset:         158
        .size:           2
        .value_kind:     hidden_group_size_y
      - .offset:         160
        .size:           2
        .value_kind:     hidden_group_size_z
      - .offset:         162
        .size:           2
        .value_kind:     hidden_remainder_x
      - .offset:         164
        .size:           2
        .value_kind:     hidden_remainder_y
      - .offset:         166
        .size:           2
        .value_kind:     hidden_remainder_z
      - .offset:         184
        .size:           8
        .value_kind:     hidden_global_offset_x
      - .offset:         192
        .size:           8
        .value_kind:     hidden_global_offset_y
      - .offset:         200
        .size:           8
        .value_kind:     hidden_global_offset_z
      - .offset:         208
        .size:           2
        .value_kind:     hidden_grid_dims
    .group_segment_fixed_size: 2720
    .kernarg_segment_align: 8
    .kernarg_segment_size: 400
    .language:       OpenCL C
    .language_version:
      - 2
      - 0
    .max_flat_workgroup_size: 256
    .name:           _Z38paged_attention_ll4mi_QKV_mfma4_kernelIDF16_hLN4vllm18Fp8KVCacheDataTypeE1EDF16_Li16ELi64ELi256ELb0ELi2EEvPKT_PKT0_S7_ifPKiS9_S9_iPKfiiiPfSC_PS2_PT2_iSB_SB_
    .private_segment_fixed_size: 0
    .sgpr_count:     48
    .sgpr_spill_count: 0
    .symbol:         _Z38paged_attention_ll4mi_QKV_mfma4_kernelIDF16_hLN4vllm18Fp8KVCacheDataTypeE1EDF16_Li16ELi64ELi256ELb0ELi2EEvPKT_PKT0_S7_ifPKiS9_S9_iPKfiiiPfSC_PS2_PT2_iSB_SB_.kd
    .uniform_work_group_size: 1
    .uses_dynamic_stack: false
    .vgpr_count:     88
    .vgpr_spill_count: 0
    .wavefront_size: 64
  - .agpr_count:     4
    .args:
      - .actual_access:  read_only
        .address_space:  global
        .offset:         0
        .size:           8
        .value_kind:     global_buffer
      - .actual_access:  read_only
        .address_space:  global
        .offset:         8
        .size:           8
        .value_kind:     global_buffer
      - .actual_access:  read_only
        .address_space:  global
        .offset:         16
        .size:           8
        .value_kind:     global_buffer
      - .offset:         24
        .size:           4
        .value_kind:     by_value
      - .offset:         28
        .size:           4
        .value_kind:     by_value
      - .actual_access:  read_only
        .address_space:  global
        .offset:         32
        .size:           8
        .value_kind:     global_buffer
      - .actual_access:  read_only
        .address_space:  global
        .offset:         40
        .size:           8
        .value_kind:     global_buffer
      - .actual_access:  read_only
        .address_space:  global
        .offset:         48
        .size:           8
        .value_kind:     global_buffer
      - .offset:         56
        .size:           4
        .value_kind:     by_value
      - .actual_access:  read_only
        .address_space:  global
        .offset:         64
        .size:           8
        .value_kind:     global_buffer
      - .offset:         72
        .size:           4
        .value_kind:     by_value
      - .offset:         76
        .size:           4
        .value_kind:     by_value
      - .offset:         80
        .size:           4
        .value_kind:     by_value
      - .actual_access:  write_only
        .address_space:  global
        .offset:         88
        .size:           8
        .value_kind:     global_buffer
      - .actual_access:  write_only
        .address_space:  global
        .offset:         96
        .size:           8
        .value_kind:     global_buffer
      - .actual_access:  write_only
        .address_space:  global
        .offset:         104
        .size:           8
        .value_kind:     global_buffer
      - .actual_access:  read_only
        .address_space:  global
        .offset:         112
        .size:           8
        .value_kind:     global_buffer
      - .offset:         120
        .size:           4
        .value_kind:     by_value
      - .address_space:  global
        .offset:         128
        .size:           8
        .value_kind:     global_buffer
      - .address_space:  global
        .offset:         136
        .size:           8
        .value_kind:     global_buffer
      - .offset:         144
        .size:           4
        .value_kind:     hidden_block_count_x
      - .offset:         148
        .size:           4
        .value_kind:     hidden_block_count_y
      - .offset:         152
        .size:           4
        .value_kind:     hidden_block_count_z
      - .offset:         156
        .size:           2
        .value_kind:     hidden_group_size_x
      - .offset:         158
        .size:           2
        .value_kind:     hidden_group_size_y
      - .offset:         160
        .size:           2
        .value_kind:     hidden_group_size_z
      - .offset:         162
        .size:           2
        .value_kind:     hidden_remainder_x
      - .offset:         164
        .size:           2
        .value_kind:     hidden_remainder_y
      - .offset:         166
        .size:           2
        .value_kind:     hidden_remainder_z
      - .offset:         184
        .size:           8
        .value_kind:     hidden_global_offset_x
      - .offset:         192
        .size:           8
        .value_kind:     hidden_global_offset_y
      - .offset:         200
        .size:           8
        .value_kind:     hidden_global_offset_z
      - .offset:         208
        .size:           2
        .value_kind:     hidden_grid_dims
    .group_segment_fixed_size: 2720
    .kernarg_segment_align: 8
    .kernarg_segment_size: 400
    .language:       OpenCL C
    .language_version:
      - 2
      - 0
    .max_flat_workgroup_size: 256
    .name:           _Z38paged_attention_ll4mi_QKV_mfma4_kernelIDF16_hLN4vllm18Fp8KVCacheDataTypeE1EDF16_Li16ELi64ELi256ELb0ELi3EEvPKT_PKT0_S7_ifPKiS9_S9_iPKfiiiPfSC_PS2_PT2_iSB_SB_
    .private_segment_fixed_size: 0
    .sgpr_count:     48
    .sgpr_spill_count: 0
    .symbol:         _Z38paged_attention_ll4mi_QKV_mfma4_kernelIDF16_hLN4vllm18Fp8KVCacheDataTypeE1EDF16_Li16ELi64ELi256ELb0ELi3EEvPKT_PKT0_S7_ifPKiS9_S9_iPKfiiiPfSC_PS2_PT2_iSB_SB_.kd
    .uniform_work_group_size: 1
    .uses_dynamic_stack: false
    .vgpr_count:     84
    .vgpr_spill_count: 0
    .wavefront_size: 64
  - .agpr_count:     4
    .args:
      - .actual_access:  read_only
        .address_space:  global
        .offset:         0
        .size:           8
        .value_kind:     global_buffer
      - .actual_access:  read_only
        .address_space:  global
        .offset:         8
        .size:           8
        .value_kind:     global_buffer
      - .actual_access:  read_only
        .address_space:  global
        .offset:         16
        .size:           8
        .value_kind:     global_buffer
      - .offset:         24
        .size:           4
        .value_kind:     by_value
      - .offset:         28
        .size:           4
        .value_kind:     by_value
      - .actual_access:  read_only
        .address_space:  global
        .offset:         32
        .size:           8
        .value_kind:     global_buffer
      - .actual_access:  read_only
        .address_space:  global
        .offset:         40
        .size:           8
        .value_kind:     global_buffer
      - .actual_access:  read_only
        .address_space:  global
        .offset:         48
        .size:           8
        .value_kind:     global_buffer
      - .offset:         56
        .size:           4
        .value_kind:     by_value
      - .actual_access:  read_only
        .address_space:  global
        .offset:         64
        .size:           8
        .value_kind:     global_buffer
      - .offset:         72
        .size:           4
        .value_kind:     by_value
      - .offset:         76
        .size:           4
        .value_kind:     by_value
      - .offset:         80
        .size:           4
        .value_kind:     by_value
      - .actual_access:  write_only
        .address_space:  global
        .offset:         88
        .size:           8
        .value_kind:     global_buffer
      - .actual_access:  write_only
        .address_space:  global
        .offset:         96
        .size:           8
        .value_kind:     global_buffer
      - .actual_access:  write_only
        .address_space:  global
        .offset:         104
        .size:           8
        .value_kind:     global_buffer
      - .actual_access:  read_only
        .address_space:  global
        .offset:         112
        .size:           8
        .value_kind:     global_buffer
      - .offset:         120
        .size:           4
        .value_kind:     by_value
      - .address_space:  global
        .offset:         128
        .size:           8
        .value_kind:     global_buffer
      - .address_space:  global
        .offset:         136
        .size:           8
        .value_kind:     global_buffer
      - .offset:         144
        .size:           4
        .value_kind:     hidden_block_count_x
      - .offset:         148
        .size:           4
        .value_kind:     hidden_block_count_y
      - .offset:         152
        .size:           4
        .value_kind:     hidden_block_count_z
      - .offset:         156
        .size:           2
        .value_kind:     hidden_group_size_x
      - .offset:         158
        .size:           2
        .value_kind:     hidden_group_size_y
      - .offset:         160
        .size:           2
        .value_kind:     hidden_group_size_z
      - .offset:         162
        .size:           2
        .value_kind:     hidden_remainder_x
      - .offset:         164
        .size:           2
        .value_kind:     hidden_remainder_y
      - .offset:         166
        .size:           2
        .value_kind:     hidden_remainder_z
      - .offset:         184
        .size:           8
        .value_kind:     hidden_global_offset_x
      - .offset:         192
        .size:           8
        .value_kind:     hidden_global_offset_y
      - .offset:         200
        .size:           8
        .value_kind:     hidden_global_offset_z
      - .offset:         208
        .size:           2
        .value_kind:     hidden_grid_dims
    .group_segment_fixed_size: 2720
    .kernarg_segment_align: 8
    .kernarg_segment_size: 400
    .language:       OpenCL C
    .language_version:
      - 2
      - 0
    .max_flat_workgroup_size: 256
    .name:           _Z38paged_attention_ll4mi_QKV_mfma4_kernelIDF16_hLN4vllm18Fp8KVCacheDataTypeE1EDF16_Li16ELi64ELi256ELb0ELi4EEvPKT_PKT0_S7_ifPKiS9_S9_iPKfiiiPfSC_PS2_PT2_iSB_SB_
    .private_segment_fixed_size: 0
    .sgpr_count:     48
    .sgpr_spill_count: 0
    .symbol:         _Z38paged_attention_ll4mi_QKV_mfma4_kernelIDF16_hLN4vllm18Fp8KVCacheDataTypeE1EDF16_Li16ELi64ELi256ELb0ELi4EEvPKT_PKT0_S7_ifPKiS9_S9_iPKfiiiPfSC_PS2_PT2_iSB_SB_.kd
    .uniform_work_group_size: 1
    .uses_dynamic_stack: false
    .vgpr_count:     84
    .vgpr_spill_count: 0
    .wavefront_size: 64
  - .agpr_count:     0
    .args:
      - .actual_access:  read_only
        .address_space:  global
        .offset:         0
        .size:           8
        .value_kind:     global_buffer
      - .actual_access:  read_only
        .address_space:  global
        .offset:         8
        .size:           8
        .value_kind:     global_buffer
      - .actual_access:  read_only
        .address_space:  global
        .offset:         16
        .size:           8
        .value_kind:     global_buffer
      - .offset:         24
        .size:           4
        .value_kind:     by_value
      - .offset:         28
        .size:           4
        .value_kind:     by_value
      - .actual_access:  read_only
        .address_space:  global
        .offset:         32
        .size:           8
        .value_kind:     global_buffer
      - .actual_access:  read_only
        .address_space:  global
        .offset:         40
        .size:           8
        .value_kind:     global_buffer
      - .actual_access:  read_only
        .address_space:  global
        .offset:         48
        .size:           8
        .value_kind:     global_buffer
      - .offset:         56
        .size:           4
        .value_kind:     by_value
      - .actual_access:  read_only
        .address_space:  global
        .offset:         64
        .size:           8
        .value_kind:     global_buffer
      - .offset:         72
        .size:           4
        .value_kind:     by_value
      - .offset:         76
        .size:           4
        .value_kind:     by_value
      - .offset:         80
        .size:           4
        .value_kind:     by_value
      - .actual_access:  write_only
        .address_space:  global
        .offset:         88
        .size:           8
        .value_kind:     global_buffer
      - .actual_access:  write_only
        .address_space:  global
        .offset:         96
        .size:           8
        .value_kind:     global_buffer
      - .actual_access:  write_only
        .address_space:  global
        .offset:         104
        .size:           8
        .value_kind:     global_buffer
      - .actual_access:  read_only
        .address_space:  global
        .offset:         112
        .size:           8
        .value_kind:     global_buffer
      - .offset:         120
        .size:           4
        .value_kind:     by_value
      - .address_space:  global
        .offset:         128
        .size:           8
        .value_kind:     global_buffer
      - .address_space:  global
        .offset:         136
        .size:           8
        .value_kind:     global_buffer
      - .offset:         144
        .size:           4
        .value_kind:     hidden_block_count_x
      - .offset:         148
        .size:           4
        .value_kind:     hidden_block_count_y
      - .offset:         152
        .size:           4
        .value_kind:     hidden_block_count_z
      - .offset:         156
        .size:           2
        .value_kind:     hidden_group_size_x
      - .offset:         158
        .size:           2
        .value_kind:     hidden_group_size_y
      - .offset:         160
        .size:           2
        .value_kind:     hidden_group_size_z
      - .offset:         162
        .size:           2
        .value_kind:     hidden_remainder_x
      - .offset:         164
        .size:           2
        .value_kind:     hidden_remainder_y
      - .offset:         166
        .size:           2
        .value_kind:     hidden_remainder_z
      - .offset:         184
        .size:           8
        .value_kind:     hidden_global_offset_x
      - .offset:         192
        .size:           8
        .value_kind:     hidden_global_offset_y
      - .offset:         200
        .size:           8
        .value_kind:     hidden_global_offset_z
      - .offset:         208
        .size:           2
        .value_kind:     hidden_grid_dims
    .group_segment_fixed_size: 8192
    .kernarg_segment_align: 8
    .kernarg_segment_size: 400
    .language:       OpenCL C
    .language_version:
      - 2
      - 0
    .max_flat_workgroup_size: 256
    .name:           _Z39paged_attention_ll4mi_QKV_mfma16_kernelIDF16_hLN4vllm18Fp8KVCacheDataTypeE1EDF16_Li16ELi64ELi256ELb0ELi5EEvPKT_PKT0_S7_ifPKiS9_S9_iPKfiiiPfSC_PS2_PT2_iSB_SB_
    .private_segment_fixed_size: 0
    .sgpr_count:     56
    .sgpr_spill_count: 0
    .symbol:         _Z39paged_attention_ll4mi_QKV_mfma16_kernelIDF16_hLN4vllm18Fp8KVCacheDataTypeE1EDF16_Li16ELi64ELi256ELb0ELi5EEvPKT_PKT0_S7_ifPKiS9_S9_iPKfiiiPfSC_PS2_PT2_iSB_SB_.kd
    .uniform_work_group_size: 1
    .uses_dynamic_stack: false
    .vgpr_count:     58
    .vgpr_spill_count: 0
    .wavefront_size: 64
  - .agpr_count:     0
    .args:
      - .actual_access:  read_only
        .address_space:  global
        .offset:         0
        .size:           8
        .value_kind:     global_buffer
      - .actual_access:  read_only
        .address_space:  global
        .offset:         8
        .size:           8
        .value_kind:     global_buffer
      - .actual_access:  read_only
        .address_space:  global
        .offset:         16
        .size:           8
        .value_kind:     global_buffer
      - .offset:         24
        .size:           4
        .value_kind:     by_value
      - .offset:         28
        .size:           4
        .value_kind:     by_value
      - .actual_access:  read_only
        .address_space:  global
        .offset:         32
        .size:           8
        .value_kind:     global_buffer
      - .actual_access:  read_only
        .address_space:  global
        .offset:         40
        .size:           8
        .value_kind:     global_buffer
      - .actual_access:  read_only
        .address_space:  global
        .offset:         48
        .size:           8
        .value_kind:     global_buffer
      - .offset:         56
        .size:           4
        .value_kind:     by_value
      - .actual_access:  read_only
        .address_space:  global
        .offset:         64
        .size:           8
        .value_kind:     global_buffer
      - .offset:         72
        .size:           4
        .value_kind:     by_value
      - .offset:         76
        .size:           4
        .value_kind:     by_value
      - .offset:         80
        .size:           4
        .value_kind:     by_value
      - .actual_access:  write_only
        .address_space:  global
        .offset:         88
        .size:           8
        .value_kind:     global_buffer
      - .actual_access:  write_only
        .address_space:  global
        .offset:         96
        .size:           8
        .value_kind:     global_buffer
      - .actual_access:  write_only
        .address_space:  global
        .offset:         104
        .size:           8
        .value_kind:     global_buffer
      - .actual_access:  read_only
        .address_space:  global
        .offset:         112
        .size:           8
        .value_kind:     global_buffer
      - .offset:         120
        .size:           4
        .value_kind:     by_value
      - .address_space:  global
        .offset:         128
        .size:           8
        .value_kind:     global_buffer
      - .address_space:  global
        .offset:         136
        .size:           8
        .value_kind:     global_buffer
      - .offset:         144
        .size:           4
        .value_kind:     hidden_block_count_x
      - .offset:         148
        .size:           4
        .value_kind:     hidden_block_count_y
      - .offset:         152
        .size:           4
        .value_kind:     hidden_block_count_z
      - .offset:         156
        .size:           2
        .value_kind:     hidden_group_size_x
      - .offset:         158
        .size:           2
        .value_kind:     hidden_group_size_y
      - .offset:         160
        .size:           2
        .value_kind:     hidden_group_size_z
      - .offset:         162
        .size:           2
        .value_kind:     hidden_remainder_x
      - .offset:         164
        .size:           2
        .value_kind:     hidden_remainder_y
      - .offset:         166
        .size:           2
        .value_kind:     hidden_remainder_z
      - .offset:         184
        .size:           8
        .value_kind:     hidden_global_offset_x
      - .offset:         192
        .size:           8
        .value_kind:     hidden_global_offset_y
      - .offset:         200
        .size:           8
        .value_kind:     hidden_global_offset_z
      - .offset:         208
        .size:           2
        .value_kind:     hidden_grid_dims
    .group_segment_fixed_size: 8192
    .kernarg_segment_align: 8
    .kernarg_segment_size: 400
    .language:       OpenCL C
    .language_version:
      - 2
      - 0
    .max_flat_workgroup_size: 256
    .name:           _Z39paged_attention_ll4mi_QKV_mfma16_kernelIDF16_hLN4vllm18Fp8KVCacheDataTypeE1EDF16_Li16ELi64ELi256ELb0ELi6EEvPKT_PKT0_S7_ifPKiS9_S9_iPKfiiiPfSC_PS2_PT2_iSB_SB_
    .private_segment_fixed_size: 0
    .sgpr_count:     56
    .sgpr_spill_count: 0
    .symbol:         _Z39paged_attention_ll4mi_QKV_mfma16_kernelIDF16_hLN4vllm18Fp8KVCacheDataTypeE1EDF16_Li16ELi64ELi256ELb0ELi6EEvPKT_PKT0_S7_ifPKiS9_S9_iPKfiiiPfSC_PS2_PT2_iSB_SB_.kd
    .uniform_work_group_size: 1
    .uses_dynamic_stack: false
    .vgpr_count:     58
    .vgpr_spill_count: 0
    .wavefront_size: 64
  - .agpr_count:     0
    .args:
      - .actual_access:  read_only
        .address_space:  global
        .offset:         0
        .size:           8
        .value_kind:     global_buffer
      - .actual_access:  read_only
        .address_space:  global
        .offset:         8
        .size:           8
        .value_kind:     global_buffer
      - .actual_access:  read_only
        .address_space:  global
        .offset:         16
        .size:           8
        .value_kind:     global_buffer
      - .offset:         24
        .size:           4
        .value_kind:     by_value
      - .offset:         28
        .size:           4
        .value_kind:     by_value
      - .actual_access:  read_only
        .address_space:  global
        .offset:         32
        .size:           8
        .value_kind:     global_buffer
      - .actual_access:  read_only
        .address_space:  global
        .offset:         40
        .size:           8
        .value_kind:     global_buffer
      - .actual_access:  read_only
        .address_space:  global
        .offset:         48
        .size:           8
        .value_kind:     global_buffer
      - .offset:         56
        .size:           4
        .value_kind:     by_value
      - .actual_access:  read_only
        .address_space:  global
        .offset:         64
        .size:           8
        .value_kind:     global_buffer
      - .offset:         72
        .size:           4
        .value_kind:     by_value
      - .offset:         76
        .size:           4
        .value_kind:     by_value
      - .offset:         80
        .size:           4
        .value_kind:     by_value
      - .actual_access:  write_only
        .address_space:  global
        .offset:         88
        .size:           8
        .value_kind:     global_buffer
      - .actual_access:  write_only
        .address_space:  global
        .offset:         96
        .size:           8
        .value_kind:     global_buffer
      - .actual_access:  write_only
        .address_space:  global
        .offset:         104
        .size:           8
        .value_kind:     global_buffer
      - .actual_access:  read_only
        .address_space:  global
        .offset:         112
        .size:           8
        .value_kind:     global_buffer
      - .offset:         120
        .size:           4
        .value_kind:     by_value
      - .address_space:  global
        .offset:         128
        .size:           8
        .value_kind:     global_buffer
      - .address_space:  global
        .offset:         136
        .size:           8
        .value_kind:     global_buffer
      - .offset:         144
        .size:           4
        .value_kind:     hidden_block_count_x
      - .offset:         148
        .size:           4
        .value_kind:     hidden_block_count_y
      - .offset:         152
        .size:           4
        .value_kind:     hidden_block_count_z
      - .offset:         156
        .size:           2
        .value_kind:     hidden_group_size_x
      - .offset:         158
        .size:           2
        .value_kind:     hidden_group_size_y
      - .offset:         160
        .size:           2
        .value_kind:     hidden_group_size_z
      - .offset:         162
        .size:           2
        .value_kind:     hidden_remainder_x
      - .offset:         164
        .size:           2
        .value_kind:     hidden_remainder_y
      - .offset:         166
        .size:           2
        .value_kind:     hidden_remainder_z
      - .offset:         184
        .size:           8
        .value_kind:     hidden_global_offset_x
      - .offset:         192
        .size:           8
        .value_kind:     hidden_global_offset_y
      - .offset:         200
        .size:           8
        .value_kind:     hidden_global_offset_z
      - .offset:         208
        .size:           2
        .value_kind:     hidden_grid_dims
    .group_segment_fixed_size: 8192
    .kernarg_segment_align: 8
    .kernarg_segment_size: 400
    .language:       OpenCL C
    .language_version:
      - 2
      - 0
    .max_flat_workgroup_size: 256
    .name:           _Z39paged_attention_ll4mi_QKV_mfma16_kernelIDF16_hLN4vllm18Fp8KVCacheDataTypeE1EDF16_Li16ELi64ELi256ELb0ELi7EEvPKT_PKT0_S7_ifPKiS9_S9_iPKfiiiPfSC_PS2_PT2_iSB_SB_
    .private_segment_fixed_size: 0
    .sgpr_count:     56
    .sgpr_spill_count: 0
    .symbol:         _Z39paged_attention_ll4mi_QKV_mfma16_kernelIDF16_hLN4vllm18Fp8KVCacheDataTypeE1EDF16_Li16ELi64ELi256ELb0ELi7EEvPKT_PKT0_S7_ifPKiS9_S9_iPKfiiiPfSC_PS2_PT2_iSB_SB_.kd
    .uniform_work_group_size: 1
    .uses_dynamic_stack: false
    .vgpr_count:     58
    .vgpr_spill_count: 0
    .wavefront_size: 64
  - .agpr_count:     0
    .args:
      - .actual_access:  read_only
        .address_space:  global
        .offset:         0
        .size:           8
        .value_kind:     global_buffer
      - .actual_access:  read_only
        .address_space:  global
        .offset:         8
        .size:           8
        .value_kind:     global_buffer
      - .actual_access:  read_only
        .address_space:  global
        .offset:         16
        .size:           8
        .value_kind:     global_buffer
      - .offset:         24
        .size:           4
        .value_kind:     by_value
      - .offset:         28
        .size:           4
        .value_kind:     by_value
      - .actual_access:  read_only
        .address_space:  global
        .offset:         32
        .size:           8
        .value_kind:     global_buffer
      - .actual_access:  read_only
        .address_space:  global
        .offset:         40
        .size:           8
        .value_kind:     global_buffer
      - .actual_access:  read_only
        .address_space:  global
        .offset:         48
        .size:           8
        .value_kind:     global_buffer
      - .offset:         56
        .size:           4
        .value_kind:     by_value
      - .actual_access:  read_only
        .address_space:  global
        .offset:         64
        .size:           8
        .value_kind:     global_buffer
      - .offset:         72
        .size:           4
        .value_kind:     by_value
      - .offset:         76
        .size:           4
        .value_kind:     by_value
      - .offset:         80
        .size:           4
        .value_kind:     by_value
      - .actual_access:  write_only
        .address_space:  global
        .offset:         88
        .size:           8
        .value_kind:     global_buffer
      - .actual_access:  write_only
        .address_space:  global
        .offset:         96
        .size:           8
        .value_kind:     global_buffer
      - .actual_access:  write_only
        .address_space:  global
        .offset:         104
        .size:           8
        .value_kind:     global_buffer
      - .actual_access:  read_only
        .address_space:  global
        .offset:         112
        .size:           8
        .value_kind:     global_buffer
      - .offset:         120
        .size:           4
        .value_kind:     by_value
      - .address_space:  global
        .offset:         128
        .size:           8
        .value_kind:     global_buffer
      - .address_space:  global
        .offset:         136
        .size:           8
        .value_kind:     global_buffer
      - .offset:         144
        .size:           4
        .value_kind:     hidden_block_count_x
      - .offset:         148
        .size:           4
        .value_kind:     hidden_block_count_y
      - .offset:         152
        .size:           4
        .value_kind:     hidden_block_count_z
      - .offset:         156
        .size:           2
        .value_kind:     hidden_group_size_x
      - .offset:         158
        .size:           2
        .value_kind:     hidden_group_size_y
      - .offset:         160
        .size:           2
        .value_kind:     hidden_group_size_z
      - .offset:         162
        .size:           2
        .value_kind:     hidden_remainder_x
      - .offset:         164
        .size:           2
        .value_kind:     hidden_remainder_y
      - .offset:         166
        .size:           2
        .value_kind:     hidden_remainder_z
      - .offset:         184
        .size:           8
        .value_kind:     hidden_global_offset_x
      - .offset:         192
        .size:           8
        .value_kind:     hidden_global_offset_y
      - .offset:         200
        .size:           8
        .value_kind:     hidden_global_offset_z
      - .offset:         208
        .size:           2
        .value_kind:     hidden_grid_dims
    .group_segment_fixed_size: 8192
    .kernarg_segment_align: 8
    .kernarg_segment_size: 400
    .language:       OpenCL C
    .language_version:
      - 2
      - 0
    .max_flat_workgroup_size: 256
    .name:           _Z39paged_attention_ll4mi_QKV_mfma16_kernelIDF16_hLN4vllm18Fp8KVCacheDataTypeE1EDF16_Li16ELi64ELi256ELb0ELi8EEvPKT_PKT0_S7_ifPKiS9_S9_iPKfiiiPfSC_PS2_PT2_iSB_SB_
    .private_segment_fixed_size: 0
    .sgpr_count:     55
    .sgpr_spill_count: 0
    .symbol:         _Z39paged_attention_ll4mi_QKV_mfma16_kernelIDF16_hLN4vllm18Fp8KVCacheDataTypeE1EDF16_Li16ELi64ELi256ELb0ELi8EEvPKT_PKT0_S7_ifPKiS9_S9_iPKfiiiPfSC_PS2_PT2_iSB_SB_.kd
    .uniform_work_group_size: 1
    .uses_dynamic_stack: false
    .vgpr_count:     58
    .vgpr_spill_count: 0
    .wavefront_size: 64
  - .agpr_count:     0
    .args:
      - .actual_access:  read_only
        .address_space:  global
        .offset:         0
        .size:           8
        .value_kind:     global_buffer
      - .actual_access:  read_only
        .address_space:  global
        .offset:         8
        .size:           8
        .value_kind:     global_buffer
      - .actual_access:  read_only
        .address_space:  global
        .offset:         16
        .size:           8
        .value_kind:     global_buffer
      - .offset:         24
        .size:           4
        .value_kind:     by_value
      - .offset:         28
        .size:           4
        .value_kind:     by_value
      - .actual_access:  read_only
        .address_space:  global
        .offset:         32
        .size:           8
        .value_kind:     global_buffer
      - .actual_access:  read_only
        .address_space:  global
        .offset:         40
        .size:           8
        .value_kind:     global_buffer
      - .actual_access:  read_only
        .address_space:  global
        .offset:         48
        .size:           8
        .value_kind:     global_buffer
      - .offset:         56
        .size:           4
        .value_kind:     by_value
      - .actual_access:  read_only
        .address_space:  global
        .offset:         64
        .size:           8
        .value_kind:     global_buffer
      - .offset:         72
        .size:           4
        .value_kind:     by_value
      - .offset:         76
        .size:           4
        .value_kind:     by_value
      - .offset:         80
        .size:           4
        .value_kind:     by_value
      - .actual_access:  write_only
        .address_space:  global
        .offset:         88
        .size:           8
        .value_kind:     global_buffer
      - .actual_access:  write_only
        .address_space:  global
        .offset:         96
        .size:           8
        .value_kind:     global_buffer
      - .actual_access:  write_only
        .address_space:  global
        .offset:         104
        .size:           8
        .value_kind:     global_buffer
      - .actual_access:  read_only
        .address_space:  global
        .offset:         112
        .size:           8
        .value_kind:     global_buffer
      - .offset:         120
        .size:           4
        .value_kind:     by_value
      - .address_space:  global
        .offset:         128
        .size:           8
        .value_kind:     global_buffer
      - .address_space:  global
        .offset:         136
        .size:           8
        .value_kind:     global_buffer
      - .offset:         144
        .size:           4
        .value_kind:     hidden_block_count_x
      - .offset:         148
        .size:           4
        .value_kind:     hidden_block_count_y
      - .offset:         152
        .size:           4
        .value_kind:     hidden_block_count_z
      - .offset:         156
        .size:           2
        .value_kind:     hidden_group_size_x
      - .offset:         158
        .size:           2
        .value_kind:     hidden_group_size_y
      - .offset:         160
        .size:           2
        .value_kind:     hidden_group_size_z
      - .offset:         162
        .size:           2
        .value_kind:     hidden_remainder_x
      - .offset:         164
        .size:           2
        .value_kind:     hidden_remainder_y
      - .offset:         166
        .size:           2
        .value_kind:     hidden_remainder_z
      - .offset:         184
        .size:           8
        .value_kind:     hidden_global_offset_x
      - .offset:         192
        .size:           8
        .value_kind:     hidden_global_offset_y
      - .offset:         200
        .size:           8
        .value_kind:     hidden_global_offset_z
      - .offset:         208
        .size:           2
        .value_kind:     hidden_grid_dims
    .group_segment_fixed_size: 8192
    .kernarg_segment_align: 8
    .kernarg_segment_size: 400
    .language:       OpenCL C
    .language_version:
      - 2
      - 0
    .max_flat_workgroup_size: 256
    .name:           _Z39paged_attention_ll4mi_QKV_mfma16_kernelIDF16_hLN4vllm18Fp8KVCacheDataTypeE1EDF16_Li16ELi64ELi256ELb0ELi9EEvPKT_PKT0_S7_ifPKiS9_S9_iPKfiiiPfSC_PS2_PT2_iSB_SB_
    .private_segment_fixed_size: 0
    .sgpr_count:     56
    .sgpr_spill_count: 0
    .symbol:         _Z39paged_attention_ll4mi_QKV_mfma16_kernelIDF16_hLN4vllm18Fp8KVCacheDataTypeE1EDF16_Li16ELi64ELi256ELb0ELi9EEvPKT_PKT0_S7_ifPKiS9_S9_iPKfiiiPfSC_PS2_PT2_iSB_SB_.kd
    .uniform_work_group_size: 1
    .uses_dynamic_stack: false
    .vgpr_count:     58
    .vgpr_spill_count: 0
    .wavefront_size: 64
  - .agpr_count:     0
    .args:
      - .actual_access:  read_only
        .address_space:  global
        .offset:         0
        .size:           8
        .value_kind:     global_buffer
      - .actual_access:  read_only
        .address_space:  global
        .offset:         8
        .size:           8
        .value_kind:     global_buffer
      - .actual_access:  read_only
        .address_space:  global
        .offset:         16
        .size:           8
        .value_kind:     global_buffer
      - .offset:         24
        .size:           4
        .value_kind:     by_value
      - .offset:         28
        .size:           4
        .value_kind:     by_value
      - .actual_access:  read_only
        .address_space:  global
        .offset:         32
        .size:           8
        .value_kind:     global_buffer
      - .actual_access:  read_only
        .address_space:  global
        .offset:         40
        .size:           8
        .value_kind:     global_buffer
      - .actual_access:  read_only
        .address_space:  global
        .offset:         48
        .size:           8
        .value_kind:     global_buffer
      - .offset:         56
        .size:           4
        .value_kind:     by_value
      - .actual_access:  read_only
        .address_space:  global
        .offset:         64
        .size:           8
        .value_kind:     global_buffer
      - .offset:         72
        .size:           4
        .value_kind:     by_value
      - .offset:         76
        .size:           4
        .value_kind:     by_value
      - .offset:         80
        .size:           4
        .value_kind:     by_value
      - .actual_access:  write_only
        .address_space:  global
        .offset:         88
        .size:           8
        .value_kind:     global_buffer
      - .actual_access:  write_only
        .address_space:  global
        .offset:         96
        .size:           8
        .value_kind:     global_buffer
      - .actual_access:  write_only
        .address_space:  global
        .offset:         104
        .size:           8
        .value_kind:     global_buffer
      - .actual_access:  read_only
        .address_space:  global
        .offset:         112
        .size:           8
        .value_kind:     global_buffer
      - .offset:         120
        .size:           4
        .value_kind:     by_value
      - .address_space:  global
        .offset:         128
        .size:           8
        .value_kind:     global_buffer
      - .address_space:  global
        .offset:         136
        .size:           8
        .value_kind:     global_buffer
      - .offset:         144
        .size:           4
        .value_kind:     hidden_block_count_x
      - .offset:         148
        .size:           4
        .value_kind:     hidden_block_count_y
      - .offset:         152
        .size:           4
        .value_kind:     hidden_block_count_z
      - .offset:         156
        .size:           2
        .value_kind:     hidden_group_size_x
      - .offset:         158
        .size:           2
        .value_kind:     hidden_group_size_y
      - .offset:         160
        .size:           2
        .value_kind:     hidden_group_size_z
      - .offset:         162
        .size:           2
        .value_kind:     hidden_remainder_x
      - .offset:         164
        .size:           2
        .value_kind:     hidden_remainder_y
      - .offset:         166
        .size:           2
        .value_kind:     hidden_remainder_z
      - .offset:         184
        .size:           8
        .value_kind:     hidden_global_offset_x
      - .offset:         192
        .size:           8
        .value_kind:     hidden_global_offset_y
      - .offset:         200
        .size:           8
        .value_kind:     hidden_global_offset_z
      - .offset:         208
        .size:           2
        .value_kind:     hidden_grid_dims
    .group_segment_fixed_size: 8192
    .kernarg_segment_align: 8
    .kernarg_segment_size: 400
    .language:       OpenCL C
    .language_version:
      - 2
      - 0
    .max_flat_workgroup_size: 256
    .name:           _Z39paged_attention_ll4mi_QKV_mfma16_kernelIDF16_hLN4vllm18Fp8KVCacheDataTypeE1EDF16_Li16ELi64ELi256ELb0ELi10EEvPKT_PKT0_S7_ifPKiS9_S9_iPKfiiiPfSC_PS2_PT2_iSB_SB_
    .private_segment_fixed_size: 0
    .sgpr_count:     56
    .sgpr_spill_count: 0
    .symbol:         _Z39paged_attention_ll4mi_QKV_mfma16_kernelIDF16_hLN4vllm18Fp8KVCacheDataTypeE1EDF16_Li16ELi64ELi256ELb0ELi10EEvPKT_PKT0_S7_ifPKiS9_S9_iPKfiiiPfSC_PS2_PT2_iSB_SB_.kd
    .uniform_work_group_size: 1
    .uses_dynamic_stack: false
    .vgpr_count:     58
    .vgpr_spill_count: 0
    .wavefront_size: 64
  - .agpr_count:     0
    .args:
      - .actual_access:  read_only
        .address_space:  global
        .offset:         0
        .size:           8
        .value_kind:     global_buffer
      - .actual_access:  read_only
        .address_space:  global
        .offset:         8
        .size:           8
        .value_kind:     global_buffer
      - .actual_access:  read_only
        .address_space:  global
        .offset:         16
        .size:           8
        .value_kind:     global_buffer
      - .offset:         24
        .size:           4
        .value_kind:     by_value
      - .offset:         28
        .size:           4
        .value_kind:     by_value
      - .actual_access:  read_only
        .address_space:  global
        .offset:         32
        .size:           8
        .value_kind:     global_buffer
      - .actual_access:  read_only
        .address_space:  global
        .offset:         40
        .size:           8
        .value_kind:     global_buffer
      - .actual_access:  read_only
        .address_space:  global
        .offset:         48
        .size:           8
        .value_kind:     global_buffer
      - .offset:         56
        .size:           4
        .value_kind:     by_value
      - .actual_access:  read_only
        .address_space:  global
        .offset:         64
        .size:           8
        .value_kind:     global_buffer
      - .offset:         72
        .size:           4
        .value_kind:     by_value
      - .offset:         76
        .size:           4
        .value_kind:     by_value
      - .offset:         80
        .size:           4
        .value_kind:     by_value
      - .actual_access:  write_only
        .address_space:  global
        .offset:         88
        .size:           8
        .value_kind:     global_buffer
      - .actual_access:  write_only
        .address_space:  global
        .offset:         96
        .size:           8
        .value_kind:     global_buffer
      - .actual_access:  write_only
        .address_space:  global
        .offset:         104
        .size:           8
        .value_kind:     global_buffer
      - .actual_access:  read_only
        .address_space:  global
        .offset:         112
        .size:           8
        .value_kind:     global_buffer
      - .offset:         120
        .size:           4
        .value_kind:     by_value
      - .address_space:  global
        .offset:         128
        .size:           8
        .value_kind:     global_buffer
      - .address_space:  global
        .offset:         136
        .size:           8
        .value_kind:     global_buffer
      - .offset:         144
        .size:           4
        .value_kind:     hidden_block_count_x
      - .offset:         148
        .size:           4
        .value_kind:     hidden_block_count_y
      - .offset:         152
        .size:           4
        .value_kind:     hidden_block_count_z
      - .offset:         156
        .size:           2
        .value_kind:     hidden_group_size_x
      - .offset:         158
        .size:           2
        .value_kind:     hidden_group_size_y
      - .offset:         160
        .size:           2
        .value_kind:     hidden_group_size_z
      - .offset:         162
        .size:           2
        .value_kind:     hidden_remainder_x
      - .offset:         164
        .size:           2
        .value_kind:     hidden_remainder_y
      - .offset:         166
        .size:           2
        .value_kind:     hidden_remainder_z
      - .offset:         184
        .size:           8
        .value_kind:     hidden_global_offset_x
      - .offset:         192
        .size:           8
        .value_kind:     hidden_global_offset_y
      - .offset:         200
        .size:           8
        .value_kind:     hidden_global_offset_z
      - .offset:         208
        .size:           2
        .value_kind:     hidden_grid_dims
    .group_segment_fixed_size: 8192
    .kernarg_segment_align: 8
    .kernarg_segment_size: 400
    .language:       OpenCL C
    .language_version:
      - 2
      - 0
    .max_flat_workgroup_size: 256
    .name:           _Z39paged_attention_ll4mi_QKV_mfma16_kernelIDF16_hLN4vllm18Fp8KVCacheDataTypeE1EDF16_Li16ELi64ELi256ELb0ELi11EEvPKT_PKT0_S7_ifPKiS9_S9_iPKfiiiPfSC_PS2_PT2_iSB_SB_
    .private_segment_fixed_size: 0
    .sgpr_count:     56
    .sgpr_spill_count: 0
    .symbol:         _Z39paged_attention_ll4mi_QKV_mfma16_kernelIDF16_hLN4vllm18Fp8KVCacheDataTypeE1EDF16_Li16ELi64ELi256ELb0ELi11EEvPKT_PKT0_S7_ifPKiS9_S9_iPKfiiiPfSC_PS2_PT2_iSB_SB_.kd
    .uniform_work_group_size: 1
    .uses_dynamic_stack: false
    .vgpr_count:     58
    .vgpr_spill_count: 0
    .wavefront_size: 64
  - .agpr_count:     0
    .args:
      - .actual_access:  read_only
        .address_space:  global
        .offset:         0
        .size:           8
        .value_kind:     global_buffer
      - .actual_access:  read_only
        .address_space:  global
        .offset:         8
        .size:           8
        .value_kind:     global_buffer
      - .actual_access:  read_only
        .address_space:  global
        .offset:         16
        .size:           8
        .value_kind:     global_buffer
      - .offset:         24
        .size:           4
        .value_kind:     by_value
      - .offset:         28
        .size:           4
        .value_kind:     by_value
      - .actual_access:  read_only
        .address_space:  global
        .offset:         32
        .size:           8
        .value_kind:     global_buffer
      - .actual_access:  read_only
        .address_space:  global
        .offset:         40
        .size:           8
        .value_kind:     global_buffer
      - .actual_access:  read_only
        .address_space:  global
        .offset:         48
        .size:           8
        .value_kind:     global_buffer
      - .offset:         56
        .size:           4
        .value_kind:     by_value
      - .actual_access:  read_only
        .address_space:  global
        .offset:         64
        .size:           8
        .value_kind:     global_buffer
      - .offset:         72
        .size:           4
        .value_kind:     by_value
      - .offset:         76
        .size:           4
        .value_kind:     by_value
      - .offset:         80
        .size:           4
        .value_kind:     by_value
      - .actual_access:  write_only
        .address_space:  global
        .offset:         88
        .size:           8
        .value_kind:     global_buffer
      - .actual_access:  write_only
        .address_space:  global
        .offset:         96
        .size:           8
        .value_kind:     global_buffer
      - .actual_access:  write_only
        .address_space:  global
        .offset:         104
        .size:           8
        .value_kind:     global_buffer
      - .actual_access:  read_only
        .address_space:  global
        .offset:         112
        .size:           8
        .value_kind:     global_buffer
      - .offset:         120
        .size:           4
        .value_kind:     by_value
      - .address_space:  global
        .offset:         128
        .size:           8
        .value_kind:     global_buffer
      - .address_space:  global
        .offset:         136
        .size:           8
        .value_kind:     global_buffer
      - .offset:         144
        .size:           4
        .value_kind:     hidden_block_count_x
      - .offset:         148
        .size:           4
        .value_kind:     hidden_block_count_y
      - .offset:         152
        .size:           4
        .value_kind:     hidden_block_count_z
      - .offset:         156
        .size:           2
        .value_kind:     hidden_group_size_x
      - .offset:         158
        .size:           2
        .value_kind:     hidden_group_size_y
      - .offset:         160
        .size:           2
        .value_kind:     hidden_group_size_z
      - .offset:         162
        .size:           2
        .value_kind:     hidden_remainder_x
      - .offset:         164
        .size:           2
        .value_kind:     hidden_remainder_y
      - .offset:         166
        .size:           2
        .value_kind:     hidden_remainder_z
      - .offset:         184
        .size:           8
        .value_kind:     hidden_global_offset_x
      - .offset:         192
        .size:           8
        .value_kind:     hidden_global_offset_y
      - .offset:         200
        .size:           8
        .value_kind:     hidden_global_offset_z
      - .offset:         208
        .size:           2
        .value_kind:     hidden_grid_dims
    .group_segment_fixed_size: 8192
    .kernarg_segment_align: 8
    .kernarg_segment_size: 400
    .language:       OpenCL C
    .language_version:
      - 2
      - 0
    .max_flat_workgroup_size: 256
    .name:           _Z39paged_attention_ll4mi_QKV_mfma16_kernelIDF16_hLN4vllm18Fp8KVCacheDataTypeE1EDF16_Li16ELi64ELi256ELb0ELi12EEvPKT_PKT0_S7_ifPKiS9_S9_iPKfiiiPfSC_PS2_PT2_iSB_SB_
    .private_segment_fixed_size: 0
    .sgpr_count:     56
    .sgpr_spill_count: 0
    .symbol:         _Z39paged_attention_ll4mi_QKV_mfma16_kernelIDF16_hLN4vllm18Fp8KVCacheDataTypeE1EDF16_Li16ELi64ELi256ELb0ELi12EEvPKT_PKT0_S7_ifPKiS9_S9_iPKfiiiPfSC_PS2_PT2_iSB_SB_.kd
    .uniform_work_group_size: 1
    .uses_dynamic_stack: false
    .vgpr_count:     58
    .vgpr_spill_count: 0
    .wavefront_size: 64
  - .agpr_count:     0
    .args:
      - .actual_access:  read_only
        .address_space:  global
        .offset:         0
        .size:           8
        .value_kind:     global_buffer
      - .actual_access:  read_only
        .address_space:  global
        .offset:         8
        .size:           8
        .value_kind:     global_buffer
      - .actual_access:  read_only
        .address_space:  global
        .offset:         16
        .size:           8
        .value_kind:     global_buffer
      - .offset:         24
        .size:           4
        .value_kind:     by_value
      - .offset:         28
        .size:           4
        .value_kind:     by_value
      - .actual_access:  read_only
        .address_space:  global
        .offset:         32
        .size:           8
        .value_kind:     global_buffer
      - .actual_access:  read_only
        .address_space:  global
        .offset:         40
        .size:           8
        .value_kind:     global_buffer
      - .actual_access:  read_only
        .address_space:  global
        .offset:         48
        .size:           8
        .value_kind:     global_buffer
      - .offset:         56
        .size:           4
        .value_kind:     by_value
      - .actual_access:  read_only
        .address_space:  global
        .offset:         64
        .size:           8
        .value_kind:     global_buffer
      - .offset:         72
        .size:           4
        .value_kind:     by_value
      - .offset:         76
        .size:           4
        .value_kind:     by_value
      - .offset:         80
        .size:           4
        .value_kind:     by_value
      - .actual_access:  write_only
        .address_space:  global
        .offset:         88
        .size:           8
        .value_kind:     global_buffer
      - .actual_access:  write_only
        .address_space:  global
        .offset:         96
        .size:           8
        .value_kind:     global_buffer
      - .actual_access:  write_only
        .address_space:  global
        .offset:         104
        .size:           8
        .value_kind:     global_buffer
      - .actual_access:  read_only
        .address_space:  global
        .offset:         112
        .size:           8
        .value_kind:     global_buffer
      - .offset:         120
        .size:           4
        .value_kind:     by_value
      - .address_space:  global
        .offset:         128
        .size:           8
        .value_kind:     global_buffer
      - .address_space:  global
        .offset:         136
        .size:           8
        .value_kind:     global_buffer
      - .offset:         144
        .size:           4
        .value_kind:     hidden_block_count_x
      - .offset:         148
        .size:           4
        .value_kind:     hidden_block_count_y
      - .offset:         152
        .size:           4
        .value_kind:     hidden_block_count_z
      - .offset:         156
        .size:           2
        .value_kind:     hidden_group_size_x
      - .offset:         158
        .size:           2
        .value_kind:     hidden_group_size_y
      - .offset:         160
        .size:           2
        .value_kind:     hidden_group_size_z
      - .offset:         162
        .size:           2
        .value_kind:     hidden_remainder_x
      - .offset:         164
        .size:           2
        .value_kind:     hidden_remainder_y
      - .offset:         166
        .size:           2
        .value_kind:     hidden_remainder_z
      - .offset:         184
        .size:           8
        .value_kind:     hidden_global_offset_x
      - .offset:         192
        .size:           8
        .value_kind:     hidden_global_offset_y
      - .offset:         200
        .size:           8
        .value_kind:     hidden_global_offset_z
      - .offset:         208
        .size:           2
        .value_kind:     hidden_grid_dims
    .group_segment_fixed_size: 8192
    .kernarg_segment_align: 8
    .kernarg_segment_size: 400
    .language:       OpenCL C
    .language_version:
      - 2
      - 0
    .max_flat_workgroup_size: 256
    .name:           _Z39paged_attention_ll4mi_QKV_mfma16_kernelIDF16_hLN4vllm18Fp8KVCacheDataTypeE1EDF16_Li16ELi64ELi256ELb0ELi13EEvPKT_PKT0_S7_ifPKiS9_S9_iPKfiiiPfSC_PS2_PT2_iSB_SB_
    .private_segment_fixed_size: 0
    .sgpr_count:     56
    .sgpr_spill_count: 0
    .symbol:         _Z39paged_attention_ll4mi_QKV_mfma16_kernelIDF16_hLN4vllm18Fp8KVCacheDataTypeE1EDF16_Li16ELi64ELi256ELb0ELi13EEvPKT_PKT0_S7_ifPKiS9_S9_iPKfiiiPfSC_PS2_PT2_iSB_SB_.kd
    .uniform_work_group_size: 1
    .uses_dynamic_stack: false
    .vgpr_count:     58
    .vgpr_spill_count: 0
    .wavefront_size: 64
  - .agpr_count:     0
    .args:
      - .actual_access:  read_only
        .address_space:  global
        .offset:         0
        .size:           8
        .value_kind:     global_buffer
      - .actual_access:  read_only
        .address_space:  global
        .offset:         8
        .size:           8
        .value_kind:     global_buffer
      - .actual_access:  read_only
        .address_space:  global
        .offset:         16
        .size:           8
        .value_kind:     global_buffer
      - .offset:         24
        .size:           4
        .value_kind:     by_value
      - .offset:         28
        .size:           4
        .value_kind:     by_value
      - .actual_access:  read_only
        .address_space:  global
        .offset:         32
        .size:           8
        .value_kind:     global_buffer
      - .actual_access:  read_only
        .address_space:  global
        .offset:         40
        .size:           8
        .value_kind:     global_buffer
      - .actual_access:  read_only
        .address_space:  global
        .offset:         48
        .size:           8
        .value_kind:     global_buffer
      - .offset:         56
        .size:           4
        .value_kind:     by_value
      - .actual_access:  read_only
        .address_space:  global
        .offset:         64
        .size:           8
        .value_kind:     global_buffer
      - .offset:         72
        .size:           4
        .value_kind:     by_value
      - .offset:         76
        .size:           4
        .value_kind:     by_value
      - .offset:         80
        .size:           4
        .value_kind:     by_value
      - .actual_access:  write_only
        .address_space:  global
        .offset:         88
        .size:           8
        .value_kind:     global_buffer
      - .actual_access:  write_only
        .address_space:  global
        .offset:         96
        .size:           8
        .value_kind:     global_buffer
      - .actual_access:  write_only
        .address_space:  global
        .offset:         104
        .size:           8
        .value_kind:     global_buffer
      - .actual_access:  read_only
        .address_space:  global
        .offset:         112
        .size:           8
        .value_kind:     global_buffer
      - .offset:         120
        .size:           4
        .value_kind:     by_value
      - .address_space:  global
        .offset:         128
        .size:           8
        .value_kind:     global_buffer
      - .address_space:  global
        .offset:         136
        .size:           8
        .value_kind:     global_buffer
      - .offset:         144
        .size:           4
        .value_kind:     hidden_block_count_x
      - .offset:         148
        .size:           4
        .value_kind:     hidden_block_count_y
      - .offset:         152
        .size:           4
        .value_kind:     hidden_block_count_z
      - .offset:         156
        .size:           2
        .value_kind:     hidden_group_size_x
      - .offset:         158
        .size:           2
        .value_kind:     hidden_group_size_y
      - .offset:         160
        .size:           2
        .value_kind:     hidden_group_size_z
      - .offset:         162
        .size:           2
        .value_kind:     hidden_remainder_x
      - .offset:         164
        .size:           2
        .value_kind:     hidden_remainder_y
      - .offset:         166
        .size:           2
        .value_kind:     hidden_remainder_z
      - .offset:         184
        .size:           8
        .value_kind:     hidden_global_offset_x
      - .offset:         192
        .size:           8
        .value_kind:     hidden_global_offset_y
      - .offset:         200
        .size:           8
        .value_kind:     hidden_global_offset_z
      - .offset:         208
        .size:           2
        .value_kind:     hidden_grid_dims
    .group_segment_fixed_size: 8192
    .kernarg_segment_align: 8
    .kernarg_segment_size: 400
    .language:       OpenCL C
    .language_version:
      - 2
      - 0
    .max_flat_workgroup_size: 256
    .name:           _Z39paged_attention_ll4mi_QKV_mfma16_kernelIDF16_hLN4vllm18Fp8KVCacheDataTypeE1EDF16_Li16ELi64ELi256ELb0ELi14EEvPKT_PKT0_S7_ifPKiS9_S9_iPKfiiiPfSC_PS2_PT2_iSB_SB_
    .private_segment_fixed_size: 0
    .sgpr_count:     56
    .sgpr_spill_count: 0
    .symbol:         _Z39paged_attention_ll4mi_QKV_mfma16_kernelIDF16_hLN4vllm18Fp8KVCacheDataTypeE1EDF16_Li16ELi64ELi256ELb0ELi14EEvPKT_PKT0_S7_ifPKiS9_S9_iPKfiiiPfSC_PS2_PT2_iSB_SB_.kd
    .uniform_work_group_size: 1
    .uses_dynamic_stack: false
    .vgpr_count:     58
    .vgpr_spill_count: 0
    .wavefront_size: 64
  - .agpr_count:     0
    .args:
      - .actual_access:  read_only
        .address_space:  global
        .offset:         0
        .size:           8
        .value_kind:     global_buffer
      - .actual_access:  read_only
        .address_space:  global
        .offset:         8
        .size:           8
        .value_kind:     global_buffer
      - .actual_access:  read_only
        .address_space:  global
        .offset:         16
        .size:           8
        .value_kind:     global_buffer
      - .offset:         24
        .size:           4
        .value_kind:     by_value
      - .offset:         28
        .size:           4
        .value_kind:     by_value
      - .actual_access:  read_only
        .address_space:  global
        .offset:         32
        .size:           8
        .value_kind:     global_buffer
      - .actual_access:  read_only
        .address_space:  global
        .offset:         40
        .size:           8
        .value_kind:     global_buffer
      - .actual_access:  read_only
        .address_space:  global
        .offset:         48
        .size:           8
        .value_kind:     global_buffer
      - .offset:         56
        .size:           4
        .value_kind:     by_value
      - .actual_access:  read_only
        .address_space:  global
        .offset:         64
        .size:           8
        .value_kind:     global_buffer
      - .offset:         72
        .size:           4
        .value_kind:     by_value
      - .offset:         76
        .size:           4
        .value_kind:     by_value
      - .offset:         80
        .size:           4
        .value_kind:     by_value
      - .actual_access:  write_only
        .address_space:  global
        .offset:         88
        .size:           8
        .value_kind:     global_buffer
      - .actual_access:  write_only
        .address_space:  global
        .offset:         96
        .size:           8
        .value_kind:     global_buffer
      - .actual_access:  write_only
        .address_space:  global
        .offset:         104
        .size:           8
        .value_kind:     global_buffer
      - .actual_access:  read_only
        .address_space:  global
        .offset:         112
        .size:           8
        .value_kind:     global_buffer
      - .offset:         120
        .size:           4
        .value_kind:     by_value
      - .address_space:  global
        .offset:         128
        .size:           8
        .value_kind:     global_buffer
      - .address_space:  global
        .offset:         136
        .size:           8
        .value_kind:     global_buffer
      - .offset:         144
        .size:           4
        .value_kind:     hidden_block_count_x
      - .offset:         148
        .size:           4
        .value_kind:     hidden_block_count_y
      - .offset:         152
        .size:           4
        .value_kind:     hidden_block_count_z
      - .offset:         156
        .size:           2
        .value_kind:     hidden_group_size_x
      - .offset:         158
        .size:           2
        .value_kind:     hidden_group_size_y
      - .offset:         160
        .size:           2
        .value_kind:     hidden_group_size_z
      - .offset:         162
        .size:           2
        .value_kind:     hidden_remainder_x
      - .offset:         164
        .size:           2
        .value_kind:     hidden_remainder_y
      - .offset:         166
        .size:           2
        .value_kind:     hidden_remainder_z
      - .offset:         184
        .size:           8
        .value_kind:     hidden_global_offset_x
      - .offset:         192
        .size:           8
        .value_kind:     hidden_global_offset_y
      - .offset:         200
        .size:           8
        .value_kind:     hidden_global_offset_z
      - .offset:         208
        .size:           2
        .value_kind:     hidden_grid_dims
    .group_segment_fixed_size: 8192
    .kernarg_segment_align: 8
    .kernarg_segment_size: 400
    .language:       OpenCL C
    .language_version:
      - 2
      - 0
    .max_flat_workgroup_size: 256
    .name:           _Z39paged_attention_ll4mi_QKV_mfma16_kernelIDF16_hLN4vllm18Fp8KVCacheDataTypeE1EDF16_Li16ELi64ELi256ELb0ELi15EEvPKT_PKT0_S7_ifPKiS9_S9_iPKfiiiPfSC_PS2_PT2_iSB_SB_
    .private_segment_fixed_size: 0
    .sgpr_count:     56
    .sgpr_spill_count: 0
    .symbol:         _Z39paged_attention_ll4mi_QKV_mfma16_kernelIDF16_hLN4vllm18Fp8KVCacheDataTypeE1EDF16_Li16ELi64ELi256ELb0ELi15EEvPKT_PKT0_S7_ifPKiS9_S9_iPKfiiiPfSC_PS2_PT2_iSB_SB_.kd
    .uniform_work_group_size: 1
    .uses_dynamic_stack: false
    .vgpr_count:     58
    .vgpr_spill_count: 0
    .wavefront_size: 64
  - .agpr_count:     0
    .args:
      - .actual_access:  read_only
        .address_space:  global
        .offset:         0
        .size:           8
        .value_kind:     global_buffer
      - .actual_access:  read_only
        .address_space:  global
        .offset:         8
        .size:           8
        .value_kind:     global_buffer
      - .actual_access:  read_only
        .address_space:  global
        .offset:         16
        .size:           8
        .value_kind:     global_buffer
      - .offset:         24
        .size:           4
        .value_kind:     by_value
      - .offset:         28
        .size:           4
        .value_kind:     by_value
      - .actual_access:  read_only
        .address_space:  global
        .offset:         32
        .size:           8
        .value_kind:     global_buffer
      - .actual_access:  read_only
        .address_space:  global
        .offset:         40
        .size:           8
        .value_kind:     global_buffer
      - .actual_access:  read_only
        .address_space:  global
        .offset:         48
        .size:           8
        .value_kind:     global_buffer
      - .offset:         56
        .size:           4
        .value_kind:     by_value
      - .actual_access:  read_only
        .address_space:  global
        .offset:         64
        .size:           8
        .value_kind:     global_buffer
      - .offset:         72
        .size:           4
        .value_kind:     by_value
      - .offset:         76
        .size:           4
        .value_kind:     by_value
      - .offset:         80
        .size:           4
        .value_kind:     by_value
      - .actual_access:  write_only
        .address_space:  global
        .offset:         88
        .size:           8
        .value_kind:     global_buffer
      - .actual_access:  write_only
        .address_space:  global
        .offset:         96
        .size:           8
        .value_kind:     global_buffer
      - .actual_access:  write_only
        .address_space:  global
        .offset:         104
        .size:           8
        .value_kind:     global_buffer
      - .actual_access:  read_only
        .address_space:  global
        .offset:         112
        .size:           8
        .value_kind:     global_buffer
      - .offset:         120
        .size:           4
        .value_kind:     by_value
      - .address_space:  global
        .offset:         128
        .size:           8
        .value_kind:     global_buffer
      - .address_space:  global
        .offset:         136
        .size:           8
        .value_kind:     global_buffer
      - .offset:         144
        .size:           4
        .value_kind:     hidden_block_count_x
      - .offset:         148
        .size:           4
        .value_kind:     hidden_block_count_y
      - .offset:         152
        .size:           4
        .value_kind:     hidden_block_count_z
      - .offset:         156
        .size:           2
        .value_kind:     hidden_group_size_x
      - .offset:         158
        .size:           2
        .value_kind:     hidden_group_size_y
      - .offset:         160
        .size:           2
        .value_kind:     hidden_group_size_z
      - .offset:         162
        .size:           2
        .value_kind:     hidden_remainder_x
      - .offset:         164
        .size:           2
        .value_kind:     hidden_remainder_y
      - .offset:         166
        .size:           2
        .value_kind:     hidden_remainder_z
      - .offset:         184
        .size:           8
        .value_kind:     hidden_global_offset_x
      - .offset:         192
        .size:           8
        .value_kind:     hidden_global_offset_y
      - .offset:         200
        .size:           8
        .value_kind:     hidden_global_offset_z
      - .offset:         208
        .size:           2
        .value_kind:     hidden_grid_dims
    .group_segment_fixed_size: 8192
    .kernarg_segment_align: 8
    .kernarg_segment_size: 400
    .language:       OpenCL C
    .language_version:
      - 2
      - 0
    .max_flat_workgroup_size: 256
    .name:           _Z39paged_attention_ll4mi_QKV_mfma16_kernelIDF16_hLN4vllm18Fp8KVCacheDataTypeE1EDF16_Li16ELi64ELi256ELb0ELi16EEvPKT_PKT0_S7_ifPKiS9_S9_iPKfiiiPfSC_PS2_PT2_iSB_SB_
    .private_segment_fixed_size: 0
    .sgpr_count:     55
    .sgpr_spill_count: 0
    .symbol:         _Z39paged_attention_ll4mi_QKV_mfma16_kernelIDF16_hLN4vllm18Fp8KVCacheDataTypeE1EDF16_Li16ELi64ELi256ELb0ELi16EEvPKT_PKT0_S7_ifPKiS9_S9_iPKfiiiPfSC_PS2_PT2_iSB_SB_.kd
    .uniform_work_group_size: 1
    .uses_dynamic_stack: false
    .vgpr_count:     60
    .vgpr_spill_count: 0
    .wavefront_size: 64
  - .agpr_count:     0
    .args:
      - .actual_access:  read_only
        .address_space:  global
        .offset:         0
        .size:           8
        .value_kind:     global_buffer
      - .actual_access:  read_only
        .address_space:  global
        .offset:         8
        .size:           8
        .value_kind:     global_buffer
      - .actual_access:  read_only
        .address_space:  global
        .offset:         16
        .size:           8
        .value_kind:     global_buffer
      - .offset:         24
        .size:           4
        .value_kind:     by_value
      - .offset:         28
        .size:           4
        .value_kind:     by_value
      - .actual_access:  read_only
        .address_space:  global
        .offset:         32
        .size:           8
        .value_kind:     global_buffer
      - .actual_access:  read_only
        .address_space:  global
        .offset:         40
        .size:           8
        .value_kind:     global_buffer
      - .actual_access:  read_only
        .address_space:  global
        .offset:         48
        .size:           8
        .value_kind:     global_buffer
      - .offset:         56
        .size:           4
        .value_kind:     by_value
      - .actual_access:  read_only
        .address_space:  global
        .offset:         64
        .size:           8
        .value_kind:     global_buffer
      - .offset:         72
        .size:           4
        .value_kind:     by_value
      - .offset:         76
        .size:           4
        .value_kind:     by_value
      - .offset:         80
        .size:           4
        .value_kind:     by_value
      - .actual_access:  write_only
        .address_space:  global
        .offset:         88
        .size:           8
        .value_kind:     global_buffer
      - .actual_access:  write_only
        .address_space:  global
        .offset:         96
        .size:           8
        .value_kind:     global_buffer
      - .actual_access:  write_only
        .address_space:  global
        .offset:         104
        .size:           8
        .value_kind:     global_buffer
      - .actual_access:  read_only
        .address_space:  global
        .offset:         112
        .size:           8
        .value_kind:     global_buffer
      - .offset:         120
        .size:           4
        .value_kind:     by_value
      - .address_space:  global
        .offset:         128
        .size:           8
        .value_kind:     global_buffer
      - .address_space:  global
        .offset:         136
        .size:           8
        .value_kind:     global_buffer
      - .offset:         144
        .size:           4
        .value_kind:     hidden_block_count_x
      - .offset:         148
        .size:           4
        .value_kind:     hidden_block_count_y
      - .offset:         152
        .size:           4
        .value_kind:     hidden_block_count_z
      - .offset:         156
        .size:           2
        .value_kind:     hidden_group_size_x
      - .offset:         158
        .size:           2
        .value_kind:     hidden_group_size_y
      - .offset:         160
        .size:           2
        .value_kind:     hidden_group_size_z
      - .offset:         162
        .size:           2
        .value_kind:     hidden_remainder_x
      - .offset:         164
        .size:           2
        .value_kind:     hidden_remainder_y
      - .offset:         166
        .size:           2
        .value_kind:     hidden_remainder_z
      - .offset:         184
        .size:           8
        .value_kind:     hidden_global_offset_x
      - .offset:         192
        .size:           8
        .value_kind:     hidden_global_offset_y
      - .offset:         200
        .size:           8
        .value_kind:     hidden_global_offset_z
      - .offset:         208
        .size:           2
        .value_kind:     hidden_grid_dims
    .group_segment_fixed_size: 8192
    .kernarg_segment_align: 8
    .kernarg_segment_size: 400
    .language:       OpenCL C
    .language_version:
      - 2
      - 0
    .max_flat_workgroup_size: 256
    .name:           _Z39paged_attention_ll4mi_QKV_mfma16_kernelIDF16_hLN4vllm18Fp8KVCacheDataTypeE1EDF16_Li16ELi64ELi256ELb0ELi1EEvPKT_PKT0_S7_ifPKiS9_S9_iPKfiiiPfSC_PS2_PT2_iSB_SB_
    .private_segment_fixed_size: 0
    .sgpr_count:     54
    .sgpr_spill_count: 0
    .symbol:         _Z39paged_attention_ll4mi_QKV_mfma16_kernelIDF16_hLN4vllm18Fp8KVCacheDataTypeE1EDF16_Li16ELi64ELi256ELb0ELi1EEvPKT_PKT0_S7_ifPKiS9_S9_iPKfiiiPfSC_PS2_PT2_iSB_SB_.kd
    .uniform_work_group_size: 1
    .uses_dynamic_stack: false
    .vgpr_count:     59
    .vgpr_spill_count: 0
    .wavefront_size: 64
  - .agpr_count:     0
    .args:
      - .actual_access:  read_only
        .address_space:  global
        .offset:         0
        .size:           8
        .value_kind:     global_buffer
      - .actual_access:  read_only
        .address_space:  global
        .offset:         8
        .size:           8
        .value_kind:     global_buffer
      - .actual_access:  read_only
        .address_space:  global
        .offset:         16
        .size:           8
        .value_kind:     global_buffer
      - .offset:         24
        .size:           4
        .value_kind:     by_value
      - .offset:         28
        .size:           4
        .value_kind:     by_value
      - .actual_access:  read_only
        .address_space:  global
        .offset:         32
        .size:           8
        .value_kind:     global_buffer
      - .actual_access:  read_only
        .address_space:  global
        .offset:         40
        .size:           8
        .value_kind:     global_buffer
      - .actual_access:  read_only
        .address_space:  global
        .offset:         48
        .size:           8
        .value_kind:     global_buffer
      - .offset:         56
        .size:           4
        .value_kind:     by_value
      - .actual_access:  read_only
        .address_space:  global
        .offset:         64
        .size:           8
        .value_kind:     global_buffer
      - .offset:         72
        .size:           4
        .value_kind:     by_value
      - .offset:         76
        .size:           4
        .value_kind:     by_value
      - .offset:         80
        .size:           4
        .value_kind:     by_value
      - .actual_access:  write_only
        .address_space:  global
        .offset:         88
        .size:           8
        .value_kind:     global_buffer
      - .actual_access:  write_only
        .address_space:  global
        .offset:         96
        .size:           8
        .value_kind:     global_buffer
      - .actual_access:  write_only
        .address_space:  global
        .offset:         104
        .size:           8
        .value_kind:     global_buffer
      - .actual_access:  read_only
        .address_space:  global
        .offset:         112
        .size:           8
        .value_kind:     global_buffer
      - .offset:         120
        .size:           4
        .value_kind:     by_value
      - .address_space:  global
        .offset:         128
        .size:           8
        .value_kind:     global_buffer
      - .address_space:  global
        .offset:         136
        .size:           8
        .value_kind:     global_buffer
      - .offset:         144
        .size:           4
        .value_kind:     hidden_block_count_x
      - .offset:         148
        .size:           4
        .value_kind:     hidden_block_count_y
      - .offset:         152
        .size:           4
        .value_kind:     hidden_block_count_z
      - .offset:         156
        .size:           2
        .value_kind:     hidden_group_size_x
      - .offset:         158
        .size:           2
        .value_kind:     hidden_group_size_y
      - .offset:         160
        .size:           2
        .value_kind:     hidden_group_size_z
      - .offset:         162
        .size:           2
        .value_kind:     hidden_remainder_x
      - .offset:         164
        .size:           2
        .value_kind:     hidden_remainder_y
      - .offset:         166
        .size:           2
        .value_kind:     hidden_remainder_z
      - .offset:         184
        .size:           8
        .value_kind:     hidden_global_offset_x
      - .offset:         192
        .size:           8
        .value_kind:     hidden_global_offset_y
      - .offset:         200
        .size:           8
        .value_kind:     hidden_global_offset_z
      - .offset:         208
        .size:           2
        .value_kind:     hidden_grid_dims
    .group_segment_fixed_size: 8192
    .kernarg_segment_align: 8
    .kernarg_segment_size: 400
    .language:       OpenCL C
    .language_version:
      - 2
      - 0
    .max_flat_workgroup_size: 256
    .name:           _Z39paged_attention_ll4mi_QKV_mfma16_kernelIDF16_hLN4vllm18Fp8KVCacheDataTypeE1EDF16_Li16ELi64ELi256ELb0ELi2EEvPKT_PKT0_S7_ifPKiS9_S9_iPKfiiiPfSC_PS2_PT2_iSB_SB_
    .private_segment_fixed_size: 0
    .sgpr_count:     55
    .sgpr_spill_count: 0
    .symbol:         _Z39paged_attention_ll4mi_QKV_mfma16_kernelIDF16_hLN4vllm18Fp8KVCacheDataTypeE1EDF16_Li16ELi64ELi256ELb0ELi2EEvPKT_PKT0_S7_ifPKiS9_S9_iPKfiiiPfSC_PS2_PT2_iSB_SB_.kd
    .uniform_work_group_size: 1
    .uses_dynamic_stack: false
    .vgpr_count:     58
    .vgpr_spill_count: 0
    .wavefront_size: 64
  - .agpr_count:     0
    .args:
      - .actual_access:  read_only
        .address_space:  global
        .offset:         0
        .size:           8
        .value_kind:     global_buffer
      - .actual_access:  read_only
        .address_space:  global
        .offset:         8
        .size:           8
        .value_kind:     global_buffer
      - .actual_access:  read_only
        .address_space:  global
        .offset:         16
        .size:           8
        .value_kind:     global_buffer
      - .offset:         24
        .size:           4
        .value_kind:     by_value
      - .offset:         28
        .size:           4
        .value_kind:     by_value
      - .actual_access:  read_only
        .address_space:  global
        .offset:         32
        .size:           8
        .value_kind:     global_buffer
      - .actual_access:  read_only
        .address_space:  global
        .offset:         40
        .size:           8
        .value_kind:     global_buffer
      - .actual_access:  read_only
        .address_space:  global
        .offset:         48
        .size:           8
        .value_kind:     global_buffer
      - .offset:         56
        .size:           4
        .value_kind:     by_value
      - .actual_access:  read_only
        .address_space:  global
        .offset:         64
        .size:           8
        .value_kind:     global_buffer
      - .offset:         72
        .size:           4
        .value_kind:     by_value
      - .offset:         76
        .size:           4
        .value_kind:     by_value
      - .offset:         80
        .size:           4
        .value_kind:     by_value
      - .actual_access:  write_only
        .address_space:  global
        .offset:         88
        .size:           8
        .value_kind:     global_buffer
      - .actual_access:  write_only
        .address_space:  global
        .offset:         96
        .size:           8
        .value_kind:     global_buffer
      - .actual_access:  write_only
        .address_space:  global
        .offset:         104
        .size:           8
        .value_kind:     global_buffer
      - .actual_access:  read_only
        .address_space:  global
        .offset:         112
        .size:           8
        .value_kind:     global_buffer
      - .offset:         120
        .size:           4
        .value_kind:     by_value
      - .address_space:  global
        .offset:         128
        .size:           8
        .value_kind:     global_buffer
      - .address_space:  global
        .offset:         136
        .size:           8
        .value_kind:     global_buffer
      - .offset:         144
        .size:           4
        .value_kind:     hidden_block_count_x
      - .offset:         148
        .size:           4
        .value_kind:     hidden_block_count_y
      - .offset:         152
        .size:           4
        .value_kind:     hidden_block_count_z
      - .offset:         156
        .size:           2
        .value_kind:     hidden_group_size_x
      - .offset:         158
        .size:           2
        .value_kind:     hidden_group_size_y
      - .offset:         160
        .size:           2
        .value_kind:     hidden_group_size_z
      - .offset:         162
        .size:           2
        .value_kind:     hidden_remainder_x
      - .offset:         164
        .size:           2
        .value_kind:     hidden_remainder_y
      - .offset:         166
        .size:           2
        .value_kind:     hidden_remainder_z
      - .offset:         184
        .size:           8
        .value_kind:     hidden_global_offset_x
      - .offset:         192
        .size:           8
        .value_kind:     hidden_global_offset_y
      - .offset:         200
        .size:           8
        .value_kind:     hidden_global_offset_z
      - .offset:         208
        .size:           2
        .value_kind:     hidden_grid_dims
    .group_segment_fixed_size: 8192
    .kernarg_segment_align: 8
    .kernarg_segment_size: 400
    .language:       OpenCL C
    .language_version:
      - 2
      - 0
    .max_flat_workgroup_size: 256
    .name:           _Z39paged_attention_ll4mi_QKV_mfma16_kernelIDF16_hLN4vllm18Fp8KVCacheDataTypeE1EDF16_Li16ELi64ELi256ELb0ELi3EEvPKT_PKT0_S7_ifPKiS9_S9_iPKfiiiPfSC_PS2_PT2_iSB_SB_
    .private_segment_fixed_size: 0
    .sgpr_count:     56
    .sgpr_spill_count: 0
    .symbol:         _Z39paged_attention_ll4mi_QKV_mfma16_kernelIDF16_hLN4vllm18Fp8KVCacheDataTypeE1EDF16_Li16ELi64ELi256ELb0ELi3EEvPKT_PKT0_S7_ifPKiS9_S9_iPKfiiiPfSC_PS2_PT2_iSB_SB_.kd
    .uniform_work_group_size: 1
    .uses_dynamic_stack: false
    .vgpr_count:     60
    .vgpr_spill_count: 0
    .wavefront_size: 64
  - .agpr_count:     0
    .args:
      - .actual_access:  read_only
        .address_space:  global
        .offset:         0
        .size:           8
        .value_kind:     global_buffer
      - .actual_access:  read_only
        .address_space:  global
        .offset:         8
        .size:           8
        .value_kind:     global_buffer
      - .actual_access:  read_only
        .address_space:  global
        .offset:         16
        .size:           8
        .value_kind:     global_buffer
      - .offset:         24
        .size:           4
        .value_kind:     by_value
      - .offset:         28
        .size:           4
        .value_kind:     by_value
      - .actual_access:  read_only
        .address_space:  global
        .offset:         32
        .size:           8
        .value_kind:     global_buffer
      - .actual_access:  read_only
        .address_space:  global
        .offset:         40
        .size:           8
        .value_kind:     global_buffer
      - .actual_access:  read_only
        .address_space:  global
        .offset:         48
        .size:           8
        .value_kind:     global_buffer
      - .offset:         56
        .size:           4
        .value_kind:     by_value
      - .actual_access:  read_only
        .address_space:  global
        .offset:         64
        .size:           8
        .value_kind:     global_buffer
      - .offset:         72
        .size:           4
        .value_kind:     by_value
      - .offset:         76
        .size:           4
        .value_kind:     by_value
      - .offset:         80
        .size:           4
        .value_kind:     by_value
      - .actual_access:  write_only
        .address_space:  global
        .offset:         88
        .size:           8
        .value_kind:     global_buffer
      - .actual_access:  write_only
        .address_space:  global
        .offset:         96
        .size:           8
        .value_kind:     global_buffer
      - .actual_access:  write_only
        .address_space:  global
        .offset:         104
        .size:           8
        .value_kind:     global_buffer
      - .actual_access:  read_only
        .address_space:  global
        .offset:         112
        .size:           8
        .value_kind:     global_buffer
      - .offset:         120
        .size:           4
        .value_kind:     by_value
      - .address_space:  global
        .offset:         128
        .size:           8
        .value_kind:     global_buffer
      - .address_space:  global
        .offset:         136
        .size:           8
        .value_kind:     global_buffer
      - .offset:         144
        .size:           4
        .value_kind:     hidden_block_count_x
      - .offset:         148
        .size:           4
        .value_kind:     hidden_block_count_y
      - .offset:         152
        .size:           4
        .value_kind:     hidden_block_count_z
      - .offset:         156
        .size:           2
        .value_kind:     hidden_group_size_x
      - .offset:         158
        .size:           2
        .value_kind:     hidden_group_size_y
      - .offset:         160
        .size:           2
        .value_kind:     hidden_group_size_z
      - .offset:         162
        .size:           2
        .value_kind:     hidden_remainder_x
      - .offset:         164
        .size:           2
        .value_kind:     hidden_remainder_y
      - .offset:         166
        .size:           2
        .value_kind:     hidden_remainder_z
      - .offset:         184
        .size:           8
        .value_kind:     hidden_global_offset_x
      - .offset:         192
        .size:           8
        .value_kind:     hidden_global_offset_y
      - .offset:         200
        .size:           8
        .value_kind:     hidden_global_offset_z
      - .offset:         208
        .size:           2
        .value_kind:     hidden_grid_dims
    .group_segment_fixed_size: 8192
    .kernarg_segment_align: 8
    .kernarg_segment_size: 400
    .language:       OpenCL C
    .language_version:
      - 2
      - 0
    .max_flat_workgroup_size: 256
    .name:           _Z39paged_attention_ll4mi_QKV_mfma16_kernelIDF16_hLN4vllm18Fp8KVCacheDataTypeE1EDF16_Li16ELi64ELi256ELb0ELi4EEvPKT_PKT0_S7_ifPKiS9_S9_iPKfiiiPfSC_PS2_PT2_iSB_SB_
    .private_segment_fixed_size: 0
    .sgpr_count:     56
    .sgpr_spill_count: 0
    .symbol:         _Z39paged_attention_ll4mi_QKV_mfma16_kernelIDF16_hLN4vllm18Fp8KVCacheDataTypeE1EDF16_Li16ELi64ELi256ELb0ELi4EEvPKT_PKT0_S7_ifPKiS9_S9_iPKfiiiPfSC_PS2_PT2_iSB_SB_.kd
    .uniform_work_group_size: 1
    .uses_dynamic_stack: false
    .vgpr_count:     60
    .vgpr_spill_count: 0
    .wavefront_size: 64
  - .agpr_count:     4
    .args:
      - .actual_access:  read_only
        .address_space:  global
        .offset:         0
        .size:           8
        .value_kind:     global_buffer
      - .actual_access:  read_only
        .address_space:  global
        .offset:         8
        .size:           8
        .value_kind:     global_buffer
      - .actual_access:  read_only
        .address_space:  global
        .offset:         16
        .size:           8
        .value_kind:     global_buffer
      - .offset:         24
        .size:           4
        .value_kind:     by_value
      - .offset:         28
        .size:           4
        .value_kind:     by_value
      - .actual_access:  read_only
        .address_space:  global
        .offset:         32
        .size:           8
        .value_kind:     global_buffer
      - .actual_access:  read_only
        .address_space:  global
        .offset:         40
        .size:           8
        .value_kind:     global_buffer
      - .actual_access:  read_only
        .address_space:  global
        .offset:         48
        .size:           8
        .value_kind:     global_buffer
      - .offset:         56
        .size:           4
        .value_kind:     by_value
      - .actual_access:  read_only
        .address_space:  global
        .offset:         64
        .size:           8
        .value_kind:     global_buffer
      - .offset:         72
        .size:           4
        .value_kind:     by_value
      - .offset:         76
        .size:           4
        .value_kind:     by_value
      - .offset:         80
        .size:           4
        .value_kind:     by_value
      - .actual_access:  write_only
        .address_space:  global
        .offset:         88
        .size:           8
        .value_kind:     global_buffer
      - .actual_access:  write_only
        .address_space:  global
        .offset:         96
        .size:           8
        .value_kind:     global_buffer
      - .actual_access:  write_only
        .address_space:  global
        .offset:         104
        .size:           8
        .value_kind:     global_buffer
      - .actual_access:  read_only
        .address_space:  global
        .offset:         112
        .size:           8
        .value_kind:     global_buffer
      - .offset:         120
        .size:           4
        .value_kind:     by_value
      - .address_space:  global
        .offset:         128
        .size:           8
        .value_kind:     global_buffer
      - .address_space:  global
        .offset:         136
        .size:           8
        .value_kind:     global_buffer
      - .offset:         144
        .size:           4
        .value_kind:     hidden_block_count_x
      - .offset:         148
        .size:           4
        .value_kind:     hidden_block_count_y
      - .offset:         152
        .size:           4
        .value_kind:     hidden_block_count_z
      - .offset:         156
        .size:           2
        .value_kind:     hidden_group_size_x
      - .offset:         158
        .size:           2
        .value_kind:     hidden_group_size_y
      - .offset:         160
        .size:           2
        .value_kind:     hidden_group_size_z
      - .offset:         162
        .size:           2
        .value_kind:     hidden_remainder_x
      - .offset:         164
        .size:           2
        .value_kind:     hidden_remainder_y
      - .offset:         166
        .size:           2
        .value_kind:     hidden_remainder_z
      - .offset:         184
        .size:           8
        .value_kind:     hidden_global_offset_x
      - .offset:         192
        .size:           8
        .value_kind:     hidden_global_offset_y
      - .offset:         200
        .size:           8
        .value_kind:     hidden_global_offset_z
      - .offset:         208
        .size:           2
        .value_kind:     hidden_grid_dims
    .group_segment_fixed_size: 2720
    .kernarg_segment_align: 8
    .kernarg_segment_size: 400
    .language:       OpenCL C
    .language_version:
      - 2
      - 0
    .max_flat_workgroup_size: 256
    .name:           _Z38paged_attention_ll4mi_QKV_mfma4_kernelIDF16_hLN4vllm18Fp8KVCacheDataTypeE1EhLi32ELi64ELi256ELb1ELi1EEvPKT_PKT0_S7_ifPKiS9_S9_iPKfiiiPfSC_PS2_PT2_iSB_SB_
    .private_segment_fixed_size: 0
    .sgpr_count:     48
    .sgpr_spill_count: 0
    .symbol:         _Z38paged_attention_ll4mi_QKV_mfma4_kernelIDF16_hLN4vllm18Fp8KVCacheDataTypeE1EhLi32ELi64ELi256ELb1ELi1EEvPKT_PKT0_S7_ifPKiS9_S9_iPKfiiiPfSC_PS2_PT2_iSB_SB_.kd
    .uniform_work_group_size: 1
    .uses_dynamic_stack: false
    .vgpr_count:     48
    .vgpr_spill_count: 0
    .wavefront_size: 64
  - .agpr_count:     4
    .args:
      - .actual_access:  read_only
        .address_space:  global
        .offset:         0
        .size:           8
        .value_kind:     global_buffer
      - .actual_access:  read_only
        .address_space:  global
        .offset:         8
        .size:           8
        .value_kind:     global_buffer
      - .actual_access:  read_only
        .address_space:  global
        .offset:         16
        .size:           8
        .value_kind:     global_buffer
      - .offset:         24
        .size:           4
        .value_kind:     by_value
      - .offset:         28
        .size:           4
        .value_kind:     by_value
      - .actual_access:  read_only
        .address_space:  global
        .offset:         32
        .size:           8
        .value_kind:     global_buffer
      - .actual_access:  read_only
        .address_space:  global
        .offset:         40
        .size:           8
        .value_kind:     global_buffer
      - .actual_access:  read_only
        .address_space:  global
        .offset:         48
        .size:           8
        .value_kind:     global_buffer
      - .offset:         56
        .size:           4
        .value_kind:     by_value
      - .actual_access:  read_only
        .address_space:  global
        .offset:         64
        .size:           8
        .value_kind:     global_buffer
      - .offset:         72
        .size:           4
        .value_kind:     by_value
      - .offset:         76
        .size:           4
        .value_kind:     by_value
      - .offset:         80
        .size:           4
        .value_kind:     by_value
      - .actual_access:  write_only
        .address_space:  global
        .offset:         88
        .size:           8
        .value_kind:     global_buffer
      - .actual_access:  write_only
        .address_space:  global
        .offset:         96
        .size:           8
        .value_kind:     global_buffer
      - .actual_access:  write_only
        .address_space:  global
        .offset:         104
        .size:           8
        .value_kind:     global_buffer
      - .actual_access:  read_only
        .address_space:  global
        .offset:         112
        .size:           8
        .value_kind:     global_buffer
      - .offset:         120
        .size:           4
        .value_kind:     by_value
      - .address_space:  global
        .offset:         128
        .size:           8
        .value_kind:     global_buffer
      - .address_space:  global
        .offset:         136
        .size:           8
        .value_kind:     global_buffer
      - .offset:         144
        .size:           4
        .value_kind:     hidden_block_count_x
      - .offset:         148
        .size:           4
        .value_kind:     hidden_block_count_y
      - .offset:         152
        .size:           4
        .value_kind:     hidden_block_count_z
      - .offset:         156
        .size:           2
        .value_kind:     hidden_group_size_x
      - .offset:         158
        .size:           2
        .value_kind:     hidden_group_size_y
      - .offset:         160
        .size:           2
        .value_kind:     hidden_group_size_z
      - .offset:         162
        .size:           2
        .value_kind:     hidden_remainder_x
      - .offset:         164
        .size:           2
        .value_kind:     hidden_remainder_y
      - .offset:         166
        .size:           2
        .value_kind:     hidden_remainder_z
      - .offset:         184
        .size:           8
        .value_kind:     hidden_global_offset_x
      - .offset:         192
        .size:           8
        .value_kind:     hidden_global_offset_y
      - .offset:         200
        .size:           8
        .value_kind:     hidden_global_offset_z
      - .offset:         208
        .size:           2
        .value_kind:     hidden_grid_dims
    .group_segment_fixed_size: 2720
    .kernarg_segment_align: 8
    .kernarg_segment_size: 400
    .language:       OpenCL C
    .language_version:
      - 2
      - 0
    .max_flat_workgroup_size: 256
    .name:           _Z38paged_attention_ll4mi_QKV_mfma4_kernelIDF16_hLN4vllm18Fp8KVCacheDataTypeE1EhLi32ELi64ELi256ELb1ELi2EEvPKT_PKT0_S7_ifPKiS9_S9_iPKfiiiPfSC_PS2_PT2_iSB_SB_
    .private_segment_fixed_size: 0
    .sgpr_count:     50
    .sgpr_spill_count: 0
    .symbol:         _Z38paged_attention_ll4mi_QKV_mfma4_kernelIDF16_hLN4vllm18Fp8KVCacheDataTypeE1EhLi32ELi64ELi256ELb1ELi2EEvPKT_PKT0_S7_ifPKiS9_S9_iPKfiiiPfSC_PS2_PT2_iSB_SB_.kd
    .uniform_work_group_size: 1
    .uses_dynamic_stack: false
    .vgpr_count:     52
    .vgpr_spill_count: 0
    .wavefront_size: 64
  - .agpr_count:     4
    .args:
      - .actual_access:  read_only
        .address_space:  global
        .offset:         0
        .size:           8
        .value_kind:     global_buffer
      - .actual_access:  read_only
        .address_space:  global
        .offset:         8
        .size:           8
        .value_kind:     global_buffer
      - .actual_access:  read_only
        .address_space:  global
        .offset:         16
        .size:           8
        .value_kind:     global_buffer
      - .offset:         24
        .size:           4
        .value_kind:     by_value
      - .offset:         28
        .size:           4
        .value_kind:     by_value
      - .actual_access:  read_only
        .address_space:  global
        .offset:         32
        .size:           8
        .value_kind:     global_buffer
      - .actual_access:  read_only
        .address_space:  global
        .offset:         40
        .size:           8
        .value_kind:     global_buffer
      - .actual_access:  read_only
        .address_space:  global
        .offset:         48
        .size:           8
        .value_kind:     global_buffer
      - .offset:         56
        .size:           4
        .value_kind:     by_value
      - .actual_access:  read_only
        .address_space:  global
        .offset:         64
        .size:           8
        .value_kind:     global_buffer
      - .offset:         72
        .size:           4
        .value_kind:     by_value
      - .offset:         76
        .size:           4
        .value_kind:     by_value
      - .offset:         80
        .size:           4
        .value_kind:     by_value
      - .actual_access:  write_only
        .address_space:  global
        .offset:         88
        .size:           8
        .value_kind:     global_buffer
      - .actual_access:  write_only
        .address_space:  global
        .offset:         96
        .size:           8
        .value_kind:     global_buffer
      - .actual_access:  write_only
        .address_space:  global
        .offset:         104
        .size:           8
        .value_kind:     global_buffer
      - .actual_access:  read_only
        .address_space:  global
        .offset:         112
        .size:           8
        .value_kind:     global_buffer
      - .offset:         120
        .size:           4
        .value_kind:     by_value
      - .address_space:  global
        .offset:         128
        .size:           8
        .value_kind:     global_buffer
      - .address_space:  global
        .offset:         136
        .size:           8
        .value_kind:     global_buffer
      - .offset:         144
        .size:           4
        .value_kind:     hidden_block_count_x
      - .offset:         148
        .size:           4
        .value_kind:     hidden_block_count_y
      - .offset:         152
        .size:           4
        .value_kind:     hidden_block_count_z
      - .offset:         156
        .size:           2
        .value_kind:     hidden_group_size_x
      - .offset:         158
        .size:           2
        .value_kind:     hidden_group_size_y
      - .offset:         160
        .size:           2
        .value_kind:     hidden_group_size_z
      - .offset:         162
        .size:           2
        .value_kind:     hidden_remainder_x
      - .offset:         164
        .size:           2
        .value_kind:     hidden_remainder_y
      - .offset:         166
        .size:           2
        .value_kind:     hidden_remainder_z
      - .offset:         184
        .size:           8
        .value_kind:     hidden_global_offset_x
      - .offset:         192
        .size:           8
        .value_kind:     hidden_global_offset_y
      - .offset:         200
        .size:           8
        .value_kind:     hidden_global_offset_z
      - .offset:         208
        .size:           2
        .value_kind:     hidden_grid_dims
    .group_segment_fixed_size: 2720
    .kernarg_segment_align: 8
    .kernarg_segment_size: 400
    .language:       OpenCL C
    .language_version:
      - 2
      - 0
    .max_flat_workgroup_size: 256
    .name:           _Z38paged_attention_ll4mi_QKV_mfma4_kernelIDF16_hLN4vllm18Fp8KVCacheDataTypeE1EhLi32ELi64ELi256ELb1ELi3EEvPKT_PKT0_S7_ifPKiS9_S9_iPKfiiiPfSC_PS2_PT2_iSB_SB_
    .private_segment_fixed_size: 0
    .sgpr_count:     50
    .sgpr_spill_count: 0
    .symbol:         _Z38paged_attention_ll4mi_QKV_mfma4_kernelIDF16_hLN4vllm18Fp8KVCacheDataTypeE1EhLi32ELi64ELi256ELb1ELi3EEvPKT_PKT0_S7_ifPKiS9_S9_iPKfiiiPfSC_PS2_PT2_iSB_SB_.kd
    .uniform_work_group_size: 1
    .uses_dynamic_stack: false
    .vgpr_count:     48
    .vgpr_spill_count: 0
    .wavefront_size: 64
  - .agpr_count:     4
    .args:
      - .actual_access:  read_only
        .address_space:  global
        .offset:         0
        .size:           8
        .value_kind:     global_buffer
      - .actual_access:  read_only
        .address_space:  global
        .offset:         8
        .size:           8
        .value_kind:     global_buffer
      - .actual_access:  read_only
        .address_space:  global
        .offset:         16
        .size:           8
        .value_kind:     global_buffer
      - .offset:         24
        .size:           4
        .value_kind:     by_value
      - .offset:         28
        .size:           4
        .value_kind:     by_value
      - .actual_access:  read_only
        .address_space:  global
        .offset:         32
        .size:           8
        .value_kind:     global_buffer
      - .actual_access:  read_only
        .address_space:  global
        .offset:         40
        .size:           8
        .value_kind:     global_buffer
      - .actual_access:  read_only
        .address_space:  global
        .offset:         48
        .size:           8
        .value_kind:     global_buffer
      - .offset:         56
        .size:           4
        .value_kind:     by_value
      - .actual_access:  read_only
        .address_space:  global
        .offset:         64
        .size:           8
        .value_kind:     global_buffer
      - .offset:         72
        .size:           4
        .value_kind:     by_value
      - .offset:         76
        .size:           4
        .value_kind:     by_value
      - .offset:         80
        .size:           4
        .value_kind:     by_value
      - .actual_access:  write_only
        .address_space:  global
        .offset:         88
        .size:           8
        .value_kind:     global_buffer
      - .actual_access:  write_only
        .address_space:  global
        .offset:         96
        .size:           8
        .value_kind:     global_buffer
      - .actual_access:  write_only
        .address_space:  global
        .offset:         104
        .size:           8
        .value_kind:     global_buffer
      - .actual_access:  read_only
        .address_space:  global
        .offset:         112
        .size:           8
        .value_kind:     global_buffer
      - .offset:         120
        .size:           4
        .value_kind:     by_value
      - .address_space:  global
        .offset:         128
        .size:           8
        .value_kind:     global_buffer
      - .address_space:  global
        .offset:         136
        .size:           8
        .value_kind:     global_buffer
      - .offset:         144
        .size:           4
        .value_kind:     hidden_block_count_x
      - .offset:         148
        .size:           4
        .value_kind:     hidden_block_count_y
      - .offset:         152
        .size:           4
        .value_kind:     hidden_block_count_z
      - .offset:         156
        .size:           2
        .value_kind:     hidden_group_size_x
      - .offset:         158
        .size:           2
        .value_kind:     hidden_group_size_y
      - .offset:         160
        .size:           2
        .value_kind:     hidden_group_size_z
      - .offset:         162
        .size:           2
        .value_kind:     hidden_remainder_x
      - .offset:         164
        .size:           2
        .value_kind:     hidden_remainder_y
      - .offset:         166
        .size:           2
        .value_kind:     hidden_remainder_z
      - .offset:         184
        .size:           8
        .value_kind:     hidden_global_offset_x
      - .offset:         192
        .size:           8
        .value_kind:     hidden_global_offset_y
      - .offset:         200
        .size:           8
        .value_kind:     hidden_global_offset_z
      - .offset:         208
        .size:           2
        .value_kind:     hidden_grid_dims
    .group_segment_fixed_size: 2720
    .kernarg_segment_align: 8
    .kernarg_segment_size: 400
    .language:       OpenCL C
    .language_version:
      - 2
      - 0
    .max_flat_workgroup_size: 256
    .name:           _Z38paged_attention_ll4mi_QKV_mfma4_kernelIDF16_hLN4vllm18Fp8KVCacheDataTypeE1EhLi32ELi64ELi256ELb1ELi4EEvPKT_PKT0_S7_ifPKiS9_S9_iPKfiiiPfSC_PS2_PT2_iSB_SB_
    .private_segment_fixed_size: 0
    .sgpr_count:     51
    .sgpr_spill_count: 0
    .symbol:         _Z38paged_attention_ll4mi_QKV_mfma4_kernelIDF16_hLN4vllm18Fp8KVCacheDataTypeE1EhLi32ELi64ELi256ELb1ELi4EEvPKT_PKT0_S7_ifPKiS9_S9_iPKfiiiPfSC_PS2_PT2_iSB_SB_.kd
    .uniform_work_group_size: 1
    .uses_dynamic_stack: false
    .vgpr_count:     88
    .vgpr_spill_count: 0
    .wavefront_size: 64
  - .agpr_count:     0
    .args:
      - .actual_access:  read_only
        .address_space:  global
        .offset:         0
        .size:           8
        .value_kind:     global_buffer
      - .actual_access:  read_only
        .address_space:  global
        .offset:         8
        .size:           8
        .value_kind:     global_buffer
      - .actual_access:  read_only
        .address_space:  global
        .offset:         16
        .size:           8
        .value_kind:     global_buffer
      - .offset:         24
        .size:           4
        .value_kind:     by_value
      - .offset:         28
        .size:           4
        .value_kind:     by_value
      - .actual_access:  read_only
        .address_space:  global
        .offset:         32
        .size:           8
        .value_kind:     global_buffer
      - .actual_access:  read_only
        .address_space:  global
        .offset:         40
        .size:           8
        .value_kind:     global_buffer
      - .actual_access:  read_only
        .address_space:  global
        .offset:         48
        .size:           8
        .value_kind:     global_buffer
      - .offset:         56
        .size:           4
        .value_kind:     by_value
      - .actual_access:  read_only
        .address_space:  global
        .offset:         64
        .size:           8
        .value_kind:     global_buffer
      - .offset:         72
        .size:           4
        .value_kind:     by_value
      - .offset:         76
        .size:           4
        .value_kind:     by_value
      - .offset:         80
        .size:           4
        .value_kind:     by_value
      - .actual_access:  write_only
        .address_space:  global
        .offset:         88
        .size:           8
        .value_kind:     global_buffer
      - .actual_access:  write_only
        .address_space:  global
        .offset:         96
        .size:           8
        .value_kind:     global_buffer
      - .actual_access:  write_only
        .address_space:  global
        .offset:         104
        .size:           8
        .value_kind:     global_buffer
      - .actual_access:  read_only
        .address_space:  global
        .offset:         112
        .size:           8
        .value_kind:     global_buffer
      - .offset:         120
        .size:           4
        .value_kind:     by_value
      - .address_space:  global
        .offset:         128
        .size:           8
        .value_kind:     global_buffer
      - .address_space:  global
        .offset:         136
        .size:           8
        .value_kind:     global_buffer
      - .offset:         144
        .size:           4
        .value_kind:     hidden_block_count_x
      - .offset:         148
        .size:           4
        .value_kind:     hidden_block_count_y
      - .offset:         152
        .size:           4
        .value_kind:     hidden_block_count_z
      - .offset:         156
        .size:           2
        .value_kind:     hidden_group_size_x
      - .offset:         158
        .size:           2
        .value_kind:     hidden_group_size_y
      - .offset:         160
        .size:           2
        .value_kind:     hidden_group_size_z
      - .offset:         162
        .size:           2
        .value_kind:     hidden_remainder_x
      - .offset:         164
        .size:           2
        .value_kind:     hidden_remainder_y
      - .offset:         166
        .size:           2
        .value_kind:     hidden_remainder_z
      - .offset:         184
        .size:           8
        .value_kind:     hidden_global_offset_x
      - .offset:         192
        .size:           8
        .value_kind:     hidden_global_offset_y
      - .offset:         200
        .size:           8
        .value_kind:     hidden_global_offset_z
      - .offset:         208
        .size:           2
        .value_kind:     hidden_grid_dims
    .group_segment_fixed_size: 8192
    .kernarg_segment_align: 8
    .kernarg_segment_size: 400
    .language:       OpenCL C
    .language_version:
      - 2
      - 0
    .max_flat_workgroup_size: 256
    .name:           _Z39paged_attention_ll4mi_QKV_mfma16_kernelIDF16_hLN4vllm18Fp8KVCacheDataTypeE1EhLi32ELi64ELi256ELb1ELi5EEvPKT_PKT0_S7_ifPKiS9_S9_iPKfiiiPfSC_PS2_PT2_iSB_SB_
    .private_segment_fixed_size: 0
    .sgpr_count:     56
    .sgpr_spill_count: 0
    .symbol:         _Z39paged_attention_ll4mi_QKV_mfma16_kernelIDF16_hLN4vllm18Fp8KVCacheDataTypeE1EhLi32ELi64ELi256ELb1ELi5EEvPKT_PKT0_S7_ifPKiS9_S9_iPKfiiiPfSC_PS2_PT2_iSB_SB_.kd
    .uniform_work_group_size: 1
    .uses_dynamic_stack: false
    .vgpr_count:     71
    .vgpr_spill_count: 0
    .wavefront_size: 64
  - .agpr_count:     0
    .args:
      - .actual_access:  read_only
        .address_space:  global
        .offset:         0
        .size:           8
        .value_kind:     global_buffer
      - .actual_access:  read_only
        .address_space:  global
        .offset:         8
        .size:           8
        .value_kind:     global_buffer
      - .actual_access:  read_only
        .address_space:  global
        .offset:         16
        .size:           8
        .value_kind:     global_buffer
      - .offset:         24
        .size:           4
        .value_kind:     by_value
      - .offset:         28
        .size:           4
        .value_kind:     by_value
      - .actual_access:  read_only
        .address_space:  global
        .offset:         32
        .size:           8
        .value_kind:     global_buffer
      - .actual_access:  read_only
        .address_space:  global
        .offset:         40
        .size:           8
        .value_kind:     global_buffer
      - .actual_access:  read_only
        .address_space:  global
        .offset:         48
        .size:           8
        .value_kind:     global_buffer
      - .offset:         56
        .size:           4
        .value_kind:     by_value
      - .actual_access:  read_only
        .address_space:  global
        .offset:         64
        .size:           8
        .value_kind:     global_buffer
      - .offset:         72
        .size:           4
        .value_kind:     by_value
      - .offset:         76
        .size:           4
        .value_kind:     by_value
      - .offset:         80
        .size:           4
        .value_kind:     by_value
      - .actual_access:  write_only
        .address_space:  global
        .offset:         88
        .size:           8
        .value_kind:     global_buffer
      - .actual_access:  write_only
        .address_space:  global
        .offset:         96
        .size:           8
        .value_kind:     global_buffer
      - .actual_access:  write_only
        .address_space:  global
        .offset:         104
        .size:           8
        .value_kind:     global_buffer
      - .actual_access:  read_only
        .address_space:  global
        .offset:         112
        .size:           8
        .value_kind:     global_buffer
      - .offset:         120
        .size:           4
        .value_kind:     by_value
      - .address_space:  global
        .offset:         128
        .size:           8
        .value_kind:     global_buffer
      - .address_space:  global
        .offset:         136
        .size:           8
        .value_kind:     global_buffer
      - .offset:         144
        .size:           4
        .value_kind:     hidden_block_count_x
      - .offset:         148
        .size:           4
        .value_kind:     hidden_block_count_y
      - .offset:         152
        .size:           4
        .value_kind:     hidden_block_count_z
      - .offset:         156
        .size:           2
        .value_kind:     hidden_group_size_x
      - .offset:         158
        .size:           2
        .value_kind:     hidden_group_size_y
      - .offset:         160
        .size:           2
        .value_kind:     hidden_group_size_z
      - .offset:         162
        .size:           2
        .value_kind:     hidden_remainder_x
      - .offset:         164
        .size:           2
        .value_kind:     hidden_remainder_y
      - .offset:         166
        .size:           2
        .value_kind:     hidden_remainder_z
      - .offset:         184
        .size:           8
        .value_kind:     hidden_global_offset_x
      - .offset:         192
        .size:           8
        .value_kind:     hidden_global_offset_y
      - .offset:         200
        .size:           8
        .value_kind:     hidden_global_offset_z
      - .offset:         208
        .size:           2
        .value_kind:     hidden_grid_dims
    .group_segment_fixed_size: 8192
    .kernarg_segment_align: 8
    .kernarg_segment_size: 400
    .language:       OpenCL C
    .language_version:
      - 2
      - 0
    .max_flat_workgroup_size: 256
    .name:           _Z39paged_attention_ll4mi_QKV_mfma16_kernelIDF16_hLN4vllm18Fp8KVCacheDataTypeE1EhLi32ELi64ELi256ELb1ELi6EEvPKT_PKT0_S7_ifPKiS9_S9_iPKfiiiPfSC_PS2_PT2_iSB_SB_
    .private_segment_fixed_size: 0
    .sgpr_count:     56
    .sgpr_spill_count: 0
    .symbol:         _Z39paged_attention_ll4mi_QKV_mfma16_kernelIDF16_hLN4vllm18Fp8KVCacheDataTypeE1EhLi32ELi64ELi256ELb1ELi6EEvPKT_PKT0_S7_ifPKiS9_S9_iPKfiiiPfSC_PS2_PT2_iSB_SB_.kd
    .uniform_work_group_size: 1
    .uses_dynamic_stack: false
    .vgpr_count:     71
    .vgpr_spill_count: 0
    .wavefront_size: 64
  - .agpr_count:     0
    .args:
      - .actual_access:  read_only
        .address_space:  global
        .offset:         0
        .size:           8
        .value_kind:     global_buffer
      - .actual_access:  read_only
        .address_space:  global
        .offset:         8
        .size:           8
        .value_kind:     global_buffer
      - .actual_access:  read_only
        .address_space:  global
        .offset:         16
        .size:           8
        .value_kind:     global_buffer
      - .offset:         24
        .size:           4
        .value_kind:     by_value
      - .offset:         28
        .size:           4
        .value_kind:     by_value
      - .actual_access:  read_only
        .address_space:  global
        .offset:         32
        .size:           8
        .value_kind:     global_buffer
      - .actual_access:  read_only
        .address_space:  global
        .offset:         40
        .size:           8
        .value_kind:     global_buffer
      - .actual_access:  read_only
        .address_space:  global
        .offset:         48
        .size:           8
        .value_kind:     global_buffer
      - .offset:         56
        .size:           4
        .value_kind:     by_value
      - .actual_access:  read_only
        .address_space:  global
        .offset:         64
        .size:           8
        .value_kind:     global_buffer
      - .offset:         72
        .size:           4
        .value_kind:     by_value
      - .offset:         76
        .size:           4
        .value_kind:     by_value
      - .offset:         80
        .size:           4
        .value_kind:     by_value
      - .actual_access:  write_only
        .address_space:  global
        .offset:         88
        .size:           8
        .value_kind:     global_buffer
      - .actual_access:  write_only
        .address_space:  global
        .offset:         96
        .size:           8
        .value_kind:     global_buffer
      - .actual_access:  write_only
        .address_space:  global
        .offset:         104
        .size:           8
        .value_kind:     global_buffer
      - .actual_access:  read_only
        .address_space:  global
        .offset:         112
        .size:           8
        .value_kind:     global_buffer
      - .offset:         120
        .size:           4
        .value_kind:     by_value
      - .address_space:  global
        .offset:         128
        .size:           8
        .value_kind:     global_buffer
      - .address_space:  global
        .offset:         136
        .size:           8
        .value_kind:     global_buffer
      - .offset:         144
        .size:           4
        .value_kind:     hidden_block_count_x
      - .offset:         148
        .size:           4
        .value_kind:     hidden_block_count_y
      - .offset:         152
        .size:           4
        .value_kind:     hidden_block_count_z
      - .offset:         156
        .size:           2
        .value_kind:     hidden_group_size_x
      - .offset:         158
        .size:           2
        .value_kind:     hidden_group_size_y
      - .offset:         160
        .size:           2
        .value_kind:     hidden_group_size_z
      - .offset:         162
        .size:           2
        .value_kind:     hidden_remainder_x
      - .offset:         164
        .size:           2
        .value_kind:     hidden_remainder_y
      - .offset:         166
        .size:           2
        .value_kind:     hidden_remainder_z
      - .offset:         184
        .size:           8
        .value_kind:     hidden_global_offset_x
      - .offset:         192
        .size:           8
        .value_kind:     hidden_global_offset_y
      - .offset:         200
        .size:           8
        .value_kind:     hidden_global_offset_z
      - .offset:         208
        .size:           2
        .value_kind:     hidden_grid_dims
    .group_segment_fixed_size: 8192
    .kernarg_segment_align: 8
    .kernarg_segment_size: 400
    .language:       OpenCL C
    .language_version:
      - 2
      - 0
    .max_flat_workgroup_size: 256
    .name:           _Z39paged_attention_ll4mi_QKV_mfma16_kernelIDF16_hLN4vllm18Fp8KVCacheDataTypeE1EhLi32ELi64ELi256ELb1ELi7EEvPKT_PKT0_S7_ifPKiS9_S9_iPKfiiiPfSC_PS2_PT2_iSB_SB_
    .private_segment_fixed_size: 0
    .sgpr_count:     56
    .sgpr_spill_count: 0
    .symbol:         _Z39paged_attention_ll4mi_QKV_mfma16_kernelIDF16_hLN4vllm18Fp8KVCacheDataTypeE1EhLi32ELi64ELi256ELb1ELi7EEvPKT_PKT0_S7_ifPKiS9_S9_iPKfiiiPfSC_PS2_PT2_iSB_SB_.kd
    .uniform_work_group_size: 1
    .uses_dynamic_stack: false
    .vgpr_count:     71
    .vgpr_spill_count: 0
    .wavefront_size: 64
  - .agpr_count:     0
    .args:
      - .actual_access:  read_only
        .address_space:  global
        .offset:         0
        .size:           8
        .value_kind:     global_buffer
      - .actual_access:  read_only
        .address_space:  global
        .offset:         8
        .size:           8
        .value_kind:     global_buffer
      - .actual_access:  read_only
        .address_space:  global
        .offset:         16
        .size:           8
        .value_kind:     global_buffer
      - .offset:         24
        .size:           4
        .value_kind:     by_value
      - .offset:         28
        .size:           4
        .value_kind:     by_value
      - .actual_access:  read_only
        .address_space:  global
        .offset:         32
        .size:           8
        .value_kind:     global_buffer
      - .actual_access:  read_only
        .address_space:  global
        .offset:         40
        .size:           8
        .value_kind:     global_buffer
      - .actual_access:  read_only
        .address_space:  global
        .offset:         48
        .size:           8
        .value_kind:     global_buffer
      - .offset:         56
        .size:           4
        .value_kind:     by_value
      - .actual_access:  read_only
        .address_space:  global
        .offset:         64
        .size:           8
        .value_kind:     global_buffer
      - .offset:         72
        .size:           4
        .value_kind:     by_value
      - .offset:         76
        .size:           4
        .value_kind:     by_value
      - .offset:         80
        .size:           4
        .value_kind:     by_value
      - .actual_access:  write_only
        .address_space:  global
        .offset:         88
        .size:           8
        .value_kind:     global_buffer
      - .actual_access:  write_only
        .address_space:  global
        .offset:         96
        .size:           8
        .value_kind:     global_buffer
      - .actual_access:  write_only
        .address_space:  global
        .offset:         104
        .size:           8
        .value_kind:     global_buffer
      - .actual_access:  read_only
        .address_space:  global
        .offset:         112
        .size:           8
        .value_kind:     global_buffer
      - .offset:         120
        .size:           4
        .value_kind:     by_value
      - .address_space:  global
        .offset:         128
        .size:           8
        .value_kind:     global_buffer
      - .address_space:  global
        .offset:         136
        .size:           8
        .value_kind:     global_buffer
      - .offset:         144
        .size:           4
        .value_kind:     hidden_block_count_x
      - .offset:         148
        .size:           4
        .value_kind:     hidden_block_count_y
      - .offset:         152
        .size:           4
        .value_kind:     hidden_block_count_z
      - .offset:         156
        .size:           2
        .value_kind:     hidden_group_size_x
      - .offset:         158
        .size:           2
        .value_kind:     hidden_group_size_y
      - .offset:         160
        .size:           2
        .value_kind:     hidden_group_size_z
      - .offset:         162
        .size:           2
        .value_kind:     hidden_remainder_x
      - .offset:         164
        .size:           2
        .value_kind:     hidden_remainder_y
      - .offset:         166
        .size:           2
        .value_kind:     hidden_remainder_z
      - .offset:         184
        .size:           8
        .value_kind:     hidden_global_offset_x
      - .offset:         192
        .size:           8
        .value_kind:     hidden_global_offset_y
      - .offset:         200
        .size:           8
        .value_kind:     hidden_global_offset_z
      - .offset:         208
        .size:           2
        .value_kind:     hidden_grid_dims
    .group_segment_fixed_size: 8192
    .kernarg_segment_align: 8
    .kernarg_segment_size: 400
    .language:       OpenCL C
    .language_version:
      - 2
      - 0
    .max_flat_workgroup_size: 256
    .name:           _Z39paged_attention_ll4mi_QKV_mfma16_kernelIDF16_hLN4vllm18Fp8KVCacheDataTypeE1EhLi32ELi64ELi256ELb1ELi8EEvPKT_PKT0_S7_ifPKiS9_S9_iPKfiiiPfSC_PS2_PT2_iSB_SB_
    .private_segment_fixed_size: 0
    .sgpr_count:     54
    .sgpr_spill_count: 0
    .symbol:         _Z39paged_attention_ll4mi_QKV_mfma16_kernelIDF16_hLN4vllm18Fp8KVCacheDataTypeE1EhLi32ELi64ELi256ELb1ELi8EEvPKT_PKT0_S7_ifPKiS9_S9_iPKfiiiPfSC_PS2_PT2_iSB_SB_.kd
    .uniform_work_group_size: 1
    .uses_dynamic_stack: false
    .vgpr_count:     73
    .vgpr_spill_count: 0
    .wavefront_size: 64
  - .agpr_count:     0
    .args:
      - .actual_access:  read_only
        .address_space:  global
        .offset:         0
        .size:           8
        .value_kind:     global_buffer
      - .actual_access:  read_only
        .address_space:  global
        .offset:         8
        .size:           8
        .value_kind:     global_buffer
      - .actual_access:  read_only
        .address_space:  global
        .offset:         16
        .size:           8
        .value_kind:     global_buffer
      - .offset:         24
        .size:           4
        .value_kind:     by_value
      - .offset:         28
        .size:           4
        .value_kind:     by_value
      - .actual_access:  read_only
        .address_space:  global
        .offset:         32
        .size:           8
        .value_kind:     global_buffer
      - .actual_access:  read_only
        .address_space:  global
        .offset:         40
        .size:           8
        .value_kind:     global_buffer
      - .actual_access:  read_only
        .address_space:  global
        .offset:         48
        .size:           8
        .value_kind:     global_buffer
      - .offset:         56
        .size:           4
        .value_kind:     by_value
      - .actual_access:  read_only
        .address_space:  global
        .offset:         64
        .size:           8
        .value_kind:     global_buffer
      - .offset:         72
        .size:           4
        .value_kind:     by_value
      - .offset:         76
        .size:           4
        .value_kind:     by_value
      - .offset:         80
        .size:           4
        .value_kind:     by_value
      - .actual_access:  write_only
        .address_space:  global
        .offset:         88
        .size:           8
        .value_kind:     global_buffer
      - .actual_access:  write_only
        .address_space:  global
        .offset:         96
        .size:           8
        .value_kind:     global_buffer
      - .actual_access:  write_only
        .address_space:  global
        .offset:         104
        .size:           8
        .value_kind:     global_buffer
      - .actual_access:  read_only
        .address_space:  global
        .offset:         112
        .size:           8
        .value_kind:     global_buffer
      - .offset:         120
        .size:           4
        .value_kind:     by_value
      - .address_space:  global
        .offset:         128
        .size:           8
        .value_kind:     global_buffer
      - .address_space:  global
        .offset:         136
        .size:           8
        .value_kind:     global_buffer
      - .offset:         144
        .size:           4
        .value_kind:     hidden_block_count_x
      - .offset:         148
        .size:           4
        .value_kind:     hidden_block_count_y
      - .offset:         152
        .size:           4
        .value_kind:     hidden_block_count_z
      - .offset:         156
        .size:           2
        .value_kind:     hidden_group_size_x
      - .offset:         158
        .size:           2
        .value_kind:     hidden_group_size_y
      - .offset:         160
        .size:           2
        .value_kind:     hidden_group_size_z
      - .offset:         162
        .size:           2
        .value_kind:     hidden_remainder_x
      - .offset:         164
        .size:           2
        .value_kind:     hidden_remainder_y
      - .offset:         166
        .size:           2
        .value_kind:     hidden_remainder_z
      - .offset:         184
        .size:           8
        .value_kind:     hidden_global_offset_x
      - .offset:         192
        .size:           8
        .value_kind:     hidden_global_offset_y
      - .offset:         200
        .size:           8
        .value_kind:     hidden_global_offset_z
      - .offset:         208
        .size:           2
        .value_kind:     hidden_grid_dims
    .group_segment_fixed_size: 8192
    .kernarg_segment_align: 8
    .kernarg_segment_size: 400
    .language:       OpenCL C
    .language_version:
      - 2
      - 0
    .max_flat_workgroup_size: 256
    .name:           _Z39paged_attention_ll4mi_QKV_mfma16_kernelIDF16_hLN4vllm18Fp8KVCacheDataTypeE1EhLi32ELi64ELi256ELb1ELi9EEvPKT_PKT0_S7_ifPKiS9_S9_iPKfiiiPfSC_PS2_PT2_iSB_SB_
    .private_segment_fixed_size: 0
    .sgpr_count:     56
    .sgpr_spill_count: 0
    .symbol:         _Z39paged_attention_ll4mi_QKV_mfma16_kernelIDF16_hLN4vllm18Fp8KVCacheDataTypeE1EhLi32ELi64ELi256ELb1ELi9EEvPKT_PKT0_S7_ifPKiS9_S9_iPKfiiiPfSC_PS2_PT2_iSB_SB_.kd
    .uniform_work_group_size: 1
    .uses_dynamic_stack: false
    .vgpr_count:     71
    .vgpr_spill_count: 0
    .wavefront_size: 64
  - .agpr_count:     0
    .args:
      - .actual_access:  read_only
        .address_space:  global
        .offset:         0
        .size:           8
        .value_kind:     global_buffer
      - .actual_access:  read_only
        .address_space:  global
        .offset:         8
        .size:           8
        .value_kind:     global_buffer
      - .actual_access:  read_only
        .address_space:  global
        .offset:         16
        .size:           8
        .value_kind:     global_buffer
      - .offset:         24
        .size:           4
        .value_kind:     by_value
      - .offset:         28
        .size:           4
        .value_kind:     by_value
      - .actual_access:  read_only
        .address_space:  global
        .offset:         32
        .size:           8
        .value_kind:     global_buffer
      - .actual_access:  read_only
        .address_space:  global
        .offset:         40
        .size:           8
        .value_kind:     global_buffer
      - .actual_access:  read_only
        .address_space:  global
        .offset:         48
        .size:           8
        .value_kind:     global_buffer
      - .offset:         56
        .size:           4
        .value_kind:     by_value
      - .actual_access:  read_only
        .address_space:  global
        .offset:         64
        .size:           8
        .value_kind:     global_buffer
      - .offset:         72
        .size:           4
        .value_kind:     by_value
      - .offset:         76
        .size:           4
        .value_kind:     by_value
      - .offset:         80
        .size:           4
        .value_kind:     by_value
      - .actual_access:  write_only
        .address_space:  global
        .offset:         88
        .size:           8
        .value_kind:     global_buffer
      - .actual_access:  write_only
        .address_space:  global
        .offset:         96
        .size:           8
        .value_kind:     global_buffer
      - .actual_access:  write_only
        .address_space:  global
        .offset:         104
        .size:           8
        .value_kind:     global_buffer
      - .actual_access:  read_only
        .address_space:  global
        .offset:         112
        .size:           8
        .value_kind:     global_buffer
      - .offset:         120
        .size:           4
        .value_kind:     by_value
      - .address_space:  global
        .offset:         128
        .size:           8
        .value_kind:     global_buffer
      - .address_space:  global
        .offset:         136
        .size:           8
        .value_kind:     global_buffer
      - .offset:         144
        .size:           4
        .value_kind:     hidden_block_count_x
      - .offset:         148
        .size:           4
        .value_kind:     hidden_block_count_y
      - .offset:         152
        .size:           4
        .value_kind:     hidden_block_count_z
      - .offset:         156
        .size:           2
        .value_kind:     hidden_group_size_x
      - .offset:         158
        .size:           2
        .value_kind:     hidden_group_size_y
      - .offset:         160
        .size:           2
        .value_kind:     hidden_group_size_z
      - .offset:         162
        .size:           2
        .value_kind:     hidden_remainder_x
      - .offset:         164
        .size:           2
        .value_kind:     hidden_remainder_y
      - .offset:         166
        .size:           2
        .value_kind:     hidden_remainder_z
      - .offset:         184
        .size:           8
        .value_kind:     hidden_global_offset_x
      - .offset:         192
        .size:           8
        .value_kind:     hidden_global_offset_y
      - .offset:         200
        .size:           8
        .value_kind:     hidden_global_offset_z
      - .offset:         208
        .size:           2
        .value_kind:     hidden_grid_dims
    .group_segment_fixed_size: 8192
    .kernarg_segment_align: 8
    .kernarg_segment_size: 400
    .language:       OpenCL C
    .language_version:
      - 2
      - 0
    .max_flat_workgroup_size: 256
    .name:           _Z39paged_attention_ll4mi_QKV_mfma16_kernelIDF16_hLN4vllm18Fp8KVCacheDataTypeE1EhLi32ELi64ELi256ELb1ELi10EEvPKT_PKT0_S7_ifPKiS9_S9_iPKfiiiPfSC_PS2_PT2_iSB_SB_
    .private_segment_fixed_size: 0
    .sgpr_count:     56
    .sgpr_spill_count: 0
    .symbol:         _Z39paged_attention_ll4mi_QKV_mfma16_kernelIDF16_hLN4vllm18Fp8KVCacheDataTypeE1EhLi32ELi64ELi256ELb1ELi10EEvPKT_PKT0_S7_ifPKiS9_S9_iPKfiiiPfSC_PS2_PT2_iSB_SB_.kd
    .uniform_work_group_size: 1
    .uses_dynamic_stack: false
    .vgpr_count:     71
    .vgpr_spill_count: 0
    .wavefront_size: 64
  - .agpr_count:     0
    .args:
      - .actual_access:  read_only
        .address_space:  global
        .offset:         0
        .size:           8
        .value_kind:     global_buffer
      - .actual_access:  read_only
        .address_space:  global
        .offset:         8
        .size:           8
        .value_kind:     global_buffer
      - .actual_access:  read_only
        .address_space:  global
        .offset:         16
        .size:           8
        .value_kind:     global_buffer
      - .offset:         24
        .size:           4
        .value_kind:     by_value
      - .offset:         28
        .size:           4
        .value_kind:     by_value
      - .actual_access:  read_only
        .address_space:  global
        .offset:         32
        .size:           8
        .value_kind:     global_buffer
      - .actual_access:  read_only
        .address_space:  global
        .offset:         40
        .size:           8
        .value_kind:     global_buffer
      - .actual_access:  read_only
        .address_space:  global
        .offset:         48
        .size:           8
        .value_kind:     global_buffer
      - .offset:         56
        .size:           4
        .value_kind:     by_value
      - .actual_access:  read_only
        .address_space:  global
        .offset:         64
        .size:           8
        .value_kind:     global_buffer
      - .offset:         72
        .size:           4
        .value_kind:     by_value
      - .offset:         76
        .size:           4
        .value_kind:     by_value
      - .offset:         80
        .size:           4
        .value_kind:     by_value
      - .actual_access:  write_only
        .address_space:  global
        .offset:         88
        .size:           8
        .value_kind:     global_buffer
      - .actual_access:  write_only
        .address_space:  global
        .offset:         96
        .size:           8
        .value_kind:     global_buffer
      - .actual_access:  write_only
        .address_space:  global
        .offset:         104
        .size:           8
        .value_kind:     global_buffer
      - .actual_access:  read_only
        .address_space:  global
        .offset:         112
        .size:           8
        .value_kind:     global_buffer
      - .offset:         120
        .size:           4
        .value_kind:     by_value
      - .address_space:  global
        .offset:         128
        .size:           8
        .value_kind:     global_buffer
      - .address_space:  global
        .offset:         136
        .size:           8
        .value_kind:     global_buffer
      - .offset:         144
        .size:           4
        .value_kind:     hidden_block_count_x
      - .offset:         148
        .size:           4
        .value_kind:     hidden_block_count_y
      - .offset:         152
        .size:           4
        .value_kind:     hidden_block_count_z
      - .offset:         156
        .size:           2
        .value_kind:     hidden_group_size_x
      - .offset:         158
        .size:           2
        .value_kind:     hidden_group_size_y
      - .offset:         160
        .size:           2
        .value_kind:     hidden_group_size_z
      - .offset:         162
        .size:           2
        .value_kind:     hidden_remainder_x
      - .offset:         164
        .size:           2
        .value_kind:     hidden_remainder_y
      - .offset:         166
        .size:           2
        .value_kind:     hidden_remainder_z
      - .offset:         184
        .size:           8
        .value_kind:     hidden_global_offset_x
      - .offset:         192
        .size:           8
        .value_kind:     hidden_global_offset_y
      - .offset:         200
        .size:           8
        .value_kind:     hidden_global_offset_z
      - .offset:         208
        .size:           2
        .value_kind:     hidden_grid_dims
    .group_segment_fixed_size: 8192
    .kernarg_segment_align: 8
    .kernarg_segment_size: 400
    .language:       OpenCL C
    .language_version:
      - 2
      - 0
    .max_flat_workgroup_size: 256
    .name:           _Z39paged_attention_ll4mi_QKV_mfma16_kernelIDF16_hLN4vllm18Fp8KVCacheDataTypeE1EhLi32ELi64ELi256ELb1ELi11EEvPKT_PKT0_S7_ifPKiS9_S9_iPKfiiiPfSC_PS2_PT2_iSB_SB_
    .private_segment_fixed_size: 0
    .sgpr_count:     56
    .sgpr_spill_count: 0
    .symbol:         _Z39paged_attention_ll4mi_QKV_mfma16_kernelIDF16_hLN4vllm18Fp8KVCacheDataTypeE1EhLi32ELi64ELi256ELb1ELi11EEvPKT_PKT0_S7_ifPKiS9_S9_iPKfiiiPfSC_PS2_PT2_iSB_SB_.kd
    .uniform_work_group_size: 1
    .uses_dynamic_stack: false
    .vgpr_count:     71
    .vgpr_spill_count: 0
    .wavefront_size: 64
  - .agpr_count:     0
    .args:
      - .actual_access:  read_only
        .address_space:  global
        .offset:         0
        .size:           8
        .value_kind:     global_buffer
      - .actual_access:  read_only
        .address_space:  global
        .offset:         8
        .size:           8
        .value_kind:     global_buffer
      - .actual_access:  read_only
        .address_space:  global
        .offset:         16
        .size:           8
        .value_kind:     global_buffer
      - .offset:         24
        .size:           4
        .value_kind:     by_value
      - .offset:         28
        .size:           4
        .value_kind:     by_value
      - .actual_access:  read_only
        .address_space:  global
        .offset:         32
        .size:           8
        .value_kind:     global_buffer
      - .actual_access:  read_only
        .address_space:  global
        .offset:         40
        .size:           8
        .value_kind:     global_buffer
      - .actual_access:  read_only
        .address_space:  global
        .offset:         48
        .size:           8
        .value_kind:     global_buffer
      - .offset:         56
        .size:           4
        .value_kind:     by_value
      - .actual_access:  read_only
        .address_space:  global
        .offset:         64
        .size:           8
        .value_kind:     global_buffer
      - .offset:         72
        .size:           4
        .value_kind:     by_value
      - .offset:         76
        .size:           4
        .value_kind:     by_value
      - .offset:         80
        .size:           4
        .value_kind:     by_value
      - .actual_access:  write_only
        .address_space:  global
        .offset:         88
        .size:           8
        .value_kind:     global_buffer
      - .actual_access:  write_only
        .address_space:  global
        .offset:         96
        .size:           8
        .value_kind:     global_buffer
      - .actual_access:  write_only
        .address_space:  global
        .offset:         104
        .size:           8
        .value_kind:     global_buffer
      - .actual_access:  read_only
        .address_space:  global
        .offset:         112
        .size:           8
        .value_kind:     global_buffer
      - .offset:         120
        .size:           4
        .value_kind:     by_value
      - .address_space:  global
        .offset:         128
        .size:           8
        .value_kind:     global_buffer
      - .address_space:  global
        .offset:         136
        .size:           8
        .value_kind:     global_buffer
      - .offset:         144
        .size:           4
        .value_kind:     hidden_block_count_x
      - .offset:         148
        .size:           4
        .value_kind:     hidden_block_count_y
      - .offset:         152
        .size:           4
        .value_kind:     hidden_block_count_z
      - .offset:         156
        .size:           2
        .value_kind:     hidden_group_size_x
      - .offset:         158
        .size:           2
        .value_kind:     hidden_group_size_y
      - .offset:         160
        .size:           2
        .value_kind:     hidden_group_size_z
      - .offset:         162
        .size:           2
        .value_kind:     hidden_remainder_x
      - .offset:         164
        .size:           2
        .value_kind:     hidden_remainder_y
      - .offset:         166
        .size:           2
        .value_kind:     hidden_remainder_z
      - .offset:         184
        .size:           8
        .value_kind:     hidden_global_offset_x
      - .offset:         192
        .size:           8
        .value_kind:     hidden_global_offset_y
      - .offset:         200
        .size:           8
        .value_kind:     hidden_global_offset_z
      - .offset:         208
        .size:           2
        .value_kind:     hidden_grid_dims
    .group_segment_fixed_size: 8192
    .kernarg_segment_align: 8
    .kernarg_segment_size: 400
    .language:       OpenCL C
    .language_version:
      - 2
      - 0
    .max_flat_workgroup_size: 256
    .name:           _Z39paged_attention_ll4mi_QKV_mfma16_kernelIDF16_hLN4vllm18Fp8KVCacheDataTypeE1EhLi32ELi64ELi256ELb1ELi12EEvPKT_PKT0_S7_ifPKiS9_S9_iPKfiiiPfSC_PS2_PT2_iSB_SB_
    .private_segment_fixed_size: 0
    .sgpr_count:     56
    .sgpr_spill_count: 0
    .symbol:         _Z39paged_attention_ll4mi_QKV_mfma16_kernelIDF16_hLN4vllm18Fp8KVCacheDataTypeE1EhLi32ELi64ELi256ELb1ELi12EEvPKT_PKT0_S7_ifPKiS9_S9_iPKfiiiPfSC_PS2_PT2_iSB_SB_.kd
    .uniform_work_group_size: 1
    .uses_dynamic_stack: false
    .vgpr_count:     71
    .vgpr_spill_count: 0
    .wavefront_size: 64
  - .agpr_count:     0
    .args:
      - .actual_access:  read_only
        .address_space:  global
        .offset:         0
        .size:           8
        .value_kind:     global_buffer
      - .actual_access:  read_only
        .address_space:  global
        .offset:         8
        .size:           8
        .value_kind:     global_buffer
      - .actual_access:  read_only
        .address_space:  global
        .offset:         16
        .size:           8
        .value_kind:     global_buffer
      - .offset:         24
        .size:           4
        .value_kind:     by_value
      - .offset:         28
        .size:           4
        .value_kind:     by_value
      - .actual_access:  read_only
        .address_space:  global
        .offset:         32
        .size:           8
        .value_kind:     global_buffer
      - .actual_access:  read_only
        .address_space:  global
        .offset:         40
        .size:           8
        .value_kind:     global_buffer
      - .actual_access:  read_only
        .address_space:  global
        .offset:         48
        .size:           8
        .value_kind:     global_buffer
      - .offset:         56
        .size:           4
        .value_kind:     by_value
      - .actual_access:  read_only
        .address_space:  global
        .offset:         64
        .size:           8
        .value_kind:     global_buffer
      - .offset:         72
        .size:           4
        .value_kind:     by_value
      - .offset:         76
        .size:           4
        .value_kind:     by_value
      - .offset:         80
        .size:           4
        .value_kind:     by_value
      - .actual_access:  write_only
        .address_space:  global
        .offset:         88
        .size:           8
        .value_kind:     global_buffer
      - .actual_access:  write_only
        .address_space:  global
        .offset:         96
        .size:           8
        .value_kind:     global_buffer
      - .actual_access:  write_only
        .address_space:  global
        .offset:         104
        .size:           8
        .value_kind:     global_buffer
      - .actual_access:  read_only
        .address_space:  global
        .offset:         112
        .size:           8
        .value_kind:     global_buffer
      - .offset:         120
        .size:           4
        .value_kind:     by_value
      - .address_space:  global
        .offset:         128
        .size:           8
        .value_kind:     global_buffer
      - .address_space:  global
        .offset:         136
        .size:           8
        .value_kind:     global_buffer
      - .offset:         144
        .size:           4
        .value_kind:     hidden_block_count_x
      - .offset:         148
        .size:           4
        .value_kind:     hidden_block_count_y
      - .offset:         152
        .size:           4
        .value_kind:     hidden_block_count_z
      - .offset:         156
        .size:           2
        .value_kind:     hidden_group_size_x
      - .offset:         158
        .size:           2
        .value_kind:     hidden_group_size_y
      - .offset:         160
        .size:           2
        .value_kind:     hidden_group_size_z
      - .offset:         162
        .size:           2
        .value_kind:     hidden_remainder_x
      - .offset:         164
        .size:           2
        .value_kind:     hidden_remainder_y
      - .offset:         166
        .size:           2
        .value_kind:     hidden_remainder_z
      - .offset:         184
        .size:           8
        .value_kind:     hidden_global_offset_x
      - .offset:         192
        .size:           8
        .value_kind:     hidden_global_offset_y
      - .offset:         200
        .size:           8
        .value_kind:     hidden_global_offset_z
      - .offset:         208
        .size:           2
        .value_kind:     hidden_grid_dims
    .group_segment_fixed_size: 8192
    .kernarg_segment_align: 8
    .kernarg_segment_size: 400
    .language:       OpenCL C
    .language_version:
      - 2
      - 0
    .max_flat_workgroup_size: 256
    .name:           _Z39paged_attention_ll4mi_QKV_mfma16_kernelIDF16_hLN4vllm18Fp8KVCacheDataTypeE1EhLi32ELi64ELi256ELb1ELi13EEvPKT_PKT0_S7_ifPKiS9_S9_iPKfiiiPfSC_PS2_PT2_iSB_SB_
    .private_segment_fixed_size: 0
    .sgpr_count:     56
    .sgpr_spill_count: 0
    .symbol:         _Z39paged_attention_ll4mi_QKV_mfma16_kernelIDF16_hLN4vllm18Fp8KVCacheDataTypeE1EhLi32ELi64ELi256ELb1ELi13EEvPKT_PKT0_S7_ifPKiS9_S9_iPKfiiiPfSC_PS2_PT2_iSB_SB_.kd
    .uniform_work_group_size: 1
    .uses_dynamic_stack: false
    .vgpr_count:     71
    .vgpr_spill_count: 0
    .wavefront_size: 64
  - .agpr_count:     0
    .args:
      - .actual_access:  read_only
        .address_space:  global
        .offset:         0
        .size:           8
        .value_kind:     global_buffer
      - .actual_access:  read_only
        .address_space:  global
        .offset:         8
        .size:           8
        .value_kind:     global_buffer
      - .actual_access:  read_only
        .address_space:  global
        .offset:         16
        .size:           8
        .value_kind:     global_buffer
      - .offset:         24
        .size:           4
        .value_kind:     by_value
      - .offset:         28
        .size:           4
        .value_kind:     by_value
      - .actual_access:  read_only
        .address_space:  global
        .offset:         32
        .size:           8
        .value_kind:     global_buffer
      - .actual_access:  read_only
        .address_space:  global
        .offset:         40
        .size:           8
        .value_kind:     global_buffer
      - .actual_access:  read_only
        .address_space:  global
        .offset:         48
        .size:           8
        .value_kind:     global_buffer
      - .offset:         56
        .size:           4
        .value_kind:     by_value
      - .actual_access:  read_only
        .address_space:  global
        .offset:         64
        .size:           8
        .value_kind:     global_buffer
      - .offset:         72
        .size:           4
        .value_kind:     by_value
      - .offset:         76
        .size:           4
        .value_kind:     by_value
      - .offset:         80
        .size:           4
        .value_kind:     by_value
      - .actual_access:  write_only
        .address_space:  global
        .offset:         88
        .size:           8
        .value_kind:     global_buffer
      - .actual_access:  write_only
        .address_space:  global
        .offset:         96
        .size:           8
        .value_kind:     global_buffer
      - .actual_access:  write_only
        .address_space:  global
        .offset:         104
        .size:           8
        .value_kind:     global_buffer
      - .actual_access:  read_only
        .address_space:  global
        .offset:         112
        .size:           8
        .value_kind:     global_buffer
      - .offset:         120
        .size:           4
        .value_kind:     by_value
      - .address_space:  global
        .offset:         128
        .size:           8
        .value_kind:     global_buffer
      - .address_space:  global
        .offset:         136
        .size:           8
        .value_kind:     global_buffer
      - .offset:         144
        .size:           4
        .value_kind:     hidden_block_count_x
      - .offset:         148
        .size:           4
        .value_kind:     hidden_block_count_y
      - .offset:         152
        .size:           4
        .value_kind:     hidden_block_count_z
      - .offset:         156
        .size:           2
        .value_kind:     hidden_group_size_x
      - .offset:         158
        .size:           2
        .value_kind:     hidden_group_size_y
      - .offset:         160
        .size:           2
        .value_kind:     hidden_group_size_z
      - .offset:         162
        .size:           2
        .value_kind:     hidden_remainder_x
      - .offset:         164
        .size:           2
        .value_kind:     hidden_remainder_y
      - .offset:         166
        .size:           2
        .value_kind:     hidden_remainder_z
      - .offset:         184
        .size:           8
        .value_kind:     hidden_global_offset_x
      - .offset:         192
        .size:           8
        .value_kind:     hidden_global_offset_y
      - .offset:         200
        .size:           8
        .value_kind:     hidden_global_offset_z
      - .offset:         208
        .size:           2
        .value_kind:     hidden_grid_dims
    .group_segment_fixed_size: 8192
    .kernarg_segment_align: 8
    .kernarg_segment_size: 400
    .language:       OpenCL C
    .language_version:
      - 2
      - 0
    .max_flat_workgroup_size: 256
    .name:           _Z39paged_attention_ll4mi_QKV_mfma16_kernelIDF16_hLN4vllm18Fp8KVCacheDataTypeE1EhLi32ELi64ELi256ELb1ELi14EEvPKT_PKT0_S7_ifPKiS9_S9_iPKfiiiPfSC_PS2_PT2_iSB_SB_
    .private_segment_fixed_size: 0
    .sgpr_count:     56
    .sgpr_spill_count: 0
    .symbol:         _Z39paged_attention_ll4mi_QKV_mfma16_kernelIDF16_hLN4vllm18Fp8KVCacheDataTypeE1EhLi32ELi64ELi256ELb1ELi14EEvPKT_PKT0_S7_ifPKiS9_S9_iPKfiiiPfSC_PS2_PT2_iSB_SB_.kd
    .uniform_work_group_size: 1
    .uses_dynamic_stack: false
    .vgpr_count:     71
    .vgpr_spill_count: 0
    .wavefront_size: 64
  - .agpr_count:     0
    .args:
      - .actual_access:  read_only
        .address_space:  global
        .offset:         0
        .size:           8
        .value_kind:     global_buffer
      - .actual_access:  read_only
        .address_space:  global
        .offset:         8
        .size:           8
        .value_kind:     global_buffer
      - .actual_access:  read_only
        .address_space:  global
        .offset:         16
        .size:           8
        .value_kind:     global_buffer
      - .offset:         24
        .size:           4
        .value_kind:     by_value
      - .offset:         28
        .size:           4
        .value_kind:     by_value
      - .actual_access:  read_only
        .address_space:  global
        .offset:         32
        .size:           8
        .value_kind:     global_buffer
      - .actual_access:  read_only
        .address_space:  global
        .offset:         40
        .size:           8
        .value_kind:     global_buffer
      - .actual_access:  read_only
        .address_space:  global
        .offset:         48
        .size:           8
        .value_kind:     global_buffer
      - .offset:         56
        .size:           4
        .value_kind:     by_value
      - .actual_access:  read_only
        .address_space:  global
        .offset:         64
        .size:           8
        .value_kind:     global_buffer
      - .offset:         72
        .size:           4
        .value_kind:     by_value
      - .offset:         76
        .size:           4
        .value_kind:     by_value
      - .offset:         80
        .size:           4
        .value_kind:     by_value
      - .actual_access:  write_only
        .address_space:  global
        .offset:         88
        .size:           8
        .value_kind:     global_buffer
      - .actual_access:  write_only
        .address_space:  global
        .offset:         96
        .size:           8
        .value_kind:     global_buffer
      - .actual_access:  write_only
        .address_space:  global
        .offset:         104
        .size:           8
        .value_kind:     global_buffer
      - .actual_access:  read_only
        .address_space:  global
        .offset:         112
        .size:           8
        .value_kind:     global_buffer
      - .offset:         120
        .size:           4
        .value_kind:     by_value
      - .address_space:  global
        .offset:         128
        .size:           8
        .value_kind:     global_buffer
      - .address_space:  global
        .offset:         136
        .size:           8
        .value_kind:     global_buffer
      - .offset:         144
        .size:           4
        .value_kind:     hidden_block_count_x
      - .offset:         148
        .size:           4
        .value_kind:     hidden_block_count_y
      - .offset:         152
        .size:           4
        .value_kind:     hidden_block_count_z
      - .offset:         156
        .size:           2
        .value_kind:     hidden_group_size_x
      - .offset:         158
        .size:           2
        .value_kind:     hidden_group_size_y
      - .offset:         160
        .size:           2
        .value_kind:     hidden_group_size_z
      - .offset:         162
        .size:           2
        .value_kind:     hidden_remainder_x
      - .offset:         164
        .size:           2
        .value_kind:     hidden_remainder_y
      - .offset:         166
        .size:           2
        .value_kind:     hidden_remainder_z
      - .offset:         184
        .size:           8
        .value_kind:     hidden_global_offset_x
      - .offset:         192
        .size:           8
        .value_kind:     hidden_global_offset_y
      - .offset:         200
        .size:           8
        .value_kind:     hidden_global_offset_z
      - .offset:         208
        .size:           2
        .value_kind:     hidden_grid_dims
    .group_segment_fixed_size: 8192
    .kernarg_segment_align: 8
    .kernarg_segment_size: 400
    .language:       OpenCL C
    .language_version:
      - 2
      - 0
    .max_flat_workgroup_size: 256
    .name:           _Z39paged_attention_ll4mi_QKV_mfma16_kernelIDF16_hLN4vllm18Fp8KVCacheDataTypeE1EhLi32ELi64ELi256ELb1ELi15EEvPKT_PKT0_S7_ifPKiS9_S9_iPKfiiiPfSC_PS2_PT2_iSB_SB_
    .private_segment_fixed_size: 0
    .sgpr_count:     56
    .sgpr_spill_count: 0
    .symbol:         _Z39paged_attention_ll4mi_QKV_mfma16_kernelIDF16_hLN4vllm18Fp8KVCacheDataTypeE1EhLi32ELi64ELi256ELb1ELi15EEvPKT_PKT0_S7_ifPKiS9_S9_iPKfiiiPfSC_PS2_PT2_iSB_SB_.kd
    .uniform_work_group_size: 1
    .uses_dynamic_stack: false
    .vgpr_count:     71
    .vgpr_spill_count: 0
    .wavefront_size: 64
  - .agpr_count:     0
    .args:
      - .actual_access:  read_only
        .address_space:  global
        .offset:         0
        .size:           8
        .value_kind:     global_buffer
      - .actual_access:  read_only
        .address_space:  global
        .offset:         8
        .size:           8
        .value_kind:     global_buffer
      - .actual_access:  read_only
        .address_space:  global
        .offset:         16
        .size:           8
        .value_kind:     global_buffer
      - .offset:         24
        .size:           4
        .value_kind:     by_value
      - .offset:         28
        .size:           4
        .value_kind:     by_value
      - .actual_access:  read_only
        .address_space:  global
        .offset:         32
        .size:           8
        .value_kind:     global_buffer
      - .actual_access:  read_only
        .address_space:  global
        .offset:         40
        .size:           8
        .value_kind:     global_buffer
      - .actual_access:  read_only
        .address_space:  global
        .offset:         48
        .size:           8
        .value_kind:     global_buffer
      - .offset:         56
        .size:           4
        .value_kind:     by_value
      - .actual_access:  read_only
        .address_space:  global
        .offset:         64
        .size:           8
        .value_kind:     global_buffer
      - .offset:         72
        .size:           4
        .value_kind:     by_value
      - .offset:         76
        .size:           4
        .value_kind:     by_value
      - .offset:         80
        .size:           4
        .value_kind:     by_value
      - .actual_access:  write_only
        .address_space:  global
        .offset:         88
        .size:           8
        .value_kind:     global_buffer
      - .actual_access:  write_only
        .address_space:  global
        .offset:         96
        .size:           8
        .value_kind:     global_buffer
      - .actual_access:  write_only
        .address_space:  global
        .offset:         104
        .size:           8
        .value_kind:     global_buffer
      - .actual_access:  read_only
        .address_space:  global
        .offset:         112
        .size:           8
        .value_kind:     global_buffer
      - .offset:         120
        .size:           4
        .value_kind:     by_value
      - .address_space:  global
        .offset:         128
        .size:           8
        .value_kind:     global_buffer
      - .address_space:  global
        .offset:         136
        .size:           8
        .value_kind:     global_buffer
      - .offset:         144
        .size:           4
        .value_kind:     hidden_block_count_x
      - .offset:         148
        .size:           4
        .value_kind:     hidden_block_count_y
      - .offset:         152
        .size:           4
        .value_kind:     hidden_block_count_z
      - .offset:         156
        .size:           2
        .value_kind:     hidden_group_size_x
      - .offset:         158
        .size:           2
        .value_kind:     hidden_group_size_y
      - .offset:         160
        .size:           2
        .value_kind:     hidden_group_size_z
      - .offset:         162
        .size:           2
        .value_kind:     hidden_remainder_x
      - .offset:         164
        .size:           2
        .value_kind:     hidden_remainder_y
      - .offset:         166
        .size:           2
        .value_kind:     hidden_remainder_z
      - .offset:         184
        .size:           8
        .value_kind:     hidden_global_offset_x
      - .offset:         192
        .size:           8
        .value_kind:     hidden_global_offset_y
      - .offset:         200
        .size:           8
        .value_kind:     hidden_global_offset_z
      - .offset:         208
        .size:           2
        .value_kind:     hidden_grid_dims
    .group_segment_fixed_size: 8192
    .kernarg_segment_align: 8
    .kernarg_segment_size: 400
    .language:       OpenCL C
    .language_version:
      - 2
      - 0
    .max_flat_workgroup_size: 256
    .name:           _Z39paged_attention_ll4mi_QKV_mfma16_kernelIDF16_hLN4vllm18Fp8KVCacheDataTypeE1EhLi32ELi64ELi256ELb1ELi16EEvPKT_PKT0_S7_ifPKiS9_S9_iPKfiiiPfSC_PS2_PT2_iSB_SB_
    .private_segment_fixed_size: 0
    .sgpr_count:     55
    .sgpr_spill_count: 0
    .symbol:         _Z39paged_attention_ll4mi_QKV_mfma16_kernelIDF16_hLN4vllm18Fp8KVCacheDataTypeE1EhLi32ELi64ELi256ELb1ELi16EEvPKT_PKT0_S7_ifPKiS9_S9_iPKfiiiPfSC_PS2_PT2_iSB_SB_.kd
    .uniform_work_group_size: 1
    .uses_dynamic_stack: false
    .vgpr_count:     56
    .vgpr_spill_count: 0
    .wavefront_size: 64
  - .agpr_count:     0
    .args:
      - .actual_access:  read_only
        .address_space:  global
        .offset:         0
        .size:           8
        .value_kind:     global_buffer
      - .actual_access:  read_only
        .address_space:  global
        .offset:         8
        .size:           8
        .value_kind:     global_buffer
      - .actual_access:  read_only
        .address_space:  global
        .offset:         16
        .size:           8
        .value_kind:     global_buffer
      - .offset:         24
        .size:           4
        .value_kind:     by_value
      - .offset:         28
        .size:           4
        .value_kind:     by_value
      - .actual_access:  read_only
        .address_space:  global
        .offset:         32
        .size:           8
        .value_kind:     global_buffer
      - .actual_access:  read_only
        .address_space:  global
        .offset:         40
        .size:           8
        .value_kind:     global_buffer
      - .actual_access:  read_only
        .address_space:  global
        .offset:         48
        .size:           8
        .value_kind:     global_buffer
      - .offset:         56
        .size:           4
        .value_kind:     by_value
      - .actual_access:  read_only
        .address_space:  global
        .offset:         64
        .size:           8
        .value_kind:     global_buffer
      - .offset:         72
        .size:           4
        .value_kind:     by_value
      - .offset:         76
        .size:           4
        .value_kind:     by_value
      - .offset:         80
        .size:           4
        .value_kind:     by_value
      - .actual_access:  write_only
        .address_space:  global
        .offset:         88
        .size:           8
        .value_kind:     global_buffer
      - .actual_access:  write_only
        .address_space:  global
        .offset:         96
        .size:           8
        .value_kind:     global_buffer
      - .actual_access:  write_only
        .address_space:  global
        .offset:         104
        .size:           8
        .value_kind:     global_buffer
      - .actual_access:  read_only
        .address_space:  global
        .offset:         112
        .size:           8
        .value_kind:     global_buffer
      - .offset:         120
        .size:           4
        .value_kind:     by_value
      - .address_space:  global
        .offset:         128
        .size:           8
        .value_kind:     global_buffer
      - .address_space:  global
        .offset:         136
        .size:           8
        .value_kind:     global_buffer
      - .offset:         144
        .size:           4
        .value_kind:     hidden_block_count_x
      - .offset:         148
        .size:           4
        .value_kind:     hidden_block_count_y
      - .offset:         152
        .size:           4
        .value_kind:     hidden_block_count_z
      - .offset:         156
        .size:           2
        .value_kind:     hidden_group_size_x
      - .offset:         158
        .size:           2
        .value_kind:     hidden_group_size_y
      - .offset:         160
        .size:           2
        .value_kind:     hidden_group_size_z
      - .offset:         162
        .size:           2
        .value_kind:     hidden_remainder_x
      - .offset:         164
        .size:           2
        .value_kind:     hidden_remainder_y
      - .offset:         166
        .size:           2
        .value_kind:     hidden_remainder_z
      - .offset:         184
        .size:           8
        .value_kind:     hidden_global_offset_x
      - .offset:         192
        .size:           8
        .value_kind:     hidden_global_offset_y
      - .offset:         200
        .size:           8
        .value_kind:     hidden_global_offset_z
      - .offset:         208
        .size:           2
        .value_kind:     hidden_grid_dims
    .group_segment_fixed_size: 8192
    .kernarg_segment_align: 8
    .kernarg_segment_size: 400
    .language:       OpenCL C
    .language_version:
      - 2
      - 0
    .max_flat_workgroup_size: 256
    .name:           _Z39paged_attention_ll4mi_QKV_mfma16_kernelIDF16_hLN4vllm18Fp8KVCacheDataTypeE1EhLi32ELi64ELi256ELb1ELi1EEvPKT_PKT0_S7_ifPKiS9_S9_iPKfiiiPfSC_PS2_PT2_iSB_SB_
    .private_segment_fixed_size: 0
    .sgpr_count:     58
    .sgpr_spill_count: 0
    .symbol:         _Z39paged_attention_ll4mi_QKV_mfma16_kernelIDF16_hLN4vllm18Fp8KVCacheDataTypeE1EhLi32ELi64ELi256ELb1ELi1EEvPKT_PKT0_S7_ifPKiS9_S9_iPKfiiiPfSC_PS2_PT2_iSB_SB_.kd
    .uniform_work_group_size: 1
    .uses_dynamic_stack: false
    .vgpr_count:     73
    .vgpr_spill_count: 0
    .wavefront_size: 64
  - .agpr_count:     0
    .args:
      - .actual_access:  read_only
        .address_space:  global
        .offset:         0
        .size:           8
        .value_kind:     global_buffer
      - .actual_access:  read_only
        .address_space:  global
        .offset:         8
        .size:           8
        .value_kind:     global_buffer
      - .actual_access:  read_only
        .address_space:  global
        .offset:         16
        .size:           8
        .value_kind:     global_buffer
      - .offset:         24
        .size:           4
        .value_kind:     by_value
      - .offset:         28
        .size:           4
        .value_kind:     by_value
      - .actual_access:  read_only
        .address_space:  global
        .offset:         32
        .size:           8
        .value_kind:     global_buffer
      - .actual_access:  read_only
        .address_space:  global
        .offset:         40
        .size:           8
        .value_kind:     global_buffer
      - .actual_access:  read_only
        .address_space:  global
        .offset:         48
        .size:           8
        .value_kind:     global_buffer
      - .offset:         56
        .size:           4
        .value_kind:     by_value
      - .actual_access:  read_only
        .address_space:  global
        .offset:         64
        .size:           8
        .value_kind:     global_buffer
      - .offset:         72
        .size:           4
        .value_kind:     by_value
      - .offset:         76
        .size:           4
        .value_kind:     by_value
      - .offset:         80
        .size:           4
        .value_kind:     by_value
      - .actual_access:  write_only
        .address_space:  global
        .offset:         88
        .size:           8
        .value_kind:     global_buffer
      - .actual_access:  write_only
        .address_space:  global
        .offset:         96
        .size:           8
        .value_kind:     global_buffer
      - .actual_access:  write_only
        .address_space:  global
        .offset:         104
        .size:           8
        .value_kind:     global_buffer
      - .actual_access:  read_only
        .address_space:  global
        .offset:         112
        .size:           8
        .value_kind:     global_buffer
      - .offset:         120
        .size:           4
        .value_kind:     by_value
      - .address_space:  global
        .offset:         128
        .size:           8
        .value_kind:     global_buffer
      - .address_space:  global
        .offset:         136
        .size:           8
        .value_kind:     global_buffer
      - .offset:         144
        .size:           4
        .value_kind:     hidden_block_count_x
      - .offset:         148
        .size:           4
        .value_kind:     hidden_block_count_y
      - .offset:         152
        .size:           4
        .value_kind:     hidden_block_count_z
      - .offset:         156
        .size:           2
        .value_kind:     hidden_group_size_x
      - .offset:         158
        .size:           2
        .value_kind:     hidden_group_size_y
      - .offset:         160
        .size:           2
        .value_kind:     hidden_group_size_z
      - .offset:         162
        .size:           2
        .value_kind:     hidden_remainder_x
      - .offset:         164
        .size:           2
        .value_kind:     hidden_remainder_y
      - .offset:         166
        .size:           2
        .value_kind:     hidden_remainder_z
      - .offset:         184
        .size:           8
        .value_kind:     hidden_global_offset_x
      - .offset:         192
        .size:           8
        .value_kind:     hidden_global_offset_y
      - .offset:         200
        .size:           8
        .value_kind:     hidden_global_offset_z
      - .offset:         208
        .size:           2
        .value_kind:     hidden_grid_dims
    .group_segment_fixed_size: 8192
    .kernarg_segment_align: 8
    .kernarg_segment_size: 400
    .language:       OpenCL C
    .language_version:
      - 2
      - 0
    .max_flat_workgroup_size: 256
    .name:           _Z39paged_attention_ll4mi_QKV_mfma16_kernelIDF16_hLN4vllm18Fp8KVCacheDataTypeE1EhLi32ELi64ELi256ELb1ELi2EEvPKT_PKT0_S7_ifPKiS9_S9_iPKfiiiPfSC_PS2_PT2_iSB_SB_
    .private_segment_fixed_size: 0
    .sgpr_count:     54
    .sgpr_spill_count: 0
    .symbol:         _Z39paged_attention_ll4mi_QKV_mfma16_kernelIDF16_hLN4vllm18Fp8KVCacheDataTypeE1EhLi32ELi64ELi256ELb1ELi2EEvPKT_PKT0_S7_ifPKiS9_S9_iPKfiiiPfSC_PS2_PT2_iSB_SB_.kd
    .uniform_work_group_size: 1
    .uses_dynamic_stack: false
    .vgpr_count:     73
    .vgpr_spill_count: 0
    .wavefront_size: 64
  - .agpr_count:     0
    .args:
      - .actual_access:  read_only
        .address_space:  global
        .offset:         0
        .size:           8
        .value_kind:     global_buffer
      - .actual_access:  read_only
        .address_space:  global
        .offset:         8
        .size:           8
        .value_kind:     global_buffer
      - .actual_access:  read_only
        .address_space:  global
        .offset:         16
        .size:           8
        .value_kind:     global_buffer
      - .offset:         24
        .size:           4
        .value_kind:     by_value
      - .offset:         28
        .size:           4
        .value_kind:     by_value
      - .actual_access:  read_only
        .address_space:  global
        .offset:         32
        .size:           8
        .value_kind:     global_buffer
      - .actual_access:  read_only
        .address_space:  global
        .offset:         40
        .size:           8
        .value_kind:     global_buffer
      - .actual_access:  read_only
        .address_space:  global
        .offset:         48
        .size:           8
        .value_kind:     global_buffer
      - .offset:         56
        .size:           4
        .value_kind:     by_value
      - .actual_access:  read_only
        .address_space:  global
        .offset:         64
        .size:           8
        .value_kind:     global_buffer
      - .offset:         72
        .size:           4
        .value_kind:     by_value
      - .offset:         76
        .size:           4
        .value_kind:     by_value
      - .offset:         80
        .size:           4
        .value_kind:     by_value
      - .actual_access:  write_only
        .address_space:  global
        .offset:         88
        .size:           8
        .value_kind:     global_buffer
      - .actual_access:  write_only
        .address_space:  global
        .offset:         96
        .size:           8
        .value_kind:     global_buffer
      - .actual_access:  write_only
        .address_space:  global
        .offset:         104
        .size:           8
        .value_kind:     global_buffer
      - .actual_access:  read_only
        .address_space:  global
        .offset:         112
        .size:           8
        .value_kind:     global_buffer
      - .offset:         120
        .size:           4
        .value_kind:     by_value
      - .address_space:  global
        .offset:         128
        .size:           8
        .value_kind:     global_buffer
      - .address_space:  global
        .offset:         136
        .size:           8
        .value_kind:     global_buffer
      - .offset:         144
        .size:           4
        .value_kind:     hidden_block_count_x
      - .offset:         148
        .size:           4
        .value_kind:     hidden_block_count_y
      - .offset:         152
        .size:           4
        .value_kind:     hidden_block_count_z
      - .offset:         156
        .size:           2
        .value_kind:     hidden_group_size_x
      - .offset:         158
        .size:           2
        .value_kind:     hidden_group_size_y
      - .offset:         160
        .size:           2
        .value_kind:     hidden_group_size_z
      - .offset:         162
        .size:           2
        .value_kind:     hidden_remainder_x
      - .offset:         164
        .size:           2
        .value_kind:     hidden_remainder_y
      - .offset:         166
        .size:           2
        .value_kind:     hidden_remainder_z
      - .offset:         184
        .size:           8
        .value_kind:     hidden_global_offset_x
      - .offset:         192
        .size:           8
        .value_kind:     hidden_global_offset_y
      - .offset:         200
        .size:           8
        .value_kind:     hidden_global_offset_z
      - .offset:         208
        .size:           2
        .value_kind:     hidden_grid_dims
    .group_segment_fixed_size: 8192
    .kernarg_segment_align: 8
    .kernarg_segment_size: 400
    .language:       OpenCL C
    .language_version:
      - 2
      - 0
    .max_flat_workgroup_size: 256
    .name:           _Z39paged_attention_ll4mi_QKV_mfma16_kernelIDF16_hLN4vllm18Fp8KVCacheDataTypeE1EhLi32ELi64ELi256ELb1ELi3EEvPKT_PKT0_S7_ifPKiS9_S9_iPKfiiiPfSC_PS2_PT2_iSB_SB_
    .private_segment_fixed_size: 0
    .sgpr_count:     56
    .sgpr_spill_count: 0
    .symbol:         _Z39paged_attention_ll4mi_QKV_mfma16_kernelIDF16_hLN4vllm18Fp8KVCacheDataTypeE1EhLi32ELi64ELi256ELb1ELi3EEvPKT_PKT0_S7_ifPKiS9_S9_iPKfiiiPfSC_PS2_PT2_iSB_SB_.kd
    .uniform_work_group_size: 1
    .uses_dynamic_stack: false
    .vgpr_count:     71
    .vgpr_spill_count: 0
    .wavefront_size: 64
  - .agpr_count:     0
    .args:
      - .actual_access:  read_only
        .address_space:  global
        .offset:         0
        .size:           8
        .value_kind:     global_buffer
      - .actual_access:  read_only
        .address_space:  global
        .offset:         8
        .size:           8
        .value_kind:     global_buffer
      - .actual_access:  read_only
        .address_space:  global
        .offset:         16
        .size:           8
        .value_kind:     global_buffer
      - .offset:         24
        .size:           4
        .value_kind:     by_value
      - .offset:         28
        .size:           4
        .value_kind:     by_value
      - .actual_access:  read_only
        .address_space:  global
        .offset:         32
        .size:           8
        .value_kind:     global_buffer
      - .actual_access:  read_only
        .address_space:  global
        .offset:         40
        .size:           8
        .value_kind:     global_buffer
      - .actual_access:  read_only
        .address_space:  global
        .offset:         48
        .size:           8
        .value_kind:     global_buffer
      - .offset:         56
        .size:           4
        .value_kind:     by_value
      - .actual_access:  read_only
        .address_space:  global
        .offset:         64
        .size:           8
        .value_kind:     global_buffer
      - .offset:         72
        .size:           4
        .value_kind:     by_value
      - .offset:         76
        .size:           4
        .value_kind:     by_value
      - .offset:         80
        .size:           4
        .value_kind:     by_value
      - .actual_access:  write_only
        .address_space:  global
        .offset:         88
        .size:           8
        .value_kind:     global_buffer
      - .actual_access:  write_only
        .address_space:  global
        .offset:         96
        .size:           8
        .value_kind:     global_buffer
      - .actual_access:  write_only
        .address_space:  global
        .offset:         104
        .size:           8
        .value_kind:     global_buffer
      - .actual_access:  read_only
        .address_space:  global
        .offset:         112
        .size:           8
        .value_kind:     global_buffer
      - .offset:         120
        .size:           4
        .value_kind:     by_value
      - .address_space:  global
        .offset:         128
        .size:           8
        .value_kind:     global_buffer
      - .address_space:  global
        .offset:         136
        .size:           8
        .value_kind:     global_buffer
      - .offset:         144
        .size:           4
        .value_kind:     hidden_block_count_x
      - .offset:         148
        .size:           4
        .value_kind:     hidden_block_count_y
      - .offset:         152
        .size:           4
        .value_kind:     hidden_block_count_z
      - .offset:         156
        .size:           2
        .value_kind:     hidden_group_size_x
      - .offset:         158
        .size:           2
        .value_kind:     hidden_group_size_y
      - .offset:         160
        .size:           2
        .value_kind:     hidden_group_size_z
      - .offset:         162
        .size:           2
        .value_kind:     hidden_remainder_x
      - .offset:         164
        .size:           2
        .value_kind:     hidden_remainder_y
      - .offset:         166
        .size:           2
        .value_kind:     hidden_remainder_z
      - .offset:         184
        .size:           8
        .value_kind:     hidden_global_offset_x
      - .offset:         192
        .size:           8
        .value_kind:     hidden_global_offset_y
      - .offset:         200
        .size:           8
        .value_kind:     hidden_global_offset_z
      - .offset:         208
        .size:           2
        .value_kind:     hidden_grid_dims
    .group_segment_fixed_size: 8192
    .kernarg_segment_align: 8
    .kernarg_segment_size: 400
    .language:       OpenCL C
    .language_version:
      - 2
      - 0
    .max_flat_workgroup_size: 256
    .name:           _Z39paged_attention_ll4mi_QKV_mfma16_kernelIDF16_hLN4vllm18Fp8KVCacheDataTypeE1EhLi32ELi64ELi256ELb1ELi4EEvPKT_PKT0_S7_ifPKiS9_S9_iPKfiiiPfSC_PS2_PT2_iSB_SB_
    .private_segment_fixed_size: 0
    .sgpr_count:     56
    .sgpr_spill_count: 0
    .symbol:         _Z39paged_attention_ll4mi_QKV_mfma16_kernelIDF16_hLN4vllm18Fp8KVCacheDataTypeE1EhLi32ELi64ELi256ELb1ELi4EEvPKT_PKT0_S7_ifPKiS9_S9_iPKfiiiPfSC_PS2_PT2_iSB_SB_.kd
    .uniform_work_group_size: 1
    .uses_dynamic_stack: false
    .vgpr_count:     75
    .vgpr_spill_count: 0
    .wavefront_size: 64
  - .agpr_count:     4
    .args:
      - .actual_access:  read_only
        .address_space:  global
        .offset:         0
        .size:           8
        .value_kind:     global_buffer
      - .actual_access:  read_only
        .address_space:  global
        .offset:         8
        .size:           8
        .value_kind:     global_buffer
      - .actual_access:  read_only
        .address_space:  global
        .offset:         16
        .size:           8
        .value_kind:     global_buffer
      - .offset:         24
        .size:           4
        .value_kind:     by_value
      - .offset:         28
        .size:           4
        .value_kind:     by_value
      - .actual_access:  read_only
        .address_space:  global
        .offset:         32
        .size:           8
        .value_kind:     global_buffer
      - .actual_access:  read_only
        .address_space:  global
        .offset:         40
        .size:           8
        .value_kind:     global_buffer
      - .actual_access:  read_only
        .address_space:  global
        .offset:         48
        .size:           8
        .value_kind:     global_buffer
      - .offset:         56
        .size:           4
        .value_kind:     by_value
      - .actual_access:  read_only
        .address_space:  global
        .offset:         64
        .size:           8
        .value_kind:     global_buffer
      - .offset:         72
        .size:           4
        .value_kind:     by_value
      - .offset:         76
        .size:           4
        .value_kind:     by_value
      - .offset:         80
        .size:           4
        .value_kind:     by_value
      - .actual_access:  write_only
        .address_space:  global
        .offset:         88
        .size:           8
        .value_kind:     global_buffer
      - .actual_access:  write_only
        .address_space:  global
        .offset:         96
        .size:           8
        .value_kind:     global_buffer
      - .actual_access:  write_only
        .address_space:  global
        .offset:         104
        .size:           8
        .value_kind:     global_buffer
      - .actual_access:  read_only
        .address_space:  global
        .offset:         112
        .size:           8
        .value_kind:     global_buffer
      - .offset:         120
        .size:           4
        .value_kind:     by_value
      - .address_space:  global
        .offset:         128
        .size:           8
        .value_kind:     global_buffer
      - .address_space:  global
        .offset:         136
        .size:           8
        .value_kind:     global_buffer
      - .offset:         144
        .size:           4
        .value_kind:     hidden_block_count_x
      - .offset:         148
        .size:           4
        .value_kind:     hidden_block_count_y
      - .offset:         152
        .size:           4
        .value_kind:     hidden_block_count_z
      - .offset:         156
        .size:           2
        .value_kind:     hidden_group_size_x
      - .offset:         158
        .size:           2
        .value_kind:     hidden_group_size_y
      - .offset:         160
        .size:           2
        .value_kind:     hidden_group_size_z
      - .offset:         162
        .size:           2
        .value_kind:     hidden_remainder_x
      - .offset:         164
        .size:           2
        .value_kind:     hidden_remainder_y
      - .offset:         166
        .size:           2
        .value_kind:     hidden_remainder_z
      - .offset:         184
        .size:           8
        .value_kind:     hidden_global_offset_x
      - .offset:         192
        .size:           8
        .value_kind:     hidden_global_offset_y
      - .offset:         200
        .size:           8
        .value_kind:     hidden_global_offset_z
      - .offset:         208
        .size:           2
        .value_kind:     hidden_grid_dims
    .group_segment_fixed_size: 2720
    .kernarg_segment_align: 8
    .kernarg_segment_size: 400
    .language:       OpenCL C
    .language_version:
      - 2
      - 0
    .max_flat_workgroup_size: 256
    .name:           _Z38paged_attention_ll4mi_QKV_mfma4_kernelIDF16_hLN4vllm18Fp8KVCacheDataTypeE1EhLi32ELi64ELi256ELb0ELi1EEvPKT_PKT0_S7_ifPKiS9_S9_iPKfiiiPfSC_PS2_PT2_iSB_SB_
    .private_segment_fixed_size: 0
    .sgpr_count:     48
    .sgpr_spill_count: 0
    .symbol:         _Z38paged_attention_ll4mi_QKV_mfma4_kernelIDF16_hLN4vllm18Fp8KVCacheDataTypeE1EhLi32ELi64ELi256ELb0ELi1EEvPKT_PKT0_S7_ifPKiS9_S9_iPKfiiiPfSC_PS2_PT2_iSB_SB_.kd
    .uniform_work_group_size: 1
    .uses_dynamic_stack: false
    .vgpr_count:     92
    .vgpr_spill_count: 0
    .wavefront_size: 64
  - .agpr_count:     4
    .args:
      - .actual_access:  read_only
        .address_space:  global
        .offset:         0
        .size:           8
        .value_kind:     global_buffer
      - .actual_access:  read_only
        .address_space:  global
        .offset:         8
        .size:           8
        .value_kind:     global_buffer
      - .actual_access:  read_only
        .address_space:  global
        .offset:         16
        .size:           8
        .value_kind:     global_buffer
      - .offset:         24
        .size:           4
        .value_kind:     by_value
      - .offset:         28
        .size:           4
        .value_kind:     by_value
      - .actual_access:  read_only
        .address_space:  global
        .offset:         32
        .size:           8
        .value_kind:     global_buffer
      - .actual_access:  read_only
        .address_space:  global
        .offset:         40
        .size:           8
        .value_kind:     global_buffer
      - .actual_access:  read_only
        .address_space:  global
        .offset:         48
        .size:           8
        .value_kind:     global_buffer
      - .offset:         56
        .size:           4
        .value_kind:     by_value
      - .actual_access:  read_only
        .address_space:  global
        .offset:         64
        .size:           8
        .value_kind:     global_buffer
      - .offset:         72
        .size:           4
        .value_kind:     by_value
      - .offset:         76
        .size:           4
        .value_kind:     by_value
      - .offset:         80
        .size:           4
        .value_kind:     by_value
      - .actual_access:  write_only
        .address_space:  global
        .offset:         88
        .size:           8
        .value_kind:     global_buffer
      - .actual_access:  write_only
        .address_space:  global
        .offset:         96
        .size:           8
        .value_kind:     global_buffer
      - .actual_access:  write_only
        .address_space:  global
        .offset:         104
        .size:           8
        .value_kind:     global_buffer
      - .actual_access:  read_only
        .address_space:  global
        .offset:         112
        .size:           8
        .value_kind:     global_buffer
      - .offset:         120
        .size:           4
        .value_kind:     by_value
      - .address_space:  global
        .offset:         128
        .size:           8
        .value_kind:     global_buffer
      - .address_space:  global
        .offset:         136
        .size:           8
        .value_kind:     global_buffer
      - .offset:         144
        .size:           4
        .value_kind:     hidden_block_count_x
      - .offset:         148
        .size:           4
        .value_kind:     hidden_block_count_y
      - .offset:         152
        .size:           4
        .value_kind:     hidden_block_count_z
      - .offset:         156
        .size:           2
        .value_kind:     hidden_group_size_x
      - .offset:         158
        .size:           2
        .value_kind:     hidden_group_size_y
      - .offset:         160
        .size:           2
        .value_kind:     hidden_group_size_z
      - .offset:         162
        .size:           2
        .value_kind:     hidden_remainder_x
      - .offset:         164
        .size:           2
        .value_kind:     hidden_remainder_y
      - .offset:         166
        .size:           2
        .value_kind:     hidden_remainder_z
      - .offset:         184
        .size:           8
        .value_kind:     hidden_global_offset_x
      - .offset:         192
        .size:           8
        .value_kind:     hidden_global_offset_y
      - .offset:         200
        .size:           8
        .value_kind:     hidden_global_offset_z
      - .offset:         208
        .size:           2
        .value_kind:     hidden_grid_dims
    .group_segment_fixed_size: 2720
    .kernarg_segment_align: 8
    .kernarg_segment_size: 400
    .language:       OpenCL C
    .language_version:
      - 2
      - 0
    .max_flat_workgroup_size: 256
    .name:           _Z38paged_attention_ll4mi_QKV_mfma4_kernelIDF16_hLN4vllm18Fp8KVCacheDataTypeE1EhLi32ELi64ELi256ELb0ELi2EEvPKT_PKT0_S7_ifPKiS9_S9_iPKfiiiPfSC_PS2_PT2_iSB_SB_
    .private_segment_fixed_size: 0
    .sgpr_count:     48
    .sgpr_spill_count: 0
    .symbol:         _Z38paged_attention_ll4mi_QKV_mfma4_kernelIDF16_hLN4vllm18Fp8KVCacheDataTypeE1EhLi32ELi64ELi256ELb0ELi2EEvPKT_PKT0_S7_ifPKiS9_S9_iPKfiiiPfSC_PS2_PT2_iSB_SB_.kd
    .uniform_work_group_size: 1
    .uses_dynamic_stack: false
    .vgpr_count:     92
    .vgpr_spill_count: 0
    .wavefront_size: 64
  - .agpr_count:     4
    .args:
      - .actual_access:  read_only
        .address_space:  global
        .offset:         0
        .size:           8
        .value_kind:     global_buffer
      - .actual_access:  read_only
        .address_space:  global
        .offset:         8
        .size:           8
        .value_kind:     global_buffer
      - .actual_access:  read_only
        .address_space:  global
        .offset:         16
        .size:           8
        .value_kind:     global_buffer
      - .offset:         24
        .size:           4
        .value_kind:     by_value
      - .offset:         28
        .size:           4
        .value_kind:     by_value
      - .actual_access:  read_only
        .address_space:  global
        .offset:         32
        .size:           8
        .value_kind:     global_buffer
      - .actual_access:  read_only
        .address_space:  global
        .offset:         40
        .size:           8
        .value_kind:     global_buffer
      - .actual_access:  read_only
        .address_space:  global
        .offset:         48
        .size:           8
        .value_kind:     global_buffer
      - .offset:         56
        .size:           4
        .value_kind:     by_value
      - .actual_access:  read_only
        .address_space:  global
        .offset:         64
        .size:           8
        .value_kind:     global_buffer
      - .offset:         72
        .size:           4
        .value_kind:     by_value
      - .offset:         76
        .size:           4
        .value_kind:     by_value
      - .offset:         80
        .size:           4
        .value_kind:     by_value
      - .actual_access:  write_only
        .address_space:  global
        .offset:         88
        .size:           8
        .value_kind:     global_buffer
      - .actual_access:  write_only
        .address_space:  global
        .offset:         96
        .size:           8
        .value_kind:     global_buffer
      - .actual_access:  write_only
        .address_space:  global
        .offset:         104
        .size:           8
        .value_kind:     global_buffer
      - .actual_access:  read_only
        .address_space:  global
        .offset:         112
        .size:           8
        .value_kind:     global_buffer
      - .offset:         120
        .size:           4
        .value_kind:     by_value
      - .address_space:  global
        .offset:         128
        .size:           8
        .value_kind:     global_buffer
      - .address_space:  global
        .offset:         136
        .size:           8
        .value_kind:     global_buffer
      - .offset:         144
        .size:           4
        .value_kind:     hidden_block_count_x
      - .offset:         148
        .size:           4
        .value_kind:     hidden_block_count_y
      - .offset:         152
        .size:           4
        .value_kind:     hidden_block_count_z
      - .offset:         156
        .size:           2
        .value_kind:     hidden_group_size_x
      - .offset:         158
        .size:           2
        .value_kind:     hidden_group_size_y
      - .offset:         160
        .size:           2
        .value_kind:     hidden_group_size_z
      - .offset:         162
        .size:           2
        .value_kind:     hidden_remainder_x
      - .offset:         164
        .size:           2
        .value_kind:     hidden_remainder_y
      - .offset:         166
        .size:           2
        .value_kind:     hidden_remainder_z
      - .offset:         184
        .size:           8
        .value_kind:     hidden_global_offset_x
      - .offset:         192
        .size:           8
        .value_kind:     hidden_global_offset_y
      - .offset:         200
        .size:           8
        .value_kind:     hidden_global_offset_z
      - .offset:         208
        .size:           2
        .value_kind:     hidden_grid_dims
    .group_segment_fixed_size: 2720
    .kernarg_segment_align: 8
    .kernarg_segment_size: 400
    .language:       OpenCL C
    .language_version:
      - 2
      - 0
    .max_flat_workgroup_size: 256
    .name:           _Z38paged_attention_ll4mi_QKV_mfma4_kernelIDF16_hLN4vllm18Fp8KVCacheDataTypeE1EhLi32ELi64ELi256ELb0ELi3EEvPKT_PKT0_S7_ifPKiS9_S9_iPKfiiiPfSC_PS2_PT2_iSB_SB_
    .private_segment_fixed_size: 0
    .sgpr_count:     48
    .sgpr_spill_count: 0
    .symbol:         _Z38paged_attention_ll4mi_QKV_mfma4_kernelIDF16_hLN4vllm18Fp8KVCacheDataTypeE1EhLi32ELi64ELi256ELb0ELi3EEvPKT_PKT0_S7_ifPKiS9_S9_iPKfiiiPfSC_PS2_PT2_iSB_SB_.kd
    .uniform_work_group_size: 1
    .uses_dynamic_stack: false
    .vgpr_count:     92
    .vgpr_spill_count: 0
    .wavefront_size: 64
  - .agpr_count:     4
    .args:
      - .actual_access:  read_only
        .address_space:  global
        .offset:         0
        .size:           8
        .value_kind:     global_buffer
      - .actual_access:  read_only
        .address_space:  global
        .offset:         8
        .size:           8
        .value_kind:     global_buffer
      - .actual_access:  read_only
        .address_space:  global
        .offset:         16
        .size:           8
        .value_kind:     global_buffer
      - .offset:         24
        .size:           4
        .value_kind:     by_value
      - .offset:         28
        .size:           4
        .value_kind:     by_value
      - .actual_access:  read_only
        .address_space:  global
        .offset:         32
        .size:           8
        .value_kind:     global_buffer
      - .actual_access:  read_only
        .address_space:  global
        .offset:         40
        .size:           8
        .value_kind:     global_buffer
      - .actual_access:  read_only
        .address_space:  global
        .offset:         48
        .size:           8
        .value_kind:     global_buffer
      - .offset:         56
        .size:           4
        .value_kind:     by_value
      - .actual_access:  read_only
        .address_space:  global
        .offset:         64
        .size:           8
        .value_kind:     global_buffer
      - .offset:         72
        .size:           4
        .value_kind:     by_value
      - .offset:         76
        .size:           4
        .value_kind:     by_value
      - .offset:         80
        .size:           4
        .value_kind:     by_value
      - .actual_access:  write_only
        .address_space:  global
        .offset:         88
        .size:           8
        .value_kind:     global_buffer
      - .actual_access:  write_only
        .address_space:  global
        .offset:         96
        .size:           8
        .value_kind:     global_buffer
      - .actual_access:  write_only
        .address_space:  global
        .offset:         104
        .size:           8
        .value_kind:     global_buffer
      - .actual_access:  read_only
        .address_space:  global
        .offset:         112
        .size:           8
        .value_kind:     global_buffer
      - .offset:         120
        .size:           4
        .value_kind:     by_value
      - .address_space:  global
        .offset:         128
        .size:           8
        .value_kind:     global_buffer
      - .address_space:  global
        .offset:         136
        .size:           8
        .value_kind:     global_buffer
      - .offset:         144
        .size:           4
        .value_kind:     hidden_block_count_x
      - .offset:         148
        .size:           4
        .value_kind:     hidden_block_count_y
      - .offset:         152
        .size:           4
        .value_kind:     hidden_block_count_z
      - .offset:         156
        .size:           2
        .value_kind:     hidden_group_size_x
      - .offset:         158
        .size:           2
        .value_kind:     hidden_group_size_y
      - .offset:         160
        .size:           2
        .value_kind:     hidden_group_size_z
      - .offset:         162
        .size:           2
        .value_kind:     hidden_remainder_x
      - .offset:         164
        .size:           2
        .value_kind:     hidden_remainder_y
      - .offset:         166
        .size:           2
        .value_kind:     hidden_remainder_z
      - .offset:         184
        .size:           8
        .value_kind:     hidden_global_offset_x
      - .offset:         192
        .size:           8
        .value_kind:     hidden_global_offset_y
      - .offset:         200
        .size:           8
        .value_kind:     hidden_global_offset_z
      - .offset:         208
        .size:           2
        .value_kind:     hidden_grid_dims
    .group_segment_fixed_size: 2720
    .kernarg_segment_align: 8
    .kernarg_segment_size: 400
    .language:       OpenCL C
    .language_version:
      - 2
      - 0
    .max_flat_workgroup_size: 256
    .name:           _Z38paged_attention_ll4mi_QKV_mfma4_kernelIDF16_hLN4vllm18Fp8KVCacheDataTypeE1EhLi32ELi64ELi256ELb0ELi4EEvPKT_PKT0_S7_ifPKiS9_S9_iPKfiiiPfSC_PS2_PT2_iSB_SB_
    .private_segment_fixed_size: 0
    .sgpr_count:     48
    .sgpr_spill_count: 0
    .symbol:         _Z38paged_attention_ll4mi_QKV_mfma4_kernelIDF16_hLN4vllm18Fp8KVCacheDataTypeE1EhLi32ELi64ELi256ELb0ELi4EEvPKT_PKT0_S7_ifPKiS9_S9_iPKfiiiPfSC_PS2_PT2_iSB_SB_.kd
    .uniform_work_group_size: 1
    .uses_dynamic_stack: false
    .vgpr_count:     96
    .vgpr_spill_count: 0
    .wavefront_size: 64
  - .agpr_count:     0
    .args:
      - .actual_access:  read_only
        .address_space:  global
        .offset:         0
        .size:           8
        .value_kind:     global_buffer
      - .actual_access:  read_only
        .address_space:  global
        .offset:         8
        .size:           8
        .value_kind:     global_buffer
      - .actual_access:  read_only
        .address_space:  global
        .offset:         16
        .size:           8
        .value_kind:     global_buffer
      - .offset:         24
        .size:           4
        .value_kind:     by_value
      - .offset:         28
        .size:           4
        .value_kind:     by_value
      - .actual_access:  read_only
        .address_space:  global
        .offset:         32
        .size:           8
        .value_kind:     global_buffer
      - .actual_access:  read_only
        .address_space:  global
        .offset:         40
        .size:           8
        .value_kind:     global_buffer
      - .actual_access:  read_only
        .address_space:  global
        .offset:         48
        .size:           8
        .value_kind:     global_buffer
      - .offset:         56
        .size:           4
        .value_kind:     by_value
      - .actual_access:  read_only
        .address_space:  global
        .offset:         64
        .size:           8
        .value_kind:     global_buffer
      - .offset:         72
        .size:           4
        .value_kind:     by_value
      - .offset:         76
        .size:           4
        .value_kind:     by_value
      - .offset:         80
        .size:           4
        .value_kind:     by_value
      - .actual_access:  write_only
        .address_space:  global
        .offset:         88
        .size:           8
        .value_kind:     global_buffer
      - .actual_access:  write_only
        .address_space:  global
        .offset:         96
        .size:           8
        .value_kind:     global_buffer
      - .actual_access:  write_only
        .address_space:  global
        .offset:         104
        .size:           8
        .value_kind:     global_buffer
      - .actual_access:  read_only
        .address_space:  global
        .offset:         112
        .size:           8
        .value_kind:     global_buffer
      - .offset:         120
        .size:           4
        .value_kind:     by_value
      - .address_space:  global
        .offset:         128
        .size:           8
        .value_kind:     global_buffer
      - .address_space:  global
        .offset:         136
        .size:           8
        .value_kind:     global_buffer
      - .offset:         144
        .size:           4
        .value_kind:     hidden_block_count_x
      - .offset:         148
        .size:           4
        .value_kind:     hidden_block_count_y
      - .offset:         152
        .size:           4
        .value_kind:     hidden_block_count_z
      - .offset:         156
        .size:           2
        .value_kind:     hidden_group_size_x
      - .offset:         158
        .size:           2
        .value_kind:     hidden_group_size_y
      - .offset:         160
        .size:           2
        .value_kind:     hidden_group_size_z
      - .offset:         162
        .size:           2
        .value_kind:     hidden_remainder_x
      - .offset:         164
        .size:           2
        .value_kind:     hidden_remainder_y
      - .offset:         166
        .size:           2
        .value_kind:     hidden_remainder_z
      - .offset:         184
        .size:           8
        .value_kind:     hidden_global_offset_x
      - .offset:         192
        .size:           8
        .value_kind:     hidden_global_offset_y
      - .offset:         200
        .size:           8
        .value_kind:     hidden_global_offset_z
      - .offset:         208
        .size:           2
        .value_kind:     hidden_grid_dims
    .group_segment_fixed_size: 8192
    .kernarg_segment_align: 8
    .kernarg_segment_size: 400
    .language:       OpenCL C
    .language_version:
      - 2
      - 0
    .max_flat_workgroup_size: 256
    .name:           _Z39paged_attention_ll4mi_QKV_mfma16_kernelIDF16_hLN4vllm18Fp8KVCacheDataTypeE1EhLi32ELi64ELi256ELb0ELi5EEvPKT_PKT0_S7_ifPKiS9_S9_iPKfiiiPfSC_PS2_PT2_iSB_SB_
    .private_segment_fixed_size: 0
    .sgpr_count:     56
    .sgpr_spill_count: 0
    .symbol:         _Z39paged_attention_ll4mi_QKV_mfma16_kernelIDF16_hLN4vllm18Fp8KVCacheDataTypeE1EhLi32ELi64ELi256ELb0ELi5EEvPKT_PKT0_S7_ifPKiS9_S9_iPKfiiiPfSC_PS2_PT2_iSB_SB_.kd
    .uniform_work_group_size: 1
    .uses_dynamic_stack: false
    .vgpr_count:     54
    .vgpr_spill_count: 0
    .wavefront_size: 64
  - .agpr_count:     0
    .args:
      - .actual_access:  read_only
        .address_space:  global
        .offset:         0
        .size:           8
        .value_kind:     global_buffer
      - .actual_access:  read_only
        .address_space:  global
        .offset:         8
        .size:           8
        .value_kind:     global_buffer
      - .actual_access:  read_only
        .address_space:  global
        .offset:         16
        .size:           8
        .value_kind:     global_buffer
      - .offset:         24
        .size:           4
        .value_kind:     by_value
      - .offset:         28
        .size:           4
        .value_kind:     by_value
      - .actual_access:  read_only
        .address_space:  global
        .offset:         32
        .size:           8
        .value_kind:     global_buffer
      - .actual_access:  read_only
        .address_space:  global
        .offset:         40
        .size:           8
        .value_kind:     global_buffer
      - .actual_access:  read_only
        .address_space:  global
        .offset:         48
        .size:           8
        .value_kind:     global_buffer
      - .offset:         56
        .size:           4
        .value_kind:     by_value
      - .actual_access:  read_only
        .address_space:  global
        .offset:         64
        .size:           8
        .value_kind:     global_buffer
      - .offset:         72
        .size:           4
        .value_kind:     by_value
      - .offset:         76
        .size:           4
        .value_kind:     by_value
      - .offset:         80
        .size:           4
        .value_kind:     by_value
      - .actual_access:  write_only
        .address_space:  global
        .offset:         88
        .size:           8
        .value_kind:     global_buffer
      - .actual_access:  write_only
        .address_space:  global
        .offset:         96
        .size:           8
        .value_kind:     global_buffer
      - .actual_access:  write_only
        .address_space:  global
        .offset:         104
        .size:           8
        .value_kind:     global_buffer
      - .actual_access:  read_only
        .address_space:  global
        .offset:         112
        .size:           8
        .value_kind:     global_buffer
      - .offset:         120
        .size:           4
        .value_kind:     by_value
      - .address_space:  global
        .offset:         128
        .size:           8
        .value_kind:     global_buffer
      - .address_space:  global
        .offset:         136
        .size:           8
        .value_kind:     global_buffer
      - .offset:         144
        .size:           4
        .value_kind:     hidden_block_count_x
      - .offset:         148
        .size:           4
        .value_kind:     hidden_block_count_y
      - .offset:         152
        .size:           4
        .value_kind:     hidden_block_count_z
      - .offset:         156
        .size:           2
        .value_kind:     hidden_group_size_x
      - .offset:         158
        .size:           2
        .value_kind:     hidden_group_size_y
      - .offset:         160
        .size:           2
        .value_kind:     hidden_group_size_z
      - .offset:         162
        .size:           2
        .value_kind:     hidden_remainder_x
      - .offset:         164
        .size:           2
        .value_kind:     hidden_remainder_y
      - .offset:         166
        .size:           2
        .value_kind:     hidden_remainder_z
      - .offset:         184
        .size:           8
        .value_kind:     hidden_global_offset_x
      - .offset:         192
        .size:           8
        .value_kind:     hidden_global_offset_y
      - .offset:         200
        .size:           8
        .value_kind:     hidden_global_offset_z
      - .offset:         208
        .size:           2
        .value_kind:     hidden_grid_dims
    .group_segment_fixed_size: 8192
    .kernarg_segment_align: 8
    .kernarg_segment_size: 400
    .language:       OpenCL C
    .language_version:
      - 2
      - 0
    .max_flat_workgroup_size: 256
    .name:           _Z39paged_attention_ll4mi_QKV_mfma16_kernelIDF16_hLN4vllm18Fp8KVCacheDataTypeE1EhLi32ELi64ELi256ELb0ELi6EEvPKT_PKT0_S7_ifPKiS9_S9_iPKfiiiPfSC_PS2_PT2_iSB_SB_
    .private_segment_fixed_size: 0
    .sgpr_count:     56
    .sgpr_spill_count: 0
    .symbol:         _Z39paged_attention_ll4mi_QKV_mfma16_kernelIDF16_hLN4vllm18Fp8KVCacheDataTypeE1EhLi32ELi64ELi256ELb0ELi6EEvPKT_PKT0_S7_ifPKiS9_S9_iPKfiiiPfSC_PS2_PT2_iSB_SB_.kd
    .uniform_work_group_size: 1
    .uses_dynamic_stack: false
    .vgpr_count:     54
    .vgpr_spill_count: 0
    .wavefront_size: 64
  - .agpr_count:     0
    .args:
      - .actual_access:  read_only
        .address_space:  global
        .offset:         0
        .size:           8
        .value_kind:     global_buffer
      - .actual_access:  read_only
        .address_space:  global
        .offset:         8
        .size:           8
        .value_kind:     global_buffer
      - .actual_access:  read_only
        .address_space:  global
        .offset:         16
        .size:           8
        .value_kind:     global_buffer
      - .offset:         24
        .size:           4
        .value_kind:     by_value
      - .offset:         28
        .size:           4
        .value_kind:     by_value
      - .actual_access:  read_only
        .address_space:  global
        .offset:         32
        .size:           8
        .value_kind:     global_buffer
      - .actual_access:  read_only
        .address_space:  global
        .offset:         40
        .size:           8
        .value_kind:     global_buffer
      - .actual_access:  read_only
        .address_space:  global
        .offset:         48
        .size:           8
        .value_kind:     global_buffer
      - .offset:         56
        .size:           4
        .value_kind:     by_value
      - .actual_access:  read_only
        .address_space:  global
        .offset:         64
        .size:           8
        .value_kind:     global_buffer
      - .offset:         72
        .size:           4
        .value_kind:     by_value
      - .offset:         76
        .size:           4
        .value_kind:     by_value
      - .offset:         80
        .size:           4
        .value_kind:     by_value
      - .actual_access:  write_only
        .address_space:  global
        .offset:         88
        .size:           8
        .value_kind:     global_buffer
      - .actual_access:  write_only
        .address_space:  global
        .offset:         96
        .size:           8
        .value_kind:     global_buffer
      - .actual_access:  write_only
        .address_space:  global
        .offset:         104
        .size:           8
        .value_kind:     global_buffer
      - .actual_access:  read_only
        .address_space:  global
        .offset:         112
        .size:           8
        .value_kind:     global_buffer
      - .offset:         120
        .size:           4
        .value_kind:     by_value
      - .address_space:  global
        .offset:         128
        .size:           8
        .value_kind:     global_buffer
      - .address_space:  global
        .offset:         136
        .size:           8
        .value_kind:     global_buffer
      - .offset:         144
        .size:           4
        .value_kind:     hidden_block_count_x
      - .offset:         148
        .size:           4
        .value_kind:     hidden_block_count_y
      - .offset:         152
        .size:           4
        .value_kind:     hidden_block_count_z
      - .offset:         156
        .size:           2
        .value_kind:     hidden_group_size_x
      - .offset:         158
        .size:           2
        .value_kind:     hidden_group_size_y
      - .offset:         160
        .size:           2
        .value_kind:     hidden_group_size_z
      - .offset:         162
        .size:           2
        .value_kind:     hidden_remainder_x
      - .offset:         164
        .size:           2
        .value_kind:     hidden_remainder_y
      - .offset:         166
        .size:           2
        .value_kind:     hidden_remainder_z
      - .offset:         184
        .size:           8
        .value_kind:     hidden_global_offset_x
      - .offset:         192
        .size:           8
        .value_kind:     hidden_global_offset_y
      - .offset:         200
        .size:           8
        .value_kind:     hidden_global_offset_z
      - .offset:         208
        .size:           2
        .value_kind:     hidden_grid_dims
    .group_segment_fixed_size: 8192
    .kernarg_segment_align: 8
    .kernarg_segment_size: 400
    .language:       OpenCL C
    .language_version:
      - 2
      - 0
    .max_flat_workgroup_size: 256
    .name:           _Z39paged_attention_ll4mi_QKV_mfma16_kernelIDF16_hLN4vllm18Fp8KVCacheDataTypeE1EhLi32ELi64ELi256ELb0ELi7EEvPKT_PKT0_S7_ifPKiS9_S9_iPKfiiiPfSC_PS2_PT2_iSB_SB_
    .private_segment_fixed_size: 0
    .sgpr_count:     56
    .sgpr_spill_count: 0
    .symbol:         _Z39paged_attention_ll4mi_QKV_mfma16_kernelIDF16_hLN4vllm18Fp8KVCacheDataTypeE1EhLi32ELi64ELi256ELb0ELi7EEvPKT_PKT0_S7_ifPKiS9_S9_iPKfiiiPfSC_PS2_PT2_iSB_SB_.kd
    .uniform_work_group_size: 1
    .uses_dynamic_stack: false
    .vgpr_count:     54
    .vgpr_spill_count: 0
    .wavefront_size: 64
  - .agpr_count:     0
    .args:
      - .actual_access:  read_only
        .address_space:  global
        .offset:         0
        .size:           8
        .value_kind:     global_buffer
      - .actual_access:  read_only
        .address_space:  global
        .offset:         8
        .size:           8
        .value_kind:     global_buffer
      - .actual_access:  read_only
        .address_space:  global
        .offset:         16
        .size:           8
        .value_kind:     global_buffer
      - .offset:         24
        .size:           4
        .value_kind:     by_value
      - .offset:         28
        .size:           4
        .value_kind:     by_value
      - .actual_access:  read_only
        .address_space:  global
        .offset:         32
        .size:           8
        .value_kind:     global_buffer
      - .actual_access:  read_only
        .address_space:  global
        .offset:         40
        .size:           8
        .value_kind:     global_buffer
      - .actual_access:  read_only
        .address_space:  global
        .offset:         48
        .size:           8
        .value_kind:     global_buffer
      - .offset:         56
        .size:           4
        .value_kind:     by_value
      - .actual_access:  read_only
        .address_space:  global
        .offset:         64
        .size:           8
        .value_kind:     global_buffer
      - .offset:         72
        .size:           4
        .value_kind:     by_value
      - .offset:         76
        .size:           4
        .value_kind:     by_value
      - .offset:         80
        .size:           4
        .value_kind:     by_value
      - .actual_access:  write_only
        .address_space:  global
        .offset:         88
        .size:           8
        .value_kind:     global_buffer
      - .actual_access:  write_only
        .address_space:  global
        .offset:         96
        .size:           8
        .value_kind:     global_buffer
      - .actual_access:  write_only
        .address_space:  global
        .offset:         104
        .size:           8
        .value_kind:     global_buffer
      - .actual_access:  read_only
        .address_space:  global
        .offset:         112
        .size:           8
        .value_kind:     global_buffer
      - .offset:         120
        .size:           4
        .value_kind:     by_value
      - .address_space:  global
        .offset:         128
        .size:           8
        .value_kind:     global_buffer
      - .address_space:  global
        .offset:         136
        .size:           8
        .value_kind:     global_buffer
      - .offset:         144
        .size:           4
        .value_kind:     hidden_block_count_x
      - .offset:         148
        .size:           4
        .value_kind:     hidden_block_count_y
      - .offset:         152
        .size:           4
        .value_kind:     hidden_block_count_z
      - .offset:         156
        .size:           2
        .value_kind:     hidden_group_size_x
      - .offset:         158
        .size:           2
        .value_kind:     hidden_group_size_y
      - .offset:         160
        .size:           2
        .value_kind:     hidden_group_size_z
      - .offset:         162
        .size:           2
        .value_kind:     hidden_remainder_x
      - .offset:         164
        .size:           2
        .value_kind:     hidden_remainder_y
      - .offset:         166
        .size:           2
        .value_kind:     hidden_remainder_z
      - .offset:         184
        .size:           8
        .value_kind:     hidden_global_offset_x
      - .offset:         192
        .size:           8
        .value_kind:     hidden_global_offset_y
      - .offset:         200
        .size:           8
        .value_kind:     hidden_global_offset_z
      - .offset:         208
        .size:           2
        .value_kind:     hidden_grid_dims
    .group_segment_fixed_size: 8192
    .kernarg_segment_align: 8
    .kernarg_segment_size: 400
    .language:       OpenCL C
    .language_version:
      - 2
      - 0
    .max_flat_workgroup_size: 256
    .name:           _Z39paged_attention_ll4mi_QKV_mfma16_kernelIDF16_hLN4vllm18Fp8KVCacheDataTypeE1EhLi32ELi64ELi256ELb0ELi8EEvPKT_PKT0_S7_ifPKiS9_S9_iPKfiiiPfSC_PS2_PT2_iSB_SB_
    .private_segment_fixed_size: 0
    .sgpr_count:     55
    .sgpr_spill_count: 0
    .symbol:         _Z39paged_attention_ll4mi_QKV_mfma16_kernelIDF16_hLN4vllm18Fp8KVCacheDataTypeE1EhLi32ELi64ELi256ELb0ELi8EEvPKT_PKT0_S7_ifPKiS9_S9_iPKfiiiPfSC_PS2_PT2_iSB_SB_.kd
    .uniform_work_group_size: 1
    .uses_dynamic_stack: false
    .vgpr_count:     54
    .vgpr_spill_count: 0
    .wavefront_size: 64
  - .agpr_count:     0
    .args:
      - .actual_access:  read_only
        .address_space:  global
        .offset:         0
        .size:           8
        .value_kind:     global_buffer
      - .actual_access:  read_only
        .address_space:  global
        .offset:         8
        .size:           8
        .value_kind:     global_buffer
      - .actual_access:  read_only
        .address_space:  global
        .offset:         16
        .size:           8
        .value_kind:     global_buffer
      - .offset:         24
        .size:           4
        .value_kind:     by_value
      - .offset:         28
        .size:           4
        .value_kind:     by_value
      - .actual_access:  read_only
        .address_space:  global
        .offset:         32
        .size:           8
        .value_kind:     global_buffer
      - .actual_access:  read_only
        .address_space:  global
        .offset:         40
        .size:           8
        .value_kind:     global_buffer
      - .actual_access:  read_only
        .address_space:  global
        .offset:         48
        .size:           8
        .value_kind:     global_buffer
      - .offset:         56
        .size:           4
        .value_kind:     by_value
      - .actual_access:  read_only
        .address_space:  global
        .offset:         64
        .size:           8
        .value_kind:     global_buffer
      - .offset:         72
        .size:           4
        .value_kind:     by_value
      - .offset:         76
        .size:           4
        .value_kind:     by_value
      - .offset:         80
        .size:           4
        .value_kind:     by_value
      - .actual_access:  write_only
        .address_space:  global
        .offset:         88
        .size:           8
        .value_kind:     global_buffer
      - .actual_access:  write_only
        .address_space:  global
        .offset:         96
        .size:           8
        .value_kind:     global_buffer
      - .actual_access:  write_only
        .address_space:  global
        .offset:         104
        .size:           8
        .value_kind:     global_buffer
      - .actual_access:  read_only
        .address_space:  global
        .offset:         112
        .size:           8
        .value_kind:     global_buffer
      - .offset:         120
        .size:           4
        .value_kind:     by_value
      - .address_space:  global
        .offset:         128
        .size:           8
        .value_kind:     global_buffer
      - .address_space:  global
        .offset:         136
        .size:           8
        .value_kind:     global_buffer
      - .offset:         144
        .size:           4
        .value_kind:     hidden_block_count_x
      - .offset:         148
        .size:           4
        .value_kind:     hidden_block_count_y
      - .offset:         152
        .size:           4
        .value_kind:     hidden_block_count_z
      - .offset:         156
        .size:           2
        .value_kind:     hidden_group_size_x
      - .offset:         158
        .size:           2
        .value_kind:     hidden_group_size_y
      - .offset:         160
        .size:           2
        .value_kind:     hidden_group_size_z
      - .offset:         162
        .size:           2
        .value_kind:     hidden_remainder_x
      - .offset:         164
        .size:           2
        .value_kind:     hidden_remainder_y
      - .offset:         166
        .size:           2
        .value_kind:     hidden_remainder_z
      - .offset:         184
        .size:           8
        .value_kind:     hidden_global_offset_x
      - .offset:         192
        .size:           8
        .value_kind:     hidden_global_offset_y
      - .offset:         200
        .size:           8
        .value_kind:     hidden_global_offset_z
      - .offset:         208
        .size:           2
        .value_kind:     hidden_grid_dims
    .group_segment_fixed_size: 8192
    .kernarg_segment_align: 8
    .kernarg_segment_size: 400
    .language:       OpenCL C
    .language_version:
      - 2
      - 0
    .max_flat_workgroup_size: 256
    .name:           _Z39paged_attention_ll4mi_QKV_mfma16_kernelIDF16_hLN4vllm18Fp8KVCacheDataTypeE1EhLi32ELi64ELi256ELb0ELi9EEvPKT_PKT0_S7_ifPKiS9_S9_iPKfiiiPfSC_PS2_PT2_iSB_SB_
    .private_segment_fixed_size: 0
    .sgpr_count:     56
    .sgpr_spill_count: 0
    .symbol:         _Z39paged_attention_ll4mi_QKV_mfma16_kernelIDF16_hLN4vllm18Fp8KVCacheDataTypeE1EhLi32ELi64ELi256ELb0ELi9EEvPKT_PKT0_S7_ifPKiS9_S9_iPKfiiiPfSC_PS2_PT2_iSB_SB_.kd
    .uniform_work_group_size: 1
    .uses_dynamic_stack: false
    .vgpr_count:     54
    .vgpr_spill_count: 0
    .wavefront_size: 64
  - .agpr_count:     0
    .args:
      - .actual_access:  read_only
        .address_space:  global
        .offset:         0
        .size:           8
        .value_kind:     global_buffer
      - .actual_access:  read_only
        .address_space:  global
        .offset:         8
        .size:           8
        .value_kind:     global_buffer
      - .actual_access:  read_only
        .address_space:  global
        .offset:         16
        .size:           8
        .value_kind:     global_buffer
      - .offset:         24
        .size:           4
        .value_kind:     by_value
      - .offset:         28
        .size:           4
        .value_kind:     by_value
      - .actual_access:  read_only
        .address_space:  global
        .offset:         32
        .size:           8
        .value_kind:     global_buffer
      - .actual_access:  read_only
        .address_space:  global
        .offset:         40
        .size:           8
        .value_kind:     global_buffer
      - .actual_access:  read_only
        .address_space:  global
        .offset:         48
        .size:           8
        .value_kind:     global_buffer
      - .offset:         56
        .size:           4
        .value_kind:     by_value
      - .actual_access:  read_only
        .address_space:  global
        .offset:         64
        .size:           8
        .value_kind:     global_buffer
      - .offset:         72
        .size:           4
        .value_kind:     by_value
      - .offset:         76
        .size:           4
        .value_kind:     by_value
      - .offset:         80
        .size:           4
        .value_kind:     by_value
      - .actual_access:  write_only
        .address_space:  global
        .offset:         88
        .size:           8
        .value_kind:     global_buffer
      - .actual_access:  write_only
        .address_space:  global
        .offset:         96
        .size:           8
        .value_kind:     global_buffer
      - .actual_access:  write_only
        .address_space:  global
        .offset:         104
        .size:           8
        .value_kind:     global_buffer
      - .actual_access:  read_only
        .address_space:  global
        .offset:         112
        .size:           8
        .value_kind:     global_buffer
      - .offset:         120
        .size:           4
        .value_kind:     by_value
      - .address_space:  global
        .offset:         128
        .size:           8
        .value_kind:     global_buffer
      - .address_space:  global
        .offset:         136
        .size:           8
        .value_kind:     global_buffer
      - .offset:         144
        .size:           4
        .value_kind:     hidden_block_count_x
      - .offset:         148
        .size:           4
        .value_kind:     hidden_block_count_y
      - .offset:         152
        .size:           4
        .value_kind:     hidden_block_count_z
      - .offset:         156
        .size:           2
        .value_kind:     hidden_group_size_x
      - .offset:         158
        .size:           2
        .value_kind:     hidden_group_size_y
      - .offset:         160
        .size:           2
        .value_kind:     hidden_group_size_z
      - .offset:         162
        .size:           2
        .value_kind:     hidden_remainder_x
      - .offset:         164
        .size:           2
        .value_kind:     hidden_remainder_y
      - .offset:         166
        .size:           2
        .value_kind:     hidden_remainder_z
      - .offset:         184
        .size:           8
        .value_kind:     hidden_global_offset_x
      - .offset:         192
        .size:           8
        .value_kind:     hidden_global_offset_y
      - .offset:         200
        .size:           8
        .value_kind:     hidden_global_offset_z
      - .offset:         208
        .size:           2
        .value_kind:     hidden_grid_dims
    .group_segment_fixed_size: 8192
    .kernarg_segment_align: 8
    .kernarg_segment_size: 400
    .language:       OpenCL C
    .language_version:
      - 2
      - 0
    .max_flat_workgroup_size: 256
    .name:           _Z39paged_attention_ll4mi_QKV_mfma16_kernelIDF16_hLN4vllm18Fp8KVCacheDataTypeE1EhLi32ELi64ELi256ELb0ELi10EEvPKT_PKT0_S7_ifPKiS9_S9_iPKfiiiPfSC_PS2_PT2_iSB_SB_
    .private_segment_fixed_size: 0
    .sgpr_count:     56
    .sgpr_spill_count: 0
    .symbol:         _Z39paged_attention_ll4mi_QKV_mfma16_kernelIDF16_hLN4vllm18Fp8KVCacheDataTypeE1EhLi32ELi64ELi256ELb0ELi10EEvPKT_PKT0_S7_ifPKiS9_S9_iPKfiiiPfSC_PS2_PT2_iSB_SB_.kd
    .uniform_work_group_size: 1
    .uses_dynamic_stack: false
    .vgpr_count:     54
    .vgpr_spill_count: 0
    .wavefront_size: 64
  - .agpr_count:     0
    .args:
      - .actual_access:  read_only
        .address_space:  global
        .offset:         0
        .size:           8
        .value_kind:     global_buffer
      - .actual_access:  read_only
        .address_space:  global
        .offset:         8
        .size:           8
        .value_kind:     global_buffer
      - .actual_access:  read_only
        .address_space:  global
        .offset:         16
        .size:           8
        .value_kind:     global_buffer
      - .offset:         24
        .size:           4
        .value_kind:     by_value
      - .offset:         28
        .size:           4
        .value_kind:     by_value
      - .actual_access:  read_only
        .address_space:  global
        .offset:         32
        .size:           8
        .value_kind:     global_buffer
      - .actual_access:  read_only
        .address_space:  global
        .offset:         40
        .size:           8
        .value_kind:     global_buffer
      - .actual_access:  read_only
        .address_space:  global
        .offset:         48
        .size:           8
        .value_kind:     global_buffer
      - .offset:         56
        .size:           4
        .value_kind:     by_value
      - .actual_access:  read_only
        .address_space:  global
        .offset:         64
        .size:           8
        .value_kind:     global_buffer
      - .offset:         72
        .size:           4
        .value_kind:     by_value
      - .offset:         76
        .size:           4
        .value_kind:     by_value
      - .offset:         80
        .size:           4
        .value_kind:     by_value
      - .actual_access:  write_only
        .address_space:  global
        .offset:         88
        .size:           8
        .value_kind:     global_buffer
      - .actual_access:  write_only
        .address_space:  global
        .offset:         96
        .size:           8
        .value_kind:     global_buffer
      - .actual_access:  write_only
        .address_space:  global
        .offset:         104
        .size:           8
        .value_kind:     global_buffer
      - .actual_access:  read_only
        .address_space:  global
        .offset:         112
        .size:           8
        .value_kind:     global_buffer
      - .offset:         120
        .size:           4
        .value_kind:     by_value
      - .address_space:  global
        .offset:         128
        .size:           8
        .value_kind:     global_buffer
      - .address_space:  global
        .offset:         136
        .size:           8
        .value_kind:     global_buffer
      - .offset:         144
        .size:           4
        .value_kind:     hidden_block_count_x
      - .offset:         148
        .size:           4
        .value_kind:     hidden_block_count_y
      - .offset:         152
        .size:           4
        .value_kind:     hidden_block_count_z
      - .offset:         156
        .size:           2
        .value_kind:     hidden_group_size_x
      - .offset:         158
        .size:           2
        .value_kind:     hidden_group_size_y
      - .offset:         160
        .size:           2
        .value_kind:     hidden_group_size_z
      - .offset:         162
        .size:           2
        .value_kind:     hidden_remainder_x
      - .offset:         164
        .size:           2
        .value_kind:     hidden_remainder_y
      - .offset:         166
        .size:           2
        .value_kind:     hidden_remainder_z
      - .offset:         184
        .size:           8
        .value_kind:     hidden_global_offset_x
      - .offset:         192
        .size:           8
        .value_kind:     hidden_global_offset_y
      - .offset:         200
        .size:           8
        .value_kind:     hidden_global_offset_z
      - .offset:         208
        .size:           2
        .value_kind:     hidden_grid_dims
    .group_segment_fixed_size: 8192
    .kernarg_segment_align: 8
    .kernarg_segment_size: 400
    .language:       OpenCL C
    .language_version:
      - 2
      - 0
    .max_flat_workgroup_size: 256
    .name:           _Z39paged_attention_ll4mi_QKV_mfma16_kernelIDF16_hLN4vllm18Fp8KVCacheDataTypeE1EhLi32ELi64ELi256ELb0ELi11EEvPKT_PKT0_S7_ifPKiS9_S9_iPKfiiiPfSC_PS2_PT2_iSB_SB_
    .private_segment_fixed_size: 0
    .sgpr_count:     56
    .sgpr_spill_count: 0
    .symbol:         _Z39paged_attention_ll4mi_QKV_mfma16_kernelIDF16_hLN4vllm18Fp8KVCacheDataTypeE1EhLi32ELi64ELi256ELb0ELi11EEvPKT_PKT0_S7_ifPKiS9_S9_iPKfiiiPfSC_PS2_PT2_iSB_SB_.kd
    .uniform_work_group_size: 1
    .uses_dynamic_stack: false
    .vgpr_count:     54
    .vgpr_spill_count: 0
    .wavefront_size: 64
  - .agpr_count:     0
    .args:
      - .actual_access:  read_only
        .address_space:  global
        .offset:         0
        .size:           8
        .value_kind:     global_buffer
      - .actual_access:  read_only
        .address_space:  global
        .offset:         8
        .size:           8
        .value_kind:     global_buffer
      - .actual_access:  read_only
        .address_space:  global
        .offset:         16
        .size:           8
        .value_kind:     global_buffer
      - .offset:         24
        .size:           4
        .value_kind:     by_value
      - .offset:         28
        .size:           4
        .value_kind:     by_value
      - .actual_access:  read_only
        .address_space:  global
        .offset:         32
        .size:           8
        .value_kind:     global_buffer
      - .actual_access:  read_only
        .address_space:  global
        .offset:         40
        .size:           8
        .value_kind:     global_buffer
      - .actual_access:  read_only
        .address_space:  global
        .offset:         48
        .size:           8
        .value_kind:     global_buffer
      - .offset:         56
        .size:           4
        .value_kind:     by_value
      - .actual_access:  read_only
        .address_space:  global
        .offset:         64
        .size:           8
        .value_kind:     global_buffer
      - .offset:         72
        .size:           4
        .value_kind:     by_value
      - .offset:         76
        .size:           4
        .value_kind:     by_value
      - .offset:         80
        .size:           4
        .value_kind:     by_value
      - .actual_access:  write_only
        .address_space:  global
        .offset:         88
        .size:           8
        .value_kind:     global_buffer
      - .actual_access:  write_only
        .address_space:  global
        .offset:         96
        .size:           8
        .value_kind:     global_buffer
      - .actual_access:  write_only
        .address_space:  global
        .offset:         104
        .size:           8
        .value_kind:     global_buffer
      - .actual_access:  read_only
        .address_space:  global
        .offset:         112
        .size:           8
        .value_kind:     global_buffer
      - .offset:         120
        .size:           4
        .value_kind:     by_value
      - .address_space:  global
        .offset:         128
        .size:           8
        .value_kind:     global_buffer
      - .address_space:  global
        .offset:         136
        .size:           8
        .value_kind:     global_buffer
      - .offset:         144
        .size:           4
        .value_kind:     hidden_block_count_x
      - .offset:         148
        .size:           4
        .value_kind:     hidden_block_count_y
      - .offset:         152
        .size:           4
        .value_kind:     hidden_block_count_z
      - .offset:         156
        .size:           2
        .value_kind:     hidden_group_size_x
      - .offset:         158
        .size:           2
        .value_kind:     hidden_group_size_y
      - .offset:         160
        .size:           2
        .value_kind:     hidden_group_size_z
      - .offset:         162
        .size:           2
        .value_kind:     hidden_remainder_x
      - .offset:         164
        .size:           2
        .value_kind:     hidden_remainder_y
      - .offset:         166
        .size:           2
        .value_kind:     hidden_remainder_z
      - .offset:         184
        .size:           8
        .value_kind:     hidden_global_offset_x
      - .offset:         192
        .size:           8
        .value_kind:     hidden_global_offset_y
      - .offset:         200
        .size:           8
        .value_kind:     hidden_global_offset_z
      - .offset:         208
        .size:           2
        .value_kind:     hidden_grid_dims
    .group_segment_fixed_size: 8192
    .kernarg_segment_align: 8
    .kernarg_segment_size: 400
    .language:       OpenCL C
    .language_version:
      - 2
      - 0
    .max_flat_workgroup_size: 256
    .name:           _Z39paged_attention_ll4mi_QKV_mfma16_kernelIDF16_hLN4vllm18Fp8KVCacheDataTypeE1EhLi32ELi64ELi256ELb0ELi12EEvPKT_PKT0_S7_ifPKiS9_S9_iPKfiiiPfSC_PS2_PT2_iSB_SB_
    .private_segment_fixed_size: 0
    .sgpr_count:     56
    .sgpr_spill_count: 0
    .symbol:         _Z39paged_attention_ll4mi_QKV_mfma16_kernelIDF16_hLN4vllm18Fp8KVCacheDataTypeE1EhLi32ELi64ELi256ELb0ELi12EEvPKT_PKT0_S7_ifPKiS9_S9_iPKfiiiPfSC_PS2_PT2_iSB_SB_.kd
    .uniform_work_group_size: 1
    .uses_dynamic_stack: false
    .vgpr_count:     54
    .vgpr_spill_count: 0
    .wavefront_size: 64
  - .agpr_count:     0
    .args:
      - .actual_access:  read_only
        .address_space:  global
        .offset:         0
        .size:           8
        .value_kind:     global_buffer
      - .actual_access:  read_only
        .address_space:  global
        .offset:         8
        .size:           8
        .value_kind:     global_buffer
      - .actual_access:  read_only
        .address_space:  global
        .offset:         16
        .size:           8
        .value_kind:     global_buffer
      - .offset:         24
        .size:           4
        .value_kind:     by_value
      - .offset:         28
        .size:           4
        .value_kind:     by_value
      - .actual_access:  read_only
        .address_space:  global
        .offset:         32
        .size:           8
        .value_kind:     global_buffer
      - .actual_access:  read_only
        .address_space:  global
        .offset:         40
        .size:           8
        .value_kind:     global_buffer
      - .actual_access:  read_only
        .address_space:  global
        .offset:         48
        .size:           8
        .value_kind:     global_buffer
      - .offset:         56
        .size:           4
        .value_kind:     by_value
      - .actual_access:  read_only
        .address_space:  global
        .offset:         64
        .size:           8
        .value_kind:     global_buffer
      - .offset:         72
        .size:           4
        .value_kind:     by_value
      - .offset:         76
        .size:           4
        .value_kind:     by_value
      - .offset:         80
        .size:           4
        .value_kind:     by_value
      - .actual_access:  write_only
        .address_space:  global
        .offset:         88
        .size:           8
        .value_kind:     global_buffer
      - .actual_access:  write_only
        .address_space:  global
        .offset:         96
        .size:           8
        .value_kind:     global_buffer
      - .actual_access:  write_only
        .address_space:  global
        .offset:         104
        .size:           8
        .value_kind:     global_buffer
      - .actual_access:  read_only
        .address_space:  global
        .offset:         112
        .size:           8
        .value_kind:     global_buffer
      - .offset:         120
        .size:           4
        .value_kind:     by_value
      - .address_space:  global
        .offset:         128
        .size:           8
        .value_kind:     global_buffer
      - .address_space:  global
        .offset:         136
        .size:           8
        .value_kind:     global_buffer
      - .offset:         144
        .size:           4
        .value_kind:     hidden_block_count_x
      - .offset:         148
        .size:           4
        .value_kind:     hidden_block_count_y
      - .offset:         152
        .size:           4
        .value_kind:     hidden_block_count_z
      - .offset:         156
        .size:           2
        .value_kind:     hidden_group_size_x
      - .offset:         158
        .size:           2
        .value_kind:     hidden_group_size_y
      - .offset:         160
        .size:           2
        .value_kind:     hidden_group_size_z
      - .offset:         162
        .size:           2
        .value_kind:     hidden_remainder_x
      - .offset:         164
        .size:           2
        .value_kind:     hidden_remainder_y
      - .offset:         166
        .size:           2
        .value_kind:     hidden_remainder_z
      - .offset:         184
        .size:           8
        .value_kind:     hidden_global_offset_x
      - .offset:         192
        .size:           8
        .value_kind:     hidden_global_offset_y
      - .offset:         200
        .size:           8
        .value_kind:     hidden_global_offset_z
      - .offset:         208
        .size:           2
        .value_kind:     hidden_grid_dims
    .group_segment_fixed_size: 8192
    .kernarg_segment_align: 8
    .kernarg_segment_size: 400
    .language:       OpenCL C
    .language_version:
      - 2
      - 0
    .max_flat_workgroup_size: 256
    .name:           _Z39paged_attention_ll4mi_QKV_mfma16_kernelIDF16_hLN4vllm18Fp8KVCacheDataTypeE1EhLi32ELi64ELi256ELb0ELi13EEvPKT_PKT0_S7_ifPKiS9_S9_iPKfiiiPfSC_PS2_PT2_iSB_SB_
    .private_segment_fixed_size: 0
    .sgpr_count:     56
    .sgpr_spill_count: 0
    .symbol:         _Z39paged_attention_ll4mi_QKV_mfma16_kernelIDF16_hLN4vllm18Fp8KVCacheDataTypeE1EhLi32ELi64ELi256ELb0ELi13EEvPKT_PKT0_S7_ifPKiS9_S9_iPKfiiiPfSC_PS2_PT2_iSB_SB_.kd
    .uniform_work_group_size: 1
    .uses_dynamic_stack: false
    .vgpr_count:     54
    .vgpr_spill_count: 0
    .wavefront_size: 64
  - .agpr_count:     0
    .args:
      - .actual_access:  read_only
        .address_space:  global
        .offset:         0
        .size:           8
        .value_kind:     global_buffer
      - .actual_access:  read_only
        .address_space:  global
        .offset:         8
        .size:           8
        .value_kind:     global_buffer
      - .actual_access:  read_only
        .address_space:  global
        .offset:         16
        .size:           8
        .value_kind:     global_buffer
      - .offset:         24
        .size:           4
        .value_kind:     by_value
      - .offset:         28
        .size:           4
        .value_kind:     by_value
      - .actual_access:  read_only
        .address_space:  global
        .offset:         32
        .size:           8
        .value_kind:     global_buffer
      - .actual_access:  read_only
        .address_space:  global
        .offset:         40
        .size:           8
        .value_kind:     global_buffer
      - .actual_access:  read_only
        .address_space:  global
        .offset:         48
        .size:           8
        .value_kind:     global_buffer
      - .offset:         56
        .size:           4
        .value_kind:     by_value
      - .actual_access:  read_only
        .address_space:  global
        .offset:         64
        .size:           8
        .value_kind:     global_buffer
      - .offset:         72
        .size:           4
        .value_kind:     by_value
      - .offset:         76
        .size:           4
        .value_kind:     by_value
      - .offset:         80
        .size:           4
        .value_kind:     by_value
      - .actual_access:  write_only
        .address_space:  global
        .offset:         88
        .size:           8
        .value_kind:     global_buffer
      - .actual_access:  write_only
        .address_space:  global
        .offset:         96
        .size:           8
        .value_kind:     global_buffer
      - .actual_access:  write_only
        .address_space:  global
        .offset:         104
        .size:           8
        .value_kind:     global_buffer
      - .actual_access:  read_only
        .address_space:  global
        .offset:         112
        .size:           8
        .value_kind:     global_buffer
      - .offset:         120
        .size:           4
        .value_kind:     by_value
      - .address_space:  global
        .offset:         128
        .size:           8
        .value_kind:     global_buffer
      - .address_space:  global
        .offset:         136
        .size:           8
        .value_kind:     global_buffer
      - .offset:         144
        .size:           4
        .value_kind:     hidden_block_count_x
      - .offset:         148
        .size:           4
        .value_kind:     hidden_block_count_y
      - .offset:         152
        .size:           4
        .value_kind:     hidden_block_count_z
      - .offset:         156
        .size:           2
        .value_kind:     hidden_group_size_x
      - .offset:         158
        .size:           2
        .value_kind:     hidden_group_size_y
      - .offset:         160
        .size:           2
        .value_kind:     hidden_group_size_z
      - .offset:         162
        .size:           2
        .value_kind:     hidden_remainder_x
      - .offset:         164
        .size:           2
        .value_kind:     hidden_remainder_y
      - .offset:         166
        .size:           2
        .value_kind:     hidden_remainder_z
      - .offset:         184
        .size:           8
        .value_kind:     hidden_global_offset_x
      - .offset:         192
        .size:           8
        .value_kind:     hidden_global_offset_y
      - .offset:         200
        .size:           8
        .value_kind:     hidden_global_offset_z
      - .offset:         208
        .size:           2
        .value_kind:     hidden_grid_dims
    .group_segment_fixed_size: 8192
    .kernarg_segment_align: 8
    .kernarg_segment_size: 400
    .language:       OpenCL C
    .language_version:
      - 2
      - 0
    .max_flat_workgroup_size: 256
    .name:           _Z39paged_attention_ll4mi_QKV_mfma16_kernelIDF16_hLN4vllm18Fp8KVCacheDataTypeE1EhLi32ELi64ELi256ELb0ELi14EEvPKT_PKT0_S7_ifPKiS9_S9_iPKfiiiPfSC_PS2_PT2_iSB_SB_
    .private_segment_fixed_size: 0
    .sgpr_count:     56
    .sgpr_spill_count: 0
    .symbol:         _Z39paged_attention_ll4mi_QKV_mfma16_kernelIDF16_hLN4vllm18Fp8KVCacheDataTypeE1EhLi32ELi64ELi256ELb0ELi14EEvPKT_PKT0_S7_ifPKiS9_S9_iPKfiiiPfSC_PS2_PT2_iSB_SB_.kd
    .uniform_work_group_size: 1
    .uses_dynamic_stack: false
    .vgpr_count:     54
    .vgpr_spill_count: 0
    .wavefront_size: 64
  - .agpr_count:     0
    .args:
      - .actual_access:  read_only
        .address_space:  global
        .offset:         0
        .size:           8
        .value_kind:     global_buffer
      - .actual_access:  read_only
        .address_space:  global
        .offset:         8
        .size:           8
        .value_kind:     global_buffer
      - .actual_access:  read_only
        .address_space:  global
        .offset:         16
        .size:           8
        .value_kind:     global_buffer
      - .offset:         24
        .size:           4
        .value_kind:     by_value
      - .offset:         28
        .size:           4
        .value_kind:     by_value
      - .actual_access:  read_only
        .address_space:  global
        .offset:         32
        .size:           8
        .value_kind:     global_buffer
      - .actual_access:  read_only
        .address_space:  global
        .offset:         40
        .size:           8
        .value_kind:     global_buffer
      - .actual_access:  read_only
        .address_space:  global
        .offset:         48
        .size:           8
        .value_kind:     global_buffer
      - .offset:         56
        .size:           4
        .value_kind:     by_value
      - .actual_access:  read_only
        .address_space:  global
        .offset:         64
        .size:           8
        .value_kind:     global_buffer
      - .offset:         72
        .size:           4
        .value_kind:     by_value
      - .offset:         76
        .size:           4
        .value_kind:     by_value
      - .offset:         80
        .size:           4
        .value_kind:     by_value
      - .actual_access:  write_only
        .address_space:  global
        .offset:         88
        .size:           8
        .value_kind:     global_buffer
      - .actual_access:  write_only
        .address_space:  global
        .offset:         96
        .size:           8
        .value_kind:     global_buffer
      - .actual_access:  write_only
        .address_space:  global
        .offset:         104
        .size:           8
        .value_kind:     global_buffer
      - .actual_access:  read_only
        .address_space:  global
        .offset:         112
        .size:           8
        .value_kind:     global_buffer
      - .offset:         120
        .size:           4
        .value_kind:     by_value
      - .address_space:  global
        .offset:         128
        .size:           8
        .value_kind:     global_buffer
      - .address_space:  global
        .offset:         136
        .size:           8
        .value_kind:     global_buffer
      - .offset:         144
        .size:           4
        .value_kind:     hidden_block_count_x
      - .offset:         148
        .size:           4
        .value_kind:     hidden_block_count_y
      - .offset:         152
        .size:           4
        .value_kind:     hidden_block_count_z
      - .offset:         156
        .size:           2
        .value_kind:     hidden_group_size_x
      - .offset:         158
        .size:           2
        .value_kind:     hidden_group_size_y
      - .offset:         160
        .size:           2
        .value_kind:     hidden_group_size_z
      - .offset:         162
        .size:           2
        .value_kind:     hidden_remainder_x
      - .offset:         164
        .size:           2
        .value_kind:     hidden_remainder_y
      - .offset:         166
        .size:           2
        .value_kind:     hidden_remainder_z
      - .offset:         184
        .size:           8
        .value_kind:     hidden_global_offset_x
      - .offset:         192
        .size:           8
        .value_kind:     hidden_global_offset_y
      - .offset:         200
        .size:           8
        .value_kind:     hidden_global_offset_z
      - .offset:         208
        .size:           2
        .value_kind:     hidden_grid_dims
    .group_segment_fixed_size: 8192
    .kernarg_segment_align: 8
    .kernarg_segment_size: 400
    .language:       OpenCL C
    .language_version:
      - 2
      - 0
    .max_flat_workgroup_size: 256
    .name:           _Z39paged_attention_ll4mi_QKV_mfma16_kernelIDF16_hLN4vllm18Fp8KVCacheDataTypeE1EhLi32ELi64ELi256ELb0ELi15EEvPKT_PKT0_S7_ifPKiS9_S9_iPKfiiiPfSC_PS2_PT2_iSB_SB_
    .private_segment_fixed_size: 0
    .sgpr_count:     56
    .sgpr_spill_count: 0
    .symbol:         _Z39paged_attention_ll4mi_QKV_mfma16_kernelIDF16_hLN4vllm18Fp8KVCacheDataTypeE1EhLi32ELi64ELi256ELb0ELi15EEvPKT_PKT0_S7_ifPKiS9_S9_iPKfiiiPfSC_PS2_PT2_iSB_SB_.kd
    .uniform_work_group_size: 1
    .uses_dynamic_stack: false
    .vgpr_count:     54
    .vgpr_spill_count: 0
    .wavefront_size: 64
  - .agpr_count:     0
    .args:
      - .actual_access:  read_only
        .address_space:  global
        .offset:         0
        .size:           8
        .value_kind:     global_buffer
      - .actual_access:  read_only
        .address_space:  global
        .offset:         8
        .size:           8
        .value_kind:     global_buffer
      - .actual_access:  read_only
        .address_space:  global
        .offset:         16
        .size:           8
        .value_kind:     global_buffer
      - .offset:         24
        .size:           4
        .value_kind:     by_value
      - .offset:         28
        .size:           4
        .value_kind:     by_value
      - .actual_access:  read_only
        .address_space:  global
        .offset:         32
        .size:           8
        .value_kind:     global_buffer
      - .actual_access:  read_only
        .address_space:  global
        .offset:         40
        .size:           8
        .value_kind:     global_buffer
      - .actual_access:  read_only
        .address_space:  global
        .offset:         48
        .size:           8
        .value_kind:     global_buffer
      - .offset:         56
        .size:           4
        .value_kind:     by_value
      - .actual_access:  read_only
        .address_space:  global
        .offset:         64
        .size:           8
        .value_kind:     global_buffer
      - .offset:         72
        .size:           4
        .value_kind:     by_value
      - .offset:         76
        .size:           4
        .value_kind:     by_value
      - .offset:         80
        .size:           4
        .value_kind:     by_value
      - .actual_access:  write_only
        .address_space:  global
        .offset:         88
        .size:           8
        .value_kind:     global_buffer
      - .actual_access:  write_only
        .address_space:  global
        .offset:         96
        .size:           8
        .value_kind:     global_buffer
      - .actual_access:  write_only
        .address_space:  global
        .offset:         104
        .size:           8
        .value_kind:     global_buffer
      - .actual_access:  read_only
        .address_space:  global
        .offset:         112
        .size:           8
        .value_kind:     global_buffer
      - .offset:         120
        .size:           4
        .value_kind:     by_value
      - .address_space:  global
        .offset:         128
        .size:           8
        .value_kind:     global_buffer
      - .address_space:  global
        .offset:         136
        .size:           8
        .value_kind:     global_buffer
      - .offset:         144
        .size:           4
        .value_kind:     hidden_block_count_x
      - .offset:         148
        .size:           4
        .value_kind:     hidden_block_count_y
      - .offset:         152
        .size:           4
        .value_kind:     hidden_block_count_z
      - .offset:         156
        .size:           2
        .value_kind:     hidden_group_size_x
      - .offset:         158
        .size:           2
        .value_kind:     hidden_group_size_y
      - .offset:         160
        .size:           2
        .value_kind:     hidden_group_size_z
      - .offset:         162
        .size:           2
        .value_kind:     hidden_remainder_x
      - .offset:         164
        .size:           2
        .value_kind:     hidden_remainder_y
      - .offset:         166
        .size:           2
        .value_kind:     hidden_remainder_z
      - .offset:         184
        .size:           8
        .value_kind:     hidden_global_offset_x
      - .offset:         192
        .size:           8
        .value_kind:     hidden_global_offset_y
      - .offset:         200
        .size:           8
        .value_kind:     hidden_global_offset_z
      - .offset:         208
        .size:           2
        .value_kind:     hidden_grid_dims
    .group_segment_fixed_size: 8192
    .kernarg_segment_align: 8
    .kernarg_segment_size: 400
    .language:       OpenCL C
    .language_version:
      - 2
      - 0
    .max_flat_workgroup_size: 256
    .name:           _Z39paged_attention_ll4mi_QKV_mfma16_kernelIDF16_hLN4vllm18Fp8KVCacheDataTypeE1EhLi32ELi64ELi256ELb0ELi16EEvPKT_PKT0_S7_ifPKiS9_S9_iPKfiiiPfSC_PS2_PT2_iSB_SB_
    .private_segment_fixed_size: 0
    .sgpr_count:     55
    .sgpr_spill_count: 0
    .symbol:         _Z39paged_attention_ll4mi_QKV_mfma16_kernelIDF16_hLN4vllm18Fp8KVCacheDataTypeE1EhLi32ELi64ELi256ELb0ELi16EEvPKT_PKT0_S7_ifPKiS9_S9_iPKfiiiPfSC_PS2_PT2_iSB_SB_.kd
    .uniform_work_group_size: 1
    .uses_dynamic_stack: false
    .vgpr_count:     55
    .vgpr_spill_count: 0
    .wavefront_size: 64
  - .agpr_count:     0
    .args:
      - .actual_access:  read_only
        .address_space:  global
        .offset:         0
        .size:           8
        .value_kind:     global_buffer
      - .actual_access:  read_only
        .address_space:  global
        .offset:         8
        .size:           8
        .value_kind:     global_buffer
      - .actual_access:  read_only
        .address_space:  global
        .offset:         16
        .size:           8
        .value_kind:     global_buffer
      - .offset:         24
        .size:           4
        .value_kind:     by_value
      - .offset:         28
        .size:           4
        .value_kind:     by_value
      - .actual_access:  read_only
        .address_space:  global
        .offset:         32
        .size:           8
        .value_kind:     global_buffer
      - .actual_access:  read_only
        .address_space:  global
        .offset:         40
        .size:           8
        .value_kind:     global_buffer
      - .actual_access:  read_only
        .address_space:  global
        .offset:         48
        .size:           8
        .value_kind:     global_buffer
      - .offset:         56
        .size:           4
        .value_kind:     by_value
      - .actual_access:  read_only
        .address_space:  global
        .offset:         64
        .size:           8
        .value_kind:     global_buffer
      - .offset:         72
        .size:           4
        .value_kind:     by_value
      - .offset:         76
        .size:           4
        .value_kind:     by_value
      - .offset:         80
        .size:           4
        .value_kind:     by_value
      - .actual_access:  write_only
        .address_space:  global
        .offset:         88
        .size:           8
        .value_kind:     global_buffer
      - .actual_access:  write_only
        .address_space:  global
        .offset:         96
        .size:           8
        .value_kind:     global_buffer
      - .actual_access:  write_only
        .address_space:  global
        .offset:         104
        .size:           8
        .value_kind:     global_buffer
      - .actual_access:  read_only
        .address_space:  global
        .offset:         112
        .size:           8
        .value_kind:     global_buffer
      - .offset:         120
        .size:           4
        .value_kind:     by_value
      - .address_space:  global
        .offset:         128
        .size:           8
        .value_kind:     global_buffer
      - .address_space:  global
        .offset:         136
        .size:           8
        .value_kind:     global_buffer
      - .offset:         144
        .size:           4
        .value_kind:     hidden_block_count_x
      - .offset:         148
        .size:           4
        .value_kind:     hidden_block_count_y
      - .offset:         152
        .size:           4
        .value_kind:     hidden_block_count_z
      - .offset:         156
        .size:           2
        .value_kind:     hidden_group_size_x
      - .offset:         158
        .size:           2
        .value_kind:     hidden_group_size_y
      - .offset:         160
        .size:           2
        .value_kind:     hidden_group_size_z
      - .offset:         162
        .size:           2
        .value_kind:     hidden_remainder_x
      - .offset:         164
        .size:           2
        .value_kind:     hidden_remainder_y
      - .offset:         166
        .size:           2
        .value_kind:     hidden_remainder_z
      - .offset:         184
        .size:           8
        .value_kind:     hidden_global_offset_x
      - .offset:         192
        .size:           8
        .value_kind:     hidden_global_offset_y
      - .offset:         200
        .size:           8
        .value_kind:     hidden_global_offset_z
      - .offset:         208
        .size:           2
        .value_kind:     hidden_grid_dims
    .group_segment_fixed_size: 8192
    .kernarg_segment_align: 8
    .kernarg_segment_size: 400
    .language:       OpenCL C
    .language_version:
      - 2
      - 0
    .max_flat_workgroup_size: 256
    .name:           _Z39paged_attention_ll4mi_QKV_mfma16_kernelIDF16_hLN4vllm18Fp8KVCacheDataTypeE1EhLi32ELi64ELi256ELb0ELi1EEvPKT_PKT0_S7_ifPKiS9_S9_iPKfiiiPfSC_PS2_PT2_iSB_SB_
    .private_segment_fixed_size: 0
    .sgpr_count:     54
    .sgpr_spill_count: 0
    .symbol:         _Z39paged_attention_ll4mi_QKV_mfma16_kernelIDF16_hLN4vllm18Fp8KVCacheDataTypeE1EhLi32ELi64ELi256ELb0ELi1EEvPKT_PKT0_S7_ifPKiS9_S9_iPKfiiiPfSC_PS2_PT2_iSB_SB_.kd
    .uniform_work_group_size: 1
    .uses_dynamic_stack: false
    .vgpr_count:     55
    .vgpr_spill_count: 0
    .wavefront_size: 64
  - .agpr_count:     0
    .args:
      - .actual_access:  read_only
        .address_space:  global
        .offset:         0
        .size:           8
        .value_kind:     global_buffer
      - .actual_access:  read_only
        .address_space:  global
        .offset:         8
        .size:           8
        .value_kind:     global_buffer
      - .actual_access:  read_only
        .address_space:  global
        .offset:         16
        .size:           8
        .value_kind:     global_buffer
      - .offset:         24
        .size:           4
        .value_kind:     by_value
      - .offset:         28
        .size:           4
        .value_kind:     by_value
      - .actual_access:  read_only
        .address_space:  global
        .offset:         32
        .size:           8
        .value_kind:     global_buffer
      - .actual_access:  read_only
        .address_space:  global
        .offset:         40
        .size:           8
        .value_kind:     global_buffer
      - .actual_access:  read_only
        .address_space:  global
        .offset:         48
        .size:           8
        .value_kind:     global_buffer
      - .offset:         56
        .size:           4
        .value_kind:     by_value
      - .actual_access:  read_only
        .address_space:  global
        .offset:         64
        .size:           8
        .value_kind:     global_buffer
      - .offset:         72
        .size:           4
        .value_kind:     by_value
      - .offset:         76
        .size:           4
        .value_kind:     by_value
      - .offset:         80
        .size:           4
        .value_kind:     by_value
      - .actual_access:  write_only
        .address_space:  global
        .offset:         88
        .size:           8
        .value_kind:     global_buffer
      - .actual_access:  write_only
        .address_space:  global
        .offset:         96
        .size:           8
        .value_kind:     global_buffer
      - .actual_access:  write_only
        .address_space:  global
        .offset:         104
        .size:           8
        .value_kind:     global_buffer
      - .actual_access:  read_only
        .address_space:  global
        .offset:         112
        .size:           8
        .value_kind:     global_buffer
      - .offset:         120
        .size:           4
        .value_kind:     by_value
      - .address_space:  global
        .offset:         128
        .size:           8
        .value_kind:     global_buffer
      - .address_space:  global
        .offset:         136
        .size:           8
        .value_kind:     global_buffer
      - .offset:         144
        .size:           4
        .value_kind:     hidden_block_count_x
      - .offset:         148
        .size:           4
        .value_kind:     hidden_block_count_y
      - .offset:         152
        .size:           4
        .value_kind:     hidden_block_count_z
      - .offset:         156
        .size:           2
        .value_kind:     hidden_group_size_x
      - .offset:         158
        .size:           2
        .value_kind:     hidden_group_size_y
      - .offset:         160
        .size:           2
        .value_kind:     hidden_group_size_z
      - .offset:         162
        .size:           2
        .value_kind:     hidden_remainder_x
      - .offset:         164
        .size:           2
        .value_kind:     hidden_remainder_y
      - .offset:         166
        .size:           2
        .value_kind:     hidden_remainder_z
      - .offset:         184
        .size:           8
        .value_kind:     hidden_global_offset_x
      - .offset:         192
        .size:           8
        .value_kind:     hidden_global_offset_y
      - .offset:         200
        .size:           8
        .value_kind:     hidden_global_offset_z
      - .offset:         208
        .size:           2
        .value_kind:     hidden_grid_dims
    .group_segment_fixed_size: 8192
    .kernarg_segment_align: 8
    .kernarg_segment_size: 400
    .language:       OpenCL C
    .language_version:
      - 2
      - 0
    .max_flat_workgroup_size: 256
    .name:           _Z39paged_attention_ll4mi_QKV_mfma16_kernelIDF16_hLN4vllm18Fp8KVCacheDataTypeE1EhLi32ELi64ELi256ELb0ELi2EEvPKT_PKT0_S7_ifPKiS9_S9_iPKfiiiPfSC_PS2_PT2_iSB_SB_
    .private_segment_fixed_size: 0
    .sgpr_count:     55
    .sgpr_spill_count: 0
    .symbol:         _Z39paged_attention_ll4mi_QKV_mfma16_kernelIDF16_hLN4vllm18Fp8KVCacheDataTypeE1EhLi32ELi64ELi256ELb0ELi2EEvPKT_PKT0_S7_ifPKiS9_S9_iPKfiiiPfSC_PS2_PT2_iSB_SB_.kd
    .uniform_work_group_size: 1
    .uses_dynamic_stack: false
    .vgpr_count:     54
    .vgpr_spill_count: 0
    .wavefront_size: 64
  - .agpr_count:     0
    .args:
      - .actual_access:  read_only
        .address_space:  global
        .offset:         0
        .size:           8
        .value_kind:     global_buffer
      - .actual_access:  read_only
        .address_space:  global
        .offset:         8
        .size:           8
        .value_kind:     global_buffer
      - .actual_access:  read_only
        .address_space:  global
        .offset:         16
        .size:           8
        .value_kind:     global_buffer
      - .offset:         24
        .size:           4
        .value_kind:     by_value
      - .offset:         28
        .size:           4
        .value_kind:     by_value
      - .actual_access:  read_only
        .address_space:  global
        .offset:         32
        .size:           8
        .value_kind:     global_buffer
      - .actual_access:  read_only
        .address_space:  global
        .offset:         40
        .size:           8
        .value_kind:     global_buffer
      - .actual_access:  read_only
        .address_space:  global
        .offset:         48
        .size:           8
        .value_kind:     global_buffer
      - .offset:         56
        .size:           4
        .value_kind:     by_value
      - .actual_access:  read_only
        .address_space:  global
        .offset:         64
        .size:           8
        .value_kind:     global_buffer
      - .offset:         72
        .size:           4
        .value_kind:     by_value
      - .offset:         76
        .size:           4
        .value_kind:     by_value
      - .offset:         80
        .size:           4
        .value_kind:     by_value
      - .actual_access:  write_only
        .address_space:  global
        .offset:         88
        .size:           8
        .value_kind:     global_buffer
      - .actual_access:  write_only
        .address_space:  global
        .offset:         96
        .size:           8
        .value_kind:     global_buffer
      - .actual_access:  write_only
        .address_space:  global
        .offset:         104
        .size:           8
        .value_kind:     global_buffer
      - .actual_access:  read_only
        .address_space:  global
        .offset:         112
        .size:           8
        .value_kind:     global_buffer
      - .offset:         120
        .size:           4
        .value_kind:     by_value
      - .address_space:  global
        .offset:         128
        .size:           8
        .value_kind:     global_buffer
      - .address_space:  global
        .offset:         136
        .size:           8
        .value_kind:     global_buffer
      - .offset:         144
        .size:           4
        .value_kind:     hidden_block_count_x
      - .offset:         148
        .size:           4
        .value_kind:     hidden_block_count_y
      - .offset:         152
        .size:           4
        .value_kind:     hidden_block_count_z
      - .offset:         156
        .size:           2
        .value_kind:     hidden_group_size_x
      - .offset:         158
        .size:           2
        .value_kind:     hidden_group_size_y
      - .offset:         160
        .size:           2
        .value_kind:     hidden_group_size_z
      - .offset:         162
        .size:           2
        .value_kind:     hidden_remainder_x
      - .offset:         164
        .size:           2
        .value_kind:     hidden_remainder_y
      - .offset:         166
        .size:           2
        .value_kind:     hidden_remainder_z
      - .offset:         184
        .size:           8
        .value_kind:     hidden_global_offset_x
      - .offset:         192
        .size:           8
        .value_kind:     hidden_global_offset_y
      - .offset:         200
        .size:           8
        .value_kind:     hidden_global_offset_z
      - .offset:         208
        .size:           2
        .value_kind:     hidden_grid_dims
    .group_segment_fixed_size: 8192
    .kernarg_segment_align: 8
    .kernarg_segment_size: 400
    .language:       OpenCL C
    .language_version:
      - 2
      - 0
    .max_flat_workgroup_size: 256
    .name:           _Z39paged_attention_ll4mi_QKV_mfma16_kernelIDF16_hLN4vllm18Fp8KVCacheDataTypeE1EhLi32ELi64ELi256ELb0ELi3EEvPKT_PKT0_S7_ifPKiS9_S9_iPKfiiiPfSC_PS2_PT2_iSB_SB_
    .private_segment_fixed_size: 0
    .sgpr_count:     56
    .sgpr_spill_count: 0
    .symbol:         _Z39paged_attention_ll4mi_QKV_mfma16_kernelIDF16_hLN4vllm18Fp8KVCacheDataTypeE1EhLi32ELi64ELi256ELb0ELi3EEvPKT_PKT0_S7_ifPKiS9_S9_iPKfiiiPfSC_PS2_PT2_iSB_SB_.kd
    .uniform_work_group_size: 1
    .uses_dynamic_stack: false
    .vgpr_count:     56
    .vgpr_spill_count: 0
    .wavefront_size: 64
  - .agpr_count:     0
    .args:
      - .actual_access:  read_only
        .address_space:  global
        .offset:         0
        .size:           8
        .value_kind:     global_buffer
      - .actual_access:  read_only
        .address_space:  global
        .offset:         8
        .size:           8
        .value_kind:     global_buffer
      - .actual_access:  read_only
        .address_space:  global
        .offset:         16
        .size:           8
        .value_kind:     global_buffer
      - .offset:         24
        .size:           4
        .value_kind:     by_value
      - .offset:         28
        .size:           4
        .value_kind:     by_value
      - .actual_access:  read_only
        .address_space:  global
        .offset:         32
        .size:           8
        .value_kind:     global_buffer
      - .actual_access:  read_only
        .address_space:  global
        .offset:         40
        .size:           8
        .value_kind:     global_buffer
      - .actual_access:  read_only
        .address_space:  global
        .offset:         48
        .size:           8
        .value_kind:     global_buffer
      - .offset:         56
        .size:           4
        .value_kind:     by_value
      - .actual_access:  read_only
        .address_space:  global
        .offset:         64
        .size:           8
        .value_kind:     global_buffer
      - .offset:         72
        .size:           4
        .value_kind:     by_value
      - .offset:         76
        .size:           4
        .value_kind:     by_value
      - .offset:         80
        .size:           4
        .value_kind:     by_value
      - .actual_access:  write_only
        .address_space:  global
        .offset:         88
        .size:           8
        .value_kind:     global_buffer
      - .actual_access:  write_only
        .address_space:  global
        .offset:         96
        .size:           8
        .value_kind:     global_buffer
      - .actual_access:  write_only
        .address_space:  global
        .offset:         104
        .size:           8
        .value_kind:     global_buffer
      - .actual_access:  read_only
        .address_space:  global
        .offset:         112
        .size:           8
        .value_kind:     global_buffer
      - .offset:         120
        .size:           4
        .value_kind:     by_value
      - .address_space:  global
        .offset:         128
        .size:           8
        .value_kind:     global_buffer
      - .address_space:  global
        .offset:         136
        .size:           8
        .value_kind:     global_buffer
      - .offset:         144
        .size:           4
        .value_kind:     hidden_block_count_x
      - .offset:         148
        .size:           4
        .value_kind:     hidden_block_count_y
      - .offset:         152
        .size:           4
        .value_kind:     hidden_block_count_z
      - .offset:         156
        .size:           2
        .value_kind:     hidden_group_size_x
      - .offset:         158
        .size:           2
        .value_kind:     hidden_group_size_y
      - .offset:         160
        .size:           2
        .value_kind:     hidden_group_size_z
      - .offset:         162
        .size:           2
        .value_kind:     hidden_remainder_x
      - .offset:         164
        .size:           2
        .value_kind:     hidden_remainder_y
      - .offset:         166
        .size:           2
        .value_kind:     hidden_remainder_z
      - .offset:         184
        .size:           8
        .value_kind:     hidden_global_offset_x
      - .offset:         192
        .size:           8
        .value_kind:     hidden_global_offset_y
      - .offset:         200
        .size:           8
        .value_kind:     hidden_global_offset_z
      - .offset:         208
        .size:           2
        .value_kind:     hidden_grid_dims
    .group_segment_fixed_size: 8192
    .kernarg_segment_align: 8
    .kernarg_segment_size: 400
    .language:       OpenCL C
    .language_version:
      - 2
      - 0
    .max_flat_workgroup_size: 256
    .name:           _Z39paged_attention_ll4mi_QKV_mfma16_kernelIDF16_hLN4vllm18Fp8KVCacheDataTypeE1EhLi32ELi64ELi256ELb0ELi4EEvPKT_PKT0_S7_ifPKiS9_S9_iPKfiiiPfSC_PS2_PT2_iSB_SB_
    .private_segment_fixed_size: 0
    .sgpr_count:     56
    .sgpr_spill_count: 0
    .symbol:         _Z39paged_attention_ll4mi_QKV_mfma16_kernelIDF16_hLN4vllm18Fp8KVCacheDataTypeE1EhLi32ELi64ELi256ELb0ELi4EEvPKT_PKT0_S7_ifPKiS9_S9_iPKfiiiPfSC_PS2_PT2_iSB_SB_.kd
    .uniform_work_group_size: 1
    .uses_dynamic_stack: false
    .vgpr_count:     56
    .vgpr_spill_count: 0
    .wavefront_size: 64
  - .agpr_count:     4
    .args:
      - .actual_access:  read_only
        .address_space:  global
        .offset:         0
        .size:           8
        .value_kind:     global_buffer
      - .actual_access:  read_only
        .address_space:  global
        .offset:         8
        .size:           8
        .value_kind:     global_buffer
      - .actual_access:  read_only
        .address_space:  global
        .offset:         16
        .size:           8
        .value_kind:     global_buffer
      - .offset:         24
        .size:           4
        .value_kind:     by_value
      - .offset:         28
        .size:           4
        .value_kind:     by_value
      - .actual_access:  read_only
        .address_space:  global
        .offset:         32
        .size:           8
        .value_kind:     global_buffer
      - .actual_access:  read_only
        .address_space:  global
        .offset:         40
        .size:           8
        .value_kind:     global_buffer
      - .actual_access:  read_only
        .address_space:  global
        .offset:         48
        .size:           8
        .value_kind:     global_buffer
      - .offset:         56
        .size:           4
        .value_kind:     by_value
      - .actual_access:  read_only
        .address_space:  global
        .offset:         64
        .size:           8
        .value_kind:     global_buffer
      - .offset:         72
        .size:           4
        .value_kind:     by_value
      - .offset:         76
        .size:           4
        .value_kind:     by_value
      - .offset:         80
        .size:           4
        .value_kind:     by_value
      - .actual_access:  write_only
        .address_space:  global
        .offset:         88
        .size:           8
        .value_kind:     global_buffer
      - .actual_access:  write_only
        .address_space:  global
        .offset:         96
        .size:           8
        .value_kind:     global_buffer
      - .actual_access:  write_only
        .address_space:  global
        .offset:         104
        .size:           8
        .value_kind:     global_buffer
      - .actual_access:  read_only
        .address_space:  global
        .offset:         112
        .size:           8
        .value_kind:     global_buffer
      - .offset:         120
        .size:           4
        .value_kind:     by_value
      - .address_space:  global
        .offset:         128
        .size:           8
        .value_kind:     global_buffer
      - .address_space:  global
        .offset:         136
        .size:           8
        .value_kind:     global_buffer
      - .offset:         144
        .size:           4
        .value_kind:     hidden_block_count_x
      - .offset:         148
        .size:           4
        .value_kind:     hidden_block_count_y
      - .offset:         152
        .size:           4
        .value_kind:     hidden_block_count_z
      - .offset:         156
        .size:           2
        .value_kind:     hidden_group_size_x
      - .offset:         158
        .size:           2
        .value_kind:     hidden_group_size_y
      - .offset:         160
        .size:           2
        .value_kind:     hidden_group_size_z
      - .offset:         162
        .size:           2
        .value_kind:     hidden_remainder_x
      - .offset:         164
        .size:           2
        .value_kind:     hidden_remainder_y
      - .offset:         166
        .size:           2
        .value_kind:     hidden_remainder_z
      - .offset:         184
        .size:           8
        .value_kind:     hidden_global_offset_x
      - .offset:         192
        .size:           8
        .value_kind:     hidden_global_offset_y
      - .offset:         200
        .size:           8
        .value_kind:     hidden_global_offset_z
      - .offset:         208
        .size:           2
        .value_kind:     hidden_grid_dims
    .group_segment_fixed_size: 2720
    .kernarg_segment_align: 8
    .kernarg_segment_size: 400
    .language:       OpenCL C
    .language_version:
      - 2
      - 0
    .max_flat_workgroup_size: 256
    .name:           _Z38paged_attention_ll4mi_QKV_mfma4_kernelIDF16_hLN4vllm18Fp8KVCacheDataTypeE1EDF16_Li32ELi64ELi256ELb1ELi1EEvPKT_PKT0_S7_ifPKiS9_S9_iPKfiiiPfSC_PS2_PT2_iSB_SB_
    .private_segment_fixed_size: 0
    .sgpr_count:     48
    .sgpr_spill_count: 0
    .symbol:         _Z38paged_attention_ll4mi_QKV_mfma4_kernelIDF16_hLN4vllm18Fp8KVCacheDataTypeE1EDF16_Li32ELi64ELi256ELb1ELi1EEvPKT_PKT0_S7_ifPKiS9_S9_iPKfiiiPfSC_PS2_PT2_iSB_SB_.kd
    .uniform_work_group_size: 1
    .uses_dynamic_stack: false
    .vgpr_count:     48
    .vgpr_spill_count: 0
    .wavefront_size: 64
  - .agpr_count:     4
    .args:
      - .actual_access:  read_only
        .address_space:  global
        .offset:         0
        .size:           8
        .value_kind:     global_buffer
      - .actual_access:  read_only
        .address_space:  global
        .offset:         8
        .size:           8
        .value_kind:     global_buffer
      - .actual_access:  read_only
        .address_space:  global
        .offset:         16
        .size:           8
        .value_kind:     global_buffer
      - .offset:         24
        .size:           4
        .value_kind:     by_value
      - .offset:         28
        .size:           4
        .value_kind:     by_value
      - .actual_access:  read_only
        .address_space:  global
        .offset:         32
        .size:           8
        .value_kind:     global_buffer
      - .actual_access:  read_only
        .address_space:  global
        .offset:         40
        .size:           8
        .value_kind:     global_buffer
      - .actual_access:  read_only
        .address_space:  global
        .offset:         48
        .size:           8
        .value_kind:     global_buffer
      - .offset:         56
        .size:           4
        .value_kind:     by_value
      - .actual_access:  read_only
        .address_space:  global
        .offset:         64
        .size:           8
        .value_kind:     global_buffer
      - .offset:         72
        .size:           4
        .value_kind:     by_value
      - .offset:         76
        .size:           4
        .value_kind:     by_value
      - .offset:         80
        .size:           4
        .value_kind:     by_value
      - .actual_access:  write_only
        .address_space:  global
        .offset:         88
        .size:           8
        .value_kind:     global_buffer
      - .actual_access:  write_only
        .address_space:  global
        .offset:         96
        .size:           8
        .value_kind:     global_buffer
      - .actual_access:  write_only
        .address_space:  global
        .offset:         104
        .size:           8
        .value_kind:     global_buffer
      - .actual_access:  read_only
        .address_space:  global
        .offset:         112
        .size:           8
        .value_kind:     global_buffer
      - .offset:         120
        .size:           4
        .value_kind:     by_value
      - .address_space:  global
        .offset:         128
        .size:           8
        .value_kind:     global_buffer
      - .address_space:  global
        .offset:         136
        .size:           8
        .value_kind:     global_buffer
      - .offset:         144
        .size:           4
        .value_kind:     hidden_block_count_x
      - .offset:         148
        .size:           4
        .value_kind:     hidden_block_count_y
      - .offset:         152
        .size:           4
        .value_kind:     hidden_block_count_z
      - .offset:         156
        .size:           2
        .value_kind:     hidden_group_size_x
      - .offset:         158
        .size:           2
        .value_kind:     hidden_group_size_y
      - .offset:         160
        .size:           2
        .value_kind:     hidden_group_size_z
      - .offset:         162
        .size:           2
        .value_kind:     hidden_remainder_x
      - .offset:         164
        .size:           2
        .value_kind:     hidden_remainder_y
      - .offset:         166
        .size:           2
        .value_kind:     hidden_remainder_z
      - .offset:         184
        .size:           8
        .value_kind:     hidden_global_offset_x
      - .offset:         192
        .size:           8
        .value_kind:     hidden_global_offset_y
      - .offset:         200
        .size:           8
        .value_kind:     hidden_global_offset_z
      - .offset:         208
        .size:           2
        .value_kind:     hidden_grid_dims
    .group_segment_fixed_size: 2720
    .kernarg_segment_align: 8
    .kernarg_segment_size: 400
    .language:       OpenCL C
    .language_version:
      - 2
      - 0
    .max_flat_workgroup_size: 256
    .name:           _Z38paged_attention_ll4mi_QKV_mfma4_kernelIDF16_hLN4vllm18Fp8KVCacheDataTypeE1EDF16_Li32ELi64ELi256ELb1ELi2EEvPKT_PKT0_S7_ifPKiS9_S9_iPKfiiiPfSC_PS2_PT2_iSB_SB_
    .private_segment_fixed_size: 0
    .sgpr_count:     50
    .sgpr_spill_count: 0
    .symbol:         _Z38paged_attention_ll4mi_QKV_mfma4_kernelIDF16_hLN4vllm18Fp8KVCacheDataTypeE1EDF16_Li32ELi64ELi256ELb1ELi2EEvPKT_PKT0_S7_ifPKiS9_S9_iPKfiiiPfSC_PS2_PT2_iSB_SB_.kd
    .uniform_work_group_size: 1
    .uses_dynamic_stack: false
    .vgpr_count:     52
    .vgpr_spill_count: 0
    .wavefront_size: 64
  - .agpr_count:     4
    .args:
      - .actual_access:  read_only
        .address_space:  global
        .offset:         0
        .size:           8
        .value_kind:     global_buffer
      - .actual_access:  read_only
        .address_space:  global
        .offset:         8
        .size:           8
        .value_kind:     global_buffer
      - .actual_access:  read_only
        .address_space:  global
        .offset:         16
        .size:           8
        .value_kind:     global_buffer
      - .offset:         24
        .size:           4
        .value_kind:     by_value
      - .offset:         28
        .size:           4
        .value_kind:     by_value
      - .actual_access:  read_only
        .address_space:  global
        .offset:         32
        .size:           8
        .value_kind:     global_buffer
      - .actual_access:  read_only
        .address_space:  global
        .offset:         40
        .size:           8
        .value_kind:     global_buffer
      - .actual_access:  read_only
        .address_space:  global
        .offset:         48
        .size:           8
        .value_kind:     global_buffer
      - .offset:         56
        .size:           4
        .value_kind:     by_value
      - .actual_access:  read_only
        .address_space:  global
        .offset:         64
        .size:           8
        .value_kind:     global_buffer
      - .offset:         72
        .size:           4
        .value_kind:     by_value
      - .offset:         76
        .size:           4
        .value_kind:     by_value
      - .offset:         80
        .size:           4
        .value_kind:     by_value
      - .actual_access:  write_only
        .address_space:  global
        .offset:         88
        .size:           8
        .value_kind:     global_buffer
      - .actual_access:  write_only
        .address_space:  global
        .offset:         96
        .size:           8
        .value_kind:     global_buffer
      - .actual_access:  write_only
        .address_space:  global
        .offset:         104
        .size:           8
        .value_kind:     global_buffer
      - .actual_access:  read_only
        .address_space:  global
        .offset:         112
        .size:           8
        .value_kind:     global_buffer
      - .offset:         120
        .size:           4
        .value_kind:     by_value
      - .address_space:  global
        .offset:         128
        .size:           8
        .value_kind:     global_buffer
      - .address_space:  global
        .offset:         136
        .size:           8
        .value_kind:     global_buffer
      - .offset:         144
        .size:           4
        .value_kind:     hidden_block_count_x
      - .offset:         148
        .size:           4
        .value_kind:     hidden_block_count_y
      - .offset:         152
        .size:           4
        .value_kind:     hidden_block_count_z
      - .offset:         156
        .size:           2
        .value_kind:     hidden_group_size_x
      - .offset:         158
        .size:           2
        .value_kind:     hidden_group_size_y
      - .offset:         160
        .size:           2
        .value_kind:     hidden_group_size_z
      - .offset:         162
        .size:           2
        .value_kind:     hidden_remainder_x
      - .offset:         164
        .size:           2
        .value_kind:     hidden_remainder_y
      - .offset:         166
        .size:           2
        .value_kind:     hidden_remainder_z
      - .offset:         184
        .size:           8
        .value_kind:     hidden_global_offset_x
      - .offset:         192
        .size:           8
        .value_kind:     hidden_global_offset_y
      - .offset:         200
        .size:           8
        .value_kind:     hidden_global_offset_z
      - .offset:         208
        .size:           2
        .value_kind:     hidden_grid_dims
    .group_segment_fixed_size: 2720
    .kernarg_segment_align: 8
    .kernarg_segment_size: 400
    .language:       OpenCL C
    .language_version:
      - 2
      - 0
    .max_flat_workgroup_size: 256
    .name:           _Z38paged_attention_ll4mi_QKV_mfma4_kernelIDF16_hLN4vllm18Fp8KVCacheDataTypeE1EDF16_Li32ELi64ELi256ELb1ELi3EEvPKT_PKT0_S7_ifPKiS9_S9_iPKfiiiPfSC_PS2_PT2_iSB_SB_
    .private_segment_fixed_size: 0
    .sgpr_count:     50
    .sgpr_spill_count: 0
    .symbol:         _Z38paged_attention_ll4mi_QKV_mfma4_kernelIDF16_hLN4vllm18Fp8KVCacheDataTypeE1EDF16_Li32ELi64ELi256ELb1ELi3EEvPKT_PKT0_S7_ifPKiS9_S9_iPKfiiiPfSC_PS2_PT2_iSB_SB_.kd
    .uniform_work_group_size: 1
    .uses_dynamic_stack: false
    .vgpr_count:     48
    .vgpr_spill_count: 0
    .wavefront_size: 64
  - .agpr_count:     4
    .args:
      - .actual_access:  read_only
        .address_space:  global
        .offset:         0
        .size:           8
        .value_kind:     global_buffer
      - .actual_access:  read_only
        .address_space:  global
        .offset:         8
        .size:           8
        .value_kind:     global_buffer
      - .actual_access:  read_only
        .address_space:  global
        .offset:         16
        .size:           8
        .value_kind:     global_buffer
      - .offset:         24
        .size:           4
        .value_kind:     by_value
      - .offset:         28
        .size:           4
        .value_kind:     by_value
      - .actual_access:  read_only
        .address_space:  global
        .offset:         32
        .size:           8
        .value_kind:     global_buffer
      - .actual_access:  read_only
        .address_space:  global
        .offset:         40
        .size:           8
        .value_kind:     global_buffer
      - .actual_access:  read_only
        .address_space:  global
        .offset:         48
        .size:           8
        .value_kind:     global_buffer
      - .offset:         56
        .size:           4
        .value_kind:     by_value
      - .actual_access:  read_only
        .address_space:  global
        .offset:         64
        .size:           8
        .value_kind:     global_buffer
      - .offset:         72
        .size:           4
        .value_kind:     by_value
      - .offset:         76
        .size:           4
        .value_kind:     by_value
      - .offset:         80
        .size:           4
        .value_kind:     by_value
      - .actual_access:  write_only
        .address_space:  global
        .offset:         88
        .size:           8
        .value_kind:     global_buffer
      - .actual_access:  write_only
        .address_space:  global
        .offset:         96
        .size:           8
        .value_kind:     global_buffer
      - .actual_access:  write_only
        .address_space:  global
        .offset:         104
        .size:           8
        .value_kind:     global_buffer
      - .actual_access:  read_only
        .address_space:  global
        .offset:         112
        .size:           8
        .value_kind:     global_buffer
      - .offset:         120
        .size:           4
        .value_kind:     by_value
      - .address_space:  global
        .offset:         128
        .size:           8
        .value_kind:     global_buffer
      - .address_space:  global
        .offset:         136
        .size:           8
        .value_kind:     global_buffer
      - .offset:         144
        .size:           4
        .value_kind:     hidden_block_count_x
      - .offset:         148
        .size:           4
        .value_kind:     hidden_block_count_y
      - .offset:         152
        .size:           4
        .value_kind:     hidden_block_count_z
      - .offset:         156
        .size:           2
        .value_kind:     hidden_group_size_x
      - .offset:         158
        .size:           2
        .value_kind:     hidden_group_size_y
      - .offset:         160
        .size:           2
        .value_kind:     hidden_group_size_z
      - .offset:         162
        .size:           2
        .value_kind:     hidden_remainder_x
      - .offset:         164
        .size:           2
        .value_kind:     hidden_remainder_y
      - .offset:         166
        .size:           2
        .value_kind:     hidden_remainder_z
      - .offset:         184
        .size:           8
        .value_kind:     hidden_global_offset_x
      - .offset:         192
        .size:           8
        .value_kind:     hidden_global_offset_y
      - .offset:         200
        .size:           8
        .value_kind:     hidden_global_offset_z
      - .offset:         208
        .size:           2
        .value_kind:     hidden_grid_dims
    .group_segment_fixed_size: 2720
    .kernarg_segment_align: 8
    .kernarg_segment_size: 400
    .language:       OpenCL C
    .language_version:
      - 2
      - 0
    .max_flat_workgroup_size: 256
    .name:           _Z38paged_attention_ll4mi_QKV_mfma4_kernelIDF16_hLN4vllm18Fp8KVCacheDataTypeE1EDF16_Li32ELi64ELi256ELb1ELi4EEvPKT_PKT0_S7_ifPKiS9_S9_iPKfiiiPfSC_PS2_PT2_iSB_SB_
    .private_segment_fixed_size: 0
    .sgpr_count:     51
    .sgpr_spill_count: 0
    .symbol:         _Z38paged_attention_ll4mi_QKV_mfma4_kernelIDF16_hLN4vllm18Fp8KVCacheDataTypeE1EDF16_Li32ELi64ELi256ELb1ELi4EEvPKT_PKT0_S7_ifPKiS9_S9_iPKfiiiPfSC_PS2_PT2_iSB_SB_.kd
    .uniform_work_group_size: 1
    .uses_dynamic_stack: false
    .vgpr_count:     88
    .vgpr_spill_count: 0
    .wavefront_size: 64
  - .agpr_count:     0
    .args:
      - .actual_access:  read_only
        .address_space:  global
        .offset:         0
        .size:           8
        .value_kind:     global_buffer
      - .actual_access:  read_only
        .address_space:  global
        .offset:         8
        .size:           8
        .value_kind:     global_buffer
      - .actual_access:  read_only
        .address_space:  global
        .offset:         16
        .size:           8
        .value_kind:     global_buffer
      - .offset:         24
        .size:           4
        .value_kind:     by_value
      - .offset:         28
        .size:           4
        .value_kind:     by_value
      - .actual_access:  read_only
        .address_space:  global
        .offset:         32
        .size:           8
        .value_kind:     global_buffer
      - .actual_access:  read_only
        .address_space:  global
        .offset:         40
        .size:           8
        .value_kind:     global_buffer
      - .actual_access:  read_only
        .address_space:  global
        .offset:         48
        .size:           8
        .value_kind:     global_buffer
      - .offset:         56
        .size:           4
        .value_kind:     by_value
      - .actual_access:  read_only
        .address_space:  global
        .offset:         64
        .size:           8
        .value_kind:     global_buffer
      - .offset:         72
        .size:           4
        .value_kind:     by_value
      - .offset:         76
        .size:           4
        .value_kind:     by_value
      - .offset:         80
        .size:           4
        .value_kind:     by_value
      - .actual_access:  write_only
        .address_space:  global
        .offset:         88
        .size:           8
        .value_kind:     global_buffer
      - .actual_access:  write_only
        .address_space:  global
        .offset:         96
        .size:           8
        .value_kind:     global_buffer
      - .actual_access:  write_only
        .address_space:  global
        .offset:         104
        .size:           8
        .value_kind:     global_buffer
      - .actual_access:  read_only
        .address_space:  global
        .offset:         112
        .size:           8
        .value_kind:     global_buffer
      - .offset:         120
        .size:           4
        .value_kind:     by_value
      - .address_space:  global
        .offset:         128
        .size:           8
        .value_kind:     global_buffer
      - .address_space:  global
        .offset:         136
        .size:           8
        .value_kind:     global_buffer
      - .offset:         144
        .size:           4
        .value_kind:     hidden_block_count_x
      - .offset:         148
        .size:           4
        .value_kind:     hidden_block_count_y
      - .offset:         152
        .size:           4
        .value_kind:     hidden_block_count_z
      - .offset:         156
        .size:           2
        .value_kind:     hidden_group_size_x
      - .offset:         158
        .size:           2
        .value_kind:     hidden_group_size_y
      - .offset:         160
        .size:           2
        .value_kind:     hidden_group_size_z
      - .offset:         162
        .size:           2
        .value_kind:     hidden_remainder_x
      - .offset:         164
        .size:           2
        .value_kind:     hidden_remainder_y
      - .offset:         166
        .size:           2
        .value_kind:     hidden_remainder_z
      - .offset:         184
        .size:           8
        .value_kind:     hidden_global_offset_x
      - .offset:         192
        .size:           8
        .value_kind:     hidden_global_offset_y
      - .offset:         200
        .size:           8
        .value_kind:     hidden_global_offset_z
      - .offset:         208
        .size:           2
        .value_kind:     hidden_grid_dims
    .group_segment_fixed_size: 8192
    .kernarg_segment_align: 8
    .kernarg_segment_size: 400
    .language:       OpenCL C
    .language_version:
      - 2
      - 0
    .max_flat_workgroup_size: 256
    .name:           _Z39paged_attention_ll4mi_QKV_mfma16_kernelIDF16_hLN4vllm18Fp8KVCacheDataTypeE1EDF16_Li32ELi64ELi256ELb1ELi5EEvPKT_PKT0_S7_ifPKiS9_S9_iPKfiiiPfSC_PS2_PT2_iSB_SB_
    .private_segment_fixed_size: 0
    .sgpr_count:     56
    .sgpr_spill_count: 0
    .symbol:         _Z39paged_attention_ll4mi_QKV_mfma16_kernelIDF16_hLN4vllm18Fp8KVCacheDataTypeE1EDF16_Li32ELi64ELi256ELb1ELi5EEvPKT_PKT0_S7_ifPKiS9_S9_iPKfiiiPfSC_PS2_PT2_iSB_SB_.kd
    .uniform_work_group_size: 1
    .uses_dynamic_stack: false
    .vgpr_count:     71
    .vgpr_spill_count: 0
    .wavefront_size: 64
  - .agpr_count:     0
    .args:
      - .actual_access:  read_only
        .address_space:  global
        .offset:         0
        .size:           8
        .value_kind:     global_buffer
      - .actual_access:  read_only
        .address_space:  global
        .offset:         8
        .size:           8
        .value_kind:     global_buffer
      - .actual_access:  read_only
        .address_space:  global
        .offset:         16
        .size:           8
        .value_kind:     global_buffer
      - .offset:         24
        .size:           4
        .value_kind:     by_value
      - .offset:         28
        .size:           4
        .value_kind:     by_value
      - .actual_access:  read_only
        .address_space:  global
        .offset:         32
        .size:           8
        .value_kind:     global_buffer
      - .actual_access:  read_only
        .address_space:  global
        .offset:         40
        .size:           8
        .value_kind:     global_buffer
      - .actual_access:  read_only
        .address_space:  global
        .offset:         48
        .size:           8
        .value_kind:     global_buffer
      - .offset:         56
        .size:           4
        .value_kind:     by_value
      - .actual_access:  read_only
        .address_space:  global
        .offset:         64
        .size:           8
        .value_kind:     global_buffer
      - .offset:         72
        .size:           4
        .value_kind:     by_value
      - .offset:         76
        .size:           4
        .value_kind:     by_value
      - .offset:         80
        .size:           4
        .value_kind:     by_value
      - .actual_access:  write_only
        .address_space:  global
        .offset:         88
        .size:           8
        .value_kind:     global_buffer
      - .actual_access:  write_only
        .address_space:  global
        .offset:         96
        .size:           8
        .value_kind:     global_buffer
      - .actual_access:  write_only
        .address_space:  global
        .offset:         104
        .size:           8
        .value_kind:     global_buffer
      - .actual_access:  read_only
        .address_space:  global
        .offset:         112
        .size:           8
        .value_kind:     global_buffer
      - .offset:         120
        .size:           4
        .value_kind:     by_value
      - .address_space:  global
        .offset:         128
        .size:           8
        .value_kind:     global_buffer
      - .address_space:  global
        .offset:         136
        .size:           8
        .value_kind:     global_buffer
      - .offset:         144
        .size:           4
        .value_kind:     hidden_block_count_x
      - .offset:         148
        .size:           4
        .value_kind:     hidden_block_count_y
      - .offset:         152
        .size:           4
        .value_kind:     hidden_block_count_z
      - .offset:         156
        .size:           2
        .value_kind:     hidden_group_size_x
      - .offset:         158
        .size:           2
        .value_kind:     hidden_group_size_y
      - .offset:         160
        .size:           2
        .value_kind:     hidden_group_size_z
      - .offset:         162
        .size:           2
        .value_kind:     hidden_remainder_x
      - .offset:         164
        .size:           2
        .value_kind:     hidden_remainder_y
      - .offset:         166
        .size:           2
        .value_kind:     hidden_remainder_z
      - .offset:         184
        .size:           8
        .value_kind:     hidden_global_offset_x
      - .offset:         192
        .size:           8
        .value_kind:     hidden_global_offset_y
      - .offset:         200
        .size:           8
        .value_kind:     hidden_global_offset_z
      - .offset:         208
        .size:           2
        .value_kind:     hidden_grid_dims
    .group_segment_fixed_size: 8192
    .kernarg_segment_align: 8
    .kernarg_segment_size: 400
    .language:       OpenCL C
    .language_version:
      - 2
      - 0
    .max_flat_workgroup_size: 256
    .name:           _Z39paged_attention_ll4mi_QKV_mfma16_kernelIDF16_hLN4vllm18Fp8KVCacheDataTypeE1EDF16_Li32ELi64ELi256ELb1ELi6EEvPKT_PKT0_S7_ifPKiS9_S9_iPKfiiiPfSC_PS2_PT2_iSB_SB_
    .private_segment_fixed_size: 0
    .sgpr_count:     56
    .sgpr_spill_count: 0
    .symbol:         _Z39paged_attention_ll4mi_QKV_mfma16_kernelIDF16_hLN4vllm18Fp8KVCacheDataTypeE1EDF16_Li32ELi64ELi256ELb1ELi6EEvPKT_PKT0_S7_ifPKiS9_S9_iPKfiiiPfSC_PS2_PT2_iSB_SB_.kd
    .uniform_work_group_size: 1
    .uses_dynamic_stack: false
    .vgpr_count:     71
    .vgpr_spill_count: 0
    .wavefront_size: 64
  - .agpr_count:     0
    .args:
      - .actual_access:  read_only
        .address_space:  global
        .offset:         0
        .size:           8
        .value_kind:     global_buffer
      - .actual_access:  read_only
        .address_space:  global
        .offset:         8
        .size:           8
        .value_kind:     global_buffer
      - .actual_access:  read_only
        .address_space:  global
        .offset:         16
        .size:           8
        .value_kind:     global_buffer
      - .offset:         24
        .size:           4
        .value_kind:     by_value
      - .offset:         28
        .size:           4
        .value_kind:     by_value
      - .actual_access:  read_only
        .address_space:  global
        .offset:         32
        .size:           8
        .value_kind:     global_buffer
      - .actual_access:  read_only
        .address_space:  global
        .offset:         40
        .size:           8
        .value_kind:     global_buffer
      - .actual_access:  read_only
        .address_space:  global
        .offset:         48
        .size:           8
        .value_kind:     global_buffer
      - .offset:         56
        .size:           4
        .value_kind:     by_value
      - .actual_access:  read_only
        .address_space:  global
        .offset:         64
        .size:           8
        .value_kind:     global_buffer
      - .offset:         72
        .size:           4
        .value_kind:     by_value
      - .offset:         76
        .size:           4
        .value_kind:     by_value
      - .offset:         80
        .size:           4
        .value_kind:     by_value
      - .actual_access:  write_only
        .address_space:  global
        .offset:         88
        .size:           8
        .value_kind:     global_buffer
      - .actual_access:  write_only
        .address_space:  global
        .offset:         96
        .size:           8
        .value_kind:     global_buffer
      - .actual_access:  write_only
        .address_space:  global
        .offset:         104
        .size:           8
        .value_kind:     global_buffer
      - .actual_access:  read_only
        .address_space:  global
        .offset:         112
        .size:           8
        .value_kind:     global_buffer
      - .offset:         120
        .size:           4
        .value_kind:     by_value
      - .address_space:  global
        .offset:         128
        .size:           8
        .value_kind:     global_buffer
      - .address_space:  global
        .offset:         136
        .size:           8
        .value_kind:     global_buffer
      - .offset:         144
        .size:           4
        .value_kind:     hidden_block_count_x
      - .offset:         148
        .size:           4
        .value_kind:     hidden_block_count_y
      - .offset:         152
        .size:           4
        .value_kind:     hidden_block_count_z
      - .offset:         156
        .size:           2
        .value_kind:     hidden_group_size_x
      - .offset:         158
        .size:           2
        .value_kind:     hidden_group_size_y
      - .offset:         160
        .size:           2
        .value_kind:     hidden_group_size_z
      - .offset:         162
        .size:           2
        .value_kind:     hidden_remainder_x
      - .offset:         164
        .size:           2
        .value_kind:     hidden_remainder_y
      - .offset:         166
        .size:           2
        .value_kind:     hidden_remainder_z
      - .offset:         184
        .size:           8
        .value_kind:     hidden_global_offset_x
      - .offset:         192
        .size:           8
        .value_kind:     hidden_global_offset_y
      - .offset:         200
        .size:           8
        .value_kind:     hidden_global_offset_z
      - .offset:         208
        .size:           2
        .value_kind:     hidden_grid_dims
    .group_segment_fixed_size: 8192
    .kernarg_segment_align: 8
    .kernarg_segment_size: 400
    .language:       OpenCL C
    .language_version:
      - 2
      - 0
    .max_flat_workgroup_size: 256
    .name:           _Z39paged_attention_ll4mi_QKV_mfma16_kernelIDF16_hLN4vllm18Fp8KVCacheDataTypeE1EDF16_Li32ELi64ELi256ELb1ELi7EEvPKT_PKT0_S7_ifPKiS9_S9_iPKfiiiPfSC_PS2_PT2_iSB_SB_
    .private_segment_fixed_size: 0
    .sgpr_count:     56
    .sgpr_spill_count: 0
    .symbol:         _Z39paged_attention_ll4mi_QKV_mfma16_kernelIDF16_hLN4vllm18Fp8KVCacheDataTypeE1EDF16_Li32ELi64ELi256ELb1ELi7EEvPKT_PKT0_S7_ifPKiS9_S9_iPKfiiiPfSC_PS2_PT2_iSB_SB_.kd
    .uniform_work_group_size: 1
    .uses_dynamic_stack: false
    .vgpr_count:     71
    .vgpr_spill_count: 0
    .wavefront_size: 64
  - .agpr_count:     0
    .args:
      - .actual_access:  read_only
        .address_space:  global
        .offset:         0
        .size:           8
        .value_kind:     global_buffer
      - .actual_access:  read_only
        .address_space:  global
        .offset:         8
        .size:           8
        .value_kind:     global_buffer
      - .actual_access:  read_only
        .address_space:  global
        .offset:         16
        .size:           8
        .value_kind:     global_buffer
      - .offset:         24
        .size:           4
        .value_kind:     by_value
      - .offset:         28
        .size:           4
        .value_kind:     by_value
      - .actual_access:  read_only
        .address_space:  global
        .offset:         32
        .size:           8
        .value_kind:     global_buffer
      - .actual_access:  read_only
        .address_space:  global
        .offset:         40
        .size:           8
        .value_kind:     global_buffer
      - .actual_access:  read_only
        .address_space:  global
        .offset:         48
        .size:           8
        .value_kind:     global_buffer
      - .offset:         56
        .size:           4
        .value_kind:     by_value
      - .actual_access:  read_only
        .address_space:  global
        .offset:         64
        .size:           8
        .value_kind:     global_buffer
      - .offset:         72
        .size:           4
        .value_kind:     by_value
      - .offset:         76
        .size:           4
        .value_kind:     by_value
      - .offset:         80
        .size:           4
        .value_kind:     by_value
      - .actual_access:  write_only
        .address_space:  global
        .offset:         88
        .size:           8
        .value_kind:     global_buffer
      - .actual_access:  write_only
        .address_space:  global
        .offset:         96
        .size:           8
        .value_kind:     global_buffer
      - .actual_access:  write_only
        .address_space:  global
        .offset:         104
        .size:           8
        .value_kind:     global_buffer
      - .actual_access:  read_only
        .address_space:  global
        .offset:         112
        .size:           8
        .value_kind:     global_buffer
      - .offset:         120
        .size:           4
        .value_kind:     by_value
      - .address_space:  global
        .offset:         128
        .size:           8
        .value_kind:     global_buffer
      - .address_space:  global
        .offset:         136
        .size:           8
        .value_kind:     global_buffer
      - .offset:         144
        .size:           4
        .value_kind:     hidden_block_count_x
      - .offset:         148
        .size:           4
        .value_kind:     hidden_block_count_y
      - .offset:         152
        .size:           4
        .value_kind:     hidden_block_count_z
      - .offset:         156
        .size:           2
        .value_kind:     hidden_group_size_x
      - .offset:         158
        .size:           2
        .value_kind:     hidden_group_size_y
      - .offset:         160
        .size:           2
        .value_kind:     hidden_group_size_z
      - .offset:         162
        .size:           2
        .value_kind:     hidden_remainder_x
      - .offset:         164
        .size:           2
        .value_kind:     hidden_remainder_y
      - .offset:         166
        .size:           2
        .value_kind:     hidden_remainder_z
      - .offset:         184
        .size:           8
        .value_kind:     hidden_global_offset_x
      - .offset:         192
        .size:           8
        .value_kind:     hidden_global_offset_y
      - .offset:         200
        .size:           8
        .value_kind:     hidden_global_offset_z
      - .offset:         208
        .size:           2
        .value_kind:     hidden_grid_dims
    .group_segment_fixed_size: 8192
    .kernarg_segment_align: 8
    .kernarg_segment_size: 400
    .language:       OpenCL C
    .language_version:
      - 2
      - 0
    .max_flat_workgroup_size: 256
    .name:           _Z39paged_attention_ll4mi_QKV_mfma16_kernelIDF16_hLN4vllm18Fp8KVCacheDataTypeE1EDF16_Li32ELi64ELi256ELb1ELi8EEvPKT_PKT0_S7_ifPKiS9_S9_iPKfiiiPfSC_PS2_PT2_iSB_SB_
    .private_segment_fixed_size: 0
    .sgpr_count:     54
    .sgpr_spill_count: 0
    .symbol:         _Z39paged_attention_ll4mi_QKV_mfma16_kernelIDF16_hLN4vllm18Fp8KVCacheDataTypeE1EDF16_Li32ELi64ELi256ELb1ELi8EEvPKT_PKT0_S7_ifPKiS9_S9_iPKfiiiPfSC_PS2_PT2_iSB_SB_.kd
    .uniform_work_group_size: 1
    .uses_dynamic_stack: false
    .vgpr_count:     73
    .vgpr_spill_count: 0
    .wavefront_size: 64
  - .agpr_count:     0
    .args:
      - .actual_access:  read_only
        .address_space:  global
        .offset:         0
        .size:           8
        .value_kind:     global_buffer
      - .actual_access:  read_only
        .address_space:  global
        .offset:         8
        .size:           8
        .value_kind:     global_buffer
      - .actual_access:  read_only
        .address_space:  global
        .offset:         16
        .size:           8
        .value_kind:     global_buffer
      - .offset:         24
        .size:           4
        .value_kind:     by_value
      - .offset:         28
        .size:           4
        .value_kind:     by_value
      - .actual_access:  read_only
        .address_space:  global
        .offset:         32
        .size:           8
        .value_kind:     global_buffer
      - .actual_access:  read_only
        .address_space:  global
        .offset:         40
        .size:           8
        .value_kind:     global_buffer
      - .actual_access:  read_only
        .address_space:  global
        .offset:         48
        .size:           8
        .value_kind:     global_buffer
      - .offset:         56
        .size:           4
        .value_kind:     by_value
      - .actual_access:  read_only
        .address_space:  global
        .offset:         64
        .size:           8
        .value_kind:     global_buffer
      - .offset:         72
        .size:           4
        .value_kind:     by_value
      - .offset:         76
        .size:           4
        .value_kind:     by_value
      - .offset:         80
        .size:           4
        .value_kind:     by_value
      - .actual_access:  write_only
        .address_space:  global
        .offset:         88
        .size:           8
        .value_kind:     global_buffer
      - .actual_access:  write_only
        .address_space:  global
        .offset:         96
        .size:           8
        .value_kind:     global_buffer
      - .actual_access:  write_only
        .address_space:  global
        .offset:         104
        .size:           8
        .value_kind:     global_buffer
      - .actual_access:  read_only
        .address_space:  global
        .offset:         112
        .size:           8
        .value_kind:     global_buffer
      - .offset:         120
        .size:           4
        .value_kind:     by_value
      - .address_space:  global
        .offset:         128
        .size:           8
        .value_kind:     global_buffer
      - .address_space:  global
        .offset:         136
        .size:           8
        .value_kind:     global_buffer
      - .offset:         144
        .size:           4
        .value_kind:     hidden_block_count_x
      - .offset:         148
        .size:           4
        .value_kind:     hidden_block_count_y
      - .offset:         152
        .size:           4
        .value_kind:     hidden_block_count_z
      - .offset:         156
        .size:           2
        .value_kind:     hidden_group_size_x
      - .offset:         158
        .size:           2
        .value_kind:     hidden_group_size_y
      - .offset:         160
        .size:           2
        .value_kind:     hidden_group_size_z
      - .offset:         162
        .size:           2
        .value_kind:     hidden_remainder_x
      - .offset:         164
        .size:           2
        .value_kind:     hidden_remainder_y
      - .offset:         166
        .size:           2
        .value_kind:     hidden_remainder_z
      - .offset:         184
        .size:           8
        .value_kind:     hidden_global_offset_x
      - .offset:         192
        .size:           8
        .value_kind:     hidden_global_offset_y
      - .offset:         200
        .size:           8
        .value_kind:     hidden_global_offset_z
      - .offset:         208
        .size:           2
        .value_kind:     hidden_grid_dims
    .group_segment_fixed_size: 8192
    .kernarg_segment_align: 8
    .kernarg_segment_size: 400
    .language:       OpenCL C
    .language_version:
      - 2
      - 0
    .max_flat_workgroup_size: 256
    .name:           _Z39paged_attention_ll4mi_QKV_mfma16_kernelIDF16_hLN4vllm18Fp8KVCacheDataTypeE1EDF16_Li32ELi64ELi256ELb1ELi9EEvPKT_PKT0_S7_ifPKiS9_S9_iPKfiiiPfSC_PS2_PT2_iSB_SB_
    .private_segment_fixed_size: 0
    .sgpr_count:     56
    .sgpr_spill_count: 0
    .symbol:         _Z39paged_attention_ll4mi_QKV_mfma16_kernelIDF16_hLN4vllm18Fp8KVCacheDataTypeE1EDF16_Li32ELi64ELi256ELb1ELi9EEvPKT_PKT0_S7_ifPKiS9_S9_iPKfiiiPfSC_PS2_PT2_iSB_SB_.kd
    .uniform_work_group_size: 1
    .uses_dynamic_stack: false
    .vgpr_count:     71
    .vgpr_spill_count: 0
    .wavefront_size: 64
  - .agpr_count:     0
    .args:
      - .actual_access:  read_only
        .address_space:  global
        .offset:         0
        .size:           8
        .value_kind:     global_buffer
      - .actual_access:  read_only
        .address_space:  global
        .offset:         8
        .size:           8
        .value_kind:     global_buffer
      - .actual_access:  read_only
        .address_space:  global
        .offset:         16
        .size:           8
        .value_kind:     global_buffer
      - .offset:         24
        .size:           4
        .value_kind:     by_value
      - .offset:         28
        .size:           4
        .value_kind:     by_value
      - .actual_access:  read_only
        .address_space:  global
        .offset:         32
        .size:           8
        .value_kind:     global_buffer
      - .actual_access:  read_only
        .address_space:  global
        .offset:         40
        .size:           8
        .value_kind:     global_buffer
      - .actual_access:  read_only
        .address_space:  global
        .offset:         48
        .size:           8
        .value_kind:     global_buffer
      - .offset:         56
        .size:           4
        .value_kind:     by_value
      - .actual_access:  read_only
        .address_space:  global
        .offset:         64
        .size:           8
        .value_kind:     global_buffer
      - .offset:         72
        .size:           4
        .value_kind:     by_value
      - .offset:         76
        .size:           4
        .value_kind:     by_value
      - .offset:         80
        .size:           4
        .value_kind:     by_value
      - .actual_access:  write_only
        .address_space:  global
        .offset:         88
        .size:           8
        .value_kind:     global_buffer
      - .actual_access:  write_only
        .address_space:  global
        .offset:         96
        .size:           8
        .value_kind:     global_buffer
      - .actual_access:  write_only
        .address_space:  global
        .offset:         104
        .size:           8
        .value_kind:     global_buffer
      - .actual_access:  read_only
        .address_space:  global
        .offset:         112
        .size:           8
        .value_kind:     global_buffer
      - .offset:         120
        .size:           4
        .value_kind:     by_value
      - .address_space:  global
        .offset:         128
        .size:           8
        .value_kind:     global_buffer
      - .address_space:  global
        .offset:         136
        .size:           8
        .value_kind:     global_buffer
      - .offset:         144
        .size:           4
        .value_kind:     hidden_block_count_x
      - .offset:         148
        .size:           4
        .value_kind:     hidden_block_count_y
      - .offset:         152
        .size:           4
        .value_kind:     hidden_block_count_z
      - .offset:         156
        .size:           2
        .value_kind:     hidden_group_size_x
      - .offset:         158
        .size:           2
        .value_kind:     hidden_group_size_y
      - .offset:         160
        .size:           2
        .value_kind:     hidden_group_size_z
      - .offset:         162
        .size:           2
        .value_kind:     hidden_remainder_x
      - .offset:         164
        .size:           2
        .value_kind:     hidden_remainder_y
      - .offset:         166
        .size:           2
        .value_kind:     hidden_remainder_z
      - .offset:         184
        .size:           8
        .value_kind:     hidden_global_offset_x
      - .offset:         192
        .size:           8
        .value_kind:     hidden_global_offset_y
      - .offset:         200
        .size:           8
        .value_kind:     hidden_global_offset_z
      - .offset:         208
        .size:           2
        .value_kind:     hidden_grid_dims
    .group_segment_fixed_size: 8192
    .kernarg_segment_align: 8
    .kernarg_segment_size: 400
    .language:       OpenCL C
    .language_version:
      - 2
      - 0
    .max_flat_workgroup_size: 256
    .name:           _Z39paged_attention_ll4mi_QKV_mfma16_kernelIDF16_hLN4vllm18Fp8KVCacheDataTypeE1EDF16_Li32ELi64ELi256ELb1ELi10EEvPKT_PKT0_S7_ifPKiS9_S9_iPKfiiiPfSC_PS2_PT2_iSB_SB_
    .private_segment_fixed_size: 0
    .sgpr_count:     56
    .sgpr_spill_count: 0
    .symbol:         _Z39paged_attention_ll4mi_QKV_mfma16_kernelIDF16_hLN4vllm18Fp8KVCacheDataTypeE1EDF16_Li32ELi64ELi256ELb1ELi10EEvPKT_PKT0_S7_ifPKiS9_S9_iPKfiiiPfSC_PS2_PT2_iSB_SB_.kd
    .uniform_work_group_size: 1
    .uses_dynamic_stack: false
    .vgpr_count:     71
    .vgpr_spill_count: 0
    .wavefront_size: 64
  - .agpr_count:     0
    .args:
      - .actual_access:  read_only
        .address_space:  global
        .offset:         0
        .size:           8
        .value_kind:     global_buffer
      - .actual_access:  read_only
        .address_space:  global
        .offset:         8
        .size:           8
        .value_kind:     global_buffer
      - .actual_access:  read_only
        .address_space:  global
        .offset:         16
        .size:           8
        .value_kind:     global_buffer
      - .offset:         24
        .size:           4
        .value_kind:     by_value
      - .offset:         28
        .size:           4
        .value_kind:     by_value
      - .actual_access:  read_only
        .address_space:  global
        .offset:         32
        .size:           8
        .value_kind:     global_buffer
      - .actual_access:  read_only
        .address_space:  global
        .offset:         40
        .size:           8
        .value_kind:     global_buffer
      - .actual_access:  read_only
        .address_space:  global
        .offset:         48
        .size:           8
        .value_kind:     global_buffer
      - .offset:         56
        .size:           4
        .value_kind:     by_value
      - .actual_access:  read_only
        .address_space:  global
        .offset:         64
        .size:           8
        .value_kind:     global_buffer
      - .offset:         72
        .size:           4
        .value_kind:     by_value
      - .offset:         76
        .size:           4
        .value_kind:     by_value
      - .offset:         80
        .size:           4
        .value_kind:     by_value
      - .actual_access:  write_only
        .address_space:  global
        .offset:         88
        .size:           8
        .value_kind:     global_buffer
      - .actual_access:  write_only
        .address_space:  global
        .offset:         96
        .size:           8
        .value_kind:     global_buffer
      - .actual_access:  write_only
        .address_space:  global
        .offset:         104
        .size:           8
        .value_kind:     global_buffer
      - .actual_access:  read_only
        .address_space:  global
        .offset:         112
        .size:           8
        .value_kind:     global_buffer
      - .offset:         120
        .size:           4
        .value_kind:     by_value
      - .address_space:  global
        .offset:         128
        .size:           8
        .value_kind:     global_buffer
      - .address_space:  global
        .offset:         136
        .size:           8
        .value_kind:     global_buffer
      - .offset:         144
        .size:           4
        .value_kind:     hidden_block_count_x
      - .offset:         148
        .size:           4
        .value_kind:     hidden_block_count_y
      - .offset:         152
        .size:           4
        .value_kind:     hidden_block_count_z
      - .offset:         156
        .size:           2
        .value_kind:     hidden_group_size_x
      - .offset:         158
        .size:           2
        .value_kind:     hidden_group_size_y
      - .offset:         160
        .size:           2
        .value_kind:     hidden_group_size_z
      - .offset:         162
        .size:           2
        .value_kind:     hidden_remainder_x
      - .offset:         164
        .size:           2
        .value_kind:     hidden_remainder_y
      - .offset:         166
        .size:           2
        .value_kind:     hidden_remainder_z
      - .offset:         184
        .size:           8
        .value_kind:     hidden_global_offset_x
      - .offset:         192
        .size:           8
        .value_kind:     hidden_global_offset_y
      - .offset:         200
        .size:           8
        .value_kind:     hidden_global_offset_z
      - .offset:         208
        .size:           2
        .value_kind:     hidden_grid_dims
    .group_segment_fixed_size: 8192
    .kernarg_segment_align: 8
    .kernarg_segment_size: 400
    .language:       OpenCL C
    .language_version:
      - 2
      - 0
    .max_flat_workgroup_size: 256
    .name:           _Z39paged_attention_ll4mi_QKV_mfma16_kernelIDF16_hLN4vllm18Fp8KVCacheDataTypeE1EDF16_Li32ELi64ELi256ELb1ELi11EEvPKT_PKT0_S7_ifPKiS9_S9_iPKfiiiPfSC_PS2_PT2_iSB_SB_
    .private_segment_fixed_size: 0
    .sgpr_count:     56
    .sgpr_spill_count: 0
    .symbol:         _Z39paged_attention_ll4mi_QKV_mfma16_kernelIDF16_hLN4vllm18Fp8KVCacheDataTypeE1EDF16_Li32ELi64ELi256ELb1ELi11EEvPKT_PKT0_S7_ifPKiS9_S9_iPKfiiiPfSC_PS2_PT2_iSB_SB_.kd
    .uniform_work_group_size: 1
    .uses_dynamic_stack: false
    .vgpr_count:     71
    .vgpr_spill_count: 0
    .wavefront_size: 64
  - .agpr_count:     0
    .args:
      - .actual_access:  read_only
        .address_space:  global
        .offset:         0
        .size:           8
        .value_kind:     global_buffer
      - .actual_access:  read_only
        .address_space:  global
        .offset:         8
        .size:           8
        .value_kind:     global_buffer
      - .actual_access:  read_only
        .address_space:  global
        .offset:         16
        .size:           8
        .value_kind:     global_buffer
      - .offset:         24
        .size:           4
        .value_kind:     by_value
      - .offset:         28
        .size:           4
        .value_kind:     by_value
      - .actual_access:  read_only
        .address_space:  global
        .offset:         32
        .size:           8
        .value_kind:     global_buffer
      - .actual_access:  read_only
        .address_space:  global
        .offset:         40
        .size:           8
        .value_kind:     global_buffer
      - .actual_access:  read_only
        .address_space:  global
        .offset:         48
        .size:           8
        .value_kind:     global_buffer
      - .offset:         56
        .size:           4
        .value_kind:     by_value
      - .actual_access:  read_only
        .address_space:  global
        .offset:         64
        .size:           8
        .value_kind:     global_buffer
      - .offset:         72
        .size:           4
        .value_kind:     by_value
      - .offset:         76
        .size:           4
        .value_kind:     by_value
      - .offset:         80
        .size:           4
        .value_kind:     by_value
      - .actual_access:  write_only
        .address_space:  global
        .offset:         88
        .size:           8
        .value_kind:     global_buffer
      - .actual_access:  write_only
        .address_space:  global
        .offset:         96
        .size:           8
        .value_kind:     global_buffer
      - .actual_access:  write_only
        .address_space:  global
        .offset:         104
        .size:           8
        .value_kind:     global_buffer
      - .actual_access:  read_only
        .address_space:  global
        .offset:         112
        .size:           8
        .value_kind:     global_buffer
      - .offset:         120
        .size:           4
        .value_kind:     by_value
      - .address_space:  global
        .offset:         128
        .size:           8
        .value_kind:     global_buffer
      - .address_space:  global
        .offset:         136
        .size:           8
        .value_kind:     global_buffer
      - .offset:         144
        .size:           4
        .value_kind:     hidden_block_count_x
      - .offset:         148
        .size:           4
        .value_kind:     hidden_block_count_y
      - .offset:         152
        .size:           4
        .value_kind:     hidden_block_count_z
      - .offset:         156
        .size:           2
        .value_kind:     hidden_group_size_x
      - .offset:         158
        .size:           2
        .value_kind:     hidden_group_size_y
      - .offset:         160
        .size:           2
        .value_kind:     hidden_group_size_z
      - .offset:         162
        .size:           2
        .value_kind:     hidden_remainder_x
      - .offset:         164
        .size:           2
        .value_kind:     hidden_remainder_y
      - .offset:         166
        .size:           2
        .value_kind:     hidden_remainder_z
      - .offset:         184
        .size:           8
        .value_kind:     hidden_global_offset_x
      - .offset:         192
        .size:           8
        .value_kind:     hidden_global_offset_y
      - .offset:         200
        .size:           8
        .value_kind:     hidden_global_offset_z
      - .offset:         208
        .size:           2
        .value_kind:     hidden_grid_dims
    .group_segment_fixed_size: 8192
    .kernarg_segment_align: 8
    .kernarg_segment_size: 400
    .language:       OpenCL C
    .language_version:
      - 2
      - 0
    .max_flat_workgroup_size: 256
    .name:           _Z39paged_attention_ll4mi_QKV_mfma16_kernelIDF16_hLN4vllm18Fp8KVCacheDataTypeE1EDF16_Li32ELi64ELi256ELb1ELi12EEvPKT_PKT0_S7_ifPKiS9_S9_iPKfiiiPfSC_PS2_PT2_iSB_SB_
    .private_segment_fixed_size: 0
    .sgpr_count:     56
    .sgpr_spill_count: 0
    .symbol:         _Z39paged_attention_ll4mi_QKV_mfma16_kernelIDF16_hLN4vllm18Fp8KVCacheDataTypeE1EDF16_Li32ELi64ELi256ELb1ELi12EEvPKT_PKT0_S7_ifPKiS9_S9_iPKfiiiPfSC_PS2_PT2_iSB_SB_.kd
    .uniform_work_group_size: 1
    .uses_dynamic_stack: false
    .vgpr_count:     71
    .vgpr_spill_count: 0
    .wavefront_size: 64
  - .agpr_count:     0
    .args:
      - .actual_access:  read_only
        .address_space:  global
        .offset:         0
        .size:           8
        .value_kind:     global_buffer
      - .actual_access:  read_only
        .address_space:  global
        .offset:         8
        .size:           8
        .value_kind:     global_buffer
      - .actual_access:  read_only
        .address_space:  global
        .offset:         16
        .size:           8
        .value_kind:     global_buffer
      - .offset:         24
        .size:           4
        .value_kind:     by_value
      - .offset:         28
        .size:           4
        .value_kind:     by_value
      - .actual_access:  read_only
        .address_space:  global
        .offset:         32
        .size:           8
        .value_kind:     global_buffer
      - .actual_access:  read_only
        .address_space:  global
        .offset:         40
        .size:           8
        .value_kind:     global_buffer
      - .actual_access:  read_only
        .address_space:  global
        .offset:         48
        .size:           8
        .value_kind:     global_buffer
      - .offset:         56
        .size:           4
        .value_kind:     by_value
      - .actual_access:  read_only
        .address_space:  global
        .offset:         64
        .size:           8
        .value_kind:     global_buffer
      - .offset:         72
        .size:           4
        .value_kind:     by_value
      - .offset:         76
        .size:           4
        .value_kind:     by_value
      - .offset:         80
        .size:           4
        .value_kind:     by_value
      - .actual_access:  write_only
        .address_space:  global
        .offset:         88
        .size:           8
        .value_kind:     global_buffer
      - .actual_access:  write_only
        .address_space:  global
        .offset:         96
        .size:           8
        .value_kind:     global_buffer
      - .actual_access:  write_only
        .address_space:  global
        .offset:         104
        .size:           8
        .value_kind:     global_buffer
      - .actual_access:  read_only
        .address_space:  global
        .offset:         112
        .size:           8
        .value_kind:     global_buffer
      - .offset:         120
        .size:           4
        .value_kind:     by_value
      - .address_space:  global
        .offset:         128
        .size:           8
        .value_kind:     global_buffer
      - .address_space:  global
        .offset:         136
        .size:           8
        .value_kind:     global_buffer
      - .offset:         144
        .size:           4
        .value_kind:     hidden_block_count_x
      - .offset:         148
        .size:           4
        .value_kind:     hidden_block_count_y
      - .offset:         152
        .size:           4
        .value_kind:     hidden_block_count_z
      - .offset:         156
        .size:           2
        .value_kind:     hidden_group_size_x
      - .offset:         158
        .size:           2
        .value_kind:     hidden_group_size_y
      - .offset:         160
        .size:           2
        .value_kind:     hidden_group_size_z
      - .offset:         162
        .size:           2
        .value_kind:     hidden_remainder_x
      - .offset:         164
        .size:           2
        .value_kind:     hidden_remainder_y
      - .offset:         166
        .size:           2
        .value_kind:     hidden_remainder_z
      - .offset:         184
        .size:           8
        .value_kind:     hidden_global_offset_x
      - .offset:         192
        .size:           8
        .value_kind:     hidden_global_offset_y
      - .offset:         200
        .size:           8
        .value_kind:     hidden_global_offset_z
      - .offset:         208
        .size:           2
        .value_kind:     hidden_grid_dims
    .group_segment_fixed_size: 8192
    .kernarg_segment_align: 8
    .kernarg_segment_size: 400
    .language:       OpenCL C
    .language_version:
      - 2
      - 0
    .max_flat_workgroup_size: 256
    .name:           _Z39paged_attention_ll4mi_QKV_mfma16_kernelIDF16_hLN4vllm18Fp8KVCacheDataTypeE1EDF16_Li32ELi64ELi256ELb1ELi13EEvPKT_PKT0_S7_ifPKiS9_S9_iPKfiiiPfSC_PS2_PT2_iSB_SB_
    .private_segment_fixed_size: 0
    .sgpr_count:     56
    .sgpr_spill_count: 0
    .symbol:         _Z39paged_attention_ll4mi_QKV_mfma16_kernelIDF16_hLN4vllm18Fp8KVCacheDataTypeE1EDF16_Li32ELi64ELi256ELb1ELi13EEvPKT_PKT0_S7_ifPKiS9_S9_iPKfiiiPfSC_PS2_PT2_iSB_SB_.kd
    .uniform_work_group_size: 1
    .uses_dynamic_stack: false
    .vgpr_count:     71
    .vgpr_spill_count: 0
    .wavefront_size: 64
  - .agpr_count:     0
    .args:
      - .actual_access:  read_only
        .address_space:  global
        .offset:         0
        .size:           8
        .value_kind:     global_buffer
      - .actual_access:  read_only
        .address_space:  global
        .offset:         8
        .size:           8
        .value_kind:     global_buffer
      - .actual_access:  read_only
        .address_space:  global
        .offset:         16
        .size:           8
        .value_kind:     global_buffer
      - .offset:         24
        .size:           4
        .value_kind:     by_value
      - .offset:         28
        .size:           4
        .value_kind:     by_value
      - .actual_access:  read_only
        .address_space:  global
        .offset:         32
        .size:           8
        .value_kind:     global_buffer
      - .actual_access:  read_only
        .address_space:  global
        .offset:         40
        .size:           8
        .value_kind:     global_buffer
      - .actual_access:  read_only
        .address_space:  global
        .offset:         48
        .size:           8
        .value_kind:     global_buffer
      - .offset:         56
        .size:           4
        .value_kind:     by_value
      - .actual_access:  read_only
        .address_space:  global
        .offset:         64
        .size:           8
        .value_kind:     global_buffer
      - .offset:         72
        .size:           4
        .value_kind:     by_value
      - .offset:         76
        .size:           4
        .value_kind:     by_value
      - .offset:         80
        .size:           4
        .value_kind:     by_value
      - .actual_access:  write_only
        .address_space:  global
        .offset:         88
        .size:           8
        .value_kind:     global_buffer
      - .actual_access:  write_only
        .address_space:  global
        .offset:         96
        .size:           8
        .value_kind:     global_buffer
      - .actual_access:  write_only
        .address_space:  global
        .offset:         104
        .size:           8
        .value_kind:     global_buffer
      - .actual_access:  read_only
        .address_space:  global
        .offset:         112
        .size:           8
        .value_kind:     global_buffer
      - .offset:         120
        .size:           4
        .value_kind:     by_value
      - .address_space:  global
        .offset:         128
        .size:           8
        .value_kind:     global_buffer
      - .address_space:  global
        .offset:         136
        .size:           8
        .value_kind:     global_buffer
      - .offset:         144
        .size:           4
        .value_kind:     hidden_block_count_x
      - .offset:         148
        .size:           4
        .value_kind:     hidden_block_count_y
      - .offset:         152
        .size:           4
        .value_kind:     hidden_block_count_z
      - .offset:         156
        .size:           2
        .value_kind:     hidden_group_size_x
      - .offset:         158
        .size:           2
        .value_kind:     hidden_group_size_y
      - .offset:         160
        .size:           2
        .value_kind:     hidden_group_size_z
      - .offset:         162
        .size:           2
        .value_kind:     hidden_remainder_x
      - .offset:         164
        .size:           2
        .value_kind:     hidden_remainder_y
      - .offset:         166
        .size:           2
        .value_kind:     hidden_remainder_z
      - .offset:         184
        .size:           8
        .value_kind:     hidden_global_offset_x
      - .offset:         192
        .size:           8
        .value_kind:     hidden_global_offset_y
      - .offset:         200
        .size:           8
        .value_kind:     hidden_global_offset_z
      - .offset:         208
        .size:           2
        .value_kind:     hidden_grid_dims
    .group_segment_fixed_size: 8192
    .kernarg_segment_align: 8
    .kernarg_segment_size: 400
    .language:       OpenCL C
    .language_version:
      - 2
      - 0
    .max_flat_workgroup_size: 256
    .name:           _Z39paged_attention_ll4mi_QKV_mfma16_kernelIDF16_hLN4vllm18Fp8KVCacheDataTypeE1EDF16_Li32ELi64ELi256ELb1ELi14EEvPKT_PKT0_S7_ifPKiS9_S9_iPKfiiiPfSC_PS2_PT2_iSB_SB_
    .private_segment_fixed_size: 0
    .sgpr_count:     56
    .sgpr_spill_count: 0
    .symbol:         _Z39paged_attention_ll4mi_QKV_mfma16_kernelIDF16_hLN4vllm18Fp8KVCacheDataTypeE1EDF16_Li32ELi64ELi256ELb1ELi14EEvPKT_PKT0_S7_ifPKiS9_S9_iPKfiiiPfSC_PS2_PT2_iSB_SB_.kd
    .uniform_work_group_size: 1
    .uses_dynamic_stack: false
    .vgpr_count:     71
    .vgpr_spill_count: 0
    .wavefront_size: 64
  - .agpr_count:     0
    .args:
      - .actual_access:  read_only
        .address_space:  global
        .offset:         0
        .size:           8
        .value_kind:     global_buffer
      - .actual_access:  read_only
        .address_space:  global
        .offset:         8
        .size:           8
        .value_kind:     global_buffer
      - .actual_access:  read_only
        .address_space:  global
        .offset:         16
        .size:           8
        .value_kind:     global_buffer
      - .offset:         24
        .size:           4
        .value_kind:     by_value
      - .offset:         28
        .size:           4
        .value_kind:     by_value
      - .actual_access:  read_only
        .address_space:  global
        .offset:         32
        .size:           8
        .value_kind:     global_buffer
      - .actual_access:  read_only
        .address_space:  global
        .offset:         40
        .size:           8
        .value_kind:     global_buffer
      - .actual_access:  read_only
        .address_space:  global
        .offset:         48
        .size:           8
        .value_kind:     global_buffer
      - .offset:         56
        .size:           4
        .value_kind:     by_value
      - .actual_access:  read_only
        .address_space:  global
        .offset:         64
        .size:           8
        .value_kind:     global_buffer
      - .offset:         72
        .size:           4
        .value_kind:     by_value
      - .offset:         76
        .size:           4
        .value_kind:     by_value
      - .offset:         80
        .size:           4
        .value_kind:     by_value
      - .actual_access:  write_only
        .address_space:  global
        .offset:         88
        .size:           8
        .value_kind:     global_buffer
      - .actual_access:  write_only
        .address_space:  global
        .offset:         96
        .size:           8
        .value_kind:     global_buffer
      - .actual_access:  write_only
        .address_space:  global
        .offset:         104
        .size:           8
        .value_kind:     global_buffer
      - .actual_access:  read_only
        .address_space:  global
        .offset:         112
        .size:           8
        .value_kind:     global_buffer
      - .offset:         120
        .size:           4
        .value_kind:     by_value
      - .address_space:  global
        .offset:         128
        .size:           8
        .value_kind:     global_buffer
      - .address_space:  global
        .offset:         136
        .size:           8
        .value_kind:     global_buffer
      - .offset:         144
        .size:           4
        .value_kind:     hidden_block_count_x
      - .offset:         148
        .size:           4
        .value_kind:     hidden_block_count_y
      - .offset:         152
        .size:           4
        .value_kind:     hidden_block_count_z
      - .offset:         156
        .size:           2
        .value_kind:     hidden_group_size_x
      - .offset:         158
        .size:           2
        .value_kind:     hidden_group_size_y
      - .offset:         160
        .size:           2
        .value_kind:     hidden_group_size_z
      - .offset:         162
        .size:           2
        .value_kind:     hidden_remainder_x
      - .offset:         164
        .size:           2
        .value_kind:     hidden_remainder_y
      - .offset:         166
        .size:           2
        .value_kind:     hidden_remainder_z
      - .offset:         184
        .size:           8
        .value_kind:     hidden_global_offset_x
      - .offset:         192
        .size:           8
        .value_kind:     hidden_global_offset_y
      - .offset:         200
        .size:           8
        .value_kind:     hidden_global_offset_z
      - .offset:         208
        .size:           2
        .value_kind:     hidden_grid_dims
    .group_segment_fixed_size: 8192
    .kernarg_segment_align: 8
    .kernarg_segment_size: 400
    .language:       OpenCL C
    .language_version:
      - 2
      - 0
    .max_flat_workgroup_size: 256
    .name:           _Z39paged_attention_ll4mi_QKV_mfma16_kernelIDF16_hLN4vllm18Fp8KVCacheDataTypeE1EDF16_Li32ELi64ELi256ELb1ELi15EEvPKT_PKT0_S7_ifPKiS9_S9_iPKfiiiPfSC_PS2_PT2_iSB_SB_
    .private_segment_fixed_size: 0
    .sgpr_count:     56
    .sgpr_spill_count: 0
    .symbol:         _Z39paged_attention_ll4mi_QKV_mfma16_kernelIDF16_hLN4vllm18Fp8KVCacheDataTypeE1EDF16_Li32ELi64ELi256ELb1ELi15EEvPKT_PKT0_S7_ifPKiS9_S9_iPKfiiiPfSC_PS2_PT2_iSB_SB_.kd
    .uniform_work_group_size: 1
    .uses_dynamic_stack: false
    .vgpr_count:     71
    .vgpr_spill_count: 0
    .wavefront_size: 64
  - .agpr_count:     0
    .args:
      - .actual_access:  read_only
        .address_space:  global
        .offset:         0
        .size:           8
        .value_kind:     global_buffer
      - .actual_access:  read_only
        .address_space:  global
        .offset:         8
        .size:           8
        .value_kind:     global_buffer
      - .actual_access:  read_only
        .address_space:  global
        .offset:         16
        .size:           8
        .value_kind:     global_buffer
      - .offset:         24
        .size:           4
        .value_kind:     by_value
      - .offset:         28
        .size:           4
        .value_kind:     by_value
      - .actual_access:  read_only
        .address_space:  global
        .offset:         32
        .size:           8
        .value_kind:     global_buffer
      - .actual_access:  read_only
        .address_space:  global
        .offset:         40
        .size:           8
        .value_kind:     global_buffer
      - .actual_access:  read_only
        .address_space:  global
        .offset:         48
        .size:           8
        .value_kind:     global_buffer
      - .offset:         56
        .size:           4
        .value_kind:     by_value
      - .actual_access:  read_only
        .address_space:  global
        .offset:         64
        .size:           8
        .value_kind:     global_buffer
      - .offset:         72
        .size:           4
        .value_kind:     by_value
      - .offset:         76
        .size:           4
        .value_kind:     by_value
      - .offset:         80
        .size:           4
        .value_kind:     by_value
      - .actual_access:  write_only
        .address_space:  global
        .offset:         88
        .size:           8
        .value_kind:     global_buffer
      - .actual_access:  write_only
        .address_space:  global
        .offset:         96
        .size:           8
        .value_kind:     global_buffer
      - .actual_access:  write_only
        .address_space:  global
        .offset:         104
        .size:           8
        .value_kind:     global_buffer
      - .actual_access:  read_only
        .address_space:  global
        .offset:         112
        .size:           8
        .value_kind:     global_buffer
      - .offset:         120
        .size:           4
        .value_kind:     by_value
      - .address_space:  global
        .offset:         128
        .size:           8
        .value_kind:     global_buffer
      - .address_space:  global
        .offset:         136
        .size:           8
        .value_kind:     global_buffer
      - .offset:         144
        .size:           4
        .value_kind:     hidden_block_count_x
      - .offset:         148
        .size:           4
        .value_kind:     hidden_block_count_y
      - .offset:         152
        .size:           4
        .value_kind:     hidden_block_count_z
      - .offset:         156
        .size:           2
        .value_kind:     hidden_group_size_x
      - .offset:         158
        .size:           2
        .value_kind:     hidden_group_size_y
      - .offset:         160
        .size:           2
        .value_kind:     hidden_group_size_z
      - .offset:         162
        .size:           2
        .value_kind:     hidden_remainder_x
      - .offset:         164
        .size:           2
        .value_kind:     hidden_remainder_y
      - .offset:         166
        .size:           2
        .value_kind:     hidden_remainder_z
      - .offset:         184
        .size:           8
        .value_kind:     hidden_global_offset_x
      - .offset:         192
        .size:           8
        .value_kind:     hidden_global_offset_y
      - .offset:         200
        .size:           8
        .value_kind:     hidden_global_offset_z
      - .offset:         208
        .size:           2
        .value_kind:     hidden_grid_dims
    .group_segment_fixed_size: 8192
    .kernarg_segment_align: 8
    .kernarg_segment_size: 400
    .language:       OpenCL C
    .language_version:
      - 2
      - 0
    .max_flat_workgroup_size: 256
    .name:           _Z39paged_attention_ll4mi_QKV_mfma16_kernelIDF16_hLN4vllm18Fp8KVCacheDataTypeE1EDF16_Li32ELi64ELi256ELb1ELi16EEvPKT_PKT0_S7_ifPKiS9_S9_iPKfiiiPfSC_PS2_PT2_iSB_SB_
    .private_segment_fixed_size: 0
    .sgpr_count:     55
    .sgpr_spill_count: 0
    .symbol:         _Z39paged_attention_ll4mi_QKV_mfma16_kernelIDF16_hLN4vllm18Fp8KVCacheDataTypeE1EDF16_Li32ELi64ELi256ELb1ELi16EEvPKT_PKT0_S7_ifPKiS9_S9_iPKfiiiPfSC_PS2_PT2_iSB_SB_.kd
    .uniform_work_group_size: 1
    .uses_dynamic_stack: false
    .vgpr_count:     56
    .vgpr_spill_count: 0
    .wavefront_size: 64
  - .agpr_count:     0
    .args:
      - .actual_access:  read_only
        .address_space:  global
        .offset:         0
        .size:           8
        .value_kind:     global_buffer
      - .actual_access:  read_only
        .address_space:  global
        .offset:         8
        .size:           8
        .value_kind:     global_buffer
      - .actual_access:  read_only
        .address_space:  global
        .offset:         16
        .size:           8
        .value_kind:     global_buffer
      - .offset:         24
        .size:           4
        .value_kind:     by_value
      - .offset:         28
        .size:           4
        .value_kind:     by_value
      - .actual_access:  read_only
        .address_space:  global
        .offset:         32
        .size:           8
        .value_kind:     global_buffer
      - .actual_access:  read_only
        .address_space:  global
        .offset:         40
        .size:           8
        .value_kind:     global_buffer
      - .actual_access:  read_only
        .address_space:  global
        .offset:         48
        .size:           8
        .value_kind:     global_buffer
      - .offset:         56
        .size:           4
        .value_kind:     by_value
      - .actual_access:  read_only
        .address_space:  global
        .offset:         64
        .size:           8
        .value_kind:     global_buffer
      - .offset:         72
        .size:           4
        .value_kind:     by_value
      - .offset:         76
        .size:           4
        .value_kind:     by_value
      - .offset:         80
        .size:           4
        .value_kind:     by_value
      - .actual_access:  write_only
        .address_space:  global
        .offset:         88
        .size:           8
        .value_kind:     global_buffer
      - .actual_access:  write_only
        .address_space:  global
        .offset:         96
        .size:           8
        .value_kind:     global_buffer
      - .actual_access:  write_only
        .address_space:  global
        .offset:         104
        .size:           8
        .value_kind:     global_buffer
      - .actual_access:  read_only
        .address_space:  global
        .offset:         112
        .size:           8
        .value_kind:     global_buffer
      - .offset:         120
        .size:           4
        .value_kind:     by_value
      - .address_space:  global
        .offset:         128
        .size:           8
        .value_kind:     global_buffer
      - .address_space:  global
        .offset:         136
        .size:           8
        .value_kind:     global_buffer
      - .offset:         144
        .size:           4
        .value_kind:     hidden_block_count_x
      - .offset:         148
        .size:           4
        .value_kind:     hidden_block_count_y
      - .offset:         152
        .size:           4
        .value_kind:     hidden_block_count_z
      - .offset:         156
        .size:           2
        .value_kind:     hidden_group_size_x
      - .offset:         158
        .size:           2
        .value_kind:     hidden_group_size_y
      - .offset:         160
        .size:           2
        .value_kind:     hidden_group_size_z
      - .offset:         162
        .size:           2
        .value_kind:     hidden_remainder_x
      - .offset:         164
        .size:           2
        .value_kind:     hidden_remainder_y
      - .offset:         166
        .size:           2
        .value_kind:     hidden_remainder_z
      - .offset:         184
        .size:           8
        .value_kind:     hidden_global_offset_x
      - .offset:         192
        .size:           8
        .value_kind:     hidden_global_offset_y
      - .offset:         200
        .size:           8
        .value_kind:     hidden_global_offset_z
      - .offset:         208
        .size:           2
        .value_kind:     hidden_grid_dims
    .group_segment_fixed_size: 8192
    .kernarg_segment_align: 8
    .kernarg_segment_size: 400
    .language:       OpenCL C
    .language_version:
      - 2
      - 0
    .max_flat_workgroup_size: 256
    .name:           _Z39paged_attention_ll4mi_QKV_mfma16_kernelIDF16_hLN4vllm18Fp8KVCacheDataTypeE1EDF16_Li32ELi64ELi256ELb1ELi1EEvPKT_PKT0_S7_ifPKiS9_S9_iPKfiiiPfSC_PS2_PT2_iSB_SB_
    .private_segment_fixed_size: 0
    .sgpr_count:     58
    .sgpr_spill_count: 0
    .symbol:         _Z39paged_attention_ll4mi_QKV_mfma16_kernelIDF16_hLN4vllm18Fp8KVCacheDataTypeE1EDF16_Li32ELi64ELi256ELb1ELi1EEvPKT_PKT0_S7_ifPKiS9_S9_iPKfiiiPfSC_PS2_PT2_iSB_SB_.kd
    .uniform_work_group_size: 1
    .uses_dynamic_stack: false
    .vgpr_count:     73
    .vgpr_spill_count: 0
    .wavefront_size: 64
  - .agpr_count:     0
    .args:
      - .actual_access:  read_only
        .address_space:  global
        .offset:         0
        .size:           8
        .value_kind:     global_buffer
      - .actual_access:  read_only
        .address_space:  global
        .offset:         8
        .size:           8
        .value_kind:     global_buffer
      - .actual_access:  read_only
        .address_space:  global
        .offset:         16
        .size:           8
        .value_kind:     global_buffer
      - .offset:         24
        .size:           4
        .value_kind:     by_value
      - .offset:         28
        .size:           4
        .value_kind:     by_value
      - .actual_access:  read_only
        .address_space:  global
        .offset:         32
        .size:           8
        .value_kind:     global_buffer
      - .actual_access:  read_only
        .address_space:  global
        .offset:         40
        .size:           8
        .value_kind:     global_buffer
      - .actual_access:  read_only
        .address_space:  global
        .offset:         48
        .size:           8
        .value_kind:     global_buffer
      - .offset:         56
        .size:           4
        .value_kind:     by_value
      - .actual_access:  read_only
        .address_space:  global
        .offset:         64
        .size:           8
        .value_kind:     global_buffer
      - .offset:         72
        .size:           4
        .value_kind:     by_value
      - .offset:         76
        .size:           4
        .value_kind:     by_value
      - .offset:         80
        .size:           4
        .value_kind:     by_value
      - .actual_access:  write_only
        .address_space:  global
        .offset:         88
        .size:           8
        .value_kind:     global_buffer
      - .actual_access:  write_only
        .address_space:  global
        .offset:         96
        .size:           8
        .value_kind:     global_buffer
      - .actual_access:  write_only
        .address_space:  global
        .offset:         104
        .size:           8
        .value_kind:     global_buffer
      - .actual_access:  read_only
        .address_space:  global
        .offset:         112
        .size:           8
        .value_kind:     global_buffer
      - .offset:         120
        .size:           4
        .value_kind:     by_value
      - .address_space:  global
        .offset:         128
        .size:           8
        .value_kind:     global_buffer
      - .address_space:  global
        .offset:         136
        .size:           8
        .value_kind:     global_buffer
      - .offset:         144
        .size:           4
        .value_kind:     hidden_block_count_x
      - .offset:         148
        .size:           4
        .value_kind:     hidden_block_count_y
      - .offset:         152
        .size:           4
        .value_kind:     hidden_block_count_z
      - .offset:         156
        .size:           2
        .value_kind:     hidden_group_size_x
      - .offset:         158
        .size:           2
        .value_kind:     hidden_group_size_y
      - .offset:         160
        .size:           2
        .value_kind:     hidden_group_size_z
      - .offset:         162
        .size:           2
        .value_kind:     hidden_remainder_x
      - .offset:         164
        .size:           2
        .value_kind:     hidden_remainder_y
      - .offset:         166
        .size:           2
        .value_kind:     hidden_remainder_z
      - .offset:         184
        .size:           8
        .value_kind:     hidden_global_offset_x
      - .offset:         192
        .size:           8
        .value_kind:     hidden_global_offset_y
      - .offset:         200
        .size:           8
        .value_kind:     hidden_global_offset_z
      - .offset:         208
        .size:           2
        .value_kind:     hidden_grid_dims
    .group_segment_fixed_size: 8192
    .kernarg_segment_align: 8
    .kernarg_segment_size: 400
    .language:       OpenCL C
    .language_version:
      - 2
      - 0
    .max_flat_workgroup_size: 256
    .name:           _Z39paged_attention_ll4mi_QKV_mfma16_kernelIDF16_hLN4vllm18Fp8KVCacheDataTypeE1EDF16_Li32ELi64ELi256ELb1ELi2EEvPKT_PKT0_S7_ifPKiS9_S9_iPKfiiiPfSC_PS2_PT2_iSB_SB_
    .private_segment_fixed_size: 0
    .sgpr_count:     54
    .sgpr_spill_count: 0
    .symbol:         _Z39paged_attention_ll4mi_QKV_mfma16_kernelIDF16_hLN4vllm18Fp8KVCacheDataTypeE1EDF16_Li32ELi64ELi256ELb1ELi2EEvPKT_PKT0_S7_ifPKiS9_S9_iPKfiiiPfSC_PS2_PT2_iSB_SB_.kd
    .uniform_work_group_size: 1
    .uses_dynamic_stack: false
    .vgpr_count:     73
    .vgpr_spill_count: 0
    .wavefront_size: 64
  - .agpr_count:     0
    .args:
      - .actual_access:  read_only
        .address_space:  global
        .offset:         0
        .size:           8
        .value_kind:     global_buffer
      - .actual_access:  read_only
        .address_space:  global
        .offset:         8
        .size:           8
        .value_kind:     global_buffer
      - .actual_access:  read_only
        .address_space:  global
        .offset:         16
        .size:           8
        .value_kind:     global_buffer
      - .offset:         24
        .size:           4
        .value_kind:     by_value
      - .offset:         28
        .size:           4
        .value_kind:     by_value
      - .actual_access:  read_only
        .address_space:  global
        .offset:         32
        .size:           8
        .value_kind:     global_buffer
      - .actual_access:  read_only
        .address_space:  global
        .offset:         40
        .size:           8
        .value_kind:     global_buffer
      - .actual_access:  read_only
        .address_space:  global
        .offset:         48
        .size:           8
        .value_kind:     global_buffer
      - .offset:         56
        .size:           4
        .value_kind:     by_value
      - .actual_access:  read_only
        .address_space:  global
        .offset:         64
        .size:           8
        .value_kind:     global_buffer
      - .offset:         72
        .size:           4
        .value_kind:     by_value
      - .offset:         76
        .size:           4
        .value_kind:     by_value
      - .offset:         80
        .size:           4
        .value_kind:     by_value
      - .actual_access:  write_only
        .address_space:  global
        .offset:         88
        .size:           8
        .value_kind:     global_buffer
      - .actual_access:  write_only
        .address_space:  global
        .offset:         96
        .size:           8
        .value_kind:     global_buffer
      - .actual_access:  write_only
        .address_space:  global
        .offset:         104
        .size:           8
        .value_kind:     global_buffer
      - .actual_access:  read_only
        .address_space:  global
        .offset:         112
        .size:           8
        .value_kind:     global_buffer
      - .offset:         120
        .size:           4
        .value_kind:     by_value
      - .address_space:  global
        .offset:         128
        .size:           8
        .value_kind:     global_buffer
      - .address_space:  global
        .offset:         136
        .size:           8
        .value_kind:     global_buffer
      - .offset:         144
        .size:           4
        .value_kind:     hidden_block_count_x
      - .offset:         148
        .size:           4
        .value_kind:     hidden_block_count_y
      - .offset:         152
        .size:           4
        .value_kind:     hidden_block_count_z
      - .offset:         156
        .size:           2
        .value_kind:     hidden_group_size_x
      - .offset:         158
        .size:           2
        .value_kind:     hidden_group_size_y
      - .offset:         160
        .size:           2
        .value_kind:     hidden_group_size_z
      - .offset:         162
        .size:           2
        .value_kind:     hidden_remainder_x
      - .offset:         164
        .size:           2
        .value_kind:     hidden_remainder_y
      - .offset:         166
        .size:           2
        .value_kind:     hidden_remainder_z
      - .offset:         184
        .size:           8
        .value_kind:     hidden_global_offset_x
      - .offset:         192
        .size:           8
        .value_kind:     hidden_global_offset_y
      - .offset:         200
        .size:           8
        .value_kind:     hidden_global_offset_z
      - .offset:         208
        .size:           2
        .value_kind:     hidden_grid_dims
    .group_segment_fixed_size: 8192
    .kernarg_segment_align: 8
    .kernarg_segment_size: 400
    .language:       OpenCL C
    .language_version:
      - 2
      - 0
    .max_flat_workgroup_size: 256
    .name:           _Z39paged_attention_ll4mi_QKV_mfma16_kernelIDF16_hLN4vllm18Fp8KVCacheDataTypeE1EDF16_Li32ELi64ELi256ELb1ELi3EEvPKT_PKT0_S7_ifPKiS9_S9_iPKfiiiPfSC_PS2_PT2_iSB_SB_
    .private_segment_fixed_size: 0
    .sgpr_count:     56
    .sgpr_spill_count: 0
    .symbol:         _Z39paged_attention_ll4mi_QKV_mfma16_kernelIDF16_hLN4vllm18Fp8KVCacheDataTypeE1EDF16_Li32ELi64ELi256ELb1ELi3EEvPKT_PKT0_S7_ifPKiS9_S9_iPKfiiiPfSC_PS2_PT2_iSB_SB_.kd
    .uniform_work_group_size: 1
    .uses_dynamic_stack: false
    .vgpr_count:     71
    .vgpr_spill_count: 0
    .wavefront_size: 64
  - .agpr_count:     0
    .args:
      - .actual_access:  read_only
        .address_space:  global
        .offset:         0
        .size:           8
        .value_kind:     global_buffer
      - .actual_access:  read_only
        .address_space:  global
        .offset:         8
        .size:           8
        .value_kind:     global_buffer
      - .actual_access:  read_only
        .address_space:  global
        .offset:         16
        .size:           8
        .value_kind:     global_buffer
      - .offset:         24
        .size:           4
        .value_kind:     by_value
      - .offset:         28
        .size:           4
        .value_kind:     by_value
      - .actual_access:  read_only
        .address_space:  global
        .offset:         32
        .size:           8
        .value_kind:     global_buffer
      - .actual_access:  read_only
        .address_space:  global
        .offset:         40
        .size:           8
        .value_kind:     global_buffer
      - .actual_access:  read_only
        .address_space:  global
        .offset:         48
        .size:           8
        .value_kind:     global_buffer
      - .offset:         56
        .size:           4
        .value_kind:     by_value
      - .actual_access:  read_only
        .address_space:  global
        .offset:         64
        .size:           8
        .value_kind:     global_buffer
      - .offset:         72
        .size:           4
        .value_kind:     by_value
      - .offset:         76
        .size:           4
        .value_kind:     by_value
      - .offset:         80
        .size:           4
        .value_kind:     by_value
      - .actual_access:  write_only
        .address_space:  global
        .offset:         88
        .size:           8
        .value_kind:     global_buffer
      - .actual_access:  write_only
        .address_space:  global
        .offset:         96
        .size:           8
        .value_kind:     global_buffer
      - .actual_access:  write_only
        .address_space:  global
        .offset:         104
        .size:           8
        .value_kind:     global_buffer
      - .actual_access:  read_only
        .address_space:  global
        .offset:         112
        .size:           8
        .value_kind:     global_buffer
      - .offset:         120
        .size:           4
        .value_kind:     by_value
      - .address_space:  global
        .offset:         128
        .size:           8
        .value_kind:     global_buffer
      - .address_space:  global
        .offset:         136
        .size:           8
        .value_kind:     global_buffer
      - .offset:         144
        .size:           4
        .value_kind:     hidden_block_count_x
      - .offset:         148
        .size:           4
        .value_kind:     hidden_block_count_y
      - .offset:         152
        .size:           4
        .value_kind:     hidden_block_count_z
      - .offset:         156
        .size:           2
        .value_kind:     hidden_group_size_x
      - .offset:         158
        .size:           2
        .value_kind:     hidden_group_size_y
      - .offset:         160
        .size:           2
        .value_kind:     hidden_group_size_z
      - .offset:         162
        .size:           2
        .value_kind:     hidden_remainder_x
      - .offset:         164
        .size:           2
        .value_kind:     hidden_remainder_y
      - .offset:         166
        .size:           2
        .value_kind:     hidden_remainder_z
      - .offset:         184
        .size:           8
        .value_kind:     hidden_global_offset_x
      - .offset:         192
        .size:           8
        .value_kind:     hidden_global_offset_y
      - .offset:         200
        .size:           8
        .value_kind:     hidden_global_offset_z
      - .offset:         208
        .size:           2
        .value_kind:     hidden_grid_dims
    .group_segment_fixed_size: 8192
    .kernarg_segment_align: 8
    .kernarg_segment_size: 400
    .language:       OpenCL C
    .language_version:
      - 2
      - 0
    .max_flat_workgroup_size: 256
    .name:           _Z39paged_attention_ll4mi_QKV_mfma16_kernelIDF16_hLN4vllm18Fp8KVCacheDataTypeE1EDF16_Li32ELi64ELi256ELb1ELi4EEvPKT_PKT0_S7_ifPKiS9_S9_iPKfiiiPfSC_PS2_PT2_iSB_SB_
    .private_segment_fixed_size: 0
    .sgpr_count:     56
    .sgpr_spill_count: 0
    .symbol:         _Z39paged_attention_ll4mi_QKV_mfma16_kernelIDF16_hLN4vllm18Fp8KVCacheDataTypeE1EDF16_Li32ELi64ELi256ELb1ELi4EEvPKT_PKT0_S7_ifPKiS9_S9_iPKfiiiPfSC_PS2_PT2_iSB_SB_.kd
    .uniform_work_group_size: 1
    .uses_dynamic_stack: false
    .vgpr_count:     75
    .vgpr_spill_count: 0
    .wavefront_size: 64
  - .agpr_count:     4
    .args:
      - .actual_access:  read_only
        .address_space:  global
        .offset:         0
        .size:           8
        .value_kind:     global_buffer
      - .actual_access:  read_only
        .address_space:  global
        .offset:         8
        .size:           8
        .value_kind:     global_buffer
      - .actual_access:  read_only
        .address_space:  global
        .offset:         16
        .size:           8
        .value_kind:     global_buffer
      - .offset:         24
        .size:           4
        .value_kind:     by_value
      - .offset:         28
        .size:           4
        .value_kind:     by_value
      - .actual_access:  read_only
        .address_space:  global
        .offset:         32
        .size:           8
        .value_kind:     global_buffer
      - .actual_access:  read_only
        .address_space:  global
        .offset:         40
        .size:           8
        .value_kind:     global_buffer
      - .actual_access:  read_only
        .address_space:  global
        .offset:         48
        .size:           8
        .value_kind:     global_buffer
      - .offset:         56
        .size:           4
        .value_kind:     by_value
      - .actual_access:  read_only
        .address_space:  global
        .offset:         64
        .size:           8
        .value_kind:     global_buffer
      - .offset:         72
        .size:           4
        .value_kind:     by_value
      - .offset:         76
        .size:           4
        .value_kind:     by_value
      - .offset:         80
        .size:           4
        .value_kind:     by_value
      - .actual_access:  write_only
        .address_space:  global
        .offset:         88
        .size:           8
        .value_kind:     global_buffer
      - .actual_access:  write_only
        .address_space:  global
        .offset:         96
        .size:           8
        .value_kind:     global_buffer
      - .actual_access:  write_only
        .address_space:  global
        .offset:         104
        .size:           8
        .value_kind:     global_buffer
      - .actual_access:  read_only
        .address_space:  global
        .offset:         112
        .size:           8
        .value_kind:     global_buffer
      - .offset:         120
        .size:           4
        .value_kind:     by_value
      - .address_space:  global
        .offset:         128
        .size:           8
        .value_kind:     global_buffer
      - .address_space:  global
        .offset:         136
        .size:           8
        .value_kind:     global_buffer
      - .offset:         144
        .size:           4
        .value_kind:     hidden_block_count_x
      - .offset:         148
        .size:           4
        .value_kind:     hidden_block_count_y
      - .offset:         152
        .size:           4
        .value_kind:     hidden_block_count_z
      - .offset:         156
        .size:           2
        .value_kind:     hidden_group_size_x
      - .offset:         158
        .size:           2
        .value_kind:     hidden_group_size_y
      - .offset:         160
        .size:           2
        .value_kind:     hidden_group_size_z
      - .offset:         162
        .size:           2
        .value_kind:     hidden_remainder_x
      - .offset:         164
        .size:           2
        .value_kind:     hidden_remainder_y
      - .offset:         166
        .size:           2
        .value_kind:     hidden_remainder_z
      - .offset:         184
        .size:           8
        .value_kind:     hidden_global_offset_x
      - .offset:         192
        .size:           8
        .value_kind:     hidden_global_offset_y
      - .offset:         200
        .size:           8
        .value_kind:     hidden_global_offset_z
      - .offset:         208
        .size:           2
        .value_kind:     hidden_grid_dims
    .group_segment_fixed_size: 2720
    .kernarg_segment_align: 8
    .kernarg_segment_size: 400
    .language:       OpenCL C
    .language_version:
      - 2
      - 0
    .max_flat_workgroup_size: 256
    .name:           _Z38paged_attention_ll4mi_QKV_mfma4_kernelIDF16_hLN4vllm18Fp8KVCacheDataTypeE1EDF16_Li32ELi64ELi256ELb0ELi1EEvPKT_PKT0_S7_ifPKiS9_S9_iPKfiiiPfSC_PS2_PT2_iSB_SB_
    .private_segment_fixed_size: 0
    .sgpr_count:     48
    .sgpr_spill_count: 0
    .symbol:         _Z38paged_attention_ll4mi_QKV_mfma4_kernelIDF16_hLN4vllm18Fp8KVCacheDataTypeE1EDF16_Li32ELi64ELi256ELb0ELi1EEvPKT_PKT0_S7_ifPKiS9_S9_iPKfiiiPfSC_PS2_PT2_iSB_SB_.kd
    .uniform_work_group_size: 1
    .uses_dynamic_stack: false
    .vgpr_count:     92
    .vgpr_spill_count: 0
    .wavefront_size: 64
  - .agpr_count:     4
    .args:
      - .actual_access:  read_only
        .address_space:  global
        .offset:         0
        .size:           8
        .value_kind:     global_buffer
      - .actual_access:  read_only
        .address_space:  global
        .offset:         8
        .size:           8
        .value_kind:     global_buffer
      - .actual_access:  read_only
        .address_space:  global
        .offset:         16
        .size:           8
        .value_kind:     global_buffer
      - .offset:         24
        .size:           4
        .value_kind:     by_value
      - .offset:         28
        .size:           4
        .value_kind:     by_value
      - .actual_access:  read_only
        .address_space:  global
        .offset:         32
        .size:           8
        .value_kind:     global_buffer
      - .actual_access:  read_only
        .address_space:  global
        .offset:         40
        .size:           8
        .value_kind:     global_buffer
      - .actual_access:  read_only
        .address_space:  global
        .offset:         48
        .size:           8
        .value_kind:     global_buffer
      - .offset:         56
        .size:           4
        .value_kind:     by_value
      - .actual_access:  read_only
        .address_space:  global
        .offset:         64
        .size:           8
        .value_kind:     global_buffer
      - .offset:         72
        .size:           4
        .value_kind:     by_value
      - .offset:         76
        .size:           4
        .value_kind:     by_value
      - .offset:         80
        .size:           4
        .value_kind:     by_value
      - .actual_access:  write_only
        .address_space:  global
        .offset:         88
        .size:           8
        .value_kind:     global_buffer
      - .actual_access:  write_only
        .address_space:  global
        .offset:         96
        .size:           8
        .value_kind:     global_buffer
      - .actual_access:  write_only
        .address_space:  global
        .offset:         104
        .size:           8
        .value_kind:     global_buffer
      - .actual_access:  read_only
        .address_space:  global
        .offset:         112
        .size:           8
        .value_kind:     global_buffer
      - .offset:         120
        .size:           4
        .value_kind:     by_value
      - .address_space:  global
        .offset:         128
        .size:           8
        .value_kind:     global_buffer
      - .address_space:  global
        .offset:         136
        .size:           8
        .value_kind:     global_buffer
      - .offset:         144
        .size:           4
        .value_kind:     hidden_block_count_x
      - .offset:         148
        .size:           4
        .value_kind:     hidden_block_count_y
      - .offset:         152
        .size:           4
        .value_kind:     hidden_block_count_z
      - .offset:         156
        .size:           2
        .value_kind:     hidden_group_size_x
      - .offset:         158
        .size:           2
        .value_kind:     hidden_group_size_y
      - .offset:         160
        .size:           2
        .value_kind:     hidden_group_size_z
      - .offset:         162
        .size:           2
        .value_kind:     hidden_remainder_x
      - .offset:         164
        .size:           2
        .value_kind:     hidden_remainder_y
      - .offset:         166
        .size:           2
        .value_kind:     hidden_remainder_z
      - .offset:         184
        .size:           8
        .value_kind:     hidden_global_offset_x
      - .offset:         192
        .size:           8
        .value_kind:     hidden_global_offset_y
      - .offset:         200
        .size:           8
        .value_kind:     hidden_global_offset_z
      - .offset:         208
        .size:           2
        .value_kind:     hidden_grid_dims
    .group_segment_fixed_size: 2720
    .kernarg_segment_align: 8
    .kernarg_segment_size: 400
    .language:       OpenCL C
    .language_version:
      - 2
      - 0
    .max_flat_workgroup_size: 256
    .name:           _Z38paged_attention_ll4mi_QKV_mfma4_kernelIDF16_hLN4vllm18Fp8KVCacheDataTypeE1EDF16_Li32ELi64ELi256ELb0ELi2EEvPKT_PKT0_S7_ifPKiS9_S9_iPKfiiiPfSC_PS2_PT2_iSB_SB_
    .private_segment_fixed_size: 0
    .sgpr_count:     48
    .sgpr_spill_count: 0
    .symbol:         _Z38paged_attention_ll4mi_QKV_mfma4_kernelIDF16_hLN4vllm18Fp8KVCacheDataTypeE1EDF16_Li32ELi64ELi256ELb0ELi2EEvPKT_PKT0_S7_ifPKiS9_S9_iPKfiiiPfSC_PS2_PT2_iSB_SB_.kd
    .uniform_work_group_size: 1
    .uses_dynamic_stack: false
    .vgpr_count:     92
    .vgpr_spill_count: 0
    .wavefront_size: 64
  - .agpr_count:     4
    .args:
      - .actual_access:  read_only
        .address_space:  global
        .offset:         0
        .size:           8
        .value_kind:     global_buffer
      - .actual_access:  read_only
        .address_space:  global
        .offset:         8
        .size:           8
        .value_kind:     global_buffer
      - .actual_access:  read_only
        .address_space:  global
        .offset:         16
        .size:           8
        .value_kind:     global_buffer
      - .offset:         24
        .size:           4
        .value_kind:     by_value
      - .offset:         28
        .size:           4
        .value_kind:     by_value
      - .actual_access:  read_only
        .address_space:  global
        .offset:         32
        .size:           8
        .value_kind:     global_buffer
      - .actual_access:  read_only
        .address_space:  global
        .offset:         40
        .size:           8
        .value_kind:     global_buffer
      - .actual_access:  read_only
        .address_space:  global
        .offset:         48
        .size:           8
        .value_kind:     global_buffer
      - .offset:         56
        .size:           4
        .value_kind:     by_value
      - .actual_access:  read_only
        .address_space:  global
        .offset:         64
        .size:           8
        .value_kind:     global_buffer
      - .offset:         72
        .size:           4
        .value_kind:     by_value
      - .offset:         76
        .size:           4
        .value_kind:     by_value
      - .offset:         80
        .size:           4
        .value_kind:     by_value
      - .actual_access:  write_only
        .address_space:  global
        .offset:         88
        .size:           8
        .value_kind:     global_buffer
      - .actual_access:  write_only
        .address_space:  global
        .offset:         96
        .size:           8
        .value_kind:     global_buffer
      - .actual_access:  write_only
        .address_space:  global
        .offset:         104
        .size:           8
        .value_kind:     global_buffer
      - .actual_access:  read_only
        .address_space:  global
        .offset:         112
        .size:           8
        .value_kind:     global_buffer
      - .offset:         120
        .size:           4
        .value_kind:     by_value
      - .address_space:  global
        .offset:         128
        .size:           8
        .value_kind:     global_buffer
      - .address_space:  global
        .offset:         136
        .size:           8
        .value_kind:     global_buffer
      - .offset:         144
        .size:           4
        .value_kind:     hidden_block_count_x
      - .offset:         148
        .size:           4
        .value_kind:     hidden_block_count_y
      - .offset:         152
        .size:           4
        .value_kind:     hidden_block_count_z
      - .offset:         156
        .size:           2
        .value_kind:     hidden_group_size_x
      - .offset:         158
        .size:           2
        .value_kind:     hidden_group_size_y
      - .offset:         160
        .size:           2
        .value_kind:     hidden_group_size_z
      - .offset:         162
        .size:           2
        .value_kind:     hidden_remainder_x
      - .offset:         164
        .size:           2
        .value_kind:     hidden_remainder_y
      - .offset:         166
        .size:           2
        .value_kind:     hidden_remainder_z
      - .offset:         184
        .size:           8
        .value_kind:     hidden_global_offset_x
      - .offset:         192
        .size:           8
        .value_kind:     hidden_global_offset_y
      - .offset:         200
        .size:           8
        .value_kind:     hidden_global_offset_z
      - .offset:         208
        .size:           2
        .value_kind:     hidden_grid_dims
    .group_segment_fixed_size: 2720
    .kernarg_segment_align: 8
    .kernarg_segment_size: 400
    .language:       OpenCL C
    .language_version:
      - 2
      - 0
    .max_flat_workgroup_size: 256
    .name:           _Z38paged_attention_ll4mi_QKV_mfma4_kernelIDF16_hLN4vllm18Fp8KVCacheDataTypeE1EDF16_Li32ELi64ELi256ELb0ELi3EEvPKT_PKT0_S7_ifPKiS9_S9_iPKfiiiPfSC_PS2_PT2_iSB_SB_
    .private_segment_fixed_size: 0
    .sgpr_count:     48
    .sgpr_spill_count: 0
    .symbol:         _Z38paged_attention_ll4mi_QKV_mfma4_kernelIDF16_hLN4vllm18Fp8KVCacheDataTypeE1EDF16_Li32ELi64ELi256ELb0ELi3EEvPKT_PKT0_S7_ifPKiS9_S9_iPKfiiiPfSC_PS2_PT2_iSB_SB_.kd
    .uniform_work_group_size: 1
    .uses_dynamic_stack: false
    .vgpr_count:     92
    .vgpr_spill_count: 0
    .wavefront_size: 64
  - .agpr_count:     4
    .args:
      - .actual_access:  read_only
        .address_space:  global
        .offset:         0
        .size:           8
        .value_kind:     global_buffer
      - .actual_access:  read_only
        .address_space:  global
        .offset:         8
        .size:           8
        .value_kind:     global_buffer
      - .actual_access:  read_only
        .address_space:  global
        .offset:         16
        .size:           8
        .value_kind:     global_buffer
      - .offset:         24
        .size:           4
        .value_kind:     by_value
      - .offset:         28
        .size:           4
        .value_kind:     by_value
      - .actual_access:  read_only
        .address_space:  global
        .offset:         32
        .size:           8
        .value_kind:     global_buffer
      - .actual_access:  read_only
        .address_space:  global
        .offset:         40
        .size:           8
        .value_kind:     global_buffer
      - .actual_access:  read_only
        .address_space:  global
        .offset:         48
        .size:           8
        .value_kind:     global_buffer
      - .offset:         56
        .size:           4
        .value_kind:     by_value
      - .actual_access:  read_only
        .address_space:  global
        .offset:         64
        .size:           8
        .value_kind:     global_buffer
      - .offset:         72
        .size:           4
        .value_kind:     by_value
      - .offset:         76
        .size:           4
        .value_kind:     by_value
      - .offset:         80
        .size:           4
        .value_kind:     by_value
      - .actual_access:  write_only
        .address_space:  global
        .offset:         88
        .size:           8
        .value_kind:     global_buffer
      - .actual_access:  write_only
        .address_space:  global
        .offset:         96
        .size:           8
        .value_kind:     global_buffer
      - .actual_access:  write_only
        .address_space:  global
        .offset:         104
        .size:           8
        .value_kind:     global_buffer
      - .actual_access:  read_only
        .address_space:  global
        .offset:         112
        .size:           8
        .value_kind:     global_buffer
      - .offset:         120
        .size:           4
        .value_kind:     by_value
      - .address_space:  global
        .offset:         128
        .size:           8
        .value_kind:     global_buffer
      - .address_space:  global
        .offset:         136
        .size:           8
        .value_kind:     global_buffer
      - .offset:         144
        .size:           4
        .value_kind:     hidden_block_count_x
      - .offset:         148
        .size:           4
        .value_kind:     hidden_block_count_y
      - .offset:         152
        .size:           4
        .value_kind:     hidden_block_count_z
      - .offset:         156
        .size:           2
        .value_kind:     hidden_group_size_x
      - .offset:         158
        .size:           2
        .value_kind:     hidden_group_size_y
      - .offset:         160
        .size:           2
        .value_kind:     hidden_group_size_z
      - .offset:         162
        .size:           2
        .value_kind:     hidden_remainder_x
      - .offset:         164
        .size:           2
        .value_kind:     hidden_remainder_y
      - .offset:         166
        .size:           2
        .value_kind:     hidden_remainder_z
      - .offset:         184
        .size:           8
        .value_kind:     hidden_global_offset_x
      - .offset:         192
        .size:           8
        .value_kind:     hidden_global_offset_y
      - .offset:         200
        .size:           8
        .value_kind:     hidden_global_offset_z
      - .offset:         208
        .size:           2
        .value_kind:     hidden_grid_dims
    .group_segment_fixed_size: 2720
    .kernarg_segment_align: 8
    .kernarg_segment_size: 400
    .language:       OpenCL C
    .language_version:
      - 2
      - 0
    .max_flat_workgroup_size: 256
    .name:           _Z38paged_attention_ll4mi_QKV_mfma4_kernelIDF16_hLN4vllm18Fp8KVCacheDataTypeE1EDF16_Li32ELi64ELi256ELb0ELi4EEvPKT_PKT0_S7_ifPKiS9_S9_iPKfiiiPfSC_PS2_PT2_iSB_SB_
    .private_segment_fixed_size: 0
    .sgpr_count:     48
    .sgpr_spill_count: 0
    .symbol:         _Z38paged_attention_ll4mi_QKV_mfma4_kernelIDF16_hLN4vllm18Fp8KVCacheDataTypeE1EDF16_Li32ELi64ELi256ELb0ELi4EEvPKT_PKT0_S7_ifPKiS9_S9_iPKfiiiPfSC_PS2_PT2_iSB_SB_.kd
    .uniform_work_group_size: 1
    .uses_dynamic_stack: false
    .vgpr_count:     96
    .vgpr_spill_count: 0
    .wavefront_size: 64
  - .agpr_count:     0
    .args:
      - .actual_access:  read_only
        .address_space:  global
        .offset:         0
        .size:           8
        .value_kind:     global_buffer
      - .actual_access:  read_only
        .address_space:  global
        .offset:         8
        .size:           8
        .value_kind:     global_buffer
      - .actual_access:  read_only
        .address_space:  global
        .offset:         16
        .size:           8
        .value_kind:     global_buffer
      - .offset:         24
        .size:           4
        .value_kind:     by_value
      - .offset:         28
        .size:           4
        .value_kind:     by_value
      - .actual_access:  read_only
        .address_space:  global
        .offset:         32
        .size:           8
        .value_kind:     global_buffer
      - .actual_access:  read_only
        .address_space:  global
        .offset:         40
        .size:           8
        .value_kind:     global_buffer
      - .actual_access:  read_only
        .address_space:  global
        .offset:         48
        .size:           8
        .value_kind:     global_buffer
      - .offset:         56
        .size:           4
        .value_kind:     by_value
      - .actual_access:  read_only
        .address_space:  global
        .offset:         64
        .size:           8
        .value_kind:     global_buffer
      - .offset:         72
        .size:           4
        .value_kind:     by_value
      - .offset:         76
        .size:           4
        .value_kind:     by_value
      - .offset:         80
        .size:           4
        .value_kind:     by_value
      - .actual_access:  write_only
        .address_space:  global
        .offset:         88
        .size:           8
        .value_kind:     global_buffer
      - .actual_access:  write_only
        .address_space:  global
        .offset:         96
        .size:           8
        .value_kind:     global_buffer
      - .actual_access:  write_only
        .address_space:  global
        .offset:         104
        .size:           8
        .value_kind:     global_buffer
      - .actual_access:  read_only
        .address_space:  global
        .offset:         112
        .size:           8
        .value_kind:     global_buffer
      - .offset:         120
        .size:           4
        .value_kind:     by_value
      - .address_space:  global
        .offset:         128
        .size:           8
        .value_kind:     global_buffer
      - .address_space:  global
        .offset:         136
        .size:           8
        .value_kind:     global_buffer
      - .offset:         144
        .size:           4
        .value_kind:     hidden_block_count_x
      - .offset:         148
        .size:           4
        .value_kind:     hidden_block_count_y
      - .offset:         152
        .size:           4
        .value_kind:     hidden_block_count_z
      - .offset:         156
        .size:           2
        .value_kind:     hidden_group_size_x
      - .offset:         158
        .size:           2
        .value_kind:     hidden_group_size_y
      - .offset:         160
        .size:           2
        .value_kind:     hidden_group_size_z
      - .offset:         162
        .size:           2
        .value_kind:     hidden_remainder_x
      - .offset:         164
        .size:           2
        .value_kind:     hidden_remainder_y
      - .offset:         166
        .size:           2
        .value_kind:     hidden_remainder_z
      - .offset:         184
        .size:           8
        .value_kind:     hidden_global_offset_x
      - .offset:         192
        .size:           8
        .value_kind:     hidden_global_offset_y
      - .offset:         200
        .size:           8
        .value_kind:     hidden_global_offset_z
      - .offset:         208
        .size:           2
        .value_kind:     hidden_grid_dims
    .group_segment_fixed_size: 8192
    .kernarg_segment_align: 8
    .kernarg_segment_size: 400
    .language:       OpenCL C
    .language_version:
      - 2
      - 0
    .max_flat_workgroup_size: 256
    .name:           _Z39paged_attention_ll4mi_QKV_mfma16_kernelIDF16_hLN4vllm18Fp8KVCacheDataTypeE1EDF16_Li32ELi64ELi256ELb0ELi5EEvPKT_PKT0_S7_ifPKiS9_S9_iPKfiiiPfSC_PS2_PT2_iSB_SB_
    .private_segment_fixed_size: 0
    .sgpr_count:     56
    .sgpr_spill_count: 0
    .symbol:         _Z39paged_attention_ll4mi_QKV_mfma16_kernelIDF16_hLN4vllm18Fp8KVCacheDataTypeE1EDF16_Li32ELi64ELi256ELb0ELi5EEvPKT_PKT0_S7_ifPKiS9_S9_iPKfiiiPfSC_PS2_PT2_iSB_SB_.kd
    .uniform_work_group_size: 1
    .uses_dynamic_stack: false
    .vgpr_count:     54
    .vgpr_spill_count: 0
    .wavefront_size: 64
  - .agpr_count:     0
    .args:
      - .actual_access:  read_only
        .address_space:  global
        .offset:         0
        .size:           8
        .value_kind:     global_buffer
      - .actual_access:  read_only
        .address_space:  global
        .offset:         8
        .size:           8
        .value_kind:     global_buffer
      - .actual_access:  read_only
        .address_space:  global
        .offset:         16
        .size:           8
        .value_kind:     global_buffer
      - .offset:         24
        .size:           4
        .value_kind:     by_value
      - .offset:         28
        .size:           4
        .value_kind:     by_value
      - .actual_access:  read_only
        .address_space:  global
        .offset:         32
        .size:           8
        .value_kind:     global_buffer
      - .actual_access:  read_only
        .address_space:  global
        .offset:         40
        .size:           8
        .value_kind:     global_buffer
      - .actual_access:  read_only
        .address_space:  global
        .offset:         48
        .size:           8
        .value_kind:     global_buffer
      - .offset:         56
        .size:           4
        .value_kind:     by_value
      - .actual_access:  read_only
        .address_space:  global
        .offset:         64
        .size:           8
        .value_kind:     global_buffer
      - .offset:         72
        .size:           4
        .value_kind:     by_value
      - .offset:         76
        .size:           4
        .value_kind:     by_value
      - .offset:         80
        .size:           4
        .value_kind:     by_value
      - .actual_access:  write_only
        .address_space:  global
        .offset:         88
        .size:           8
        .value_kind:     global_buffer
      - .actual_access:  write_only
        .address_space:  global
        .offset:         96
        .size:           8
        .value_kind:     global_buffer
      - .actual_access:  write_only
        .address_space:  global
        .offset:         104
        .size:           8
        .value_kind:     global_buffer
      - .actual_access:  read_only
        .address_space:  global
        .offset:         112
        .size:           8
        .value_kind:     global_buffer
      - .offset:         120
        .size:           4
        .value_kind:     by_value
      - .address_space:  global
        .offset:         128
        .size:           8
        .value_kind:     global_buffer
      - .address_space:  global
        .offset:         136
        .size:           8
        .value_kind:     global_buffer
      - .offset:         144
        .size:           4
        .value_kind:     hidden_block_count_x
      - .offset:         148
        .size:           4
        .value_kind:     hidden_block_count_y
      - .offset:         152
        .size:           4
        .value_kind:     hidden_block_count_z
      - .offset:         156
        .size:           2
        .value_kind:     hidden_group_size_x
      - .offset:         158
        .size:           2
        .value_kind:     hidden_group_size_y
      - .offset:         160
        .size:           2
        .value_kind:     hidden_group_size_z
      - .offset:         162
        .size:           2
        .value_kind:     hidden_remainder_x
      - .offset:         164
        .size:           2
        .value_kind:     hidden_remainder_y
      - .offset:         166
        .size:           2
        .value_kind:     hidden_remainder_z
      - .offset:         184
        .size:           8
        .value_kind:     hidden_global_offset_x
      - .offset:         192
        .size:           8
        .value_kind:     hidden_global_offset_y
      - .offset:         200
        .size:           8
        .value_kind:     hidden_global_offset_z
      - .offset:         208
        .size:           2
        .value_kind:     hidden_grid_dims
    .group_segment_fixed_size: 8192
    .kernarg_segment_align: 8
    .kernarg_segment_size: 400
    .language:       OpenCL C
    .language_version:
      - 2
      - 0
    .max_flat_workgroup_size: 256
    .name:           _Z39paged_attention_ll4mi_QKV_mfma16_kernelIDF16_hLN4vllm18Fp8KVCacheDataTypeE1EDF16_Li32ELi64ELi256ELb0ELi6EEvPKT_PKT0_S7_ifPKiS9_S9_iPKfiiiPfSC_PS2_PT2_iSB_SB_
    .private_segment_fixed_size: 0
    .sgpr_count:     56
    .sgpr_spill_count: 0
    .symbol:         _Z39paged_attention_ll4mi_QKV_mfma16_kernelIDF16_hLN4vllm18Fp8KVCacheDataTypeE1EDF16_Li32ELi64ELi256ELb0ELi6EEvPKT_PKT0_S7_ifPKiS9_S9_iPKfiiiPfSC_PS2_PT2_iSB_SB_.kd
    .uniform_work_group_size: 1
    .uses_dynamic_stack: false
    .vgpr_count:     54
    .vgpr_spill_count: 0
    .wavefront_size: 64
  - .agpr_count:     0
    .args:
      - .actual_access:  read_only
        .address_space:  global
        .offset:         0
        .size:           8
        .value_kind:     global_buffer
      - .actual_access:  read_only
        .address_space:  global
        .offset:         8
        .size:           8
        .value_kind:     global_buffer
      - .actual_access:  read_only
        .address_space:  global
        .offset:         16
        .size:           8
        .value_kind:     global_buffer
      - .offset:         24
        .size:           4
        .value_kind:     by_value
      - .offset:         28
        .size:           4
        .value_kind:     by_value
      - .actual_access:  read_only
        .address_space:  global
        .offset:         32
        .size:           8
        .value_kind:     global_buffer
      - .actual_access:  read_only
        .address_space:  global
        .offset:         40
        .size:           8
        .value_kind:     global_buffer
      - .actual_access:  read_only
        .address_space:  global
        .offset:         48
        .size:           8
        .value_kind:     global_buffer
      - .offset:         56
        .size:           4
        .value_kind:     by_value
      - .actual_access:  read_only
        .address_space:  global
        .offset:         64
        .size:           8
        .value_kind:     global_buffer
      - .offset:         72
        .size:           4
        .value_kind:     by_value
      - .offset:         76
        .size:           4
        .value_kind:     by_value
      - .offset:         80
        .size:           4
        .value_kind:     by_value
      - .actual_access:  write_only
        .address_space:  global
        .offset:         88
        .size:           8
        .value_kind:     global_buffer
      - .actual_access:  write_only
        .address_space:  global
        .offset:         96
        .size:           8
        .value_kind:     global_buffer
      - .actual_access:  write_only
        .address_space:  global
        .offset:         104
        .size:           8
        .value_kind:     global_buffer
      - .actual_access:  read_only
        .address_space:  global
        .offset:         112
        .size:           8
        .value_kind:     global_buffer
      - .offset:         120
        .size:           4
        .value_kind:     by_value
      - .address_space:  global
        .offset:         128
        .size:           8
        .value_kind:     global_buffer
      - .address_space:  global
        .offset:         136
        .size:           8
        .value_kind:     global_buffer
      - .offset:         144
        .size:           4
        .value_kind:     hidden_block_count_x
      - .offset:         148
        .size:           4
        .value_kind:     hidden_block_count_y
      - .offset:         152
        .size:           4
        .value_kind:     hidden_block_count_z
      - .offset:         156
        .size:           2
        .value_kind:     hidden_group_size_x
      - .offset:         158
        .size:           2
        .value_kind:     hidden_group_size_y
      - .offset:         160
        .size:           2
        .value_kind:     hidden_group_size_z
      - .offset:         162
        .size:           2
        .value_kind:     hidden_remainder_x
      - .offset:         164
        .size:           2
        .value_kind:     hidden_remainder_y
      - .offset:         166
        .size:           2
        .value_kind:     hidden_remainder_z
      - .offset:         184
        .size:           8
        .value_kind:     hidden_global_offset_x
      - .offset:         192
        .size:           8
        .value_kind:     hidden_global_offset_y
      - .offset:         200
        .size:           8
        .value_kind:     hidden_global_offset_z
      - .offset:         208
        .size:           2
        .value_kind:     hidden_grid_dims
    .group_segment_fixed_size: 8192
    .kernarg_segment_align: 8
    .kernarg_segment_size: 400
    .language:       OpenCL C
    .language_version:
      - 2
      - 0
    .max_flat_workgroup_size: 256
    .name:           _Z39paged_attention_ll4mi_QKV_mfma16_kernelIDF16_hLN4vllm18Fp8KVCacheDataTypeE1EDF16_Li32ELi64ELi256ELb0ELi7EEvPKT_PKT0_S7_ifPKiS9_S9_iPKfiiiPfSC_PS2_PT2_iSB_SB_
    .private_segment_fixed_size: 0
    .sgpr_count:     56
    .sgpr_spill_count: 0
    .symbol:         _Z39paged_attention_ll4mi_QKV_mfma16_kernelIDF16_hLN4vllm18Fp8KVCacheDataTypeE1EDF16_Li32ELi64ELi256ELb0ELi7EEvPKT_PKT0_S7_ifPKiS9_S9_iPKfiiiPfSC_PS2_PT2_iSB_SB_.kd
    .uniform_work_group_size: 1
    .uses_dynamic_stack: false
    .vgpr_count:     54
    .vgpr_spill_count: 0
    .wavefront_size: 64
  - .agpr_count:     0
    .args:
      - .actual_access:  read_only
        .address_space:  global
        .offset:         0
        .size:           8
        .value_kind:     global_buffer
      - .actual_access:  read_only
        .address_space:  global
        .offset:         8
        .size:           8
        .value_kind:     global_buffer
      - .actual_access:  read_only
        .address_space:  global
        .offset:         16
        .size:           8
        .value_kind:     global_buffer
      - .offset:         24
        .size:           4
        .value_kind:     by_value
      - .offset:         28
        .size:           4
        .value_kind:     by_value
      - .actual_access:  read_only
        .address_space:  global
        .offset:         32
        .size:           8
        .value_kind:     global_buffer
      - .actual_access:  read_only
        .address_space:  global
        .offset:         40
        .size:           8
        .value_kind:     global_buffer
      - .actual_access:  read_only
        .address_space:  global
        .offset:         48
        .size:           8
        .value_kind:     global_buffer
      - .offset:         56
        .size:           4
        .value_kind:     by_value
      - .actual_access:  read_only
        .address_space:  global
        .offset:         64
        .size:           8
        .value_kind:     global_buffer
      - .offset:         72
        .size:           4
        .value_kind:     by_value
      - .offset:         76
        .size:           4
        .value_kind:     by_value
      - .offset:         80
        .size:           4
        .value_kind:     by_value
      - .actual_access:  write_only
        .address_space:  global
        .offset:         88
        .size:           8
        .value_kind:     global_buffer
      - .actual_access:  write_only
        .address_space:  global
        .offset:         96
        .size:           8
        .value_kind:     global_buffer
      - .actual_access:  write_only
        .address_space:  global
        .offset:         104
        .size:           8
        .value_kind:     global_buffer
      - .actual_access:  read_only
        .address_space:  global
        .offset:         112
        .size:           8
        .value_kind:     global_buffer
      - .offset:         120
        .size:           4
        .value_kind:     by_value
      - .address_space:  global
        .offset:         128
        .size:           8
        .value_kind:     global_buffer
      - .address_space:  global
        .offset:         136
        .size:           8
        .value_kind:     global_buffer
      - .offset:         144
        .size:           4
        .value_kind:     hidden_block_count_x
      - .offset:         148
        .size:           4
        .value_kind:     hidden_block_count_y
      - .offset:         152
        .size:           4
        .value_kind:     hidden_block_count_z
      - .offset:         156
        .size:           2
        .value_kind:     hidden_group_size_x
      - .offset:         158
        .size:           2
        .value_kind:     hidden_group_size_y
      - .offset:         160
        .size:           2
        .value_kind:     hidden_group_size_z
      - .offset:         162
        .size:           2
        .value_kind:     hidden_remainder_x
      - .offset:         164
        .size:           2
        .value_kind:     hidden_remainder_y
      - .offset:         166
        .size:           2
        .value_kind:     hidden_remainder_z
      - .offset:         184
        .size:           8
        .value_kind:     hidden_global_offset_x
      - .offset:         192
        .size:           8
        .value_kind:     hidden_global_offset_y
      - .offset:         200
        .size:           8
        .value_kind:     hidden_global_offset_z
      - .offset:         208
        .size:           2
        .value_kind:     hidden_grid_dims
    .group_segment_fixed_size: 8192
    .kernarg_segment_align: 8
    .kernarg_segment_size: 400
    .language:       OpenCL C
    .language_version:
      - 2
      - 0
    .max_flat_workgroup_size: 256
    .name:           _Z39paged_attention_ll4mi_QKV_mfma16_kernelIDF16_hLN4vllm18Fp8KVCacheDataTypeE1EDF16_Li32ELi64ELi256ELb0ELi8EEvPKT_PKT0_S7_ifPKiS9_S9_iPKfiiiPfSC_PS2_PT2_iSB_SB_
    .private_segment_fixed_size: 0
    .sgpr_count:     55
    .sgpr_spill_count: 0
    .symbol:         _Z39paged_attention_ll4mi_QKV_mfma16_kernelIDF16_hLN4vllm18Fp8KVCacheDataTypeE1EDF16_Li32ELi64ELi256ELb0ELi8EEvPKT_PKT0_S7_ifPKiS9_S9_iPKfiiiPfSC_PS2_PT2_iSB_SB_.kd
    .uniform_work_group_size: 1
    .uses_dynamic_stack: false
    .vgpr_count:     54
    .vgpr_spill_count: 0
    .wavefront_size: 64
  - .agpr_count:     0
    .args:
      - .actual_access:  read_only
        .address_space:  global
        .offset:         0
        .size:           8
        .value_kind:     global_buffer
      - .actual_access:  read_only
        .address_space:  global
        .offset:         8
        .size:           8
        .value_kind:     global_buffer
      - .actual_access:  read_only
        .address_space:  global
        .offset:         16
        .size:           8
        .value_kind:     global_buffer
      - .offset:         24
        .size:           4
        .value_kind:     by_value
      - .offset:         28
        .size:           4
        .value_kind:     by_value
      - .actual_access:  read_only
        .address_space:  global
        .offset:         32
        .size:           8
        .value_kind:     global_buffer
      - .actual_access:  read_only
        .address_space:  global
        .offset:         40
        .size:           8
        .value_kind:     global_buffer
      - .actual_access:  read_only
        .address_space:  global
        .offset:         48
        .size:           8
        .value_kind:     global_buffer
      - .offset:         56
        .size:           4
        .value_kind:     by_value
      - .actual_access:  read_only
        .address_space:  global
        .offset:         64
        .size:           8
        .value_kind:     global_buffer
      - .offset:         72
        .size:           4
        .value_kind:     by_value
      - .offset:         76
        .size:           4
        .value_kind:     by_value
      - .offset:         80
        .size:           4
        .value_kind:     by_value
      - .actual_access:  write_only
        .address_space:  global
        .offset:         88
        .size:           8
        .value_kind:     global_buffer
      - .actual_access:  write_only
        .address_space:  global
        .offset:         96
        .size:           8
        .value_kind:     global_buffer
      - .actual_access:  write_only
        .address_space:  global
        .offset:         104
        .size:           8
        .value_kind:     global_buffer
      - .actual_access:  read_only
        .address_space:  global
        .offset:         112
        .size:           8
        .value_kind:     global_buffer
      - .offset:         120
        .size:           4
        .value_kind:     by_value
      - .address_space:  global
        .offset:         128
        .size:           8
        .value_kind:     global_buffer
      - .address_space:  global
        .offset:         136
        .size:           8
        .value_kind:     global_buffer
      - .offset:         144
        .size:           4
        .value_kind:     hidden_block_count_x
      - .offset:         148
        .size:           4
        .value_kind:     hidden_block_count_y
      - .offset:         152
        .size:           4
        .value_kind:     hidden_block_count_z
      - .offset:         156
        .size:           2
        .value_kind:     hidden_group_size_x
      - .offset:         158
        .size:           2
        .value_kind:     hidden_group_size_y
      - .offset:         160
        .size:           2
        .value_kind:     hidden_group_size_z
      - .offset:         162
        .size:           2
        .value_kind:     hidden_remainder_x
      - .offset:         164
        .size:           2
        .value_kind:     hidden_remainder_y
      - .offset:         166
        .size:           2
        .value_kind:     hidden_remainder_z
      - .offset:         184
        .size:           8
        .value_kind:     hidden_global_offset_x
      - .offset:         192
        .size:           8
        .value_kind:     hidden_global_offset_y
      - .offset:         200
        .size:           8
        .value_kind:     hidden_global_offset_z
      - .offset:         208
        .size:           2
        .value_kind:     hidden_grid_dims
    .group_segment_fixed_size: 8192
    .kernarg_segment_align: 8
    .kernarg_segment_size: 400
    .language:       OpenCL C
    .language_version:
      - 2
      - 0
    .max_flat_workgroup_size: 256
    .name:           _Z39paged_attention_ll4mi_QKV_mfma16_kernelIDF16_hLN4vllm18Fp8KVCacheDataTypeE1EDF16_Li32ELi64ELi256ELb0ELi9EEvPKT_PKT0_S7_ifPKiS9_S9_iPKfiiiPfSC_PS2_PT2_iSB_SB_
    .private_segment_fixed_size: 0
    .sgpr_count:     56
    .sgpr_spill_count: 0
    .symbol:         _Z39paged_attention_ll4mi_QKV_mfma16_kernelIDF16_hLN4vllm18Fp8KVCacheDataTypeE1EDF16_Li32ELi64ELi256ELb0ELi9EEvPKT_PKT0_S7_ifPKiS9_S9_iPKfiiiPfSC_PS2_PT2_iSB_SB_.kd
    .uniform_work_group_size: 1
    .uses_dynamic_stack: false
    .vgpr_count:     54
    .vgpr_spill_count: 0
    .wavefront_size: 64
  - .agpr_count:     0
    .args:
      - .actual_access:  read_only
        .address_space:  global
        .offset:         0
        .size:           8
        .value_kind:     global_buffer
      - .actual_access:  read_only
        .address_space:  global
        .offset:         8
        .size:           8
        .value_kind:     global_buffer
      - .actual_access:  read_only
        .address_space:  global
        .offset:         16
        .size:           8
        .value_kind:     global_buffer
      - .offset:         24
        .size:           4
        .value_kind:     by_value
      - .offset:         28
        .size:           4
        .value_kind:     by_value
      - .actual_access:  read_only
        .address_space:  global
        .offset:         32
        .size:           8
        .value_kind:     global_buffer
      - .actual_access:  read_only
        .address_space:  global
        .offset:         40
        .size:           8
        .value_kind:     global_buffer
      - .actual_access:  read_only
        .address_space:  global
        .offset:         48
        .size:           8
        .value_kind:     global_buffer
      - .offset:         56
        .size:           4
        .value_kind:     by_value
      - .actual_access:  read_only
        .address_space:  global
        .offset:         64
        .size:           8
        .value_kind:     global_buffer
      - .offset:         72
        .size:           4
        .value_kind:     by_value
      - .offset:         76
        .size:           4
        .value_kind:     by_value
      - .offset:         80
        .size:           4
        .value_kind:     by_value
      - .actual_access:  write_only
        .address_space:  global
        .offset:         88
        .size:           8
        .value_kind:     global_buffer
      - .actual_access:  write_only
        .address_space:  global
        .offset:         96
        .size:           8
        .value_kind:     global_buffer
      - .actual_access:  write_only
        .address_space:  global
        .offset:         104
        .size:           8
        .value_kind:     global_buffer
      - .actual_access:  read_only
        .address_space:  global
        .offset:         112
        .size:           8
        .value_kind:     global_buffer
      - .offset:         120
        .size:           4
        .value_kind:     by_value
      - .address_space:  global
        .offset:         128
        .size:           8
        .value_kind:     global_buffer
      - .address_space:  global
        .offset:         136
        .size:           8
        .value_kind:     global_buffer
      - .offset:         144
        .size:           4
        .value_kind:     hidden_block_count_x
      - .offset:         148
        .size:           4
        .value_kind:     hidden_block_count_y
      - .offset:         152
        .size:           4
        .value_kind:     hidden_block_count_z
      - .offset:         156
        .size:           2
        .value_kind:     hidden_group_size_x
      - .offset:         158
        .size:           2
        .value_kind:     hidden_group_size_y
      - .offset:         160
        .size:           2
        .value_kind:     hidden_group_size_z
      - .offset:         162
        .size:           2
        .value_kind:     hidden_remainder_x
      - .offset:         164
        .size:           2
        .value_kind:     hidden_remainder_y
      - .offset:         166
        .size:           2
        .value_kind:     hidden_remainder_z
      - .offset:         184
        .size:           8
        .value_kind:     hidden_global_offset_x
      - .offset:         192
        .size:           8
        .value_kind:     hidden_global_offset_y
      - .offset:         200
        .size:           8
        .value_kind:     hidden_global_offset_z
      - .offset:         208
        .size:           2
        .value_kind:     hidden_grid_dims
    .group_segment_fixed_size: 8192
    .kernarg_segment_align: 8
    .kernarg_segment_size: 400
    .language:       OpenCL C
    .language_version:
      - 2
      - 0
    .max_flat_workgroup_size: 256
    .name:           _Z39paged_attention_ll4mi_QKV_mfma16_kernelIDF16_hLN4vllm18Fp8KVCacheDataTypeE1EDF16_Li32ELi64ELi256ELb0ELi10EEvPKT_PKT0_S7_ifPKiS9_S9_iPKfiiiPfSC_PS2_PT2_iSB_SB_
    .private_segment_fixed_size: 0
    .sgpr_count:     56
    .sgpr_spill_count: 0
    .symbol:         _Z39paged_attention_ll4mi_QKV_mfma16_kernelIDF16_hLN4vllm18Fp8KVCacheDataTypeE1EDF16_Li32ELi64ELi256ELb0ELi10EEvPKT_PKT0_S7_ifPKiS9_S9_iPKfiiiPfSC_PS2_PT2_iSB_SB_.kd
    .uniform_work_group_size: 1
    .uses_dynamic_stack: false
    .vgpr_count:     54
    .vgpr_spill_count: 0
    .wavefront_size: 64
  - .agpr_count:     0
    .args:
      - .actual_access:  read_only
        .address_space:  global
        .offset:         0
        .size:           8
        .value_kind:     global_buffer
      - .actual_access:  read_only
        .address_space:  global
        .offset:         8
        .size:           8
        .value_kind:     global_buffer
      - .actual_access:  read_only
        .address_space:  global
        .offset:         16
        .size:           8
        .value_kind:     global_buffer
      - .offset:         24
        .size:           4
        .value_kind:     by_value
      - .offset:         28
        .size:           4
        .value_kind:     by_value
      - .actual_access:  read_only
        .address_space:  global
        .offset:         32
        .size:           8
        .value_kind:     global_buffer
      - .actual_access:  read_only
        .address_space:  global
        .offset:         40
        .size:           8
        .value_kind:     global_buffer
      - .actual_access:  read_only
        .address_space:  global
        .offset:         48
        .size:           8
        .value_kind:     global_buffer
      - .offset:         56
        .size:           4
        .value_kind:     by_value
      - .actual_access:  read_only
        .address_space:  global
        .offset:         64
        .size:           8
        .value_kind:     global_buffer
      - .offset:         72
        .size:           4
        .value_kind:     by_value
      - .offset:         76
        .size:           4
        .value_kind:     by_value
      - .offset:         80
        .size:           4
        .value_kind:     by_value
      - .actual_access:  write_only
        .address_space:  global
        .offset:         88
        .size:           8
        .value_kind:     global_buffer
      - .actual_access:  write_only
        .address_space:  global
        .offset:         96
        .size:           8
        .value_kind:     global_buffer
      - .actual_access:  write_only
        .address_space:  global
        .offset:         104
        .size:           8
        .value_kind:     global_buffer
      - .actual_access:  read_only
        .address_space:  global
        .offset:         112
        .size:           8
        .value_kind:     global_buffer
      - .offset:         120
        .size:           4
        .value_kind:     by_value
      - .address_space:  global
        .offset:         128
        .size:           8
        .value_kind:     global_buffer
      - .address_space:  global
        .offset:         136
        .size:           8
        .value_kind:     global_buffer
      - .offset:         144
        .size:           4
        .value_kind:     hidden_block_count_x
      - .offset:         148
        .size:           4
        .value_kind:     hidden_block_count_y
      - .offset:         152
        .size:           4
        .value_kind:     hidden_block_count_z
      - .offset:         156
        .size:           2
        .value_kind:     hidden_group_size_x
      - .offset:         158
        .size:           2
        .value_kind:     hidden_group_size_y
      - .offset:         160
        .size:           2
        .value_kind:     hidden_group_size_z
      - .offset:         162
        .size:           2
        .value_kind:     hidden_remainder_x
      - .offset:         164
        .size:           2
        .value_kind:     hidden_remainder_y
      - .offset:         166
        .size:           2
        .value_kind:     hidden_remainder_z
      - .offset:         184
        .size:           8
        .value_kind:     hidden_global_offset_x
      - .offset:         192
        .size:           8
        .value_kind:     hidden_global_offset_y
      - .offset:         200
        .size:           8
        .value_kind:     hidden_global_offset_z
      - .offset:         208
        .size:           2
        .value_kind:     hidden_grid_dims
    .group_segment_fixed_size: 8192
    .kernarg_segment_align: 8
    .kernarg_segment_size: 400
    .language:       OpenCL C
    .language_version:
      - 2
      - 0
    .max_flat_workgroup_size: 256
    .name:           _Z39paged_attention_ll4mi_QKV_mfma16_kernelIDF16_hLN4vllm18Fp8KVCacheDataTypeE1EDF16_Li32ELi64ELi256ELb0ELi11EEvPKT_PKT0_S7_ifPKiS9_S9_iPKfiiiPfSC_PS2_PT2_iSB_SB_
    .private_segment_fixed_size: 0
    .sgpr_count:     56
    .sgpr_spill_count: 0
    .symbol:         _Z39paged_attention_ll4mi_QKV_mfma16_kernelIDF16_hLN4vllm18Fp8KVCacheDataTypeE1EDF16_Li32ELi64ELi256ELb0ELi11EEvPKT_PKT0_S7_ifPKiS9_S9_iPKfiiiPfSC_PS2_PT2_iSB_SB_.kd
    .uniform_work_group_size: 1
    .uses_dynamic_stack: false
    .vgpr_count:     54
    .vgpr_spill_count: 0
    .wavefront_size: 64
  - .agpr_count:     0
    .args:
      - .actual_access:  read_only
        .address_space:  global
        .offset:         0
        .size:           8
        .value_kind:     global_buffer
      - .actual_access:  read_only
        .address_space:  global
        .offset:         8
        .size:           8
        .value_kind:     global_buffer
      - .actual_access:  read_only
        .address_space:  global
        .offset:         16
        .size:           8
        .value_kind:     global_buffer
      - .offset:         24
        .size:           4
        .value_kind:     by_value
      - .offset:         28
        .size:           4
        .value_kind:     by_value
      - .actual_access:  read_only
        .address_space:  global
        .offset:         32
        .size:           8
        .value_kind:     global_buffer
      - .actual_access:  read_only
        .address_space:  global
        .offset:         40
        .size:           8
        .value_kind:     global_buffer
      - .actual_access:  read_only
        .address_space:  global
        .offset:         48
        .size:           8
        .value_kind:     global_buffer
      - .offset:         56
        .size:           4
        .value_kind:     by_value
      - .actual_access:  read_only
        .address_space:  global
        .offset:         64
        .size:           8
        .value_kind:     global_buffer
      - .offset:         72
        .size:           4
        .value_kind:     by_value
      - .offset:         76
        .size:           4
        .value_kind:     by_value
      - .offset:         80
        .size:           4
        .value_kind:     by_value
      - .actual_access:  write_only
        .address_space:  global
        .offset:         88
        .size:           8
        .value_kind:     global_buffer
      - .actual_access:  write_only
        .address_space:  global
        .offset:         96
        .size:           8
        .value_kind:     global_buffer
      - .actual_access:  write_only
        .address_space:  global
        .offset:         104
        .size:           8
        .value_kind:     global_buffer
      - .actual_access:  read_only
        .address_space:  global
        .offset:         112
        .size:           8
        .value_kind:     global_buffer
      - .offset:         120
        .size:           4
        .value_kind:     by_value
      - .address_space:  global
        .offset:         128
        .size:           8
        .value_kind:     global_buffer
      - .address_space:  global
        .offset:         136
        .size:           8
        .value_kind:     global_buffer
      - .offset:         144
        .size:           4
        .value_kind:     hidden_block_count_x
      - .offset:         148
        .size:           4
        .value_kind:     hidden_block_count_y
      - .offset:         152
        .size:           4
        .value_kind:     hidden_block_count_z
      - .offset:         156
        .size:           2
        .value_kind:     hidden_group_size_x
      - .offset:         158
        .size:           2
        .value_kind:     hidden_group_size_y
      - .offset:         160
        .size:           2
        .value_kind:     hidden_group_size_z
      - .offset:         162
        .size:           2
        .value_kind:     hidden_remainder_x
      - .offset:         164
        .size:           2
        .value_kind:     hidden_remainder_y
      - .offset:         166
        .size:           2
        .value_kind:     hidden_remainder_z
      - .offset:         184
        .size:           8
        .value_kind:     hidden_global_offset_x
      - .offset:         192
        .size:           8
        .value_kind:     hidden_global_offset_y
      - .offset:         200
        .size:           8
        .value_kind:     hidden_global_offset_z
      - .offset:         208
        .size:           2
        .value_kind:     hidden_grid_dims
    .group_segment_fixed_size: 8192
    .kernarg_segment_align: 8
    .kernarg_segment_size: 400
    .language:       OpenCL C
    .language_version:
      - 2
      - 0
    .max_flat_workgroup_size: 256
    .name:           _Z39paged_attention_ll4mi_QKV_mfma16_kernelIDF16_hLN4vllm18Fp8KVCacheDataTypeE1EDF16_Li32ELi64ELi256ELb0ELi12EEvPKT_PKT0_S7_ifPKiS9_S9_iPKfiiiPfSC_PS2_PT2_iSB_SB_
    .private_segment_fixed_size: 0
    .sgpr_count:     56
    .sgpr_spill_count: 0
    .symbol:         _Z39paged_attention_ll4mi_QKV_mfma16_kernelIDF16_hLN4vllm18Fp8KVCacheDataTypeE1EDF16_Li32ELi64ELi256ELb0ELi12EEvPKT_PKT0_S7_ifPKiS9_S9_iPKfiiiPfSC_PS2_PT2_iSB_SB_.kd
    .uniform_work_group_size: 1
    .uses_dynamic_stack: false
    .vgpr_count:     54
    .vgpr_spill_count: 0
    .wavefront_size: 64
  - .agpr_count:     0
    .args:
      - .actual_access:  read_only
        .address_space:  global
        .offset:         0
        .size:           8
        .value_kind:     global_buffer
      - .actual_access:  read_only
        .address_space:  global
        .offset:         8
        .size:           8
        .value_kind:     global_buffer
      - .actual_access:  read_only
        .address_space:  global
        .offset:         16
        .size:           8
        .value_kind:     global_buffer
      - .offset:         24
        .size:           4
        .value_kind:     by_value
      - .offset:         28
        .size:           4
        .value_kind:     by_value
      - .actual_access:  read_only
        .address_space:  global
        .offset:         32
        .size:           8
        .value_kind:     global_buffer
      - .actual_access:  read_only
        .address_space:  global
        .offset:         40
        .size:           8
        .value_kind:     global_buffer
      - .actual_access:  read_only
        .address_space:  global
        .offset:         48
        .size:           8
        .value_kind:     global_buffer
      - .offset:         56
        .size:           4
        .value_kind:     by_value
      - .actual_access:  read_only
        .address_space:  global
        .offset:         64
        .size:           8
        .value_kind:     global_buffer
      - .offset:         72
        .size:           4
        .value_kind:     by_value
      - .offset:         76
        .size:           4
        .value_kind:     by_value
      - .offset:         80
        .size:           4
        .value_kind:     by_value
      - .actual_access:  write_only
        .address_space:  global
        .offset:         88
        .size:           8
        .value_kind:     global_buffer
      - .actual_access:  write_only
        .address_space:  global
        .offset:         96
        .size:           8
        .value_kind:     global_buffer
      - .actual_access:  write_only
        .address_space:  global
        .offset:         104
        .size:           8
        .value_kind:     global_buffer
      - .actual_access:  read_only
        .address_space:  global
        .offset:         112
        .size:           8
        .value_kind:     global_buffer
      - .offset:         120
        .size:           4
        .value_kind:     by_value
      - .address_space:  global
        .offset:         128
        .size:           8
        .value_kind:     global_buffer
      - .address_space:  global
        .offset:         136
        .size:           8
        .value_kind:     global_buffer
      - .offset:         144
        .size:           4
        .value_kind:     hidden_block_count_x
      - .offset:         148
        .size:           4
        .value_kind:     hidden_block_count_y
      - .offset:         152
        .size:           4
        .value_kind:     hidden_block_count_z
      - .offset:         156
        .size:           2
        .value_kind:     hidden_group_size_x
      - .offset:         158
        .size:           2
        .value_kind:     hidden_group_size_y
      - .offset:         160
        .size:           2
        .value_kind:     hidden_group_size_z
      - .offset:         162
        .size:           2
        .value_kind:     hidden_remainder_x
      - .offset:         164
        .size:           2
        .value_kind:     hidden_remainder_y
      - .offset:         166
        .size:           2
        .value_kind:     hidden_remainder_z
      - .offset:         184
        .size:           8
        .value_kind:     hidden_global_offset_x
      - .offset:         192
        .size:           8
        .value_kind:     hidden_global_offset_y
      - .offset:         200
        .size:           8
        .value_kind:     hidden_global_offset_z
      - .offset:         208
        .size:           2
        .value_kind:     hidden_grid_dims
    .group_segment_fixed_size: 8192
    .kernarg_segment_align: 8
    .kernarg_segment_size: 400
    .language:       OpenCL C
    .language_version:
      - 2
      - 0
    .max_flat_workgroup_size: 256
    .name:           _Z39paged_attention_ll4mi_QKV_mfma16_kernelIDF16_hLN4vllm18Fp8KVCacheDataTypeE1EDF16_Li32ELi64ELi256ELb0ELi13EEvPKT_PKT0_S7_ifPKiS9_S9_iPKfiiiPfSC_PS2_PT2_iSB_SB_
    .private_segment_fixed_size: 0
    .sgpr_count:     56
    .sgpr_spill_count: 0
    .symbol:         _Z39paged_attention_ll4mi_QKV_mfma16_kernelIDF16_hLN4vllm18Fp8KVCacheDataTypeE1EDF16_Li32ELi64ELi256ELb0ELi13EEvPKT_PKT0_S7_ifPKiS9_S9_iPKfiiiPfSC_PS2_PT2_iSB_SB_.kd
    .uniform_work_group_size: 1
    .uses_dynamic_stack: false
    .vgpr_count:     54
    .vgpr_spill_count: 0
    .wavefront_size: 64
  - .agpr_count:     0
    .args:
      - .actual_access:  read_only
        .address_space:  global
        .offset:         0
        .size:           8
        .value_kind:     global_buffer
      - .actual_access:  read_only
        .address_space:  global
        .offset:         8
        .size:           8
        .value_kind:     global_buffer
      - .actual_access:  read_only
        .address_space:  global
        .offset:         16
        .size:           8
        .value_kind:     global_buffer
      - .offset:         24
        .size:           4
        .value_kind:     by_value
      - .offset:         28
        .size:           4
        .value_kind:     by_value
      - .actual_access:  read_only
        .address_space:  global
        .offset:         32
        .size:           8
        .value_kind:     global_buffer
      - .actual_access:  read_only
        .address_space:  global
        .offset:         40
        .size:           8
        .value_kind:     global_buffer
      - .actual_access:  read_only
        .address_space:  global
        .offset:         48
        .size:           8
        .value_kind:     global_buffer
      - .offset:         56
        .size:           4
        .value_kind:     by_value
      - .actual_access:  read_only
        .address_space:  global
        .offset:         64
        .size:           8
        .value_kind:     global_buffer
      - .offset:         72
        .size:           4
        .value_kind:     by_value
      - .offset:         76
        .size:           4
        .value_kind:     by_value
      - .offset:         80
        .size:           4
        .value_kind:     by_value
      - .actual_access:  write_only
        .address_space:  global
        .offset:         88
        .size:           8
        .value_kind:     global_buffer
      - .actual_access:  write_only
        .address_space:  global
        .offset:         96
        .size:           8
        .value_kind:     global_buffer
      - .actual_access:  write_only
        .address_space:  global
        .offset:         104
        .size:           8
        .value_kind:     global_buffer
      - .actual_access:  read_only
        .address_space:  global
        .offset:         112
        .size:           8
        .value_kind:     global_buffer
      - .offset:         120
        .size:           4
        .value_kind:     by_value
      - .address_space:  global
        .offset:         128
        .size:           8
        .value_kind:     global_buffer
      - .address_space:  global
        .offset:         136
        .size:           8
        .value_kind:     global_buffer
      - .offset:         144
        .size:           4
        .value_kind:     hidden_block_count_x
      - .offset:         148
        .size:           4
        .value_kind:     hidden_block_count_y
      - .offset:         152
        .size:           4
        .value_kind:     hidden_block_count_z
      - .offset:         156
        .size:           2
        .value_kind:     hidden_group_size_x
      - .offset:         158
        .size:           2
        .value_kind:     hidden_group_size_y
      - .offset:         160
        .size:           2
        .value_kind:     hidden_group_size_z
      - .offset:         162
        .size:           2
        .value_kind:     hidden_remainder_x
      - .offset:         164
        .size:           2
        .value_kind:     hidden_remainder_y
      - .offset:         166
        .size:           2
        .value_kind:     hidden_remainder_z
      - .offset:         184
        .size:           8
        .value_kind:     hidden_global_offset_x
      - .offset:         192
        .size:           8
        .value_kind:     hidden_global_offset_y
      - .offset:         200
        .size:           8
        .value_kind:     hidden_global_offset_z
      - .offset:         208
        .size:           2
        .value_kind:     hidden_grid_dims
    .group_segment_fixed_size: 8192
    .kernarg_segment_align: 8
    .kernarg_segment_size: 400
    .language:       OpenCL C
    .language_version:
      - 2
      - 0
    .max_flat_workgroup_size: 256
    .name:           _Z39paged_attention_ll4mi_QKV_mfma16_kernelIDF16_hLN4vllm18Fp8KVCacheDataTypeE1EDF16_Li32ELi64ELi256ELb0ELi14EEvPKT_PKT0_S7_ifPKiS9_S9_iPKfiiiPfSC_PS2_PT2_iSB_SB_
    .private_segment_fixed_size: 0
    .sgpr_count:     56
    .sgpr_spill_count: 0
    .symbol:         _Z39paged_attention_ll4mi_QKV_mfma16_kernelIDF16_hLN4vllm18Fp8KVCacheDataTypeE1EDF16_Li32ELi64ELi256ELb0ELi14EEvPKT_PKT0_S7_ifPKiS9_S9_iPKfiiiPfSC_PS2_PT2_iSB_SB_.kd
    .uniform_work_group_size: 1
    .uses_dynamic_stack: false
    .vgpr_count:     54
    .vgpr_spill_count: 0
    .wavefront_size: 64
  - .agpr_count:     0
    .args:
      - .actual_access:  read_only
        .address_space:  global
        .offset:         0
        .size:           8
        .value_kind:     global_buffer
      - .actual_access:  read_only
        .address_space:  global
        .offset:         8
        .size:           8
        .value_kind:     global_buffer
      - .actual_access:  read_only
        .address_space:  global
        .offset:         16
        .size:           8
        .value_kind:     global_buffer
      - .offset:         24
        .size:           4
        .value_kind:     by_value
      - .offset:         28
        .size:           4
        .value_kind:     by_value
      - .actual_access:  read_only
        .address_space:  global
        .offset:         32
        .size:           8
        .value_kind:     global_buffer
      - .actual_access:  read_only
        .address_space:  global
        .offset:         40
        .size:           8
        .value_kind:     global_buffer
      - .actual_access:  read_only
        .address_space:  global
        .offset:         48
        .size:           8
        .value_kind:     global_buffer
      - .offset:         56
        .size:           4
        .value_kind:     by_value
      - .actual_access:  read_only
        .address_space:  global
        .offset:         64
        .size:           8
        .value_kind:     global_buffer
      - .offset:         72
        .size:           4
        .value_kind:     by_value
      - .offset:         76
        .size:           4
        .value_kind:     by_value
      - .offset:         80
        .size:           4
        .value_kind:     by_value
      - .actual_access:  write_only
        .address_space:  global
        .offset:         88
        .size:           8
        .value_kind:     global_buffer
      - .actual_access:  write_only
        .address_space:  global
        .offset:         96
        .size:           8
        .value_kind:     global_buffer
      - .actual_access:  write_only
        .address_space:  global
        .offset:         104
        .size:           8
        .value_kind:     global_buffer
      - .actual_access:  read_only
        .address_space:  global
        .offset:         112
        .size:           8
        .value_kind:     global_buffer
      - .offset:         120
        .size:           4
        .value_kind:     by_value
      - .address_space:  global
        .offset:         128
        .size:           8
        .value_kind:     global_buffer
      - .address_space:  global
        .offset:         136
        .size:           8
        .value_kind:     global_buffer
      - .offset:         144
        .size:           4
        .value_kind:     hidden_block_count_x
      - .offset:         148
        .size:           4
        .value_kind:     hidden_block_count_y
      - .offset:         152
        .size:           4
        .value_kind:     hidden_block_count_z
      - .offset:         156
        .size:           2
        .value_kind:     hidden_group_size_x
      - .offset:         158
        .size:           2
        .value_kind:     hidden_group_size_y
      - .offset:         160
        .size:           2
        .value_kind:     hidden_group_size_z
      - .offset:         162
        .size:           2
        .value_kind:     hidden_remainder_x
      - .offset:         164
        .size:           2
        .value_kind:     hidden_remainder_y
      - .offset:         166
        .size:           2
        .value_kind:     hidden_remainder_z
      - .offset:         184
        .size:           8
        .value_kind:     hidden_global_offset_x
      - .offset:         192
        .size:           8
        .value_kind:     hidden_global_offset_y
      - .offset:         200
        .size:           8
        .value_kind:     hidden_global_offset_z
      - .offset:         208
        .size:           2
        .value_kind:     hidden_grid_dims
    .group_segment_fixed_size: 8192
    .kernarg_segment_align: 8
    .kernarg_segment_size: 400
    .language:       OpenCL C
    .language_version:
      - 2
      - 0
    .max_flat_workgroup_size: 256
    .name:           _Z39paged_attention_ll4mi_QKV_mfma16_kernelIDF16_hLN4vllm18Fp8KVCacheDataTypeE1EDF16_Li32ELi64ELi256ELb0ELi15EEvPKT_PKT0_S7_ifPKiS9_S9_iPKfiiiPfSC_PS2_PT2_iSB_SB_
    .private_segment_fixed_size: 0
    .sgpr_count:     56
    .sgpr_spill_count: 0
    .symbol:         _Z39paged_attention_ll4mi_QKV_mfma16_kernelIDF16_hLN4vllm18Fp8KVCacheDataTypeE1EDF16_Li32ELi64ELi256ELb0ELi15EEvPKT_PKT0_S7_ifPKiS9_S9_iPKfiiiPfSC_PS2_PT2_iSB_SB_.kd
    .uniform_work_group_size: 1
    .uses_dynamic_stack: false
    .vgpr_count:     54
    .vgpr_spill_count: 0
    .wavefront_size: 64
  - .agpr_count:     0
    .args:
      - .actual_access:  read_only
        .address_space:  global
        .offset:         0
        .size:           8
        .value_kind:     global_buffer
      - .actual_access:  read_only
        .address_space:  global
        .offset:         8
        .size:           8
        .value_kind:     global_buffer
      - .actual_access:  read_only
        .address_space:  global
        .offset:         16
        .size:           8
        .value_kind:     global_buffer
      - .offset:         24
        .size:           4
        .value_kind:     by_value
      - .offset:         28
        .size:           4
        .value_kind:     by_value
      - .actual_access:  read_only
        .address_space:  global
        .offset:         32
        .size:           8
        .value_kind:     global_buffer
      - .actual_access:  read_only
        .address_space:  global
        .offset:         40
        .size:           8
        .value_kind:     global_buffer
      - .actual_access:  read_only
        .address_space:  global
        .offset:         48
        .size:           8
        .value_kind:     global_buffer
      - .offset:         56
        .size:           4
        .value_kind:     by_value
      - .actual_access:  read_only
        .address_space:  global
        .offset:         64
        .size:           8
        .value_kind:     global_buffer
      - .offset:         72
        .size:           4
        .value_kind:     by_value
      - .offset:         76
        .size:           4
        .value_kind:     by_value
      - .offset:         80
        .size:           4
        .value_kind:     by_value
      - .actual_access:  write_only
        .address_space:  global
        .offset:         88
        .size:           8
        .value_kind:     global_buffer
      - .actual_access:  write_only
        .address_space:  global
        .offset:         96
        .size:           8
        .value_kind:     global_buffer
      - .actual_access:  write_only
        .address_space:  global
        .offset:         104
        .size:           8
        .value_kind:     global_buffer
      - .actual_access:  read_only
        .address_space:  global
        .offset:         112
        .size:           8
        .value_kind:     global_buffer
      - .offset:         120
        .size:           4
        .value_kind:     by_value
      - .address_space:  global
        .offset:         128
        .size:           8
        .value_kind:     global_buffer
      - .address_space:  global
        .offset:         136
        .size:           8
        .value_kind:     global_buffer
      - .offset:         144
        .size:           4
        .value_kind:     hidden_block_count_x
      - .offset:         148
        .size:           4
        .value_kind:     hidden_block_count_y
      - .offset:         152
        .size:           4
        .value_kind:     hidden_block_count_z
      - .offset:         156
        .size:           2
        .value_kind:     hidden_group_size_x
      - .offset:         158
        .size:           2
        .value_kind:     hidden_group_size_y
      - .offset:         160
        .size:           2
        .value_kind:     hidden_group_size_z
      - .offset:         162
        .size:           2
        .value_kind:     hidden_remainder_x
      - .offset:         164
        .size:           2
        .value_kind:     hidden_remainder_y
      - .offset:         166
        .size:           2
        .value_kind:     hidden_remainder_z
      - .offset:         184
        .size:           8
        .value_kind:     hidden_global_offset_x
      - .offset:         192
        .size:           8
        .value_kind:     hidden_global_offset_y
      - .offset:         200
        .size:           8
        .value_kind:     hidden_global_offset_z
      - .offset:         208
        .size:           2
        .value_kind:     hidden_grid_dims
    .group_segment_fixed_size: 8192
    .kernarg_segment_align: 8
    .kernarg_segment_size: 400
    .language:       OpenCL C
    .language_version:
      - 2
      - 0
    .max_flat_workgroup_size: 256
    .name:           _Z39paged_attention_ll4mi_QKV_mfma16_kernelIDF16_hLN4vllm18Fp8KVCacheDataTypeE1EDF16_Li32ELi64ELi256ELb0ELi16EEvPKT_PKT0_S7_ifPKiS9_S9_iPKfiiiPfSC_PS2_PT2_iSB_SB_
    .private_segment_fixed_size: 0
    .sgpr_count:     55
    .sgpr_spill_count: 0
    .symbol:         _Z39paged_attention_ll4mi_QKV_mfma16_kernelIDF16_hLN4vllm18Fp8KVCacheDataTypeE1EDF16_Li32ELi64ELi256ELb0ELi16EEvPKT_PKT0_S7_ifPKiS9_S9_iPKfiiiPfSC_PS2_PT2_iSB_SB_.kd
    .uniform_work_group_size: 1
    .uses_dynamic_stack: false
    .vgpr_count:     55
    .vgpr_spill_count: 0
    .wavefront_size: 64
  - .agpr_count:     0
    .args:
      - .actual_access:  read_only
        .address_space:  global
        .offset:         0
        .size:           8
        .value_kind:     global_buffer
      - .actual_access:  read_only
        .address_space:  global
        .offset:         8
        .size:           8
        .value_kind:     global_buffer
      - .actual_access:  read_only
        .address_space:  global
        .offset:         16
        .size:           8
        .value_kind:     global_buffer
      - .offset:         24
        .size:           4
        .value_kind:     by_value
      - .offset:         28
        .size:           4
        .value_kind:     by_value
      - .actual_access:  read_only
        .address_space:  global
        .offset:         32
        .size:           8
        .value_kind:     global_buffer
      - .actual_access:  read_only
        .address_space:  global
        .offset:         40
        .size:           8
        .value_kind:     global_buffer
      - .actual_access:  read_only
        .address_space:  global
        .offset:         48
        .size:           8
        .value_kind:     global_buffer
      - .offset:         56
        .size:           4
        .value_kind:     by_value
      - .actual_access:  read_only
        .address_space:  global
        .offset:         64
        .size:           8
        .value_kind:     global_buffer
      - .offset:         72
        .size:           4
        .value_kind:     by_value
      - .offset:         76
        .size:           4
        .value_kind:     by_value
      - .offset:         80
        .size:           4
        .value_kind:     by_value
      - .actual_access:  write_only
        .address_space:  global
        .offset:         88
        .size:           8
        .value_kind:     global_buffer
      - .actual_access:  write_only
        .address_space:  global
        .offset:         96
        .size:           8
        .value_kind:     global_buffer
      - .actual_access:  write_only
        .address_space:  global
        .offset:         104
        .size:           8
        .value_kind:     global_buffer
      - .actual_access:  read_only
        .address_space:  global
        .offset:         112
        .size:           8
        .value_kind:     global_buffer
      - .offset:         120
        .size:           4
        .value_kind:     by_value
      - .address_space:  global
        .offset:         128
        .size:           8
        .value_kind:     global_buffer
      - .address_space:  global
        .offset:         136
        .size:           8
        .value_kind:     global_buffer
      - .offset:         144
        .size:           4
        .value_kind:     hidden_block_count_x
      - .offset:         148
        .size:           4
        .value_kind:     hidden_block_count_y
      - .offset:         152
        .size:           4
        .value_kind:     hidden_block_count_z
      - .offset:         156
        .size:           2
        .value_kind:     hidden_group_size_x
      - .offset:         158
        .size:           2
        .value_kind:     hidden_group_size_y
      - .offset:         160
        .size:           2
        .value_kind:     hidden_group_size_z
      - .offset:         162
        .size:           2
        .value_kind:     hidden_remainder_x
      - .offset:         164
        .size:           2
        .value_kind:     hidden_remainder_y
      - .offset:         166
        .size:           2
        .value_kind:     hidden_remainder_z
      - .offset:         184
        .size:           8
        .value_kind:     hidden_global_offset_x
      - .offset:         192
        .size:           8
        .value_kind:     hidden_global_offset_y
      - .offset:         200
        .size:           8
        .value_kind:     hidden_global_offset_z
      - .offset:         208
        .size:           2
        .value_kind:     hidden_grid_dims
    .group_segment_fixed_size: 8192
    .kernarg_segment_align: 8
    .kernarg_segment_size: 400
    .language:       OpenCL C
    .language_version:
      - 2
      - 0
    .max_flat_workgroup_size: 256
    .name:           _Z39paged_attention_ll4mi_QKV_mfma16_kernelIDF16_hLN4vllm18Fp8KVCacheDataTypeE1EDF16_Li32ELi64ELi256ELb0ELi1EEvPKT_PKT0_S7_ifPKiS9_S9_iPKfiiiPfSC_PS2_PT2_iSB_SB_
    .private_segment_fixed_size: 0
    .sgpr_count:     54
    .sgpr_spill_count: 0
    .symbol:         _Z39paged_attention_ll4mi_QKV_mfma16_kernelIDF16_hLN4vllm18Fp8KVCacheDataTypeE1EDF16_Li32ELi64ELi256ELb0ELi1EEvPKT_PKT0_S7_ifPKiS9_S9_iPKfiiiPfSC_PS2_PT2_iSB_SB_.kd
    .uniform_work_group_size: 1
    .uses_dynamic_stack: false
    .vgpr_count:     55
    .vgpr_spill_count: 0
    .wavefront_size: 64
  - .agpr_count:     0
    .args:
      - .actual_access:  read_only
        .address_space:  global
        .offset:         0
        .size:           8
        .value_kind:     global_buffer
      - .actual_access:  read_only
        .address_space:  global
        .offset:         8
        .size:           8
        .value_kind:     global_buffer
      - .actual_access:  read_only
        .address_space:  global
        .offset:         16
        .size:           8
        .value_kind:     global_buffer
      - .offset:         24
        .size:           4
        .value_kind:     by_value
      - .offset:         28
        .size:           4
        .value_kind:     by_value
      - .actual_access:  read_only
        .address_space:  global
        .offset:         32
        .size:           8
        .value_kind:     global_buffer
      - .actual_access:  read_only
        .address_space:  global
        .offset:         40
        .size:           8
        .value_kind:     global_buffer
      - .actual_access:  read_only
        .address_space:  global
        .offset:         48
        .size:           8
        .value_kind:     global_buffer
      - .offset:         56
        .size:           4
        .value_kind:     by_value
      - .actual_access:  read_only
        .address_space:  global
        .offset:         64
        .size:           8
        .value_kind:     global_buffer
      - .offset:         72
        .size:           4
        .value_kind:     by_value
      - .offset:         76
        .size:           4
        .value_kind:     by_value
      - .offset:         80
        .size:           4
        .value_kind:     by_value
      - .actual_access:  write_only
        .address_space:  global
        .offset:         88
        .size:           8
        .value_kind:     global_buffer
      - .actual_access:  write_only
        .address_space:  global
        .offset:         96
        .size:           8
        .value_kind:     global_buffer
      - .actual_access:  write_only
        .address_space:  global
        .offset:         104
        .size:           8
        .value_kind:     global_buffer
      - .actual_access:  read_only
        .address_space:  global
        .offset:         112
        .size:           8
        .value_kind:     global_buffer
      - .offset:         120
        .size:           4
        .value_kind:     by_value
      - .address_space:  global
        .offset:         128
        .size:           8
        .value_kind:     global_buffer
      - .address_space:  global
        .offset:         136
        .size:           8
        .value_kind:     global_buffer
      - .offset:         144
        .size:           4
        .value_kind:     hidden_block_count_x
      - .offset:         148
        .size:           4
        .value_kind:     hidden_block_count_y
      - .offset:         152
        .size:           4
        .value_kind:     hidden_block_count_z
      - .offset:         156
        .size:           2
        .value_kind:     hidden_group_size_x
      - .offset:         158
        .size:           2
        .value_kind:     hidden_group_size_y
      - .offset:         160
        .size:           2
        .value_kind:     hidden_group_size_z
      - .offset:         162
        .size:           2
        .value_kind:     hidden_remainder_x
      - .offset:         164
        .size:           2
        .value_kind:     hidden_remainder_y
      - .offset:         166
        .size:           2
        .value_kind:     hidden_remainder_z
      - .offset:         184
        .size:           8
        .value_kind:     hidden_global_offset_x
      - .offset:         192
        .size:           8
        .value_kind:     hidden_global_offset_y
      - .offset:         200
        .size:           8
        .value_kind:     hidden_global_offset_z
      - .offset:         208
        .size:           2
        .value_kind:     hidden_grid_dims
    .group_segment_fixed_size: 8192
    .kernarg_segment_align: 8
    .kernarg_segment_size: 400
    .language:       OpenCL C
    .language_version:
      - 2
      - 0
    .max_flat_workgroup_size: 256
    .name:           _Z39paged_attention_ll4mi_QKV_mfma16_kernelIDF16_hLN4vllm18Fp8KVCacheDataTypeE1EDF16_Li32ELi64ELi256ELb0ELi2EEvPKT_PKT0_S7_ifPKiS9_S9_iPKfiiiPfSC_PS2_PT2_iSB_SB_
    .private_segment_fixed_size: 0
    .sgpr_count:     55
    .sgpr_spill_count: 0
    .symbol:         _Z39paged_attention_ll4mi_QKV_mfma16_kernelIDF16_hLN4vllm18Fp8KVCacheDataTypeE1EDF16_Li32ELi64ELi256ELb0ELi2EEvPKT_PKT0_S7_ifPKiS9_S9_iPKfiiiPfSC_PS2_PT2_iSB_SB_.kd
    .uniform_work_group_size: 1
    .uses_dynamic_stack: false
    .vgpr_count:     54
    .vgpr_spill_count: 0
    .wavefront_size: 64
  - .agpr_count:     0
    .args:
      - .actual_access:  read_only
        .address_space:  global
        .offset:         0
        .size:           8
        .value_kind:     global_buffer
      - .actual_access:  read_only
        .address_space:  global
        .offset:         8
        .size:           8
        .value_kind:     global_buffer
      - .actual_access:  read_only
        .address_space:  global
        .offset:         16
        .size:           8
        .value_kind:     global_buffer
      - .offset:         24
        .size:           4
        .value_kind:     by_value
      - .offset:         28
        .size:           4
        .value_kind:     by_value
      - .actual_access:  read_only
        .address_space:  global
        .offset:         32
        .size:           8
        .value_kind:     global_buffer
      - .actual_access:  read_only
        .address_space:  global
        .offset:         40
        .size:           8
        .value_kind:     global_buffer
      - .actual_access:  read_only
        .address_space:  global
        .offset:         48
        .size:           8
        .value_kind:     global_buffer
      - .offset:         56
        .size:           4
        .value_kind:     by_value
      - .actual_access:  read_only
        .address_space:  global
        .offset:         64
        .size:           8
        .value_kind:     global_buffer
      - .offset:         72
        .size:           4
        .value_kind:     by_value
      - .offset:         76
        .size:           4
        .value_kind:     by_value
      - .offset:         80
        .size:           4
        .value_kind:     by_value
      - .actual_access:  write_only
        .address_space:  global
        .offset:         88
        .size:           8
        .value_kind:     global_buffer
      - .actual_access:  write_only
        .address_space:  global
        .offset:         96
        .size:           8
        .value_kind:     global_buffer
      - .actual_access:  write_only
        .address_space:  global
        .offset:         104
        .size:           8
        .value_kind:     global_buffer
      - .actual_access:  read_only
        .address_space:  global
        .offset:         112
        .size:           8
        .value_kind:     global_buffer
      - .offset:         120
        .size:           4
        .value_kind:     by_value
      - .address_space:  global
        .offset:         128
        .size:           8
        .value_kind:     global_buffer
      - .address_space:  global
        .offset:         136
        .size:           8
        .value_kind:     global_buffer
      - .offset:         144
        .size:           4
        .value_kind:     hidden_block_count_x
      - .offset:         148
        .size:           4
        .value_kind:     hidden_block_count_y
      - .offset:         152
        .size:           4
        .value_kind:     hidden_block_count_z
      - .offset:         156
        .size:           2
        .value_kind:     hidden_group_size_x
      - .offset:         158
        .size:           2
        .value_kind:     hidden_group_size_y
      - .offset:         160
        .size:           2
        .value_kind:     hidden_group_size_z
      - .offset:         162
        .size:           2
        .value_kind:     hidden_remainder_x
      - .offset:         164
        .size:           2
        .value_kind:     hidden_remainder_y
      - .offset:         166
        .size:           2
        .value_kind:     hidden_remainder_z
      - .offset:         184
        .size:           8
        .value_kind:     hidden_global_offset_x
      - .offset:         192
        .size:           8
        .value_kind:     hidden_global_offset_y
      - .offset:         200
        .size:           8
        .value_kind:     hidden_global_offset_z
      - .offset:         208
        .size:           2
        .value_kind:     hidden_grid_dims
    .group_segment_fixed_size: 8192
    .kernarg_segment_align: 8
    .kernarg_segment_size: 400
    .language:       OpenCL C
    .language_version:
      - 2
      - 0
    .max_flat_workgroup_size: 256
    .name:           _Z39paged_attention_ll4mi_QKV_mfma16_kernelIDF16_hLN4vllm18Fp8KVCacheDataTypeE1EDF16_Li32ELi64ELi256ELb0ELi3EEvPKT_PKT0_S7_ifPKiS9_S9_iPKfiiiPfSC_PS2_PT2_iSB_SB_
    .private_segment_fixed_size: 0
    .sgpr_count:     56
    .sgpr_spill_count: 0
    .symbol:         _Z39paged_attention_ll4mi_QKV_mfma16_kernelIDF16_hLN4vllm18Fp8KVCacheDataTypeE1EDF16_Li32ELi64ELi256ELb0ELi3EEvPKT_PKT0_S7_ifPKiS9_S9_iPKfiiiPfSC_PS2_PT2_iSB_SB_.kd
    .uniform_work_group_size: 1
    .uses_dynamic_stack: false
    .vgpr_count:     56
    .vgpr_spill_count: 0
    .wavefront_size: 64
  - .agpr_count:     0
    .args:
      - .actual_access:  read_only
        .address_space:  global
        .offset:         0
        .size:           8
        .value_kind:     global_buffer
      - .actual_access:  read_only
        .address_space:  global
        .offset:         8
        .size:           8
        .value_kind:     global_buffer
      - .actual_access:  read_only
        .address_space:  global
        .offset:         16
        .size:           8
        .value_kind:     global_buffer
      - .offset:         24
        .size:           4
        .value_kind:     by_value
      - .offset:         28
        .size:           4
        .value_kind:     by_value
      - .actual_access:  read_only
        .address_space:  global
        .offset:         32
        .size:           8
        .value_kind:     global_buffer
      - .actual_access:  read_only
        .address_space:  global
        .offset:         40
        .size:           8
        .value_kind:     global_buffer
      - .actual_access:  read_only
        .address_space:  global
        .offset:         48
        .size:           8
        .value_kind:     global_buffer
      - .offset:         56
        .size:           4
        .value_kind:     by_value
      - .actual_access:  read_only
        .address_space:  global
        .offset:         64
        .size:           8
        .value_kind:     global_buffer
      - .offset:         72
        .size:           4
        .value_kind:     by_value
      - .offset:         76
        .size:           4
        .value_kind:     by_value
      - .offset:         80
        .size:           4
        .value_kind:     by_value
      - .actual_access:  write_only
        .address_space:  global
        .offset:         88
        .size:           8
        .value_kind:     global_buffer
      - .actual_access:  write_only
        .address_space:  global
        .offset:         96
        .size:           8
        .value_kind:     global_buffer
      - .actual_access:  write_only
        .address_space:  global
        .offset:         104
        .size:           8
        .value_kind:     global_buffer
      - .actual_access:  read_only
        .address_space:  global
        .offset:         112
        .size:           8
        .value_kind:     global_buffer
      - .offset:         120
        .size:           4
        .value_kind:     by_value
      - .address_space:  global
        .offset:         128
        .size:           8
        .value_kind:     global_buffer
      - .address_space:  global
        .offset:         136
        .size:           8
        .value_kind:     global_buffer
      - .offset:         144
        .size:           4
        .value_kind:     hidden_block_count_x
      - .offset:         148
        .size:           4
        .value_kind:     hidden_block_count_y
      - .offset:         152
        .size:           4
        .value_kind:     hidden_block_count_z
      - .offset:         156
        .size:           2
        .value_kind:     hidden_group_size_x
      - .offset:         158
        .size:           2
        .value_kind:     hidden_group_size_y
      - .offset:         160
        .size:           2
        .value_kind:     hidden_group_size_z
      - .offset:         162
        .size:           2
        .value_kind:     hidden_remainder_x
      - .offset:         164
        .size:           2
        .value_kind:     hidden_remainder_y
      - .offset:         166
        .size:           2
        .value_kind:     hidden_remainder_z
      - .offset:         184
        .size:           8
        .value_kind:     hidden_global_offset_x
      - .offset:         192
        .size:           8
        .value_kind:     hidden_global_offset_y
      - .offset:         200
        .size:           8
        .value_kind:     hidden_global_offset_z
      - .offset:         208
        .size:           2
        .value_kind:     hidden_grid_dims
    .group_segment_fixed_size: 8192
    .kernarg_segment_align: 8
    .kernarg_segment_size: 400
    .language:       OpenCL C
    .language_version:
      - 2
      - 0
    .max_flat_workgroup_size: 256
    .name:           _Z39paged_attention_ll4mi_QKV_mfma16_kernelIDF16_hLN4vllm18Fp8KVCacheDataTypeE1EDF16_Li32ELi64ELi256ELb0ELi4EEvPKT_PKT0_S7_ifPKiS9_S9_iPKfiiiPfSC_PS2_PT2_iSB_SB_
    .private_segment_fixed_size: 0
    .sgpr_count:     56
    .sgpr_spill_count: 0
    .symbol:         _Z39paged_attention_ll4mi_QKV_mfma16_kernelIDF16_hLN4vllm18Fp8KVCacheDataTypeE1EDF16_Li32ELi64ELi256ELb0ELi4EEvPKT_PKT0_S7_ifPKiS9_S9_iPKfiiiPfSC_PS2_PT2_iSB_SB_.kd
    .uniform_work_group_size: 1
    .uses_dynamic_stack: false
    .vgpr_count:     56
    .vgpr_spill_count: 0
    .wavefront_size: 64
  - .agpr_count:     4
    .args:
      - .actual_access:  read_only
        .address_space:  global
        .offset:         0
        .size:           8
        .value_kind:     global_buffer
      - .actual_access:  read_only
        .address_space:  global
        .offset:         8
        .size:           8
        .value_kind:     global_buffer
      - .actual_access:  read_only
        .address_space:  global
        .offset:         16
        .size:           8
        .value_kind:     global_buffer
      - .offset:         24
        .size:           4
        .value_kind:     by_value
      - .offset:         28
        .size:           4
        .value_kind:     by_value
      - .actual_access:  read_only
        .address_space:  global
        .offset:         32
        .size:           8
        .value_kind:     global_buffer
      - .actual_access:  read_only
        .address_space:  global
        .offset:         40
        .size:           8
        .value_kind:     global_buffer
      - .actual_access:  read_only
        .address_space:  global
        .offset:         48
        .size:           8
        .value_kind:     global_buffer
      - .offset:         56
        .size:           4
        .value_kind:     by_value
      - .actual_access:  read_only
        .address_space:  global
        .offset:         64
        .size:           8
        .value_kind:     global_buffer
      - .offset:         72
        .size:           4
        .value_kind:     by_value
      - .offset:         76
        .size:           4
        .value_kind:     by_value
      - .offset:         80
        .size:           4
        .value_kind:     by_value
      - .actual_access:  write_only
        .address_space:  global
        .offset:         88
        .size:           8
        .value_kind:     global_buffer
      - .actual_access:  write_only
        .address_space:  global
        .offset:         96
        .size:           8
        .value_kind:     global_buffer
      - .actual_access:  write_only
        .address_space:  global
        .offset:         104
        .size:           8
        .value_kind:     global_buffer
      - .actual_access:  read_only
        .address_space:  global
        .offset:         112
        .size:           8
        .value_kind:     global_buffer
      - .offset:         120
        .size:           4
        .value_kind:     by_value
      - .address_space:  global
        .offset:         128
        .size:           8
        .value_kind:     global_buffer
      - .address_space:  global
        .offset:         136
        .size:           8
        .value_kind:     global_buffer
      - .offset:         144
        .size:           4
        .value_kind:     hidden_block_count_x
      - .offset:         148
        .size:           4
        .value_kind:     hidden_block_count_y
      - .offset:         152
        .size:           4
        .value_kind:     hidden_block_count_z
      - .offset:         156
        .size:           2
        .value_kind:     hidden_group_size_x
      - .offset:         158
        .size:           2
        .value_kind:     hidden_group_size_y
      - .offset:         160
        .size:           2
        .value_kind:     hidden_group_size_z
      - .offset:         162
        .size:           2
        .value_kind:     hidden_remainder_x
      - .offset:         164
        .size:           2
        .value_kind:     hidden_remainder_y
      - .offset:         166
        .size:           2
        .value_kind:     hidden_remainder_z
      - .offset:         184
        .size:           8
        .value_kind:     hidden_global_offset_x
      - .offset:         192
        .size:           8
        .value_kind:     hidden_global_offset_y
      - .offset:         200
        .size:           8
        .value_kind:     hidden_global_offset_z
      - .offset:         208
        .size:           2
        .value_kind:     hidden_grid_dims
    .group_segment_fixed_size: 5280
    .kernarg_segment_align: 8
    .kernarg_segment_size: 400
    .language:       OpenCL C
    .language_version:
      - 2
      - 0
    .max_flat_workgroup_size: 256
    .name:           _Z38paged_attention_ll4mi_QKV_mfma4_kernelIDF16_hLN4vllm18Fp8KVCacheDataTypeE1EhLi16ELi128ELi256ELb1ELi1EEvPKT_PKT0_S7_ifPKiS9_S9_iPKfiiiPfSC_PS2_PT2_iSB_SB_
    .private_segment_fixed_size: 0
    .sgpr_count:     48
    .sgpr_spill_count: 0
    .symbol:         _Z38paged_attention_ll4mi_QKV_mfma4_kernelIDF16_hLN4vllm18Fp8KVCacheDataTypeE1EhLi16ELi128ELi256ELb1ELi1EEvPKT_PKT0_S7_ifPKiS9_S9_iPKfiiiPfSC_PS2_PT2_iSB_SB_.kd
    .uniform_work_group_size: 1
    .uses_dynamic_stack: false
    .vgpr_count:     60
    .vgpr_spill_count: 0
    .wavefront_size: 64
  - .agpr_count:     4
    .args:
      - .actual_access:  read_only
        .address_space:  global
        .offset:         0
        .size:           8
        .value_kind:     global_buffer
      - .actual_access:  read_only
        .address_space:  global
        .offset:         8
        .size:           8
        .value_kind:     global_buffer
      - .actual_access:  read_only
        .address_space:  global
        .offset:         16
        .size:           8
        .value_kind:     global_buffer
      - .offset:         24
        .size:           4
        .value_kind:     by_value
      - .offset:         28
        .size:           4
        .value_kind:     by_value
      - .actual_access:  read_only
        .address_space:  global
        .offset:         32
        .size:           8
        .value_kind:     global_buffer
      - .actual_access:  read_only
        .address_space:  global
        .offset:         40
        .size:           8
        .value_kind:     global_buffer
      - .actual_access:  read_only
        .address_space:  global
        .offset:         48
        .size:           8
        .value_kind:     global_buffer
      - .offset:         56
        .size:           4
        .value_kind:     by_value
      - .actual_access:  read_only
        .address_space:  global
        .offset:         64
        .size:           8
        .value_kind:     global_buffer
      - .offset:         72
        .size:           4
        .value_kind:     by_value
      - .offset:         76
        .size:           4
        .value_kind:     by_value
      - .offset:         80
        .size:           4
        .value_kind:     by_value
      - .actual_access:  write_only
        .address_space:  global
        .offset:         88
        .size:           8
        .value_kind:     global_buffer
      - .actual_access:  write_only
        .address_space:  global
        .offset:         96
        .size:           8
        .value_kind:     global_buffer
      - .actual_access:  write_only
        .address_space:  global
        .offset:         104
        .size:           8
        .value_kind:     global_buffer
      - .actual_access:  read_only
        .address_space:  global
        .offset:         112
        .size:           8
        .value_kind:     global_buffer
      - .offset:         120
        .size:           4
        .value_kind:     by_value
      - .address_space:  global
        .offset:         128
        .size:           8
        .value_kind:     global_buffer
      - .address_space:  global
        .offset:         136
        .size:           8
        .value_kind:     global_buffer
      - .offset:         144
        .size:           4
        .value_kind:     hidden_block_count_x
      - .offset:         148
        .size:           4
        .value_kind:     hidden_block_count_y
      - .offset:         152
        .size:           4
        .value_kind:     hidden_block_count_z
      - .offset:         156
        .size:           2
        .value_kind:     hidden_group_size_x
      - .offset:         158
        .size:           2
        .value_kind:     hidden_group_size_y
      - .offset:         160
        .size:           2
        .value_kind:     hidden_group_size_z
      - .offset:         162
        .size:           2
        .value_kind:     hidden_remainder_x
      - .offset:         164
        .size:           2
        .value_kind:     hidden_remainder_y
      - .offset:         166
        .size:           2
        .value_kind:     hidden_remainder_z
      - .offset:         184
        .size:           8
        .value_kind:     hidden_global_offset_x
      - .offset:         192
        .size:           8
        .value_kind:     hidden_global_offset_y
      - .offset:         200
        .size:           8
        .value_kind:     hidden_global_offset_z
      - .offset:         208
        .size:           2
        .value_kind:     hidden_grid_dims
    .group_segment_fixed_size: 5280
    .kernarg_segment_align: 8
    .kernarg_segment_size: 400
    .language:       OpenCL C
    .language_version:
      - 2
      - 0
    .max_flat_workgroup_size: 256
    .name:           _Z38paged_attention_ll4mi_QKV_mfma4_kernelIDF16_hLN4vllm18Fp8KVCacheDataTypeE1EhLi16ELi128ELi256ELb1ELi2EEvPKT_PKT0_S7_ifPKiS9_S9_iPKfiiiPfSC_PS2_PT2_iSB_SB_
    .private_segment_fixed_size: 0
    .sgpr_count:     50
    .sgpr_spill_count: 0
    .symbol:         _Z38paged_attention_ll4mi_QKV_mfma4_kernelIDF16_hLN4vllm18Fp8KVCacheDataTypeE1EhLi16ELi128ELi256ELb1ELi2EEvPKT_PKT0_S7_ifPKiS9_S9_iPKfiiiPfSC_PS2_PT2_iSB_SB_.kd
    .uniform_work_group_size: 1
    .uses_dynamic_stack: false
    .vgpr_count:     60
    .vgpr_spill_count: 0
    .wavefront_size: 64
  - .agpr_count:     4
    .args:
      - .actual_access:  read_only
        .address_space:  global
        .offset:         0
        .size:           8
        .value_kind:     global_buffer
      - .actual_access:  read_only
        .address_space:  global
        .offset:         8
        .size:           8
        .value_kind:     global_buffer
      - .actual_access:  read_only
        .address_space:  global
        .offset:         16
        .size:           8
        .value_kind:     global_buffer
      - .offset:         24
        .size:           4
        .value_kind:     by_value
      - .offset:         28
        .size:           4
        .value_kind:     by_value
      - .actual_access:  read_only
        .address_space:  global
        .offset:         32
        .size:           8
        .value_kind:     global_buffer
      - .actual_access:  read_only
        .address_space:  global
        .offset:         40
        .size:           8
        .value_kind:     global_buffer
      - .actual_access:  read_only
        .address_space:  global
        .offset:         48
        .size:           8
        .value_kind:     global_buffer
      - .offset:         56
        .size:           4
        .value_kind:     by_value
      - .actual_access:  read_only
        .address_space:  global
        .offset:         64
        .size:           8
        .value_kind:     global_buffer
      - .offset:         72
        .size:           4
        .value_kind:     by_value
      - .offset:         76
        .size:           4
        .value_kind:     by_value
      - .offset:         80
        .size:           4
        .value_kind:     by_value
      - .actual_access:  write_only
        .address_space:  global
        .offset:         88
        .size:           8
        .value_kind:     global_buffer
      - .actual_access:  write_only
        .address_space:  global
        .offset:         96
        .size:           8
        .value_kind:     global_buffer
      - .actual_access:  write_only
        .address_space:  global
        .offset:         104
        .size:           8
        .value_kind:     global_buffer
      - .actual_access:  read_only
        .address_space:  global
        .offset:         112
        .size:           8
        .value_kind:     global_buffer
      - .offset:         120
        .size:           4
        .value_kind:     by_value
      - .address_space:  global
        .offset:         128
        .size:           8
        .value_kind:     global_buffer
      - .address_space:  global
        .offset:         136
        .size:           8
        .value_kind:     global_buffer
      - .offset:         144
        .size:           4
        .value_kind:     hidden_block_count_x
      - .offset:         148
        .size:           4
        .value_kind:     hidden_block_count_y
      - .offset:         152
        .size:           4
        .value_kind:     hidden_block_count_z
      - .offset:         156
        .size:           2
        .value_kind:     hidden_group_size_x
      - .offset:         158
        .size:           2
        .value_kind:     hidden_group_size_y
      - .offset:         160
        .size:           2
        .value_kind:     hidden_group_size_z
      - .offset:         162
        .size:           2
        .value_kind:     hidden_remainder_x
      - .offset:         164
        .size:           2
        .value_kind:     hidden_remainder_y
      - .offset:         166
        .size:           2
        .value_kind:     hidden_remainder_z
      - .offset:         184
        .size:           8
        .value_kind:     hidden_global_offset_x
      - .offset:         192
        .size:           8
        .value_kind:     hidden_global_offset_y
      - .offset:         200
        .size:           8
        .value_kind:     hidden_global_offset_z
      - .offset:         208
        .size:           2
        .value_kind:     hidden_grid_dims
    .group_segment_fixed_size: 5280
    .kernarg_segment_align: 8
    .kernarg_segment_size: 400
    .language:       OpenCL C
    .language_version:
      - 2
      - 0
    .max_flat_workgroup_size: 256
    .name:           _Z38paged_attention_ll4mi_QKV_mfma4_kernelIDF16_hLN4vllm18Fp8KVCacheDataTypeE1EhLi16ELi128ELi256ELb1ELi3EEvPKT_PKT0_S7_ifPKiS9_S9_iPKfiiiPfSC_PS2_PT2_iSB_SB_
    .private_segment_fixed_size: 0
    .sgpr_count:     50
    .sgpr_spill_count: 0
    .symbol:         _Z38paged_attention_ll4mi_QKV_mfma4_kernelIDF16_hLN4vllm18Fp8KVCacheDataTypeE1EhLi16ELi128ELi256ELb1ELi3EEvPKT_PKT0_S7_ifPKiS9_S9_iPKfiiiPfSC_PS2_PT2_iSB_SB_.kd
    .uniform_work_group_size: 1
    .uses_dynamic_stack: false
    .vgpr_count:     60
    .vgpr_spill_count: 0
    .wavefront_size: 64
  - .agpr_count:     4
    .args:
      - .actual_access:  read_only
        .address_space:  global
        .offset:         0
        .size:           8
        .value_kind:     global_buffer
      - .actual_access:  read_only
        .address_space:  global
        .offset:         8
        .size:           8
        .value_kind:     global_buffer
      - .actual_access:  read_only
        .address_space:  global
        .offset:         16
        .size:           8
        .value_kind:     global_buffer
      - .offset:         24
        .size:           4
        .value_kind:     by_value
      - .offset:         28
        .size:           4
        .value_kind:     by_value
      - .actual_access:  read_only
        .address_space:  global
        .offset:         32
        .size:           8
        .value_kind:     global_buffer
      - .actual_access:  read_only
        .address_space:  global
        .offset:         40
        .size:           8
        .value_kind:     global_buffer
      - .actual_access:  read_only
        .address_space:  global
        .offset:         48
        .size:           8
        .value_kind:     global_buffer
      - .offset:         56
        .size:           4
        .value_kind:     by_value
      - .actual_access:  read_only
        .address_space:  global
        .offset:         64
        .size:           8
        .value_kind:     global_buffer
      - .offset:         72
        .size:           4
        .value_kind:     by_value
      - .offset:         76
        .size:           4
        .value_kind:     by_value
      - .offset:         80
        .size:           4
        .value_kind:     by_value
      - .actual_access:  write_only
        .address_space:  global
        .offset:         88
        .size:           8
        .value_kind:     global_buffer
      - .actual_access:  write_only
        .address_space:  global
        .offset:         96
        .size:           8
        .value_kind:     global_buffer
      - .actual_access:  write_only
        .address_space:  global
        .offset:         104
        .size:           8
        .value_kind:     global_buffer
      - .actual_access:  read_only
        .address_space:  global
        .offset:         112
        .size:           8
        .value_kind:     global_buffer
      - .offset:         120
        .size:           4
        .value_kind:     by_value
      - .address_space:  global
        .offset:         128
        .size:           8
        .value_kind:     global_buffer
      - .address_space:  global
        .offset:         136
        .size:           8
        .value_kind:     global_buffer
      - .offset:         144
        .size:           4
        .value_kind:     hidden_block_count_x
      - .offset:         148
        .size:           4
        .value_kind:     hidden_block_count_y
      - .offset:         152
        .size:           4
        .value_kind:     hidden_block_count_z
      - .offset:         156
        .size:           2
        .value_kind:     hidden_group_size_x
      - .offset:         158
        .size:           2
        .value_kind:     hidden_group_size_y
      - .offset:         160
        .size:           2
        .value_kind:     hidden_group_size_z
      - .offset:         162
        .size:           2
        .value_kind:     hidden_remainder_x
      - .offset:         164
        .size:           2
        .value_kind:     hidden_remainder_y
      - .offset:         166
        .size:           2
        .value_kind:     hidden_remainder_z
      - .offset:         184
        .size:           8
        .value_kind:     hidden_global_offset_x
      - .offset:         192
        .size:           8
        .value_kind:     hidden_global_offset_y
      - .offset:         200
        .size:           8
        .value_kind:     hidden_global_offset_z
      - .offset:         208
        .size:           2
        .value_kind:     hidden_grid_dims
    .group_segment_fixed_size: 5280
    .kernarg_segment_align: 8
    .kernarg_segment_size: 400
    .language:       OpenCL C
    .language_version:
      - 2
      - 0
    .max_flat_workgroup_size: 256
    .name:           _Z38paged_attention_ll4mi_QKV_mfma4_kernelIDF16_hLN4vllm18Fp8KVCacheDataTypeE1EhLi16ELi128ELi256ELb1ELi4EEvPKT_PKT0_S7_ifPKiS9_S9_iPKfiiiPfSC_PS2_PT2_iSB_SB_
    .private_segment_fixed_size: 0
    .sgpr_count:     51
    .sgpr_spill_count: 0
    .symbol:         _Z38paged_attention_ll4mi_QKV_mfma4_kernelIDF16_hLN4vllm18Fp8KVCacheDataTypeE1EhLi16ELi128ELi256ELb1ELi4EEvPKT_PKT0_S7_ifPKiS9_S9_iPKfiiiPfSC_PS2_PT2_iSB_SB_.kd
    .uniform_work_group_size: 1
    .uses_dynamic_stack: false
    .vgpr_count:     88
    .vgpr_spill_count: 0
    .wavefront_size: 64
  - .agpr_count:     0
    .args:
      - .actual_access:  read_only
        .address_space:  global
        .offset:         0
        .size:           8
        .value_kind:     global_buffer
      - .actual_access:  read_only
        .address_space:  global
        .offset:         8
        .size:           8
        .value_kind:     global_buffer
      - .actual_access:  read_only
        .address_space:  global
        .offset:         16
        .size:           8
        .value_kind:     global_buffer
      - .offset:         24
        .size:           4
        .value_kind:     by_value
      - .offset:         28
        .size:           4
        .value_kind:     by_value
      - .actual_access:  read_only
        .address_space:  global
        .offset:         32
        .size:           8
        .value_kind:     global_buffer
      - .actual_access:  read_only
        .address_space:  global
        .offset:         40
        .size:           8
        .value_kind:     global_buffer
      - .actual_access:  read_only
        .address_space:  global
        .offset:         48
        .size:           8
        .value_kind:     global_buffer
      - .offset:         56
        .size:           4
        .value_kind:     by_value
      - .actual_access:  read_only
        .address_space:  global
        .offset:         64
        .size:           8
        .value_kind:     global_buffer
      - .offset:         72
        .size:           4
        .value_kind:     by_value
      - .offset:         76
        .size:           4
        .value_kind:     by_value
      - .offset:         80
        .size:           4
        .value_kind:     by_value
      - .actual_access:  write_only
        .address_space:  global
        .offset:         88
        .size:           8
        .value_kind:     global_buffer
      - .actual_access:  write_only
        .address_space:  global
        .offset:         96
        .size:           8
        .value_kind:     global_buffer
      - .actual_access:  write_only
        .address_space:  global
        .offset:         104
        .size:           8
        .value_kind:     global_buffer
      - .actual_access:  read_only
        .address_space:  global
        .offset:         112
        .size:           8
        .value_kind:     global_buffer
      - .offset:         120
        .size:           4
        .value_kind:     by_value
      - .address_space:  global
        .offset:         128
        .size:           8
        .value_kind:     global_buffer
      - .address_space:  global
        .offset:         136
        .size:           8
        .value_kind:     global_buffer
      - .offset:         144
        .size:           4
        .value_kind:     hidden_block_count_x
      - .offset:         148
        .size:           4
        .value_kind:     hidden_block_count_y
      - .offset:         152
        .size:           4
        .value_kind:     hidden_block_count_z
      - .offset:         156
        .size:           2
        .value_kind:     hidden_group_size_x
      - .offset:         158
        .size:           2
        .value_kind:     hidden_group_size_y
      - .offset:         160
        .size:           2
        .value_kind:     hidden_group_size_z
      - .offset:         162
        .size:           2
        .value_kind:     hidden_remainder_x
      - .offset:         164
        .size:           2
        .value_kind:     hidden_remainder_y
      - .offset:         166
        .size:           2
        .value_kind:     hidden_remainder_z
      - .offset:         184
        .size:           8
        .value_kind:     hidden_global_offset_x
      - .offset:         192
        .size:           8
        .value_kind:     hidden_global_offset_y
      - .offset:         200
        .size:           8
        .value_kind:     hidden_global_offset_z
      - .offset:         208
        .size:           2
        .value_kind:     hidden_grid_dims
    .group_segment_fixed_size: 8192
    .kernarg_segment_align: 8
    .kernarg_segment_size: 400
    .language:       OpenCL C
    .language_version:
      - 2
      - 0
    .max_flat_workgroup_size: 256
    .name:           _Z39paged_attention_ll4mi_QKV_mfma16_kernelIDF16_hLN4vllm18Fp8KVCacheDataTypeE1EhLi16ELi128ELi256ELb1ELi5EEvPKT_PKT0_S7_ifPKiS9_S9_iPKfiiiPfSC_PS2_PT2_iSB_SB_
    .private_segment_fixed_size: 0
    .sgpr_count:     56
    .sgpr_spill_count: 0
    .symbol:         _Z39paged_attention_ll4mi_QKV_mfma16_kernelIDF16_hLN4vllm18Fp8KVCacheDataTypeE1EhLi16ELi128ELi256ELb1ELi5EEvPKT_PKT0_S7_ifPKiS9_S9_iPKfiiiPfSC_PS2_PT2_iSB_SB_.kd
    .uniform_work_group_size: 1
    .uses_dynamic_stack: false
    .vgpr_count:     76
    .vgpr_spill_count: 0
    .wavefront_size: 64
  - .agpr_count:     0
    .args:
      - .actual_access:  read_only
        .address_space:  global
        .offset:         0
        .size:           8
        .value_kind:     global_buffer
      - .actual_access:  read_only
        .address_space:  global
        .offset:         8
        .size:           8
        .value_kind:     global_buffer
      - .actual_access:  read_only
        .address_space:  global
        .offset:         16
        .size:           8
        .value_kind:     global_buffer
      - .offset:         24
        .size:           4
        .value_kind:     by_value
      - .offset:         28
        .size:           4
        .value_kind:     by_value
      - .actual_access:  read_only
        .address_space:  global
        .offset:         32
        .size:           8
        .value_kind:     global_buffer
      - .actual_access:  read_only
        .address_space:  global
        .offset:         40
        .size:           8
        .value_kind:     global_buffer
      - .actual_access:  read_only
        .address_space:  global
        .offset:         48
        .size:           8
        .value_kind:     global_buffer
      - .offset:         56
        .size:           4
        .value_kind:     by_value
      - .actual_access:  read_only
        .address_space:  global
        .offset:         64
        .size:           8
        .value_kind:     global_buffer
      - .offset:         72
        .size:           4
        .value_kind:     by_value
      - .offset:         76
        .size:           4
        .value_kind:     by_value
      - .offset:         80
        .size:           4
        .value_kind:     by_value
      - .actual_access:  write_only
        .address_space:  global
        .offset:         88
        .size:           8
        .value_kind:     global_buffer
      - .actual_access:  write_only
        .address_space:  global
        .offset:         96
        .size:           8
        .value_kind:     global_buffer
      - .actual_access:  write_only
        .address_space:  global
        .offset:         104
        .size:           8
        .value_kind:     global_buffer
      - .actual_access:  read_only
        .address_space:  global
        .offset:         112
        .size:           8
        .value_kind:     global_buffer
      - .offset:         120
        .size:           4
        .value_kind:     by_value
      - .address_space:  global
        .offset:         128
        .size:           8
        .value_kind:     global_buffer
      - .address_space:  global
        .offset:         136
        .size:           8
        .value_kind:     global_buffer
      - .offset:         144
        .size:           4
        .value_kind:     hidden_block_count_x
      - .offset:         148
        .size:           4
        .value_kind:     hidden_block_count_y
      - .offset:         152
        .size:           4
        .value_kind:     hidden_block_count_z
      - .offset:         156
        .size:           2
        .value_kind:     hidden_group_size_x
      - .offset:         158
        .size:           2
        .value_kind:     hidden_group_size_y
      - .offset:         160
        .size:           2
        .value_kind:     hidden_group_size_z
      - .offset:         162
        .size:           2
        .value_kind:     hidden_remainder_x
      - .offset:         164
        .size:           2
        .value_kind:     hidden_remainder_y
      - .offset:         166
        .size:           2
        .value_kind:     hidden_remainder_z
      - .offset:         184
        .size:           8
        .value_kind:     hidden_global_offset_x
      - .offset:         192
        .size:           8
        .value_kind:     hidden_global_offset_y
      - .offset:         200
        .size:           8
        .value_kind:     hidden_global_offset_z
      - .offset:         208
        .size:           2
        .value_kind:     hidden_grid_dims
    .group_segment_fixed_size: 8192
    .kernarg_segment_align: 8
    .kernarg_segment_size: 400
    .language:       OpenCL C
    .language_version:
      - 2
      - 0
    .max_flat_workgroup_size: 256
    .name:           _Z39paged_attention_ll4mi_QKV_mfma16_kernelIDF16_hLN4vllm18Fp8KVCacheDataTypeE1EhLi16ELi128ELi256ELb1ELi6EEvPKT_PKT0_S7_ifPKiS9_S9_iPKfiiiPfSC_PS2_PT2_iSB_SB_
    .private_segment_fixed_size: 0
    .sgpr_count:     56
    .sgpr_spill_count: 0
    .symbol:         _Z39paged_attention_ll4mi_QKV_mfma16_kernelIDF16_hLN4vllm18Fp8KVCacheDataTypeE1EhLi16ELi128ELi256ELb1ELi6EEvPKT_PKT0_S7_ifPKiS9_S9_iPKfiiiPfSC_PS2_PT2_iSB_SB_.kd
    .uniform_work_group_size: 1
    .uses_dynamic_stack: false
    .vgpr_count:     76
    .vgpr_spill_count: 0
    .wavefront_size: 64
  - .agpr_count:     0
    .args:
      - .actual_access:  read_only
        .address_space:  global
        .offset:         0
        .size:           8
        .value_kind:     global_buffer
      - .actual_access:  read_only
        .address_space:  global
        .offset:         8
        .size:           8
        .value_kind:     global_buffer
      - .actual_access:  read_only
        .address_space:  global
        .offset:         16
        .size:           8
        .value_kind:     global_buffer
      - .offset:         24
        .size:           4
        .value_kind:     by_value
      - .offset:         28
        .size:           4
        .value_kind:     by_value
      - .actual_access:  read_only
        .address_space:  global
        .offset:         32
        .size:           8
        .value_kind:     global_buffer
      - .actual_access:  read_only
        .address_space:  global
        .offset:         40
        .size:           8
        .value_kind:     global_buffer
      - .actual_access:  read_only
        .address_space:  global
        .offset:         48
        .size:           8
        .value_kind:     global_buffer
      - .offset:         56
        .size:           4
        .value_kind:     by_value
      - .actual_access:  read_only
        .address_space:  global
        .offset:         64
        .size:           8
        .value_kind:     global_buffer
      - .offset:         72
        .size:           4
        .value_kind:     by_value
      - .offset:         76
        .size:           4
        .value_kind:     by_value
      - .offset:         80
        .size:           4
        .value_kind:     by_value
      - .actual_access:  write_only
        .address_space:  global
        .offset:         88
        .size:           8
        .value_kind:     global_buffer
      - .actual_access:  write_only
        .address_space:  global
        .offset:         96
        .size:           8
        .value_kind:     global_buffer
      - .actual_access:  write_only
        .address_space:  global
        .offset:         104
        .size:           8
        .value_kind:     global_buffer
      - .actual_access:  read_only
        .address_space:  global
        .offset:         112
        .size:           8
        .value_kind:     global_buffer
      - .offset:         120
        .size:           4
        .value_kind:     by_value
      - .address_space:  global
        .offset:         128
        .size:           8
        .value_kind:     global_buffer
      - .address_space:  global
        .offset:         136
        .size:           8
        .value_kind:     global_buffer
      - .offset:         144
        .size:           4
        .value_kind:     hidden_block_count_x
      - .offset:         148
        .size:           4
        .value_kind:     hidden_block_count_y
      - .offset:         152
        .size:           4
        .value_kind:     hidden_block_count_z
      - .offset:         156
        .size:           2
        .value_kind:     hidden_group_size_x
      - .offset:         158
        .size:           2
        .value_kind:     hidden_group_size_y
      - .offset:         160
        .size:           2
        .value_kind:     hidden_group_size_z
      - .offset:         162
        .size:           2
        .value_kind:     hidden_remainder_x
      - .offset:         164
        .size:           2
        .value_kind:     hidden_remainder_y
      - .offset:         166
        .size:           2
        .value_kind:     hidden_remainder_z
      - .offset:         184
        .size:           8
        .value_kind:     hidden_global_offset_x
      - .offset:         192
        .size:           8
        .value_kind:     hidden_global_offset_y
      - .offset:         200
        .size:           8
        .value_kind:     hidden_global_offset_z
      - .offset:         208
        .size:           2
        .value_kind:     hidden_grid_dims
    .group_segment_fixed_size: 8192
    .kernarg_segment_align: 8
    .kernarg_segment_size: 400
    .language:       OpenCL C
    .language_version:
      - 2
      - 0
    .max_flat_workgroup_size: 256
    .name:           _Z39paged_attention_ll4mi_QKV_mfma16_kernelIDF16_hLN4vllm18Fp8KVCacheDataTypeE1EhLi16ELi128ELi256ELb1ELi7EEvPKT_PKT0_S7_ifPKiS9_S9_iPKfiiiPfSC_PS2_PT2_iSB_SB_
    .private_segment_fixed_size: 0
    .sgpr_count:     56
    .sgpr_spill_count: 0
    .symbol:         _Z39paged_attention_ll4mi_QKV_mfma16_kernelIDF16_hLN4vllm18Fp8KVCacheDataTypeE1EhLi16ELi128ELi256ELb1ELi7EEvPKT_PKT0_S7_ifPKiS9_S9_iPKfiiiPfSC_PS2_PT2_iSB_SB_.kd
    .uniform_work_group_size: 1
    .uses_dynamic_stack: false
    .vgpr_count:     76
    .vgpr_spill_count: 0
    .wavefront_size: 64
  - .agpr_count:     0
    .args:
      - .actual_access:  read_only
        .address_space:  global
        .offset:         0
        .size:           8
        .value_kind:     global_buffer
      - .actual_access:  read_only
        .address_space:  global
        .offset:         8
        .size:           8
        .value_kind:     global_buffer
      - .actual_access:  read_only
        .address_space:  global
        .offset:         16
        .size:           8
        .value_kind:     global_buffer
      - .offset:         24
        .size:           4
        .value_kind:     by_value
      - .offset:         28
        .size:           4
        .value_kind:     by_value
      - .actual_access:  read_only
        .address_space:  global
        .offset:         32
        .size:           8
        .value_kind:     global_buffer
      - .actual_access:  read_only
        .address_space:  global
        .offset:         40
        .size:           8
        .value_kind:     global_buffer
      - .actual_access:  read_only
        .address_space:  global
        .offset:         48
        .size:           8
        .value_kind:     global_buffer
      - .offset:         56
        .size:           4
        .value_kind:     by_value
      - .actual_access:  read_only
        .address_space:  global
        .offset:         64
        .size:           8
        .value_kind:     global_buffer
      - .offset:         72
        .size:           4
        .value_kind:     by_value
      - .offset:         76
        .size:           4
        .value_kind:     by_value
      - .offset:         80
        .size:           4
        .value_kind:     by_value
      - .actual_access:  write_only
        .address_space:  global
        .offset:         88
        .size:           8
        .value_kind:     global_buffer
      - .actual_access:  write_only
        .address_space:  global
        .offset:         96
        .size:           8
        .value_kind:     global_buffer
      - .actual_access:  write_only
        .address_space:  global
        .offset:         104
        .size:           8
        .value_kind:     global_buffer
      - .actual_access:  read_only
        .address_space:  global
        .offset:         112
        .size:           8
        .value_kind:     global_buffer
      - .offset:         120
        .size:           4
        .value_kind:     by_value
      - .address_space:  global
        .offset:         128
        .size:           8
        .value_kind:     global_buffer
      - .address_space:  global
        .offset:         136
        .size:           8
        .value_kind:     global_buffer
      - .offset:         144
        .size:           4
        .value_kind:     hidden_block_count_x
      - .offset:         148
        .size:           4
        .value_kind:     hidden_block_count_y
      - .offset:         152
        .size:           4
        .value_kind:     hidden_block_count_z
      - .offset:         156
        .size:           2
        .value_kind:     hidden_group_size_x
      - .offset:         158
        .size:           2
        .value_kind:     hidden_group_size_y
      - .offset:         160
        .size:           2
        .value_kind:     hidden_group_size_z
      - .offset:         162
        .size:           2
        .value_kind:     hidden_remainder_x
      - .offset:         164
        .size:           2
        .value_kind:     hidden_remainder_y
      - .offset:         166
        .size:           2
        .value_kind:     hidden_remainder_z
      - .offset:         184
        .size:           8
        .value_kind:     hidden_global_offset_x
      - .offset:         192
        .size:           8
        .value_kind:     hidden_global_offset_y
      - .offset:         200
        .size:           8
        .value_kind:     hidden_global_offset_z
      - .offset:         208
        .size:           2
        .value_kind:     hidden_grid_dims
    .group_segment_fixed_size: 8192
    .kernarg_segment_align: 8
    .kernarg_segment_size: 400
    .language:       OpenCL C
    .language_version:
      - 2
      - 0
    .max_flat_workgroup_size: 256
    .name:           _Z39paged_attention_ll4mi_QKV_mfma16_kernelIDF16_hLN4vllm18Fp8KVCacheDataTypeE1EhLi16ELi128ELi256ELb1ELi8EEvPKT_PKT0_S7_ifPKiS9_S9_iPKfiiiPfSC_PS2_PT2_iSB_SB_
    .private_segment_fixed_size: 0
    .sgpr_count:     54
    .sgpr_spill_count: 0
    .symbol:         _Z39paged_attention_ll4mi_QKV_mfma16_kernelIDF16_hLN4vllm18Fp8KVCacheDataTypeE1EhLi16ELi128ELi256ELb1ELi8EEvPKT_PKT0_S7_ifPKiS9_S9_iPKfiiiPfSC_PS2_PT2_iSB_SB_.kd
    .uniform_work_group_size: 1
    .uses_dynamic_stack: false
    .vgpr_count:     80
    .vgpr_spill_count: 0
    .wavefront_size: 64
  - .agpr_count:     0
    .args:
      - .actual_access:  read_only
        .address_space:  global
        .offset:         0
        .size:           8
        .value_kind:     global_buffer
      - .actual_access:  read_only
        .address_space:  global
        .offset:         8
        .size:           8
        .value_kind:     global_buffer
      - .actual_access:  read_only
        .address_space:  global
        .offset:         16
        .size:           8
        .value_kind:     global_buffer
      - .offset:         24
        .size:           4
        .value_kind:     by_value
      - .offset:         28
        .size:           4
        .value_kind:     by_value
      - .actual_access:  read_only
        .address_space:  global
        .offset:         32
        .size:           8
        .value_kind:     global_buffer
      - .actual_access:  read_only
        .address_space:  global
        .offset:         40
        .size:           8
        .value_kind:     global_buffer
      - .actual_access:  read_only
        .address_space:  global
        .offset:         48
        .size:           8
        .value_kind:     global_buffer
      - .offset:         56
        .size:           4
        .value_kind:     by_value
      - .actual_access:  read_only
        .address_space:  global
        .offset:         64
        .size:           8
        .value_kind:     global_buffer
      - .offset:         72
        .size:           4
        .value_kind:     by_value
      - .offset:         76
        .size:           4
        .value_kind:     by_value
      - .offset:         80
        .size:           4
        .value_kind:     by_value
      - .actual_access:  write_only
        .address_space:  global
        .offset:         88
        .size:           8
        .value_kind:     global_buffer
      - .actual_access:  write_only
        .address_space:  global
        .offset:         96
        .size:           8
        .value_kind:     global_buffer
      - .actual_access:  write_only
        .address_space:  global
        .offset:         104
        .size:           8
        .value_kind:     global_buffer
      - .actual_access:  read_only
        .address_space:  global
        .offset:         112
        .size:           8
        .value_kind:     global_buffer
      - .offset:         120
        .size:           4
        .value_kind:     by_value
      - .address_space:  global
        .offset:         128
        .size:           8
        .value_kind:     global_buffer
      - .address_space:  global
        .offset:         136
        .size:           8
        .value_kind:     global_buffer
      - .offset:         144
        .size:           4
        .value_kind:     hidden_block_count_x
      - .offset:         148
        .size:           4
        .value_kind:     hidden_block_count_y
      - .offset:         152
        .size:           4
        .value_kind:     hidden_block_count_z
      - .offset:         156
        .size:           2
        .value_kind:     hidden_group_size_x
      - .offset:         158
        .size:           2
        .value_kind:     hidden_group_size_y
      - .offset:         160
        .size:           2
        .value_kind:     hidden_group_size_z
      - .offset:         162
        .size:           2
        .value_kind:     hidden_remainder_x
      - .offset:         164
        .size:           2
        .value_kind:     hidden_remainder_y
      - .offset:         166
        .size:           2
        .value_kind:     hidden_remainder_z
      - .offset:         184
        .size:           8
        .value_kind:     hidden_global_offset_x
      - .offset:         192
        .size:           8
        .value_kind:     hidden_global_offset_y
      - .offset:         200
        .size:           8
        .value_kind:     hidden_global_offset_z
      - .offset:         208
        .size:           2
        .value_kind:     hidden_grid_dims
    .group_segment_fixed_size: 8192
    .kernarg_segment_align: 8
    .kernarg_segment_size: 400
    .language:       OpenCL C
    .language_version:
      - 2
      - 0
    .max_flat_workgroup_size: 256
    .name:           _Z39paged_attention_ll4mi_QKV_mfma16_kernelIDF16_hLN4vllm18Fp8KVCacheDataTypeE1EhLi16ELi128ELi256ELb1ELi9EEvPKT_PKT0_S7_ifPKiS9_S9_iPKfiiiPfSC_PS2_PT2_iSB_SB_
    .private_segment_fixed_size: 0
    .sgpr_count:     56
    .sgpr_spill_count: 0
    .symbol:         _Z39paged_attention_ll4mi_QKV_mfma16_kernelIDF16_hLN4vllm18Fp8KVCacheDataTypeE1EhLi16ELi128ELi256ELb1ELi9EEvPKT_PKT0_S7_ifPKiS9_S9_iPKfiiiPfSC_PS2_PT2_iSB_SB_.kd
    .uniform_work_group_size: 1
    .uses_dynamic_stack: false
    .vgpr_count:     76
    .vgpr_spill_count: 0
    .wavefront_size: 64
  - .agpr_count:     0
    .args:
      - .actual_access:  read_only
        .address_space:  global
        .offset:         0
        .size:           8
        .value_kind:     global_buffer
      - .actual_access:  read_only
        .address_space:  global
        .offset:         8
        .size:           8
        .value_kind:     global_buffer
      - .actual_access:  read_only
        .address_space:  global
        .offset:         16
        .size:           8
        .value_kind:     global_buffer
      - .offset:         24
        .size:           4
        .value_kind:     by_value
      - .offset:         28
        .size:           4
        .value_kind:     by_value
      - .actual_access:  read_only
        .address_space:  global
        .offset:         32
        .size:           8
        .value_kind:     global_buffer
      - .actual_access:  read_only
        .address_space:  global
        .offset:         40
        .size:           8
        .value_kind:     global_buffer
      - .actual_access:  read_only
        .address_space:  global
        .offset:         48
        .size:           8
        .value_kind:     global_buffer
      - .offset:         56
        .size:           4
        .value_kind:     by_value
      - .actual_access:  read_only
        .address_space:  global
        .offset:         64
        .size:           8
        .value_kind:     global_buffer
      - .offset:         72
        .size:           4
        .value_kind:     by_value
      - .offset:         76
        .size:           4
        .value_kind:     by_value
      - .offset:         80
        .size:           4
        .value_kind:     by_value
      - .actual_access:  write_only
        .address_space:  global
        .offset:         88
        .size:           8
        .value_kind:     global_buffer
      - .actual_access:  write_only
        .address_space:  global
        .offset:         96
        .size:           8
        .value_kind:     global_buffer
      - .actual_access:  write_only
        .address_space:  global
        .offset:         104
        .size:           8
        .value_kind:     global_buffer
      - .actual_access:  read_only
        .address_space:  global
        .offset:         112
        .size:           8
        .value_kind:     global_buffer
      - .offset:         120
        .size:           4
        .value_kind:     by_value
      - .address_space:  global
        .offset:         128
        .size:           8
        .value_kind:     global_buffer
      - .address_space:  global
        .offset:         136
        .size:           8
        .value_kind:     global_buffer
      - .offset:         144
        .size:           4
        .value_kind:     hidden_block_count_x
      - .offset:         148
        .size:           4
        .value_kind:     hidden_block_count_y
      - .offset:         152
        .size:           4
        .value_kind:     hidden_block_count_z
      - .offset:         156
        .size:           2
        .value_kind:     hidden_group_size_x
      - .offset:         158
        .size:           2
        .value_kind:     hidden_group_size_y
      - .offset:         160
        .size:           2
        .value_kind:     hidden_group_size_z
      - .offset:         162
        .size:           2
        .value_kind:     hidden_remainder_x
      - .offset:         164
        .size:           2
        .value_kind:     hidden_remainder_y
      - .offset:         166
        .size:           2
        .value_kind:     hidden_remainder_z
      - .offset:         184
        .size:           8
        .value_kind:     hidden_global_offset_x
      - .offset:         192
        .size:           8
        .value_kind:     hidden_global_offset_y
      - .offset:         200
        .size:           8
        .value_kind:     hidden_global_offset_z
      - .offset:         208
        .size:           2
        .value_kind:     hidden_grid_dims
    .group_segment_fixed_size: 8192
    .kernarg_segment_align: 8
    .kernarg_segment_size: 400
    .language:       OpenCL C
    .language_version:
      - 2
      - 0
    .max_flat_workgroup_size: 256
    .name:           _Z39paged_attention_ll4mi_QKV_mfma16_kernelIDF16_hLN4vllm18Fp8KVCacheDataTypeE1EhLi16ELi128ELi256ELb1ELi10EEvPKT_PKT0_S7_ifPKiS9_S9_iPKfiiiPfSC_PS2_PT2_iSB_SB_
    .private_segment_fixed_size: 0
    .sgpr_count:     56
    .sgpr_spill_count: 0
    .symbol:         _Z39paged_attention_ll4mi_QKV_mfma16_kernelIDF16_hLN4vllm18Fp8KVCacheDataTypeE1EhLi16ELi128ELi256ELb1ELi10EEvPKT_PKT0_S7_ifPKiS9_S9_iPKfiiiPfSC_PS2_PT2_iSB_SB_.kd
    .uniform_work_group_size: 1
    .uses_dynamic_stack: false
    .vgpr_count:     76
    .vgpr_spill_count: 0
    .wavefront_size: 64
  - .agpr_count:     0
    .args:
      - .actual_access:  read_only
        .address_space:  global
        .offset:         0
        .size:           8
        .value_kind:     global_buffer
      - .actual_access:  read_only
        .address_space:  global
        .offset:         8
        .size:           8
        .value_kind:     global_buffer
      - .actual_access:  read_only
        .address_space:  global
        .offset:         16
        .size:           8
        .value_kind:     global_buffer
      - .offset:         24
        .size:           4
        .value_kind:     by_value
      - .offset:         28
        .size:           4
        .value_kind:     by_value
      - .actual_access:  read_only
        .address_space:  global
        .offset:         32
        .size:           8
        .value_kind:     global_buffer
      - .actual_access:  read_only
        .address_space:  global
        .offset:         40
        .size:           8
        .value_kind:     global_buffer
      - .actual_access:  read_only
        .address_space:  global
        .offset:         48
        .size:           8
        .value_kind:     global_buffer
      - .offset:         56
        .size:           4
        .value_kind:     by_value
      - .actual_access:  read_only
        .address_space:  global
        .offset:         64
        .size:           8
        .value_kind:     global_buffer
      - .offset:         72
        .size:           4
        .value_kind:     by_value
      - .offset:         76
        .size:           4
        .value_kind:     by_value
      - .offset:         80
        .size:           4
        .value_kind:     by_value
      - .actual_access:  write_only
        .address_space:  global
        .offset:         88
        .size:           8
        .value_kind:     global_buffer
      - .actual_access:  write_only
        .address_space:  global
        .offset:         96
        .size:           8
        .value_kind:     global_buffer
      - .actual_access:  write_only
        .address_space:  global
        .offset:         104
        .size:           8
        .value_kind:     global_buffer
      - .actual_access:  read_only
        .address_space:  global
        .offset:         112
        .size:           8
        .value_kind:     global_buffer
      - .offset:         120
        .size:           4
        .value_kind:     by_value
      - .address_space:  global
        .offset:         128
        .size:           8
        .value_kind:     global_buffer
      - .address_space:  global
        .offset:         136
        .size:           8
        .value_kind:     global_buffer
      - .offset:         144
        .size:           4
        .value_kind:     hidden_block_count_x
      - .offset:         148
        .size:           4
        .value_kind:     hidden_block_count_y
      - .offset:         152
        .size:           4
        .value_kind:     hidden_block_count_z
      - .offset:         156
        .size:           2
        .value_kind:     hidden_group_size_x
      - .offset:         158
        .size:           2
        .value_kind:     hidden_group_size_y
      - .offset:         160
        .size:           2
        .value_kind:     hidden_group_size_z
      - .offset:         162
        .size:           2
        .value_kind:     hidden_remainder_x
      - .offset:         164
        .size:           2
        .value_kind:     hidden_remainder_y
      - .offset:         166
        .size:           2
        .value_kind:     hidden_remainder_z
      - .offset:         184
        .size:           8
        .value_kind:     hidden_global_offset_x
      - .offset:         192
        .size:           8
        .value_kind:     hidden_global_offset_y
      - .offset:         200
        .size:           8
        .value_kind:     hidden_global_offset_z
      - .offset:         208
        .size:           2
        .value_kind:     hidden_grid_dims
    .group_segment_fixed_size: 8192
    .kernarg_segment_align: 8
    .kernarg_segment_size: 400
    .language:       OpenCL C
    .language_version:
      - 2
      - 0
    .max_flat_workgroup_size: 256
    .name:           _Z39paged_attention_ll4mi_QKV_mfma16_kernelIDF16_hLN4vllm18Fp8KVCacheDataTypeE1EhLi16ELi128ELi256ELb1ELi11EEvPKT_PKT0_S7_ifPKiS9_S9_iPKfiiiPfSC_PS2_PT2_iSB_SB_
    .private_segment_fixed_size: 0
    .sgpr_count:     56
    .sgpr_spill_count: 0
    .symbol:         _Z39paged_attention_ll4mi_QKV_mfma16_kernelIDF16_hLN4vllm18Fp8KVCacheDataTypeE1EhLi16ELi128ELi256ELb1ELi11EEvPKT_PKT0_S7_ifPKiS9_S9_iPKfiiiPfSC_PS2_PT2_iSB_SB_.kd
    .uniform_work_group_size: 1
    .uses_dynamic_stack: false
    .vgpr_count:     76
    .vgpr_spill_count: 0
    .wavefront_size: 64
  - .agpr_count:     0
    .args:
      - .actual_access:  read_only
        .address_space:  global
        .offset:         0
        .size:           8
        .value_kind:     global_buffer
      - .actual_access:  read_only
        .address_space:  global
        .offset:         8
        .size:           8
        .value_kind:     global_buffer
      - .actual_access:  read_only
        .address_space:  global
        .offset:         16
        .size:           8
        .value_kind:     global_buffer
      - .offset:         24
        .size:           4
        .value_kind:     by_value
      - .offset:         28
        .size:           4
        .value_kind:     by_value
      - .actual_access:  read_only
        .address_space:  global
        .offset:         32
        .size:           8
        .value_kind:     global_buffer
      - .actual_access:  read_only
        .address_space:  global
        .offset:         40
        .size:           8
        .value_kind:     global_buffer
      - .actual_access:  read_only
        .address_space:  global
        .offset:         48
        .size:           8
        .value_kind:     global_buffer
      - .offset:         56
        .size:           4
        .value_kind:     by_value
      - .actual_access:  read_only
        .address_space:  global
        .offset:         64
        .size:           8
        .value_kind:     global_buffer
      - .offset:         72
        .size:           4
        .value_kind:     by_value
      - .offset:         76
        .size:           4
        .value_kind:     by_value
      - .offset:         80
        .size:           4
        .value_kind:     by_value
      - .actual_access:  write_only
        .address_space:  global
        .offset:         88
        .size:           8
        .value_kind:     global_buffer
      - .actual_access:  write_only
        .address_space:  global
        .offset:         96
        .size:           8
        .value_kind:     global_buffer
      - .actual_access:  write_only
        .address_space:  global
        .offset:         104
        .size:           8
        .value_kind:     global_buffer
      - .actual_access:  read_only
        .address_space:  global
        .offset:         112
        .size:           8
        .value_kind:     global_buffer
      - .offset:         120
        .size:           4
        .value_kind:     by_value
      - .address_space:  global
        .offset:         128
        .size:           8
        .value_kind:     global_buffer
      - .address_space:  global
        .offset:         136
        .size:           8
        .value_kind:     global_buffer
      - .offset:         144
        .size:           4
        .value_kind:     hidden_block_count_x
      - .offset:         148
        .size:           4
        .value_kind:     hidden_block_count_y
      - .offset:         152
        .size:           4
        .value_kind:     hidden_block_count_z
      - .offset:         156
        .size:           2
        .value_kind:     hidden_group_size_x
      - .offset:         158
        .size:           2
        .value_kind:     hidden_group_size_y
      - .offset:         160
        .size:           2
        .value_kind:     hidden_group_size_z
      - .offset:         162
        .size:           2
        .value_kind:     hidden_remainder_x
      - .offset:         164
        .size:           2
        .value_kind:     hidden_remainder_y
      - .offset:         166
        .size:           2
        .value_kind:     hidden_remainder_z
      - .offset:         184
        .size:           8
        .value_kind:     hidden_global_offset_x
      - .offset:         192
        .size:           8
        .value_kind:     hidden_global_offset_y
      - .offset:         200
        .size:           8
        .value_kind:     hidden_global_offset_z
      - .offset:         208
        .size:           2
        .value_kind:     hidden_grid_dims
    .group_segment_fixed_size: 8192
    .kernarg_segment_align: 8
    .kernarg_segment_size: 400
    .language:       OpenCL C
    .language_version:
      - 2
      - 0
    .max_flat_workgroup_size: 256
    .name:           _Z39paged_attention_ll4mi_QKV_mfma16_kernelIDF16_hLN4vllm18Fp8KVCacheDataTypeE1EhLi16ELi128ELi256ELb1ELi12EEvPKT_PKT0_S7_ifPKiS9_S9_iPKfiiiPfSC_PS2_PT2_iSB_SB_
    .private_segment_fixed_size: 0
    .sgpr_count:     56
    .sgpr_spill_count: 0
    .symbol:         _Z39paged_attention_ll4mi_QKV_mfma16_kernelIDF16_hLN4vllm18Fp8KVCacheDataTypeE1EhLi16ELi128ELi256ELb1ELi12EEvPKT_PKT0_S7_ifPKiS9_S9_iPKfiiiPfSC_PS2_PT2_iSB_SB_.kd
    .uniform_work_group_size: 1
    .uses_dynamic_stack: false
    .vgpr_count:     76
    .vgpr_spill_count: 0
    .wavefront_size: 64
  - .agpr_count:     0
    .args:
      - .actual_access:  read_only
        .address_space:  global
        .offset:         0
        .size:           8
        .value_kind:     global_buffer
      - .actual_access:  read_only
        .address_space:  global
        .offset:         8
        .size:           8
        .value_kind:     global_buffer
      - .actual_access:  read_only
        .address_space:  global
        .offset:         16
        .size:           8
        .value_kind:     global_buffer
      - .offset:         24
        .size:           4
        .value_kind:     by_value
      - .offset:         28
        .size:           4
        .value_kind:     by_value
      - .actual_access:  read_only
        .address_space:  global
        .offset:         32
        .size:           8
        .value_kind:     global_buffer
      - .actual_access:  read_only
        .address_space:  global
        .offset:         40
        .size:           8
        .value_kind:     global_buffer
      - .actual_access:  read_only
        .address_space:  global
        .offset:         48
        .size:           8
        .value_kind:     global_buffer
      - .offset:         56
        .size:           4
        .value_kind:     by_value
      - .actual_access:  read_only
        .address_space:  global
        .offset:         64
        .size:           8
        .value_kind:     global_buffer
      - .offset:         72
        .size:           4
        .value_kind:     by_value
      - .offset:         76
        .size:           4
        .value_kind:     by_value
      - .offset:         80
        .size:           4
        .value_kind:     by_value
      - .actual_access:  write_only
        .address_space:  global
        .offset:         88
        .size:           8
        .value_kind:     global_buffer
      - .actual_access:  write_only
        .address_space:  global
        .offset:         96
        .size:           8
        .value_kind:     global_buffer
      - .actual_access:  write_only
        .address_space:  global
        .offset:         104
        .size:           8
        .value_kind:     global_buffer
      - .actual_access:  read_only
        .address_space:  global
        .offset:         112
        .size:           8
        .value_kind:     global_buffer
      - .offset:         120
        .size:           4
        .value_kind:     by_value
      - .address_space:  global
        .offset:         128
        .size:           8
        .value_kind:     global_buffer
      - .address_space:  global
        .offset:         136
        .size:           8
        .value_kind:     global_buffer
      - .offset:         144
        .size:           4
        .value_kind:     hidden_block_count_x
      - .offset:         148
        .size:           4
        .value_kind:     hidden_block_count_y
      - .offset:         152
        .size:           4
        .value_kind:     hidden_block_count_z
      - .offset:         156
        .size:           2
        .value_kind:     hidden_group_size_x
      - .offset:         158
        .size:           2
        .value_kind:     hidden_group_size_y
      - .offset:         160
        .size:           2
        .value_kind:     hidden_group_size_z
      - .offset:         162
        .size:           2
        .value_kind:     hidden_remainder_x
      - .offset:         164
        .size:           2
        .value_kind:     hidden_remainder_y
      - .offset:         166
        .size:           2
        .value_kind:     hidden_remainder_z
      - .offset:         184
        .size:           8
        .value_kind:     hidden_global_offset_x
      - .offset:         192
        .size:           8
        .value_kind:     hidden_global_offset_y
      - .offset:         200
        .size:           8
        .value_kind:     hidden_global_offset_z
      - .offset:         208
        .size:           2
        .value_kind:     hidden_grid_dims
    .group_segment_fixed_size: 8192
    .kernarg_segment_align: 8
    .kernarg_segment_size: 400
    .language:       OpenCL C
    .language_version:
      - 2
      - 0
    .max_flat_workgroup_size: 256
    .name:           _Z39paged_attention_ll4mi_QKV_mfma16_kernelIDF16_hLN4vllm18Fp8KVCacheDataTypeE1EhLi16ELi128ELi256ELb1ELi13EEvPKT_PKT0_S7_ifPKiS9_S9_iPKfiiiPfSC_PS2_PT2_iSB_SB_
    .private_segment_fixed_size: 0
    .sgpr_count:     56
    .sgpr_spill_count: 0
    .symbol:         _Z39paged_attention_ll4mi_QKV_mfma16_kernelIDF16_hLN4vllm18Fp8KVCacheDataTypeE1EhLi16ELi128ELi256ELb1ELi13EEvPKT_PKT0_S7_ifPKiS9_S9_iPKfiiiPfSC_PS2_PT2_iSB_SB_.kd
    .uniform_work_group_size: 1
    .uses_dynamic_stack: false
    .vgpr_count:     76
    .vgpr_spill_count: 0
    .wavefront_size: 64
  - .agpr_count:     0
    .args:
      - .actual_access:  read_only
        .address_space:  global
        .offset:         0
        .size:           8
        .value_kind:     global_buffer
      - .actual_access:  read_only
        .address_space:  global
        .offset:         8
        .size:           8
        .value_kind:     global_buffer
      - .actual_access:  read_only
        .address_space:  global
        .offset:         16
        .size:           8
        .value_kind:     global_buffer
      - .offset:         24
        .size:           4
        .value_kind:     by_value
      - .offset:         28
        .size:           4
        .value_kind:     by_value
      - .actual_access:  read_only
        .address_space:  global
        .offset:         32
        .size:           8
        .value_kind:     global_buffer
      - .actual_access:  read_only
        .address_space:  global
        .offset:         40
        .size:           8
        .value_kind:     global_buffer
      - .actual_access:  read_only
        .address_space:  global
        .offset:         48
        .size:           8
        .value_kind:     global_buffer
      - .offset:         56
        .size:           4
        .value_kind:     by_value
      - .actual_access:  read_only
        .address_space:  global
        .offset:         64
        .size:           8
        .value_kind:     global_buffer
      - .offset:         72
        .size:           4
        .value_kind:     by_value
      - .offset:         76
        .size:           4
        .value_kind:     by_value
      - .offset:         80
        .size:           4
        .value_kind:     by_value
      - .actual_access:  write_only
        .address_space:  global
        .offset:         88
        .size:           8
        .value_kind:     global_buffer
      - .actual_access:  write_only
        .address_space:  global
        .offset:         96
        .size:           8
        .value_kind:     global_buffer
      - .actual_access:  write_only
        .address_space:  global
        .offset:         104
        .size:           8
        .value_kind:     global_buffer
      - .actual_access:  read_only
        .address_space:  global
        .offset:         112
        .size:           8
        .value_kind:     global_buffer
      - .offset:         120
        .size:           4
        .value_kind:     by_value
      - .address_space:  global
        .offset:         128
        .size:           8
        .value_kind:     global_buffer
      - .address_space:  global
        .offset:         136
        .size:           8
        .value_kind:     global_buffer
      - .offset:         144
        .size:           4
        .value_kind:     hidden_block_count_x
      - .offset:         148
        .size:           4
        .value_kind:     hidden_block_count_y
      - .offset:         152
        .size:           4
        .value_kind:     hidden_block_count_z
      - .offset:         156
        .size:           2
        .value_kind:     hidden_group_size_x
      - .offset:         158
        .size:           2
        .value_kind:     hidden_group_size_y
      - .offset:         160
        .size:           2
        .value_kind:     hidden_group_size_z
      - .offset:         162
        .size:           2
        .value_kind:     hidden_remainder_x
      - .offset:         164
        .size:           2
        .value_kind:     hidden_remainder_y
      - .offset:         166
        .size:           2
        .value_kind:     hidden_remainder_z
      - .offset:         184
        .size:           8
        .value_kind:     hidden_global_offset_x
      - .offset:         192
        .size:           8
        .value_kind:     hidden_global_offset_y
      - .offset:         200
        .size:           8
        .value_kind:     hidden_global_offset_z
      - .offset:         208
        .size:           2
        .value_kind:     hidden_grid_dims
    .group_segment_fixed_size: 8192
    .kernarg_segment_align: 8
    .kernarg_segment_size: 400
    .language:       OpenCL C
    .language_version:
      - 2
      - 0
    .max_flat_workgroup_size: 256
    .name:           _Z39paged_attention_ll4mi_QKV_mfma16_kernelIDF16_hLN4vllm18Fp8KVCacheDataTypeE1EhLi16ELi128ELi256ELb1ELi14EEvPKT_PKT0_S7_ifPKiS9_S9_iPKfiiiPfSC_PS2_PT2_iSB_SB_
    .private_segment_fixed_size: 0
    .sgpr_count:     56
    .sgpr_spill_count: 0
    .symbol:         _Z39paged_attention_ll4mi_QKV_mfma16_kernelIDF16_hLN4vllm18Fp8KVCacheDataTypeE1EhLi16ELi128ELi256ELb1ELi14EEvPKT_PKT0_S7_ifPKiS9_S9_iPKfiiiPfSC_PS2_PT2_iSB_SB_.kd
    .uniform_work_group_size: 1
    .uses_dynamic_stack: false
    .vgpr_count:     76
    .vgpr_spill_count: 0
    .wavefront_size: 64
  - .agpr_count:     0
    .args:
      - .actual_access:  read_only
        .address_space:  global
        .offset:         0
        .size:           8
        .value_kind:     global_buffer
      - .actual_access:  read_only
        .address_space:  global
        .offset:         8
        .size:           8
        .value_kind:     global_buffer
      - .actual_access:  read_only
        .address_space:  global
        .offset:         16
        .size:           8
        .value_kind:     global_buffer
      - .offset:         24
        .size:           4
        .value_kind:     by_value
      - .offset:         28
        .size:           4
        .value_kind:     by_value
      - .actual_access:  read_only
        .address_space:  global
        .offset:         32
        .size:           8
        .value_kind:     global_buffer
      - .actual_access:  read_only
        .address_space:  global
        .offset:         40
        .size:           8
        .value_kind:     global_buffer
      - .actual_access:  read_only
        .address_space:  global
        .offset:         48
        .size:           8
        .value_kind:     global_buffer
      - .offset:         56
        .size:           4
        .value_kind:     by_value
      - .actual_access:  read_only
        .address_space:  global
        .offset:         64
        .size:           8
        .value_kind:     global_buffer
      - .offset:         72
        .size:           4
        .value_kind:     by_value
      - .offset:         76
        .size:           4
        .value_kind:     by_value
      - .offset:         80
        .size:           4
        .value_kind:     by_value
      - .actual_access:  write_only
        .address_space:  global
        .offset:         88
        .size:           8
        .value_kind:     global_buffer
      - .actual_access:  write_only
        .address_space:  global
        .offset:         96
        .size:           8
        .value_kind:     global_buffer
      - .actual_access:  write_only
        .address_space:  global
        .offset:         104
        .size:           8
        .value_kind:     global_buffer
      - .actual_access:  read_only
        .address_space:  global
        .offset:         112
        .size:           8
        .value_kind:     global_buffer
      - .offset:         120
        .size:           4
        .value_kind:     by_value
      - .address_space:  global
        .offset:         128
        .size:           8
        .value_kind:     global_buffer
      - .address_space:  global
        .offset:         136
        .size:           8
        .value_kind:     global_buffer
      - .offset:         144
        .size:           4
        .value_kind:     hidden_block_count_x
      - .offset:         148
        .size:           4
        .value_kind:     hidden_block_count_y
      - .offset:         152
        .size:           4
        .value_kind:     hidden_block_count_z
      - .offset:         156
        .size:           2
        .value_kind:     hidden_group_size_x
      - .offset:         158
        .size:           2
        .value_kind:     hidden_group_size_y
      - .offset:         160
        .size:           2
        .value_kind:     hidden_group_size_z
      - .offset:         162
        .size:           2
        .value_kind:     hidden_remainder_x
      - .offset:         164
        .size:           2
        .value_kind:     hidden_remainder_y
      - .offset:         166
        .size:           2
        .value_kind:     hidden_remainder_z
      - .offset:         184
        .size:           8
        .value_kind:     hidden_global_offset_x
      - .offset:         192
        .size:           8
        .value_kind:     hidden_global_offset_y
      - .offset:         200
        .size:           8
        .value_kind:     hidden_global_offset_z
      - .offset:         208
        .size:           2
        .value_kind:     hidden_grid_dims
    .group_segment_fixed_size: 8192
    .kernarg_segment_align: 8
    .kernarg_segment_size: 400
    .language:       OpenCL C
    .language_version:
      - 2
      - 0
    .max_flat_workgroup_size: 256
    .name:           _Z39paged_attention_ll4mi_QKV_mfma16_kernelIDF16_hLN4vllm18Fp8KVCacheDataTypeE1EhLi16ELi128ELi256ELb1ELi15EEvPKT_PKT0_S7_ifPKiS9_S9_iPKfiiiPfSC_PS2_PT2_iSB_SB_
    .private_segment_fixed_size: 0
    .sgpr_count:     56
    .sgpr_spill_count: 0
    .symbol:         _Z39paged_attention_ll4mi_QKV_mfma16_kernelIDF16_hLN4vllm18Fp8KVCacheDataTypeE1EhLi16ELi128ELi256ELb1ELi15EEvPKT_PKT0_S7_ifPKiS9_S9_iPKfiiiPfSC_PS2_PT2_iSB_SB_.kd
    .uniform_work_group_size: 1
    .uses_dynamic_stack: false
    .vgpr_count:     76
    .vgpr_spill_count: 0
    .wavefront_size: 64
  - .agpr_count:     0
    .args:
      - .actual_access:  read_only
        .address_space:  global
        .offset:         0
        .size:           8
        .value_kind:     global_buffer
      - .actual_access:  read_only
        .address_space:  global
        .offset:         8
        .size:           8
        .value_kind:     global_buffer
      - .actual_access:  read_only
        .address_space:  global
        .offset:         16
        .size:           8
        .value_kind:     global_buffer
      - .offset:         24
        .size:           4
        .value_kind:     by_value
      - .offset:         28
        .size:           4
        .value_kind:     by_value
      - .actual_access:  read_only
        .address_space:  global
        .offset:         32
        .size:           8
        .value_kind:     global_buffer
      - .actual_access:  read_only
        .address_space:  global
        .offset:         40
        .size:           8
        .value_kind:     global_buffer
      - .actual_access:  read_only
        .address_space:  global
        .offset:         48
        .size:           8
        .value_kind:     global_buffer
      - .offset:         56
        .size:           4
        .value_kind:     by_value
      - .actual_access:  read_only
        .address_space:  global
        .offset:         64
        .size:           8
        .value_kind:     global_buffer
      - .offset:         72
        .size:           4
        .value_kind:     by_value
      - .offset:         76
        .size:           4
        .value_kind:     by_value
      - .offset:         80
        .size:           4
        .value_kind:     by_value
      - .actual_access:  write_only
        .address_space:  global
        .offset:         88
        .size:           8
        .value_kind:     global_buffer
      - .actual_access:  write_only
        .address_space:  global
        .offset:         96
        .size:           8
        .value_kind:     global_buffer
      - .actual_access:  write_only
        .address_space:  global
        .offset:         104
        .size:           8
        .value_kind:     global_buffer
      - .actual_access:  read_only
        .address_space:  global
        .offset:         112
        .size:           8
        .value_kind:     global_buffer
      - .offset:         120
        .size:           4
        .value_kind:     by_value
      - .address_space:  global
        .offset:         128
        .size:           8
        .value_kind:     global_buffer
      - .address_space:  global
        .offset:         136
        .size:           8
        .value_kind:     global_buffer
      - .offset:         144
        .size:           4
        .value_kind:     hidden_block_count_x
      - .offset:         148
        .size:           4
        .value_kind:     hidden_block_count_y
      - .offset:         152
        .size:           4
        .value_kind:     hidden_block_count_z
      - .offset:         156
        .size:           2
        .value_kind:     hidden_group_size_x
      - .offset:         158
        .size:           2
        .value_kind:     hidden_group_size_y
      - .offset:         160
        .size:           2
        .value_kind:     hidden_group_size_z
      - .offset:         162
        .size:           2
        .value_kind:     hidden_remainder_x
      - .offset:         164
        .size:           2
        .value_kind:     hidden_remainder_y
      - .offset:         166
        .size:           2
        .value_kind:     hidden_remainder_z
      - .offset:         184
        .size:           8
        .value_kind:     hidden_global_offset_x
      - .offset:         192
        .size:           8
        .value_kind:     hidden_global_offset_y
      - .offset:         200
        .size:           8
        .value_kind:     hidden_global_offset_z
      - .offset:         208
        .size:           2
        .value_kind:     hidden_grid_dims
    .group_segment_fixed_size: 8192
    .kernarg_segment_align: 8
    .kernarg_segment_size: 400
    .language:       OpenCL C
    .language_version:
      - 2
      - 0
    .max_flat_workgroup_size: 256
    .name:           _Z39paged_attention_ll4mi_QKV_mfma16_kernelIDF16_hLN4vllm18Fp8KVCacheDataTypeE1EhLi16ELi128ELi256ELb1ELi16EEvPKT_PKT0_S7_ifPKiS9_S9_iPKfiiiPfSC_PS2_PT2_iSB_SB_
    .private_segment_fixed_size: 0
    .sgpr_count:     54
    .sgpr_spill_count: 0
    .symbol:         _Z39paged_attention_ll4mi_QKV_mfma16_kernelIDF16_hLN4vllm18Fp8KVCacheDataTypeE1EhLi16ELi128ELi256ELb1ELi16EEvPKT_PKT0_S7_ifPKiS9_S9_iPKfiiiPfSC_PS2_PT2_iSB_SB_.kd
    .uniform_work_group_size: 1
    .uses_dynamic_stack: false
    .vgpr_count:     94
    .vgpr_spill_count: 0
    .wavefront_size: 64
  - .agpr_count:     0
    .args:
      - .actual_access:  read_only
        .address_space:  global
        .offset:         0
        .size:           8
        .value_kind:     global_buffer
      - .actual_access:  read_only
        .address_space:  global
        .offset:         8
        .size:           8
        .value_kind:     global_buffer
      - .actual_access:  read_only
        .address_space:  global
        .offset:         16
        .size:           8
        .value_kind:     global_buffer
      - .offset:         24
        .size:           4
        .value_kind:     by_value
      - .offset:         28
        .size:           4
        .value_kind:     by_value
      - .actual_access:  read_only
        .address_space:  global
        .offset:         32
        .size:           8
        .value_kind:     global_buffer
      - .actual_access:  read_only
        .address_space:  global
        .offset:         40
        .size:           8
        .value_kind:     global_buffer
      - .actual_access:  read_only
        .address_space:  global
        .offset:         48
        .size:           8
        .value_kind:     global_buffer
      - .offset:         56
        .size:           4
        .value_kind:     by_value
      - .actual_access:  read_only
        .address_space:  global
        .offset:         64
        .size:           8
        .value_kind:     global_buffer
      - .offset:         72
        .size:           4
        .value_kind:     by_value
      - .offset:         76
        .size:           4
        .value_kind:     by_value
      - .offset:         80
        .size:           4
        .value_kind:     by_value
      - .actual_access:  write_only
        .address_space:  global
        .offset:         88
        .size:           8
        .value_kind:     global_buffer
      - .actual_access:  write_only
        .address_space:  global
        .offset:         96
        .size:           8
        .value_kind:     global_buffer
      - .actual_access:  write_only
        .address_space:  global
        .offset:         104
        .size:           8
        .value_kind:     global_buffer
      - .actual_access:  read_only
        .address_space:  global
        .offset:         112
        .size:           8
        .value_kind:     global_buffer
      - .offset:         120
        .size:           4
        .value_kind:     by_value
      - .address_space:  global
        .offset:         128
        .size:           8
        .value_kind:     global_buffer
      - .address_space:  global
        .offset:         136
        .size:           8
        .value_kind:     global_buffer
      - .offset:         144
        .size:           4
        .value_kind:     hidden_block_count_x
      - .offset:         148
        .size:           4
        .value_kind:     hidden_block_count_y
      - .offset:         152
        .size:           4
        .value_kind:     hidden_block_count_z
      - .offset:         156
        .size:           2
        .value_kind:     hidden_group_size_x
      - .offset:         158
        .size:           2
        .value_kind:     hidden_group_size_y
      - .offset:         160
        .size:           2
        .value_kind:     hidden_group_size_z
      - .offset:         162
        .size:           2
        .value_kind:     hidden_remainder_x
      - .offset:         164
        .size:           2
        .value_kind:     hidden_remainder_y
      - .offset:         166
        .size:           2
        .value_kind:     hidden_remainder_z
      - .offset:         184
        .size:           8
        .value_kind:     hidden_global_offset_x
      - .offset:         192
        .size:           8
        .value_kind:     hidden_global_offset_y
      - .offset:         200
        .size:           8
        .value_kind:     hidden_global_offset_z
      - .offset:         208
        .size:           2
        .value_kind:     hidden_grid_dims
    .group_segment_fixed_size: 8192
    .kernarg_segment_align: 8
    .kernarg_segment_size: 400
    .language:       OpenCL C
    .language_version:
      - 2
      - 0
    .max_flat_workgroup_size: 256
    .name:           _Z39paged_attention_ll4mi_QKV_mfma16_kernelIDF16_hLN4vllm18Fp8KVCacheDataTypeE1EhLi16ELi128ELi256ELb1ELi1EEvPKT_PKT0_S7_ifPKiS9_S9_iPKfiiiPfSC_PS2_PT2_iSB_SB_
    .private_segment_fixed_size: 0
    .sgpr_count:     54
    .sgpr_spill_count: 0
    .symbol:         _Z39paged_attention_ll4mi_QKV_mfma16_kernelIDF16_hLN4vllm18Fp8KVCacheDataTypeE1EhLi16ELi128ELi256ELb1ELi1EEvPKT_PKT0_S7_ifPKiS9_S9_iPKfiiiPfSC_PS2_PT2_iSB_SB_.kd
    .uniform_work_group_size: 1
    .uses_dynamic_stack: false
    .vgpr_count:     80
    .vgpr_spill_count: 0
    .wavefront_size: 64
  - .agpr_count:     0
    .args:
      - .actual_access:  read_only
        .address_space:  global
        .offset:         0
        .size:           8
        .value_kind:     global_buffer
      - .actual_access:  read_only
        .address_space:  global
        .offset:         8
        .size:           8
        .value_kind:     global_buffer
      - .actual_access:  read_only
        .address_space:  global
        .offset:         16
        .size:           8
        .value_kind:     global_buffer
      - .offset:         24
        .size:           4
        .value_kind:     by_value
      - .offset:         28
        .size:           4
        .value_kind:     by_value
      - .actual_access:  read_only
        .address_space:  global
        .offset:         32
        .size:           8
        .value_kind:     global_buffer
      - .actual_access:  read_only
        .address_space:  global
        .offset:         40
        .size:           8
        .value_kind:     global_buffer
      - .actual_access:  read_only
        .address_space:  global
        .offset:         48
        .size:           8
        .value_kind:     global_buffer
      - .offset:         56
        .size:           4
        .value_kind:     by_value
      - .actual_access:  read_only
        .address_space:  global
        .offset:         64
        .size:           8
        .value_kind:     global_buffer
      - .offset:         72
        .size:           4
        .value_kind:     by_value
      - .offset:         76
        .size:           4
        .value_kind:     by_value
      - .offset:         80
        .size:           4
        .value_kind:     by_value
      - .actual_access:  write_only
        .address_space:  global
        .offset:         88
        .size:           8
        .value_kind:     global_buffer
      - .actual_access:  write_only
        .address_space:  global
        .offset:         96
        .size:           8
        .value_kind:     global_buffer
      - .actual_access:  write_only
        .address_space:  global
        .offset:         104
        .size:           8
        .value_kind:     global_buffer
      - .actual_access:  read_only
        .address_space:  global
        .offset:         112
        .size:           8
        .value_kind:     global_buffer
      - .offset:         120
        .size:           4
        .value_kind:     by_value
      - .address_space:  global
        .offset:         128
        .size:           8
        .value_kind:     global_buffer
      - .address_space:  global
        .offset:         136
        .size:           8
        .value_kind:     global_buffer
      - .offset:         144
        .size:           4
        .value_kind:     hidden_block_count_x
      - .offset:         148
        .size:           4
        .value_kind:     hidden_block_count_y
      - .offset:         152
        .size:           4
        .value_kind:     hidden_block_count_z
      - .offset:         156
        .size:           2
        .value_kind:     hidden_group_size_x
      - .offset:         158
        .size:           2
        .value_kind:     hidden_group_size_y
      - .offset:         160
        .size:           2
        .value_kind:     hidden_group_size_z
      - .offset:         162
        .size:           2
        .value_kind:     hidden_remainder_x
      - .offset:         164
        .size:           2
        .value_kind:     hidden_remainder_y
      - .offset:         166
        .size:           2
        .value_kind:     hidden_remainder_z
      - .offset:         184
        .size:           8
        .value_kind:     hidden_global_offset_x
      - .offset:         192
        .size:           8
        .value_kind:     hidden_global_offset_y
      - .offset:         200
        .size:           8
        .value_kind:     hidden_global_offset_z
      - .offset:         208
        .size:           2
        .value_kind:     hidden_grid_dims
    .group_segment_fixed_size: 8192
    .kernarg_segment_align: 8
    .kernarg_segment_size: 400
    .language:       OpenCL C
    .language_version:
      - 2
      - 0
    .max_flat_workgroup_size: 256
    .name:           _Z39paged_attention_ll4mi_QKV_mfma16_kernelIDF16_hLN4vllm18Fp8KVCacheDataTypeE1EhLi16ELi128ELi256ELb1ELi2EEvPKT_PKT0_S7_ifPKiS9_S9_iPKfiiiPfSC_PS2_PT2_iSB_SB_
    .private_segment_fixed_size: 0
    .sgpr_count:     54
    .sgpr_spill_count: 0
    .symbol:         _Z39paged_attention_ll4mi_QKV_mfma16_kernelIDF16_hLN4vllm18Fp8KVCacheDataTypeE1EhLi16ELi128ELi256ELb1ELi2EEvPKT_PKT0_S7_ifPKiS9_S9_iPKfiiiPfSC_PS2_PT2_iSB_SB_.kd
    .uniform_work_group_size: 1
    .uses_dynamic_stack: false
    .vgpr_count:     80
    .vgpr_spill_count: 0
    .wavefront_size: 64
  - .agpr_count:     0
    .args:
      - .actual_access:  read_only
        .address_space:  global
        .offset:         0
        .size:           8
        .value_kind:     global_buffer
      - .actual_access:  read_only
        .address_space:  global
        .offset:         8
        .size:           8
        .value_kind:     global_buffer
      - .actual_access:  read_only
        .address_space:  global
        .offset:         16
        .size:           8
        .value_kind:     global_buffer
      - .offset:         24
        .size:           4
        .value_kind:     by_value
      - .offset:         28
        .size:           4
        .value_kind:     by_value
      - .actual_access:  read_only
        .address_space:  global
        .offset:         32
        .size:           8
        .value_kind:     global_buffer
      - .actual_access:  read_only
        .address_space:  global
        .offset:         40
        .size:           8
        .value_kind:     global_buffer
      - .actual_access:  read_only
        .address_space:  global
        .offset:         48
        .size:           8
        .value_kind:     global_buffer
      - .offset:         56
        .size:           4
        .value_kind:     by_value
      - .actual_access:  read_only
        .address_space:  global
        .offset:         64
        .size:           8
        .value_kind:     global_buffer
      - .offset:         72
        .size:           4
        .value_kind:     by_value
      - .offset:         76
        .size:           4
        .value_kind:     by_value
      - .offset:         80
        .size:           4
        .value_kind:     by_value
      - .actual_access:  write_only
        .address_space:  global
        .offset:         88
        .size:           8
        .value_kind:     global_buffer
      - .actual_access:  write_only
        .address_space:  global
        .offset:         96
        .size:           8
        .value_kind:     global_buffer
      - .actual_access:  write_only
        .address_space:  global
        .offset:         104
        .size:           8
        .value_kind:     global_buffer
      - .actual_access:  read_only
        .address_space:  global
        .offset:         112
        .size:           8
        .value_kind:     global_buffer
      - .offset:         120
        .size:           4
        .value_kind:     by_value
      - .address_space:  global
        .offset:         128
        .size:           8
        .value_kind:     global_buffer
      - .address_space:  global
        .offset:         136
        .size:           8
        .value_kind:     global_buffer
      - .offset:         144
        .size:           4
        .value_kind:     hidden_block_count_x
      - .offset:         148
        .size:           4
        .value_kind:     hidden_block_count_y
      - .offset:         152
        .size:           4
        .value_kind:     hidden_block_count_z
      - .offset:         156
        .size:           2
        .value_kind:     hidden_group_size_x
      - .offset:         158
        .size:           2
        .value_kind:     hidden_group_size_y
      - .offset:         160
        .size:           2
        .value_kind:     hidden_group_size_z
      - .offset:         162
        .size:           2
        .value_kind:     hidden_remainder_x
      - .offset:         164
        .size:           2
        .value_kind:     hidden_remainder_y
      - .offset:         166
        .size:           2
        .value_kind:     hidden_remainder_z
      - .offset:         184
        .size:           8
        .value_kind:     hidden_global_offset_x
      - .offset:         192
        .size:           8
        .value_kind:     hidden_global_offset_y
      - .offset:         200
        .size:           8
        .value_kind:     hidden_global_offset_z
      - .offset:         208
        .size:           2
        .value_kind:     hidden_grid_dims
    .group_segment_fixed_size: 8192
    .kernarg_segment_align: 8
    .kernarg_segment_size: 400
    .language:       OpenCL C
    .language_version:
      - 2
      - 0
    .max_flat_workgroup_size: 256
    .name:           _Z39paged_attention_ll4mi_QKV_mfma16_kernelIDF16_hLN4vllm18Fp8KVCacheDataTypeE1EhLi16ELi128ELi256ELb1ELi3EEvPKT_PKT0_S7_ifPKiS9_S9_iPKfiiiPfSC_PS2_PT2_iSB_SB_
    .private_segment_fixed_size: 0
    .sgpr_count:     56
    .sgpr_spill_count: 0
    .symbol:         _Z39paged_attention_ll4mi_QKV_mfma16_kernelIDF16_hLN4vllm18Fp8KVCacheDataTypeE1EhLi16ELi128ELi256ELb1ELi3EEvPKT_PKT0_S7_ifPKiS9_S9_iPKfiiiPfSC_PS2_PT2_iSB_SB_.kd
    .uniform_work_group_size: 1
    .uses_dynamic_stack: false
    .vgpr_count:     77
    .vgpr_spill_count: 0
    .wavefront_size: 64
  - .agpr_count:     0
    .args:
      - .actual_access:  read_only
        .address_space:  global
        .offset:         0
        .size:           8
        .value_kind:     global_buffer
      - .actual_access:  read_only
        .address_space:  global
        .offset:         8
        .size:           8
        .value_kind:     global_buffer
      - .actual_access:  read_only
        .address_space:  global
        .offset:         16
        .size:           8
        .value_kind:     global_buffer
      - .offset:         24
        .size:           4
        .value_kind:     by_value
      - .offset:         28
        .size:           4
        .value_kind:     by_value
      - .actual_access:  read_only
        .address_space:  global
        .offset:         32
        .size:           8
        .value_kind:     global_buffer
      - .actual_access:  read_only
        .address_space:  global
        .offset:         40
        .size:           8
        .value_kind:     global_buffer
      - .actual_access:  read_only
        .address_space:  global
        .offset:         48
        .size:           8
        .value_kind:     global_buffer
      - .offset:         56
        .size:           4
        .value_kind:     by_value
      - .actual_access:  read_only
        .address_space:  global
        .offset:         64
        .size:           8
        .value_kind:     global_buffer
      - .offset:         72
        .size:           4
        .value_kind:     by_value
      - .offset:         76
        .size:           4
        .value_kind:     by_value
      - .offset:         80
        .size:           4
        .value_kind:     by_value
      - .actual_access:  write_only
        .address_space:  global
        .offset:         88
        .size:           8
        .value_kind:     global_buffer
      - .actual_access:  write_only
        .address_space:  global
        .offset:         96
        .size:           8
        .value_kind:     global_buffer
      - .actual_access:  write_only
        .address_space:  global
        .offset:         104
        .size:           8
        .value_kind:     global_buffer
      - .actual_access:  read_only
        .address_space:  global
        .offset:         112
        .size:           8
        .value_kind:     global_buffer
      - .offset:         120
        .size:           4
        .value_kind:     by_value
      - .address_space:  global
        .offset:         128
        .size:           8
        .value_kind:     global_buffer
      - .address_space:  global
        .offset:         136
        .size:           8
        .value_kind:     global_buffer
      - .offset:         144
        .size:           4
        .value_kind:     hidden_block_count_x
      - .offset:         148
        .size:           4
        .value_kind:     hidden_block_count_y
      - .offset:         152
        .size:           4
        .value_kind:     hidden_block_count_z
      - .offset:         156
        .size:           2
        .value_kind:     hidden_group_size_x
      - .offset:         158
        .size:           2
        .value_kind:     hidden_group_size_y
      - .offset:         160
        .size:           2
        .value_kind:     hidden_group_size_z
      - .offset:         162
        .size:           2
        .value_kind:     hidden_remainder_x
      - .offset:         164
        .size:           2
        .value_kind:     hidden_remainder_y
      - .offset:         166
        .size:           2
        .value_kind:     hidden_remainder_z
      - .offset:         184
        .size:           8
        .value_kind:     hidden_global_offset_x
      - .offset:         192
        .size:           8
        .value_kind:     hidden_global_offset_y
      - .offset:         200
        .size:           8
        .value_kind:     hidden_global_offset_z
      - .offset:         208
        .size:           2
        .value_kind:     hidden_grid_dims
    .group_segment_fixed_size: 8192
    .kernarg_segment_align: 8
    .kernarg_segment_size: 400
    .language:       OpenCL C
    .language_version:
      - 2
      - 0
    .max_flat_workgroup_size: 256
    .name:           _Z39paged_attention_ll4mi_QKV_mfma16_kernelIDF16_hLN4vllm18Fp8KVCacheDataTypeE1EhLi16ELi128ELi256ELb1ELi4EEvPKT_PKT0_S7_ifPKiS9_S9_iPKfiiiPfSC_PS2_PT2_iSB_SB_
    .private_segment_fixed_size: 0
    .sgpr_count:     54
    .sgpr_spill_count: 0
    .symbol:         _Z39paged_attention_ll4mi_QKV_mfma16_kernelIDF16_hLN4vllm18Fp8KVCacheDataTypeE1EhLi16ELi128ELi256ELb1ELi4EEvPKT_PKT0_S7_ifPKiS9_S9_iPKfiiiPfSC_PS2_PT2_iSB_SB_.kd
    .uniform_work_group_size: 1
    .uses_dynamic_stack: false
    .vgpr_count:     82
    .vgpr_spill_count: 0
    .wavefront_size: 64
  - .agpr_count:     4
    .args:
      - .actual_access:  read_only
        .address_space:  global
        .offset:         0
        .size:           8
        .value_kind:     global_buffer
      - .actual_access:  read_only
        .address_space:  global
        .offset:         8
        .size:           8
        .value_kind:     global_buffer
      - .actual_access:  read_only
        .address_space:  global
        .offset:         16
        .size:           8
        .value_kind:     global_buffer
      - .offset:         24
        .size:           4
        .value_kind:     by_value
      - .offset:         28
        .size:           4
        .value_kind:     by_value
      - .actual_access:  read_only
        .address_space:  global
        .offset:         32
        .size:           8
        .value_kind:     global_buffer
      - .actual_access:  read_only
        .address_space:  global
        .offset:         40
        .size:           8
        .value_kind:     global_buffer
      - .actual_access:  read_only
        .address_space:  global
        .offset:         48
        .size:           8
        .value_kind:     global_buffer
      - .offset:         56
        .size:           4
        .value_kind:     by_value
      - .actual_access:  read_only
        .address_space:  global
        .offset:         64
        .size:           8
        .value_kind:     global_buffer
      - .offset:         72
        .size:           4
        .value_kind:     by_value
      - .offset:         76
        .size:           4
        .value_kind:     by_value
      - .offset:         80
        .size:           4
        .value_kind:     by_value
      - .actual_access:  write_only
        .address_space:  global
        .offset:         88
        .size:           8
        .value_kind:     global_buffer
      - .actual_access:  write_only
        .address_space:  global
        .offset:         96
        .size:           8
        .value_kind:     global_buffer
      - .actual_access:  write_only
        .address_space:  global
        .offset:         104
        .size:           8
        .value_kind:     global_buffer
      - .actual_access:  read_only
        .address_space:  global
        .offset:         112
        .size:           8
        .value_kind:     global_buffer
      - .offset:         120
        .size:           4
        .value_kind:     by_value
      - .address_space:  global
        .offset:         128
        .size:           8
        .value_kind:     global_buffer
      - .address_space:  global
        .offset:         136
        .size:           8
        .value_kind:     global_buffer
      - .offset:         144
        .size:           4
        .value_kind:     hidden_block_count_x
      - .offset:         148
        .size:           4
        .value_kind:     hidden_block_count_y
      - .offset:         152
        .size:           4
        .value_kind:     hidden_block_count_z
      - .offset:         156
        .size:           2
        .value_kind:     hidden_group_size_x
      - .offset:         158
        .size:           2
        .value_kind:     hidden_group_size_y
      - .offset:         160
        .size:           2
        .value_kind:     hidden_group_size_z
      - .offset:         162
        .size:           2
        .value_kind:     hidden_remainder_x
      - .offset:         164
        .size:           2
        .value_kind:     hidden_remainder_y
      - .offset:         166
        .size:           2
        .value_kind:     hidden_remainder_z
      - .offset:         184
        .size:           8
        .value_kind:     hidden_global_offset_x
      - .offset:         192
        .size:           8
        .value_kind:     hidden_global_offset_y
      - .offset:         200
        .size:           8
        .value_kind:     hidden_global_offset_z
      - .offset:         208
        .size:           2
        .value_kind:     hidden_grid_dims
    .group_segment_fixed_size: 5280
    .kernarg_segment_align: 8
    .kernarg_segment_size: 400
    .language:       OpenCL C
    .language_version:
      - 2
      - 0
    .max_flat_workgroup_size: 256
    .name:           _Z38paged_attention_ll4mi_QKV_mfma4_kernelIDF16_hLN4vllm18Fp8KVCacheDataTypeE1EhLi16ELi128ELi256ELb0ELi1EEvPKT_PKT0_S7_ifPKiS9_S9_iPKfiiiPfSC_PS2_PT2_iSB_SB_
    .private_segment_fixed_size: 0
    .sgpr_count:     48
    .sgpr_spill_count: 0
    .symbol:         _Z38paged_attention_ll4mi_QKV_mfma4_kernelIDF16_hLN4vllm18Fp8KVCacheDataTypeE1EhLi16ELi128ELi256ELb0ELi1EEvPKT_PKT0_S7_ifPKiS9_S9_iPKfiiiPfSC_PS2_PT2_iSB_SB_.kd
    .uniform_work_group_size: 1
    .uses_dynamic_stack: false
    .vgpr_count:     68
    .vgpr_spill_count: 0
    .wavefront_size: 64
  - .agpr_count:     4
    .args:
      - .actual_access:  read_only
        .address_space:  global
        .offset:         0
        .size:           8
        .value_kind:     global_buffer
      - .actual_access:  read_only
        .address_space:  global
        .offset:         8
        .size:           8
        .value_kind:     global_buffer
      - .actual_access:  read_only
        .address_space:  global
        .offset:         16
        .size:           8
        .value_kind:     global_buffer
      - .offset:         24
        .size:           4
        .value_kind:     by_value
      - .offset:         28
        .size:           4
        .value_kind:     by_value
      - .actual_access:  read_only
        .address_space:  global
        .offset:         32
        .size:           8
        .value_kind:     global_buffer
      - .actual_access:  read_only
        .address_space:  global
        .offset:         40
        .size:           8
        .value_kind:     global_buffer
      - .actual_access:  read_only
        .address_space:  global
        .offset:         48
        .size:           8
        .value_kind:     global_buffer
      - .offset:         56
        .size:           4
        .value_kind:     by_value
      - .actual_access:  read_only
        .address_space:  global
        .offset:         64
        .size:           8
        .value_kind:     global_buffer
      - .offset:         72
        .size:           4
        .value_kind:     by_value
      - .offset:         76
        .size:           4
        .value_kind:     by_value
      - .offset:         80
        .size:           4
        .value_kind:     by_value
      - .actual_access:  write_only
        .address_space:  global
        .offset:         88
        .size:           8
        .value_kind:     global_buffer
      - .actual_access:  write_only
        .address_space:  global
        .offset:         96
        .size:           8
        .value_kind:     global_buffer
      - .actual_access:  write_only
        .address_space:  global
        .offset:         104
        .size:           8
        .value_kind:     global_buffer
      - .actual_access:  read_only
        .address_space:  global
        .offset:         112
        .size:           8
        .value_kind:     global_buffer
      - .offset:         120
        .size:           4
        .value_kind:     by_value
      - .address_space:  global
        .offset:         128
        .size:           8
        .value_kind:     global_buffer
      - .address_space:  global
        .offset:         136
        .size:           8
        .value_kind:     global_buffer
      - .offset:         144
        .size:           4
        .value_kind:     hidden_block_count_x
      - .offset:         148
        .size:           4
        .value_kind:     hidden_block_count_y
      - .offset:         152
        .size:           4
        .value_kind:     hidden_block_count_z
      - .offset:         156
        .size:           2
        .value_kind:     hidden_group_size_x
      - .offset:         158
        .size:           2
        .value_kind:     hidden_group_size_y
      - .offset:         160
        .size:           2
        .value_kind:     hidden_group_size_z
      - .offset:         162
        .size:           2
        .value_kind:     hidden_remainder_x
      - .offset:         164
        .size:           2
        .value_kind:     hidden_remainder_y
      - .offset:         166
        .size:           2
        .value_kind:     hidden_remainder_z
      - .offset:         184
        .size:           8
        .value_kind:     hidden_global_offset_x
      - .offset:         192
        .size:           8
        .value_kind:     hidden_global_offset_y
      - .offset:         200
        .size:           8
        .value_kind:     hidden_global_offset_z
      - .offset:         208
        .size:           2
        .value_kind:     hidden_grid_dims
    .group_segment_fixed_size: 5280
    .kernarg_segment_align: 8
    .kernarg_segment_size: 400
    .language:       OpenCL C
    .language_version:
      - 2
      - 0
    .max_flat_workgroup_size: 256
    .name:           _Z38paged_attention_ll4mi_QKV_mfma4_kernelIDF16_hLN4vllm18Fp8KVCacheDataTypeE1EhLi16ELi128ELi256ELb0ELi2EEvPKT_PKT0_S7_ifPKiS9_S9_iPKfiiiPfSC_PS2_PT2_iSB_SB_
    .private_segment_fixed_size: 0
    .sgpr_count:     48
    .sgpr_spill_count: 0
    .symbol:         _Z38paged_attention_ll4mi_QKV_mfma4_kernelIDF16_hLN4vllm18Fp8KVCacheDataTypeE1EhLi16ELi128ELi256ELb0ELi2EEvPKT_PKT0_S7_ifPKiS9_S9_iPKfiiiPfSC_PS2_PT2_iSB_SB_.kd
    .uniform_work_group_size: 1
    .uses_dynamic_stack: false
    .vgpr_count:     68
    .vgpr_spill_count: 0
    .wavefront_size: 64
  - .agpr_count:     4
    .args:
      - .actual_access:  read_only
        .address_space:  global
        .offset:         0
        .size:           8
        .value_kind:     global_buffer
      - .actual_access:  read_only
        .address_space:  global
        .offset:         8
        .size:           8
        .value_kind:     global_buffer
      - .actual_access:  read_only
        .address_space:  global
        .offset:         16
        .size:           8
        .value_kind:     global_buffer
      - .offset:         24
        .size:           4
        .value_kind:     by_value
      - .offset:         28
        .size:           4
        .value_kind:     by_value
      - .actual_access:  read_only
        .address_space:  global
        .offset:         32
        .size:           8
        .value_kind:     global_buffer
      - .actual_access:  read_only
        .address_space:  global
        .offset:         40
        .size:           8
        .value_kind:     global_buffer
      - .actual_access:  read_only
        .address_space:  global
        .offset:         48
        .size:           8
        .value_kind:     global_buffer
      - .offset:         56
        .size:           4
        .value_kind:     by_value
      - .actual_access:  read_only
        .address_space:  global
        .offset:         64
        .size:           8
        .value_kind:     global_buffer
      - .offset:         72
        .size:           4
        .value_kind:     by_value
      - .offset:         76
        .size:           4
        .value_kind:     by_value
      - .offset:         80
        .size:           4
        .value_kind:     by_value
      - .actual_access:  write_only
        .address_space:  global
        .offset:         88
        .size:           8
        .value_kind:     global_buffer
      - .actual_access:  write_only
        .address_space:  global
        .offset:         96
        .size:           8
        .value_kind:     global_buffer
      - .actual_access:  write_only
        .address_space:  global
        .offset:         104
        .size:           8
        .value_kind:     global_buffer
      - .actual_access:  read_only
        .address_space:  global
        .offset:         112
        .size:           8
        .value_kind:     global_buffer
      - .offset:         120
        .size:           4
        .value_kind:     by_value
      - .address_space:  global
        .offset:         128
        .size:           8
        .value_kind:     global_buffer
      - .address_space:  global
        .offset:         136
        .size:           8
        .value_kind:     global_buffer
      - .offset:         144
        .size:           4
        .value_kind:     hidden_block_count_x
      - .offset:         148
        .size:           4
        .value_kind:     hidden_block_count_y
      - .offset:         152
        .size:           4
        .value_kind:     hidden_block_count_z
      - .offset:         156
        .size:           2
        .value_kind:     hidden_group_size_x
      - .offset:         158
        .size:           2
        .value_kind:     hidden_group_size_y
      - .offset:         160
        .size:           2
        .value_kind:     hidden_group_size_z
      - .offset:         162
        .size:           2
        .value_kind:     hidden_remainder_x
      - .offset:         164
        .size:           2
        .value_kind:     hidden_remainder_y
      - .offset:         166
        .size:           2
        .value_kind:     hidden_remainder_z
      - .offset:         184
        .size:           8
        .value_kind:     hidden_global_offset_x
      - .offset:         192
        .size:           8
        .value_kind:     hidden_global_offset_y
      - .offset:         200
        .size:           8
        .value_kind:     hidden_global_offset_z
      - .offset:         208
        .size:           2
        .value_kind:     hidden_grid_dims
    .group_segment_fixed_size: 5280
    .kernarg_segment_align: 8
    .kernarg_segment_size: 400
    .language:       OpenCL C
    .language_version:
      - 2
      - 0
    .max_flat_workgroup_size: 256
    .name:           _Z38paged_attention_ll4mi_QKV_mfma4_kernelIDF16_hLN4vllm18Fp8KVCacheDataTypeE1EhLi16ELi128ELi256ELb0ELi3EEvPKT_PKT0_S7_ifPKiS9_S9_iPKfiiiPfSC_PS2_PT2_iSB_SB_
    .private_segment_fixed_size: 0
    .sgpr_count:     48
    .sgpr_spill_count: 0
    .symbol:         _Z38paged_attention_ll4mi_QKV_mfma4_kernelIDF16_hLN4vllm18Fp8KVCacheDataTypeE1EhLi16ELi128ELi256ELb0ELi3EEvPKT_PKT0_S7_ifPKiS9_S9_iPKfiiiPfSC_PS2_PT2_iSB_SB_.kd
    .uniform_work_group_size: 1
    .uses_dynamic_stack: false
    .vgpr_count:     68
    .vgpr_spill_count: 0
    .wavefront_size: 64
  - .agpr_count:     4
    .args:
      - .actual_access:  read_only
        .address_space:  global
        .offset:         0
        .size:           8
        .value_kind:     global_buffer
      - .actual_access:  read_only
        .address_space:  global
        .offset:         8
        .size:           8
        .value_kind:     global_buffer
      - .actual_access:  read_only
        .address_space:  global
        .offset:         16
        .size:           8
        .value_kind:     global_buffer
      - .offset:         24
        .size:           4
        .value_kind:     by_value
      - .offset:         28
        .size:           4
        .value_kind:     by_value
      - .actual_access:  read_only
        .address_space:  global
        .offset:         32
        .size:           8
        .value_kind:     global_buffer
      - .actual_access:  read_only
        .address_space:  global
        .offset:         40
        .size:           8
        .value_kind:     global_buffer
      - .actual_access:  read_only
        .address_space:  global
        .offset:         48
        .size:           8
        .value_kind:     global_buffer
      - .offset:         56
        .size:           4
        .value_kind:     by_value
      - .actual_access:  read_only
        .address_space:  global
        .offset:         64
        .size:           8
        .value_kind:     global_buffer
      - .offset:         72
        .size:           4
        .value_kind:     by_value
      - .offset:         76
        .size:           4
        .value_kind:     by_value
      - .offset:         80
        .size:           4
        .value_kind:     by_value
      - .actual_access:  write_only
        .address_space:  global
        .offset:         88
        .size:           8
        .value_kind:     global_buffer
      - .actual_access:  write_only
        .address_space:  global
        .offset:         96
        .size:           8
        .value_kind:     global_buffer
      - .actual_access:  write_only
        .address_space:  global
        .offset:         104
        .size:           8
        .value_kind:     global_buffer
      - .actual_access:  read_only
        .address_space:  global
        .offset:         112
        .size:           8
        .value_kind:     global_buffer
      - .offset:         120
        .size:           4
        .value_kind:     by_value
      - .address_space:  global
        .offset:         128
        .size:           8
        .value_kind:     global_buffer
      - .address_space:  global
        .offset:         136
        .size:           8
        .value_kind:     global_buffer
      - .offset:         144
        .size:           4
        .value_kind:     hidden_block_count_x
      - .offset:         148
        .size:           4
        .value_kind:     hidden_block_count_y
      - .offset:         152
        .size:           4
        .value_kind:     hidden_block_count_z
      - .offset:         156
        .size:           2
        .value_kind:     hidden_group_size_x
      - .offset:         158
        .size:           2
        .value_kind:     hidden_group_size_y
      - .offset:         160
        .size:           2
        .value_kind:     hidden_group_size_z
      - .offset:         162
        .size:           2
        .value_kind:     hidden_remainder_x
      - .offset:         164
        .size:           2
        .value_kind:     hidden_remainder_y
      - .offset:         166
        .size:           2
        .value_kind:     hidden_remainder_z
      - .offset:         184
        .size:           8
        .value_kind:     hidden_global_offset_x
      - .offset:         192
        .size:           8
        .value_kind:     hidden_global_offset_y
      - .offset:         200
        .size:           8
        .value_kind:     hidden_global_offset_z
      - .offset:         208
        .size:           2
        .value_kind:     hidden_grid_dims
    .group_segment_fixed_size: 5280
    .kernarg_segment_align: 8
    .kernarg_segment_size: 400
    .language:       OpenCL C
    .language_version:
      - 2
      - 0
    .max_flat_workgroup_size: 256
    .name:           _Z38paged_attention_ll4mi_QKV_mfma4_kernelIDF16_hLN4vllm18Fp8KVCacheDataTypeE1EhLi16ELi128ELi256ELb0ELi4EEvPKT_PKT0_S7_ifPKiS9_S9_iPKfiiiPfSC_PS2_PT2_iSB_SB_
    .private_segment_fixed_size: 0
    .sgpr_count:     48
    .sgpr_spill_count: 0
    .symbol:         _Z38paged_attention_ll4mi_QKV_mfma4_kernelIDF16_hLN4vllm18Fp8KVCacheDataTypeE1EhLi16ELi128ELi256ELb0ELi4EEvPKT_PKT0_S7_ifPKiS9_S9_iPKfiiiPfSC_PS2_PT2_iSB_SB_.kd
    .uniform_work_group_size: 1
    .uses_dynamic_stack: false
    .vgpr_count:     92
    .vgpr_spill_count: 0
    .wavefront_size: 64
  - .agpr_count:     0
    .args:
      - .actual_access:  read_only
        .address_space:  global
        .offset:         0
        .size:           8
        .value_kind:     global_buffer
      - .actual_access:  read_only
        .address_space:  global
        .offset:         8
        .size:           8
        .value_kind:     global_buffer
      - .actual_access:  read_only
        .address_space:  global
        .offset:         16
        .size:           8
        .value_kind:     global_buffer
      - .offset:         24
        .size:           4
        .value_kind:     by_value
      - .offset:         28
        .size:           4
        .value_kind:     by_value
      - .actual_access:  read_only
        .address_space:  global
        .offset:         32
        .size:           8
        .value_kind:     global_buffer
      - .actual_access:  read_only
        .address_space:  global
        .offset:         40
        .size:           8
        .value_kind:     global_buffer
      - .actual_access:  read_only
        .address_space:  global
        .offset:         48
        .size:           8
        .value_kind:     global_buffer
      - .offset:         56
        .size:           4
        .value_kind:     by_value
      - .actual_access:  read_only
        .address_space:  global
        .offset:         64
        .size:           8
        .value_kind:     global_buffer
      - .offset:         72
        .size:           4
        .value_kind:     by_value
      - .offset:         76
        .size:           4
        .value_kind:     by_value
      - .offset:         80
        .size:           4
        .value_kind:     by_value
      - .actual_access:  write_only
        .address_space:  global
        .offset:         88
        .size:           8
        .value_kind:     global_buffer
      - .actual_access:  write_only
        .address_space:  global
        .offset:         96
        .size:           8
        .value_kind:     global_buffer
      - .actual_access:  write_only
        .address_space:  global
        .offset:         104
        .size:           8
        .value_kind:     global_buffer
      - .actual_access:  read_only
        .address_space:  global
        .offset:         112
        .size:           8
        .value_kind:     global_buffer
      - .offset:         120
        .size:           4
        .value_kind:     by_value
      - .address_space:  global
        .offset:         128
        .size:           8
        .value_kind:     global_buffer
      - .address_space:  global
        .offset:         136
        .size:           8
        .value_kind:     global_buffer
      - .offset:         144
        .size:           4
        .value_kind:     hidden_block_count_x
      - .offset:         148
        .size:           4
        .value_kind:     hidden_block_count_y
      - .offset:         152
        .size:           4
        .value_kind:     hidden_block_count_z
      - .offset:         156
        .size:           2
        .value_kind:     hidden_group_size_x
      - .offset:         158
        .size:           2
        .value_kind:     hidden_group_size_y
      - .offset:         160
        .size:           2
        .value_kind:     hidden_group_size_z
      - .offset:         162
        .size:           2
        .value_kind:     hidden_remainder_x
      - .offset:         164
        .size:           2
        .value_kind:     hidden_remainder_y
      - .offset:         166
        .size:           2
        .value_kind:     hidden_remainder_z
      - .offset:         184
        .size:           8
        .value_kind:     hidden_global_offset_x
      - .offset:         192
        .size:           8
        .value_kind:     hidden_global_offset_y
      - .offset:         200
        .size:           8
        .value_kind:     hidden_global_offset_z
      - .offset:         208
        .size:           2
        .value_kind:     hidden_grid_dims
    .group_segment_fixed_size: 8192
    .kernarg_segment_align: 8
    .kernarg_segment_size: 400
    .language:       OpenCL C
    .language_version:
      - 2
      - 0
    .max_flat_workgroup_size: 256
    .name:           _Z39paged_attention_ll4mi_QKV_mfma16_kernelIDF16_hLN4vllm18Fp8KVCacheDataTypeE1EhLi16ELi128ELi256ELb0ELi5EEvPKT_PKT0_S7_ifPKiS9_S9_iPKfiiiPfSC_PS2_PT2_iSB_SB_
    .private_segment_fixed_size: 0
    .sgpr_count:     56
    .sgpr_spill_count: 0
    .symbol:         _Z39paged_attention_ll4mi_QKV_mfma16_kernelIDF16_hLN4vllm18Fp8KVCacheDataTypeE1EhLi16ELi128ELi256ELb0ELi5EEvPKT_PKT0_S7_ifPKiS9_S9_iPKfiiiPfSC_PS2_PT2_iSB_SB_.kd
    .uniform_work_group_size: 1
    .uses_dynamic_stack: false
    .vgpr_count:     86
    .vgpr_spill_count: 0
    .wavefront_size: 64
  - .agpr_count:     0
    .args:
      - .actual_access:  read_only
        .address_space:  global
        .offset:         0
        .size:           8
        .value_kind:     global_buffer
      - .actual_access:  read_only
        .address_space:  global
        .offset:         8
        .size:           8
        .value_kind:     global_buffer
      - .actual_access:  read_only
        .address_space:  global
        .offset:         16
        .size:           8
        .value_kind:     global_buffer
      - .offset:         24
        .size:           4
        .value_kind:     by_value
      - .offset:         28
        .size:           4
        .value_kind:     by_value
      - .actual_access:  read_only
        .address_space:  global
        .offset:         32
        .size:           8
        .value_kind:     global_buffer
      - .actual_access:  read_only
        .address_space:  global
        .offset:         40
        .size:           8
        .value_kind:     global_buffer
      - .actual_access:  read_only
        .address_space:  global
        .offset:         48
        .size:           8
        .value_kind:     global_buffer
      - .offset:         56
        .size:           4
        .value_kind:     by_value
      - .actual_access:  read_only
        .address_space:  global
        .offset:         64
        .size:           8
        .value_kind:     global_buffer
      - .offset:         72
        .size:           4
        .value_kind:     by_value
      - .offset:         76
        .size:           4
        .value_kind:     by_value
      - .offset:         80
        .size:           4
        .value_kind:     by_value
      - .actual_access:  write_only
        .address_space:  global
        .offset:         88
        .size:           8
        .value_kind:     global_buffer
      - .actual_access:  write_only
        .address_space:  global
        .offset:         96
        .size:           8
        .value_kind:     global_buffer
      - .actual_access:  write_only
        .address_space:  global
        .offset:         104
        .size:           8
        .value_kind:     global_buffer
      - .actual_access:  read_only
        .address_space:  global
        .offset:         112
        .size:           8
        .value_kind:     global_buffer
      - .offset:         120
        .size:           4
        .value_kind:     by_value
      - .address_space:  global
        .offset:         128
        .size:           8
        .value_kind:     global_buffer
      - .address_space:  global
        .offset:         136
        .size:           8
        .value_kind:     global_buffer
      - .offset:         144
        .size:           4
        .value_kind:     hidden_block_count_x
      - .offset:         148
        .size:           4
        .value_kind:     hidden_block_count_y
      - .offset:         152
        .size:           4
        .value_kind:     hidden_block_count_z
      - .offset:         156
        .size:           2
        .value_kind:     hidden_group_size_x
      - .offset:         158
        .size:           2
        .value_kind:     hidden_group_size_y
      - .offset:         160
        .size:           2
        .value_kind:     hidden_group_size_z
      - .offset:         162
        .size:           2
        .value_kind:     hidden_remainder_x
      - .offset:         164
        .size:           2
        .value_kind:     hidden_remainder_y
      - .offset:         166
        .size:           2
        .value_kind:     hidden_remainder_z
      - .offset:         184
        .size:           8
        .value_kind:     hidden_global_offset_x
      - .offset:         192
        .size:           8
        .value_kind:     hidden_global_offset_y
      - .offset:         200
        .size:           8
        .value_kind:     hidden_global_offset_z
      - .offset:         208
        .size:           2
        .value_kind:     hidden_grid_dims
    .group_segment_fixed_size: 8192
    .kernarg_segment_align: 8
    .kernarg_segment_size: 400
    .language:       OpenCL C
    .language_version:
      - 2
      - 0
    .max_flat_workgroup_size: 256
    .name:           _Z39paged_attention_ll4mi_QKV_mfma16_kernelIDF16_hLN4vllm18Fp8KVCacheDataTypeE1EhLi16ELi128ELi256ELb0ELi6EEvPKT_PKT0_S7_ifPKiS9_S9_iPKfiiiPfSC_PS2_PT2_iSB_SB_
    .private_segment_fixed_size: 0
    .sgpr_count:     56
    .sgpr_spill_count: 0
    .symbol:         _Z39paged_attention_ll4mi_QKV_mfma16_kernelIDF16_hLN4vllm18Fp8KVCacheDataTypeE1EhLi16ELi128ELi256ELb0ELi6EEvPKT_PKT0_S7_ifPKiS9_S9_iPKfiiiPfSC_PS2_PT2_iSB_SB_.kd
    .uniform_work_group_size: 1
    .uses_dynamic_stack: false
    .vgpr_count:     86
    .vgpr_spill_count: 0
    .wavefront_size: 64
  - .agpr_count:     0
    .args:
      - .actual_access:  read_only
        .address_space:  global
        .offset:         0
        .size:           8
        .value_kind:     global_buffer
      - .actual_access:  read_only
        .address_space:  global
        .offset:         8
        .size:           8
        .value_kind:     global_buffer
      - .actual_access:  read_only
        .address_space:  global
        .offset:         16
        .size:           8
        .value_kind:     global_buffer
      - .offset:         24
        .size:           4
        .value_kind:     by_value
      - .offset:         28
        .size:           4
        .value_kind:     by_value
      - .actual_access:  read_only
        .address_space:  global
        .offset:         32
        .size:           8
        .value_kind:     global_buffer
      - .actual_access:  read_only
        .address_space:  global
        .offset:         40
        .size:           8
        .value_kind:     global_buffer
      - .actual_access:  read_only
        .address_space:  global
        .offset:         48
        .size:           8
        .value_kind:     global_buffer
      - .offset:         56
        .size:           4
        .value_kind:     by_value
      - .actual_access:  read_only
        .address_space:  global
        .offset:         64
        .size:           8
        .value_kind:     global_buffer
      - .offset:         72
        .size:           4
        .value_kind:     by_value
      - .offset:         76
        .size:           4
        .value_kind:     by_value
      - .offset:         80
        .size:           4
        .value_kind:     by_value
      - .actual_access:  write_only
        .address_space:  global
        .offset:         88
        .size:           8
        .value_kind:     global_buffer
      - .actual_access:  write_only
        .address_space:  global
        .offset:         96
        .size:           8
        .value_kind:     global_buffer
      - .actual_access:  write_only
        .address_space:  global
        .offset:         104
        .size:           8
        .value_kind:     global_buffer
      - .actual_access:  read_only
        .address_space:  global
        .offset:         112
        .size:           8
        .value_kind:     global_buffer
      - .offset:         120
        .size:           4
        .value_kind:     by_value
      - .address_space:  global
        .offset:         128
        .size:           8
        .value_kind:     global_buffer
      - .address_space:  global
        .offset:         136
        .size:           8
        .value_kind:     global_buffer
      - .offset:         144
        .size:           4
        .value_kind:     hidden_block_count_x
      - .offset:         148
        .size:           4
        .value_kind:     hidden_block_count_y
      - .offset:         152
        .size:           4
        .value_kind:     hidden_block_count_z
      - .offset:         156
        .size:           2
        .value_kind:     hidden_group_size_x
      - .offset:         158
        .size:           2
        .value_kind:     hidden_group_size_y
      - .offset:         160
        .size:           2
        .value_kind:     hidden_group_size_z
      - .offset:         162
        .size:           2
        .value_kind:     hidden_remainder_x
      - .offset:         164
        .size:           2
        .value_kind:     hidden_remainder_y
      - .offset:         166
        .size:           2
        .value_kind:     hidden_remainder_z
      - .offset:         184
        .size:           8
        .value_kind:     hidden_global_offset_x
      - .offset:         192
        .size:           8
        .value_kind:     hidden_global_offset_y
      - .offset:         200
        .size:           8
        .value_kind:     hidden_global_offset_z
      - .offset:         208
        .size:           2
        .value_kind:     hidden_grid_dims
    .group_segment_fixed_size: 8192
    .kernarg_segment_align: 8
    .kernarg_segment_size: 400
    .language:       OpenCL C
    .language_version:
      - 2
      - 0
    .max_flat_workgroup_size: 256
    .name:           _Z39paged_attention_ll4mi_QKV_mfma16_kernelIDF16_hLN4vllm18Fp8KVCacheDataTypeE1EhLi16ELi128ELi256ELb0ELi7EEvPKT_PKT0_S7_ifPKiS9_S9_iPKfiiiPfSC_PS2_PT2_iSB_SB_
    .private_segment_fixed_size: 0
    .sgpr_count:     56
    .sgpr_spill_count: 0
    .symbol:         _Z39paged_attention_ll4mi_QKV_mfma16_kernelIDF16_hLN4vllm18Fp8KVCacheDataTypeE1EhLi16ELi128ELi256ELb0ELi7EEvPKT_PKT0_S7_ifPKiS9_S9_iPKfiiiPfSC_PS2_PT2_iSB_SB_.kd
    .uniform_work_group_size: 1
    .uses_dynamic_stack: false
    .vgpr_count:     86
    .vgpr_spill_count: 0
    .wavefront_size: 64
  - .agpr_count:     0
    .args:
      - .actual_access:  read_only
        .address_space:  global
        .offset:         0
        .size:           8
        .value_kind:     global_buffer
      - .actual_access:  read_only
        .address_space:  global
        .offset:         8
        .size:           8
        .value_kind:     global_buffer
      - .actual_access:  read_only
        .address_space:  global
        .offset:         16
        .size:           8
        .value_kind:     global_buffer
      - .offset:         24
        .size:           4
        .value_kind:     by_value
      - .offset:         28
        .size:           4
        .value_kind:     by_value
      - .actual_access:  read_only
        .address_space:  global
        .offset:         32
        .size:           8
        .value_kind:     global_buffer
      - .actual_access:  read_only
        .address_space:  global
        .offset:         40
        .size:           8
        .value_kind:     global_buffer
      - .actual_access:  read_only
        .address_space:  global
        .offset:         48
        .size:           8
        .value_kind:     global_buffer
      - .offset:         56
        .size:           4
        .value_kind:     by_value
      - .actual_access:  read_only
        .address_space:  global
        .offset:         64
        .size:           8
        .value_kind:     global_buffer
      - .offset:         72
        .size:           4
        .value_kind:     by_value
      - .offset:         76
        .size:           4
        .value_kind:     by_value
      - .offset:         80
        .size:           4
        .value_kind:     by_value
      - .actual_access:  write_only
        .address_space:  global
        .offset:         88
        .size:           8
        .value_kind:     global_buffer
      - .actual_access:  write_only
        .address_space:  global
        .offset:         96
        .size:           8
        .value_kind:     global_buffer
      - .actual_access:  write_only
        .address_space:  global
        .offset:         104
        .size:           8
        .value_kind:     global_buffer
      - .actual_access:  read_only
        .address_space:  global
        .offset:         112
        .size:           8
        .value_kind:     global_buffer
      - .offset:         120
        .size:           4
        .value_kind:     by_value
      - .address_space:  global
        .offset:         128
        .size:           8
        .value_kind:     global_buffer
      - .address_space:  global
        .offset:         136
        .size:           8
        .value_kind:     global_buffer
      - .offset:         144
        .size:           4
        .value_kind:     hidden_block_count_x
      - .offset:         148
        .size:           4
        .value_kind:     hidden_block_count_y
      - .offset:         152
        .size:           4
        .value_kind:     hidden_block_count_z
      - .offset:         156
        .size:           2
        .value_kind:     hidden_group_size_x
      - .offset:         158
        .size:           2
        .value_kind:     hidden_group_size_y
      - .offset:         160
        .size:           2
        .value_kind:     hidden_group_size_z
      - .offset:         162
        .size:           2
        .value_kind:     hidden_remainder_x
      - .offset:         164
        .size:           2
        .value_kind:     hidden_remainder_y
      - .offset:         166
        .size:           2
        .value_kind:     hidden_remainder_z
      - .offset:         184
        .size:           8
        .value_kind:     hidden_global_offset_x
      - .offset:         192
        .size:           8
        .value_kind:     hidden_global_offset_y
      - .offset:         200
        .size:           8
        .value_kind:     hidden_global_offset_z
      - .offset:         208
        .size:           2
        .value_kind:     hidden_grid_dims
    .group_segment_fixed_size: 8192
    .kernarg_segment_align: 8
    .kernarg_segment_size: 400
    .language:       OpenCL C
    .language_version:
      - 2
      - 0
    .max_flat_workgroup_size: 256
    .name:           _Z39paged_attention_ll4mi_QKV_mfma16_kernelIDF16_hLN4vllm18Fp8KVCacheDataTypeE1EhLi16ELi128ELi256ELb0ELi8EEvPKT_PKT0_S7_ifPKiS9_S9_iPKfiiiPfSC_PS2_PT2_iSB_SB_
    .private_segment_fixed_size: 0
    .sgpr_count:     54
    .sgpr_spill_count: 0
    .symbol:         _Z39paged_attention_ll4mi_QKV_mfma16_kernelIDF16_hLN4vllm18Fp8KVCacheDataTypeE1EhLi16ELi128ELi256ELb0ELi8EEvPKT_PKT0_S7_ifPKiS9_S9_iPKfiiiPfSC_PS2_PT2_iSB_SB_.kd
    .uniform_work_group_size: 1
    .uses_dynamic_stack: false
    .vgpr_count:     90
    .vgpr_spill_count: 0
    .wavefront_size: 64
  - .agpr_count:     0
    .args:
      - .actual_access:  read_only
        .address_space:  global
        .offset:         0
        .size:           8
        .value_kind:     global_buffer
      - .actual_access:  read_only
        .address_space:  global
        .offset:         8
        .size:           8
        .value_kind:     global_buffer
      - .actual_access:  read_only
        .address_space:  global
        .offset:         16
        .size:           8
        .value_kind:     global_buffer
      - .offset:         24
        .size:           4
        .value_kind:     by_value
      - .offset:         28
        .size:           4
        .value_kind:     by_value
      - .actual_access:  read_only
        .address_space:  global
        .offset:         32
        .size:           8
        .value_kind:     global_buffer
      - .actual_access:  read_only
        .address_space:  global
        .offset:         40
        .size:           8
        .value_kind:     global_buffer
      - .actual_access:  read_only
        .address_space:  global
        .offset:         48
        .size:           8
        .value_kind:     global_buffer
      - .offset:         56
        .size:           4
        .value_kind:     by_value
      - .actual_access:  read_only
        .address_space:  global
        .offset:         64
        .size:           8
        .value_kind:     global_buffer
      - .offset:         72
        .size:           4
        .value_kind:     by_value
      - .offset:         76
        .size:           4
        .value_kind:     by_value
      - .offset:         80
        .size:           4
        .value_kind:     by_value
      - .actual_access:  write_only
        .address_space:  global
        .offset:         88
        .size:           8
        .value_kind:     global_buffer
      - .actual_access:  write_only
        .address_space:  global
        .offset:         96
        .size:           8
        .value_kind:     global_buffer
      - .actual_access:  write_only
        .address_space:  global
        .offset:         104
        .size:           8
        .value_kind:     global_buffer
      - .actual_access:  read_only
        .address_space:  global
        .offset:         112
        .size:           8
        .value_kind:     global_buffer
      - .offset:         120
        .size:           4
        .value_kind:     by_value
      - .address_space:  global
        .offset:         128
        .size:           8
        .value_kind:     global_buffer
      - .address_space:  global
        .offset:         136
        .size:           8
        .value_kind:     global_buffer
      - .offset:         144
        .size:           4
        .value_kind:     hidden_block_count_x
      - .offset:         148
        .size:           4
        .value_kind:     hidden_block_count_y
      - .offset:         152
        .size:           4
        .value_kind:     hidden_block_count_z
      - .offset:         156
        .size:           2
        .value_kind:     hidden_group_size_x
      - .offset:         158
        .size:           2
        .value_kind:     hidden_group_size_y
      - .offset:         160
        .size:           2
        .value_kind:     hidden_group_size_z
      - .offset:         162
        .size:           2
        .value_kind:     hidden_remainder_x
      - .offset:         164
        .size:           2
        .value_kind:     hidden_remainder_y
      - .offset:         166
        .size:           2
        .value_kind:     hidden_remainder_z
      - .offset:         184
        .size:           8
        .value_kind:     hidden_global_offset_x
      - .offset:         192
        .size:           8
        .value_kind:     hidden_global_offset_y
      - .offset:         200
        .size:           8
        .value_kind:     hidden_global_offset_z
      - .offset:         208
        .size:           2
        .value_kind:     hidden_grid_dims
    .group_segment_fixed_size: 8192
    .kernarg_segment_align: 8
    .kernarg_segment_size: 400
    .language:       OpenCL C
    .language_version:
      - 2
      - 0
    .max_flat_workgroup_size: 256
    .name:           _Z39paged_attention_ll4mi_QKV_mfma16_kernelIDF16_hLN4vllm18Fp8KVCacheDataTypeE1EhLi16ELi128ELi256ELb0ELi9EEvPKT_PKT0_S7_ifPKiS9_S9_iPKfiiiPfSC_PS2_PT2_iSB_SB_
    .private_segment_fixed_size: 0
    .sgpr_count:     56
    .sgpr_spill_count: 0
    .symbol:         _Z39paged_attention_ll4mi_QKV_mfma16_kernelIDF16_hLN4vllm18Fp8KVCacheDataTypeE1EhLi16ELi128ELi256ELb0ELi9EEvPKT_PKT0_S7_ifPKiS9_S9_iPKfiiiPfSC_PS2_PT2_iSB_SB_.kd
    .uniform_work_group_size: 1
    .uses_dynamic_stack: false
    .vgpr_count:     88
    .vgpr_spill_count: 0
    .wavefront_size: 64
  - .agpr_count:     0
    .args:
      - .actual_access:  read_only
        .address_space:  global
        .offset:         0
        .size:           8
        .value_kind:     global_buffer
      - .actual_access:  read_only
        .address_space:  global
        .offset:         8
        .size:           8
        .value_kind:     global_buffer
      - .actual_access:  read_only
        .address_space:  global
        .offset:         16
        .size:           8
        .value_kind:     global_buffer
      - .offset:         24
        .size:           4
        .value_kind:     by_value
      - .offset:         28
        .size:           4
        .value_kind:     by_value
      - .actual_access:  read_only
        .address_space:  global
        .offset:         32
        .size:           8
        .value_kind:     global_buffer
      - .actual_access:  read_only
        .address_space:  global
        .offset:         40
        .size:           8
        .value_kind:     global_buffer
      - .actual_access:  read_only
        .address_space:  global
        .offset:         48
        .size:           8
        .value_kind:     global_buffer
      - .offset:         56
        .size:           4
        .value_kind:     by_value
      - .actual_access:  read_only
        .address_space:  global
        .offset:         64
        .size:           8
        .value_kind:     global_buffer
      - .offset:         72
        .size:           4
        .value_kind:     by_value
      - .offset:         76
        .size:           4
        .value_kind:     by_value
      - .offset:         80
        .size:           4
        .value_kind:     by_value
      - .actual_access:  write_only
        .address_space:  global
        .offset:         88
        .size:           8
        .value_kind:     global_buffer
      - .actual_access:  write_only
        .address_space:  global
        .offset:         96
        .size:           8
        .value_kind:     global_buffer
      - .actual_access:  write_only
        .address_space:  global
        .offset:         104
        .size:           8
        .value_kind:     global_buffer
      - .actual_access:  read_only
        .address_space:  global
        .offset:         112
        .size:           8
        .value_kind:     global_buffer
      - .offset:         120
        .size:           4
        .value_kind:     by_value
      - .address_space:  global
        .offset:         128
        .size:           8
        .value_kind:     global_buffer
      - .address_space:  global
        .offset:         136
        .size:           8
        .value_kind:     global_buffer
      - .offset:         144
        .size:           4
        .value_kind:     hidden_block_count_x
      - .offset:         148
        .size:           4
        .value_kind:     hidden_block_count_y
      - .offset:         152
        .size:           4
        .value_kind:     hidden_block_count_z
      - .offset:         156
        .size:           2
        .value_kind:     hidden_group_size_x
      - .offset:         158
        .size:           2
        .value_kind:     hidden_group_size_y
      - .offset:         160
        .size:           2
        .value_kind:     hidden_group_size_z
      - .offset:         162
        .size:           2
        .value_kind:     hidden_remainder_x
      - .offset:         164
        .size:           2
        .value_kind:     hidden_remainder_y
      - .offset:         166
        .size:           2
        .value_kind:     hidden_remainder_z
      - .offset:         184
        .size:           8
        .value_kind:     hidden_global_offset_x
      - .offset:         192
        .size:           8
        .value_kind:     hidden_global_offset_y
      - .offset:         200
        .size:           8
        .value_kind:     hidden_global_offset_z
      - .offset:         208
        .size:           2
        .value_kind:     hidden_grid_dims
    .group_segment_fixed_size: 8192
    .kernarg_segment_align: 8
    .kernarg_segment_size: 400
    .language:       OpenCL C
    .language_version:
      - 2
      - 0
    .max_flat_workgroup_size: 256
    .name:           _Z39paged_attention_ll4mi_QKV_mfma16_kernelIDF16_hLN4vllm18Fp8KVCacheDataTypeE1EhLi16ELi128ELi256ELb0ELi10EEvPKT_PKT0_S7_ifPKiS9_S9_iPKfiiiPfSC_PS2_PT2_iSB_SB_
    .private_segment_fixed_size: 0
    .sgpr_count:     56
    .sgpr_spill_count: 0
    .symbol:         _Z39paged_attention_ll4mi_QKV_mfma16_kernelIDF16_hLN4vllm18Fp8KVCacheDataTypeE1EhLi16ELi128ELi256ELb0ELi10EEvPKT_PKT0_S7_ifPKiS9_S9_iPKfiiiPfSC_PS2_PT2_iSB_SB_.kd
    .uniform_work_group_size: 1
    .uses_dynamic_stack: false
    .vgpr_count:     88
    .vgpr_spill_count: 0
    .wavefront_size: 64
  - .agpr_count:     0
    .args:
      - .actual_access:  read_only
        .address_space:  global
        .offset:         0
        .size:           8
        .value_kind:     global_buffer
      - .actual_access:  read_only
        .address_space:  global
        .offset:         8
        .size:           8
        .value_kind:     global_buffer
      - .actual_access:  read_only
        .address_space:  global
        .offset:         16
        .size:           8
        .value_kind:     global_buffer
      - .offset:         24
        .size:           4
        .value_kind:     by_value
      - .offset:         28
        .size:           4
        .value_kind:     by_value
      - .actual_access:  read_only
        .address_space:  global
        .offset:         32
        .size:           8
        .value_kind:     global_buffer
      - .actual_access:  read_only
        .address_space:  global
        .offset:         40
        .size:           8
        .value_kind:     global_buffer
      - .actual_access:  read_only
        .address_space:  global
        .offset:         48
        .size:           8
        .value_kind:     global_buffer
      - .offset:         56
        .size:           4
        .value_kind:     by_value
      - .actual_access:  read_only
        .address_space:  global
        .offset:         64
        .size:           8
        .value_kind:     global_buffer
      - .offset:         72
        .size:           4
        .value_kind:     by_value
      - .offset:         76
        .size:           4
        .value_kind:     by_value
      - .offset:         80
        .size:           4
        .value_kind:     by_value
      - .actual_access:  write_only
        .address_space:  global
        .offset:         88
        .size:           8
        .value_kind:     global_buffer
      - .actual_access:  write_only
        .address_space:  global
        .offset:         96
        .size:           8
        .value_kind:     global_buffer
      - .actual_access:  write_only
        .address_space:  global
        .offset:         104
        .size:           8
        .value_kind:     global_buffer
      - .actual_access:  read_only
        .address_space:  global
        .offset:         112
        .size:           8
        .value_kind:     global_buffer
      - .offset:         120
        .size:           4
        .value_kind:     by_value
      - .address_space:  global
        .offset:         128
        .size:           8
        .value_kind:     global_buffer
      - .address_space:  global
        .offset:         136
        .size:           8
        .value_kind:     global_buffer
      - .offset:         144
        .size:           4
        .value_kind:     hidden_block_count_x
      - .offset:         148
        .size:           4
        .value_kind:     hidden_block_count_y
      - .offset:         152
        .size:           4
        .value_kind:     hidden_block_count_z
      - .offset:         156
        .size:           2
        .value_kind:     hidden_group_size_x
      - .offset:         158
        .size:           2
        .value_kind:     hidden_group_size_y
      - .offset:         160
        .size:           2
        .value_kind:     hidden_group_size_z
      - .offset:         162
        .size:           2
        .value_kind:     hidden_remainder_x
      - .offset:         164
        .size:           2
        .value_kind:     hidden_remainder_y
      - .offset:         166
        .size:           2
        .value_kind:     hidden_remainder_z
      - .offset:         184
        .size:           8
        .value_kind:     hidden_global_offset_x
      - .offset:         192
        .size:           8
        .value_kind:     hidden_global_offset_y
      - .offset:         200
        .size:           8
        .value_kind:     hidden_global_offset_z
      - .offset:         208
        .size:           2
        .value_kind:     hidden_grid_dims
    .group_segment_fixed_size: 8192
    .kernarg_segment_align: 8
    .kernarg_segment_size: 400
    .language:       OpenCL C
    .language_version:
      - 2
      - 0
    .max_flat_workgroup_size: 256
    .name:           _Z39paged_attention_ll4mi_QKV_mfma16_kernelIDF16_hLN4vllm18Fp8KVCacheDataTypeE1EhLi16ELi128ELi256ELb0ELi11EEvPKT_PKT0_S7_ifPKiS9_S9_iPKfiiiPfSC_PS2_PT2_iSB_SB_
    .private_segment_fixed_size: 0
    .sgpr_count:     56
    .sgpr_spill_count: 0
    .symbol:         _Z39paged_attention_ll4mi_QKV_mfma16_kernelIDF16_hLN4vllm18Fp8KVCacheDataTypeE1EhLi16ELi128ELi256ELb0ELi11EEvPKT_PKT0_S7_ifPKiS9_S9_iPKfiiiPfSC_PS2_PT2_iSB_SB_.kd
    .uniform_work_group_size: 1
    .uses_dynamic_stack: false
    .vgpr_count:     88
    .vgpr_spill_count: 0
    .wavefront_size: 64
  - .agpr_count:     0
    .args:
      - .actual_access:  read_only
        .address_space:  global
        .offset:         0
        .size:           8
        .value_kind:     global_buffer
      - .actual_access:  read_only
        .address_space:  global
        .offset:         8
        .size:           8
        .value_kind:     global_buffer
      - .actual_access:  read_only
        .address_space:  global
        .offset:         16
        .size:           8
        .value_kind:     global_buffer
      - .offset:         24
        .size:           4
        .value_kind:     by_value
      - .offset:         28
        .size:           4
        .value_kind:     by_value
      - .actual_access:  read_only
        .address_space:  global
        .offset:         32
        .size:           8
        .value_kind:     global_buffer
      - .actual_access:  read_only
        .address_space:  global
        .offset:         40
        .size:           8
        .value_kind:     global_buffer
      - .actual_access:  read_only
        .address_space:  global
        .offset:         48
        .size:           8
        .value_kind:     global_buffer
      - .offset:         56
        .size:           4
        .value_kind:     by_value
      - .actual_access:  read_only
        .address_space:  global
        .offset:         64
        .size:           8
        .value_kind:     global_buffer
      - .offset:         72
        .size:           4
        .value_kind:     by_value
      - .offset:         76
        .size:           4
        .value_kind:     by_value
      - .offset:         80
        .size:           4
        .value_kind:     by_value
      - .actual_access:  write_only
        .address_space:  global
        .offset:         88
        .size:           8
        .value_kind:     global_buffer
      - .actual_access:  write_only
        .address_space:  global
        .offset:         96
        .size:           8
        .value_kind:     global_buffer
      - .actual_access:  write_only
        .address_space:  global
        .offset:         104
        .size:           8
        .value_kind:     global_buffer
      - .actual_access:  read_only
        .address_space:  global
        .offset:         112
        .size:           8
        .value_kind:     global_buffer
      - .offset:         120
        .size:           4
        .value_kind:     by_value
      - .address_space:  global
        .offset:         128
        .size:           8
        .value_kind:     global_buffer
      - .address_space:  global
        .offset:         136
        .size:           8
        .value_kind:     global_buffer
      - .offset:         144
        .size:           4
        .value_kind:     hidden_block_count_x
      - .offset:         148
        .size:           4
        .value_kind:     hidden_block_count_y
      - .offset:         152
        .size:           4
        .value_kind:     hidden_block_count_z
      - .offset:         156
        .size:           2
        .value_kind:     hidden_group_size_x
      - .offset:         158
        .size:           2
        .value_kind:     hidden_group_size_y
      - .offset:         160
        .size:           2
        .value_kind:     hidden_group_size_z
      - .offset:         162
        .size:           2
        .value_kind:     hidden_remainder_x
      - .offset:         164
        .size:           2
        .value_kind:     hidden_remainder_y
      - .offset:         166
        .size:           2
        .value_kind:     hidden_remainder_z
      - .offset:         184
        .size:           8
        .value_kind:     hidden_global_offset_x
      - .offset:         192
        .size:           8
        .value_kind:     hidden_global_offset_y
      - .offset:         200
        .size:           8
        .value_kind:     hidden_global_offset_z
      - .offset:         208
        .size:           2
        .value_kind:     hidden_grid_dims
    .group_segment_fixed_size: 8192
    .kernarg_segment_align: 8
    .kernarg_segment_size: 400
    .language:       OpenCL C
    .language_version:
      - 2
      - 0
    .max_flat_workgroup_size: 256
    .name:           _Z39paged_attention_ll4mi_QKV_mfma16_kernelIDF16_hLN4vllm18Fp8KVCacheDataTypeE1EhLi16ELi128ELi256ELb0ELi12EEvPKT_PKT0_S7_ifPKiS9_S9_iPKfiiiPfSC_PS2_PT2_iSB_SB_
    .private_segment_fixed_size: 0
    .sgpr_count:     56
    .sgpr_spill_count: 0
    .symbol:         _Z39paged_attention_ll4mi_QKV_mfma16_kernelIDF16_hLN4vllm18Fp8KVCacheDataTypeE1EhLi16ELi128ELi256ELb0ELi12EEvPKT_PKT0_S7_ifPKiS9_S9_iPKfiiiPfSC_PS2_PT2_iSB_SB_.kd
    .uniform_work_group_size: 1
    .uses_dynamic_stack: false
    .vgpr_count:     88
    .vgpr_spill_count: 0
    .wavefront_size: 64
  - .agpr_count:     0
    .args:
      - .actual_access:  read_only
        .address_space:  global
        .offset:         0
        .size:           8
        .value_kind:     global_buffer
      - .actual_access:  read_only
        .address_space:  global
        .offset:         8
        .size:           8
        .value_kind:     global_buffer
      - .actual_access:  read_only
        .address_space:  global
        .offset:         16
        .size:           8
        .value_kind:     global_buffer
      - .offset:         24
        .size:           4
        .value_kind:     by_value
      - .offset:         28
        .size:           4
        .value_kind:     by_value
      - .actual_access:  read_only
        .address_space:  global
        .offset:         32
        .size:           8
        .value_kind:     global_buffer
      - .actual_access:  read_only
        .address_space:  global
        .offset:         40
        .size:           8
        .value_kind:     global_buffer
      - .actual_access:  read_only
        .address_space:  global
        .offset:         48
        .size:           8
        .value_kind:     global_buffer
      - .offset:         56
        .size:           4
        .value_kind:     by_value
      - .actual_access:  read_only
        .address_space:  global
        .offset:         64
        .size:           8
        .value_kind:     global_buffer
      - .offset:         72
        .size:           4
        .value_kind:     by_value
      - .offset:         76
        .size:           4
        .value_kind:     by_value
      - .offset:         80
        .size:           4
        .value_kind:     by_value
      - .actual_access:  write_only
        .address_space:  global
        .offset:         88
        .size:           8
        .value_kind:     global_buffer
      - .actual_access:  write_only
        .address_space:  global
        .offset:         96
        .size:           8
        .value_kind:     global_buffer
      - .actual_access:  write_only
        .address_space:  global
        .offset:         104
        .size:           8
        .value_kind:     global_buffer
      - .actual_access:  read_only
        .address_space:  global
        .offset:         112
        .size:           8
        .value_kind:     global_buffer
      - .offset:         120
        .size:           4
        .value_kind:     by_value
      - .address_space:  global
        .offset:         128
        .size:           8
        .value_kind:     global_buffer
      - .address_space:  global
        .offset:         136
        .size:           8
        .value_kind:     global_buffer
      - .offset:         144
        .size:           4
        .value_kind:     hidden_block_count_x
      - .offset:         148
        .size:           4
        .value_kind:     hidden_block_count_y
      - .offset:         152
        .size:           4
        .value_kind:     hidden_block_count_z
      - .offset:         156
        .size:           2
        .value_kind:     hidden_group_size_x
      - .offset:         158
        .size:           2
        .value_kind:     hidden_group_size_y
      - .offset:         160
        .size:           2
        .value_kind:     hidden_group_size_z
      - .offset:         162
        .size:           2
        .value_kind:     hidden_remainder_x
      - .offset:         164
        .size:           2
        .value_kind:     hidden_remainder_y
      - .offset:         166
        .size:           2
        .value_kind:     hidden_remainder_z
      - .offset:         184
        .size:           8
        .value_kind:     hidden_global_offset_x
      - .offset:         192
        .size:           8
        .value_kind:     hidden_global_offset_y
      - .offset:         200
        .size:           8
        .value_kind:     hidden_global_offset_z
      - .offset:         208
        .size:           2
        .value_kind:     hidden_grid_dims
    .group_segment_fixed_size: 8192
    .kernarg_segment_align: 8
    .kernarg_segment_size: 400
    .language:       OpenCL C
    .language_version:
      - 2
      - 0
    .max_flat_workgroup_size: 256
    .name:           _Z39paged_attention_ll4mi_QKV_mfma16_kernelIDF16_hLN4vllm18Fp8KVCacheDataTypeE1EhLi16ELi128ELi256ELb0ELi13EEvPKT_PKT0_S7_ifPKiS9_S9_iPKfiiiPfSC_PS2_PT2_iSB_SB_
    .private_segment_fixed_size: 0
    .sgpr_count:     56
    .sgpr_spill_count: 0
    .symbol:         _Z39paged_attention_ll4mi_QKV_mfma16_kernelIDF16_hLN4vllm18Fp8KVCacheDataTypeE1EhLi16ELi128ELi256ELb0ELi13EEvPKT_PKT0_S7_ifPKiS9_S9_iPKfiiiPfSC_PS2_PT2_iSB_SB_.kd
    .uniform_work_group_size: 1
    .uses_dynamic_stack: false
    .vgpr_count:     88
    .vgpr_spill_count: 0
    .wavefront_size: 64
  - .agpr_count:     0
    .args:
      - .actual_access:  read_only
        .address_space:  global
        .offset:         0
        .size:           8
        .value_kind:     global_buffer
      - .actual_access:  read_only
        .address_space:  global
        .offset:         8
        .size:           8
        .value_kind:     global_buffer
      - .actual_access:  read_only
        .address_space:  global
        .offset:         16
        .size:           8
        .value_kind:     global_buffer
      - .offset:         24
        .size:           4
        .value_kind:     by_value
      - .offset:         28
        .size:           4
        .value_kind:     by_value
      - .actual_access:  read_only
        .address_space:  global
        .offset:         32
        .size:           8
        .value_kind:     global_buffer
      - .actual_access:  read_only
        .address_space:  global
        .offset:         40
        .size:           8
        .value_kind:     global_buffer
      - .actual_access:  read_only
        .address_space:  global
        .offset:         48
        .size:           8
        .value_kind:     global_buffer
      - .offset:         56
        .size:           4
        .value_kind:     by_value
      - .actual_access:  read_only
        .address_space:  global
        .offset:         64
        .size:           8
        .value_kind:     global_buffer
      - .offset:         72
        .size:           4
        .value_kind:     by_value
      - .offset:         76
        .size:           4
        .value_kind:     by_value
      - .offset:         80
        .size:           4
        .value_kind:     by_value
      - .actual_access:  write_only
        .address_space:  global
        .offset:         88
        .size:           8
        .value_kind:     global_buffer
      - .actual_access:  write_only
        .address_space:  global
        .offset:         96
        .size:           8
        .value_kind:     global_buffer
      - .actual_access:  write_only
        .address_space:  global
        .offset:         104
        .size:           8
        .value_kind:     global_buffer
      - .actual_access:  read_only
        .address_space:  global
        .offset:         112
        .size:           8
        .value_kind:     global_buffer
      - .offset:         120
        .size:           4
        .value_kind:     by_value
      - .address_space:  global
        .offset:         128
        .size:           8
        .value_kind:     global_buffer
      - .address_space:  global
        .offset:         136
        .size:           8
        .value_kind:     global_buffer
      - .offset:         144
        .size:           4
        .value_kind:     hidden_block_count_x
      - .offset:         148
        .size:           4
        .value_kind:     hidden_block_count_y
      - .offset:         152
        .size:           4
        .value_kind:     hidden_block_count_z
      - .offset:         156
        .size:           2
        .value_kind:     hidden_group_size_x
      - .offset:         158
        .size:           2
        .value_kind:     hidden_group_size_y
      - .offset:         160
        .size:           2
        .value_kind:     hidden_group_size_z
      - .offset:         162
        .size:           2
        .value_kind:     hidden_remainder_x
      - .offset:         164
        .size:           2
        .value_kind:     hidden_remainder_y
      - .offset:         166
        .size:           2
        .value_kind:     hidden_remainder_z
      - .offset:         184
        .size:           8
        .value_kind:     hidden_global_offset_x
      - .offset:         192
        .size:           8
        .value_kind:     hidden_global_offset_y
      - .offset:         200
        .size:           8
        .value_kind:     hidden_global_offset_z
      - .offset:         208
        .size:           2
        .value_kind:     hidden_grid_dims
    .group_segment_fixed_size: 8192
    .kernarg_segment_align: 8
    .kernarg_segment_size: 400
    .language:       OpenCL C
    .language_version:
      - 2
      - 0
    .max_flat_workgroup_size: 256
    .name:           _Z39paged_attention_ll4mi_QKV_mfma16_kernelIDF16_hLN4vllm18Fp8KVCacheDataTypeE1EhLi16ELi128ELi256ELb0ELi14EEvPKT_PKT0_S7_ifPKiS9_S9_iPKfiiiPfSC_PS2_PT2_iSB_SB_
    .private_segment_fixed_size: 0
    .sgpr_count:     56
    .sgpr_spill_count: 0
    .symbol:         _Z39paged_attention_ll4mi_QKV_mfma16_kernelIDF16_hLN4vllm18Fp8KVCacheDataTypeE1EhLi16ELi128ELi256ELb0ELi14EEvPKT_PKT0_S7_ifPKiS9_S9_iPKfiiiPfSC_PS2_PT2_iSB_SB_.kd
    .uniform_work_group_size: 1
    .uses_dynamic_stack: false
    .vgpr_count:     88
    .vgpr_spill_count: 0
    .wavefront_size: 64
  - .agpr_count:     0
    .args:
      - .actual_access:  read_only
        .address_space:  global
        .offset:         0
        .size:           8
        .value_kind:     global_buffer
      - .actual_access:  read_only
        .address_space:  global
        .offset:         8
        .size:           8
        .value_kind:     global_buffer
      - .actual_access:  read_only
        .address_space:  global
        .offset:         16
        .size:           8
        .value_kind:     global_buffer
      - .offset:         24
        .size:           4
        .value_kind:     by_value
      - .offset:         28
        .size:           4
        .value_kind:     by_value
      - .actual_access:  read_only
        .address_space:  global
        .offset:         32
        .size:           8
        .value_kind:     global_buffer
      - .actual_access:  read_only
        .address_space:  global
        .offset:         40
        .size:           8
        .value_kind:     global_buffer
      - .actual_access:  read_only
        .address_space:  global
        .offset:         48
        .size:           8
        .value_kind:     global_buffer
      - .offset:         56
        .size:           4
        .value_kind:     by_value
      - .actual_access:  read_only
        .address_space:  global
        .offset:         64
        .size:           8
        .value_kind:     global_buffer
      - .offset:         72
        .size:           4
        .value_kind:     by_value
      - .offset:         76
        .size:           4
        .value_kind:     by_value
      - .offset:         80
        .size:           4
        .value_kind:     by_value
      - .actual_access:  write_only
        .address_space:  global
        .offset:         88
        .size:           8
        .value_kind:     global_buffer
      - .actual_access:  write_only
        .address_space:  global
        .offset:         96
        .size:           8
        .value_kind:     global_buffer
      - .actual_access:  write_only
        .address_space:  global
        .offset:         104
        .size:           8
        .value_kind:     global_buffer
      - .actual_access:  read_only
        .address_space:  global
        .offset:         112
        .size:           8
        .value_kind:     global_buffer
      - .offset:         120
        .size:           4
        .value_kind:     by_value
      - .address_space:  global
        .offset:         128
        .size:           8
        .value_kind:     global_buffer
      - .address_space:  global
        .offset:         136
        .size:           8
        .value_kind:     global_buffer
      - .offset:         144
        .size:           4
        .value_kind:     hidden_block_count_x
      - .offset:         148
        .size:           4
        .value_kind:     hidden_block_count_y
      - .offset:         152
        .size:           4
        .value_kind:     hidden_block_count_z
      - .offset:         156
        .size:           2
        .value_kind:     hidden_group_size_x
      - .offset:         158
        .size:           2
        .value_kind:     hidden_group_size_y
      - .offset:         160
        .size:           2
        .value_kind:     hidden_group_size_z
      - .offset:         162
        .size:           2
        .value_kind:     hidden_remainder_x
      - .offset:         164
        .size:           2
        .value_kind:     hidden_remainder_y
      - .offset:         166
        .size:           2
        .value_kind:     hidden_remainder_z
      - .offset:         184
        .size:           8
        .value_kind:     hidden_global_offset_x
      - .offset:         192
        .size:           8
        .value_kind:     hidden_global_offset_y
      - .offset:         200
        .size:           8
        .value_kind:     hidden_global_offset_z
      - .offset:         208
        .size:           2
        .value_kind:     hidden_grid_dims
    .group_segment_fixed_size: 8192
    .kernarg_segment_align: 8
    .kernarg_segment_size: 400
    .language:       OpenCL C
    .language_version:
      - 2
      - 0
    .max_flat_workgroup_size: 256
    .name:           _Z39paged_attention_ll4mi_QKV_mfma16_kernelIDF16_hLN4vllm18Fp8KVCacheDataTypeE1EhLi16ELi128ELi256ELb0ELi15EEvPKT_PKT0_S7_ifPKiS9_S9_iPKfiiiPfSC_PS2_PT2_iSB_SB_
    .private_segment_fixed_size: 0
    .sgpr_count:     56
    .sgpr_spill_count: 0
    .symbol:         _Z39paged_attention_ll4mi_QKV_mfma16_kernelIDF16_hLN4vllm18Fp8KVCacheDataTypeE1EhLi16ELi128ELi256ELb0ELi15EEvPKT_PKT0_S7_ifPKiS9_S9_iPKfiiiPfSC_PS2_PT2_iSB_SB_.kd
    .uniform_work_group_size: 1
    .uses_dynamic_stack: false
    .vgpr_count:     90
    .vgpr_spill_count: 0
    .wavefront_size: 64
  - .agpr_count:     0
    .args:
      - .actual_access:  read_only
        .address_space:  global
        .offset:         0
        .size:           8
        .value_kind:     global_buffer
      - .actual_access:  read_only
        .address_space:  global
        .offset:         8
        .size:           8
        .value_kind:     global_buffer
      - .actual_access:  read_only
        .address_space:  global
        .offset:         16
        .size:           8
        .value_kind:     global_buffer
      - .offset:         24
        .size:           4
        .value_kind:     by_value
      - .offset:         28
        .size:           4
        .value_kind:     by_value
      - .actual_access:  read_only
        .address_space:  global
        .offset:         32
        .size:           8
        .value_kind:     global_buffer
      - .actual_access:  read_only
        .address_space:  global
        .offset:         40
        .size:           8
        .value_kind:     global_buffer
      - .actual_access:  read_only
        .address_space:  global
        .offset:         48
        .size:           8
        .value_kind:     global_buffer
      - .offset:         56
        .size:           4
        .value_kind:     by_value
      - .actual_access:  read_only
        .address_space:  global
        .offset:         64
        .size:           8
        .value_kind:     global_buffer
      - .offset:         72
        .size:           4
        .value_kind:     by_value
      - .offset:         76
        .size:           4
        .value_kind:     by_value
      - .offset:         80
        .size:           4
        .value_kind:     by_value
      - .actual_access:  write_only
        .address_space:  global
        .offset:         88
        .size:           8
        .value_kind:     global_buffer
      - .actual_access:  write_only
        .address_space:  global
        .offset:         96
        .size:           8
        .value_kind:     global_buffer
      - .actual_access:  write_only
        .address_space:  global
        .offset:         104
        .size:           8
        .value_kind:     global_buffer
      - .actual_access:  read_only
        .address_space:  global
        .offset:         112
        .size:           8
        .value_kind:     global_buffer
      - .offset:         120
        .size:           4
        .value_kind:     by_value
      - .address_space:  global
        .offset:         128
        .size:           8
        .value_kind:     global_buffer
      - .address_space:  global
        .offset:         136
        .size:           8
        .value_kind:     global_buffer
      - .offset:         144
        .size:           4
        .value_kind:     hidden_block_count_x
      - .offset:         148
        .size:           4
        .value_kind:     hidden_block_count_y
      - .offset:         152
        .size:           4
        .value_kind:     hidden_block_count_z
      - .offset:         156
        .size:           2
        .value_kind:     hidden_group_size_x
      - .offset:         158
        .size:           2
        .value_kind:     hidden_group_size_y
      - .offset:         160
        .size:           2
        .value_kind:     hidden_group_size_z
      - .offset:         162
        .size:           2
        .value_kind:     hidden_remainder_x
      - .offset:         164
        .size:           2
        .value_kind:     hidden_remainder_y
      - .offset:         166
        .size:           2
        .value_kind:     hidden_remainder_z
      - .offset:         184
        .size:           8
        .value_kind:     hidden_global_offset_x
      - .offset:         192
        .size:           8
        .value_kind:     hidden_global_offset_y
      - .offset:         200
        .size:           8
        .value_kind:     hidden_global_offset_z
      - .offset:         208
        .size:           2
        .value_kind:     hidden_grid_dims
    .group_segment_fixed_size: 8192
    .kernarg_segment_align: 8
    .kernarg_segment_size: 400
    .language:       OpenCL C
    .language_version:
      - 2
      - 0
    .max_flat_workgroup_size: 256
    .name:           _Z39paged_attention_ll4mi_QKV_mfma16_kernelIDF16_hLN4vllm18Fp8KVCacheDataTypeE1EhLi16ELi128ELi256ELb0ELi16EEvPKT_PKT0_S7_ifPKiS9_S9_iPKfiiiPfSC_PS2_PT2_iSB_SB_
    .private_segment_fixed_size: 0
    .sgpr_count:     52
    .sgpr_spill_count: 0
    .symbol:         _Z39paged_attention_ll4mi_QKV_mfma16_kernelIDF16_hLN4vllm18Fp8KVCacheDataTypeE1EhLi16ELi128ELi256ELb0ELi16EEvPKT_PKT0_S7_ifPKiS9_S9_iPKfiiiPfSC_PS2_PT2_iSB_SB_.kd
    .uniform_work_group_size: 1
    .uses_dynamic_stack: false
    .vgpr_count:     92
    .vgpr_spill_count: 0
    .wavefront_size: 64
  - .agpr_count:     0
    .args:
      - .actual_access:  read_only
        .address_space:  global
        .offset:         0
        .size:           8
        .value_kind:     global_buffer
      - .actual_access:  read_only
        .address_space:  global
        .offset:         8
        .size:           8
        .value_kind:     global_buffer
      - .actual_access:  read_only
        .address_space:  global
        .offset:         16
        .size:           8
        .value_kind:     global_buffer
      - .offset:         24
        .size:           4
        .value_kind:     by_value
      - .offset:         28
        .size:           4
        .value_kind:     by_value
      - .actual_access:  read_only
        .address_space:  global
        .offset:         32
        .size:           8
        .value_kind:     global_buffer
      - .actual_access:  read_only
        .address_space:  global
        .offset:         40
        .size:           8
        .value_kind:     global_buffer
      - .actual_access:  read_only
        .address_space:  global
        .offset:         48
        .size:           8
        .value_kind:     global_buffer
      - .offset:         56
        .size:           4
        .value_kind:     by_value
      - .actual_access:  read_only
        .address_space:  global
        .offset:         64
        .size:           8
        .value_kind:     global_buffer
      - .offset:         72
        .size:           4
        .value_kind:     by_value
      - .offset:         76
        .size:           4
        .value_kind:     by_value
      - .offset:         80
        .size:           4
        .value_kind:     by_value
      - .actual_access:  write_only
        .address_space:  global
        .offset:         88
        .size:           8
        .value_kind:     global_buffer
      - .actual_access:  write_only
        .address_space:  global
        .offset:         96
        .size:           8
        .value_kind:     global_buffer
      - .actual_access:  write_only
        .address_space:  global
        .offset:         104
        .size:           8
        .value_kind:     global_buffer
      - .actual_access:  read_only
        .address_space:  global
        .offset:         112
        .size:           8
        .value_kind:     global_buffer
      - .offset:         120
        .size:           4
        .value_kind:     by_value
      - .address_space:  global
        .offset:         128
        .size:           8
        .value_kind:     global_buffer
      - .address_space:  global
        .offset:         136
        .size:           8
        .value_kind:     global_buffer
      - .offset:         144
        .size:           4
        .value_kind:     hidden_block_count_x
      - .offset:         148
        .size:           4
        .value_kind:     hidden_block_count_y
      - .offset:         152
        .size:           4
        .value_kind:     hidden_block_count_z
      - .offset:         156
        .size:           2
        .value_kind:     hidden_group_size_x
      - .offset:         158
        .size:           2
        .value_kind:     hidden_group_size_y
      - .offset:         160
        .size:           2
        .value_kind:     hidden_group_size_z
      - .offset:         162
        .size:           2
        .value_kind:     hidden_remainder_x
      - .offset:         164
        .size:           2
        .value_kind:     hidden_remainder_y
      - .offset:         166
        .size:           2
        .value_kind:     hidden_remainder_z
      - .offset:         184
        .size:           8
        .value_kind:     hidden_global_offset_x
      - .offset:         192
        .size:           8
        .value_kind:     hidden_global_offset_y
      - .offset:         200
        .size:           8
        .value_kind:     hidden_global_offset_z
      - .offset:         208
        .size:           2
        .value_kind:     hidden_grid_dims
    .group_segment_fixed_size: 8192
    .kernarg_segment_align: 8
    .kernarg_segment_size: 400
    .language:       OpenCL C
    .language_version:
      - 2
      - 0
    .max_flat_workgroup_size: 256
    .name:           _Z39paged_attention_ll4mi_QKV_mfma16_kernelIDF16_hLN4vllm18Fp8KVCacheDataTypeE1EhLi16ELi128ELi256ELb0ELi1EEvPKT_PKT0_S7_ifPKiS9_S9_iPKfiiiPfSC_PS2_PT2_iSB_SB_
    .private_segment_fixed_size: 0
    .sgpr_count:     54
    .sgpr_spill_count: 0
    .symbol:         _Z39paged_attention_ll4mi_QKV_mfma16_kernelIDF16_hLN4vllm18Fp8KVCacheDataTypeE1EhLi16ELi128ELi256ELb0ELi1EEvPKT_PKT0_S7_ifPKiS9_S9_iPKfiiiPfSC_PS2_PT2_iSB_SB_.kd
    .uniform_work_group_size: 1
    .uses_dynamic_stack: false
    .vgpr_count:     84
    .vgpr_spill_count: 0
    .wavefront_size: 64
  - .agpr_count:     0
    .args:
      - .actual_access:  read_only
        .address_space:  global
        .offset:         0
        .size:           8
        .value_kind:     global_buffer
      - .actual_access:  read_only
        .address_space:  global
        .offset:         8
        .size:           8
        .value_kind:     global_buffer
      - .actual_access:  read_only
        .address_space:  global
        .offset:         16
        .size:           8
        .value_kind:     global_buffer
      - .offset:         24
        .size:           4
        .value_kind:     by_value
      - .offset:         28
        .size:           4
        .value_kind:     by_value
      - .actual_access:  read_only
        .address_space:  global
        .offset:         32
        .size:           8
        .value_kind:     global_buffer
      - .actual_access:  read_only
        .address_space:  global
        .offset:         40
        .size:           8
        .value_kind:     global_buffer
      - .actual_access:  read_only
        .address_space:  global
        .offset:         48
        .size:           8
        .value_kind:     global_buffer
      - .offset:         56
        .size:           4
        .value_kind:     by_value
      - .actual_access:  read_only
        .address_space:  global
        .offset:         64
        .size:           8
        .value_kind:     global_buffer
      - .offset:         72
        .size:           4
        .value_kind:     by_value
      - .offset:         76
        .size:           4
        .value_kind:     by_value
      - .offset:         80
        .size:           4
        .value_kind:     by_value
      - .actual_access:  write_only
        .address_space:  global
        .offset:         88
        .size:           8
        .value_kind:     global_buffer
      - .actual_access:  write_only
        .address_space:  global
        .offset:         96
        .size:           8
        .value_kind:     global_buffer
      - .actual_access:  write_only
        .address_space:  global
        .offset:         104
        .size:           8
        .value_kind:     global_buffer
      - .actual_access:  read_only
        .address_space:  global
        .offset:         112
        .size:           8
        .value_kind:     global_buffer
      - .offset:         120
        .size:           4
        .value_kind:     by_value
      - .address_space:  global
        .offset:         128
        .size:           8
        .value_kind:     global_buffer
      - .address_space:  global
        .offset:         136
        .size:           8
        .value_kind:     global_buffer
      - .offset:         144
        .size:           4
        .value_kind:     hidden_block_count_x
      - .offset:         148
        .size:           4
        .value_kind:     hidden_block_count_y
      - .offset:         152
        .size:           4
        .value_kind:     hidden_block_count_z
      - .offset:         156
        .size:           2
        .value_kind:     hidden_group_size_x
      - .offset:         158
        .size:           2
        .value_kind:     hidden_group_size_y
      - .offset:         160
        .size:           2
        .value_kind:     hidden_group_size_z
      - .offset:         162
        .size:           2
        .value_kind:     hidden_remainder_x
      - .offset:         164
        .size:           2
        .value_kind:     hidden_remainder_y
      - .offset:         166
        .size:           2
        .value_kind:     hidden_remainder_z
      - .offset:         184
        .size:           8
        .value_kind:     hidden_global_offset_x
      - .offset:         192
        .size:           8
        .value_kind:     hidden_global_offset_y
      - .offset:         200
        .size:           8
        .value_kind:     hidden_global_offset_z
      - .offset:         208
        .size:           2
        .value_kind:     hidden_grid_dims
    .group_segment_fixed_size: 8192
    .kernarg_segment_align: 8
    .kernarg_segment_size: 400
    .language:       OpenCL C
    .language_version:
      - 2
      - 0
    .max_flat_workgroup_size: 256
    .name:           _Z39paged_attention_ll4mi_QKV_mfma16_kernelIDF16_hLN4vllm18Fp8KVCacheDataTypeE1EhLi16ELi128ELi256ELb0ELi2EEvPKT_PKT0_S7_ifPKiS9_S9_iPKfiiiPfSC_PS2_PT2_iSB_SB_
    .private_segment_fixed_size: 0
    .sgpr_count:     54
    .sgpr_spill_count: 0
    .symbol:         _Z39paged_attention_ll4mi_QKV_mfma16_kernelIDF16_hLN4vllm18Fp8KVCacheDataTypeE1EhLi16ELi128ELi256ELb0ELi2EEvPKT_PKT0_S7_ifPKiS9_S9_iPKfiiiPfSC_PS2_PT2_iSB_SB_.kd
    .uniform_work_group_size: 1
    .uses_dynamic_stack: false
    .vgpr_count:     90
    .vgpr_spill_count: 0
    .wavefront_size: 64
  - .agpr_count:     0
    .args:
      - .actual_access:  read_only
        .address_space:  global
        .offset:         0
        .size:           8
        .value_kind:     global_buffer
      - .actual_access:  read_only
        .address_space:  global
        .offset:         8
        .size:           8
        .value_kind:     global_buffer
      - .actual_access:  read_only
        .address_space:  global
        .offset:         16
        .size:           8
        .value_kind:     global_buffer
      - .offset:         24
        .size:           4
        .value_kind:     by_value
      - .offset:         28
        .size:           4
        .value_kind:     by_value
      - .actual_access:  read_only
        .address_space:  global
        .offset:         32
        .size:           8
        .value_kind:     global_buffer
      - .actual_access:  read_only
        .address_space:  global
        .offset:         40
        .size:           8
        .value_kind:     global_buffer
      - .actual_access:  read_only
        .address_space:  global
        .offset:         48
        .size:           8
        .value_kind:     global_buffer
      - .offset:         56
        .size:           4
        .value_kind:     by_value
      - .actual_access:  read_only
        .address_space:  global
        .offset:         64
        .size:           8
        .value_kind:     global_buffer
      - .offset:         72
        .size:           4
        .value_kind:     by_value
      - .offset:         76
        .size:           4
        .value_kind:     by_value
      - .offset:         80
        .size:           4
        .value_kind:     by_value
      - .actual_access:  write_only
        .address_space:  global
        .offset:         88
        .size:           8
        .value_kind:     global_buffer
      - .actual_access:  write_only
        .address_space:  global
        .offset:         96
        .size:           8
        .value_kind:     global_buffer
      - .actual_access:  write_only
        .address_space:  global
        .offset:         104
        .size:           8
        .value_kind:     global_buffer
      - .actual_access:  read_only
        .address_space:  global
        .offset:         112
        .size:           8
        .value_kind:     global_buffer
      - .offset:         120
        .size:           4
        .value_kind:     by_value
      - .address_space:  global
        .offset:         128
        .size:           8
        .value_kind:     global_buffer
      - .address_space:  global
        .offset:         136
        .size:           8
        .value_kind:     global_buffer
      - .offset:         144
        .size:           4
        .value_kind:     hidden_block_count_x
      - .offset:         148
        .size:           4
        .value_kind:     hidden_block_count_y
      - .offset:         152
        .size:           4
        .value_kind:     hidden_block_count_z
      - .offset:         156
        .size:           2
        .value_kind:     hidden_group_size_x
      - .offset:         158
        .size:           2
        .value_kind:     hidden_group_size_y
      - .offset:         160
        .size:           2
        .value_kind:     hidden_group_size_z
      - .offset:         162
        .size:           2
        .value_kind:     hidden_remainder_x
      - .offset:         164
        .size:           2
        .value_kind:     hidden_remainder_y
      - .offset:         166
        .size:           2
        .value_kind:     hidden_remainder_z
      - .offset:         184
        .size:           8
        .value_kind:     hidden_global_offset_x
      - .offset:         192
        .size:           8
        .value_kind:     hidden_global_offset_y
      - .offset:         200
        .size:           8
        .value_kind:     hidden_global_offset_z
      - .offset:         208
        .size:           2
        .value_kind:     hidden_grid_dims
    .group_segment_fixed_size: 8192
    .kernarg_segment_align: 8
    .kernarg_segment_size: 400
    .language:       OpenCL C
    .language_version:
      - 2
      - 0
    .max_flat_workgroup_size: 256
    .name:           _Z39paged_attention_ll4mi_QKV_mfma16_kernelIDF16_hLN4vllm18Fp8KVCacheDataTypeE1EhLi16ELi128ELi256ELb0ELi3EEvPKT_PKT0_S7_ifPKiS9_S9_iPKfiiiPfSC_PS2_PT2_iSB_SB_
    .private_segment_fixed_size: 0
    .sgpr_count:     56
    .sgpr_spill_count: 0
    .symbol:         _Z39paged_attention_ll4mi_QKV_mfma16_kernelIDF16_hLN4vllm18Fp8KVCacheDataTypeE1EhLi16ELi128ELi256ELb0ELi3EEvPKT_PKT0_S7_ifPKiS9_S9_iPKfiiiPfSC_PS2_PT2_iSB_SB_.kd
    .uniform_work_group_size: 1
    .uses_dynamic_stack: false
    .vgpr_count:     88
    .vgpr_spill_count: 0
    .wavefront_size: 64
  - .agpr_count:     0
    .args:
      - .actual_access:  read_only
        .address_space:  global
        .offset:         0
        .size:           8
        .value_kind:     global_buffer
      - .actual_access:  read_only
        .address_space:  global
        .offset:         8
        .size:           8
        .value_kind:     global_buffer
      - .actual_access:  read_only
        .address_space:  global
        .offset:         16
        .size:           8
        .value_kind:     global_buffer
      - .offset:         24
        .size:           4
        .value_kind:     by_value
      - .offset:         28
        .size:           4
        .value_kind:     by_value
      - .actual_access:  read_only
        .address_space:  global
        .offset:         32
        .size:           8
        .value_kind:     global_buffer
      - .actual_access:  read_only
        .address_space:  global
        .offset:         40
        .size:           8
        .value_kind:     global_buffer
      - .actual_access:  read_only
        .address_space:  global
        .offset:         48
        .size:           8
        .value_kind:     global_buffer
      - .offset:         56
        .size:           4
        .value_kind:     by_value
      - .actual_access:  read_only
        .address_space:  global
        .offset:         64
        .size:           8
        .value_kind:     global_buffer
      - .offset:         72
        .size:           4
        .value_kind:     by_value
      - .offset:         76
        .size:           4
        .value_kind:     by_value
      - .offset:         80
        .size:           4
        .value_kind:     by_value
      - .actual_access:  write_only
        .address_space:  global
        .offset:         88
        .size:           8
        .value_kind:     global_buffer
      - .actual_access:  write_only
        .address_space:  global
        .offset:         96
        .size:           8
        .value_kind:     global_buffer
      - .actual_access:  write_only
        .address_space:  global
        .offset:         104
        .size:           8
        .value_kind:     global_buffer
      - .actual_access:  read_only
        .address_space:  global
        .offset:         112
        .size:           8
        .value_kind:     global_buffer
      - .offset:         120
        .size:           4
        .value_kind:     by_value
      - .address_space:  global
        .offset:         128
        .size:           8
        .value_kind:     global_buffer
      - .address_space:  global
        .offset:         136
        .size:           8
        .value_kind:     global_buffer
      - .offset:         144
        .size:           4
        .value_kind:     hidden_block_count_x
      - .offset:         148
        .size:           4
        .value_kind:     hidden_block_count_y
      - .offset:         152
        .size:           4
        .value_kind:     hidden_block_count_z
      - .offset:         156
        .size:           2
        .value_kind:     hidden_group_size_x
      - .offset:         158
        .size:           2
        .value_kind:     hidden_group_size_y
      - .offset:         160
        .size:           2
        .value_kind:     hidden_group_size_z
      - .offset:         162
        .size:           2
        .value_kind:     hidden_remainder_x
      - .offset:         164
        .size:           2
        .value_kind:     hidden_remainder_y
      - .offset:         166
        .size:           2
        .value_kind:     hidden_remainder_z
      - .offset:         184
        .size:           8
        .value_kind:     hidden_global_offset_x
      - .offset:         192
        .size:           8
        .value_kind:     hidden_global_offset_y
      - .offset:         200
        .size:           8
        .value_kind:     hidden_global_offset_z
      - .offset:         208
        .size:           2
        .value_kind:     hidden_grid_dims
    .group_segment_fixed_size: 8192
    .kernarg_segment_align: 8
    .kernarg_segment_size: 400
    .language:       OpenCL C
    .language_version:
      - 2
      - 0
    .max_flat_workgroup_size: 256
    .name:           _Z39paged_attention_ll4mi_QKV_mfma16_kernelIDF16_hLN4vllm18Fp8KVCacheDataTypeE1EhLi16ELi128ELi256ELb0ELi4EEvPKT_PKT0_S7_ifPKiS9_S9_iPKfiiiPfSC_PS2_PT2_iSB_SB_
    .private_segment_fixed_size: 0
    .sgpr_count:     55
    .sgpr_spill_count: 0
    .symbol:         _Z39paged_attention_ll4mi_QKV_mfma16_kernelIDF16_hLN4vllm18Fp8KVCacheDataTypeE1EhLi16ELi128ELi256ELb0ELi4EEvPKT_PKT0_S7_ifPKiS9_S9_iPKfiiiPfSC_PS2_PT2_iSB_SB_.kd
    .uniform_work_group_size: 1
    .uses_dynamic_stack: false
    .vgpr_count:     92
    .vgpr_spill_count: 0
    .wavefront_size: 64
  - .agpr_count:     4
    .args:
      - .actual_access:  read_only
        .address_space:  global
        .offset:         0
        .size:           8
        .value_kind:     global_buffer
      - .actual_access:  read_only
        .address_space:  global
        .offset:         8
        .size:           8
        .value_kind:     global_buffer
      - .actual_access:  read_only
        .address_space:  global
        .offset:         16
        .size:           8
        .value_kind:     global_buffer
      - .offset:         24
        .size:           4
        .value_kind:     by_value
      - .offset:         28
        .size:           4
        .value_kind:     by_value
      - .actual_access:  read_only
        .address_space:  global
        .offset:         32
        .size:           8
        .value_kind:     global_buffer
      - .actual_access:  read_only
        .address_space:  global
        .offset:         40
        .size:           8
        .value_kind:     global_buffer
      - .actual_access:  read_only
        .address_space:  global
        .offset:         48
        .size:           8
        .value_kind:     global_buffer
      - .offset:         56
        .size:           4
        .value_kind:     by_value
      - .actual_access:  read_only
        .address_space:  global
        .offset:         64
        .size:           8
        .value_kind:     global_buffer
      - .offset:         72
        .size:           4
        .value_kind:     by_value
      - .offset:         76
        .size:           4
        .value_kind:     by_value
      - .offset:         80
        .size:           4
        .value_kind:     by_value
      - .actual_access:  write_only
        .address_space:  global
        .offset:         88
        .size:           8
        .value_kind:     global_buffer
      - .actual_access:  write_only
        .address_space:  global
        .offset:         96
        .size:           8
        .value_kind:     global_buffer
      - .actual_access:  write_only
        .address_space:  global
        .offset:         104
        .size:           8
        .value_kind:     global_buffer
      - .actual_access:  read_only
        .address_space:  global
        .offset:         112
        .size:           8
        .value_kind:     global_buffer
      - .offset:         120
        .size:           4
        .value_kind:     by_value
      - .address_space:  global
        .offset:         128
        .size:           8
        .value_kind:     global_buffer
      - .address_space:  global
        .offset:         136
        .size:           8
        .value_kind:     global_buffer
      - .offset:         144
        .size:           4
        .value_kind:     hidden_block_count_x
      - .offset:         148
        .size:           4
        .value_kind:     hidden_block_count_y
      - .offset:         152
        .size:           4
        .value_kind:     hidden_block_count_z
      - .offset:         156
        .size:           2
        .value_kind:     hidden_group_size_x
      - .offset:         158
        .size:           2
        .value_kind:     hidden_group_size_y
      - .offset:         160
        .size:           2
        .value_kind:     hidden_group_size_z
      - .offset:         162
        .size:           2
        .value_kind:     hidden_remainder_x
      - .offset:         164
        .size:           2
        .value_kind:     hidden_remainder_y
      - .offset:         166
        .size:           2
        .value_kind:     hidden_remainder_z
      - .offset:         184
        .size:           8
        .value_kind:     hidden_global_offset_x
      - .offset:         192
        .size:           8
        .value_kind:     hidden_global_offset_y
      - .offset:         200
        .size:           8
        .value_kind:     hidden_global_offset_z
      - .offset:         208
        .size:           2
        .value_kind:     hidden_grid_dims
    .group_segment_fixed_size: 5280
    .kernarg_segment_align: 8
    .kernarg_segment_size: 400
    .language:       OpenCL C
    .language_version:
      - 2
      - 0
    .max_flat_workgroup_size: 256
    .name:           _Z38paged_attention_ll4mi_QKV_mfma4_kernelIDF16_hLN4vllm18Fp8KVCacheDataTypeE1EDF16_Li16ELi128ELi256ELb1ELi1EEvPKT_PKT0_S7_ifPKiS9_S9_iPKfiiiPfSC_PS2_PT2_iSB_SB_
    .private_segment_fixed_size: 0
    .sgpr_count:     48
    .sgpr_spill_count: 0
    .symbol:         _Z38paged_attention_ll4mi_QKV_mfma4_kernelIDF16_hLN4vllm18Fp8KVCacheDataTypeE1EDF16_Li16ELi128ELi256ELb1ELi1EEvPKT_PKT0_S7_ifPKiS9_S9_iPKfiiiPfSC_PS2_PT2_iSB_SB_.kd
    .uniform_work_group_size: 1
    .uses_dynamic_stack: false
    .vgpr_count:     60
    .vgpr_spill_count: 0
    .wavefront_size: 64
  - .agpr_count:     4
    .args:
      - .actual_access:  read_only
        .address_space:  global
        .offset:         0
        .size:           8
        .value_kind:     global_buffer
      - .actual_access:  read_only
        .address_space:  global
        .offset:         8
        .size:           8
        .value_kind:     global_buffer
      - .actual_access:  read_only
        .address_space:  global
        .offset:         16
        .size:           8
        .value_kind:     global_buffer
      - .offset:         24
        .size:           4
        .value_kind:     by_value
      - .offset:         28
        .size:           4
        .value_kind:     by_value
      - .actual_access:  read_only
        .address_space:  global
        .offset:         32
        .size:           8
        .value_kind:     global_buffer
      - .actual_access:  read_only
        .address_space:  global
        .offset:         40
        .size:           8
        .value_kind:     global_buffer
      - .actual_access:  read_only
        .address_space:  global
        .offset:         48
        .size:           8
        .value_kind:     global_buffer
      - .offset:         56
        .size:           4
        .value_kind:     by_value
      - .actual_access:  read_only
        .address_space:  global
        .offset:         64
        .size:           8
        .value_kind:     global_buffer
      - .offset:         72
        .size:           4
        .value_kind:     by_value
      - .offset:         76
        .size:           4
        .value_kind:     by_value
      - .offset:         80
        .size:           4
        .value_kind:     by_value
      - .actual_access:  write_only
        .address_space:  global
        .offset:         88
        .size:           8
        .value_kind:     global_buffer
      - .actual_access:  write_only
        .address_space:  global
        .offset:         96
        .size:           8
        .value_kind:     global_buffer
      - .actual_access:  write_only
        .address_space:  global
        .offset:         104
        .size:           8
        .value_kind:     global_buffer
      - .actual_access:  read_only
        .address_space:  global
        .offset:         112
        .size:           8
        .value_kind:     global_buffer
      - .offset:         120
        .size:           4
        .value_kind:     by_value
      - .address_space:  global
        .offset:         128
        .size:           8
        .value_kind:     global_buffer
      - .address_space:  global
        .offset:         136
        .size:           8
        .value_kind:     global_buffer
      - .offset:         144
        .size:           4
        .value_kind:     hidden_block_count_x
      - .offset:         148
        .size:           4
        .value_kind:     hidden_block_count_y
      - .offset:         152
        .size:           4
        .value_kind:     hidden_block_count_z
      - .offset:         156
        .size:           2
        .value_kind:     hidden_group_size_x
      - .offset:         158
        .size:           2
        .value_kind:     hidden_group_size_y
      - .offset:         160
        .size:           2
        .value_kind:     hidden_group_size_z
      - .offset:         162
        .size:           2
        .value_kind:     hidden_remainder_x
      - .offset:         164
        .size:           2
        .value_kind:     hidden_remainder_y
      - .offset:         166
        .size:           2
        .value_kind:     hidden_remainder_z
      - .offset:         184
        .size:           8
        .value_kind:     hidden_global_offset_x
      - .offset:         192
        .size:           8
        .value_kind:     hidden_global_offset_y
      - .offset:         200
        .size:           8
        .value_kind:     hidden_global_offset_z
      - .offset:         208
        .size:           2
        .value_kind:     hidden_grid_dims
    .group_segment_fixed_size: 5280
    .kernarg_segment_align: 8
    .kernarg_segment_size: 400
    .language:       OpenCL C
    .language_version:
      - 2
      - 0
    .max_flat_workgroup_size: 256
    .name:           _Z38paged_attention_ll4mi_QKV_mfma4_kernelIDF16_hLN4vllm18Fp8KVCacheDataTypeE1EDF16_Li16ELi128ELi256ELb1ELi2EEvPKT_PKT0_S7_ifPKiS9_S9_iPKfiiiPfSC_PS2_PT2_iSB_SB_
    .private_segment_fixed_size: 0
    .sgpr_count:     50
    .sgpr_spill_count: 0
    .symbol:         _Z38paged_attention_ll4mi_QKV_mfma4_kernelIDF16_hLN4vllm18Fp8KVCacheDataTypeE1EDF16_Li16ELi128ELi256ELb1ELi2EEvPKT_PKT0_S7_ifPKiS9_S9_iPKfiiiPfSC_PS2_PT2_iSB_SB_.kd
    .uniform_work_group_size: 1
    .uses_dynamic_stack: false
    .vgpr_count:     60
    .vgpr_spill_count: 0
    .wavefront_size: 64
  - .agpr_count:     4
    .args:
      - .actual_access:  read_only
        .address_space:  global
        .offset:         0
        .size:           8
        .value_kind:     global_buffer
      - .actual_access:  read_only
        .address_space:  global
        .offset:         8
        .size:           8
        .value_kind:     global_buffer
      - .actual_access:  read_only
        .address_space:  global
        .offset:         16
        .size:           8
        .value_kind:     global_buffer
      - .offset:         24
        .size:           4
        .value_kind:     by_value
      - .offset:         28
        .size:           4
        .value_kind:     by_value
      - .actual_access:  read_only
        .address_space:  global
        .offset:         32
        .size:           8
        .value_kind:     global_buffer
      - .actual_access:  read_only
        .address_space:  global
        .offset:         40
        .size:           8
        .value_kind:     global_buffer
      - .actual_access:  read_only
        .address_space:  global
        .offset:         48
        .size:           8
        .value_kind:     global_buffer
      - .offset:         56
        .size:           4
        .value_kind:     by_value
      - .actual_access:  read_only
        .address_space:  global
        .offset:         64
        .size:           8
        .value_kind:     global_buffer
      - .offset:         72
        .size:           4
        .value_kind:     by_value
      - .offset:         76
        .size:           4
        .value_kind:     by_value
      - .offset:         80
        .size:           4
        .value_kind:     by_value
      - .actual_access:  write_only
        .address_space:  global
        .offset:         88
        .size:           8
        .value_kind:     global_buffer
      - .actual_access:  write_only
        .address_space:  global
        .offset:         96
        .size:           8
        .value_kind:     global_buffer
      - .actual_access:  write_only
        .address_space:  global
        .offset:         104
        .size:           8
        .value_kind:     global_buffer
      - .actual_access:  read_only
        .address_space:  global
        .offset:         112
        .size:           8
        .value_kind:     global_buffer
      - .offset:         120
        .size:           4
        .value_kind:     by_value
      - .address_space:  global
        .offset:         128
        .size:           8
        .value_kind:     global_buffer
      - .address_space:  global
        .offset:         136
        .size:           8
        .value_kind:     global_buffer
      - .offset:         144
        .size:           4
        .value_kind:     hidden_block_count_x
      - .offset:         148
        .size:           4
        .value_kind:     hidden_block_count_y
      - .offset:         152
        .size:           4
        .value_kind:     hidden_block_count_z
      - .offset:         156
        .size:           2
        .value_kind:     hidden_group_size_x
      - .offset:         158
        .size:           2
        .value_kind:     hidden_group_size_y
      - .offset:         160
        .size:           2
        .value_kind:     hidden_group_size_z
      - .offset:         162
        .size:           2
        .value_kind:     hidden_remainder_x
      - .offset:         164
        .size:           2
        .value_kind:     hidden_remainder_y
      - .offset:         166
        .size:           2
        .value_kind:     hidden_remainder_z
      - .offset:         184
        .size:           8
        .value_kind:     hidden_global_offset_x
      - .offset:         192
        .size:           8
        .value_kind:     hidden_global_offset_y
      - .offset:         200
        .size:           8
        .value_kind:     hidden_global_offset_z
      - .offset:         208
        .size:           2
        .value_kind:     hidden_grid_dims
    .group_segment_fixed_size: 5280
    .kernarg_segment_align: 8
    .kernarg_segment_size: 400
    .language:       OpenCL C
    .language_version:
      - 2
      - 0
    .max_flat_workgroup_size: 256
    .name:           _Z38paged_attention_ll4mi_QKV_mfma4_kernelIDF16_hLN4vllm18Fp8KVCacheDataTypeE1EDF16_Li16ELi128ELi256ELb1ELi3EEvPKT_PKT0_S7_ifPKiS9_S9_iPKfiiiPfSC_PS2_PT2_iSB_SB_
    .private_segment_fixed_size: 0
    .sgpr_count:     50
    .sgpr_spill_count: 0
    .symbol:         _Z38paged_attention_ll4mi_QKV_mfma4_kernelIDF16_hLN4vllm18Fp8KVCacheDataTypeE1EDF16_Li16ELi128ELi256ELb1ELi3EEvPKT_PKT0_S7_ifPKiS9_S9_iPKfiiiPfSC_PS2_PT2_iSB_SB_.kd
    .uniform_work_group_size: 1
    .uses_dynamic_stack: false
    .vgpr_count:     60
    .vgpr_spill_count: 0
    .wavefront_size: 64
  - .agpr_count:     4
    .args:
      - .actual_access:  read_only
        .address_space:  global
        .offset:         0
        .size:           8
        .value_kind:     global_buffer
      - .actual_access:  read_only
        .address_space:  global
        .offset:         8
        .size:           8
        .value_kind:     global_buffer
      - .actual_access:  read_only
        .address_space:  global
        .offset:         16
        .size:           8
        .value_kind:     global_buffer
      - .offset:         24
        .size:           4
        .value_kind:     by_value
      - .offset:         28
        .size:           4
        .value_kind:     by_value
      - .actual_access:  read_only
        .address_space:  global
        .offset:         32
        .size:           8
        .value_kind:     global_buffer
      - .actual_access:  read_only
        .address_space:  global
        .offset:         40
        .size:           8
        .value_kind:     global_buffer
      - .actual_access:  read_only
        .address_space:  global
        .offset:         48
        .size:           8
        .value_kind:     global_buffer
      - .offset:         56
        .size:           4
        .value_kind:     by_value
      - .actual_access:  read_only
        .address_space:  global
        .offset:         64
        .size:           8
        .value_kind:     global_buffer
      - .offset:         72
        .size:           4
        .value_kind:     by_value
      - .offset:         76
        .size:           4
        .value_kind:     by_value
      - .offset:         80
        .size:           4
        .value_kind:     by_value
      - .actual_access:  write_only
        .address_space:  global
        .offset:         88
        .size:           8
        .value_kind:     global_buffer
      - .actual_access:  write_only
        .address_space:  global
        .offset:         96
        .size:           8
        .value_kind:     global_buffer
      - .actual_access:  write_only
        .address_space:  global
        .offset:         104
        .size:           8
        .value_kind:     global_buffer
      - .actual_access:  read_only
        .address_space:  global
        .offset:         112
        .size:           8
        .value_kind:     global_buffer
      - .offset:         120
        .size:           4
        .value_kind:     by_value
      - .address_space:  global
        .offset:         128
        .size:           8
        .value_kind:     global_buffer
      - .address_space:  global
        .offset:         136
        .size:           8
        .value_kind:     global_buffer
      - .offset:         144
        .size:           4
        .value_kind:     hidden_block_count_x
      - .offset:         148
        .size:           4
        .value_kind:     hidden_block_count_y
      - .offset:         152
        .size:           4
        .value_kind:     hidden_block_count_z
      - .offset:         156
        .size:           2
        .value_kind:     hidden_group_size_x
      - .offset:         158
        .size:           2
        .value_kind:     hidden_group_size_y
      - .offset:         160
        .size:           2
        .value_kind:     hidden_group_size_z
      - .offset:         162
        .size:           2
        .value_kind:     hidden_remainder_x
      - .offset:         164
        .size:           2
        .value_kind:     hidden_remainder_y
      - .offset:         166
        .size:           2
        .value_kind:     hidden_remainder_z
      - .offset:         184
        .size:           8
        .value_kind:     hidden_global_offset_x
      - .offset:         192
        .size:           8
        .value_kind:     hidden_global_offset_y
      - .offset:         200
        .size:           8
        .value_kind:     hidden_global_offset_z
      - .offset:         208
        .size:           2
        .value_kind:     hidden_grid_dims
    .group_segment_fixed_size: 5280
    .kernarg_segment_align: 8
    .kernarg_segment_size: 400
    .language:       OpenCL C
    .language_version:
      - 2
      - 0
    .max_flat_workgroup_size: 256
    .name:           _Z38paged_attention_ll4mi_QKV_mfma4_kernelIDF16_hLN4vllm18Fp8KVCacheDataTypeE1EDF16_Li16ELi128ELi256ELb1ELi4EEvPKT_PKT0_S7_ifPKiS9_S9_iPKfiiiPfSC_PS2_PT2_iSB_SB_
    .private_segment_fixed_size: 0
    .sgpr_count:     51
    .sgpr_spill_count: 0
    .symbol:         _Z38paged_attention_ll4mi_QKV_mfma4_kernelIDF16_hLN4vllm18Fp8KVCacheDataTypeE1EDF16_Li16ELi128ELi256ELb1ELi4EEvPKT_PKT0_S7_ifPKiS9_S9_iPKfiiiPfSC_PS2_PT2_iSB_SB_.kd
    .uniform_work_group_size: 1
    .uses_dynamic_stack: false
    .vgpr_count:     88
    .vgpr_spill_count: 0
    .wavefront_size: 64
  - .agpr_count:     0
    .args:
      - .actual_access:  read_only
        .address_space:  global
        .offset:         0
        .size:           8
        .value_kind:     global_buffer
      - .actual_access:  read_only
        .address_space:  global
        .offset:         8
        .size:           8
        .value_kind:     global_buffer
      - .actual_access:  read_only
        .address_space:  global
        .offset:         16
        .size:           8
        .value_kind:     global_buffer
      - .offset:         24
        .size:           4
        .value_kind:     by_value
      - .offset:         28
        .size:           4
        .value_kind:     by_value
      - .actual_access:  read_only
        .address_space:  global
        .offset:         32
        .size:           8
        .value_kind:     global_buffer
      - .actual_access:  read_only
        .address_space:  global
        .offset:         40
        .size:           8
        .value_kind:     global_buffer
      - .actual_access:  read_only
        .address_space:  global
        .offset:         48
        .size:           8
        .value_kind:     global_buffer
      - .offset:         56
        .size:           4
        .value_kind:     by_value
      - .actual_access:  read_only
        .address_space:  global
        .offset:         64
        .size:           8
        .value_kind:     global_buffer
      - .offset:         72
        .size:           4
        .value_kind:     by_value
      - .offset:         76
        .size:           4
        .value_kind:     by_value
      - .offset:         80
        .size:           4
        .value_kind:     by_value
      - .actual_access:  write_only
        .address_space:  global
        .offset:         88
        .size:           8
        .value_kind:     global_buffer
      - .actual_access:  write_only
        .address_space:  global
        .offset:         96
        .size:           8
        .value_kind:     global_buffer
      - .actual_access:  write_only
        .address_space:  global
        .offset:         104
        .size:           8
        .value_kind:     global_buffer
      - .actual_access:  read_only
        .address_space:  global
        .offset:         112
        .size:           8
        .value_kind:     global_buffer
      - .offset:         120
        .size:           4
        .value_kind:     by_value
      - .address_space:  global
        .offset:         128
        .size:           8
        .value_kind:     global_buffer
      - .address_space:  global
        .offset:         136
        .size:           8
        .value_kind:     global_buffer
      - .offset:         144
        .size:           4
        .value_kind:     hidden_block_count_x
      - .offset:         148
        .size:           4
        .value_kind:     hidden_block_count_y
      - .offset:         152
        .size:           4
        .value_kind:     hidden_block_count_z
      - .offset:         156
        .size:           2
        .value_kind:     hidden_group_size_x
      - .offset:         158
        .size:           2
        .value_kind:     hidden_group_size_y
      - .offset:         160
        .size:           2
        .value_kind:     hidden_group_size_z
      - .offset:         162
        .size:           2
        .value_kind:     hidden_remainder_x
      - .offset:         164
        .size:           2
        .value_kind:     hidden_remainder_y
      - .offset:         166
        .size:           2
        .value_kind:     hidden_remainder_z
      - .offset:         184
        .size:           8
        .value_kind:     hidden_global_offset_x
      - .offset:         192
        .size:           8
        .value_kind:     hidden_global_offset_y
      - .offset:         200
        .size:           8
        .value_kind:     hidden_global_offset_z
      - .offset:         208
        .size:           2
        .value_kind:     hidden_grid_dims
    .group_segment_fixed_size: 8192
    .kernarg_segment_align: 8
    .kernarg_segment_size: 400
    .language:       OpenCL C
    .language_version:
      - 2
      - 0
    .max_flat_workgroup_size: 256
    .name:           _Z39paged_attention_ll4mi_QKV_mfma16_kernelIDF16_hLN4vllm18Fp8KVCacheDataTypeE1EDF16_Li16ELi128ELi256ELb1ELi5EEvPKT_PKT0_S7_ifPKiS9_S9_iPKfiiiPfSC_PS2_PT2_iSB_SB_
    .private_segment_fixed_size: 0
    .sgpr_count:     56
    .sgpr_spill_count: 0
    .symbol:         _Z39paged_attention_ll4mi_QKV_mfma16_kernelIDF16_hLN4vllm18Fp8KVCacheDataTypeE1EDF16_Li16ELi128ELi256ELb1ELi5EEvPKT_PKT0_S7_ifPKiS9_S9_iPKfiiiPfSC_PS2_PT2_iSB_SB_.kd
    .uniform_work_group_size: 1
    .uses_dynamic_stack: false
    .vgpr_count:     76
    .vgpr_spill_count: 0
    .wavefront_size: 64
  - .agpr_count:     0
    .args:
      - .actual_access:  read_only
        .address_space:  global
        .offset:         0
        .size:           8
        .value_kind:     global_buffer
      - .actual_access:  read_only
        .address_space:  global
        .offset:         8
        .size:           8
        .value_kind:     global_buffer
      - .actual_access:  read_only
        .address_space:  global
        .offset:         16
        .size:           8
        .value_kind:     global_buffer
      - .offset:         24
        .size:           4
        .value_kind:     by_value
      - .offset:         28
        .size:           4
        .value_kind:     by_value
      - .actual_access:  read_only
        .address_space:  global
        .offset:         32
        .size:           8
        .value_kind:     global_buffer
      - .actual_access:  read_only
        .address_space:  global
        .offset:         40
        .size:           8
        .value_kind:     global_buffer
      - .actual_access:  read_only
        .address_space:  global
        .offset:         48
        .size:           8
        .value_kind:     global_buffer
      - .offset:         56
        .size:           4
        .value_kind:     by_value
      - .actual_access:  read_only
        .address_space:  global
        .offset:         64
        .size:           8
        .value_kind:     global_buffer
      - .offset:         72
        .size:           4
        .value_kind:     by_value
      - .offset:         76
        .size:           4
        .value_kind:     by_value
      - .offset:         80
        .size:           4
        .value_kind:     by_value
      - .actual_access:  write_only
        .address_space:  global
        .offset:         88
        .size:           8
        .value_kind:     global_buffer
      - .actual_access:  write_only
        .address_space:  global
        .offset:         96
        .size:           8
        .value_kind:     global_buffer
      - .actual_access:  write_only
        .address_space:  global
        .offset:         104
        .size:           8
        .value_kind:     global_buffer
      - .actual_access:  read_only
        .address_space:  global
        .offset:         112
        .size:           8
        .value_kind:     global_buffer
      - .offset:         120
        .size:           4
        .value_kind:     by_value
      - .address_space:  global
        .offset:         128
        .size:           8
        .value_kind:     global_buffer
      - .address_space:  global
        .offset:         136
        .size:           8
        .value_kind:     global_buffer
      - .offset:         144
        .size:           4
        .value_kind:     hidden_block_count_x
      - .offset:         148
        .size:           4
        .value_kind:     hidden_block_count_y
      - .offset:         152
        .size:           4
        .value_kind:     hidden_block_count_z
      - .offset:         156
        .size:           2
        .value_kind:     hidden_group_size_x
      - .offset:         158
        .size:           2
        .value_kind:     hidden_group_size_y
      - .offset:         160
        .size:           2
        .value_kind:     hidden_group_size_z
      - .offset:         162
        .size:           2
        .value_kind:     hidden_remainder_x
      - .offset:         164
        .size:           2
        .value_kind:     hidden_remainder_y
      - .offset:         166
        .size:           2
        .value_kind:     hidden_remainder_z
      - .offset:         184
        .size:           8
        .value_kind:     hidden_global_offset_x
      - .offset:         192
        .size:           8
        .value_kind:     hidden_global_offset_y
      - .offset:         200
        .size:           8
        .value_kind:     hidden_global_offset_z
      - .offset:         208
        .size:           2
        .value_kind:     hidden_grid_dims
    .group_segment_fixed_size: 8192
    .kernarg_segment_align: 8
    .kernarg_segment_size: 400
    .language:       OpenCL C
    .language_version:
      - 2
      - 0
    .max_flat_workgroup_size: 256
    .name:           _Z39paged_attention_ll4mi_QKV_mfma16_kernelIDF16_hLN4vllm18Fp8KVCacheDataTypeE1EDF16_Li16ELi128ELi256ELb1ELi6EEvPKT_PKT0_S7_ifPKiS9_S9_iPKfiiiPfSC_PS2_PT2_iSB_SB_
    .private_segment_fixed_size: 0
    .sgpr_count:     56
    .sgpr_spill_count: 0
    .symbol:         _Z39paged_attention_ll4mi_QKV_mfma16_kernelIDF16_hLN4vllm18Fp8KVCacheDataTypeE1EDF16_Li16ELi128ELi256ELb1ELi6EEvPKT_PKT0_S7_ifPKiS9_S9_iPKfiiiPfSC_PS2_PT2_iSB_SB_.kd
    .uniform_work_group_size: 1
    .uses_dynamic_stack: false
    .vgpr_count:     76
    .vgpr_spill_count: 0
    .wavefront_size: 64
  - .agpr_count:     0
    .args:
      - .actual_access:  read_only
        .address_space:  global
        .offset:         0
        .size:           8
        .value_kind:     global_buffer
      - .actual_access:  read_only
        .address_space:  global
        .offset:         8
        .size:           8
        .value_kind:     global_buffer
      - .actual_access:  read_only
        .address_space:  global
        .offset:         16
        .size:           8
        .value_kind:     global_buffer
      - .offset:         24
        .size:           4
        .value_kind:     by_value
      - .offset:         28
        .size:           4
        .value_kind:     by_value
      - .actual_access:  read_only
        .address_space:  global
        .offset:         32
        .size:           8
        .value_kind:     global_buffer
      - .actual_access:  read_only
        .address_space:  global
        .offset:         40
        .size:           8
        .value_kind:     global_buffer
      - .actual_access:  read_only
        .address_space:  global
        .offset:         48
        .size:           8
        .value_kind:     global_buffer
      - .offset:         56
        .size:           4
        .value_kind:     by_value
      - .actual_access:  read_only
        .address_space:  global
        .offset:         64
        .size:           8
        .value_kind:     global_buffer
      - .offset:         72
        .size:           4
        .value_kind:     by_value
      - .offset:         76
        .size:           4
        .value_kind:     by_value
      - .offset:         80
        .size:           4
        .value_kind:     by_value
      - .actual_access:  write_only
        .address_space:  global
        .offset:         88
        .size:           8
        .value_kind:     global_buffer
      - .actual_access:  write_only
        .address_space:  global
        .offset:         96
        .size:           8
        .value_kind:     global_buffer
      - .actual_access:  write_only
        .address_space:  global
        .offset:         104
        .size:           8
        .value_kind:     global_buffer
      - .actual_access:  read_only
        .address_space:  global
        .offset:         112
        .size:           8
        .value_kind:     global_buffer
      - .offset:         120
        .size:           4
        .value_kind:     by_value
      - .address_space:  global
        .offset:         128
        .size:           8
        .value_kind:     global_buffer
      - .address_space:  global
        .offset:         136
        .size:           8
        .value_kind:     global_buffer
      - .offset:         144
        .size:           4
        .value_kind:     hidden_block_count_x
      - .offset:         148
        .size:           4
        .value_kind:     hidden_block_count_y
      - .offset:         152
        .size:           4
        .value_kind:     hidden_block_count_z
      - .offset:         156
        .size:           2
        .value_kind:     hidden_group_size_x
      - .offset:         158
        .size:           2
        .value_kind:     hidden_group_size_y
      - .offset:         160
        .size:           2
        .value_kind:     hidden_group_size_z
      - .offset:         162
        .size:           2
        .value_kind:     hidden_remainder_x
      - .offset:         164
        .size:           2
        .value_kind:     hidden_remainder_y
      - .offset:         166
        .size:           2
        .value_kind:     hidden_remainder_z
      - .offset:         184
        .size:           8
        .value_kind:     hidden_global_offset_x
      - .offset:         192
        .size:           8
        .value_kind:     hidden_global_offset_y
      - .offset:         200
        .size:           8
        .value_kind:     hidden_global_offset_z
      - .offset:         208
        .size:           2
        .value_kind:     hidden_grid_dims
    .group_segment_fixed_size: 8192
    .kernarg_segment_align: 8
    .kernarg_segment_size: 400
    .language:       OpenCL C
    .language_version:
      - 2
      - 0
    .max_flat_workgroup_size: 256
    .name:           _Z39paged_attention_ll4mi_QKV_mfma16_kernelIDF16_hLN4vllm18Fp8KVCacheDataTypeE1EDF16_Li16ELi128ELi256ELb1ELi7EEvPKT_PKT0_S7_ifPKiS9_S9_iPKfiiiPfSC_PS2_PT2_iSB_SB_
    .private_segment_fixed_size: 0
    .sgpr_count:     56
    .sgpr_spill_count: 0
    .symbol:         _Z39paged_attention_ll4mi_QKV_mfma16_kernelIDF16_hLN4vllm18Fp8KVCacheDataTypeE1EDF16_Li16ELi128ELi256ELb1ELi7EEvPKT_PKT0_S7_ifPKiS9_S9_iPKfiiiPfSC_PS2_PT2_iSB_SB_.kd
    .uniform_work_group_size: 1
    .uses_dynamic_stack: false
    .vgpr_count:     76
    .vgpr_spill_count: 0
    .wavefront_size: 64
  - .agpr_count:     0
    .args:
      - .actual_access:  read_only
        .address_space:  global
        .offset:         0
        .size:           8
        .value_kind:     global_buffer
      - .actual_access:  read_only
        .address_space:  global
        .offset:         8
        .size:           8
        .value_kind:     global_buffer
      - .actual_access:  read_only
        .address_space:  global
        .offset:         16
        .size:           8
        .value_kind:     global_buffer
      - .offset:         24
        .size:           4
        .value_kind:     by_value
      - .offset:         28
        .size:           4
        .value_kind:     by_value
      - .actual_access:  read_only
        .address_space:  global
        .offset:         32
        .size:           8
        .value_kind:     global_buffer
      - .actual_access:  read_only
        .address_space:  global
        .offset:         40
        .size:           8
        .value_kind:     global_buffer
      - .actual_access:  read_only
        .address_space:  global
        .offset:         48
        .size:           8
        .value_kind:     global_buffer
      - .offset:         56
        .size:           4
        .value_kind:     by_value
      - .actual_access:  read_only
        .address_space:  global
        .offset:         64
        .size:           8
        .value_kind:     global_buffer
      - .offset:         72
        .size:           4
        .value_kind:     by_value
      - .offset:         76
        .size:           4
        .value_kind:     by_value
      - .offset:         80
        .size:           4
        .value_kind:     by_value
      - .actual_access:  write_only
        .address_space:  global
        .offset:         88
        .size:           8
        .value_kind:     global_buffer
      - .actual_access:  write_only
        .address_space:  global
        .offset:         96
        .size:           8
        .value_kind:     global_buffer
      - .actual_access:  write_only
        .address_space:  global
        .offset:         104
        .size:           8
        .value_kind:     global_buffer
      - .actual_access:  read_only
        .address_space:  global
        .offset:         112
        .size:           8
        .value_kind:     global_buffer
      - .offset:         120
        .size:           4
        .value_kind:     by_value
      - .address_space:  global
        .offset:         128
        .size:           8
        .value_kind:     global_buffer
      - .address_space:  global
        .offset:         136
        .size:           8
        .value_kind:     global_buffer
      - .offset:         144
        .size:           4
        .value_kind:     hidden_block_count_x
      - .offset:         148
        .size:           4
        .value_kind:     hidden_block_count_y
      - .offset:         152
        .size:           4
        .value_kind:     hidden_block_count_z
      - .offset:         156
        .size:           2
        .value_kind:     hidden_group_size_x
      - .offset:         158
        .size:           2
        .value_kind:     hidden_group_size_y
      - .offset:         160
        .size:           2
        .value_kind:     hidden_group_size_z
      - .offset:         162
        .size:           2
        .value_kind:     hidden_remainder_x
      - .offset:         164
        .size:           2
        .value_kind:     hidden_remainder_y
      - .offset:         166
        .size:           2
        .value_kind:     hidden_remainder_z
      - .offset:         184
        .size:           8
        .value_kind:     hidden_global_offset_x
      - .offset:         192
        .size:           8
        .value_kind:     hidden_global_offset_y
      - .offset:         200
        .size:           8
        .value_kind:     hidden_global_offset_z
      - .offset:         208
        .size:           2
        .value_kind:     hidden_grid_dims
    .group_segment_fixed_size: 8192
    .kernarg_segment_align: 8
    .kernarg_segment_size: 400
    .language:       OpenCL C
    .language_version:
      - 2
      - 0
    .max_flat_workgroup_size: 256
    .name:           _Z39paged_attention_ll4mi_QKV_mfma16_kernelIDF16_hLN4vllm18Fp8KVCacheDataTypeE1EDF16_Li16ELi128ELi256ELb1ELi8EEvPKT_PKT0_S7_ifPKiS9_S9_iPKfiiiPfSC_PS2_PT2_iSB_SB_
    .private_segment_fixed_size: 0
    .sgpr_count:     54
    .sgpr_spill_count: 0
    .symbol:         _Z39paged_attention_ll4mi_QKV_mfma16_kernelIDF16_hLN4vllm18Fp8KVCacheDataTypeE1EDF16_Li16ELi128ELi256ELb1ELi8EEvPKT_PKT0_S7_ifPKiS9_S9_iPKfiiiPfSC_PS2_PT2_iSB_SB_.kd
    .uniform_work_group_size: 1
    .uses_dynamic_stack: false
    .vgpr_count:     80
    .vgpr_spill_count: 0
    .wavefront_size: 64
  - .agpr_count:     0
    .args:
      - .actual_access:  read_only
        .address_space:  global
        .offset:         0
        .size:           8
        .value_kind:     global_buffer
      - .actual_access:  read_only
        .address_space:  global
        .offset:         8
        .size:           8
        .value_kind:     global_buffer
      - .actual_access:  read_only
        .address_space:  global
        .offset:         16
        .size:           8
        .value_kind:     global_buffer
      - .offset:         24
        .size:           4
        .value_kind:     by_value
      - .offset:         28
        .size:           4
        .value_kind:     by_value
      - .actual_access:  read_only
        .address_space:  global
        .offset:         32
        .size:           8
        .value_kind:     global_buffer
      - .actual_access:  read_only
        .address_space:  global
        .offset:         40
        .size:           8
        .value_kind:     global_buffer
      - .actual_access:  read_only
        .address_space:  global
        .offset:         48
        .size:           8
        .value_kind:     global_buffer
      - .offset:         56
        .size:           4
        .value_kind:     by_value
      - .actual_access:  read_only
        .address_space:  global
        .offset:         64
        .size:           8
        .value_kind:     global_buffer
      - .offset:         72
        .size:           4
        .value_kind:     by_value
      - .offset:         76
        .size:           4
        .value_kind:     by_value
      - .offset:         80
        .size:           4
        .value_kind:     by_value
      - .actual_access:  write_only
        .address_space:  global
        .offset:         88
        .size:           8
        .value_kind:     global_buffer
      - .actual_access:  write_only
        .address_space:  global
        .offset:         96
        .size:           8
        .value_kind:     global_buffer
      - .actual_access:  write_only
        .address_space:  global
        .offset:         104
        .size:           8
        .value_kind:     global_buffer
      - .actual_access:  read_only
        .address_space:  global
        .offset:         112
        .size:           8
        .value_kind:     global_buffer
      - .offset:         120
        .size:           4
        .value_kind:     by_value
      - .address_space:  global
        .offset:         128
        .size:           8
        .value_kind:     global_buffer
      - .address_space:  global
        .offset:         136
        .size:           8
        .value_kind:     global_buffer
      - .offset:         144
        .size:           4
        .value_kind:     hidden_block_count_x
      - .offset:         148
        .size:           4
        .value_kind:     hidden_block_count_y
      - .offset:         152
        .size:           4
        .value_kind:     hidden_block_count_z
      - .offset:         156
        .size:           2
        .value_kind:     hidden_group_size_x
      - .offset:         158
        .size:           2
        .value_kind:     hidden_group_size_y
      - .offset:         160
        .size:           2
        .value_kind:     hidden_group_size_z
      - .offset:         162
        .size:           2
        .value_kind:     hidden_remainder_x
      - .offset:         164
        .size:           2
        .value_kind:     hidden_remainder_y
      - .offset:         166
        .size:           2
        .value_kind:     hidden_remainder_z
      - .offset:         184
        .size:           8
        .value_kind:     hidden_global_offset_x
      - .offset:         192
        .size:           8
        .value_kind:     hidden_global_offset_y
      - .offset:         200
        .size:           8
        .value_kind:     hidden_global_offset_z
      - .offset:         208
        .size:           2
        .value_kind:     hidden_grid_dims
    .group_segment_fixed_size: 8192
    .kernarg_segment_align: 8
    .kernarg_segment_size: 400
    .language:       OpenCL C
    .language_version:
      - 2
      - 0
    .max_flat_workgroup_size: 256
    .name:           _Z39paged_attention_ll4mi_QKV_mfma16_kernelIDF16_hLN4vllm18Fp8KVCacheDataTypeE1EDF16_Li16ELi128ELi256ELb1ELi9EEvPKT_PKT0_S7_ifPKiS9_S9_iPKfiiiPfSC_PS2_PT2_iSB_SB_
    .private_segment_fixed_size: 0
    .sgpr_count:     56
    .sgpr_spill_count: 0
    .symbol:         _Z39paged_attention_ll4mi_QKV_mfma16_kernelIDF16_hLN4vllm18Fp8KVCacheDataTypeE1EDF16_Li16ELi128ELi256ELb1ELi9EEvPKT_PKT0_S7_ifPKiS9_S9_iPKfiiiPfSC_PS2_PT2_iSB_SB_.kd
    .uniform_work_group_size: 1
    .uses_dynamic_stack: false
    .vgpr_count:     76
    .vgpr_spill_count: 0
    .wavefront_size: 64
  - .agpr_count:     0
    .args:
      - .actual_access:  read_only
        .address_space:  global
        .offset:         0
        .size:           8
        .value_kind:     global_buffer
      - .actual_access:  read_only
        .address_space:  global
        .offset:         8
        .size:           8
        .value_kind:     global_buffer
      - .actual_access:  read_only
        .address_space:  global
        .offset:         16
        .size:           8
        .value_kind:     global_buffer
      - .offset:         24
        .size:           4
        .value_kind:     by_value
      - .offset:         28
        .size:           4
        .value_kind:     by_value
      - .actual_access:  read_only
        .address_space:  global
        .offset:         32
        .size:           8
        .value_kind:     global_buffer
      - .actual_access:  read_only
        .address_space:  global
        .offset:         40
        .size:           8
        .value_kind:     global_buffer
      - .actual_access:  read_only
        .address_space:  global
        .offset:         48
        .size:           8
        .value_kind:     global_buffer
      - .offset:         56
        .size:           4
        .value_kind:     by_value
      - .actual_access:  read_only
        .address_space:  global
        .offset:         64
        .size:           8
        .value_kind:     global_buffer
      - .offset:         72
        .size:           4
        .value_kind:     by_value
      - .offset:         76
        .size:           4
        .value_kind:     by_value
      - .offset:         80
        .size:           4
        .value_kind:     by_value
      - .actual_access:  write_only
        .address_space:  global
        .offset:         88
        .size:           8
        .value_kind:     global_buffer
      - .actual_access:  write_only
        .address_space:  global
        .offset:         96
        .size:           8
        .value_kind:     global_buffer
      - .actual_access:  write_only
        .address_space:  global
        .offset:         104
        .size:           8
        .value_kind:     global_buffer
      - .actual_access:  read_only
        .address_space:  global
        .offset:         112
        .size:           8
        .value_kind:     global_buffer
      - .offset:         120
        .size:           4
        .value_kind:     by_value
      - .address_space:  global
        .offset:         128
        .size:           8
        .value_kind:     global_buffer
      - .address_space:  global
        .offset:         136
        .size:           8
        .value_kind:     global_buffer
      - .offset:         144
        .size:           4
        .value_kind:     hidden_block_count_x
      - .offset:         148
        .size:           4
        .value_kind:     hidden_block_count_y
      - .offset:         152
        .size:           4
        .value_kind:     hidden_block_count_z
      - .offset:         156
        .size:           2
        .value_kind:     hidden_group_size_x
      - .offset:         158
        .size:           2
        .value_kind:     hidden_group_size_y
      - .offset:         160
        .size:           2
        .value_kind:     hidden_group_size_z
      - .offset:         162
        .size:           2
        .value_kind:     hidden_remainder_x
      - .offset:         164
        .size:           2
        .value_kind:     hidden_remainder_y
      - .offset:         166
        .size:           2
        .value_kind:     hidden_remainder_z
      - .offset:         184
        .size:           8
        .value_kind:     hidden_global_offset_x
      - .offset:         192
        .size:           8
        .value_kind:     hidden_global_offset_y
      - .offset:         200
        .size:           8
        .value_kind:     hidden_global_offset_z
      - .offset:         208
        .size:           2
        .value_kind:     hidden_grid_dims
    .group_segment_fixed_size: 8192
    .kernarg_segment_align: 8
    .kernarg_segment_size: 400
    .language:       OpenCL C
    .language_version:
      - 2
      - 0
    .max_flat_workgroup_size: 256
    .name:           _Z39paged_attention_ll4mi_QKV_mfma16_kernelIDF16_hLN4vllm18Fp8KVCacheDataTypeE1EDF16_Li16ELi128ELi256ELb1ELi10EEvPKT_PKT0_S7_ifPKiS9_S9_iPKfiiiPfSC_PS2_PT2_iSB_SB_
    .private_segment_fixed_size: 0
    .sgpr_count:     56
    .sgpr_spill_count: 0
    .symbol:         _Z39paged_attention_ll4mi_QKV_mfma16_kernelIDF16_hLN4vllm18Fp8KVCacheDataTypeE1EDF16_Li16ELi128ELi256ELb1ELi10EEvPKT_PKT0_S7_ifPKiS9_S9_iPKfiiiPfSC_PS2_PT2_iSB_SB_.kd
    .uniform_work_group_size: 1
    .uses_dynamic_stack: false
    .vgpr_count:     76
    .vgpr_spill_count: 0
    .wavefront_size: 64
  - .agpr_count:     0
    .args:
      - .actual_access:  read_only
        .address_space:  global
        .offset:         0
        .size:           8
        .value_kind:     global_buffer
      - .actual_access:  read_only
        .address_space:  global
        .offset:         8
        .size:           8
        .value_kind:     global_buffer
      - .actual_access:  read_only
        .address_space:  global
        .offset:         16
        .size:           8
        .value_kind:     global_buffer
      - .offset:         24
        .size:           4
        .value_kind:     by_value
      - .offset:         28
        .size:           4
        .value_kind:     by_value
      - .actual_access:  read_only
        .address_space:  global
        .offset:         32
        .size:           8
        .value_kind:     global_buffer
      - .actual_access:  read_only
        .address_space:  global
        .offset:         40
        .size:           8
        .value_kind:     global_buffer
      - .actual_access:  read_only
        .address_space:  global
        .offset:         48
        .size:           8
        .value_kind:     global_buffer
      - .offset:         56
        .size:           4
        .value_kind:     by_value
      - .actual_access:  read_only
        .address_space:  global
        .offset:         64
        .size:           8
        .value_kind:     global_buffer
      - .offset:         72
        .size:           4
        .value_kind:     by_value
      - .offset:         76
        .size:           4
        .value_kind:     by_value
      - .offset:         80
        .size:           4
        .value_kind:     by_value
      - .actual_access:  write_only
        .address_space:  global
        .offset:         88
        .size:           8
        .value_kind:     global_buffer
      - .actual_access:  write_only
        .address_space:  global
        .offset:         96
        .size:           8
        .value_kind:     global_buffer
      - .actual_access:  write_only
        .address_space:  global
        .offset:         104
        .size:           8
        .value_kind:     global_buffer
      - .actual_access:  read_only
        .address_space:  global
        .offset:         112
        .size:           8
        .value_kind:     global_buffer
      - .offset:         120
        .size:           4
        .value_kind:     by_value
      - .address_space:  global
        .offset:         128
        .size:           8
        .value_kind:     global_buffer
      - .address_space:  global
        .offset:         136
        .size:           8
        .value_kind:     global_buffer
      - .offset:         144
        .size:           4
        .value_kind:     hidden_block_count_x
      - .offset:         148
        .size:           4
        .value_kind:     hidden_block_count_y
      - .offset:         152
        .size:           4
        .value_kind:     hidden_block_count_z
      - .offset:         156
        .size:           2
        .value_kind:     hidden_group_size_x
      - .offset:         158
        .size:           2
        .value_kind:     hidden_group_size_y
      - .offset:         160
        .size:           2
        .value_kind:     hidden_group_size_z
      - .offset:         162
        .size:           2
        .value_kind:     hidden_remainder_x
      - .offset:         164
        .size:           2
        .value_kind:     hidden_remainder_y
      - .offset:         166
        .size:           2
        .value_kind:     hidden_remainder_z
      - .offset:         184
        .size:           8
        .value_kind:     hidden_global_offset_x
      - .offset:         192
        .size:           8
        .value_kind:     hidden_global_offset_y
      - .offset:         200
        .size:           8
        .value_kind:     hidden_global_offset_z
      - .offset:         208
        .size:           2
        .value_kind:     hidden_grid_dims
    .group_segment_fixed_size: 8192
    .kernarg_segment_align: 8
    .kernarg_segment_size: 400
    .language:       OpenCL C
    .language_version:
      - 2
      - 0
    .max_flat_workgroup_size: 256
    .name:           _Z39paged_attention_ll4mi_QKV_mfma16_kernelIDF16_hLN4vllm18Fp8KVCacheDataTypeE1EDF16_Li16ELi128ELi256ELb1ELi11EEvPKT_PKT0_S7_ifPKiS9_S9_iPKfiiiPfSC_PS2_PT2_iSB_SB_
    .private_segment_fixed_size: 0
    .sgpr_count:     56
    .sgpr_spill_count: 0
    .symbol:         _Z39paged_attention_ll4mi_QKV_mfma16_kernelIDF16_hLN4vllm18Fp8KVCacheDataTypeE1EDF16_Li16ELi128ELi256ELb1ELi11EEvPKT_PKT0_S7_ifPKiS9_S9_iPKfiiiPfSC_PS2_PT2_iSB_SB_.kd
    .uniform_work_group_size: 1
    .uses_dynamic_stack: false
    .vgpr_count:     76
    .vgpr_spill_count: 0
    .wavefront_size: 64
  - .agpr_count:     0
    .args:
      - .actual_access:  read_only
        .address_space:  global
        .offset:         0
        .size:           8
        .value_kind:     global_buffer
      - .actual_access:  read_only
        .address_space:  global
        .offset:         8
        .size:           8
        .value_kind:     global_buffer
      - .actual_access:  read_only
        .address_space:  global
        .offset:         16
        .size:           8
        .value_kind:     global_buffer
      - .offset:         24
        .size:           4
        .value_kind:     by_value
      - .offset:         28
        .size:           4
        .value_kind:     by_value
      - .actual_access:  read_only
        .address_space:  global
        .offset:         32
        .size:           8
        .value_kind:     global_buffer
      - .actual_access:  read_only
        .address_space:  global
        .offset:         40
        .size:           8
        .value_kind:     global_buffer
      - .actual_access:  read_only
        .address_space:  global
        .offset:         48
        .size:           8
        .value_kind:     global_buffer
      - .offset:         56
        .size:           4
        .value_kind:     by_value
      - .actual_access:  read_only
        .address_space:  global
        .offset:         64
        .size:           8
        .value_kind:     global_buffer
      - .offset:         72
        .size:           4
        .value_kind:     by_value
      - .offset:         76
        .size:           4
        .value_kind:     by_value
      - .offset:         80
        .size:           4
        .value_kind:     by_value
      - .actual_access:  write_only
        .address_space:  global
        .offset:         88
        .size:           8
        .value_kind:     global_buffer
      - .actual_access:  write_only
        .address_space:  global
        .offset:         96
        .size:           8
        .value_kind:     global_buffer
      - .actual_access:  write_only
        .address_space:  global
        .offset:         104
        .size:           8
        .value_kind:     global_buffer
      - .actual_access:  read_only
        .address_space:  global
        .offset:         112
        .size:           8
        .value_kind:     global_buffer
      - .offset:         120
        .size:           4
        .value_kind:     by_value
      - .address_space:  global
        .offset:         128
        .size:           8
        .value_kind:     global_buffer
      - .address_space:  global
        .offset:         136
        .size:           8
        .value_kind:     global_buffer
      - .offset:         144
        .size:           4
        .value_kind:     hidden_block_count_x
      - .offset:         148
        .size:           4
        .value_kind:     hidden_block_count_y
      - .offset:         152
        .size:           4
        .value_kind:     hidden_block_count_z
      - .offset:         156
        .size:           2
        .value_kind:     hidden_group_size_x
      - .offset:         158
        .size:           2
        .value_kind:     hidden_group_size_y
      - .offset:         160
        .size:           2
        .value_kind:     hidden_group_size_z
      - .offset:         162
        .size:           2
        .value_kind:     hidden_remainder_x
      - .offset:         164
        .size:           2
        .value_kind:     hidden_remainder_y
      - .offset:         166
        .size:           2
        .value_kind:     hidden_remainder_z
      - .offset:         184
        .size:           8
        .value_kind:     hidden_global_offset_x
      - .offset:         192
        .size:           8
        .value_kind:     hidden_global_offset_y
      - .offset:         200
        .size:           8
        .value_kind:     hidden_global_offset_z
      - .offset:         208
        .size:           2
        .value_kind:     hidden_grid_dims
    .group_segment_fixed_size: 8192
    .kernarg_segment_align: 8
    .kernarg_segment_size: 400
    .language:       OpenCL C
    .language_version:
      - 2
      - 0
    .max_flat_workgroup_size: 256
    .name:           _Z39paged_attention_ll4mi_QKV_mfma16_kernelIDF16_hLN4vllm18Fp8KVCacheDataTypeE1EDF16_Li16ELi128ELi256ELb1ELi12EEvPKT_PKT0_S7_ifPKiS9_S9_iPKfiiiPfSC_PS2_PT2_iSB_SB_
    .private_segment_fixed_size: 0
    .sgpr_count:     56
    .sgpr_spill_count: 0
    .symbol:         _Z39paged_attention_ll4mi_QKV_mfma16_kernelIDF16_hLN4vllm18Fp8KVCacheDataTypeE1EDF16_Li16ELi128ELi256ELb1ELi12EEvPKT_PKT0_S7_ifPKiS9_S9_iPKfiiiPfSC_PS2_PT2_iSB_SB_.kd
    .uniform_work_group_size: 1
    .uses_dynamic_stack: false
    .vgpr_count:     76
    .vgpr_spill_count: 0
    .wavefront_size: 64
  - .agpr_count:     0
    .args:
      - .actual_access:  read_only
        .address_space:  global
        .offset:         0
        .size:           8
        .value_kind:     global_buffer
      - .actual_access:  read_only
        .address_space:  global
        .offset:         8
        .size:           8
        .value_kind:     global_buffer
      - .actual_access:  read_only
        .address_space:  global
        .offset:         16
        .size:           8
        .value_kind:     global_buffer
      - .offset:         24
        .size:           4
        .value_kind:     by_value
      - .offset:         28
        .size:           4
        .value_kind:     by_value
      - .actual_access:  read_only
        .address_space:  global
        .offset:         32
        .size:           8
        .value_kind:     global_buffer
      - .actual_access:  read_only
        .address_space:  global
        .offset:         40
        .size:           8
        .value_kind:     global_buffer
      - .actual_access:  read_only
        .address_space:  global
        .offset:         48
        .size:           8
        .value_kind:     global_buffer
      - .offset:         56
        .size:           4
        .value_kind:     by_value
      - .actual_access:  read_only
        .address_space:  global
        .offset:         64
        .size:           8
        .value_kind:     global_buffer
      - .offset:         72
        .size:           4
        .value_kind:     by_value
      - .offset:         76
        .size:           4
        .value_kind:     by_value
      - .offset:         80
        .size:           4
        .value_kind:     by_value
      - .actual_access:  write_only
        .address_space:  global
        .offset:         88
        .size:           8
        .value_kind:     global_buffer
      - .actual_access:  write_only
        .address_space:  global
        .offset:         96
        .size:           8
        .value_kind:     global_buffer
      - .actual_access:  write_only
        .address_space:  global
        .offset:         104
        .size:           8
        .value_kind:     global_buffer
      - .actual_access:  read_only
        .address_space:  global
        .offset:         112
        .size:           8
        .value_kind:     global_buffer
      - .offset:         120
        .size:           4
        .value_kind:     by_value
      - .address_space:  global
        .offset:         128
        .size:           8
        .value_kind:     global_buffer
      - .address_space:  global
        .offset:         136
        .size:           8
        .value_kind:     global_buffer
      - .offset:         144
        .size:           4
        .value_kind:     hidden_block_count_x
      - .offset:         148
        .size:           4
        .value_kind:     hidden_block_count_y
      - .offset:         152
        .size:           4
        .value_kind:     hidden_block_count_z
      - .offset:         156
        .size:           2
        .value_kind:     hidden_group_size_x
      - .offset:         158
        .size:           2
        .value_kind:     hidden_group_size_y
      - .offset:         160
        .size:           2
        .value_kind:     hidden_group_size_z
      - .offset:         162
        .size:           2
        .value_kind:     hidden_remainder_x
      - .offset:         164
        .size:           2
        .value_kind:     hidden_remainder_y
      - .offset:         166
        .size:           2
        .value_kind:     hidden_remainder_z
      - .offset:         184
        .size:           8
        .value_kind:     hidden_global_offset_x
      - .offset:         192
        .size:           8
        .value_kind:     hidden_global_offset_y
      - .offset:         200
        .size:           8
        .value_kind:     hidden_global_offset_z
      - .offset:         208
        .size:           2
        .value_kind:     hidden_grid_dims
    .group_segment_fixed_size: 8192
    .kernarg_segment_align: 8
    .kernarg_segment_size: 400
    .language:       OpenCL C
    .language_version:
      - 2
      - 0
    .max_flat_workgroup_size: 256
    .name:           _Z39paged_attention_ll4mi_QKV_mfma16_kernelIDF16_hLN4vllm18Fp8KVCacheDataTypeE1EDF16_Li16ELi128ELi256ELb1ELi13EEvPKT_PKT0_S7_ifPKiS9_S9_iPKfiiiPfSC_PS2_PT2_iSB_SB_
    .private_segment_fixed_size: 0
    .sgpr_count:     56
    .sgpr_spill_count: 0
    .symbol:         _Z39paged_attention_ll4mi_QKV_mfma16_kernelIDF16_hLN4vllm18Fp8KVCacheDataTypeE1EDF16_Li16ELi128ELi256ELb1ELi13EEvPKT_PKT0_S7_ifPKiS9_S9_iPKfiiiPfSC_PS2_PT2_iSB_SB_.kd
    .uniform_work_group_size: 1
    .uses_dynamic_stack: false
    .vgpr_count:     76
    .vgpr_spill_count: 0
    .wavefront_size: 64
  - .agpr_count:     0
    .args:
      - .actual_access:  read_only
        .address_space:  global
        .offset:         0
        .size:           8
        .value_kind:     global_buffer
      - .actual_access:  read_only
        .address_space:  global
        .offset:         8
        .size:           8
        .value_kind:     global_buffer
      - .actual_access:  read_only
        .address_space:  global
        .offset:         16
        .size:           8
        .value_kind:     global_buffer
      - .offset:         24
        .size:           4
        .value_kind:     by_value
      - .offset:         28
        .size:           4
        .value_kind:     by_value
      - .actual_access:  read_only
        .address_space:  global
        .offset:         32
        .size:           8
        .value_kind:     global_buffer
      - .actual_access:  read_only
        .address_space:  global
        .offset:         40
        .size:           8
        .value_kind:     global_buffer
      - .actual_access:  read_only
        .address_space:  global
        .offset:         48
        .size:           8
        .value_kind:     global_buffer
      - .offset:         56
        .size:           4
        .value_kind:     by_value
      - .actual_access:  read_only
        .address_space:  global
        .offset:         64
        .size:           8
        .value_kind:     global_buffer
      - .offset:         72
        .size:           4
        .value_kind:     by_value
      - .offset:         76
        .size:           4
        .value_kind:     by_value
      - .offset:         80
        .size:           4
        .value_kind:     by_value
      - .actual_access:  write_only
        .address_space:  global
        .offset:         88
        .size:           8
        .value_kind:     global_buffer
      - .actual_access:  write_only
        .address_space:  global
        .offset:         96
        .size:           8
        .value_kind:     global_buffer
      - .actual_access:  write_only
        .address_space:  global
        .offset:         104
        .size:           8
        .value_kind:     global_buffer
      - .actual_access:  read_only
        .address_space:  global
        .offset:         112
        .size:           8
        .value_kind:     global_buffer
      - .offset:         120
        .size:           4
        .value_kind:     by_value
      - .address_space:  global
        .offset:         128
        .size:           8
        .value_kind:     global_buffer
      - .address_space:  global
        .offset:         136
        .size:           8
        .value_kind:     global_buffer
      - .offset:         144
        .size:           4
        .value_kind:     hidden_block_count_x
      - .offset:         148
        .size:           4
        .value_kind:     hidden_block_count_y
      - .offset:         152
        .size:           4
        .value_kind:     hidden_block_count_z
      - .offset:         156
        .size:           2
        .value_kind:     hidden_group_size_x
      - .offset:         158
        .size:           2
        .value_kind:     hidden_group_size_y
      - .offset:         160
        .size:           2
        .value_kind:     hidden_group_size_z
      - .offset:         162
        .size:           2
        .value_kind:     hidden_remainder_x
      - .offset:         164
        .size:           2
        .value_kind:     hidden_remainder_y
      - .offset:         166
        .size:           2
        .value_kind:     hidden_remainder_z
      - .offset:         184
        .size:           8
        .value_kind:     hidden_global_offset_x
      - .offset:         192
        .size:           8
        .value_kind:     hidden_global_offset_y
      - .offset:         200
        .size:           8
        .value_kind:     hidden_global_offset_z
      - .offset:         208
        .size:           2
        .value_kind:     hidden_grid_dims
    .group_segment_fixed_size: 8192
    .kernarg_segment_align: 8
    .kernarg_segment_size: 400
    .language:       OpenCL C
    .language_version:
      - 2
      - 0
    .max_flat_workgroup_size: 256
    .name:           _Z39paged_attention_ll4mi_QKV_mfma16_kernelIDF16_hLN4vllm18Fp8KVCacheDataTypeE1EDF16_Li16ELi128ELi256ELb1ELi14EEvPKT_PKT0_S7_ifPKiS9_S9_iPKfiiiPfSC_PS2_PT2_iSB_SB_
    .private_segment_fixed_size: 0
    .sgpr_count:     56
    .sgpr_spill_count: 0
    .symbol:         _Z39paged_attention_ll4mi_QKV_mfma16_kernelIDF16_hLN4vllm18Fp8KVCacheDataTypeE1EDF16_Li16ELi128ELi256ELb1ELi14EEvPKT_PKT0_S7_ifPKiS9_S9_iPKfiiiPfSC_PS2_PT2_iSB_SB_.kd
    .uniform_work_group_size: 1
    .uses_dynamic_stack: false
    .vgpr_count:     76
    .vgpr_spill_count: 0
    .wavefront_size: 64
  - .agpr_count:     0
    .args:
      - .actual_access:  read_only
        .address_space:  global
        .offset:         0
        .size:           8
        .value_kind:     global_buffer
      - .actual_access:  read_only
        .address_space:  global
        .offset:         8
        .size:           8
        .value_kind:     global_buffer
      - .actual_access:  read_only
        .address_space:  global
        .offset:         16
        .size:           8
        .value_kind:     global_buffer
      - .offset:         24
        .size:           4
        .value_kind:     by_value
      - .offset:         28
        .size:           4
        .value_kind:     by_value
      - .actual_access:  read_only
        .address_space:  global
        .offset:         32
        .size:           8
        .value_kind:     global_buffer
      - .actual_access:  read_only
        .address_space:  global
        .offset:         40
        .size:           8
        .value_kind:     global_buffer
      - .actual_access:  read_only
        .address_space:  global
        .offset:         48
        .size:           8
        .value_kind:     global_buffer
      - .offset:         56
        .size:           4
        .value_kind:     by_value
      - .actual_access:  read_only
        .address_space:  global
        .offset:         64
        .size:           8
        .value_kind:     global_buffer
      - .offset:         72
        .size:           4
        .value_kind:     by_value
      - .offset:         76
        .size:           4
        .value_kind:     by_value
      - .offset:         80
        .size:           4
        .value_kind:     by_value
      - .actual_access:  write_only
        .address_space:  global
        .offset:         88
        .size:           8
        .value_kind:     global_buffer
      - .actual_access:  write_only
        .address_space:  global
        .offset:         96
        .size:           8
        .value_kind:     global_buffer
      - .actual_access:  write_only
        .address_space:  global
        .offset:         104
        .size:           8
        .value_kind:     global_buffer
      - .actual_access:  read_only
        .address_space:  global
        .offset:         112
        .size:           8
        .value_kind:     global_buffer
      - .offset:         120
        .size:           4
        .value_kind:     by_value
      - .address_space:  global
        .offset:         128
        .size:           8
        .value_kind:     global_buffer
      - .address_space:  global
        .offset:         136
        .size:           8
        .value_kind:     global_buffer
      - .offset:         144
        .size:           4
        .value_kind:     hidden_block_count_x
      - .offset:         148
        .size:           4
        .value_kind:     hidden_block_count_y
      - .offset:         152
        .size:           4
        .value_kind:     hidden_block_count_z
      - .offset:         156
        .size:           2
        .value_kind:     hidden_group_size_x
      - .offset:         158
        .size:           2
        .value_kind:     hidden_group_size_y
      - .offset:         160
        .size:           2
        .value_kind:     hidden_group_size_z
      - .offset:         162
        .size:           2
        .value_kind:     hidden_remainder_x
      - .offset:         164
        .size:           2
        .value_kind:     hidden_remainder_y
      - .offset:         166
        .size:           2
        .value_kind:     hidden_remainder_z
      - .offset:         184
        .size:           8
        .value_kind:     hidden_global_offset_x
      - .offset:         192
        .size:           8
        .value_kind:     hidden_global_offset_y
      - .offset:         200
        .size:           8
        .value_kind:     hidden_global_offset_z
      - .offset:         208
        .size:           2
        .value_kind:     hidden_grid_dims
    .group_segment_fixed_size: 8192
    .kernarg_segment_align: 8
    .kernarg_segment_size: 400
    .language:       OpenCL C
    .language_version:
      - 2
      - 0
    .max_flat_workgroup_size: 256
    .name:           _Z39paged_attention_ll4mi_QKV_mfma16_kernelIDF16_hLN4vllm18Fp8KVCacheDataTypeE1EDF16_Li16ELi128ELi256ELb1ELi15EEvPKT_PKT0_S7_ifPKiS9_S9_iPKfiiiPfSC_PS2_PT2_iSB_SB_
    .private_segment_fixed_size: 0
    .sgpr_count:     56
    .sgpr_spill_count: 0
    .symbol:         _Z39paged_attention_ll4mi_QKV_mfma16_kernelIDF16_hLN4vllm18Fp8KVCacheDataTypeE1EDF16_Li16ELi128ELi256ELb1ELi15EEvPKT_PKT0_S7_ifPKiS9_S9_iPKfiiiPfSC_PS2_PT2_iSB_SB_.kd
    .uniform_work_group_size: 1
    .uses_dynamic_stack: false
    .vgpr_count:     76
    .vgpr_spill_count: 0
    .wavefront_size: 64
  - .agpr_count:     0
    .args:
      - .actual_access:  read_only
        .address_space:  global
        .offset:         0
        .size:           8
        .value_kind:     global_buffer
      - .actual_access:  read_only
        .address_space:  global
        .offset:         8
        .size:           8
        .value_kind:     global_buffer
      - .actual_access:  read_only
        .address_space:  global
        .offset:         16
        .size:           8
        .value_kind:     global_buffer
      - .offset:         24
        .size:           4
        .value_kind:     by_value
      - .offset:         28
        .size:           4
        .value_kind:     by_value
      - .actual_access:  read_only
        .address_space:  global
        .offset:         32
        .size:           8
        .value_kind:     global_buffer
      - .actual_access:  read_only
        .address_space:  global
        .offset:         40
        .size:           8
        .value_kind:     global_buffer
      - .actual_access:  read_only
        .address_space:  global
        .offset:         48
        .size:           8
        .value_kind:     global_buffer
      - .offset:         56
        .size:           4
        .value_kind:     by_value
      - .actual_access:  read_only
        .address_space:  global
        .offset:         64
        .size:           8
        .value_kind:     global_buffer
      - .offset:         72
        .size:           4
        .value_kind:     by_value
      - .offset:         76
        .size:           4
        .value_kind:     by_value
      - .offset:         80
        .size:           4
        .value_kind:     by_value
      - .actual_access:  write_only
        .address_space:  global
        .offset:         88
        .size:           8
        .value_kind:     global_buffer
      - .actual_access:  write_only
        .address_space:  global
        .offset:         96
        .size:           8
        .value_kind:     global_buffer
      - .actual_access:  write_only
        .address_space:  global
        .offset:         104
        .size:           8
        .value_kind:     global_buffer
      - .actual_access:  read_only
        .address_space:  global
        .offset:         112
        .size:           8
        .value_kind:     global_buffer
      - .offset:         120
        .size:           4
        .value_kind:     by_value
      - .address_space:  global
        .offset:         128
        .size:           8
        .value_kind:     global_buffer
      - .address_space:  global
        .offset:         136
        .size:           8
        .value_kind:     global_buffer
      - .offset:         144
        .size:           4
        .value_kind:     hidden_block_count_x
      - .offset:         148
        .size:           4
        .value_kind:     hidden_block_count_y
      - .offset:         152
        .size:           4
        .value_kind:     hidden_block_count_z
      - .offset:         156
        .size:           2
        .value_kind:     hidden_group_size_x
      - .offset:         158
        .size:           2
        .value_kind:     hidden_group_size_y
      - .offset:         160
        .size:           2
        .value_kind:     hidden_group_size_z
      - .offset:         162
        .size:           2
        .value_kind:     hidden_remainder_x
      - .offset:         164
        .size:           2
        .value_kind:     hidden_remainder_y
      - .offset:         166
        .size:           2
        .value_kind:     hidden_remainder_z
      - .offset:         184
        .size:           8
        .value_kind:     hidden_global_offset_x
      - .offset:         192
        .size:           8
        .value_kind:     hidden_global_offset_y
      - .offset:         200
        .size:           8
        .value_kind:     hidden_global_offset_z
      - .offset:         208
        .size:           2
        .value_kind:     hidden_grid_dims
    .group_segment_fixed_size: 8192
    .kernarg_segment_align: 8
    .kernarg_segment_size: 400
    .language:       OpenCL C
    .language_version:
      - 2
      - 0
    .max_flat_workgroup_size: 256
    .name:           _Z39paged_attention_ll4mi_QKV_mfma16_kernelIDF16_hLN4vllm18Fp8KVCacheDataTypeE1EDF16_Li16ELi128ELi256ELb1ELi16EEvPKT_PKT0_S7_ifPKiS9_S9_iPKfiiiPfSC_PS2_PT2_iSB_SB_
    .private_segment_fixed_size: 0
    .sgpr_count:     54
    .sgpr_spill_count: 0
    .symbol:         _Z39paged_attention_ll4mi_QKV_mfma16_kernelIDF16_hLN4vllm18Fp8KVCacheDataTypeE1EDF16_Li16ELi128ELi256ELb1ELi16EEvPKT_PKT0_S7_ifPKiS9_S9_iPKfiiiPfSC_PS2_PT2_iSB_SB_.kd
    .uniform_work_group_size: 1
    .uses_dynamic_stack: false
    .vgpr_count:     94
    .vgpr_spill_count: 0
    .wavefront_size: 64
  - .agpr_count:     0
    .args:
      - .actual_access:  read_only
        .address_space:  global
        .offset:         0
        .size:           8
        .value_kind:     global_buffer
      - .actual_access:  read_only
        .address_space:  global
        .offset:         8
        .size:           8
        .value_kind:     global_buffer
      - .actual_access:  read_only
        .address_space:  global
        .offset:         16
        .size:           8
        .value_kind:     global_buffer
      - .offset:         24
        .size:           4
        .value_kind:     by_value
      - .offset:         28
        .size:           4
        .value_kind:     by_value
      - .actual_access:  read_only
        .address_space:  global
        .offset:         32
        .size:           8
        .value_kind:     global_buffer
      - .actual_access:  read_only
        .address_space:  global
        .offset:         40
        .size:           8
        .value_kind:     global_buffer
      - .actual_access:  read_only
        .address_space:  global
        .offset:         48
        .size:           8
        .value_kind:     global_buffer
      - .offset:         56
        .size:           4
        .value_kind:     by_value
      - .actual_access:  read_only
        .address_space:  global
        .offset:         64
        .size:           8
        .value_kind:     global_buffer
      - .offset:         72
        .size:           4
        .value_kind:     by_value
      - .offset:         76
        .size:           4
        .value_kind:     by_value
      - .offset:         80
        .size:           4
        .value_kind:     by_value
      - .actual_access:  write_only
        .address_space:  global
        .offset:         88
        .size:           8
        .value_kind:     global_buffer
      - .actual_access:  write_only
        .address_space:  global
        .offset:         96
        .size:           8
        .value_kind:     global_buffer
      - .actual_access:  write_only
        .address_space:  global
        .offset:         104
        .size:           8
        .value_kind:     global_buffer
      - .actual_access:  read_only
        .address_space:  global
        .offset:         112
        .size:           8
        .value_kind:     global_buffer
      - .offset:         120
        .size:           4
        .value_kind:     by_value
      - .address_space:  global
        .offset:         128
        .size:           8
        .value_kind:     global_buffer
      - .address_space:  global
        .offset:         136
        .size:           8
        .value_kind:     global_buffer
      - .offset:         144
        .size:           4
        .value_kind:     hidden_block_count_x
      - .offset:         148
        .size:           4
        .value_kind:     hidden_block_count_y
      - .offset:         152
        .size:           4
        .value_kind:     hidden_block_count_z
      - .offset:         156
        .size:           2
        .value_kind:     hidden_group_size_x
      - .offset:         158
        .size:           2
        .value_kind:     hidden_group_size_y
      - .offset:         160
        .size:           2
        .value_kind:     hidden_group_size_z
      - .offset:         162
        .size:           2
        .value_kind:     hidden_remainder_x
      - .offset:         164
        .size:           2
        .value_kind:     hidden_remainder_y
      - .offset:         166
        .size:           2
        .value_kind:     hidden_remainder_z
      - .offset:         184
        .size:           8
        .value_kind:     hidden_global_offset_x
      - .offset:         192
        .size:           8
        .value_kind:     hidden_global_offset_y
      - .offset:         200
        .size:           8
        .value_kind:     hidden_global_offset_z
      - .offset:         208
        .size:           2
        .value_kind:     hidden_grid_dims
    .group_segment_fixed_size: 8192
    .kernarg_segment_align: 8
    .kernarg_segment_size: 400
    .language:       OpenCL C
    .language_version:
      - 2
      - 0
    .max_flat_workgroup_size: 256
    .name:           _Z39paged_attention_ll4mi_QKV_mfma16_kernelIDF16_hLN4vllm18Fp8KVCacheDataTypeE1EDF16_Li16ELi128ELi256ELb1ELi1EEvPKT_PKT0_S7_ifPKiS9_S9_iPKfiiiPfSC_PS2_PT2_iSB_SB_
    .private_segment_fixed_size: 0
    .sgpr_count:     54
    .sgpr_spill_count: 0
    .symbol:         _Z39paged_attention_ll4mi_QKV_mfma16_kernelIDF16_hLN4vllm18Fp8KVCacheDataTypeE1EDF16_Li16ELi128ELi256ELb1ELi1EEvPKT_PKT0_S7_ifPKiS9_S9_iPKfiiiPfSC_PS2_PT2_iSB_SB_.kd
    .uniform_work_group_size: 1
    .uses_dynamic_stack: false
    .vgpr_count:     80
    .vgpr_spill_count: 0
    .wavefront_size: 64
  - .agpr_count:     0
    .args:
      - .actual_access:  read_only
        .address_space:  global
        .offset:         0
        .size:           8
        .value_kind:     global_buffer
      - .actual_access:  read_only
        .address_space:  global
        .offset:         8
        .size:           8
        .value_kind:     global_buffer
      - .actual_access:  read_only
        .address_space:  global
        .offset:         16
        .size:           8
        .value_kind:     global_buffer
      - .offset:         24
        .size:           4
        .value_kind:     by_value
      - .offset:         28
        .size:           4
        .value_kind:     by_value
      - .actual_access:  read_only
        .address_space:  global
        .offset:         32
        .size:           8
        .value_kind:     global_buffer
      - .actual_access:  read_only
        .address_space:  global
        .offset:         40
        .size:           8
        .value_kind:     global_buffer
      - .actual_access:  read_only
        .address_space:  global
        .offset:         48
        .size:           8
        .value_kind:     global_buffer
      - .offset:         56
        .size:           4
        .value_kind:     by_value
      - .actual_access:  read_only
        .address_space:  global
        .offset:         64
        .size:           8
        .value_kind:     global_buffer
      - .offset:         72
        .size:           4
        .value_kind:     by_value
      - .offset:         76
        .size:           4
        .value_kind:     by_value
      - .offset:         80
        .size:           4
        .value_kind:     by_value
      - .actual_access:  write_only
        .address_space:  global
        .offset:         88
        .size:           8
        .value_kind:     global_buffer
      - .actual_access:  write_only
        .address_space:  global
        .offset:         96
        .size:           8
        .value_kind:     global_buffer
      - .actual_access:  write_only
        .address_space:  global
        .offset:         104
        .size:           8
        .value_kind:     global_buffer
      - .actual_access:  read_only
        .address_space:  global
        .offset:         112
        .size:           8
        .value_kind:     global_buffer
      - .offset:         120
        .size:           4
        .value_kind:     by_value
      - .address_space:  global
        .offset:         128
        .size:           8
        .value_kind:     global_buffer
      - .address_space:  global
        .offset:         136
        .size:           8
        .value_kind:     global_buffer
      - .offset:         144
        .size:           4
        .value_kind:     hidden_block_count_x
      - .offset:         148
        .size:           4
        .value_kind:     hidden_block_count_y
      - .offset:         152
        .size:           4
        .value_kind:     hidden_block_count_z
      - .offset:         156
        .size:           2
        .value_kind:     hidden_group_size_x
      - .offset:         158
        .size:           2
        .value_kind:     hidden_group_size_y
      - .offset:         160
        .size:           2
        .value_kind:     hidden_group_size_z
      - .offset:         162
        .size:           2
        .value_kind:     hidden_remainder_x
      - .offset:         164
        .size:           2
        .value_kind:     hidden_remainder_y
      - .offset:         166
        .size:           2
        .value_kind:     hidden_remainder_z
      - .offset:         184
        .size:           8
        .value_kind:     hidden_global_offset_x
      - .offset:         192
        .size:           8
        .value_kind:     hidden_global_offset_y
      - .offset:         200
        .size:           8
        .value_kind:     hidden_global_offset_z
      - .offset:         208
        .size:           2
        .value_kind:     hidden_grid_dims
    .group_segment_fixed_size: 8192
    .kernarg_segment_align: 8
    .kernarg_segment_size: 400
    .language:       OpenCL C
    .language_version:
      - 2
      - 0
    .max_flat_workgroup_size: 256
    .name:           _Z39paged_attention_ll4mi_QKV_mfma16_kernelIDF16_hLN4vllm18Fp8KVCacheDataTypeE1EDF16_Li16ELi128ELi256ELb1ELi2EEvPKT_PKT0_S7_ifPKiS9_S9_iPKfiiiPfSC_PS2_PT2_iSB_SB_
    .private_segment_fixed_size: 0
    .sgpr_count:     54
    .sgpr_spill_count: 0
    .symbol:         _Z39paged_attention_ll4mi_QKV_mfma16_kernelIDF16_hLN4vllm18Fp8KVCacheDataTypeE1EDF16_Li16ELi128ELi256ELb1ELi2EEvPKT_PKT0_S7_ifPKiS9_S9_iPKfiiiPfSC_PS2_PT2_iSB_SB_.kd
    .uniform_work_group_size: 1
    .uses_dynamic_stack: false
    .vgpr_count:     80
    .vgpr_spill_count: 0
    .wavefront_size: 64
  - .agpr_count:     0
    .args:
      - .actual_access:  read_only
        .address_space:  global
        .offset:         0
        .size:           8
        .value_kind:     global_buffer
      - .actual_access:  read_only
        .address_space:  global
        .offset:         8
        .size:           8
        .value_kind:     global_buffer
      - .actual_access:  read_only
        .address_space:  global
        .offset:         16
        .size:           8
        .value_kind:     global_buffer
      - .offset:         24
        .size:           4
        .value_kind:     by_value
      - .offset:         28
        .size:           4
        .value_kind:     by_value
      - .actual_access:  read_only
        .address_space:  global
        .offset:         32
        .size:           8
        .value_kind:     global_buffer
      - .actual_access:  read_only
        .address_space:  global
        .offset:         40
        .size:           8
        .value_kind:     global_buffer
      - .actual_access:  read_only
        .address_space:  global
        .offset:         48
        .size:           8
        .value_kind:     global_buffer
      - .offset:         56
        .size:           4
        .value_kind:     by_value
      - .actual_access:  read_only
        .address_space:  global
        .offset:         64
        .size:           8
        .value_kind:     global_buffer
      - .offset:         72
        .size:           4
        .value_kind:     by_value
      - .offset:         76
        .size:           4
        .value_kind:     by_value
      - .offset:         80
        .size:           4
        .value_kind:     by_value
      - .actual_access:  write_only
        .address_space:  global
        .offset:         88
        .size:           8
        .value_kind:     global_buffer
      - .actual_access:  write_only
        .address_space:  global
        .offset:         96
        .size:           8
        .value_kind:     global_buffer
      - .actual_access:  write_only
        .address_space:  global
        .offset:         104
        .size:           8
        .value_kind:     global_buffer
      - .actual_access:  read_only
        .address_space:  global
        .offset:         112
        .size:           8
        .value_kind:     global_buffer
      - .offset:         120
        .size:           4
        .value_kind:     by_value
      - .address_space:  global
        .offset:         128
        .size:           8
        .value_kind:     global_buffer
      - .address_space:  global
        .offset:         136
        .size:           8
        .value_kind:     global_buffer
      - .offset:         144
        .size:           4
        .value_kind:     hidden_block_count_x
      - .offset:         148
        .size:           4
        .value_kind:     hidden_block_count_y
      - .offset:         152
        .size:           4
        .value_kind:     hidden_block_count_z
      - .offset:         156
        .size:           2
        .value_kind:     hidden_group_size_x
      - .offset:         158
        .size:           2
        .value_kind:     hidden_group_size_y
      - .offset:         160
        .size:           2
        .value_kind:     hidden_group_size_z
      - .offset:         162
        .size:           2
        .value_kind:     hidden_remainder_x
      - .offset:         164
        .size:           2
        .value_kind:     hidden_remainder_y
      - .offset:         166
        .size:           2
        .value_kind:     hidden_remainder_z
      - .offset:         184
        .size:           8
        .value_kind:     hidden_global_offset_x
      - .offset:         192
        .size:           8
        .value_kind:     hidden_global_offset_y
      - .offset:         200
        .size:           8
        .value_kind:     hidden_global_offset_z
      - .offset:         208
        .size:           2
        .value_kind:     hidden_grid_dims
    .group_segment_fixed_size: 8192
    .kernarg_segment_align: 8
    .kernarg_segment_size: 400
    .language:       OpenCL C
    .language_version:
      - 2
      - 0
    .max_flat_workgroup_size: 256
    .name:           _Z39paged_attention_ll4mi_QKV_mfma16_kernelIDF16_hLN4vllm18Fp8KVCacheDataTypeE1EDF16_Li16ELi128ELi256ELb1ELi3EEvPKT_PKT0_S7_ifPKiS9_S9_iPKfiiiPfSC_PS2_PT2_iSB_SB_
    .private_segment_fixed_size: 0
    .sgpr_count:     56
    .sgpr_spill_count: 0
    .symbol:         _Z39paged_attention_ll4mi_QKV_mfma16_kernelIDF16_hLN4vllm18Fp8KVCacheDataTypeE1EDF16_Li16ELi128ELi256ELb1ELi3EEvPKT_PKT0_S7_ifPKiS9_S9_iPKfiiiPfSC_PS2_PT2_iSB_SB_.kd
    .uniform_work_group_size: 1
    .uses_dynamic_stack: false
    .vgpr_count:     77
    .vgpr_spill_count: 0
    .wavefront_size: 64
  - .agpr_count:     0
    .args:
      - .actual_access:  read_only
        .address_space:  global
        .offset:         0
        .size:           8
        .value_kind:     global_buffer
      - .actual_access:  read_only
        .address_space:  global
        .offset:         8
        .size:           8
        .value_kind:     global_buffer
      - .actual_access:  read_only
        .address_space:  global
        .offset:         16
        .size:           8
        .value_kind:     global_buffer
      - .offset:         24
        .size:           4
        .value_kind:     by_value
      - .offset:         28
        .size:           4
        .value_kind:     by_value
      - .actual_access:  read_only
        .address_space:  global
        .offset:         32
        .size:           8
        .value_kind:     global_buffer
      - .actual_access:  read_only
        .address_space:  global
        .offset:         40
        .size:           8
        .value_kind:     global_buffer
      - .actual_access:  read_only
        .address_space:  global
        .offset:         48
        .size:           8
        .value_kind:     global_buffer
      - .offset:         56
        .size:           4
        .value_kind:     by_value
      - .actual_access:  read_only
        .address_space:  global
        .offset:         64
        .size:           8
        .value_kind:     global_buffer
      - .offset:         72
        .size:           4
        .value_kind:     by_value
      - .offset:         76
        .size:           4
        .value_kind:     by_value
      - .offset:         80
        .size:           4
        .value_kind:     by_value
      - .actual_access:  write_only
        .address_space:  global
        .offset:         88
        .size:           8
        .value_kind:     global_buffer
      - .actual_access:  write_only
        .address_space:  global
        .offset:         96
        .size:           8
        .value_kind:     global_buffer
      - .actual_access:  write_only
        .address_space:  global
        .offset:         104
        .size:           8
        .value_kind:     global_buffer
      - .actual_access:  read_only
        .address_space:  global
        .offset:         112
        .size:           8
        .value_kind:     global_buffer
      - .offset:         120
        .size:           4
        .value_kind:     by_value
      - .address_space:  global
        .offset:         128
        .size:           8
        .value_kind:     global_buffer
      - .address_space:  global
        .offset:         136
        .size:           8
        .value_kind:     global_buffer
      - .offset:         144
        .size:           4
        .value_kind:     hidden_block_count_x
      - .offset:         148
        .size:           4
        .value_kind:     hidden_block_count_y
      - .offset:         152
        .size:           4
        .value_kind:     hidden_block_count_z
      - .offset:         156
        .size:           2
        .value_kind:     hidden_group_size_x
      - .offset:         158
        .size:           2
        .value_kind:     hidden_group_size_y
      - .offset:         160
        .size:           2
        .value_kind:     hidden_group_size_z
      - .offset:         162
        .size:           2
        .value_kind:     hidden_remainder_x
      - .offset:         164
        .size:           2
        .value_kind:     hidden_remainder_y
      - .offset:         166
        .size:           2
        .value_kind:     hidden_remainder_z
      - .offset:         184
        .size:           8
        .value_kind:     hidden_global_offset_x
      - .offset:         192
        .size:           8
        .value_kind:     hidden_global_offset_y
      - .offset:         200
        .size:           8
        .value_kind:     hidden_global_offset_z
      - .offset:         208
        .size:           2
        .value_kind:     hidden_grid_dims
    .group_segment_fixed_size: 8192
    .kernarg_segment_align: 8
    .kernarg_segment_size: 400
    .language:       OpenCL C
    .language_version:
      - 2
      - 0
    .max_flat_workgroup_size: 256
    .name:           _Z39paged_attention_ll4mi_QKV_mfma16_kernelIDF16_hLN4vllm18Fp8KVCacheDataTypeE1EDF16_Li16ELi128ELi256ELb1ELi4EEvPKT_PKT0_S7_ifPKiS9_S9_iPKfiiiPfSC_PS2_PT2_iSB_SB_
    .private_segment_fixed_size: 0
    .sgpr_count:     54
    .sgpr_spill_count: 0
    .symbol:         _Z39paged_attention_ll4mi_QKV_mfma16_kernelIDF16_hLN4vllm18Fp8KVCacheDataTypeE1EDF16_Li16ELi128ELi256ELb1ELi4EEvPKT_PKT0_S7_ifPKiS9_S9_iPKfiiiPfSC_PS2_PT2_iSB_SB_.kd
    .uniform_work_group_size: 1
    .uses_dynamic_stack: false
    .vgpr_count:     82
    .vgpr_spill_count: 0
    .wavefront_size: 64
  - .agpr_count:     4
    .args:
      - .actual_access:  read_only
        .address_space:  global
        .offset:         0
        .size:           8
        .value_kind:     global_buffer
      - .actual_access:  read_only
        .address_space:  global
        .offset:         8
        .size:           8
        .value_kind:     global_buffer
      - .actual_access:  read_only
        .address_space:  global
        .offset:         16
        .size:           8
        .value_kind:     global_buffer
      - .offset:         24
        .size:           4
        .value_kind:     by_value
      - .offset:         28
        .size:           4
        .value_kind:     by_value
      - .actual_access:  read_only
        .address_space:  global
        .offset:         32
        .size:           8
        .value_kind:     global_buffer
      - .actual_access:  read_only
        .address_space:  global
        .offset:         40
        .size:           8
        .value_kind:     global_buffer
      - .actual_access:  read_only
        .address_space:  global
        .offset:         48
        .size:           8
        .value_kind:     global_buffer
      - .offset:         56
        .size:           4
        .value_kind:     by_value
      - .actual_access:  read_only
        .address_space:  global
        .offset:         64
        .size:           8
        .value_kind:     global_buffer
      - .offset:         72
        .size:           4
        .value_kind:     by_value
      - .offset:         76
        .size:           4
        .value_kind:     by_value
      - .offset:         80
        .size:           4
        .value_kind:     by_value
      - .actual_access:  write_only
        .address_space:  global
        .offset:         88
        .size:           8
        .value_kind:     global_buffer
      - .actual_access:  write_only
        .address_space:  global
        .offset:         96
        .size:           8
        .value_kind:     global_buffer
      - .actual_access:  write_only
        .address_space:  global
        .offset:         104
        .size:           8
        .value_kind:     global_buffer
      - .actual_access:  read_only
        .address_space:  global
        .offset:         112
        .size:           8
        .value_kind:     global_buffer
      - .offset:         120
        .size:           4
        .value_kind:     by_value
      - .address_space:  global
        .offset:         128
        .size:           8
        .value_kind:     global_buffer
      - .address_space:  global
        .offset:         136
        .size:           8
        .value_kind:     global_buffer
      - .offset:         144
        .size:           4
        .value_kind:     hidden_block_count_x
      - .offset:         148
        .size:           4
        .value_kind:     hidden_block_count_y
      - .offset:         152
        .size:           4
        .value_kind:     hidden_block_count_z
      - .offset:         156
        .size:           2
        .value_kind:     hidden_group_size_x
      - .offset:         158
        .size:           2
        .value_kind:     hidden_group_size_y
      - .offset:         160
        .size:           2
        .value_kind:     hidden_group_size_z
      - .offset:         162
        .size:           2
        .value_kind:     hidden_remainder_x
      - .offset:         164
        .size:           2
        .value_kind:     hidden_remainder_y
      - .offset:         166
        .size:           2
        .value_kind:     hidden_remainder_z
      - .offset:         184
        .size:           8
        .value_kind:     hidden_global_offset_x
      - .offset:         192
        .size:           8
        .value_kind:     hidden_global_offset_y
      - .offset:         200
        .size:           8
        .value_kind:     hidden_global_offset_z
      - .offset:         208
        .size:           2
        .value_kind:     hidden_grid_dims
    .group_segment_fixed_size: 5280
    .kernarg_segment_align: 8
    .kernarg_segment_size: 400
    .language:       OpenCL C
    .language_version:
      - 2
      - 0
    .max_flat_workgroup_size: 256
    .name:           _Z38paged_attention_ll4mi_QKV_mfma4_kernelIDF16_hLN4vllm18Fp8KVCacheDataTypeE1EDF16_Li16ELi128ELi256ELb0ELi1EEvPKT_PKT0_S7_ifPKiS9_S9_iPKfiiiPfSC_PS2_PT2_iSB_SB_
    .private_segment_fixed_size: 0
    .sgpr_count:     48
    .sgpr_spill_count: 0
    .symbol:         _Z38paged_attention_ll4mi_QKV_mfma4_kernelIDF16_hLN4vllm18Fp8KVCacheDataTypeE1EDF16_Li16ELi128ELi256ELb0ELi1EEvPKT_PKT0_S7_ifPKiS9_S9_iPKfiiiPfSC_PS2_PT2_iSB_SB_.kd
    .uniform_work_group_size: 1
    .uses_dynamic_stack: false
    .vgpr_count:     68
    .vgpr_spill_count: 0
    .wavefront_size: 64
  - .agpr_count:     4
    .args:
      - .actual_access:  read_only
        .address_space:  global
        .offset:         0
        .size:           8
        .value_kind:     global_buffer
      - .actual_access:  read_only
        .address_space:  global
        .offset:         8
        .size:           8
        .value_kind:     global_buffer
      - .actual_access:  read_only
        .address_space:  global
        .offset:         16
        .size:           8
        .value_kind:     global_buffer
      - .offset:         24
        .size:           4
        .value_kind:     by_value
      - .offset:         28
        .size:           4
        .value_kind:     by_value
      - .actual_access:  read_only
        .address_space:  global
        .offset:         32
        .size:           8
        .value_kind:     global_buffer
      - .actual_access:  read_only
        .address_space:  global
        .offset:         40
        .size:           8
        .value_kind:     global_buffer
      - .actual_access:  read_only
        .address_space:  global
        .offset:         48
        .size:           8
        .value_kind:     global_buffer
      - .offset:         56
        .size:           4
        .value_kind:     by_value
      - .actual_access:  read_only
        .address_space:  global
        .offset:         64
        .size:           8
        .value_kind:     global_buffer
      - .offset:         72
        .size:           4
        .value_kind:     by_value
      - .offset:         76
        .size:           4
        .value_kind:     by_value
      - .offset:         80
        .size:           4
        .value_kind:     by_value
      - .actual_access:  write_only
        .address_space:  global
        .offset:         88
        .size:           8
        .value_kind:     global_buffer
      - .actual_access:  write_only
        .address_space:  global
        .offset:         96
        .size:           8
        .value_kind:     global_buffer
      - .actual_access:  write_only
        .address_space:  global
        .offset:         104
        .size:           8
        .value_kind:     global_buffer
      - .actual_access:  read_only
        .address_space:  global
        .offset:         112
        .size:           8
        .value_kind:     global_buffer
      - .offset:         120
        .size:           4
        .value_kind:     by_value
      - .address_space:  global
        .offset:         128
        .size:           8
        .value_kind:     global_buffer
      - .address_space:  global
        .offset:         136
        .size:           8
        .value_kind:     global_buffer
      - .offset:         144
        .size:           4
        .value_kind:     hidden_block_count_x
      - .offset:         148
        .size:           4
        .value_kind:     hidden_block_count_y
      - .offset:         152
        .size:           4
        .value_kind:     hidden_block_count_z
      - .offset:         156
        .size:           2
        .value_kind:     hidden_group_size_x
      - .offset:         158
        .size:           2
        .value_kind:     hidden_group_size_y
      - .offset:         160
        .size:           2
        .value_kind:     hidden_group_size_z
      - .offset:         162
        .size:           2
        .value_kind:     hidden_remainder_x
      - .offset:         164
        .size:           2
        .value_kind:     hidden_remainder_y
      - .offset:         166
        .size:           2
        .value_kind:     hidden_remainder_z
      - .offset:         184
        .size:           8
        .value_kind:     hidden_global_offset_x
      - .offset:         192
        .size:           8
        .value_kind:     hidden_global_offset_y
      - .offset:         200
        .size:           8
        .value_kind:     hidden_global_offset_z
      - .offset:         208
        .size:           2
        .value_kind:     hidden_grid_dims
    .group_segment_fixed_size: 5280
    .kernarg_segment_align: 8
    .kernarg_segment_size: 400
    .language:       OpenCL C
    .language_version:
      - 2
      - 0
    .max_flat_workgroup_size: 256
    .name:           _Z38paged_attention_ll4mi_QKV_mfma4_kernelIDF16_hLN4vllm18Fp8KVCacheDataTypeE1EDF16_Li16ELi128ELi256ELb0ELi2EEvPKT_PKT0_S7_ifPKiS9_S9_iPKfiiiPfSC_PS2_PT2_iSB_SB_
    .private_segment_fixed_size: 0
    .sgpr_count:     48
    .sgpr_spill_count: 0
    .symbol:         _Z38paged_attention_ll4mi_QKV_mfma4_kernelIDF16_hLN4vllm18Fp8KVCacheDataTypeE1EDF16_Li16ELi128ELi256ELb0ELi2EEvPKT_PKT0_S7_ifPKiS9_S9_iPKfiiiPfSC_PS2_PT2_iSB_SB_.kd
    .uniform_work_group_size: 1
    .uses_dynamic_stack: false
    .vgpr_count:     68
    .vgpr_spill_count: 0
    .wavefront_size: 64
  - .agpr_count:     4
    .args:
      - .actual_access:  read_only
        .address_space:  global
        .offset:         0
        .size:           8
        .value_kind:     global_buffer
      - .actual_access:  read_only
        .address_space:  global
        .offset:         8
        .size:           8
        .value_kind:     global_buffer
      - .actual_access:  read_only
        .address_space:  global
        .offset:         16
        .size:           8
        .value_kind:     global_buffer
      - .offset:         24
        .size:           4
        .value_kind:     by_value
      - .offset:         28
        .size:           4
        .value_kind:     by_value
      - .actual_access:  read_only
        .address_space:  global
        .offset:         32
        .size:           8
        .value_kind:     global_buffer
      - .actual_access:  read_only
        .address_space:  global
        .offset:         40
        .size:           8
        .value_kind:     global_buffer
      - .actual_access:  read_only
        .address_space:  global
        .offset:         48
        .size:           8
        .value_kind:     global_buffer
      - .offset:         56
        .size:           4
        .value_kind:     by_value
      - .actual_access:  read_only
        .address_space:  global
        .offset:         64
        .size:           8
        .value_kind:     global_buffer
      - .offset:         72
        .size:           4
        .value_kind:     by_value
      - .offset:         76
        .size:           4
        .value_kind:     by_value
      - .offset:         80
        .size:           4
        .value_kind:     by_value
      - .actual_access:  write_only
        .address_space:  global
        .offset:         88
        .size:           8
        .value_kind:     global_buffer
      - .actual_access:  write_only
        .address_space:  global
        .offset:         96
        .size:           8
        .value_kind:     global_buffer
      - .actual_access:  write_only
        .address_space:  global
        .offset:         104
        .size:           8
        .value_kind:     global_buffer
      - .actual_access:  read_only
        .address_space:  global
        .offset:         112
        .size:           8
        .value_kind:     global_buffer
      - .offset:         120
        .size:           4
        .value_kind:     by_value
      - .address_space:  global
        .offset:         128
        .size:           8
        .value_kind:     global_buffer
      - .address_space:  global
        .offset:         136
        .size:           8
        .value_kind:     global_buffer
      - .offset:         144
        .size:           4
        .value_kind:     hidden_block_count_x
      - .offset:         148
        .size:           4
        .value_kind:     hidden_block_count_y
      - .offset:         152
        .size:           4
        .value_kind:     hidden_block_count_z
      - .offset:         156
        .size:           2
        .value_kind:     hidden_group_size_x
      - .offset:         158
        .size:           2
        .value_kind:     hidden_group_size_y
      - .offset:         160
        .size:           2
        .value_kind:     hidden_group_size_z
      - .offset:         162
        .size:           2
        .value_kind:     hidden_remainder_x
      - .offset:         164
        .size:           2
        .value_kind:     hidden_remainder_y
      - .offset:         166
        .size:           2
        .value_kind:     hidden_remainder_z
      - .offset:         184
        .size:           8
        .value_kind:     hidden_global_offset_x
      - .offset:         192
        .size:           8
        .value_kind:     hidden_global_offset_y
      - .offset:         200
        .size:           8
        .value_kind:     hidden_global_offset_z
      - .offset:         208
        .size:           2
        .value_kind:     hidden_grid_dims
    .group_segment_fixed_size: 5280
    .kernarg_segment_align: 8
    .kernarg_segment_size: 400
    .language:       OpenCL C
    .language_version:
      - 2
      - 0
    .max_flat_workgroup_size: 256
    .name:           _Z38paged_attention_ll4mi_QKV_mfma4_kernelIDF16_hLN4vllm18Fp8KVCacheDataTypeE1EDF16_Li16ELi128ELi256ELb0ELi3EEvPKT_PKT0_S7_ifPKiS9_S9_iPKfiiiPfSC_PS2_PT2_iSB_SB_
    .private_segment_fixed_size: 0
    .sgpr_count:     48
    .sgpr_spill_count: 0
    .symbol:         _Z38paged_attention_ll4mi_QKV_mfma4_kernelIDF16_hLN4vllm18Fp8KVCacheDataTypeE1EDF16_Li16ELi128ELi256ELb0ELi3EEvPKT_PKT0_S7_ifPKiS9_S9_iPKfiiiPfSC_PS2_PT2_iSB_SB_.kd
    .uniform_work_group_size: 1
    .uses_dynamic_stack: false
    .vgpr_count:     68
    .vgpr_spill_count: 0
    .wavefront_size: 64
  - .agpr_count:     4
    .args:
      - .actual_access:  read_only
        .address_space:  global
        .offset:         0
        .size:           8
        .value_kind:     global_buffer
      - .actual_access:  read_only
        .address_space:  global
        .offset:         8
        .size:           8
        .value_kind:     global_buffer
      - .actual_access:  read_only
        .address_space:  global
        .offset:         16
        .size:           8
        .value_kind:     global_buffer
      - .offset:         24
        .size:           4
        .value_kind:     by_value
      - .offset:         28
        .size:           4
        .value_kind:     by_value
      - .actual_access:  read_only
        .address_space:  global
        .offset:         32
        .size:           8
        .value_kind:     global_buffer
      - .actual_access:  read_only
        .address_space:  global
        .offset:         40
        .size:           8
        .value_kind:     global_buffer
      - .actual_access:  read_only
        .address_space:  global
        .offset:         48
        .size:           8
        .value_kind:     global_buffer
      - .offset:         56
        .size:           4
        .value_kind:     by_value
      - .actual_access:  read_only
        .address_space:  global
        .offset:         64
        .size:           8
        .value_kind:     global_buffer
      - .offset:         72
        .size:           4
        .value_kind:     by_value
      - .offset:         76
        .size:           4
        .value_kind:     by_value
      - .offset:         80
        .size:           4
        .value_kind:     by_value
      - .actual_access:  write_only
        .address_space:  global
        .offset:         88
        .size:           8
        .value_kind:     global_buffer
      - .actual_access:  write_only
        .address_space:  global
        .offset:         96
        .size:           8
        .value_kind:     global_buffer
      - .actual_access:  write_only
        .address_space:  global
        .offset:         104
        .size:           8
        .value_kind:     global_buffer
      - .actual_access:  read_only
        .address_space:  global
        .offset:         112
        .size:           8
        .value_kind:     global_buffer
      - .offset:         120
        .size:           4
        .value_kind:     by_value
      - .address_space:  global
        .offset:         128
        .size:           8
        .value_kind:     global_buffer
      - .address_space:  global
        .offset:         136
        .size:           8
        .value_kind:     global_buffer
      - .offset:         144
        .size:           4
        .value_kind:     hidden_block_count_x
      - .offset:         148
        .size:           4
        .value_kind:     hidden_block_count_y
      - .offset:         152
        .size:           4
        .value_kind:     hidden_block_count_z
      - .offset:         156
        .size:           2
        .value_kind:     hidden_group_size_x
      - .offset:         158
        .size:           2
        .value_kind:     hidden_group_size_y
      - .offset:         160
        .size:           2
        .value_kind:     hidden_group_size_z
      - .offset:         162
        .size:           2
        .value_kind:     hidden_remainder_x
      - .offset:         164
        .size:           2
        .value_kind:     hidden_remainder_y
      - .offset:         166
        .size:           2
        .value_kind:     hidden_remainder_z
      - .offset:         184
        .size:           8
        .value_kind:     hidden_global_offset_x
      - .offset:         192
        .size:           8
        .value_kind:     hidden_global_offset_y
      - .offset:         200
        .size:           8
        .value_kind:     hidden_global_offset_z
      - .offset:         208
        .size:           2
        .value_kind:     hidden_grid_dims
    .group_segment_fixed_size: 5280
    .kernarg_segment_align: 8
    .kernarg_segment_size: 400
    .language:       OpenCL C
    .language_version:
      - 2
      - 0
    .max_flat_workgroup_size: 256
    .name:           _Z38paged_attention_ll4mi_QKV_mfma4_kernelIDF16_hLN4vllm18Fp8KVCacheDataTypeE1EDF16_Li16ELi128ELi256ELb0ELi4EEvPKT_PKT0_S7_ifPKiS9_S9_iPKfiiiPfSC_PS2_PT2_iSB_SB_
    .private_segment_fixed_size: 0
    .sgpr_count:     48
    .sgpr_spill_count: 0
    .symbol:         _Z38paged_attention_ll4mi_QKV_mfma4_kernelIDF16_hLN4vllm18Fp8KVCacheDataTypeE1EDF16_Li16ELi128ELi256ELb0ELi4EEvPKT_PKT0_S7_ifPKiS9_S9_iPKfiiiPfSC_PS2_PT2_iSB_SB_.kd
    .uniform_work_group_size: 1
    .uses_dynamic_stack: false
    .vgpr_count:     92
    .vgpr_spill_count: 0
    .wavefront_size: 64
  - .agpr_count:     0
    .args:
      - .actual_access:  read_only
        .address_space:  global
        .offset:         0
        .size:           8
        .value_kind:     global_buffer
      - .actual_access:  read_only
        .address_space:  global
        .offset:         8
        .size:           8
        .value_kind:     global_buffer
      - .actual_access:  read_only
        .address_space:  global
        .offset:         16
        .size:           8
        .value_kind:     global_buffer
      - .offset:         24
        .size:           4
        .value_kind:     by_value
      - .offset:         28
        .size:           4
        .value_kind:     by_value
      - .actual_access:  read_only
        .address_space:  global
        .offset:         32
        .size:           8
        .value_kind:     global_buffer
      - .actual_access:  read_only
        .address_space:  global
        .offset:         40
        .size:           8
        .value_kind:     global_buffer
      - .actual_access:  read_only
        .address_space:  global
        .offset:         48
        .size:           8
        .value_kind:     global_buffer
      - .offset:         56
        .size:           4
        .value_kind:     by_value
      - .actual_access:  read_only
        .address_space:  global
        .offset:         64
        .size:           8
        .value_kind:     global_buffer
      - .offset:         72
        .size:           4
        .value_kind:     by_value
      - .offset:         76
        .size:           4
        .value_kind:     by_value
      - .offset:         80
        .size:           4
        .value_kind:     by_value
      - .actual_access:  write_only
        .address_space:  global
        .offset:         88
        .size:           8
        .value_kind:     global_buffer
      - .actual_access:  write_only
        .address_space:  global
        .offset:         96
        .size:           8
        .value_kind:     global_buffer
      - .actual_access:  write_only
        .address_space:  global
        .offset:         104
        .size:           8
        .value_kind:     global_buffer
      - .actual_access:  read_only
        .address_space:  global
        .offset:         112
        .size:           8
        .value_kind:     global_buffer
      - .offset:         120
        .size:           4
        .value_kind:     by_value
      - .address_space:  global
        .offset:         128
        .size:           8
        .value_kind:     global_buffer
      - .address_space:  global
        .offset:         136
        .size:           8
        .value_kind:     global_buffer
      - .offset:         144
        .size:           4
        .value_kind:     hidden_block_count_x
      - .offset:         148
        .size:           4
        .value_kind:     hidden_block_count_y
      - .offset:         152
        .size:           4
        .value_kind:     hidden_block_count_z
      - .offset:         156
        .size:           2
        .value_kind:     hidden_group_size_x
      - .offset:         158
        .size:           2
        .value_kind:     hidden_group_size_y
      - .offset:         160
        .size:           2
        .value_kind:     hidden_group_size_z
      - .offset:         162
        .size:           2
        .value_kind:     hidden_remainder_x
      - .offset:         164
        .size:           2
        .value_kind:     hidden_remainder_y
      - .offset:         166
        .size:           2
        .value_kind:     hidden_remainder_z
      - .offset:         184
        .size:           8
        .value_kind:     hidden_global_offset_x
      - .offset:         192
        .size:           8
        .value_kind:     hidden_global_offset_y
      - .offset:         200
        .size:           8
        .value_kind:     hidden_global_offset_z
      - .offset:         208
        .size:           2
        .value_kind:     hidden_grid_dims
    .group_segment_fixed_size: 8192
    .kernarg_segment_align: 8
    .kernarg_segment_size: 400
    .language:       OpenCL C
    .language_version:
      - 2
      - 0
    .max_flat_workgroup_size: 256
    .name:           _Z39paged_attention_ll4mi_QKV_mfma16_kernelIDF16_hLN4vllm18Fp8KVCacheDataTypeE1EDF16_Li16ELi128ELi256ELb0ELi5EEvPKT_PKT0_S7_ifPKiS9_S9_iPKfiiiPfSC_PS2_PT2_iSB_SB_
    .private_segment_fixed_size: 0
    .sgpr_count:     56
    .sgpr_spill_count: 0
    .symbol:         _Z39paged_attention_ll4mi_QKV_mfma16_kernelIDF16_hLN4vllm18Fp8KVCacheDataTypeE1EDF16_Li16ELi128ELi256ELb0ELi5EEvPKT_PKT0_S7_ifPKiS9_S9_iPKfiiiPfSC_PS2_PT2_iSB_SB_.kd
    .uniform_work_group_size: 1
    .uses_dynamic_stack: false
    .vgpr_count:     86
    .vgpr_spill_count: 0
    .wavefront_size: 64
  - .agpr_count:     0
    .args:
      - .actual_access:  read_only
        .address_space:  global
        .offset:         0
        .size:           8
        .value_kind:     global_buffer
      - .actual_access:  read_only
        .address_space:  global
        .offset:         8
        .size:           8
        .value_kind:     global_buffer
      - .actual_access:  read_only
        .address_space:  global
        .offset:         16
        .size:           8
        .value_kind:     global_buffer
      - .offset:         24
        .size:           4
        .value_kind:     by_value
      - .offset:         28
        .size:           4
        .value_kind:     by_value
      - .actual_access:  read_only
        .address_space:  global
        .offset:         32
        .size:           8
        .value_kind:     global_buffer
      - .actual_access:  read_only
        .address_space:  global
        .offset:         40
        .size:           8
        .value_kind:     global_buffer
      - .actual_access:  read_only
        .address_space:  global
        .offset:         48
        .size:           8
        .value_kind:     global_buffer
      - .offset:         56
        .size:           4
        .value_kind:     by_value
      - .actual_access:  read_only
        .address_space:  global
        .offset:         64
        .size:           8
        .value_kind:     global_buffer
      - .offset:         72
        .size:           4
        .value_kind:     by_value
      - .offset:         76
        .size:           4
        .value_kind:     by_value
      - .offset:         80
        .size:           4
        .value_kind:     by_value
      - .actual_access:  write_only
        .address_space:  global
        .offset:         88
        .size:           8
        .value_kind:     global_buffer
      - .actual_access:  write_only
        .address_space:  global
        .offset:         96
        .size:           8
        .value_kind:     global_buffer
      - .actual_access:  write_only
        .address_space:  global
        .offset:         104
        .size:           8
        .value_kind:     global_buffer
      - .actual_access:  read_only
        .address_space:  global
        .offset:         112
        .size:           8
        .value_kind:     global_buffer
      - .offset:         120
        .size:           4
        .value_kind:     by_value
      - .address_space:  global
        .offset:         128
        .size:           8
        .value_kind:     global_buffer
      - .address_space:  global
        .offset:         136
        .size:           8
        .value_kind:     global_buffer
      - .offset:         144
        .size:           4
        .value_kind:     hidden_block_count_x
      - .offset:         148
        .size:           4
        .value_kind:     hidden_block_count_y
      - .offset:         152
        .size:           4
        .value_kind:     hidden_block_count_z
      - .offset:         156
        .size:           2
        .value_kind:     hidden_group_size_x
      - .offset:         158
        .size:           2
        .value_kind:     hidden_group_size_y
      - .offset:         160
        .size:           2
        .value_kind:     hidden_group_size_z
      - .offset:         162
        .size:           2
        .value_kind:     hidden_remainder_x
      - .offset:         164
        .size:           2
        .value_kind:     hidden_remainder_y
      - .offset:         166
        .size:           2
        .value_kind:     hidden_remainder_z
      - .offset:         184
        .size:           8
        .value_kind:     hidden_global_offset_x
      - .offset:         192
        .size:           8
        .value_kind:     hidden_global_offset_y
      - .offset:         200
        .size:           8
        .value_kind:     hidden_global_offset_z
      - .offset:         208
        .size:           2
        .value_kind:     hidden_grid_dims
    .group_segment_fixed_size: 8192
    .kernarg_segment_align: 8
    .kernarg_segment_size: 400
    .language:       OpenCL C
    .language_version:
      - 2
      - 0
    .max_flat_workgroup_size: 256
    .name:           _Z39paged_attention_ll4mi_QKV_mfma16_kernelIDF16_hLN4vllm18Fp8KVCacheDataTypeE1EDF16_Li16ELi128ELi256ELb0ELi6EEvPKT_PKT0_S7_ifPKiS9_S9_iPKfiiiPfSC_PS2_PT2_iSB_SB_
    .private_segment_fixed_size: 0
    .sgpr_count:     56
    .sgpr_spill_count: 0
    .symbol:         _Z39paged_attention_ll4mi_QKV_mfma16_kernelIDF16_hLN4vllm18Fp8KVCacheDataTypeE1EDF16_Li16ELi128ELi256ELb0ELi6EEvPKT_PKT0_S7_ifPKiS9_S9_iPKfiiiPfSC_PS2_PT2_iSB_SB_.kd
    .uniform_work_group_size: 1
    .uses_dynamic_stack: false
    .vgpr_count:     86
    .vgpr_spill_count: 0
    .wavefront_size: 64
  - .agpr_count:     0
    .args:
      - .actual_access:  read_only
        .address_space:  global
        .offset:         0
        .size:           8
        .value_kind:     global_buffer
      - .actual_access:  read_only
        .address_space:  global
        .offset:         8
        .size:           8
        .value_kind:     global_buffer
      - .actual_access:  read_only
        .address_space:  global
        .offset:         16
        .size:           8
        .value_kind:     global_buffer
      - .offset:         24
        .size:           4
        .value_kind:     by_value
      - .offset:         28
        .size:           4
        .value_kind:     by_value
      - .actual_access:  read_only
        .address_space:  global
        .offset:         32
        .size:           8
        .value_kind:     global_buffer
      - .actual_access:  read_only
        .address_space:  global
        .offset:         40
        .size:           8
        .value_kind:     global_buffer
      - .actual_access:  read_only
        .address_space:  global
        .offset:         48
        .size:           8
        .value_kind:     global_buffer
      - .offset:         56
        .size:           4
        .value_kind:     by_value
      - .actual_access:  read_only
        .address_space:  global
        .offset:         64
        .size:           8
        .value_kind:     global_buffer
      - .offset:         72
        .size:           4
        .value_kind:     by_value
      - .offset:         76
        .size:           4
        .value_kind:     by_value
      - .offset:         80
        .size:           4
        .value_kind:     by_value
      - .actual_access:  write_only
        .address_space:  global
        .offset:         88
        .size:           8
        .value_kind:     global_buffer
      - .actual_access:  write_only
        .address_space:  global
        .offset:         96
        .size:           8
        .value_kind:     global_buffer
      - .actual_access:  write_only
        .address_space:  global
        .offset:         104
        .size:           8
        .value_kind:     global_buffer
      - .actual_access:  read_only
        .address_space:  global
        .offset:         112
        .size:           8
        .value_kind:     global_buffer
      - .offset:         120
        .size:           4
        .value_kind:     by_value
      - .address_space:  global
        .offset:         128
        .size:           8
        .value_kind:     global_buffer
      - .address_space:  global
        .offset:         136
        .size:           8
        .value_kind:     global_buffer
      - .offset:         144
        .size:           4
        .value_kind:     hidden_block_count_x
      - .offset:         148
        .size:           4
        .value_kind:     hidden_block_count_y
      - .offset:         152
        .size:           4
        .value_kind:     hidden_block_count_z
      - .offset:         156
        .size:           2
        .value_kind:     hidden_group_size_x
      - .offset:         158
        .size:           2
        .value_kind:     hidden_group_size_y
      - .offset:         160
        .size:           2
        .value_kind:     hidden_group_size_z
      - .offset:         162
        .size:           2
        .value_kind:     hidden_remainder_x
      - .offset:         164
        .size:           2
        .value_kind:     hidden_remainder_y
      - .offset:         166
        .size:           2
        .value_kind:     hidden_remainder_z
      - .offset:         184
        .size:           8
        .value_kind:     hidden_global_offset_x
      - .offset:         192
        .size:           8
        .value_kind:     hidden_global_offset_y
      - .offset:         200
        .size:           8
        .value_kind:     hidden_global_offset_z
      - .offset:         208
        .size:           2
        .value_kind:     hidden_grid_dims
    .group_segment_fixed_size: 8192
    .kernarg_segment_align: 8
    .kernarg_segment_size: 400
    .language:       OpenCL C
    .language_version:
      - 2
      - 0
    .max_flat_workgroup_size: 256
    .name:           _Z39paged_attention_ll4mi_QKV_mfma16_kernelIDF16_hLN4vllm18Fp8KVCacheDataTypeE1EDF16_Li16ELi128ELi256ELb0ELi7EEvPKT_PKT0_S7_ifPKiS9_S9_iPKfiiiPfSC_PS2_PT2_iSB_SB_
    .private_segment_fixed_size: 0
    .sgpr_count:     56
    .sgpr_spill_count: 0
    .symbol:         _Z39paged_attention_ll4mi_QKV_mfma16_kernelIDF16_hLN4vllm18Fp8KVCacheDataTypeE1EDF16_Li16ELi128ELi256ELb0ELi7EEvPKT_PKT0_S7_ifPKiS9_S9_iPKfiiiPfSC_PS2_PT2_iSB_SB_.kd
    .uniform_work_group_size: 1
    .uses_dynamic_stack: false
    .vgpr_count:     86
    .vgpr_spill_count: 0
    .wavefront_size: 64
  - .agpr_count:     0
    .args:
      - .actual_access:  read_only
        .address_space:  global
        .offset:         0
        .size:           8
        .value_kind:     global_buffer
      - .actual_access:  read_only
        .address_space:  global
        .offset:         8
        .size:           8
        .value_kind:     global_buffer
      - .actual_access:  read_only
        .address_space:  global
        .offset:         16
        .size:           8
        .value_kind:     global_buffer
      - .offset:         24
        .size:           4
        .value_kind:     by_value
      - .offset:         28
        .size:           4
        .value_kind:     by_value
      - .actual_access:  read_only
        .address_space:  global
        .offset:         32
        .size:           8
        .value_kind:     global_buffer
      - .actual_access:  read_only
        .address_space:  global
        .offset:         40
        .size:           8
        .value_kind:     global_buffer
      - .actual_access:  read_only
        .address_space:  global
        .offset:         48
        .size:           8
        .value_kind:     global_buffer
      - .offset:         56
        .size:           4
        .value_kind:     by_value
      - .actual_access:  read_only
        .address_space:  global
        .offset:         64
        .size:           8
        .value_kind:     global_buffer
      - .offset:         72
        .size:           4
        .value_kind:     by_value
      - .offset:         76
        .size:           4
        .value_kind:     by_value
      - .offset:         80
        .size:           4
        .value_kind:     by_value
      - .actual_access:  write_only
        .address_space:  global
        .offset:         88
        .size:           8
        .value_kind:     global_buffer
      - .actual_access:  write_only
        .address_space:  global
        .offset:         96
        .size:           8
        .value_kind:     global_buffer
      - .actual_access:  write_only
        .address_space:  global
        .offset:         104
        .size:           8
        .value_kind:     global_buffer
      - .actual_access:  read_only
        .address_space:  global
        .offset:         112
        .size:           8
        .value_kind:     global_buffer
      - .offset:         120
        .size:           4
        .value_kind:     by_value
      - .address_space:  global
        .offset:         128
        .size:           8
        .value_kind:     global_buffer
      - .address_space:  global
        .offset:         136
        .size:           8
        .value_kind:     global_buffer
      - .offset:         144
        .size:           4
        .value_kind:     hidden_block_count_x
      - .offset:         148
        .size:           4
        .value_kind:     hidden_block_count_y
      - .offset:         152
        .size:           4
        .value_kind:     hidden_block_count_z
      - .offset:         156
        .size:           2
        .value_kind:     hidden_group_size_x
      - .offset:         158
        .size:           2
        .value_kind:     hidden_group_size_y
      - .offset:         160
        .size:           2
        .value_kind:     hidden_group_size_z
      - .offset:         162
        .size:           2
        .value_kind:     hidden_remainder_x
      - .offset:         164
        .size:           2
        .value_kind:     hidden_remainder_y
      - .offset:         166
        .size:           2
        .value_kind:     hidden_remainder_z
      - .offset:         184
        .size:           8
        .value_kind:     hidden_global_offset_x
      - .offset:         192
        .size:           8
        .value_kind:     hidden_global_offset_y
      - .offset:         200
        .size:           8
        .value_kind:     hidden_global_offset_z
      - .offset:         208
        .size:           2
        .value_kind:     hidden_grid_dims
    .group_segment_fixed_size: 8192
    .kernarg_segment_align: 8
    .kernarg_segment_size: 400
    .language:       OpenCL C
    .language_version:
      - 2
      - 0
    .max_flat_workgroup_size: 256
    .name:           _Z39paged_attention_ll4mi_QKV_mfma16_kernelIDF16_hLN4vllm18Fp8KVCacheDataTypeE1EDF16_Li16ELi128ELi256ELb0ELi8EEvPKT_PKT0_S7_ifPKiS9_S9_iPKfiiiPfSC_PS2_PT2_iSB_SB_
    .private_segment_fixed_size: 0
    .sgpr_count:     54
    .sgpr_spill_count: 0
    .symbol:         _Z39paged_attention_ll4mi_QKV_mfma16_kernelIDF16_hLN4vllm18Fp8KVCacheDataTypeE1EDF16_Li16ELi128ELi256ELb0ELi8EEvPKT_PKT0_S7_ifPKiS9_S9_iPKfiiiPfSC_PS2_PT2_iSB_SB_.kd
    .uniform_work_group_size: 1
    .uses_dynamic_stack: false
    .vgpr_count:     90
    .vgpr_spill_count: 0
    .wavefront_size: 64
  - .agpr_count:     0
    .args:
      - .actual_access:  read_only
        .address_space:  global
        .offset:         0
        .size:           8
        .value_kind:     global_buffer
      - .actual_access:  read_only
        .address_space:  global
        .offset:         8
        .size:           8
        .value_kind:     global_buffer
      - .actual_access:  read_only
        .address_space:  global
        .offset:         16
        .size:           8
        .value_kind:     global_buffer
      - .offset:         24
        .size:           4
        .value_kind:     by_value
      - .offset:         28
        .size:           4
        .value_kind:     by_value
      - .actual_access:  read_only
        .address_space:  global
        .offset:         32
        .size:           8
        .value_kind:     global_buffer
      - .actual_access:  read_only
        .address_space:  global
        .offset:         40
        .size:           8
        .value_kind:     global_buffer
      - .actual_access:  read_only
        .address_space:  global
        .offset:         48
        .size:           8
        .value_kind:     global_buffer
      - .offset:         56
        .size:           4
        .value_kind:     by_value
      - .actual_access:  read_only
        .address_space:  global
        .offset:         64
        .size:           8
        .value_kind:     global_buffer
      - .offset:         72
        .size:           4
        .value_kind:     by_value
      - .offset:         76
        .size:           4
        .value_kind:     by_value
      - .offset:         80
        .size:           4
        .value_kind:     by_value
      - .actual_access:  write_only
        .address_space:  global
        .offset:         88
        .size:           8
        .value_kind:     global_buffer
      - .actual_access:  write_only
        .address_space:  global
        .offset:         96
        .size:           8
        .value_kind:     global_buffer
      - .actual_access:  write_only
        .address_space:  global
        .offset:         104
        .size:           8
        .value_kind:     global_buffer
      - .actual_access:  read_only
        .address_space:  global
        .offset:         112
        .size:           8
        .value_kind:     global_buffer
      - .offset:         120
        .size:           4
        .value_kind:     by_value
      - .address_space:  global
        .offset:         128
        .size:           8
        .value_kind:     global_buffer
      - .address_space:  global
        .offset:         136
        .size:           8
        .value_kind:     global_buffer
      - .offset:         144
        .size:           4
        .value_kind:     hidden_block_count_x
      - .offset:         148
        .size:           4
        .value_kind:     hidden_block_count_y
      - .offset:         152
        .size:           4
        .value_kind:     hidden_block_count_z
      - .offset:         156
        .size:           2
        .value_kind:     hidden_group_size_x
      - .offset:         158
        .size:           2
        .value_kind:     hidden_group_size_y
      - .offset:         160
        .size:           2
        .value_kind:     hidden_group_size_z
      - .offset:         162
        .size:           2
        .value_kind:     hidden_remainder_x
      - .offset:         164
        .size:           2
        .value_kind:     hidden_remainder_y
      - .offset:         166
        .size:           2
        .value_kind:     hidden_remainder_z
      - .offset:         184
        .size:           8
        .value_kind:     hidden_global_offset_x
      - .offset:         192
        .size:           8
        .value_kind:     hidden_global_offset_y
      - .offset:         200
        .size:           8
        .value_kind:     hidden_global_offset_z
      - .offset:         208
        .size:           2
        .value_kind:     hidden_grid_dims
    .group_segment_fixed_size: 8192
    .kernarg_segment_align: 8
    .kernarg_segment_size: 400
    .language:       OpenCL C
    .language_version:
      - 2
      - 0
    .max_flat_workgroup_size: 256
    .name:           _Z39paged_attention_ll4mi_QKV_mfma16_kernelIDF16_hLN4vllm18Fp8KVCacheDataTypeE1EDF16_Li16ELi128ELi256ELb0ELi9EEvPKT_PKT0_S7_ifPKiS9_S9_iPKfiiiPfSC_PS2_PT2_iSB_SB_
    .private_segment_fixed_size: 0
    .sgpr_count:     56
    .sgpr_spill_count: 0
    .symbol:         _Z39paged_attention_ll4mi_QKV_mfma16_kernelIDF16_hLN4vllm18Fp8KVCacheDataTypeE1EDF16_Li16ELi128ELi256ELb0ELi9EEvPKT_PKT0_S7_ifPKiS9_S9_iPKfiiiPfSC_PS2_PT2_iSB_SB_.kd
    .uniform_work_group_size: 1
    .uses_dynamic_stack: false
    .vgpr_count:     88
    .vgpr_spill_count: 0
    .wavefront_size: 64
  - .agpr_count:     0
    .args:
      - .actual_access:  read_only
        .address_space:  global
        .offset:         0
        .size:           8
        .value_kind:     global_buffer
      - .actual_access:  read_only
        .address_space:  global
        .offset:         8
        .size:           8
        .value_kind:     global_buffer
      - .actual_access:  read_only
        .address_space:  global
        .offset:         16
        .size:           8
        .value_kind:     global_buffer
      - .offset:         24
        .size:           4
        .value_kind:     by_value
      - .offset:         28
        .size:           4
        .value_kind:     by_value
      - .actual_access:  read_only
        .address_space:  global
        .offset:         32
        .size:           8
        .value_kind:     global_buffer
      - .actual_access:  read_only
        .address_space:  global
        .offset:         40
        .size:           8
        .value_kind:     global_buffer
      - .actual_access:  read_only
        .address_space:  global
        .offset:         48
        .size:           8
        .value_kind:     global_buffer
      - .offset:         56
        .size:           4
        .value_kind:     by_value
      - .actual_access:  read_only
        .address_space:  global
        .offset:         64
        .size:           8
        .value_kind:     global_buffer
      - .offset:         72
        .size:           4
        .value_kind:     by_value
      - .offset:         76
        .size:           4
        .value_kind:     by_value
      - .offset:         80
        .size:           4
        .value_kind:     by_value
      - .actual_access:  write_only
        .address_space:  global
        .offset:         88
        .size:           8
        .value_kind:     global_buffer
      - .actual_access:  write_only
        .address_space:  global
        .offset:         96
        .size:           8
        .value_kind:     global_buffer
      - .actual_access:  write_only
        .address_space:  global
        .offset:         104
        .size:           8
        .value_kind:     global_buffer
      - .actual_access:  read_only
        .address_space:  global
        .offset:         112
        .size:           8
        .value_kind:     global_buffer
      - .offset:         120
        .size:           4
        .value_kind:     by_value
      - .address_space:  global
        .offset:         128
        .size:           8
        .value_kind:     global_buffer
      - .address_space:  global
        .offset:         136
        .size:           8
        .value_kind:     global_buffer
      - .offset:         144
        .size:           4
        .value_kind:     hidden_block_count_x
      - .offset:         148
        .size:           4
        .value_kind:     hidden_block_count_y
      - .offset:         152
        .size:           4
        .value_kind:     hidden_block_count_z
      - .offset:         156
        .size:           2
        .value_kind:     hidden_group_size_x
      - .offset:         158
        .size:           2
        .value_kind:     hidden_group_size_y
      - .offset:         160
        .size:           2
        .value_kind:     hidden_group_size_z
      - .offset:         162
        .size:           2
        .value_kind:     hidden_remainder_x
      - .offset:         164
        .size:           2
        .value_kind:     hidden_remainder_y
      - .offset:         166
        .size:           2
        .value_kind:     hidden_remainder_z
      - .offset:         184
        .size:           8
        .value_kind:     hidden_global_offset_x
      - .offset:         192
        .size:           8
        .value_kind:     hidden_global_offset_y
      - .offset:         200
        .size:           8
        .value_kind:     hidden_global_offset_z
      - .offset:         208
        .size:           2
        .value_kind:     hidden_grid_dims
    .group_segment_fixed_size: 8192
    .kernarg_segment_align: 8
    .kernarg_segment_size: 400
    .language:       OpenCL C
    .language_version:
      - 2
      - 0
    .max_flat_workgroup_size: 256
    .name:           _Z39paged_attention_ll4mi_QKV_mfma16_kernelIDF16_hLN4vllm18Fp8KVCacheDataTypeE1EDF16_Li16ELi128ELi256ELb0ELi10EEvPKT_PKT0_S7_ifPKiS9_S9_iPKfiiiPfSC_PS2_PT2_iSB_SB_
    .private_segment_fixed_size: 0
    .sgpr_count:     56
    .sgpr_spill_count: 0
    .symbol:         _Z39paged_attention_ll4mi_QKV_mfma16_kernelIDF16_hLN4vllm18Fp8KVCacheDataTypeE1EDF16_Li16ELi128ELi256ELb0ELi10EEvPKT_PKT0_S7_ifPKiS9_S9_iPKfiiiPfSC_PS2_PT2_iSB_SB_.kd
    .uniform_work_group_size: 1
    .uses_dynamic_stack: false
    .vgpr_count:     88
    .vgpr_spill_count: 0
    .wavefront_size: 64
  - .agpr_count:     0
    .args:
      - .actual_access:  read_only
        .address_space:  global
        .offset:         0
        .size:           8
        .value_kind:     global_buffer
      - .actual_access:  read_only
        .address_space:  global
        .offset:         8
        .size:           8
        .value_kind:     global_buffer
      - .actual_access:  read_only
        .address_space:  global
        .offset:         16
        .size:           8
        .value_kind:     global_buffer
      - .offset:         24
        .size:           4
        .value_kind:     by_value
      - .offset:         28
        .size:           4
        .value_kind:     by_value
      - .actual_access:  read_only
        .address_space:  global
        .offset:         32
        .size:           8
        .value_kind:     global_buffer
      - .actual_access:  read_only
        .address_space:  global
        .offset:         40
        .size:           8
        .value_kind:     global_buffer
      - .actual_access:  read_only
        .address_space:  global
        .offset:         48
        .size:           8
        .value_kind:     global_buffer
      - .offset:         56
        .size:           4
        .value_kind:     by_value
      - .actual_access:  read_only
        .address_space:  global
        .offset:         64
        .size:           8
        .value_kind:     global_buffer
      - .offset:         72
        .size:           4
        .value_kind:     by_value
      - .offset:         76
        .size:           4
        .value_kind:     by_value
      - .offset:         80
        .size:           4
        .value_kind:     by_value
      - .actual_access:  write_only
        .address_space:  global
        .offset:         88
        .size:           8
        .value_kind:     global_buffer
      - .actual_access:  write_only
        .address_space:  global
        .offset:         96
        .size:           8
        .value_kind:     global_buffer
      - .actual_access:  write_only
        .address_space:  global
        .offset:         104
        .size:           8
        .value_kind:     global_buffer
      - .actual_access:  read_only
        .address_space:  global
        .offset:         112
        .size:           8
        .value_kind:     global_buffer
      - .offset:         120
        .size:           4
        .value_kind:     by_value
      - .address_space:  global
        .offset:         128
        .size:           8
        .value_kind:     global_buffer
      - .address_space:  global
        .offset:         136
        .size:           8
        .value_kind:     global_buffer
      - .offset:         144
        .size:           4
        .value_kind:     hidden_block_count_x
      - .offset:         148
        .size:           4
        .value_kind:     hidden_block_count_y
      - .offset:         152
        .size:           4
        .value_kind:     hidden_block_count_z
      - .offset:         156
        .size:           2
        .value_kind:     hidden_group_size_x
      - .offset:         158
        .size:           2
        .value_kind:     hidden_group_size_y
      - .offset:         160
        .size:           2
        .value_kind:     hidden_group_size_z
      - .offset:         162
        .size:           2
        .value_kind:     hidden_remainder_x
      - .offset:         164
        .size:           2
        .value_kind:     hidden_remainder_y
      - .offset:         166
        .size:           2
        .value_kind:     hidden_remainder_z
      - .offset:         184
        .size:           8
        .value_kind:     hidden_global_offset_x
      - .offset:         192
        .size:           8
        .value_kind:     hidden_global_offset_y
      - .offset:         200
        .size:           8
        .value_kind:     hidden_global_offset_z
      - .offset:         208
        .size:           2
        .value_kind:     hidden_grid_dims
    .group_segment_fixed_size: 8192
    .kernarg_segment_align: 8
    .kernarg_segment_size: 400
    .language:       OpenCL C
    .language_version:
      - 2
      - 0
    .max_flat_workgroup_size: 256
    .name:           _Z39paged_attention_ll4mi_QKV_mfma16_kernelIDF16_hLN4vllm18Fp8KVCacheDataTypeE1EDF16_Li16ELi128ELi256ELb0ELi11EEvPKT_PKT0_S7_ifPKiS9_S9_iPKfiiiPfSC_PS2_PT2_iSB_SB_
    .private_segment_fixed_size: 0
    .sgpr_count:     56
    .sgpr_spill_count: 0
    .symbol:         _Z39paged_attention_ll4mi_QKV_mfma16_kernelIDF16_hLN4vllm18Fp8KVCacheDataTypeE1EDF16_Li16ELi128ELi256ELb0ELi11EEvPKT_PKT0_S7_ifPKiS9_S9_iPKfiiiPfSC_PS2_PT2_iSB_SB_.kd
    .uniform_work_group_size: 1
    .uses_dynamic_stack: false
    .vgpr_count:     88
    .vgpr_spill_count: 0
    .wavefront_size: 64
  - .agpr_count:     0
    .args:
      - .actual_access:  read_only
        .address_space:  global
        .offset:         0
        .size:           8
        .value_kind:     global_buffer
      - .actual_access:  read_only
        .address_space:  global
        .offset:         8
        .size:           8
        .value_kind:     global_buffer
      - .actual_access:  read_only
        .address_space:  global
        .offset:         16
        .size:           8
        .value_kind:     global_buffer
      - .offset:         24
        .size:           4
        .value_kind:     by_value
      - .offset:         28
        .size:           4
        .value_kind:     by_value
      - .actual_access:  read_only
        .address_space:  global
        .offset:         32
        .size:           8
        .value_kind:     global_buffer
      - .actual_access:  read_only
        .address_space:  global
        .offset:         40
        .size:           8
        .value_kind:     global_buffer
      - .actual_access:  read_only
        .address_space:  global
        .offset:         48
        .size:           8
        .value_kind:     global_buffer
      - .offset:         56
        .size:           4
        .value_kind:     by_value
      - .actual_access:  read_only
        .address_space:  global
        .offset:         64
        .size:           8
        .value_kind:     global_buffer
      - .offset:         72
        .size:           4
        .value_kind:     by_value
      - .offset:         76
        .size:           4
        .value_kind:     by_value
      - .offset:         80
        .size:           4
        .value_kind:     by_value
      - .actual_access:  write_only
        .address_space:  global
        .offset:         88
        .size:           8
        .value_kind:     global_buffer
      - .actual_access:  write_only
        .address_space:  global
        .offset:         96
        .size:           8
        .value_kind:     global_buffer
      - .actual_access:  write_only
        .address_space:  global
        .offset:         104
        .size:           8
        .value_kind:     global_buffer
      - .actual_access:  read_only
        .address_space:  global
        .offset:         112
        .size:           8
        .value_kind:     global_buffer
      - .offset:         120
        .size:           4
        .value_kind:     by_value
      - .address_space:  global
        .offset:         128
        .size:           8
        .value_kind:     global_buffer
      - .address_space:  global
        .offset:         136
        .size:           8
        .value_kind:     global_buffer
      - .offset:         144
        .size:           4
        .value_kind:     hidden_block_count_x
      - .offset:         148
        .size:           4
        .value_kind:     hidden_block_count_y
      - .offset:         152
        .size:           4
        .value_kind:     hidden_block_count_z
      - .offset:         156
        .size:           2
        .value_kind:     hidden_group_size_x
      - .offset:         158
        .size:           2
        .value_kind:     hidden_group_size_y
      - .offset:         160
        .size:           2
        .value_kind:     hidden_group_size_z
      - .offset:         162
        .size:           2
        .value_kind:     hidden_remainder_x
      - .offset:         164
        .size:           2
        .value_kind:     hidden_remainder_y
      - .offset:         166
        .size:           2
        .value_kind:     hidden_remainder_z
      - .offset:         184
        .size:           8
        .value_kind:     hidden_global_offset_x
      - .offset:         192
        .size:           8
        .value_kind:     hidden_global_offset_y
      - .offset:         200
        .size:           8
        .value_kind:     hidden_global_offset_z
      - .offset:         208
        .size:           2
        .value_kind:     hidden_grid_dims
    .group_segment_fixed_size: 8192
    .kernarg_segment_align: 8
    .kernarg_segment_size: 400
    .language:       OpenCL C
    .language_version:
      - 2
      - 0
    .max_flat_workgroup_size: 256
    .name:           _Z39paged_attention_ll4mi_QKV_mfma16_kernelIDF16_hLN4vllm18Fp8KVCacheDataTypeE1EDF16_Li16ELi128ELi256ELb0ELi12EEvPKT_PKT0_S7_ifPKiS9_S9_iPKfiiiPfSC_PS2_PT2_iSB_SB_
    .private_segment_fixed_size: 0
    .sgpr_count:     56
    .sgpr_spill_count: 0
    .symbol:         _Z39paged_attention_ll4mi_QKV_mfma16_kernelIDF16_hLN4vllm18Fp8KVCacheDataTypeE1EDF16_Li16ELi128ELi256ELb0ELi12EEvPKT_PKT0_S7_ifPKiS9_S9_iPKfiiiPfSC_PS2_PT2_iSB_SB_.kd
    .uniform_work_group_size: 1
    .uses_dynamic_stack: false
    .vgpr_count:     88
    .vgpr_spill_count: 0
    .wavefront_size: 64
  - .agpr_count:     0
    .args:
      - .actual_access:  read_only
        .address_space:  global
        .offset:         0
        .size:           8
        .value_kind:     global_buffer
      - .actual_access:  read_only
        .address_space:  global
        .offset:         8
        .size:           8
        .value_kind:     global_buffer
      - .actual_access:  read_only
        .address_space:  global
        .offset:         16
        .size:           8
        .value_kind:     global_buffer
      - .offset:         24
        .size:           4
        .value_kind:     by_value
      - .offset:         28
        .size:           4
        .value_kind:     by_value
      - .actual_access:  read_only
        .address_space:  global
        .offset:         32
        .size:           8
        .value_kind:     global_buffer
      - .actual_access:  read_only
        .address_space:  global
        .offset:         40
        .size:           8
        .value_kind:     global_buffer
      - .actual_access:  read_only
        .address_space:  global
        .offset:         48
        .size:           8
        .value_kind:     global_buffer
      - .offset:         56
        .size:           4
        .value_kind:     by_value
      - .actual_access:  read_only
        .address_space:  global
        .offset:         64
        .size:           8
        .value_kind:     global_buffer
      - .offset:         72
        .size:           4
        .value_kind:     by_value
      - .offset:         76
        .size:           4
        .value_kind:     by_value
      - .offset:         80
        .size:           4
        .value_kind:     by_value
      - .actual_access:  write_only
        .address_space:  global
        .offset:         88
        .size:           8
        .value_kind:     global_buffer
      - .actual_access:  write_only
        .address_space:  global
        .offset:         96
        .size:           8
        .value_kind:     global_buffer
      - .actual_access:  write_only
        .address_space:  global
        .offset:         104
        .size:           8
        .value_kind:     global_buffer
      - .actual_access:  read_only
        .address_space:  global
        .offset:         112
        .size:           8
        .value_kind:     global_buffer
      - .offset:         120
        .size:           4
        .value_kind:     by_value
      - .address_space:  global
        .offset:         128
        .size:           8
        .value_kind:     global_buffer
      - .address_space:  global
        .offset:         136
        .size:           8
        .value_kind:     global_buffer
      - .offset:         144
        .size:           4
        .value_kind:     hidden_block_count_x
      - .offset:         148
        .size:           4
        .value_kind:     hidden_block_count_y
      - .offset:         152
        .size:           4
        .value_kind:     hidden_block_count_z
      - .offset:         156
        .size:           2
        .value_kind:     hidden_group_size_x
      - .offset:         158
        .size:           2
        .value_kind:     hidden_group_size_y
      - .offset:         160
        .size:           2
        .value_kind:     hidden_group_size_z
      - .offset:         162
        .size:           2
        .value_kind:     hidden_remainder_x
      - .offset:         164
        .size:           2
        .value_kind:     hidden_remainder_y
      - .offset:         166
        .size:           2
        .value_kind:     hidden_remainder_z
      - .offset:         184
        .size:           8
        .value_kind:     hidden_global_offset_x
      - .offset:         192
        .size:           8
        .value_kind:     hidden_global_offset_y
      - .offset:         200
        .size:           8
        .value_kind:     hidden_global_offset_z
      - .offset:         208
        .size:           2
        .value_kind:     hidden_grid_dims
    .group_segment_fixed_size: 8192
    .kernarg_segment_align: 8
    .kernarg_segment_size: 400
    .language:       OpenCL C
    .language_version:
      - 2
      - 0
    .max_flat_workgroup_size: 256
    .name:           _Z39paged_attention_ll4mi_QKV_mfma16_kernelIDF16_hLN4vllm18Fp8KVCacheDataTypeE1EDF16_Li16ELi128ELi256ELb0ELi13EEvPKT_PKT0_S7_ifPKiS9_S9_iPKfiiiPfSC_PS2_PT2_iSB_SB_
    .private_segment_fixed_size: 0
    .sgpr_count:     56
    .sgpr_spill_count: 0
    .symbol:         _Z39paged_attention_ll4mi_QKV_mfma16_kernelIDF16_hLN4vllm18Fp8KVCacheDataTypeE1EDF16_Li16ELi128ELi256ELb0ELi13EEvPKT_PKT0_S7_ifPKiS9_S9_iPKfiiiPfSC_PS2_PT2_iSB_SB_.kd
    .uniform_work_group_size: 1
    .uses_dynamic_stack: false
    .vgpr_count:     88
    .vgpr_spill_count: 0
    .wavefront_size: 64
  - .agpr_count:     0
    .args:
      - .actual_access:  read_only
        .address_space:  global
        .offset:         0
        .size:           8
        .value_kind:     global_buffer
      - .actual_access:  read_only
        .address_space:  global
        .offset:         8
        .size:           8
        .value_kind:     global_buffer
      - .actual_access:  read_only
        .address_space:  global
        .offset:         16
        .size:           8
        .value_kind:     global_buffer
      - .offset:         24
        .size:           4
        .value_kind:     by_value
      - .offset:         28
        .size:           4
        .value_kind:     by_value
      - .actual_access:  read_only
        .address_space:  global
        .offset:         32
        .size:           8
        .value_kind:     global_buffer
      - .actual_access:  read_only
        .address_space:  global
        .offset:         40
        .size:           8
        .value_kind:     global_buffer
      - .actual_access:  read_only
        .address_space:  global
        .offset:         48
        .size:           8
        .value_kind:     global_buffer
      - .offset:         56
        .size:           4
        .value_kind:     by_value
      - .actual_access:  read_only
        .address_space:  global
        .offset:         64
        .size:           8
        .value_kind:     global_buffer
      - .offset:         72
        .size:           4
        .value_kind:     by_value
      - .offset:         76
        .size:           4
        .value_kind:     by_value
      - .offset:         80
        .size:           4
        .value_kind:     by_value
      - .actual_access:  write_only
        .address_space:  global
        .offset:         88
        .size:           8
        .value_kind:     global_buffer
      - .actual_access:  write_only
        .address_space:  global
        .offset:         96
        .size:           8
        .value_kind:     global_buffer
      - .actual_access:  write_only
        .address_space:  global
        .offset:         104
        .size:           8
        .value_kind:     global_buffer
      - .actual_access:  read_only
        .address_space:  global
        .offset:         112
        .size:           8
        .value_kind:     global_buffer
      - .offset:         120
        .size:           4
        .value_kind:     by_value
      - .address_space:  global
        .offset:         128
        .size:           8
        .value_kind:     global_buffer
      - .address_space:  global
        .offset:         136
        .size:           8
        .value_kind:     global_buffer
      - .offset:         144
        .size:           4
        .value_kind:     hidden_block_count_x
      - .offset:         148
        .size:           4
        .value_kind:     hidden_block_count_y
      - .offset:         152
        .size:           4
        .value_kind:     hidden_block_count_z
      - .offset:         156
        .size:           2
        .value_kind:     hidden_group_size_x
      - .offset:         158
        .size:           2
        .value_kind:     hidden_group_size_y
      - .offset:         160
        .size:           2
        .value_kind:     hidden_group_size_z
      - .offset:         162
        .size:           2
        .value_kind:     hidden_remainder_x
      - .offset:         164
        .size:           2
        .value_kind:     hidden_remainder_y
      - .offset:         166
        .size:           2
        .value_kind:     hidden_remainder_z
      - .offset:         184
        .size:           8
        .value_kind:     hidden_global_offset_x
      - .offset:         192
        .size:           8
        .value_kind:     hidden_global_offset_y
      - .offset:         200
        .size:           8
        .value_kind:     hidden_global_offset_z
      - .offset:         208
        .size:           2
        .value_kind:     hidden_grid_dims
    .group_segment_fixed_size: 8192
    .kernarg_segment_align: 8
    .kernarg_segment_size: 400
    .language:       OpenCL C
    .language_version:
      - 2
      - 0
    .max_flat_workgroup_size: 256
    .name:           _Z39paged_attention_ll4mi_QKV_mfma16_kernelIDF16_hLN4vllm18Fp8KVCacheDataTypeE1EDF16_Li16ELi128ELi256ELb0ELi14EEvPKT_PKT0_S7_ifPKiS9_S9_iPKfiiiPfSC_PS2_PT2_iSB_SB_
    .private_segment_fixed_size: 0
    .sgpr_count:     56
    .sgpr_spill_count: 0
    .symbol:         _Z39paged_attention_ll4mi_QKV_mfma16_kernelIDF16_hLN4vllm18Fp8KVCacheDataTypeE1EDF16_Li16ELi128ELi256ELb0ELi14EEvPKT_PKT0_S7_ifPKiS9_S9_iPKfiiiPfSC_PS2_PT2_iSB_SB_.kd
    .uniform_work_group_size: 1
    .uses_dynamic_stack: false
    .vgpr_count:     88
    .vgpr_spill_count: 0
    .wavefront_size: 64
  - .agpr_count:     0
    .args:
      - .actual_access:  read_only
        .address_space:  global
        .offset:         0
        .size:           8
        .value_kind:     global_buffer
      - .actual_access:  read_only
        .address_space:  global
        .offset:         8
        .size:           8
        .value_kind:     global_buffer
      - .actual_access:  read_only
        .address_space:  global
        .offset:         16
        .size:           8
        .value_kind:     global_buffer
      - .offset:         24
        .size:           4
        .value_kind:     by_value
      - .offset:         28
        .size:           4
        .value_kind:     by_value
      - .actual_access:  read_only
        .address_space:  global
        .offset:         32
        .size:           8
        .value_kind:     global_buffer
      - .actual_access:  read_only
        .address_space:  global
        .offset:         40
        .size:           8
        .value_kind:     global_buffer
      - .actual_access:  read_only
        .address_space:  global
        .offset:         48
        .size:           8
        .value_kind:     global_buffer
      - .offset:         56
        .size:           4
        .value_kind:     by_value
      - .actual_access:  read_only
        .address_space:  global
        .offset:         64
        .size:           8
        .value_kind:     global_buffer
      - .offset:         72
        .size:           4
        .value_kind:     by_value
      - .offset:         76
        .size:           4
        .value_kind:     by_value
      - .offset:         80
        .size:           4
        .value_kind:     by_value
      - .actual_access:  write_only
        .address_space:  global
        .offset:         88
        .size:           8
        .value_kind:     global_buffer
      - .actual_access:  write_only
        .address_space:  global
        .offset:         96
        .size:           8
        .value_kind:     global_buffer
      - .actual_access:  write_only
        .address_space:  global
        .offset:         104
        .size:           8
        .value_kind:     global_buffer
      - .actual_access:  read_only
        .address_space:  global
        .offset:         112
        .size:           8
        .value_kind:     global_buffer
      - .offset:         120
        .size:           4
        .value_kind:     by_value
      - .address_space:  global
        .offset:         128
        .size:           8
        .value_kind:     global_buffer
      - .address_space:  global
        .offset:         136
        .size:           8
        .value_kind:     global_buffer
      - .offset:         144
        .size:           4
        .value_kind:     hidden_block_count_x
      - .offset:         148
        .size:           4
        .value_kind:     hidden_block_count_y
      - .offset:         152
        .size:           4
        .value_kind:     hidden_block_count_z
      - .offset:         156
        .size:           2
        .value_kind:     hidden_group_size_x
      - .offset:         158
        .size:           2
        .value_kind:     hidden_group_size_y
      - .offset:         160
        .size:           2
        .value_kind:     hidden_group_size_z
      - .offset:         162
        .size:           2
        .value_kind:     hidden_remainder_x
      - .offset:         164
        .size:           2
        .value_kind:     hidden_remainder_y
      - .offset:         166
        .size:           2
        .value_kind:     hidden_remainder_z
      - .offset:         184
        .size:           8
        .value_kind:     hidden_global_offset_x
      - .offset:         192
        .size:           8
        .value_kind:     hidden_global_offset_y
      - .offset:         200
        .size:           8
        .value_kind:     hidden_global_offset_z
      - .offset:         208
        .size:           2
        .value_kind:     hidden_grid_dims
    .group_segment_fixed_size: 8192
    .kernarg_segment_align: 8
    .kernarg_segment_size: 400
    .language:       OpenCL C
    .language_version:
      - 2
      - 0
    .max_flat_workgroup_size: 256
    .name:           _Z39paged_attention_ll4mi_QKV_mfma16_kernelIDF16_hLN4vllm18Fp8KVCacheDataTypeE1EDF16_Li16ELi128ELi256ELb0ELi15EEvPKT_PKT0_S7_ifPKiS9_S9_iPKfiiiPfSC_PS2_PT2_iSB_SB_
    .private_segment_fixed_size: 0
    .sgpr_count:     56
    .sgpr_spill_count: 0
    .symbol:         _Z39paged_attention_ll4mi_QKV_mfma16_kernelIDF16_hLN4vllm18Fp8KVCacheDataTypeE1EDF16_Li16ELi128ELi256ELb0ELi15EEvPKT_PKT0_S7_ifPKiS9_S9_iPKfiiiPfSC_PS2_PT2_iSB_SB_.kd
    .uniform_work_group_size: 1
    .uses_dynamic_stack: false
    .vgpr_count:     90
    .vgpr_spill_count: 0
    .wavefront_size: 64
  - .agpr_count:     0
    .args:
      - .actual_access:  read_only
        .address_space:  global
        .offset:         0
        .size:           8
        .value_kind:     global_buffer
      - .actual_access:  read_only
        .address_space:  global
        .offset:         8
        .size:           8
        .value_kind:     global_buffer
      - .actual_access:  read_only
        .address_space:  global
        .offset:         16
        .size:           8
        .value_kind:     global_buffer
      - .offset:         24
        .size:           4
        .value_kind:     by_value
      - .offset:         28
        .size:           4
        .value_kind:     by_value
      - .actual_access:  read_only
        .address_space:  global
        .offset:         32
        .size:           8
        .value_kind:     global_buffer
      - .actual_access:  read_only
        .address_space:  global
        .offset:         40
        .size:           8
        .value_kind:     global_buffer
      - .actual_access:  read_only
        .address_space:  global
        .offset:         48
        .size:           8
        .value_kind:     global_buffer
      - .offset:         56
        .size:           4
        .value_kind:     by_value
      - .actual_access:  read_only
        .address_space:  global
        .offset:         64
        .size:           8
        .value_kind:     global_buffer
      - .offset:         72
        .size:           4
        .value_kind:     by_value
      - .offset:         76
        .size:           4
        .value_kind:     by_value
      - .offset:         80
        .size:           4
        .value_kind:     by_value
      - .actual_access:  write_only
        .address_space:  global
        .offset:         88
        .size:           8
        .value_kind:     global_buffer
      - .actual_access:  write_only
        .address_space:  global
        .offset:         96
        .size:           8
        .value_kind:     global_buffer
      - .actual_access:  write_only
        .address_space:  global
        .offset:         104
        .size:           8
        .value_kind:     global_buffer
      - .actual_access:  read_only
        .address_space:  global
        .offset:         112
        .size:           8
        .value_kind:     global_buffer
      - .offset:         120
        .size:           4
        .value_kind:     by_value
      - .address_space:  global
        .offset:         128
        .size:           8
        .value_kind:     global_buffer
      - .address_space:  global
        .offset:         136
        .size:           8
        .value_kind:     global_buffer
      - .offset:         144
        .size:           4
        .value_kind:     hidden_block_count_x
      - .offset:         148
        .size:           4
        .value_kind:     hidden_block_count_y
      - .offset:         152
        .size:           4
        .value_kind:     hidden_block_count_z
      - .offset:         156
        .size:           2
        .value_kind:     hidden_group_size_x
      - .offset:         158
        .size:           2
        .value_kind:     hidden_group_size_y
      - .offset:         160
        .size:           2
        .value_kind:     hidden_group_size_z
      - .offset:         162
        .size:           2
        .value_kind:     hidden_remainder_x
      - .offset:         164
        .size:           2
        .value_kind:     hidden_remainder_y
      - .offset:         166
        .size:           2
        .value_kind:     hidden_remainder_z
      - .offset:         184
        .size:           8
        .value_kind:     hidden_global_offset_x
      - .offset:         192
        .size:           8
        .value_kind:     hidden_global_offset_y
      - .offset:         200
        .size:           8
        .value_kind:     hidden_global_offset_z
      - .offset:         208
        .size:           2
        .value_kind:     hidden_grid_dims
    .group_segment_fixed_size: 8192
    .kernarg_segment_align: 8
    .kernarg_segment_size: 400
    .language:       OpenCL C
    .language_version:
      - 2
      - 0
    .max_flat_workgroup_size: 256
    .name:           _Z39paged_attention_ll4mi_QKV_mfma16_kernelIDF16_hLN4vllm18Fp8KVCacheDataTypeE1EDF16_Li16ELi128ELi256ELb0ELi16EEvPKT_PKT0_S7_ifPKiS9_S9_iPKfiiiPfSC_PS2_PT2_iSB_SB_
    .private_segment_fixed_size: 0
    .sgpr_count:     52
    .sgpr_spill_count: 0
    .symbol:         _Z39paged_attention_ll4mi_QKV_mfma16_kernelIDF16_hLN4vllm18Fp8KVCacheDataTypeE1EDF16_Li16ELi128ELi256ELb0ELi16EEvPKT_PKT0_S7_ifPKiS9_S9_iPKfiiiPfSC_PS2_PT2_iSB_SB_.kd
    .uniform_work_group_size: 1
    .uses_dynamic_stack: false
    .vgpr_count:     92
    .vgpr_spill_count: 0
    .wavefront_size: 64
  - .agpr_count:     0
    .args:
      - .actual_access:  read_only
        .address_space:  global
        .offset:         0
        .size:           8
        .value_kind:     global_buffer
      - .actual_access:  read_only
        .address_space:  global
        .offset:         8
        .size:           8
        .value_kind:     global_buffer
      - .actual_access:  read_only
        .address_space:  global
        .offset:         16
        .size:           8
        .value_kind:     global_buffer
      - .offset:         24
        .size:           4
        .value_kind:     by_value
      - .offset:         28
        .size:           4
        .value_kind:     by_value
      - .actual_access:  read_only
        .address_space:  global
        .offset:         32
        .size:           8
        .value_kind:     global_buffer
      - .actual_access:  read_only
        .address_space:  global
        .offset:         40
        .size:           8
        .value_kind:     global_buffer
      - .actual_access:  read_only
        .address_space:  global
        .offset:         48
        .size:           8
        .value_kind:     global_buffer
      - .offset:         56
        .size:           4
        .value_kind:     by_value
      - .actual_access:  read_only
        .address_space:  global
        .offset:         64
        .size:           8
        .value_kind:     global_buffer
      - .offset:         72
        .size:           4
        .value_kind:     by_value
      - .offset:         76
        .size:           4
        .value_kind:     by_value
      - .offset:         80
        .size:           4
        .value_kind:     by_value
      - .actual_access:  write_only
        .address_space:  global
        .offset:         88
        .size:           8
        .value_kind:     global_buffer
      - .actual_access:  write_only
        .address_space:  global
        .offset:         96
        .size:           8
        .value_kind:     global_buffer
      - .actual_access:  write_only
        .address_space:  global
        .offset:         104
        .size:           8
        .value_kind:     global_buffer
      - .actual_access:  read_only
        .address_space:  global
        .offset:         112
        .size:           8
        .value_kind:     global_buffer
      - .offset:         120
        .size:           4
        .value_kind:     by_value
      - .address_space:  global
        .offset:         128
        .size:           8
        .value_kind:     global_buffer
      - .address_space:  global
        .offset:         136
        .size:           8
        .value_kind:     global_buffer
      - .offset:         144
        .size:           4
        .value_kind:     hidden_block_count_x
      - .offset:         148
        .size:           4
        .value_kind:     hidden_block_count_y
      - .offset:         152
        .size:           4
        .value_kind:     hidden_block_count_z
      - .offset:         156
        .size:           2
        .value_kind:     hidden_group_size_x
      - .offset:         158
        .size:           2
        .value_kind:     hidden_group_size_y
      - .offset:         160
        .size:           2
        .value_kind:     hidden_group_size_z
      - .offset:         162
        .size:           2
        .value_kind:     hidden_remainder_x
      - .offset:         164
        .size:           2
        .value_kind:     hidden_remainder_y
      - .offset:         166
        .size:           2
        .value_kind:     hidden_remainder_z
      - .offset:         184
        .size:           8
        .value_kind:     hidden_global_offset_x
      - .offset:         192
        .size:           8
        .value_kind:     hidden_global_offset_y
      - .offset:         200
        .size:           8
        .value_kind:     hidden_global_offset_z
      - .offset:         208
        .size:           2
        .value_kind:     hidden_grid_dims
    .group_segment_fixed_size: 8192
    .kernarg_segment_align: 8
    .kernarg_segment_size: 400
    .language:       OpenCL C
    .language_version:
      - 2
      - 0
    .max_flat_workgroup_size: 256
    .name:           _Z39paged_attention_ll4mi_QKV_mfma16_kernelIDF16_hLN4vllm18Fp8KVCacheDataTypeE1EDF16_Li16ELi128ELi256ELb0ELi1EEvPKT_PKT0_S7_ifPKiS9_S9_iPKfiiiPfSC_PS2_PT2_iSB_SB_
    .private_segment_fixed_size: 0
    .sgpr_count:     54
    .sgpr_spill_count: 0
    .symbol:         _Z39paged_attention_ll4mi_QKV_mfma16_kernelIDF16_hLN4vllm18Fp8KVCacheDataTypeE1EDF16_Li16ELi128ELi256ELb0ELi1EEvPKT_PKT0_S7_ifPKiS9_S9_iPKfiiiPfSC_PS2_PT2_iSB_SB_.kd
    .uniform_work_group_size: 1
    .uses_dynamic_stack: false
    .vgpr_count:     84
    .vgpr_spill_count: 0
    .wavefront_size: 64
  - .agpr_count:     0
    .args:
      - .actual_access:  read_only
        .address_space:  global
        .offset:         0
        .size:           8
        .value_kind:     global_buffer
      - .actual_access:  read_only
        .address_space:  global
        .offset:         8
        .size:           8
        .value_kind:     global_buffer
      - .actual_access:  read_only
        .address_space:  global
        .offset:         16
        .size:           8
        .value_kind:     global_buffer
      - .offset:         24
        .size:           4
        .value_kind:     by_value
      - .offset:         28
        .size:           4
        .value_kind:     by_value
      - .actual_access:  read_only
        .address_space:  global
        .offset:         32
        .size:           8
        .value_kind:     global_buffer
      - .actual_access:  read_only
        .address_space:  global
        .offset:         40
        .size:           8
        .value_kind:     global_buffer
      - .actual_access:  read_only
        .address_space:  global
        .offset:         48
        .size:           8
        .value_kind:     global_buffer
      - .offset:         56
        .size:           4
        .value_kind:     by_value
      - .actual_access:  read_only
        .address_space:  global
        .offset:         64
        .size:           8
        .value_kind:     global_buffer
      - .offset:         72
        .size:           4
        .value_kind:     by_value
      - .offset:         76
        .size:           4
        .value_kind:     by_value
      - .offset:         80
        .size:           4
        .value_kind:     by_value
      - .actual_access:  write_only
        .address_space:  global
        .offset:         88
        .size:           8
        .value_kind:     global_buffer
      - .actual_access:  write_only
        .address_space:  global
        .offset:         96
        .size:           8
        .value_kind:     global_buffer
      - .actual_access:  write_only
        .address_space:  global
        .offset:         104
        .size:           8
        .value_kind:     global_buffer
      - .actual_access:  read_only
        .address_space:  global
        .offset:         112
        .size:           8
        .value_kind:     global_buffer
      - .offset:         120
        .size:           4
        .value_kind:     by_value
      - .address_space:  global
        .offset:         128
        .size:           8
        .value_kind:     global_buffer
      - .address_space:  global
        .offset:         136
        .size:           8
        .value_kind:     global_buffer
      - .offset:         144
        .size:           4
        .value_kind:     hidden_block_count_x
      - .offset:         148
        .size:           4
        .value_kind:     hidden_block_count_y
      - .offset:         152
        .size:           4
        .value_kind:     hidden_block_count_z
      - .offset:         156
        .size:           2
        .value_kind:     hidden_group_size_x
      - .offset:         158
        .size:           2
        .value_kind:     hidden_group_size_y
      - .offset:         160
        .size:           2
        .value_kind:     hidden_group_size_z
      - .offset:         162
        .size:           2
        .value_kind:     hidden_remainder_x
      - .offset:         164
        .size:           2
        .value_kind:     hidden_remainder_y
      - .offset:         166
        .size:           2
        .value_kind:     hidden_remainder_z
      - .offset:         184
        .size:           8
        .value_kind:     hidden_global_offset_x
      - .offset:         192
        .size:           8
        .value_kind:     hidden_global_offset_y
      - .offset:         200
        .size:           8
        .value_kind:     hidden_global_offset_z
      - .offset:         208
        .size:           2
        .value_kind:     hidden_grid_dims
    .group_segment_fixed_size: 8192
    .kernarg_segment_align: 8
    .kernarg_segment_size: 400
    .language:       OpenCL C
    .language_version:
      - 2
      - 0
    .max_flat_workgroup_size: 256
    .name:           _Z39paged_attention_ll4mi_QKV_mfma16_kernelIDF16_hLN4vllm18Fp8KVCacheDataTypeE1EDF16_Li16ELi128ELi256ELb0ELi2EEvPKT_PKT0_S7_ifPKiS9_S9_iPKfiiiPfSC_PS2_PT2_iSB_SB_
    .private_segment_fixed_size: 0
    .sgpr_count:     54
    .sgpr_spill_count: 0
    .symbol:         _Z39paged_attention_ll4mi_QKV_mfma16_kernelIDF16_hLN4vllm18Fp8KVCacheDataTypeE1EDF16_Li16ELi128ELi256ELb0ELi2EEvPKT_PKT0_S7_ifPKiS9_S9_iPKfiiiPfSC_PS2_PT2_iSB_SB_.kd
    .uniform_work_group_size: 1
    .uses_dynamic_stack: false
    .vgpr_count:     90
    .vgpr_spill_count: 0
    .wavefront_size: 64
  - .agpr_count:     0
    .args:
      - .actual_access:  read_only
        .address_space:  global
        .offset:         0
        .size:           8
        .value_kind:     global_buffer
      - .actual_access:  read_only
        .address_space:  global
        .offset:         8
        .size:           8
        .value_kind:     global_buffer
      - .actual_access:  read_only
        .address_space:  global
        .offset:         16
        .size:           8
        .value_kind:     global_buffer
      - .offset:         24
        .size:           4
        .value_kind:     by_value
      - .offset:         28
        .size:           4
        .value_kind:     by_value
      - .actual_access:  read_only
        .address_space:  global
        .offset:         32
        .size:           8
        .value_kind:     global_buffer
      - .actual_access:  read_only
        .address_space:  global
        .offset:         40
        .size:           8
        .value_kind:     global_buffer
      - .actual_access:  read_only
        .address_space:  global
        .offset:         48
        .size:           8
        .value_kind:     global_buffer
      - .offset:         56
        .size:           4
        .value_kind:     by_value
      - .actual_access:  read_only
        .address_space:  global
        .offset:         64
        .size:           8
        .value_kind:     global_buffer
      - .offset:         72
        .size:           4
        .value_kind:     by_value
      - .offset:         76
        .size:           4
        .value_kind:     by_value
      - .offset:         80
        .size:           4
        .value_kind:     by_value
      - .actual_access:  write_only
        .address_space:  global
        .offset:         88
        .size:           8
        .value_kind:     global_buffer
      - .actual_access:  write_only
        .address_space:  global
        .offset:         96
        .size:           8
        .value_kind:     global_buffer
      - .actual_access:  write_only
        .address_space:  global
        .offset:         104
        .size:           8
        .value_kind:     global_buffer
      - .actual_access:  read_only
        .address_space:  global
        .offset:         112
        .size:           8
        .value_kind:     global_buffer
      - .offset:         120
        .size:           4
        .value_kind:     by_value
      - .address_space:  global
        .offset:         128
        .size:           8
        .value_kind:     global_buffer
      - .address_space:  global
        .offset:         136
        .size:           8
        .value_kind:     global_buffer
      - .offset:         144
        .size:           4
        .value_kind:     hidden_block_count_x
      - .offset:         148
        .size:           4
        .value_kind:     hidden_block_count_y
      - .offset:         152
        .size:           4
        .value_kind:     hidden_block_count_z
      - .offset:         156
        .size:           2
        .value_kind:     hidden_group_size_x
      - .offset:         158
        .size:           2
        .value_kind:     hidden_group_size_y
      - .offset:         160
        .size:           2
        .value_kind:     hidden_group_size_z
      - .offset:         162
        .size:           2
        .value_kind:     hidden_remainder_x
      - .offset:         164
        .size:           2
        .value_kind:     hidden_remainder_y
      - .offset:         166
        .size:           2
        .value_kind:     hidden_remainder_z
      - .offset:         184
        .size:           8
        .value_kind:     hidden_global_offset_x
      - .offset:         192
        .size:           8
        .value_kind:     hidden_global_offset_y
      - .offset:         200
        .size:           8
        .value_kind:     hidden_global_offset_z
      - .offset:         208
        .size:           2
        .value_kind:     hidden_grid_dims
    .group_segment_fixed_size: 8192
    .kernarg_segment_align: 8
    .kernarg_segment_size: 400
    .language:       OpenCL C
    .language_version:
      - 2
      - 0
    .max_flat_workgroup_size: 256
    .name:           _Z39paged_attention_ll4mi_QKV_mfma16_kernelIDF16_hLN4vllm18Fp8KVCacheDataTypeE1EDF16_Li16ELi128ELi256ELb0ELi3EEvPKT_PKT0_S7_ifPKiS9_S9_iPKfiiiPfSC_PS2_PT2_iSB_SB_
    .private_segment_fixed_size: 0
    .sgpr_count:     56
    .sgpr_spill_count: 0
    .symbol:         _Z39paged_attention_ll4mi_QKV_mfma16_kernelIDF16_hLN4vllm18Fp8KVCacheDataTypeE1EDF16_Li16ELi128ELi256ELb0ELi3EEvPKT_PKT0_S7_ifPKiS9_S9_iPKfiiiPfSC_PS2_PT2_iSB_SB_.kd
    .uniform_work_group_size: 1
    .uses_dynamic_stack: false
    .vgpr_count:     88
    .vgpr_spill_count: 0
    .wavefront_size: 64
  - .agpr_count:     0
    .args:
      - .actual_access:  read_only
        .address_space:  global
        .offset:         0
        .size:           8
        .value_kind:     global_buffer
      - .actual_access:  read_only
        .address_space:  global
        .offset:         8
        .size:           8
        .value_kind:     global_buffer
      - .actual_access:  read_only
        .address_space:  global
        .offset:         16
        .size:           8
        .value_kind:     global_buffer
      - .offset:         24
        .size:           4
        .value_kind:     by_value
      - .offset:         28
        .size:           4
        .value_kind:     by_value
      - .actual_access:  read_only
        .address_space:  global
        .offset:         32
        .size:           8
        .value_kind:     global_buffer
      - .actual_access:  read_only
        .address_space:  global
        .offset:         40
        .size:           8
        .value_kind:     global_buffer
      - .actual_access:  read_only
        .address_space:  global
        .offset:         48
        .size:           8
        .value_kind:     global_buffer
      - .offset:         56
        .size:           4
        .value_kind:     by_value
      - .actual_access:  read_only
        .address_space:  global
        .offset:         64
        .size:           8
        .value_kind:     global_buffer
      - .offset:         72
        .size:           4
        .value_kind:     by_value
      - .offset:         76
        .size:           4
        .value_kind:     by_value
      - .offset:         80
        .size:           4
        .value_kind:     by_value
      - .actual_access:  write_only
        .address_space:  global
        .offset:         88
        .size:           8
        .value_kind:     global_buffer
      - .actual_access:  write_only
        .address_space:  global
        .offset:         96
        .size:           8
        .value_kind:     global_buffer
      - .actual_access:  write_only
        .address_space:  global
        .offset:         104
        .size:           8
        .value_kind:     global_buffer
      - .actual_access:  read_only
        .address_space:  global
        .offset:         112
        .size:           8
        .value_kind:     global_buffer
      - .offset:         120
        .size:           4
        .value_kind:     by_value
      - .address_space:  global
        .offset:         128
        .size:           8
        .value_kind:     global_buffer
      - .address_space:  global
        .offset:         136
        .size:           8
        .value_kind:     global_buffer
      - .offset:         144
        .size:           4
        .value_kind:     hidden_block_count_x
      - .offset:         148
        .size:           4
        .value_kind:     hidden_block_count_y
      - .offset:         152
        .size:           4
        .value_kind:     hidden_block_count_z
      - .offset:         156
        .size:           2
        .value_kind:     hidden_group_size_x
      - .offset:         158
        .size:           2
        .value_kind:     hidden_group_size_y
      - .offset:         160
        .size:           2
        .value_kind:     hidden_group_size_z
      - .offset:         162
        .size:           2
        .value_kind:     hidden_remainder_x
      - .offset:         164
        .size:           2
        .value_kind:     hidden_remainder_y
      - .offset:         166
        .size:           2
        .value_kind:     hidden_remainder_z
      - .offset:         184
        .size:           8
        .value_kind:     hidden_global_offset_x
      - .offset:         192
        .size:           8
        .value_kind:     hidden_global_offset_y
      - .offset:         200
        .size:           8
        .value_kind:     hidden_global_offset_z
      - .offset:         208
        .size:           2
        .value_kind:     hidden_grid_dims
    .group_segment_fixed_size: 8192
    .kernarg_segment_align: 8
    .kernarg_segment_size: 400
    .language:       OpenCL C
    .language_version:
      - 2
      - 0
    .max_flat_workgroup_size: 256
    .name:           _Z39paged_attention_ll4mi_QKV_mfma16_kernelIDF16_hLN4vllm18Fp8KVCacheDataTypeE1EDF16_Li16ELi128ELi256ELb0ELi4EEvPKT_PKT0_S7_ifPKiS9_S9_iPKfiiiPfSC_PS2_PT2_iSB_SB_
    .private_segment_fixed_size: 0
    .sgpr_count:     55
    .sgpr_spill_count: 0
    .symbol:         _Z39paged_attention_ll4mi_QKV_mfma16_kernelIDF16_hLN4vllm18Fp8KVCacheDataTypeE1EDF16_Li16ELi128ELi256ELb0ELi4EEvPKT_PKT0_S7_ifPKiS9_S9_iPKfiiiPfSC_PS2_PT2_iSB_SB_.kd
    .uniform_work_group_size: 1
    .uses_dynamic_stack: false
    .vgpr_count:     92
    .vgpr_spill_count: 0
    .wavefront_size: 64
  - .agpr_count:     4
    .args:
      - .actual_access:  read_only
        .address_space:  global
        .offset:         0
        .size:           8
        .value_kind:     global_buffer
      - .actual_access:  read_only
        .address_space:  global
        .offset:         8
        .size:           8
        .value_kind:     global_buffer
      - .actual_access:  read_only
        .address_space:  global
        .offset:         16
        .size:           8
        .value_kind:     global_buffer
      - .offset:         24
        .size:           4
        .value_kind:     by_value
      - .offset:         28
        .size:           4
        .value_kind:     by_value
      - .actual_access:  read_only
        .address_space:  global
        .offset:         32
        .size:           8
        .value_kind:     global_buffer
      - .actual_access:  read_only
        .address_space:  global
        .offset:         40
        .size:           8
        .value_kind:     global_buffer
      - .actual_access:  read_only
        .address_space:  global
        .offset:         48
        .size:           8
        .value_kind:     global_buffer
      - .offset:         56
        .size:           4
        .value_kind:     by_value
      - .actual_access:  read_only
        .address_space:  global
        .offset:         64
        .size:           8
        .value_kind:     global_buffer
      - .offset:         72
        .size:           4
        .value_kind:     by_value
      - .offset:         76
        .size:           4
        .value_kind:     by_value
      - .offset:         80
        .size:           4
        .value_kind:     by_value
      - .actual_access:  write_only
        .address_space:  global
        .offset:         88
        .size:           8
        .value_kind:     global_buffer
      - .actual_access:  write_only
        .address_space:  global
        .offset:         96
        .size:           8
        .value_kind:     global_buffer
      - .actual_access:  write_only
        .address_space:  global
        .offset:         104
        .size:           8
        .value_kind:     global_buffer
      - .actual_access:  read_only
        .address_space:  global
        .offset:         112
        .size:           8
        .value_kind:     global_buffer
      - .offset:         120
        .size:           4
        .value_kind:     by_value
      - .address_space:  global
        .offset:         128
        .size:           8
        .value_kind:     global_buffer
      - .address_space:  global
        .offset:         136
        .size:           8
        .value_kind:     global_buffer
      - .offset:         144
        .size:           4
        .value_kind:     hidden_block_count_x
      - .offset:         148
        .size:           4
        .value_kind:     hidden_block_count_y
      - .offset:         152
        .size:           4
        .value_kind:     hidden_block_count_z
      - .offset:         156
        .size:           2
        .value_kind:     hidden_group_size_x
      - .offset:         158
        .size:           2
        .value_kind:     hidden_group_size_y
      - .offset:         160
        .size:           2
        .value_kind:     hidden_group_size_z
      - .offset:         162
        .size:           2
        .value_kind:     hidden_remainder_x
      - .offset:         164
        .size:           2
        .value_kind:     hidden_remainder_y
      - .offset:         166
        .size:           2
        .value_kind:     hidden_remainder_z
      - .offset:         184
        .size:           8
        .value_kind:     hidden_global_offset_x
      - .offset:         192
        .size:           8
        .value_kind:     hidden_global_offset_y
      - .offset:         200
        .size:           8
        .value_kind:     hidden_global_offset_z
      - .offset:         208
        .size:           2
        .value_kind:     hidden_grid_dims
    .group_segment_fixed_size: 5280
    .kernarg_segment_align: 8
    .kernarg_segment_size: 400
    .language:       OpenCL C
    .language_version:
      - 2
      - 0
    .max_flat_workgroup_size: 256
    .name:           _Z38paged_attention_ll4mi_QKV_mfma4_kernelIDF16_hLN4vllm18Fp8KVCacheDataTypeE1EhLi32ELi128ELi256ELb1ELi1EEvPKT_PKT0_S7_ifPKiS9_S9_iPKfiiiPfSC_PS2_PT2_iSB_SB_
    .private_segment_fixed_size: 0
    .sgpr_count:     48
    .sgpr_spill_count: 0
    .symbol:         _Z38paged_attention_ll4mi_QKV_mfma4_kernelIDF16_hLN4vllm18Fp8KVCacheDataTypeE1EhLi32ELi128ELi256ELb1ELi1EEvPKT_PKT0_S7_ifPKiS9_S9_iPKfiiiPfSC_PS2_PT2_iSB_SB_.kd
    .uniform_work_group_size: 1
    .uses_dynamic_stack: false
    .vgpr_count:     60
    .vgpr_spill_count: 0
    .wavefront_size: 64
  - .agpr_count:     4
    .args:
      - .actual_access:  read_only
        .address_space:  global
        .offset:         0
        .size:           8
        .value_kind:     global_buffer
      - .actual_access:  read_only
        .address_space:  global
        .offset:         8
        .size:           8
        .value_kind:     global_buffer
      - .actual_access:  read_only
        .address_space:  global
        .offset:         16
        .size:           8
        .value_kind:     global_buffer
      - .offset:         24
        .size:           4
        .value_kind:     by_value
      - .offset:         28
        .size:           4
        .value_kind:     by_value
      - .actual_access:  read_only
        .address_space:  global
        .offset:         32
        .size:           8
        .value_kind:     global_buffer
      - .actual_access:  read_only
        .address_space:  global
        .offset:         40
        .size:           8
        .value_kind:     global_buffer
      - .actual_access:  read_only
        .address_space:  global
        .offset:         48
        .size:           8
        .value_kind:     global_buffer
      - .offset:         56
        .size:           4
        .value_kind:     by_value
      - .actual_access:  read_only
        .address_space:  global
        .offset:         64
        .size:           8
        .value_kind:     global_buffer
      - .offset:         72
        .size:           4
        .value_kind:     by_value
      - .offset:         76
        .size:           4
        .value_kind:     by_value
      - .offset:         80
        .size:           4
        .value_kind:     by_value
      - .actual_access:  write_only
        .address_space:  global
        .offset:         88
        .size:           8
        .value_kind:     global_buffer
      - .actual_access:  write_only
        .address_space:  global
        .offset:         96
        .size:           8
        .value_kind:     global_buffer
      - .actual_access:  write_only
        .address_space:  global
        .offset:         104
        .size:           8
        .value_kind:     global_buffer
      - .actual_access:  read_only
        .address_space:  global
        .offset:         112
        .size:           8
        .value_kind:     global_buffer
      - .offset:         120
        .size:           4
        .value_kind:     by_value
      - .address_space:  global
        .offset:         128
        .size:           8
        .value_kind:     global_buffer
      - .address_space:  global
        .offset:         136
        .size:           8
        .value_kind:     global_buffer
      - .offset:         144
        .size:           4
        .value_kind:     hidden_block_count_x
      - .offset:         148
        .size:           4
        .value_kind:     hidden_block_count_y
      - .offset:         152
        .size:           4
        .value_kind:     hidden_block_count_z
      - .offset:         156
        .size:           2
        .value_kind:     hidden_group_size_x
      - .offset:         158
        .size:           2
        .value_kind:     hidden_group_size_y
      - .offset:         160
        .size:           2
        .value_kind:     hidden_group_size_z
      - .offset:         162
        .size:           2
        .value_kind:     hidden_remainder_x
      - .offset:         164
        .size:           2
        .value_kind:     hidden_remainder_y
      - .offset:         166
        .size:           2
        .value_kind:     hidden_remainder_z
      - .offset:         184
        .size:           8
        .value_kind:     hidden_global_offset_x
      - .offset:         192
        .size:           8
        .value_kind:     hidden_global_offset_y
      - .offset:         200
        .size:           8
        .value_kind:     hidden_global_offset_z
      - .offset:         208
        .size:           2
        .value_kind:     hidden_grid_dims
    .group_segment_fixed_size: 5280
    .kernarg_segment_align: 8
    .kernarg_segment_size: 400
    .language:       OpenCL C
    .language_version:
      - 2
      - 0
    .max_flat_workgroup_size: 256
    .name:           _Z38paged_attention_ll4mi_QKV_mfma4_kernelIDF16_hLN4vllm18Fp8KVCacheDataTypeE1EhLi32ELi128ELi256ELb1ELi2EEvPKT_PKT0_S7_ifPKiS9_S9_iPKfiiiPfSC_PS2_PT2_iSB_SB_
    .private_segment_fixed_size: 0
    .sgpr_count:     50
    .sgpr_spill_count: 0
    .symbol:         _Z38paged_attention_ll4mi_QKV_mfma4_kernelIDF16_hLN4vllm18Fp8KVCacheDataTypeE1EhLi32ELi128ELi256ELb1ELi2EEvPKT_PKT0_S7_ifPKiS9_S9_iPKfiiiPfSC_PS2_PT2_iSB_SB_.kd
    .uniform_work_group_size: 1
    .uses_dynamic_stack: false
    .vgpr_count:     60
    .vgpr_spill_count: 0
    .wavefront_size: 64
  - .agpr_count:     4
    .args:
      - .actual_access:  read_only
        .address_space:  global
        .offset:         0
        .size:           8
        .value_kind:     global_buffer
      - .actual_access:  read_only
        .address_space:  global
        .offset:         8
        .size:           8
        .value_kind:     global_buffer
      - .actual_access:  read_only
        .address_space:  global
        .offset:         16
        .size:           8
        .value_kind:     global_buffer
      - .offset:         24
        .size:           4
        .value_kind:     by_value
      - .offset:         28
        .size:           4
        .value_kind:     by_value
      - .actual_access:  read_only
        .address_space:  global
        .offset:         32
        .size:           8
        .value_kind:     global_buffer
      - .actual_access:  read_only
        .address_space:  global
        .offset:         40
        .size:           8
        .value_kind:     global_buffer
      - .actual_access:  read_only
        .address_space:  global
        .offset:         48
        .size:           8
        .value_kind:     global_buffer
      - .offset:         56
        .size:           4
        .value_kind:     by_value
      - .actual_access:  read_only
        .address_space:  global
        .offset:         64
        .size:           8
        .value_kind:     global_buffer
      - .offset:         72
        .size:           4
        .value_kind:     by_value
      - .offset:         76
        .size:           4
        .value_kind:     by_value
      - .offset:         80
        .size:           4
        .value_kind:     by_value
      - .actual_access:  write_only
        .address_space:  global
        .offset:         88
        .size:           8
        .value_kind:     global_buffer
      - .actual_access:  write_only
        .address_space:  global
        .offset:         96
        .size:           8
        .value_kind:     global_buffer
      - .actual_access:  write_only
        .address_space:  global
        .offset:         104
        .size:           8
        .value_kind:     global_buffer
      - .actual_access:  read_only
        .address_space:  global
        .offset:         112
        .size:           8
        .value_kind:     global_buffer
      - .offset:         120
        .size:           4
        .value_kind:     by_value
      - .address_space:  global
        .offset:         128
        .size:           8
        .value_kind:     global_buffer
      - .address_space:  global
        .offset:         136
        .size:           8
        .value_kind:     global_buffer
      - .offset:         144
        .size:           4
        .value_kind:     hidden_block_count_x
      - .offset:         148
        .size:           4
        .value_kind:     hidden_block_count_y
      - .offset:         152
        .size:           4
        .value_kind:     hidden_block_count_z
      - .offset:         156
        .size:           2
        .value_kind:     hidden_group_size_x
      - .offset:         158
        .size:           2
        .value_kind:     hidden_group_size_y
      - .offset:         160
        .size:           2
        .value_kind:     hidden_group_size_z
      - .offset:         162
        .size:           2
        .value_kind:     hidden_remainder_x
      - .offset:         164
        .size:           2
        .value_kind:     hidden_remainder_y
      - .offset:         166
        .size:           2
        .value_kind:     hidden_remainder_z
      - .offset:         184
        .size:           8
        .value_kind:     hidden_global_offset_x
      - .offset:         192
        .size:           8
        .value_kind:     hidden_global_offset_y
      - .offset:         200
        .size:           8
        .value_kind:     hidden_global_offset_z
      - .offset:         208
        .size:           2
        .value_kind:     hidden_grid_dims
    .group_segment_fixed_size: 5280
    .kernarg_segment_align: 8
    .kernarg_segment_size: 400
    .language:       OpenCL C
    .language_version:
      - 2
      - 0
    .max_flat_workgroup_size: 256
    .name:           _Z38paged_attention_ll4mi_QKV_mfma4_kernelIDF16_hLN4vllm18Fp8KVCacheDataTypeE1EhLi32ELi128ELi256ELb1ELi3EEvPKT_PKT0_S7_ifPKiS9_S9_iPKfiiiPfSC_PS2_PT2_iSB_SB_
    .private_segment_fixed_size: 0
    .sgpr_count:     50
    .sgpr_spill_count: 0
    .symbol:         _Z38paged_attention_ll4mi_QKV_mfma4_kernelIDF16_hLN4vllm18Fp8KVCacheDataTypeE1EhLi32ELi128ELi256ELb1ELi3EEvPKT_PKT0_S7_ifPKiS9_S9_iPKfiiiPfSC_PS2_PT2_iSB_SB_.kd
    .uniform_work_group_size: 1
    .uses_dynamic_stack: false
    .vgpr_count:     60
    .vgpr_spill_count: 0
    .wavefront_size: 64
  - .agpr_count:     4
    .args:
      - .actual_access:  read_only
        .address_space:  global
        .offset:         0
        .size:           8
        .value_kind:     global_buffer
      - .actual_access:  read_only
        .address_space:  global
        .offset:         8
        .size:           8
        .value_kind:     global_buffer
      - .actual_access:  read_only
        .address_space:  global
        .offset:         16
        .size:           8
        .value_kind:     global_buffer
      - .offset:         24
        .size:           4
        .value_kind:     by_value
      - .offset:         28
        .size:           4
        .value_kind:     by_value
      - .actual_access:  read_only
        .address_space:  global
        .offset:         32
        .size:           8
        .value_kind:     global_buffer
      - .actual_access:  read_only
        .address_space:  global
        .offset:         40
        .size:           8
        .value_kind:     global_buffer
      - .actual_access:  read_only
        .address_space:  global
        .offset:         48
        .size:           8
        .value_kind:     global_buffer
      - .offset:         56
        .size:           4
        .value_kind:     by_value
      - .actual_access:  read_only
        .address_space:  global
        .offset:         64
        .size:           8
        .value_kind:     global_buffer
      - .offset:         72
        .size:           4
        .value_kind:     by_value
      - .offset:         76
        .size:           4
        .value_kind:     by_value
      - .offset:         80
        .size:           4
        .value_kind:     by_value
      - .actual_access:  write_only
        .address_space:  global
        .offset:         88
        .size:           8
        .value_kind:     global_buffer
      - .actual_access:  write_only
        .address_space:  global
        .offset:         96
        .size:           8
        .value_kind:     global_buffer
      - .actual_access:  write_only
        .address_space:  global
        .offset:         104
        .size:           8
        .value_kind:     global_buffer
      - .actual_access:  read_only
        .address_space:  global
        .offset:         112
        .size:           8
        .value_kind:     global_buffer
      - .offset:         120
        .size:           4
        .value_kind:     by_value
      - .address_space:  global
        .offset:         128
        .size:           8
        .value_kind:     global_buffer
      - .address_space:  global
        .offset:         136
        .size:           8
        .value_kind:     global_buffer
      - .offset:         144
        .size:           4
        .value_kind:     hidden_block_count_x
      - .offset:         148
        .size:           4
        .value_kind:     hidden_block_count_y
      - .offset:         152
        .size:           4
        .value_kind:     hidden_block_count_z
      - .offset:         156
        .size:           2
        .value_kind:     hidden_group_size_x
      - .offset:         158
        .size:           2
        .value_kind:     hidden_group_size_y
      - .offset:         160
        .size:           2
        .value_kind:     hidden_group_size_z
      - .offset:         162
        .size:           2
        .value_kind:     hidden_remainder_x
      - .offset:         164
        .size:           2
        .value_kind:     hidden_remainder_y
      - .offset:         166
        .size:           2
        .value_kind:     hidden_remainder_z
      - .offset:         184
        .size:           8
        .value_kind:     hidden_global_offset_x
      - .offset:         192
        .size:           8
        .value_kind:     hidden_global_offset_y
      - .offset:         200
        .size:           8
        .value_kind:     hidden_global_offset_z
      - .offset:         208
        .size:           2
        .value_kind:     hidden_grid_dims
    .group_segment_fixed_size: 5280
    .kernarg_segment_align: 8
    .kernarg_segment_size: 400
    .language:       OpenCL C
    .language_version:
      - 2
      - 0
    .max_flat_workgroup_size: 256
    .name:           _Z38paged_attention_ll4mi_QKV_mfma4_kernelIDF16_hLN4vllm18Fp8KVCacheDataTypeE1EhLi32ELi128ELi256ELb1ELi4EEvPKT_PKT0_S7_ifPKiS9_S9_iPKfiiiPfSC_PS2_PT2_iSB_SB_
    .private_segment_fixed_size: 0
    .sgpr_count:     51
    .sgpr_spill_count: 0
    .symbol:         _Z38paged_attention_ll4mi_QKV_mfma4_kernelIDF16_hLN4vllm18Fp8KVCacheDataTypeE1EhLi32ELi128ELi256ELb1ELi4EEvPKT_PKT0_S7_ifPKiS9_S9_iPKfiiiPfSC_PS2_PT2_iSB_SB_.kd
    .uniform_work_group_size: 1
    .uses_dynamic_stack: false
    .vgpr_count:     92
    .vgpr_spill_count: 0
    .wavefront_size: 64
  - .agpr_count:     0
    .args:
      - .actual_access:  read_only
        .address_space:  global
        .offset:         0
        .size:           8
        .value_kind:     global_buffer
      - .actual_access:  read_only
        .address_space:  global
        .offset:         8
        .size:           8
        .value_kind:     global_buffer
      - .actual_access:  read_only
        .address_space:  global
        .offset:         16
        .size:           8
        .value_kind:     global_buffer
      - .offset:         24
        .size:           4
        .value_kind:     by_value
      - .offset:         28
        .size:           4
        .value_kind:     by_value
      - .actual_access:  read_only
        .address_space:  global
        .offset:         32
        .size:           8
        .value_kind:     global_buffer
      - .actual_access:  read_only
        .address_space:  global
        .offset:         40
        .size:           8
        .value_kind:     global_buffer
      - .actual_access:  read_only
        .address_space:  global
        .offset:         48
        .size:           8
        .value_kind:     global_buffer
      - .offset:         56
        .size:           4
        .value_kind:     by_value
      - .actual_access:  read_only
        .address_space:  global
        .offset:         64
        .size:           8
        .value_kind:     global_buffer
      - .offset:         72
        .size:           4
        .value_kind:     by_value
      - .offset:         76
        .size:           4
        .value_kind:     by_value
      - .offset:         80
        .size:           4
        .value_kind:     by_value
      - .actual_access:  write_only
        .address_space:  global
        .offset:         88
        .size:           8
        .value_kind:     global_buffer
      - .actual_access:  write_only
        .address_space:  global
        .offset:         96
        .size:           8
        .value_kind:     global_buffer
      - .actual_access:  write_only
        .address_space:  global
        .offset:         104
        .size:           8
        .value_kind:     global_buffer
      - .actual_access:  read_only
        .address_space:  global
        .offset:         112
        .size:           8
        .value_kind:     global_buffer
      - .offset:         120
        .size:           4
        .value_kind:     by_value
      - .address_space:  global
        .offset:         128
        .size:           8
        .value_kind:     global_buffer
      - .address_space:  global
        .offset:         136
        .size:           8
        .value_kind:     global_buffer
      - .offset:         144
        .size:           4
        .value_kind:     hidden_block_count_x
      - .offset:         148
        .size:           4
        .value_kind:     hidden_block_count_y
      - .offset:         152
        .size:           4
        .value_kind:     hidden_block_count_z
      - .offset:         156
        .size:           2
        .value_kind:     hidden_group_size_x
      - .offset:         158
        .size:           2
        .value_kind:     hidden_group_size_y
      - .offset:         160
        .size:           2
        .value_kind:     hidden_group_size_z
      - .offset:         162
        .size:           2
        .value_kind:     hidden_remainder_x
      - .offset:         164
        .size:           2
        .value_kind:     hidden_remainder_y
      - .offset:         166
        .size:           2
        .value_kind:     hidden_remainder_z
      - .offset:         184
        .size:           8
        .value_kind:     hidden_global_offset_x
      - .offset:         192
        .size:           8
        .value_kind:     hidden_global_offset_y
      - .offset:         200
        .size:           8
        .value_kind:     hidden_global_offset_z
      - .offset:         208
        .size:           2
        .value_kind:     hidden_grid_dims
    .group_segment_fixed_size: 8192
    .kernarg_segment_align: 8
    .kernarg_segment_size: 400
    .language:       OpenCL C
    .language_version:
      - 2
      - 0
    .max_flat_workgroup_size: 256
    .name:           _Z39paged_attention_ll4mi_QKV_mfma16_kernelIDF16_hLN4vllm18Fp8KVCacheDataTypeE1EhLi32ELi128ELi256ELb1ELi5EEvPKT_PKT0_S7_ifPKiS9_S9_iPKfiiiPfSC_PS2_PT2_iSB_SB_
    .private_segment_fixed_size: 0
    .sgpr_count:     56
    .sgpr_spill_count: 0
    .symbol:         _Z39paged_attention_ll4mi_QKV_mfma16_kernelIDF16_hLN4vllm18Fp8KVCacheDataTypeE1EhLi32ELi128ELi256ELb1ELi5EEvPKT_PKT0_S7_ifPKiS9_S9_iPKfiiiPfSC_PS2_PT2_iSB_SB_.kd
    .uniform_work_group_size: 1
    .uses_dynamic_stack: false
    .vgpr_count:     78
    .vgpr_spill_count: 0
    .wavefront_size: 64
  - .agpr_count:     0
    .args:
      - .actual_access:  read_only
        .address_space:  global
        .offset:         0
        .size:           8
        .value_kind:     global_buffer
      - .actual_access:  read_only
        .address_space:  global
        .offset:         8
        .size:           8
        .value_kind:     global_buffer
      - .actual_access:  read_only
        .address_space:  global
        .offset:         16
        .size:           8
        .value_kind:     global_buffer
      - .offset:         24
        .size:           4
        .value_kind:     by_value
      - .offset:         28
        .size:           4
        .value_kind:     by_value
      - .actual_access:  read_only
        .address_space:  global
        .offset:         32
        .size:           8
        .value_kind:     global_buffer
      - .actual_access:  read_only
        .address_space:  global
        .offset:         40
        .size:           8
        .value_kind:     global_buffer
      - .actual_access:  read_only
        .address_space:  global
        .offset:         48
        .size:           8
        .value_kind:     global_buffer
      - .offset:         56
        .size:           4
        .value_kind:     by_value
      - .actual_access:  read_only
        .address_space:  global
        .offset:         64
        .size:           8
        .value_kind:     global_buffer
      - .offset:         72
        .size:           4
        .value_kind:     by_value
      - .offset:         76
        .size:           4
        .value_kind:     by_value
      - .offset:         80
        .size:           4
        .value_kind:     by_value
      - .actual_access:  write_only
        .address_space:  global
        .offset:         88
        .size:           8
        .value_kind:     global_buffer
      - .actual_access:  write_only
        .address_space:  global
        .offset:         96
        .size:           8
        .value_kind:     global_buffer
      - .actual_access:  write_only
        .address_space:  global
        .offset:         104
        .size:           8
        .value_kind:     global_buffer
      - .actual_access:  read_only
        .address_space:  global
        .offset:         112
        .size:           8
        .value_kind:     global_buffer
      - .offset:         120
        .size:           4
        .value_kind:     by_value
      - .address_space:  global
        .offset:         128
        .size:           8
        .value_kind:     global_buffer
      - .address_space:  global
        .offset:         136
        .size:           8
        .value_kind:     global_buffer
      - .offset:         144
        .size:           4
        .value_kind:     hidden_block_count_x
      - .offset:         148
        .size:           4
        .value_kind:     hidden_block_count_y
      - .offset:         152
        .size:           4
        .value_kind:     hidden_block_count_z
      - .offset:         156
        .size:           2
        .value_kind:     hidden_group_size_x
      - .offset:         158
        .size:           2
        .value_kind:     hidden_group_size_y
      - .offset:         160
        .size:           2
        .value_kind:     hidden_group_size_z
      - .offset:         162
        .size:           2
        .value_kind:     hidden_remainder_x
      - .offset:         164
        .size:           2
        .value_kind:     hidden_remainder_y
      - .offset:         166
        .size:           2
        .value_kind:     hidden_remainder_z
      - .offset:         184
        .size:           8
        .value_kind:     hidden_global_offset_x
      - .offset:         192
        .size:           8
        .value_kind:     hidden_global_offset_y
      - .offset:         200
        .size:           8
        .value_kind:     hidden_global_offset_z
      - .offset:         208
        .size:           2
        .value_kind:     hidden_grid_dims
    .group_segment_fixed_size: 8192
    .kernarg_segment_align: 8
    .kernarg_segment_size: 400
    .language:       OpenCL C
    .language_version:
      - 2
      - 0
    .max_flat_workgroup_size: 256
    .name:           _Z39paged_attention_ll4mi_QKV_mfma16_kernelIDF16_hLN4vllm18Fp8KVCacheDataTypeE1EhLi32ELi128ELi256ELb1ELi6EEvPKT_PKT0_S7_ifPKiS9_S9_iPKfiiiPfSC_PS2_PT2_iSB_SB_
    .private_segment_fixed_size: 0
    .sgpr_count:     56
    .sgpr_spill_count: 0
    .symbol:         _Z39paged_attention_ll4mi_QKV_mfma16_kernelIDF16_hLN4vllm18Fp8KVCacheDataTypeE1EhLi32ELi128ELi256ELb1ELi6EEvPKT_PKT0_S7_ifPKiS9_S9_iPKfiiiPfSC_PS2_PT2_iSB_SB_.kd
    .uniform_work_group_size: 1
    .uses_dynamic_stack: false
    .vgpr_count:     78
    .vgpr_spill_count: 0
    .wavefront_size: 64
  - .agpr_count:     0
    .args:
      - .actual_access:  read_only
        .address_space:  global
        .offset:         0
        .size:           8
        .value_kind:     global_buffer
      - .actual_access:  read_only
        .address_space:  global
        .offset:         8
        .size:           8
        .value_kind:     global_buffer
      - .actual_access:  read_only
        .address_space:  global
        .offset:         16
        .size:           8
        .value_kind:     global_buffer
      - .offset:         24
        .size:           4
        .value_kind:     by_value
      - .offset:         28
        .size:           4
        .value_kind:     by_value
      - .actual_access:  read_only
        .address_space:  global
        .offset:         32
        .size:           8
        .value_kind:     global_buffer
      - .actual_access:  read_only
        .address_space:  global
        .offset:         40
        .size:           8
        .value_kind:     global_buffer
      - .actual_access:  read_only
        .address_space:  global
        .offset:         48
        .size:           8
        .value_kind:     global_buffer
      - .offset:         56
        .size:           4
        .value_kind:     by_value
      - .actual_access:  read_only
        .address_space:  global
        .offset:         64
        .size:           8
        .value_kind:     global_buffer
      - .offset:         72
        .size:           4
        .value_kind:     by_value
      - .offset:         76
        .size:           4
        .value_kind:     by_value
      - .offset:         80
        .size:           4
        .value_kind:     by_value
      - .actual_access:  write_only
        .address_space:  global
        .offset:         88
        .size:           8
        .value_kind:     global_buffer
      - .actual_access:  write_only
        .address_space:  global
        .offset:         96
        .size:           8
        .value_kind:     global_buffer
      - .actual_access:  write_only
        .address_space:  global
        .offset:         104
        .size:           8
        .value_kind:     global_buffer
      - .actual_access:  read_only
        .address_space:  global
        .offset:         112
        .size:           8
        .value_kind:     global_buffer
      - .offset:         120
        .size:           4
        .value_kind:     by_value
      - .address_space:  global
        .offset:         128
        .size:           8
        .value_kind:     global_buffer
      - .address_space:  global
        .offset:         136
        .size:           8
        .value_kind:     global_buffer
      - .offset:         144
        .size:           4
        .value_kind:     hidden_block_count_x
      - .offset:         148
        .size:           4
        .value_kind:     hidden_block_count_y
      - .offset:         152
        .size:           4
        .value_kind:     hidden_block_count_z
      - .offset:         156
        .size:           2
        .value_kind:     hidden_group_size_x
      - .offset:         158
        .size:           2
        .value_kind:     hidden_group_size_y
      - .offset:         160
        .size:           2
        .value_kind:     hidden_group_size_z
      - .offset:         162
        .size:           2
        .value_kind:     hidden_remainder_x
      - .offset:         164
        .size:           2
        .value_kind:     hidden_remainder_y
      - .offset:         166
        .size:           2
        .value_kind:     hidden_remainder_z
      - .offset:         184
        .size:           8
        .value_kind:     hidden_global_offset_x
      - .offset:         192
        .size:           8
        .value_kind:     hidden_global_offset_y
      - .offset:         200
        .size:           8
        .value_kind:     hidden_global_offset_z
      - .offset:         208
        .size:           2
        .value_kind:     hidden_grid_dims
    .group_segment_fixed_size: 8192
    .kernarg_segment_align: 8
    .kernarg_segment_size: 400
    .language:       OpenCL C
    .language_version:
      - 2
      - 0
    .max_flat_workgroup_size: 256
    .name:           _Z39paged_attention_ll4mi_QKV_mfma16_kernelIDF16_hLN4vllm18Fp8KVCacheDataTypeE1EhLi32ELi128ELi256ELb1ELi7EEvPKT_PKT0_S7_ifPKiS9_S9_iPKfiiiPfSC_PS2_PT2_iSB_SB_
    .private_segment_fixed_size: 0
    .sgpr_count:     56
    .sgpr_spill_count: 0
    .symbol:         _Z39paged_attention_ll4mi_QKV_mfma16_kernelIDF16_hLN4vllm18Fp8KVCacheDataTypeE1EhLi32ELi128ELi256ELb1ELi7EEvPKT_PKT0_S7_ifPKiS9_S9_iPKfiiiPfSC_PS2_PT2_iSB_SB_.kd
    .uniform_work_group_size: 1
    .uses_dynamic_stack: false
    .vgpr_count:     78
    .vgpr_spill_count: 0
    .wavefront_size: 64
  - .agpr_count:     0
    .args:
      - .actual_access:  read_only
        .address_space:  global
        .offset:         0
        .size:           8
        .value_kind:     global_buffer
      - .actual_access:  read_only
        .address_space:  global
        .offset:         8
        .size:           8
        .value_kind:     global_buffer
      - .actual_access:  read_only
        .address_space:  global
        .offset:         16
        .size:           8
        .value_kind:     global_buffer
      - .offset:         24
        .size:           4
        .value_kind:     by_value
      - .offset:         28
        .size:           4
        .value_kind:     by_value
      - .actual_access:  read_only
        .address_space:  global
        .offset:         32
        .size:           8
        .value_kind:     global_buffer
      - .actual_access:  read_only
        .address_space:  global
        .offset:         40
        .size:           8
        .value_kind:     global_buffer
      - .actual_access:  read_only
        .address_space:  global
        .offset:         48
        .size:           8
        .value_kind:     global_buffer
      - .offset:         56
        .size:           4
        .value_kind:     by_value
      - .actual_access:  read_only
        .address_space:  global
        .offset:         64
        .size:           8
        .value_kind:     global_buffer
      - .offset:         72
        .size:           4
        .value_kind:     by_value
      - .offset:         76
        .size:           4
        .value_kind:     by_value
      - .offset:         80
        .size:           4
        .value_kind:     by_value
      - .actual_access:  write_only
        .address_space:  global
        .offset:         88
        .size:           8
        .value_kind:     global_buffer
      - .actual_access:  write_only
        .address_space:  global
        .offset:         96
        .size:           8
        .value_kind:     global_buffer
      - .actual_access:  write_only
        .address_space:  global
        .offset:         104
        .size:           8
        .value_kind:     global_buffer
      - .actual_access:  read_only
        .address_space:  global
        .offset:         112
        .size:           8
        .value_kind:     global_buffer
      - .offset:         120
        .size:           4
        .value_kind:     by_value
      - .address_space:  global
        .offset:         128
        .size:           8
        .value_kind:     global_buffer
      - .address_space:  global
        .offset:         136
        .size:           8
        .value_kind:     global_buffer
      - .offset:         144
        .size:           4
        .value_kind:     hidden_block_count_x
      - .offset:         148
        .size:           4
        .value_kind:     hidden_block_count_y
      - .offset:         152
        .size:           4
        .value_kind:     hidden_block_count_z
      - .offset:         156
        .size:           2
        .value_kind:     hidden_group_size_x
      - .offset:         158
        .size:           2
        .value_kind:     hidden_group_size_y
      - .offset:         160
        .size:           2
        .value_kind:     hidden_group_size_z
      - .offset:         162
        .size:           2
        .value_kind:     hidden_remainder_x
      - .offset:         164
        .size:           2
        .value_kind:     hidden_remainder_y
      - .offset:         166
        .size:           2
        .value_kind:     hidden_remainder_z
      - .offset:         184
        .size:           8
        .value_kind:     hidden_global_offset_x
      - .offset:         192
        .size:           8
        .value_kind:     hidden_global_offset_y
      - .offset:         200
        .size:           8
        .value_kind:     hidden_global_offset_z
      - .offset:         208
        .size:           2
        .value_kind:     hidden_grid_dims
    .group_segment_fixed_size: 8192
    .kernarg_segment_align: 8
    .kernarg_segment_size: 400
    .language:       OpenCL C
    .language_version:
      - 2
      - 0
    .max_flat_workgroup_size: 256
    .name:           _Z39paged_attention_ll4mi_QKV_mfma16_kernelIDF16_hLN4vllm18Fp8KVCacheDataTypeE1EhLi32ELi128ELi256ELb1ELi8EEvPKT_PKT0_S7_ifPKiS9_S9_iPKfiiiPfSC_PS2_PT2_iSB_SB_
    .private_segment_fixed_size: 0
    .sgpr_count:     54
    .sgpr_spill_count: 0
    .symbol:         _Z39paged_attention_ll4mi_QKV_mfma16_kernelIDF16_hLN4vllm18Fp8KVCacheDataTypeE1EhLi32ELi128ELi256ELb1ELi8EEvPKT_PKT0_S7_ifPKiS9_S9_iPKfiiiPfSC_PS2_PT2_iSB_SB_.kd
    .uniform_work_group_size: 1
    .uses_dynamic_stack: false
    .vgpr_count:     78
    .vgpr_spill_count: 0
    .wavefront_size: 64
  - .agpr_count:     0
    .args:
      - .actual_access:  read_only
        .address_space:  global
        .offset:         0
        .size:           8
        .value_kind:     global_buffer
      - .actual_access:  read_only
        .address_space:  global
        .offset:         8
        .size:           8
        .value_kind:     global_buffer
      - .actual_access:  read_only
        .address_space:  global
        .offset:         16
        .size:           8
        .value_kind:     global_buffer
      - .offset:         24
        .size:           4
        .value_kind:     by_value
      - .offset:         28
        .size:           4
        .value_kind:     by_value
      - .actual_access:  read_only
        .address_space:  global
        .offset:         32
        .size:           8
        .value_kind:     global_buffer
      - .actual_access:  read_only
        .address_space:  global
        .offset:         40
        .size:           8
        .value_kind:     global_buffer
      - .actual_access:  read_only
        .address_space:  global
        .offset:         48
        .size:           8
        .value_kind:     global_buffer
      - .offset:         56
        .size:           4
        .value_kind:     by_value
      - .actual_access:  read_only
        .address_space:  global
        .offset:         64
        .size:           8
        .value_kind:     global_buffer
      - .offset:         72
        .size:           4
        .value_kind:     by_value
      - .offset:         76
        .size:           4
        .value_kind:     by_value
      - .offset:         80
        .size:           4
        .value_kind:     by_value
      - .actual_access:  write_only
        .address_space:  global
        .offset:         88
        .size:           8
        .value_kind:     global_buffer
      - .actual_access:  write_only
        .address_space:  global
        .offset:         96
        .size:           8
        .value_kind:     global_buffer
      - .actual_access:  write_only
        .address_space:  global
        .offset:         104
        .size:           8
        .value_kind:     global_buffer
      - .actual_access:  read_only
        .address_space:  global
        .offset:         112
        .size:           8
        .value_kind:     global_buffer
      - .offset:         120
        .size:           4
        .value_kind:     by_value
      - .address_space:  global
        .offset:         128
        .size:           8
        .value_kind:     global_buffer
      - .address_space:  global
        .offset:         136
        .size:           8
        .value_kind:     global_buffer
      - .offset:         144
        .size:           4
        .value_kind:     hidden_block_count_x
      - .offset:         148
        .size:           4
        .value_kind:     hidden_block_count_y
      - .offset:         152
        .size:           4
        .value_kind:     hidden_block_count_z
      - .offset:         156
        .size:           2
        .value_kind:     hidden_group_size_x
      - .offset:         158
        .size:           2
        .value_kind:     hidden_group_size_y
      - .offset:         160
        .size:           2
        .value_kind:     hidden_group_size_z
      - .offset:         162
        .size:           2
        .value_kind:     hidden_remainder_x
      - .offset:         164
        .size:           2
        .value_kind:     hidden_remainder_y
      - .offset:         166
        .size:           2
        .value_kind:     hidden_remainder_z
      - .offset:         184
        .size:           8
        .value_kind:     hidden_global_offset_x
      - .offset:         192
        .size:           8
        .value_kind:     hidden_global_offset_y
      - .offset:         200
        .size:           8
        .value_kind:     hidden_global_offset_z
      - .offset:         208
        .size:           2
        .value_kind:     hidden_grid_dims
    .group_segment_fixed_size: 8192
    .kernarg_segment_align: 8
    .kernarg_segment_size: 400
    .language:       OpenCL C
    .language_version:
      - 2
      - 0
    .max_flat_workgroup_size: 256
    .name:           _Z39paged_attention_ll4mi_QKV_mfma16_kernelIDF16_hLN4vllm18Fp8KVCacheDataTypeE1EhLi32ELi128ELi256ELb1ELi9EEvPKT_PKT0_S7_ifPKiS9_S9_iPKfiiiPfSC_PS2_PT2_iSB_SB_
    .private_segment_fixed_size: 0
    .sgpr_count:     56
    .sgpr_spill_count: 0
    .symbol:         _Z39paged_attention_ll4mi_QKV_mfma16_kernelIDF16_hLN4vllm18Fp8KVCacheDataTypeE1EhLi32ELi128ELi256ELb1ELi9EEvPKT_PKT0_S7_ifPKiS9_S9_iPKfiiiPfSC_PS2_PT2_iSB_SB_.kd
    .uniform_work_group_size: 1
    .uses_dynamic_stack: false
    .vgpr_count:     78
    .vgpr_spill_count: 0
    .wavefront_size: 64
  - .agpr_count:     0
    .args:
      - .actual_access:  read_only
        .address_space:  global
        .offset:         0
        .size:           8
        .value_kind:     global_buffer
      - .actual_access:  read_only
        .address_space:  global
        .offset:         8
        .size:           8
        .value_kind:     global_buffer
      - .actual_access:  read_only
        .address_space:  global
        .offset:         16
        .size:           8
        .value_kind:     global_buffer
      - .offset:         24
        .size:           4
        .value_kind:     by_value
      - .offset:         28
        .size:           4
        .value_kind:     by_value
      - .actual_access:  read_only
        .address_space:  global
        .offset:         32
        .size:           8
        .value_kind:     global_buffer
      - .actual_access:  read_only
        .address_space:  global
        .offset:         40
        .size:           8
        .value_kind:     global_buffer
      - .actual_access:  read_only
        .address_space:  global
        .offset:         48
        .size:           8
        .value_kind:     global_buffer
      - .offset:         56
        .size:           4
        .value_kind:     by_value
      - .actual_access:  read_only
        .address_space:  global
        .offset:         64
        .size:           8
        .value_kind:     global_buffer
      - .offset:         72
        .size:           4
        .value_kind:     by_value
      - .offset:         76
        .size:           4
        .value_kind:     by_value
      - .offset:         80
        .size:           4
        .value_kind:     by_value
      - .actual_access:  write_only
        .address_space:  global
        .offset:         88
        .size:           8
        .value_kind:     global_buffer
      - .actual_access:  write_only
        .address_space:  global
        .offset:         96
        .size:           8
        .value_kind:     global_buffer
      - .actual_access:  write_only
        .address_space:  global
        .offset:         104
        .size:           8
        .value_kind:     global_buffer
      - .actual_access:  read_only
        .address_space:  global
        .offset:         112
        .size:           8
        .value_kind:     global_buffer
      - .offset:         120
        .size:           4
        .value_kind:     by_value
      - .address_space:  global
        .offset:         128
        .size:           8
        .value_kind:     global_buffer
      - .address_space:  global
        .offset:         136
        .size:           8
        .value_kind:     global_buffer
      - .offset:         144
        .size:           4
        .value_kind:     hidden_block_count_x
      - .offset:         148
        .size:           4
        .value_kind:     hidden_block_count_y
      - .offset:         152
        .size:           4
        .value_kind:     hidden_block_count_z
      - .offset:         156
        .size:           2
        .value_kind:     hidden_group_size_x
      - .offset:         158
        .size:           2
        .value_kind:     hidden_group_size_y
      - .offset:         160
        .size:           2
        .value_kind:     hidden_group_size_z
      - .offset:         162
        .size:           2
        .value_kind:     hidden_remainder_x
      - .offset:         164
        .size:           2
        .value_kind:     hidden_remainder_y
      - .offset:         166
        .size:           2
        .value_kind:     hidden_remainder_z
      - .offset:         184
        .size:           8
        .value_kind:     hidden_global_offset_x
      - .offset:         192
        .size:           8
        .value_kind:     hidden_global_offset_y
      - .offset:         200
        .size:           8
        .value_kind:     hidden_global_offset_z
      - .offset:         208
        .size:           2
        .value_kind:     hidden_grid_dims
    .group_segment_fixed_size: 8192
    .kernarg_segment_align: 8
    .kernarg_segment_size: 400
    .language:       OpenCL C
    .language_version:
      - 2
      - 0
    .max_flat_workgroup_size: 256
    .name:           _Z39paged_attention_ll4mi_QKV_mfma16_kernelIDF16_hLN4vllm18Fp8KVCacheDataTypeE1EhLi32ELi128ELi256ELb1ELi10EEvPKT_PKT0_S7_ifPKiS9_S9_iPKfiiiPfSC_PS2_PT2_iSB_SB_
    .private_segment_fixed_size: 0
    .sgpr_count:     56
    .sgpr_spill_count: 0
    .symbol:         _Z39paged_attention_ll4mi_QKV_mfma16_kernelIDF16_hLN4vllm18Fp8KVCacheDataTypeE1EhLi32ELi128ELi256ELb1ELi10EEvPKT_PKT0_S7_ifPKiS9_S9_iPKfiiiPfSC_PS2_PT2_iSB_SB_.kd
    .uniform_work_group_size: 1
    .uses_dynamic_stack: false
    .vgpr_count:     78
    .vgpr_spill_count: 0
    .wavefront_size: 64
  - .agpr_count:     0
    .args:
      - .actual_access:  read_only
        .address_space:  global
        .offset:         0
        .size:           8
        .value_kind:     global_buffer
      - .actual_access:  read_only
        .address_space:  global
        .offset:         8
        .size:           8
        .value_kind:     global_buffer
      - .actual_access:  read_only
        .address_space:  global
        .offset:         16
        .size:           8
        .value_kind:     global_buffer
      - .offset:         24
        .size:           4
        .value_kind:     by_value
      - .offset:         28
        .size:           4
        .value_kind:     by_value
      - .actual_access:  read_only
        .address_space:  global
        .offset:         32
        .size:           8
        .value_kind:     global_buffer
      - .actual_access:  read_only
        .address_space:  global
        .offset:         40
        .size:           8
        .value_kind:     global_buffer
      - .actual_access:  read_only
        .address_space:  global
        .offset:         48
        .size:           8
        .value_kind:     global_buffer
      - .offset:         56
        .size:           4
        .value_kind:     by_value
      - .actual_access:  read_only
        .address_space:  global
        .offset:         64
        .size:           8
        .value_kind:     global_buffer
      - .offset:         72
        .size:           4
        .value_kind:     by_value
      - .offset:         76
        .size:           4
        .value_kind:     by_value
      - .offset:         80
        .size:           4
        .value_kind:     by_value
      - .actual_access:  write_only
        .address_space:  global
        .offset:         88
        .size:           8
        .value_kind:     global_buffer
      - .actual_access:  write_only
        .address_space:  global
        .offset:         96
        .size:           8
        .value_kind:     global_buffer
      - .actual_access:  write_only
        .address_space:  global
        .offset:         104
        .size:           8
        .value_kind:     global_buffer
      - .actual_access:  read_only
        .address_space:  global
        .offset:         112
        .size:           8
        .value_kind:     global_buffer
      - .offset:         120
        .size:           4
        .value_kind:     by_value
      - .address_space:  global
        .offset:         128
        .size:           8
        .value_kind:     global_buffer
      - .address_space:  global
        .offset:         136
        .size:           8
        .value_kind:     global_buffer
      - .offset:         144
        .size:           4
        .value_kind:     hidden_block_count_x
      - .offset:         148
        .size:           4
        .value_kind:     hidden_block_count_y
      - .offset:         152
        .size:           4
        .value_kind:     hidden_block_count_z
      - .offset:         156
        .size:           2
        .value_kind:     hidden_group_size_x
      - .offset:         158
        .size:           2
        .value_kind:     hidden_group_size_y
      - .offset:         160
        .size:           2
        .value_kind:     hidden_group_size_z
      - .offset:         162
        .size:           2
        .value_kind:     hidden_remainder_x
      - .offset:         164
        .size:           2
        .value_kind:     hidden_remainder_y
      - .offset:         166
        .size:           2
        .value_kind:     hidden_remainder_z
      - .offset:         184
        .size:           8
        .value_kind:     hidden_global_offset_x
      - .offset:         192
        .size:           8
        .value_kind:     hidden_global_offset_y
      - .offset:         200
        .size:           8
        .value_kind:     hidden_global_offset_z
      - .offset:         208
        .size:           2
        .value_kind:     hidden_grid_dims
    .group_segment_fixed_size: 8192
    .kernarg_segment_align: 8
    .kernarg_segment_size: 400
    .language:       OpenCL C
    .language_version:
      - 2
      - 0
    .max_flat_workgroup_size: 256
    .name:           _Z39paged_attention_ll4mi_QKV_mfma16_kernelIDF16_hLN4vllm18Fp8KVCacheDataTypeE1EhLi32ELi128ELi256ELb1ELi11EEvPKT_PKT0_S7_ifPKiS9_S9_iPKfiiiPfSC_PS2_PT2_iSB_SB_
    .private_segment_fixed_size: 0
    .sgpr_count:     56
    .sgpr_spill_count: 0
    .symbol:         _Z39paged_attention_ll4mi_QKV_mfma16_kernelIDF16_hLN4vllm18Fp8KVCacheDataTypeE1EhLi32ELi128ELi256ELb1ELi11EEvPKT_PKT0_S7_ifPKiS9_S9_iPKfiiiPfSC_PS2_PT2_iSB_SB_.kd
    .uniform_work_group_size: 1
    .uses_dynamic_stack: false
    .vgpr_count:     78
    .vgpr_spill_count: 0
    .wavefront_size: 64
  - .agpr_count:     0
    .args:
      - .actual_access:  read_only
        .address_space:  global
        .offset:         0
        .size:           8
        .value_kind:     global_buffer
      - .actual_access:  read_only
        .address_space:  global
        .offset:         8
        .size:           8
        .value_kind:     global_buffer
      - .actual_access:  read_only
        .address_space:  global
        .offset:         16
        .size:           8
        .value_kind:     global_buffer
      - .offset:         24
        .size:           4
        .value_kind:     by_value
      - .offset:         28
        .size:           4
        .value_kind:     by_value
      - .actual_access:  read_only
        .address_space:  global
        .offset:         32
        .size:           8
        .value_kind:     global_buffer
      - .actual_access:  read_only
        .address_space:  global
        .offset:         40
        .size:           8
        .value_kind:     global_buffer
      - .actual_access:  read_only
        .address_space:  global
        .offset:         48
        .size:           8
        .value_kind:     global_buffer
      - .offset:         56
        .size:           4
        .value_kind:     by_value
      - .actual_access:  read_only
        .address_space:  global
        .offset:         64
        .size:           8
        .value_kind:     global_buffer
      - .offset:         72
        .size:           4
        .value_kind:     by_value
      - .offset:         76
        .size:           4
        .value_kind:     by_value
      - .offset:         80
        .size:           4
        .value_kind:     by_value
      - .actual_access:  write_only
        .address_space:  global
        .offset:         88
        .size:           8
        .value_kind:     global_buffer
      - .actual_access:  write_only
        .address_space:  global
        .offset:         96
        .size:           8
        .value_kind:     global_buffer
      - .actual_access:  write_only
        .address_space:  global
        .offset:         104
        .size:           8
        .value_kind:     global_buffer
      - .actual_access:  read_only
        .address_space:  global
        .offset:         112
        .size:           8
        .value_kind:     global_buffer
      - .offset:         120
        .size:           4
        .value_kind:     by_value
      - .address_space:  global
        .offset:         128
        .size:           8
        .value_kind:     global_buffer
      - .address_space:  global
        .offset:         136
        .size:           8
        .value_kind:     global_buffer
      - .offset:         144
        .size:           4
        .value_kind:     hidden_block_count_x
      - .offset:         148
        .size:           4
        .value_kind:     hidden_block_count_y
      - .offset:         152
        .size:           4
        .value_kind:     hidden_block_count_z
      - .offset:         156
        .size:           2
        .value_kind:     hidden_group_size_x
      - .offset:         158
        .size:           2
        .value_kind:     hidden_group_size_y
      - .offset:         160
        .size:           2
        .value_kind:     hidden_group_size_z
      - .offset:         162
        .size:           2
        .value_kind:     hidden_remainder_x
      - .offset:         164
        .size:           2
        .value_kind:     hidden_remainder_y
      - .offset:         166
        .size:           2
        .value_kind:     hidden_remainder_z
      - .offset:         184
        .size:           8
        .value_kind:     hidden_global_offset_x
      - .offset:         192
        .size:           8
        .value_kind:     hidden_global_offset_y
      - .offset:         200
        .size:           8
        .value_kind:     hidden_global_offset_z
      - .offset:         208
        .size:           2
        .value_kind:     hidden_grid_dims
    .group_segment_fixed_size: 8192
    .kernarg_segment_align: 8
    .kernarg_segment_size: 400
    .language:       OpenCL C
    .language_version:
      - 2
      - 0
    .max_flat_workgroup_size: 256
    .name:           _Z39paged_attention_ll4mi_QKV_mfma16_kernelIDF16_hLN4vllm18Fp8KVCacheDataTypeE1EhLi32ELi128ELi256ELb1ELi12EEvPKT_PKT0_S7_ifPKiS9_S9_iPKfiiiPfSC_PS2_PT2_iSB_SB_
    .private_segment_fixed_size: 0
    .sgpr_count:     56
    .sgpr_spill_count: 0
    .symbol:         _Z39paged_attention_ll4mi_QKV_mfma16_kernelIDF16_hLN4vllm18Fp8KVCacheDataTypeE1EhLi32ELi128ELi256ELb1ELi12EEvPKT_PKT0_S7_ifPKiS9_S9_iPKfiiiPfSC_PS2_PT2_iSB_SB_.kd
    .uniform_work_group_size: 1
    .uses_dynamic_stack: false
    .vgpr_count:     78
    .vgpr_spill_count: 0
    .wavefront_size: 64
  - .agpr_count:     0
    .args:
      - .actual_access:  read_only
        .address_space:  global
        .offset:         0
        .size:           8
        .value_kind:     global_buffer
      - .actual_access:  read_only
        .address_space:  global
        .offset:         8
        .size:           8
        .value_kind:     global_buffer
      - .actual_access:  read_only
        .address_space:  global
        .offset:         16
        .size:           8
        .value_kind:     global_buffer
      - .offset:         24
        .size:           4
        .value_kind:     by_value
      - .offset:         28
        .size:           4
        .value_kind:     by_value
      - .actual_access:  read_only
        .address_space:  global
        .offset:         32
        .size:           8
        .value_kind:     global_buffer
      - .actual_access:  read_only
        .address_space:  global
        .offset:         40
        .size:           8
        .value_kind:     global_buffer
      - .actual_access:  read_only
        .address_space:  global
        .offset:         48
        .size:           8
        .value_kind:     global_buffer
      - .offset:         56
        .size:           4
        .value_kind:     by_value
      - .actual_access:  read_only
        .address_space:  global
        .offset:         64
        .size:           8
        .value_kind:     global_buffer
      - .offset:         72
        .size:           4
        .value_kind:     by_value
      - .offset:         76
        .size:           4
        .value_kind:     by_value
      - .offset:         80
        .size:           4
        .value_kind:     by_value
      - .actual_access:  write_only
        .address_space:  global
        .offset:         88
        .size:           8
        .value_kind:     global_buffer
      - .actual_access:  write_only
        .address_space:  global
        .offset:         96
        .size:           8
        .value_kind:     global_buffer
      - .actual_access:  write_only
        .address_space:  global
        .offset:         104
        .size:           8
        .value_kind:     global_buffer
      - .actual_access:  read_only
        .address_space:  global
        .offset:         112
        .size:           8
        .value_kind:     global_buffer
      - .offset:         120
        .size:           4
        .value_kind:     by_value
      - .address_space:  global
        .offset:         128
        .size:           8
        .value_kind:     global_buffer
      - .address_space:  global
        .offset:         136
        .size:           8
        .value_kind:     global_buffer
      - .offset:         144
        .size:           4
        .value_kind:     hidden_block_count_x
      - .offset:         148
        .size:           4
        .value_kind:     hidden_block_count_y
      - .offset:         152
        .size:           4
        .value_kind:     hidden_block_count_z
      - .offset:         156
        .size:           2
        .value_kind:     hidden_group_size_x
      - .offset:         158
        .size:           2
        .value_kind:     hidden_group_size_y
      - .offset:         160
        .size:           2
        .value_kind:     hidden_group_size_z
      - .offset:         162
        .size:           2
        .value_kind:     hidden_remainder_x
      - .offset:         164
        .size:           2
        .value_kind:     hidden_remainder_y
      - .offset:         166
        .size:           2
        .value_kind:     hidden_remainder_z
      - .offset:         184
        .size:           8
        .value_kind:     hidden_global_offset_x
      - .offset:         192
        .size:           8
        .value_kind:     hidden_global_offset_y
      - .offset:         200
        .size:           8
        .value_kind:     hidden_global_offset_z
      - .offset:         208
        .size:           2
        .value_kind:     hidden_grid_dims
    .group_segment_fixed_size: 8192
    .kernarg_segment_align: 8
    .kernarg_segment_size: 400
    .language:       OpenCL C
    .language_version:
      - 2
      - 0
    .max_flat_workgroup_size: 256
    .name:           _Z39paged_attention_ll4mi_QKV_mfma16_kernelIDF16_hLN4vllm18Fp8KVCacheDataTypeE1EhLi32ELi128ELi256ELb1ELi13EEvPKT_PKT0_S7_ifPKiS9_S9_iPKfiiiPfSC_PS2_PT2_iSB_SB_
    .private_segment_fixed_size: 0
    .sgpr_count:     56
    .sgpr_spill_count: 0
    .symbol:         _Z39paged_attention_ll4mi_QKV_mfma16_kernelIDF16_hLN4vllm18Fp8KVCacheDataTypeE1EhLi32ELi128ELi256ELb1ELi13EEvPKT_PKT0_S7_ifPKiS9_S9_iPKfiiiPfSC_PS2_PT2_iSB_SB_.kd
    .uniform_work_group_size: 1
    .uses_dynamic_stack: false
    .vgpr_count:     78
    .vgpr_spill_count: 0
    .wavefront_size: 64
  - .agpr_count:     0
    .args:
      - .actual_access:  read_only
        .address_space:  global
        .offset:         0
        .size:           8
        .value_kind:     global_buffer
      - .actual_access:  read_only
        .address_space:  global
        .offset:         8
        .size:           8
        .value_kind:     global_buffer
      - .actual_access:  read_only
        .address_space:  global
        .offset:         16
        .size:           8
        .value_kind:     global_buffer
      - .offset:         24
        .size:           4
        .value_kind:     by_value
      - .offset:         28
        .size:           4
        .value_kind:     by_value
      - .actual_access:  read_only
        .address_space:  global
        .offset:         32
        .size:           8
        .value_kind:     global_buffer
      - .actual_access:  read_only
        .address_space:  global
        .offset:         40
        .size:           8
        .value_kind:     global_buffer
      - .actual_access:  read_only
        .address_space:  global
        .offset:         48
        .size:           8
        .value_kind:     global_buffer
      - .offset:         56
        .size:           4
        .value_kind:     by_value
      - .actual_access:  read_only
        .address_space:  global
        .offset:         64
        .size:           8
        .value_kind:     global_buffer
      - .offset:         72
        .size:           4
        .value_kind:     by_value
      - .offset:         76
        .size:           4
        .value_kind:     by_value
      - .offset:         80
        .size:           4
        .value_kind:     by_value
      - .actual_access:  write_only
        .address_space:  global
        .offset:         88
        .size:           8
        .value_kind:     global_buffer
      - .actual_access:  write_only
        .address_space:  global
        .offset:         96
        .size:           8
        .value_kind:     global_buffer
      - .actual_access:  write_only
        .address_space:  global
        .offset:         104
        .size:           8
        .value_kind:     global_buffer
      - .actual_access:  read_only
        .address_space:  global
        .offset:         112
        .size:           8
        .value_kind:     global_buffer
      - .offset:         120
        .size:           4
        .value_kind:     by_value
      - .address_space:  global
        .offset:         128
        .size:           8
        .value_kind:     global_buffer
      - .address_space:  global
        .offset:         136
        .size:           8
        .value_kind:     global_buffer
      - .offset:         144
        .size:           4
        .value_kind:     hidden_block_count_x
      - .offset:         148
        .size:           4
        .value_kind:     hidden_block_count_y
      - .offset:         152
        .size:           4
        .value_kind:     hidden_block_count_z
      - .offset:         156
        .size:           2
        .value_kind:     hidden_group_size_x
      - .offset:         158
        .size:           2
        .value_kind:     hidden_group_size_y
      - .offset:         160
        .size:           2
        .value_kind:     hidden_group_size_z
      - .offset:         162
        .size:           2
        .value_kind:     hidden_remainder_x
      - .offset:         164
        .size:           2
        .value_kind:     hidden_remainder_y
      - .offset:         166
        .size:           2
        .value_kind:     hidden_remainder_z
      - .offset:         184
        .size:           8
        .value_kind:     hidden_global_offset_x
      - .offset:         192
        .size:           8
        .value_kind:     hidden_global_offset_y
      - .offset:         200
        .size:           8
        .value_kind:     hidden_global_offset_z
      - .offset:         208
        .size:           2
        .value_kind:     hidden_grid_dims
    .group_segment_fixed_size: 8192
    .kernarg_segment_align: 8
    .kernarg_segment_size: 400
    .language:       OpenCL C
    .language_version:
      - 2
      - 0
    .max_flat_workgroup_size: 256
    .name:           _Z39paged_attention_ll4mi_QKV_mfma16_kernelIDF16_hLN4vllm18Fp8KVCacheDataTypeE1EhLi32ELi128ELi256ELb1ELi14EEvPKT_PKT0_S7_ifPKiS9_S9_iPKfiiiPfSC_PS2_PT2_iSB_SB_
    .private_segment_fixed_size: 0
    .sgpr_count:     56
    .sgpr_spill_count: 0
    .symbol:         _Z39paged_attention_ll4mi_QKV_mfma16_kernelIDF16_hLN4vllm18Fp8KVCacheDataTypeE1EhLi32ELi128ELi256ELb1ELi14EEvPKT_PKT0_S7_ifPKiS9_S9_iPKfiiiPfSC_PS2_PT2_iSB_SB_.kd
    .uniform_work_group_size: 1
    .uses_dynamic_stack: false
    .vgpr_count:     78
    .vgpr_spill_count: 0
    .wavefront_size: 64
  - .agpr_count:     0
    .args:
      - .actual_access:  read_only
        .address_space:  global
        .offset:         0
        .size:           8
        .value_kind:     global_buffer
      - .actual_access:  read_only
        .address_space:  global
        .offset:         8
        .size:           8
        .value_kind:     global_buffer
      - .actual_access:  read_only
        .address_space:  global
        .offset:         16
        .size:           8
        .value_kind:     global_buffer
      - .offset:         24
        .size:           4
        .value_kind:     by_value
      - .offset:         28
        .size:           4
        .value_kind:     by_value
      - .actual_access:  read_only
        .address_space:  global
        .offset:         32
        .size:           8
        .value_kind:     global_buffer
      - .actual_access:  read_only
        .address_space:  global
        .offset:         40
        .size:           8
        .value_kind:     global_buffer
      - .actual_access:  read_only
        .address_space:  global
        .offset:         48
        .size:           8
        .value_kind:     global_buffer
      - .offset:         56
        .size:           4
        .value_kind:     by_value
      - .actual_access:  read_only
        .address_space:  global
        .offset:         64
        .size:           8
        .value_kind:     global_buffer
      - .offset:         72
        .size:           4
        .value_kind:     by_value
      - .offset:         76
        .size:           4
        .value_kind:     by_value
      - .offset:         80
        .size:           4
        .value_kind:     by_value
      - .actual_access:  write_only
        .address_space:  global
        .offset:         88
        .size:           8
        .value_kind:     global_buffer
      - .actual_access:  write_only
        .address_space:  global
        .offset:         96
        .size:           8
        .value_kind:     global_buffer
      - .actual_access:  write_only
        .address_space:  global
        .offset:         104
        .size:           8
        .value_kind:     global_buffer
      - .actual_access:  read_only
        .address_space:  global
        .offset:         112
        .size:           8
        .value_kind:     global_buffer
      - .offset:         120
        .size:           4
        .value_kind:     by_value
      - .address_space:  global
        .offset:         128
        .size:           8
        .value_kind:     global_buffer
      - .address_space:  global
        .offset:         136
        .size:           8
        .value_kind:     global_buffer
      - .offset:         144
        .size:           4
        .value_kind:     hidden_block_count_x
      - .offset:         148
        .size:           4
        .value_kind:     hidden_block_count_y
      - .offset:         152
        .size:           4
        .value_kind:     hidden_block_count_z
      - .offset:         156
        .size:           2
        .value_kind:     hidden_group_size_x
      - .offset:         158
        .size:           2
        .value_kind:     hidden_group_size_y
      - .offset:         160
        .size:           2
        .value_kind:     hidden_group_size_z
      - .offset:         162
        .size:           2
        .value_kind:     hidden_remainder_x
      - .offset:         164
        .size:           2
        .value_kind:     hidden_remainder_y
      - .offset:         166
        .size:           2
        .value_kind:     hidden_remainder_z
      - .offset:         184
        .size:           8
        .value_kind:     hidden_global_offset_x
      - .offset:         192
        .size:           8
        .value_kind:     hidden_global_offset_y
      - .offset:         200
        .size:           8
        .value_kind:     hidden_global_offset_z
      - .offset:         208
        .size:           2
        .value_kind:     hidden_grid_dims
    .group_segment_fixed_size: 8192
    .kernarg_segment_align: 8
    .kernarg_segment_size: 400
    .language:       OpenCL C
    .language_version:
      - 2
      - 0
    .max_flat_workgroup_size: 256
    .name:           _Z39paged_attention_ll4mi_QKV_mfma16_kernelIDF16_hLN4vllm18Fp8KVCacheDataTypeE1EhLi32ELi128ELi256ELb1ELi15EEvPKT_PKT0_S7_ifPKiS9_S9_iPKfiiiPfSC_PS2_PT2_iSB_SB_
    .private_segment_fixed_size: 0
    .sgpr_count:     56
    .sgpr_spill_count: 0
    .symbol:         _Z39paged_attention_ll4mi_QKV_mfma16_kernelIDF16_hLN4vllm18Fp8KVCacheDataTypeE1EhLi32ELi128ELi256ELb1ELi15EEvPKT_PKT0_S7_ifPKiS9_S9_iPKfiiiPfSC_PS2_PT2_iSB_SB_.kd
    .uniform_work_group_size: 1
    .uses_dynamic_stack: false
    .vgpr_count:     78
    .vgpr_spill_count: 0
    .wavefront_size: 64
  - .agpr_count:     0
    .args:
      - .actual_access:  read_only
        .address_space:  global
        .offset:         0
        .size:           8
        .value_kind:     global_buffer
      - .actual_access:  read_only
        .address_space:  global
        .offset:         8
        .size:           8
        .value_kind:     global_buffer
      - .actual_access:  read_only
        .address_space:  global
        .offset:         16
        .size:           8
        .value_kind:     global_buffer
      - .offset:         24
        .size:           4
        .value_kind:     by_value
      - .offset:         28
        .size:           4
        .value_kind:     by_value
      - .actual_access:  read_only
        .address_space:  global
        .offset:         32
        .size:           8
        .value_kind:     global_buffer
      - .actual_access:  read_only
        .address_space:  global
        .offset:         40
        .size:           8
        .value_kind:     global_buffer
      - .actual_access:  read_only
        .address_space:  global
        .offset:         48
        .size:           8
        .value_kind:     global_buffer
      - .offset:         56
        .size:           4
        .value_kind:     by_value
      - .actual_access:  read_only
        .address_space:  global
        .offset:         64
        .size:           8
        .value_kind:     global_buffer
      - .offset:         72
        .size:           4
        .value_kind:     by_value
      - .offset:         76
        .size:           4
        .value_kind:     by_value
      - .offset:         80
        .size:           4
        .value_kind:     by_value
      - .actual_access:  write_only
        .address_space:  global
        .offset:         88
        .size:           8
        .value_kind:     global_buffer
      - .actual_access:  write_only
        .address_space:  global
        .offset:         96
        .size:           8
        .value_kind:     global_buffer
      - .actual_access:  write_only
        .address_space:  global
        .offset:         104
        .size:           8
        .value_kind:     global_buffer
      - .actual_access:  read_only
        .address_space:  global
        .offset:         112
        .size:           8
        .value_kind:     global_buffer
      - .offset:         120
        .size:           4
        .value_kind:     by_value
      - .address_space:  global
        .offset:         128
        .size:           8
        .value_kind:     global_buffer
      - .address_space:  global
        .offset:         136
        .size:           8
        .value_kind:     global_buffer
      - .offset:         144
        .size:           4
        .value_kind:     hidden_block_count_x
      - .offset:         148
        .size:           4
        .value_kind:     hidden_block_count_y
      - .offset:         152
        .size:           4
        .value_kind:     hidden_block_count_z
      - .offset:         156
        .size:           2
        .value_kind:     hidden_group_size_x
      - .offset:         158
        .size:           2
        .value_kind:     hidden_group_size_y
      - .offset:         160
        .size:           2
        .value_kind:     hidden_group_size_z
      - .offset:         162
        .size:           2
        .value_kind:     hidden_remainder_x
      - .offset:         164
        .size:           2
        .value_kind:     hidden_remainder_y
      - .offset:         166
        .size:           2
        .value_kind:     hidden_remainder_z
      - .offset:         184
        .size:           8
        .value_kind:     hidden_global_offset_x
      - .offset:         192
        .size:           8
        .value_kind:     hidden_global_offset_y
      - .offset:         200
        .size:           8
        .value_kind:     hidden_global_offset_z
      - .offset:         208
        .size:           2
        .value_kind:     hidden_grid_dims
    .group_segment_fixed_size: 8192
    .kernarg_segment_align: 8
    .kernarg_segment_size: 400
    .language:       OpenCL C
    .language_version:
      - 2
      - 0
    .max_flat_workgroup_size: 256
    .name:           _Z39paged_attention_ll4mi_QKV_mfma16_kernelIDF16_hLN4vllm18Fp8KVCacheDataTypeE1EhLi32ELi128ELi256ELb1ELi16EEvPKT_PKT0_S7_ifPKiS9_S9_iPKfiiiPfSC_PS2_PT2_iSB_SB_
    .private_segment_fixed_size: 0
    .sgpr_count:     51
    .sgpr_spill_count: 0
    .symbol:         _Z39paged_attention_ll4mi_QKV_mfma16_kernelIDF16_hLN4vllm18Fp8KVCacheDataTypeE1EhLi32ELi128ELi256ELb1ELi16EEvPKT_PKT0_S7_ifPKiS9_S9_iPKfiiiPfSC_PS2_PT2_iSB_SB_.kd
    .uniform_work_group_size: 1
    .uses_dynamic_stack: false
    .vgpr_count:     84
    .vgpr_spill_count: 0
    .wavefront_size: 64
  - .agpr_count:     0
    .args:
      - .actual_access:  read_only
        .address_space:  global
        .offset:         0
        .size:           8
        .value_kind:     global_buffer
      - .actual_access:  read_only
        .address_space:  global
        .offset:         8
        .size:           8
        .value_kind:     global_buffer
      - .actual_access:  read_only
        .address_space:  global
        .offset:         16
        .size:           8
        .value_kind:     global_buffer
      - .offset:         24
        .size:           4
        .value_kind:     by_value
      - .offset:         28
        .size:           4
        .value_kind:     by_value
      - .actual_access:  read_only
        .address_space:  global
        .offset:         32
        .size:           8
        .value_kind:     global_buffer
      - .actual_access:  read_only
        .address_space:  global
        .offset:         40
        .size:           8
        .value_kind:     global_buffer
      - .actual_access:  read_only
        .address_space:  global
        .offset:         48
        .size:           8
        .value_kind:     global_buffer
      - .offset:         56
        .size:           4
        .value_kind:     by_value
      - .actual_access:  read_only
        .address_space:  global
        .offset:         64
        .size:           8
        .value_kind:     global_buffer
      - .offset:         72
        .size:           4
        .value_kind:     by_value
      - .offset:         76
        .size:           4
        .value_kind:     by_value
      - .offset:         80
        .size:           4
        .value_kind:     by_value
      - .actual_access:  write_only
        .address_space:  global
        .offset:         88
        .size:           8
        .value_kind:     global_buffer
      - .actual_access:  write_only
        .address_space:  global
        .offset:         96
        .size:           8
        .value_kind:     global_buffer
      - .actual_access:  write_only
        .address_space:  global
        .offset:         104
        .size:           8
        .value_kind:     global_buffer
      - .actual_access:  read_only
        .address_space:  global
        .offset:         112
        .size:           8
        .value_kind:     global_buffer
      - .offset:         120
        .size:           4
        .value_kind:     by_value
      - .address_space:  global
        .offset:         128
        .size:           8
        .value_kind:     global_buffer
      - .address_space:  global
        .offset:         136
        .size:           8
        .value_kind:     global_buffer
      - .offset:         144
        .size:           4
        .value_kind:     hidden_block_count_x
      - .offset:         148
        .size:           4
        .value_kind:     hidden_block_count_y
      - .offset:         152
        .size:           4
        .value_kind:     hidden_block_count_z
      - .offset:         156
        .size:           2
        .value_kind:     hidden_group_size_x
      - .offset:         158
        .size:           2
        .value_kind:     hidden_group_size_y
      - .offset:         160
        .size:           2
        .value_kind:     hidden_group_size_z
      - .offset:         162
        .size:           2
        .value_kind:     hidden_remainder_x
      - .offset:         164
        .size:           2
        .value_kind:     hidden_remainder_y
      - .offset:         166
        .size:           2
        .value_kind:     hidden_remainder_z
      - .offset:         184
        .size:           8
        .value_kind:     hidden_global_offset_x
      - .offset:         192
        .size:           8
        .value_kind:     hidden_global_offset_y
      - .offset:         200
        .size:           8
        .value_kind:     hidden_global_offset_z
      - .offset:         208
        .size:           2
        .value_kind:     hidden_grid_dims
    .group_segment_fixed_size: 8192
    .kernarg_segment_align: 8
    .kernarg_segment_size: 400
    .language:       OpenCL C
    .language_version:
      - 2
      - 0
    .max_flat_workgroup_size: 256
    .name:           _Z39paged_attention_ll4mi_QKV_mfma16_kernelIDF16_hLN4vllm18Fp8KVCacheDataTypeE1EhLi32ELi128ELi256ELb1ELi1EEvPKT_PKT0_S7_ifPKiS9_S9_iPKfiiiPfSC_PS2_PT2_iSB_SB_
    .private_segment_fixed_size: 0
    .sgpr_count:     54
    .sgpr_spill_count: 0
    .symbol:         _Z39paged_attention_ll4mi_QKV_mfma16_kernelIDF16_hLN4vllm18Fp8KVCacheDataTypeE1EhLi32ELi128ELi256ELb1ELi1EEvPKT_PKT0_S7_ifPKiS9_S9_iPKfiiiPfSC_PS2_PT2_iSB_SB_.kd
    .uniform_work_group_size: 1
    .uses_dynamic_stack: false
    .vgpr_count:     78
    .vgpr_spill_count: 0
    .wavefront_size: 64
  - .agpr_count:     0
    .args:
      - .actual_access:  read_only
        .address_space:  global
        .offset:         0
        .size:           8
        .value_kind:     global_buffer
      - .actual_access:  read_only
        .address_space:  global
        .offset:         8
        .size:           8
        .value_kind:     global_buffer
      - .actual_access:  read_only
        .address_space:  global
        .offset:         16
        .size:           8
        .value_kind:     global_buffer
      - .offset:         24
        .size:           4
        .value_kind:     by_value
      - .offset:         28
        .size:           4
        .value_kind:     by_value
      - .actual_access:  read_only
        .address_space:  global
        .offset:         32
        .size:           8
        .value_kind:     global_buffer
      - .actual_access:  read_only
        .address_space:  global
        .offset:         40
        .size:           8
        .value_kind:     global_buffer
      - .actual_access:  read_only
        .address_space:  global
        .offset:         48
        .size:           8
        .value_kind:     global_buffer
      - .offset:         56
        .size:           4
        .value_kind:     by_value
      - .actual_access:  read_only
        .address_space:  global
        .offset:         64
        .size:           8
        .value_kind:     global_buffer
      - .offset:         72
        .size:           4
        .value_kind:     by_value
      - .offset:         76
        .size:           4
        .value_kind:     by_value
      - .offset:         80
        .size:           4
        .value_kind:     by_value
      - .actual_access:  write_only
        .address_space:  global
        .offset:         88
        .size:           8
        .value_kind:     global_buffer
      - .actual_access:  write_only
        .address_space:  global
        .offset:         96
        .size:           8
        .value_kind:     global_buffer
      - .actual_access:  write_only
        .address_space:  global
        .offset:         104
        .size:           8
        .value_kind:     global_buffer
      - .actual_access:  read_only
        .address_space:  global
        .offset:         112
        .size:           8
        .value_kind:     global_buffer
      - .offset:         120
        .size:           4
        .value_kind:     by_value
      - .address_space:  global
        .offset:         128
        .size:           8
        .value_kind:     global_buffer
      - .address_space:  global
        .offset:         136
        .size:           8
        .value_kind:     global_buffer
      - .offset:         144
        .size:           4
        .value_kind:     hidden_block_count_x
      - .offset:         148
        .size:           4
        .value_kind:     hidden_block_count_y
      - .offset:         152
        .size:           4
        .value_kind:     hidden_block_count_z
      - .offset:         156
        .size:           2
        .value_kind:     hidden_group_size_x
      - .offset:         158
        .size:           2
        .value_kind:     hidden_group_size_y
      - .offset:         160
        .size:           2
        .value_kind:     hidden_group_size_z
      - .offset:         162
        .size:           2
        .value_kind:     hidden_remainder_x
      - .offset:         164
        .size:           2
        .value_kind:     hidden_remainder_y
      - .offset:         166
        .size:           2
        .value_kind:     hidden_remainder_z
      - .offset:         184
        .size:           8
        .value_kind:     hidden_global_offset_x
      - .offset:         192
        .size:           8
        .value_kind:     hidden_global_offset_y
      - .offset:         200
        .size:           8
        .value_kind:     hidden_global_offset_z
      - .offset:         208
        .size:           2
        .value_kind:     hidden_grid_dims
    .group_segment_fixed_size: 8192
    .kernarg_segment_align: 8
    .kernarg_segment_size: 400
    .language:       OpenCL C
    .language_version:
      - 2
      - 0
    .max_flat_workgroup_size: 256
    .name:           _Z39paged_attention_ll4mi_QKV_mfma16_kernelIDF16_hLN4vllm18Fp8KVCacheDataTypeE1EhLi32ELi128ELi256ELb1ELi2EEvPKT_PKT0_S7_ifPKiS9_S9_iPKfiiiPfSC_PS2_PT2_iSB_SB_
    .private_segment_fixed_size: 0
    .sgpr_count:     54
    .sgpr_spill_count: 0
    .symbol:         _Z39paged_attention_ll4mi_QKV_mfma16_kernelIDF16_hLN4vllm18Fp8KVCacheDataTypeE1EhLi32ELi128ELi256ELb1ELi2EEvPKT_PKT0_S7_ifPKiS9_S9_iPKfiiiPfSC_PS2_PT2_iSB_SB_.kd
    .uniform_work_group_size: 1
    .uses_dynamic_stack: false
    .vgpr_count:     78
    .vgpr_spill_count: 0
    .wavefront_size: 64
  - .agpr_count:     0
    .args:
      - .actual_access:  read_only
        .address_space:  global
        .offset:         0
        .size:           8
        .value_kind:     global_buffer
      - .actual_access:  read_only
        .address_space:  global
        .offset:         8
        .size:           8
        .value_kind:     global_buffer
      - .actual_access:  read_only
        .address_space:  global
        .offset:         16
        .size:           8
        .value_kind:     global_buffer
      - .offset:         24
        .size:           4
        .value_kind:     by_value
      - .offset:         28
        .size:           4
        .value_kind:     by_value
      - .actual_access:  read_only
        .address_space:  global
        .offset:         32
        .size:           8
        .value_kind:     global_buffer
      - .actual_access:  read_only
        .address_space:  global
        .offset:         40
        .size:           8
        .value_kind:     global_buffer
      - .actual_access:  read_only
        .address_space:  global
        .offset:         48
        .size:           8
        .value_kind:     global_buffer
      - .offset:         56
        .size:           4
        .value_kind:     by_value
      - .actual_access:  read_only
        .address_space:  global
        .offset:         64
        .size:           8
        .value_kind:     global_buffer
      - .offset:         72
        .size:           4
        .value_kind:     by_value
      - .offset:         76
        .size:           4
        .value_kind:     by_value
      - .offset:         80
        .size:           4
        .value_kind:     by_value
      - .actual_access:  write_only
        .address_space:  global
        .offset:         88
        .size:           8
        .value_kind:     global_buffer
      - .actual_access:  write_only
        .address_space:  global
        .offset:         96
        .size:           8
        .value_kind:     global_buffer
      - .actual_access:  write_only
        .address_space:  global
        .offset:         104
        .size:           8
        .value_kind:     global_buffer
      - .actual_access:  read_only
        .address_space:  global
        .offset:         112
        .size:           8
        .value_kind:     global_buffer
      - .offset:         120
        .size:           4
        .value_kind:     by_value
      - .address_space:  global
        .offset:         128
        .size:           8
        .value_kind:     global_buffer
      - .address_space:  global
        .offset:         136
        .size:           8
        .value_kind:     global_buffer
      - .offset:         144
        .size:           4
        .value_kind:     hidden_block_count_x
      - .offset:         148
        .size:           4
        .value_kind:     hidden_block_count_y
      - .offset:         152
        .size:           4
        .value_kind:     hidden_block_count_z
      - .offset:         156
        .size:           2
        .value_kind:     hidden_group_size_x
      - .offset:         158
        .size:           2
        .value_kind:     hidden_group_size_y
      - .offset:         160
        .size:           2
        .value_kind:     hidden_group_size_z
      - .offset:         162
        .size:           2
        .value_kind:     hidden_remainder_x
      - .offset:         164
        .size:           2
        .value_kind:     hidden_remainder_y
      - .offset:         166
        .size:           2
        .value_kind:     hidden_remainder_z
      - .offset:         184
        .size:           8
        .value_kind:     hidden_global_offset_x
      - .offset:         192
        .size:           8
        .value_kind:     hidden_global_offset_y
      - .offset:         200
        .size:           8
        .value_kind:     hidden_global_offset_z
      - .offset:         208
        .size:           2
        .value_kind:     hidden_grid_dims
    .group_segment_fixed_size: 8192
    .kernarg_segment_align: 8
    .kernarg_segment_size: 400
    .language:       OpenCL C
    .language_version:
      - 2
      - 0
    .max_flat_workgroup_size: 256
    .name:           _Z39paged_attention_ll4mi_QKV_mfma16_kernelIDF16_hLN4vllm18Fp8KVCacheDataTypeE1EhLi32ELi128ELi256ELb1ELi3EEvPKT_PKT0_S7_ifPKiS9_S9_iPKfiiiPfSC_PS2_PT2_iSB_SB_
    .private_segment_fixed_size: 0
    .sgpr_count:     56
    .sgpr_spill_count: 0
    .symbol:         _Z39paged_attention_ll4mi_QKV_mfma16_kernelIDF16_hLN4vllm18Fp8KVCacheDataTypeE1EhLi32ELi128ELi256ELb1ELi3EEvPKT_PKT0_S7_ifPKiS9_S9_iPKfiiiPfSC_PS2_PT2_iSB_SB_.kd
    .uniform_work_group_size: 1
    .uses_dynamic_stack: false
    .vgpr_count:     80
    .vgpr_spill_count: 0
    .wavefront_size: 64
  - .agpr_count:     0
    .args:
      - .actual_access:  read_only
        .address_space:  global
        .offset:         0
        .size:           8
        .value_kind:     global_buffer
      - .actual_access:  read_only
        .address_space:  global
        .offset:         8
        .size:           8
        .value_kind:     global_buffer
      - .actual_access:  read_only
        .address_space:  global
        .offset:         16
        .size:           8
        .value_kind:     global_buffer
      - .offset:         24
        .size:           4
        .value_kind:     by_value
      - .offset:         28
        .size:           4
        .value_kind:     by_value
      - .actual_access:  read_only
        .address_space:  global
        .offset:         32
        .size:           8
        .value_kind:     global_buffer
      - .actual_access:  read_only
        .address_space:  global
        .offset:         40
        .size:           8
        .value_kind:     global_buffer
      - .actual_access:  read_only
        .address_space:  global
        .offset:         48
        .size:           8
        .value_kind:     global_buffer
      - .offset:         56
        .size:           4
        .value_kind:     by_value
      - .actual_access:  read_only
        .address_space:  global
        .offset:         64
        .size:           8
        .value_kind:     global_buffer
      - .offset:         72
        .size:           4
        .value_kind:     by_value
      - .offset:         76
        .size:           4
        .value_kind:     by_value
      - .offset:         80
        .size:           4
        .value_kind:     by_value
      - .actual_access:  write_only
        .address_space:  global
        .offset:         88
        .size:           8
        .value_kind:     global_buffer
      - .actual_access:  write_only
        .address_space:  global
        .offset:         96
        .size:           8
        .value_kind:     global_buffer
      - .actual_access:  write_only
        .address_space:  global
        .offset:         104
        .size:           8
        .value_kind:     global_buffer
      - .actual_access:  read_only
        .address_space:  global
        .offset:         112
        .size:           8
        .value_kind:     global_buffer
      - .offset:         120
        .size:           4
        .value_kind:     by_value
      - .address_space:  global
        .offset:         128
        .size:           8
        .value_kind:     global_buffer
      - .address_space:  global
        .offset:         136
        .size:           8
        .value_kind:     global_buffer
      - .offset:         144
        .size:           4
        .value_kind:     hidden_block_count_x
      - .offset:         148
        .size:           4
        .value_kind:     hidden_block_count_y
      - .offset:         152
        .size:           4
        .value_kind:     hidden_block_count_z
      - .offset:         156
        .size:           2
        .value_kind:     hidden_group_size_x
      - .offset:         158
        .size:           2
        .value_kind:     hidden_group_size_y
      - .offset:         160
        .size:           2
        .value_kind:     hidden_group_size_z
      - .offset:         162
        .size:           2
        .value_kind:     hidden_remainder_x
      - .offset:         164
        .size:           2
        .value_kind:     hidden_remainder_y
      - .offset:         166
        .size:           2
        .value_kind:     hidden_remainder_z
      - .offset:         184
        .size:           8
        .value_kind:     hidden_global_offset_x
      - .offset:         192
        .size:           8
        .value_kind:     hidden_global_offset_y
      - .offset:         200
        .size:           8
        .value_kind:     hidden_global_offset_z
      - .offset:         208
        .size:           2
        .value_kind:     hidden_grid_dims
    .group_segment_fixed_size: 8192
    .kernarg_segment_align: 8
    .kernarg_segment_size: 400
    .language:       OpenCL C
    .language_version:
      - 2
      - 0
    .max_flat_workgroup_size: 256
    .name:           _Z39paged_attention_ll4mi_QKV_mfma16_kernelIDF16_hLN4vllm18Fp8KVCacheDataTypeE1EhLi32ELi128ELi256ELb1ELi4EEvPKT_PKT0_S7_ifPKiS9_S9_iPKfiiiPfSC_PS2_PT2_iSB_SB_
    .private_segment_fixed_size: 0
    .sgpr_count:     54
    .sgpr_spill_count: 0
    .symbol:         _Z39paged_attention_ll4mi_QKV_mfma16_kernelIDF16_hLN4vllm18Fp8KVCacheDataTypeE1EhLi32ELi128ELi256ELb1ELi4EEvPKT_PKT0_S7_ifPKiS9_S9_iPKfiiiPfSC_PS2_PT2_iSB_SB_.kd
    .uniform_work_group_size: 1
    .uses_dynamic_stack: false
    .vgpr_count:     80
    .vgpr_spill_count: 0
    .wavefront_size: 64
  - .agpr_count:     4
    .args:
      - .actual_access:  read_only
        .address_space:  global
        .offset:         0
        .size:           8
        .value_kind:     global_buffer
      - .actual_access:  read_only
        .address_space:  global
        .offset:         8
        .size:           8
        .value_kind:     global_buffer
      - .actual_access:  read_only
        .address_space:  global
        .offset:         16
        .size:           8
        .value_kind:     global_buffer
      - .offset:         24
        .size:           4
        .value_kind:     by_value
      - .offset:         28
        .size:           4
        .value_kind:     by_value
      - .actual_access:  read_only
        .address_space:  global
        .offset:         32
        .size:           8
        .value_kind:     global_buffer
      - .actual_access:  read_only
        .address_space:  global
        .offset:         40
        .size:           8
        .value_kind:     global_buffer
      - .actual_access:  read_only
        .address_space:  global
        .offset:         48
        .size:           8
        .value_kind:     global_buffer
      - .offset:         56
        .size:           4
        .value_kind:     by_value
      - .actual_access:  read_only
        .address_space:  global
        .offset:         64
        .size:           8
        .value_kind:     global_buffer
      - .offset:         72
        .size:           4
        .value_kind:     by_value
      - .offset:         76
        .size:           4
        .value_kind:     by_value
      - .offset:         80
        .size:           4
        .value_kind:     by_value
      - .actual_access:  write_only
        .address_space:  global
        .offset:         88
        .size:           8
        .value_kind:     global_buffer
      - .actual_access:  write_only
        .address_space:  global
        .offset:         96
        .size:           8
        .value_kind:     global_buffer
      - .actual_access:  write_only
        .address_space:  global
        .offset:         104
        .size:           8
        .value_kind:     global_buffer
      - .actual_access:  read_only
        .address_space:  global
        .offset:         112
        .size:           8
        .value_kind:     global_buffer
      - .offset:         120
        .size:           4
        .value_kind:     by_value
      - .address_space:  global
        .offset:         128
        .size:           8
        .value_kind:     global_buffer
      - .address_space:  global
        .offset:         136
        .size:           8
        .value_kind:     global_buffer
      - .offset:         144
        .size:           4
        .value_kind:     hidden_block_count_x
      - .offset:         148
        .size:           4
        .value_kind:     hidden_block_count_y
      - .offset:         152
        .size:           4
        .value_kind:     hidden_block_count_z
      - .offset:         156
        .size:           2
        .value_kind:     hidden_group_size_x
      - .offset:         158
        .size:           2
        .value_kind:     hidden_group_size_y
      - .offset:         160
        .size:           2
        .value_kind:     hidden_group_size_z
      - .offset:         162
        .size:           2
        .value_kind:     hidden_remainder_x
      - .offset:         164
        .size:           2
        .value_kind:     hidden_remainder_y
      - .offset:         166
        .size:           2
        .value_kind:     hidden_remainder_z
      - .offset:         184
        .size:           8
        .value_kind:     hidden_global_offset_x
      - .offset:         192
        .size:           8
        .value_kind:     hidden_global_offset_y
      - .offset:         200
        .size:           8
        .value_kind:     hidden_global_offset_z
      - .offset:         208
        .size:           2
        .value_kind:     hidden_grid_dims
    .group_segment_fixed_size: 5280
    .kernarg_segment_align: 8
    .kernarg_segment_size: 400
    .language:       OpenCL C
    .language_version:
      - 2
      - 0
    .max_flat_workgroup_size: 256
    .name:           _Z38paged_attention_ll4mi_QKV_mfma4_kernelIDF16_hLN4vllm18Fp8KVCacheDataTypeE1EhLi32ELi128ELi256ELb0ELi1EEvPKT_PKT0_S7_ifPKiS9_S9_iPKfiiiPfSC_PS2_PT2_iSB_SB_
    .private_segment_fixed_size: 0
    .sgpr_count:     48
    .sgpr_spill_count: 0
    .symbol:         _Z38paged_attention_ll4mi_QKV_mfma4_kernelIDF16_hLN4vllm18Fp8KVCacheDataTypeE1EhLi32ELi128ELi256ELb0ELi1EEvPKT_PKT0_S7_ifPKiS9_S9_iPKfiiiPfSC_PS2_PT2_iSB_SB_.kd
    .uniform_work_group_size: 1
    .uses_dynamic_stack: false
    .vgpr_count:     112
    .vgpr_spill_count: 0
    .wavefront_size: 64
  - .agpr_count:     4
    .args:
      - .actual_access:  read_only
        .address_space:  global
        .offset:         0
        .size:           8
        .value_kind:     global_buffer
      - .actual_access:  read_only
        .address_space:  global
        .offset:         8
        .size:           8
        .value_kind:     global_buffer
      - .actual_access:  read_only
        .address_space:  global
        .offset:         16
        .size:           8
        .value_kind:     global_buffer
      - .offset:         24
        .size:           4
        .value_kind:     by_value
      - .offset:         28
        .size:           4
        .value_kind:     by_value
      - .actual_access:  read_only
        .address_space:  global
        .offset:         32
        .size:           8
        .value_kind:     global_buffer
      - .actual_access:  read_only
        .address_space:  global
        .offset:         40
        .size:           8
        .value_kind:     global_buffer
      - .actual_access:  read_only
        .address_space:  global
        .offset:         48
        .size:           8
        .value_kind:     global_buffer
      - .offset:         56
        .size:           4
        .value_kind:     by_value
      - .actual_access:  read_only
        .address_space:  global
        .offset:         64
        .size:           8
        .value_kind:     global_buffer
      - .offset:         72
        .size:           4
        .value_kind:     by_value
      - .offset:         76
        .size:           4
        .value_kind:     by_value
      - .offset:         80
        .size:           4
        .value_kind:     by_value
      - .actual_access:  write_only
        .address_space:  global
        .offset:         88
        .size:           8
        .value_kind:     global_buffer
      - .actual_access:  write_only
        .address_space:  global
        .offset:         96
        .size:           8
        .value_kind:     global_buffer
      - .actual_access:  write_only
        .address_space:  global
        .offset:         104
        .size:           8
        .value_kind:     global_buffer
      - .actual_access:  read_only
        .address_space:  global
        .offset:         112
        .size:           8
        .value_kind:     global_buffer
      - .offset:         120
        .size:           4
        .value_kind:     by_value
      - .address_space:  global
        .offset:         128
        .size:           8
        .value_kind:     global_buffer
      - .address_space:  global
        .offset:         136
        .size:           8
        .value_kind:     global_buffer
      - .offset:         144
        .size:           4
        .value_kind:     hidden_block_count_x
      - .offset:         148
        .size:           4
        .value_kind:     hidden_block_count_y
      - .offset:         152
        .size:           4
        .value_kind:     hidden_block_count_z
      - .offset:         156
        .size:           2
        .value_kind:     hidden_group_size_x
      - .offset:         158
        .size:           2
        .value_kind:     hidden_group_size_y
      - .offset:         160
        .size:           2
        .value_kind:     hidden_group_size_z
      - .offset:         162
        .size:           2
        .value_kind:     hidden_remainder_x
      - .offset:         164
        .size:           2
        .value_kind:     hidden_remainder_y
      - .offset:         166
        .size:           2
        .value_kind:     hidden_remainder_z
      - .offset:         184
        .size:           8
        .value_kind:     hidden_global_offset_x
      - .offset:         192
        .size:           8
        .value_kind:     hidden_global_offset_y
      - .offset:         200
        .size:           8
        .value_kind:     hidden_global_offset_z
      - .offset:         208
        .size:           2
        .value_kind:     hidden_grid_dims
    .group_segment_fixed_size: 5280
    .kernarg_segment_align: 8
    .kernarg_segment_size: 400
    .language:       OpenCL C
    .language_version:
      - 2
      - 0
    .max_flat_workgroup_size: 256
    .name:           _Z38paged_attention_ll4mi_QKV_mfma4_kernelIDF16_hLN4vllm18Fp8KVCacheDataTypeE1EhLi32ELi128ELi256ELb0ELi2EEvPKT_PKT0_S7_ifPKiS9_S9_iPKfiiiPfSC_PS2_PT2_iSB_SB_
    .private_segment_fixed_size: 0
    .sgpr_count:     48
    .sgpr_spill_count: 0
    .symbol:         _Z38paged_attention_ll4mi_QKV_mfma4_kernelIDF16_hLN4vllm18Fp8KVCacheDataTypeE1EhLi32ELi128ELi256ELb0ELi2EEvPKT_PKT0_S7_ifPKiS9_S9_iPKfiiiPfSC_PS2_PT2_iSB_SB_.kd
    .uniform_work_group_size: 1
    .uses_dynamic_stack: false
    .vgpr_count:     108
    .vgpr_spill_count: 0
    .wavefront_size: 64
  - .agpr_count:     4
    .args:
      - .actual_access:  read_only
        .address_space:  global
        .offset:         0
        .size:           8
        .value_kind:     global_buffer
      - .actual_access:  read_only
        .address_space:  global
        .offset:         8
        .size:           8
        .value_kind:     global_buffer
      - .actual_access:  read_only
        .address_space:  global
        .offset:         16
        .size:           8
        .value_kind:     global_buffer
      - .offset:         24
        .size:           4
        .value_kind:     by_value
      - .offset:         28
        .size:           4
        .value_kind:     by_value
      - .actual_access:  read_only
        .address_space:  global
        .offset:         32
        .size:           8
        .value_kind:     global_buffer
      - .actual_access:  read_only
        .address_space:  global
        .offset:         40
        .size:           8
        .value_kind:     global_buffer
      - .actual_access:  read_only
        .address_space:  global
        .offset:         48
        .size:           8
        .value_kind:     global_buffer
      - .offset:         56
        .size:           4
        .value_kind:     by_value
      - .actual_access:  read_only
        .address_space:  global
        .offset:         64
        .size:           8
        .value_kind:     global_buffer
      - .offset:         72
        .size:           4
        .value_kind:     by_value
      - .offset:         76
        .size:           4
        .value_kind:     by_value
      - .offset:         80
        .size:           4
        .value_kind:     by_value
      - .actual_access:  write_only
        .address_space:  global
        .offset:         88
        .size:           8
        .value_kind:     global_buffer
      - .actual_access:  write_only
        .address_space:  global
        .offset:         96
        .size:           8
        .value_kind:     global_buffer
      - .actual_access:  write_only
        .address_space:  global
        .offset:         104
        .size:           8
        .value_kind:     global_buffer
      - .actual_access:  read_only
        .address_space:  global
        .offset:         112
        .size:           8
        .value_kind:     global_buffer
      - .offset:         120
        .size:           4
        .value_kind:     by_value
      - .address_space:  global
        .offset:         128
        .size:           8
        .value_kind:     global_buffer
      - .address_space:  global
        .offset:         136
        .size:           8
        .value_kind:     global_buffer
      - .offset:         144
        .size:           4
        .value_kind:     hidden_block_count_x
      - .offset:         148
        .size:           4
        .value_kind:     hidden_block_count_y
      - .offset:         152
        .size:           4
        .value_kind:     hidden_block_count_z
      - .offset:         156
        .size:           2
        .value_kind:     hidden_group_size_x
      - .offset:         158
        .size:           2
        .value_kind:     hidden_group_size_y
      - .offset:         160
        .size:           2
        .value_kind:     hidden_group_size_z
      - .offset:         162
        .size:           2
        .value_kind:     hidden_remainder_x
      - .offset:         164
        .size:           2
        .value_kind:     hidden_remainder_y
      - .offset:         166
        .size:           2
        .value_kind:     hidden_remainder_z
      - .offset:         184
        .size:           8
        .value_kind:     hidden_global_offset_x
      - .offset:         192
        .size:           8
        .value_kind:     hidden_global_offset_y
      - .offset:         200
        .size:           8
        .value_kind:     hidden_global_offset_z
      - .offset:         208
        .size:           2
        .value_kind:     hidden_grid_dims
    .group_segment_fixed_size: 5280
    .kernarg_segment_align: 8
    .kernarg_segment_size: 400
    .language:       OpenCL C
    .language_version:
      - 2
      - 0
    .max_flat_workgroup_size: 256
    .name:           _Z38paged_attention_ll4mi_QKV_mfma4_kernelIDF16_hLN4vllm18Fp8KVCacheDataTypeE1EhLi32ELi128ELi256ELb0ELi3EEvPKT_PKT0_S7_ifPKiS9_S9_iPKfiiiPfSC_PS2_PT2_iSB_SB_
    .private_segment_fixed_size: 0
    .sgpr_count:     48
    .sgpr_spill_count: 0
    .symbol:         _Z38paged_attention_ll4mi_QKV_mfma4_kernelIDF16_hLN4vllm18Fp8KVCacheDataTypeE1EhLi32ELi128ELi256ELb0ELi3EEvPKT_PKT0_S7_ifPKiS9_S9_iPKfiiiPfSC_PS2_PT2_iSB_SB_.kd
    .uniform_work_group_size: 1
    .uses_dynamic_stack: false
    .vgpr_count:     112
    .vgpr_spill_count: 0
    .wavefront_size: 64
  - .agpr_count:     4
    .args:
      - .actual_access:  read_only
        .address_space:  global
        .offset:         0
        .size:           8
        .value_kind:     global_buffer
      - .actual_access:  read_only
        .address_space:  global
        .offset:         8
        .size:           8
        .value_kind:     global_buffer
      - .actual_access:  read_only
        .address_space:  global
        .offset:         16
        .size:           8
        .value_kind:     global_buffer
      - .offset:         24
        .size:           4
        .value_kind:     by_value
      - .offset:         28
        .size:           4
        .value_kind:     by_value
      - .actual_access:  read_only
        .address_space:  global
        .offset:         32
        .size:           8
        .value_kind:     global_buffer
      - .actual_access:  read_only
        .address_space:  global
        .offset:         40
        .size:           8
        .value_kind:     global_buffer
      - .actual_access:  read_only
        .address_space:  global
        .offset:         48
        .size:           8
        .value_kind:     global_buffer
      - .offset:         56
        .size:           4
        .value_kind:     by_value
      - .actual_access:  read_only
        .address_space:  global
        .offset:         64
        .size:           8
        .value_kind:     global_buffer
      - .offset:         72
        .size:           4
        .value_kind:     by_value
      - .offset:         76
        .size:           4
        .value_kind:     by_value
      - .offset:         80
        .size:           4
        .value_kind:     by_value
      - .actual_access:  write_only
        .address_space:  global
        .offset:         88
        .size:           8
        .value_kind:     global_buffer
      - .actual_access:  write_only
        .address_space:  global
        .offset:         96
        .size:           8
        .value_kind:     global_buffer
      - .actual_access:  write_only
        .address_space:  global
        .offset:         104
        .size:           8
        .value_kind:     global_buffer
      - .actual_access:  read_only
        .address_space:  global
        .offset:         112
        .size:           8
        .value_kind:     global_buffer
      - .offset:         120
        .size:           4
        .value_kind:     by_value
      - .address_space:  global
        .offset:         128
        .size:           8
        .value_kind:     global_buffer
      - .address_space:  global
        .offset:         136
        .size:           8
        .value_kind:     global_buffer
      - .offset:         144
        .size:           4
        .value_kind:     hidden_block_count_x
      - .offset:         148
        .size:           4
        .value_kind:     hidden_block_count_y
      - .offset:         152
        .size:           4
        .value_kind:     hidden_block_count_z
      - .offset:         156
        .size:           2
        .value_kind:     hidden_group_size_x
      - .offset:         158
        .size:           2
        .value_kind:     hidden_group_size_y
      - .offset:         160
        .size:           2
        .value_kind:     hidden_group_size_z
      - .offset:         162
        .size:           2
        .value_kind:     hidden_remainder_x
      - .offset:         164
        .size:           2
        .value_kind:     hidden_remainder_y
      - .offset:         166
        .size:           2
        .value_kind:     hidden_remainder_z
      - .offset:         184
        .size:           8
        .value_kind:     hidden_global_offset_x
      - .offset:         192
        .size:           8
        .value_kind:     hidden_global_offset_y
      - .offset:         200
        .size:           8
        .value_kind:     hidden_global_offset_z
      - .offset:         208
        .size:           2
        .value_kind:     hidden_grid_dims
    .group_segment_fixed_size: 5280
    .kernarg_segment_align: 8
    .kernarg_segment_size: 400
    .language:       OpenCL C
    .language_version:
      - 2
      - 0
    .max_flat_workgroup_size: 256
    .name:           _Z38paged_attention_ll4mi_QKV_mfma4_kernelIDF16_hLN4vllm18Fp8KVCacheDataTypeE1EhLi32ELi128ELi256ELb0ELi4EEvPKT_PKT0_S7_ifPKiS9_S9_iPKfiiiPfSC_PS2_PT2_iSB_SB_
    .private_segment_fixed_size: 0
    .sgpr_count:     48
    .sgpr_spill_count: 0
    .symbol:         _Z38paged_attention_ll4mi_QKV_mfma4_kernelIDF16_hLN4vllm18Fp8KVCacheDataTypeE1EhLi32ELi128ELi256ELb0ELi4EEvPKT_PKT0_S7_ifPKiS9_S9_iPKfiiiPfSC_PS2_PT2_iSB_SB_.kd
    .uniform_work_group_size: 1
    .uses_dynamic_stack: false
    .vgpr_count:     96
    .vgpr_spill_count: 0
    .wavefront_size: 64
  - .agpr_count:     0
    .args:
      - .actual_access:  read_only
        .address_space:  global
        .offset:         0
        .size:           8
        .value_kind:     global_buffer
      - .actual_access:  read_only
        .address_space:  global
        .offset:         8
        .size:           8
        .value_kind:     global_buffer
      - .actual_access:  read_only
        .address_space:  global
        .offset:         16
        .size:           8
        .value_kind:     global_buffer
      - .offset:         24
        .size:           4
        .value_kind:     by_value
      - .offset:         28
        .size:           4
        .value_kind:     by_value
      - .actual_access:  read_only
        .address_space:  global
        .offset:         32
        .size:           8
        .value_kind:     global_buffer
      - .actual_access:  read_only
        .address_space:  global
        .offset:         40
        .size:           8
        .value_kind:     global_buffer
      - .actual_access:  read_only
        .address_space:  global
        .offset:         48
        .size:           8
        .value_kind:     global_buffer
      - .offset:         56
        .size:           4
        .value_kind:     by_value
      - .actual_access:  read_only
        .address_space:  global
        .offset:         64
        .size:           8
        .value_kind:     global_buffer
      - .offset:         72
        .size:           4
        .value_kind:     by_value
      - .offset:         76
        .size:           4
        .value_kind:     by_value
      - .offset:         80
        .size:           4
        .value_kind:     by_value
      - .actual_access:  write_only
        .address_space:  global
        .offset:         88
        .size:           8
        .value_kind:     global_buffer
      - .actual_access:  write_only
        .address_space:  global
        .offset:         96
        .size:           8
        .value_kind:     global_buffer
      - .actual_access:  write_only
        .address_space:  global
        .offset:         104
        .size:           8
        .value_kind:     global_buffer
      - .actual_access:  read_only
        .address_space:  global
        .offset:         112
        .size:           8
        .value_kind:     global_buffer
      - .offset:         120
        .size:           4
        .value_kind:     by_value
      - .address_space:  global
        .offset:         128
        .size:           8
        .value_kind:     global_buffer
      - .address_space:  global
        .offset:         136
        .size:           8
        .value_kind:     global_buffer
      - .offset:         144
        .size:           4
        .value_kind:     hidden_block_count_x
      - .offset:         148
        .size:           4
        .value_kind:     hidden_block_count_y
      - .offset:         152
        .size:           4
        .value_kind:     hidden_block_count_z
      - .offset:         156
        .size:           2
        .value_kind:     hidden_group_size_x
      - .offset:         158
        .size:           2
        .value_kind:     hidden_group_size_y
      - .offset:         160
        .size:           2
        .value_kind:     hidden_group_size_z
      - .offset:         162
        .size:           2
        .value_kind:     hidden_remainder_x
      - .offset:         164
        .size:           2
        .value_kind:     hidden_remainder_y
      - .offset:         166
        .size:           2
        .value_kind:     hidden_remainder_z
      - .offset:         184
        .size:           8
        .value_kind:     hidden_global_offset_x
      - .offset:         192
        .size:           8
        .value_kind:     hidden_global_offset_y
      - .offset:         200
        .size:           8
        .value_kind:     hidden_global_offset_z
      - .offset:         208
        .size:           2
        .value_kind:     hidden_grid_dims
    .group_segment_fixed_size: 8192
    .kernarg_segment_align: 8
    .kernarg_segment_size: 400
    .language:       OpenCL C
    .language_version:
      - 2
      - 0
    .max_flat_workgroup_size: 256
    .name:           _Z39paged_attention_ll4mi_QKV_mfma16_kernelIDF16_hLN4vllm18Fp8KVCacheDataTypeE1EhLi32ELi128ELi256ELb0ELi5EEvPKT_PKT0_S7_ifPKiS9_S9_iPKfiiiPfSC_PS2_PT2_iSB_SB_
    .private_segment_fixed_size: 0
    .sgpr_count:     56
    .sgpr_spill_count: 0
    .symbol:         _Z39paged_attention_ll4mi_QKV_mfma16_kernelIDF16_hLN4vllm18Fp8KVCacheDataTypeE1EhLi32ELi128ELi256ELb0ELi5EEvPKT_PKT0_S7_ifPKiS9_S9_iPKfiiiPfSC_PS2_PT2_iSB_SB_.kd
    .uniform_work_group_size: 1
    .uses_dynamic_stack: false
    .vgpr_count:     80
    .vgpr_spill_count: 0
    .wavefront_size: 64
  - .agpr_count:     0
    .args:
      - .actual_access:  read_only
        .address_space:  global
        .offset:         0
        .size:           8
        .value_kind:     global_buffer
      - .actual_access:  read_only
        .address_space:  global
        .offset:         8
        .size:           8
        .value_kind:     global_buffer
      - .actual_access:  read_only
        .address_space:  global
        .offset:         16
        .size:           8
        .value_kind:     global_buffer
      - .offset:         24
        .size:           4
        .value_kind:     by_value
      - .offset:         28
        .size:           4
        .value_kind:     by_value
      - .actual_access:  read_only
        .address_space:  global
        .offset:         32
        .size:           8
        .value_kind:     global_buffer
      - .actual_access:  read_only
        .address_space:  global
        .offset:         40
        .size:           8
        .value_kind:     global_buffer
      - .actual_access:  read_only
        .address_space:  global
        .offset:         48
        .size:           8
        .value_kind:     global_buffer
      - .offset:         56
        .size:           4
        .value_kind:     by_value
      - .actual_access:  read_only
        .address_space:  global
        .offset:         64
        .size:           8
        .value_kind:     global_buffer
      - .offset:         72
        .size:           4
        .value_kind:     by_value
      - .offset:         76
        .size:           4
        .value_kind:     by_value
      - .offset:         80
        .size:           4
        .value_kind:     by_value
      - .actual_access:  write_only
        .address_space:  global
        .offset:         88
        .size:           8
        .value_kind:     global_buffer
      - .actual_access:  write_only
        .address_space:  global
        .offset:         96
        .size:           8
        .value_kind:     global_buffer
      - .actual_access:  write_only
        .address_space:  global
        .offset:         104
        .size:           8
        .value_kind:     global_buffer
      - .actual_access:  read_only
        .address_space:  global
        .offset:         112
        .size:           8
        .value_kind:     global_buffer
      - .offset:         120
        .size:           4
        .value_kind:     by_value
      - .address_space:  global
        .offset:         128
        .size:           8
        .value_kind:     global_buffer
      - .address_space:  global
        .offset:         136
        .size:           8
        .value_kind:     global_buffer
      - .offset:         144
        .size:           4
        .value_kind:     hidden_block_count_x
      - .offset:         148
        .size:           4
        .value_kind:     hidden_block_count_y
      - .offset:         152
        .size:           4
        .value_kind:     hidden_block_count_z
      - .offset:         156
        .size:           2
        .value_kind:     hidden_group_size_x
      - .offset:         158
        .size:           2
        .value_kind:     hidden_group_size_y
      - .offset:         160
        .size:           2
        .value_kind:     hidden_group_size_z
      - .offset:         162
        .size:           2
        .value_kind:     hidden_remainder_x
      - .offset:         164
        .size:           2
        .value_kind:     hidden_remainder_y
      - .offset:         166
        .size:           2
        .value_kind:     hidden_remainder_z
      - .offset:         184
        .size:           8
        .value_kind:     hidden_global_offset_x
      - .offset:         192
        .size:           8
        .value_kind:     hidden_global_offset_y
      - .offset:         200
        .size:           8
        .value_kind:     hidden_global_offset_z
      - .offset:         208
        .size:           2
        .value_kind:     hidden_grid_dims
    .group_segment_fixed_size: 8192
    .kernarg_segment_align: 8
    .kernarg_segment_size: 400
    .language:       OpenCL C
    .language_version:
      - 2
      - 0
    .max_flat_workgroup_size: 256
    .name:           _Z39paged_attention_ll4mi_QKV_mfma16_kernelIDF16_hLN4vllm18Fp8KVCacheDataTypeE1EhLi32ELi128ELi256ELb0ELi6EEvPKT_PKT0_S7_ifPKiS9_S9_iPKfiiiPfSC_PS2_PT2_iSB_SB_
    .private_segment_fixed_size: 0
    .sgpr_count:     56
    .sgpr_spill_count: 0
    .symbol:         _Z39paged_attention_ll4mi_QKV_mfma16_kernelIDF16_hLN4vllm18Fp8KVCacheDataTypeE1EhLi32ELi128ELi256ELb0ELi6EEvPKT_PKT0_S7_ifPKiS9_S9_iPKfiiiPfSC_PS2_PT2_iSB_SB_.kd
    .uniform_work_group_size: 1
    .uses_dynamic_stack: false
    .vgpr_count:     80
    .vgpr_spill_count: 0
    .wavefront_size: 64
  - .agpr_count:     0
    .args:
      - .actual_access:  read_only
        .address_space:  global
        .offset:         0
        .size:           8
        .value_kind:     global_buffer
      - .actual_access:  read_only
        .address_space:  global
        .offset:         8
        .size:           8
        .value_kind:     global_buffer
      - .actual_access:  read_only
        .address_space:  global
        .offset:         16
        .size:           8
        .value_kind:     global_buffer
      - .offset:         24
        .size:           4
        .value_kind:     by_value
      - .offset:         28
        .size:           4
        .value_kind:     by_value
      - .actual_access:  read_only
        .address_space:  global
        .offset:         32
        .size:           8
        .value_kind:     global_buffer
      - .actual_access:  read_only
        .address_space:  global
        .offset:         40
        .size:           8
        .value_kind:     global_buffer
      - .actual_access:  read_only
        .address_space:  global
        .offset:         48
        .size:           8
        .value_kind:     global_buffer
      - .offset:         56
        .size:           4
        .value_kind:     by_value
      - .actual_access:  read_only
        .address_space:  global
        .offset:         64
        .size:           8
        .value_kind:     global_buffer
      - .offset:         72
        .size:           4
        .value_kind:     by_value
      - .offset:         76
        .size:           4
        .value_kind:     by_value
      - .offset:         80
        .size:           4
        .value_kind:     by_value
      - .actual_access:  write_only
        .address_space:  global
        .offset:         88
        .size:           8
        .value_kind:     global_buffer
      - .actual_access:  write_only
        .address_space:  global
        .offset:         96
        .size:           8
        .value_kind:     global_buffer
      - .actual_access:  write_only
        .address_space:  global
        .offset:         104
        .size:           8
        .value_kind:     global_buffer
      - .actual_access:  read_only
        .address_space:  global
        .offset:         112
        .size:           8
        .value_kind:     global_buffer
      - .offset:         120
        .size:           4
        .value_kind:     by_value
      - .address_space:  global
        .offset:         128
        .size:           8
        .value_kind:     global_buffer
      - .address_space:  global
        .offset:         136
        .size:           8
        .value_kind:     global_buffer
      - .offset:         144
        .size:           4
        .value_kind:     hidden_block_count_x
      - .offset:         148
        .size:           4
        .value_kind:     hidden_block_count_y
      - .offset:         152
        .size:           4
        .value_kind:     hidden_block_count_z
      - .offset:         156
        .size:           2
        .value_kind:     hidden_group_size_x
      - .offset:         158
        .size:           2
        .value_kind:     hidden_group_size_y
      - .offset:         160
        .size:           2
        .value_kind:     hidden_group_size_z
      - .offset:         162
        .size:           2
        .value_kind:     hidden_remainder_x
      - .offset:         164
        .size:           2
        .value_kind:     hidden_remainder_y
      - .offset:         166
        .size:           2
        .value_kind:     hidden_remainder_z
      - .offset:         184
        .size:           8
        .value_kind:     hidden_global_offset_x
      - .offset:         192
        .size:           8
        .value_kind:     hidden_global_offset_y
      - .offset:         200
        .size:           8
        .value_kind:     hidden_global_offset_z
      - .offset:         208
        .size:           2
        .value_kind:     hidden_grid_dims
    .group_segment_fixed_size: 8192
    .kernarg_segment_align: 8
    .kernarg_segment_size: 400
    .language:       OpenCL C
    .language_version:
      - 2
      - 0
    .max_flat_workgroup_size: 256
    .name:           _Z39paged_attention_ll4mi_QKV_mfma16_kernelIDF16_hLN4vllm18Fp8KVCacheDataTypeE1EhLi32ELi128ELi256ELb0ELi7EEvPKT_PKT0_S7_ifPKiS9_S9_iPKfiiiPfSC_PS2_PT2_iSB_SB_
    .private_segment_fixed_size: 0
    .sgpr_count:     56
    .sgpr_spill_count: 0
    .symbol:         _Z39paged_attention_ll4mi_QKV_mfma16_kernelIDF16_hLN4vllm18Fp8KVCacheDataTypeE1EhLi32ELi128ELi256ELb0ELi7EEvPKT_PKT0_S7_ifPKiS9_S9_iPKfiiiPfSC_PS2_PT2_iSB_SB_.kd
    .uniform_work_group_size: 1
    .uses_dynamic_stack: false
    .vgpr_count:     80
    .vgpr_spill_count: 0
    .wavefront_size: 64
  - .agpr_count:     0
    .args:
      - .actual_access:  read_only
        .address_space:  global
        .offset:         0
        .size:           8
        .value_kind:     global_buffer
      - .actual_access:  read_only
        .address_space:  global
        .offset:         8
        .size:           8
        .value_kind:     global_buffer
      - .actual_access:  read_only
        .address_space:  global
        .offset:         16
        .size:           8
        .value_kind:     global_buffer
      - .offset:         24
        .size:           4
        .value_kind:     by_value
      - .offset:         28
        .size:           4
        .value_kind:     by_value
      - .actual_access:  read_only
        .address_space:  global
        .offset:         32
        .size:           8
        .value_kind:     global_buffer
      - .actual_access:  read_only
        .address_space:  global
        .offset:         40
        .size:           8
        .value_kind:     global_buffer
      - .actual_access:  read_only
        .address_space:  global
        .offset:         48
        .size:           8
        .value_kind:     global_buffer
      - .offset:         56
        .size:           4
        .value_kind:     by_value
      - .actual_access:  read_only
        .address_space:  global
        .offset:         64
        .size:           8
        .value_kind:     global_buffer
      - .offset:         72
        .size:           4
        .value_kind:     by_value
      - .offset:         76
        .size:           4
        .value_kind:     by_value
      - .offset:         80
        .size:           4
        .value_kind:     by_value
      - .actual_access:  write_only
        .address_space:  global
        .offset:         88
        .size:           8
        .value_kind:     global_buffer
      - .actual_access:  write_only
        .address_space:  global
        .offset:         96
        .size:           8
        .value_kind:     global_buffer
      - .actual_access:  write_only
        .address_space:  global
        .offset:         104
        .size:           8
        .value_kind:     global_buffer
      - .actual_access:  read_only
        .address_space:  global
        .offset:         112
        .size:           8
        .value_kind:     global_buffer
      - .offset:         120
        .size:           4
        .value_kind:     by_value
      - .address_space:  global
        .offset:         128
        .size:           8
        .value_kind:     global_buffer
      - .address_space:  global
        .offset:         136
        .size:           8
        .value_kind:     global_buffer
      - .offset:         144
        .size:           4
        .value_kind:     hidden_block_count_x
      - .offset:         148
        .size:           4
        .value_kind:     hidden_block_count_y
      - .offset:         152
        .size:           4
        .value_kind:     hidden_block_count_z
      - .offset:         156
        .size:           2
        .value_kind:     hidden_group_size_x
      - .offset:         158
        .size:           2
        .value_kind:     hidden_group_size_y
      - .offset:         160
        .size:           2
        .value_kind:     hidden_group_size_z
      - .offset:         162
        .size:           2
        .value_kind:     hidden_remainder_x
      - .offset:         164
        .size:           2
        .value_kind:     hidden_remainder_y
      - .offset:         166
        .size:           2
        .value_kind:     hidden_remainder_z
      - .offset:         184
        .size:           8
        .value_kind:     hidden_global_offset_x
      - .offset:         192
        .size:           8
        .value_kind:     hidden_global_offset_y
      - .offset:         200
        .size:           8
        .value_kind:     hidden_global_offset_z
      - .offset:         208
        .size:           2
        .value_kind:     hidden_grid_dims
    .group_segment_fixed_size: 8192
    .kernarg_segment_align: 8
    .kernarg_segment_size: 400
    .language:       OpenCL C
    .language_version:
      - 2
      - 0
    .max_flat_workgroup_size: 256
    .name:           _Z39paged_attention_ll4mi_QKV_mfma16_kernelIDF16_hLN4vllm18Fp8KVCacheDataTypeE1EhLi32ELi128ELi256ELb0ELi8EEvPKT_PKT0_S7_ifPKiS9_S9_iPKfiiiPfSC_PS2_PT2_iSB_SB_
    .private_segment_fixed_size: 0
    .sgpr_count:     54
    .sgpr_spill_count: 0
    .symbol:         _Z39paged_attention_ll4mi_QKV_mfma16_kernelIDF16_hLN4vllm18Fp8KVCacheDataTypeE1EhLi32ELi128ELi256ELb0ELi8EEvPKT_PKT0_S7_ifPKiS9_S9_iPKfiiiPfSC_PS2_PT2_iSB_SB_.kd
    .uniform_work_group_size: 1
    .uses_dynamic_stack: false
    .vgpr_count:     80
    .vgpr_spill_count: 0
    .wavefront_size: 64
  - .agpr_count:     0
    .args:
      - .actual_access:  read_only
        .address_space:  global
        .offset:         0
        .size:           8
        .value_kind:     global_buffer
      - .actual_access:  read_only
        .address_space:  global
        .offset:         8
        .size:           8
        .value_kind:     global_buffer
      - .actual_access:  read_only
        .address_space:  global
        .offset:         16
        .size:           8
        .value_kind:     global_buffer
      - .offset:         24
        .size:           4
        .value_kind:     by_value
      - .offset:         28
        .size:           4
        .value_kind:     by_value
      - .actual_access:  read_only
        .address_space:  global
        .offset:         32
        .size:           8
        .value_kind:     global_buffer
      - .actual_access:  read_only
        .address_space:  global
        .offset:         40
        .size:           8
        .value_kind:     global_buffer
      - .actual_access:  read_only
        .address_space:  global
        .offset:         48
        .size:           8
        .value_kind:     global_buffer
      - .offset:         56
        .size:           4
        .value_kind:     by_value
      - .actual_access:  read_only
        .address_space:  global
        .offset:         64
        .size:           8
        .value_kind:     global_buffer
      - .offset:         72
        .size:           4
        .value_kind:     by_value
      - .offset:         76
        .size:           4
        .value_kind:     by_value
      - .offset:         80
        .size:           4
        .value_kind:     by_value
      - .actual_access:  write_only
        .address_space:  global
        .offset:         88
        .size:           8
        .value_kind:     global_buffer
      - .actual_access:  write_only
        .address_space:  global
        .offset:         96
        .size:           8
        .value_kind:     global_buffer
      - .actual_access:  write_only
        .address_space:  global
        .offset:         104
        .size:           8
        .value_kind:     global_buffer
      - .actual_access:  read_only
        .address_space:  global
        .offset:         112
        .size:           8
        .value_kind:     global_buffer
      - .offset:         120
        .size:           4
        .value_kind:     by_value
      - .address_space:  global
        .offset:         128
        .size:           8
        .value_kind:     global_buffer
      - .address_space:  global
        .offset:         136
        .size:           8
        .value_kind:     global_buffer
      - .offset:         144
        .size:           4
        .value_kind:     hidden_block_count_x
      - .offset:         148
        .size:           4
        .value_kind:     hidden_block_count_y
      - .offset:         152
        .size:           4
        .value_kind:     hidden_block_count_z
      - .offset:         156
        .size:           2
        .value_kind:     hidden_group_size_x
      - .offset:         158
        .size:           2
        .value_kind:     hidden_group_size_y
      - .offset:         160
        .size:           2
        .value_kind:     hidden_group_size_z
      - .offset:         162
        .size:           2
        .value_kind:     hidden_remainder_x
      - .offset:         164
        .size:           2
        .value_kind:     hidden_remainder_y
      - .offset:         166
        .size:           2
        .value_kind:     hidden_remainder_z
      - .offset:         184
        .size:           8
        .value_kind:     hidden_global_offset_x
      - .offset:         192
        .size:           8
        .value_kind:     hidden_global_offset_y
      - .offset:         200
        .size:           8
        .value_kind:     hidden_global_offset_z
      - .offset:         208
        .size:           2
        .value_kind:     hidden_grid_dims
    .group_segment_fixed_size: 8192
    .kernarg_segment_align: 8
    .kernarg_segment_size: 400
    .language:       OpenCL C
    .language_version:
      - 2
      - 0
    .max_flat_workgroup_size: 256
    .name:           _Z39paged_attention_ll4mi_QKV_mfma16_kernelIDF16_hLN4vllm18Fp8KVCacheDataTypeE1EhLi32ELi128ELi256ELb0ELi9EEvPKT_PKT0_S7_ifPKiS9_S9_iPKfiiiPfSC_PS2_PT2_iSB_SB_
    .private_segment_fixed_size: 0
    .sgpr_count:     56
    .sgpr_spill_count: 0
    .symbol:         _Z39paged_attention_ll4mi_QKV_mfma16_kernelIDF16_hLN4vllm18Fp8KVCacheDataTypeE1EhLi32ELi128ELi256ELb0ELi9EEvPKT_PKT0_S7_ifPKiS9_S9_iPKfiiiPfSC_PS2_PT2_iSB_SB_.kd
    .uniform_work_group_size: 1
    .uses_dynamic_stack: false
    .vgpr_count:     80
    .vgpr_spill_count: 0
    .wavefront_size: 64
  - .agpr_count:     0
    .args:
      - .actual_access:  read_only
        .address_space:  global
        .offset:         0
        .size:           8
        .value_kind:     global_buffer
      - .actual_access:  read_only
        .address_space:  global
        .offset:         8
        .size:           8
        .value_kind:     global_buffer
      - .actual_access:  read_only
        .address_space:  global
        .offset:         16
        .size:           8
        .value_kind:     global_buffer
      - .offset:         24
        .size:           4
        .value_kind:     by_value
      - .offset:         28
        .size:           4
        .value_kind:     by_value
      - .actual_access:  read_only
        .address_space:  global
        .offset:         32
        .size:           8
        .value_kind:     global_buffer
      - .actual_access:  read_only
        .address_space:  global
        .offset:         40
        .size:           8
        .value_kind:     global_buffer
      - .actual_access:  read_only
        .address_space:  global
        .offset:         48
        .size:           8
        .value_kind:     global_buffer
      - .offset:         56
        .size:           4
        .value_kind:     by_value
      - .actual_access:  read_only
        .address_space:  global
        .offset:         64
        .size:           8
        .value_kind:     global_buffer
      - .offset:         72
        .size:           4
        .value_kind:     by_value
      - .offset:         76
        .size:           4
        .value_kind:     by_value
      - .offset:         80
        .size:           4
        .value_kind:     by_value
      - .actual_access:  write_only
        .address_space:  global
        .offset:         88
        .size:           8
        .value_kind:     global_buffer
      - .actual_access:  write_only
        .address_space:  global
        .offset:         96
        .size:           8
        .value_kind:     global_buffer
      - .actual_access:  write_only
        .address_space:  global
        .offset:         104
        .size:           8
        .value_kind:     global_buffer
      - .actual_access:  read_only
        .address_space:  global
        .offset:         112
        .size:           8
        .value_kind:     global_buffer
      - .offset:         120
        .size:           4
        .value_kind:     by_value
      - .address_space:  global
        .offset:         128
        .size:           8
        .value_kind:     global_buffer
      - .address_space:  global
        .offset:         136
        .size:           8
        .value_kind:     global_buffer
      - .offset:         144
        .size:           4
        .value_kind:     hidden_block_count_x
      - .offset:         148
        .size:           4
        .value_kind:     hidden_block_count_y
      - .offset:         152
        .size:           4
        .value_kind:     hidden_block_count_z
      - .offset:         156
        .size:           2
        .value_kind:     hidden_group_size_x
      - .offset:         158
        .size:           2
        .value_kind:     hidden_group_size_y
      - .offset:         160
        .size:           2
        .value_kind:     hidden_group_size_z
      - .offset:         162
        .size:           2
        .value_kind:     hidden_remainder_x
      - .offset:         164
        .size:           2
        .value_kind:     hidden_remainder_y
      - .offset:         166
        .size:           2
        .value_kind:     hidden_remainder_z
      - .offset:         184
        .size:           8
        .value_kind:     hidden_global_offset_x
      - .offset:         192
        .size:           8
        .value_kind:     hidden_global_offset_y
      - .offset:         200
        .size:           8
        .value_kind:     hidden_global_offset_z
      - .offset:         208
        .size:           2
        .value_kind:     hidden_grid_dims
    .group_segment_fixed_size: 8192
    .kernarg_segment_align: 8
    .kernarg_segment_size: 400
    .language:       OpenCL C
    .language_version:
      - 2
      - 0
    .max_flat_workgroup_size: 256
    .name:           _Z39paged_attention_ll4mi_QKV_mfma16_kernelIDF16_hLN4vllm18Fp8KVCacheDataTypeE1EhLi32ELi128ELi256ELb0ELi10EEvPKT_PKT0_S7_ifPKiS9_S9_iPKfiiiPfSC_PS2_PT2_iSB_SB_
    .private_segment_fixed_size: 0
    .sgpr_count:     56
    .sgpr_spill_count: 0
    .symbol:         _Z39paged_attention_ll4mi_QKV_mfma16_kernelIDF16_hLN4vllm18Fp8KVCacheDataTypeE1EhLi32ELi128ELi256ELb0ELi10EEvPKT_PKT0_S7_ifPKiS9_S9_iPKfiiiPfSC_PS2_PT2_iSB_SB_.kd
    .uniform_work_group_size: 1
    .uses_dynamic_stack: false
    .vgpr_count:     80
    .vgpr_spill_count: 0
    .wavefront_size: 64
  - .agpr_count:     0
    .args:
      - .actual_access:  read_only
        .address_space:  global
        .offset:         0
        .size:           8
        .value_kind:     global_buffer
      - .actual_access:  read_only
        .address_space:  global
        .offset:         8
        .size:           8
        .value_kind:     global_buffer
      - .actual_access:  read_only
        .address_space:  global
        .offset:         16
        .size:           8
        .value_kind:     global_buffer
      - .offset:         24
        .size:           4
        .value_kind:     by_value
      - .offset:         28
        .size:           4
        .value_kind:     by_value
      - .actual_access:  read_only
        .address_space:  global
        .offset:         32
        .size:           8
        .value_kind:     global_buffer
      - .actual_access:  read_only
        .address_space:  global
        .offset:         40
        .size:           8
        .value_kind:     global_buffer
      - .actual_access:  read_only
        .address_space:  global
        .offset:         48
        .size:           8
        .value_kind:     global_buffer
      - .offset:         56
        .size:           4
        .value_kind:     by_value
      - .actual_access:  read_only
        .address_space:  global
        .offset:         64
        .size:           8
        .value_kind:     global_buffer
      - .offset:         72
        .size:           4
        .value_kind:     by_value
      - .offset:         76
        .size:           4
        .value_kind:     by_value
      - .offset:         80
        .size:           4
        .value_kind:     by_value
      - .actual_access:  write_only
        .address_space:  global
        .offset:         88
        .size:           8
        .value_kind:     global_buffer
      - .actual_access:  write_only
        .address_space:  global
        .offset:         96
        .size:           8
        .value_kind:     global_buffer
      - .actual_access:  write_only
        .address_space:  global
        .offset:         104
        .size:           8
        .value_kind:     global_buffer
      - .actual_access:  read_only
        .address_space:  global
        .offset:         112
        .size:           8
        .value_kind:     global_buffer
      - .offset:         120
        .size:           4
        .value_kind:     by_value
      - .address_space:  global
        .offset:         128
        .size:           8
        .value_kind:     global_buffer
      - .address_space:  global
        .offset:         136
        .size:           8
        .value_kind:     global_buffer
      - .offset:         144
        .size:           4
        .value_kind:     hidden_block_count_x
      - .offset:         148
        .size:           4
        .value_kind:     hidden_block_count_y
      - .offset:         152
        .size:           4
        .value_kind:     hidden_block_count_z
      - .offset:         156
        .size:           2
        .value_kind:     hidden_group_size_x
      - .offset:         158
        .size:           2
        .value_kind:     hidden_group_size_y
      - .offset:         160
        .size:           2
        .value_kind:     hidden_group_size_z
      - .offset:         162
        .size:           2
        .value_kind:     hidden_remainder_x
      - .offset:         164
        .size:           2
        .value_kind:     hidden_remainder_y
      - .offset:         166
        .size:           2
        .value_kind:     hidden_remainder_z
      - .offset:         184
        .size:           8
        .value_kind:     hidden_global_offset_x
      - .offset:         192
        .size:           8
        .value_kind:     hidden_global_offset_y
      - .offset:         200
        .size:           8
        .value_kind:     hidden_global_offset_z
      - .offset:         208
        .size:           2
        .value_kind:     hidden_grid_dims
    .group_segment_fixed_size: 8192
    .kernarg_segment_align: 8
    .kernarg_segment_size: 400
    .language:       OpenCL C
    .language_version:
      - 2
      - 0
    .max_flat_workgroup_size: 256
    .name:           _Z39paged_attention_ll4mi_QKV_mfma16_kernelIDF16_hLN4vllm18Fp8KVCacheDataTypeE1EhLi32ELi128ELi256ELb0ELi11EEvPKT_PKT0_S7_ifPKiS9_S9_iPKfiiiPfSC_PS2_PT2_iSB_SB_
    .private_segment_fixed_size: 0
    .sgpr_count:     56
    .sgpr_spill_count: 0
    .symbol:         _Z39paged_attention_ll4mi_QKV_mfma16_kernelIDF16_hLN4vllm18Fp8KVCacheDataTypeE1EhLi32ELi128ELi256ELb0ELi11EEvPKT_PKT0_S7_ifPKiS9_S9_iPKfiiiPfSC_PS2_PT2_iSB_SB_.kd
    .uniform_work_group_size: 1
    .uses_dynamic_stack: false
    .vgpr_count:     80
    .vgpr_spill_count: 0
    .wavefront_size: 64
  - .agpr_count:     0
    .args:
      - .actual_access:  read_only
        .address_space:  global
        .offset:         0
        .size:           8
        .value_kind:     global_buffer
      - .actual_access:  read_only
        .address_space:  global
        .offset:         8
        .size:           8
        .value_kind:     global_buffer
      - .actual_access:  read_only
        .address_space:  global
        .offset:         16
        .size:           8
        .value_kind:     global_buffer
      - .offset:         24
        .size:           4
        .value_kind:     by_value
      - .offset:         28
        .size:           4
        .value_kind:     by_value
      - .actual_access:  read_only
        .address_space:  global
        .offset:         32
        .size:           8
        .value_kind:     global_buffer
      - .actual_access:  read_only
        .address_space:  global
        .offset:         40
        .size:           8
        .value_kind:     global_buffer
      - .actual_access:  read_only
        .address_space:  global
        .offset:         48
        .size:           8
        .value_kind:     global_buffer
      - .offset:         56
        .size:           4
        .value_kind:     by_value
      - .actual_access:  read_only
        .address_space:  global
        .offset:         64
        .size:           8
        .value_kind:     global_buffer
      - .offset:         72
        .size:           4
        .value_kind:     by_value
      - .offset:         76
        .size:           4
        .value_kind:     by_value
      - .offset:         80
        .size:           4
        .value_kind:     by_value
      - .actual_access:  write_only
        .address_space:  global
        .offset:         88
        .size:           8
        .value_kind:     global_buffer
      - .actual_access:  write_only
        .address_space:  global
        .offset:         96
        .size:           8
        .value_kind:     global_buffer
      - .actual_access:  write_only
        .address_space:  global
        .offset:         104
        .size:           8
        .value_kind:     global_buffer
      - .actual_access:  read_only
        .address_space:  global
        .offset:         112
        .size:           8
        .value_kind:     global_buffer
      - .offset:         120
        .size:           4
        .value_kind:     by_value
      - .address_space:  global
        .offset:         128
        .size:           8
        .value_kind:     global_buffer
      - .address_space:  global
        .offset:         136
        .size:           8
        .value_kind:     global_buffer
      - .offset:         144
        .size:           4
        .value_kind:     hidden_block_count_x
      - .offset:         148
        .size:           4
        .value_kind:     hidden_block_count_y
      - .offset:         152
        .size:           4
        .value_kind:     hidden_block_count_z
      - .offset:         156
        .size:           2
        .value_kind:     hidden_group_size_x
      - .offset:         158
        .size:           2
        .value_kind:     hidden_group_size_y
      - .offset:         160
        .size:           2
        .value_kind:     hidden_group_size_z
      - .offset:         162
        .size:           2
        .value_kind:     hidden_remainder_x
      - .offset:         164
        .size:           2
        .value_kind:     hidden_remainder_y
      - .offset:         166
        .size:           2
        .value_kind:     hidden_remainder_z
      - .offset:         184
        .size:           8
        .value_kind:     hidden_global_offset_x
      - .offset:         192
        .size:           8
        .value_kind:     hidden_global_offset_y
      - .offset:         200
        .size:           8
        .value_kind:     hidden_global_offset_z
      - .offset:         208
        .size:           2
        .value_kind:     hidden_grid_dims
    .group_segment_fixed_size: 8192
    .kernarg_segment_align: 8
    .kernarg_segment_size: 400
    .language:       OpenCL C
    .language_version:
      - 2
      - 0
    .max_flat_workgroup_size: 256
    .name:           _Z39paged_attention_ll4mi_QKV_mfma16_kernelIDF16_hLN4vllm18Fp8KVCacheDataTypeE1EhLi32ELi128ELi256ELb0ELi12EEvPKT_PKT0_S7_ifPKiS9_S9_iPKfiiiPfSC_PS2_PT2_iSB_SB_
    .private_segment_fixed_size: 0
    .sgpr_count:     56
    .sgpr_spill_count: 0
    .symbol:         _Z39paged_attention_ll4mi_QKV_mfma16_kernelIDF16_hLN4vllm18Fp8KVCacheDataTypeE1EhLi32ELi128ELi256ELb0ELi12EEvPKT_PKT0_S7_ifPKiS9_S9_iPKfiiiPfSC_PS2_PT2_iSB_SB_.kd
    .uniform_work_group_size: 1
    .uses_dynamic_stack: false
    .vgpr_count:     80
    .vgpr_spill_count: 0
    .wavefront_size: 64
  - .agpr_count:     0
    .args:
      - .actual_access:  read_only
        .address_space:  global
        .offset:         0
        .size:           8
        .value_kind:     global_buffer
      - .actual_access:  read_only
        .address_space:  global
        .offset:         8
        .size:           8
        .value_kind:     global_buffer
      - .actual_access:  read_only
        .address_space:  global
        .offset:         16
        .size:           8
        .value_kind:     global_buffer
      - .offset:         24
        .size:           4
        .value_kind:     by_value
      - .offset:         28
        .size:           4
        .value_kind:     by_value
      - .actual_access:  read_only
        .address_space:  global
        .offset:         32
        .size:           8
        .value_kind:     global_buffer
      - .actual_access:  read_only
        .address_space:  global
        .offset:         40
        .size:           8
        .value_kind:     global_buffer
      - .actual_access:  read_only
        .address_space:  global
        .offset:         48
        .size:           8
        .value_kind:     global_buffer
      - .offset:         56
        .size:           4
        .value_kind:     by_value
      - .actual_access:  read_only
        .address_space:  global
        .offset:         64
        .size:           8
        .value_kind:     global_buffer
      - .offset:         72
        .size:           4
        .value_kind:     by_value
      - .offset:         76
        .size:           4
        .value_kind:     by_value
      - .offset:         80
        .size:           4
        .value_kind:     by_value
      - .actual_access:  write_only
        .address_space:  global
        .offset:         88
        .size:           8
        .value_kind:     global_buffer
      - .actual_access:  write_only
        .address_space:  global
        .offset:         96
        .size:           8
        .value_kind:     global_buffer
      - .actual_access:  write_only
        .address_space:  global
        .offset:         104
        .size:           8
        .value_kind:     global_buffer
      - .actual_access:  read_only
        .address_space:  global
        .offset:         112
        .size:           8
        .value_kind:     global_buffer
      - .offset:         120
        .size:           4
        .value_kind:     by_value
      - .address_space:  global
        .offset:         128
        .size:           8
        .value_kind:     global_buffer
      - .address_space:  global
        .offset:         136
        .size:           8
        .value_kind:     global_buffer
      - .offset:         144
        .size:           4
        .value_kind:     hidden_block_count_x
      - .offset:         148
        .size:           4
        .value_kind:     hidden_block_count_y
      - .offset:         152
        .size:           4
        .value_kind:     hidden_block_count_z
      - .offset:         156
        .size:           2
        .value_kind:     hidden_group_size_x
      - .offset:         158
        .size:           2
        .value_kind:     hidden_group_size_y
      - .offset:         160
        .size:           2
        .value_kind:     hidden_group_size_z
      - .offset:         162
        .size:           2
        .value_kind:     hidden_remainder_x
      - .offset:         164
        .size:           2
        .value_kind:     hidden_remainder_y
      - .offset:         166
        .size:           2
        .value_kind:     hidden_remainder_z
      - .offset:         184
        .size:           8
        .value_kind:     hidden_global_offset_x
      - .offset:         192
        .size:           8
        .value_kind:     hidden_global_offset_y
      - .offset:         200
        .size:           8
        .value_kind:     hidden_global_offset_z
      - .offset:         208
        .size:           2
        .value_kind:     hidden_grid_dims
    .group_segment_fixed_size: 8192
    .kernarg_segment_align: 8
    .kernarg_segment_size: 400
    .language:       OpenCL C
    .language_version:
      - 2
      - 0
    .max_flat_workgroup_size: 256
    .name:           _Z39paged_attention_ll4mi_QKV_mfma16_kernelIDF16_hLN4vllm18Fp8KVCacheDataTypeE1EhLi32ELi128ELi256ELb0ELi13EEvPKT_PKT0_S7_ifPKiS9_S9_iPKfiiiPfSC_PS2_PT2_iSB_SB_
    .private_segment_fixed_size: 0
    .sgpr_count:     56
    .sgpr_spill_count: 0
    .symbol:         _Z39paged_attention_ll4mi_QKV_mfma16_kernelIDF16_hLN4vllm18Fp8KVCacheDataTypeE1EhLi32ELi128ELi256ELb0ELi13EEvPKT_PKT0_S7_ifPKiS9_S9_iPKfiiiPfSC_PS2_PT2_iSB_SB_.kd
    .uniform_work_group_size: 1
    .uses_dynamic_stack: false
    .vgpr_count:     80
    .vgpr_spill_count: 0
    .wavefront_size: 64
  - .agpr_count:     0
    .args:
      - .actual_access:  read_only
        .address_space:  global
        .offset:         0
        .size:           8
        .value_kind:     global_buffer
      - .actual_access:  read_only
        .address_space:  global
        .offset:         8
        .size:           8
        .value_kind:     global_buffer
      - .actual_access:  read_only
        .address_space:  global
        .offset:         16
        .size:           8
        .value_kind:     global_buffer
      - .offset:         24
        .size:           4
        .value_kind:     by_value
      - .offset:         28
        .size:           4
        .value_kind:     by_value
      - .actual_access:  read_only
        .address_space:  global
        .offset:         32
        .size:           8
        .value_kind:     global_buffer
      - .actual_access:  read_only
        .address_space:  global
        .offset:         40
        .size:           8
        .value_kind:     global_buffer
      - .actual_access:  read_only
        .address_space:  global
        .offset:         48
        .size:           8
        .value_kind:     global_buffer
      - .offset:         56
        .size:           4
        .value_kind:     by_value
      - .actual_access:  read_only
        .address_space:  global
        .offset:         64
        .size:           8
        .value_kind:     global_buffer
      - .offset:         72
        .size:           4
        .value_kind:     by_value
      - .offset:         76
        .size:           4
        .value_kind:     by_value
      - .offset:         80
        .size:           4
        .value_kind:     by_value
      - .actual_access:  write_only
        .address_space:  global
        .offset:         88
        .size:           8
        .value_kind:     global_buffer
      - .actual_access:  write_only
        .address_space:  global
        .offset:         96
        .size:           8
        .value_kind:     global_buffer
      - .actual_access:  write_only
        .address_space:  global
        .offset:         104
        .size:           8
        .value_kind:     global_buffer
      - .actual_access:  read_only
        .address_space:  global
        .offset:         112
        .size:           8
        .value_kind:     global_buffer
      - .offset:         120
        .size:           4
        .value_kind:     by_value
      - .address_space:  global
        .offset:         128
        .size:           8
        .value_kind:     global_buffer
      - .address_space:  global
        .offset:         136
        .size:           8
        .value_kind:     global_buffer
      - .offset:         144
        .size:           4
        .value_kind:     hidden_block_count_x
      - .offset:         148
        .size:           4
        .value_kind:     hidden_block_count_y
      - .offset:         152
        .size:           4
        .value_kind:     hidden_block_count_z
      - .offset:         156
        .size:           2
        .value_kind:     hidden_group_size_x
      - .offset:         158
        .size:           2
        .value_kind:     hidden_group_size_y
      - .offset:         160
        .size:           2
        .value_kind:     hidden_group_size_z
      - .offset:         162
        .size:           2
        .value_kind:     hidden_remainder_x
      - .offset:         164
        .size:           2
        .value_kind:     hidden_remainder_y
      - .offset:         166
        .size:           2
        .value_kind:     hidden_remainder_z
      - .offset:         184
        .size:           8
        .value_kind:     hidden_global_offset_x
      - .offset:         192
        .size:           8
        .value_kind:     hidden_global_offset_y
      - .offset:         200
        .size:           8
        .value_kind:     hidden_global_offset_z
      - .offset:         208
        .size:           2
        .value_kind:     hidden_grid_dims
    .group_segment_fixed_size: 8192
    .kernarg_segment_align: 8
    .kernarg_segment_size: 400
    .language:       OpenCL C
    .language_version:
      - 2
      - 0
    .max_flat_workgroup_size: 256
    .name:           _Z39paged_attention_ll4mi_QKV_mfma16_kernelIDF16_hLN4vllm18Fp8KVCacheDataTypeE1EhLi32ELi128ELi256ELb0ELi14EEvPKT_PKT0_S7_ifPKiS9_S9_iPKfiiiPfSC_PS2_PT2_iSB_SB_
    .private_segment_fixed_size: 0
    .sgpr_count:     56
    .sgpr_spill_count: 0
    .symbol:         _Z39paged_attention_ll4mi_QKV_mfma16_kernelIDF16_hLN4vllm18Fp8KVCacheDataTypeE1EhLi32ELi128ELi256ELb0ELi14EEvPKT_PKT0_S7_ifPKiS9_S9_iPKfiiiPfSC_PS2_PT2_iSB_SB_.kd
    .uniform_work_group_size: 1
    .uses_dynamic_stack: false
    .vgpr_count:     80
    .vgpr_spill_count: 0
    .wavefront_size: 64
  - .agpr_count:     0
    .args:
      - .actual_access:  read_only
        .address_space:  global
        .offset:         0
        .size:           8
        .value_kind:     global_buffer
      - .actual_access:  read_only
        .address_space:  global
        .offset:         8
        .size:           8
        .value_kind:     global_buffer
      - .actual_access:  read_only
        .address_space:  global
        .offset:         16
        .size:           8
        .value_kind:     global_buffer
      - .offset:         24
        .size:           4
        .value_kind:     by_value
      - .offset:         28
        .size:           4
        .value_kind:     by_value
      - .actual_access:  read_only
        .address_space:  global
        .offset:         32
        .size:           8
        .value_kind:     global_buffer
      - .actual_access:  read_only
        .address_space:  global
        .offset:         40
        .size:           8
        .value_kind:     global_buffer
      - .actual_access:  read_only
        .address_space:  global
        .offset:         48
        .size:           8
        .value_kind:     global_buffer
      - .offset:         56
        .size:           4
        .value_kind:     by_value
      - .actual_access:  read_only
        .address_space:  global
        .offset:         64
        .size:           8
        .value_kind:     global_buffer
      - .offset:         72
        .size:           4
        .value_kind:     by_value
      - .offset:         76
        .size:           4
        .value_kind:     by_value
      - .offset:         80
        .size:           4
        .value_kind:     by_value
      - .actual_access:  write_only
        .address_space:  global
        .offset:         88
        .size:           8
        .value_kind:     global_buffer
      - .actual_access:  write_only
        .address_space:  global
        .offset:         96
        .size:           8
        .value_kind:     global_buffer
      - .actual_access:  write_only
        .address_space:  global
        .offset:         104
        .size:           8
        .value_kind:     global_buffer
      - .actual_access:  read_only
        .address_space:  global
        .offset:         112
        .size:           8
        .value_kind:     global_buffer
      - .offset:         120
        .size:           4
        .value_kind:     by_value
      - .address_space:  global
        .offset:         128
        .size:           8
        .value_kind:     global_buffer
      - .address_space:  global
        .offset:         136
        .size:           8
        .value_kind:     global_buffer
      - .offset:         144
        .size:           4
        .value_kind:     hidden_block_count_x
      - .offset:         148
        .size:           4
        .value_kind:     hidden_block_count_y
      - .offset:         152
        .size:           4
        .value_kind:     hidden_block_count_z
      - .offset:         156
        .size:           2
        .value_kind:     hidden_group_size_x
      - .offset:         158
        .size:           2
        .value_kind:     hidden_group_size_y
      - .offset:         160
        .size:           2
        .value_kind:     hidden_group_size_z
      - .offset:         162
        .size:           2
        .value_kind:     hidden_remainder_x
      - .offset:         164
        .size:           2
        .value_kind:     hidden_remainder_y
      - .offset:         166
        .size:           2
        .value_kind:     hidden_remainder_z
      - .offset:         184
        .size:           8
        .value_kind:     hidden_global_offset_x
      - .offset:         192
        .size:           8
        .value_kind:     hidden_global_offset_y
      - .offset:         200
        .size:           8
        .value_kind:     hidden_global_offset_z
      - .offset:         208
        .size:           2
        .value_kind:     hidden_grid_dims
    .group_segment_fixed_size: 8192
    .kernarg_segment_align: 8
    .kernarg_segment_size: 400
    .language:       OpenCL C
    .language_version:
      - 2
      - 0
    .max_flat_workgroup_size: 256
    .name:           _Z39paged_attention_ll4mi_QKV_mfma16_kernelIDF16_hLN4vllm18Fp8KVCacheDataTypeE1EhLi32ELi128ELi256ELb0ELi15EEvPKT_PKT0_S7_ifPKiS9_S9_iPKfiiiPfSC_PS2_PT2_iSB_SB_
    .private_segment_fixed_size: 0
    .sgpr_count:     56
    .sgpr_spill_count: 0
    .symbol:         _Z39paged_attention_ll4mi_QKV_mfma16_kernelIDF16_hLN4vllm18Fp8KVCacheDataTypeE1EhLi32ELi128ELi256ELb0ELi15EEvPKT_PKT0_S7_ifPKiS9_S9_iPKfiiiPfSC_PS2_PT2_iSB_SB_.kd
    .uniform_work_group_size: 1
    .uses_dynamic_stack: false
    .vgpr_count:     80
    .vgpr_spill_count: 0
    .wavefront_size: 64
  - .agpr_count:     0
    .args:
      - .actual_access:  read_only
        .address_space:  global
        .offset:         0
        .size:           8
        .value_kind:     global_buffer
      - .actual_access:  read_only
        .address_space:  global
        .offset:         8
        .size:           8
        .value_kind:     global_buffer
      - .actual_access:  read_only
        .address_space:  global
        .offset:         16
        .size:           8
        .value_kind:     global_buffer
      - .offset:         24
        .size:           4
        .value_kind:     by_value
      - .offset:         28
        .size:           4
        .value_kind:     by_value
      - .actual_access:  read_only
        .address_space:  global
        .offset:         32
        .size:           8
        .value_kind:     global_buffer
      - .actual_access:  read_only
        .address_space:  global
        .offset:         40
        .size:           8
        .value_kind:     global_buffer
      - .actual_access:  read_only
        .address_space:  global
        .offset:         48
        .size:           8
        .value_kind:     global_buffer
      - .offset:         56
        .size:           4
        .value_kind:     by_value
      - .actual_access:  read_only
        .address_space:  global
        .offset:         64
        .size:           8
        .value_kind:     global_buffer
      - .offset:         72
        .size:           4
        .value_kind:     by_value
      - .offset:         76
        .size:           4
        .value_kind:     by_value
      - .offset:         80
        .size:           4
        .value_kind:     by_value
      - .actual_access:  write_only
        .address_space:  global
        .offset:         88
        .size:           8
        .value_kind:     global_buffer
      - .actual_access:  write_only
        .address_space:  global
        .offset:         96
        .size:           8
        .value_kind:     global_buffer
      - .actual_access:  write_only
        .address_space:  global
        .offset:         104
        .size:           8
        .value_kind:     global_buffer
      - .actual_access:  read_only
        .address_space:  global
        .offset:         112
        .size:           8
        .value_kind:     global_buffer
      - .offset:         120
        .size:           4
        .value_kind:     by_value
      - .address_space:  global
        .offset:         128
        .size:           8
        .value_kind:     global_buffer
      - .address_space:  global
        .offset:         136
        .size:           8
        .value_kind:     global_buffer
      - .offset:         144
        .size:           4
        .value_kind:     hidden_block_count_x
      - .offset:         148
        .size:           4
        .value_kind:     hidden_block_count_y
      - .offset:         152
        .size:           4
        .value_kind:     hidden_block_count_z
      - .offset:         156
        .size:           2
        .value_kind:     hidden_group_size_x
      - .offset:         158
        .size:           2
        .value_kind:     hidden_group_size_y
      - .offset:         160
        .size:           2
        .value_kind:     hidden_group_size_z
      - .offset:         162
        .size:           2
        .value_kind:     hidden_remainder_x
      - .offset:         164
        .size:           2
        .value_kind:     hidden_remainder_y
      - .offset:         166
        .size:           2
        .value_kind:     hidden_remainder_z
      - .offset:         184
        .size:           8
        .value_kind:     hidden_global_offset_x
      - .offset:         192
        .size:           8
        .value_kind:     hidden_global_offset_y
      - .offset:         200
        .size:           8
        .value_kind:     hidden_global_offset_z
      - .offset:         208
        .size:           2
        .value_kind:     hidden_grid_dims
    .group_segment_fixed_size: 8192
    .kernarg_segment_align: 8
    .kernarg_segment_size: 400
    .language:       OpenCL C
    .language_version:
      - 2
      - 0
    .max_flat_workgroup_size: 256
    .name:           _Z39paged_attention_ll4mi_QKV_mfma16_kernelIDF16_hLN4vllm18Fp8KVCacheDataTypeE1EhLi32ELi128ELi256ELb0ELi16EEvPKT_PKT0_S7_ifPKiS9_S9_iPKfiiiPfSC_PS2_PT2_iSB_SB_
    .private_segment_fixed_size: 0
    .sgpr_count:     54
    .sgpr_spill_count: 0
    .symbol:         _Z39paged_attention_ll4mi_QKV_mfma16_kernelIDF16_hLN4vllm18Fp8KVCacheDataTypeE1EhLi32ELi128ELi256ELb0ELi16EEvPKT_PKT0_S7_ifPKiS9_S9_iPKfiiiPfSC_PS2_PT2_iSB_SB_.kd
    .uniform_work_group_size: 1
    .uses_dynamic_stack: false
    .vgpr_count:     84
    .vgpr_spill_count: 0
    .wavefront_size: 64
  - .agpr_count:     0
    .args:
      - .actual_access:  read_only
        .address_space:  global
        .offset:         0
        .size:           8
        .value_kind:     global_buffer
      - .actual_access:  read_only
        .address_space:  global
        .offset:         8
        .size:           8
        .value_kind:     global_buffer
      - .actual_access:  read_only
        .address_space:  global
        .offset:         16
        .size:           8
        .value_kind:     global_buffer
      - .offset:         24
        .size:           4
        .value_kind:     by_value
      - .offset:         28
        .size:           4
        .value_kind:     by_value
      - .actual_access:  read_only
        .address_space:  global
        .offset:         32
        .size:           8
        .value_kind:     global_buffer
      - .actual_access:  read_only
        .address_space:  global
        .offset:         40
        .size:           8
        .value_kind:     global_buffer
      - .actual_access:  read_only
        .address_space:  global
        .offset:         48
        .size:           8
        .value_kind:     global_buffer
      - .offset:         56
        .size:           4
        .value_kind:     by_value
      - .actual_access:  read_only
        .address_space:  global
        .offset:         64
        .size:           8
        .value_kind:     global_buffer
      - .offset:         72
        .size:           4
        .value_kind:     by_value
      - .offset:         76
        .size:           4
        .value_kind:     by_value
      - .offset:         80
        .size:           4
        .value_kind:     by_value
      - .actual_access:  write_only
        .address_space:  global
        .offset:         88
        .size:           8
        .value_kind:     global_buffer
      - .actual_access:  write_only
        .address_space:  global
        .offset:         96
        .size:           8
        .value_kind:     global_buffer
      - .actual_access:  write_only
        .address_space:  global
        .offset:         104
        .size:           8
        .value_kind:     global_buffer
      - .actual_access:  read_only
        .address_space:  global
        .offset:         112
        .size:           8
        .value_kind:     global_buffer
      - .offset:         120
        .size:           4
        .value_kind:     by_value
      - .address_space:  global
        .offset:         128
        .size:           8
        .value_kind:     global_buffer
      - .address_space:  global
        .offset:         136
        .size:           8
        .value_kind:     global_buffer
      - .offset:         144
        .size:           4
        .value_kind:     hidden_block_count_x
      - .offset:         148
        .size:           4
        .value_kind:     hidden_block_count_y
      - .offset:         152
        .size:           4
        .value_kind:     hidden_block_count_z
      - .offset:         156
        .size:           2
        .value_kind:     hidden_group_size_x
      - .offset:         158
        .size:           2
        .value_kind:     hidden_group_size_y
      - .offset:         160
        .size:           2
        .value_kind:     hidden_group_size_z
      - .offset:         162
        .size:           2
        .value_kind:     hidden_remainder_x
      - .offset:         164
        .size:           2
        .value_kind:     hidden_remainder_y
      - .offset:         166
        .size:           2
        .value_kind:     hidden_remainder_z
      - .offset:         184
        .size:           8
        .value_kind:     hidden_global_offset_x
      - .offset:         192
        .size:           8
        .value_kind:     hidden_global_offset_y
      - .offset:         200
        .size:           8
        .value_kind:     hidden_global_offset_z
      - .offset:         208
        .size:           2
        .value_kind:     hidden_grid_dims
    .group_segment_fixed_size: 8192
    .kernarg_segment_align: 8
    .kernarg_segment_size: 400
    .language:       OpenCL C
    .language_version:
      - 2
      - 0
    .max_flat_workgroup_size: 256
    .name:           _Z39paged_attention_ll4mi_QKV_mfma16_kernelIDF16_hLN4vllm18Fp8KVCacheDataTypeE1EhLi32ELi128ELi256ELb0ELi1EEvPKT_PKT0_S7_ifPKiS9_S9_iPKfiiiPfSC_PS2_PT2_iSB_SB_
    .private_segment_fixed_size: 0
    .sgpr_count:     54
    .sgpr_spill_count: 0
    .symbol:         _Z39paged_attention_ll4mi_QKV_mfma16_kernelIDF16_hLN4vllm18Fp8KVCacheDataTypeE1EhLi32ELi128ELi256ELb0ELi1EEvPKT_PKT0_S7_ifPKiS9_S9_iPKfiiiPfSC_PS2_PT2_iSB_SB_.kd
    .uniform_work_group_size: 1
    .uses_dynamic_stack: false
    .vgpr_count:     86
    .vgpr_spill_count: 0
    .wavefront_size: 64
  - .agpr_count:     0
    .args:
      - .actual_access:  read_only
        .address_space:  global
        .offset:         0
        .size:           8
        .value_kind:     global_buffer
      - .actual_access:  read_only
        .address_space:  global
        .offset:         8
        .size:           8
        .value_kind:     global_buffer
      - .actual_access:  read_only
        .address_space:  global
        .offset:         16
        .size:           8
        .value_kind:     global_buffer
      - .offset:         24
        .size:           4
        .value_kind:     by_value
      - .offset:         28
        .size:           4
        .value_kind:     by_value
      - .actual_access:  read_only
        .address_space:  global
        .offset:         32
        .size:           8
        .value_kind:     global_buffer
      - .actual_access:  read_only
        .address_space:  global
        .offset:         40
        .size:           8
        .value_kind:     global_buffer
      - .actual_access:  read_only
        .address_space:  global
        .offset:         48
        .size:           8
        .value_kind:     global_buffer
      - .offset:         56
        .size:           4
        .value_kind:     by_value
      - .actual_access:  read_only
        .address_space:  global
        .offset:         64
        .size:           8
        .value_kind:     global_buffer
      - .offset:         72
        .size:           4
        .value_kind:     by_value
      - .offset:         76
        .size:           4
        .value_kind:     by_value
      - .offset:         80
        .size:           4
        .value_kind:     by_value
      - .actual_access:  write_only
        .address_space:  global
        .offset:         88
        .size:           8
        .value_kind:     global_buffer
      - .actual_access:  write_only
        .address_space:  global
        .offset:         96
        .size:           8
        .value_kind:     global_buffer
      - .actual_access:  write_only
        .address_space:  global
        .offset:         104
        .size:           8
        .value_kind:     global_buffer
      - .actual_access:  read_only
        .address_space:  global
        .offset:         112
        .size:           8
        .value_kind:     global_buffer
      - .offset:         120
        .size:           4
        .value_kind:     by_value
      - .address_space:  global
        .offset:         128
        .size:           8
        .value_kind:     global_buffer
      - .address_space:  global
        .offset:         136
        .size:           8
        .value_kind:     global_buffer
      - .offset:         144
        .size:           4
        .value_kind:     hidden_block_count_x
      - .offset:         148
        .size:           4
        .value_kind:     hidden_block_count_y
      - .offset:         152
        .size:           4
        .value_kind:     hidden_block_count_z
      - .offset:         156
        .size:           2
        .value_kind:     hidden_group_size_x
      - .offset:         158
        .size:           2
        .value_kind:     hidden_group_size_y
      - .offset:         160
        .size:           2
        .value_kind:     hidden_group_size_z
      - .offset:         162
        .size:           2
        .value_kind:     hidden_remainder_x
      - .offset:         164
        .size:           2
        .value_kind:     hidden_remainder_y
      - .offset:         166
        .size:           2
        .value_kind:     hidden_remainder_z
      - .offset:         184
        .size:           8
        .value_kind:     hidden_global_offset_x
      - .offset:         192
        .size:           8
        .value_kind:     hidden_global_offset_y
      - .offset:         200
        .size:           8
        .value_kind:     hidden_global_offset_z
      - .offset:         208
        .size:           2
        .value_kind:     hidden_grid_dims
    .group_segment_fixed_size: 8192
    .kernarg_segment_align: 8
    .kernarg_segment_size: 400
    .language:       OpenCL C
    .language_version:
      - 2
      - 0
    .max_flat_workgroup_size: 256
    .name:           _Z39paged_attention_ll4mi_QKV_mfma16_kernelIDF16_hLN4vllm18Fp8KVCacheDataTypeE1EhLi32ELi128ELi256ELb0ELi2EEvPKT_PKT0_S7_ifPKiS9_S9_iPKfiiiPfSC_PS2_PT2_iSB_SB_
    .private_segment_fixed_size: 0
    .sgpr_count:     54
    .sgpr_spill_count: 0
    .symbol:         _Z39paged_attention_ll4mi_QKV_mfma16_kernelIDF16_hLN4vllm18Fp8KVCacheDataTypeE1EhLi32ELi128ELi256ELb0ELi2EEvPKT_PKT0_S7_ifPKiS9_S9_iPKfiiiPfSC_PS2_PT2_iSB_SB_.kd
    .uniform_work_group_size: 1
    .uses_dynamic_stack: false
    .vgpr_count:     80
    .vgpr_spill_count: 0
    .wavefront_size: 64
  - .agpr_count:     0
    .args:
      - .actual_access:  read_only
        .address_space:  global
        .offset:         0
        .size:           8
        .value_kind:     global_buffer
      - .actual_access:  read_only
        .address_space:  global
        .offset:         8
        .size:           8
        .value_kind:     global_buffer
      - .actual_access:  read_only
        .address_space:  global
        .offset:         16
        .size:           8
        .value_kind:     global_buffer
      - .offset:         24
        .size:           4
        .value_kind:     by_value
      - .offset:         28
        .size:           4
        .value_kind:     by_value
      - .actual_access:  read_only
        .address_space:  global
        .offset:         32
        .size:           8
        .value_kind:     global_buffer
      - .actual_access:  read_only
        .address_space:  global
        .offset:         40
        .size:           8
        .value_kind:     global_buffer
      - .actual_access:  read_only
        .address_space:  global
        .offset:         48
        .size:           8
        .value_kind:     global_buffer
      - .offset:         56
        .size:           4
        .value_kind:     by_value
      - .actual_access:  read_only
        .address_space:  global
        .offset:         64
        .size:           8
        .value_kind:     global_buffer
      - .offset:         72
        .size:           4
        .value_kind:     by_value
      - .offset:         76
        .size:           4
        .value_kind:     by_value
      - .offset:         80
        .size:           4
        .value_kind:     by_value
      - .actual_access:  write_only
        .address_space:  global
        .offset:         88
        .size:           8
        .value_kind:     global_buffer
      - .actual_access:  write_only
        .address_space:  global
        .offset:         96
        .size:           8
        .value_kind:     global_buffer
      - .actual_access:  write_only
        .address_space:  global
        .offset:         104
        .size:           8
        .value_kind:     global_buffer
      - .actual_access:  read_only
        .address_space:  global
        .offset:         112
        .size:           8
        .value_kind:     global_buffer
      - .offset:         120
        .size:           4
        .value_kind:     by_value
      - .address_space:  global
        .offset:         128
        .size:           8
        .value_kind:     global_buffer
      - .address_space:  global
        .offset:         136
        .size:           8
        .value_kind:     global_buffer
      - .offset:         144
        .size:           4
        .value_kind:     hidden_block_count_x
      - .offset:         148
        .size:           4
        .value_kind:     hidden_block_count_y
      - .offset:         152
        .size:           4
        .value_kind:     hidden_block_count_z
      - .offset:         156
        .size:           2
        .value_kind:     hidden_group_size_x
      - .offset:         158
        .size:           2
        .value_kind:     hidden_group_size_y
      - .offset:         160
        .size:           2
        .value_kind:     hidden_group_size_z
      - .offset:         162
        .size:           2
        .value_kind:     hidden_remainder_x
      - .offset:         164
        .size:           2
        .value_kind:     hidden_remainder_y
      - .offset:         166
        .size:           2
        .value_kind:     hidden_remainder_z
      - .offset:         184
        .size:           8
        .value_kind:     hidden_global_offset_x
      - .offset:         192
        .size:           8
        .value_kind:     hidden_global_offset_y
      - .offset:         200
        .size:           8
        .value_kind:     hidden_global_offset_z
      - .offset:         208
        .size:           2
        .value_kind:     hidden_grid_dims
    .group_segment_fixed_size: 8192
    .kernarg_segment_align: 8
    .kernarg_segment_size: 400
    .language:       OpenCL C
    .language_version:
      - 2
      - 0
    .max_flat_workgroup_size: 256
    .name:           _Z39paged_attention_ll4mi_QKV_mfma16_kernelIDF16_hLN4vllm18Fp8KVCacheDataTypeE1EhLi32ELi128ELi256ELb0ELi3EEvPKT_PKT0_S7_ifPKiS9_S9_iPKfiiiPfSC_PS2_PT2_iSB_SB_
    .private_segment_fixed_size: 0
    .sgpr_count:     56
    .sgpr_spill_count: 0
    .symbol:         _Z39paged_attention_ll4mi_QKV_mfma16_kernelIDF16_hLN4vllm18Fp8KVCacheDataTypeE1EhLi32ELi128ELi256ELb0ELi3EEvPKT_PKT0_S7_ifPKiS9_S9_iPKfiiiPfSC_PS2_PT2_iSB_SB_.kd
    .uniform_work_group_size: 1
    .uses_dynamic_stack: false
    .vgpr_count:     82
    .vgpr_spill_count: 0
    .wavefront_size: 64
  - .agpr_count:     0
    .args:
      - .actual_access:  read_only
        .address_space:  global
        .offset:         0
        .size:           8
        .value_kind:     global_buffer
      - .actual_access:  read_only
        .address_space:  global
        .offset:         8
        .size:           8
        .value_kind:     global_buffer
      - .actual_access:  read_only
        .address_space:  global
        .offset:         16
        .size:           8
        .value_kind:     global_buffer
      - .offset:         24
        .size:           4
        .value_kind:     by_value
      - .offset:         28
        .size:           4
        .value_kind:     by_value
      - .actual_access:  read_only
        .address_space:  global
        .offset:         32
        .size:           8
        .value_kind:     global_buffer
      - .actual_access:  read_only
        .address_space:  global
        .offset:         40
        .size:           8
        .value_kind:     global_buffer
      - .actual_access:  read_only
        .address_space:  global
        .offset:         48
        .size:           8
        .value_kind:     global_buffer
      - .offset:         56
        .size:           4
        .value_kind:     by_value
      - .actual_access:  read_only
        .address_space:  global
        .offset:         64
        .size:           8
        .value_kind:     global_buffer
      - .offset:         72
        .size:           4
        .value_kind:     by_value
      - .offset:         76
        .size:           4
        .value_kind:     by_value
      - .offset:         80
        .size:           4
        .value_kind:     by_value
      - .actual_access:  write_only
        .address_space:  global
        .offset:         88
        .size:           8
        .value_kind:     global_buffer
      - .actual_access:  write_only
        .address_space:  global
        .offset:         96
        .size:           8
        .value_kind:     global_buffer
      - .actual_access:  write_only
        .address_space:  global
        .offset:         104
        .size:           8
        .value_kind:     global_buffer
      - .actual_access:  read_only
        .address_space:  global
        .offset:         112
        .size:           8
        .value_kind:     global_buffer
      - .offset:         120
        .size:           4
        .value_kind:     by_value
      - .address_space:  global
        .offset:         128
        .size:           8
        .value_kind:     global_buffer
      - .address_space:  global
        .offset:         136
        .size:           8
        .value_kind:     global_buffer
      - .offset:         144
        .size:           4
        .value_kind:     hidden_block_count_x
      - .offset:         148
        .size:           4
        .value_kind:     hidden_block_count_y
      - .offset:         152
        .size:           4
        .value_kind:     hidden_block_count_z
      - .offset:         156
        .size:           2
        .value_kind:     hidden_group_size_x
      - .offset:         158
        .size:           2
        .value_kind:     hidden_group_size_y
      - .offset:         160
        .size:           2
        .value_kind:     hidden_group_size_z
      - .offset:         162
        .size:           2
        .value_kind:     hidden_remainder_x
      - .offset:         164
        .size:           2
        .value_kind:     hidden_remainder_y
      - .offset:         166
        .size:           2
        .value_kind:     hidden_remainder_z
      - .offset:         184
        .size:           8
        .value_kind:     hidden_global_offset_x
      - .offset:         192
        .size:           8
        .value_kind:     hidden_global_offset_y
      - .offset:         200
        .size:           8
        .value_kind:     hidden_global_offset_z
      - .offset:         208
        .size:           2
        .value_kind:     hidden_grid_dims
    .group_segment_fixed_size: 8192
    .kernarg_segment_align: 8
    .kernarg_segment_size: 400
    .language:       OpenCL C
    .language_version:
      - 2
      - 0
    .max_flat_workgroup_size: 256
    .name:           _Z39paged_attention_ll4mi_QKV_mfma16_kernelIDF16_hLN4vllm18Fp8KVCacheDataTypeE1EhLi32ELi128ELi256ELb0ELi4EEvPKT_PKT0_S7_ifPKiS9_S9_iPKfiiiPfSC_PS2_PT2_iSB_SB_
    .private_segment_fixed_size: 0
    .sgpr_count:     55
    .sgpr_spill_count: 0
    .symbol:         _Z39paged_attention_ll4mi_QKV_mfma16_kernelIDF16_hLN4vllm18Fp8KVCacheDataTypeE1EhLi32ELi128ELi256ELb0ELi4EEvPKT_PKT0_S7_ifPKiS9_S9_iPKfiiiPfSC_PS2_PT2_iSB_SB_.kd
    .uniform_work_group_size: 1
    .uses_dynamic_stack: false
    .vgpr_count:     82
    .vgpr_spill_count: 0
    .wavefront_size: 64
  - .agpr_count:     4
    .args:
      - .actual_access:  read_only
        .address_space:  global
        .offset:         0
        .size:           8
        .value_kind:     global_buffer
      - .actual_access:  read_only
        .address_space:  global
        .offset:         8
        .size:           8
        .value_kind:     global_buffer
      - .actual_access:  read_only
        .address_space:  global
        .offset:         16
        .size:           8
        .value_kind:     global_buffer
      - .offset:         24
        .size:           4
        .value_kind:     by_value
      - .offset:         28
        .size:           4
        .value_kind:     by_value
      - .actual_access:  read_only
        .address_space:  global
        .offset:         32
        .size:           8
        .value_kind:     global_buffer
      - .actual_access:  read_only
        .address_space:  global
        .offset:         40
        .size:           8
        .value_kind:     global_buffer
      - .actual_access:  read_only
        .address_space:  global
        .offset:         48
        .size:           8
        .value_kind:     global_buffer
      - .offset:         56
        .size:           4
        .value_kind:     by_value
      - .actual_access:  read_only
        .address_space:  global
        .offset:         64
        .size:           8
        .value_kind:     global_buffer
      - .offset:         72
        .size:           4
        .value_kind:     by_value
      - .offset:         76
        .size:           4
        .value_kind:     by_value
      - .offset:         80
        .size:           4
        .value_kind:     by_value
      - .actual_access:  write_only
        .address_space:  global
        .offset:         88
        .size:           8
        .value_kind:     global_buffer
      - .actual_access:  write_only
        .address_space:  global
        .offset:         96
        .size:           8
        .value_kind:     global_buffer
      - .actual_access:  write_only
        .address_space:  global
        .offset:         104
        .size:           8
        .value_kind:     global_buffer
      - .actual_access:  read_only
        .address_space:  global
        .offset:         112
        .size:           8
        .value_kind:     global_buffer
      - .offset:         120
        .size:           4
        .value_kind:     by_value
      - .address_space:  global
        .offset:         128
        .size:           8
        .value_kind:     global_buffer
      - .address_space:  global
        .offset:         136
        .size:           8
        .value_kind:     global_buffer
      - .offset:         144
        .size:           4
        .value_kind:     hidden_block_count_x
      - .offset:         148
        .size:           4
        .value_kind:     hidden_block_count_y
      - .offset:         152
        .size:           4
        .value_kind:     hidden_block_count_z
      - .offset:         156
        .size:           2
        .value_kind:     hidden_group_size_x
      - .offset:         158
        .size:           2
        .value_kind:     hidden_group_size_y
      - .offset:         160
        .size:           2
        .value_kind:     hidden_group_size_z
      - .offset:         162
        .size:           2
        .value_kind:     hidden_remainder_x
      - .offset:         164
        .size:           2
        .value_kind:     hidden_remainder_y
      - .offset:         166
        .size:           2
        .value_kind:     hidden_remainder_z
      - .offset:         184
        .size:           8
        .value_kind:     hidden_global_offset_x
      - .offset:         192
        .size:           8
        .value_kind:     hidden_global_offset_y
      - .offset:         200
        .size:           8
        .value_kind:     hidden_global_offset_z
      - .offset:         208
        .size:           2
        .value_kind:     hidden_grid_dims
    .group_segment_fixed_size: 5280
    .kernarg_segment_align: 8
    .kernarg_segment_size: 400
    .language:       OpenCL C
    .language_version:
      - 2
      - 0
    .max_flat_workgroup_size: 256
    .name:           _Z38paged_attention_ll4mi_QKV_mfma4_kernelIDF16_hLN4vllm18Fp8KVCacheDataTypeE1EDF16_Li32ELi128ELi256ELb1ELi1EEvPKT_PKT0_S7_ifPKiS9_S9_iPKfiiiPfSC_PS2_PT2_iSB_SB_
    .private_segment_fixed_size: 0
    .sgpr_count:     48
    .sgpr_spill_count: 0
    .symbol:         _Z38paged_attention_ll4mi_QKV_mfma4_kernelIDF16_hLN4vllm18Fp8KVCacheDataTypeE1EDF16_Li32ELi128ELi256ELb1ELi1EEvPKT_PKT0_S7_ifPKiS9_S9_iPKfiiiPfSC_PS2_PT2_iSB_SB_.kd
    .uniform_work_group_size: 1
    .uses_dynamic_stack: false
    .vgpr_count:     60
    .vgpr_spill_count: 0
    .wavefront_size: 64
  - .agpr_count:     4
    .args:
      - .actual_access:  read_only
        .address_space:  global
        .offset:         0
        .size:           8
        .value_kind:     global_buffer
      - .actual_access:  read_only
        .address_space:  global
        .offset:         8
        .size:           8
        .value_kind:     global_buffer
      - .actual_access:  read_only
        .address_space:  global
        .offset:         16
        .size:           8
        .value_kind:     global_buffer
      - .offset:         24
        .size:           4
        .value_kind:     by_value
      - .offset:         28
        .size:           4
        .value_kind:     by_value
      - .actual_access:  read_only
        .address_space:  global
        .offset:         32
        .size:           8
        .value_kind:     global_buffer
      - .actual_access:  read_only
        .address_space:  global
        .offset:         40
        .size:           8
        .value_kind:     global_buffer
      - .actual_access:  read_only
        .address_space:  global
        .offset:         48
        .size:           8
        .value_kind:     global_buffer
      - .offset:         56
        .size:           4
        .value_kind:     by_value
      - .actual_access:  read_only
        .address_space:  global
        .offset:         64
        .size:           8
        .value_kind:     global_buffer
      - .offset:         72
        .size:           4
        .value_kind:     by_value
      - .offset:         76
        .size:           4
        .value_kind:     by_value
      - .offset:         80
        .size:           4
        .value_kind:     by_value
      - .actual_access:  write_only
        .address_space:  global
        .offset:         88
        .size:           8
        .value_kind:     global_buffer
      - .actual_access:  write_only
        .address_space:  global
        .offset:         96
        .size:           8
        .value_kind:     global_buffer
      - .actual_access:  write_only
        .address_space:  global
        .offset:         104
        .size:           8
        .value_kind:     global_buffer
      - .actual_access:  read_only
        .address_space:  global
        .offset:         112
        .size:           8
        .value_kind:     global_buffer
      - .offset:         120
        .size:           4
        .value_kind:     by_value
      - .address_space:  global
        .offset:         128
        .size:           8
        .value_kind:     global_buffer
      - .address_space:  global
        .offset:         136
        .size:           8
        .value_kind:     global_buffer
      - .offset:         144
        .size:           4
        .value_kind:     hidden_block_count_x
      - .offset:         148
        .size:           4
        .value_kind:     hidden_block_count_y
      - .offset:         152
        .size:           4
        .value_kind:     hidden_block_count_z
      - .offset:         156
        .size:           2
        .value_kind:     hidden_group_size_x
      - .offset:         158
        .size:           2
        .value_kind:     hidden_group_size_y
      - .offset:         160
        .size:           2
        .value_kind:     hidden_group_size_z
      - .offset:         162
        .size:           2
        .value_kind:     hidden_remainder_x
      - .offset:         164
        .size:           2
        .value_kind:     hidden_remainder_y
      - .offset:         166
        .size:           2
        .value_kind:     hidden_remainder_z
      - .offset:         184
        .size:           8
        .value_kind:     hidden_global_offset_x
      - .offset:         192
        .size:           8
        .value_kind:     hidden_global_offset_y
      - .offset:         200
        .size:           8
        .value_kind:     hidden_global_offset_z
      - .offset:         208
        .size:           2
        .value_kind:     hidden_grid_dims
    .group_segment_fixed_size: 5280
    .kernarg_segment_align: 8
    .kernarg_segment_size: 400
    .language:       OpenCL C
    .language_version:
      - 2
      - 0
    .max_flat_workgroup_size: 256
    .name:           _Z38paged_attention_ll4mi_QKV_mfma4_kernelIDF16_hLN4vllm18Fp8KVCacheDataTypeE1EDF16_Li32ELi128ELi256ELb1ELi2EEvPKT_PKT0_S7_ifPKiS9_S9_iPKfiiiPfSC_PS2_PT2_iSB_SB_
    .private_segment_fixed_size: 0
    .sgpr_count:     50
    .sgpr_spill_count: 0
    .symbol:         _Z38paged_attention_ll4mi_QKV_mfma4_kernelIDF16_hLN4vllm18Fp8KVCacheDataTypeE1EDF16_Li32ELi128ELi256ELb1ELi2EEvPKT_PKT0_S7_ifPKiS9_S9_iPKfiiiPfSC_PS2_PT2_iSB_SB_.kd
    .uniform_work_group_size: 1
    .uses_dynamic_stack: false
    .vgpr_count:     60
    .vgpr_spill_count: 0
    .wavefront_size: 64
  - .agpr_count:     4
    .args:
      - .actual_access:  read_only
        .address_space:  global
        .offset:         0
        .size:           8
        .value_kind:     global_buffer
      - .actual_access:  read_only
        .address_space:  global
        .offset:         8
        .size:           8
        .value_kind:     global_buffer
      - .actual_access:  read_only
        .address_space:  global
        .offset:         16
        .size:           8
        .value_kind:     global_buffer
      - .offset:         24
        .size:           4
        .value_kind:     by_value
      - .offset:         28
        .size:           4
        .value_kind:     by_value
      - .actual_access:  read_only
        .address_space:  global
        .offset:         32
        .size:           8
        .value_kind:     global_buffer
      - .actual_access:  read_only
        .address_space:  global
        .offset:         40
        .size:           8
        .value_kind:     global_buffer
      - .actual_access:  read_only
        .address_space:  global
        .offset:         48
        .size:           8
        .value_kind:     global_buffer
      - .offset:         56
        .size:           4
        .value_kind:     by_value
      - .actual_access:  read_only
        .address_space:  global
        .offset:         64
        .size:           8
        .value_kind:     global_buffer
      - .offset:         72
        .size:           4
        .value_kind:     by_value
      - .offset:         76
        .size:           4
        .value_kind:     by_value
      - .offset:         80
        .size:           4
        .value_kind:     by_value
      - .actual_access:  write_only
        .address_space:  global
        .offset:         88
        .size:           8
        .value_kind:     global_buffer
      - .actual_access:  write_only
        .address_space:  global
        .offset:         96
        .size:           8
        .value_kind:     global_buffer
      - .actual_access:  write_only
        .address_space:  global
        .offset:         104
        .size:           8
        .value_kind:     global_buffer
      - .actual_access:  read_only
        .address_space:  global
        .offset:         112
        .size:           8
        .value_kind:     global_buffer
      - .offset:         120
        .size:           4
        .value_kind:     by_value
      - .address_space:  global
        .offset:         128
        .size:           8
        .value_kind:     global_buffer
      - .address_space:  global
        .offset:         136
        .size:           8
        .value_kind:     global_buffer
      - .offset:         144
        .size:           4
        .value_kind:     hidden_block_count_x
      - .offset:         148
        .size:           4
        .value_kind:     hidden_block_count_y
      - .offset:         152
        .size:           4
        .value_kind:     hidden_block_count_z
      - .offset:         156
        .size:           2
        .value_kind:     hidden_group_size_x
      - .offset:         158
        .size:           2
        .value_kind:     hidden_group_size_y
      - .offset:         160
        .size:           2
        .value_kind:     hidden_group_size_z
      - .offset:         162
        .size:           2
        .value_kind:     hidden_remainder_x
      - .offset:         164
        .size:           2
        .value_kind:     hidden_remainder_y
      - .offset:         166
        .size:           2
        .value_kind:     hidden_remainder_z
      - .offset:         184
        .size:           8
        .value_kind:     hidden_global_offset_x
      - .offset:         192
        .size:           8
        .value_kind:     hidden_global_offset_y
      - .offset:         200
        .size:           8
        .value_kind:     hidden_global_offset_z
      - .offset:         208
        .size:           2
        .value_kind:     hidden_grid_dims
    .group_segment_fixed_size: 5280
    .kernarg_segment_align: 8
    .kernarg_segment_size: 400
    .language:       OpenCL C
    .language_version:
      - 2
      - 0
    .max_flat_workgroup_size: 256
    .name:           _Z38paged_attention_ll4mi_QKV_mfma4_kernelIDF16_hLN4vllm18Fp8KVCacheDataTypeE1EDF16_Li32ELi128ELi256ELb1ELi3EEvPKT_PKT0_S7_ifPKiS9_S9_iPKfiiiPfSC_PS2_PT2_iSB_SB_
    .private_segment_fixed_size: 0
    .sgpr_count:     50
    .sgpr_spill_count: 0
    .symbol:         _Z38paged_attention_ll4mi_QKV_mfma4_kernelIDF16_hLN4vllm18Fp8KVCacheDataTypeE1EDF16_Li32ELi128ELi256ELb1ELi3EEvPKT_PKT0_S7_ifPKiS9_S9_iPKfiiiPfSC_PS2_PT2_iSB_SB_.kd
    .uniform_work_group_size: 1
    .uses_dynamic_stack: false
    .vgpr_count:     60
    .vgpr_spill_count: 0
    .wavefront_size: 64
  - .agpr_count:     4
    .args:
      - .actual_access:  read_only
        .address_space:  global
        .offset:         0
        .size:           8
        .value_kind:     global_buffer
      - .actual_access:  read_only
        .address_space:  global
        .offset:         8
        .size:           8
        .value_kind:     global_buffer
      - .actual_access:  read_only
        .address_space:  global
        .offset:         16
        .size:           8
        .value_kind:     global_buffer
      - .offset:         24
        .size:           4
        .value_kind:     by_value
      - .offset:         28
        .size:           4
        .value_kind:     by_value
      - .actual_access:  read_only
        .address_space:  global
        .offset:         32
        .size:           8
        .value_kind:     global_buffer
      - .actual_access:  read_only
        .address_space:  global
        .offset:         40
        .size:           8
        .value_kind:     global_buffer
      - .actual_access:  read_only
        .address_space:  global
        .offset:         48
        .size:           8
        .value_kind:     global_buffer
      - .offset:         56
        .size:           4
        .value_kind:     by_value
      - .actual_access:  read_only
        .address_space:  global
        .offset:         64
        .size:           8
        .value_kind:     global_buffer
      - .offset:         72
        .size:           4
        .value_kind:     by_value
      - .offset:         76
        .size:           4
        .value_kind:     by_value
      - .offset:         80
        .size:           4
        .value_kind:     by_value
      - .actual_access:  write_only
        .address_space:  global
        .offset:         88
        .size:           8
        .value_kind:     global_buffer
      - .actual_access:  write_only
        .address_space:  global
        .offset:         96
        .size:           8
        .value_kind:     global_buffer
      - .actual_access:  write_only
        .address_space:  global
        .offset:         104
        .size:           8
        .value_kind:     global_buffer
      - .actual_access:  read_only
        .address_space:  global
        .offset:         112
        .size:           8
        .value_kind:     global_buffer
      - .offset:         120
        .size:           4
        .value_kind:     by_value
      - .address_space:  global
        .offset:         128
        .size:           8
        .value_kind:     global_buffer
      - .address_space:  global
        .offset:         136
        .size:           8
        .value_kind:     global_buffer
      - .offset:         144
        .size:           4
        .value_kind:     hidden_block_count_x
      - .offset:         148
        .size:           4
        .value_kind:     hidden_block_count_y
      - .offset:         152
        .size:           4
        .value_kind:     hidden_block_count_z
      - .offset:         156
        .size:           2
        .value_kind:     hidden_group_size_x
      - .offset:         158
        .size:           2
        .value_kind:     hidden_group_size_y
      - .offset:         160
        .size:           2
        .value_kind:     hidden_group_size_z
      - .offset:         162
        .size:           2
        .value_kind:     hidden_remainder_x
      - .offset:         164
        .size:           2
        .value_kind:     hidden_remainder_y
      - .offset:         166
        .size:           2
        .value_kind:     hidden_remainder_z
      - .offset:         184
        .size:           8
        .value_kind:     hidden_global_offset_x
      - .offset:         192
        .size:           8
        .value_kind:     hidden_global_offset_y
      - .offset:         200
        .size:           8
        .value_kind:     hidden_global_offset_z
      - .offset:         208
        .size:           2
        .value_kind:     hidden_grid_dims
    .group_segment_fixed_size: 5280
    .kernarg_segment_align: 8
    .kernarg_segment_size: 400
    .language:       OpenCL C
    .language_version:
      - 2
      - 0
    .max_flat_workgroup_size: 256
    .name:           _Z38paged_attention_ll4mi_QKV_mfma4_kernelIDF16_hLN4vllm18Fp8KVCacheDataTypeE1EDF16_Li32ELi128ELi256ELb1ELi4EEvPKT_PKT0_S7_ifPKiS9_S9_iPKfiiiPfSC_PS2_PT2_iSB_SB_
    .private_segment_fixed_size: 0
    .sgpr_count:     51
    .sgpr_spill_count: 0
    .symbol:         _Z38paged_attention_ll4mi_QKV_mfma4_kernelIDF16_hLN4vllm18Fp8KVCacheDataTypeE1EDF16_Li32ELi128ELi256ELb1ELi4EEvPKT_PKT0_S7_ifPKiS9_S9_iPKfiiiPfSC_PS2_PT2_iSB_SB_.kd
    .uniform_work_group_size: 1
    .uses_dynamic_stack: false
    .vgpr_count:     92
    .vgpr_spill_count: 0
    .wavefront_size: 64
  - .agpr_count:     0
    .args:
      - .actual_access:  read_only
        .address_space:  global
        .offset:         0
        .size:           8
        .value_kind:     global_buffer
      - .actual_access:  read_only
        .address_space:  global
        .offset:         8
        .size:           8
        .value_kind:     global_buffer
      - .actual_access:  read_only
        .address_space:  global
        .offset:         16
        .size:           8
        .value_kind:     global_buffer
      - .offset:         24
        .size:           4
        .value_kind:     by_value
      - .offset:         28
        .size:           4
        .value_kind:     by_value
      - .actual_access:  read_only
        .address_space:  global
        .offset:         32
        .size:           8
        .value_kind:     global_buffer
      - .actual_access:  read_only
        .address_space:  global
        .offset:         40
        .size:           8
        .value_kind:     global_buffer
      - .actual_access:  read_only
        .address_space:  global
        .offset:         48
        .size:           8
        .value_kind:     global_buffer
      - .offset:         56
        .size:           4
        .value_kind:     by_value
      - .actual_access:  read_only
        .address_space:  global
        .offset:         64
        .size:           8
        .value_kind:     global_buffer
      - .offset:         72
        .size:           4
        .value_kind:     by_value
      - .offset:         76
        .size:           4
        .value_kind:     by_value
      - .offset:         80
        .size:           4
        .value_kind:     by_value
      - .actual_access:  write_only
        .address_space:  global
        .offset:         88
        .size:           8
        .value_kind:     global_buffer
      - .actual_access:  write_only
        .address_space:  global
        .offset:         96
        .size:           8
        .value_kind:     global_buffer
      - .actual_access:  write_only
        .address_space:  global
        .offset:         104
        .size:           8
        .value_kind:     global_buffer
      - .actual_access:  read_only
        .address_space:  global
        .offset:         112
        .size:           8
        .value_kind:     global_buffer
      - .offset:         120
        .size:           4
        .value_kind:     by_value
      - .address_space:  global
        .offset:         128
        .size:           8
        .value_kind:     global_buffer
      - .address_space:  global
        .offset:         136
        .size:           8
        .value_kind:     global_buffer
      - .offset:         144
        .size:           4
        .value_kind:     hidden_block_count_x
      - .offset:         148
        .size:           4
        .value_kind:     hidden_block_count_y
      - .offset:         152
        .size:           4
        .value_kind:     hidden_block_count_z
      - .offset:         156
        .size:           2
        .value_kind:     hidden_group_size_x
      - .offset:         158
        .size:           2
        .value_kind:     hidden_group_size_y
      - .offset:         160
        .size:           2
        .value_kind:     hidden_group_size_z
      - .offset:         162
        .size:           2
        .value_kind:     hidden_remainder_x
      - .offset:         164
        .size:           2
        .value_kind:     hidden_remainder_y
      - .offset:         166
        .size:           2
        .value_kind:     hidden_remainder_z
      - .offset:         184
        .size:           8
        .value_kind:     hidden_global_offset_x
      - .offset:         192
        .size:           8
        .value_kind:     hidden_global_offset_y
      - .offset:         200
        .size:           8
        .value_kind:     hidden_global_offset_z
      - .offset:         208
        .size:           2
        .value_kind:     hidden_grid_dims
    .group_segment_fixed_size: 8192
    .kernarg_segment_align: 8
    .kernarg_segment_size: 400
    .language:       OpenCL C
    .language_version:
      - 2
      - 0
    .max_flat_workgroup_size: 256
    .name:           _Z39paged_attention_ll4mi_QKV_mfma16_kernelIDF16_hLN4vllm18Fp8KVCacheDataTypeE1EDF16_Li32ELi128ELi256ELb1ELi5EEvPKT_PKT0_S7_ifPKiS9_S9_iPKfiiiPfSC_PS2_PT2_iSB_SB_
    .private_segment_fixed_size: 0
    .sgpr_count:     56
    .sgpr_spill_count: 0
    .symbol:         _Z39paged_attention_ll4mi_QKV_mfma16_kernelIDF16_hLN4vllm18Fp8KVCacheDataTypeE1EDF16_Li32ELi128ELi256ELb1ELi5EEvPKT_PKT0_S7_ifPKiS9_S9_iPKfiiiPfSC_PS2_PT2_iSB_SB_.kd
    .uniform_work_group_size: 1
    .uses_dynamic_stack: false
    .vgpr_count:     78
    .vgpr_spill_count: 0
    .wavefront_size: 64
  - .agpr_count:     0
    .args:
      - .actual_access:  read_only
        .address_space:  global
        .offset:         0
        .size:           8
        .value_kind:     global_buffer
      - .actual_access:  read_only
        .address_space:  global
        .offset:         8
        .size:           8
        .value_kind:     global_buffer
      - .actual_access:  read_only
        .address_space:  global
        .offset:         16
        .size:           8
        .value_kind:     global_buffer
      - .offset:         24
        .size:           4
        .value_kind:     by_value
      - .offset:         28
        .size:           4
        .value_kind:     by_value
      - .actual_access:  read_only
        .address_space:  global
        .offset:         32
        .size:           8
        .value_kind:     global_buffer
      - .actual_access:  read_only
        .address_space:  global
        .offset:         40
        .size:           8
        .value_kind:     global_buffer
      - .actual_access:  read_only
        .address_space:  global
        .offset:         48
        .size:           8
        .value_kind:     global_buffer
      - .offset:         56
        .size:           4
        .value_kind:     by_value
      - .actual_access:  read_only
        .address_space:  global
        .offset:         64
        .size:           8
        .value_kind:     global_buffer
      - .offset:         72
        .size:           4
        .value_kind:     by_value
      - .offset:         76
        .size:           4
        .value_kind:     by_value
      - .offset:         80
        .size:           4
        .value_kind:     by_value
      - .actual_access:  write_only
        .address_space:  global
        .offset:         88
        .size:           8
        .value_kind:     global_buffer
      - .actual_access:  write_only
        .address_space:  global
        .offset:         96
        .size:           8
        .value_kind:     global_buffer
      - .actual_access:  write_only
        .address_space:  global
        .offset:         104
        .size:           8
        .value_kind:     global_buffer
      - .actual_access:  read_only
        .address_space:  global
        .offset:         112
        .size:           8
        .value_kind:     global_buffer
      - .offset:         120
        .size:           4
        .value_kind:     by_value
      - .address_space:  global
        .offset:         128
        .size:           8
        .value_kind:     global_buffer
      - .address_space:  global
        .offset:         136
        .size:           8
        .value_kind:     global_buffer
      - .offset:         144
        .size:           4
        .value_kind:     hidden_block_count_x
      - .offset:         148
        .size:           4
        .value_kind:     hidden_block_count_y
      - .offset:         152
        .size:           4
        .value_kind:     hidden_block_count_z
      - .offset:         156
        .size:           2
        .value_kind:     hidden_group_size_x
      - .offset:         158
        .size:           2
        .value_kind:     hidden_group_size_y
      - .offset:         160
        .size:           2
        .value_kind:     hidden_group_size_z
      - .offset:         162
        .size:           2
        .value_kind:     hidden_remainder_x
      - .offset:         164
        .size:           2
        .value_kind:     hidden_remainder_y
      - .offset:         166
        .size:           2
        .value_kind:     hidden_remainder_z
      - .offset:         184
        .size:           8
        .value_kind:     hidden_global_offset_x
      - .offset:         192
        .size:           8
        .value_kind:     hidden_global_offset_y
      - .offset:         200
        .size:           8
        .value_kind:     hidden_global_offset_z
      - .offset:         208
        .size:           2
        .value_kind:     hidden_grid_dims
    .group_segment_fixed_size: 8192
    .kernarg_segment_align: 8
    .kernarg_segment_size: 400
    .language:       OpenCL C
    .language_version:
      - 2
      - 0
    .max_flat_workgroup_size: 256
    .name:           _Z39paged_attention_ll4mi_QKV_mfma16_kernelIDF16_hLN4vllm18Fp8KVCacheDataTypeE1EDF16_Li32ELi128ELi256ELb1ELi6EEvPKT_PKT0_S7_ifPKiS9_S9_iPKfiiiPfSC_PS2_PT2_iSB_SB_
    .private_segment_fixed_size: 0
    .sgpr_count:     56
    .sgpr_spill_count: 0
    .symbol:         _Z39paged_attention_ll4mi_QKV_mfma16_kernelIDF16_hLN4vllm18Fp8KVCacheDataTypeE1EDF16_Li32ELi128ELi256ELb1ELi6EEvPKT_PKT0_S7_ifPKiS9_S9_iPKfiiiPfSC_PS2_PT2_iSB_SB_.kd
    .uniform_work_group_size: 1
    .uses_dynamic_stack: false
    .vgpr_count:     78
    .vgpr_spill_count: 0
    .wavefront_size: 64
  - .agpr_count:     0
    .args:
      - .actual_access:  read_only
        .address_space:  global
        .offset:         0
        .size:           8
        .value_kind:     global_buffer
      - .actual_access:  read_only
        .address_space:  global
        .offset:         8
        .size:           8
        .value_kind:     global_buffer
      - .actual_access:  read_only
        .address_space:  global
        .offset:         16
        .size:           8
        .value_kind:     global_buffer
      - .offset:         24
        .size:           4
        .value_kind:     by_value
      - .offset:         28
        .size:           4
        .value_kind:     by_value
      - .actual_access:  read_only
        .address_space:  global
        .offset:         32
        .size:           8
        .value_kind:     global_buffer
      - .actual_access:  read_only
        .address_space:  global
        .offset:         40
        .size:           8
        .value_kind:     global_buffer
      - .actual_access:  read_only
        .address_space:  global
        .offset:         48
        .size:           8
        .value_kind:     global_buffer
      - .offset:         56
        .size:           4
        .value_kind:     by_value
      - .actual_access:  read_only
        .address_space:  global
        .offset:         64
        .size:           8
        .value_kind:     global_buffer
      - .offset:         72
        .size:           4
        .value_kind:     by_value
      - .offset:         76
        .size:           4
        .value_kind:     by_value
      - .offset:         80
        .size:           4
        .value_kind:     by_value
      - .actual_access:  write_only
        .address_space:  global
        .offset:         88
        .size:           8
        .value_kind:     global_buffer
      - .actual_access:  write_only
        .address_space:  global
        .offset:         96
        .size:           8
        .value_kind:     global_buffer
      - .actual_access:  write_only
        .address_space:  global
        .offset:         104
        .size:           8
        .value_kind:     global_buffer
      - .actual_access:  read_only
        .address_space:  global
        .offset:         112
        .size:           8
        .value_kind:     global_buffer
      - .offset:         120
        .size:           4
        .value_kind:     by_value
      - .address_space:  global
        .offset:         128
        .size:           8
        .value_kind:     global_buffer
      - .address_space:  global
        .offset:         136
        .size:           8
        .value_kind:     global_buffer
      - .offset:         144
        .size:           4
        .value_kind:     hidden_block_count_x
      - .offset:         148
        .size:           4
        .value_kind:     hidden_block_count_y
      - .offset:         152
        .size:           4
        .value_kind:     hidden_block_count_z
      - .offset:         156
        .size:           2
        .value_kind:     hidden_group_size_x
      - .offset:         158
        .size:           2
        .value_kind:     hidden_group_size_y
      - .offset:         160
        .size:           2
        .value_kind:     hidden_group_size_z
      - .offset:         162
        .size:           2
        .value_kind:     hidden_remainder_x
      - .offset:         164
        .size:           2
        .value_kind:     hidden_remainder_y
      - .offset:         166
        .size:           2
        .value_kind:     hidden_remainder_z
      - .offset:         184
        .size:           8
        .value_kind:     hidden_global_offset_x
      - .offset:         192
        .size:           8
        .value_kind:     hidden_global_offset_y
      - .offset:         200
        .size:           8
        .value_kind:     hidden_global_offset_z
      - .offset:         208
        .size:           2
        .value_kind:     hidden_grid_dims
    .group_segment_fixed_size: 8192
    .kernarg_segment_align: 8
    .kernarg_segment_size: 400
    .language:       OpenCL C
    .language_version:
      - 2
      - 0
    .max_flat_workgroup_size: 256
    .name:           _Z39paged_attention_ll4mi_QKV_mfma16_kernelIDF16_hLN4vllm18Fp8KVCacheDataTypeE1EDF16_Li32ELi128ELi256ELb1ELi7EEvPKT_PKT0_S7_ifPKiS9_S9_iPKfiiiPfSC_PS2_PT2_iSB_SB_
    .private_segment_fixed_size: 0
    .sgpr_count:     56
    .sgpr_spill_count: 0
    .symbol:         _Z39paged_attention_ll4mi_QKV_mfma16_kernelIDF16_hLN4vllm18Fp8KVCacheDataTypeE1EDF16_Li32ELi128ELi256ELb1ELi7EEvPKT_PKT0_S7_ifPKiS9_S9_iPKfiiiPfSC_PS2_PT2_iSB_SB_.kd
    .uniform_work_group_size: 1
    .uses_dynamic_stack: false
    .vgpr_count:     78
    .vgpr_spill_count: 0
    .wavefront_size: 64
  - .agpr_count:     0
    .args:
      - .actual_access:  read_only
        .address_space:  global
        .offset:         0
        .size:           8
        .value_kind:     global_buffer
      - .actual_access:  read_only
        .address_space:  global
        .offset:         8
        .size:           8
        .value_kind:     global_buffer
      - .actual_access:  read_only
        .address_space:  global
        .offset:         16
        .size:           8
        .value_kind:     global_buffer
      - .offset:         24
        .size:           4
        .value_kind:     by_value
      - .offset:         28
        .size:           4
        .value_kind:     by_value
      - .actual_access:  read_only
        .address_space:  global
        .offset:         32
        .size:           8
        .value_kind:     global_buffer
      - .actual_access:  read_only
        .address_space:  global
        .offset:         40
        .size:           8
        .value_kind:     global_buffer
      - .actual_access:  read_only
        .address_space:  global
        .offset:         48
        .size:           8
        .value_kind:     global_buffer
      - .offset:         56
        .size:           4
        .value_kind:     by_value
      - .actual_access:  read_only
        .address_space:  global
        .offset:         64
        .size:           8
        .value_kind:     global_buffer
      - .offset:         72
        .size:           4
        .value_kind:     by_value
      - .offset:         76
        .size:           4
        .value_kind:     by_value
      - .offset:         80
        .size:           4
        .value_kind:     by_value
      - .actual_access:  write_only
        .address_space:  global
        .offset:         88
        .size:           8
        .value_kind:     global_buffer
      - .actual_access:  write_only
        .address_space:  global
        .offset:         96
        .size:           8
        .value_kind:     global_buffer
      - .actual_access:  write_only
        .address_space:  global
        .offset:         104
        .size:           8
        .value_kind:     global_buffer
      - .actual_access:  read_only
        .address_space:  global
        .offset:         112
        .size:           8
        .value_kind:     global_buffer
      - .offset:         120
        .size:           4
        .value_kind:     by_value
      - .address_space:  global
        .offset:         128
        .size:           8
        .value_kind:     global_buffer
      - .address_space:  global
        .offset:         136
        .size:           8
        .value_kind:     global_buffer
      - .offset:         144
        .size:           4
        .value_kind:     hidden_block_count_x
      - .offset:         148
        .size:           4
        .value_kind:     hidden_block_count_y
      - .offset:         152
        .size:           4
        .value_kind:     hidden_block_count_z
      - .offset:         156
        .size:           2
        .value_kind:     hidden_group_size_x
      - .offset:         158
        .size:           2
        .value_kind:     hidden_group_size_y
      - .offset:         160
        .size:           2
        .value_kind:     hidden_group_size_z
      - .offset:         162
        .size:           2
        .value_kind:     hidden_remainder_x
      - .offset:         164
        .size:           2
        .value_kind:     hidden_remainder_y
      - .offset:         166
        .size:           2
        .value_kind:     hidden_remainder_z
      - .offset:         184
        .size:           8
        .value_kind:     hidden_global_offset_x
      - .offset:         192
        .size:           8
        .value_kind:     hidden_global_offset_y
      - .offset:         200
        .size:           8
        .value_kind:     hidden_global_offset_z
      - .offset:         208
        .size:           2
        .value_kind:     hidden_grid_dims
    .group_segment_fixed_size: 8192
    .kernarg_segment_align: 8
    .kernarg_segment_size: 400
    .language:       OpenCL C
    .language_version:
      - 2
      - 0
    .max_flat_workgroup_size: 256
    .name:           _Z39paged_attention_ll4mi_QKV_mfma16_kernelIDF16_hLN4vllm18Fp8KVCacheDataTypeE1EDF16_Li32ELi128ELi256ELb1ELi8EEvPKT_PKT0_S7_ifPKiS9_S9_iPKfiiiPfSC_PS2_PT2_iSB_SB_
    .private_segment_fixed_size: 0
    .sgpr_count:     54
    .sgpr_spill_count: 0
    .symbol:         _Z39paged_attention_ll4mi_QKV_mfma16_kernelIDF16_hLN4vllm18Fp8KVCacheDataTypeE1EDF16_Li32ELi128ELi256ELb1ELi8EEvPKT_PKT0_S7_ifPKiS9_S9_iPKfiiiPfSC_PS2_PT2_iSB_SB_.kd
    .uniform_work_group_size: 1
    .uses_dynamic_stack: false
    .vgpr_count:     78
    .vgpr_spill_count: 0
    .wavefront_size: 64
  - .agpr_count:     0
    .args:
      - .actual_access:  read_only
        .address_space:  global
        .offset:         0
        .size:           8
        .value_kind:     global_buffer
      - .actual_access:  read_only
        .address_space:  global
        .offset:         8
        .size:           8
        .value_kind:     global_buffer
      - .actual_access:  read_only
        .address_space:  global
        .offset:         16
        .size:           8
        .value_kind:     global_buffer
      - .offset:         24
        .size:           4
        .value_kind:     by_value
      - .offset:         28
        .size:           4
        .value_kind:     by_value
      - .actual_access:  read_only
        .address_space:  global
        .offset:         32
        .size:           8
        .value_kind:     global_buffer
      - .actual_access:  read_only
        .address_space:  global
        .offset:         40
        .size:           8
        .value_kind:     global_buffer
      - .actual_access:  read_only
        .address_space:  global
        .offset:         48
        .size:           8
        .value_kind:     global_buffer
      - .offset:         56
        .size:           4
        .value_kind:     by_value
      - .actual_access:  read_only
        .address_space:  global
        .offset:         64
        .size:           8
        .value_kind:     global_buffer
      - .offset:         72
        .size:           4
        .value_kind:     by_value
      - .offset:         76
        .size:           4
        .value_kind:     by_value
      - .offset:         80
        .size:           4
        .value_kind:     by_value
      - .actual_access:  write_only
        .address_space:  global
        .offset:         88
        .size:           8
        .value_kind:     global_buffer
      - .actual_access:  write_only
        .address_space:  global
        .offset:         96
        .size:           8
        .value_kind:     global_buffer
      - .actual_access:  write_only
        .address_space:  global
        .offset:         104
        .size:           8
        .value_kind:     global_buffer
      - .actual_access:  read_only
        .address_space:  global
        .offset:         112
        .size:           8
        .value_kind:     global_buffer
      - .offset:         120
        .size:           4
        .value_kind:     by_value
      - .address_space:  global
        .offset:         128
        .size:           8
        .value_kind:     global_buffer
      - .address_space:  global
        .offset:         136
        .size:           8
        .value_kind:     global_buffer
      - .offset:         144
        .size:           4
        .value_kind:     hidden_block_count_x
      - .offset:         148
        .size:           4
        .value_kind:     hidden_block_count_y
      - .offset:         152
        .size:           4
        .value_kind:     hidden_block_count_z
      - .offset:         156
        .size:           2
        .value_kind:     hidden_group_size_x
      - .offset:         158
        .size:           2
        .value_kind:     hidden_group_size_y
      - .offset:         160
        .size:           2
        .value_kind:     hidden_group_size_z
      - .offset:         162
        .size:           2
        .value_kind:     hidden_remainder_x
      - .offset:         164
        .size:           2
        .value_kind:     hidden_remainder_y
      - .offset:         166
        .size:           2
        .value_kind:     hidden_remainder_z
      - .offset:         184
        .size:           8
        .value_kind:     hidden_global_offset_x
      - .offset:         192
        .size:           8
        .value_kind:     hidden_global_offset_y
      - .offset:         200
        .size:           8
        .value_kind:     hidden_global_offset_z
      - .offset:         208
        .size:           2
        .value_kind:     hidden_grid_dims
    .group_segment_fixed_size: 8192
    .kernarg_segment_align: 8
    .kernarg_segment_size: 400
    .language:       OpenCL C
    .language_version:
      - 2
      - 0
    .max_flat_workgroup_size: 256
    .name:           _Z39paged_attention_ll4mi_QKV_mfma16_kernelIDF16_hLN4vllm18Fp8KVCacheDataTypeE1EDF16_Li32ELi128ELi256ELb1ELi9EEvPKT_PKT0_S7_ifPKiS9_S9_iPKfiiiPfSC_PS2_PT2_iSB_SB_
    .private_segment_fixed_size: 0
    .sgpr_count:     56
    .sgpr_spill_count: 0
    .symbol:         _Z39paged_attention_ll4mi_QKV_mfma16_kernelIDF16_hLN4vllm18Fp8KVCacheDataTypeE1EDF16_Li32ELi128ELi256ELb1ELi9EEvPKT_PKT0_S7_ifPKiS9_S9_iPKfiiiPfSC_PS2_PT2_iSB_SB_.kd
    .uniform_work_group_size: 1
    .uses_dynamic_stack: false
    .vgpr_count:     78
    .vgpr_spill_count: 0
    .wavefront_size: 64
  - .agpr_count:     0
    .args:
      - .actual_access:  read_only
        .address_space:  global
        .offset:         0
        .size:           8
        .value_kind:     global_buffer
      - .actual_access:  read_only
        .address_space:  global
        .offset:         8
        .size:           8
        .value_kind:     global_buffer
      - .actual_access:  read_only
        .address_space:  global
        .offset:         16
        .size:           8
        .value_kind:     global_buffer
      - .offset:         24
        .size:           4
        .value_kind:     by_value
      - .offset:         28
        .size:           4
        .value_kind:     by_value
      - .actual_access:  read_only
        .address_space:  global
        .offset:         32
        .size:           8
        .value_kind:     global_buffer
      - .actual_access:  read_only
        .address_space:  global
        .offset:         40
        .size:           8
        .value_kind:     global_buffer
      - .actual_access:  read_only
        .address_space:  global
        .offset:         48
        .size:           8
        .value_kind:     global_buffer
      - .offset:         56
        .size:           4
        .value_kind:     by_value
      - .actual_access:  read_only
        .address_space:  global
        .offset:         64
        .size:           8
        .value_kind:     global_buffer
      - .offset:         72
        .size:           4
        .value_kind:     by_value
      - .offset:         76
        .size:           4
        .value_kind:     by_value
      - .offset:         80
        .size:           4
        .value_kind:     by_value
      - .actual_access:  write_only
        .address_space:  global
        .offset:         88
        .size:           8
        .value_kind:     global_buffer
      - .actual_access:  write_only
        .address_space:  global
        .offset:         96
        .size:           8
        .value_kind:     global_buffer
      - .actual_access:  write_only
        .address_space:  global
        .offset:         104
        .size:           8
        .value_kind:     global_buffer
      - .actual_access:  read_only
        .address_space:  global
        .offset:         112
        .size:           8
        .value_kind:     global_buffer
      - .offset:         120
        .size:           4
        .value_kind:     by_value
      - .address_space:  global
        .offset:         128
        .size:           8
        .value_kind:     global_buffer
      - .address_space:  global
        .offset:         136
        .size:           8
        .value_kind:     global_buffer
      - .offset:         144
        .size:           4
        .value_kind:     hidden_block_count_x
      - .offset:         148
        .size:           4
        .value_kind:     hidden_block_count_y
      - .offset:         152
        .size:           4
        .value_kind:     hidden_block_count_z
      - .offset:         156
        .size:           2
        .value_kind:     hidden_group_size_x
      - .offset:         158
        .size:           2
        .value_kind:     hidden_group_size_y
      - .offset:         160
        .size:           2
        .value_kind:     hidden_group_size_z
      - .offset:         162
        .size:           2
        .value_kind:     hidden_remainder_x
      - .offset:         164
        .size:           2
        .value_kind:     hidden_remainder_y
      - .offset:         166
        .size:           2
        .value_kind:     hidden_remainder_z
      - .offset:         184
        .size:           8
        .value_kind:     hidden_global_offset_x
      - .offset:         192
        .size:           8
        .value_kind:     hidden_global_offset_y
      - .offset:         200
        .size:           8
        .value_kind:     hidden_global_offset_z
      - .offset:         208
        .size:           2
        .value_kind:     hidden_grid_dims
    .group_segment_fixed_size: 8192
    .kernarg_segment_align: 8
    .kernarg_segment_size: 400
    .language:       OpenCL C
    .language_version:
      - 2
      - 0
    .max_flat_workgroup_size: 256
    .name:           _Z39paged_attention_ll4mi_QKV_mfma16_kernelIDF16_hLN4vllm18Fp8KVCacheDataTypeE1EDF16_Li32ELi128ELi256ELb1ELi10EEvPKT_PKT0_S7_ifPKiS9_S9_iPKfiiiPfSC_PS2_PT2_iSB_SB_
    .private_segment_fixed_size: 0
    .sgpr_count:     56
    .sgpr_spill_count: 0
    .symbol:         _Z39paged_attention_ll4mi_QKV_mfma16_kernelIDF16_hLN4vllm18Fp8KVCacheDataTypeE1EDF16_Li32ELi128ELi256ELb1ELi10EEvPKT_PKT0_S7_ifPKiS9_S9_iPKfiiiPfSC_PS2_PT2_iSB_SB_.kd
    .uniform_work_group_size: 1
    .uses_dynamic_stack: false
    .vgpr_count:     78
    .vgpr_spill_count: 0
    .wavefront_size: 64
  - .agpr_count:     0
    .args:
      - .actual_access:  read_only
        .address_space:  global
        .offset:         0
        .size:           8
        .value_kind:     global_buffer
      - .actual_access:  read_only
        .address_space:  global
        .offset:         8
        .size:           8
        .value_kind:     global_buffer
      - .actual_access:  read_only
        .address_space:  global
        .offset:         16
        .size:           8
        .value_kind:     global_buffer
      - .offset:         24
        .size:           4
        .value_kind:     by_value
      - .offset:         28
        .size:           4
        .value_kind:     by_value
      - .actual_access:  read_only
        .address_space:  global
        .offset:         32
        .size:           8
        .value_kind:     global_buffer
      - .actual_access:  read_only
        .address_space:  global
        .offset:         40
        .size:           8
        .value_kind:     global_buffer
      - .actual_access:  read_only
        .address_space:  global
        .offset:         48
        .size:           8
        .value_kind:     global_buffer
      - .offset:         56
        .size:           4
        .value_kind:     by_value
      - .actual_access:  read_only
        .address_space:  global
        .offset:         64
        .size:           8
        .value_kind:     global_buffer
      - .offset:         72
        .size:           4
        .value_kind:     by_value
      - .offset:         76
        .size:           4
        .value_kind:     by_value
      - .offset:         80
        .size:           4
        .value_kind:     by_value
      - .actual_access:  write_only
        .address_space:  global
        .offset:         88
        .size:           8
        .value_kind:     global_buffer
      - .actual_access:  write_only
        .address_space:  global
        .offset:         96
        .size:           8
        .value_kind:     global_buffer
      - .actual_access:  write_only
        .address_space:  global
        .offset:         104
        .size:           8
        .value_kind:     global_buffer
      - .actual_access:  read_only
        .address_space:  global
        .offset:         112
        .size:           8
        .value_kind:     global_buffer
      - .offset:         120
        .size:           4
        .value_kind:     by_value
      - .address_space:  global
        .offset:         128
        .size:           8
        .value_kind:     global_buffer
      - .address_space:  global
        .offset:         136
        .size:           8
        .value_kind:     global_buffer
      - .offset:         144
        .size:           4
        .value_kind:     hidden_block_count_x
      - .offset:         148
        .size:           4
        .value_kind:     hidden_block_count_y
      - .offset:         152
        .size:           4
        .value_kind:     hidden_block_count_z
      - .offset:         156
        .size:           2
        .value_kind:     hidden_group_size_x
      - .offset:         158
        .size:           2
        .value_kind:     hidden_group_size_y
      - .offset:         160
        .size:           2
        .value_kind:     hidden_group_size_z
      - .offset:         162
        .size:           2
        .value_kind:     hidden_remainder_x
      - .offset:         164
        .size:           2
        .value_kind:     hidden_remainder_y
      - .offset:         166
        .size:           2
        .value_kind:     hidden_remainder_z
      - .offset:         184
        .size:           8
        .value_kind:     hidden_global_offset_x
      - .offset:         192
        .size:           8
        .value_kind:     hidden_global_offset_y
      - .offset:         200
        .size:           8
        .value_kind:     hidden_global_offset_z
      - .offset:         208
        .size:           2
        .value_kind:     hidden_grid_dims
    .group_segment_fixed_size: 8192
    .kernarg_segment_align: 8
    .kernarg_segment_size: 400
    .language:       OpenCL C
    .language_version:
      - 2
      - 0
    .max_flat_workgroup_size: 256
    .name:           _Z39paged_attention_ll4mi_QKV_mfma16_kernelIDF16_hLN4vllm18Fp8KVCacheDataTypeE1EDF16_Li32ELi128ELi256ELb1ELi11EEvPKT_PKT0_S7_ifPKiS9_S9_iPKfiiiPfSC_PS2_PT2_iSB_SB_
    .private_segment_fixed_size: 0
    .sgpr_count:     56
    .sgpr_spill_count: 0
    .symbol:         _Z39paged_attention_ll4mi_QKV_mfma16_kernelIDF16_hLN4vllm18Fp8KVCacheDataTypeE1EDF16_Li32ELi128ELi256ELb1ELi11EEvPKT_PKT0_S7_ifPKiS9_S9_iPKfiiiPfSC_PS2_PT2_iSB_SB_.kd
    .uniform_work_group_size: 1
    .uses_dynamic_stack: false
    .vgpr_count:     78
    .vgpr_spill_count: 0
    .wavefront_size: 64
  - .agpr_count:     0
    .args:
      - .actual_access:  read_only
        .address_space:  global
        .offset:         0
        .size:           8
        .value_kind:     global_buffer
      - .actual_access:  read_only
        .address_space:  global
        .offset:         8
        .size:           8
        .value_kind:     global_buffer
      - .actual_access:  read_only
        .address_space:  global
        .offset:         16
        .size:           8
        .value_kind:     global_buffer
      - .offset:         24
        .size:           4
        .value_kind:     by_value
      - .offset:         28
        .size:           4
        .value_kind:     by_value
      - .actual_access:  read_only
        .address_space:  global
        .offset:         32
        .size:           8
        .value_kind:     global_buffer
      - .actual_access:  read_only
        .address_space:  global
        .offset:         40
        .size:           8
        .value_kind:     global_buffer
      - .actual_access:  read_only
        .address_space:  global
        .offset:         48
        .size:           8
        .value_kind:     global_buffer
      - .offset:         56
        .size:           4
        .value_kind:     by_value
      - .actual_access:  read_only
        .address_space:  global
        .offset:         64
        .size:           8
        .value_kind:     global_buffer
      - .offset:         72
        .size:           4
        .value_kind:     by_value
      - .offset:         76
        .size:           4
        .value_kind:     by_value
      - .offset:         80
        .size:           4
        .value_kind:     by_value
      - .actual_access:  write_only
        .address_space:  global
        .offset:         88
        .size:           8
        .value_kind:     global_buffer
      - .actual_access:  write_only
        .address_space:  global
        .offset:         96
        .size:           8
        .value_kind:     global_buffer
      - .actual_access:  write_only
        .address_space:  global
        .offset:         104
        .size:           8
        .value_kind:     global_buffer
      - .actual_access:  read_only
        .address_space:  global
        .offset:         112
        .size:           8
        .value_kind:     global_buffer
      - .offset:         120
        .size:           4
        .value_kind:     by_value
      - .address_space:  global
        .offset:         128
        .size:           8
        .value_kind:     global_buffer
      - .address_space:  global
        .offset:         136
        .size:           8
        .value_kind:     global_buffer
      - .offset:         144
        .size:           4
        .value_kind:     hidden_block_count_x
      - .offset:         148
        .size:           4
        .value_kind:     hidden_block_count_y
      - .offset:         152
        .size:           4
        .value_kind:     hidden_block_count_z
      - .offset:         156
        .size:           2
        .value_kind:     hidden_group_size_x
      - .offset:         158
        .size:           2
        .value_kind:     hidden_group_size_y
      - .offset:         160
        .size:           2
        .value_kind:     hidden_group_size_z
      - .offset:         162
        .size:           2
        .value_kind:     hidden_remainder_x
      - .offset:         164
        .size:           2
        .value_kind:     hidden_remainder_y
      - .offset:         166
        .size:           2
        .value_kind:     hidden_remainder_z
      - .offset:         184
        .size:           8
        .value_kind:     hidden_global_offset_x
      - .offset:         192
        .size:           8
        .value_kind:     hidden_global_offset_y
      - .offset:         200
        .size:           8
        .value_kind:     hidden_global_offset_z
      - .offset:         208
        .size:           2
        .value_kind:     hidden_grid_dims
    .group_segment_fixed_size: 8192
    .kernarg_segment_align: 8
    .kernarg_segment_size: 400
    .language:       OpenCL C
    .language_version:
      - 2
      - 0
    .max_flat_workgroup_size: 256
    .name:           _Z39paged_attention_ll4mi_QKV_mfma16_kernelIDF16_hLN4vllm18Fp8KVCacheDataTypeE1EDF16_Li32ELi128ELi256ELb1ELi12EEvPKT_PKT0_S7_ifPKiS9_S9_iPKfiiiPfSC_PS2_PT2_iSB_SB_
    .private_segment_fixed_size: 0
    .sgpr_count:     56
    .sgpr_spill_count: 0
    .symbol:         _Z39paged_attention_ll4mi_QKV_mfma16_kernelIDF16_hLN4vllm18Fp8KVCacheDataTypeE1EDF16_Li32ELi128ELi256ELb1ELi12EEvPKT_PKT0_S7_ifPKiS9_S9_iPKfiiiPfSC_PS2_PT2_iSB_SB_.kd
    .uniform_work_group_size: 1
    .uses_dynamic_stack: false
    .vgpr_count:     78
    .vgpr_spill_count: 0
    .wavefront_size: 64
  - .agpr_count:     0
    .args:
      - .actual_access:  read_only
        .address_space:  global
        .offset:         0
        .size:           8
        .value_kind:     global_buffer
      - .actual_access:  read_only
        .address_space:  global
        .offset:         8
        .size:           8
        .value_kind:     global_buffer
      - .actual_access:  read_only
        .address_space:  global
        .offset:         16
        .size:           8
        .value_kind:     global_buffer
      - .offset:         24
        .size:           4
        .value_kind:     by_value
      - .offset:         28
        .size:           4
        .value_kind:     by_value
      - .actual_access:  read_only
        .address_space:  global
        .offset:         32
        .size:           8
        .value_kind:     global_buffer
      - .actual_access:  read_only
        .address_space:  global
        .offset:         40
        .size:           8
        .value_kind:     global_buffer
      - .actual_access:  read_only
        .address_space:  global
        .offset:         48
        .size:           8
        .value_kind:     global_buffer
      - .offset:         56
        .size:           4
        .value_kind:     by_value
      - .actual_access:  read_only
        .address_space:  global
        .offset:         64
        .size:           8
        .value_kind:     global_buffer
      - .offset:         72
        .size:           4
        .value_kind:     by_value
      - .offset:         76
        .size:           4
        .value_kind:     by_value
      - .offset:         80
        .size:           4
        .value_kind:     by_value
      - .actual_access:  write_only
        .address_space:  global
        .offset:         88
        .size:           8
        .value_kind:     global_buffer
      - .actual_access:  write_only
        .address_space:  global
        .offset:         96
        .size:           8
        .value_kind:     global_buffer
      - .actual_access:  write_only
        .address_space:  global
        .offset:         104
        .size:           8
        .value_kind:     global_buffer
      - .actual_access:  read_only
        .address_space:  global
        .offset:         112
        .size:           8
        .value_kind:     global_buffer
      - .offset:         120
        .size:           4
        .value_kind:     by_value
      - .address_space:  global
        .offset:         128
        .size:           8
        .value_kind:     global_buffer
      - .address_space:  global
        .offset:         136
        .size:           8
        .value_kind:     global_buffer
      - .offset:         144
        .size:           4
        .value_kind:     hidden_block_count_x
      - .offset:         148
        .size:           4
        .value_kind:     hidden_block_count_y
      - .offset:         152
        .size:           4
        .value_kind:     hidden_block_count_z
      - .offset:         156
        .size:           2
        .value_kind:     hidden_group_size_x
      - .offset:         158
        .size:           2
        .value_kind:     hidden_group_size_y
      - .offset:         160
        .size:           2
        .value_kind:     hidden_group_size_z
      - .offset:         162
        .size:           2
        .value_kind:     hidden_remainder_x
      - .offset:         164
        .size:           2
        .value_kind:     hidden_remainder_y
      - .offset:         166
        .size:           2
        .value_kind:     hidden_remainder_z
      - .offset:         184
        .size:           8
        .value_kind:     hidden_global_offset_x
      - .offset:         192
        .size:           8
        .value_kind:     hidden_global_offset_y
      - .offset:         200
        .size:           8
        .value_kind:     hidden_global_offset_z
      - .offset:         208
        .size:           2
        .value_kind:     hidden_grid_dims
    .group_segment_fixed_size: 8192
    .kernarg_segment_align: 8
    .kernarg_segment_size: 400
    .language:       OpenCL C
    .language_version:
      - 2
      - 0
    .max_flat_workgroup_size: 256
    .name:           _Z39paged_attention_ll4mi_QKV_mfma16_kernelIDF16_hLN4vllm18Fp8KVCacheDataTypeE1EDF16_Li32ELi128ELi256ELb1ELi13EEvPKT_PKT0_S7_ifPKiS9_S9_iPKfiiiPfSC_PS2_PT2_iSB_SB_
    .private_segment_fixed_size: 0
    .sgpr_count:     56
    .sgpr_spill_count: 0
    .symbol:         _Z39paged_attention_ll4mi_QKV_mfma16_kernelIDF16_hLN4vllm18Fp8KVCacheDataTypeE1EDF16_Li32ELi128ELi256ELb1ELi13EEvPKT_PKT0_S7_ifPKiS9_S9_iPKfiiiPfSC_PS2_PT2_iSB_SB_.kd
    .uniform_work_group_size: 1
    .uses_dynamic_stack: false
    .vgpr_count:     78
    .vgpr_spill_count: 0
    .wavefront_size: 64
  - .agpr_count:     0
    .args:
      - .actual_access:  read_only
        .address_space:  global
        .offset:         0
        .size:           8
        .value_kind:     global_buffer
      - .actual_access:  read_only
        .address_space:  global
        .offset:         8
        .size:           8
        .value_kind:     global_buffer
      - .actual_access:  read_only
        .address_space:  global
        .offset:         16
        .size:           8
        .value_kind:     global_buffer
      - .offset:         24
        .size:           4
        .value_kind:     by_value
      - .offset:         28
        .size:           4
        .value_kind:     by_value
      - .actual_access:  read_only
        .address_space:  global
        .offset:         32
        .size:           8
        .value_kind:     global_buffer
      - .actual_access:  read_only
        .address_space:  global
        .offset:         40
        .size:           8
        .value_kind:     global_buffer
      - .actual_access:  read_only
        .address_space:  global
        .offset:         48
        .size:           8
        .value_kind:     global_buffer
      - .offset:         56
        .size:           4
        .value_kind:     by_value
      - .actual_access:  read_only
        .address_space:  global
        .offset:         64
        .size:           8
        .value_kind:     global_buffer
      - .offset:         72
        .size:           4
        .value_kind:     by_value
      - .offset:         76
        .size:           4
        .value_kind:     by_value
      - .offset:         80
        .size:           4
        .value_kind:     by_value
      - .actual_access:  write_only
        .address_space:  global
        .offset:         88
        .size:           8
        .value_kind:     global_buffer
      - .actual_access:  write_only
        .address_space:  global
        .offset:         96
        .size:           8
        .value_kind:     global_buffer
      - .actual_access:  write_only
        .address_space:  global
        .offset:         104
        .size:           8
        .value_kind:     global_buffer
      - .actual_access:  read_only
        .address_space:  global
        .offset:         112
        .size:           8
        .value_kind:     global_buffer
      - .offset:         120
        .size:           4
        .value_kind:     by_value
      - .address_space:  global
        .offset:         128
        .size:           8
        .value_kind:     global_buffer
      - .address_space:  global
        .offset:         136
        .size:           8
        .value_kind:     global_buffer
      - .offset:         144
        .size:           4
        .value_kind:     hidden_block_count_x
      - .offset:         148
        .size:           4
        .value_kind:     hidden_block_count_y
      - .offset:         152
        .size:           4
        .value_kind:     hidden_block_count_z
      - .offset:         156
        .size:           2
        .value_kind:     hidden_group_size_x
      - .offset:         158
        .size:           2
        .value_kind:     hidden_group_size_y
      - .offset:         160
        .size:           2
        .value_kind:     hidden_group_size_z
      - .offset:         162
        .size:           2
        .value_kind:     hidden_remainder_x
      - .offset:         164
        .size:           2
        .value_kind:     hidden_remainder_y
      - .offset:         166
        .size:           2
        .value_kind:     hidden_remainder_z
      - .offset:         184
        .size:           8
        .value_kind:     hidden_global_offset_x
      - .offset:         192
        .size:           8
        .value_kind:     hidden_global_offset_y
      - .offset:         200
        .size:           8
        .value_kind:     hidden_global_offset_z
      - .offset:         208
        .size:           2
        .value_kind:     hidden_grid_dims
    .group_segment_fixed_size: 8192
    .kernarg_segment_align: 8
    .kernarg_segment_size: 400
    .language:       OpenCL C
    .language_version:
      - 2
      - 0
    .max_flat_workgroup_size: 256
    .name:           _Z39paged_attention_ll4mi_QKV_mfma16_kernelIDF16_hLN4vllm18Fp8KVCacheDataTypeE1EDF16_Li32ELi128ELi256ELb1ELi14EEvPKT_PKT0_S7_ifPKiS9_S9_iPKfiiiPfSC_PS2_PT2_iSB_SB_
    .private_segment_fixed_size: 0
    .sgpr_count:     56
    .sgpr_spill_count: 0
    .symbol:         _Z39paged_attention_ll4mi_QKV_mfma16_kernelIDF16_hLN4vllm18Fp8KVCacheDataTypeE1EDF16_Li32ELi128ELi256ELb1ELi14EEvPKT_PKT0_S7_ifPKiS9_S9_iPKfiiiPfSC_PS2_PT2_iSB_SB_.kd
    .uniform_work_group_size: 1
    .uses_dynamic_stack: false
    .vgpr_count:     78
    .vgpr_spill_count: 0
    .wavefront_size: 64
  - .agpr_count:     0
    .args:
      - .actual_access:  read_only
        .address_space:  global
        .offset:         0
        .size:           8
        .value_kind:     global_buffer
      - .actual_access:  read_only
        .address_space:  global
        .offset:         8
        .size:           8
        .value_kind:     global_buffer
      - .actual_access:  read_only
        .address_space:  global
        .offset:         16
        .size:           8
        .value_kind:     global_buffer
      - .offset:         24
        .size:           4
        .value_kind:     by_value
      - .offset:         28
        .size:           4
        .value_kind:     by_value
      - .actual_access:  read_only
        .address_space:  global
        .offset:         32
        .size:           8
        .value_kind:     global_buffer
      - .actual_access:  read_only
        .address_space:  global
        .offset:         40
        .size:           8
        .value_kind:     global_buffer
      - .actual_access:  read_only
        .address_space:  global
        .offset:         48
        .size:           8
        .value_kind:     global_buffer
      - .offset:         56
        .size:           4
        .value_kind:     by_value
      - .actual_access:  read_only
        .address_space:  global
        .offset:         64
        .size:           8
        .value_kind:     global_buffer
      - .offset:         72
        .size:           4
        .value_kind:     by_value
      - .offset:         76
        .size:           4
        .value_kind:     by_value
      - .offset:         80
        .size:           4
        .value_kind:     by_value
      - .actual_access:  write_only
        .address_space:  global
        .offset:         88
        .size:           8
        .value_kind:     global_buffer
      - .actual_access:  write_only
        .address_space:  global
        .offset:         96
        .size:           8
        .value_kind:     global_buffer
      - .actual_access:  write_only
        .address_space:  global
        .offset:         104
        .size:           8
        .value_kind:     global_buffer
      - .actual_access:  read_only
        .address_space:  global
        .offset:         112
        .size:           8
        .value_kind:     global_buffer
      - .offset:         120
        .size:           4
        .value_kind:     by_value
      - .address_space:  global
        .offset:         128
        .size:           8
        .value_kind:     global_buffer
      - .address_space:  global
        .offset:         136
        .size:           8
        .value_kind:     global_buffer
      - .offset:         144
        .size:           4
        .value_kind:     hidden_block_count_x
      - .offset:         148
        .size:           4
        .value_kind:     hidden_block_count_y
      - .offset:         152
        .size:           4
        .value_kind:     hidden_block_count_z
      - .offset:         156
        .size:           2
        .value_kind:     hidden_group_size_x
      - .offset:         158
        .size:           2
        .value_kind:     hidden_group_size_y
      - .offset:         160
        .size:           2
        .value_kind:     hidden_group_size_z
      - .offset:         162
        .size:           2
        .value_kind:     hidden_remainder_x
      - .offset:         164
        .size:           2
        .value_kind:     hidden_remainder_y
      - .offset:         166
        .size:           2
        .value_kind:     hidden_remainder_z
      - .offset:         184
        .size:           8
        .value_kind:     hidden_global_offset_x
      - .offset:         192
        .size:           8
        .value_kind:     hidden_global_offset_y
      - .offset:         200
        .size:           8
        .value_kind:     hidden_global_offset_z
      - .offset:         208
        .size:           2
        .value_kind:     hidden_grid_dims
    .group_segment_fixed_size: 8192
    .kernarg_segment_align: 8
    .kernarg_segment_size: 400
    .language:       OpenCL C
    .language_version:
      - 2
      - 0
    .max_flat_workgroup_size: 256
    .name:           _Z39paged_attention_ll4mi_QKV_mfma16_kernelIDF16_hLN4vllm18Fp8KVCacheDataTypeE1EDF16_Li32ELi128ELi256ELb1ELi15EEvPKT_PKT0_S7_ifPKiS9_S9_iPKfiiiPfSC_PS2_PT2_iSB_SB_
    .private_segment_fixed_size: 0
    .sgpr_count:     56
    .sgpr_spill_count: 0
    .symbol:         _Z39paged_attention_ll4mi_QKV_mfma16_kernelIDF16_hLN4vllm18Fp8KVCacheDataTypeE1EDF16_Li32ELi128ELi256ELb1ELi15EEvPKT_PKT0_S7_ifPKiS9_S9_iPKfiiiPfSC_PS2_PT2_iSB_SB_.kd
    .uniform_work_group_size: 1
    .uses_dynamic_stack: false
    .vgpr_count:     78
    .vgpr_spill_count: 0
    .wavefront_size: 64
  - .agpr_count:     0
    .args:
      - .actual_access:  read_only
        .address_space:  global
        .offset:         0
        .size:           8
        .value_kind:     global_buffer
      - .actual_access:  read_only
        .address_space:  global
        .offset:         8
        .size:           8
        .value_kind:     global_buffer
      - .actual_access:  read_only
        .address_space:  global
        .offset:         16
        .size:           8
        .value_kind:     global_buffer
      - .offset:         24
        .size:           4
        .value_kind:     by_value
      - .offset:         28
        .size:           4
        .value_kind:     by_value
      - .actual_access:  read_only
        .address_space:  global
        .offset:         32
        .size:           8
        .value_kind:     global_buffer
      - .actual_access:  read_only
        .address_space:  global
        .offset:         40
        .size:           8
        .value_kind:     global_buffer
      - .actual_access:  read_only
        .address_space:  global
        .offset:         48
        .size:           8
        .value_kind:     global_buffer
      - .offset:         56
        .size:           4
        .value_kind:     by_value
      - .actual_access:  read_only
        .address_space:  global
        .offset:         64
        .size:           8
        .value_kind:     global_buffer
      - .offset:         72
        .size:           4
        .value_kind:     by_value
      - .offset:         76
        .size:           4
        .value_kind:     by_value
      - .offset:         80
        .size:           4
        .value_kind:     by_value
      - .actual_access:  write_only
        .address_space:  global
        .offset:         88
        .size:           8
        .value_kind:     global_buffer
      - .actual_access:  write_only
        .address_space:  global
        .offset:         96
        .size:           8
        .value_kind:     global_buffer
      - .actual_access:  write_only
        .address_space:  global
        .offset:         104
        .size:           8
        .value_kind:     global_buffer
      - .actual_access:  read_only
        .address_space:  global
        .offset:         112
        .size:           8
        .value_kind:     global_buffer
      - .offset:         120
        .size:           4
        .value_kind:     by_value
      - .address_space:  global
        .offset:         128
        .size:           8
        .value_kind:     global_buffer
      - .address_space:  global
        .offset:         136
        .size:           8
        .value_kind:     global_buffer
      - .offset:         144
        .size:           4
        .value_kind:     hidden_block_count_x
      - .offset:         148
        .size:           4
        .value_kind:     hidden_block_count_y
      - .offset:         152
        .size:           4
        .value_kind:     hidden_block_count_z
      - .offset:         156
        .size:           2
        .value_kind:     hidden_group_size_x
      - .offset:         158
        .size:           2
        .value_kind:     hidden_group_size_y
      - .offset:         160
        .size:           2
        .value_kind:     hidden_group_size_z
      - .offset:         162
        .size:           2
        .value_kind:     hidden_remainder_x
      - .offset:         164
        .size:           2
        .value_kind:     hidden_remainder_y
      - .offset:         166
        .size:           2
        .value_kind:     hidden_remainder_z
      - .offset:         184
        .size:           8
        .value_kind:     hidden_global_offset_x
      - .offset:         192
        .size:           8
        .value_kind:     hidden_global_offset_y
      - .offset:         200
        .size:           8
        .value_kind:     hidden_global_offset_z
      - .offset:         208
        .size:           2
        .value_kind:     hidden_grid_dims
    .group_segment_fixed_size: 8192
    .kernarg_segment_align: 8
    .kernarg_segment_size: 400
    .language:       OpenCL C
    .language_version:
      - 2
      - 0
    .max_flat_workgroup_size: 256
    .name:           _Z39paged_attention_ll4mi_QKV_mfma16_kernelIDF16_hLN4vllm18Fp8KVCacheDataTypeE1EDF16_Li32ELi128ELi256ELb1ELi16EEvPKT_PKT0_S7_ifPKiS9_S9_iPKfiiiPfSC_PS2_PT2_iSB_SB_
    .private_segment_fixed_size: 0
    .sgpr_count:     51
    .sgpr_spill_count: 0
    .symbol:         _Z39paged_attention_ll4mi_QKV_mfma16_kernelIDF16_hLN4vllm18Fp8KVCacheDataTypeE1EDF16_Li32ELi128ELi256ELb1ELi16EEvPKT_PKT0_S7_ifPKiS9_S9_iPKfiiiPfSC_PS2_PT2_iSB_SB_.kd
    .uniform_work_group_size: 1
    .uses_dynamic_stack: false
    .vgpr_count:     84
    .vgpr_spill_count: 0
    .wavefront_size: 64
  - .agpr_count:     0
    .args:
      - .actual_access:  read_only
        .address_space:  global
        .offset:         0
        .size:           8
        .value_kind:     global_buffer
      - .actual_access:  read_only
        .address_space:  global
        .offset:         8
        .size:           8
        .value_kind:     global_buffer
      - .actual_access:  read_only
        .address_space:  global
        .offset:         16
        .size:           8
        .value_kind:     global_buffer
      - .offset:         24
        .size:           4
        .value_kind:     by_value
      - .offset:         28
        .size:           4
        .value_kind:     by_value
      - .actual_access:  read_only
        .address_space:  global
        .offset:         32
        .size:           8
        .value_kind:     global_buffer
      - .actual_access:  read_only
        .address_space:  global
        .offset:         40
        .size:           8
        .value_kind:     global_buffer
      - .actual_access:  read_only
        .address_space:  global
        .offset:         48
        .size:           8
        .value_kind:     global_buffer
      - .offset:         56
        .size:           4
        .value_kind:     by_value
      - .actual_access:  read_only
        .address_space:  global
        .offset:         64
        .size:           8
        .value_kind:     global_buffer
      - .offset:         72
        .size:           4
        .value_kind:     by_value
      - .offset:         76
        .size:           4
        .value_kind:     by_value
      - .offset:         80
        .size:           4
        .value_kind:     by_value
      - .actual_access:  write_only
        .address_space:  global
        .offset:         88
        .size:           8
        .value_kind:     global_buffer
      - .actual_access:  write_only
        .address_space:  global
        .offset:         96
        .size:           8
        .value_kind:     global_buffer
      - .actual_access:  write_only
        .address_space:  global
        .offset:         104
        .size:           8
        .value_kind:     global_buffer
      - .actual_access:  read_only
        .address_space:  global
        .offset:         112
        .size:           8
        .value_kind:     global_buffer
      - .offset:         120
        .size:           4
        .value_kind:     by_value
      - .address_space:  global
        .offset:         128
        .size:           8
        .value_kind:     global_buffer
      - .address_space:  global
        .offset:         136
        .size:           8
        .value_kind:     global_buffer
      - .offset:         144
        .size:           4
        .value_kind:     hidden_block_count_x
      - .offset:         148
        .size:           4
        .value_kind:     hidden_block_count_y
      - .offset:         152
        .size:           4
        .value_kind:     hidden_block_count_z
      - .offset:         156
        .size:           2
        .value_kind:     hidden_group_size_x
      - .offset:         158
        .size:           2
        .value_kind:     hidden_group_size_y
      - .offset:         160
        .size:           2
        .value_kind:     hidden_group_size_z
      - .offset:         162
        .size:           2
        .value_kind:     hidden_remainder_x
      - .offset:         164
        .size:           2
        .value_kind:     hidden_remainder_y
      - .offset:         166
        .size:           2
        .value_kind:     hidden_remainder_z
      - .offset:         184
        .size:           8
        .value_kind:     hidden_global_offset_x
      - .offset:         192
        .size:           8
        .value_kind:     hidden_global_offset_y
      - .offset:         200
        .size:           8
        .value_kind:     hidden_global_offset_z
      - .offset:         208
        .size:           2
        .value_kind:     hidden_grid_dims
    .group_segment_fixed_size: 8192
    .kernarg_segment_align: 8
    .kernarg_segment_size: 400
    .language:       OpenCL C
    .language_version:
      - 2
      - 0
    .max_flat_workgroup_size: 256
    .name:           _Z39paged_attention_ll4mi_QKV_mfma16_kernelIDF16_hLN4vllm18Fp8KVCacheDataTypeE1EDF16_Li32ELi128ELi256ELb1ELi1EEvPKT_PKT0_S7_ifPKiS9_S9_iPKfiiiPfSC_PS2_PT2_iSB_SB_
    .private_segment_fixed_size: 0
    .sgpr_count:     54
    .sgpr_spill_count: 0
    .symbol:         _Z39paged_attention_ll4mi_QKV_mfma16_kernelIDF16_hLN4vllm18Fp8KVCacheDataTypeE1EDF16_Li32ELi128ELi256ELb1ELi1EEvPKT_PKT0_S7_ifPKiS9_S9_iPKfiiiPfSC_PS2_PT2_iSB_SB_.kd
    .uniform_work_group_size: 1
    .uses_dynamic_stack: false
    .vgpr_count:     78
    .vgpr_spill_count: 0
    .wavefront_size: 64
  - .agpr_count:     0
    .args:
      - .actual_access:  read_only
        .address_space:  global
        .offset:         0
        .size:           8
        .value_kind:     global_buffer
      - .actual_access:  read_only
        .address_space:  global
        .offset:         8
        .size:           8
        .value_kind:     global_buffer
      - .actual_access:  read_only
        .address_space:  global
        .offset:         16
        .size:           8
        .value_kind:     global_buffer
      - .offset:         24
        .size:           4
        .value_kind:     by_value
      - .offset:         28
        .size:           4
        .value_kind:     by_value
      - .actual_access:  read_only
        .address_space:  global
        .offset:         32
        .size:           8
        .value_kind:     global_buffer
      - .actual_access:  read_only
        .address_space:  global
        .offset:         40
        .size:           8
        .value_kind:     global_buffer
      - .actual_access:  read_only
        .address_space:  global
        .offset:         48
        .size:           8
        .value_kind:     global_buffer
      - .offset:         56
        .size:           4
        .value_kind:     by_value
      - .actual_access:  read_only
        .address_space:  global
        .offset:         64
        .size:           8
        .value_kind:     global_buffer
      - .offset:         72
        .size:           4
        .value_kind:     by_value
      - .offset:         76
        .size:           4
        .value_kind:     by_value
      - .offset:         80
        .size:           4
        .value_kind:     by_value
      - .actual_access:  write_only
        .address_space:  global
        .offset:         88
        .size:           8
        .value_kind:     global_buffer
      - .actual_access:  write_only
        .address_space:  global
        .offset:         96
        .size:           8
        .value_kind:     global_buffer
      - .actual_access:  write_only
        .address_space:  global
        .offset:         104
        .size:           8
        .value_kind:     global_buffer
      - .actual_access:  read_only
        .address_space:  global
        .offset:         112
        .size:           8
        .value_kind:     global_buffer
      - .offset:         120
        .size:           4
        .value_kind:     by_value
      - .address_space:  global
        .offset:         128
        .size:           8
        .value_kind:     global_buffer
      - .address_space:  global
        .offset:         136
        .size:           8
        .value_kind:     global_buffer
      - .offset:         144
        .size:           4
        .value_kind:     hidden_block_count_x
      - .offset:         148
        .size:           4
        .value_kind:     hidden_block_count_y
      - .offset:         152
        .size:           4
        .value_kind:     hidden_block_count_z
      - .offset:         156
        .size:           2
        .value_kind:     hidden_group_size_x
      - .offset:         158
        .size:           2
        .value_kind:     hidden_group_size_y
      - .offset:         160
        .size:           2
        .value_kind:     hidden_group_size_z
      - .offset:         162
        .size:           2
        .value_kind:     hidden_remainder_x
      - .offset:         164
        .size:           2
        .value_kind:     hidden_remainder_y
      - .offset:         166
        .size:           2
        .value_kind:     hidden_remainder_z
      - .offset:         184
        .size:           8
        .value_kind:     hidden_global_offset_x
      - .offset:         192
        .size:           8
        .value_kind:     hidden_global_offset_y
      - .offset:         200
        .size:           8
        .value_kind:     hidden_global_offset_z
      - .offset:         208
        .size:           2
        .value_kind:     hidden_grid_dims
    .group_segment_fixed_size: 8192
    .kernarg_segment_align: 8
    .kernarg_segment_size: 400
    .language:       OpenCL C
    .language_version:
      - 2
      - 0
    .max_flat_workgroup_size: 256
    .name:           _Z39paged_attention_ll4mi_QKV_mfma16_kernelIDF16_hLN4vllm18Fp8KVCacheDataTypeE1EDF16_Li32ELi128ELi256ELb1ELi2EEvPKT_PKT0_S7_ifPKiS9_S9_iPKfiiiPfSC_PS2_PT2_iSB_SB_
    .private_segment_fixed_size: 0
    .sgpr_count:     54
    .sgpr_spill_count: 0
    .symbol:         _Z39paged_attention_ll4mi_QKV_mfma16_kernelIDF16_hLN4vllm18Fp8KVCacheDataTypeE1EDF16_Li32ELi128ELi256ELb1ELi2EEvPKT_PKT0_S7_ifPKiS9_S9_iPKfiiiPfSC_PS2_PT2_iSB_SB_.kd
    .uniform_work_group_size: 1
    .uses_dynamic_stack: false
    .vgpr_count:     78
    .vgpr_spill_count: 0
    .wavefront_size: 64
  - .agpr_count:     0
    .args:
      - .actual_access:  read_only
        .address_space:  global
        .offset:         0
        .size:           8
        .value_kind:     global_buffer
      - .actual_access:  read_only
        .address_space:  global
        .offset:         8
        .size:           8
        .value_kind:     global_buffer
      - .actual_access:  read_only
        .address_space:  global
        .offset:         16
        .size:           8
        .value_kind:     global_buffer
      - .offset:         24
        .size:           4
        .value_kind:     by_value
      - .offset:         28
        .size:           4
        .value_kind:     by_value
      - .actual_access:  read_only
        .address_space:  global
        .offset:         32
        .size:           8
        .value_kind:     global_buffer
      - .actual_access:  read_only
        .address_space:  global
        .offset:         40
        .size:           8
        .value_kind:     global_buffer
      - .actual_access:  read_only
        .address_space:  global
        .offset:         48
        .size:           8
        .value_kind:     global_buffer
      - .offset:         56
        .size:           4
        .value_kind:     by_value
      - .actual_access:  read_only
        .address_space:  global
        .offset:         64
        .size:           8
        .value_kind:     global_buffer
      - .offset:         72
        .size:           4
        .value_kind:     by_value
      - .offset:         76
        .size:           4
        .value_kind:     by_value
      - .offset:         80
        .size:           4
        .value_kind:     by_value
      - .actual_access:  write_only
        .address_space:  global
        .offset:         88
        .size:           8
        .value_kind:     global_buffer
      - .actual_access:  write_only
        .address_space:  global
        .offset:         96
        .size:           8
        .value_kind:     global_buffer
      - .actual_access:  write_only
        .address_space:  global
        .offset:         104
        .size:           8
        .value_kind:     global_buffer
      - .actual_access:  read_only
        .address_space:  global
        .offset:         112
        .size:           8
        .value_kind:     global_buffer
      - .offset:         120
        .size:           4
        .value_kind:     by_value
      - .address_space:  global
        .offset:         128
        .size:           8
        .value_kind:     global_buffer
      - .address_space:  global
        .offset:         136
        .size:           8
        .value_kind:     global_buffer
      - .offset:         144
        .size:           4
        .value_kind:     hidden_block_count_x
      - .offset:         148
        .size:           4
        .value_kind:     hidden_block_count_y
      - .offset:         152
        .size:           4
        .value_kind:     hidden_block_count_z
      - .offset:         156
        .size:           2
        .value_kind:     hidden_group_size_x
      - .offset:         158
        .size:           2
        .value_kind:     hidden_group_size_y
      - .offset:         160
        .size:           2
        .value_kind:     hidden_group_size_z
      - .offset:         162
        .size:           2
        .value_kind:     hidden_remainder_x
      - .offset:         164
        .size:           2
        .value_kind:     hidden_remainder_y
      - .offset:         166
        .size:           2
        .value_kind:     hidden_remainder_z
      - .offset:         184
        .size:           8
        .value_kind:     hidden_global_offset_x
      - .offset:         192
        .size:           8
        .value_kind:     hidden_global_offset_y
      - .offset:         200
        .size:           8
        .value_kind:     hidden_global_offset_z
      - .offset:         208
        .size:           2
        .value_kind:     hidden_grid_dims
    .group_segment_fixed_size: 8192
    .kernarg_segment_align: 8
    .kernarg_segment_size: 400
    .language:       OpenCL C
    .language_version:
      - 2
      - 0
    .max_flat_workgroup_size: 256
    .name:           _Z39paged_attention_ll4mi_QKV_mfma16_kernelIDF16_hLN4vllm18Fp8KVCacheDataTypeE1EDF16_Li32ELi128ELi256ELb1ELi3EEvPKT_PKT0_S7_ifPKiS9_S9_iPKfiiiPfSC_PS2_PT2_iSB_SB_
    .private_segment_fixed_size: 0
    .sgpr_count:     56
    .sgpr_spill_count: 0
    .symbol:         _Z39paged_attention_ll4mi_QKV_mfma16_kernelIDF16_hLN4vllm18Fp8KVCacheDataTypeE1EDF16_Li32ELi128ELi256ELb1ELi3EEvPKT_PKT0_S7_ifPKiS9_S9_iPKfiiiPfSC_PS2_PT2_iSB_SB_.kd
    .uniform_work_group_size: 1
    .uses_dynamic_stack: false
    .vgpr_count:     80
    .vgpr_spill_count: 0
    .wavefront_size: 64
  - .agpr_count:     0
    .args:
      - .actual_access:  read_only
        .address_space:  global
        .offset:         0
        .size:           8
        .value_kind:     global_buffer
      - .actual_access:  read_only
        .address_space:  global
        .offset:         8
        .size:           8
        .value_kind:     global_buffer
      - .actual_access:  read_only
        .address_space:  global
        .offset:         16
        .size:           8
        .value_kind:     global_buffer
      - .offset:         24
        .size:           4
        .value_kind:     by_value
      - .offset:         28
        .size:           4
        .value_kind:     by_value
      - .actual_access:  read_only
        .address_space:  global
        .offset:         32
        .size:           8
        .value_kind:     global_buffer
      - .actual_access:  read_only
        .address_space:  global
        .offset:         40
        .size:           8
        .value_kind:     global_buffer
      - .actual_access:  read_only
        .address_space:  global
        .offset:         48
        .size:           8
        .value_kind:     global_buffer
      - .offset:         56
        .size:           4
        .value_kind:     by_value
      - .actual_access:  read_only
        .address_space:  global
        .offset:         64
        .size:           8
        .value_kind:     global_buffer
      - .offset:         72
        .size:           4
        .value_kind:     by_value
      - .offset:         76
        .size:           4
        .value_kind:     by_value
      - .offset:         80
        .size:           4
        .value_kind:     by_value
      - .actual_access:  write_only
        .address_space:  global
        .offset:         88
        .size:           8
        .value_kind:     global_buffer
      - .actual_access:  write_only
        .address_space:  global
        .offset:         96
        .size:           8
        .value_kind:     global_buffer
      - .actual_access:  write_only
        .address_space:  global
        .offset:         104
        .size:           8
        .value_kind:     global_buffer
      - .actual_access:  read_only
        .address_space:  global
        .offset:         112
        .size:           8
        .value_kind:     global_buffer
      - .offset:         120
        .size:           4
        .value_kind:     by_value
      - .address_space:  global
        .offset:         128
        .size:           8
        .value_kind:     global_buffer
      - .address_space:  global
        .offset:         136
        .size:           8
        .value_kind:     global_buffer
      - .offset:         144
        .size:           4
        .value_kind:     hidden_block_count_x
      - .offset:         148
        .size:           4
        .value_kind:     hidden_block_count_y
      - .offset:         152
        .size:           4
        .value_kind:     hidden_block_count_z
      - .offset:         156
        .size:           2
        .value_kind:     hidden_group_size_x
      - .offset:         158
        .size:           2
        .value_kind:     hidden_group_size_y
      - .offset:         160
        .size:           2
        .value_kind:     hidden_group_size_z
      - .offset:         162
        .size:           2
        .value_kind:     hidden_remainder_x
      - .offset:         164
        .size:           2
        .value_kind:     hidden_remainder_y
      - .offset:         166
        .size:           2
        .value_kind:     hidden_remainder_z
      - .offset:         184
        .size:           8
        .value_kind:     hidden_global_offset_x
      - .offset:         192
        .size:           8
        .value_kind:     hidden_global_offset_y
      - .offset:         200
        .size:           8
        .value_kind:     hidden_global_offset_z
      - .offset:         208
        .size:           2
        .value_kind:     hidden_grid_dims
    .group_segment_fixed_size: 8192
    .kernarg_segment_align: 8
    .kernarg_segment_size: 400
    .language:       OpenCL C
    .language_version:
      - 2
      - 0
    .max_flat_workgroup_size: 256
    .name:           _Z39paged_attention_ll4mi_QKV_mfma16_kernelIDF16_hLN4vllm18Fp8KVCacheDataTypeE1EDF16_Li32ELi128ELi256ELb1ELi4EEvPKT_PKT0_S7_ifPKiS9_S9_iPKfiiiPfSC_PS2_PT2_iSB_SB_
    .private_segment_fixed_size: 0
    .sgpr_count:     54
    .sgpr_spill_count: 0
    .symbol:         _Z39paged_attention_ll4mi_QKV_mfma16_kernelIDF16_hLN4vllm18Fp8KVCacheDataTypeE1EDF16_Li32ELi128ELi256ELb1ELi4EEvPKT_PKT0_S7_ifPKiS9_S9_iPKfiiiPfSC_PS2_PT2_iSB_SB_.kd
    .uniform_work_group_size: 1
    .uses_dynamic_stack: false
    .vgpr_count:     80
    .vgpr_spill_count: 0
    .wavefront_size: 64
  - .agpr_count:     4
    .args:
      - .actual_access:  read_only
        .address_space:  global
        .offset:         0
        .size:           8
        .value_kind:     global_buffer
      - .actual_access:  read_only
        .address_space:  global
        .offset:         8
        .size:           8
        .value_kind:     global_buffer
      - .actual_access:  read_only
        .address_space:  global
        .offset:         16
        .size:           8
        .value_kind:     global_buffer
      - .offset:         24
        .size:           4
        .value_kind:     by_value
      - .offset:         28
        .size:           4
        .value_kind:     by_value
      - .actual_access:  read_only
        .address_space:  global
        .offset:         32
        .size:           8
        .value_kind:     global_buffer
      - .actual_access:  read_only
        .address_space:  global
        .offset:         40
        .size:           8
        .value_kind:     global_buffer
      - .actual_access:  read_only
        .address_space:  global
        .offset:         48
        .size:           8
        .value_kind:     global_buffer
      - .offset:         56
        .size:           4
        .value_kind:     by_value
      - .actual_access:  read_only
        .address_space:  global
        .offset:         64
        .size:           8
        .value_kind:     global_buffer
      - .offset:         72
        .size:           4
        .value_kind:     by_value
      - .offset:         76
        .size:           4
        .value_kind:     by_value
      - .offset:         80
        .size:           4
        .value_kind:     by_value
      - .actual_access:  write_only
        .address_space:  global
        .offset:         88
        .size:           8
        .value_kind:     global_buffer
      - .actual_access:  write_only
        .address_space:  global
        .offset:         96
        .size:           8
        .value_kind:     global_buffer
      - .actual_access:  write_only
        .address_space:  global
        .offset:         104
        .size:           8
        .value_kind:     global_buffer
      - .actual_access:  read_only
        .address_space:  global
        .offset:         112
        .size:           8
        .value_kind:     global_buffer
      - .offset:         120
        .size:           4
        .value_kind:     by_value
      - .address_space:  global
        .offset:         128
        .size:           8
        .value_kind:     global_buffer
      - .address_space:  global
        .offset:         136
        .size:           8
        .value_kind:     global_buffer
      - .offset:         144
        .size:           4
        .value_kind:     hidden_block_count_x
      - .offset:         148
        .size:           4
        .value_kind:     hidden_block_count_y
      - .offset:         152
        .size:           4
        .value_kind:     hidden_block_count_z
      - .offset:         156
        .size:           2
        .value_kind:     hidden_group_size_x
      - .offset:         158
        .size:           2
        .value_kind:     hidden_group_size_y
      - .offset:         160
        .size:           2
        .value_kind:     hidden_group_size_z
      - .offset:         162
        .size:           2
        .value_kind:     hidden_remainder_x
      - .offset:         164
        .size:           2
        .value_kind:     hidden_remainder_y
      - .offset:         166
        .size:           2
        .value_kind:     hidden_remainder_z
      - .offset:         184
        .size:           8
        .value_kind:     hidden_global_offset_x
      - .offset:         192
        .size:           8
        .value_kind:     hidden_global_offset_y
      - .offset:         200
        .size:           8
        .value_kind:     hidden_global_offset_z
      - .offset:         208
        .size:           2
        .value_kind:     hidden_grid_dims
    .group_segment_fixed_size: 5280
    .kernarg_segment_align: 8
    .kernarg_segment_size: 400
    .language:       OpenCL C
    .language_version:
      - 2
      - 0
    .max_flat_workgroup_size: 256
    .name:           _Z38paged_attention_ll4mi_QKV_mfma4_kernelIDF16_hLN4vllm18Fp8KVCacheDataTypeE1EDF16_Li32ELi128ELi256ELb0ELi1EEvPKT_PKT0_S7_ifPKiS9_S9_iPKfiiiPfSC_PS2_PT2_iSB_SB_
    .private_segment_fixed_size: 0
    .sgpr_count:     48
    .sgpr_spill_count: 0
    .symbol:         _Z38paged_attention_ll4mi_QKV_mfma4_kernelIDF16_hLN4vllm18Fp8KVCacheDataTypeE1EDF16_Li32ELi128ELi256ELb0ELi1EEvPKT_PKT0_S7_ifPKiS9_S9_iPKfiiiPfSC_PS2_PT2_iSB_SB_.kd
    .uniform_work_group_size: 1
    .uses_dynamic_stack: false
    .vgpr_count:     112
    .vgpr_spill_count: 0
    .wavefront_size: 64
  - .agpr_count:     4
    .args:
      - .actual_access:  read_only
        .address_space:  global
        .offset:         0
        .size:           8
        .value_kind:     global_buffer
      - .actual_access:  read_only
        .address_space:  global
        .offset:         8
        .size:           8
        .value_kind:     global_buffer
      - .actual_access:  read_only
        .address_space:  global
        .offset:         16
        .size:           8
        .value_kind:     global_buffer
      - .offset:         24
        .size:           4
        .value_kind:     by_value
      - .offset:         28
        .size:           4
        .value_kind:     by_value
      - .actual_access:  read_only
        .address_space:  global
        .offset:         32
        .size:           8
        .value_kind:     global_buffer
      - .actual_access:  read_only
        .address_space:  global
        .offset:         40
        .size:           8
        .value_kind:     global_buffer
      - .actual_access:  read_only
        .address_space:  global
        .offset:         48
        .size:           8
        .value_kind:     global_buffer
      - .offset:         56
        .size:           4
        .value_kind:     by_value
      - .actual_access:  read_only
        .address_space:  global
        .offset:         64
        .size:           8
        .value_kind:     global_buffer
      - .offset:         72
        .size:           4
        .value_kind:     by_value
      - .offset:         76
        .size:           4
        .value_kind:     by_value
      - .offset:         80
        .size:           4
        .value_kind:     by_value
      - .actual_access:  write_only
        .address_space:  global
        .offset:         88
        .size:           8
        .value_kind:     global_buffer
      - .actual_access:  write_only
        .address_space:  global
        .offset:         96
        .size:           8
        .value_kind:     global_buffer
      - .actual_access:  write_only
        .address_space:  global
        .offset:         104
        .size:           8
        .value_kind:     global_buffer
      - .actual_access:  read_only
        .address_space:  global
        .offset:         112
        .size:           8
        .value_kind:     global_buffer
      - .offset:         120
        .size:           4
        .value_kind:     by_value
      - .address_space:  global
        .offset:         128
        .size:           8
        .value_kind:     global_buffer
      - .address_space:  global
        .offset:         136
        .size:           8
        .value_kind:     global_buffer
      - .offset:         144
        .size:           4
        .value_kind:     hidden_block_count_x
      - .offset:         148
        .size:           4
        .value_kind:     hidden_block_count_y
      - .offset:         152
        .size:           4
        .value_kind:     hidden_block_count_z
      - .offset:         156
        .size:           2
        .value_kind:     hidden_group_size_x
      - .offset:         158
        .size:           2
        .value_kind:     hidden_group_size_y
      - .offset:         160
        .size:           2
        .value_kind:     hidden_group_size_z
      - .offset:         162
        .size:           2
        .value_kind:     hidden_remainder_x
      - .offset:         164
        .size:           2
        .value_kind:     hidden_remainder_y
      - .offset:         166
        .size:           2
        .value_kind:     hidden_remainder_z
      - .offset:         184
        .size:           8
        .value_kind:     hidden_global_offset_x
      - .offset:         192
        .size:           8
        .value_kind:     hidden_global_offset_y
      - .offset:         200
        .size:           8
        .value_kind:     hidden_global_offset_z
      - .offset:         208
        .size:           2
        .value_kind:     hidden_grid_dims
    .group_segment_fixed_size: 5280
    .kernarg_segment_align: 8
    .kernarg_segment_size: 400
    .language:       OpenCL C
    .language_version:
      - 2
      - 0
    .max_flat_workgroup_size: 256
    .name:           _Z38paged_attention_ll4mi_QKV_mfma4_kernelIDF16_hLN4vllm18Fp8KVCacheDataTypeE1EDF16_Li32ELi128ELi256ELb0ELi2EEvPKT_PKT0_S7_ifPKiS9_S9_iPKfiiiPfSC_PS2_PT2_iSB_SB_
    .private_segment_fixed_size: 0
    .sgpr_count:     48
    .sgpr_spill_count: 0
    .symbol:         _Z38paged_attention_ll4mi_QKV_mfma4_kernelIDF16_hLN4vllm18Fp8KVCacheDataTypeE1EDF16_Li32ELi128ELi256ELb0ELi2EEvPKT_PKT0_S7_ifPKiS9_S9_iPKfiiiPfSC_PS2_PT2_iSB_SB_.kd
    .uniform_work_group_size: 1
    .uses_dynamic_stack: false
    .vgpr_count:     108
    .vgpr_spill_count: 0
    .wavefront_size: 64
  - .agpr_count:     4
    .args:
      - .actual_access:  read_only
        .address_space:  global
        .offset:         0
        .size:           8
        .value_kind:     global_buffer
      - .actual_access:  read_only
        .address_space:  global
        .offset:         8
        .size:           8
        .value_kind:     global_buffer
      - .actual_access:  read_only
        .address_space:  global
        .offset:         16
        .size:           8
        .value_kind:     global_buffer
      - .offset:         24
        .size:           4
        .value_kind:     by_value
      - .offset:         28
        .size:           4
        .value_kind:     by_value
      - .actual_access:  read_only
        .address_space:  global
        .offset:         32
        .size:           8
        .value_kind:     global_buffer
      - .actual_access:  read_only
        .address_space:  global
        .offset:         40
        .size:           8
        .value_kind:     global_buffer
      - .actual_access:  read_only
        .address_space:  global
        .offset:         48
        .size:           8
        .value_kind:     global_buffer
      - .offset:         56
        .size:           4
        .value_kind:     by_value
      - .actual_access:  read_only
        .address_space:  global
        .offset:         64
        .size:           8
        .value_kind:     global_buffer
      - .offset:         72
        .size:           4
        .value_kind:     by_value
      - .offset:         76
        .size:           4
        .value_kind:     by_value
      - .offset:         80
        .size:           4
        .value_kind:     by_value
      - .actual_access:  write_only
        .address_space:  global
        .offset:         88
        .size:           8
        .value_kind:     global_buffer
      - .actual_access:  write_only
        .address_space:  global
        .offset:         96
        .size:           8
        .value_kind:     global_buffer
      - .actual_access:  write_only
        .address_space:  global
        .offset:         104
        .size:           8
        .value_kind:     global_buffer
      - .actual_access:  read_only
        .address_space:  global
        .offset:         112
        .size:           8
        .value_kind:     global_buffer
      - .offset:         120
        .size:           4
        .value_kind:     by_value
      - .address_space:  global
        .offset:         128
        .size:           8
        .value_kind:     global_buffer
      - .address_space:  global
        .offset:         136
        .size:           8
        .value_kind:     global_buffer
      - .offset:         144
        .size:           4
        .value_kind:     hidden_block_count_x
      - .offset:         148
        .size:           4
        .value_kind:     hidden_block_count_y
      - .offset:         152
        .size:           4
        .value_kind:     hidden_block_count_z
      - .offset:         156
        .size:           2
        .value_kind:     hidden_group_size_x
      - .offset:         158
        .size:           2
        .value_kind:     hidden_group_size_y
      - .offset:         160
        .size:           2
        .value_kind:     hidden_group_size_z
      - .offset:         162
        .size:           2
        .value_kind:     hidden_remainder_x
      - .offset:         164
        .size:           2
        .value_kind:     hidden_remainder_y
      - .offset:         166
        .size:           2
        .value_kind:     hidden_remainder_z
      - .offset:         184
        .size:           8
        .value_kind:     hidden_global_offset_x
      - .offset:         192
        .size:           8
        .value_kind:     hidden_global_offset_y
      - .offset:         200
        .size:           8
        .value_kind:     hidden_global_offset_z
      - .offset:         208
        .size:           2
        .value_kind:     hidden_grid_dims
    .group_segment_fixed_size: 5280
    .kernarg_segment_align: 8
    .kernarg_segment_size: 400
    .language:       OpenCL C
    .language_version:
      - 2
      - 0
    .max_flat_workgroup_size: 256
    .name:           _Z38paged_attention_ll4mi_QKV_mfma4_kernelIDF16_hLN4vllm18Fp8KVCacheDataTypeE1EDF16_Li32ELi128ELi256ELb0ELi3EEvPKT_PKT0_S7_ifPKiS9_S9_iPKfiiiPfSC_PS2_PT2_iSB_SB_
    .private_segment_fixed_size: 0
    .sgpr_count:     48
    .sgpr_spill_count: 0
    .symbol:         _Z38paged_attention_ll4mi_QKV_mfma4_kernelIDF16_hLN4vllm18Fp8KVCacheDataTypeE1EDF16_Li32ELi128ELi256ELb0ELi3EEvPKT_PKT0_S7_ifPKiS9_S9_iPKfiiiPfSC_PS2_PT2_iSB_SB_.kd
    .uniform_work_group_size: 1
    .uses_dynamic_stack: false
    .vgpr_count:     112
    .vgpr_spill_count: 0
    .wavefront_size: 64
  - .agpr_count:     4
    .args:
      - .actual_access:  read_only
        .address_space:  global
        .offset:         0
        .size:           8
        .value_kind:     global_buffer
      - .actual_access:  read_only
        .address_space:  global
        .offset:         8
        .size:           8
        .value_kind:     global_buffer
      - .actual_access:  read_only
        .address_space:  global
        .offset:         16
        .size:           8
        .value_kind:     global_buffer
      - .offset:         24
        .size:           4
        .value_kind:     by_value
      - .offset:         28
        .size:           4
        .value_kind:     by_value
      - .actual_access:  read_only
        .address_space:  global
        .offset:         32
        .size:           8
        .value_kind:     global_buffer
      - .actual_access:  read_only
        .address_space:  global
        .offset:         40
        .size:           8
        .value_kind:     global_buffer
      - .actual_access:  read_only
        .address_space:  global
        .offset:         48
        .size:           8
        .value_kind:     global_buffer
      - .offset:         56
        .size:           4
        .value_kind:     by_value
      - .actual_access:  read_only
        .address_space:  global
        .offset:         64
        .size:           8
        .value_kind:     global_buffer
      - .offset:         72
        .size:           4
        .value_kind:     by_value
      - .offset:         76
        .size:           4
        .value_kind:     by_value
      - .offset:         80
        .size:           4
        .value_kind:     by_value
      - .actual_access:  write_only
        .address_space:  global
        .offset:         88
        .size:           8
        .value_kind:     global_buffer
      - .actual_access:  write_only
        .address_space:  global
        .offset:         96
        .size:           8
        .value_kind:     global_buffer
      - .actual_access:  write_only
        .address_space:  global
        .offset:         104
        .size:           8
        .value_kind:     global_buffer
      - .actual_access:  read_only
        .address_space:  global
        .offset:         112
        .size:           8
        .value_kind:     global_buffer
      - .offset:         120
        .size:           4
        .value_kind:     by_value
      - .address_space:  global
        .offset:         128
        .size:           8
        .value_kind:     global_buffer
      - .address_space:  global
        .offset:         136
        .size:           8
        .value_kind:     global_buffer
      - .offset:         144
        .size:           4
        .value_kind:     hidden_block_count_x
      - .offset:         148
        .size:           4
        .value_kind:     hidden_block_count_y
      - .offset:         152
        .size:           4
        .value_kind:     hidden_block_count_z
      - .offset:         156
        .size:           2
        .value_kind:     hidden_group_size_x
      - .offset:         158
        .size:           2
        .value_kind:     hidden_group_size_y
      - .offset:         160
        .size:           2
        .value_kind:     hidden_group_size_z
      - .offset:         162
        .size:           2
        .value_kind:     hidden_remainder_x
      - .offset:         164
        .size:           2
        .value_kind:     hidden_remainder_y
      - .offset:         166
        .size:           2
        .value_kind:     hidden_remainder_z
      - .offset:         184
        .size:           8
        .value_kind:     hidden_global_offset_x
      - .offset:         192
        .size:           8
        .value_kind:     hidden_global_offset_y
      - .offset:         200
        .size:           8
        .value_kind:     hidden_global_offset_z
      - .offset:         208
        .size:           2
        .value_kind:     hidden_grid_dims
    .group_segment_fixed_size: 5280
    .kernarg_segment_align: 8
    .kernarg_segment_size: 400
    .language:       OpenCL C
    .language_version:
      - 2
      - 0
    .max_flat_workgroup_size: 256
    .name:           _Z38paged_attention_ll4mi_QKV_mfma4_kernelIDF16_hLN4vllm18Fp8KVCacheDataTypeE1EDF16_Li32ELi128ELi256ELb0ELi4EEvPKT_PKT0_S7_ifPKiS9_S9_iPKfiiiPfSC_PS2_PT2_iSB_SB_
    .private_segment_fixed_size: 0
    .sgpr_count:     48
    .sgpr_spill_count: 0
    .symbol:         _Z38paged_attention_ll4mi_QKV_mfma4_kernelIDF16_hLN4vllm18Fp8KVCacheDataTypeE1EDF16_Li32ELi128ELi256ELb0ELi4EEvPKT_PKT0_S7_ifPKiS9_S9_iPKfiiiPfSC_PS2_PT2_iSB_SB_.kd
    .uniform_work_group_size: 1
    .uses_dynamic_stack: false
    .vgpr_count:     96
    .vgpr_spill_count: 0
    .wavefront_size: 64
  - .agpr_count:     0
    .args:
      - .actual_access:  read_only
        .address_space:  global
        .offset:         0
        .size:           8
        .value_kind:     global_buffer
      - .actual_access:  read_only
        .address_space:  global
        .offset:         8
        .size:           8
        .value_kind:     global_buffer
      - .actual_access:  read_only
        .address_space:  global
        .offset:         16
        .size:           8
        .value_kind:     global_buffer
      - .offset:         24
        .size:           4
        .value_kind:     by_value
      - .offset:         28
        .size:           4
        .value_kind:     by_value
      - .actual_access:  read_only
        .address_space:  global
        .offset:         32
        .size:           8
        .value_kind:     global_buffer
      - .actual_access:  read_only
        .address_space:  global
        .offset:         40
        .size:           8
        .value_kind:     global_buffer
      - .actual_access:  read_only
        .address_space:  global
        .offset:         48
        .size:           8
        .value_kind:     global_buffer
      - .offset:         56
        .size:           4
        .value_kind:     by_value
      - .actual_access:  read_only
        .address_space:  global
        .offset:         64
        .size:           8
        .value_kind:     global_buffer
      - .offset:         72
        .size:           4
        .value_kind:     by_value
      - .offset:         76
        .size:           4
        .value_kind:     by_value
      - .offset:         80
        .size:           4
        .value_kind:     by_value
      - .actual_access:  write_only
        .address_space:  global
        .offset:         88
        .size:           8
        .value_kind:     global_buffer
      - .actual_access:  write_only
        .address_space:  global
        .offset:         96
        .size:           8
        .value_kind:     global_buffer
      - .actual_access:  write_only
        .address_space:  global
        .offset:         104
        .size:           8
        .value_kind:     global_buffer
      - .actual_access:  read_only
        .address_space:  global
        .offset:         112
        .size:           8
        .value_kind:     global_buffer
      - .offset:         120
        .size:           4
        .value_kind:     by_value
      - .address_space:  global
        .offset:         128
        .size:           8
        .value_kind:     global_buffer
      - .address_space:  global
        .offset:         136
        .size:           8
        .value_kind:     global_buffer
      - .offset:         144
        .size:           4
        .value_kind:     hidden_block_count_x
      - .offset:         148
        .size:           4
        .value_kind:     hidden_block_count_y
      - .offset:         152
        .size:           4
        .value_kind:     hidden_block_count_z
      - .offset:         156
        .size:           2
        .value_kind:     hidden_group_size_x
      - .offset:         158
        .size:           2
        .value_kind:     hidden_group_size_y
      - .offset:         160
        .size:           2
        .value_kind:     hidden_group_size_z
      - .offset:         162
        .size:           2
        .value_kind:     hidden_remainder_x
      - .offset:         164
        .size:           2
        .value_kind:     hidden_remainder_y
      - .offset:         166
        .size:           2
        .value_kind:     hidden_remainder_z
      - .offset:         184
        .size:           8
        .value_kind:     hidden_global_offset_x
      - .offset:         192
        .size:           8
        .value_kind:     hidden_global_offset_y
      - .offset:         200
        .size:           8
        .value_kind:     hidden_global_offset_z
      - .offset:         208
        .size:           2
        .value_kind:     hidden_grid_dims
    .group_segment_fixed_size: 8192
    .kernarg_segment_align: 8
    .kernarg_segment_size: 400
    .language:       OpenCL C
    .language_version:
      - 2
      - 0
    .max_flat_workgroup_size: 256
    .name:           _Z39paged_attention_ll4mi_QKV_mfma16_kernelIDF16_hLN4vllm18Fp8KVCacheDataTypeE1EDF16_Li32ELi128ELi256ELb0ELi5EEvPKT_PKT0_S7_ifPKiS9_S9_iPKfiiiPfSC_PS2_PT2_iSB_SB_
    .private_segment_fixed_size: 0
    .sgpr_count:     56
    .sgpr_spill_count: 0
    .symbol:         _Z39paged_attention_ll4mi_QKV_mfma16_kernelIDF16_hLN4vllm18Fp8KVCacheDataTypeE1EDF16_Li32ELi128ELi256ELb0ELi5EEvPKT_PKT0_S7_ifPKiS9_S9_iPKfiiiPfSC_PS2_PT2_iSB_SB_.kd
    .uniform_work_group_size: 1
    .uses_dynamic_stack: false
    .vgpr_count:     80
    .vgpr_spill_count: 0
    .wavefront_size: 64
  - .agpr_count:     0
    .args:
      - .actual_access:  read_only
        .address_space:  global
        .offset:         0
        .size:           8
        .value_kind:     global_buffer
      - .actual_access:  read_only
        .address_space:  global
        .offset:         8
        .size:           8
        .value_kind:     global_buffer
      - .actual_access:  read_only
        .address_space:  global
        .offset:         16
        .size:           8
        .value_kind:     global_buffer
      - .offset:         24
        .size:           4
        .value_kind:     by_value
      - .offset:         28
        .size:           4
        .value_kind:     by_value
      - .actual_access:  read_only
        .address_space:  global
        .offset:         32
        .size:           8
        .value_kind:     global_buffer
      - .actual_access:  read_only
        .address_space:  global
        .offset:         40
        .size:           8
        .value_kind:     global_buffer
      - .actual_access:  read_only
        .address_space:  global
        .offset:         48
        .size:           8
        .value_kind:     global_buffer
      - .offset:         56
        .size:           4
        .value_kind:     by_value
      - .actual_access:  read_only
        .address_space:  global
        .offset:         64
        .size:           8
        .value_kind:     global_buffer
      - .offset:         72
        .size:           4
        .value_kind:     by_value
      - .offset:         76
        .size:           4
        .value_kind:     by_value
      - .offset:         80
        .size:           4
        .value_kind:     by_value
      - .actual_access:  write_only
        .address_space:  global
        .offset:         88
        .size:           8
        .value_kind:     global_buffer
      - .actual_access:  write_only
        .address_space:  global
        .offset:         96
        .size:           8
        .value_kind:     global_buffer
      - .actual_access:  write_only
        .address_space:  global
        .offset:         104
        .size:           8
        .value_kind:     global_buffer
      - .actual_access:  read_only
        .address_space:  global
        .offset:         112
        .size:           8
        .value_kind:     global_buffer
      - .offset:         120
        .size:           4
        .value_kind:     by_value
      - .address_space:  global
        .offset:         128
        .size:           8
        .value_kind:     global_buffer
      - .address_space:  global
        .offset:         136
        .size:           8
        .value_kind:     global_buffer
      - .offset:         144
        .size:           4
        .value_kind:     hidden_block_count_x
      - .offset:         148
        .size:           4
        .value_kind:     hidden_block_count_y
      - .offset:         152
        .size:           4
        .value_kind:     hidden_block_count_z
      - .offset:         156
        .size:           2
        .value_kind:     hidden_group_size_x
      - .offset:         158
        .size:           2
        .value_kind:     hidden_group_size_y
      - .offset:         160
        .size:           2
        .value_kind:     hidden_group_size_z
      - .offset:         162
        .size:           2
        .value_kind:     hidden_remainder_x
      - .offset:         164
        .size:           2
        .value_kind:     hidden_remainder_y
      - .offset:         166
        .size:           2
        .value_kind:     hidden_remainder_z
      - .offset:         184
        .size:           8
        .value_kind:     hidden_global_offset_x
      - .offset:         192
        .size:           8
        .value_kind:     hidden_global_offset_y
      - .offset:         200
        .size:           8
        .value_kind:     hidden_global_offset_z
      - .offset:         208
        .size:           2
        .value_kind:     hidden_grid_dims
    .group_segment_fixed_size: 8192
    .kernarg_segment_align: 8
    .kernarg_segment_size: 400
    .language:       OpenCL C
    .language_version:
      - 2
      - 0
    .max_flat_workgroup_size: 256
    .name:           _Z39paged_attention_ll4mi_QKV_mfma16_kernelIDF16_hLN4vllm18Fp8KVCacheDataTypeE1EDF16_Li32ELi128ELi256ELb0ELi6EEvPKT_PKT0_S7_ifPKiS9_S9_iPKfiiiPfSC_PS2_PT2_iSB_SB_
    .private_segment_fixed_size: 0
    .sgpr_count:     56
    .sgpr_spill_count: 0
    .symbol:         _Z39paged_attention_ll4mi_QKV_mfma16_kernelIDF16_hLN4vllm18Fp8KVCacheDataTypeE1EDF16_Li32ELi128ELi256ELb0ELi6EEvPKT_PKT0_S7_ifPKiS9_S9_iPKfiiiPfSC_PS2_PT2_iSB_SB_.kd
    .uniform_work_group_size: 1
    .uses_dynamic_stack: false
    .vgpr_count:     80
    .vgpr_spill_count: 0
    .wavefront_size: 64
  - .agpr_count:     0
    .args:
      - .actual_access:  read_only
        .address_space:  global
        .offset:         0
        .size:           8
        .value_kind:     global_buffer
      - .actual_access:  read_only
        .address_space:  global
        .offset:         8
        .size:           8
        .value_kind:     global_buffer
      - .actual_access:  read_only
        .address_space:  global
        .offset:         16
        .size:           8
        .value_kind:     global_buffer
      - .offset:         24
        .size:           4
        .value_kind:     by_value
      - .offset:         28
        .size:           4
        .value_kind:     by_value
      - .actual_access:  read_only
        .address_space:  global
        .offset:         32
        .size:           8
        .value_kind:     global_buffer
      - .actual_access:  read_only
        .address_space:  global
        .offset:         40
        .size:           8
        .value_kind:     global_buffer
      - .actual_access:  read_only
        .address_space:  global
        .offset:         48
        .size:           8
        .value_kind:     global_buffer
      - .offset:         56
        .size:           4
        .value_kind:     by_value
      - .actual_access:  read_only
        .address_space:  global
        .offset:         64
        .size:           8
        .value_kind:     global_buffer
      - .offset:         72
        .size:           4
        .value_kind:     by_value
      - .offset:         76
        .size:           4
        .value_kind:     by_value
      - .offset:         80
        .size:           4
        .value_kind:     by_value
      - .actual_access:  write_only
        .address_space:  global
        .offset:         88
        .size:           8
        .value_kind:     global_buffer
      - .actual_access:  write_only
        .address_space:  global
        .offset:         96
        .size:           8
        .value_kind:     global_buffer
      - .actual_access:  write_only
        .address_space:  global
        .offset:         104
        .size:           8
        .value_kind:     global_buffer
      - .actual_access:  read_only
        .address_space:  global
        .offset:         112
        .size:           8
        .value_kind:     global_buffer
      - .offset:         120
        .size:           4
        .value_kind:     by_value
      - .address_space:  global
        .offset:         128
        .size:           8
        .value_kind:     global_buffer
      - .address_space:  global
        .offset:         136
        .size:           8
        .value_kind:     global_buffer
      - .offset:         144
        .size:           4
        .value_kind:     hidden_block_count_x
      - .offset:         148
        .size:           4
        .value_kind:     hidden_block_count_y
      - .offset:         152
        .size:           4
        .value_kind:     hidden_block_count_z
      - .offset:         156
        .size:           2
        .value_kind:     hidden_group_size_x
      - .offset:         158
        .size:           2
        .value_kind:     hidden_group_size_y
      - .offset:         160
        .size:           2
        .value_kind:     hidden_group_size_z
      - .offset:         162
        .size:           2
        .value_kind:     hidden_remainder_x
      - .offset:         164
        .size:           2
        .value_kind:     hidden_remainder_y
      - .offset:         166
        .size:           2
        .value_kind:     hidden_remainder_z
      - .offset:         184
        .size:           8
        .value_kind:     hidden_global_offset_x
      - .offset:         192
        .size:           8
        .value_kind:     hidden_global_offset_y
      - .offset:         200
        .size:           8
        .value_kind:     hidden_global_offset_z
      - .offset:         208
        .size:           2
        .value_kind:     hidden_grid_dims
    .group_segment_fixed_size: 8192
    .kernarg_segment_align: 8
    .kernarg_segment_size: 400
    .language:       OpenCL C
    .language_version:
      - 2
      - 0
    .max_flat_workgroup_size: 256
    .name:           _Z39paged_attention_ll4mi_QKV_mfma16_kernelIDF16_hLN4vllm18Fp8KVCacheDataTypeE1EDF16_Li32ELi128ELi256ELb0ELi7EEvPKT_PKT0_S7_ifPKiS9_S9_iPKfiiiPfSC_PS2_PT2_iSB_SB_
    .private_segment_fixed_size: 0
    .sgpr_count:     56
    .sgpr_spill_count: 0
    .symbol:         _Z39paged_attention_ll4mi_QKV_mfma16_kernelIDF16_hLN4vllm18Fp8KVCacheDataTypeE1EDF16_Li32ELi128ELi256ELb0ELi7EEvPKT_PKT0_S7_ifPKiS9_S9_iPKfiiiPfSC_PS2_PT2_iSB_SB_.kd
    .uniform_work_group_size: 1
    .uses_dynamic_stack: false
    .vgpr_count:     80
    .vgpr_spill_count: 0
    .wavefront_size: 64
  - .agpr_count:     0
    .args:
      - .actual_access:  read_only
        .address_space:  global
        .offset:         0
        .size:           8
        .value_kind:     global_buffer
      - .actual_access:  read_only
        .address_space:  global
        .offset:         8
        .size:           8
        .value_kind:     global_buffer
      - .actual_access:  read_only
        .address_space:  global
        .offset:         16
        .size:           8
        .value_kind:     global_buffer
      - .offset:         24
        .size:           4
        .value_kind:     by_value
      - .offset:         28
        .size:           4
        .value_kind:     by_value
      - .actual_access:  read_only
        .address_space:  global
        .offset:         32
        .size:           8
        .value_kind:     global_buffer
      - .actual_access:  read_only
        .address_space:  global
        .offset:         40
        .size:           8
        .value_kind:     global_buffer
      - .actual_access:  read_only
        .address_space:  global
        .offset:         48
        .size:           8
        .value_kind:     global_buffer
      - .offset:         56
        .size:           4
        .value_kind:     by_value
      - .actual_access:  read_only
        .address_space:  global
        .offset:         64
        .size:           8
        .value_kind:     global_buffer
      - .offset:         72
        .size:           4
        .value_kind:     by_value
      - .offset:         76
        .size:           4
        .value_kind:     by_value
      - .offset:         80
        .size:           4
        .value_kind:     by_value
      - .actual_access:  write_only
        .address_space:  global
        .offset:         88
        .size:           8
        .value_kind:     global_buffer
      - .actual_access:  write_only
        .address_space:  global
        .offset:         96
        .size:           8
        .value_kind:     global_buffer
      - .actual_access:  write_only
        .address_space:  global
        .offset:         104
        .size:           8
        .value_kind:     global_buffer
      - .actual_access:  read_only
        .address_space:  global
        .offset:         112
        .size:           8
        .value_kind:     global_buffer
      - .offset:         120
        .size:           4
        .value_kind:     by_value
      - .address_space:  global
        .offset:         128
        .size:           8
        .value_kind:     global_buffer
      - .address_space:  global
        .offset:         136
        .size:           8
        .value_kind:     global_buffer
      - .offset:         144
        .size:           4
        .value_kind:     hidden_block_count_x
      - .offset:         148
        .size:           4
        .value_kind:     hidden_block_count_y
      - .offset:         152
        .size:           4
        .value_kind:     hidden_block_count_z
      - .offset:         156
        .size:           2
        .value_kind:     hidden_group_size_x
      - .offset:         158
        .size:           2
        .value_kind:     hidden_group_size_y
      - .offset:         160
        .size:           2
        .value_kind:     hidden_group_size_z
      - .offset:         162
        .size:           2
        .value_kind:     hidden_remainder_x
      - .offset:         164
        .size:           2
        .value_kind:     hidden_remainder_y
      - .offset:         166
        .size:           2
        .value_kind:     hidden_remainder_z
      - .offset:         184
        .size:           8
        .value_kind:     hidden_global_offset_x
      - .offset:         192
        .size:           8
        .value_kind:     hidden_global_offset_y
      - .offset:         200
        .size:           8
        .value_kind:     hidden_global_offset_z
      - .offset:         208
        .size:           2
        .value_kind:     hidden_grid_dims
    .group_segment_fixed_size: 8192
    .kernarg_segment_align: 8
    .kernarg_segment_size: 400
    .language:       OpenCL C
    .language_version:
      - 2
      - 0
    .max_flat_workgroup_size: 256
    .name:           _Z39paged_attention_ll4mi_QKV_mfma16_kernelIDF16_hLN4vllm18Fp8KVCacheDataTypeE1EDF16_Li32ELi128ELi256ELb0ELi8EEvPKT_PKT0_S7_ifPKiS9_S9_iPKfiiiPfSC_PS2_PT2_iSB_SB_
    .private_segment_fixed_size: 0
    .sgpr_count:     54
    .sgpr_spill_count: 0
    .symbol:         _Z39paged_attention_ll4mi_QKV_mfma16_kernelIDF16_hLN4vllm18Fp8KVCacheDataTypeE1EDF16_Li32ELi128ELi256ELb0ELi8EEvPKT_PKT0_S7_ifPKiS9_S9_iPKfiiiPfSC_PS2_PT2_iSB_SB_.kd
    .uniform_work_group_size: 1
    .uses_dynamic_stack: false
    .vgpr_count:     80
    .vgpr_spill_count: 0
    .wavefront_size: 64
  - .agpr_count:     0
    .args:
      - .actual_access:  read_only
        .address_space:  global
        .offset:         0
        .size:           8
        .value_kind:     global_buffer
      - .actual_access:  read_only
        .address_space:  global
        .offset:         8
        .size:           8
        .value_kind:     global_buffer
      - .actual_access:  read_only
        .address_space:  global
        .offset:         16
        .size:           8
        .value_kind:     global_buffer
      - .offset:         24
        .size:           4
        .value_kind:     by_value
      - .offset:         28
        .size:           4
        .value_kind:     by_value
      - .actual_access:  read_only
        .address_space:  global
        .offset:         32
        .size:           8
        .value_kind:     global_buffer
      - .actual_access:  read_only
        .address_space:  global
        .offset:         40
        .size:           8
        .value_kind:     global_buffer
      - .actual_access:  read_only
        .address_space:  global
        .offset:         48
        .size:           8
        .value_kind:     global_buffer
      - .offset:         56
        .size:           4
        .value_kind:     by_value
      - .actual_access:  read_only
        .address_space:  global
        .offset:         64
        .size:           8
        .value_kind:     global_buffer
      - .offset:         72
        .size:           4
        .value_kind:     by_value
      - .offset:         76
        .size:           4
        .value_kind:     by_value
      - .offset:         80
        .size:           4
        .value_kind:     by_value
      - .actual_access:  write_only
        .address_space:  global
        .offset:         88
        .size:           8
        .value_kind:     global_buffer
      - .actual_access:  write_only
        .address_space:  global
        .offset:         96
        .size:           8
        .value_kind:     global_buffer
      - .actual_access:  write_only
        .address_space:  global
        .offset:         104
        .size:           8
        .value_kind:     global_buffer
      - .actual_access:  read_only
        .address_space:  global
        .offset:         112
        .size:           8
        .value_kind:     global_buffer
      - .offset:         120
        .size:           4
        .value_kind:     by_value
      - .address_space:  global
        .offset:         128
        .size:           8
        .value_kind:     global_buffer
      - .address_space:  global
        .offset:         136
        .size:           8
        .value_kind:     global_buffer
      - .offset:         144
        .size:           4
        .value_kind:     hidden_block_count_x
      - .offset:         148
        .size:           4
        .value_kind:     hidden_block_count_y
      - .offset:         152
        .size:           4
        .value_kind:     hidden_block_count_z
      - .offset:         156
        .size:           2
        .value_kind:     hidden_group_size_x
      - .offset:         158
        .size:           2
        .value_kind:     hidden_group_size_y
      - .offset:         160
        .size:           2
        .value_kind:     hidden_group_size_z
      - .offset:         162
        .size:           2
        .value_kind:     hidden_remainder_x
      - .offset:         164
        .size:           2
        .value_kind:     hidden_remainder_y
      - .offset:         166
        .size:           2
        .value_kind:     hidden_remainder_z
      - .offset:         184
        .size:           8
        .value_kind:     hidden_global_offset_x
      - .offset:         192
        .size:           8
        .value_kind:     hidden_global_offset_y
      - .offset:         200
        .size:           8
        .value_kind:     hidden_global_offset_z
      - .offset:         208
        .size:           2
        .value_kind:     hidden_grid_dims
    .group_segment_fixed_size: 8192
    .kernarg_segment_align: 8
    .kernarg_segment_size: 400
    .language:       OpenCL C
    .language_version:
      - 2
      - 0
    .max_flat_workgroup_size: 256
    .name:           _Z39paged_attention_ll4mi_QKV_mfma16_kernelIDF16_hLN4vllm18Fp8KVCacheDataTypeE1EDF16_Li32ELi128ELi256ELb0ELi9EEvPKT_PKT0_S7_ifPKiS9_S9_iPKfiiiPfSC_PS2_PT2_iSB_SB_
    .private_segment_fixed_size: 0
    .sgpr_count:     56
    .sgpr_spill_count: 0
    .symbol:         _Z39paged_attention_ll4mi_QKV_mfma16_kernelIDF16_hLN4vllm18Fp8KVCacheDataTypeE1EDF16_Li32ELi128ELi256ELb0ELi9EEvPKT_PKT0_S7_ifPKiS9_S9_iPKfiiiPfSC_PS2_PT2_iSB_SB_.kd
    .uniform_work_group_size: 1
    .uses_dynamic_stack: false
    .vgpr_count:     80
    .vgpr_spill_count: 0
    .wavefront_size: 64
  - .agpr_count:     0
    .args:
      - .actual_access:  read_only
        .address_space:  global
        .offset:         0
        .size:           8
        .value_kind:     global_buffer
      - .actual_access:  read_only
        .address_space:  global
        .offset:         8
        .size:           8
        .value_kind:     global_buffer
      - .actual_access:  read_only
        .address_space:  global
        .offset:         16
        .size:           8
        .value_kind:     global_buffer
      - .offset:         24
        .size:           4
        .value_kind:     by_value
      - .offset:         28
        .size:           4
        .value_kind:     by_value
      - .actual_access:  read_only
        .address_space:  global
        .offset:         32
        .size:           8
        .value_kind:     global_buffer
      - .actual_access:  read_only
        .address_space:  global
        .offset:         40
        .size:           8
        .value_kind:     global_buffer
      - .actual_access:  read_only
        .address_space:  global
        .offset:         48
        .size:           8
        .value_kind:     global_buffer
      - .offset:         56
        .size:           4
        .value_kind:     by_value
      - .actual_access:  read_only
        .address_space:  global
        .offset:         64
        .size:           8
        .value_kind:     global_buffer
      - .offset:         72
        .size:           4
        .value_kind:     by_value
      - .offset:         76
        .size:           4
        .value_kind:     by_value
      - .offset:         80
        .size:           4
        .value_kind:     by_value
      - .actual_access:  write_only
        .address_space:  global
        .offset:         88
        .size:           8
        .value_kind:     global_buffer
      - .actual_access:  write_only
        .address_space:  global
        .offset:         96
        .size:           8
        .value_kind:     global_buffer
      - .actual_access:  write_only
        .address_space:  global
        .offset:         104
        .size:           8
        .value_kind:     global_buffer
      - .actual_access:  read_only
        .address_space:  global
        .offset:         112
        .size:           8
        .value_kind:     global_buffer
      - .offset:         120
        .size:           4
        .value_kind:     by_value
      - .address_space:  global
        .offset:         128
        .size:           8
        .value_kind:     global_buffer
      - .address_space:  global
        .offset:         136
        .size:           8
        .value_kind:     global_buffer
      - .offset:         144
        .size:           4
        .value_kind:     hidden_block_count_x
      - .offset:         148
        .size:           4
        .value_kind:     hidden_block_count_y
      - .offset:         152
        .size:           4
        .value_kind:     hidden_block_count_z
      - .offset:         156
        .size:           2
        .value_kind:     hidden_group_size_x
      - .offset:         158
        .size:           2
        .value_kind:     hidden_group_size_y
      - .offset:         160
        .size:           2
        .value_kind:     hidden_group_size_z
      - .offset:         162
        .size:           2
        .value_kind:     hidden_remainder_x
      - .offset:         164
        .size:           2
        .value_kind:     hidden_remainder_y
      - .offset:         166
        .size:           2
        .value_kind:     hidden_remainder_z
      - .offset:         184
        .size:           8
        .value_kind:     hidden_global_offset_x
      - .offset:         192
        .size:           8
        .value_kind:     hidden_global_offset_y
      - .offset:         200
        .size:           8
        .value_kind:     hidden_global_offset_z
      - .offset:         208
        .size:           2
        .value_kind:     hidden_grid_dims
    .group_segment_fixed_size: 8192
    .kernarg_segment_align: 8
    .kernarg_segment_size: 400
    .language:       OpenCL C
    .language_version:
      - 2
      - 0
    .max_flat_workgroup_size: 256
    .name:           _Z39paged_attention_ll4mi_QKV_mfma16_kernelIDF16_hLN4vllm18Fp8KVCacheDataTypeE1EDF16_Li32ELi128ELi256ELb0ELi10EEvPKT_PKT0_S7_ifPKiS9_S9_iPKfiiiPfSC_PS2_PT2_iSB_SB_
    .private_segment_fixed_size: 0
    .sgpr_count:     56
    .sgpr_spill_count: 0
    .symbol:         _Z39paged_attention_ll4mi_QKV_mfma16_kernelIDF16_hLN4vllm18Fp8KVCacheDataTypeE1EDF16_Li32ELi128ELi256ELb0ELi10EEvPKT_PKT0_S7_ifPKiS9_S9_iPKfiiiPfSC_PS2_PT2_iSB_SB_.kd
    .uniform_work_group_size: 1
    .uses_dynamic_stack: false
    .vgpr_count:     80
    .vgpr_spill_count: 0
    .wavefront_size: 64
  - .agpr_count:     0
    .args:
      - .actual_access:  read_only
        .address_space:  global
        .offset:         0
        .size:           8
        .value_kind:     global_buffer
      - .actual_access:  read_only
        .address_space:  global
        .offset:         8
        .size:           8
        .value_kind:     global_buffer
      - .actual_access:  read_only
        .address_space:  global
        .offset:         16
        .size:           8
        .value_kind:     global_buffer
      - .offset:         24
        .size:           4
        .value_kind:     by_value
      - .offset:         28
        .size:           4
        .value_kind:     by_value
      - .actual_access:  read_only
        .address_space:  global
        .offset:         32
        .size:           8
        .value_kind:     global_buffer
      - .actual_access:  read_only
        .address_space:  global
        .offset:         40
        .size:           8
        .value_kind:     global_buffer
      - .actual_access:  read_only
        .address_space:  global
        .offset:         48
        .size:           8
        .value_kind:     global_buffer
      - .offset:         56
        .size:           4
        .value_kind:     by_value
      - .actual_access:  read_only
        .address_space:  global
        .offset:         64
        .size:           8
        .value_kind:     global_buffer
      - .offset:         72
        .size:           4
        .value_kind:     by_value
      - .offset:         76
        .size:           4
        .value_kind:     by_value
      - .offset:         80
        .size:           4
        .value_kind:     by_value
      - .actual_access:  write_only
        .address_space:  global
        .offset:         88
        .size:           8
        .value_kind:     global_buffer
      - .actual_access:  write_only
        .address_space:  global
        .offset:         96
        .size:           8
        .value_kind:     global_buffer
      - .actual_access:  write_only
        .address_space:  global
        .offset:         104
        .size:           8
        .value_kind:     global_buffer
      - .actual_access:  read_only
        .address_space:  global
        .offset:         112
        .size:           8
        .value_kind:     global_buffer
      - .offset:         120
        .size:           4
        .value_kind:     by_value
      - .address_space:  global
        .offset:         128
        .size:           8
        .value_kind:     global_buffer
      - .address_space:  global
        .offset:         136
        .size:           8
        .value_kind:     global_buffer
      - .offset:         144
        .size:           4
        .value_kind:     hidden_block_count_x
      - .offset:         148
        .size:           4
        .value_kind:     hidden_block_count_y
      - .offset:         152
        .size:           4
        .value_kind:     hidden_block_count_z
      - .offset:         156
        .size:           2
        .value_kind:     hidden_group_size_x
      - .offset:         158
        .size:           2
        .value_kind:     hidden_group_size_y
      - .offset:         160
        .size:           2
        .value_kind:     hidden_group_size_z
      - .offset:         162
        .size:           2
        .value_kind:     hidden_remainder_x
      - .offset:         164
        .size:           2
        .value_kind:     hidden_remainder_y
      - .offset:         166
        .size:           2
        .value_kind:     hidden_remainder_z
      - .offset:         184
        .size:           8
        .value_kind:     hidden_global_offset_x
      - .offset:         192
        .size:           8
        .value_kind:     hidden_global_offset_y
      - .offset:         200
        .size:           8
        .value_kind:     hidden_global_offset_z
      - .offset:         208
        .size:           2
        .value_kind:     hidden_grid_dims
    .group_segment_fixed_size: 8192
    .kernarg_segment_align: 8
    .kernarg_segment_size: 400
    .language:       OpenCL C
    .language_version:
      - 2
      - 0
    .max_flat_workgroup_size: 256
    .name:           _Z39paged_attention_ll4mi_QKV_mfma16_kernelIDF16_hLN4vllm18Fp8KVCacheDataTypeE1EDF16_Li32ELi128ELi256ELb0ELi11EEvPKT_PKT0_S7_ifPKiS9_S9_iPKfiiiPfSC_PS2_PT2_iSB_SB_
    .private_segment_fixed_size: 0
    .sgpr_count:     56
    .sgpr_spill_count: 0
    .symbol:         _Z39paged_attention_ll4mi_QKV_mfma16_kernelIDF16_hLN4vllm18Fp8KVCacheDataTypeE1EDF16_Li32ELi128ELi256ELb0ELi11EEvPKT_PKT0_S7_ifPKiS9_S9_iPKfiiiPfSC_PS2_PT2_iSB_SB_.kd
    .uniform_work_group_size: 1
    .uses_dynamic_stack: false
    .vgpr_count:     80
    .vgpr_spill_count: 0
    .wavefront_size: 64
  - .agpr_count:     0
    .args:
      - .actual_access:  read_only
        .address_space:  global
        .offset:         0
        .size:           8
        .value_kind:     global_buffer
      - .actual_access:  read_only
        .address_space:  global
        .offset:         8
        .size:           8
        .value_kind:     global_buffer
      - .actual_access:  read_only
        .address_space:  global
        .offset:         16
        .size:           8
        .value_kind:     global_buffer
      - .offset:         24
        .size:           4
        .value_kind:     by_value
      - .offset:         28
        .size:           4
        .value_kind:     by_value
      - .actual_access:  read_only
        .address_space:  global
        .offset:         32
        .size:           8
        .value_kind:     global_buffer
      - .actual_access:  read_only
        .address_space:  global
        .offset:         40
        .size:           8
        .value_kind:     global_buffer
      - .actual_access:  read_only
        .address_space:  global
        .offset:         48
        .size:           8
        .value_kind:     global_buffer
      - .offset:         56
        .size:           4
        .value_kind:     by_value
      - .actual_access:  read_only
        .address_space:  global
        .offset:         64
        .size:           8
        .value_kind:     global_buffer
      - .offset:         72
        .size:           4
        .value_kind:     by_value
      - .offset:         76
        .size:           4
        .value_kind:     by_value
      - .offset:         80
        .size:           4
        .value_kind:     by_value
      - .actual_access:  write_only
        .address_space:  global
        .offset:         88
        .size:           8
        .value_kind:     global_buffer
      - .actual_access:  write_only
        .address_space:  global
        .offset:         96
        .size:           8
        .value_kind:     global_buffer
      - .actual_access:  write_only
        .address_space:  global
        .offset:         104
        .size:           8
        .value_kind:     global_buffer
      - .actual_access:  read_only
        .address_space:  global
        .offset:         112
        .size:           8
        .value_kind:     global_buffer
      - .offset:         120
        .size:           4
        .value_kind:     by_value
      - .address_space:  global
        .offset:         128
        .size:           8
        .value_kind:     global_buffer
      - .address_space:  global
        .offset:         136
        .size:           8
        .value_kind:     global_buffer
      - .offset:         144
        .size:           4
        .value_kind:     hidden_block_count_x
      - .offset:         148
        .size:           4
        .value_kind:     hidden_block_count_y
      - .offset:         152
        .size:           4
        .value_kind:     hidden_block_count_z
      - .offset:         156
        .size:           2
        .value_kind:     hidden_group_size_x
      - .offset:         158
        .size:           2
        .value_kind:     hidden_group_size_y
      - .offset:         160
        .size:           2
        .value_kind:     hidden_group_size_z
      - .offset:         162
        .size:           2
        .value_kind:     hidden_remainder_x
      - .offset:         164
        .size:           2
        .value_kind:     hidden_remainder_y
      - .offset:         166
        .size:           2
        .value_kind:     hidden_remainder_z
      - .offset:         184
        .size:           8
        .value_kind:     hidden_global_offset_x
      - .offset:         192
        .size:           8
        .value_kind:     hidden_global_offset_y
      - .offset:         200
        .size:           8
        .value_kind:     hidden_global_offset_z
      - .offset:         208
        .size:           2
        .value_kind:     hidden_grid_dims
    .group_segment_fixed_size: 8192
    .kernarg_segment_align: 8
    .kernarg_segment_size: 400
    .language:       OpenCL C
    .language_version:
      - 2
      - 0
    .max_flat_workgroup_size: 256
    .name:           _Z39paged_attention_ll4mi_QKV_mfma16_kernelIDF16_hLN4vllm18Fp8KVCacheDataTypeE1EDF16_Li32ELi128ELi256ELb0ELi12EEvPKT_PKT0_S7_ifPKiS9_S9_iPKfiiiPfSC_PS2_PT2_iSB_SB_
    .private_segment_fixed_size: 0
    .sgpr_count:     56
    .sgpr_spill_count: 0
    .symbol:         _Z39paged_attention_ll4mi_QKV_mfma16_kernelIDF16_hLN4vllm18Fp8KVCacheDataTypeE1EDF16_Li32ELi128ELi256ELb0ELi12EEvPKT_PKT0_S7_ifPKiS9_S9_iPKfiiiPfSC_PS2_PT2_iSB_SB_.kd
    .uniform_work_group_size: 1
    .uses_dynamic_stack: false
    .vgpr_count:     80
    .vgpr_spill_count: 0
    .wavefront_size: 64
  - .agpr_count:     0
    .args:
      - .actual_access:  read_only
        .address_space:  global
        .offset:         0
        .size:           8
        .value_kind:     global_buffer
      - .actual_access:  read_only
        .address_space:  global
        .offset:         8
        .size:           8
        .value_kind:     global_buffer
      - .actual_access:  read_only
        .address_space:  global
        .offset:         16
        .size:           8
        .value_kind:     global_buffer
      - .offset:         24
        .size:           4
        .value_kind:     by_value
      - .offset:         28
        .size:           4
        .value_kind:     by_value
      - .actual_access:  read_only
        .address_space:  global
        .offset:         32
        .size:           8
        .value_kind:     global_buffer
      - .actual_access:  read_only
        .address_space:  global
        .offset:         40
        .size:           8
        .value_kind:     global_buffer
      - .actual_access:  read_only
        .address_space:  global
        .offset:         48
        .size:           8
        .value_kind:     global_buffer
      - .offset:         56
        .size:           4
        .value_kind:     by_value
      - .actual_access:  read_only
        .address_space:  global
        .offset:         64
        .size:           8
        .value_kind:     global_buffer
      - .offset:         72
        .size:           4
        .value_kind:     by_value
      - .offset:         76
        .size:           4
        .value_kind:     by_value
      - .offset:         80
        .size:           4
        .value_kind:     by_value
      - .actual_access:  write_only
        .address_space:  global
        .offset:         88
        .size:           8
        .value_kind:     global_buffer
      - .actual_access:  write_only
        .address_space:  global
        .offset:         96
        .size:           8
        .value_kind:     global_buffer
      - .actual_access:  write_only
        .address_space:  global
        .offset:         104
        .size:           8
        .value_kind:     global_buffer
      - .actual_access:  read_only
        .address_space:  global
        .offset:         112
        .size:           8
        .value_kind:     global_buffer
      - .offset:         120
        .size:           4
        .value_kind:     by_value
      - .address_space:  global
        .offset:         128
        .size:           8
        .value_kind:     global_buffer
      - .address_space:  global
        .offset:         136
        .size:           8
        .value_kind:     global_buffer
      - .offset:         144
        .size:           4
        .value_kind:     hidden_block_count_x
      - .offset:         148
        .size:           4
        .value_kind:     hidden_block_count_y
      - .offset:         152
        .size:           4
        .value_kind:     hidden_block_count_z
      - .offset:         156
        .size:           2
        .value_kind:     hidden_group_size_x
      - .offset:         158
        .size:           2
        .value_kind:     hidden_group_size_y
      - .offset:         160
        .size:           2
        .value_kind:     hidden_group_size_z
      - .offset:         162
        .size:           2
        .value_kind:     hidden_remainder_x
      - .offset:         164
        .size:           2
        .value_kind:     hidden_remainder_y
      - .offset:         166
        .size:           2
        .value_kind:     hidden_remainder_z
      - .offset:         184
        .size:           8
        .value_kind:     hidden_global_offset_x
      - .offset:         192
        .size:           8
        .value_kind:     hidden_global_offset_y
      - .offset:         200
        .size:           8
        .value_kind:     hidden_global_offset_z
      - .offset:         208
        .size:           2
        .value_kind:     hidden_grid_dims
    .group_segment_fixed_size: 8192
    .kernarg_segment_align: 8
    .kernarg_segment_size: 400
    .language:       OpenCL C
    .language_version:
      - 2
      - 0
    .max_flat_workgroup_size: 256
    .name:           _Z39paged_attention_ll4mi_QKV_mfma16_kernelIDF16_hLN4vllm18Fp8KVCacheDataTypeE1EDF16_Li32ELi128ELi256ELb0ELi13EEvPKT_PKT0_S7_ifPKiS9_S9_iPKfiiiPfSC_PS2_PT2_iSB_SB_
    .private_segment_fixed_size: 0
    .sgpr_count:     56
    .sgpr_spill_count: 0
    .symbol:         _Z39paged_attention_ll4mi_QKV_mfma16_kernelIDF16_hLN4vllm18Fp8KVCacheDataTypeE1EDF16_Li32ELi128ELi256ELb0ELi13EEvPKT_PKT0_S7_ifPKiS9_S9_iPKfiiiPfSC_PS2_PT2_iSB_SB_.kd
    .uniform_work_group_size: 1
    .uses_dynamic_stack: false
    .vgpr_count:     80
    .vgpr_spill_count: 0
    .wavefront_size: 64
  - .agpr_count:     0
    .args:
      - .actual_access:  read_only
        .address_space:  global
        .offset:         0
        .size:           8
        .value_kind:     global_buffer
      - .actual_access:  read_only
        .address_space:  global
        .offset:         8
        .size:           8
        .value_kind:     global_buffer
      - .actual_access:  read_only
        .address_space:  global
        .offset:         16
        .size:           8
        .value_kind:     global_buffer
      - .offset:         24
        .size:           4
        .value_kind:     by_value
      - .offset:         28
        .size:           4
        .value_kind:     by_value
      - .actual_access:  read_only
        .address_space:  global
        .offset:         32
        .size:           8
        .value_kind:     global_buffer
      - .actual_access:  read_only
        .address_space:  global
        .offset:         40
        .size:           8
        .value_kind:     global_buffer
      - .actual_access:  read_only
        .address_space:  global
        .offset:         48
        .size:           8
        .value_kind:     global_buffer
      - .offset:         56
        .size:           4
        .value_kind:     by_value
      - .actual_access:  read_only
        .address_space:  global
        .offset:         64
        .size:           8
        .value_kind:     global_buffer
      - .offset:         72
        .size:           4
        .value_kind:     by_value
      - .offset:         76
        .size:           4
        .value_kind:     by_value
      - .offset:         80
        .size:           4
        .value_kind:     by_value
      - .actual_access:  write_only
        .address_space:  global
        .offset:         88
        .size:           8
        .value_kind:     global_buffer
      - .actual_access:  write_only
        .address_space:  global
        .offset:         96
        .size:           8
        .value_kind:     global_buffer
      - .actual_access:  write_only
        .address_space:  global
        .offset:         104
        .size:           8
        .value_kind:     global_buffer
      - .actual_access:  read_only
        .address_space:  global
        .offset:         112
        .size:           8
        .value_kind:     global_buffer
      - .offset:         120
        .size:           4
        .value_kind:     by_value
      - .address_space:  global
        .offset:         128
        .size:           8
        .value_kind:     global_buffer
      - .address_space:  global
        .offset:         136
        .size:           8
        .value_kind:     global_buffer
      - .offset:         144
        .size:           4
        .value_kind:     hidden_block_count_x
      - .offset:         148
        .size:           4
        .value_kind:     hidden_block_count_y
      - .offset:         152
        .size:           4
        .value_kind:     hidden_block_count_z
      - .offset:         156
        .size:           2
        .value_kind:     hidden_group_size_x
      - .offset:         158
        .size:           2
        .value_kind:     hidden_group_size_y
      - .offset:         160
        .size:           2
        .value_kind:     hidden_group_size_z
      - .offset:         162
        .size:           2
        .value_kind:     hidden_remainder_x
      - .offset:         164
        .size:           2
        .value_kind:     hidden_remainder_y
      - .offset:         166
        .size:           2
        .value_kind:     hidden_remainder_z
      - .offset:         184
        .size:           8
        .value_kind:     hidden_global_offset_x
      - .offset:         192
        .size:           8
        .value_kind:     hidden_global_offset_y
      - .offset:         200
        .size:           8
        .value_kind:     hidden_global_offset_z
      - .offset:         208
        .size:           2
        .value_kind:     hidden_grid_dims
    .group_segment_fixed_size: 8192
    .kernarg_segment_align: 8
    .kernarg_segment_size: 400
    .language:       OpenCL C
    .language_version:
      - 2
      - 0
    .max_flat_workgroup_size: 256
    .name:           _Z39paged_attention_ll4mi_QKV_mfma16_kernelIDF16_hLN4vllm18Fp8KVCacheDataTypeE1EDF16_Li32ELi128ELi256ELb0ELi14EEvPKT_PKT0_S7_ifPKiS9_S9_iPKfiiiPfSC_PS2_PT2_iSB_SB_
    .private_segment_fixed_size: 0
    .sgpr_count:     56
    .sgpr_spill_count: 0
    .symbol:         _Z39paged_attention_ll4mi_QKV_mfma16_kernelIDF16_hLN4vllm18Fp8KVCacheDataTypeE1EDF16_Li32ELi128ELi256ELb0ELi14EEvPKT_PKT0_S7_ifPKiS9_S9_iPKfiiiPfSC_PS2_PT2_iSB_SB_.kd
    .uniform_work_group_size: 1
    .uses_dynamic_stack: false
    .vgpr_count:     80
    .vgpr_spill_count: 0
    .wavefront_size: 64
  - .agpr_count:     0
    .args:
      - .actual_access:  read_only
        .address_space:  global
        .offset:         0
        .size:           8
        .value_kind:     global_buffer
      - .actual_access:  read_only
        .address_space:  global
        .offset:         8
        .size:           8
        .value_kind:     global_buffer
      - .actual_access:  read_only
        .address_space:  global
        .offset:         16
        .size:           8
        .value_kind:     global_buffer
      - .offset:         24
        .size:           4
        .value_kind:     by_value
      - .offset:         28
        .size:           4
        .value_kind:     by_value
      - .actual_access:  read_only
        .address_space:  global
        .offset:         32
        .size:           8
        .value_kind:     global_buffer
      - .actual_access:  read_only
        .address_space:  global
        .offset:         40
        .size:           8
        .value_kind:     global_buffer
      - .actual_access:  read_only
        .address_space:  global
        .offset:         48
        .size:           8
        .value_kind:     global_buffer
      - .offset:         56
        .size:           4
        .value_kind:     by_value
      - .actual_access:  read_only
        .address_space:  global
        .offset:         64
        .size:           8
        .value_kind:     global_buffer
      - .offset:         72
        .size:           4
        .value_kind:     by_value
      - .offset:         76
        .size:           4
        .value_kind:     by_value
      - .offset:         80
        .size:           4
        .value_kind:     by_value
      - .actual_access:  write_only
        .address_space:  global
        .offset:         88
        .size:           8
        .value_kind:     global_buffer
      - .actual_access:  write_only
        .address_space:  global
        .offset:         96
        .size:           8
        .value_kind:     global_buffer
      - .actual_access:  write_only
        .address_space:  global
        .offset:         104
        .size:           8
        .value_kind:     global_buffer
      - .actual_access:  read_only
        .address_space:  global
        .offset:         112
        .size:           8
        .value_kind:     global_buffer
      - .offset:         120
        .size:           4
        .value_kind:     by_value
      - .address_space:  global
        .offset:         128
        .size:           8
        .value_kind:     global_buffer
      - .address_space:  global
        .offset:         136
        .size:           8
        .value_kind:     global_buffer
      - .offset:         144
        .size:           4
        .value_kind:     hidden_block_count_x
      - .offset:         148
        .size:           4
        .value_kind:     hidden_block_count_y
      - .offset:         152
        .size:           4
        .value_kind:     hidden_block_count_z
      - .offset:         156
        .size:           2
        .value_kind:     hidden_group_size_x
      - .offset:         158
        .size:           2
        .value_kind:     hidden_group_size_y
      - .offset:         160
        .size:           2
        .value_kind:     hidden_group_size_z
      - .offset:         162
        .size:           2
        .value_kind:     hidden_remainder_x
      - .offset:         164
        .size:           2
        .value_kind:     hidden_remainder_y
      - .offset:         166
        .size:           2
        .value_kind:     hidden_remainder_z
      - .offset:         184
        .size:           8
        .value_kind:     hidden_global_offset_x
      - .offset:         192
        .size:           8
        .value_kind:     hidden_global_offset_y
      - .offset:         200
        .size:           8
        .value_kind:     hidden_global_offset_z
      - .offset:         208
        .size:           2
        .value_kind:     hidden_grid_dims
    .group_segment_fixed_size: 8192
    .kernarg_segment_align: 8
    .kernarg_segment_size: 400
    .language:       OpenCL C
    .language_version:
      - 2
      - 0
    .max_flat_workgroup_size: 256
    .name:           _Z39paged_attention_ll4mi_QKV_mfma16_kernelIDF16_hLN4vllm18Fp8KVCacheDataTypeE1EDF16_Li32ELi128ELi256ELb0ELi15EEvPKT_PKT0_S7_ifPKiS9_S9_iPKfiiiPfSC_PS2_PT2_iSB_SB_
    .private_segment_fixed_size: 0
    .sgpr_count:     56
    .sgpr_spill_count: 0
    .symbol:         _Z39paged_attention_ll4mi_QKV_mfma16_kernelIDF16_hLN4vllm18Fp8KVCacheDataTypeE1EDF16_Li32ELi128ELi256ELb0ELi15EEvPKT_PKT0_S7_ifPKiS9_S9_iPKfiiiPfSC_PS2_PT2_iSB_SB_.kd
    .uniform_work_group_size: 1
    .uses_dynamic_stack: false
    .vgpr_count:     80
    .vgpr_spill_count: 0
    .wavefront_size: 64
  - .agpr_count:     0
    .args:
      - .actual_access:  read_only
        .address_space:  global
        .offset:         0
        .size:           8
        .value_kind:     global_buffer
      - .actual_access:  read_only
        .address_space:  global
        .offset:         8
        .size:           8
        .value_kind:     global_buffer
      - .actual_access:  read_only
        .address_space:  global
        .offset:         16
        .size:           8
        .value_kind:     global_buffer
      - .offset:         24
        .size:           4
        .value_kind:     by_value
      - .offset:         28
        .size:           4
        .value_kind:     by_value
      - .actual_access:  read_only
        .address_space:  global
        .offset:         32
        .size:           8
        .value_kind:     global_buffer
      - .actual_access:  read_only
        .address_space:  global
        .offset:         40
        .size:           8
        .value_kind:     global_buffer
      - .actual_access:  read_only
        .address_space:  global
        .offset:         48
        .size:           8
        .value_kind:     global_buffer
      - .offset:         56
        .size:           4
        .value_kind:     by_value
      - .actual_access:  read_only
        .address_space:  global
        .offset:         64
        .size:           8
        .value_kind:     global_buffer
      - .offset:         72
        .size:           4
        .value_kind:     by_value
      - .offset:         76
        .size:           4
        .value_kind:     by_value
      - .offset:         80
        .size:           4
        .value_kind:     by_value
      - .actual_access:  write_only
        .address_space:  global
        .offset:         88
        .size:           8
        .value_kind:     global_buffer
      - .actual_access:  write_only
        .address_space:  global
        .offset:         96
        .size:           8
        .value_kind:     global_buffer
      - .actual_access:  write_only
        .address_space:  global
        .offset:         104
        .size:           8
        .value_kind:     global_buffer
      - .actual_access:  read_only
        .address_space:  global
        .offset:         112
        .size:           8
        .value_kind:     global_buffer
      - .offset:         120
        .size:           4
        .value_kind:     by_value
      - .address_space:  global
        .offset:         128
        .size:           8
        .value_kind:     global_buffer
      - .address_space:  global
        .offset:         136
        .size:           8
        .value_kind:     global_buffer
      - .offset:         144
        .size:           4
        .value_kind:     hidden_block_count_x
      - .offset:         148
        .size:           4
        .value_kind:     hidden_block_count_y
      - .offset:         152
        .size:           4
        .value_kind:     hidden_block_count_z
      - .offset:         156
        .size:           2
        .value_kind:     hidden_group_size_x
      - .offset:         158
        .size:           2
        .value_kind:     hidden_group_size_y
      - .offset:         160
        .size:           2
        .value_kind:     hidden_group_size_z
      - .offset:         162
        .size:           2
        .value_kind:     hidden_remainder_x
      - .offset:         164
        .size:           2
        .value_kind:     hidden_remainder_y
      - .offset:         166
        .size:           2
        .value_kind:     hidden_remainder_z
      - .offset:         184
        .size:           8
        .value_kind:     hidden_global_offset_x
      - .offset:         192
        .size:           8
        .value_kind:     hidden_global_offset_y
      - .offset:         200
        .size:           8
        .value_kind:     hidden_global_offset_z
      - .offset:         208
        .size:           2
        .value_kind:     hidden_grid_dims
    .group_segment_fixed_size: 8192
    .kernarg_segment_align: 8
    .kernarg_segment_size: 400
    .language:       OpenCL C
    .language_version:
      - 2
      - 0
    .max_flat_workgroup_size: 256
    .name:           _Z39paged_attention_ll4mi_QKV_mfma16_kernelIDF16_hLN4vllm18Fp8KVCacheDataTypeE1EDF16_Li32ELi128ELi256ELb0ELi16EEvPKT_PKT0_S7_ifPKiS9_S9_iPKfiiiPfSC_PS2_PT2_iSB_SB_
    .private_segment_fixed_size: 0
    .sgpr_count:     54
    .sgpr_spill_count: 0
    .symbol:         _Z39paged_attention_ll4mi_QKV_mfma16_kernelIDF16_hLN4vllm18Fp8KVCacheDataTypeE1EDF16_Li32ELi128ELi256ELb0ELi16EEvPKT_PKT0_S7_ifPKiS9_S9_iPKfiiiPfSC_PS2_PT2_iSB_SB_.kd
    .uniform_work_group_size: 1
    .uses_dynamic_stack: false
    .vgpr_count:     84
    .vgpr_spill_count: 0
    .wavefront_size: 64
  - .agpr_count:     0
    .args:
      - .actual_access:  read_only
        .address_space:  global
        .offset:         0
        .size:           8
        .value_kind:     global_buffer
      - .actual_access:  read_only
        .address_space:  global
        .offset:         8
        .size:           8
        .value_kind:     global_buffer
      - .actual_access:  read_only
        .address_space:  global
        .offset:         16
        .size:           8
        .value_kind:     global_buffer
      - .offset:         24
        .size:           4
        .value_kind:     by_value
      - .offset:         28
        .size:           4
        .value_kind:     by_value
      - .actual_access:  read_only
        .address_space:  global
        .offset:         32
        .size:           8
        .value_kind:     global_buffer
      - .actual_access:  read_only
        .address_space:  global
        .offset:         40
        .size:           8
        .value_kind:     global_buffer
      - .actual_access:  read_only
        .address_space:  global
        .offset:         48
        .size:           8
        .value_kind:     global_buffer
      - .offset:         56
        .size:           4
        .value_kind:     by_value
      - .actual_access:  read_only
        .address_space:  global
        .offset:         64
        .size:           8
        .value_kind:     global_buffer
      - .offset:         72
        .size:           4
        .value_kind:     by_value
      - .offset:         76
        .size:           4
        .value_kind:     by_value
      - .offset:         80
        .size:           4
        .value_kind:     by_value
      - .actual_access:  write_only
        .address_space:  global
        .offset:         88
        .size:           8
        .value_kind:     global_buffer
      - .actual_access:  write_only
        .address_space:  global
        .offset:         96
        .size:           8
        .value_kind:     global_buffer
      - .actual_access:  write_only
        .address_space:  global
        .offset:         104
        .size:           8
        .value_kind:     global_buffer
      - .actual_access:  read_only
        .address_space:  global
        .offset:         112
        .size:           8
        .value_kind:     global_buffer
      - .offset:         120
        .size:           4
        .value_kind:     by_value
      - .address_space:  global
        .offset:         128
        .size:           8
        .value_kind:     global_buffer
      - .address_space:  global
        .offset:         136
        .size:           8
        .value_kind:     global_buffer
      - .offset:         144
        .size:           4
        .value_kind:     hidden_block_count_x
      - .offset:         148
        .size:           4
        .value_kind:     hidden_block_count_y
      - .offset:         152
        .size:           4
        .value_kind:     hidden_block_count_z
      - .offset:         156
        .size:           2
        .value_kind:     hidden_group_size_x
      - .offset:         158
        .size:           2
        .value_kind:     hidden_group_size_y
      - .offset:         160
        .size:           2
        .value_kind:     hidden_group_size_z
      - .offset:         162
        .size:           2
        .value_kind:     hidden_remainder_x
      - .offset:         164
        .size:           2
        .value_kind:     hidden_remainder_y
      - .offset:         166
        .size:           2
        .value_kind:     hidden_remainder_z
      - .offset:         184
        .size:           8
        .value_kind:     hidden_global_offset_x
      - .offset:         192
        .size:           8
        .value_kind:     hidden_global_offset_y
      - .offset:         200
        .size:           8
        .value_kind:     hidden_global_offset_z
      - .offset:         208
        .size:           2
        .value_kind:     hidden_grid_dims
    .group_segment_fixed_size: 8192
    .kernarg_segment_align: 8
    .kernarg_segment_size: 400
    .language:       OpenCL C
    .language_version:
      - 2
      - 0
    .max_flat_workgroup_size: 256
    .name:           _Z39paged_attention_ll4mi_QKV_mfma16_kernelIDF16_hLN4vllm18Fp8KVCacheDataTypeE1EDF16_Li32ELi128ELi256ELb0ELi1EEvPKT_PKT0_S7_ifPKiS9_S9_iPKfiiiPfSC_PS2_PT2_iSB_SB_
    .private_segment_fixed_size: 0
    .sgpr_count:     54
    .sgpr_spill_count: 0
    .symbol:         _Z39paged_attention_ll4mi_QKV_mfma16_kernelIDF16_hLN4vllm18Fp8KVCacheDataTypeE1EDF16_Li32ELi128ELi256ELb0ELi1EEvPKT_PKT0_S7_ifPKiS9_S9_iPKfiiiPfSC_PS2_PT2_iSB_SB_.kd
    .uniform_work_group_size: 1
    .uses_dynamic_stack: false
    .vgpr_count:     86
    .vgpr_spill_count: 0
    .wavefront_size: 64
  - .agpr_count:     0
    .args:
      - .actual_access:  read_only
        .address_space:  global
        .offset:         0
        .size:           8
        .value_kind:     global_buffer
      - .actual_access:  read_only
        .address_space:  global
        .offset:         8
        .size:           8
        .value_kind:     global_buffer
      - .actual_access:  read_only
        .address_space:  global
        .offset:         16
        .size:           8
        .value_kind:     global_buffer
      - .offset:         24
        .size:           4
        .value_kind:     by_value
      - .offset:         28
        .size:           4
        .value_kind:     by_value
      - .actual_access:  read_only
        .address_space:  global
        .offset:         32
        .size:           8
        .value_kind:     global_buffer
      - .actual_access:  read_only
        .address_space:  global
        .offset:         40
        .size:           8
        .value_kind:     global_buffer
      - .actual_access:  read_only
        .address_space:  global
        .offset:         48
        .size:           8
        .value_kind:     global_buffer
      - .offset:         56
        .size:           4
        .value_kind:     by_value
      - .actual_access:  read_only
        .address_space:  global
        .offset:         64
        .size:           8
        .value_kind:     global_buffer
      - .offset:         72
        .size:           4
        .value_kind:     by_value
      - .offset:         76
        .size:           4
        .value_kind:     by_value
      - .offset:         80
        .size:           4
        .value_kind:     by_value
      - .actual_access:  write_only
        .address_space:  global
        .offset:         88
        .size:           8
        .value_kind:     global_buffer
      - .actual_access:  write_only
        .address_space:  global
        .offset:         96
        .size:           8
        .value_kind:     global_buffer
      - .actual_access:  write_only
        .address_space:  global
        .offset:         104
        .size:           8
        .value_kind:     global_buffer
      - .actual_access:  read_only
        .address_space:  global
        .offset:         112
        .size:           8
        .value_kind:     global_buffer
      - .offset:         120
        .size:           4
        .value_kind:     by_value
      - .address_space:  global
        .offset:         128
        .size:           8
        .value_kind:     global_buffer
      - .address_space:  global
        .offset:         136
        .size:           8
        .value_kind:     global_buffer
      - .offset:         144
        .size:           4
        .value_kind:     hidden_block_count_x
      - .offset:         148
        .size:           4
        .value_kind:     hidden_block_count_y
      - .offset:         152
        .size:           4
        .value_kind:     hidden_block_count_z
      - .offset:         156
        .size:           2
        .value_kind:     hidden_group_size_x
      - .offset:         158
        .size:           2
        .value_kind:     hidden_group_size_y
      - .offset:         160
        .size:           2
        .value_kind:     hidden_group_size_z
      - .offset:         162
        .size:           2
        .value_kind:     hidden_remainder_x
      - .offset:         164
        .size:           2
        .value_kind:     hidden_remainder_y
      - .offset:         166
        .size:           2
        .value_kind:     hidden_remainder_z
      - .offset:         184
        .size:           8
        .value_kind:     hidden_global_offset_x
      - .offset:         192
        .size:           8
        .value_kind:     hidden_global_offset_y
      - .offset:         200
        .size:           8
        .value_kind:     hidden_global_offset_z
      - .offset:         208
        .size:           2
        .value_kind:     hidden_grid_dims
    .group_segment_fixed_size: 8192
    .kernarg_segment_align: 8
    .kernarg_segment_size: 400
    .language:       OpenCL C
    .language_version:
      - 2
      - 0
    .max_flat_workgroup_size: 256
    .name:           _Z39paged_attention_ll4mi_QKV_mfma16_kernelIDF16_hLN4vllm18Fp8KVCacheDataTypeE1EDF16_Li32ELi128ELi256ELb0ELi2EEvPKT_PKT0_S7_ifPKiS9_S9_iPKfiiiPfSC_PS2_PT2_iSB_SB_
    .private_segment_fixed_size: 0
    .sgpr_count:     54
    .sgpr_spill_count: 0
    .symbol:         _Z39paged_attention_ll4mi_QKV_mfma16_kernelIDF16_hLN4vllm18Fp8KVCacheDataTypeE1EDF16_Li32ELi128ELi256ELb0ELi2EEvPKT_PKT0_S7_ifPKiS9_S9_iPKfiiiPfSC_PS2_PT2_iSB_SB_.kd
    .uniform_work_group_size: 1
    .uses_dynamic_stack: false
    .vgpr_count:     80
    .vgpr_spill_count: 0
    .wavefront_size: 64
  - .agpr_count:     0
    .args:
      - .actual_access:  read_only
        .address_space:  global
        .offset:         0
        .size:           8
        .value_kind:     global_buffer
      - .actual_access:  read_only
        .address_space:  global
        .offset:         8
        .size:           8
        .value_kind:     global_buffer
      - .actual_access:  read_only
        .address_space:  global
        .offset:         16
        .size:           8
        .value_kind:     global_buffer
      - .offset:         24
        .size:           4
        .value_kind:     by_value
      - .offset:         28
        .size:           4
        .value_kind:     by_value
      - .actual_access:  read_only
        .address_space:  global
        .offset:         32
        .size:           8
        .value_kind:     global_buffer
      - .actual_access:  read_only
        .address_space:  global
        .offset:         40
        .size:           8
        .value_kind:     global_buffer
      - .actual_access:  read_only
        .address_space:  global
        .offset:         48
        .size:           8
        .value_kind:     global_buffer
      - .offset:         56
        .size:           4
        .value_kind:     by_value
      - .actual_access:  read_only
        .address_space:  global
        .offset:         64
        .size:           8
        .value_kind:     global_buffer
      - .offset:         72
        .size:           4
        .value_kind:     by_value
      - .offset:         76
        .size:           4
        .value_kind:     by_value
      - .offset:         80
        .size:           4
        .value_kind:     by_value
      - .actual_access:  write_only
        .address_space:  global
        .offset:         88
        .size:           8
        .value_kind:     global_buffer
      - .actual_access:  write_only
        .address_space:  global
        .offset:         96
        .size:           8
        .value_kind:     global_buffer
      - .actual_access:  write_only
        .address_space:  global
        .offset:         104
        .size:           8
        .value_kind:     global_buffer
      - .actual_access:  read_only
        .address_space:  global
        .offset:         112
        .size:           8
        .value_kind:     global_buffer
      - .offset:         120
        .size:           4
        .value_kind:     by_value
      - .address_space:  global
        .offset:         128
        .size:           8
        .value_kind:     global_buffer
      - .address_space:  global
        .offset:         136
        .size:           8
        .value_kind:     global_buffer
      - .offset:         144
        .size:           4
        .value_kind:     hidden_block_count_x
      - .offset:         148
        .size:           4
        .value_kind:     hidden_block_count_y
      - .offset:         152
        .size:           4
        .value_kind:     hidden_block_count_z
      - .offset:         156
        .size:           2
        .value_kind:     hidden_group_size_x
      - .offset:         158
        .size:           2
        .value_kind:     hidden_group_size_y
      - .offset:         160
        .size:           2
        .value_kind:     hidden_group_size_z
      - .offset:         162
        .size:           2
        .value_kind:     hidden_remainder_x
      - .offset:         164
        .size:           2
        .value_kind:     hidden_remainder_y
      - .offset:         166
        .size:           2
        .value_kind:     hidden_remainder_z
      - .offset:         184
        .size:           8
        .value_kind:     hidden_global_offset_x
      - .offset:         192
        .size:           8
        .value_kind:     hidden_global_offset_y
      - .offset:         200
        .size:           8
        .value_kind:     hidden_global_offset_z
      - .offset:         208
        .size:           2
        .value_kind:     hidden_grid_dims
    .group_segment_fixed_size: 8192
    .kernarg_segment_align: 8
    .kernarg_segment_size: 400
    .language:       OpenCL C
    .language_version:
      - 2
      - 0
    .max_flat_workgroup_size: 256
    .name:           _Z39paged_attention_ll4mi_QKV_mfma16_kernelIDF16_hLN4vllm18Fp8KVCacheDataTypeE1EDF16_Li32ELi128ELi256ELb0ELi3EEvPKT_PKT0_S7_ifPKiS9_S9_iPKfiiiPfSC_PS2_PT2_iSB_SB_
    .private_segment_fixed_size: 0
    .sgpr_count:     56
    .sgpr_spill_count: 0
    .symbol:         _Z39paged_attention_ll4mi_QKV_mfma16_kernelIDF16_hLN4vllm18Fp8KVCacheDataTypeE1EDF16_Li32ELi128ELi256ELb0ELi3EEvPKT_PKT0_S7_ifPKiS9_S9_iPKfiiiPfSC_PS2_PT2_iSB_SB_.kd
    .uniform_work_group_size: 1
    .uses_dynamic_stack: false
    .vgpr_count:     82
    .vgpr_spill_count: 0
    .wavefront_size: 64
  - .agpr_count:     0
    .args:
      - .actual_access:  read_only
        .address_space:  global
        .offset:         0
        .size:           8
        .value_kind:     global_buffer
      - .actual_access:  read_only
        .address_space:  global
        .offset:         8
        .size:           8
        .value_kind:     global_buffer
      - .actual_access:  read_only
        .address_space:  global
        .offset:         16
        .size:           8
        .value_kind:     global_buffer
      - .offset:         24
        .size:           4
        .value_kind:     by_value
      - .offset:         28
        .size:           4
        .value_kind:     by_value
      - .actual_access:  read_only
        .address_space:  global
        .offset:         32
        .size:           8
        .value_kind:     global_buffer
      - .actual_access:  read_only
        .address_space:  global
        .offset:         40
        .size:           8
        .value_kind:     global_buffer
      - .actual_access:  read_only
        .address_space:  global
        .offset:         48
        .size:           8
        .value_kind:     global_buffer
      - .offset:         56
        .size:           4
        .value_kind:     by_value
      - .actual_access:  read_only
        .address_space:  global
        .offset:         64
        .size:           8
        .value_kind:     global_buffer
      - .offset:         72
        .size:           4
        .value_kind:     by_value
      - .offset:         76
        .size:           4
        .value_kind:     by_value
      - .offset:         80
        .size:           4
        .value_kind:     by_value
      - .actual_access:  write_only
        .address_space:  global
        .offset:         88
        .size:           8
        .value_kind:     global_buffer
      - .actual_access:  write_only
        .address_space:  global
        .offset:         96
        .size:           8
        .value_kind:     global_buffer
      - .actual_access:  write_only
        .address_space:  global
        .offset:         104
        .size:           8
        .value_kind:     global_buffer
      - .actual_access:  read_only
        .address_space:  global
        .offset:         112
        .size:           8
        .value_kind:     global_buffer
      - .offset:         120
        .size:           4
        .value_kind:     by_value
      - .address_space:  global
        .offset:         128
        .size:           8
        .value_kind:     global_buffer
      - .address_space:  global
        .offset:         136
        .size:           8
        .value_kind:     global_buffer
      - .offset:         144
        .size:           4
        .value_kind:     hidden_block_count_x
      - .offset:         148
        .size:           4
        .value_kind:     hidden_block_count_y
      - .offset:         152
        .size:           4
        .value_kind:     hidden_block_count_z
      - .offset:         156
        .size:           2
        .value_kind:     hidden_group_size_x
      - .offset:         158
        .size:           2
        .value_kind:     hidden_group_size_y
      - .offset:         160
        .size:           2
        .value_kind:     hidden_group_size_z
      - .offset:         162
        .size:           2
        .value_kind:     hidden_remainder_x
      - .offset:         164
        .size:           2
        .value_kind:     hidden_remainder_y
      - .offset:         166
        .size:           2
        .value_kind:     hidden_remainder_z
      - .offset:         184
        .size:           8
        .value_kind:     hidden_global_offset_x
      - .offset:         192
        .size:           8
        .value_kind:     hidden_global_offset_y
      - .offset:         200
        .size:           8
        .value_kind:     hidden_global_offset_z
      - .offset:         208
        .size:           2
        .value_kind:     hidden_grid_dims
    .group_segment_fixed_size: 8192
    .kernarg_segment_align: 8
    .kernarg_segment_size: 400
    .language:       OpenCL C
    .language_version:
      - 2
      - 0
    .max_flat_workgroup_size: 256
    .name:           _Z39paged_attention_ll4mi_QKV_mfma16_kernelIDF16_hLN4vllm18Fp8KVCacheDataTypeE1EDF16_Li32ELi128ELi256ELb0ELi4EEvPKT_PKT0_S7_ifPKiS9_S9_iPKfiiiPfSC_PS2_PT2_iSB_SB_
    .private_segment_fixed_size: 0
    .sgpr_count:     55
    .sgpr_spill_count: 0
    .symbol:         _Z39paged_attention_ll4mi_QKV_mfma16_kernelIDF16_hLN4vllm18Fp8KVCacheDataTypeE1EDF16_Li32ELi128ELi256ELb0ELi4EEvPKT_PKT0_S7_ifPKiS9_S9_iPKfiiiPfSC_PS2_PT2_iSB_SB_.kd
    .uniform_work_group_size: 1
    .uses_dynamic_stack: false
    .vgpr_count:     82
    .vgpr_spill_count: 0
    .wavefront_size: 64
  - .agpr_count:     4
    .args:
      - .actual_access:  read_only
        .address_space:  global
        .offset:         0
        .size:           8
        .value_kind:     global_buffer
      - .actual_access:  read_only
        .address_space:  global
        .offset:         8
        .size:           8
        .value_kind:     global_buffer
      - .actual_access:  read_only
        .address_space:  global
        .offset:         16
        .size:           8
        .value_kind:     global_buffer
      - .offset:         24
        .size:           4
        .value_kind:     by_value
      - .offset:         28
        .size:           4
        .value_kind:     by_value
      - .actual_access:  read_only
        .address_space:  global
        .offset:         32
        .size:           8
        .value_kind:     global_buffer
      - .actual_access:  read_only
        .address_space:  global
        .offset:         40
        .size:           8
        .value_kind:     global_buffer
      - .actual_access:  read_only
        .address_space:  global
        .offset:         48
        .size:           8
        .value_kind:     global_buffer
      - .offset:         56
        .size:           4
        .value_kind:     by_value
      - .actual_access:  read_only
        .address_space:  global
        .offset:         64
        .size:           8
        .value_kind:     global_buffer
      - .offset:         72
        .size:           4
        .value_kind:     by_value
      - .offset:         76
        .size:           4
        .value_kind:     by_value
      - .offset:         80
        .size:           4
        .value_kind:     by_value
      - .actual_access:  write_only
        .address_space:  global
        .offset:         88
        .size:           8
        .value_kind:     global_buffer
      - .actual_access:  write_only
        .address_space:  global
        .offset:         96
        .size:           8
        .value_kind:     global_buffer
      - .actual_access:  write_only
        .address_space:  global
        .offset:         104
        .size:           8
        .value_kind:     global_buffer
      - .actual_access:  read_only
        .address_space:  global
        .offset:         112
        .size:           8
        .value_kind:     global_buffer
      - .offset:         120
        .size:           4
        .value_kind:     by_value
      - .address_space:  global
        .offset:         128
        .size:           8
        .value_kind:     global_buffer
      - .address_space:  global
        .offset:         136
        .size:           8
        .value_kind:     global_buffer
      - .offset:         144
        .size:           4
        .value_kind:     hidden_block_count_x
      - .offset:         148
        .size:           4
        .value_kind:     hidden_block_count_y
      - .offset:         152
        .size:           4
        .value_kind:     hidden_block_count_z
      - .offset:         156
        .size:           2
        .value_kind:     hidden_group_size_x
      - .offset:         158
        .size:           2
        .value_kind:     hidden_group_size_y
      - .offset:         160
        .size:           2
        .value_kind:     hidden_group_size_z
      - .offset:         162
        .size:           2
        .value_kind:     hidden_remainder_x
      - .offset:         164
        .size:           2
        .value_kind:     hidden_remainder_y
      - .offset:         166
        .size:           2
        .value_kind:     hidden_remainder_z
      - .offset:         184
        .size:           8
        .value_kind:     hidden_global_offset_x
      - .offset:         192
        .size:           8
        .value_kind:     hidden_global_offset_y
      - .offset:         200
        .size:           8
        .value_kind:     hidden_global_offset_z
      - .offset:         208
        .size:           2
        .value_kind:     hidden_grid_dims
    .group_segment_fixed_size: 2720
    .kernarg_segment_align: 8
    .kernarg_segment_size: 400
    .language:       OpenCL C
    .language_version:
      - 2
      - 0
    .max_flat_workgroup_size: 256
    .name:           _Z38paged_attention_ll4mi_QKV_mfma4_kernelI14__hip_bfloat16hLN4vllm18Fp8KVCacheDataTypeE1EhLi16ELi64ELi256ELb1ELi1EEvPKT_PKT0_S8_ifPKiSA_SA_iPKfiiiPfSD_PS3_PT2_iSC_SC_
    .private_segment_fixed_size: 0
    .sgpr_count:     48
    .sgpr_spill_count: 0
    .symbol:         _Z38paged_attention_ll4mi_QKV_mfma4_kernelI14__hip_bfloat16hLN4vllm18Fp8KVCacheDataTypeE1EhLi16ELi64ELi256ELb1ELi1EEvPKT_PKT0_S8_ifPKiSA_SA_iPKfiiiPfSD_PS3_PT2_iSC_SC_.kd
    .uniform_work_group_size: 1
    .uses_dynamic_stack: false
    .vgpr_count:     52
    .vgpr_spill_count: 0
    .wavefront_size: 64
  - .agpr_count:     4
    .args:
      - .actual_access:  read_only
        .address_space:  global
        .offset:         0
        .size:           8
        .value_kind:     global_buffer
      - .actual_access:  read_only
        .address_space:  global
        .offset:         8
        .size:           8
        .value_kind:     global_buffer
      - .actual_access:  read_only
        .address_space:  global
        .offset:         16
        .size:           8
        .value_kind:     global_buffer
      - .offset:         24
        .size:           4
        .value_kind:     by_value
      - .offset:         28
        .size:           4
        .value_kind:     by_value
      - .actual_access:  read_only
        .address_space:  global
        .offset:         32
        .size:           8
        .value_kind:     global_buffer
      - .actual_access:  read_only
        .address_space:  global
        .offset:         40
        .size:           8
        .value_kind:     global_buffer
      - .actual_access:  read_only
        .address_space:  global
        .offset:         48
        .size:           8
        .value_kind:     global_buffer
      - .offset:         56
        .size:           4
        .value_kind:     by_value
      - .actual_access:  read_only
        .address_space:  global
        .offset:         64
        .size:           8
        .value_kind:     global_buffer
      - .offset:         72
        .size:           4
        .value_kind:     by_value
      - .offset:         76
        .size:           4
        .value_kind:     by_value
      - .offset:         80
        .size:           4
        .value_kind:     by_value
      - .actual_access:  write_only
        .address_space:  global
        .offset:         88
        .size:           8
        .value_kind:     global_buffer
      - .actual_access:  write_only
        .address_space:  global
        .offset:         96
        .size:           8
        .value_kind:     global_buffer
      - .actual_access:  write_only
        .address_space:  global
        .offset:         104
        .size:           8
        .value_kind:     global_buffer
      - .actual_access:  read_only
        .address_space:  global
        .offset:         112
        .size:           8
        .value_kind:     global_buffer
      - .offset:         120
        .size:           4
        .value_kind:     by_value
      - .address_space:  global
        .offset:         128
        .size:           8
        .value_kind:     global_buffer
      - .address_space:  global
        .offset:         136
        .size:           8
        .value_kind:     global_buffer
      - .offset:         144
        .size:           4
        .value_kind:     hidden_block_count_x
      - .offset:         148
        .size:           4
        .value_kind:     hidden_block_count_y
      - .offset:         152
        .size:           4
        .value_kind:     hidden_block_count_z
      - .offset:         156
        .size:           2
        .value_kind:     hidden_group_size_x
      - .offset:         158
        .size:           2
        .value_kind:     hidden_group_size_y
      - .offset:         160
        .size:           2
        .value_kind:     hidden_group_size_z
      - .offset:         162
        .size:           2
        .value_kind:     hidden_remainder_x
      - .offset:         164
        .size:           2
        .value_kind:     hidden_remainder_y
      - .offset:         166
        .size:           2
        .value_kind:     hidden_remainder_z
      - .offset:         184
        .size:           8
        .value_kind:     hidden_global_offset_x
      - .offset:         192
        .size:           8
        .value_kind:     hidden_global_offset_y
      - .offset:         200
        .size:           8
        .value_kind:     hidden_global_offset_z
      - .offset:         208
        .size:           2
        .value_kind:     hidden_grid_dims
    .group_segment_fixed_size: 2720
    .kernarg_segment_align: 8
    .kernarg_segment_size: 400
    .language:       OpenCL C
    .language_version:
      - 2
      - 0
    .max_flat_workgroup_size: 256
    .name:           _Z38paged_attention_ll4mi_QKV_mfma4_kernelI14__hip_bfloat16hLN4vllm18Fp8KVCacheDataTypeE1EhLi16ELi64ELi256ELb1ELi2EEvPKT_PKT0_S8_ifPKiSA_SA_iPKfiiiPfSD_PS3_PT2_iSC_SC_
    .private_segment_fixed_size: 0
    .sgpr_count:     50
    .sgpr_spill_count: 0
    .symbol:         _Z38paged_attention_ll4mi_QKV_mfma4_kernelI14__hip_bfloat16hLN4vllm18Fp8KVCacheDataTypeE1EhLi16ELi64ELi256ELb1ELi2EEvPKT_PKT0_S8_ifPKiSA_SA_iPKfiiiPfSD_PS3_PT2_iSC_SC_.kd
    .uniform_work_group_size: 1
    .uses_dynamic_stack: false
    .vgpr_count:     52
    .vgpr_spill_count: 0
    .wavefront_size: 64
  - .agpr_count:     4
    .args:
      - .actual_access:  read_only
        .address_space:  global
        .offset:         0
        .size:           8
        .value_kind:     global_buffer
      - .actual_access:  read_only
        .address_space:  global
        .offset:         8
        .size:           8
        .value_kind:     global_buffer
      - .actual_access:  read_only
        .address_space:  global
        .offset:         16
        .size:           8
        .value_kind:     global_buffer
      - .offset:         24
        .size:           4
        .value_kind:     by_value
      - .offset:         28
        .size:           4
        .value_kind:     by_value
      - .actual_access:  read_only
        .address_space:  global
        .offset:         32
        .size:           8
        .value_kind:     global_buffer
      - .actual_access:  read_only
        .address_space:  global
        .offset:         40
        .size:           8
        .value_kind:     global_buffer
      - .actual_access:  read_only
        .address_space:  global
        .offset:         48
        .size:           8
        .value_kind:     global_buffer
      - .offset:         56
        .size:           4
        .value_kind:     by_value
      - .actual_access:  read_only
        .address_space:  global
        .offset:         64
        .size:           8
        .value_kind:     global_buffer
      - .offset:         72
        .size:           4
        .value_kind:     by_value
      - .offset:         76
        .size:           4
        .value_kind:     by_value
      - .offset:         80
        .size:           4
        .value_kind:     by_value
      - .actual_access:  write_only
        .address_space:  global
        .offset:         88
        .size:           8
        .value_kind:     global_buffer
      - .actual_access:  write_only
        .address_space:  global
        .offset:         96
        .size:           8
        .value_kind:     global_buffer
      - .actual_access:  write_only
        .address_space:  global
        .offset:         104
        .size:           8
        .value_kind:     global_buffer
      - .actual_access:  read_only
        .address_space:  global
        .offset:         112
        .size:           8
        .value_kind:     global_buffer
      - .offset:         120
        .size:           4
        .value_kind:     by_value
      - .address_space:  global
        .offset:         128
        .size:           8
        .value_kind:     global_buffer
      - .address_space:  global
        .offset:         136
        .size:           8
        .value_kind:     global_buffer
      - .offset:         144
        .size:           4
        .value_kind:     hidden_block_count_x
      - .offset:         148
        .size:           4
        .value_kind:     hidden_block_count_y
      - .offset:         152
        .size:           4
        .value_kind:     hidden_block_count_z
      - .offset:         156
        .size:           2
        .value_kind:     hidden_group_size_x
      - .offset:         158
        .size:           2
        .value_kind:     hidden_group_size_y
      - .offset:         160
        .size:           2
        .value_kind:     hidden_group_size_z
      - .offset:         162
        .size:           2
        .value_kind:     hidden_remainder_x
      - .offset:         164
        .size:           2
        .value_kind:     hidden_remainder_y
      - .offset:         166
        .size:           2
        .value_kind:     hidden_remainder_z
      - .offset:         184
        .size:           8
        .value_kind:     hidden_global_offset_x
      - .offset:         192
        .size:           8
        .value_kind:     hidden_global_offset_y
      - .offset:         200
        .size:           8
        .value_kind:     hidden_global_offset_z
      - .offset:         208
        .size:           2
        .value_kind:     hidden_grid_dims
    .group_segment_fixed_size: 2720
    .kernarg_segment_align: 8
    .kernarg_segment_size: 400
    .language:       OpenCL C
    .language_version:
      - 2
      - 0
    .max_flat_workgroup_size: 256
    .name:           _Z38paged_attention_ll4mi_QKV_mfma4_kernelI14__hip_bfloat16hLN4vllm18Fp8KVCacheDataTypeE1EhLi16ELi64ELi256ELb1ELi3EEvPKT_PKT0_S8_ifPKiSA_SA_iPKfiiiPfSD_PS3_PT2_iSC_SC_
    .private_segment_fixed_size: 0
    .sgpr_count:     50
    .sgpr_spill_count: 0
    .symbol:         _Z38paged_attention_ll4mi_QKV_mfma4_kernelI14__hip_bfloat16hLN4vllm18Fp8KVCacheDataTypeE1EhLi16ELi64ELi256ELb1ELi3EEvPKT_PKT0_S8_ifPKiSA_SA_iPKfiiiPfSD_PS3_PT2_iSC_SC_.kd
    .uniform_work_group_size: 1
    .uses_dynamic_stack: false
    .vgpr_count:     52
    .vgpr_spill_count: 0
    .wavefront_size: 64
  - .agpr_count:     4
    .args:
      - .actual_access:  read_only
        .address_space:  global
        .offset:         0
        .size:           8
        .value_kind:     global_buffer
      - .actual_access:  read_only
        .address_space:  global
        .offset:         8
        .size:           8
        .value_kind:     global_buffer
      - .actual_access:  read_only
        .address_space:  global
        .offset:         16
        .size:           8
        .value_kind:     global_buffer
      - .offset:         24
        .size:           4
        .value_kind:     by_value
      - .offset:         28
        .size:           4
        .value_kind:     by_value
      - .actual_access:  read_only
        .address_space:  global
        .offset:         32
        .size:           8
        .value_kind:     global_buffer
      - .actual_access:  read_only
        .address_space:  global
        .offset:         40
        .size:           8
        .value_kind:     global_buffer
      - .actual_access:  read_only
        .address_space:  global
        .offset:         48
        .size:           8
        .value_kind:     global_buffer
      - .offset:         56
        .size:           4
        .value_kind:     by_value
      - .actual_access:  read_only
        .address_space:  global
        .offset:         64
        .size:           8
        .value_kind:     global_buffer
      - .offset:         72
        .size:           4
        .value_kind:     by_value
      - .offset:         76
        .size:           4
        .value_kind:     by_value
      - .offset:         80
        .size:           4
        .value_kind:     by_value
      - .actual_access:  write_only
        .address_space:  global
        .offset:         88
        .size:           8
        .value_kind:     global_buffer
      - .actual_access:  write_only
        .address_space:  global
        .offset:         96
        .size:           8
        .value_kind:     global_buffer
      - .actual_access:  write_only
        .address_space:  global
        .offset:         104
        .size:           8
        .value_kind:     global_buffer
      - .actual_access:  read_only
        .address_space:  global
        .offset:         112
        .size:           8
        .value_kind:     global_buffer
      - .offset:         120
        .size:           4
        .value_kind:     by_value
      - .address_space:  global
        .offset:         128
        .size:           8
        .value_kind:     global_buffer
      - .address_space:  global
        .offset:         136
        .size:           8
        .value_kind:     global_buffer
      - .offset:         144
        .size:           4
        .value_kind:     hidden_block_count_x
      - .offset:         148
        .size:           4
        .value_kind:     hidden_block_count_y
      - .offset:         152
        .size:           4
        .value_kind:     hidden_block_count_z
      - .offset:         156
        .size:           2
        .value_kind:     hidden_group_size_x
      - .offset:         158
        .size:           2
        .value_kind:     hidden_group_size_y
      - .offset:         160
        .size:           2
        .value_kind:     hidden_group_size_z
      - .offset:         162
        .size:           2
        .value_kind:     hidden_remainder_x
      - .offset:         164
        .size:           2
        .value_kind:     hidden_remainder_y
      - .offset:         166
        .size:           2
        .value_kind:     hidden_remainder_z
      - .offset:         184
        .size:           8
        .value_kind:     hidden_global_offset_x
      - .offset:         192
        .size:           8
        .value_kind:     hidden_global_offset_y
      - .offset:         200
        .size:           8
        .value_kind:     hidden_global_offset_z
      - .offset:         208
        .size:           2
        .value_kind:     hidden_grid_dims
    .group_segment_fixed_size: 2720
    .kernarg_segment_align: 8
    .kernarg_segment_size: 400
    .language:       OpenCL C
    .language_version:
      - 2
      - 0
    .max_flat_workgroup_size: 256
    .name:           _Z38paged_attention_ll4mi_QKV_mfma4_kernelI14__hip_bfloat16hLN4vllm18Fp8KVCacheDataTypeE1EhLi16ELi64ELi256ELb1ELi4EEvPKT_PKT0_S8_ifPKiSA_SA_iPKfiiiPfSD_PS3_PT2_iSC_SC_
    .private_segment_fixed_size: 0
    .sgpr_count:     51
    .sgpr_spill_count: 0
    .symbol:         _Z38paged_attention_ll4mi_QKV_mfma4_kernelI14__hip_bfloat16hLN4vllm18Fp8KVCacheDataTypeE1EhLi16ELi64ELi256ELb1ELi4EEvPKT_PKT0_S8_ifPKiSA_SA_iPKfiiiPfSD_PS3_PT2_iSC_SC_.kd
    .uniform_work_group_size: 1
    .uses_dynamic_stack: false
    .vgpr_count:     80
    .vgpr_spill_count: 0
    .wavefront_size: 64
  - .agpr_count:     0
    .args:
      - .actual_access:  read_only
        .address_space:  global
        .offset:         0
        .size:           8
        .value_kind:     global_buffer
      - .actual_access:  read_only
        .address_space:  global
        .offset:         8
        .size:           8
        .value_kind:     global_buffer
      - .actual_access:  read_only
        .address_space:  global
        .offset:         16
        .size:           8
        .value_kind:     global_buffer
      - .offset:         24
        .size:           4
        .value_kind:     by_value
      - .offset:         28
        .size:           4
        .value_kind:     by_value
      - .actual_access:  read_only
        .address_space:  global
        .offset:         32
        .size:           8
        .value_kind:     global_buffer
      - .actual_access:  read_only
        .address_space:  global
        .offset:         40
        .size:           8
        .value_kind:     global_buffer
      - .actual_access:  read_only
        .address_space:  global
        .offset:         48
        .size:           8
        .value_kind:     global_buffer
      - .offset:         56
        .size:           4
        .value_kind:     by_value
      - .actual_access:  read_only
        .address_space:  global
        .offset:         64
        .size:           8
        .value_kind:     global_buffer
      - .offset:         72
        .size:           4
        .value_kind:     by_value
      - .offset:         76
        .size:           4
        .value_kind:     by_value
      - .offset:         80
        .size:           4
        .value_kind:     by_value
      - .actual_access:  write_only
        .address_space:  global
        .offset:         88
        .size:           8
        .value_kind:     global_buffer
      - .actual_access:  write_only
        .address_space:  global
        .offset:         96
        .size:           8
        .value_kind:     global_buffer
      - .actual_access:  write_only
        .address_space:  global
        .offset:         104
        .size:           8
        .value_kind:     global_buffer
      - .actual_access:  read_only
        .address_space:  global
        .offset:         112
        .size:           8
        .value_kind:     global_buffer
      - .offset:         120
        .size:           4
        .value_kind:     by_value
      - .address_space:  global
        .offset:         128
        .size:           8
        .value_kind:     global_buffer
      - .address_space:  global
        .offset:         136
        .size:           8
        .value_kind:     global_buffer
      - .offset:         144
        .size:           4
        .value_kind:     hidden_block_count_x
      - .offset:         148
        .size:           4
        .value_kind:     hidden_block_count_y
      - .offset:         152
        .size:           4
        .value_kind:     hidden_block_count_z
      - .offset:         156
        .size:           2
        .value_kind:     hidden_group_size_x
      - .offset:         158
        .size:           2
        .value_kind:     hidden_group_size_y
      - .offset:         160
        .size:           2
        .value_kind:     hidden_group_size_z
      - .offset:         162
        .size:           2
        .value_kind:     hidden_remainder_x
      - .offset:         164
        .size:           2
        .value_kind:     hidden_remainder_y
      - .offset:         166
        .size:           2
        .value_kind:     hidden_remainder_z
      - .offset:         184
        .size:           8
        .value_kind:     hidden_global_offset_x
      - .offset:         192
        .size:           8
        .value_kind:     hidden_global_offset_y
      - .offset:         200
        .size:           8
        .value_kind:     hidden_global_offset_z
      - .offset:         208
        .size:           2
        .value_kind:     hidden_grid_dims
    .group_segment_fixed_size: 8192
    .kernarg_segment_align: 8
    .kernarg_segment_size: 400
    .language:       OpenCL C
    .language_version:
      - 2
      - 0
    .max_flat_workgroup_size: 256
    .name:           _Z39paged_attention_ll4mi_QKV_mfma16_kernelI14__hip_bfloat16hLN4vllm18Fp8KVCacheDataTypeE1EhLi16ELi64ELi256ELb1ELi5EEvPKT_PKT0_S8_ifPKiSA_SA_iPKfiiiPfSD_PS3_PT2_iSC_SC_
    .private_segment_fixed_size: 0
    .sgpr_count:     56
    .sgpr_spill_count: 0
    .symbol:         _Z39paged_attention_ll4mi_QKV_mfma16_kernelI14__hip_bfloat16hLN4vllm18Fp8KVCacheDataTypeE1EhLi16ELi64ELi256ELb1ELi5EEvPKT_PKT0_S8_ifPKiSA_SA_iPKfiiiPfSD_PS3_PT2_iSC_SC_.kd
    .uniform_work_group_size: 1
    .uses_dynamic_stack: false
    .vgpr_count:     67
    .vgpr_spill_count: 0
    .wavefront_size: 64
  - .agpr_count:     0
    .args:
      - .actual_access:  read_only
        .address_space:  global
        .offset:         0
        .size:           8
        .value_kind:     global_buffer
      - .actual_access:  read_only
        .address_space:  global
        .offset:         8
        .size:           8
        .value_kind:     global_buffer
      - .actual_access:  read_only
        .address_space:  global
        .offset:         16
        .size:           8
        .value_kind:     global_buffer
      - .offset:         24
        .size:           4
        .value_kind:     by_value
      - .offset:         28
        .size:           4
        .value_kind:     by_value
      - .actual_access:  read_only
        .address_space:  global
        .offset:         32
        .size:           8
        .value_kind:     global_buffer
      - .actual_access:  read_only
        .address_space:  global
        .offset:         40
        .size:           8
        .value_kind:     global_buffer
      - .actual_access:  read_only
        .address_space:  global
        .offset:         48
        .size:           8
        .value_kind:     global_buffer
      - .offset:         56
        .size:           4
        .value_kind:     by_value
      - .actual_access:  read_only
        .address_space:  global
        .offset:         64
        .size:           8
        .value_kind:     global_buffer
      - .offset:         72
        .size:           4
        .value_kind:     by_value
      - .offset:         76
        .size:           4
        .value_kind:     by_value
      - .offset:         80
        .size:           4
        .value_kind:     by_value
      - .actual_access:  write_only
        .address_space:  global
        .offset:         88
        .size:           8
        .value_kind:     global_buffer
      - .actual_access:  write_only
        .address_space:  global
        .offset:         96
        .size:           8
        .value_kind:     global_buffer
      - .actual_access:  write_only
        .address_space:  global
        .offset:         104
        .size:           8
        .value_kind:     global_buffer
      - .actual_access:  read_only
        .address_space:  global
        .offset:         112
        .size:           8
        .value_kind:     global_buffer
      - .offset:         120
        .size:           4
        .value_kind:     by_value
      - .address_space:  global
        .offset:         128
        .size:           8
        .value_kind:     global_buffer
      - .address_space:  global
        .offset:         136
        .size:           8
        .value_kind:     global_buffer
      - .offset:         144
        .size:           4
        .value_kind:     hidden_block_count_x
      - .offset:         148
        .size:           4
        .value_kind:     hidden_block_count_y
      - .offset:         152
        .size:           4
        .value_kind:     hidden_block_count_z
      - .offset:         156
        .size:           2
        .value_kind:     hidden_group_size_x
      - .offset:         158
        .size:           2
        .value_kind:     hidden_group_size_y
      - .offset:         160
        .size:           2
        .value_kind:     hidden_group_size_z
      - .offset:         162
        .size:           2
        .value_kind:     hidden_remainder_x
      - .offset:         164
        .size:           2
        .value_kind:     hidden_remainder_y
      - .offset:         166
        .size:           2
        .value_kind:     hidden_remainder_z
      - .offset:         184
        .size:           8
        .value_kind:     hidden_global_offset_x
      - .offset:         192
        .size:           8
        .value_kind:     hidden_global_offset_y
      - .offset:         200
        .size:           8
        .value_kind:     hidden_global_offset_z
      - .offset:         208
        .size:           2
        .value_kind:     hidden_grid_dims
    .group_segment_fixed_size: 8192
    .kernarg_segment_align: 8
    .kernarg_segment_size: 400
    .language:       OpenCL C
    .language_version:
      - 2
      - 0
    .max_flat_workgroup_size: 256
    .name:           _Z39paged_attention_ll4mi_QKV_mfma16_kernelI14__hip_bfloat16hLN4vllm18Fp8KVCacheDataTypeE1EhLi16ELi64ELi256ELb1ELi6EEvPKT_PKT0_S8_ifPKiSA_SA_iPKfiiiPfSD_PS3_PT2_iSC_SC_
    .private_segment_fixed_size: 0
    .sgpr_count:     56
    .sgpr_spill_count: 0
    .symbol:         _Z39paged_attention_ll4mi_QKV_mfma16_kernelI14__hip_bfloat16hLN4vllm18Fp8KVCacheDataTypeE1EhLi16ELi64ELi256ELb1ELi6EEvPKT_PKT0_S8_ifPKiSA_SA_iPKfiiiPfSD_PS3_PT2_iSC_SC_.kd
    .uniform_work_group_size: 1
    .uses_dynamic_stack: false
    .vgpr_count:     67
    .vgpr_spill_count: 0
    .wavefront_size: 64
  - .agpr_count:     0
    .args:
      - .actual_access:  read_only
        .address_space:  global
        .offset:         0
        .size:           8
        .value_kind:     global_buffer
      - .actual_access:  read_only
        .address_space:  global
        .offset:         8
        .size:           8
        .value_kind:     global_buffer
      - .actual_access:  read_only
        .address_space:  global
        .offset:         16
        .size:           8
        .value_kind:     global_buffer
      - .offset:         24
        .size:           4
        .value_kind:     by_value
      - .offset:         28
        .size:           4
        .value_kind:     by_value
      - .actual_access:  read_only
        .address_space:  global
        .offset:         32
        .size:           8
        .value_kind:     global_buffer
      - .actual_access:  read_only
        .address_space:  global
        .offset:         40
        .size:           8
        .value_kind:     global_buffer
      - .actual_access:  read_only
        .address_space:  global
        .offset:         48
        .size:           8
        .value_kind:     global_buffer
      - .offset:         56
        .size:           4
        .value_kind:     by_value
      - .actual_access:  read_only
        .address_space:  global
        .offset:         64
        .size:           8
        .value_kind:     global_buffer
      - .offset:         72
        .size:           4
        .value_kind:     by_value
      - .offset:         76
        .size:           4
        .value_kind:     by_value
      - .offset:         80
        .size:           4
        .value_kind:     by_value
      - .actual_access:  write_only
        .address_space:  global
        .offset:         88
        .size:           8
        .value_kind:     global_buffer
      - .actual_access:  write_only
        .address_space:  global
        .offset:         96
        .size:           8
        .value_kind:     global_buffer
      - .actual_access:  write_only
        .address_space:  global
        .offset:         104
        .size:           8
        .value_kind:     global_buffer
      - .actual_access:  read_only
        .address_space:  global
        .offset:         112
        .size:           8
        .value_kind:     global_buffer
      - .offset:         120
        .size:           4
        .value_kind:     by_value
      - .address_space:  global
        .offset:         128
        .size:           8
        .value_kind:     global_buffer
      - .address_space:  global
        .offset:         136
        .size:           8
        .value_kind:     global_buffer
      - .offset:         144
        .size:           4
        .value_kind:     hidden_block_count_x
      - .offset:         148
        .size:           4
        .value_kind:     hidden_block_count_y
      - .offset:         152
        .size:           4
        .value_kind:     hidden_block_count_z
      - .offset:         156
        .size:           2
        .value_kind:     hidden_group_size_x
      - .offset:         158
        .size:           2
        .value_kind:     hidden_group_size_y
      - .offset:         160
        .size:           2
        .value_kind:     hidden_group_size_z
      - .offset:         162
        .size:           2
        .value_kind:     hidden_remainder_x
      - .offset:         164
        .size:           2
        .value_kind:     hidden_remainder_y
      - .offset:         166
        .size:           2
        .value_kind:     hidden_remainder_z
      - .offset:         184
        .size:           8
        .value_kind:     hidden_global_offset_x
      - .offset:         192
        .size:           8
        .value_kind:     hidden_global_offset_y
      - .offset:         200
        .size:           8
        .value_kind:     hidden_global_offset_z
      - .offset:         208
        .size:           2
        .value_kind:     hidden_grid_dims
    .group_segment_fixed_size: 8192
    .kernarg_segment_align: 8
    .kernarg_segment_size: 400
    .language:       OpenCL C
    .language_version:
      - 2
      - 0
    .max_flat_workgroup_size: 256
    .name:           _Z39paged_attention_ll4mi_QKV_mfma16_kernelI14__hip_bfloat16hLN4vllm18Fp8KVCacheDataTypeE1EhLi16ELi64ELi256ELb1ELi7EEvPKT_PKT0_S8_ifPKiSA_SA_iPKfiiiPfSD_PS3_PT2_iSC_SC_
    .private_segment_fixed_size: 0
    .sgpr_count:     56
    .sgpr_spill_count: 0
    .symbol:         _Z39paged_attention_ll4mi_QKV_mfma16_kernelI14__hip_bfloat16hLN4vllm18Fp8KVCacheDataTypeE1EhLi16ELi64ELi256ELb1ELi7EEvPKT_PKT0_S8_ifPKiSA_SA_iPKfiiiPfSD_PS3_PT2_iSC_SC_.kd
    .uniform_work_group_size: 1
    .uses_dynamic_stack: false
    .vgpr_count:     67
    .vgpr_spill_count: 0
    .wavefront_size: 64
  - .agpr_count:     0
    .args:
      - .actual_access:  read_only
        .address_space:  global
        .offset:         0
        .size:           8
        .value_kind:     global_buffer
      - .actual_access:  read_only
        .address_space:  global
        .offset:         8
        .size:           8
        .value_kind:     global_buffer
      - .actual_access:  read_only
        .address_space:  global
        .offset:         16
        .size:           8
        .value_kind:     global_buffer
      - .offset:         24
        .size:           4
        .value_kind:     by_value
      - .offset:         28
        .size:           4
        .value_kind:     by_value
      - .actual_access:  read_only
        .address_space:  global
        .offset:         32
        .size:           8
        .value_kind:     global_buffer
      - .actual_access:  read_only
        .address_space:  global
        .offset:         40
        .size:           8
        .value_kind:     global_buffer
      - .actual_access:  read_only
        .address_space:  global
        .offset:         48
        .size:           8
        .value_kind:     global_buffer
      - .offset:         56
        .size:           4
        .value_kind:     by_value
      - .actual_access:  read_only
        .address_space:  global
        .offset:         64
        .size:           8
        .value_kind:     global_buffer
      - .offset:         72
        .size:           4
        .value_kind:     by_value
      - .offset:         76
        .size:           4
        .value_kind:     by_value
      - .offset:         80
        .size:           4
        .value_kind:     by_value
      - .actual_access:  write_only
        .address_space:  global
        .offset:         88
        .size:           8
        .value_kind:     global_buffer
      - .actual_access:  write_only
        .address_space:  global
        .offset:         96
        .size:           8
        .value_kind:     global_buffer
      - .actual_access:  write_only
        .address_space:  global
        .offset:         104
        .size:           8
        .value_kind:     global_buffer
      - .actual_access:  read_only
        .address_space:  global
        .offset:         112
        .size:           8
        .value_kind:     global_buffer
      - .offset:         120
        .size:           4
        .value_kind:     by_value
      - .address_space:  global
        .offset:         128
        .size:           8
        .value_kind:     global_buffer
      - .address_space:  global
        .offset:         136
        .size:           8
        .value_kind:     global_buffer
      - .offset:         144
        .size:           4
        .value_kind:     hidden_block_count_x
      - .offset:         148
        .size:           4
        .value_kind:     hidden_block_count_y
      - .offset:         152
        .size:           4
        .value_kind:     hidden_block_count_z
      - .offset:         156
        .size:           2
        .value_kind:     hidden_group_size_x
      - .offset:         158
        .size:           2
        .value_kind:     hidden_group_size_y
      - .offset:         160
        .size:           2
        .value_kind:     hidden_group_size_z
      - .offset:         162
        .size:           2
        .value_kind:     hidden_remainder_x
      - .offset:         164
        .size:           2
        .value_kind:     hidden_remainder_y
      - .offset:         166
        .size:           2
        .value_kind:     hidden_remainder_z
      - .offset:         184
        .size:           8
        .value_kind:     hidden_global_offset_x
      - .offset:         192
        .size:           8
        .value_kind:     hidden_global_offset_y
      - .offset:         200
        .size:           8
        .value_kind:     hidden_global_offset_z
      - .offset:         208
        .size:           2
        .value_kind:     hidden_grid_dims
    .group_segment_fixed_size: 8192
    .kernarg_segment_align: 8
    .kernarg_segment_size: 400
    .language:       OpenCL C
    .language_version:
      - 2
      - 0
    .max_flat_workgroup_size: 256
    .name:           _Z39paged_attention_ll4mi_QKV_mfma16_kernelI14__hip_bfloat16hLN4vllm18Fp8KVCacheDataTypeE1EhLi16ELi64ELi256ELb1ELi8EEvPKT_PKT0_S8_ifPKiSA_SA_iPKfiiiPfSD_PS3_PT2_iSC_SC_
    .private_segment_fixed_size: 0
    .sgpr_count:     54
    .sgpr_spill_count: 0
    .symbol:         _Z39paged_attention_ll4mi_QKV_mfma16_kernelI14__hip_bfloat16hLN4vllm18Fp8KVCacheDataTypeE1EhLi16ELi64ELi256ELb1ELi8EEvPKT_PKT0_S8_ifPKiSA_SA_iPKfiiiPfSD_PS3_PT2_iSC_SC_.kd
    .uniform_work_group_size: 1
    .uses_dynamic_stack: false
    .vgpr_count:     70
    .vgpr_spill_count: 0
    .wavefront_size: 64
  - .agpr_count:     0
    .args:
      - .actual_access:  read_only
        .address_space:  global
        .offset:         0
        .size:           8
        .value_kind:     global_buffer
      - .actual_access:  read_only
        .address_space:  global
        .offset:         8
        .size:           8
        .value_kind:     global_buffer
      - .actual_access:  read_only
        .address_space:  global
        .offset:         16
        .size:           8
        .value_kind:     global_buffer
      - .offset:         24
        .size:           4
        .value_kind:     by_value
      - .offset:         28
        .size:           4
        .value_kind:     by_value
      - .actual_access:  read_only
        .address_space:  global
        .offset:         32
        .size:           8
        .value_kind:     global_buffer
      - .actual_access:  read_only
        .address_space:  global
        .offset:         40
        .size:           8
        .value_kind:     global_buffer
      - .actual_access:  read_only
        .address_space:  global
        .offset:         48
        .size:           8
        .value_kind:     global_buffer
      - .offset:         56
        .size:           4
        .value_kind:     by_value
      - .actual_access:  read_only
        .address_space:  global
        .offset:         64
        .size:           8
        .value_kind:     global_buffer
      - .offset:         72
        .size:           4
        .value_kind:     by_value
      - .offset:         76
        .size:           4
        .value_kind:     by_value
      - .offset:         80
        .size:           4
        .value_kind:     by_value
      - .actual_access:  write_only
        .address_space:  global
        .offset:         88
        .size:           8
        .value_kind:     global_buffer
      - .actual_access:  write_only
        .address_space:  global
        .offset:         96
        .size:           8
        .value_kind:     global_buffer
      - .actual_access:  write_only
        .address_space:  global
        .offset:         104
        .size:           8
        .value_kind:     global_buffer
      - .actual_access:  read_only
        .address_space:  global
        .offset:         112
        .size:           8
        .value_kind:     global_buffer
      - .offset:         120
        .size:           4
        .value_kind:     by_value
      - .address_space:  global
        .offset:         128
        .size:           8
        .value_kind:     global_buffer
      - .address_space:  global
        .offset:         136
        .size:           8
        .value_kind:     global_buffer
      - .offset:         144
        .size:           4
        .value_kind:     hidden_block_count_x
      - .offset:         148
        .size:           4
        .value_kind:     hidden_block_count_y
      - .offset:         152
        .size:           4
        .value_kind:     hidden_block_count_z
      - .offset:         156
        .size:           2
        .value_kind:     hidden_group_size_x
      - .offset:         158
        .size:           2
        .value_kind:     hidden_group_size_y
      - .offset:         160
        .size:           2
        .value_kind:     hidden_group_size_z
      - .offset:         162
        .size:           2
        .value_kind:     hidden_remainder_x
      - .offset:         164
        .size:           2
        .value_kind:     hidden_remainder_y
      - .offset:         166
        .size:           2
        .value_kind:     hidden_remainder_z
      - .offset:         184
        .size:           8
        .value_kind:     hidden_global_offset_x
      - .offset:         192
        .size:           8
        .value_kind:     hidden_global_offset_y
      - .offset:         200
        .size:           8
        .value_kind:     hidden_global_offset_z
      - .offset:         208
        .size:           2
        .value_kind:     hidden_grid_dims
    .group_segment_fixed_size: 8192
    .kernarg_segment_align: 8
    .kernarg_segment_size: 400
    .language:       OpenCL C
    .language_version:
      - 2
      - 0
    .max_flat_workgroup_size: 256
    .name:           _Z39paged_attention_ll4mi_QKV_mfma16_kernelI14__hip_bfloat16hLN4vllm18Fp8KVCacheDataTypeE1EhLi16ELi64ELi256ELb1ELi9EEvPKT_PKT0_S8_ifPKiSA_SA_iPKfiiiPfSD_PS3_PT2_iSC_SC_
    .private_segment_fixed_size: 0
    .sgpr_count:     56
    .sgpr_spill_count: 0
    .symbol:         _Z39paged_attention_ll4mi_QKV_mfma16_kernelI14__hip_bfloat16hLN4vllm18Fp8KVCacheDataTypeE1EhLi16ELi64ELi256ELb1ELi9EEvPKT_PKT0_S8_ifPKiSA_SA_iPKfiiiPfSD_PS3_PT2_iSC_SC_.kd
    .uniform_work_group_size: 1
    .uses_dynamic_stack: false
    .vgpr_count:     67
    .vgpr_spill_count: 0
    .wavefront_size: 64
  - .agpr_count:     0
    .args:
      - .actual_access:  read_only
        .address_space:  global
        .offset:         0
        .size:           8
        .value_kind:     global_buffer
      - .actual_access:  read_only
        .address_space:  global
        .offset:         8
        .size:           8
        .value_kind:     global_buffer
      - .actual_access:  read_only
        .address_space:  global
        .offset:         16
        .size:           8
        .value_kind:     global_buffer
      - .offset:         24
        .size:           4
        .value_kind:     by_value
      - .offset:         28
        .size:           4
        .value_kind:     by_value
      - .actual_access:  read_only
        .address_space:  global
        .offset:         32
        .size:           8
        .value_kind:     global_buffer
      - .actual_access:  read_only
        .address_space:  global
        .offset:         40
        .size:           8
        .value_kind:     global_buffer
      - .actual_access:  read_only
        .address_space:  global
        .offset:         48
        .size:           8
        .value_kind:     global_buffer
      - .offset:         56
        .size:           4
        .value_kind:     by_value
      - .actual_access:  read_only
        .address_space:  global
        .offset:         64
        .size:           8
        .value_kind:     global_buffer
      - .offset:         72
        .size:           4
        .value_kind:     by_value
      - .offset:         76
        .size:           4
        .value_kind:     by_value
      - .offset:         80
        .size:           4
        .value_kind:     by_value
      - .actual_access:  write_only
        .address_space:  global
        .offset:         88
        .size:           8
        .value_kind:     global_buffer
      - .actual_access:  write_only
        .address_space:  global
        .offset:         96
        .size:           8
        .value_kind:     global_buffer
      - .actual_access:  write_only
        .address_space:  global
        .offset:         104
        .size:           8
        .value_kind:     global_buffer
      - .actual_access:  read_only
        .address_space:  global
        .offset:         112
        .size:           8
        .value_kind:     global_buffer
      - .offset:         120
        .size:           4
        .value_kind:     by_value
      - .address_space:  global
        .offset:         128
        .size:           8
        .value_kind:     global_buffer
      - .address_space:  global
        .offset:         136
        .size:           8
        .value_kind:     global_buffer
      - .offset:         144
        .size:           4
        .value_kind:     hidden_block_count_x
      - .offset:         148
        .size:           4
        .value_kind:     hidden_block_count_y
      - .offset:         152
        .size:           4
        .value_kind:     hidden_block_count_z
      - .offset:         156
        .size:           2
        .value_kind:     hidden_group_size_x
      - .offset:         158
        .size:           2
        .value_kind:     hidden_group_size_y
      - .offset:         160
        .size:           2
        .value_kind:     hidden_group_size_z
      - .offset:         162
        .size:           2
        .value_kind:     hidden_remainder_x
      - .offset:         164
        .size:           2
        .value_kind:     hidden_remainder_y
      - .offset:         166
        .size:           2
        .value_kind:     hidden_remainder_z
      - .offset:         184
        .size:           8
        .value_kind:     hidden_global_offset_x
      - .offset:         192
        .size:           8
        .value_kind:     hidden_global_offset_y
      - .offset:         200
        .size:           8
        .value_kind:     hidden_global_offset_z
      - .offset:         208
        .size:           2
        .value_kind:     hidden_grid_dims
    .group_segment_fixed_size: 8192
    .kernarg_segment_align: 8
    .kernarg_segment_size: 400
    .language:       OpenCL C
    .language_version:
      - 2
      - 0
    .max_flat_workgroup_size: 256
    .name:           _Z39paged_attention_ll4mi_QKV_mfma16_kernelI14__hip_bfloat16hLN4vllm18Fp8KVCacheDataTypeE1EhLi16ELi64ELi256ELb1ELi10EEvPKT_PKT0_S8_ifPKiSA_SA_iPKfiiiPfSD_PS3_PT2_iSC_SC_
    .private_segment_fixed_size: 0
    .sgpr_count:     56
    .sgpr_spill_count: 0
    .symbol:         _Z39paged_attention_ll4mi_QKV_mfma16_kernelI14__hip_bfloat16hLN4vllm18Fp8KVCacheDataTypeE1EhLi16ELi64ELi256ELb1ELi10EEvPKT_PKT0_S8_ifPKiSA_SA_iPKfiiiPfSD_PS3_PT2_iSC_SC_.kd
    .uniform_work_group_size: 1
    .uses_dynamic_stack: false
    .vgpr_count:     67
    .vgpr_spill_count: 0
    .wavefront_size: 64
  - .agpr_count:     0
    .args:
      - .actual_access:  read_only
        .address_space:  global
        .offset:         0
        .size:           8
        .value_kind:     global_buffer
      - .actual_access:  read_only
        .address_space:  global
        .offset:         8
        .size:           8
        .value_kind:     global_buffer
      - .actual_access:  read_only
        .address_space:  global
        .offset:         16
        .size:           8
        .value_kind:     global_buffer
      - .offset:         24
        .size:           4
        .value_kind:     by_value
      - .offset:         28
        .size:           4
        .value_kind:     by_value
      - .actual_access:  read_only
        .address_space:  global
        .offset:         32
        .size:           8
        .value_kind:     global_buffer
      - .actual_access:  read_only
        .address_space:  global
        .offset:         40
        .size:           8
        .value_kind:     global_buffer
      - .actual_access:  read_only
        .address_space:  global
        .offset:         48
        .size:           8
        .value_kind:     global_buffer
      - .offset:         56
        .size:           4
        .value_kind:     by_value
      - .actual_access:  read_only
        .address_space:  global
        .offset:         64
        .size:           8
        .value_kind:     global_buffer
      - .offset:         72
        .size:           4
        .value_kind:     by_value
      - .offset:         76
        .size:           4
        .value_kind:     by_value
      - .offset:         80
        .size:           4
        .value_kind:     by_value
      - .actual_access:  write_only
        .address_space:  global
        .offset:         88
        .size:           8
        .value_kind:     global_buffer
      - .actual_access:  write_only
        .address_space:  global
        .offset:         96
        .size:           8
        .value_kind:     global_buffer
      - .actual_access:  write_only
        .address_space:  global
        .offset:         104
        .size:           8
        .value_kind:     global_buffer
      - .actual_access:  read_only
        .address_space:  global
        .offset:         112
        .size:           8
        .value_kind:     global_buffer
      - .offset:         120
        .size:           4
        .value_kind:     by_value
      - .address_space:  global
        .offset:         128
        .size:           8
        .value_kind:     global_buffer
      - .address_space:  global
        .offset:         136
        .size:           8
        .value_kind:     global_buffer
      - .offset:         144
        .size:           4
        .value_kind:     hidden_block_count_x
      - .offset:         148
        .size:           4
        .value_kind:     hidden_block_count_y
      - .offset:         152
        .size:           4
        .value_kind:     hidden_block_count_z
      - .offset:         156
        .size:           2
        .value_kind:     hidden_group_size_x
      - .offset:         158
        .size:           2
        .value_kind:     hidden_group_size_y
      - .offset:         160
        .size:           2
        .value_kind:     hidden_group_size_z
      - .offset:         162
        .size:           2
        .value_kind:     hidden_remainder_x
      - .offset:         164
        .size:           2
        .value_kind:     hidden_remainder_y
      - .offset:         166
        .size:           2
        .value_kind:     hidden_remainder_z
      - .offset:         184
        .size:           8
        .value_kind:     hidden_global_offset_x
      - .offset:         192
        .size:           8
        .value_kind:     hidden_global_offset_y
      - .offset:         200
        .size:           8
        .value_kind:     hidden_global_offset_z
      - .offset:         208
        .size:           2
        .value_kind:     hidden_grid_dims
    .group_segment_fixed_size: 8192
    .kernarg_segment_align: 8
    .kernarg_segment_size: 400
    .language:       OpenCL C
    .language_version:
      - 2
      - 0
    .max_flat_workgroup_size: 256
    .name:           _Z39paged_attention_ll4mi_QKV_mfma16_kernelI14__hip_bfloat16hLN4vllm18Fp8KVCacheDataTypeE1EhLi16ELi64ELi256ELb1ELi11EEvPKT_PKT0_S8_ifPKiSA_SA_iPKfiiiPfSD_PS3_PT2_iSC_SC_
    .private_segment_fixed_size: 0
    .sgpr_count:     56
    .sgpr_spill_count: 0
    .symbol:         _Z39paged_attention_ll4mi_QKV_mfma16_kernelI14__hip_bfloat16hLN4vllm18Fp8KVCacheDataTypeE1EhLi16ELi64ELi256ELb1ELi11EEvPKT_PKT0_S8_ifPKiSA_SA_iPKfiiiPfSD_PS3_PT2_iSC_SC_.kd
    .uniform_work_group_size: 1
    .uses_dynamic_stack: false
    .vgpr_count:     67
    .vgpr_spill_count: 0
    .wavefront_size: 64
  - .agpr_count:     0
    .args:
      - .actual_access:  read_only
        .address_space:  global
        .offset:         0
        .size:           8
        .value_kind:     global_buffer
      - .actual_access:  read_only
        .address_space:  global
        .offset:         8
        .size:           8
        .value_kind:     global_buffer
      - .actual_access:  read_only
        .address_space:  global
        .offset:         16
        .size:           8
        .value_kind:     global_buffer
      - .offset:         24
        .size:           4
        .value_kind:     by_value
      - .offset:         28
        .size:           4
        .value_kind:     by_value
      - .actual_access:  read_only
        .address_space:  global
        .offset:         32
        .size:           8
        .value_kind:     global_buffer
      - .actual_access:  read_only
        .address_space:  global
        .offset:         40
        .size:           8
        .value_kind:     global_buffer
      - .actual_access:  read_only
        .address_space:  global
        .offset:         48
        .size:           8
        .value_kind:     global_buffer
      - .offset:         56
        .size:           4
        .value_kind:     by_value
      - .actual_access:  read_only
        .address_space:  global
        .offset:         64
        .size:           8
        .value_kind:     global_buffer
      - .offset:         72
        .size:           4
        .value_kind:     by_value
      - .offset:         76
        .size:           4
        .value_kind:     by_value
      - .offset:         80
        .size:           4
        .value_kind:     by_value
      - .actual_access:  write_only
        .address_space:  global
        .offset:         88
        .size:           8
        .value_kind:     global_buffer
      - .actual_access:  write_only
        .address_space:  global
        .offset:         96
        .size:           8
        .value_kind:     global_buffer
      - .actual_access:  write_only
        .address_space:  global
        .offset:         104
        .size:           8
        .value_kind:     global_buffer
      - .actual_access:  read_only
        .address_space:  global
        .offset:         112
        .size:           8
        .value_kind:     global_buffer
      - .offset:         120
        .size:           4
        .value_kind:     by_value
      - .address_space:  global
        .offset:         128
        .size:           8
        .value_kind:     global_buffer
      - .address_space:  global
        .offset:         136
        .size:           8
        .value_kind:     global_buffer
      - .offset:         144
        .size:           4
        .value_kind:     hidden_block_count_x
      - .offset:         148
        .size:           4
        .value_kind:     hidden_block_count_y
      - .offset:         152
        .size:           4
        .value_kind:     hidden_block_count_z
      - .offset:         156
        .size:           2
        .value_kind:     hidden_group_size_x
      - .offset:         158
        .size:           2
        .value_kind:     hidden_group_size_y
      - .offset:         160
        .size:           2
        .value_kind:     hidden_group_size_z
      - .offset:         162
        .size:           2
        .value_kind:     hidden_remainder_x
      - .offset:         164
        .size:           2
        .value_kind:     hidden_remainder_y
      - .offset:         166
        .size:           2
        .value_kind:     hidden_remainder_z
      - .offset:         184
        .size:           8
        .value_kind:     hidden_global_offset_x
      - .offset:         192
        .size:           8
        .value_kind:     hidden_global_offset_y
      - .offset:         200
        .size:           8
        .value_kind:     hidden_global_offset_z
      - .offset:         208
        .size:           2
        .value_kind:     hidden_grid_dims
    .group_segment_fixed_size: 8192
    .kernarg_segment_align: 8
    .kernarg_segment_size: 400
    .language:       OpenCL C
    .language_version:
      - 2
      - 0
    .max_flat_workgroup_size: 256
    .name:           _Z39paged_attention_ll4mi_QKV_mfma16_kernelI14__hip_bfloat16hLN4vllm18Fp8KVCacheDataTypeE1EhLi16ELi64ELi256ELb1ELi12EEvPKT_PKT0_S8_ifPKiSA_SA_iPKfiiiPfSD_PS3_PT2_iSC_SC_
    .private_segment_fixed_size: 0
    .sgpr_count:     56
    .sgpr_spill_count: 0
    .symbol:         _Z39paged_attention_ll4mi_QKV_mfma16_kernelI14__hip_bfloat16hLN4vllm18Fp8KVCacheDataTypeE1EhLi16ELi64ELi256ELb1ELi12EEvPKT_PKT0_S8_ifPKiSA_SA_iPKfiiiPfSD_PS3_PT2_iSC_SC_.kd
    .uniform_work_group_size: 1
    .uses_dynamic_stack: false
    .vgpr_count:     67
    .vgpr_spill_count: 0
    .wavefront_size: 64
  - .agpr_count:     0
    .args:
      - .actual_access:  read_only
        .address_space:  global
        .offset:         0
        .size:           8
        .value_kind:     global_buffer
      - .actual_access:  read_only
        .address_space:  global
        .offset:         8
        .size:           8
        .value_kind:     global_buffer
      - .actual_access:  read_only
        .address_space:  global
        .offset:         16
        .size:           8
        .value_kind:     global_buffer
      - .offset:         24
        .size:           4
        .value_kind:     by_value
      - .offset:         28
        .size:           4
        .value_kind:     by_value
      - .actual_access:  read_only
        .address_space:  global
        .offset:         32
        .size:           8
        .value_kind:     global_buffer
      - .actual_access:  read_only
        .address_space:  global
        .offset:         40
        .size:           8
        .value_kind:     global_buffer
      - .actual_access:  read_only
        .address_space:  global
        .offset:         48
        .size:           8
        .value_kind:     global_buffer
      - .offset:         56
        .size:           4
        .value_kind:     by_value
      - .actual_access:  read_only
        .address_space:  global
        .offset:         64
        .size:           8
        .value_kind:     global_buffer
      - .offset:         72
        .size:           4
        .value_kind:     by_value
      - .offset:         76
        .size:           4
        .value_kind:     by_value
      - .offset:         80
        .size:           4
        .value_kind:     by_value
      - .actual_access:  write_only
        .address_space:  global
        .offset:         88
        .size:           8
        .value_kind:     global_buffer
      - .actual_access:  write_only
        .address_space:  global
        .offset:         96
        .size:           8
        .value_kind:     global_buffer
      - .actual_access:  write_only
        .address_space:  global
        .offset:         104
        .size:           8
        .value_kind:     global_buffer
      - .actual_access:  read_only
        .address_space:  global
        .offset:         112
        .size:           8
        .value_kind:     global_buffer
      - .offset:         120
        .size:           4
        .value_kind:     by_value
      - .address_space:  global
        .offset:         128
        .size:           8
        .value_kind:     global_buffer
      - .address_space:  global
        .offset:         136
        .size:           8
        .value_kind:     global_buffer
      - .offset:         144
        .size:           4
        .value_kind:     hidden_block_count_x
      - .offset:         148
        .size:           4
        .value_kind:     hidden_block_count_y
      - .offset:         152
        .size:           4
        .value_kind:     hidden_block_count_z
      - .offset:         156
        .size:           2
        .value_kind:     hidden_group_size_x
      - .offset:         158
        .size:           2
        .value_kind:     hidden_group_size_y
      - .offset:         160
        .size:           2
        .value_kind:     hidden_group_size_z
      - .offset:         162
        .size:           2
        .value_kind:     hidden_remainder_x
      - .offset:         164
        .size:           2
        .value_kind:     hidden_remainder_y
      - .offset:         166
        .size:           2
        .value_kind:     hidden_remainder_z
      - .offset:         184
        .size:           8
        .value_kind:     hidden_global_offset_x
      - .offset:         192
        .size:           8
        .value_kind:     hidden_global_offset_y
      - .offset:         200
        .size:           8
        .value_kind:     hidden_global_offset_z
      - .offset:         208
        .size:           2
        .value_kind:     hidden_grid_dims
    .group_segment_fixed_size: 8192
    .kernarg_segment_align: 8
    .kernarg_segment_size: 400
    .language:       OpenCL C
    .language_version:
      - 2
      - 0
    .max_flat_workgroup_size: 256
    .name:           _Z39paged_attention_ll4mi_QKV_mfma16_kernelI14__hip_bfloat16hLN4vllm18Fp8KVCacheDataTypeE1EhLi16ELi64ELi256ELb1ELi13EEvPKT_PKT0_S8_ifPKiSA_SA_iPKfiiiPfSD_PS3_PT2_iSC_SC_
    .private_segment_fixed_size: 0
    .sgpr_count:     56
    .sgpr_spill_count: 0
    .symbol:         _Z39paged_attention_ll4mi_QKV_mfma16_kernelI14__hip_bfloat16hLN4vllm18Fp8KVCacheDataTypeE1EhLi16ELi64ELi256ELb1ELi13EEvPKT_PKT0_S8_ifPKiSA_SA_iPKfiiiPfSD_PS3_PT2_iSC_SC_.kd
    .uniform_work_group_size: 1
    .uses_dynamic_stack: false
    .vgpr_count:     67
    .vgpr_spill_count: 0
    .wavefront_size: 64
  - .agpr_count:     0
    .args:
      - .actual_access:  read_only
        .address_space:  global
        .offset:         0
        .size:           8
        .value_kind:     global_buffer
      - .actual_access:  read_only
        .address_space:  global
        .offset:         8
        .size:           8
        .value_kind:     global_buffer
      - .actual_access:  read_only
        .address_space:  global
        .offset:         16
        .size:           8
        .value_kind:     global_buffer
      - .offset:         24
        .size:           4
        .value_kind:     by_value
      - .offset:         28
        .size:           4
        .value_kind:     by_value
      - .actual_access:  read_only
        .address_space:  global
        .offset:         32
        .size:           8
        .value_kind:     global_buffer
      - .actual_access:  read_only
        .address_space:  global
        .offset:         40
        .size:           8
        .value_kind:     global_buffer
      - .actual_access:  read_only
        .address_space:  global
        .offset:         48
        .size:           8
        .value_kind:     global_buffer
      - .offset:         56
        .size:           4
        .value_kind:     by_value
      - .actual_access:  read_only
        .address_space:  global
        .offset:         64
        .size:           8
        .value_kind:     global_buffer
      - .offset:         72
        .size:           4
        .value_kind:     by_value
      - .offset:         76
        .size:           4
        .value_kind:     by_value
      - .offset:         80
        .size:           4
        .value_kind:     by_value
      - .actual_access:  write_only
        .address_space:  global
        .offset:         88
        .size:           8
        .value_kind:     global_buffer
      - .actual_access:  write_only
        .address_space:  global
        .offset:         96
        .size:           8
        .value_kind:     global_buffer
      - .actual_access:  write_only
        .address_space:  global
        .offset:         104
        .size:           8
        .value_kind:     global_buffer
      - .actual_access:  read_only
        .address_space:  global
        .offset:         112
        .size:           8
        .value_kind:     global_buffer
      - .offset:         120
        .size:           4
        .value_kind:     by_value
      - .address_space:  global
        .offset:         128
        .size:           8
        .value_kind:     global_buffer
      - .address_space:  global
        .offset:         136
        .size:           8
        .value_kind:     global_buffer
      - .offset:         144
        .size:           4
        .value_kind:     hidden_block_count_x
      - .offset:         148
        .size:           4
        .value_kind:     hidden_block_count_y
      - .offset:         152
        .size:           4
        .value_kind:     hidden_block_count_z
      - .offset:         156
        .size:           2
        .value_kind:     hidden_group_size_x
      - .offset:         158
        .size:           2
        .value_kind:     hidden_group_size_y
      - .offset:         160
        .size:           2
        .value_kind:     hidden_group_size_z
      - .offset:         162
        .size:           2
        .value_kind:     hidden_remainder_x
      - .offset:         164
        .size:           2
        .value_kind:     hidden_remainder_y
      - .offset:         166
        .size:           2
        .value_kind:     hidden_remainder_z
      - .offset:         184
        .size:           8
        .value_kind:     hidden_global_offset_x
      - .offset:         192
        .size:           8
        .value_kind:     hidden_global_offset_y
      - .offset:         200
        .size:           8
        .value_kind:     hidden_global_offset_z
      - .offset:         208
        .size:           2
        .value_kind:     hidden_grid_dims
    .group_segment_fixed_size: 8192
    .kernarg_segment_align: 8
    .kernarg_segment_size: 400
    .language:       OpenCL C
    .language_version:
      - 2
      - 0
    .max_flat_workgroup_size: 256
    .name:           _Z39paged_attention_ll4mi_QKV_mfma16_kernelI14__hip_bfloat16hLN4vllm18Fp8KVCacheDataTypeE1EhLi16ELi64ELi256ELb1ELi14EEvPKT_PKT0_S8_ifPKiSA_SA_iPKfiiiPfSD_PS3_PT2_iSC_SC_
    .private_segment_fixed_size: 0
    .sgpr_count:     56
    .sgpr_spill_count: 0
    .symbol:         _Z39paged_attention_ll4mi_QKV_mfma16_kernelI14__hip_bfloat16hLN4vllm18Fp8KVCacheDataTypeE1EhLi16ELi64ELi256ELb1ELi14EEvPKT_PKT0_S8_ifPKiSA_SA_iPKfiiiPfSD_PS3_PT2_iSC_SC_.kd
    .uniform_work_group_size: 1
    .uses_dynamic_stack: false
    .vgpr_count:     67
    .vgpr_spill_count: 0
    .wavefront_size: 64
  - .agpr_count:     0
    .args:
      - .actual_access:  read_only
        .address_space:  global
        .offset:         0
        .size:           8
        .value_kind:     global_buffer
      - .actual_access:  read_only
        .address_space:  global
        .offset:         8
        .size:           8
        .value_kind:     global_buffer
      - .actual_access:  read_only
        .address_space:  global
        .offset:         16
        .size:           8
        .value_kind:     global_buffer
      - .offset:         24
        .size:           4
        .value_kind:     by_value
      - .offset:         28
        .size:           4
        .value_kind:     by_value
      - .actual_access:  read_only
        .address_space:  global
        .offset:         32
        .size:           8
        .value_kind:     global_buffer
      - .actual_access:  read_only
        .address_space:  global
        .offset:         40
        .size:           8
        .value_kind:     global_buffer
      - .actual_access:  read_only
        .address_space:  global
        .offset:         48
        .size:           8
        .value_kind:     global_buffer
      - .offset:         56
        .size:           4
        .value_kind:     by_value
      - .actual_access:  read_only
        .address_space:  global
        .offset:         64
        .size:           8
        .value_kind:     global_buffer
      - .offset:         72
        .size:           4
        .value_kind:     by_value
      - .offset:         76
        .size:           4
        .value_kind:     by_value
      - .offset:         80
        .size:           4
        .value_kind:     by_value
      - .actual_access:  write_only
        .address_space:  global
        .offset:         88
        .size:           8
        .value_kind:     global_buffer
      - .actual_access:  write_only
        .address_space:  global
        .offset:         96
        .size:           8
        .value_kind:     global_buffer
      - .actual_access:  write_only
        .address_space:  global
        .offset:         104
        .size:           8
        .value_kind:     global_buffer
      - .actual_access:  read_only
        .address_space:  global
        .offset:         112
        .size:           8
        .value_kind:     global_buffer
      - .offset:         120
        .size:           4
        .value_kind:     by_value
      - .address_space:  global
        .offset:         128
        .size:           8
        .value_kind:     global_buffer
      - .address_space:  global
        .offset:         136
        .size:           8
        .value_kind:     global_buffer
      - .offset:         144
        .size:           4
        .value_kind:     hidden_block_count_x
      - .offset:         148
        .size:           4
        .value_kind:     hidden_block_count_y
      - .offset:         152
        .size:           4
        .value_kind:     hidden_block_count_z
      - .offset:         156
        .size:           2
        .value_kind:     hidden_group_size_x
      - .offset:         158
        .size:           2
        .value_kind:     hidden_group_size_y
      - .offset:         160
        .size:           2
        .value_kind:     hidden_group_size_z
      - .offset:         162
        .size:           2
        .value_kind:     hidden_remainder_x
      - .offset:         164
        .size:           2
        .value_kind:     hidden_remainder_y
      - .offset:         166
        .size:           2
        .value_kind:     hidden_remainder_z
      - .offset:         184
        .size:           8
        .value_kind:     hidden_global_offset_x
      - .offset:         192
        .size:           8
        .value_kind:     hidden_global_offset_y
      - .offset:         200
        .size:           8
        .value_kind:     hidden_global_offset_z
      - .offset:         208
        .size:           2
        .value_kind:     hidden_grid_dims
    .group_segment_fixed_size: 8192
    .kernarg_segment_align: 8
    .kernarg_segment_size: 400
    .language:       OpenCL C
    .language_version:
      - 2
      - 0
    .max_flat_workgroup_size: 256
    .name:           _Z39paged_attention_ll4mi_QKV_mfma16_kernelI14__hip_bfloat16hLN4vllm18Fp8KVCacheDataTypeE1EhLi16ELi64ELi256ELb1ELi15EEvPKT_PKT0_S8_ifPKiSA_SA_iPKfiiiPfSD_PS3_PT2_iSC_SC_
    .private_segment_fixed_size: 0
    .sgpr_count:     56
    .sgpr_spill_count: 0
    .symbol:         _Z39paged_attention_ll4mi_QKV_mfma16_kernelI14__hip_bfloat16hLN4vllm18Fp8KVCacheDataTypeE1EhLi16ELi64ELi256ELb1ELi15EEvPKT_PKT0_S8_ifPKiSA_SA_iPKfiiiPfSD_PS3_PT2_iSC_SC_.kd
    .uniform_work_group_size: 1
    .uses_dynamic_stack: false
    .vgpr_count:     67
    .vgpr_spill_count: 0
    .wavefront_size: 64
  - .agpr_count:     0
    .args:
      - .actual_access:  read_only
        .address_space:  global
        .offset:         0
        .size:           8
        .value_kind:     global_buffer
      - .actual_access:  read_only
        .address_space:  global
        .offset:         8
        .size:           8
        .value_kind:     global_buffer
      - .actual_access:  read_only
        .address_space:  global
        .offset:         16
        .size:           8
        .value_kind:     global_buffer
      - .offset:         24
        .size:           4
        .value_kind:     by_value
      - .offset:         28
        .size:           4
        .value_kind:     by_value
      - .actual_access:  read_only
        .address_space:  global
        .offset:         32
        .size:           8
        .value_kind:     global_buffer
      - .actual_access:  read_only
        .address_space:  global
        .offset:         40
        .size:           8
        .value_kind:     global_buffer
      - .actual_access:  read_only
        .address_space:  global
        .offset:         48
        .size:           8
        .value_kind:     global_buffer
      - .offset:         56
        .size:           4
        .value_kind:     by_value
      - .actual_access:  read_only
        .address_space:  global
        .offset:         64
        .size:           8
        .value_kind:     global_buffer
      - .offset:         72
        .size:           4
        .value_kind:     by_value
      - .offset:         76
        .size:           4
        .value_kind:     by_value
      - .offset:         80
        .size:           4
        .value_kind:     by_value
      - .actual_access:  write_only
        .address_space:  global
        .offset:         88
        .size:           8
        .value_kind:     global_buffer
      - .actual_access:  write_only
        .address_space:  global
        .offset:         96
        .size:           8
        .value_kind:     global_buffer
      - .actual_access:  write_only
        .address_space:  global
        .offset:         104
        .size:           8
        .value_kind:     global_buffer
      - .actual_access:  read_only
        .address_space:  global
        .offset:         112
        .size:           8
        .value_kind:     global_buffer
      - .offset:         120
        .size:           4
        .value_kind:     by_value
      - .address_space:  global
        .offset:         128
        .size:           8
        .value_kind:     global_buffer
      - .address_space:  global
        .offset:         136
        .size:           8
        .value_kind:     global_buffer
      - .offset:         144
        .size:           4
        .value_kind:     hidden_block_count_x
      - .offset:         148
        .size:           4
        .value_kind:     hidden_block_count_y
      - .offset:         152
        .size:           4
        .value_kind:     hidden_block_count_z
      - .offset:         156
        .size:           2
        .value_kind:     hidden_group_size_x
      - .offset:         158
        .size:           2
        .value_kind:     hidden_group_size_y
      - .offset:         160
        .size:           2
        .value_kind:     hidden_group_size_z
      - .offset:         162
        .size:           2
        .value_kind:     hidden_remainder_x
      - .offset:         164
        .size:           2
        .value_kind:     hidden_remainder_y
      - .offset:         166
        .size:           2
        .value_kind:     hidden_remainder_z
      - .offset:         184
        .size:           8
        .value_kind:     hidden_global_offset_x
      - .offset:         192
        .size:           8
        .value_kind:     hidden_global_offset_y
      - .offset:         200
        .size:           8
        .value_kind:     hidden_global_offset_z
      - .offset:         208
        .size:           2
        .value_kind:     hidden_grid_dims
    .group_segment_fixed_size: 8192
    .kernarg_segment_align: 8
    .kernarg_segment_size: 400
    .language:       OpenCL C
    .language_version:
      - 2
      - 0
    .max_flat_workgroup_size: 256
    .name:           _Z39paged_attention_ll4mi_QKV_mfma16_kernelI14__hip_bfloat16hLN4vllm18Fp8KVCacheDataTypeE1EhLi16ELi64ELi256ELb1ELi16EEvPKT_PKT0_S8_ifPKiSA_SA_iPKfiiiPfSD_PS3_PT2_iSC_SC_
    .private_segment_fixed_size: 0
    .sgpr_count:     55
    .sgpr_spill_count: 0
    .symbol:         _Z39paged_attention_ll4mi_QKV_mfma16_kernelI14__hip_bfloat16hLN4vllm18Fp8KVCacheDataTypeE1EhLi16ELi64ELi256ELb1ELi16EEvPKT_PKT0_S8_ifPKiSA_SA_iPKfiiiPfSD_PS3_PT2_iSC_SC_.kd
    .uniform_work_group_size: 1
    .uses_dynamic_stack: false
    .vgpr_count:     62
    .vgpr_spill_count: 0
    .wavefront_size: 64
  - .agpr_count:     0
    .args:
      - .actual_access:  read_only
        .address_space:  global
        .offset:         0
        .size:           8
        .value_kind:     global_buffer
      - .actual_access:  read_only
        .address_space:  global
        .offset:         8
        .size:           8
        .value_kind:     global_buffer
      - .actual_access:  read_only
        .address_space:  global
        .offset:         16
        .size:           8
        .value_kind:     global_buffer
      - .offset:         24
        .size:           4
        .value_kind:     by_value
      - .offset:         28
        .size:           4
        .value_kind:     by_value
      - .actual_access:  read_only
        .address_space:  global
        .offset:         32
        .size:           8
        .value_kind:     global_buffer
      - .actual_access:  read_only
        .address_space:  global
        .offset:         40
        .size:           8
        .value_kind:     global_buffer
      - .actual_access:  read_only
        .address_space:  global
        .offset:         48
        .size:           8
        .value_kind:     global_buffer
      - .offset:         56
        .size:           4
        .value_kind:     by_value
      - .actual_access:  read_only
        .address_space:  global
        .offset:         64
        .size:           8
        .value_kind:     global_buffer
      - .offset:         72
        .size:           4
        .value_kind:     by_value
      - .offset:         76
        .size:           4
        .value_kind:     by_value
      - .offset:         80
        .size:           4
        .value_kind:     by_value
      - .actual_access:  write_only
        .address_space:  global
        .offset:         88
        .size:           8
        .value_kind:     global_buffer
      - .actual_access:  write_only
        .address_space:  global
        .offset:         96
        .size:           8
        .value_kind:     global_buffer
      - .actual_access:  write_only
        .address_space:  global
        .offset:         104
        .size:           8
        .value_kind:     global_buffer
      - .actual_access:  read_only
        .address_space:  global
        .offset:         112
        .size:           8
        .value_kind:     global_buffer
      - .offset:         120
        .size:           4
        .value_kind:     by_value
      - .address_space:  global
        .offset:         128
        .size:           8
        .value_kind:     global_buffer
      - .address_space:  global
        .offset:         136
        .size:           8
        .value_kind:     global_buffer
      - .offset:         144
        .size:           4
        .value_kind:     hidden_block_count_x
      - .offset:         148
        .size:           4
        .value_kind:     hidden_block_count_y
      - .offset:         152
        .size:           4
        .value_kind:     hidden_block_count_z
      - .offset:         156
        .size:           2
        .value_kind:     hidden_group_size_x
      - .offset:         158
        .size:           2
        .value_kind:     hidden_group_size_y
      - .offset:         160
        .size:           2
        .value_kind:     hidden_group_size_z
      - .offset:         162
        .size:           2
        .value_kind:     hidden_remainder_x
      - .offset:         164
        .size:           2
        .value_kind:     hidden_remainder_y
      - .offset:         166
        .size:           2
        .value_kind:     hidden_remainder_z
      - .offset:         184
        .size:           8
        .value_kind:     hidden_global_offset_x
      - .offset:         192
        .size:           8
        .value_kind:     hidden_global_offset_y
      - .offset:         200
        .size:           8
        .value_kind:     hidden_global_offset_z
      - .offset:         208
        .size:           2
        .value_kind:     hidden_grid_dims
    .group_segment_fixed_size: 8192
    .kernarg_segment_align: 8
    .kernarg_segment_size: 400
    .language:       OpenCL C
    .language_version:
      - 2
      - 0
    .max_flat_workgroup_size: 256
    .name:           _Z39paged_attention_ll4mi_QKV_mfma16_kernelI14__hip_bfloat16hLN4vllm18Fp8KVCacheDataTypeE1EhLi16ELi64ELi256ELb1ELi1EEvPKT_PKT0_S8_ifPKiSA_SA_iPKfiiiPfSD_PS3_PT2_iSC_SC_
    .private_segment_fixed_size: 0
    .sgpr_count:     58
    .sgpr_spill_count: 0
    .symbol:         _Z39paged_attention_ll4mi_QKV_mfma16_kernelI14__hip_bfloat16hLN4vllm18Fp8KVCacheDataTypeE1EhLi16ELi64ELi256ELb1ELi1EEvPKT_PKT0_S8_ifPKiSA_SA_iPKfiiiPfSD_PS3_PT2_iSC_SC_.kd
    .uniform_work_group_size: 1
    .uses_dynamic_stack: false
    .vgpr_count:     74
    .vgpr_spill_count: 0
    .wavefront_size: 64
  - .agpr_count:     0
    .args:
      - .actual_access:  read_only
        .address_space:  global
        .offset:         0
        .size:           8
        .value_kind:     global_buffer
      - .actual_access:  read_only
        .address_space:  global
        .offset:         8
        .size:           8
        .value_kind:     global_buffer
      - .actual_access:  read_only
        .address_space:  global
        .offset:         16
        .size:           8
        .value_kind:     global_buffer
      - .offset:         24
        .size:           4
        .value_kind:     by_value
      - .offset:         28
        .size:           4
        .value_kind:     by_value
      - .actual_access:  read_only
        .address_space:  global
        .offset:         32
        .size:           8
        .value_kind:     global_buffer
      - .actual_access:  read_only
        .address_space:  global
        .offset:         40
        .size:           8
        .value_kind:     global_buffer
      - .actual_access:  read_only
        .address_space:  global
        .offset:         48
        .size:           8
        .value_kind:     global_buffer
      - .offset:         56
        .size:           4
        .value_kind:     by_value
      - .actual_access:  read_only
        .address_space:  global
        .offset:         64
        .size:           8
        .value_kind:     global_buffer
      - .offset:         72
        .size:           4
        .value_kind:     by_value
      - .offset:         76
        .size:           4
        .value_kind:     by_value
      - .offset:         80
        .size:           4
        .value_kind:     by_value
      - .actual_access:  write_only
        .address_space:  global
        .offset:         88
        .size:           8
        .value_kind:     global_buffer
      - .actual_access:  write_only
        .address_space:  global
        .offset:         96
        .size:           8
        .value_kind:     global_buffer
      - .actual_access:  write_only
        .address_space:  global
        .offset:         104
        .size:           8
        .value_kind:     global_buffer
      - .actual_access:  read_only
        .address_space:  global
        .offset:         112
        .size:           8
        .value_kind:     global_buffer
      - .offset:         120
        .size:           4
        .value_kind:     by_value
      - .address_space:  global
        .offset:         128
        .size:           8
        .value_kind:     global_buffer
      - .address_space:  global
        .offset:         136
        .size:           8
        .value_kind:     global_buffer
      - .offset:         144
        .size:           4
        .value_kind:     hidden_block_count_x
      - .offset:         148
        .size:           4
        .value_kind:     hidden_block_count_y
      - .offset:         152
        .size:           4
        .value_kind:     hidden_block_count_z
      - .offset:         156
        .size:           2
        .value_kind:     hidden_group_size_x
      - .offset:         158
        .size:           2
        .value_kind:     hidden_group_size_y
      - .offset:         160
        .size:           2
        .value_kind:     hidden_group_size_z
      - .offset:         162
        .size:           2
        .value_kind:     hidden_remainder_x
      - .offset:         164
        .size:           2
        .value_kind:     hidden_remainder_y
      - .offset:         166
        .size:           2
        .value_kind:     hidden_remainder_z
      - .offset:         184
        .size:           8
        .value_kind:     hidden_global_offset_x
      - .offset:         192
        .size:           8
        .value_kind:     hidden_global_offset_y
      - .offset:         200
        .size:           8
        .value_kind:     hidden_global_offset_z
      - .offset:         208
        .size:           2
        .value_kind:     hidden_grid_dims
    .group_segment_fixed_size: 8192
    .kernarg_segment_align: 8
    .kernarg_segment_size: 400
    .language:       OpenCL C
    .language_version:
      - 2
      - 0
    .max_flat_workgroup_size: 256
    .name:           _Z39paged_attention_ll4mi_QKV_mfma16_kernelI14__hip_bfloat16hLN4vllm18Fp8KVCacheDataTypeE1EhLi16ELi64ELi256ELb1ELi2EEvPKT_PKT0_S8_ifPKiSA_SA_iPKfiiiPfSD_PS3_PT2_iSC_SC_
    .private_segment_fixed_size: 0
    .sgpr_count:     54
    .sgpr_spill_count: 0
    .symbol:         _Z39paged_attention_ll4mi_QKV_mfma16_kernelI14__hip_bfloat16hLN4vllm18Fp8KVCacheDataTypeE1EhLi16ELi64ELi256ELb1ELi2EEvPKT_PKT0_S8_ifPKiSA_SA_iPKfiiiPfSD_PS3_PT2_iSC_SC_.kd
    .uniform_work_group_size: 1
    .uses_dynamic_stack: false
    .vgpr_count:     70
    .vgpr_spill_count: 0
    .wavefront_size: 64
  - .agpr_count:     0
    .args:
      - .actual_access:  read_only
        .address_space:  global
        .offset:         0
        .size:           8
        .value_kind:     global_buffer
      - .actual_access:  read_only
        .address_space:  global
        .offset:         8
        .size:           8
        .value_kind:     global_buffer
      - .actual_access:  read_only
        .address_space:  global
        .offset:         16
        .size:           8
        .value_kind:     global_buffer
      - .offset:         24
        .size:           4
        .value_kind:     by_value
      - .offset:         28
        .size:           4
        .value_kind:     by_value
      - .actual_access:  read_only
        .address_space:  global
        .offset:         32
        .size:           8
        .value_kind:     global_buffer
      - .actual_access:  read_only
        .address_space:  global
        .offset:         40
        .size:           8
        .value_kind:     global_buffer
      - .actual_access:  read_only
        .address_space:  global
        .offset:         48
        .size:           8
        .value_kind:     global_buffer
      - .offset:         56
        .size:           4
        .value_kind:     by_value
      - .actual_access:  read_only
        .address_space:  global
        .offset:         64
        .size:           8
        .value_kind:     global_buffer
      - .offset:         72
        .size:           4
        .value_kind:     by_value
      - .offset:         76
        .size:           4
        .value_kind:     by_value
      - .offset:         80
        .size:           4
        .value_kind:     by_value
      - .actual_access:  write_only
        .address_space:  global
        .offset:         88
        .size:           8
        .value_kind:     global_buffer
      - .actual_access:  write_only
        .address_space:  global
        .offset:         96
        .size:           8
        .value_kind:     global_buffer
      - .actual_access:  write_only
        .address_space:  global
        .offset:         104
        .size:           8
        .value_kind:     global_buffer
      - .actual_access:  read_only
        .address_space:  global
        .offset:         112
        .size:           8
        .value_kind:     global_buffer
      - .offset:         120
        .size:           4
        .value_kind:     by_value
      - .address_space:  global
        .offset:         128
        .size:           8
        .value_kind:     global_buffer
      - .address_space:  global
        .offset:         136
        .size:           8
        .value_kind:     global_buffer
      - .offset:         144
        .size:           4
        .value_kind:     hidden_block_count_x
      - .offset:         148
        .size:           4
        .value_kind:     hidden_block_count_y
      - .offset:         152
        .size:           4
        .value_kind:     hidden_block_count_z
      - .offset:         156
        .size:           2
        .value_kind:     hidden_group_size_x
      - .offset:         158
        .size:           2
        .value_kind:     hidden_group_size_y
      - .offset:         160
        .size:           2
        .value_kind:     hidden_group_size_z
      - .offset:         162
        .size:           2
        .value_kind:     hidden_remainder_x
      - .offset:         164
        .size:           2
        .value_kind:     hidden_remainder_y
      - .offset:         166
        .size:           2
        .value_kind:     hidden_remainder_z
      - .offset:         184
        .size:           8
        .value_kind:     hidden_global_offset_x
      - .offset:         192
        .size:           8
        .value_kind:     hidden_global_offset_y
      - .offset:         200
        .size:           8
        .value_kind:     hidden_global_offset_z
      - .offset:         208
        .size:           2
        .value_kind:     hidden_grid_dims
    .group_segment_fixed_size: 8192
    .kernarg_segment_align: 8
    .kernarg_segment_size: 400
    .language:       OpenCL C
    .language_version:
      - 2
      - 0
    .max_flat_workgroup_size: 256
    .name:           _Z39paged_attention_ll4mi_QKV_mfma16_kernelI14__hip_bfloat16hLN4vllm18Fp8KVCacheDataTypeE1EhLi16ELi64ELi256ELb1ELi3EEvPKT_PKT0_S8_ifPKiSA_SA_iPKfiiiPfSD_PS3_PT2_iSC_SC_
    .private_segment_fixed_size: 0
    .sgpr_count:     56
    .sgpr_spill_count: 0
    .symbol:         _Z39paged_attention_ll4mi_QKV_mfma16_kernelI14__hip_bfloat16hLN4vllm18Fp8KVCacheDataTypeE1EhLi16ELi64ELi256ELb1ELi3EEvPKT_PKT0_S8_ifPKiSA_SA_iPKfiiiPfSD_PS3_PT2_iSC_SC_.kd
    .uniform_work_group_size: 1
    .uses_dynamic_stack: false
    .vgpr_count:     68
    .vgpr_spill_count: 0
    .wavefront_size: 64
  - .agpr_count:     0
    .args:
      - .actual_access:  read_only
        .address_space:  global
        .offset:         0
        .size:           8
        .value_kind:     global_buffer
      - .actual_access:  read_only
        .address_space:  global
        .offset:         8
        .size:           8
        .value_kind:     global_buffer
      - .actual_access:  read_only
        .address_space:  global
        .offset:         16
        .size:           8
        .value_kind:     global_buffer
      - .offset:         24
        .size:           4
        .value_kind:     by_value
      - .offset:         28
        .size:           4
        .value_kind:     by_value
      - .actual_access:  read_only
        .address_space:  global
        .offset:         32
        .size:           8
        .value_kind:     global_buffer
      - .actual_access:  read_only
        .address_space:  global
        .offset:         40
        .size:           8
        .value_kind:     global_buffer
      - .actual_access:  read_only
        .address_space:  global
        .offset:         48
        .size:           8
        .value_kind:     global_buffer
      - .offset:         56
        .size:           4
        .value_kind:     by_value
      - .actual_access:  read_only
        .address_space:  global
        .offset:         64
        .size:           8
        .value_kind:     global_buffer
      - .offset:         72
        .size:           4
        .value_kind:     by_value
      - .offset:         76
        .size:           4
        .value_kind:     by_value
      - .offset:         80
        .size:           4
        .value_kind:     by_value
      - .actual_access:  write_only
        .address_space:  global
        .offset:         88
        .size:           8
        .value_kind:     global_buffer
      - .actual_access:  write_only
        .address_space:  global
        .offset:         96
        .size:           8
        .value_kind:     global_buffer
      - .actual_access:  write_only
        .address_space:  global
        .offset:         104
        .size:           8
        .value_kind:     global_buffer
      - .actual_access:  read_only
        .address_space:  global
        .offset:         112
        .size:           8
        .value_kind:     global_buffer
      - .offset:         120
        .size:           4
        .value_kind:     by_value
      - .address_space:  global
        .offset:         128
        .size:           8
        .value_kind:     global_buffer
      - .address_space:  global
        .offset:         136
        .size:           8
        .value_kind:     global_buffer
      - .offset:         144
        .size:           4
        .value_kind:     hidden_block_count_x
      - .offset:         148
        .size:           4
        .value_kind:     hidden_block_count_y
      - .offset:         152
        .size:           4
        .value_kind:     hidden_block_count_z
      - .offset:         156
        .size:           2
        .value_kind:     hidden_group_size_x
      - .offset:         158
        .size:           2
        .value_kind:     hidden_group_size_y
      - .offset:         160
        .size:           2
        .value_kind:     hidden_group_size_z
      - .offset:         162
        .size:           2
        .value_kind:     hidden_remainder_x
      - .offset:         164
        .size:           2
        .value_kind:     hidden_remainder_y
      - .offset:         166
        .size:           2
        .value_kind:     hidden_remainder_z
      - .offset:         184
        .size:           8
        .value_kind:     hidden_global_offset_x
      - .offset:         192
        .size:           8
        .value_kind:     hidden_global_offset_y
      - .offset:         200
        .size:           8
        .value_kind:     hidden_global_offset_z
      - .offset:         208
        .size:           2
        .value_kind:     hidden_grid_dims
    .group_segment_fixed_size: 8192
    .kernarg_segment_align: 8
    .kernarg_segment_size: 400
    .language:       OpenCL C
    .language_version:
      - 2
      - 0
    .max_flat_workgroup_size: 256
    .name:           _Z39paged_attention_ll4mi_QKV_mfma16_kernelI14__hip_bfloat16hLN4vllm18Fp8KVCacheDataTypeE1EhLi16ELi64ELi256ELb1ELi4EEvPKT_PKT0_S8_ifPKiSA_SA_iPKfiiiPfSD_PS3_PT2_iSC_SC_
    .private_segment_fixed_size: 0
    .sgpr_count:     56
    .sgpr_spill_count: 0
    .symbol:         _Z39paged_attention_ll4mi_QKV_mfma16_kernelI14__hip_bfloat16hLN4vllm18Fp8KVCacheDataTypeE1EhLi16ELi64ELi256ELb1ELi4EEvPKT_PKT0_S8_ifPKiSA_SA_iPKfiiiPfSD_PS3_PT2_iSC_SC_.kd
    .uniform_work_group_size: 1
    .uses_dynamic_stack: false
    .vgpr_count:     78
    .vgpr_spill_count: 0
    .wavefront_size: 64
  - .agpr_count:     4
    .args:
      - .actual_access:  read_only
        .address_space:  global
        .offset:         0
        .size:           8
        .value_kind:     global_buffer
      - .actual_access:  read_only
        .address_space:  global
        .offset:         8
        .size:           8
        .value_kind:     global_buffer
      - .actual_access:  read_only
        .address_space:  global
        .offset:         16
        .size:           8
        .value_kind:     global_buffer
      - .offset:         24
        .size:           4
        .value_kind:     by_value
      - .offset:         28
        .size:           4
        .value_kind:     by_value
      - .actual_access:  read_only
        .address_space:  global
        .offset:         32
        .size:           8
        .value_kind:     global_buffer
      - .actual_access:  read_only
        .address_space:  global
        .offset:         40
        .size:           8
        .value_kind:     global_buffer
      - .actual_access:  read_only
        .address_space:  global
        .offset:         48
        .size:           8
        .value_kind:     global_buffer
      - .offset:         56
        .size:           4
        .value_kind:     by_value
      - .actual_access:  read_only
        .address_space:  global
        .offset:         64
        .size:           8
        .value_kind:     global_buffer
      - .offset:         72
        .size:           4
        .value_kind:     by_value
      - .offset:         76
        .size:           4
        .value_kind:     by_value
      - .offset:         80
        .size:           4
        .value_kind:     by_value
      - .actual_access:  write_only
        .address_space:  global
        .offset:         88
        .size:           8
        .value_kind:     global_buffer
      - .actual_access:  write_only
        .address_space:  global
        .offset:         96
        .size:           8
        .value_kind:     global_buffer
      - .actual_access:  write_only
        .address_space:  global
        .offset:         104
        .size:           8
        .value_kind:     global_buffer
      - .actual_access:  read_only
        .address_space:  global
        .offset:         112
        .size:           8
        .value_kind:     global_buffer
      - .offset:         120
        .size:           4
        .value_kind:     by_value
      - .address_space:  global
        .offset:         128
        .size:           8
        .value_kind:     global_buffer
      - .address_space:  global
        .offset:         136
        .size:           8
        .value_kind:     global_buffer
      - .offset:         144
        .size:           4
        .value_kind:     hidden_block_count_x
      - .offset:         148
        .size:           4
        .value_kind:     hidden_block_count_y
      - .offset:         152
        .size:           4
        .value_kind:     hidden_block_count_z
      - .offset:         156
        .size:           2
        .value_kind:     hidden_group_size_x
      - .offset:         158
        .size:           2
        .value_kind:     hidden_group_size_y
      - .offset:         160
        .size:           2
        .value_kind:     hidden_group_size_z
      - .offset:         162
        .size:           2
        .value_kind:     hidden_remainder_x
      - .offset:         164
        .size:           2
        .value_kind:     hidden_remainder_y
      - .offset:         166
        .size:           2
        .value_kind:     hidden_remainder_z
      - .offset:         184
        .size:           8
        .value_kind:     hidden_global_offset_x
      - .offset:         192
        .size:           8
        .value_kind:     hidden_global_offset_y
      - .offset:         200
        .size:           8
        .value_kind:     hidden_global_offset_z
      - .offset:         208
        .size:           2
        .value_kind:     hidden_grid_dims
    .group_segment_fixed_size: 2720
    .kernarg_segment_align: 8
    .kernarg_segment_size: 400
    .language:       OpenCL C
    .language_version:
      - 2
      - 0
    .max_flat_workgroup_size: 256
    .name:           _Z38paged_attention_ll4mi_QKV_mfma4_kernelI14__hip_bfloat16hLN4vllm18Fp8KVCacheDataTypeE1EhLi16ELi64ELi256ELb0ELi1EEvPKT_PKT0_S8_ifPKiSA_SA_iPKfiiiPfSD_PS3_PT2_iSC_SC_
    .private_segment_fixed_size: 0
    .sgpr_count:     48
    .sgpr_spill_count: 0
    .symbol:         _Z38paged_attention_ll4mi_QKV_mfma4_kernelI14__hip_bfloat16hLN4vllm18Fp8KVCacheDataTypeE1EhLi16ELi64ELi256ELb0ELi1EEvPKT_PKT0_S8_ifPKiSA_SA_iPKfiiiPfSD_PS3_PT2_iSC_SC_.kd
    .uniform_work_group_size: 1
    .uses_dynamic_stack: false
    .vgpr_count:     80
    .vgpr_spill_count: 0
    .wavefront_size: 64
  - .agpr_count:     4
    .args:
      - .actual_access:  read_only
        .address_space:  global
        .offset:         0
        .size:           8
        .value_kind:     global_buffer
      - .actual_access:  read_only
        .address_space:  global
        .offset:         8
        .size:           8
        .value_kind:     global_buffer
      - .actual_access:  read_only
        .address_space:  global
        .offset:         16
        .size:           8
        .value_kind:     global_buffer
      - .offset:         24
        .size:           4
        .value_kind:     by_value
      - .offset:         28
        .size:           4
        .value_kind:     by_value
      - .actual_access:  read_only
        .address_space:  global
        .offset:         32
        .size:           8
        .value_kind:     global_buffer
      - .actual_access:  read_only
        .address_space:  global
        .offset:         40
        .size:           8
        .value_kind:     global_buffer
      - .actual_access:  read_only
        .address_space:  global
        .offset:         48
        .size:           8
        .value_kind:     global_buffer
      - .offset:         56
        .size:           4
        .value_kind:     by_value
      - .actual_access:  read_only
        .address_space:  global
        .offset:         64
        .size:           8
        .value_kind:     global_buffer
      - .offset:         72
        .size:           4
        .value_kind:     by_value
      - .offset:         76
        .size:           4
        .value_kind:     by_value
      - .offset:         80
        .size:           4
        .value_kind:     by_value
      - .actual_access:  write_only
        .address_space:  global
        .offset:         88
        .size:           8
        .value_kind:     global_buffer
      - .actual_access:  write_only
        .address_space:  global
        .offset:         96
        .size:           8
        .value_kind:     global_buffer
      - .actual_access:  write_only
        .address_space:  global
        .offset:         104
        .size:           8
        .value_kind:     global_buffer
      - .actual_access:  read_only
        .address_space:  global
        .offset:         112
        .size:           8
        .value_kind:     global_buffer
      - .offset:         120
        .size:           4
        .value_kind:     by_value
      - .address_space:  global
        .offset:         128
        .size:           8
        .value_kind:     global_buffer
      - .address_space:  global
        .offset:         136
        .size:           8
        .value_kind:     global_buffer
      - .offset:         144
        .size:           4
        .value_kind:     hidden_block_count_x
      - .offset:         148
        .size:           4
        .value_kind:     hidden_block_count_y
      - .offset:         152
        .size:           4
        .value_kind:     hidden_block_count_z
      - .offset:         156
        .size:           2
        .value_kind:     hidden_group_size_x
      - .offset:         158
        .size:           2
        .value_kind:     hidden_group_size_y
      - .offset:         160
        .size:           2
        .value_kind:     hidden_group_size_z
      - .offset:         162
        .size:           2
        .value_kind:     hidden_remainder_x
      - .offset:         164
        .size:           2
        .value_kind:     hidden_remainder_y
      - .offset:         166
        .size:           2
        .value_kind:     hidden_remainder_z
      - .offset:         184
        .size:           8
        .value_kind:     hidden_global_offset_x
      - .offset:         192
        .size:           8
        .value_kind:     hidden_global_offset_y
      - .offset:         200
        .size:           8
        .value_kind:     hidden_global_offset_z
      - .offset:         208
        .size:           2
        .value_kind:     hidden_grid_dims
    .group_segment_fixed_size: 2720
    .kernarg_segment_align: 8
    .kernarg_segment_size: 400
    .language:       OpenCL C
    .language_version:
      - 2
      - 0
    .max_flat_workgroup_size: 256
    .name:           _Z38paged_attention_ll4mi_QKV_mfma4_kernelI14__hip_bfloat16hLN4vllm18Fp8KVCacheDataTypeE1EhLi16ELi64ELi256ELb0ELi2EEvPKT_PKT0_S8_ifPKiSA_SA_iPKfiiiPfSD_PS3_PT2_iSC_SC_
    .private_segment_fixed_size: 0
    .sgpr_count:     48
    .sgpr_spill_count: 0
    .symbol:         _Z38paged_attention_ll4mi_QKV_mfma4_kernelI14__hip_bfloat16hLN4vllm18Fp8KVCacheDataTypeE1EhLi16ELi64ELi256ELb0ELi2EEvPKT_PKT0_S8_ifPKiSA_SA_iPKfiiiPfSD_PS3_PT2_iSC_SC_.kd
    .uniform_work_group_size: 1
    .uses_dynamic_stack: false
    .vgpr_count:     88
    .vgpr_spill_count: 0
    .wavefront_size: 64
  - .agpr_count:     4
    .args:
      - .actual_access:  read_only
        .address_space:  global
        .offset:         0
        .size:           8
        .value_kind:     global_buffer
      - .actual_access:  read_only
        .address_space:  global
        .offset:         8
        .size:           8
        .value_kind:     global_buffer
      - .actual_access:  read_only
        .address_space:  global
        .offset:         16
        .size:           8
        .value_kind:     global_buffer
      - .offset:         24
        .size:           4
        .value_kind:     by_value
      - .offset:         28
        .size:           4
        .value_kind:     by_value
      - .actual_access:  read_only
        .address_space:  global
        .offset:         32
        .size:           8
        .value_kind:     global_buffer
      - .actual_access:  read_only
        .address_space:  global
        .offset:         40
        .size:           8
        .value_kind:     global_buffer
      - .actual_access:  read_only
        .address_space:  global
        .offset:         48
        .size:           8
        .value_kind:     global_buffer
      - .offset:         56
        .size:           4
        .value_kind:     by_value
      - .actual_access:  read_only
        .address_space:  global
        .offset:         64
        .size:           8
        .value_kind:     global_buffer
      - .offset:         72
        .size:           4
        .value_kind:     by_value
      - .offset:         76
        .size:           4
        .value_kind:     by_value
      - .offset:         80
        .size:           4
        .value_kind:     by_value
      - .actual_access:  write_only
        .address_space:  global
        .offset:         88
        .size:           8
        .value_kind:     global_buffer
      - .actual_access:  write_only
        .address_space:  global
        .offset:         96
        .size:           8
        .value_kind:     global_buffer
      - .actual_access:  write_only
        .address_space:  global
        .offset:         104
        .size:           8
        .value_kind:     global_buffer
      - .actual_access:  read_only
        .address_space:  global
        .offset:         112
        .size:           8
        .value_kind:     global_buffer
      - .offset:         120
        .size:           4
        .value_kind:     by_value
      - .address_space:  global
        .offset:         128
        .size:           8
        .value_kind:     global_buffer
      - .address_space:  global
        .offset:         136
        .size:           8
        .value_kind:     global_buffer
      - .offset:         144
        .size:           4
        .value_kind:     hidden_block_count_x
      - .offset:         148
        .size:           4
        .value_kind:     hidden_block_count_y
      - .offset:         152
        .size:           4
        .value_kind:     hidden_block_count_z
      - .offset:         156
        .size:           2
        .value_kind:     hidden_group_size_x
      - .offset:         158
        .size:           2
        .value_kind:     hidden_group_size_y
      - .offset:         160
        .size:           2
        .value_kind:     hidden_group_size_z
      - .offset:         162
        .size:           2
        .value_kind:     hidden_remainder_x
      - .offset:         164
        .size:           2
        .value_kind:     hidden_remainder_y
      - .offset:         166
        .size:           2
        .value_kind:     hidden_remainder_z
      - .offset:         184
        .size:           8
        .value_kind:     hidden_global_offset_x
      - .offset:         192
        .size:           8
        .value_kind:     hidden_global_offset_y
      - .offset:         200
        .size:           8
        .value_kind:     hidden_global_offset_z
      - .offset:         208
        .size:           2
        .value_kind:     hidden_grid_dims
    .group_segment_fixed_size: 2720
    .kernarg_segment_align: 8
    .kernarg_segment_size: 400
    .language:       OpenCL C
    .language_version:
      - 2
      - 0
    .max_flat_workgroup_size: 256
    .name:           _Z38paged_attention_ll4mi_QKV_mfma4_kernelI14__hip_bfloat16hLN4vllm18Fp8KVCacheDataTypeE1EhLi16ELi64ELi256ELb0ELi3EEvPKT_PKT0_S8_ifPKiSA_SA_iPKfiiiPfSD_PS3_PT2_iSC_SC_
    .private_segment_fixed_size: 0
    .sgpr_count:     48
    .sgpr_spill_count: 0
    .symbol:         _Z38paged_attention_ll4mi_QKV_mfma4_kernelI14__hip_bfloat16hLN4vllm18Fp8KVCacheDataTypeE1EhLi16ELi64ELi256ELb0ELi3EEvPKT_PKT0_S8_ifPKiSA_SA_iPKfiiiPfSD_PS3_PT2_iSC_SC_.kd
    .uniform_work_group_size: 1
    .uses_dynamic_stack: false
    .vgpr_count:     80
    .vgpr_spill_count: 0
    .wavefront_size: 64
  - .agpr_count:     4
    .args:
      - .actual_access:  read_only
        .address_space:  global
        .offset:         0
        .size:           8
        .value_kind:     global_buffer
      - .actual_access:  read_only
        .address_space:  global
        .offset:         8
        .size:           8
        .value_kind:     global_buffer
      - .actual_access:  read_only
        .address_space:  global
        .offset:         16
        .size:           8
        .value_kind:     global_buffer
      - .offset:         24
        .size:           4
        .value_kind:     by_value
      - .offset:         28
        .size:           4
        .value_kind:     by_value
      - .actual_access:  read_only
        .address_space:  global
        .offset:         32
        .size:           8
        .value_kind:     global_buffer
      - .actual_access:  read_only
        .address_space:  global
        .offset:         40
        .size:           8
        .value_kind:     global_buffer
      - .actual_access:  read_only
        .address_space:  global
        .offset:         48
        .size:           8
        .value_kind:     global_buffer
      - .offset:         56
        .size:           4
        .value_kind:     by_value
      - .actual_access:  read_only
        .address_space:  global
        .offset:         64
        .size:           8
        .value_kind:     global_buffer
      - .offset:         72
        .size:           4
        .value_kind:     by_value
      - .offset:         76
        .size:           4
        .value_kind:     by_value
      - .offset:         80
        .size:           4
        .value_kind:     by_value
      - .actual_access:  write_only
        .address_space:  global
        .offset:         88
        .size:           8
        .value_kind:     global_buffer
      - .actual_access:  write_only
        .address_space:  global
        .offset:         96
        .size:           8
        .value_kind:     global_buffer
      - .actual_access:  write_only
        .address_space:  global
        .offset:         104
        .size:           8
        .value_kind:     global_buffer
      - .actual_access:  read_only
        .address_space:  global
        .offset:         112
        .size:           8
        .value_kind:     global_buffer
      - .offset:         120
        .size:           4
        .value_kind:     by_value
      - .address_space:  global
        .offset:         128
        .size:           8
        .value_kind:     global_buffer
      - .address_space:  global
        .offset:         136
        .size:           8
        .value_kind:     global_buffer
      - .offset:         144
        .size:           4
        .value_kind:     hidden_block_count_x
      - .offset:         148
        .size:           4
        .value_kind:     hidden_block_count_y
      - .offset:         152
        .size:           4
        .value_kind:     hidden_block_count_z
      - .offset:         156
        .size:           2
        .value_kind:     hidden_group_size_x
      - .offset:         158
        .size:           2
        .value_kind:     hidden_group_size_y
      - .offset:         160
        .size:           2
        .value_kind:     hidden_group_size_z
      - .offset:         162
        .size:           2
        .value_kind:     hidden_remainder_x
      - .offset:         164
        .size:           2
        .value_kind:     hidden_remainder_y
      - .offset:         166
        .size:           2
        .value_kind:     hidden_remainder_z
      - .offset:         184
        .size:           8
        .value_kind:     hidden_global_offset_x
      - .offset:         192
        .size:           8
        .value_kind:     hidden_global_offset_y
      - .offset:         200
        .size:           8
        .value_kind:     hidden_global_offset_z
      - .offset:         208
        .size:           2
        .value_kind:     hidden_grid_dims
    .group_segment_fixed_size: 2720
    .kernarg_segment_align: 8
    .kernarg_segment_size: 400
    .language:       OpenCL C
    .language_version:
      - 2
      - 0
    .max_flat_workgroup_size: 256
    .name:           _Z38paged_attention_ll4mi_QKV_mfma4_kernelI14__hip_bfloat16hLN4vllm18Fp8KVCacheDataTypeE1EhLi16ELi64ELi256ELb0ELi4EEvPKT_PKT0_S8_ifPKiSA_SA_iPKfiiiPfSD_PS3_PT2_iSC_SC_
    .private_segment_fixed_size: 0
    .sgpr_count:     48
    .sgpr_spill_count: 0
    .symbol:         _Z38paged_attention_ll4mi_QKV_mfma4_kernelI14__hip_bfloat16hLN4vllm18Fp8KVCacheDataTypeE1EhLi16ELi64ELi256ELb0ELi4EEvPKT_PKT0_S8_ifPKiSA_SA_iPKfiiiPfSD_PS3_PT2_iSC_SC_.kd
    .uniform_work_group_size: 1
    .uses_dynamic_stack: false
    .vgpr_count:     84
    .vgpr_spill_count: 0
    .wavefront_size: 64
  - .agpr_count:     0
    .args:
      - .actual_access:  read_only
        .address_space:  global
        .offset:         0
        .size:           8
        .value_kind:     global_buffer
      - .actual_access:  read_only
        .address_space:  global
        .offset:         8
        .size:           8
        .value_kind:     global_buffer
      - .actual_access:  read_only
        .address_space:  global
        .offset:         16
        .size:           8
        .value_kind:     global_buffer
      - .offset:         24
        .size:           4
        .value_kind:     by_value
      - .offset:         28
        .size:           4
        .value_kind:     by_value
      - .actual_access:  read_only
        .address_space:  global
        .offset:         32
        .size:           8
        .value_kind:     global_buffer
      - .actual_access:  read_only
        .address_space:  global
        .offset:         40
        .size:           8
        .value_kind:     global_buffer
      - .actual_access:  read_only
        .address_space:  global
        .offset:         48
        .size:           8
        .value_kind:     global_buffer
      - .offset:         56
        .size:           4
        .value_kind:     by_value
      - .actual_access:  read_only
        .address_space:  global
        .offset:         64
        .size:           8
        .value_kind:     global_buffer
      - .offset:         72
        .size:           4
        .value_kind:     by_value
      - .offset:         76
        .size:           4
        .value_kind:     by_value
      - .offset:         80
        .size:           4
        .value_kind:     by_value
      - .actual_access:  write_only
        .address_space:  global
        .offset:         88
        .size:           8
        .value_kind:     global_buffer
      - .actual_access:  write_only
        .address_space:  global
        .offset:         96
        .size:           8
        .value_kind:     global_buffer
      - .actual_access:  write_only
        .address_space:  global
        .offset:         104
        .size:           8
        .value_kind:     global_buffer
      - .actual_access:  read_only
        .address_space:  global
        .offset:         112
        .size:           8
        .value_kind:     global_buffer
      - .offset:         120
        .size:           4
        .value_kind:     by_value
      - .address_space:  global
        .offset:         128
        .size:           8
        .value_kind:     global_buffer
      - .address_space:  global
        .offset:         136
        .size:           8
        .value_kind:     global_buffer
      - .offset:         144
        .size:           4
        .value_kind:     hidden_block_count_x
      - .offset:         148
        .size:           4
        .value_kind:     hidden_block_count_y
      - .offset:         152
        .size:           4
        .value_kind:     hidden_block_count_z
      - .offset:         156
        .size:           2
        .value_kind:     hidden_group_size_x
      - .offset:         158
        .size:           2
        .value_kind:     hidden_group_size_y
      - .offset:         160
        .size:           2
        .value_kind:     hidden_group_size_z
      - .offset:         162
        .size:           2
        .value_kind:     hidden_remainder_x
      - .offset:         164
        .size:           2
        .value_kind:     hidden_remainder_y
      - .offset:         166
        .size:           2
        .value_kind:     hidden_remainder_z
      - .offset:         184
        .size:           8
        .value_kind:     hidden_global_offset_x
      - .offset:         192
        .size:           8
        .value_kind:     hidden_global_offset_y
      - .offset:         200
        .size:           8
        .value_kind:     hidden_global_offset_z
      - .offset:         208
        .size:           2
        .value_kind:     hidden_grid_dims
    .group_segment_fixed_size: 8192
    .kernarg_segment_align: 8
    .kernarg_segment_size: 400
    .language:       OpenCL C
    .language_version:
      - 2
      - 0
    .max_flat_workgroup_size: 256
    .name:           _Z39paged_attention_ll4mi_QKV_mfma16_kernelI14__hip_bfloat16hLN4vllm18Fp8KVCacheDataTypeE1EhLi16ELi64ELi256ELb0ELi5EEvPKT_PKT0_S8_ifPKiSA_SA_iPKfiiiPfSD_PS3_PT2_iSC_SC_
    .private_segment_fixed_size: 0
    .sgpr_count:     56
    .sgpr_spill_count: 0
    .symbol:         _Z39paged_attention_ll4mi_QKV_mfma16_kernelI14__hip_bfloat16hLN4vllm18Fp8KVCacheDataTypeE1EhLi16ELi64ELi256ELb0ELi5EEvPKT_PKT0_S8_ifPKiSA_SA_iPKfiiiPfSD_PS3_PT2_iSC_SC_.kd
    .uniform_work_group_size: 1
    .uses_dynamic_stack: false
    .vgpr_count:     58
    .vgpr_spill_count: 0
    .wavefront_size: 64
  - .agpr_count:     0
    .args:
      - .actual_access:  read_only
        .address_space:  global
        .offset:         0
        .size:           8
        .value_kind:     global_buffer
      - .actual_access:  read_only
        .address_space:  global
        .offset:         8
        .size:           8
        .value_kind:     global_buffer
      - .actual_access:  read_only
        .address_space:  global
        .offset:         16
        .size:           8
        .value_kind:     global_buffer
      - .offset:         24
        .size:           4
        .value_kind:     by_value
      - .offset:         28
        .size:           4
        .value_kind:     by_value
      - .actual_access:  read_only
        .address_space:  global
        .offset:         32
        .size:           8
        .value_kind:     global_buffer
      - .actual_access:  read_only
        .address_space:  global
        .offset:         40
        .size:           8
        .value_kind:     global_buffer
      - .actual_access:  read_only
        .address_space:  global
        .offset:         48
        .size:           8
        .value_kind:     global_buffer
      - .offset:         56
        .size:           4
        .value_kind:     by_value
      - .actual_access:  read_only
        .address_space:  global
        .offset:         64
        .size:           8
        .value_kind:     global_buffer
      - .offset:         72
        .size:           4
        .value_kind:     by_value
      - .offset:         76
        .size:           4
        .value_kind:     by_value
      - .offset:         80
        .size:           4
        .value_kind:     by_value
      - .actual_access:  write_only
        .address_space:  global
        .offset:         88
        .size:           8
        .value_kind:     global_buffer
      - .actual_access:  write_only
        .address_space:  global
        .offset:         96
        .size:           8
        .value_kind:     global_buffer
      - .actual_access:  write_only
        .address_space:  global
        .offset:         104
        .size:           8
        .value_kind:     global_buffer
      - .actual_access:  read_only
        .address_space:  global
        .offset:         112
        .size:           8
        .value_kind:     global_buffer
      - .offset:         120
        .size:           4
        .value_kind:     by_value
      - .address_space:  global
        .offset:         128
        .size:           8
        .value_kind:     global_buffer
      - .address_space:  global
        .offset:         136
        .size:           8
        .value_kind:     global_buffer
      - .offset:         144
        .size:           4
        .value_kind:     hidden_block_count_x
      - .offset:         148
        .size:           4
        .value_kind:     hidden_block_count_y
      - .offset:         152
        .size:           4
        .value_kind:     hidden_block_count_z
      - .offset:         156
        .size:           2
        .value_kind:     hidden_group_size_x
      - .offset:         158
        .size:           2
        .value_kind:     hidden_group_size_y
      - .offset:         160
        .size:           2
        .value_kind:     hidden_group_size_z
      - .offset:         162
        .size:           2
        .value_kind:     hidden_remainder_x
      - .offset:         164
        .size:           2
        .value_kind:     hidden_remainder_y
      - .offset:         166
        .size:           2
        .value_kind:     hidden_remainder_z
      - .offset:         184
        .size:           8
        .value_kind:     hidden_global_offset_x
      - .offset:         192
        .size:           8
        .value_kind:     hidden_global_offset_y
      - .offset:         200
        .size:           8
        .value_kind:     hidden_global_offset_z
      - .offset:         208
        .size:           2
        .value_kind:     hidden_grid_dims
    .group_segment_fixed_size: 8192
    .kernarg_segment_align: 8
    .kernarg_segment_size: 400
    .language:       OpenCL C
    .language_version:
      - 2
      - 0
    .max_flat_workgroup_size: 256
    .name:           _Z39paged_attention_ll4mi_QKV_mfma16_kernelI14__hip_bfloat16hLN4vllm18Fp8KVCacheDataTypeE1EhLi16ELi64ELi256ELb0ELi6EEvPKT_PKT0_S8_ifPKiSA_SA_iPKfiiiPfSD_PS3_PT2_iSC_SC_
    .private_segment_fixed_size: 0
    .sgpr_count:     56
    .sgpr_spill_count: 0
    .symbol:         _Z39paged_attention_ll4mi_QKV_mfma16_kernelI14__hip_bfloat16hLN4vllm18Fp8KVCacheDataTypeE1EhLi16ELi64ELi256ELb0ELi6EEvPKT_PKT0_S8_ifPKiSA_SA_iPKfiiiPfSD_PS3_PT2_iSC_SC_.kd
    .uniform_work_group_size: 1
    .uses_dynamic_stack: false
    .vgpr_count:     58
    .vgpr_spill_count: 0
    .wavefront_size: 64
  - .agpr_count:     0
    .args:
      - .actual_access:  read_only
        .address_space:  global
        .offset:         0
        .size:           8
        .value_kind:     global_buffer
      - .actual_access:  read_only
        .address_space:  global
        .offset:         8
        .size:           8
        .value_kind:     global_buffer
      - .actual_access:  read_only
        .address_space:  global
        .offset:         16
        .size:           8
        .value_kind:     global_buffer
      - .offset:         24
        .size:           4
        .value_kind:     by_value
      - .offset:         28
        .size:           4
        .value_kind:     by_value
      - .actual_access:  read_only
        .address_space:  global
        .offset:         32
        .size:           8
        .value_kind:     global_buffer
      - .actual_access:  read_only
        .address_space:  global
        .offset:         40
        .size:           8
        .value_kind:     global_buffer
      - .actual_access:  read_only
        .address_space:  global
        .offset:         48
        .size:           8
        .value_kind:     global_buffer
      - .offset:         56
        .size:           4
        .value_kind:     by_value
      - .actual_access:  read_only
        .address_space:  global
        .offset:         64
        .size:           8
        .value_kind:     global_buffer
      - .offset:         72
        .size:           4
        .value_kind:     by_value
      - .offset:         76
        .size:           4
        .value_kind:     by_value
      - .offset:         80
        .size:           4
        .value_kind:     by_value
      - .actual_access:  write_only
        .address_space:  global
        .offset:         88
        .size:           8
        .value_kind:     global_buffer
      - .actual_access:  write_only
        .address_space:  global
        .offset:         96
        .size:           8
        .value_kind:     global_buffer
      - .actual_access:  write_only
        .address_space:  global
        .offset:         104
        .size:           8
        .value_kind:     global_buffer
      - .actual_access:  read_only
        .address_space:  global
        .offset:         112
        .size:           8
        .value_kind:     global_buffer
      - .offset:         120
        .size:           4
        .value_kind:     by_value
      - .address_space:  global
        .offset:         128
        .size:           8
        .value_kind:     global_buffer
      - .address_space:  global
        .offset:         136
        .size:           8
        .value_kind:     global_buffer
      - .offset:         144
        .size:           4
        .value_kind:     hidden_block_count_x
      - .offset:         148
        .size:           4
        .value_kind:     hidden_block_count_y
      - .offset:         152
        .size:           4
        .value_kind:     hidden_block_count_z
      - .offset:         156
        .size:           2
        .value_kind:     hidden_group_size_x
      - .offset:         158
        .size:           2
        .value_kind:     hidden_group_size_y
      - .offset:         160
        .size:           2
        .value_kind:     hidden_group_size_z
      - .offset:         162
        .size:           2
        .value_kind:     hidden_remainder_x
      - .offset:         164
        .size:           2
        .value_kind:     hidden_remainder_y
      - .offset:         166
        .size:           2
        .value_kind:     hidden_remainder_z
      - .offset:         184
        .size:           8
        .value_kind:     hidden_global_offset_x
      - .offset:         192
        .size:           8
        .value_kind:     hidden_global_offset_y
      - .offset:         200
        .size:           8
        .value_kind:     hidden_global_offset_z
      - .offset:         208
        .size:           2
        .value_kind:     hidden_grid_dims
    .group_segment_fixed_size: 8192
    .kernarg_segment_align: 8
    .kernarg_segment_size: 400
    .language:       OpenCL C
    .language_version:
      - 2
      - 0
    .max_flat_workgroup_size: 256
    .name:           _Z39paged_attention_ll4mi_QKV_mfma16_kernelI14__hip_bfloat16hLN4vllm18Fp8KVCacheDataTypeE1EhLi16ELi64ELi256ELb0ELi7EEvPKT_PKT0_S8_ifPKiSA_SA_iPKfiiiPfSD_PS3_PT2_iSC_SC_
    .private_segment_fixed_size: 0
    .sgpr_count:     56
    .sgpr_spill_count: 0
    .symbol:         _Z39paged_attention_ll4mi_QKV_mfma16_kernelI14__hip_bfloat16hLN4vllm18Fp8KVCacheDataTypeE1EhLi16ELi64ELi256ELb0ELi7EEvPKT_PKT0_S8_ifPKiSA_SA_iPKfiiiPfSD_PS3_PT2_iSC_SC_.kd
    .uniform_work_group_size: 1
    .uses_dynamic_stack: false
    .vgpr_count:     58
    .vgpr_spill_count: 0
    .wavefront_size: 64
  - .agpr_count:     0
    .args:
      - .actual_access:  read_only
        .address_space:  global
        .offset:         0
        .size:           8
        .value_kind:     global_buffer
      - .actual_access:  read_only
        .address_space:  global
        .offset:         8
        .size:           8
        .value_kind:     global_buffer
      - .actual_access:  read_only
        .address_space:  global
        .offset:         16
        .size:           8
        .value_kind:     global_buffer
      - .offset:         24
        .size:           4
        .value_kind:     by_value
      - .offset:         28
        .size:           4
        .value_kind:     by_value
      - .actual_access:  read_only
        .address_space:  global
        .offset:         32
        .size:           8
        .value_kind:     global_buffer
      - .actual_access:  read_only
        .address_space:  global
        .offset:         40
        .size:           8
        .value_kind:     global_buffer
      - .actual_access:  read_only
        .address_space:  global
        .offset:         48
        .size:           8
        .value_kind:     global_buffer
      - .offset:         56
        .size:           4
        .value_kind:     by_value
      - .actual_access:  read_only
        .address_space:  global
        .offset:         64
        .size:           8
        .value_kind:     global_buffer
      - .offset:         72
        .size:           4
        .value_kind:     by_value
      - .offset:         76
        .size:           4
        .value_kind:     by_value
      - .offset:         80
        .size:           4
        .value_kind:     by_value
      - .actual_access:  write_only
        .address_space:  global
        .offset:         88
        .size:           8
        .value_kind:     global_buffer
      - .actual_access:  write_only
        .address_space:  global
        .offset:         96
        .size:           8
        .value_kind:     global_buffer
      - .actual_access:  write_only
        .address_space:  global
        .offset:         104
        .size:           8
        .value_kind:     global_buffer
      - .actual_access:  read_only
        .address_space:  global
        .offset:         112
        .size:           8
        .value_kind:     global_buffer
      - .offset:         120
        .size:           4
        .value_kind:     by_value
      - .address_space:  global
        .offset:         128
        .size:           8
        .value_kind:     global_buffer
      - .address_space:  global
        .offset:         136
        .size:           8
        .value_kind:     global_buffer
      - .offset:         144
        .size:           4
        .value_kind:     hidden_block_count_x
      - .offset:         148
        .size:           4
        .value_kind:     hidden_block_count_y
      - .offset:         152
        .size:           4
        .value_kind:     hidden_block_count_z
      - .offset:         156
        .size:           2
        .value_kind:     hidden_group_size_x
      - .offset:         158
        .size:           2
        .value_kind:     hidden_group_size_y
      - .offset:         160
        .size:           2
        .value_kind:     hidden_group_size_z
      - .offset:         162
        .size:           2
        .value_kind:     hidden_remainder_x
      - .offset:         164
        .size:           2
        .value_kind:     hidden_remainder_y
      - .offset:         166
        .size:           2
        .value_kind:     hidden_remainder_z
      - .offset:         184
        .size:           8
        .value_kind:     hidden_global_offset_x
      - .offset:         192
        .size:           8
        .value_kind:     hidden_global_offset_y
      - .offset:         200
        .size:           8
        .value_kind:     hidden_global_offset_z
      - .offset:         208
        .size:           2
        .value_kind:     hidden_grid_dims
    .group_segment_fixed_size: 8192
    .kernarg_segment_align: 8
    .kernarg_segment_size: 400
    .language:       OpenCL C
    .language_version:
      - 2
      - 0
    .max_flat_workgroup_size: 256
    .name:           _Z39paged_attention_ll4mi_QKV_mfma16_kernelI14__hip_bfloat16hLN4vllm18Fp8KVCacheDataTypeE1EhLi16ELi64ELi256ELb0ELi8EEvPKT_PKT0_S8_ifPKiSA_SA_iPKfiiiPfSD_PS3_PT2_iSC_SC_
    .private_segment_fixed_size: 0
    .sgpr_count:     55
    .sgpr_spill_count: 0
    .symbol:         _Z39paged_attention_ll4mi_QKV_mfma16_kernelI14__hip_bfloat16hLN4vllm18Fp8KVCacheDataTypeE1EhLi16ELi64ELi256ELb0ELi8EEvPKT_PKT0_S8_ifPKiSA_SA_iPKfiiiPfSD_PS3_PT2_iSC_SC_.kd
    .uniform_work_group_size: 1
    .uses_dynamic_stack: false
    .vgpr_count:     58
    .vgpr_spill_count: 0
    .wavefront_size: 64
  - .agpr_count:     0
    .args:
      - .actual_access:  read_only
        .address_space:  global
        .offset:         0
        .size:           8
        .value_kind:     global_buffer
      - .actual_access:  read_only
        .address_space:  global
        .offset:         8
        .size:           8
        .value_kind:     global_buffer
      - .actual_access:  read_only
        .address_space:  global
        .offset:         16
        .size:           8
        .value_kind:     global_buffer
      - .offset:         24
        .size:           4
        .value_kind:     by_value
      - .offset:         28
        .size:           4
        .value_kind:     by_value
      - .actual_access:  read_only
        .address_space:  global
        .offset:         32
        .size:           8
        .value_kind:     global_buffer
      - .actual_access:  read_only
        .address_space:  global
        .offset:         40
        .size:           8
        .value_kind:     global_buffer
      - .actual_access:  read_only
        .address_space:  global
        .offset:         48
        .size:           8
        .value_kind:     global_buffer
      - .offset:         56
        .size:           4
        .value_kind:     by_value
      - .actual_access:  read_only
        .address_space:  global
        .offset:         64
        .size:           8
        .value_kind:     global_buffer
      - .offset:         72
        .size:           4
        .value_kind:     by_value
      - .offset:         76
        .size:           4
        .value_kind:     by_value
      - .offset:         80
        .size:           4
        .value_kind:     by_value
      - .actual_access:  write_only
        .address_space:  global
        .offset:         88
        .size:           8
        .value_kind:     global_buffer
      - .actual_access:  write_only
        .address_space:  global
        .offset:         96
        .size:           8
        .value_kind:     global_buffer
      - .actual_access:  write_only
        .address_space:  global
        .offset:         104
        .size:           8
        .value_kind:     global_buffer
      - .actual_access:  read_only
        .address_space:  global
        .offset:         112
        .size:           8
        .value_kind:     global_buffer
      - .offset:         120
        .size:           4
        .value_kind:     by_value
      - .address_space:  global
        .offset:         128
        .size:           8
        .value_kind:     global_buffer
      - .address_space:  global
        .offset:         136
        .size:           8
        .value_kind:     global_buffer
      - .offset:         144
        .size:           4
        .value_kind:     hidden_block_count_x
      - .offset:         148
        .size:           4
        .value_kind:     hidden_block_count_y
      - .offset:         152
        .size:           4
        .value_kind:     hidden_block_count_z
      - .offset:         156
        .size:           2
        .value_kind:     hidden_group_size_x
      - .offset:         158
        .size:           2
        .value_kind:     hidden_group_size_y
      - .offset:         160
        .size:           2
        .value_kind:     hidden_group_size_z
      - .offset:         162
        .size:           2
        .value_kind:     hidden_remainder_x
      - .offset:         164
        .size:           2
        .value_kind:     hidden_remainder_y
      - .offset:         166
        .size:           2
        .value_kind:     hidden_remainder_z
      - .offset:         184
        .size:           8
        .value_kind:     hidden_global_offset_x
      - .offset:         192
        .size:           8
        .value_kind:     hidden_global_offset_y
      - .offset:         200
        .size:           8
        .value_kind:     hidden_global_offset_z
      - .offset:         208
        .size:           2
        .value_kind:     hidden_grid_dims
    .group_segment_fixed_size: 8192
    .kernarg_segment_align: 8
    .kernarg_segment_size: 400
    .language:       OpenCL C
    .language_version:
      - 2
      - 0
    .max_flat_workgroup_size: 256
    .name:           _Z39paged_attention_ll4mi_QKV_mfma16_kernelI14__hip_bfloat16hLN4vllm18Fp8KVCacheDataTypeE1EhLi16ELi64ELi256ELb0ELi9EEvPKT_PKT0_S8_ifPKiSA_SA_iPKfiiiPfSD_PS3_PT2_iSC_SC_
    .private_segment_fixed_size: 0
    .sgpr_count:     56
    .sgpr_spill_count: 0
    .symbol:         _Z39paged_attention_ll4mi_QKV_mfma16_kernelI14__hip_bfloat16hLN4vllm18Fp8KVCacheDataTypeE1EhLi16ELi64ELi256ELb0ELi9EEvPKT_PKT0_S8_ifPKiSA_SA_iPKfiiiPfSD_PS3_PT2_iSC_SC_.kd
    .uniform_work_group_size: 1
    .uses_dynamic_stack: false
    .vgpr_count:     58
    .vgpr_spill_count: 0
    .wavefront_size: 64
  - .agpr_count:     0
    .args:
      - .actual_access:  read_only
        .address_space:  global
        .offset:         0
        .size:           8
        .value_kind:     global_buffer
      - .actual_access:  read_only
        .address_space:  global
        .offset:         8
        .size:           8
        .value_kind:     global_buffer
      - .actual_access:  read_only
        .address_space:  global
        .offset:         16
        .size:           8
        .value_kind:     global_buffer
      - .offset:         24
        .size:           4
        .value_kind:     by_value
      - .offset:         28
        .size:           4
        .value_kind:     by_value
      - .actual_access:  read_only
        .address_space:  global
        .offset:         32
        .size:           8
        .value_kind:     global_buffer
      - .actual_access:  read_only
        .address_space:  global
        .offset:         40
        .size:           8
        .value_kind:     global_buffer
      - .actual_access:  read_only
        .address_space:  global
        .offset:         48
        .size:           8
        .value_kind:     global_buffer
      - .offset:         56
        .size:           4
        .value_kind:     by_value
      - .actual_access:  read_only
        .address_space:  global
        .offset:         64
        .size:           8
        .value_kind:     global_buffer
      - .offset:         72
        .size:           4
        .value_kind:     by_value
      - .offset:         76
        .size:           4
        .value_kind:     by_value
      - .offset:         80
        .size:           4
        .value_kind:     by_value
      - .actual_access:  write_only
        .address_space:  global
        .offset:         88
        .size:           8
        .value_kind:     global_buffer
      - .actual_access:  write_only
        .address_space:  global
        .offset:         96
        .size:           8
        .value_kind:     global_buffer
      - .actual_access:  write_only
        .address_space:  global
        .offset:         104
        .size:           8
        .value_kind:     global_buffer
      - .actual_access:  read_only
        .address_space:  global
        .offset:         112
        .size:           8
        .value_kind:     global_buffer
      - .offset:         120
        .size:           4
        .value_kind:     by_value
      - .address_space:  global
        .offset:         128
        .size:           8
        .value_kind:     global_buffer
      - .address_space:  global
        .offset:         136
        .size:           8
        .value_kind:     global_buffer
      - .offset:         144
        .size:           4
        .value_kind:     hidden_block_count_x
      - .offset:         148
        .size:           4
        .value_kind:     hidden_block_count_y
      - .offset:         152
        .size:           4
        .value_kind:     hidden_block_count_z
      - .offset:         156
        .size:           2
        .value_kind:     hidden_group_size_x
      - .offset:         158
        .size:           2
        .value_kind:     hidden_group_size_y
      - .offset:         160
        .size:           2
        .value_kind:     hidden_group_size_z
      - .offset:         162
        .size:           2
        .value_kind:     hidden_remainder_x
      - .offset:         164
        .size:           2
        .value_kind:     hidden_remainder_y
      - .offset:         166
        .size:           2
        .value_kind:     hidden_remainder_z
      - .offset:         184
        .size:           8
        .value_kind:     hidden_global_offset_x
      - .offset:         192
        .size:           8
        .value_kind:     hidden_global_offset_y
      - .offset:         200
        .size:           8
        .value_kind:     hidden_global_offset_z
      - .offset:         208
        .size:           2
        .value_kind:     hidden_grid_dims
    .group_segment_fixed_size: 8192
    .kernarg_segment_align: 8
    .kernarg_segment_size: 400
    .language:       OpenCL C
    .language_version:
      - 2
      - 0
    .max_flat_workgroup_size: 256
    .name:           _Z39paged_attention_ll4mi_QKV_mfma16_kernelI14__hip_bfloat16hLN4vllm18Fp8KVCacheDataTypeE1EhLi16ELi64ELi256ELb0ELi10EEvPKT_PKT0_S8_ifPKiSA_SA_iPKfiiiPfSD_PS3_PT2_iSC_SC_
    .private_segment_fixed_size: 0
    .sgpr_count:     56
    .sgpr_spill_count: 0
    .symbol:         _Z39paged_attention_ll4mi_QKV_mfma16_kernelI14__hip_bfloat16hLN4vllm18Fp8KVCacheDataTypeE1EhLi16ELi64ELi256ELb0ELi10EEvPKT_PKT0_S8_ifPKiSA_SA_iPKfiiiPfSD_PS3_PT2_iSC_SC_.kd
    .uniform_work_group_size: 1
    .uses_dynamic_stack: false
    .vgpr_count:     58
    .vgpr_spill_count: 0
    .wavefront_size: 64
  - .agpr_count:     0
    .args:
      - .actual_access:  read_only
        .address_space:  global
        .offset:         0
        .size:           8
        .value_kind:     global_buffer
      - .actual_access:  read_only
        .address_space:  global
        .offset:         8
        .size:           8
        .value_kind:     global_buffer
      - .actual_access:  read_only
        .address_space:  global
        .offset:         16
        .size:           8
        .value_kind:     global_buffer
      - .offset:         24
        .size:           4
        .value_kind:     by_value
      - .offset:         28
        .size:           4
        .value_kind:     by_value
      - .actual_access:  read_only
        .address_space:  global
        .offset:         32
        .size:           8
        .value_kind:     global_buffer
      - .actual_access:  read_only
        .address_space:  global
        .offset:         40
        .size:           8
        .value_kind:     global_buffer
      - .actual_access:  read_only
        .address_space:  global
        .offset:         48
        .size:           8
        .value_kind:     global_buffer
      - .offset:         56
        .size:           4
        .value_kind:     by_value
      - .actual_access:  read_only
        .address_space:  global
        .offset:         64
        .size:           8
        .value_kind:     global_buffer
      - .offset:         72
        .size:           4
        .value_kind:     by_value
      - .offset:         76
        .size:           4
        .value_kind:     by_value
      - .offset:         80
        .size:           4
        .value_kind:     by_value
      - .actual_access:  write_only
        .address_space:  global
        .offset:         88
        .size:           8
        .value_kind:     global_buffer
      - .actual_access:  write_only
        .address_space:  global
        .offset:         96
        .size:           8
        .value_kind:     global_buffer
      - .actual_access:  write_only
        .address_space:  global
        .offset:         104
        .size:           8
        .value_kind:     global_buffer
      - .actual_access:  read_only
        .address_space:  global
        .offset:         112
        .size:           8
        .value_kind:     global_buffer
      - .offset:         120
        .size:           4
        .value_kind:     by_value
      - .address_space:  global
        .offset:         128
        .size:           8
        .value_kind:     global_buffer
      - .address_space:  global
        .offset:         136
        .size:           8
        .value_kind:     global_buffer
      - .offset:         144
        .size:           4
        .value_kind:     hidden_block_count_x
      - .offset:         148
        .size:           4
        .value_kind:     hidden_block_count_y
      - .offset:         152
        .size:           4
        .value_kind:     hidden_block_count_z
      - .offset:         156
        .size:           2
        .value_kind:     hidden_group_size_x
      - .offset:         158
        .size:           2
        .value_kind:     hidden_group_size_y
      - .offset:         160
        .size:           2
        .value_kind:     hidden_group_size_z
      - .offset:         162
        .size:           2
        .value_kind:     hidden_remainder_x
      - .offset:         164
        .size:           2
        .value_kind:     hidden_remainder_y
      - .offset:         166
        .size:           2
        .value_kind:     hidden_remainder_z
      - .offset:         184
        .size:           8
        .value_kind:     hidden_global_offset_x
      - .offset:         192
        .size:           8
        .value_kind:     hidden_global_offset_y
      - .offset:         200
        .size:           8
        .value_kind:     hidden_global_offset_z
      - .offset:         208
        .size:           2
        .value_kind:     hidden_grid_dims
    .group_segment_fixed_size: 8192
    .kernarg_segment_align: 8
    .kernarg_segment_size: 400
    .language:       OpenCL C
    .language_version:
      - 2
      - 0
    .max_flat_workgroup_size: 256
    .name:           _Z39paged_attention_ll4mi_QKV_mfma16_kernelI14__hip_bfloat16hLN4vllm18Fp8KVCacheDataTypeE1EhLi16ELi64ELi256ELb0ELi11EEvPKT_PKT0_S8_ifPKiSA_SA_iPKfiiiPfSD_PS3_PT2_iSC_SC_
    .private_segment_fixed_size: 0
    .sgpr_count:     56
    .sgpr_spill_count: 0
    .symbol:         _Z39paged_attention_ll4mi_QKV_mfma16_kernelI14__hip_bfloat16hLN4vllm18Fp8KVCacheDataTypeE1EhLi16ELi64ELi256ELb0ELi11EEvPKT_PKT0_S8_ifPKiSA_SA_iPKfiiiPfSD_PS3_PT2_iSC_SC_.kd
    .uniform_work_group_size: 1
    .uses_dynamic_stack: false
    .vgpr_count:     58
    .vgpr_spill_count: 0
    .wavefront_size: 64
  - .agpr_count:     0
    .args:
      - .actual_access:  read_only
        .address_space:  global
        .offset:         0
        .size:           8
        .value_kind:     global_buffer
      - .actual_access:  read_only
        .address_space:  global
        .offset:         8
        .size:           8
        .value_kind:     global_buffer
      - .actual_access:  read_only
        .address_space:  global
        .offset:         16
        .size:           8
        .value_kind:     global_buffer
      - .offset:         24
        .size:           4
        .value_kind:     by_value
      - .offset:         28
        .size:           4
        .value_kind:     by_value
      - .actual_access:  read_only
        .address_space:  global
        .offset:         32
        .size:           8
        .value_kind:     global_buffer
      - .actual_access:  read_only
        .address_space:  global
        .offset:         40
        .size:           8
        .value_kind:     global_buffer
      - .actual_access:  read_only
        .address_space:  global
        .offset:         48
        .size:           8
        .value_kind:     global_buffer
      - .offset:         56
        .size:           4
        .value_kind:     by_value
      - .actual_access:  read_only
        .address_space:  global
        .offset:         64
        .size:           8
        .value_kind:     global_buffer
      - .offset:         72
        .size:           4
        .value_kind:     by_value
      - .offset:         76
        .size:           4
        .value_kind:     by_value
      - .offset:         80
        .size:           4
        .value_kind:     by_value
      - .actual_access:  write_only
        .address_space:  global
        .offset:         88
        .size:           8
        .value_kind:     global_buffer
      - .actual_access:  write_only
        .address_space:  global
        .offset:         96
        .size:           8
        .value_kind:     global_buffer
      - .actual_access:  write_only
        .address_space:  global
        .offset:         104
        .size:           8
        .value_kind:     global_buffer
      - .actual_access:  read_only
        .address_space:  global
        .offset:         112
        .size:           8
        .value_kind:     global_buffer
      - .offset:         120
        .size:           4
        .value_kind:     by_value
      - .address_space:  global
        .offset:         128
        .size:           8
        .value_kind:     global_buffer
      - .address_space:  global
        .offset:         136
        .size:           8
        .value_kind:     global_buffer
      - .offset:         144
        .size:           4
        .value_kind:     hidden_block_count_x
      - .offset:         148
        .size:           4
        .value_kind:     hidden_block_count_y
      - .offset:         152
        .size:           4
        .value_kind:     hidden_block_count_z
      - .offset:         156
        .size:           2
        .value_kind:     hidden_group_size_x
      - .offset:         158
        .size:           2
        .value_kind:     hidden_group_size_y
      - .offset:         160
        .size:           2
        .value_kind:     hidden_group_size_z
      - .offset:         162
        .size:           2
        .value_kind:     hidden_remainder_x
      - .offset:         164
        .size:           2
        .value_kind:     hidden_remainder_y
      - .offset:         166
        .size:           2
        .value_kind:     hidden_remainder_z
      - .offset:         184
        .size:           8
        .value_kind:     hidden_global_offset_x
      - .offset:         192
        .size:           8
        .value_kind:     hidden_global_offset_y
      - .offset:         200
        .size:           8
        .value_kind:     hidden_global_offset_z
      - .offset:         208
        .size:           2
        .value_kind:     hidden_grid_dims
    .group_segment_fixed_size: 8192
    .kernarg_segment_align: 8
    .kernarg_segment_size: 400
    .language:       OpenCL C
    .language_version:
      - 2
      - 0
    .max_flat_workgroup_size: 256
    .name:           _Z39paged_attention_ll4mi_QKV_mfma16_kernelI14__hip_bfloat16hLN4vllm18Fp8KVCacheDataTypeE1EhLi16ELi64ELi256ELb0ELi12EEvPKT_PKT0_S8_ifPKiSA_SA_iPKfiiiPfSD_PS3_PT2_iSC_SC_
    .private_segment_fixed_size: 0
    .sgpr_count:     56
    .sgpr_spill_count: 0
    .symbol:         _Z39paged_attention_ll4mi_QKV_mfma16_kernelI14__hip_bfloat16hLN4vllm18Fp8KVCacheDataTypeE1EhLi16ELi64ELi256ELb0ELi12EEvPKT_PKT0_S8_ifPKiSA_SA_iPKfiiiPfSD_PS3_PT2_iSC_SC_.kd
    .uniform_work_group_size: 1
    .uses_dynamic_stack: false
    .vgpr_count:     58
    .vgpr_spill_count: 0
    .wavefront_size: 64
  - .agpr_count:     0
    .args:
      - .actual_access:  read_only
        .address_space:  global
        .offset:         0
        .size:           8
        .value_kind:     global_buffer
      - .actual_access:  read_only
        .address_space:  global
        .offset:         8
        .size:           8
        .value_kind:     global_buffer
      - .actual_access:  read_only
        .address_space:  global
        .offset:         16
        .size:           8
        .value_kind:     global_buffer
      - .offset:         24
        .size:           4
        .value_kind:     by_value
      - .offset:         28
        .size:           4
        .value_kind:     by_value
      - .actual_access:  read_only
        .address_space:  global
        .offset:         32
        .size:           8
        .value_kind:     global_buffer
      - .actual_access:  read_only
        .address_space:  global
        .offset:         40
        .size:           8
        .value_kind:     global_buffer
      - .actual_access:  read_only
        .address_space:  global
        .offset:         48
        .size:           8
        .value_kind:     global_buffer
      - .offset:         56
        .size:           4
        .value_kind:     by_value
      - .actual_access:  read_only
        .address_space:  global
        .offset:         64
        .size:           8
        .value_kind:     global_buffer
      - .offset:         72
        .size:           4
        .value_kind:     by_value
      - .offset:         76
        .size:           4
        .value_kind:     by_value
      - .offset:         80
        .size:           4
        .value_kind:     by_value
      - .actual_access:  write_only
        .address_space:  global
        .offset:         88
        .size:           8
        .value_kind:     global_buffer
      - .actual_access:  write_only
        .address_space:  global
        .offset:         96
        .size:           8
        .value_kind:     global_buffer
      - .actual_access:  write_only
        .address_space:  global
        .offset:         104
        .size:           8
        .value_kind:     global_buffer
      - .actual_access:  read_only
        .address_space:  global
        .offset:         112
        .size:           8
        .value_kind:     global_buffer
      - .offset:         120
        .size:           4
        .value_kind:     by_value
      - .address_space:  global
        .offset:         128
        .size:           8
        .value_kind:     global_buffer
      - .address_space:  global
        .offset:         136
        .size:           8
        .value_kind:     global_buffer
      - .offset:         144
        .size:           4
        .value_kind:     hidden_block_count_x
      - .offset:         148
        .size:           4
        .value_kind:     hidden_block_count_y
      - .offset:         152
        .size:           4
        .value_kind:     hidden_block_count_z
      - .offset:         156
        .size:           2
        .value_kind:     hidden_group_size_x
      - .offset:         158
        .size:           2
        .value_kind:     hidden_group_size_y
      - .offset:         160
        .size:           2
        .value_kind:     hidden_group_size_z
      - .offset:         162
        .size:           2
        .value_kind:     hidden_remainder_x
      - .offset:         164
        .size:           2
        .value_kind:     hidden_remainder_y
      - .offset:         166
        .size:           2
        .value_kind:     hidden_remainder_z
      - .offset:         184
        .size:           8
        .value_kind:     hidden_global_offset_x
      - .offset:         192
        .size:           8
        .value_kind:     hidden_global_offset_y
      - .offset:         200
        .size:           8
        .value_kind:     hidden_global_offset_z
      - .offset:         208
        .size:           2
        .value_kind:     hidden_grid_dims
    .group_segment_fixed_size: 8192
    .kernarg_segment_align: 8
    .kernarg_segment_size: 400
    .language:       OpenCL C
    .language_version:
      - 2
      - 0
    .max_flat_workgroup_size: 256
    .name:           _Z39paged_attention_ll4mi_QKV_mfma16_kernelI14__hip_bfloat16hLN4vllm18Fp8KVCacheDataTypeE1EhLi16ELi64ELi256ELb0ELi13EEvPKT_PKT0_S8_ifPKiSA_SA_iPKfiiiPfSD_PS3_PT2_iSC_SC_
    .private_segment_fixed_size: 0
    .sgpr_count:     56
    .sgpr_spill_count: 0
    .symbol:         _Z39paged_attention_ll4mi_QKV_mfma16_kernelI14__hip_bfloat16hLN4vllm18Fp8KVCacheDataTypeE1EhLi16ELi64ELi256ELb0ELi13EEvPKT_PKT0_S8_ifPKiSA_SA_iPKfiiiPfSD_PS3_PT2_iSC_SC_.kd
    .uniform_work_group_size: 1
    .uses_dynamic_stack: false
    .vgpr_count:     58
    .vgpr_spill_count: 0
    .wavefront_size: 64
  - .agpr_count:     0
    .args:
      - .actual_access:  read_only
        .address_space:  global
        .offset:         0
        .size:           8
        .value_kind:     global_buffer
      - .actual_access:  read_only
        .address_space:  global
        .offset:         8
        .size:           8
        .value_kind:     global_buffer
      - .actual_access:  read_only
        .address_space:  global
        .offset:         16
        .size:           8
        .value_kind:     global_buffer
      - .offset:         24
        .size:           4
        .value_kind:     by_value
      - .offset:         28
        .size:           4
        .value_kind:     by_value
      - .actual_access:  read_only
        .address_space:  global
        .offset:         32
        .size:           8
        .value_kind:     global_buffer
      - .actual_access:  read_only
        .address_space:  global
        .offset:         40
        .size:           8
        .value_kind:     global_buffer
      - .actual_access:  read_only
        .address_space:  global
        .offset:         48
        .size:           8
        .value_kind:     global_buffer
      - .offset:         56
        .size:           4
        .value_kind:     by_value
      - .actual_access:  read_only
        .address_space:  global
        .offset:         64
        .size:           8
        .value_kind:     global_buffer
      - .offset:         72
        .size:           4
        .value_kind:     by_value
      - .offset:         76
        .size:           4
        .value_kind:     by_value
      - .offset:         80
        .size:           4
        .value_kind:     by_value
      - .actual_access:  write_only
        .address_space:  global
        .offset:         88
        .size:           8
        .value_kind:     global_buffer
      - .actual_access:  write_only
        .address_space:  global
        .offset:         96
        .size:           8
        .value_kind:     global_buffer
      - .actual_access:  write_only
        .address_space:  global
        .offset:         104
        .size:           8
        .value_kind:     global_buffer
      - .actual_access:  read_only
        .address_space:  global
        .offset:         112
        .size:           8
        .value_kind:     global_buffer
      - .offset:         120
        .size:           4
        .value_kind:     by_value
      - .address_space:  global
        .offset:         128
        .size:           8
        .value_kind:     global_buffer
      - .address_space:  global
        .offset:         136
        .size:           8
        .value_kind:     global_buffer
      - .offset:         144
        .size:           4
        .value_kind:     hidden_block_count_x
      - .offset:         148
        .size:           4
        .value_kind:     hidden_block_count_y
      - .offset:         152
        .size:           4
        .value_kind:     hidden_block_count_z
      - .offset:         156
        .size:           2
        .value_kind:     hidden_group_size_x
      - .offset:         158
        .size:           2
        .value_kind:     hidden_group_size_y
      - .offset:         160
        .size:           2
        .value_kind:     hidden_group_size_z
      - .offset:         162
        .size:           2
        .value_kind:     hidden_remainder_x
      - .offset:         164
        .size:           2
        .value_kind:     hidden_remainder_y
      - .offset:         166
        .size:           2
        .value_kind:     hidden_remainder_z
      - .offset:         184
        .size:           8
        .value_kind:     hidden_global_offset_x
      - .offset:         192
        .size:           8
        .value_kind:     hidden_global_offset_y
      - .offset:         200
        .size:           8
        .value_kind:     hidden_global_offset_z
      - .offset:         208
        .size:           2
        .value_kind:     hidden_grid_dims
    .group_segment_fixed_size: 8192
    .kernarg_segment_align: 8
    .kernarg_segment_size: 400
    .language:       OpenCL C
    .language_version:
      - 2
      - 0
    .max_flat_workgroup_size: 256
    .name:           _Z39paged_attention_ll4mi_QKV_mfma16_kernelI14__hip_bfloat16hLN4vllm18Fp8KVCacheDataTypeE1EhLi16ELi64ELi256ELb0ELi14EEvPKT_PKT0_S8_ifPKiSA_SA_iPKfiiiPfSD_PS3_PT2_iSC_SC_
    .private_segment_fixed_size: 0
    .sgpr_count:     56
    .sgpr_spill_count: 0
    .symbol:         _Z39paged_attention_ll4mi_QKV_mfma16_kernelI14__hip_bfloat16hLN4vllm18Fp8KVCacheDataTypeE1EhLi16ELi64ELi256ELb0ELi14EEvPKT_PKT0_S8_ifPKiSA_SA_iPKfiiiPfSD_PS3_PT2_iSC_SC_.kd
    .uniform_work_group_size: 1
    .uses_dynamic_stack: false
    .vgpr_count:     58
    .vgpr_spill_count: 0
    .wavefront_size: 64
  - .agpr_count:     0
    .args:
      - .actual_access:  read_only
        .address_space:  global
        .offset:         0
        .size:           8
        .value_kind:     global_buffer
      - .actual_access:  read_only
        .address_space:  global
        .offset:         8
        .size:           8
        .value_kind:     global_buffer
      - .actual_access:  read_only
        .address_space:  global
        .offset:         16
        .size:           8
        .value_kind:     global_buffer
      - .offset:         24
        .size:           4
        .value_kind:     by_value
      - .offset:         28
        .size:           4
        .value_kind:     by_value
      - .actual_access:  read_only
        .address_space:  global
        .offset:         32
        .size:           8
        .value_kind:     global_buffer
      - .actual_access:  read_only
        .address_space:  global
        .offset:         40
        .size:           8
        .value_kind:     global_buffer
      - .actual_access:  read_only
        .address_space:  global
        .offset:         48
        .size:           8
        .value_kind:     global_buffer
      - .offset:         56
        .size:           4
        .value_kind:     by_value
      - .actual_access:  read_only
        .address_space:  global
        .offset:         64
        .size:           8
        .value_kind:     global_buffer
      - .offset:         72
        .size:           4
        .value_kind:     by_value
      - .offset:         76
        .size:           4
        .value_kind:     by_value
      - .offset:         80
        .size:           4
        .value_kind:     by_value
      - .actual_access:  write_only
        .address_space:  global
        .offset:         88
        .size:           8
        .value_kind:     global_buffer
      - .actual_access:  write_only
        .address_space:  global
        .offset:         96
        .size:           8
        .value_kind:     global_buffer
      - .actual_access:  write_only
        .address_space:  global
        .offset:         104
        .size:           8
        .value_kind:     global_buffer
      - .actual_access:  read_only
        .address_space:  global
        .offset:         112
        .size:           8
        .value_kind:     global_buffer
      - .offset:         120
        .size:           4
        .value_kind:     by_value
      - .address_space:  global
        .offset:         128
        .size:           8
        .value_kind:     global_buffer
      - .address_space:  global
        .offset:         136
        .size:           8
        .value_kind:     global_buffer
      - .offset:         144
        .size:           4
        .value_kind:     hidden_block_count_x
      - .offset:         148
        .size:           4
        .value_kind:     hidden_block_count_y
      - .offset:         152
        .size:           4
        .value_kind:     hidden_block_count_z
      - .offset:         156
        .size:           2
        .value_kind:     hidden_group_size_x
      - .offset:         158
        .size:           2
        .value_kind:     hidden_group_size_y
      - .offset:         160
        .size:           2
        .value_kind:     hidden_group_size_z
      - .offset:         162
        .size:           2
        .value_kind:     hidden_remainder_x
      - .offset:         164
        .size:           2
        .value_kind:     hidden_remainder_y
      - .offset:         166
        .size:           2
        .value_kind:     hidden_remainder_z
      - .offset:         184
        .size:           8
        .value_kind:     hidden_global_offset_x
      - .offset:         192
        .size:           8
        .value_kind:     hidden_global_offset_y
      - .offset:         200
        .size:           8
        .value_kind:     hidden_global_offset_z
      - .offset:         208
        .size:           2
        .value_kind:     hidden_grid_dims
    .group_segment_fixed_size: 8192
    .kernarg_segment_align: 8
    .kernarg_segment_size: 400
    .language:       OpenCL C
    .language_version:
      - 2
      - 0
    .max_flat_workgroup_size: 256
    .name:           _Z39paged_attention_ll4mi_QKV_mfma16_kernelI14__hip_bfloat16hLN4vllm18Fp8KVCacheDataTypeE1EhLi16ELi64ELi256ELb0ELi15EEvPKT_PKT0_S8_ifPKiSA_SA_iPKfiiiPfSD_PS3_PT2_iSC_SC_
    .private_segment_fixed_size: 0
    .sgpr_count:     56
    .sgpr_spill_count: 0
    .symbol:         _Z39paged_attention_ll4mi_QKV_mfma16_kernelI14__hip_bfloat16hLN4vllm18Fp8KVCacheDataTypeE1EhLi16ELi64ELi256ELb0ELi15EEvPKT_PKT0_S8_ifPKiSA_SA_iPKfiiiPfSD_PS3_PT2_iSC_SC_.kd
    .uniform_work_group_size: 1
    .uses_dynamic_stack: false
    .vgpr_count:     58
    .vgpr_spill_count: 0
    .wavefront_size: 64
  - .agpr_count:     0
    .args:
      - .actual_access:  read_only
        .address_space:  global
        .offset:         0
        .size:           8
        .value_kind:     global_buffer
      - .actual_access:  read_only
        .address_space:  global
        .offset:         8
        .size:           8
        .value_kind:     global_buffer
      - .actual_access:  read_only
        .address_space:  global
        .offset:         16
        .size:           8
        .value_kind:     global_buffer
      - .offset:         24
        .size:           4
        .value_kind:     by_value
      - .offset:         28
        .size:           4
        .value_kind:     by_value
      - .actual_access:  read_only
        .address_space:  global
        .offset:         32
        .size:           8
        .value_kind:     global_buffer
      - .actual_access:  read_only
        .address_space:  global
        .offset:         40
        .size:           8
        .value_kind:     global_buffer
      - .actual_access:  read_only
        .address_space:  global
        .offset:         48
        .size:           8
        .value_kind:     global_buffer
      - .offset:         56
        .size:           4
        .value_kind:     by_value
      - .actual_access:  read_only
        .address_space:  global
        .offset:         64
        .size:           8
        .value_kind:     global_buffer
      - .offset:         72
        .size:           4
        .value_kind:     by_value
      - .offset:         76
        .size:           4
        .value_kind:     by_value
      - .offset:         80
        .size:           4
        .value_kind:     by_value
      - .actual_access:  write_only
        .address_space:  global
        .offset:         88
        .size:           8
        .value_kind:     global_buffer
      - .actual_access:  write_only
        .address_space:  global
        .offset:         96
        .size:           8
        .value_kind:     global_buffer
      - .actual_access:  write_only
        .address_space:  global
        .offset:         104
        .size:           8
        .value_kind:     global_buffer
      - .actual_access:  read_only
        .address_space:  global
        .offset:         112
        .size:           8
        .value_kind:     global_buffer
      - .offset:         120
        .size:           4
        .value_kind:     by_value
      - .address_space:  global
        .offset:         128
        .size:           8
        .value_kind:     global_buffer
      - .address_space:  global
        .offset:         136
        .size:           8
        .value_kind:     global_buffer
      - .offset:         144
        .size:           4
        .value_kind:     hidden_block_count_x
      - .offset:         148
        .size:           4
        .value_kind:     hidden_block_count_y
      - .offset:         152
        .size:           4
        .value_kind:     hidden_block_count_z
      - .offset:         156
        .size:           2
        .value_kind:     hidden_group_size_x
      - .offset:         158
        .size:           2
        .value_kind:     hidden_group_size_y
      - .offset:         160
        .size:           2
        .value_kind:     hidden_group_size_z
      - .offset:         162
        .size:           2
        .value_kind:     hidden_remainder_x
      - .offset:         164
        .size:           2
        .value_kind:     hidden_remainder_y
      - .offset:         166
        .size:           2
        .value_kind:     hidden_remainder_z
      - .offset:         184
        .size:           8
        .value_kind:     hidden_global_offset_x
      - .offset:         192
        .size:           8
        .value_kind:     hidden_global_offset_y
      - .offset:         200
        .size:           8
        .value_kind:     hidden_global_offset_z
      - .offset:         208
        .size:           2
        .value_kind:     hidden_grid_dims
    .group_segment_fixed_size: 8192
    .kernarg_segment_align: 8
    .kernarg_segment_size: 400
    .language:       OpenCL C
    .language_version:
      - 2
      - 0
    .max_flat_workgroup_size: 256
    .name:           _Z39paged_attention_ll4mi_QKV_mfma16_kernelI14__hip_bfloat16hLN4vllm18Fp8KVCacheDataTypeE1EhLi16ELi64ELi256ELb0ELi16EEvPKT_PKT0_S8_ifPKiSA_SA_iPKfiiiPfSD_PS3_PT2_iSC_SC_
    .private_segment_fixed_size: 0
    .sgpr_count:     55
    .sgpr_spill_count: 0
    .symbol:         _Z39paged_attention_ll4mi_QKV_mfma16_kernelI14__hip_bfloat16hLN4vllm18Fp8KVCacheDataTypeE1EhLi16ELi64ELi256ELb0ELi16EEvPKT_PKT0_S8_ifPKiSA_SA_iPKfiiiPfSD_PS3_PT2_iSC_SC_.kd
    .uniform_work_group_size: 1
    .uses_dynamic_stack: false
    .vgpr_count:     60
    .vgpr_spill_count: 0
    .wavefront_size: 64
  - .agpr_count:     0
    .args:
      - .actual_access:  read_only
        .address_space:  global
        .offset:         0
        .size:           8
        .value_kind:     global_buffer
      - .actual_access:  read_only
        .address_space:  global
        .offset:         8
        .size:           8
        .value_kind:     global_buffer
      - .actual_access:  read_only
        .address_space:  global
        .offset:         16
        .size:           8
        .value_kind:     global_buffer
      - .offset:         24
        .size:           4
        .value_kind:     by_value
      - .offset:         28
        .size:           4
        .value_kind:     by_value
      - .actual_access:  read_only
        .address_space:  global
        .offset:         32
        .size:           8
        .value_kind:     global_buffer
      - .actual_access:  read_only
        .address_space:  global
        .offset:         40
        .size:           8
        .value_kind:     global_buffer
      - .actual_access:  read_only
        .address_space:  global
        .offset:         48
        .size:           8
        .value_kind:     global_buffer
      - .offset:         56
        .size:           4
        .value_kind:     by_value
      - .actual_access:  read_only
        .address_space:  global
        .offset:         64
        .size:           8
        .value_kind:     global_buffer
      - .offset:         72
        .size:           4
        .value_kind:     by_value
      - .offset:         76
        .size:           4
        .value_kind:     by_value
      - .offset:         80
        .size:           4
        .value_kind:     by_value
      - .actual_access:  write_only
        .address_space:  global
        .offset:         88
        .size:           8
        .value_kind:     global_buffer
      - .actual_access:  write_only
        .address_space:  global
        .offset:         96
        .size:           8
        .value_kind:     global_buffer
      - .actual_access:  write_only
        .address_space:  global
        .offset:         104
        .size:           8
        .value_kind:     global_buffer
      - .actual_access:  read_only
        .address_space:  global
        .offset:         112
        .size:           8
        .value_kind:     global_buffer
      - .offset:         120
        .size:           4
        .value_kind:     by_value
      - .address_space:  global
        .offset:         128
        .size:           8
        .value_kind:     global_buffer
      - .address_space:  global
        .offset:         136
        .size:           8
        .value_kind:     global_buffer
      - .offset:         144
        .size:           4
        .value_kind:     hidden_block_count_x
      - .offset:         148
        .size:           4
        .value_kind:     hidden_block_count_y
      - .offset:         152
        .size:           4
        .value_kind:     hidden_block_count_z
      - .offset:         156
        .size:           2
        .value_kind:     hidden_group_size_x
      - .offset:         158
        .size:           2
        .value_kind:     hidden_group_size_y
      - .offset:         160
        .size:           2
        .value_kind:     hidden_group_size_z
      - .offset:         162
        .size:           2
        .value_kind:     hidden_remainder_x
      - .offset:         164
        .size:           2
        .value_kind:     hidden_remainder_y
      - .offset:         166
        .size:           2
        .value_kind:     hidden_remainder_z
      - .offset:         184
        .size:           8
        .value_kind:     hidden_global_offset_x
      - .offset:         192
        .size:           8
        .value_kind:     hidden_global_offset_y
      - .offset:         200
        .size:           8
        .value_kind:     hidden_global_offset_z
      - .offset:         208
        .size:           2
        .value_kind:     hidden_grid_dims
    .group_segment_fixed_size: 8192
    .kernarg_segment_align: 8
    .kernarg_segment_size: 400
    .language:       OpenCL C
    .language_version:
      - 2
      - 0
    .max_flat_workgroup_size: 256
    .name:           _Z39paged_attention_ll4mi_QKV_mfma16_kernelI14__hip_bfloat16hLN4vllm18Fp8KVCacheDataTypeE1EhLi16ELi64ELi256ELb0ELi1EEvPKT_PKT0_S8_ifPKiSA_SA_iPKfiiiPfSD_PS3_PT2_iSC_SC_
    .private_segment_fixed_size: 0
    .sgpr_count:     55
    .sgpr_spill_count: 0
    .symbol:         _Z39paged_attention_ll4mi_QKV_mfma16_kernelI14__hip_bfloat16hLN4vllm18Fp8KVCacheDataTypeE1EhLi16ELi64ELi256ELb0ELi1EEvPKT_PKT0_S8_ifPKiSA_SA_iPKfiiiPfSD_PS3_PT2_iSC_SC_.kd
    .uniform_work_group_size: 1
    .uses_dynamic_stack: false
    .vgpr_count:     59
    .vgpr_spill_count: 0
    .wavefront_size: 64
  - .agpr_count:     0
    .args:
      - .actual_access:  read_only
        .address_space:  global
        .offset:         0
        .size:           8
        .value_kind:     global_buffer
      - .actual_access:  read_only
        .address_space:  global
        .offset:         8
        .size:           8
        .value_kind:     global_buffer
      - .actual_access:  read_only
        .address_space:  global
        .offset:         16
        .size:           8
        .value_kind:     global_buffer
      - .offset:         24
        .size:           4
        .value_kind:     by_value
      - .offset:         28
        .size:           4
        .value_kind:     by_value
      - .actual_access:  read_only
        .address_space:  global
        .offset:         32
        .size:           8
        .value_kind:     global_buffer
      - .actual_access:  read_only
        .address_space:  global
        .offset:         40
        .size:           8
        .value_kind:     global_buffer
      - .actual_access:  read_only
        .address_space:  global
        .offset:         48
        .size:           8
        .value_kind:     global_buffer
      - .offset:         56
        .size:           4
        .value_kind:     by_value
      - .actual_access:  read_only
        .address_space:  global
        .offset:         64
        .size:           8
        .value_kind:     global_buffer
      - .offset:         72
        .size:           4
        .value_kind:     by_value
      - .offset:         76
        .size:           4
        .value_kind:     by_value
      - .offset:         80
        .size:           4
        .value_kind:     by_value
      - .actual_access:  write_only
        .address_space:  global
        .offset:         88
        .size:           8
        .value_kind:     global_buffer
      - .actual_access:  write_only
        .address_space:  global
        .offset:         96
        .size:           8
        .value_kind:     global_buffer
      - .actual_access:  write_only
        .address_space:  global
        .offset:         104
        .size:           8
        .value_kind:     global_buffer
      - .actual_access:  read_only
        .address_space:  global
        .offset:         112
        .size:           8
        .value_kind:     global_buffer
      - .offset:         120
        .size:           4
        .value_kind:     by_value
      - .address_space:  global
        .offset:         128
        .size:           8
        .value_kind:     global_buffer
      - .address_space:  global
        .offset:         136
        .size:           8
        .value_kind:     global_buffer
      - .offset:         144
        .size:           4
        .value_kind:     hidden_block_count_x
      - .offset:         148
        .size:           4
        .value_kind:     hidden_block_count_y
      - .offset:         152
        .size:           4
        .value_kind:     hidden_block_count_z
      - .offset:         156
        .size:           2
        .value_kind:     hidden_group_size_x
      - .offset:         158
        .size:           2
        .value_kind:     hidden_group_size_y
      - .offset:         160
        .size:           2
        .value_kind:     hidden_group_size_z
      - .offset:         162
        .size:           2
        .value_kind:     hidden_remainder_x
      - .offset:         164
        .size:           2
        .value_kind:     hidden_remainder_y
      - .offset:         166
        .size:           2
        .value_kind:     hidden_remainder_z
      - .offset:         184
        .size:           8
        .value_kind:     hidden_global_offset_x
      - .offset:         192
        .size:           8
        .value_kind:     hidden_global_offset_y
      - .offset:         200
        .size:           8
        .value_kind:     hidden_global_offset_z
      - .offset:         208
        .size:           2
        .value_kind:     hidden_grid_dims
    .group_segment_fixed_size: 8192
    .kernarg_segment_align: 8
    .kernarg_segment_size: 400
    .language:       OpenCL C
    .language_version:
      - 2
      - 0
    .max_flat_workgroup_size: 256
    .name:           _Z39paged_attention_ll4mi_QKV_mfma16_kernelI14__hip_bfloat16hLN4vllm18Fp8KVCacheDataTypeE1EhLi16ELi64ELi256ELb0ELi2EEvPKT_PKT0_S8_ifPKiSA_SA_iPKfiiiPfSD_PS3_PT2_iSC_SC_
    .private_segment_fixed_size: 0
    .sgpr_count:     55
    .sgpr_spill_count: 0
    .symbol:         _Z39paged_attention_ll4mi_QKV_mfma16_kernelI14__hip_bfloat16hLN4vllm18Fp8KVCacheDataTypeE1EhLi16ELi64ELi256ELb0ELi2EEvPKT_PKT0_S8_ifPKiSA_SA_iPKfiiiPfSD_PS3_PT2_iSC_SC_.kd
    .uniform_work_group_size: 1
    .uses_dynamic_stack: false
    .vgpr_count:     58
    .vgpr_spill_count: 0
    .wavefront_size: 64
  - .agpr_count:     0
    .args:
      - .actual_access:  read_only
        .address_space:  global
        .offset:         0
        .size:           8
        .value_kind:     global_buffer
      - .actual_access:  read_only
        .address_space:  global
        .offset:         8
        .size:           8
        .value_kind:     global_buffer
      - .actual_access:  read_only
        .address_space:  global
        .offset:         16
        .size:           8
        .value_kind:     global_buffer
      - .offset:         24
        .size:           4
        .value_kind:     by_value
      - .offset:         28
        .size:           4
        .value_kind:     by_value
      - .actual_access:  read_only
        .address_space:  global
        .offset:         32
        .size:           8
        .value_kind:     global_buffer
      - .actual_access:  read_only
        .address_space:  global
        .offset:         40
        .size:           8
        .value_kind:     global_buffer
      - .actual_access:  read_only
        .address_space:  global
        .offset:         48
        .size:           8
        .value_kind:     global_buffer
      - .offset:         56
        .size:           4
        .value_kind:     by_value
      - .actual_access:  read_only
        .address_space:  global
        .offset:         64
        .size:           8
        .value_kind:     global_buffer
      - .offset:         72
        .size:           4
        .value_kind:     by_value
      - .offset:         76
        .size:           4
        .value_kind:     by_value
      - .offset:         80
        .size:           4
        .value_kind:     by_value
      - .actual_access:  write_only
        .address_space:  global
        .offset:         88
        .size:           8
        .value_kind:     global_buffer
      - .actual_access:  write_only
        .address_space:  global
        .offset:         96
        .size:           8
        .value_kind:     global_buffer
      - .actual_access:  write_only
        .address_space:  global
        .offset:         104
        .size:           8
        .value_kind:     global_buffer
      - .actual_access:  read_only
        .address_space:  global
        .offset:         112
        .size:           8
        .value_kind:     global_buffer
      - .offset:         120
        .size:           4
        .value_kind:     by_value
      - .address_space:  global
        .offset:         128
        .size:           8
        .value_kind:     global_buffer
      - .address_space:  global
        .offset:         136
        .size:           8
        .value_kind:     global_buffer
      - .offset:         144
        .size:           4
        .value_kind:     hidden_block_count_x
      - .offset:         148
        .size:           4
        .value_kind:     hidden_block_count_y
      - .offset:         152
        .size:           4
        .value_kind:     hidden_block_count_z
      - .offset:         156
        .size:           2
        .value_kind:     hidden_group_size_x
      - .offset:         158
        .size:           2
        .value_kind:     hidden_group_size_y
      - .offset:         160
        .size:           2
        .value_kind:     hidden_group_size_z
      - .offset:         162
        .size:           2
        .value_kind:     hidden_remainder_x
      - .offset:         164
        .size:           2
        .value_kind:     hidden_remainder_y
      - .offset:         166
        .size:           2
        .value_kind:     hidden_remainder_z
      - .offset:         184
        .size:           8
        .value_kind:     hidden_global_offset_x
      - .offset:         192
        .size:           8
        .value_kind:     hidden_global_offset_y
      - .offset:         200
        .size:           8
        .value_kind:     hidden_global_offset_z
      - .offset:         208
        .size:           2
        .value_kind:     hidden_grid_dims
    .group_segment_fixed_size: 8192
    .kernarg_segment_align: 8
    .kernarg_segment_size: 400
    .language:       OpenCL C
    .language_version:
      - 2
      - 0
    .max_flat_workgroup_size: 256
    .name:           _Z39paged_attention_ll4mi_QKV_mfma16_kernelI14__hip_bfloat16hLN4vllm18Fp8KVCacheDataTypeE1EhLi16ELi64ELi256ELb0ELi3EEvPKT_PKT0_S8_ifPKiSA_SA_iPKfiiiPfSD_PS3_PT2_iSC_SC_
    .private_segment_fixed_size: 0
    .sgpr_count:     56
    .sgpr_spill_count: 0
    .symbol:         _Z39paged_attention_ll4mi_QKV_mfma16_kernelI14__hip_bfloat16hLN4vllm18Fp8KVCacheDataTypeE1EhLi16ELi64ELi256ELb0ELi3EEvPKT_PKT0_S8_ifPKiSA_SA_iPKfiiiPfSD_PS3_PT2_iSC_SC_.kd
    .uniform_work_group_size: 1
    .uses_dynamic_stack: false
    .vgpr_count:     60
    .vgpr_spill_count: 0
    .wavefront_size: 64
  - .agpr_count:     0
    .args:
      - .actual_access:  read_only
        .address_space:  global
        .offset:         0
        .size:           8
        .value_kind:     global_buffer
      - .actual_access:  read_only
        .address_space:  global
        .offset:         8
        .size:           8
        .value_kind:     global_buffer
      - .actual_access:  read_only
        .address_space:  global
        .offset:         16
        .size:           8
        .value_kind:     global_buffer
      - .offset:         24
        .size:           4
        .value_kind:     by_value
      - .offset:         28
        .size:           4
        .value_kind:     by_value
      - .actual_access:  read_only
        .address_space:  global
        .offset:         32
        .size:           8
        .value_kind:     global_buffer
      - .actual_access:  read_only
        .address_space:  global
        .offset:         40
        .size:           8
        .value_kind:     global_buffer
      - .actual_access:  read_only
        .address_space:  global
        .offset:         48
        .size:           8
        .value_kind:     global_buffer
      - .offset:         56
        .size:           4
        .value_kind:     by_value
      - .actual_access:  read_only
        .address_space:  global
        .offset:         64
        .size:           8
        .value_kind:     global_buffer
      - .offset:         72
        .size:           4
        .value_kind:     by_value
      - .offset:         76
        .size:           4
        .value_kind:     by_value
      - .offset:         80
        .size:           4
        .value_kind:     by_value
      - .actual_access:  write_only
        .address_space:  global
        .offset:         88
        .size:           8
        .value_kind:     global_buffer
      - .actual_access:  write_only
        .address_space:  global
        .offset:         96
        .size:           8
        .value_kind:     global_buffer
      - .actual_access:  write_only
        .address_space:  global
        .offset:         104
        .size:           8
        .value_kind:     global_buffer
      - .actual_access:  read_only
        .address_space:  global
        .offset:         112
        .size:           8
        .value_kind:     global_buffer
      - .offset:         120
        .size:           4
        .value_kind:     by_value
      - .address_space:  global
        .offset:         128
        .size:           8
        .value_kind:     global_buffer
      - .address_space:  global
        .offset:         136
        .size:           8
        .value_kind:     global_buffer
      - .offset:         144
        .size:           4
        .value_kind:     hidden_block_count_x
      - .offset:         148
        .size:           4
        .value_kind:     hidden_block_count_y
      - .offset:         152
        .size:           4
        .value_kind:     hidden_block_count_z
      - .offset:         156
        .size:           2
        .value_kind:     hidden_group_size_x
      - .offset:         158
        .size:           2
        .value_kind:     hidden_group_size_y
      - .offset:         160
        .size:           2
        .value_kind:     hidden_group_size_z
      - .offset:         162
        .size:           2
        .value_kind:     hidden_remainder_x
      - .offset:         164
        .size:           2
        .value_kind:     hidden_remainder_y
      - .offset:         166
        .size:           2
        .value_kind:     hidden_remainder_z
      - .offset:         184
        .size:           8
        .value_kind:     hidden_global_offset_x
      - .offset:         192
        .size:           8
        .value_kind:     hidden_global_offset_y
      - .offset:         200
        .size:           8
        .value_kind:     hidden_global_offset_z
      - .offset:         208
        .size:           2
        .value_kind:     hidden_grid_dims
    .group_segment_fixed_size: 8192
    .kernarg_segment_align: 8
    .kernarg_segment_size: 400
    .language:       OpenCL C
    .language_version:
      - 2
      - 0
    .max_flat_workgroup_size: 256
    .name:           _Z39paged_attention_ll4mi_QKV_mfma16_kernelI14__hip_bfloat16hLN4vllm18Fp8KVCacheDataTypeE1EhLi16ELi64ELi256ELb0ELi4EEvPKT_PKT0_S8_ifPKiSA_SA_iPKfiiiPfSD_PS3_PT2_iSC_SC_
    .private_segment_fixed_size: 0
    .sgpr_count:     56
    .sgpr_spill_count: 0
    .symbol:         _Z39paged_attention_ll4mi_QKV_mfma16_kernelI14__hip_bfloat16hLN4vllm18Fp8KVCacheDataTypeE1EhLi16ELi64ELi256ELb0ELi4EEvPKT_PKT0_S8_ifPKiSA_SA_iPKfiiiPfSD_PS3_PT2_iSC_SC_.kd
    .uniform_work_group_size: 1
    .uses_dynamic_stack: false
    .vgpr_count:     60
    .vgpr_spill_count: 0
    .wavefront_size: 64
  - .agpr_count:     4
    .args:
      - .actual_access:  read_only
        .address_space:  global
        .offset:         0
        .size:           8
        .value_kind:     global_buffer
      - .actual_access:  read_only
        .address_space:  global
        .offset:         8
        .size:           8
        .value_kind:     global_buffer
      - .actual_access:  read_only
        .address_space:  global
        .offset:         16
        .size:           8
        .value_kind:     global_buffer
      - .offset:         24
        .size:           4
        .value_kind:     by_value
      - .offset:         28
        .size:           4
        .value_kind:     by_value
      - .actual_access:  read_only
        .address_space:  global
        .offset:         32
        .size:           8
        .value_kind:     global_buffer
      - .actual_access:  read_only
        .address_space:  global
        .offset:         40
        .size:           8
        .value_kind:     global_buffer
      - .actual_access:  read_only
        .address_space:  global
        .offset:         48
        .size:           8
        .value_kind:     global_buffer
      - .offset:         56
        .size:           4
        .value_kind:     by_value
      - .actual_access:  read_only
        .address_space:  global
        .offset:         64
        .size:           8
        .value_kind:     global_buffer
      - .offset:         72
        .size:           4
        .value_kind:     by_value
      - .offset:         76
        .size:           4
        .value_kind:     by_value
      - .offset:         80
        .size:           4
        .value_kind:     by_value
      - .actual_access:  write_only
        .address_space:  global
        .offset:         88
        .size:           8
        .value_kind:     global_buffer
      - .actual_access:  write_only
        .address_space:  global
        .offset:         96
        .size:           8
        .value_kind:     global_buffer
      - .actual_access:  write_only
        .address_space:  global
        .offset:         104
        .size:           8
        .value_kind:     global_buffer
      - .actual_access:  read_only
        .address_space:  global
        .offset:         112
        .size:           8
        .value_kind:     global_buffer
      - .offset:         120
        .size:           4
        .value_kind:     by_value
      - .address_space:  global
        .offset:         128
        .size:           8
        .value_kind:     global_buffer
      - .address_space:  global
        .offset:         136
        .size:           8
        .value_kind:     global_buffer
      - .offset:         144
        .size:           4
        .value_kind:     hidden_block_count_x
      - .offset:         148
        .size:           4
        .value_kind:     hidden_block_count_y
      - .offset:         152
        .size:           4
        .value_kind:     hidden_block_count_z
      - .offset:         156
        .size:           2
        .value_kind:     hidden_group_size_x
      - .offset:         158
        .size:           2
        .value_kind:     hidden_group_size_y
      - .offset:         160
        .size:           2
        .value_kind:     hidden_group_size_z
      - .offset:         162
        .size:           2
        .value_kind:     hidden_remainder_x
      - .offset:         164
        .size:           2
        .value_kind:     hidden_remainder_y
      - .offset:         166
        .size:           2
        .value_kind:     hidden_remainder_z
      - .offset:         184
        .size:           8
        .value_kind:     hidden_global_offset_x
      - .offset:         192
        .size:           8
        .value_kind:     hidden_global_offset_y
      - .offset:         200
        .size:           8
        .value_kind:     hidden_global_offset_z
      - .offset:         208
        .size:           2
        .value_kind:     hidden_grid_dims
    .group_segment_fixed_size: 2720
    .kernarg_segment_align: 8
    .kernarg_segment_size: 400
    .language:       OpenCL C
    .language_version:
      - 2
      - 0
    .max_flat_workgroup_size: 256
    .name:           _Z38paged_attention_ll4mi_QKV_mfma4_kernelI14__hip_bfloat16hLN4vllm18Fp8KVCacheDataTypeE1ES0_Li16ELi64ELi256ELb1ELi1EEvPKT_PKT0_S8_ifPKiSA_SA_iPKfiiiPfSD_PS3_PT2_iSC_SC_
    .private_segment_fixed_size: 0
    .sgpr_count:     48
    .sgpr_spill_count: 0
    .symbol:         _Z38paged_attention_ll4mi_QKV_mfma4_kernelI14__hip_bfloat16hLN4vllm18Fp8KVCacheDataTypeE1ES0_Li16ELi64ELi256ELb1ELi1EEvPKT_PKT0_S8_ifPKiSA_SA_iPKfiiiPfSD_PS3_PT2_iSC_SC_.kd
    .uniform_work_group_size: 1
    .uses_dynamic_stack: false
    .vgpr_count:     52
    .vgpr_spill_count: 0
    .wavefront_size: 64
  - .agpr_count:     4
    .args:
      - .actual_access:  read_only
        .address_space:  global
        .offset:         0
        .size:           8
        .value_kind:     global_buffer
      - .actual_access:  read_only
        .address_space:  global
        .offset:         8
        .size:           8
        .value_kind:     global_buffer
      - .actual_access:  read_only
        .address_space:  global
        .offset:         16
        .size:           8
        .value_kind:     global_buffer
      - .offset:         24
        .size:           4
        .value_kind:     by_value
      - .offset:         28
        .size:           4
        .value_kind:     by_value
      - .actual_access:  read_only
        .address_space:  global
        .offset:         32
        .size:           8
        .value_kind:     global_buffer
      - .actual_access:  read_only
        .address_space:  global
        .offset:         40
        .size:           8
        .value_kind:     global_buffer
      - .actual_access:  read_only
        .address_space:  global
        .offset:         48
        .size:           8
        .value_kind:     global_buffer
      - .offset:         56
        .size:           4
        .value_kind:     by_value
      - .actual_access:  read_only
        .address_space:  global
        .offset:         64
        .size:           8
        .value_kind:     global_buffer
      - .offset:         72
        .size:           4
        .value_kind:     by_value
      - .offset:         76
        .size:           4
        .value_kind:     by_value
      - .offset:         80
        .size:           4
        .value_kind:     by_value
      - .actual_access:  write_only
        .address_space:  global
        .offset:         88
        .size:           8
        .value_kind:     global_buffer
      - .actual_access:  write_only
        .address_space:  global
        .offset:         96
        .size:           8
        .value_kind:     global_buffer
      - .actual_access:  write_only
        .address_space:  global
        .offset:         104
        .size:           8
        .value_kind:     global_buffer
      - .actual_access:  read_only
        .address_space:  global
        .offset:         112
        .size:           8
        .value_kind:     global_buffer
      - .offset:         120
        .size:           4
        .value_kind:     by_value
      - .address_space:  global
        .offset:         128
        .size:           8
        .value_kind:     global_buffer
      - .address_space:  global
        .offset:         136
        .size:           8
        .value_kind:     global_buffer
      - .offset:         144
        .size:           4
        .value_kind:     hidden_block_count_x
      - .offset:         148
        .size:           4
        .value_kind:     hidden_block_count_y
      - .offset:         152
        .size:           4
        .value_kind:     hidden_block_count_z
      - .offset:         156
        .size:           2
        .value_kind:     hidden_group_size_x
      - .offset:         158
        .size:           2
        .value_kind:     hidden_group_size_y
      - .offset:         160
        .size:           2
        .value_kind:     hidden_group_size_z
      - .offset:         162
        .size:           2
        .value_kind:     hidden_remainder_x
      - .offset:         164
        .size:           2
        .value_kind:     hidden_remainder_y
      - .offset:         166
        .size:           2
        .value_kind:     hidden_remainder_z
      - .offset:         184
        .size:           8
        .value_kind:     hidden_global_offset_x
      - .offset:         192
        .size:           8
        .value_kind:     hidden_global_offset_y
      - .offset:         200
        .size:           8
        .value_kind:     hidden_global_offset_z
      - .offset:         208
        .size:           2
        .value_kind:     hidden_grid_dims
    .group_segment_fixed_size: 2720
    .kernarg_segment_align: 8
    .kernarg_segment_size: 400
    .language:       OpenCL C
    .language_version:
      - 2
      - 0
    .max_flat_workgroup_size: 256
    .name:           _Z38paged_attention_ll4mi_QKV_mfma4_kernelI14__hip_bfloat16hLN4vllm18Fp8KVCacheDataTypeE1ES0_Li16ELi64ELi256ELb1ELi2EEvPKT_PKT0_S8_ifPKiSA_SA_iPKfiiiPfSD_PS3_PT2_iSC_SC_
    .private_segment_fixed_size: 0
    .sgpr_count:     50
    .sgpr_spill_count: 0
    .symbol:         _Z38paged_attention_ll4mi_QKV_mfma4_kernelI14__hip_bfloat16hLN4vllm18Fp8KVCacheDataTypeE1ES0_Li16ELi64ELi256ELb1ELi2EEvPKT_PKT0_S8_ifPKiSA_SA_iPKfiiiPfSD_PS3_PT2_iSC_SC_.kd
    .uniform_work_group_size: 1
    .uses_dynamic_stack: false
    .vgpr_count:     52
    .vgpr_spill_count: 0
    .wavefront_size: 64
  - .agpr_count:     4
    .args:
      - .actual_access:  read_only
        .address_space:  global
        .offset:         0
        .size:           8
        .value_kind:     global_buffer
      - .actual_access:  read_only
        .address_space:  global
        .offset:         8
        .size:           8
        .value_kind:     global_buffer
      - .actual_access:  read_only
        .address_space:  global
        .offset:         16
        .size:           8
        .value_kind:     global_buffer
      - .offset:         24
        .size:           4
        .value_kind:     by_value
      - .offset:         28
        .size:           4
        .value_kind:     by_value
      - .actual_access:  read_only
        .address_space:  global
        .offset:         32
        .size:           8
        .value_kind:     global_buffer
      - .actual_access:  read_only
        .address_space:  global
        .offset:         40
        .size:           8
        .value_kind:     global_buffer
      - .actual_access:  read_only
        .address_space:  global
        .offset:         48
        .size:           8
        .value_kind:     global_buffer
      - .offset:         56
        .size:           4
        .value_kind:     by_value
      - .actual_access:  read_only
        .address_space:  global
        .offset:         64
        .size:           8
        .value_kind:     global_buffer
      - .offset:         72
        .size:           4
        .value_kind:     by_value
      - .offset:         76
        .size:           4
        .value_kind:     by_value
      - .offset:         80
        .size:           4
        .value_kind:     by_value
      - .actual_access:  write_only
        .address_space:  global
        .offset:         88
        .size:           8
        .value_kind:     global_buffer
      - .actual_access:  write_only
        .address_space:  global
        .offset:         96
        .size:           8
        .value_kind:     global_buffer
      - .actual_access:  write_only
        .address_space:  global
        .offset:         104
        .size:           8
        .value_kind:     global_buffer
      - .actual_access:  read_only
        .address_space:  global
        .offset:         112
        .size:           8
        .value_kind:     global_buffer
      - .offset:         120
        .size:           4
        .value_kind:     by_value
      - .address_space:  global
        .offset:         128
        .size:           8
        .value_kind:     global_buffer
      - .address_space:  global
        .offset:         136
        .size:           8
        .value_kind:     global_buffer
      - .offset:         144
        .size:           4
        .value_kind:     hidden_block_count_x
      - .offset:         148
        .size:           4
        .value_kind:     hidden_block_count_y
      - .offset:         152
        .size:           4
        .value_kind:     hidden_block_count_z
      - .offset:         156
        .size:           2
        .value_kind:     hidden_group_size_x
      - .offset:         158
        .size:           2
        .value_kind:     hidden_group_size_y
      - .offset:         160
        .size:           2
        .value_kind:     hidden_group_size_z
      - .offset:         162
        .size:           2
        .value_kind:     hidden_remainder_x
      - .offset:         164
        .size:           2
        .value_kind:     hidden_remainder_y
      - .offset:         166
        .size:           2
        .value_kind:     hidden_remainder_z
      - .offset:         184
        .size:           8
        .value_kind:     hidden_global_offset_x
      - .offset:         192
        .size:           8
        .value_kind:     hidden_global_offset_y
      - .offset:         200
        .size:           8
        .value_kind:     hidden_global_offset_z
      - .offset:         208
        .size:           2
        .value_kind:     hidden_grid_dims
    .group_segment_fixed_size: 2720
    .kernarg_segment_align: 8
    .kernarg_segment_size: 400
    .language:       OpenCL C
    .language_version:
      - 2
      - 0
    .max_flat_workgroup_size: 256
    .name:           _Z38paged_attention_ll4mi_QKV_mfma4_kernelI14__hip_bfloat16hLN4vllm18Fp8KVCacheDataTypeE1ES0_Li16ELi64ELi256ELb1ELi3EEvPKT_PKT0_S8_ifPKiSA_SA_iPKfiiiPfSD_PS3_PT2_iSC_SC_
    .private_segment_fixed_size: 0
    .sgpr_count:     50
    .sgpr_spill_count: 0
    .symbol:         _Z38paged_attention_ll4mi_QKV_mfma4_kernelI14__hip_bfloat16hLN4vllm18Fp8KVCacheDataTypeE1ES0_Li16ELi64ELi256ELb1ELi3EEvPKT_PKT0_S8_ifPKiSA_SA_iPKfiiiPfSD_PS3_PT2_iSC_SC_.kd
    .uniform_work_group_size: 1
    .uses_dynamic_stack: false
    .vgpr_count:     52
    .vgpr_spill_count: 0
    .wavefront_size: 64
  - .agpr_count:     4
    .args:
      - .actual_access:  read_only
        .address_space:  global
        .offset:         0
        .size:           8
        .value_kind:     global_buffer
      - .actual_access:  read_only
        .address_space:  global
        .offset:         8
        .size:           8
        .value_kind:     global_buffer
      - .actual_access:  read_only
        .address_space:  global
        .offset:         16
        .size:           8
        .value_kind:     global_buffer
      - .offset:         24
        .size:           4
        .value_kind:     by_value
      - .offset:         28
        .size:           4
        .value_kind:     by_value
      - .actual_access:  read_only
        .address_space:  global
        .offset:         32
        .size:           8
        .value_kind:     global_buffer
      - .actual_access:  read_only
        .address_space:  global
        .offset:         40
        .size:           8
        .value_kind:     global_buffer
      - .actual_access:  read_only
        .address_space:  global
        .offset:         48
        .size:           8
        .value_kind:     global_buffer
      - .offset:         56
        .size:           4
        .value_kind:     by_value
      - .actual_access:  read_only
        .address_space:  global
        .offset:         64
        .size:           8
        .value_kind:     global_buffer
      - .offset:         72
        .size:           4
        .value_kind:     by_value
      - .offset:         76
        .size:           4
        .value_kind:     by_value
      - .offset:         80
        .size:           4
        .value_kind:     by_value
      - .actual_access:  write_only
        .address_space:  global
        .offset:         88
        .size:           8
        .value_kind:     global_buffer
      - .actual_access:  write_only
        .address_space:  global
        .offset:         96
        .size:           8
        .value_kind:     global_buffer
      - .actual_access:  write_only
        .address_space:  global
        .offset:         104
        .size:           8
        .value_kind:     global_buffer
      - .actual_access:  read_only
        .address_space:  global
        .offset:         112
        .size:           8
        .value_kind:     global_buffer
      - .offset:         120
        .size:           4
        .value_kind:     by_value
      - .address_space:  global
        .offset:         128
        .size:           8
        .value_kind:     global_buffer
      - .address_space:  global
        .offset:         136
        .size:           8
        .value_kind:     global_buffer
      - .offset:         144
        .size:           4
        .value_kind:     hidden_block_count_x
      - .offset:         148
        .size:           4
        .value_kind:     hidden_block_count_y
      - .offset:         152
        .size:           4
        .value_kind:     hidden_block_count_z
      - .offset:         156
        .size:           2
        .value_kind:     hidden_group_size_x
      - .offset:         158
        .size:           2
        .value_kind:     hidden_group_size_y
      - .offset:         160
        .size:           2
        .value_kind:     hidden_group_size_z
      - .offset:         162
        .size:           2
        .value_kind:     hidden_remainder_x
      - .offset:         164
        .size:           2
        .value_kind:     hidden_remainder_y
      - .offset:         166
        .size:           2
        .value_kind:     hidden_remainder_z
      - .offset:         184
        .size:           8
        .value_kind:     hidden_global_offset_x
      - .offset:         192
        .size:           8
        .value_kind:     hidden_global_offset_y
      - .offset:         200
        .size:           8
        .value_kind:     hidden_global_offset_z
      - .offset:         208
        .size:           2
        .value_kind:     hidden_grid_dims
    .group_segment_fixed_size: 2720
    .kernarg_segment_align: 8
    .kernarg_segment_size: 400
    .language:       OpenCL C
    .language_version:
      - 2
      - 0
    .max_flat_workgroup_size: 256
    .name:           _Z38paged_attention_ll4mi_QKV_mfma4_kernelI14__hip_bfloat16hLN4vllm18Fp8KVCacheDataTypeE1ES0_Li16ELi64ELi256ELb1ELi4EEvPKT_PKT0_S8_ifPKiSA_SA_iPKfiiiPfSD_PS3_PT2_iSC_SC_
    .private_segment_fixed_size: 0
    .sgpr_count:     51
    .sgpr_spill_count: 0
    .symbol:         _Z38paged_attention_ll4mi_QKV_mfma4_kernelI14__hip_bfloat16hLN4vllm18Fp8KVCacheDataTypeE1ES0_Li16ELi64ELi256ELb1ELi4EEvPKT_PKT0_S8_ifPKiSA_SA_iPKfiiiPfSD_PS3_PT2_iSC_SC_.kd
    .uniform_work_group_size: 1
    .uses_dynamic_stack: false
    .vgpr_count:     80
    .vgpr_spill_count: 0
    .wavefront_size: 64
  - .agpr_count:     0
    .args:
      - .actual_access:  read_only
        .address_space:  global
        .offset:         0
        .size:           8
        .value_kind:     global_buffer
      - .actual_access:  read_only
        .address_space:  global
        .offset:         8
        .size:           8
        .value_kind:     global_buffer
      - .actual_access:  read_only
        .address_space:  global
        .offset:         16
        .size:           8
        .value_kind:     global_buffer
      - .offset:         24
        .size:           4
        .value_kind:     by_value
      - .offset:         28
        .size:           4
        .value_kind:     by_value
      - .actual_access:  read_only
        .address_space:  global
        .offset:         32
        .size:           8
        .value_kind:     global_buffer
      - .actual_access:  read_only
        .address_space:  global
        .offset:         40
        .size:           8
        .value_kind:     global_buffer
      - .actual_access:  read_only
        .address_space:  global
        .offset:         48
        .size:           8
        .value_kind:     global_buffer
      - .offset:         56
        .size:           4
        .value_kind:     by_value
      - .actual_access:  read_only
        .address_space:  global
        .offset:         64
        .size:           8
        .value_kind:     global_buffer
      - .offset:         72
        .size:           4
        .value_kind:     by_value
      - .offset:         76
        .size:           4
        .value_kind:     by_value
      - .offset:         80
        .size:           4
        .value_kind:     by_value
      - .actual_access:  write_only
        .address_space:  global
        .offset:         88
        .size:           8
        .value_kind:     global_buffer
      - .actual_access:  write_only
        .address_space:  global
        .offset:         96
        .size:           8
        .value_kind:     global_buffer
      - .actual_access:  write_only
        .address_space:  global
        .offset:         104
        .size:           8
        .value_kind:     global_buffer
      - .actual_access:  read_only
        .address_space:  global
        .offset:         112
        .size:           8
        .value_kind:     global_buffer
      - .offset:         120
        .size:           4
        .value_kind:     by_value
      - .address_space:  global
        .offset:         128
        .size:           8
        .value_kind:     global_buffer
      - .address_space:  global
        .offset:         136
        .size:           8
        .value_kind:     global_buffer
      - .offset:         144
        .size:           4
        .value_kind:     hidden_block_count_x
      - .offset:         148
        .size:           4
        .value_kind:     hidden_block_count_y
      - .offset:         152
        .size:           4
        .value_kind:     hidden_block_count_z
      - .offset:         156
        .size:           2
        .value_kind:     hidden_group_size_x
      - .offset:         158
        .size:           2
        .value_kind:     hidden_group_size_y
      - .offset:         160
        .size:           2
        .value_kind:     hidden_group_size_z
      - .offset:         162
        .size:           2
        .value_kind:     hidden_remainder_x
      - .offset:         164
        .size:           2
        .value_kind:     hidden_remainder_y
      - .offset:         166
        .size:           2
        .value_kind:     hidden_remainder_z
      - .offset:         184
        .size:           8
        .value_kind:     hidden_global_offset_x
      - .offset:         192
        .size:           8
        .value_kind:     hidden_global_offset_y
      - .offset:         200
        .size:           8
        .value_kind:     hidden_global_offset_z
      - .offset:         208
        .size:           2
        .value_kind:     hidden_grid_dims
    .group_segment_fixed_size: 8192
    .kernarg_segment_align: 8
    .kernarg_segment_size: 400
    .language:       OpenCL C
    .language_version:
      - 2
      - 0
    .max_flat_workgroup_size: 256
    .name:           _Z39paged_attention_ll4mi_QKV_mfma16_kernelI14__hip_bfloat16hLN4vllm18Fp8KVCacheDataTypeE1ES0_Li16ELi64ELi256ELb1ELi5EEvPKT_PKT0_S8_ifPKiSA_SA_iPKfiiiPfSD_PS3_PT2_iSC_SC_
    .private_segment_fixed_size: 0
    .sgpr_count:     56
    .sgpr_spill_count: 0
    .symbol:         _Z39paged_attention_ll4mi_QKV_mfma16_kernelI14__hip_bfloat16hLN4vllm18Fp8KVCacheDataTypeE1ES0_Li16ELi64ELi256ELb1ELi5EEvPKT_PKT0_S8_ifPKiSA_SA_iPKfiiiPfSD_PS3_PT2_iSC_SC_.kd
    .uniform_work_group_size: 1
    .uses_dynamic_stack: false
    .vgpr_count:     67
    .vgpr_spill_count: 0
    .wavefront_size: 64
  - .agpr_count:     0
    .args:
      - .actual_access:  read_only
        .address_space:  global
        .offset:         0
        .size:           8
        .value_kind:     global_buffer
      - .actual_access:  read_only
        .address_space:  global
        .offset:         8
        .size:           8
        .value_kind:     global_buffer
      - .actual_access:  read_only
        .address_space:  global
        .offset:         16
        .size:           8
        .value_kind:     global_buffer
      - .offset:         24
        .size:           4
        .value_kind:     by_value
      - .offset:         28
        .size:           4
        .value_kind:     by_value
      - .actual_access:  read_only
        .address_space:  global
        .offset:         32
        .size:           8
        .value_kind:     global_buffer
      - .actual_access:  read_only
        .address_space:  global
        .offset:         40
        .size:           8
        .value_kind:     global_buffer
      - .actual_access:  read_only
        .address_space:  global
        .offset:         48
        .size:           8
        .value_kind:     global_buffer
      - .offset:         56
        .size:           4
        .value_kind:     by_value
      - .actual_access:  read_only
        .address_space:  global
        .offset:         64
        .size:           8
        .value_kind:     global_buffer
      - .offset:         72
        .size:           4
        .value_kind:     by_value
      - .offset:         76
        .size:           4
        .value_kind:     by_value
      - .offset:         80
        .size:           4
        .value_kind:     by_value
      - .actual_access:  write_only
        .address_space:  global
        .offset:         88
        .size:           8
        .value_kind:     global_buffer
      - .actual_access:  write_only
        .address_space:  global
        .offset:         96
        .size:           8
        .value_kind:     global_buffer
      - .actual_access:  write_only
        .address_space:  global
        .offset:         104
        .size:           8
        .value_kind:     global_buffer
      - .actual_access:  read_only
        .address_space:  global
        .offset:         112
        .size:           8
        .value_kind:     global_buffer
      - .offset:         120
        .size:           4
        .value_kind:     by_value
      - .address_space:  global
        .offset:         128
        .size:           8
        .value_kind:     global_buffer
      - .address_space:  global
        .offset:         136
        .size:           8
        .value_kind:     global_buffer
      - .offset:         144
        .size:           4
        .value_kind:     hidden_block_count_x
      - .offset:         148
        .size:           4
        .value_kind:     hidden_block_count_y
      - .offset:         152
        .size:           4
        .value_kind:     hidden_block_count_z
      - .offset:         156
        .size:           2
        .value_kind:     hidden_group_size_x
      - .offset:         158
        .size:           2
        .value_kind:     hidden_group_size_y
      - .offset:         160
        .size:           2
        .value_kind:     hidden_group_size_z
      - .offset:         162
        .size:           2
        .value_kind:     hidden_remainder_x
      - .offset:         164
        .size:           2
        .value_kind:     hidden_remainder_y
      - .offset:         166
        .size:           2
        .value_kind:     hidden_remainder_z
      - .offset:         184
        .size:           8
        .value_kind:     hidden_global_offset_x
      - .offset:         192
        .size:           8
        .value_kind:     hidden_global_offset_y
      - .offset:         200
        .size:           8
        .value_kind:     hidden_global_offset_z
      - .offset:         208
        .size:           2
        .value_kind:     hidden_grid_dims
    .group_segment_fixed_size: 8192
    .kernarg_segment_align: 8
    .kernarg_segment_size: 400
    .language:       OpenCL C
    .language_version:
      - 2
      - 0
    .max_flat_workgroup_size: 256
    .name:           _Z39paged_attention_ll4mi_QKV_mfma16_kernelI14__hip_bfloat16hLN4vllm18Fp8KVCacheDataTypeE1ES0_Li16ELi64ELi256ELb1ELi6EEvPKT_PKT0_S8_ifPKiSA_SA_iPKfiiiPfSD_PS3_PT2_iSC_SC_
    .private_segment_fixed_size: 0
    .sgpr_count:     56
    .sgpr_spill_count: 0
    .symbol:         _Z39paged_attention_ll4mi_QKV_mfma16_kernelI14__hip_bfloat16hLN4vllm18Fp8KVCacheDataTypeE1ES0_Li16ELi64ELi256ELb1ELi6EEvPKT_PKT0_S8_ifPKiSA_SA_iPKfiiiPfSD_PS3_PT2_iSC_SC_.kd
    .uniform_work_group_size: 1
    .uses_dynamic_stack: false
    .vgpr_count:     67
    .vgpr_spill_count: 0
    .wavefront_size: 64
  - .agpr_count:     0
    .args:
      - .actual_access:  read_only
        .address_space:  global
        .offset:         0
        .size:           8
        .value_kind:     global_buffer
      - .actual_access:  read_only
        .address_space:  global
        .offset:         8
        .size:           8
        .value_kind:     global_buffer
      - .actual_access:  read_only
        .address_space:  global
        .offset:         16
        .size:           8
        .value_kind:     global_buffer
      - .offset:         24
        .size:           4
        .value_kind:     by_value
      - .offset:         28
        .size:           4
        .value_kind:     by_value
      - .actual_access:  read_only
        .address_space:  global
        .offset:         32
        .size:           8
        .value_kind:     global_buffer
      - .actual_access:  read_only
        .address_space:  global
        .offset:         40
        .size:           8
        .value_kind:     global_buffer
      - .actual_access:  read_only
        .address_space:  global
        .offset:         48
        .size:           8
        .value_kind:     global_buffer
      - .offset:         56
        .size:           4
        .value_kind:     by_value
      - .actual_access:  read_only
        .address_space:  global
        .offset:         64
        .size:           8
        .value_kind:     global_buffer
      - .offset:         72
        .size:           4
        .value_kind:     by_value
      - .offset:         76
        .size:           4
        .value_kind:     by_value
      - .offset:         80
        .size:           4
        .value_kind:     by_value
      - .actual_access:  write_only
        .address_space:  global
        .offset:         88
        .size:           8
        .value_kind:     global_buffer
      - .actual_access:  write_only
        .address_space:  global
        .offset:         96
        .size:           8
        .value_kind:     global_buffer
      - .actual_access:  write_only
        .address_space:  global
        .offset:         104
        .size:           8
        .value_kind:     global_buffer
      - .actual_access:  read_only
        .address_space:  global
        .offset:         112
        .size:           8
        .value_kind:     global_buffer
      - .offset:         120
        .size:           4
        .value_kind:     by_value
      - .address_space:  global
        .offset:         128
        .size:           8
        .value_kind:     global_buffer
      - .address_space:  global
        .offset:         136
        .size:           8
        .value_kind:     global_buffer
      - .offset:         144
        .size:           4
        .value_kind:     hidden_block_count_x
      - .offset:         148
        .size:           4
        .value_kind:     hidden_block_count_y
      - .offset:         152
        .size:           4
        .value_kind:     hidden_block_count_z
      - .offset:         156
        .size:           2
        .value_kind:     hidden_group_size_x
      - .offset:         158
        .size:           2
        .value_kind:     hidden_group_size_y
      - .offset:         160
        .size:           2
        .value_kind:     hidden_group_size_z
      - .offset:         162
        .size:           2
        .value_kind:     hidden_remainder_x
      - .offset:         164
        .size:           2
        .value_kind:     hidden_remainder_y
      - .offset:         166
        .size:           2
        .value_kind:     hidden_remainder_z
      - .offset:         184
        .size:           8
        .value_kind:     hidden_global_offset_x
      - .offset:         192
        .size:           8
        .value_kind:     hidden_global_offset_y
      - .offset:         200
        .size:           8
        .value_kind:     hidden_global_offset_z
      - .offset:         208
        .size:           2
        .value_kind:     hidden_grid_dims
    .group_segment_fixed_size: 8192
    .kernarg_segment_align: 8
    .kernarg_segment_size: 400
    .language:       OpenCL C
    .language_version:
      - 2
      - 0
    .max_flat_workgroup_size: 256
    .name:           _Z39paged_attention_ll4mi_QKV_mfma16_kernelI14__hip_bfloat16hLN4vllm18Fp8KVCacheDataTypeE1ES0_Li16ELi64ELi256ELb1ELi7EEvPKT_PKT0_S8_ifPKiSA_SA_iPKfiiiPfSD_PS3_PT2_iSC_SC_
    .private_segment_fixed_size: 0
    .sgpr_count:     56
    .sgpr_spill_count: 0
    .symbol:         _Z39paged_attention_ll4mi_QKV_mfma16_kernelI14__hip_bfloat16hLN4vllm18Fp8KVCacheDataTypeE1ES0_Li16ELi64ELi256ELb1ELi7EEvPKT_PKT0_S8_ifPKiSA_SA_iPKfiiiPfSD_PS3_PT2_iSC_SC_.kd
    .uniform_work_group_size: 1
    .uses_dynamic_stack: false
    .vgpr_count:     67
    .vgpr_spill_count: 0
    .wavefront_size: 64
  - .agpr_count:     0
    .args:
      - .actual_access:  read_only
        .address_space:  global
        .offset:         0
        .size:           8
        .value_kind:     global_buffer
      - .actual_access:  read_only
        .address_space:  global
        .offset:         8
        .size:           8
        .value_kind:     global_buffer
      - .actual_access:  read_only
        .address_space:  global
        .offset:         16
        .size:           8
        .value_kind:     global_buffer
      - .offset:         24
        .size:           4
        .value_kind:     by_value
      - .offset:         28
        .size:           4
        .value_kind:     by_value
      - .actual_access:  read_only
        .address_space:  global
        .offset:         32
        .size:           8
        .value_kind:     global_buffer
      - .actual_access:  read_only
        .address_space:  global
        .offset:         40
        .size:           8
        .value_kind:     global_buffer
      - .actual_access:  read_only
        .address_space:  global
        .offset:         48
        .size:           8
        .value_kind:     global_buffer
      - .offset:         56
        .size:           4
        .value_kind:     by_value
      - .actual_access:  read_only
        .address_space:  global
        .offset:         64
        .size:           8
        .value_kind:     global_buffer
      - .offset:         72
        .size:           4
        .value_kind:     by_value
      - .offset:         76
        .size:           4
        .value_kind:     by_value
      - .offset:         80
        .size:           4
        .value_kind:     by_value
      - .actual_access:  write_only
        .address_space:  global
        .offset:         88
        .size:           8
        .value_kind:     global_buffer
      - .actual_access:  write_only
        .address_space:  global
        .offset:         96
        .size:           8
        .value_kind:     global_buffer
      - .actual_access:  write_only
        .address_space:  global
        .offset:         104
        .size:           8
        .value_kind:     global_buffer
      - .actual_access:  read_only
        .address_space:  global
        .offset:         112
        .size:           8
        .value_kind:     global_buffer
      - .offset:         120
        .size:           4
        .value_kind:     by_value
      - .address_space:  global
        .offset:         128
        .size:           8
        .value_kind:     global_buffer
      - .address_space:  global
        .offset:         136
        .size:           8
        .value_kind:     global_buffer
      - .offset:         144
        .size:           4
        .value_kind:     hidden_block_count_x
      - .offset:         148
        .size:           4
        .value_kind:     hidden_block_count_y
      - .offset:         152
        .size:           4
        .value_kind:     hidden_block_count_z
      - .offset:         156
        .size:           2
        .value_kind:     hidden_group_size_x
      - .offset:         158
        .size:           2
        .value_kind:     hidden_group_size_y
      - .offset:         160
        .size:           2
        .value_kind:     hidden_group_size_z
      - .offset:         162
        .size:           2
        .value_kind:     hidden_remainder_x
      - .offset:         164
        .size:           2
        .value_kind:     hidden_remainder_y
      - .offset:         166
        .size:           2
        .value_kind:     hidden_remainder_z
      - .offset:         184
        .size:           8
        .value_kind:     hidden_global_offset_x
      - .offset:         192
        .size:           8
        .value_kind:     hidden_global_offset_y
      - .offset:         200
        .size:           8
        .value_kind:     hidden_global_offset_z
      - .offset:         208
        .size:           2
        .value_kind:     hidden_grid_dims
    .group_segment_fixed_size: 8192
    .kernarg_segment_align: 8
    .kernarg_segment_size: 400
    .language:       OpenCL C
    .language_version:
      - 2
      - 0
    .max_flat_workgroup_size: 256
    .name:           _Z39paged_attention_ll4mi_QKV_mfma16_kernelI14__hip_bfloat16hLN4vllm18Fp8KVCacheDataTypeE1ES0_Li16ELi64ELi256ELb1ELi8EEvPKT_PKT0_S8_ifPKiSA_SA_iPKfiiiPfSD_PS3_PT2_iSC_SC_
    .private_segment_fixed_size: 0
    .sgpr_count:     54
    .sgpr_spill_count: 0
    .symbol:         _Z39paged_attention_ll4mi_QKV_mfma16_kernelI14__hip_bfloat16hLN4vllm18Fp8KVCacheDataTypeE1ES0_Li16ELi64ELi256ELb1ELi8EEvPKT_PKT0_S8_ifPKiSA_SA_iPKfiiiPfSD_PS3_PT2_iSC_SC_.kd
    .uniform_work_group_size: 1
    .uses_dynamic_stack: false
    .vgpr_count:     70
    .vgpr_spill_count: 0
    .wavefront_size: 64
  - .agpr_count:     0
    .args:
      - .actual_access:  read_only
        .address_space:  global
        .offset:         0
        .size:           8
        .value_kind:     global_buffer
      - .actual_access:  read_only
        .address_space:  global
        .offset:         8
        .size:           8
        .value_kind:     global_buffer
      - .actual_access:  read_only
        .address_space:  global
        .offset:         16
        .size:           8
        .value_kind:     global_buffer
      - .offset:         24
        .size:           4
        .value_kind:     by_value
      - .offset:         28
        .size:           4
        .value_kind:     by_value
      - .actual_access:  read_only
        .address_space:  global
        .offset:         32
        .size:           8
        .value_kind:     global_buffer
      - .actual_access:  read_only
        .address_space:  global
        .offset:         40
        .size:           8
        .value_kind:     global_buffer
      - .actual_access:  read_only
        .address_space:  global
        .offset:         48
        .size:           8
        .value_kind:     global_buffer
      - .offset:         56
        .size:           4
        .value_kind:     by_value
      - .actual_access:  read_only
        .address_space:  global
        .offset:         64
        .size:           8
        .value_kind:     global_buffer
      - .offset:         72
        .size:           4
        .value_kind:     by_value
      - .offset:         76
        .size:           4
        .value_kind:     by_value
      - .offset:         80
        .size:           4
        .value_kind:     by_value
      - .actual_access:  write_only
        .address_space:  global
        .offset:         88
        .size:           8
        .value_kind:     global_buffer
      - .actual_access:  write_only
        .address_space:  global
        .offset:         96
        .size:           8
        .value_kind:     global_buffer
      - .actual_access:  write_only
        .address_space:  global
        .offset:         104
        .size:           8
        .value_kind:     global_buffer
      - .actual_access:  read_only
        .address_space:  global
        .offset:         112
        .size:           8
        .value_kind:     global_buffer
      - .offset:         120
        .size:           4
        .value_kind:     by_value
      - .address_space:  global
        .offset:         128
        .size:           8
        .value_kind:     global_buffer
      - .address_space:  global
        .offset:         136
        .size:           8
        .value_kind:     global_buffer
      - .offset:         144
        .size:           4
        .value_kind:     hidden_block_count_x
      - .offset:         148
        .size:           4
        .value_kind:     hidden_block_count_y
      - .offset:         152
        .size:           4
        .value_kind:     hidden_block_count_z
      - .offset:         156
        .size:           2
        .value_kind:     hidden_group_size_x
      - .offset:         158
        .size:           2
        .value_kind:     hidden_group_size_y
      - .offset:         160
        .size:           2
        .value_kind:     hidden_group_size_z
      - .offset:         162
        .size:           2
        .value_kind:     hidden_remainder_x
      - .offset:         164
        .size:           2
        .value_kind:     hidden_remainder_y
      - .offset:         166
        .size:           2
        .value_kind:     hidden_remainder_z
      - .offset:         184
        .size:           8
        .value_kind:     hidden_global_offset_x
      - .offset:         192
        .size:           8
        .value_kind:     hidden_global_offset_y
      - .offset:         200
        .size:           8
        .value_kind:     hidden_global_offset_z
      - .offset:         208
        .size:           2
        .value_kind:     hidden_grid_dims
    .group_segment_fixed_size: 8192
    .kernarg_segment_align: 8
    .kernarg_segment_size: 400
    .language:       OpenCL C
    .language_version:
      - 2
      - 0
    .max_flat_workgroup_size: 256
    .name:           _Z39paged_attention_ll4mi_QKV_mfma16_kernelI14__hip_bfloat16hLN4vllm18Fp8KVCacheDataTypeE1ES0_Li16ELi64ELi256ELb1ELi9EEvPKT_PKT0_S8_ifPKiSA_SA_iPKfiiiPfSD_PS3_PT2_iSC_SC_
    .private_segment_fixed_size: 0
    .sgpr_count:     56
    .sgpr_spill_count: 0
    .symbol:         _Z39paged_attention_ll4mi_QKV_mfma16_kernelI14__hip_bfloat16hLN4vllm18Fp8KVCacheDataTypeE1ES0_Li16ELi64ELi256ELb1ELi9EEvPKT_PKT0_S8_ifPKiSA_SA_iPKfiiiPfSD_PS3_PT2_iSC_SC_.kd
    .uniform_work_group_size: 1
    .uses_dynamic_stack: false
    .vgpr_count:     67
    .vgpr_spill_count: 0
    .wavefront_size: 64
  - .agpr_count:     0
    .args:
      - .actual_access:  read_only
        .address_space:  global
        .offset:         0
        .size:           8
        .value_kind:     global_buffer
      - .actual_access:  read_only
        .address_space:  global
        .offset:         8
        .size:           8
        .value_kind:     global_buffer
      - .actual_access:  read_only
        .address_space:  global
        .offset:         16
        .size:           8
        .value_kind:     global_buffer
      - .offset:         24
        .size:           4
        .value_kind:     by_value
      - .offset:         28
        .size:           4
        .value_kind:     by_value
      - .actual_access:  read_only
        .address_space:  global
        .offset:         32
        .size:           8
        .value_kind:     global_buffer
      - .actual_access:  read_only
        .address_space:  global
        .offset:         40
        .size:           8
        .value_kind:     global_buffer
      - .actual_access:  read_only
        .address_space:  global
        .offset:         48
        .size:           8
        .value_kind:     global_buffer
      - .offset:         56
        .size:           4
        .value_kind:     by_value
      - .actual_access:  read_only
        .address_space:  global
        .offset:         64
        .size:           8
        .value_kind:     global_buffer
      - .offset:         72
        .size:           4
        .value_kind:     by_value
      - .offset:         76
        .size:           4
        .value_kind:     by_value
      - .offset:         80
        .size:           4
        .value_kind:     by_value
      - .actual_access:  write_only
        .address_space:  global
        .offset:         88
        .size:           8
        .value_kind:     global_buffer
      - .actual_access:  write_only
        .address_space:  global
        .offset:         96
        .size:           8
        .value_kind:     global_buffer
      - .actual_access:  write_only
        .address_space:  global
        .offset:         104
        .size:           8
        .value_kind:     global_buffer
      - .actual_access:  read_only
        .address_space:  global
        .offset:         112
        .size:           8
        .value_kind:     global_buffer
      - .offset:         120
        .size:           4
        .value_kind:     by_value
      - .address_space:  global
        .offset:         128
        .size:           8
        .value_kind:     global_buffer
      - .address_space:  global
        .offset:         136
        .size:           8
        .value_kind:     global_buffer
      - .offset:         144
        .size:           4
        .value_kind:     hidden_block_count_x
      - .offset:         148
        .size:           4
        .value_kind:     hidden_block_count_y
      - .offset:         152
        .size:           4
        .value_kind:     hidden_block_count_z
      - .offset:         156
        .size:           2
        .value_kind:     hidden_group_size_x
      - .offset:         158
        .size:           2
        .value_kind:     hidden_group_size_y
      - .offset:         160
        .size:           2
        .value_kind:     hidden_group_size_z
      - .offset:         162
        .size:           2
        .value_kind:     hidden_remainder_x
      - .offset:         164
        .size:           2
        .value_kind:     hidden_remainder_y
      - .offset:         166
        .size:           2
        .value_kind:     hidden_remainder_z
      - .offset:         184
        .size:           8
        .value_kind:     hidden_global_offset_x
      - .offset:         192
        .size:           8
        .value_kind:     hidden_global_offset_y
      - .offset:         200
        .size:           8
        .value_kind:     hidden_global_offset_z
      - .offset:         208
        .size:           2
        .value_kind:     hidden_grid_dims
    .group_segment_fixed_size: 8192
    .kernarg_segment_align: 8
    .kernarg_segment_size: 400
    .language:       OpenCL C
    .language_version:
      - 2
      - 0
    .max_flat_workgroup_size: 256
    .name:           _Z39paged_attention_ll4mi_QKV_mfma16_kernelI14__hip_bfloat16hLN4vllm18Fp8KVCacheDataTypeE1ES0_Li16ELi64ELi256ELb1ELi10EEvPKT_PKT0_S8_ifPKiSA_SA_iPKfiiiPfSD_PS3_PT2_iSC_SC_
    .private_segment_fixed_size: 0
    .sgpr_count:     56
    .sgpr_spill_count: 0
    .symbol:         _Z39paged_attention_ll4mi_QKV_mfma16_kernelI14__hip_bfloat16hLN4vllm18Fp8KVCacheDataTypeE1ES0_Li16ELi64ELi256ELb1ELi10EEvPKT_PKT0_S8_ifPKiSA_SA_iPKfiiiPfSD_PS3_PT2_iSC_SC_.kd
    .uniform_work_group_size: 1
    .uses_dynamic_stack: false
    .vgpr_count:     67
    .vgpr_spill_count: 0
    .wavefront_size: 64
  - .agpr_count:     0
    .args:
      - .actual_access:  read_only
        .address_space:  global
        .offset:         0
        .size:           8
        .value_kind:     global_buffer
      - .actual_access:  read_only
        .address_space:  global
        .offset:         8
        .size:           8
        .value_kind:     global_buffer
      - .actual_access:  read_only
        .address_space:  global
        .offset:         16
        .size:           8
        .value_kind:     global_buffer
      - .offset:         24
        .size:           4
        .value_kind:     by_value
      - .offset:         28
        .size:           4
        .value_kind:     by_value
      - .actual_access:  read_only
        .address_space:  global
        .offset:         32
        .size:           8
        .value_kind:     global_buffer
      - .actual_access:  read_only
        .address_space:  global
        .offset:         40
        .size:           8
        .value_kind:     global_buffer
      - .actual_access:  read_only
        .address_space:  global
        .offset:         48
        .size:           8
        .value_kind:     global_buffer
      - .offset:         56
        .size:           4
        .value_kind:     by_value
      - .actual_access:  read_only
        .address_space:  global
        .offset:         64
        .size:           8
        .value_kind:     global_buffer
      - .offset:         72
        .size:           4
        .value_kind:     by_value
      - .offset:         76
        .size:           4
        .value_kind:     by_value
      - .offset:         80
        .size:           4
        .value_kind:     by_value
      - .actual_access:  write_only
        .address_space:  global
        .offset:         88
        .size:           8
        .value_kind:     global_buffer
      - .actual_access:  write_only
        .address_space:  global
        .offset:         96
        .size:           8
        .value_kind:     global_buffer
      - .actual_access:  write_only
        .address_space:  global
        .offset:         104
        .size:           8
        .value_kind:     global_buffer
      - .actual_access:  read_only
        .address_space:  global
        .offset:         112
        .size:           8
        .value_kind:     global_buffer
      - .offset:         120
        .size:           4
        .value_kind:     by_value
      - .address_space:  global
        .offset:         128
        .size:           8
        .value_kind:     global_buffer
      - .address_space:  global
        .offset:         136
        .size:           8
        .value_kind:     global_buffer
      - .offset:         144
        .size:           4
        .value_kind:     hidden_block_count_x
      - .offset:         148
        .size:           4
        .value_kind:     hidden_block_count_y
      - .offset:         152
        .size:           4
        .value_kind:     hidden_block_count_z
      - .offset:         156
        .size:           2
        .value_kind:     hidden_group_size_x
      - .offset:         158
        .size:           2
        .value_kind:     hidden_group_size_y
      - .offset:         160
        .size:           2
        .value_kind:     hidden_group_size_z
      - .offset:         162
        .size:           2
        .value_kind:     hidden_remainder_x
      - .offset:         164
        .size:           2
        .value_kind:     hidden_remainder_y
      - .offset:         166
        .size:           2
        .value_kind:     hidden_remainder_z
      - .offset:         184
        .size:           8
        .value_kind:     hidden_global_offset_x
      - .offset:         192
        .size:           8
        .value_kind:     hidden_global_offset_y
      - .offset:         200
        .size:           8
        .value_kind:     hidden_global_offset_z
      - .offset:         208
        .size:           2
        .value_kind:     hidden_grid_dims
    .group_segment_fixed_size: 8192
    .kernarg_segment_align: 8
    .kernarg_segment_size: 400
    .language:       OpenCL C
    .language_version:
      - 2
      - 0
    .max_flat_workgroup_size: 256
    .name:           _Z39paged_attention_ll4mi_QKV_mfma16_kernelI14__hip_bfloat16hLN4vllm18Fp8KVCacheDataTypeE1ES0_Li16ELi64ELi256ELb1ELi11EEvPKT_PKT0_S8_ifPKiSA_SA_iPKfiiiPfSD_PS3_PT2_iSC_SC_
    .private_segment_fixed_size: 0
    .sgpr_count:     56
    .sgpr_spill_count: 0
    .symbol:         _Z39paged_attention_ll4mi_QKV_mfma16_kernelI14__hip_bfloat16hLN4vllm18Fp8KVCacheDataTypeE1ES0_Li16ELi64ELi256ELb1ELi11EEvPKT_PKT0_S8_ifPKiSA_SA_iPKfiiiPfSD_PS3_PT2_iSC_SC_.kd
    .uniform_work_group_size: 1
    .uses_dynamic_stack: false
    .vgpr_count:     67
    .vgpr_spill_count: 0
    .wavefront_size: 64
  - .agpr_count:     0
    .args:
      - .actual_access:  read_only
        .address_space:  global
        .offset:         0
        .size:           8
        .value_kind:     global_buffer
      - .actual_access:  read_only
        .address_space:  global
        .offset:         8
        .size:           8
        .value_kind:     global_buffer
      - .actual_access:  read_only
        .address_space:  global
        .offset:         16
        .size:           8
        .value_kind:     global_buffer
      - .offset:         24
        .size:           4
        .value_kind:     by_value
      - .offset:         28
        .size:           4
        .value_kind:     by_value
      - .actual_access:  read_only
        .address_space:  global
        .offset:         32
        .size:           8
        .value_kind:     global_buffer
      - .actual_access:  read_only
        .address_space:  global
        .offset:         40
        .size:           8
        .value_kind:     global_buffer
      - .actual_access:  read_only
        .address_space:  global
        .offset:         48
        .size:           8
        .value_kind:     global_buffer
      - .offset:         56
        .size:           4
        .value_kind:     by_value
      - .actual_access:  read_only
        .address_space:  global
        .offset:         64
        .size:           8
        .value_kind:     global_buffer
      - .offset:         72
        .size:           4
        .value_kind:     by_value
      - .offset:         76
        .size:           4
        .value_kind:     by_value
      - .offset:         80
        .size:           4
        .value_kind:     by_value
      - .actual_access:  write_only
        .address_space:  global
        .offset:         88
        .size:           8
        .value_kind:     global_buffer
      - .actual_access:  write_only
        .address_space:  global
        .offset:         96
        .size:           8
        .value_kind:     global_buffer
      - .actual_access:  write_only
        .address_space:  global
        .offset:         104
        .size:           8
        .value_kind:     global_buffer
      - .actual_access:  read_only
        .address_space:  global
        .offset:         112
        .size:           8
        .value_kind:     global_buffer
      - .offset:         120
        .size:           4
        .value_kind:     by_value
      - .address_space:  global
        .offset:         128
        .size:           8
        .value_kind:     global_buffer
      - .address_space:  global
        .offset:         136
        .size:           8
        .value_kind:     global_buffer
      - .offset:         144
        .size:           4
        .value_kind:     hidden_block_count_x
      - .offset:         148
        .size:           4
        .value_kind:     hidden_block_count_y
      - .offset:         152
        .size:           4
        .value_kind:     hidden_block_count_z
      - .offset:         156
        .size:           2
        .value_kind:     hidden_group_size_x
      - .offset:         158
        .size:           2
        .value_kind:     hidden_group_size_y
      - .offset:         160
        .size:           2
        .value_kind:     hidden_group_size_z
      - .offset:         162
        .size:           2
        .value_kind:     hidden_remainder_x
      - .offset:         164
        .size:           2
        .value_kind:     hidden_remainder_y
      - .offset:         166
        .size:           2
        .value_kind:     hidden_remainder_z
      - .offset:         184
        .size:           8
        .value_kind:     hidden_global_offset_x
      - .offset:         192
        .size:           8
        .value_kind:     hidden_global_offset_y
      - .offset:         200
        .size:           8
        .value_kind:     hidden_global_offset_z
      - .offset:         208
        .size:           2
        .value_kind:     hidden_grid_dims
    .group_segment_fixed_size: 8192
    .kernarg_segment_align: 8
    .kernarg_segment_size: 400
    .language:       OpenCL C
    .language_version:
      - 2
      - 0
    .max_flat_workgroup_size: 256
    .name:           _Z39paged_attention_ll4mi_QKV_mfma16_kernelI14__hip_bfloat16hLN4vllm18Fp8KVCacheDataTypeE1ES0_Li16ELi64ELi256ELb1ELi12EEvPKT_PKT0_S8_ifPKiSA_SA_iPKfiiiPfSD_PS3_PT2_iSC_SC_
    .private_segment_fixed_size: 0
    .sgpr_count:     56
    .sgpr_spill_count: 0
    .symbol:         _Z39paged_attention_ll4mi_QKV_mfma16_kernelI14__hip_bfloat16hLN4vllm18Fp8KVCacheDataTypeE1ES0_Li16ELi64ELi256ELb1ELi12EEvPKT_PKT0_S8_ifPKiSA_SA_iPKfiiiPfSD_PS3_PT2_iSC_SC_.kd
    .uniform_work_group_size: 1
    .uses_dynamic_stack: false
    .vgpr_count:     67
    .vgpr_spill_count: 0
    .wavefront_size: 64
  - .agpr_count:     0
    .args:
      - .actual_access:  read_only
        .address_space:  global
        .offset:         0
        .size:           8
        .value_kind:     global_buffer
      - .actual_access:  read_only
        .address_space:  global
        .offset:         8
        .size:           8
        .value_kind:     global_buffer
      - .actual_access:  read_only
        .address_space:  global
        .offset:         16
        .size:           8
        .value_kind:     global_buffer
      - .offset:         24
        .size:           4
        .value_kind:     by_value
      - .offset:         28
        .size:           4
        .value_kind:     by_value
      - .actual_access:  read_only
        .address_space:  global
        .offset:         32
        .size:           8
        .value_kind:     global_buffer
      - .actual_access:  read_only
        .address_space:  global
        .offset:         40
        .size:           8
        .value_kind:     global_buffer
      - .actual_access:  read_only
        .address_space:  global
        .offset:         48
        .size:           8
        .value_kind:     global_buffer
      - .offset:         56
        .size:           4
        .value_kind:     by_value
      - .actual_access:  read_only
        .address_space:  global
        .offset:         64
        .size:           8
        .value_kind:     global_buffer
      - .offset:         72
        .size:           4
        .value_kind:     by_value
      - .offset:         76
        .size:           4
        .value_kind:     by_value
      - .offset:         80
        .size:           4
        .value_kind:     by_value
      - .actual_access:  write_only
        .address_space:  global
        .offset:         88
        .size:           8
        .value_kind:     global_buffer
      - .actual_access:  write_only
        .address_space:  global
        .offset:         96
        .size:           8
        .value_kind:     global_buffer
      - .actual_access:  write_only
        .address_space:  global
        .offset:         104
        .size:           8
        .value_kind:     global_buffer
      - .actual_access:  read_only
        .address_space:  global
        .offset:         112
        .size:           8
        .value_kind:     global_buffer
      - .offset:         120
        .size:           4
        .value_kind:     by_value
      - .address_space:  global
        .offset:         128
        .size:           8
        .value_kind:     global_buffer
      - .address_space:  global
        .offset:         136
        .size:           8
        .value_kind:     global_buffer
      - .offset:         144
        .size:           4
        .value_kind:     hidden_block_count_x
      - .offset:         148
        .size:           4
        .value_kind:     hidden_block_count_y
      - .offset:         152
        .size:           4
        .value_kind:     hidden_block_count_z
      - .offset:         156
        .size:           2
        .value_kind:     hidden_group_size_x
      - .offset:         158
        .size:           2
        .value_kind:     hidden_group_size_y
      - .offset:         160
        .size:           2
        .value_kind:     hidden_group_size_z
      - .offset:         162
        .size:           2
        .value_kind:     hidden_remainder_x
      - .offset:         164
        .size:           2
        .value_kind:     hidden_remainder_y
      - .offset:         166
        .size:           2
        .value_kind:     hidden_remainder_z
      - .offset:         184
        .size:           8
        .value_kind:     hidden_global_offset_x
      - .offset:         192
        .size:           8
        .value_kind:     hidden_global_offset_y
      - .offset:         200
        .size:           8
        .value_kind:     hidden_global_offset_z
      - .offset:         208
        .size:           2
        .value_kind:     hidden_grid_dims
    .group_segment_fixed_size: 8192
    .kernarg_segment_align: 8
    .kernarg_segment_size: 400
    .language:       OpenCL C
    .language_version:
      - 2
      - 0
    .max_flat_workgroup_size: 256
    .name:           _Z39paged_attention_ll4mi_QKV_mfma16_kernelI14__hip_bfloat16hLN4vllm18Fp8KVCacheDataTypeE1ES0_Li16ELi64ELi256ELb1ELi13EEvPKT_PKT0_S8_ifPKiSA_SA_iPKfiiiPfSD_PS3_PT2_iSC_SC_
    .private_segment_fixed_size: 0
    .sgpr_count:     56
    .sgpr_spill_count: 0
    .symbol:         _Z39paged_attention_ll4mi_QKV_mfma16_kernelI14__hip_bfloat16hLN4vllm18Fp8KVCacheDataTypeE1ES0_Li16ELi64ELi256ELb1ELi13EEvPKT_PKT0_S8_ifPKiSA_SA_iPKfiiiPfSD_PS3_PT2_iSC_SC_.kd
    .uniform_work_group_size: 1
    .uses_dynamic_stack: false
    .vgpr_count:     67
    .vgpr_spill_count: 0
    .wavefront_size: 64
  - .agpr_count:     0
    .args:
      - .actual_access:  read_only
        .address_space:  global
        .offset:         0
        .size:           8
        .value_kind:     global_buffer
      - .actual_access:  read_only
        .address_space:  global
        .offset:         8
        .size:           8
        .value_kind:     global_buffer
      - .actual_access:  read_only
        .address_space:  global
        .offset:         16
        .size:           8
        .value_kind:     global_buffer
      - .offset:         24
        .size:           4
        .value_kind:     by_value
      - .offset:         28
        .size:           4
        .value_kind:     by_value
      - .actual_access:  read_only
        .address_space:  global
        .offset:         32
        .size:           8
        .value_kind:     global_buffer
      - .actual_access:  read_only
        .address_space:  global
        .offset:         40
        .size:           8
        .value_kind:     global_buffer
      - .actual_access:  read_only
        .address_space:  global
        .offset:         48
        .size:           8
        .value_kind:     global_buffer
      - .offset:         56
        .size:           4
        .value_kind:     by_value
      - .actual_access:  read_only
        .address_space:  global
        .offset:         64
        .size:           8
        .value_kind:     global_buffer
      - .offset:         72
        .size:           4
        .value_kind:     by_value
      - .offset:         76
        .size:           4
        .value_kind:     by_value
      - .offset:         80
        .size:           4
        .value_kind:     by_value
      - .actual_access:  write_only
        .address_space:  global
        .offset:         88
        .size:           8
        .value_kind:     global_buffer
      - .actual_access:  write_only
        .address_space:  global
        .offset:         96
        .size:           8
        .value_kind:     global_buffer
      - .actual_access:  write_only
        .address_space:  global
        .offset:         104
        .size:           8
        .value_kind:     global_buffer
      - .actual_access:  read_only
        .address_space:  global
        .offset:         112
        .size:           8
        .value_kind:     global_buffer
      - .offset:         120
        .size:           4
        .value_kind:     by_value
      - .address_space:  global
        .offset:         128
        .size:           8
        .value_kind:     global_buffer
      - .address_space:  global
        .offset:         136
        .size:           8
        .value_kind:     global_buffer
      - .offset:         144
        .size:           4
        .value_kind:     hidden_block_count_x
      - .offset:         148
        .size:           4
        .value_kind:     hidden_block_count_y
      - .offset:         152
        .size:           4
        .value_kind:     hidden_block_count_z
      - .offset:         156
        .size:           2
        .value_kind:     hidden_group_size_x
      - .offset:         158
        .size:           2
        .value_kind:     hidden_group_size_y
      - .offset:         160
        .size:           2
        .value_kind:     hidden_group_size_z
      - .offset:         162
        .size:           2
        .value_kind:     hidden_remainder_x
      - .offset:         164
        .size:           2
        .value_kind:     hidden_remainder_y
      - .offset:         166
        .size:           2
        .value_kind:     hidden_remainder_z
      - .offset:         184
        .size:           8
        .value_kind:     hidden_global_offset_x
      - .offset:         192
        .size:           8
        .value_kind:     hidden_global_offset_y
      - .offset:         200
        .size:           8
        .value_kind:     hidden_global_offset_z
      - .offset:         208
        .size:           2
        .value_kind:     hidden_grid_dims
    .group_segment_fixed_size: 8192
    .kernarg_segment_align: 8
    .kernarg_segment_size: 400
    .language:       OpenCL C
    .language_version:
      - 2
      - 0
    .max_flat_workgroup_size: 256
    .name:           _Z39paged_attention_ll4mi_QKV_mfma16_kernelI14__hip_bfloat16hLN4vllm18Fp8KVCacheDataTypeE1ES0_Li16ELi64ELi256ELb1ELi14EEvPKT_PKT0_S8_ifPKiSA_SA_iPKfiiiPfSD_PS3_PT2_iSC_SC_
    .private_segment_fixed_size: 0
    .sgpr_count:     56
    .sgpr_spill_count: 0
    .symbol:         _Z39paged_attention_ll4mi_QKV_mfma16_kernelI14__hip_bfloat16hLN4vllm18Fp8KVCacheDataTypeE1ES0_Li16ELi64ELi256ELb1ELi14EEvPKT_PKT0_S8_ifPKiSA_SA_iPKfiiiPfSD_PS3_PT2_iSC_SC_.kd
    .uniform_work_group_size: 1
    .uses_dynamic_stack: false
    .vgpr_count:     67
    .vgpr_spill_count: 0
    .wavefront_size: 64
  - .agpr_count:     0
    .args:
      - .actual_access:  read_only
        .address_space:  global
        .offset:         0
        .size:           8
        .value_kind:     global_buffer
      - .actual_access:  read_only
        .address_space:  global
        .offset:         8
        .size:           8
        .value_kind:     global_buffer
      - .actual_access:  read_only
        .address_space:  global
        .offset:         16
        .size:           8
        .value_kind:     global_buffer
      - .offset:         24
        .size:           4
        .value_kind:     by_value
      - .offset:         28
        .size:           4
        .value_kind:     by_value
      - .actual_access:  read_only
        .address_space:  global
        .offset:         32
        .size:           8
        .value_kind:     global_buffer
      - .actual_access:  read_only
        .address_space:  global
        .offset:         40
        .size:           8
        .value_kind:     global_buffer
      - .actual_access:  read_only
        .address_space:  global
        .offset:         48
        .size:           8
        .value_kind:     global_buffer
      - .offset:         56
        .size:           4
        .value_kind:     by_value
      - .actual_access:  read_only
        .address_space:  global
        .offset:         64
        .size:           8
        .value_kind:     global_buffer
      - .offset:         72
        .size:           4
        .value_kind:     by_value
      - .offset:         76
        .size:           4
        .value_kind:     by_value
      - .offset:         80
        .size:           4
        .value_kind:     by_value
      - .actual_access:  write_only
        .address_space:  global
        .offset:         88
        .size:           8
        .value_kind:     global_buffer
      - .actual_access:  write_only
        .address_space:  global
        .offset:         96
        .size:           8
        .value_kind:     global_buffer
      - .actual_access:  write_only
        .address_space:  global
        .offset:         104
        .size:           8
        .value_kind:     global_buffer
      - .actual_access:  read_only
        .address_space:  global
        .offset:         112
        .size:           8
        .value_kind:     global_buffer
      - .offset:         120
        .size:           4
        .value_kind:     by_value
      - .address_space:  global
        .offset:         128
        .size:           8
        .value_kind:     global_buffer
      - .address_space:  global
        .offset:         136
        .size:           8
        .value_kind:     global_buffer
      - .offset:         144
        .size:           4
        .value_kind:     hidden_block_count_x
      - .offset:         148
        .size:           4
        .value_kind:     hidden_block_count_y
      - .offset:         152
        .size:           4
        .value_kind:     hidden_block_count_z
      - .offset:         156
        .size:           2
        .value_kind:     hidden_group_size_x
      - .offset:         158
        .size:           2
        .value_kind:     hidden_group_size_y
      - .offset:         160
        .size:           2
        .value_kind:     hidden_group_size_z
      - .offset:         162
        .size:           2
        .value_kind:     hidden_remainder_x
      - .offset:         164
        .size:           2
        .value_kind:     hidden_remainder_y
      - .offset:         166
        .size:           2
        .value_kind:     hidden_remainder_z
      - .offset:         184
        .size:           8
        .value_kind:     hidden_global_offset_x
      - .offset:         192
        .size:           8
        .value_kind:     hidden_global_offset_y
      - .offset:         200
        .size:           8
        .value_kind:     hidden_global_offset_z
      - .offset:         208
        .size:           2
        .value_kind:     hidden_grid_dims
    .group_segment_fixed_size: 8192
    .kernarg_segment_align: 8
    .kernarg_segment_size: 400
    .language:       OpenCL C
    .language_version:
      - 2
      - 0
    .max_flat_workgroup_size: 256
    .name:           _Z39paged_attention_ll4mi_QKV_mfma16_kernelI14__hip_bfloat16hLN4vllm18Fp8KVCacheDataTypeE1ES0_Li16ELi64ELi256ELb1ELi15EEvPKT_PKT0_S8_ifPKiSA_SA_iPKfiiiPfSD_PS3_PT2_iSC_SC_
    .private_segment_fixed_size: 0
    .sgpr_count:     56
    .sgpr_spill_count: 0
    .symbol:         _Z39paged_attention_ll4mi_QKV_mfma16_kernelI14__hip_bfloat16hLN4vllm18Fp8KVCacheDataTypeE1ES0_Li16ELi64ELi256ELb1ELi15EEvPKT_PKT0_S8_ifPKiSA_SA_iPKfiiiPfSD_PS3_PT2_iSC_SC_.kd
    .uniform_work_group_size: 1
    .uses_dynamic_stack: false
    .vgpr_count:     67
    .vgpr_spill_count: 0
    .wavefront_size: 64
  - .agpr_count:     0
    .args:
      - .actual_access:  read_only
        .address_space:  global
        .offset:         0
        .size:           8
        .value_kind:     global_buffer
      - .actual_access:  read_only
        .address_space:  global
        .offset:         8
        .size:           8
        .value_kind:     global_buffer
      - .actual_access:  read_only
        .address_space:  global
        .offset:         16
        .size:           8
        .value_kind:     global_buffer
      - .offset:         24
        .size:           4
        .value_kind:     by_value
      - .offset:         28
        .size:           4
        .value_kind:     by_value
      - .actual_access:  read_only
        .address_space:  global
        .offset:         32
        .size:           8
        .value_kind:     global_buffer
      - .actual_access:  read_only
        .address_space:  global
        .offset:         40
        .size:           8
        .value_kind:     global_buffer
      - .actual_access:  read_only
        .address_space:  global
        .offset:         48
        .size:           8
        .value_kind:     global_buffer
      - .offset:         56
        .size:           4
        .value_kind:     by_value
      - .actual_access:  read_only
        .address_space:  global
        .offset:         64
        .size:           8
        .value_kind:     global_buffer
      - .offset:         72
        .size:           4
        .value_kind:     by_value
      - .offset:         76
        .size:           4
        .value_kind:     by_value
      - .offset:         80
        .size:           4
        .value_kind:     by_value
      - .actual_access:  write_only
        .address_space:  global
        .offset:         88
        .size:           8
        .value_kind:     global_buffer
      - .actual_access:  write_only
        .address_space:  global
        .offset:         96
        .size:           8
        .value_kind:     global_buffer
      - .actual_access:  write_only
        .address_space:  global
        .offset:         104
        .size:           8
        .value_kind:     global_buffer
      - .actual_access:  read_only
        .address_space:  global
        .offset:         112
        .size:           8
        .value_kind:     global_buffer
      - .offset:         120
        .size:           4
        .value_kind:     by_value
      - .address_space:  global
        .offset:         128
        .size:           8
        .value_kind:     global_buffer
      - .address_space:  global
        .offset:         136
        .size:           8
        .value_kind:     global_buffer
      - .offset:         144
        .size:           4
        .value_kind:     hidden_block_count_x
      - .offset:         148
        .size:           4
        .value_kind:     hidden_block_count_y
      - .offset:         152
        .size:           4
        .value_kind:     hidden_block_count_z
      - .offset:         156
        .size:           2
        .value_kind:     hidden_group_size_x
      - .offset:         158
        .size:           2
        .value_kind:     hidden_group_size_y
      - .offset:         160
        .size:           2
        .value_kind:     hidden_group_size_z
      - .offset:         162
        .size:           2
        .value_kind:     hidden_remainder_x
      - .offset:         164
        .size:           2
        .value_kind:     hidden_remainder_y
      - .offset:         166
        .size:           2
        .value_kind:     hidden_remainder_z
      - .offset:         184
        .size:           8
        .value_kind:     hidden_global_offset_x
      - .offset:         192
        .size:           8
        .value_kind:     hidden_global_offset_y
      - .offset:         200
        .size:           8
        .value_kind:     hidden_global_offset_z
      - .offset:         208
        .size:           2
        .value_kind:     hidden_grid_dims
    .group_segment_fixed_size: 8192
    .kernarg_segment_align: 8
    .kernarg_segment_size: 400
    .language:       OpenCL C
    .language_version:
      - 2
      - 0
    .max_flat_workgroup_size: 256
    .name:           _Z39paged_attention_ll4mi_QKV_mfma16_kernelI14__hip_bfloat16hLN4vllm18Fp8KVCacheDataTypeE1ES0_Li16ELi64ELi256ELb1ELi16EEvPKT_PKT0_S8_ifPKiSA_SA_iPKfiiiPfSD_PS3_PT2_iSC_SC_
    .private_segment_fixed_size: 0
    .sgpr_count:     55
    .sgpr_spill_count: 0
    .symbol:         _Z39paged_attention_ll4mi_QKV_mfma16_kernelI14__hip_bfloat16hLN4vllm18Fp8KVCacheDataTypeE1ES0_Li16ELi64ELi256ELb1ELi16EEvPKT_PKT0_S8_ifPKiSA_SA_iPKfiiiPfSD_PS3_PT2_iSC_SC_.kd
    .uniform_work_group_size: 1
    .uses_dynamic_stack: false
    .vgpr_count:     62
    .vgpr_spill_count: 0
    .wavefront_size: 64
  - .agpr_count:     0
    .args:
      - .actual_access:  read_only
        .address_space:  global
        .offset:         0
        .size:           8
        .value_kind:     global_buffer
      - .actual_access:  read_only
        .address_space:  global
        .offset:         8
        .size:           8
        .value_kind:     global_buffer
      - .actual_access:  read_only
        .address_space:  global
        .offset:         16
        .size:           8
        .value_kind:     global_buffer
      - .offset:         24
        .size:           4
        .value_kind:     by_value
      - .offset:         28
        .size:           4
        .value_kind:     by_value
      - .actual_access:  read_only
        .address_space:  global
        .offset:         32
        .size:           8
        .value_kind:     global_buffer
      - .actual_access:  read_only
        .address_space:  global
        .offset:         40
        .size:           8
        .value_kind:     global_buffer
      - .actual_access:  read_only
        .address_space:  global
        .offset:         48
        .size:           8
        .value_kind:     global_buffer
      - .offset:         56
        .size:           4
        .value_kind:     by_value
      - .actual_access:  read_only
        .address_space:  global
        .offset:         64
        .size:           8
        .value_kind:     global_buffer
      - .offset:         72
        .size:           4
        .value_kind:     by_value
      - .offset:         76
        .size:           4
        .value_kind:     by_value
      - .offset:         80
        .size:           4
        .value_kind:     by_value
      - .actual_access:  write_only
        .address_space:  global
        .offset:         88
        .size:           8
        .value_kind:     global_buffer
      - .actual_access:  write_only
        .address_space:  global
        .offset:         96
        .size:           8
        .value_kind:     global_buffer
      - .actual_access:  write_only
        .address_space:  global
        .offset:         104
        .size:           8
        .value_kind:     global_buffer
      - .actual_access:  read_only
        .address_space:  global
        .offset:         112
        .size:           8
        .value_kind:     global_buffer
      - .offset:         120
        .size:           4
        .value_kind:     by_value
      - .address_space:  global
        .offset:         128
        .size:           8
        .value_kind:     global_buffer
      - .address_space:  global
        .offset:         136
        .size:           8
        .value_kind:     global_buffer
      - .offset:         144
        .size:           4
        .value_kind:     hidden_block_count_x
      - .offset:         148
        .size:           4
        .value_kind:     hidden_block_count_y
      - .offset:         152
        .size:           4
        .value_kind:     hidden_block_count_z
      - .offset:         156
        .size:           2
        .value_kind:     hidden_group_size_x
      - .offset:         158
        .size:           2
        .value_kind:     hidden_group_size_y
      - .offset:         160
        .size:           2
        .value_kind:     hidden_group_size_z
      - .offset:         162
        .size:           2
        .value_kind:     hidden_remainder_x
      - .offset:         164
        .size:           2
        .value_kind:     hidden_remainder_y
      - .offset:         166
        .size:           2
        .value_kind:     hidden_remainder_z
      - .offset:         184
        .size:           8
        .value_kind:     hidden_global_offset_x
      - .offset:         192
        .size:           8
        .value_kind:     hidden_global_offset_y
      - .offset:         200
        .size:           8
        .value_kind:     hidden_global_offset_z
      - .offset:         208
        .size:           2
        .value_kind:     hidden_grid_dims
    .group_segment_fixed_size: 8192
    .kernarg_segment_align: 8
    .kernarg_segment_size: 400
    .language:       OpenCL C
    .language_version:
      - 2
      - 0
    .max_flat_workgroup_size: 256
    .name:           _Z39paged_attention_ll4mi_QKV_mfma16_kernelI14__hip_bfloat16hLN4vllm18Fp8KVCacheDataTypeE1ES0_Li16ELi64ELi256ELb1ELi1EEvPKT_PKT0_S8_ifPKiSA_SA_iPKfiiiPfSD_PS3_PT2_iSC_SC_
    .private_segment_fixed_size: 0
    .sgpr_count:     58
    .sgpr_spill_count: 0
    .symbol:         _Z39paged_attention_ll4mi_QKV_mfma16_kernelI14__hip_bfloat16hLN4vllm18Fp8KVCacheDataTypeE1ES0_Li16ELi64ELi256ELb1ELi1EEvPKT_PKT0_S8_ifPKiSA_SA_iPKfiiiPfSD_PS3_PT2_iSC_SC_.kd
    .uniform_work_group_size: 1
    .uses_dynamic_stack: false
    .vgpr_count:     74
    .vgpr_spill_count: 0
    .wavefront_size: 64
  - .agpr_count:     0
    .args:
      - .actual_access:  read_only
        .address_space:  global
        .offset:         0
        .size:           8
        .value_kind:     global_buffer
      - .actual_access:  read_only
        .address_space:  global
        .offset:         8
        .size:           8
        .value_kind:     global_buffer
      - .actual_access:  read_only
        .address_space:  global
        .offset:         16
        .size:           8
        .value_kind:     global_buffer
      - .offset:         24
        .size:           4
        .value_kind:     by_value
      - .offset:         28
        .size:           4
        .value_kind:     by_value
      - .actual_access:  read_only
        .address_space:  global
        .offset:         32
        .size:           8
        .value_kind:     global_buffer
      - .actual_access:  read_only
        .address_space:  global
        .offset:         40
        .size:           8
        .value_kind:     global_buffer
      - .actual_access:  read_only
        .address_space:  global
        .offset:         48
        .size:           8
        .value_kind:     global_buffer
      - .offset:         56
        .size:           4
        .value_kind:     by_value
      - .actual_access:  read_only
        .address_space:  global
        .offset:         64
        .size:           8
        .value_kind:     global_buffer
      - .offset:         72
        .size:           4
        .value_kind:     by_value
      - .offset:         76
        .size:           4
        .value_kind:     by_value
      - .offset:         80
        .size:           4
        .value_kind:     by_value
      - .actual_access:  write_only
        .address_space:  global
        .offset:         88
        .size:           8
        .value_kind:     global_buffer
      - .actual_access:  write_only
        .address_space:  global
        .offset:         96
        .size:           8
        .value_kind:     global_buffer
      - .actual_access:  write_only
        .address_space:  global
        .offset:         104
        .size:           8
        .value_kind:     global_buffer
      - .actual_access:  read_only
        .address_space:  global
        .offset:         112
        .size:           8
        .value_kind:     global_buffer
      - .offset:         120
        .size:           4
        .value_kind:     by_value
      - .address_space:  global
        .offset:         128
        .size:           8
        .value_kind:     global_buffer
      - .address_space:  global
        .offset:         136
        .size:           8
        .value_kind:     global_buffer
      - .offset:         144
        .size:           4
        .value_kind:     hidden_block_count_x
      - .offset:         148
        .size:           4
        .value_kind:     hidden_block_count_y
      - .offset:         152
        .size:           4
        .value_kind:     hidden_block_count_z
      - .offset:         156
        .size:           2
        .value_kind:     hidden_group_size_x
      - .offset:         158
        .size:           2
        .value_kind:     hidden_group_size_y
      - .offset:         160
        .size:           2
        .value_kind:     hidden_group_size_z
      - .offset:         162
        .size:           2
        .value_kind:     hidden_remainder_x
      - .offset:         164
        .size:           2
        .value_kind:     hidden_remainder_y
      - .offset:         166
        .size:           2
        .value_kind:     hidden_remainder_z
      - .offset:         184
        .size:           8
        .value_kind:     hidden_global_offset_x
      - .offset:         192
        .size:           8
        .value_kind:     hidden_global_offset_y
      - .offset:         200
        .size:           8
        .value_kind:     hidden_global_offset_z
      - .offset:         208
        .size:           2
        .value_kind:     hidden_grid_dims
    .group_segment_fixed_size: 8192
    .kernarg_segment_align: 8
    .kernarg_segment_size: 400
    .language:       OpenCL C
    .language_version:
      - 2
      - 0
    .max_flat_workgroup_size: 256
    .name:           _Z39paged_attention_ll4mi_QKV_mfma16_kernelI14__hip_bfloat16hLN4vllm18Fp8KVCacheDataTypeE1ES0_Li16ELi64ELi256ELb1ELi2EEvPKT_PKT0_S8_ifPKiSA_SA_iPKfiiiPfSD_PS3_PT2_iSC_SC_
    .private_segment_fixed_size: 0
    .sgpr_count:     54
    .sgpr_spill_count: 0
    .symbol:         _Z39paged_attention_ll4mi_QKV_mfma16_kernelI14__hip_bfloat16hLN4vllm18Fp8KVCacheDataTypeE1ES0_Li16ELi64ELi256ELb1ELi2EEvPKT_PKT0_S8_ifPKiSA_SA_iPKfiiiPfSD_PS3_PT2_iSC_SC_.kd
    .uniform_work_group_size: 1
    .uses_dynamic_stack: false
    .vgpr_count:     70
    .vgpr_spill_count: 0
    .wavefront_size: 64
  - .agpr_count:     0
    .args:
      - .actual_access:  read_only
        .address_space:  global
        .offset:         0
        .size:           8
        .value_kind:     global_buffer
      - .actual_access:  read_only
        .address_space:  global
        .offset:         8
        .size:           8
        .value_kind:     global_buffer
      - .actual_access:  read_only
        .address_space:  global
        .offset:         16
        .size:           8
        .value_kind:     global_buffer
      - .offset:         24
        .size:           4
        .value_kind:     by_value
      - .offset:         28
        .size:           4
        .value_kind:     by_value
      - .actual_access:  read_only
        .address_space:  global
        .offset:         32
        .size:           8
        .value_kind:     global_buffer
      - .actual_access:  read_only
        .address_space:  global
        .offset:         40
        .size:           8
        .value_kind:     global_buffer
      - .actual_access:  read_only
        .address_space:  global
        .offset:         48
        .size:           8
        .value_kind:     global_buffer
      - .offset:         56
        .size:           4
        .value_kind:     by_value
      - .actual_access:  read_only
        .address_space:  global
        .offset:         64
        .size:           8
        .value_kind:     global_buffer
      - .offset:         72
        .size:           4
        .value_kind:     by_value
      - .offset:         76
        .size:           4
        .value_kind:     by_value
      - .offset:         80
        .size:           4
        .value_kind:     by_value
      - .actual_access:  write_only
        .address_space:  global
        .offset:         88
        .size:           8
        .value_kind:     global_buffer
      - .actual_access:  write_only
        .address_space:  global
        .offset:         96
        .size:           8
        .value_kind:     global_buffer
      - .actual_access:  write_only
        .address_space:  global
        .offset:         104
        .size:           8
        .value_kind:     global_buffer
      - .actual_access:  read_only
        .address_space:  global
        .offset:         112
        .size:           8
        .value_kind:     global_buffer
      - .offset:         120
        .size:           4
        .value_kind:     by_value
      - .address_space:  global
        .offset:         128
        .size:           8
        .value_kind:     global_buffer
      - .address_space:  global
        .offset:         136
        .size:           8
        .value_kind:     global_buffer
      - .offset:         144
        .size:           4
        .value_kind:     hidden_block_count_x
      - .offset:         148
        .size:           4
        .value_kind:     hidden_block_count_y
      - .offset:         152
        .size:           4
        .value_kind:     hidden_block_count_z
      - .offset:         156
        .size:           2
        .value_kind:     hidden_group_size_x
      - .offset:         158
        .size:           2
        .value_kind:     hidden_group_size_y
      - .offset:         160
        .size:           2
        .value_kind:     hidden_group_size_z
      - .offset:         162
        .size:           2
        .value_kind:     hidden_remainder_x
      - .offset:         164
        .size:           2
        .value_kind:     hidden_remainder_y
      - .offset:         166
        .size:           2
        .value_kind:     hidden_remainder_z
      - .offset:         184
        .size:           8
        .value_kind:     hidden_global_offset_x
      - .offset:         192
        .size:           8
        .value_kind:     hidden_global_offset_y
      - .offset:         200
        .size:           8
        .value_kind:     hidden_global_offset_z
      - .offset:         208
        .size:           2
        .value_kind:     hidden_grid_dims
    .group_segment_fixed_size: 8192
    .kernarg_segment_align: 8
    .kernarg_segment_size: 400
    .language:       OpenCL C
    .language_version:
      - 2
      - 0
    .max_flat_workgroup_size: 256
    .name:           _Z39paged_attention_ll4mi_QKV_mfma16_kernelI14__hip_bfloat16hLN4vllm18Fp8KVCacheDataTypeE1ES0_Li16ELi64ELi256ELb1ELi3EEvPKT_PKT0_S8_ifPKiSA_SA_iPKfiiiPfSD_PS3_PT2_iSC_SC_
    .private_segment_fixed_size: 0
    .sgpr_count:     56
    .sgpr_spill_count: 0
    .symbol:         _Z39paged_attention_ll4mi_QKV_mfma16_kernelI14__hip_bfloat16hLN4vllm18Fp8KVCacheDataTypeE1ES0_Li16ELi64ELi256ELb1ELi3EEvPKT_PKT0_S8_ifPKiSA_SA_iPKfiiiPfSD_PS3_PT2_iSC_SC_.kd
    .uniform_work_group_size: 1
    .uses_dynamic_stack: false
    .vgpr_count:     68
    .vgpr_spill_count: 0
    .wavefront_size: 64
  - .agpr_count:     0
    .args:
      - .actual_access:  read_only
        .address_space:  global
        .offset:         0
        .size:           8
        .value_kind:     global_buffer
      - .actual_access:  read_only
        .address_space:  global
        .offset:         8
        .size:           8
        .value_kind:     global_buffer
      - .actual_access:  read_only
        .address_space:  global
        .offset:         16
        .size:           8
        .value_kind:     global_buffer
      - .offset:         24
        .size:           4
        .value_kind:     by_value
      - .offset:         28
        .size:           4
        .value_kind:     by_value
      - .actual_access:  read_only
        .address_space:  global
        .offset:         32
        .size:           8
        .value_kind:     global_buffer
      - .actual_access:  read_only
        .address_space:  global
        .offset:         40
        .size:           8
        .value_kind:     global_buffer
      - .actual_access:  read_only
        .address_space:  global
        .offset:         48
        .size:           8
        .value_kind:     global_buffer
      - .offset:         56
        .size:           4
        .value_kind:     by_value
      - .actual_access:  read_only
        .address_space:  global
        .offset:         64
        .size:           8
        .value_kind:     global_buffer
      - .offset:         72
        .size:           4
        .value_kind:     by_value
      - .offset:         76
        .size:           4
        .value_kind:     by_value
      - .offset:         80
        .size:           4
        .value_kind:     by_value
      - .actual_access:  write_only
        .address_space:  global
        .offset:         88
        .size:           8
        .value_kind:     global_buffer
      - .actual_access:  write_only
        .address_space:  global
        .offset:         96
        .size:           8
        .value_kind:     global_buffer
      - .actual_access:  write_only
        .address_space:  global
        .offset:         104
        .size:           8
        .value_kind:     global_buffer
      - .actual_access:  read_only
        .address_space:  global
        .offset:         112
        .size:           8
        .value_kind:     global_buffer
      - .offset:         120
        .size:           4
        .value_kind:     by_value
      - .address_space:  global
        .offset:         128
        .size:           8
        .value_kind:     global_buffer
      - .address_space:  global
        .offset:         136
        .size:           8
        .value_kind:     global_buffer
      - .offset:         144
        .size:           4
        .value_kind:     hidden_block_count_x
      - .offset:         148
        .size:           4
        .value_kind:     hidden_block_count_y
      - .offset:         152
        .size:           4
        .value_kind:     hidden_block_count_z
      - .offset:         156
        .size:           2
        .value_kind:     hidden_group_size_x
      - .offset:         158
        .size:           2
        .value_kind:     hidden_group_size_y
      - .offset:         160
        .size:           2
        .value_kind:     hidden_group_size_z
      - .offset:         162
        .size:           2
        .value_kind:     hidden_remainder_x
      - .offset:         164
        .size:           2
        .value_kind:     hidden_remainder_y
      - .offset:         166
        .size:           2
        .value_kind:     hidden_remainder_z
      - .offset:         184
        .size:           8
        .value_kind:     hidden_global_offset_x
      - .offset:         192
        .size:           8
        .value_kind:     hidden_global_offset_y
      - .offset:         200
        .size:           8
        .value_kind:     hidden_global_offset_z
      - .offset:         208
        .size:           2
        .value_kind:     hidden_grid_dims
    .group_segment_fixed_size: 8192
    .kernarg_segment_align: 8
    .kernarg_segment_size: 400
    .language:       OpenCL C
    .language_version:
      - 2
      - 0
    .max_flat_workgroup_size: 256
    .name:           _Z39paged_attention_ll4mi_QKV_mfma16_kernelI14__hip_bfloat16hLN4vllm18Fp8KVCacheDataTypeE1ES0_Li16ELi64ELi256ELb1ELi4EEvPKT_PKT0_S8_ifPKiSA_SA_iPKfiiiPfSD_PS3_PT2_iSC_SC_
    .private_segment_fixed_size: 0
    .sgpr_count:     56
    .sgpr_spill_count: 0
    .symbol:         _Z39paged_attention_ll4mi_QKV_mfma16_kernelI14__hip_bfloat16hLN4vllm18Fp8KVCacheDataTypeE1ES0_Li16ELi64ELi256ELb1ELi4EEvPKT_PKT0_S8_ifPKiSA_SA_iPKfiiiPfSD_PS3_PT2_iSC_SC_.kd
    .uniform_work_group_size: 1
    .uses_dynamic_stack: false
    .vgpr_count:     78
    .vgpr_spill_count: 0
    .wavefront_size: 64
  - .agpr_count:     4
    .args:
      - .actual_access:  read_only
        .address_space:  global
        .offset:         0
        .size:           8
        .value_kind:     global_buffer
      - .actual_access:  read_only
        .address_space:  global
        .offset:         8
        .size:           8
        .value_kind:     global_buffer
      - .actual_access:  read_only
        .address_space:  global
        .offset:         16
        .size:           8
        .value_kind:     global_buffer
      - .offset:         24
        .size:           4
        .value_kind:     by_value
      - .offset:         28
        .size:           4
        .value_kind:     by_value
      - .actual_access:  read_only
        .address_space:  global
        .offset:         32
        .size:           8
        .value_kind:     global_buffer
      - .actual_access:  read_only
        .address_space:  global
        .offset:         40
        .size:           8
        .value_kind:     global_buffer
      - .actual_access:  read_only
        .address_space:  global
        .offset:         48
        .size:           8
        .value_kind:     global_buffer
      - .offset:         56
        .size:           4
        .value_kind:     by_value
      - .actual_access:  read_only
        .address_space:  global
        .offset:         64
        .size:           8
        .value_kind:     global_buffer
      - .offset:         72
        .size:           4
        .value_kind:     by_value
      - .offset:         76
        .size:           4
        .value_kind:     by_value
      - .offset:         80
        .size:           4
        .value_kind:     by_value
      - .actual_access:  write_only
        .address_space:  global
        .offset:         88
        .size:           8
        .value_kind:     global_buffer
      - .actual_access:  write_only
        .address_space:  global
        .offset:         96
        .size:           8
        .value_kind:     global_buffer
      - .actual_access:  write_only
        .address_space:  global
        .offset:         104
        .size:           8
        .value_kind:     global_buffer
      - .actual_access:  read_only
        .address_space:  global
        .offset:         112
        .size:           8
        .value_kind:     global_buffer
      - .offset:         120
        .size:           4
        .value_kind:     by_value
      - .address_space:  global
        .offset:         128
        .size:           8
        .value_kind:     global_buffer
      - .address_space:  global
        .offset:         136
        .size:           8
        .value_kind:     global_buffer
      - .offset:         144
        .size:           4
        .value_kind:     hidden_block_count_x
      - .offset:         148
        .size:           4
        .value_kind:     hidden_block_count_y
      - .offset:         152
        .size:           4
        .value_kind:     hidden_block_count_z
      - .offset:         156
        .size:           2
        .value_kind:     hidden_group_size_x
      - .offset:         158
        .size:           2
        .value_kind:     hidden_group_size_y
      - .offset:         160
        .size:           2
        .value_kind:     hidden_group_size_z
      - .offset:         162
        .size:           2
        .value_kind:     hidden_remainder_x
      - .offset:         164
        .size:           2
        .value_kind:     hidden_remainder_y
      - .offset:         166
        .size:           2
        .value_kind:     hidden_remainder_z
      - .offset:         184
        .size:           8
        .value_kind:     hidden_global_offset_x
      - .offset:         192
        .size:           8
        .value_kind:     hidden_global_offset_y
      - .offset:         200
        .size:           8
        .value_kind:     hidden_global_offset_z
      - .offset:         208
        .size:           2
        .value_kind:     hidden_grid_dims
    .group_segment_fixed_size: 2720
    .kernarg_segment_align: 8
    .kernarg_segment_size: 400
    .language:       OpenCL C
    .language_version:
      - 2
      - 0
    .max_flat_workgroup_size: 256
    .name:           _Z38paged_attention_ll4mi_QKV_mfma4_kernelI14__hip_bfloat16hLN4vllm18Fp8KVCacheDataTypeE1ES0_Li16ELi64ELi256ELb0ELi1EEvPKT_PKT0_S8_ifPKiSA_SA_iPKfiiiPfSD_PS3_PT2_iSC_SC_
    .private_segment_fixed_size: 0
    .sgpr_count:     48
    .sgpr_spill_count: 0
    .symbol:         _Z38paged_attention_ll4mi_QKV_mfma4_kernelI14__hip_bfloat16hLN4vllm18Fp8KVCacheDataTypeE1ES0_Li16ELi64ELi256ELb0ELi1EEvPKT_PKT0_S8_ifPKiSA_SA_iPKfiiiPfSD_PS3_PT2_iSC_SC_.kd
    .uniform_work_group_size: 1
    .uses_dynamic_stack: false
    .vgpr_count:     80
    .vgpr_spill_count: 0
    .wavefront_size: 64
  - .agpr_count:     4
    .args:
      - .actual_access:  read_only
        .address_space:  global
        .offset:         0
        .size:           8
        .value_kind:     global_buffer
      - .actual_access:  read_only
        .address_space:  global
        .offset:         8
        .size:           8
        .value_kind:     global_buffer
      - .actual_access:  read_only
        .address_space:  global
        .offset:         16
        .size:           8
        .value_kind:     global_buffer
      - .offset:         24
        .size:           4
        .value_kind:     by_value
      - .offset:         28
        .size:           4
        .value_kind:     by_value
      - .actual_access:  read_only
        .address_space:  global
        .offset:         32
        .size:           8
        .value_kind:     global_buffer
      - .actual_access:  read_only
        .address_space:  global
        .offset:         40
        .size:           8
        .value_kind:     global_buffer
      - .actual_access:  read_only
        .address_space:  global
        .offset:         48
        .size:           8
        .value_kind:     global_buffer
      - .offset:         56
        .size:           4
        .value_kind:     by_value
      - .actual_access:  read_only
        .address_space:  global
        .offset:         64
        .size:           8
        .value_kind:     global_buffer
      - .offset:         72
        .size:           4
        .value_kind:     by_value
      - .offset:         76
        .size:           4
        .value_kind:     by_value
      - .offset:         80
        .size:           4
        .value_kind:     by_value
      - .actual_access:  write_only
        .address_space:  global
        .offset:         88
        .size:           8
        .value_kind:     global_buffer
      - .actual_access:  write_only
        .address_space:  global
        .offset:         96
        .size:           8
        .value_kind:     global_buffer
      - .actual_access:  write_only
        .address_space:  global
        .offset:         104
        .size:           8
        .value_kind:     global_buffer
      - .actual_access:  read_only
        .address_space:  global
        .offset:         112
        .size:           8
        .value_kind:     global_buffer
      - .offset:         120
        .size:           4
        .value_kind:     by_value
      - .address_space:  global
        .offset:         128
        .size:           8
        .value_kind:     global_buffer
      - .address_space:  global
        .offset:         136
        .size:           8
        .value_kind:     global_buffer
      - .offset:         144
        .size:           4
        .value_kind:     hidden_block_count_x
      - .offset:         148
        .size:           4
        .value_kind:     hidden_block_count_y
      - .offset:         152
        .size:           4
        .value_kind:     hidden_block_count_z
      - .offset:         156
        .size:           2
        .value_kind:     hidden_group_size_x
      - .offset:         158
        .size:           2
        .value_kind:     hidden_group_size_y
      - .offset:         160
        .size:           2
        .value_kind:     hidden_group_size_z
      - .offset:         162
        .size:           2
        .value_kind:     hidden_remainder_x
      - .offset:         164
        .size:           2
        .value_kind:     hidden_remainder_y
      - .offset:         166
        .size:           2
        .value_kind:     hidden_remainder_z
      - .offset:         184
        .size:           8
        .value_kind:     hidden_global_offset_x
      - .offset:         192
        .size:           8
        .value_kind:     hidden_global_offset_y
      - .offset:         200
        .size:           8
        .value_kind:     hidden_global_offset_z
      - .offset:         208
        .size:           2
        .value_kind:     hidden_grid_dims
    .group_segment_fixed_size: 2720
    .kernarg_segment_align: 8
    .kernarg_segment_size: 400
    .language:       OpenCL C
    .language_version:
      - 2
      - 0
    .max_flat_workgroup_size: 256
    .name:           _Z38paged_attention_ll4mi_QKV_mfma4_kernelI14__hip_bfloat16hLN4vllm18Fp8KVCacheDataTypeE1ES0_Li16ELi64ELi256ELb0ELi2EEvPKT_PKT0_S8_ifPKiSA_SA_iPKfiiiPfSD_PS3_PT2_iSC_SC_
    .private_segment_fixed_size: 0
    .sgpr_count:     48
    .sgpr_spill_count: 0
    .symbol:         _Z38paged_attention_ll4mi_QKV_mfma4_kernelI14__hip_bfloat16hLN4vllm18Fp8KVCacheDataTypeE1ES0_Li16ELi64ELi256ELb0ELi2EEvPKT_PKT0_S8_ifPKiSA_SA_iPKfiiiPfSD_PS3_PT2_iSC_SC_.kd
    .uniform_work_group_size: 1
    .uses_dynamic_stack: false
    .vgpr_count:     88
    .vgpr_spill_count: 0
    .wavefront_size: 64
  - .agpr_count:     4
    .args:
      - .actual_access:  read_only
        .address_space:  global
        .offset:         0
        .size:           8
        .value_kind:     global_buffer
      - .actual_access:  read_only
        .address_space:  global
        .offset:         8
        .size:           8
        .value_kind:     global_buffer
      - .actual_access:  read_only
        .address_space:  global
        .offset:         16
        .size:           8
        .value_kind:     global_buffer
      - .offset:         24
        .size:           4
        .value_kind:     by_value
      - .offset:         28
        .size:           4
        .value_kind:     by_value
      - .actual_access:  read_only
        .address_space:  global
        .offset:         32
        .size:           8
        .value_kind:     global_buffer
      - .actual_access:  read_only
        .address_space:  global
        .offset:         40
        .size:           8
        .value_kind:     global_buffer
      - .actual_access:  read_only
        .address_space:  global
        .offset:         48
        .size:           8
        .value_kind:     global_buffer
      - .offset:         56
        .size:           4
        .value_kind:     by_value
      - .actual_access:  read_only
        .address_space:  global
        .offset:         64
        .size:           8
        .value_kind:     global_buffer
      - .offset:         72
        .size:           4
        .value_kind:     by_value
      - .offset:         76
        .size:           4
        .value_kind:     by_value
      - .offset:         80
        .size:           4
        .value_kind:     by_value
      - .actual_access:  write_only
        .address_space:  global
        .offset:         88
        .size:           8
        .value_kind:     global_buffer
      - .actual_access:  write_only
        .address_space:  global
        .offset:         96
        .size:           8
        .value_kind:     global_buffer
      - .actual_access:  write_only
        .address_space:  global
        .offset:         104
        .size:           8
        .value_kind:     global_buffer
      - .actual_access:  read_only
        .address_space:  global
        .offset:         112
        .size:           8
        .value_kind:     global_buffer
      - .offset:         120
        .size:           4
        .value_kind:     by_value
      - .address_space:  global
        .offset:         128
        .size:           8
        .value_kind:     global_buffer
      - .address_space:  global
        .offset:         136
        .size:           8
        .value_kind:     global_buffer
      - .offset:         144
        .size:           4
        .value_kind:     hidden_block_count_x
      - .offset:         148
        .size:           4
        .value_kind:     hidden_block_count_y
      - .offset:         152
        .size:           4
        .value_kind:     hidden_block_count_z
      - .offset:         156
        .size:           2
        .value_kind:     hidden_group_size_x
      - .offset:         158
        .size:           2
        .value_kind:     hidden_group_size_y
      - .offset:         160
        .size:           2
        .value_kind:     hidden_group_size_z
      - .offset:         162
        .size:           2
        .value_kind:     hidden_remainder_x
      - .offset:         164
        .size:           2
        .value_kind:     hidden_remainder_y
      - .offset:         166
        .size:           2
        .value_kind:     hidden_remainder_z
      - .offset:         184
        .size:           8
        .value_kind:     hidden_global_offset_x
      - .offset:         192
        .size:           8
        .value_kind:     hidden_global_offset_y
      - .offset:         200
        .size:           8
        .value_kind:     hidden_global_offset_z
      - .offset:         208
        .size:           2
        .value_kind:     hidden_grid_dims
    .group_segment_fixed_size: 2720
    .kernarg_segment_align: 8
    .kernarg_segment_size: 400
    .language:       OpenCL C
    .language_version:
      - 2
      - 0
    .max_flat_workgroup_size: 256
    .name:           _Z38paged_attention_ll4mi_QKV_mfma4_kernelI14__hip_bfloat16hLN4vllm18Fp8KVCacheDataTypeE1ES0_Li16ELi64ELi256ELb0ELi3EEvPKT_PKT0_S8_ifPKiSA_SA_iPKfiiiPfSD_PS3_PT2_iSC_SC_
    .private_segment_fixed_size: 0
    .sgpr_count:     48
    .sgpr_spill_count: 0
    .symbol:         _Z38paged_attention_ll4mi_QKV_mfma4_kernelI14__hip_bfloat16hLN4vllm18Fp8KVCacheDataTypeE1ES0_Li16ELi64ELi256ELb0ELi3EEvPKT_PKT0_S8_ifPKiSA_SA_iPKfiiiPfSD_PS3_PT2_iSC_SC_.kd
    .uniform_work_group_size: 1
    .uses_dynamic_stack: false
    .vgpr_count:     80
    .vgpr_spill_count: 0
    .wavefront_size: 64
  - .agpr_count:     4
    .args:
      - .actual_access:  read_only
        .address_space:  global
        .offset:         0
        .size:           8
        .value_kind:     global_buffer
      - .actual_access:  read_only
        .address_space:  global
        .offset:         8
        .size:           8
        .value_kind:     global_buffer
      - .actual_access:  read_only
        .address_space:  global
        .offset:         16
        .size:           8
        .value_kind:     global_buffer
      - .offset:         24
        .size:           4
        .value_kind:     by_value
      - .offset:         28
        .size:           4
        .value_kind:     by_value
      - .actual_access:  read_only
        .address_space:  global
        .offset:         32
        .size:           8
        .value_kind:     global_buffer
      - .actual_access:  read_only
        .address_space:  global
        .offset:         40
        .size:           8
        .value_kind:     global_buffer
      - .actual_access:  read_only
        .address_space:  global
        .offset:         48
        .size:           8
        .value_kind:     global_buffer
      - .offset:         56
        .size:           4
        .value_kind:     by_value
      - .actual_access:  read_only
        .address_space:  global
        .offset:         64
        .size:           8
        .value_kind:     global_buffer
      - .offset:         72
        .size:           4
        .value_kind:     by_value
      - .offset:         76
        .size:           4
        .value_kind:     by_value
      - .offset:         80
        .size:           4
        .value_kind:     by_value
      - .actual_access:  write_only
        .address_space:  global
        .offset:         88
        .size:           8
        .value_kind:     global_buffer
      - .actual_access:  write_only
        .address_space:  global
        .offset:         96
        .size:           8
        .value_kind:     global_buffer
      - .actual_access:  write_only
        .address_space:  global
        .offset:         104
        .size:           8
        .value_kind:     global_buffer
      - .actual_access:  read_only
        .address_space:  global
        .offset:         112
        .size:           8
        .value_kind:     global_buffer
      - .offset:         120
        .size:           4
        .value_kind:     by_value
      - .address_space:  global
        .offset:         128
        .size:           8
        .value_kind:     global_buffer
      - .address_space:  global
        .offset:         136
        .size:           8
        .value_kind:     global_buffer
      - .offset:         144
        .size:           4
        .value_kind:     hidden_block_count_x
      - .offset:         148
        .size:           4
        .value_kind:     hidden_block_count_y
      - .offset:         152
        .size:           4
        .value_kind:     hidden_block_count_z
      - .offset:         156
        .size:           2
        .value_kind:     hidden_group_size_x
      - .offset:         158
        .size:           2
        .value_kind:     hidden_group_size_y
      - .offset:         160
        .size:           2
        .value_kind:     hidden_group_size_z
      - .offset:         162
        .size:           2
        .value_kind:     hidden_remainder_x
      - .offset:         164
        .size:           2
        .value_kind:     hidden_remainder_y
      - .offset:         166
        .size:           2
        .value_kind:     hidden_remainder_z
      - .offset:         184
        .size:           8
        .value_kind:     hidden_global_offset_x
      - .offset:         192
        .size:           8
        .value_kind:     hidden_global_offset_y
      - .offset:         200
        .size:           8
        .value_kind:     hidden_global_offset_z
      - .offset:         208
        .size:           2
        .value_kind:     hidden_grid_dims
    .group_segment_fixed_size: 2720
    .kernarg_segment_align: 8
    .kernarg_segment_size: 400
    .language:       OpenCL C
    .language_version:
      - 2
      - 0
    .max_flat_workgroup_size: 256
    .name:           _Z38paged_attention_ll4mi_QKV_mfma4_kernelI14__hip_bfloat16hLN4vllm18Fp8KVCacheDataTypeE1ES0_Li16ELi64ELi256ELb0ELi4EEvPKT_PKT0_S8_ifPKiSA_SA_iPKfiiiPfSD_PS3_PT2_iSC_SC_
    .private_segment_fixed_size: 0
    .sgpr_count:     48
    .sgpr_spill_count: 0
    .symbol:         _Z38paged_attention_ll4mi_QKV_mfma4_kernelI14__hip_bfloat16hLN4vllm18Fp8KVCacheDataTypeE1ES0_Li16ELi64ELi256ELb0ELi4EEvPKT_PKT0_S8_ifPKiSA_SA_iPKfiiiPfSD_PS3_PT2_iSC_SC_.kd
    .uniform_work_group_size: 1
    .uses_dynamic_stack: false
    .vgpr_count:     84
    .vgpr_spill_count: 0
    .wavefront_size: 64
  - .agpr_count:     0
    .args:
      - .actual_access:  read_only
        .address_space:  global
        .offset:         0
        .size:           8
        .value_kind:     global_buffer
      - .actual_access:  read_only
        .address_space:  global
        .offset:         8
        .size:           8
        .value_kind:     global_buffer
      - .actual_access:  read_only
        .address_space:  global
        .offset:         16
        .size:           8
        .value_kind:     global_buffer
      - .offset:         24
        .size:           4
        .value_kind:     by_value
      - .offset:         28
        .size:           4
        .value_kind:     by_value
      - .actual_access:  read_only
        .address_space:  global
        .offset:         32
        .size:           8
        .value_kind:     global_buffer
      - .actual_access:  read_only
        .address_space:  global
        .offset:         40
        .size:           8
        .value_kind:     global_buffer
      - .actual_access:  read_only
        .address_space:  global
        .offset:         48
        .size:           8
        .value_kind:     global_buffer
      - .offset:         56
        .size:           4
        .value_kind:     by_value
      - .actual_access:  read_only
        .address_space:  global
        .offset:         64
        .size:           8
        .value_kind:     global_buffer
      - .offset:         72
        .size:           4
        .value_kind:     by_value
      - .offset:         76
        .size:           4
        .value_kind:     by_value
      - .offset:         80
        .size:           4
        .value_kind:     by_value
      - .actual_access:  write_only
        .address_space:  global
        .offset:         88
        .size:           8
        .value_kind:     global_buffer
      - .actual_access:  write_only
        .address_space:  global
        .offset:         96
        .size:           8
        .value_kind:     global_buffer
      - .actual_access:  write_only
        .address_space:  global
        .offset:         104
        .size:           8
        .value_kind:     global_buffer
      - .actual_access:  read_only
        .address_space:  global
        .offset:         112
        .size:           8
        .value_kind:     global_buffer
      - .offset:         120
        .size:           4
        .value_kind:     by_value
      - .address_space:  global
        .offset:         128
        .size:           8
        .value_kind:     global_buffer
      - .address_space:  global
        .offset:         136
        .size:           8
        .value_kind:     global_buffer
      - .offset:         144
        .size:           4
        .value_kind:     hidden_block_count_x
      - .offset:         148
        .size:           4
        .value_kind:     hidden_block_count_y
      - .offset:         152
        .size:           4
        .value_kind:     hidden_block_count_z
      - .offset:         156
        .size:           2
        .value_kind:     hidden_group_size_x
      - .offset:         158
        .size:           2
        .value_kind:     hidden_group_size_y
      - .offset:         160
        .size:           2
        .value_kind:     hidden_group_size_z
      - .offset:         162
        .size:           2
        .value_kind:     hidden_remainder_x
      - .offset:         164
        .size:           2
        .value_kind:     hidden_remainder_y
      - .offset:         166
        .size:           2
        .value_kind:     hidden_remainder_z
      - .offset:         184
        .size:           8
        .value_kind:     hidden_global_offset_x
      - .offset:         192
        .size:           8
        .value_kind:     hidden_global_offset_y
      - .offset:         200
        .size:           8
        .value_kind:     hidden_global_offset_z
      - .offset:         208
        .size:           2
        .value_kind:     hidden_grid_dims
    .group_segment_fixed_size: 8192
    .kernarg_segment_align: 8
    .kernarg_segment_size: 400
    .language:       OpenCL C
    .language_version:
      - 2
      - 0
    .max_flat_workgroup_size: 256
    .name:           _Z39paged_attention_ll4mi_QKV_mfma16_kernelI14__hip_bfloat16hLN4vllm18Fp8KVCacheDataTypeE1ES0_Li16ELi64ELi256ELb0ELi5EEvPKT_PKT0_S8_ifPKiSA_SA_iPKfiiiPfSD_PS3_PT2_iSC_SC_
    .private_segment_fixed_size: 0
    .sgpr_count:     56
    .sgpr_spill_count: 0
    .symbol:         _Z39paged_attention_ll4mi_QKV_mfma16_kernelI14__hip_bfloat16hLN4vllm18Fp8KVCacheDataTypeE1ES0_Li16ELi64ELi256ELb0ELi5EEvPKT_PKT0_S8_ifPKiSA_SA_iPKfiiiPfSD_PS3_PT2_iSC_SC_.kd
    .uniform_work_group_size: 1
    .uses_dynamic_stack: false
    .vgpr_count:     58
    .vgpr_spill_count: 0
    .wavefront_size: 64
  - .agpr_count:     0
    .args:
      - .actual_access:  read_only
        .address_space:  global
        .offset:         0
        .size:           8
        .value_kind:     global_buffer
      - .actual_access:  read_only
        .address_space:  global
        .offset:         8
        .size:           8
        .value_kind:     global_buffer
      - .actual_access:  read_only
        .address_space:  global
        .offset:         16
        .size:           8
        .value_kind:     global_buffer
      - .offset:         24
        .size:           4
        .value_kind:     by_value
      - .offset:         28
        .size:           4
        .value_kind:     by_value
      - .actual_access:  read_only
        .address_space:  global
        .offset:         32
        .size:           8
        .value_kind:     global_buffer
      - .actual_access:  read_only
        .address_space:  global
        .offset:         40
        .size:           8
        .value_kind:     global_buffer
      - .actual_access:  read_only
        .address_space:  global
        .offset:         48
        .size:           8
        .value_kind:     global_buffer
      - .offset:         56
        .size:           4
        .value_kind:     by_value
      - .actual_access:  read_only
        .address_space:  global
        .offset:         64
        .size:           8
        .value_kind:     global_buffer
      - .offset:         72
        .size:           4
        .value_kind:     by_value
      - .offset:         76
        .size:           4
        .value_kind:     by_value
      - .offset:         80
        .size:           4
        .value_kind:     by_value
      - .actual_access:  write_only
        .address_space:  global
        .offset:         88
        .size:           8
        .value_kind:     global_buffer
      - .actual_access:  write_only
        .address_space:  global
        .offset:         96
        .size:           8
        .value_kind:     global_buffer
      - .actual_access:  write_only
        .address_space:  global
        .offset:         104
        .size:           8
        .value_kind:     global_buffer
      - .actual_access:  read_only
        .address_space:  global
        .offset:         112
        .size:           8
        .value_kind:     global_buffer
      - .offset:         120
        .size:           4
        .value_kind:     by_value
      - .address_space:  global
        .offset:         128
        .size:           8
        .value_kind:     global_buffer
      - .address_space:  global
        .offset:         136
        .size:           8
        .value_kind:     global_buffer
      - .offset:         144
        .size:           4
        .value_kind:     hidden_block_count_x
      - .offset:         148
        .size:           4
        .value_kind:     hidden_block_count_y
      - .offset:         152
        .size:           4
        .value_kind:     hidden_block_count_z
      - .offset:         156
        .size:           2
        .value_kind:     hidden_group_size_x
      - .offset:         158
        .size:           2
        .value_kind:     hidden_group_size_y
      - .offset:         160
        .size:           2
        .value_kind:     hidden_group_size_z
      - .offset:         162
        .size:           2
        .value_kind:     hidden_remainder_x
      - .offset:         164
        .size:           2
        .value_kind:     hidden_remainder_y
      - .offset:         166
        .size:           2
        .value_kind:     hidden_remainder_z
      - .offset:         184
        .size:           8
        .value_kind:     hidden_global_offset_x
      - .offset:         192
        .size:           8
        .value_kind:     hidden_global_offset_y
      - .offset:         200
        .size:           8
        .value_kind:     hidden_global_offset_z
      - .offset:         208
        .size:           2
        .value_kind:     hidden_grid_dims
    .group_segment_fixed_size: 8192
    .kernarg_segment_align: 8
    .kernarg_segment_size: 400
    .language:       OpenCL C
    .language_version:
      - 2
      - 0
    .max_flat_workgroup_size: 256
    .name:           _Z39paged_attention_ll4mi_QKV_mfma16_kernelI14__hip_bfloat16hLN4vllm18Fp8KVCacheDataTypeE1ES0_Li16ELi64ELi256ELb0ELi6EEvPKT_PKT0_S8_ifPKiSA_SA_iPKfiiiPfSD_PS3_PT2_iSC_SC_
    .private_segment_fixed_size: 0
    .sgpr_count:     56
    .sgpr_spill_count: 0
    .symbol:         _Z39paged_attention_ll4mi_QKV_mfma16_kernelI14__hip_bfloat16hLN4vllm18Fp8KVCacheDataTypeE1ES0_Li16ELi64ELi256ELb0ELi6EEvPKT_PKT0_S8_ifPKiSA_SA_iPKfiiiPfSD_PS3_PT2_iSC_SC_.kd
    .uniform_work_group_size: 1
    .uses_dynamic_stack: false
    .vgpr_count:     58
    .vgpr_spill_count: 0
    .wavefront_size: 64
  - .agpr_count:     0
    .args:
      - .actual_access:  read_only
        .address_space:  global
        .offset:         0
        .size:           8
        .value_kind:     global_buffer
      - .actual_access:  read_only
        .address_space:  global
        .offset:         8
        .size:           8
        .value_kind:     global_buffer
      - .actual_access:  read_only
        .address_space:  global
        .offset:         16
        .size:           8
        .value_kind:     global_buffer
      - .offset:         24
        .size:           4
        .value_kind:     by_value
      - .offset:         28
        .size:           4
        .value_kind:     by_value
      - .actual_access:  read_only
        .address_space:  global
        .offset:         32
        .size:           8
        .value_kind:     global_buffer
      - .actual_access:  read_only
        .address_space:  global
        .offset:         40
        .size:           8
        .value_kind:     global_buffer
      - .actual_access:  read_only
        .address_space:  global
        .offset:         48
        .size:           8
        .value_kind:     global_buffer
      - .offset:         56
        .size:           4
        .value_kind:     by_value
      - .actual_access:  read_only
        .address_space:  global
        .offset:         64
        .size:           8
        .value_kind:     global_buffer
      - .offset:         72
        .size:           4
        .value_kind:     by_value
      - .offset:         76
        .size:           4
        .value_kind:     by_value
      - .offset:         80
        .size:           4
        .value_kind:     by_value
      - .actual_access:  write_only
        .address_space:  global
        .offset:         88
        .size:           8
        .value_kind:     global_buffer
      - .actual_access:  write_only
        .address_space:  global
        .offset:         96
        .size:           8
        .value_kind:     global_buffer
      - .actual_access:  write_only
        .address_space:  global
        .offset:         104
        .size:           8
        .value_kind:     global_buffer
      - .actual_access:  read_only
        .address_space:  global
        .offset:         112
        .size:           8
        .value_kind:     global_buffer
      - .offset:         120
        .size:           4
        .value_kind:     by_value
      - .address_space:  global
        .offset:         128
        .size:           8
        .value_kind:     global_buffer
      - .address_space:  global
        .offset:         136
        .size:           8
        .value_kind:     global_buffer
      - .offset:         144
        .size:           4
        .value_kind:     hidden_block_count_x
      - .offset:         148
        .size:           4
        .value_kind:     hidden_block_count_y
      - .offset:         152
        .size:           4
        .value_kind:     hidden_block_count_z
      - .offset:         156
        .size:           2
        .value_kind:     hidden_group_size_x
      - .offset:         158
        .size:           2
        .value_kind:     hidden_group_size_y
      - .offset:         160
        .size:           2
        .value_kind:     hidden_group_size_z
      - .offset:         162
        .size:           2
        .value_kind:     hidden_remainder_x
      - .offset:         164
        .size:           2
        .value_kind:     hidden_remainder_y
      - .offset:         166
        .size:           2
        .value_kind:     hidden_remainder_z
      - .offset:         184
        .size:           8
        .value_kind:     hidden_global_offset_x
      - .offset:         192
        .size:           8
        .value_kind:     hidden_global_offset_y
      - .offset:         200
        .size:           8
        .value_kind:     hidden_global_offset_z
      - .offset:         208
        .size:           2
        .value_kind:     hidden_grid_dims
    .group_segment_fixed_size: 8192
    .kernarg_segment_align: 8
    .kernarg_segment_size: 400
    .language:       OpenCL C
    .language_version:
      - 2
      - 0
    .max_flat_workgroup_size: 256
    .name:           _Z39paged_attention_ll4mi_QKV_mfma16_kernelI14__hip_bfloat16hLN4vllm18Fp8KVCacheDataTypeE1ES0_Li16ELi64ELi256ELb0ELi7EEvPKT_PKT0_S8_ifPKiSA_SA_iPKfiiiPfSD_PS3_PT2_iSC_SC_
    .private_segment_fixed_size: 0
    .sgpr_count:     56
    .sgpr_spill_count: 0
    .symbol:         _Z39paged_attention_ll4mi_QKV_mfma16_kernelI14__hip_bfloat16hLN4vllm18Fp8KVCacheDataTypeE1ES0_Li16ELi64ELi256ELb0ELi7EEvPKT_PKT0_S8_ifPKiSA_SA_iPKfiiiPfSD_PS3_PT2_iSC_SC_.kd
    .uniform_work_group_size: 1
    .uses_dynamic_stack: false
    .vgpr_count:     58
    .vgpr_spill_count: 0
    .wavefront_size: 64
  - .agpr_count:     0
    .args:
      - .actual_access:  read_only
        .address_space:  global
        .offset:         0
        .size:           8
        .value_kind:     global_buffer
      - .actual_access:  read_only
        .address_space:  global
        .offset:         8
        .size:           8
        .value_kind:     global_buffer
      - .actual_access:  read_only
        .address_space:  global
        .offset:         16
        .size:           8
        .value_kind:     global_buffer
      - .offset:         24
        .size:           4
        .value_kind:     by_value
      - .offset:         28
        .size:           4
        .value_kind:     by_value
      - .actual_access:  read_only
        .address_space:  global
        .offset:         32
        .size:           8
        .value_kind:     global_buffer
      - .actual_access:  read_only
        .address_space:  global
        .offset:         40
        .size:           8
        .value_kind:     global_buffer
      - .actual_access:  read_only
        .address_space:  global
        .offset:         48
        .size:           8
        .value_kind:     global_buffer
      - .offset:         56
        .size:           4
        .value_kind:     by_value
      - .actual_access:  read_only
        .address_space:  global
        .offset:         64
        .size:           8
        .value_kind:     global_buffer
      - .offset:         72
        .size:           4
        .value_kind:     by_value
      - .offset:         76
        .size:           4
        .value_kind:     by_value
      - .offset:         80
        .size:           4
        .value_kind:     by_value
      - .actual_access:  write_only
        .address_space:  global
        .offset:         88
        .size:           8
        .value_kind:     global_buffer
      - .actual_access:  write_only
        .address_space:  global
        .offset:         96
        .size:           8
        .value_kind:     global_buffer
      - .actual_access:  write_only
        .address_space:  global
        .offset:         104
        .size:           8
        .value_kind:     global_buffer
      - .actual_access:  read_only
        .address_space:  global
        .offset:         112
        .size:           8
        .value_kind:     global_buffer
      - .offset:         120
        .size:           4
        .value_kind:     by_value
      - .address_space:  global
        .offset:         128
        .size:           8
        .value_kind:     global_buffer
      - .address_space:  global
        .offset:         136
        .size:           8
        .value_kind:     global_buffer
      - .offset:         144
        .size:           4
        .value_kind:     hidden_block_count_x
      - .offset:         148
        .size:           4
        .value_kind:     hidden_block_count_y
      - .offset:         152
        .size:           4
        .value_kind:     hidden_block_count_z
      - .offset:         156
        .size:           2
        .value_kind:     hidden_group_size_x
      - .offset:         158
        .size:           2
        .value_kind:     hidden_group_size_y
      - .offset:         160
        .size:           2
        .value_kind:     hidden_group_size_z
      - .offset:         162
        .size:           2
        .value_kind:     hidden_remainder_x
      - .offset:         164
        .size:           2
        .value_kind:     hidden_remainder_y
      - .offset:         166
        .size:           2
        .value_kind:     hidden_remainder_z
      - .offset:         184
        .size:           8
        .value_kind:     hidden_global_offset_x
      - .offset:         192
        .size:           8
        .value_kind:     hidden_global_offset_y
      - .offset:         200
        .size:           8
        .value_kind:     hidden_global_offset_z
      - .offset:         208
        .size:           2
        .value_kind:     hidden_grid_dims
    .group_segment_fixed_size: 8192
    .kernarg_segment_align: 8
    .kernarg_segment_size: 400
    .language:       OpenCL C
    .language_version:
      - 2
      - 0
    .max_flat_workgroup_size: 256
    .name:           _Z39paged_attention_ll4mi_QKV_mfma16_kernelI14__hip_bfloat16hLN4vllm18Fp8KVCacheDataTypeE1ES0_Li16ELi64ELi256ELb0ELi8EEvPKT_PKT0_S8_ifPKiSA_SA_iPKfiiiPfSD_PS3_PT2_iSC_SC_
    .private_segment_fixed_size: 0
    .sgpr_count:     55
    .sgpr_spill_count: 0
    .symbol:         _Z39paged_attention_ll4mi_QKV_mfma16_kernelI14__hip_bfloat16hLN4vllm18Fp8KVCacheDataTypeE1ES0_Li16ELi64ELi256ELb0ELi8EEvPKT_PKT0_S8_ifPKiSA_SA_iPKfiiiPfSD_PS3_PT2_iSC_SC_.kd
    .uniform_work_group_size: 1
    .uses_dynamic_stack: false
    .vgpr_count:     58
    .vgpr_spill_count: 0
    .wavefront_size: 64
  - .agpr_count:     0
    .args:
      - .actual_access:  read_only
        .address_space:  global
        .offset:         0
        .size:           8
        .value_kind:     global_buffer
      - .actual_access:  read_only
        .address_space:  global
        .offset:         8
        .size:           8
        .value_kind:     global_buffer
      - .actual_access:  read_only
        .address_space:  global
        .offset:         16
        .size:           8
        .value_kind:     global_buffer
      - .offset:         24
        .size:           4
        .value_kind:     by_value
      - .offset:         28
        .size:           4
        .value_kind:     by_value
      - .actual_access:  read_only
        .address_space:  global
        .offset:         32
        .size:           8
        .value_kind:     global_buffer
      - .actual_access:  read_only
        .address_space:  global
        .offset:         40
        .size:           8
        .value_kind:     global_buffer
      - .actual_access:  read_only
        .address_space:  global
        .offset:         48
        .size:           8
        .value_kind:     global_buffer
      - .offset:         56
        .size:           4
        .value_kind:     by_value
      - .actual_access:  read_only
        .address_space:  global
        .offset:         64
        .size:           8
        .value_kind:     global_buffer
      - .offset:         72
        .size:           4
        .value_kind:     by_value
      - .offset:         76
        .size:           4
        .value_kind:     by_value
      - .offset:         80
        .size:           4
        .value_kind:     by_value
      - .actual_access:  write_only
        .address_space:  global
        .offset:         88
        .size:           8
        .value_kind:     global_buffer
      - .actual_access:  write_only
        .address_space:  global
        .offset:         96
        .size:           8
        .value_kind:     global_buffer
      - .actual_access:  write_only
        .address_space:  global
        .offset:         104
        .size:           8
        .value_kind:     global_buffer
      - .actual_access:  read_only
        .address_space:  global
        .offset:         112
        .size:           8
        .value_kind:     global_buffer
      - .offset:         120
        .size:           4
        .value_kind:     by_value
      - .address_space:  global
        .offset:         128
        .size:           8
        .value_kind:     global_buffer
      - .address_space:  global
        .offset:         136
        .size:           8
        .value_kind:     global_buffer
      - .offset:         144
        .size:           4
        .value_kind:     hidden_block_count_x
      - .offset:         148
        .size:           4
        .value_kind:     hidden_block_count_y
      - .offset:         152
        .size:           4
        .value_kind:     hidden_block_count_z
      - .offset:         156
        .size:           2
        .value_kind:     hidden_group_size_x
      - .offset:         158
        .size:           2
        .value_kind:     hidden_group_size_y
      - .offset:         160
        .size:           2
        .value_kind:     hidden_group_size_z
      - .offset:         162
        .size:           2
        .value_kind:     hidden_remainder_x
      - .offset:         164
        .size:           2
        .value_kind:     hidden_remainder_y
      - .offset:         166
        .size:           2
        .value_kind:     hidden_remainder_z
      - .offset:         184
        .size:           8
        .value_kind:     hidden_global_offset_x
      - .offset:         192
        .size:           8
        .value_kind:     hidden_global_offset_y
      - .offset:         200
        .size:           8
        .value_kind:     hidden_global_offset_z
      - .offset:         208
        .size:           2
        .value_kind:     hidden_grid_dims
    .group_segment_fixed_size: 8192
    .kernarg_segment_align: 8
    .kernarg_segment_size: 400
    .language:       OpenCL C
    .language_version:
      - 2
      - 0
    .max_flat_workgroup_size: 256
    .name:           _Z39paged_attention_ll4mi_QKV_mfma16_kernelI14__hip_bfloat16hLN4vllm18Fp8KVCacheDataTypeE1ES0_Li16ELi64ELi256ELb0ELi9EEvPKT_PKT0_S8_ifPKiSA_SA_iPKfiiiPfSD_PS3_PT2_iSC_SC_
    .private_segment_fixed_size: 0
    .sgpr_count:     56
    .sgpr_spill_count: 0
    .symbol:         _Z39paged_attention_ll4mi_QKV_mfma16_kernelI14__hip_bfloat16hLN4vllm18Fp8KVCacheDataTypeE1ES0_Li16ELi64ELi256ELb0ELi9EEvPKT_PKT0_S8_ifPKiSA_SA_iPKfiiiPfSD_PS3_PT2_iSC_SC_.kd
    .uniform_work_group_size: 1
    .uses_dynamic_stack: false
    .vgpr_count:     58
    .vgpr_spill_count: 0
    .wavefront_size: 64
  - .agpr_count:     0
    .args:
      - .actual_access:  read_only
        .address_space:  global
        .offset:         0
        .size:           8
        .value_kind:     global_buffer
      - .actual_access:  read_only
        .address_space:  global
        .offset:         8
        .size:           8
        .value_kind:     global_buffer
      - .actual_access:  read_only
        .address_space:  global
        .offset:         16
        .size:           8
        .value_kind:     global_buffer
      - .offset:         24
        .size:           4
        .value_kind:     by_value
      - .offset:         28
        .size:           4
        .value_kind:     by_value
      - .actual_access:  read_only
        .address_space:  global
        .offset:         32
        .size:           8
        .value_kind:     global_buffer
      - .actual_access:  read_only
        .address_space:  global
        .offset:         40
        .size:           8
        .value_kind:     global_buffer
      - .actual_access:  read_only
        .address_space:  global
        .offset:         48
        .size:           8
        .value_kind:     global_buffer
      - .offset:         56
        .size:           4
        .value_kind:     by_value
      - .actual_access:  read_only
        .address_space:  global
        .offset:         64
        .size:           8
        .value_kind:     global_buffer
      - .offset:         72
        .size:           4
        .value_kind:     by_value
      - .offset:         76
        .size:           4
        .value_kind:     by_value
      - .offset:         80
        .size:           4
        .value_kind:     by_value
      - .actual_access:  write_only
        .address_space:  global
        .offset:         88
        .size:           8
        .value_kind:     global_buffer
      - .actual_access:  write_only
        .address_space:  global
        .offset:         96
        .size:           8
        .value_kind:     global_buffer
      - .actual_access:  write_only
        .address_space:  global
        .offset:         104
        .size:           8
        .value_kind:     global_buffer
      - .actual_access:  read_only
        .address_space:  global
        .offset:         112
        .size:           8
        .value_kind:     global_buffer
      - .offset:         120
        .size:           4
        .value_kind:     by_value
      - .address_space:  global
        .offset:         128
        .size:           8
        .value_kind:     global_buffer
      - .address_space:  global
        .offset:         136
        .size:           8
        .value_kind:     global_buffer
      - .offset:         144
        .size:           4
        .value_kind:     hidden_block_count_x
      - .offset:         148
        .size:           4
        .value_kind:     hidden_block_count_y
      - .offset:         152
        .size:           4
        .value_kind:     hidden_block_count_z
      - .offset:         156
        .size:           2
        .value_kind:     hidden_group_size_x
      - .offset:         158
        .size:           2
        .value_kind:     hidden_group_size_y
      - .offset:         160
        .size:           2
        .value_kind:     hidden_group_size_z
      - .offset:         162
        .size:           2
        .value_kind:     hidden_remainder_x
      - .offset:         164
        .size:           2
        .value_kind:     hidden_remainder_y
      - .offset:         166
        .size:           2
        .value_kind:     hidden_remainder_z
      - .offset:         184
        .size:           8
        .value_kind:     hidden_global_offset_x
      - .offset:         192
        .size:           8
        .value_kind:     hidden_global_offset_y
      - .offset:         200
        .size:           8
        .value_kind:     hidden_global_offset_z
      - .offset:         208
        .size:           2
        .value_kind:     hidden_grid_dims
    .group_segment_fixed_size: 8192
    .kernarg_segment_align: 8
    .kernarg_segment_size: 400
    .language:       OpenCL C
    .language_version:
      - 2
      - 0
    .max_flat_workgroup_size: 256
    .name:           _Z39paged_attention_ll4mi_QKV_mfma16_kernelI14__hip_bfloat16hLN4vllm18Fp8KVCacheDataTypeE1ES0_Li16ELi64ELi256ELb0ELi10EEvPKT_PKT0_S8_ifPKiSA_SA_iPKfiiiPfSD_PS3_PT2_iSC_SC_
    .private_segment_fixed_size: 0
    .sgpr_count:     56
    .sgpr_spill_count: 0
    .symbol:         _Z39paged_attention_ll4mi_QKV_mfma16_kernelI14__hip_bfloat16hLN4vllm18Fp8KVCacheDataTypeE1ES0_Li16ELi64ELi256ELb0ELi10EEvPKT_PKT0_S8_ifPKiSA_SA_iPKfiiiPfSD_PS3_PT2_iSC_SC_.kd
    .uniform_work_group_size: 1
    .uses_dynamic_stack: false
    .vgpr_count:     58
    .vgpr_spill_count: 0
    .wavefront_size: 64
  - .agpr_count:     0
    .args:
      - .actual_access:  read_only
        .address_space:  global
        .offset:         0
        .size:           8
        .value_kind:     global_buffer
      - .actual_access:  read_only
        .address_space:  global
        .offset:         8
        .size:           8
        .value_kind:     global_buffer
      - .actual_access:  read_only
        .address_space:  global
        .offset:         16
        .size:           8
        .value_kind:     global_buffer
      - .offset:         24
        .size:           4
        .value_kind:     by_value
      - .offset:         28
        .size:           4
        .value_kind:     by_value
      - .actual_access:  read_only
        .address_space:  global
        .offset:         32
        .size:           8
        .value_kind:     global_buffer
      - .actual_access:  read_only
        .address_space:  global
        .offset:         40
        .size:           8
        .value_kind:     global_buffer
      - .actual_access:  read_only
        .address_space:  global
        .offset:         48
        .size:           8
        .value_kind:     global_buffer
      - .offset:         56
        .size:           4
        .value_kind:     by_value
      - .actual_access:  read_only
        .address_space:  global
        .offset:         64
        .size:           8
        .value_kind:     global_buffer
      - .offset:         72
        .size:           4
        .value_kind:     by_value
      - .offset:         76
        .size:           4
        .value_kind:     by_value
      - .offset:         80
        .size:           4
        .value_kind:     by_value
      - .actual_access:  write_only
        .address_space:  global
        .offset:         88
        .size:           8
        .value_kind:     global_buffer
      - .actual_access:  write_only
        .address_space:  global
        .offset:         96
        .size:           8
        .value_kind:     global_buffer
      - .actual_access:  write_only
        .address_space:  global
        .offset:         104
        .size:           8
        .value_kind:     global_buffer
      - .actual_access:  read_only
        .address_space:  global
        .offset:         112
        .size:           8
        .value_kind:     global_buffer
      - .offset:         120
        .size:           4
        .value_kind:     by_value
      - .address_space:  global
        .offset:         128
        .size:           8
        .value_kind:     global_buffer
      - .address_space:  global
        .offset:         136
        .size:           8
        .value_kind:     global_buffer
      - .offset:         144
        .size:           4
        .value_kind:     hidden_block_count_x
      - .offset:         148
        .size:           4
        .value_kind:     hidden_block_count_y
      - .offset:         152
        .size:           4
        .value_kind:     hidden_block_count_z
      - .offset:         156
        .size:           2
        .value_kind:     hidden_group_size_x
      - .offset:         158
        .size:           2
        .value_kind:     hidden_group_size_y
      - .offset:         160
        .size:           2
        .value_kind:     hidden_group_size_z
      - .offset:         162
        .size:           2
        .value_kind:     hidden_remainder_x
      - .offset:         164
        .size:           2
        .value_kind:     hidden_remainder_y
      - .offset:         166
        .size:           2
        .value_kind:     hidden_remainder_z
      - .offset:         184
        .size:           8
        .value_kind:     hidden_global_offset_x
      - .offset:         192
        .size:           8
        .value_kind:     hidden_global_offset_y
      - .offset:         200
        .size:           8
        .value_kind:     hidden_global_offset_z
      - .offset:         208
        .size:           2
        .value_kind:     hidden_grid_dims
    .group_segment_fixed_size: 8192
    .kernarg_segment_align: 8
    .kernarg_segment_size: 400
    .language:       OpenCL C
    .language_version:
      - 2
      - 0
    .max_flat_workgroup_size: 256
    .name:           _Z39paged_attention_ll4mi_QKV_mfma16_kernelI14__hip_bfloat16hLN4vllm18Fp8KVCacheDataTypeE1ES0_Li16ELi64ELi256ELb0ELi11EEvPKT_PKT0_S8_ifPKiSA_SA_iPKfiiiPfSD_PS3_PT2_iSC_SC_
    .private_segment_fixed_size: 0
    .sgpr_count:     56
    .sgpr_spill_count: 0
    .symbol:         _Z39paged_attention_ll4mi_QKV_mfma16_kernelI14__hip_bfloat16hLN4vllm18Fp8KVCacheDataTypeE1ES0_Li16ELi64ELi256ELb0ELi11EEvPKT_PKT0_S8_ifPKiSA_SA_iPKfiiiPfSD_PS3_PT2_iSC_SC_.kd
    .uniform_work_group_size: 1
    .uses_dynamic_stack: false
    .vgpr_count:     58
    .vgpr_spill_count: 0
    .wavefront_size: 64
  - .agpr_count:     0
    .args:
      - .actual_access:  read_only
        .address_space:  global
        .offset:         0
        .size:           8
        .value_kind:     global_buffer
      - .actual_access:  read_only
        .address_space:  global
        .offset:         8
        .size:           8
        .value_kind:     global_buffer
      - .actual_access:  read_only
        .address_space:  global
        .offset:         16
        .size:           8
        .value_kind:     global_buffer
      - .offset:         24
        .size:           4
        .value_kind:     by_value
      - .offset:         28
        .size:           4
        .value_kind:     by_value
      - .actual_access:  read_only
        .address_space:  global
        .offset:         32
        .size:           8
        .value_kind:     global_buffer
      - .actual_access:  read_only
        .address_space:  global
        .offset:         40
        .size:           8
        .value_kind:     global_buffer
      - .actual_access:  read_only
        .address_space:  global
        .offset:         48
        .size:           8
        .value_kind:     global_buffer
      - .offset:         56
        .size:           4
        .value_kind:     by_value
      - .actual_access:  read_only
        .address_space:  global
        .offset:         64
        .size:           8
        .value_kind:     global_buffer
      - .offset:         72
        .size:           4
        .value_kind:     by_value
      - .offset:         76
        .size:           4
        .value_kind:     by_value
      - .offset:         80
        .size:           4
        .value_kind:     by_value
      - .actual_access:  write_only
        .address_space:  global
        .offset:         88
        .size:           8
        .value_kind:     global_buffer
      - .actual_access:  write_only
        .address_space:  global
        .offset:         96
        .size:           8
        .value_kind:     global_buffer
      - .actual_access:  write_only
        .address_space:  global
        .offset:         104
        .size:           8
        .value_kind:     global_buffer
      - .actual_access:  read_only
        .address_space:  global
        .offset:         112
        .size:           8
        .value_kind:     global_buffer
      - .offset:         120
        .size:           4
        .value_kind:     by_value
      - .address_space:  global
        .offset:         128
        .size:           8
        .value_kind:     global_buffer
      - .address_space:  global
        .offset:         136
        .size:           8
        .value_kind:     global_buffer
      - .offset:         144
        .size:           4
        .value_kind:     hidden_block_count_x
      - .offset:         148
        .size:           4
        .value_kind:     hidden_block_count_y
      - .offset:         152
        .size:           4
        .value_kind:     hidden_block_count_z
      - .offset:         156
        .size:           2
        .value_kind:     hidden_group_size_x
      - .offset:         158
        .size:           2
        .value_kind:     hidden_group_size_y
      - .offset:         160
        .size:           2
        .value_kind:     hidden_group_size_z
      - .offset:         162
        .size:           2
        .value_kind:     hidden_remainder_x
      - .offset:         164
        .size:           2
        .value_kind:     hidden_remainder_y
      - .offset:         166
        .size:           2
        .value_kind:     hidden_remainder_z
      - .offset:         184
        .size:           8
        .value_kind:     hidden_global_offset_x
      - .offset:         192
        .size:           8
        .value_kind:     hidden_global_offset_y
      - .offset:         200
        .size:           8
        .value_kind:     hidden_global_offset_z
      - .offset:         208
        .size:           2
        .value_kind:     hidden_grid_dims
    .group_segment_fixed_size: 8192
    .kernarg_segment_align: 8
    .kernarg_segment_size: 400
    .language:       OpenCL C
    .language_version:
      - 2
      - 0
    .max_flat_workgroup_size: 256
    .name:           _Z39paged_attention_ll4mi_QKV_mfma16_kernelI14__hip_bfloat16hLN4vllm18Fp8KVCacheDataTypeE1ES0_Li16ELi64ELi256ELb0ELi12EEvPKT_PKT0_S8_ifPKiSA_SA_iPKfiiiPfSD_PS3_PT2_iSC_SC_
    .private_segment_fixed_size: 0
    .sgpr_count:     56
    .sgpr_spill_count: 0
    .symbol:         _Z39paged_attention_ll4mi_QKV_mfma16_kernelI14__hip_bfloat16hLN4vllm18Fp8KVCacheDataTypeE1ES0_Li16ELi64ELi256ELb0ELi12EEvPKT_PKT0_S8_ifPKiSA_SA_iPKfiiiPfSD_PS3_PT2_iSC_SC_.kd
    .uniform_work_group_size: 1
    .uses_dynamic_stack: false
    .vgpr_count:     58
    .vgpr_spill_count: 0
    .wavefront_size: 64
  - .agpr_count:     0
    .args:
      - .actual_access:  read_only
        .address_space:  global
        .offset:         0
        .size:           8
        .value_kind:     global_buffer
      - .actual_access:  read_only
        .address_space:  global
        .offset:         8
        .size:           8
        .value_kind:     global_buffer
      - .actual_access:  read_only
        .address_space:  global
        .offset:         16
        .size:           8
        .value_kind:     global_buffer
      - .offset:         24
        .size:           4
        .value_kind:     by_value
      - .offset:         28
        .size:           4
        .value_kind:     by_value
      - .actual_access:  read_only
        .address_space:  global
        .offset:         32
        .size:           8
        .value_kind:     global_buffer
      - .actual_access:  read_only
        .address_space:  global
        .offset:         40
        .size:           8
        .value_kind:     global_buffer
      - .actual_access:  read_only
        .address_space:  global
        .offset:         48
        .size:           8
        .value_kind:     global_buffer
      - .offset:         56
        .size:           4
        .value_kind:     by_value
      - .actual_access:  read_only
        .address_space:  global
        .offset:         64
        .size:           8
        .value_kind:     global_buffer
      - .offset:         72
        .size:           4
        .value_kind:     by_value
      - .offset:         76
        .size:           4
        .value_kind:     by_value
      - .offset:         80
        .size:           4
        .value_kind:     by_value
      - .actual_access:  write_only
        .address_space:  global
        .offset:         88
        .size:           8
        .value_kind:     global_buffer
      - .actual_access:  write_only
        .address_space:  global
        .offset:         96
        .size:           8
        .value_kind:     global_buffer
      - .actual_access:  write_only
        .address_space:  global
        .offset:         104
        .size:           8
        .value_kind:     global_buffer
      - .actual_access:  read_only
        .address_space:  global
        .offset:         112
        .size:           8
        .value_kind:     global_buffer
      - .offset:         120
        .size:           4
        .value_kind:     by_value
      - .address_space:  global
        .offset:         128
        .size:           8
        .value_kind:     global_buffer
      - .address_space:  global
        .offset:         136
        .size:           8
        .value_kind:     global_buffer
      - .offset:         144
        .size:           4
        .value_kind:     hidden_block_count_x
      - .offset:         148
        .size:           4
        .value_kind:     hidden_block_count_y
      - .offset:         152
        .size:           4
        .value_kind:     hidden_block_count_z
      - .offset:         156
        .size:           2
        .value_kind:     hidden_group_size_x
      - .offset:         158
        .size:           2
        .value_kind:     hidden_group_size_y
      - .offset:         160
        .size:           2
        .value_kind:     hidden_group_size_z
      - .offset:         162
        .size:           2
        .value_kind:     hidden_remainder_x
      - .offset:         164
        .size:           2
        .value_kind:     hidden_remainder_y
      - .offset:         166
        .size:           2
        .value_kind:     hidden_remainder_z
      - .offset:         184
        .size:           8
        .value_kind:     hidden_global_offset_x
      - .offset:         192
        .size:           8
        .value_kind:     hidden_global_offset_y
      - .offset:         200
        .size:           8
        .value_kind:     hidden_global_offset_z
      - .offset:         208
        .size:           2
        .value_kind:     hidden_grid_dims
    .group_segment_fixed_size: 8192
    .kernarg_segment_align: 8
    .kernarg_segment_size: 400
    .language:       OpenCL C
    .language_version:
      - 2
      - 0
    .max_flat_workgroup_size: 256
    .name:           _Z39paged_attention_ll4mi_QKV_mfma16_kernelI14__hip_bfloat16hLN4vllm18Fp8KVCacheDataTypeE1ES0_Li16ELi64ELi256ELb0ELi13EEvPKT_PKT0_S8_ifPKiSA_SA_iPKfiiiPfSD_PS3_PT2_iSC_SC_
    .private_segment_fixed_size: 0
    .sgpr_count:     56
    .sgpr_spill_count: 0
    .symbol:         _Z39paged_attention_ll4mi_QKV_mfma16_kernelI14__hip_bfloat16hLN4vllm18Fp8KVCacheDataTypeE1ES0_Li16ELi64ELi256ELb0ELi13EEvPKT_PKT0_S8_ifPKiSA_SA_iPKfiiiPfSD_PS3_PT2_iSC_SC_.kd
    .uniform_work_group_size: 1
    .uses_dynamic_stack: false
    .vgpr_count:     58
    .vgpr_spill_count: 0
    .wavefront_size: 64
  - .agpr_count:     0
    .args:
      - .actual_access:  read_only
        .address_space:  global
        .offset:         0
        .size:           8
        .value_kind:     global_buffer
      - .actual_access:  read_only
        .address_space:  global
        .offset:         8
        .size:           8
        .value_kind:     global_buffer
      - .actual_access:  read_only
        .address_space:  global
        .offset:         16
        .size:           8
        .value_kind:     global_buffer
      - .offset:         24
        .size:           4
        .value_kind:     by_value
      - .offset:         28
        .size:           4
        .value_kind:     by_value
      - .actual_access:  read_only
        .address_space:  global
        .offset:         32
        .size:           8
        .value_kind:     global_buffer
      - .actual_access:  read_only
        .address_space:  global
        .offset:         40
        .size:           8
        .value_kind:     global_buffer
      - .actual_access:  read_only
        .address_space:  global
        .offset:         48
        .size:           8
        .value_kind:     global_buffer
      - .offset:         56
        .size:           4
        .value_kind:     by_value
      - .actual_access:  read_only
        .address_space:  global
        .offset:         64
        .size:           8
        .value_kind:     global_buffer
      - .offset:         72
        .size:           4
        .value_kind:     by_value
      - .offset:         76
        .size:           4
        .value_kind:     by_value
      - .offset:         80
        .size:           4
        .value_kind:     by_value
      - .actual_access:  write_only
        .address_space:  global
        .offset:         88
        .size:           8
        .value_kind:     global_buffer
      - .actual_access:  write_only
        .address_space:  global
        .offset:         96
        .size:           8
        .value_kind:     global_buffer
      - .actual_access:  write_only
        .address_space:  global
        .offset:         104
        .size:           8
        .value_kind:     global_buffer
      - .actual_access:  read_only
        .address_space:  global
        .offset:         112
        .size:           8
        .value_kind:     global_buffer
      - .offset:         120
        .size:           4
        .value_kind:     by_value
      - .address_space:  global
        .offset:         128
        .size:           8
        .value_kind:     global_buffer
      - .address_space:  global
        .offset:         136
        .size:           8
        .value_kind:     global_buffer
      - .offset:         144
        .size:           4
        .value_kind:     hidden_block_count_x
      - .offset:         148
        .size:           4
        .value_kind:     hidden_block_count_y
      - .offset:         152
        .size:           4
        .value_kind:     hidden_block_count_z
      - .offset:         156
        .size:           2
        .value_kind:     hidden_group_size_x
      - .offset:         158
        .size:           2
        .value_kind:     hidden_group_size_y
      - .offset:         160
        .size:           2
        .value_kind:     hidden_group_size_z
      - .offset:         162
        .size:           2
        .value_kind:     hidden_remainder_x
      - .offset:         164
        .size:           2
        .value_kind:     hidden_remainder_y
      - .offset:         166
        .size:           2
        .value_kind:     hidden_remainder_z
      - .offset:         184
        .size:           8
        .value_kind:     hidden_global_offset_x
      - .offset:         192
        .size:           8
        .value_kind:     hidden_global_offset_y
      - .offset:         200
        .size:           8
        .value_kind:     hidden_global_offset_z
      - .offset:         208
        .size:           2
        .value_kind:     hidden_grid_dims
    .group_segment_fixed_size: 8192
    .kernarg_segment_align: 8
    .kernarg_segment_size: 400
    .language:       OpenCL C
    .language_version:
      - 2
      - 0
    .max_flat_workgroup_size: 256
    .name:           _Z39paged_attention_ll4mi_QKV_mfma16_kernelI14__hip_bfloat16hLN4vllm18Fp8KVCacheDataTypeE1ES0_Li16ELi64ELi256ELb0ELi14EEvPKT_PKT0_S8_ifPKiSA_SA_iPKfiiiPfSD_PS3_PT2_iSC_SC_
    .private_segment_fixed_size: 0
    .sgpr_count:     56
    .sgpr_spill_count: 0
    .symbol:         _Z39paged_attention_ll4mi_QKV_mfma16_kernelI14__hip_bfloat16hLN4vllm18Fp8KVCacheDataTypeE1ES0_Li16ELi64ELi256ELb0ELi14EEvPKT_PKT0_S8_ifPKiSA_SA_iPKfiiiPfSD_PS3_PT2_iSC_SC_.kd
    .uniform_work_group_size: 1
    .uses_dynamic_stack: false
    .vgpr_count:     58
    .vgpr_spill_count: 0
    .wavefront_size: 64
  - .agpr_count:     0
    .args:
      - .actual_access:  read_only
        .address_space:  global
        .offset:         0
        .size:           8
        .value_kind:     global_buffer
      - .actual_access:  read_only
        .address_space:  global
        .offset:         8
        .size:           8
        .value_kind:     global_buffer
      - .actual_access:  read_only
        .address_space:  global
        .offset:         16
        .size:           8
        .value_kind:     global_buffer
      - .offset:         24
        .size:           4
        .value_kind:     by_value
      - .offset:         28
        .size:           4
        .value_kind:     by_value
      - .actual_access:  read_only
        .address_space:  global
        .offset:         32
        .size:           8
        .value_kind:     global_buffer
      - .actual_access:  read_only
        .address_space:  global
        .offset:         40
        .size:           8
        .value_kind:     global_buffer
      - .actual_access:  read_only
        .address_space:  global
        .offset:         48
        .size:           8
        .value_kind:     global_buffer
      - .offset:         56
        .size:           4
        .value_kind:     by_value
      - .actual_access:  read_only
        .address_space:  global
        .offset:         64
        .size:           8
        .value_kind:     global_buffer
      - .offset:         72
        .size:           4
        .value_kind:     by_value
      - .offset:         76
        .size:           4
        .value_kind:     by_value
      - .offset:         80
        .size:           4
        .value_kind:     by_value
      - .actual_access:  write_only
        .address_space:  global
        .offset:         88
        .size:           8
        .value_kind:     global_buffer
      - .actual_access:  write_only
        .address_space:  global
        .offset:         96
        .size:           8
        .value_kind:     global_buffer
      - .actual_access:  write_only
        .address_space:  global
        .offset:         104
        .size:           8
        .value_kind:     global_buffer
      - .actual_access:  read_only
        .address_space:  global
        .offset:         112
        .size:           8
        .value_kind:     global_buffer
      - .offset:         120
        .size:           4
        .value_kind:     by_value
      - .address_space:  global
        .offset:         128
        .size:           8
        .value_kind:     global_buffer
      - .address_space:  global
        .offset:         136
        .size:           8
        .value_kind:     global_buffer
      - .offset:         144
        .size:           4
        .value_kind:     hidden_block_count_x
      - .offset:         148
        .size:           4
        .value_kind:     hidden_block_count_y
      - .offset:         152
        .size:           4
        .value_kind:     hidden_block_count_z
      - .offset:         156
        .size:           2
        .value_kind:     hidden_group_size_x
      - .offset:         158
        .size:           2
        .value_kind:     hidden_group_size_y
      - .offset:         160
        .size:           2
        .value_kind:     hidden_group_size_z
      - .offset:         162
        .size:           2
        .value_kind:     hidden_remainder_x
      - .offset:         164
        .size:           2
        .value_kind:     hidden_remainder_y
      - .offset:         166
        .size:           2
        .value_kind:     hidden_remainder_z
      - .offset:         184
        .size:           8
        .value_kind:     hidden_global_offset_x
      - .offset:         192
        .size:           8
        .value_kind:     hidden_global_offset_y
      - .offset:         200
        .size:           8
        .value_kind:     hidden_global_offset_z
      - .offset:         208
        .size:           2
        .value_kind:     hidden_grid_dims
    .group_segment_fixed_size: 8192
    .kernarg_segment_align: 8
    .kernarg_segment_size: 400
    .language:       OpenCL C
    .language_version:
      - 2
      - 0
    .max_flat_workgroup_size: 256
    .name:           _Z39paged_attention_ll4mi_QKV_mfma16_kernelI14__hip_bfloat16hLN4vllm18Fp8KVCacheDataTypeE1ES0_Li16ELi64ELi256ELb0ELi15EEvPKT_PKT0_S8_ifPKiSA_SA_iPKfiiiPfSD_PS3_PT2_iSC_SC_
    .private_segment_fixed_size: 0
    .sgpr_count:     56
    .sgpr_spill_count: 0
    .symbol:         _Z39paged_attention_ll4mi_QKV_mfma16_kernelI14__hip_bfloat16hLN4vllm18Fp8KVCacheDataTypeE1ES0_Li16ELi64ELi256ELb0ELi15EEvPKT_PKT0_S8_ifPKiSA_SA_iPKfiiiPfSD_PS3_PT2_iSC_SC_.kd
    .uniform_work_group_size: 1
    .uses_dynamic_stack: false
    .vgpr_count:     58
    .vgpr_spill_count: 0
    .wavefront_size: 64
  - .agpr_count:     0
    .args:
      - .actual_access:  read_only
        .address_space:  global
        .offset:         0
        .size:           8
        .value_kind:     global_buffer
      - .actual_access:  read_only
        .address_space:  global
        .offset:         8
        .size:           8
        .value_kind:     global_buffer
      - .actual_access:  read_only
        .address_space:  global
        .offset:         16
        .size:           8
        .value_kind:     global_buffer
      - .offset:         24
        .size:           4
        .value_kind:     by_value
      - .offset:         28
        .size:           4
        .value_kind:     by_value
      - .actual_access:  read_only
        .address_space:  global
        .offset:         32
        .size:           8
        .value_kind:     global_buffer
      - .actual_access:  read_only
        .address_space:  global
        .offset:         40
        .size:           8
        .value_kind:     global_buffer
      - .actual_access:  read_only
        .address_space:  global
        .offset:         48
        .size:           8
        .value_kind:     global_buffer
      - .offset:         56
        .size:           4
        .value_kind:     by_value
      - .actual_access:  read_only
        .address_space:  global
        .offset:         64
        .size:           8
        .value_kind:     global_buffer
      - .offset:         72
        .size:           4
        .value_kind:     by_value
      - .offset:         76
        .size:           4
        .value_kind:     by_value
      - .offset:         80
        .size:           4
        .value_kind:     by_value
      - .actual_access:  write_only
        .address_space:  global
        .offset:         88
        .size:           8
        .value_kind:     global_buffer
      - .actual_access:  write_only
        .address_space:  global
        .offset:         96
        .size:           8
        .value_kind:     global_buffer
      - .actual_access:  write_only
        .address_space:  global
        .offset:         104
        .size:           8
        .value_kind:     global_buffer
      - .actual_access:  read_only
        .address_space:  global
        .offset:         112
        .size:           8
        .value_kind:     global_buffer
      - .offset:         120
        .size:           4
        .value_kind:     by_value
      - .address_space:  global
        .offset:         128
        .size:           8
        .value_kind:     global_buffer
      - .address_space:  global
        .offset:         136
        .size:           8
        .value_kind:     global_buffer
      - .offset:         144
        .size:           4
        .value_kind:     hidden_block_count_x
      - .offset:         148
        .size:           4
        .value_kind:     hidden_block_count_y
      - .offset:         152
        .size:           4
        .value_kind:     hidden_block_count_z
      - .offset:         156
        .size:           2
        .value_kind:     hidden_group_size_x
      - .offset:         158
        .size:           2
        .value_kind:     hidden_group_size_y
      - .offset:         160
        .size:           2
        .value_kind:     hidden_group_size_z
      - .offset:         162
        .size:           2
        .value_kind:     hidden_remainder_x
      - .offset:         164
        .size:           2
        .value_kind:     hidden_remainder_y
      - .offset:         166
        .size:           2
        .value_kind:     hidden_remainder_z
      - .offset:         184
        .size:           8
        .value_kind:     hidden_global_offset_x
      - .offset:         192
        .size:           8
        .value_kind:     hidden_global_offset_y
      - .offset:         200
        .size:           8
        .value_kind:     hidden_global_offset_z
      - .offset:         208
        .size:           2
        .value_kind:     hidden_grid_dims
    .group_segment_fixed_size: 8192
    .kernarg_segment_align: 8
    .kernarg_segment_size: 400
    .language:       OpenCL C
    .language_version:
      - 2
      - 0
    .max_flat_workgroup_size: 256
    .name:           _Z39paged_attention_ll4mi_QKV_mfma16_kernelI14__hip_bfloat16hLN4vllm18Fp8KVCacheDataTypeE1ES0_Li16ELi64ELi256ELb0ELi16EEvPKT_PKT0_S8_ifPKiSA_SA_iPKfiiiPfSD_PS3_PT2_iSC_SC_
    .private_segment_fixed_size: 0
    .sgpr_count:     55
    .sgpr_spill_count: 0
    .symbol:         _Z39paged_attention_ll4mi_QKV_mfma16_kernelI14__hip_bfloat16hLN4vllm18Fp8KVCacheDataTypeE1ES0_Li16ELi64ELi256ELb0ELi16EEvPKT_PKT0_S8_ifPKiSA_SA_iPKfiiiPfSD_PS3_PT2_iSC_SC_.kd
    .uniform_work_group_size: 1
    .uses_dynamic_stack: false
    .vgpr_count:     60
    .vgpr_spill_count: 0
    .wavefront_size: 64
  - .agpr_count:     0
    .args:
      - .actual_access:  read_only
        .address_space:  global
        .offset:         0
        .size:           8
        .value_kind:     global_buffer
      - .actual_access:  read_only
        .address_space:  global
        .offset:         8
        .size:           8
        .value_kind:     global_buffer
      - .actual_access:  read_only
        .address_space:  global
        .offset:         16
        .size:           8
        .value_kind:     global_buffer
      - .offset:         24
        .size:           4
        .value_kind:     by_value
      - .offset:         28
        .size:           4
        .value_kind:     by_value
      - .actual_access:  read_only
        .address_space:  global
        .offset:         32
        .size:           8
        .value_kind:     global_buffer
      - .actual_access:  read_only
        .address_space:  global
        .offset:         40
        .size:           8
        .value_kind:     global_buffer
      - .actual_access:  read_only
        .address_space:  global
        .offset:         48
        .size:           8
        .value_kind:     global_buffer
      - .offset:         56
        .size:           4
        .value_kind:     by_value
      - .actual_access:  read_only
        .address_space:  global
        .offset:         64
        .size:           8
        .value_kind:     global_buffer
      - .offset:         72
        .size:           4
        .value_kind:     by_value
      - .offset:         76
        .size:           4
        .value_kind:     by_value
      - .offset:         80
        .size:           4
        .value_kind:     by_value
      - .actual_access:  write_only
        .address_space:  global
        .offset:         88
        .size:           8
        .value_kind:     global_buffer
      - .actual_access:  write_only
        .address_space:  global
        .offset:         96
        .size:           8
        .value_kind:     global_buffer
      - .actual_access:  write_only
        .address_space:  global
        .offset:         104
        .size:           8
        .value_kind:     global_buffer
      - .actual_access:  read_only
        .address_space:  global
        .offset:         112
        .size:           8
        .value_kind:     global_buffer
      - .offset:         120
        .size:           4
        .value_kind:     by_value
      - .address_space:  global
        .offset:         128
        .size:           8
        .value_kind:     global_buffer
      - .address_space:  global
        .offset:         136
        .size:           8
        .value_kind:     global_buffer
      - .offset:         144
        .size:           4
        .value_kind:     hidden_block_count_x
      - .offset:         148
        .size:           4
        .value_kind:     hidden_block_count_y
      - .offset:         152
        .size:           4
        .value_kind:     hidden_block_count_z
      - .offset:         156
        .size:           2
        .value_kind:     hidden_group_size_x
      - .offset:         158
        .size:           2
        .value_kind:     hidden_group_size_y
      - .offset:         160
        .size:           2
        .value_kind:     hidden_group_size_z
      - .offset:         162
        .size:           2
        .value_kind:     hidden_remainder_x
      - .offset:         164
        .size:           2
        .value_kind:     hidden_remainder_y
      - .offset:         166
        .size:           2
        .value_kind:     hidden_remainder_z
      - .offset:         184
        .size:           8
        .value_kind:     hidden_global_offset_x
      - .offset:         192
        .size:           8
        .value_kind:     hidden_global_offset_y
      - .offset:         200
        .size:           8
        .value_kind:     hidden_global_offset_z
      - .offset:         208
        .size:           2
        .value_kind:     hidden_grid_dims
    .group_segment_fixed_size: 8192
    .kernarg_segment_align: 8
    .kernarg_segment_size: 400
    .language:       OpenCL C
    .language_version:
      - 2
      - 0
    .max_flat_workgroup_size: 256
    .name:           _Z39paged_attention_ll4mi_QKV_mfma16_kernelI14__hip_bfloat16hLN4vllm18Fp8KVCacheDataTypeE1ES0_Li16ELi64ELi256ELb0ELi1EEvPKT_PKT0_S8_ifPKiSA_SA_iPKfiiiPfSD_PS3_PT2_iSC_SC_
    .private_segment_fixed_size: 0
    .sgpr_count:     55
    .sgpr_spill_count: 0
    .symbol:         _Z39paged_attention_ll4mi_QKV_mfma16_kernelI14__hip_bfloat16hLN4vllm18Fp8KVCacheDataTypeE1ES0_Li16ELi64ELi256ELb0ELi1EEvPKT_PKT0_S8_ifPKiSA_SA_iPKfiiiPfSD_PS3_PT2_iSC_SC_.kd
    .uniform_work_group_size: 1
    .uses_dynamic_stack: false
    .vgpr_count:     59
    .vgpr_spill_count: 0
    .wavefront_size: 64
  - .agpr_count:     0
    .args:
      - .actual_access:  read_only
        .address_space:  global
        .offset:         0
        .size:           8
        .value_kind:     global_buffer
      - .actual_access:  read_only
        .address_space:  global
        .offset:         8
        .size:           8
        .value_kind:     global_buffer
      - .actual_access:  read_only
        .address_space:  global
        .offset:         16
        .size:           8
        .value_kind:     global_buffer
      - .offset:         24
        .size:           4
        .value_kind:     by_value
      - .offset:         28
        .size:           4
        .value_kind:     by_value
      - .actual_access:  read_only
        .address_space:  global
        .offset:         32
        .size:           8
        .value_kind:     global_buffer
      - .actual_access:  read_only
        .address_space:  global
        .offset:         40
        .size:           8
        .value_kind:     global_buffer
      - .actual_access:  read_only
        .address_space:  global
        .offset:         48
        .size:           8
        .value_kind:     global_buffer
      - .offset:         56
        .size:           4
        .value_kind:     by_value
      - .actual_access:  read_only
        .address_space:  global
        .offset:         64
        .size:           8
        .value_kind:     global_buffer
      - .offset:         72
        .size:           4
        .value_kind:     by_value
      - .offset:         76
        .size:           4
        .value_kind:     by_value
      - .offset:         80
        .size:           4
        .value_kind:     by_value
      - .actual_access:  write_only
        .address_space:  global
        .offset:         88
        .size:           8
        .value_kind:     global_buffer
      - .actual_access:  write_only
        .address_space:  global
        .offset:         96
        .size:           8
        .value_kind:     global_buffer
      - .actual_access:  write_only
        .address_space:  global
        .offset:         104
        .size:           8
        .value_kind:     global_buffer
      - .actual_access:  read_only
        .address_space:  global
        .offset:         112
        .size:           8
        .value_kind:     global_buffer
      - .offset:         120
        .size:           4
        .value_kind:     by_value
      - .address_space:  global
        .offset:         128
        .size:           8
        .value_kind:     global_buffer
      - .address_space:  global
        .offset:         136
        .size:           8
        .value_kind:     global_buffer
      - .offset:         144
        .size:           4
        .value_kind:     hidden_block_count_x
      - .offset:         148
        .size:           4
        .value_kind:     hidden_block_count_y
      - .offset:         152
        .size:           4
        .value_kind:     hidden_block_count_z
      - .offset:         156
        .size:           2
        .value_kind:     hidden_group_size_x
      - .offset:         158
        .size:           2
        .value_kind:     hidden_group_size_y
      - .offset:         160
        .size:           2
        .value_kind:     hidden_group_size_z
      - .offset:         162
        .size:           2
        .value_kind:     hidden_remainder_x
      - .offset:         164
        .size:           2
        .value_kind:     hidden_remainder_y
      - .offset:         166
        .size:           2
        .value_kind:     hidden_remainder_z
      - .offset:         184
        .size:           8
        .value_kind:     hidden_global_offset_x
      - .offset:         192
        .size:           8
        .value_kind:     hidden_global_offset_y
      - .offset:         200
        .size:           8
        .value_kind:     hidden_global_offset_z
      - .offset:         208
        .size:           2
        .value_kind:     hidden_grid_dims
    .group_segment_fixed_size: 8192
    .kernarg_segment_align: 8
    .kernarg_segment_size: 400
    .language:       OpenCL C
    .language_version:
      - 2
      - 0
    .max_flat_workgroup_size: 256
    .name:           _Z39paged_attention_ll4mi_QKV_mfma16_kernelI14__hip_bfloat16hLN4vllm18Fp8KVCacheDataTypeE1ES0_Li16ELi64ELi256ELb0ELi2EEvPKT_PKT0_S8_ifPKiSA_SA_iPKfiiiPfSD_PS3_PT2_iSC_SC_
    .private_segment_fixed_size: 0
    .sgpr_count:     55
    .sgpr_spill_count: 0
    .symbol:         _Z39paged_attention_ll4mi_QKV_mfma16_kernelI14__hip_bfloat16hLN4vllm18Fp8KVCacheDataTypeE1ES0_Li16ELi64ELi256ELb0ELi2EEvPKT_PKT0_S8_ifPKiSA_SA_iPKfiiiPfSD_PS3_PT2_iSC_SC_.kd
    .uniform_work_group_size: 1
    .uses_dynamic_stack: false
    .vgpr_count:     58
    .vgpr_spill_count: 0
    .wavefront_size: 64
  - .agpr_count:     0
    .args:
      - .actual_access:  read_only
        .address_space:  global
        .offset:         0
        .size:           8
        .value_kind:     global_buffer
      - .actual_access:  read_only
        .address_space:  global
        .offset:         8
        .size:           8
        .value_kind:     global_buffer
      - .actual_access:  read_only
        .address_space:  global
        .offset:         16
        .size:           8
        .value_kind:     global_buffer
      - .offset:         24
        .size:           4
        .value_kind:     by_value
      - .offset:         28
        .size:           4
        .value_kind:     by_value
      - .actual_access:  read_only
        .address_space:  global
        .offset:         32
        .size:           8
        .value_kind:     global_buffer
      - .actual_access:  read_only
        .address_space:  global
        .offset:         40
        .size:           8
        .value_kind:     global_buffer
      - .actual_access:  read_only
        .address_space:  global
        .offset:         48
        .size:           8
        .value_kind:     global_buffer
      - .offset:         56
        .size:           4
        .value_kind:     by_value
      - .actual_access:  read_only
        .address_space:  global
        .offset:         64
        .size:           8
        .value_kind:     global_buffer
      - .offset:         72
        .size:           4
        .value_kind:     by_value
      - .offset:         76
        .size:           4
        .value_kind:     by_value
      - .offset:         80
        .size:           4
        .value_kind:     by_value
      - .actual_access:  write_only
        .address_space:  global
        .offset:         88
        .size:           8
        .value_kind:     global_buffer
      - .actual_access:  write_only
        .address_space:  global
        .offset:         96
        .size:           8
        .value_kind:     global_buffer
      - .actual_access:  write_only
        .address_space:  global
        .offset:         104
        .size:           8
        .value_kind:     global_buffer
      - .actual_access:  read_only
        .address_space:  global
        .offset:         112
        .size:           8
        .value_kind:     global_buffer
      - .offset:         120
        .size:           4
        .value_kind:     by_value
      - .address_space:  global
        .offset:         128
        .size:           8
        .value_kind:     global_buffer
      - .address_space:  global
        .offset:         136
        .size:           8
        .value_kind:     global_buffer
      - .offset:         144
        .size:           4
        .value_kind:     hidden_block_count_x
      - .offset:         148
        .size:           4
        .value_kind:     hidden_block_count_y
      - .offset:         152
        .size:           4
        .value_kind:     hidden_block_count_z
      - .offset:         156
        .size:           2
        .value_kind:     hidden_group_size_x
      - .offset:         158
        .size:           2
        .value_kind:     hidden_group_size_y
      - .offset:         160
        .size:           2
        .value_kind:     hidden_group_size_z
      - .offset:         162
        .size:           2
        .value_kind:     hidden_remainder_x
      - .offset:         164
        .size:           2
        .value_kind:     hidden_remainder_y
      - .offset:         166
        .size:           2
        .value_kind:     hidden_remainder_z
      - .offset:         184
        .size:           8
        .value_kind:     hidden_global_offset_x
      - .offset:         192
        .size:           8
        .value_kind:     hidden_global_offset_y
      - .offset:         200
        .size:           8
        .value_kind:     hidden_global_offset_z
      - .offset:         208
        .size:           2
        .value_kind:     hidden_grid_dims
    .group_segment_fixed_size: 8192
    .kernarg_segment_align: 8
    .kernarg_segment_size: 400
    .language:       OpenCL C
    .language_version:
      - 2
      - 0
    .max_flat_workgroup_size: 256
    .name:           _Z39paged_attention_ll4mi_QKV_mfma16_kernelI14__hip_bfloat16hLN4vllm18Fp8KVCacheDataTypeE1ES0_Li16ELi64ELi256ELb0ELi3EEvPKT_PKT0_S8_ifPKiSA_SA_iPKfiiiPfSD_PS3_PT2_iSC_SC_
    .private_segment_fixed_size: 0
    .sgpr_count:     56
    .sgpr_spill_count: 0
    .symbol:         _Z39paged_attention_ll4mi_QKV_mfma16_kernelI14__hip_bfloat16hLN4vllm18Fp8KVCacheDataTypeE1ES0_Li16ELi64ELi256ELb0ELi3EEvPKT_PKT0_S8_ifPKiSA_SA_iPKfiiiPfSD_PS3_PT2_iSC_SC_.kd
    .uniform_work_group_size: 1
    .uses_dynamic_stack: false
    .vgpr_count:     60
    .vgpr_spill_count: 0
    .wavefront_size: 64
  - .agpr_count:     0
    .args:
      - .actual_access:  read_only
        .address_space:  global
        .offset:         0
        .size:           8
        .value_kind:     global_buffer
      - .actual_access:  read_only
        .address_space:  global
        .offset:         8
        .size:           8
        .value_kind:     global_buffer
      - .actual_access:  read_only
        .address_space:  global
        .offset:         16
        .size:           8
        .value_kind:     global_buffer
      - .offset:         24
        .size:           4
        .value_kind:     by_value
      - .offset:         28
        .size:           4
        .value_kind:     by_value
      - .actual_access:  read_only
        .address_space:  global
        .offset:         32
        .size:           8
        .value_kind:     global_buffer
      - .actual_access:  read_only
        .address_space:  global
        .offset:         40
        .size:           8
        .value_kind:     global_buffer
      - .actual_access:  read_only
        .address_space:  global
        .offset:         48
        .size:           8
        .value_kind:     global_buffer
      - .offset:         56
        .size:           4
        .value_kind:     by_value
      - .actual_access:  read_only
        .address_space:  global
        .offset:         64
        .size:           8
        .value_kind:     global_buffer
      - .offset:         72
        .size:           4
        .value_kind:     by_value
      - .offset:         76
        .size:           4
        .value_kind:     by_value
      - .offset:         80
        .size:           4
        .value_kind:     by_value
      - .actual_access:  write_only
        .address_space:  global
        .offset:         88
        .size:           8
        .value_kind:     global_buffer
      - .actual_access:  write_only
        .address_space:  global
        .offset:         96
        .size:           8
        .value_kind:     global_buffer
      - .actual_access:  write_only
        .address_space:  global
        .offset:         104
        .size:           8
        .value_kind:     global_buffer
      - .actual_access:  read_only
        .address_space:  global
        .offset:         112
        .size:           8
        .value_kind:     global_buffer
      - .offset:         120
        .size:           4
        .value_kind:     by_value
      - .address_space:  global
        .offset:         128
        .size:           8
        .value_kind:     global_buffer
      - .address_space:  global
        .offset:         136
        .size:           8
        .value_kind:     global_buffer
      - .offset:         144
        .size:           4
        .value_kind:     hidden_block_count_x
      - .offset:         148
        .size:           4
        .value_kind:     hidden_block_count_y
      - .offset:         152
        .size:           4
        .value_kind:     hidden_block_count_z
      - .offset:         156
        .size:           2
        .value_kind:     hidden_group_size_x
      - .offset:         158
        .size:           2
        .value_kind:     hidden_group_size_y
      - .offset:         160
        .size:           2
        .value_kind:     hidden_group_size_z
      - .offset:         162
        .size:           2
        .value_kind:     hidden_remainder_x
      - .offset:         164
        .size:           2
        .value_kind:     hidden_remainder_y
      - .offset:         166
        .size:           2
        .value_kind:     hidden_remainder_z
      - .offset:         184
        .size:           8
        .value_kind:     hidden_global_offset_x
      - .offset:         192
        .size:           8
        .value_kind:     hidden_global_offset_y
      - .offset:         200
        .size:           8
        .value_kind:     hidden_global_offset_z
      - .offset:         208
        .size:           2
        .value_kind:     hidden_grid_dims
    .group_segment_fixed_size: 8192
    .kernarg_segment_align: 8
    .kernarg_segment_size: 400
    .language:       OpenCL C
    .language_version:
      - 2
      - 0
    .max_flat_workgroup_size: 256
    .name:           _Z39paged_attention_ll4mi_QKV_mfma16_kernelI14__hip_bfloat16hLN4vllm18Fp8KVCacheDataTypeE1ES0_Li16ELi64ELi256ELb0ELi4EEvPKT_PKT0_S8_ifPKiSA_SA_iPKfiiiPfSD_PS3_PT2_iSC_SC_
    .private_segment_fixed_size: 0
    .sgpr_count:     56
    .sgpr_spill_count: 0
    .symbol:         _Z39paged_attention_ll4mi_QKV_mfma16_kernelI14__hip_bfloat16hLN4vllm18Fp8KVCacheDataTypeE1ES0_Li16ELi64ELi256ELb0ELi4EEvPKT_PKT0_S8_ifPKiSA_SA_iPKfiiiPfSD_PS3_PT2_iSC_SC_.kd
    .uniform_work_group_size: 1
    .uses_dynamic_stack: false
    .vgpr_count:     60
    .vgpr_spill_count: 0
    .wavefront_size: 64
  - .agpr_count:     4
    .args:
      - .actual_access:  read_only
        .address_space:  global
        .offset:         0
        .size:           8
        .value_kind:     global_buffer
      - .actual_access:  read_only
        .address_space:  global
        .offset:         8
        .size:           8
        .value_kind:     global_buffer
      - .actual_access:  read_only
        .address_space:  global
        .offset:         16
        .size:           8
        .value_kind:     global_buffer
      - .offset:         24
        .size:           4
        .value_kind:     by_value
      - .offset:         28
        .size:           4
        .value_kind:     by_value
      - .actual_access:  read_only
        .address_space:  global
        .offset:         32
        .size:           8
        .value_kind:     global_buffer
      - .actual_access:  read_only
        .address_space:  global
        .offset:         40
        .size:           8
        .value_kind:     global_buffer
      - .actual_access:  read_only
        .address_space:  global
        .offset:         48
        .size:           8
        .value_kind:     global_buffer
      - .offset:         56
        .size:           4
        .value_kind:     by_value
      - .actual_access:  read_only
        .address_space:  global
        .offset:         64
        .size:           8
        .value_kind:     global_buffer
      - .offset:         72
        .size:           4
        .value_kind:     by_value
      - .offset:         76
        .size:           4
        .value_kind:     by_value
      - .offset:         80
        .size:           4
        .value_kind:     by_value
      - .actual_access:  write_only
        .address_space:  global
        .offset:         88
        .size:           8
        .value_kind:     global_buffer
      - .actual_access:  write_only
        .address_space:  global
        .offset:         96
        .size:           8
        .value_kind:     global_buffer
      - .actual_access:  write_only
        .address_space:  global
        .offset:         104
        .size:           8
        .value_kind:     global_buffer
      - .actual_access:  read_only
        .address_space:  global
        .offset:         112
        .size:           8
        .value_kind:     global_buffer
      - .offset:         120
        .size:           4
        .value_kind:     by_value
      - .address_space:  global
        .offset:         128
        .size:           8
        .value_kind:     global_buffer
      - .address_space:  global
        .offset:         136
        .size:           8
        .value_kind:     global_buffer
      - .offset:         144
        .size:           4
        .value_kind:     hidden_block_count_x
      - .offset:         148
        .size:           4
        .value_kind:     hidden_block_count_y
      - .offset:         152
        .size:           4
        .value_kind:     hidden_block_count_z
      - .offset:         156
        .size:           2
        .value_kind:     hidden_group_size_x
      - .offset:         158
        .size:           2
        .value_kind:     hidden_group_size_y
      - .offset:         160
        .size:           2
        .value_kind:     hidden_group_size_z
      - .offset:         162
        .size:           2
        .value_kind:     hidden_remainder_x
      - .offset:         164
        .size:           2
        .value_kind:     hidden_remainder_y
      - .offset:         166
        .size:           2
        .value_kind:     hidden_remainder_z
      - .offset:         184
        .size:           8
        .value_kind:     hidden_global_offset_x
      - .offset:         192
        .size:           8
        .value_kind:     hidden_global_offset_y
      - .offset:         200
        .size:           8
        .value_kind:     hidden_global_offset_z
      - .offset:         208
        .size:           2
        .value_kind:     hidden_grid_dims
    .group_segment_fixed_size: 2720
    .kernarg_segment_align: 8
    .kernarg_segment_size: 400
    .language:       OpenCL C
    .language_version:
      - 2
      - 0
    .max_flat_workgroup_size: 256
    .name:           _Z38paged_attention_ll4mi_QKV_mfma4_kernelI14__hip_bfloat16hLN4vllm18Fp8KVCacheDataTypeE1EhLi32ELi64ELi256ELb1ELi1EEvPKT_PKT0_S8_ifPKiSA_SA_iPKfiiiPfSD_PS3_PT2_iSC_SC_
    .private_segment_fixed_size: 0
    .sgpr_count:     48
    .sgpr_spill_count: 0
    .symbol:         _Z38paged_attention_ll4mi_QKV_mfma4_kernelI14__hip_bfloat16hLN4vllm18Fp8KVCacheDataTypeE1EhLi32ELi64ELi256ELb1ELi1EEvPKT_PKT0_S8_ifPKiSA_SA_iPKfiiiPfSD_PS3_PT2_iSC_SC_.kd
    .uniform_work_group_size: 1
    .uses_dynamic_stack: false
    .vgpr_count:     48
    .vgpr_spill_count: 0
    .wavefront_size: 64
  - .agpr_count:     4
    .args:
      - .actual_access:  read_only
        .address_space:  global
        .offset:         0
        .size:           8
        .value_kind:     global_buffer
      - .actual_access:  read_only
        .address_space:  global
        .offset:         8
        .size:           8
        .value_kind:     global_buffer
      - .actual_access:  read_only
        .address_space:  global
        .offset:         16
        .size:           8
        .value_kind:     global_buffer
      - .offset:         24
        .size:           4
        .value_kind:     by_value
      - .offset:         28
        .size:           4
        .value_kind:     by_value
      - .actual_access:  read_only
        .address_space:  global
        .offset:         32
        .size:           8
        .value_kind:     global_buffer
      - .actual_access:  read_only
        .address_space:  global
        .offset:         40
        .size:           8
        .value_kind:     global_buffer
      - .actual_access:  read_only
        .address_space:  global
        .offset:         48
        .size:           8
        .value_kind:     global_buffer
      - .offset:         56
        .size:           4
        .value_kind:     by_value
      - .actual_access:  read_only
        .address_space:  global
        .offset:         64
        .size:           8
        .value_kind:     global_buffer
      - .offset:         72
        .size:           4
        .value_kind:     by_value
      - .offset:         76
        .size:           4
        .value_kind:     by_value
      - .offset:         80
        .size:           4
        .value_kind:     by_value
      - .actual_access:  write_only
        .address_space:  global
        .offset:         88
        .size:           8
        .value_kind:     global_buffer
      - .actual_access:  write_only
        .address_space:  global
        .offset:         96
        .size:           8
        .value_kind:     global_buffer
      - .actual_access:  write_only
        .address_space:  global
        .offset:         104
        .size:           8
        .value_kind:     global_buffer
      - .actual_access:  read_only
        .address_space:  global
        .offset:         112
        .size:           8
        .value_kind:     global_buffer
      - .offset:         120
        .size:           4
        .value_kind:     by_value
      - .address_space:  global
        .offset:         128
        .size:           8
        .value_kind:     global_buffer
      - .address_space:  global
        .offset:         136
        .size:           8
        .value_kind:     global_buffer
      - .offset:         144
        .size:           4
        .value_kind:     hidden_block_count_x
      - .offset:         148
        .size:           4
        .value_kind:     hidden_block_count_y
      - .offset:         152
        .size:           4
        .value_kind:     hidden_block_count_z
      - .offset:         156
        .size:           2
        .value_kind:     hidden_group_size_x
      - .offset:         158
        .size:           2
        .value_kind:     hidden_group_size_y
      - .offset:         160
        .size:           2
        .value_kind:     hidden_group_size_z
      - .offset:         162
        .size:           2
        .value_kind:     hidden_remainder_x
      - .offset:         164
        .size:           2
        .value_kind:     hidden_remainder_y
      - .offset:         166
        .size:           2
        .value_kind:     hidden_remainder_z
      - .offset:         184
        .size:           8
        .value_kind:     hidden_global_offset_x
      - .offset:         192
        .size:           8
        .value_kind:     hidden_global_offset_y
      - .offset:         200
        .size:           8
        .value_kind:     hidden_global_offset_z
      - .offset:         208
        .size:           2
        .value_kind:     hidden_grid_dims
    .group_segment_fixed_size: 2720
    .kernarg_segment_align: 8
    .kernarg_segment_size: 400
    .language:       OpenCL C
    .language_version:
      - 2
      - 0
    .max_flat_workgroup_size: 256
    .name:           _Z38paged_attention_ll4mi_QKV_mfma4_kernelI14__hip_bfloat16hLN4vllm18Fp8KVCacheDataTypeE1EhLi32ELi64ELi256ELb1ELi2EEvPKT_PKT0_S8_ifPKiSA_SA_iPKfiiiPfSD_PS3_PT2_iSC_SC_
    .private_segment_fixed_size: 0
    .sgpr_count:     50
    .sgpr_spill_count: 0
    .symbol:         _Z38paged_attention_ll4mi_QKV_mfma4_kernelI14__hip_bfloat16hLN4vllm18Fp8KVCacheDataTypeE1EhLi32ELi64ELi256ELb1ELi2EEvPKT_PKT0_S8_ifPKiSA_SA_iPKfiiiPfSD_PS3_PT2_iSC_SC_.kd
    .uniform_work_group_size: 1
    .uses_dynamic_stack: false
    .vgpr_count:     52
    .vgpr_spill_count: 0
    .wavefront_size: 64
  - .agpr_count:     4
    .args:
      - .actual_access:  read_only
        .address_space:  global
        .offset:         0
        .size:           8
        .value_kind:     global_buffer
      - .actual_access:  read_only
        .address_space:  global
        .offset:         8
        .size:           8
        .value_kind:     global_buffer
      - .actual_access:  read_only
        .address_space:  global
        .offset:         16
        .size:           8
        .value_kind:     global_buffer
      - .offset:         24
        .size:           4
        .value_kind:     by_value
      - .offset:         28
        .size:           4
        .value_kind:     by_value
      - .actual_access:  read_only
        .address_space:  global
        .offset:         32
        .size:           8
        .value_kind:     global_buffer
      - .actual_access:  read_only
        .address_space:  global
        .offset:         40
        .size:           8
        .value_kind:     global_buffer
      - .actual_access:  read_only
        .address_space:  global
        .offset:         48
        .size:           8
        .value_kind:     global_buffer
      - .offset:         56
        .size:           4
        .value_kind:     by_value
      - .actual_access:  read_only
        .address_space:  global
        .offset:         64
        .size:           8
        .value_kind:     global_buffer
      - .offset:         72
        .size:           4
        .value_kind:     by_value
      - .offset:         76
        .size:           4
        .value_kind:     by_value
      - .offset:         80
        .size:           4
        .value_kind:     by_value
      - .actual_access:  write_only
        .address_space:  global
        .offset:         88
        .size:           8
        .value_kind:     global_buffer
      - .actual_access:  write_only
        .address_space:  global
        .offset:         96
        .size:           8
        .value_kind:     global_buffer
      - .actual_access:  write_only
        .address_space:  global
        .offset:         104
        .size:           8
        .value_kind:     global_buffer
      - .actual_access:  read_only
        .address_space:  global
        .offset:         112
        .size:           8
        .value_kind:     global_buffer
      - .offset:         120
        .size:           4
        .value_kind:     by_value
      - .address_space:  global
        .offset:         128
        .size:           8
        .value_kind:     global_buffer
      - .address_space:  global
        .offset:         136
        .size:           8
        .value_kind:     global_buffer
      - .offset:         144
        .size:           4
        .value_kind:     hidden_block_count_x
      - .offset:         148
        .size:           4
        .value_kind:     hidden_block_count_y
      - .offset:         152
        .size:           4
        .value_kind:     hidden_block_count_z
      - .offset:         156
        .size:           2
        .value_kind:     hidden_group_size_x
      - .offset:         158
        .size:           2
        .value_kind:     hidden_group_size_y
      - .offset:         160
        .size:           2
        .value_kind:     hidden_group_size_z
      - .offset:         162
        .size:           2
        .value_kind:     hidden_remainder_x
      - .offset:         164
        .size:           2
        .value_kind:     hidden_remainder_y
      - .offset:         166
        .size:           2
        .value_kind:     hidden_remainder_z
      - .offset:         184
        .size:           8
        .value_kind:     hidden_global_offset_x
      - .offset:         192
        .size:           8
        .value_kind:     hidden_global_offset_y
      - .offset:         200
        .size:           8
        .value_kind:     hidden_global_offset_z
      - .offset:         208
        .size:           2
        .value_kind:     hidden_grid_dims
    .group_segment_fixed_size: 2720
    .kernarg_segment_align: 8
    .kernarg_segment_size: 400
    .language:       OpenCL C
    .language_version:
      - 2
      - 0
    .max_flat_workgroup_size: 256
    .name:           _Z38paged_attention_ll4mi_QKV_mfma4_kernelI14__hip_bfloat16hLN4vllm18Fp8KVCacheDataTypeE1EhLi32ELi64ELi256ELb1ELi3EEvPKT_PKT0_S8_ifPKiSA_SA_iPKfiiiPfSD_PS3_PT2_iSC_SC_
    .private_segment_fixed_size: 0
    .sgpr_count:     50
    .sgpr_spill_count: 0
    .symbol:         _Z38paged_attention_ll4mi_QKV_mfma4_kernelI14__hip_bfloat16hLN4vllm18Fp8KVCacheDataTypeE1EhLi32ELi64ELi256ELb1ELi3EEvPKT_PKT0_S8_ifPKiSA_SA_iPKfiiiPfSD_PS3_PT2_iSC_SC_.kd
    .uniform_work_group_size: 1
    .uses_dynamic_stack: false
    .vgpr_count:     48
    .vgpr_spill_count: 0
    .wavefront_size: 64
  - .agpr_count:     4
    .args:
      - .actual_access:  read_only
        .address_space:  global
        .offset:         0
        .size:           8
        .value_kind:     global_buffer
      - .actual_access:  read_only
        .address_space:  global
        .offset:         8
        .size:           8
        .value_kind:     global_buffer
      - .actual_access:  read_only
        .address_space:  global
        .offset:         16
        .size:           8
        .value_kind:     global_buffer
      - .offset:         24
        .size:           4
        .value_kind:     by_value
      - .offset:         28
        .size:           4
        .value_kind:     by_value
      - .actual_access:  read_only
        .address_space:  global
        .offset:         32
        .size:           8
        .value_kind:     global_buffer
      - .actual_access:  read_only
        .address_space:  global
        .offset:         40
        .size:           8
        .value_kind:     global_buffer
      - .actual_access:  read_only
        .address_space:  global
        .offset:         48
        .size:           8
        .value_kind:     global_buffer
      - .offset:         56
        .size:           4
        .value_kind:     by_value
      - .actual_access:  read_only
        .address_space:  global
        .offset:         64
        .size:           8
        .value_kind:     global_buffer
      - .offset:         72
        .size:           4
        .value_kind:     by_value
      - .offset:         76
        .size:           4
        .value_kind:     by_value
      - .offset:         80
        .size:           4
        .value_kind:     by_value
      - .actual_access:  write_only
        .address_space:  global
        .offset:         88
        .size:           8
        .value_kind:     global_buffer
      - .actual_access:  write_only
        .address_space:  global
        .offset:         96
        .size:           8
        .value_kind:     global_buffer
      - .actual_access:  write_only
        .address_space:  global
        .offset:         104
        .size:           8
        .value_kind:     global_buffer
      - .actual_access:  read_only
        .address_space:  global
        .offset:         112
        .size:           8
        .value_kind:     global_buffer
      - .offset:         120
        .size:           4
        .value_kind:     by_value
      - .address_space:  global
        .offset:         128
        .size:           8
        .value_kind:     global_buffer
      - .address_space:  global
        .offset:         136
        .size:           8
        .value_kind:     global_buffer
      - .offset:         144
        .size:           4
        .value_kind:     hidden_block_count_x
      - .offset:         148
        .size:           4
        .value_kind:     hidden_block_count_y
      - .offset:         152
        .size:           4
        .value_kind:     hidden_block_count_z
      - .offset:         156
        .size:           2
        .value_kind:     hidden_group_size_x
      - .offset:         158
        .size:           2
        .value_kind:     hidden_group_size_y
      - .offset:         160
        .size:           2
        .value_kind:     hidden_group_size_z
      - .offset:         162
        .size:           2
        .value_kind:     hidden_remainder_x
      - .offset:         164
        .size:           2
        .value_kind:     hidden_remainder_y
      - .offset:         166
        .size:           2
        .value_kind:     hidden_remainder_z
      - .offset:         184
        .size:           8
        .value_kind:     hidden_global_offset_x
      - .offset:         192
        .size:           8
        .value_kind:     hidden_global_offset_y
      - .offset:         200
        .size:           8
        .value_kind:     hidden_global_offset_z
      - .offset:         208
        .size:           2
        .value_kind:     hidden_grid_dims
    .group_segment_fixed_size: 2720
    .kernarg_segment_align: 8
    .kernarg_segment_size: 400
    .language:       OpenCL C
    .language_version:
      - 2
      - 0
    .max_flat_workgroup_size: 256
    .name:           _Z38paged_attention_ll4mi_QKV_mfma4_kernelI14__hip_bfloat16hLN4vllm18Fp8KVCacheDataTypeE1EhLi32ELi64ELi256ELb1ELi4EEvPKT_PKT0_S8_ifPKiSA_SA_iPKfiiiPfSD_PS3_PT2_iSC_SC_
    .private_segment_fixed_size: 0
    .sgpr_count:     51
    .sgpr_spill_count: 0
    .symbol:         _Z38paged_attention_ll4mi_QKV_mfma4_kernelI14__hip_bfloat16hLN4vllm18Fp8KVCacheDataTypeE1EhLi32ELi64ELi256ELb1ELi4EEvPKT_PKT0_S8_ifPKiSA_SA_iPKfiiiPfSD_PS3_PT2_iSC_SC_.kd
    .uniform_work_group_size: 1
    .uses_dynamic_stack: false
    .vgpr_count:     88
    .vgpr_spill_count: 0
    .wavefront_size: 64
  - .agpr_count:     0
    .args:
      - .actual_access:  read_only
        .address_space:  global
        .offset:         0
        .size:           8
        .value_kind:     global_buffer
      - .actual_access:  read_only
        .address_space:  global
        .offset:         8
        .size:           8
        .value_kind:     global_buffer
      - .actual_access:  read_only
        .address_space:  global
        .offset:         16
        .size:           8
        .value_kind:     global_buffer
      - .offset:         24
        .size:           4
        .value_kind:     by_value
      - .offset:         28
        .size:           4
        .value_kind:     by_value
      - .actual_access:  read_only
        .address_space:  global
        .offset:         32
        .size:           8
        .value_kind:     global_buffer
      - .actual_access:  read_only
        .address_space:  global
        .offset:         40
        .size:           8
        .value_kind:     global_buffer
      - .actual_access:  read_only
        .address_space:  global
        .offset:         48
        .size:           8
        .value_kind:     global_buffer
      - .offset:         56
        .size:           4
        .value_kind:     by_value
      - .actual_access:  read_only
        .address_space:  global
        .offset:         64
        .size:           8
        .value_kind:     global_buffer
      - .offset:         72
        .size:           4
        .value_kind:     by_value
      - .offset:         76
        .size:           4
        .value_kind:     by_value
      - .offset:         80
        .size:           4
        .value_kind:     by_value
      - .actual_access:  write_only
        .address_space:  global
        .offset:         88
        .size:           8
        .value_kind:     global_buffer
      - .actual_access:  write_only
        .address_space:  global
        .offset:         96
        .size:           8
        .value_kind:     global_buffer
      - .actual_access:  write_only
        .address_space:  global
        .offset:         104
        .size:           8
        .value_kind:     global_buffer
      - .actual_access:  read_only
        .address_space:  global
        .offset:         112
        .size:           8
        .value_kind:     global_buffer
      - .offset:         120
        .size:           4
        .value_kind:     by_value
      - .address_space:  global
        .offset:         128
        .size:           8
        .value_kind:     global_buffer
      - .address_space:  global
        .offset:         136
        .size:           8
        .value_kind:     global_buffer
      - .offset:         144
        .size:           4
        .value_kind:     hidden_block_count_x
      - .offset:         148
        .size:           4
        .value_kind:     hidden_block_count_y
      - .offset:         152
        .size:           4
        .value_kind:     hidden_block_count_z
      - .offset:         156
        .size:           2
        .value_kind:     hidden_group_size_x
      - .offset:         158
        .size:           2
        .value_kind:     hidden_group_size_y
      - .offset:         160
        .size:           2
        .value_kind:     hidden_group_size_z
      - .offset:         162
        .size:           2
        .value_kind:     hidden_remainder_x
      - .offset:         164
        .size:           2
        .value_kind:     hidden_remainder_y
      - .offset:         166
        .size:           2
        .value_kind:     hidden_remainder_z
      - .offset:         184
        .size:           8
        .value_kind:     hidden_global_offset_x
      - .offset:         192
        .size:           8
        .value_kind:     hidden_global_offset_y
      - .offset:         200
        .size:           8
        .value_kind:     hidden_global_offset_z
      - .offset:         208
        .size:           2
        .value_kind:     hidden_grid_dims
    .group_segment_fixed_size: 8192
    .kernarg_segment_align: 8
    .kernarg_segment_size: 400
    .language:       OpenCL C
    .language_version:
      - 2
      - 0
    .max_flat_workgroup_size: 256
    .name:           _Z39paged_attention_ll4mi_QKV_mfma16_kernelI14__hip_bfloat16hLN4vllm18Fp8KVCacheDataTypeE1EhLi32ELi64ELi256ELb1ELi5EEvPKT_PKT0_S8_ifPKiSA_SA_iPKfiiiPfSD_PS3_PT2_iSC_SC_
    .private_segment_fixed_size: 0
    .sgpr_count:     56
    .sgpr_spill_count: 0
    .symbol:         _Z39paged_attention_ll4mi_QKV_mfma16_kernelI14__hip_bfloat16hLN4vllm18Fp8KVCacheDataTypeE1EhLi32ELi64ELi256ELb1ELi5EEvPKT_PKT0_S8_ifPKiSA_SA_iPKfiiiPfSD_PS3_PT2_iSC_SC_.kd
    .uniform_work_group_size: 1
    .uses_dynamic_stack: false
    .vgpr_count:     71
    .vgpr_spill_count: 0
    .wavefront_size: 64
  - .agpr_count:     0
    .args:
      - .actual_access:  read_only
        .address_space:  global
        .offset:         0
        .size:           8
        .value_kind:     global_buffer
      - .actual_access:  read_only
        .address_space:  global
        .offset:         8
        .size:           8
        .value_kind:     global_buffer
      - .actual_access:  read_only
        .address_space:  global
        .offset:         16
        .size:           8
        .value_kind:     global_buffer
      - .offset:         24
        .size:           4
        .value_kind:     by_value
      - .offset:         28
        .size:           4
        .value_kind:     by_value
      - .actual_access:  read_only
        .address_space:  global
        .offset:         32
        .size:           8
        .value_kind:     global_buffer
      - .actual_access:  read_only
        .address_space:  global
        .offset:         40
        .size:           8
        .value_kind:     global_buffer
      - .actual_access:  read_only
        .address_space:  global
        .offset:         48
        .size:           8
        .value_kind:     global_buffer
      - .offset:         56
        .size:           4
        .value_kind:     by_value
      - .actual_access:  read_only
        .address_space:  global
        .offset:         64
        .size:           8
        .value_kind:     global_buffer
      - .offset:         72
        .size:           4
        .value_kind:     by_value
      - .offset:         76
        .size:           4
        .value_kind:     by_value
      - .offset:         80
        .size:           4
        .value_kind:     by_value
      - .actual_access:  write_only
        .address_space:  global
        .offset:         88
        .size:           8
        .value_kind:     global_buffer
      - .actual_access:  write_only
        .address_space:  global
        .offset:         96
        .size:           8
        .value_kind:     global_buffer
      - .actual_access:  write_only
        .address_space:  global
        .offset:         104
        .size:           8
        .value_kind:     global_buffer
      - .actual_access:  read_only
        .address_space:  global
        .offset:         112
        .size:           8
        .value_kind:     global_buffer
      - .offset:         120
        .size:           4
        .value_kind:     by_value
      - .address_space:  global
        .offset:         128
        .size:           8
        .value_kind:     global_buffer
      - .address_space:  global
        .offset:         136
        .size:           8
        .value_kind:     global_buffer
      - .offset:         144
        .size:           4
        .value_kind:     hidden_block_count_x
      - .offset:         148
        .size:           4
        .value_kind:     hidden_block_count_y
      - .offset:         152
        .size:           4
        .value_kind:     hidden_block_count_z
      - .offset:         156
        .size:           2
        .value_kind:     hidden_group_size_x
      - .offset:         158
        .size:           2
        .value_kind:     hidden_group_size_y
      - .offset:         160
        .size:           2
        .value_kind:     hidden_group_size_z
      - .offset:         162
        .size:           2
        .value_kind:     hidden_remainder_x
      - .offset:         164
        .size:           2
        .value_kind:     hidden_remainder_y
      - .offset:         166
        .size:           2
        .value_kind:     hidden_remainder_z
      - .offset:         184
        .size:           8
        .value_kind:     hidden_global_offset_x
      - .offset:         192
        .size:           8
        .value_kind:     hidden_global_offset_y
      - .offset:         200
        .size:           8
        .value_kind:     hidden_global_offset_z
      - .offset:         208
        .size:           2
        .value_kind:     hidden_grid_dims
    .group_segment_fixed_size: 8192
    .kernarg_segment_align: 8
    .kernarg_segment_size: 400
    .language:       OpenCL C
    .language_version:
      - 2
      - 0
    .max_flat_workgroup_size: 256
    .name:           _Z39paged_attention_ll4mi_QKV_mfma16_kernelI14__hip_bfloat16hLN4vllm18Fp8KVCacheDataTypeE1EhLi32ELi64ELi256ELb1ELi6EEvPKT_PKT0_S8_ifPKiSA_SA_iPKfiiiPfSD_PS3_PT2_iSC_SC_
    .private_segment_fixed_size: 0
    .sgpr_count:     56
    .sgpr_spill_count: 0
    .symbol:         _Z39paged_attention_ll4mi_QKV_mfma16_kernelI14__hip_bfloat16hLN4vllm18Fp8KVCacheDataTypeE1EhLi32ELi64ELi256ELb1ELi6EEvPKT_PKT0_S8_ifPKiSA_SA_iPKfiiiPfSD_PS3_PT2_iSC_SC_.kd
    .uniform_work_group_size: 1
    .uses_dynamic_stack: false
    .vgpr_count:     71
    .vgpr_spill_count: 0
    .wavefront_size: 64
  - .agpr_count:     0
    .args:
      - .actual_access:  read_only
        .address_space:  global
        .offset:         0
        .size:           8
        .value_kind:     global_buffer
      - .actual_access:  read_only
        .address_space:  global
        .offset:         8
        .size:           8
        .value_kind:     global_buffer
      - .actual_access:  read_only
        .address_space:  global
        .offset:         16
        .size:           8
        .value_kind:     global_buffer
      - .offset:         24
        .size:           4
        .value_kind:     by_value
      - .offset:         28
        .size:           4
        .value_kind:     by_value
      - .actual_access:  read_only
        .address_space:  global
        .offset:         32
        .size:           8
        .value_kind:     global_buffer
      - .actual_access:  read_only
        .address_space:  global
        .offset:         40
        .size:           8
        .value_kind:     global_buffer
      - .actual_access:  read_only
        .address_space:  global
        .offset:         48
        .size:           8
        .value_kind:     global_buffer
      - .offset:         56
        .size:           4
        .value_kind:     by_value
      - .actual_access:  read_only
        .address_space:  global
        .offset:         64
        .size:           8
        .value_kind:     global_buffer
      - .offset:         72
        .size:           4
        .value_kind:     by_value
      - .offset:         76
        .size:           4
        .value_kind:     by_value
      - .offset:         80
        .size:           4
        .value_kind:     by_value
      - .actual_access:  write_only
        .address_space:  global
        .offset:         88
        .size:           8
        .value_kind:     global_buffer
      - .actual_access:  write_only
        .address_space:  global
        .offset:         96
        .size:           8
        .value_kind:     global_buffer
      - .actual_access:  write_only
        .address_space:  global
        .offset:         104
        .size:           8
        .value_kind:     global_buffer
      - .actual_access:  read_only
        .address_space:  global
        .offset:         112
        .size:           8
        .value_kind:     global_buffer
      - .offset:         120
        .size:           4
        .value_kind:     by_value
      - .address_space:  global
        .offset:         128
        .size:           8
        .value_kind:     global_buffer
      - .address_space:  global
        .offset:         136
        .size:           8
        .value_kind:     global_buffer
      - .offset:         144
        .size:           4
        .value_kind:     hidden_block_count_x
      - .offset:         148
        .size:           4
        .value_kind:     hidden_block_count_y
      - .offset:         152
        .size:           4
        .value_kind:     hidden_block_count_z
      - .offset:         156
        .size:           2
        .value_kind:     hidden_group_size_x
      - .offset:         158
        .size:           2
        .value_kind:     hidden_group_size_y
      - .offset:         160
        .size:           2
        .value_kind:     hidden_group_size_z
      - .offset:         162
        .size:           2
        .value_kind:     hidden_remainder_x
      - .offset:         164
        .size:           2
        .value_kind:     hidden_remainder_y
      - .offset:         166
        .size:           2
        .value_kind:     hidden_remainder_z
      - .offset:         184
        .size:           8
        .value_kind:     hidden_global_offset_x
      - .offset:         192
        .size:           8
        .value_kind:     hidden_global_offset_y
      - .offset:         200
        .size:           8
        .value_kind:     hidden_global_offset_z
      - .offset:         208
        .size:           2
        .value_kind:     hidden_grid_dims
    .group_segment_fixed_size: 8192
    .kernarg_segment_align: 8
    .kernarg_segment_size: 400
    .language:       OpenCL C
    .language_version:
      - 2
      - 0
    .max_flat_workgroup_size: 256
    .name:           _Z39paged_attention_ll4mi_QKV_mfma16_kernelI14__hip_bfloat16hLN4vllm18Fp8KVCacheDataTypeE1EhLi32ELi64ELi256ELb1ELi7EEvPKT_PKT0_S8_ifPKiSA_SA_iPKfiiiPfSD_PS3_PT2_iSC_SC_
    .private_segment_fixed_size: 0
    .sgpr_count:     56
    .sgpr_spill_count: 0
    .symbol:         _Z39paged_attention_ll4mi_QKV_mfma16_kernelI14__hip_bfloat16hLN4vllm18Fp8KVCacheDataTypeE1EhLi32ELi64ELi256ELb1ELi7EEvPKT_PKT0_S8_ifPKiSA_SA_iPKfiiiPfSD_PS3_PT2_iSC_SC_.kd
    .uniform_work_group_size: 1
    .uses_dynamic_stack: false
    .vgpr_count:     71
    .vgpr_spill_count: 0
    .wavefront_size: 64
  - .agpr_count:     0
    .args:
      - .actual_access:  read_only
        .address_space:  global
        .offset:         0
        .size:           8
        .value_kind:     global_buffer
      - .actual_access:  read_only
        .address_space:  global
        .offset:         8
        .size:           8
        .value_kind:     global_buffer
      - .actual_access:  read_only
        .address_space:  global
        .offset:         16
        .size:           8
        .value_kind:     global_buffer
      - .offset:         24
        .size:           4
        .value_kind:     by_value
      - .offset:         28
        .size:           4
        .value_kind:     by_value
      - .actual_access:  read_only
        .address_space:  global
        .offset:         32
        .size:           8
        .value_kind:     global_buffer
      - .actual_access:  read_only
        .address_space:  global
        .offset:         40
        .size:           8
        .value_kind:     global_buffer
      - .actual_access:  read_only
        .address_space:  global
        .offset:         48
        .size:           8
        .value_kind:     global_buffer
      - .offset:         56
        .size:           4
        .value_kind:     by_value
      - .actual_access:  read_only
        .address_space:  global
        .offset:         64
        .size:           8
        .value_kind:     global_buffer
      - .offset:         72
        .size:           4
        .value_kind:     by_value
      - .offset:         76
        .size:           4
        .value_kind:     by_value
      - .offset:         80
        .size:           4
        .value_kind:     by_value
      - .actual_access:  write_only
        .address_space:  global
        .offset:         88
        .size:           8
        .value_kind:     global_buffer
      - .actual_access:  write_only
        .address_space:  global
        .offset:         96
        .size:           8
        .value_kind:     global_buffer
      - .actual_access:  write_only
        .address_space:  global
        .offset:         104
        .size:           8
        .value_kind:     global_buffer
      - .actual_access:  read_only
        .address_space:  global
        .offset:         112
        .size:           8
        .value_kind:     global_buffer
      - .offset:         120
        .size:           4
        .value_kind:     by_value
      - .address_space:  global
        .offset:         128
        .size:           8
        .value_kind:     global_buffer
      - .address_space:  global
        .offset:         136
        .size:           8
        .value_kind:     global_buffer
      - .offset:         144
        .size:           4
        .value_kind:     hidden_block_count_x
      - .offset:         148
        .size:           4
        .value_kind:     hidden_block_count_y
      - .offset:         152
        .size:           4
        .value_kind:     hidden_block_count_z
      - .offset:         156
        .size:           2
        .value_kind:     hidden_group_size_x
      - .offset:         158
        .size:           2
        .value_kind:     hidden_group_size_y
      - .offset:         160
        .size:           2
        .value_kind:     hidden_group_size_z
      - .offset:         162
        .size:           2
        .value_kind:     hidden_remainder_x
      - .offset:         164
        .size:           2
        .value_kind:     hidden_remainder_y
      - .offset:         166
        .size:           2
        .value_kind:     hidden_remainder_z
      - .offset:         184
        .size:           8
        .value_kind:     hidden_global_offset_x
      - .offset:         192
        .size:           8
        .value_kind:     hidden_global_offset_y
      - .offset:         200
        .size:           8
        .value_kind:     hidden_global_offset_z
      - .offset:         208
        .size:           2
        .value_kind:     hidden_grid_dims
    .group_segment_fixed_size: 8192
    .kernarg_segment_align: 8
    .kernarg_segment_size: 400
    .language:       OpenCL C
    .language_version:
      - 2
      - 0
    .max_flat_workgroup_size: 256
    .name:           _Z39paged_attention_ll4mi_QKV_mfma16_kernelI14__hip_bfloat16hLN4vllm18Fp8KVCacheDataTypeE1EhLi32ELi64ELi256ELb1ELi8EEvPKT_PKT0_S8_ifPKiSA_SA_iPKfiiiPfSD_PS3_PT2_iSC_SC_
    .private_segment_fixed_size: 0
    .sgpr_count:     54
    .sgpr_spill_count: 0
    .symbol:         _Z39paged_attention_ll4mi_QKV_mfma16_kernelI14__hip_bfloat16hLN4vllm18Fp8KVCacheDataTypeE1EhLi32ELi64ELi256ELb1ELi8EEvPKT_PKT0_S8_ifPKiSA_SA_iPKfiiiPfSD_PS3_PT2_iSC_SC_.kd
    .uniform_work_group_size: 1
    .uses_dynamic_stack: false
    .vgpr_count:     73
    .vgpr_spill_count: 0
    .wavefront_size: 64
  - .agpr_count:     0
    .args:
      - .actual_access:  read_only
        .address_space:  global
        .offset:         0
        .size:           8
        .value_kind:     global_buffer
      - .actual_access:  read_only
        .address_space:  global
        .offset:         8
        .size:           8
        .value_kind:     global_buffer
      - .actual_access:  read_only
        .address_space:  global
        .offset:         16
        .size:           8
        .value_kind:     global_buffer
      - .offset:         24
        .size:           4
        .value_kind:     by_value
      - .offset:         28
        .size:           4
        .value_kind:     by_value
      - .actual_access:  read_only
        .address_space:  global
        .offset:         32
        .size:           8
        .value_kind:     global_buffer
      - .actual_access:  read_only
        .address_space:  global
        .offset:         40
        .size:           8
        .value_kind:     global_buffer
      - .actual_access:  read_only
        .address_space:  global
        .offset:         48
        .size:           8
        .value_kind:     global_buffer
      - .offset:         56
        .size:           4
        .value_kind:     by_value
      - .actual_access:  read_only
        .address_space:  global
        .offset:         64
        .size:           8
        .value_kind:     global_buffer
      - .offset:         72
        .size:           4
        .value_kind:     by_value
      - .offset:         76
        .size:           4
        .value_kind:     by_value
      - .offset:         80
        .size:           4
        .value_kind:     by_value
      - .actual_access:  write_only
        .address_space:  global
        .offset:         88
        .size:           8
        .value_kind:     global_buffer
      - .actual_access:  write_only
        .address_space:  global
        .offset:         96
        .size:           8
        .value_kind:     global_buffer
      - .actual_access:  write_only
        .address_space:  global
        .offset:         104
        .size:           8
        .value_kind:     global_buffer
      - .actual_access:  read_only
        .address_space:  global
        .offset:         112
        .size:           8
        .value_kind:     global_buffer
      - .offset:         120
        .size:           4
        .value_kind:     by_value
      - .address_space:  global
        .offset:         128
        .size:           8
        .value_kind:     global_buffer
      - .address_space:  global
        .offset:         136
        .size:           8
        .value_kind:     global_buffer
      - .offset:         144
        .size:           4
        .value_kind:     hidden_block_count_x
      - .offset:         148
        .size:           4
        .value_kind:     hidden_block_count_y
      - .offset:         152
        .size:           4
        .value_kind:     hidden_block_count_z
      - .offset:         156
        .size:           2
        .value_kind:     hidden_group_size_x
      - .offset:         158
        .size:           2
        .value_kind:     hidden_group_size_y
      - .offset:         160
        .size:           2
        .value_kind:     hidden_group_size_z
      - .offset:         162
        .size:           2
        .value_kind:     hidden_remainder_x
      - .offset:         164
        .size:           2
        .value_kind:     hidden_remainder_y
      - .offset:         166
        .size:           2
        .value_kind:     hidden_remainder_z
      - .offset:         184
        .size:           8
        .value_kind:     hidden_global_offset_x
      - .offset:         192
        .size:           8
        .value_kind:     hidden_global_offset_y
      - .offset:         200
        .size:           8
        .value_kind:     hidden_global_offset_z
      - .offset:         208
        .size:           2
        .value_kind:     hidden_grid_dims
    .group_segment_fixed_size: 8192
    .kernarg_segment_align: 8
    .kernarg_segment_size: 400
    .language:       OpenCL C
    .language_version:
      - 2
      - 0
    .max_flat_workgroup_size: 256
    .name:           _Z39paged_attention_ll4mi_QKV_mfma16_kernelI14__hip_bfloat16hLN4vllm18Fp8KVCacheDataTypeE1EhLi32ELi64ELi256ELb1ELi9EEvPKT_PKT0_S8_ifPKiSA_SA_iPKfiiiPfSD_PS3_PT2_iSC_SC_
    .private_segment_fixed_size: 0
    .sgpr_count:     56
    .sgpr_spill_count: 0
    .symbol:         _Z39paged_attention_ll4mi_QKV_mfma16_kernelI14__hip_bfloat16hLN4vllm18Fp8KVCacheDataTypeE1EhLi32ELi64ELi256ELb1ELi9EEvPKT_PKT0_S8_ifPKiSA_SA_iPKfiiiPfSD_PS3_PT2_iSC_SC_.kd
    .uniform_work_group_size: 1
    .uses_dynamic_stack: false
    .vgpr_count:     71
    .vgpr_spill_count: 0
    .wavefront_size: 64
  - .agpr_count:     0
    .args:
      - .actual_access:  read_only
        .address_space:  global
        .offset:         0
        .size:           8
        .value_kind:     global_buffer
      - .actual_access:  read_only
        .address_space:  global
        .offset:         8
        .size:           8
        .value_kind:     global_buffer
      - .actual_access:  read_only
        .address_space:  global
        .offset:         16
        .size:           8
        .value_kind:     global_buffer
      - .offset:         24
        .size:           4
        .value_kind:     by_value
      - .offset:         28
        .size:           4
        .value_kind:     by_value
      - .actual_access:  read_only
        .address_space:  global
        .offset:         32
        .size:           8
        .value_kind:     global_buffer
      - .actual_access:  read_only
        .address_space:  global
        .offset:         40
        .size:           8
        .value_kind:     global_buffer
      - .actual_access:  read_only
        .address_space:  global
        .offset:         48
        .size:           8
        .value_kind:     global_buffer
      - .offset:         56
        .size:           4
        .value_kind:     by_value
      - .actual_access:  read_only
        .address_space:  global
        .offset:         64
        .size:           8
        .value_kind:     global_buffer
      - .offset:         72
        .size:           4
        .value_kind:     by_value
      - .offset:         76
        .size:           4
        .value_kind:     by_value
      - .offset:         80
        .size:           4
        .value_kind:     by_value
      - .actual_access:  write_only
        .address_space:  global
        .offset:         88
        .size:           8
        .value_kind:     global_buffer
      - .actual_access:  write_only
        .address_space:  global
        .offset:         96
        .size:           8
        .value_kind:     global_buffer
      - .actual_access:  write_only
        .address_space:  global
        .offset:         104
        .size:           8
        .value_kind:     global_buffer
      - .actual_access:  read_only
        .address_space:  global
        .offset:         112
        .size:           8
        .value_kind:     global_buffer
      - .offset:         120
        .size:           4
        .value_kind:     by_value
      - .address_space:  global
        .offset:         128
        .size:           8
        .value_kind:     global_buffer
      - .address_space:  global
        .offset:         136
        .size:           8
        .value_kind:     global_buffer
      - .offset:         144
        .size:           4
        .value_kind:     hidden_block_count_x
      - .offset:         148
        .size:           4
        .value_kind:     hidden_block_count_y
      - .offset:         152
        .size:           4
        .value_kind:     hidden_block_count_z
      - .offset:         156
        .size:           2
        .value_kind:     hidden_group_size_x
      - .offset:         158
        .size:           2
        .value_kind:     hidden_group_size_y
      - .offset:         160
        .size:           2
        .value_kind:     hidden_group_size_z
      - .offset:         162
        .size:           2
        .value_kind:     hidden_remainder_x
      - .offset:         164
        .size:           2
        .value_kind:     hidden_remainder_y
      - .offset:         166
        .size:           2
        .value_kind:     hidden_remainder_z
      - .offset:         184
        .size:           8
        .value_kind:     hidden_global_offset_x
      - .offset:         192
        .size:           8
        .value_kind:     hidden_global_offset_y
      - .offset:         200
        .size:           8
        .value_kind:     hidden_global_offset_z
      - .offset:         208
        .size:           2
        .value_kind:     hidden_grid_dims
    .group_segment_fixed_size: 8192
    .kernarg_segment_align: 8
    .kernarg_segment_size: 400
    .language:       OpenCL C
    .language_version:
      - 2
      - 0
    .max_flat_workgroup_size: 256
    .name:           _Z39paged_attention_ll4mi_QKV_mfma16_kernelI14__hip_bfloat16hLN4vllm18Fp8KVCacheDataTypeE1EhLi32ELi64ELi256ELb1ELi10EEvPKT_PKT0_S8_ifPKiSA_SA_iPKfiiiPfSD_PS3_PT2_iSC_SC_
    .private_segment_fixed_size: 0
    .sgpr_count:     56
    .sgpr_spill_count: 0
    .symbol:         _Z39paged_attention_ll4mi_QKV_mfma16_kernelI14__hip_bfloat16hLN4vllm18Fp8KVCacheDataTypeE1EhLi32ELi64ELi256ELb1ELi10EEvPKT_PKT0_S8_ifPKiSA_SA_iPKfiiiPfSD_PS3_PT2_iSC_SC_.kd
    .uniform_work_group_size: 1
    .uses_dynamic_stack: false
    .vgpr_count:     71
    .vgpr_spill_count: 0
    .wavefront_size: 64
  - .agpr_count:     0
    .args:
      - .actual_access:  read_only
        .address_space:  global
        .offset:         0
        .size:           8
        .value_kind:     global_buffer
      - .actual_access:  read_only
        .address_space:  global
        .offset:         8
        .size:           8
        .value_kind:     global_buffer
      - .actual_access:  read_only
        .address_space:  global
        .offset:         16
        .size:           8
        .value_kind:     global_buffer
      - .offset:         24
        .size:           4
        .value_kind:     by_value
      - .offset:         28
        .size:           4
        .value_kind:     by_value
      - .actual_access:  read_only
        .address_space:  global
        .offset:         32
        .size:           8
        .value_kind:     global_buffer
      - .actual_access:  read_only
        .address_space:  global
        .offset:         40
        .size:           8
        .value_kind:     global_buffer
      - .actual_access:  read_only
        .address_space:  global
        .offset:         48
        .size:           8
        .value_kind:     global_buffer
      - .offset:         56
        .size:           4
        .value_kind:     by_value
      - .actual_access:  read_only
        .address_space:  global
        .offset:         64
        .size:           8
        .value_kind:     global_buffer
      - .offset:         72
        .size:           4
        .value_kind:     by_value
      - .offset:         76
        .size:           4
        .value_kind:     by_value
      - .offset:         80
        .size:           4
        .value_kind:     by_value
      - .actual_access:  write_only
        .address_space:  global
        .offset:         88
        .size:           8
        .value_kind:     global_buffer
      - .actual_access:  write_only
        .address_space:  global
        .offset:         96
        .size:           8
        .value_kind:     global_buffer
      - .actual_access:  write_only
        .address_space:  global
        .offset:         104
        .size:           8
        .value_kind:     global_buffer
      - .actual_access:  read_only
        .address_space:  global
        .offset:         112
        .size:           8
        .value_kind:     global_buffer
      - .offset:         120
        .size:           4
        .value_kind:     by_value
      - .address_space:  global
        .offset:         128
        .size:           8
        .value_kind:     global_buffer
      - .address_space:  global
        .offset:         136
        .size:           8
        .value_kind:     global_buffer
      - .offset:         144
        .size:           4
        .value_kind:     hidden_block_count_x
      - .offset:         148
        .size:           4
        .value_kind:     hidden_block_count_y
      - .offset:         152
        .size:           4
        .value_kind:     hidden_block_count_z
      - .offset:         156
        .size:           2
        .value_kind:     hidden_group_size_x
      - .offset:         158
        .size:           2
        .value_kind:     hidden_group_size_y
      - .offset:         160
        .size:           2
        .value_kind:     hidden_group_size_z
      - .offset:         162
        .size:           2
        .value_kind:     hidden_remainder_x
      - .offset:         164
        .size:           2
        .value_kind:     hidden_remainder_y
      - .offset:         166
        .size:           2
        .value_kind:     hidden_remainder_z
      - .offset:         184
        .size:           8
        .value_kind:     hidden_global_offset_x
      - .offset:         192
        .size:           8
        .value_kind:     hidden_global_offset_y
      - .offset:         200
        .size:           8
        .value_kind:     hidden_global_offset_z
      - .offset:         208
        .size:           2
        .value_kind:     hidden_grid_dims
    .group_segment_fixed_size: 8192
    .kernarg_segment_align: 8
    .kernarg_segment_size: 400
    .language:       OpenCL C
    .language_version:
      - 2
      - 0
    .max_flat_workgroup_size: 256
    .name:           _Z39paged_attention_ll4mi_QKV_mfma16_kernelI14__hip_bfloat16hLN4vllm18Fp8KVCacheDataTypeE1EhLi32ELi64ELi256ELb1ELi11EEvPKT_PKT0_S8_ifPKiSA_SA_iPKfiiiPfSD_PS3_PT2_iSC_SC_
    .private_segment_fixed_size: 0
    .sgpr_count:     56
    .sgpr_spill_count: 0
    .symbol:         _Z39paged_attention_ll4mi_QKV_mfma16_kernelI14__hip_bfloat16hLN4vllm18Fp8KVCacheDataTypeE1EhLi32ELi64ELi256ELb1ELi11EEvPKT_PKT0_S8_ifPKiSA_SA_iPKfiiiPfSD_PS3_PT2_iSC_SC_.kd
    .uniform_work_group_size: 1
    .uses_dynamic_stack: false
    .vgpr_count:     71
    .vgpr_spill_count: 0
    .wavefront_size: 64
  - .agpr_count:     0
    .args:
      - .actual_access:  read_only
        .address_space:  global
        .offset:         0
        .size:           8
        .value_kind:     global_buffer
      - .actual_access:  read_only
        .address_space:  global
        .offset:         8
        .size:           8
        .value_kind:     global_buffer
      - .actual_access:  read_only
        .address_space:  global
        .offset:         16
        .size:           8
        .value_kind:     global_buffer
      - .offset:         24
        .size:           4
        .value_kind:     by_value
      - .offset:         28
        .size:           4
        .value_kind:     by_value
      - .actual_access:  read_only
        .address_space:  global
        .offset:         32
        .size:           8
        .value_kind:     global_buffer
      - .actual_access:  read_only
        .address_space:  global
        .offset:         40
        .size:           8
        .value_kind:     global_buffer
      - .actual_access:  read_only
        .address_space:  global
        .offset:         48
        .size:           8
        .value_kind:     global_buffer
      - .offset:         56
        .size:           4
        .value_kind:     by_value
      - .actual_access:  read_only
        .address_space:  global
        .offset:         64
        .size:           8
        .value_kind:     global_buffer
      - .offset:         72
        .size:           4
        .value_kind:     by_value
      - .offset:         76
        .size:           4
        .value_kind:     by_value
      - .offset:         80
        .size:           4
        .value_kind:     by_value
      - .actual_access:  write_only
        .address_space:  global
        .offset:         88
        .size:           8
        .value_kind:     global_buffer
      - .actual_access:  write_only
        .address_space:  global
        .offset:         96
        .size:           8
        .value_kind:     global_buffer
      - .actual_access:  write_only
        .address_space:  global
        .offset:         104
        .size:           8
        .value_kind:     global_buffer
      - .actual_access:  read_only
        .address_space:  global
        .offset:         112
        .size:           8
        .value_kind:     global_buffer
      - .offset:         120
        .size:           4
        .value_kind:     by_value
      - .address_space:  global
        .offset:         128
        .size:           8
        .value_kind:     global_buffer
      - .address_space:  global
        .offset:         136
        .size:           8
        .value_kind:     global_buffer
      - .offset:         144
        .size:           4
        .value_kind:     hidden_block_count_x
      - .offset:         148
        .size:           4
        .value_kind:     hidden_block_count_y
      - .offset:         152
        .size:           4
        .value_kind:     hidden_block_count_z
      - .offset:         156
        .size:           2
        .value_kind:     hidden_group_size_x
      - .offset:         158
        .size:           2
        .value_kind:     hidden_group_size_y
      - .offset:         160
        .size:           2
        .value_kind:     hidden_group_size_z
      - .offset:         162
        .size:           2
        .value_kind:     hidden_remainder_x
      - .offset:         164
        .size:           2
        .value_kind:     hidden_remainder_y
      - .offset:         166
        .size:           2
        .value_kind:     hidden_remainder_z
      - .offset:         184
        .size:           8
        .value_kind:     hidden_global_offset_x
      - .offset:         192
        .size:           8
        .value_kind:     hidden_global_offset_y
      - .offset:         200
        .size:           8
        .value_kind:     hidden_global_offset_z
      - .offset:         208
        .size:           2
        .value_kind:     hidden_grid_dims
    .group_segment_fixed_size: 8192
    .kernarg_segment_align: 8
    .kernarg_segment_size: 400
    .language:       OpenCL C
    .language_version:
      - 2
      - 0
    .max_flat_workgroup_size: 256
    .name:           _Z39paged_attention_ll4mi_QKV_mfma16_kernelI14__hip_bfloat16hLN4vllm18Fp8KVCacheDataTypeE1EhLi32ELi64ELi256ELb1ELi12EEvPKT_PKT0_S8_ifPKiSA_SA_iPKfiiiPfSD_PS3_PT2_iSC_SC_
    .private_segment_fixed_size: 0
    .sgpr_count:     56
    .sgpr_spill_count: 0
    .symbol:         _Z39paged_attention_ll4mi_QKV_mfma16_kernelI14__hip_bfloat16hLN4vllm18Fp8KVCacheDataTypeE1EhLi32ELi64ELi256ELb1ELi12EEvPKT_PKT0_S8_ifPKiSA_SA_iPKfiiiPfSD_PS3_PT2_iSC_SC_.kd
    .uniform_work_group_size: 1
    .uses_dynamic_stack: false
    .vgpr_count:     71
    .vgpr_spill_count: 0
    .wavefront_size: 64
  - .agpr_count:     0
    .args:
      - .actual_access:  read_only
        .address_space:  global
        .offset:         0
        .size:           8
        .value_kind:     global_buffer
      - .actual_access:  read_only
        .address_space:  global
        .offset:         8
        .size:           8
        .value_kind:     global_buffer
      - .actual_access:  read_only
        .address_space:  global
        .offset:         16
        .size:           8
        .value_kind:     global_buffer
      - .offset:         24
        .size:           4
        .value_kind:     by_value
      - .offset:         28
        .size:           4
        .value_kind:     by_value
      - .actual_access:  read_only
        .address_space:  global
        .offset:         32
        .size:           8
        .value_kind:     global_buffer
      - .actual_access:  read_only
        .address_space:  global
        .offset:         40
        .size:           8
        .value_kind:     global_buffer
      - .actual_access:  read_only
        .address_space:  global
        .offset:         48
        .size:           8
        .value_kind:     global_buffer
      - .offset:         56
        .size:           4
        .value_kind:     by_value
      - .actual_access:  read_only
        .address_space:  global
        .offset:         64
        .size:           8
        .value_kind:     global_buffer
      - .offset:         72
        .size:           4
        .value_kind:     by_value
      - .offset:         76
        .size:           4
        .value_kind:     by_value
      - .offset:         80
        .size:           4
        .value_kind:     by_value
      - .actual_access:  write_only
        .address_space:  global
        .offset:         88
        .size:           8
        .value_kind:     global_buffer
      - .actual_access:  write_only
        .address_space:  global
        .offset:         96
        .size:           8
        .value_kind:     global_buffer
      - .actual_access:  write_only
        .address_space:  global
        .offset:         104
        .size:           8
        .value_kind:     global_buffer
      - .actual_access:  read_only
        .address_space:  global
        .offset:         112
        .size:           8
        .value_kind:     global_buffer
      - .offset:         120
        .size:           4
        .value_kind:     by_value
      - .address_space:  global
        .offset:         128
        .size:           8
        .value_kind:     global_buffer
      - .address_space:  global
        .offset:         136
        .size:           8
        .value_kind:     global_buffer
      - .offset:         144
        .size:           4
        .value_kind:     hidden_block_count_x
      - .offset:         148
        .size:           4
        .value_kind:     hidden_block_count_y
      - .offset:         152
        .size:           4
        .value_kind:     hidden_block_count_z
      - .offset:         156
        .size:           2
        .value_kind:     hidden_group_size_x
      - .offset:         158
        .size:           2
        .value_kind:     hidden_group_size_y
      - .offset:         160
        .size:           2
        .value_kind:     hidden_group_size_z
      - .offset:         162
        .size:           2
        .value_kind:     hidden_remainder_x
      - .offset:         164
        .size:           2
        .value_kind:     hidden_remainder_y
      - .offset:         166
        .size:           2
        .value_kind:     hidden_remainder_z
      - .offset:         184
        .size:           8
        .value_kind:     hidden_global_offset_x
      - .offset:         192
        .size:           8
        .value_kind:     hidden_global_offset_y
      - .offset:         200
        .size:           8
        .value_kind:     hidden_global_offset_z
      - .offset:         208
        .size:           2
        .value_kind:     hidden_grid_dims
    .group_segment_fixed_size: 8192
    .kernarg_segment_align: 8
    .kernarg_segment_size: 400
    .language:       OpenCL C
    .language_version:
      - 2
      - 0
    .max_flat_workgroup_size: 256
    .name:           _Z39paged_attention_ll4mi_QKV_mfma16_kernelI14__hip_bfloat16hLN4vllm18Fp8KVCacheDataTypeE1EhLi32ELi64ELi256ELb1ELi13EEvPKT_PKT0_S8_ifPKiSA_SA_iPKfiiiPfSD_PS3_PT2_iSC_SC_
    .private_segment_fixed_size: 0
    .sgpr_count:     56
    .sgpr_spill_count: 0
    .symbol:         _Z39paged_attention_ll4mi_QKV_mfma16_kernelI14__hip_bfloat16hLN4vllm18Fp8KVCacheDataTypeE1EhLi32ELi64ELi256ELb1ELi13EEvPKT_PKT0_S8_ifPKiSA_SA_iPKfiiiPfSD_PS3_PT2_iSC_SC_.kd
    .uniform_work_group_size: 1
    .uses_dynamic_stack: false
    .vgpr_count:     71
    .vgpr_spill_count: 0
    .wavefront_size: 64
  - .agpr_count:     0
    .args:
      - .actual_access:  read_only
        .address_space:  global
        .offset:         0
        .size:           8
        .value_kind:     global_buffer
      - .actual_access:  read_only
        .address_space:  global
        .offset:         8
        .size:           8
        .value_kind:     global_buffer
      - .actual_access:  read_only
        .address_space:  global
        .offset:         16
        .size:           8
        .value_kind:     global_buffer
      - .offset:         24
        .size:           4
        .value_kind:     by_value
      - .offset:         28
        .size:           4
        .value_kind:     by_value
      - .actual_access:  read_only
        .address_space:  global
        .offset:         32
        .size:           8
        .value_kind:     global_buffer
      - .actual_access:  read_only
        .address_space:  global
        .offset:         40
        .size:           8
        .value_kind:     global_buffer
      - .actual_access:  read_only
        .address_space:  global
        .offset:         48
        .size:           8
        .value_kind:     global_buffer
      - .offset:         56
        .size:           4
        .value_kind:     by_value
      - .actual_access:  read_only
        .address_space:  global
        .offset:         64
        .size:           8
        .value_kind:     global_buffer
      - .offset:         72
        .size:           4
        .value_kind:     by_value
      - .offset:         76
        .size:           4
        .value_kind:     by_value
      - .offset:         80
        .size:           4
        .value_kind:     by_value
      - .actual_access:  write_only
        .address_space:  global
        .offset:         88
        .size:           8
        .value_kind:     global_buffer
      - .actual_access:  write_only
        .address_space:  global
        .offset:         96
        .size:           8
        .value_kind:     global_buffer
      - .actual_access:  write_only
        .address_space:  global
        .offset:         104
        .size:           8
        .value_kind:     global_buffer
      - .actual_access:  read_only
        .address_space:  global
        .offset:         112
        .size:           8
        .value_kind:     global_buffer
      - .offset:         120
        .size:           4
        .value_kind:     by_value
      - .address_space:  global
        .offset:         128
        .size:           8
        .value_kind:     global_buffer
      - .address_space:  global
        .offset:         136
        .size:           8
        .value_kind:     global_buffer
      - .offset:         144
        .size:           4
        .value_kind:     hidden_block_count_x
      - .offset:         148
        .size:           4
        .value_kind:     hidden_block_count_y
      - .offset:         152
        .size:           4
        .value_kind:     hidden_block_count_z
      - .offset:         156
        .size:           2
        .value_kind:     hidden_group_size_x
      - .offset:         158
        .size:           2
        .value_kind:     hidden_group_size_y
      - .offset:         160
        .size:           2
        .value_kind:     hidden_group_size_z
      - .offset:         162
        .size:           2
        .value_kind:     hidden_remainder_x
      - .offset:         164
        .size:           2
        .value_kind:     hidden_remainder_y
      - .offset:         166
        .size:           2
        .value_kind:     hidden_remainder_z
      - .offset:         184
        .size:           8
        .value_kind:     hidden_global_offset_x
      - .offset:         192
        .size:           8
        .value_kind:     hidden_global_offset_y
      - .offset:         200
        .size:           8
        .value_kind:     hidden_global_offset_z
      - .offset:         208
        .size:           2
        .value_kind:     hidden_grid_dims
    .group_segment_fixed_size: 8192
    .kernarg_segment_align: 8
    .kernarg_segment_size: 400
    .language:       OpenCL C
    .language_version:
      - 2
      - 0
    .max_flat_workgroup_size: 256
    .name:           _Z39paged_attention_ll4mi_QKV_mfma16_kernelI14__hip_bfloat16hLN4vllm18Fp8KVCacheDataTypeE1EhLi32ELi64ELi256ELb1ELi14EEvPKT_PKT0_S8_ifPKiSA_SA_iPKfiiiPfSD_PS3_PT2_iSC_SC_
    .private_segment_fixed_size: 0
    .sgpr_count:     56
    .sgpr_spill_count: 0
    .symbol:         _Z39paged_attention_ll4mi_QKV_mfma16_kernelI14__hip_bfloat16hLN4vllm18Fp8KVCacheDataTypeE1EhLi32ELi64ELi256ELb1ELi14EEvPKT_PKT0_S8_ifPKiSA_SA_iPKfiiiPfSD_PS3_PT2_iSC_SC_.kd
    .uniform_work_group_size: 1
    .uses_dynamic_stack: false
    .vgpr_count:     71
    .vgpr_spill_count: 0
    .wavefront_size: 64
  - .agpr_count:     0
    .args:
      - .actual_access:  read_only
        .address_space:  global
        .offset:         0
        .size:           8
        .value_kind:     global_buffer
      - .actual_access:  read_only
        .address_space:  global
        .offset:         8
        .size:           8
        .value_kind:     global_buffer
      - .actual_access:  read_only
        .address_space:  global
        .offset:         16
        .size:           8
        .value_kind:     global_buffer
      - .offset:         24
        .size:           4
        .value_kind:     by_value
      - .offset:         28
        .size:           4
        .value_kind:     by_value
      - .actual_access:  read_only
        .address_space:  global
        .offset:         32
        .size:           8
        .value_kind:     global_buffer
      - .actual_access:  read_only
        .address_space:  global
        .offset:         40
        .size:           8
        .value_kind:     global_buffer
      - .actual_access:  read_only
        .address_space:  global
        .offset:         48
        .size:           8
        .value_kind:     global_buffer
      - .offset:         56
        .size:           4
        .value_kind:     by_value
      - .actual_access:  read_only
        .address_space:  global
        .offset:         64
        .size:           8
        .value_kind:     global_buffer
      - .offset:         72
        .size:           4
        .value_kind:     by_value
      - .offset:         76
        .size:           4
        .value_kind:     by_value
      - .offset:         80
        .size:           4
        .value_kind:     by_value
      - .actual_access:  write_only
        .address_space:  global
        .offset:         88
        .size:           8
        .value_kind:     global_buffer
      - .actual_access:  write_only
        .address_space:  global
        .offset:         96
        .size:           8
        .value_kind:     global_buffer
      - .actual_access:  write_only
        .address_space:  global
        .offset:         104
        .size:           8
        .value_kind:     global_buffer
      - .actual_access:  read_only
        .address_space:  global
        .offset:         112
        .size:           8
        .value_kind:     global_buffer
      - .offset:         120
        .size:           4
        .value_kind:     by_value
      - .address_space:  global
        .offset:         128
        .size:           8
        .value_kind:     global_buffer
      - .address_space:  global
        .offset:         136
        .size:           8
        .value_kind:     global_buffer
      - .offset:         144
        .size:           4
        .value_kind:     hidden_block_count_x
      - .offset:         148
        .size:           4
        .value_kind:     hidden_block_count_y
      - .offset:         152
        .size:           4
        .value_kind:     hidden_block_count_z
      - .offset:         156
        .size:           2
        .value_kind:     hidden_group_size_x
      - .offset:         158
        .size:           2
        .value_kind:     hidden_group_size_y
      - .offset:         160
        .size:           2
        .value_kind:     hidden_group_size_z
      - .offset:         162
        .size:           2
        .value_kind:     hidden_remainder_x
      - .offset:         164
        .size:           2
        .value_kind:     hidden_remainder_y
      - .offset:         166
        .size:           2
        .value_kind:     hidden_remainder_z
      - .offset:         184
        .size:           8
        .value_kind:     hidden_global_offset_x
      - .offset:         192
        .size:           8
        .value_kind:     hidden_global_offset_y
      - .offset:         200
        .size:           8
        .value_kind:     hidden_global_offset_z
      - .offset:         208
        .size:           2
        .value_kind:     hidden_grid_dims
    .group_segment_fixed_size: 8192
    .kernarg_segment_align: 8
    .kernarg_segment_size: 400
    .language:       OpenCL C
    .language_version:
      - 2
      - 0
    .max_flat_workgroup_size: 256
    .name:           _Z39paged_attention_ll4mi_QKV_mfma16_kernelI14__hip_bfloat16hLN4vllm18Fp8KVCacheDataTypeE1EhLi32ELi64ELi256ELb1ELi15EEvPKT_PKT0_S8_ifPKiSA_SA_iPKfiiiPfSD_PS3_PT2_iSC_SC_
    .private_segment_fixed_size: 0
    .sgpr_count:     56
    .sgpr_spill_count: 0
    .symbol:         _Z39paged_attention_ll4mi_QKV_mfma16_kernelI14__hip_bfloat16hLN4vllm18Fp8KVCacheDataTypeE1EhLi32ELi64ELi256ELb1ELi15EEvPKT_PKT0_S8_ifPKiSA_SA_iPKfiiiPfSD_PS3_PT2_iSC_SC_.kd
    .uniform_work_group_size: 1
    .uses_dynamic_stack: false
    .vgpr_count:     71
    .vgpr_spill_count: 0
    .wavefront_size: 64
  - .agpr_count:     0
    .args:
      - .actual_access:  read_only
        .address_space:  global
        .offset:         0
        .size:           8
        .value_kind:     global_buffer
      - .actual_access:  read_only
        .address_space:  global
        .offset:         8
        .size:           8
        .value_kind:     global_buffer
      - .actual_access:  read_only
        .address_space:  global
        .offset:         16
        .size:           8
        .value_kind:     global_buffer
      - .offset:         24
        .size:           4
        .value_kind:     by_value
      - .offset:         28
        .size:           4
        .value_kind:     by_value
      - .actual_access:  read_only
        .address_space:  global
        .offset:         32
        .size:           8
        .value_kind:     global_buffer
      - .actual_access:  read_only
        .address_space:  global
        .offset:         40
        .size:           8
        .value_kind:     global_buffer
      - .actual_access:  read_only
        .address_space:  global
        .offset:         48
        .size:           8
        .value_kind:     global_buffer
      - .offset:         56
        .size:           4
        .value_kind:     by_value
      - .actual_access:  read_only
        .address_space:  global
        .offset:         64
        .size:           8
        .value_kind:     global_buffer
      - .offset:         72
        .size:           4
        .value_kind:     by_value
      - .offset:         76
        .size:           4
        .value_kind:     by_value
      - .offset:         80
        .size:           4
        .value_kind:     by_value
      - .actual_access:  write_only
        .address_space:  global
        .offset:         88
        .size:           8
        .value_kind:     global_buffer
      - .actual_access:  write_only
        .address_space:  global
        .offset:         96
        .size:           8
        .value_kind:     global_buffer
      - .actual_access:  write_only
        .address_space:  global
        .offset:         104
        .size:           8
        .value_kind:     global_buffer
      - .actual_access:  read_only
        .address_space:  global
        .offset:         112
        .size:           8
        .value_kind:     global_buffer
      - .offset:         120
        .size:           4
        .value_kind:     by_value
      - .address_space:  global
        .offset:         128
        .size:           8
        .value_kind:     global_buffer
      - .address_space:  global
        .offset:         136
        .size:           8
        .value_kind:     global_buffer
      - .offset:         144
        .size:           4
        .value_kind:     hidden_block_count_x
      - .offset:         148
        .size:           4
        .value_kind:     hidden_block_count_y
      - .offset:         152
        .size:           4
        .value_kind:     hidden_block_count_z
      - .offset:         156
        .size:           2
        .value_kind:     hidden_group_size_x
      - .offset:         158
        .size:           2
        .value_kind:     hidden_group_size_y
      - .offset:         160
        .size:           2
        .value_kind:     hidden_group_size_z
      - .offset:         162
        .size:           2
        .value_kind:     hidden_remainder_x
      - .offset:         164
        .size:           2
        .value_kind:     hidden_remainder_y
      - .offset:         166
        .size:           2
        .value_kind:     hidden_remainder_z
      - .offset:         184
        .size:           8
        .value_kind:     hidden_global_offset_x
      - .offset:         192
        .size:           8
        .value_kind:     hidden_global_offset_y
      - .offset:         200
        .size:           8
        .value_kind:     hidden_global_offset_z
      - .offset:         208
        .size:           2
        .value_kind:     hidden_grid_dims
    .group_segment_fixed_size: 8192
    .kernarg_segment_align: 8
    .kernarg_segment_size: 400
    .language:       OpenCL C
    .language_version:
      - 2
      - 0
    .max_flat_workgroup_size: 256
    .name:           _Z39paged_attention_ll4mi_QKV_mfma16_kernelI14__hip_bfloat16hLN4vllm18Fp8KVCacheDataTypeE1EhLi32ELi64ELi256ELb1ELi16EEvPKT_PKT0_S8_ifPKiSA_SA_iPKfiiiPfSD_PS3_PT2_iSC_SC_
    .private_segment_fixed_size: 0
    .sgpr_count:     55
    .sgpr_spill_count: 0
    .symbol:         _Z39paged_attention_ll4mi_QKV_mfma16_kernelI14__hip_bfloat16hLN4vllm18Fp8KVCacheDataTypeE1EhLi32ELi64ELi256ELb1ELi16EEvPKT_PKT0_S8_ifPKiSA_SA_iPKfiiiPfSD_PS3_PT2_iSC_SC_.kd
    .uniform_work_group_size: 1
    .uses_dynamic_stack: false
    .vgpr_count:     58
    .vgpr_spill_count: 0
    .wavefront_size: 64
  - .agpr_count:     0
    .args:
      - .actual_access:  read_only
        .address_space:  global
        .offset:         0
        .size:           8
        .value_kind:     global_buffer
      - .actual_access:  read_only
        .address_space:  global
        .offset:         8
        .size:           8
        .value_kind:     global_buffer
      - .actual_access:  read_only
        .address_space:  global
        .offset:         16
        .size:           8
        .value_kind:     global_buffer
      - .offset:         24
        .size:           4
        .value_kind:     by_value
      - .offset:         28
        .size:           4
        .value_kind:     by_value
      - .actual_access:  read_only
        .address_space:  global
        .offset:         32
        .size:           8
        .value_kind:     global_buffer
      - .actual_access:  read_only
        .address_space:  global
        .offset:         40
        .size:           8
        .value_kind:     global_buffer
      - .actual_access:  read_only
        .address_space:  global
        .offset:         48
        .size:           8
        .value_kind:     global_buffer
      - .offset:         56
        .size:           4
        .value_kind:     by_value
      - .actual_access:  read_only
        .address_space:  global
        .offset:         64
        .size:           8
        .value_kind:     global_buffer
      - .offset:         72
        .size:           4
        .value_kind:     by_value
      - .offset:         76
        .size:           4
        .value_kind:     by_value
      - .offset:         80
        .size:           4
        .value_kind:     by_value
      - .actual_access:  write_only
        .address_space:  global
        .offset:         88
        .size:           8
        .value_kind:     global_buffer
      - .actual_access:  write_only
        .address_space:  global
        .offset:         96
        .size:           8
        .value_kind:     global_buffer
      - .actual_access:  write_only
        .address_space:  global
        .offset:         104
        .size:           8
        .value_kind:     global_buffer
      - .actual_access:  read_only
        .address_space:  global
        .offset:         112
        .size:           8
        .value_kind:     global_buffer
      - .offset:         120
        .size:           4
        .value_kind:     by_value
      - .address_space:  global
        .offset:         128
        .size:           8
        .value_kind:     global_buffer
      - .address_space:  global
        .offset:         136
        .size:           8
        .value_kind:     global_buffer
      - .offset:         144
        .size:           4
        .value_kind:     hidden_block_count_x
      - .offset:         148
        .size:           4
        .value_kind:     hidden_block_count_y
      - .offset:         152
        .size:           4
        .value_kind:     hidden_block_count_z
      - .offset:         156
        .size:           2
        .value_kind:     hidden_group_size_x
      - .offset:         158
        .size:           2
        .value_kind:     hidden_group_size_y
      - .offset:         160
        .size:           2
        .value_kind:     hidden_group_size_z
      - .offset:         162
        .size:           2
        .value_kind:     hidden_remainder_x
      - .offset:         164
        .size:           2
        .value_kind:     hidden_remainder_y
      - .offset:         166
        .size:           2
        .value_kind:     hidden_remainder_z
      - .offset:         184
        .size:           8
        .value_kind:     hidden_global_offset_x
      - .offset:         192
        .size:           8
        .value_kind:     hidden_global_offset_y
      - .offset:         200
        .size:           8
        .value_kind:     hidden_global_offset_z
      - .offset:         208
        .size:           2
        .value_kind:     hidden_grid_dims
    .group_segment_fixed_size: 8192
    .kernarg_segment_align: 8
    .kernarg_segment_size: 400
    .language:       OpenCL C
    .language_version:
      - 2
      - 0
    .max_flat_workgroup_size: 256
    .name:           _Z39paged_attention_ll4mi_QKV_mfma16_kernelI14__hip_bfloat16hLN4vllm18Fp8KVCacheDataTypeE1EhLi32ELi64ELi256ELb1ELi1EEvPKT_PKT0_S8_ifPKiSA_SA_iPKfiiiPfSD_PS3_PT2_iSC_SC_
    .private_segment_fixed_size: 0
    .sgpr_count:     58
    .sgpr_spill_count: 0
    .symbol:         _Z39paged_attention_ll4mi_QKV_mfma16_kernelI14__hip_bfloat16hLN4vllm18Fp8KVCacheDataTypeE1EhLi32ELi64ELi256ELb1ELi1EEvPKT_PKT0_S8_ifPKiSA_SA_iPKfiiiPfSD_PS3_PT2_iSC_SC_.kd
    .uniform_work_group_size: 1
    .uses_dynamic_stack: false
    .vgpr_count:     73
    .vgpr_spill_count: 0
    .wavefront_size: 64
  - .agpr_count:     0
    .args:
      - .actual_access:  read_only
        .address_space:  global
        .offset:         0
        .size:           8
        .value_kind:     global_buffer
      - .actual_access:  read_only
        .address_space:  global
        .offset:         8
        .size:           8
        .value_kind:     global_buffer
      - .actual_access:  read_only
        .address_space:  global
        .offset:         16
        .size:           8
        .value_kind:     global_buffer
      - .offset:         24
        .size:           4
        .value_kind:     by_value
      - .offset:         28
        .size:           4
        .value_kind:     by_value
      - .actual_access:  read_only
        .address_space:  global
        .offset:         32
        .size:           8
        .value_kind:     global_buffer
      - .actual_access:  read_only
        .address_space:  global
        .offset:         40
        .size:           8
        .value_kind:     global_buffer
      - .actual_access:  read_only
        .address_space:  global
        .offset:         48
        .size:           8
        .value_kind:     global_buffer
      - .offset:         56
        .size:           4
        .value_kind:     by_value
      - .actual_access:  read_only
        .address_space:  global
        .offset:         64
        .size:           8
        .value_kind:     global_buffer
      - .offset:         72
        .size:           4
        .value_kind:     by_value
      - .offset:         76
        .size:           4
        .value_kind:     by_value
      - .offset:         80
        .size:           4
        .value_kind:     by_value
      - .actual_access:  write_only
        .address_space:  global
        .offset:         88
        .size:           8
        .value_kind:     global_buffer
      - .actual_access:  write_only
        .address_space:  global
        .offset:         96
        .size:           8
        .value_kind:     global_buffer
      - .actual_access:  write_only
        .address_space:  global
        .offset:         104
        .size:           8
        .value_kind:     global_buffer
      - .actual_access:  read_only
        .address_space:  global
        .offset:         112
        .size:           8
        .value_kind:     global_buffer
      - .offset:         120
        .size:           4
        .value_kind:     by_value
      - .address_space:  global
        .offset:         128
        .size:           8
        .value_kind:     global_buffer
      - .address_space:  global
        .offset:         136
        .size:           8
        .value_kind:     global_buffer
      - .offset:         144
        .size:           4
        .value_kind:     hidden_block_count_x
      - .offset:         148
        .size:           4
        .value_kind:     hidden_block_count_y
      - .offset:         152
        .size:           4
        .value_kind:     hidden_block_count_z
      - .offset:         156
        .size:           2
        .value_kind:     hidden_group_size_x
      - .offset:         158
        .size:           2
        .value_kind:     hidden_group_size_y
      - .offset:         160
        .size:           2
        .value_kind:     hidden_group_size_z
      - .offset:         162
        .size:           2
        .value_kind:     hidden_remainder_x
      - .offset:         164
        .size:           2
        .value_kind:     hidden_remainder_y
      - .offset:         166
        .size:           2
        .value_kind:     hidden_remainder_z
      - .offset:         184
        .size:           8
        .value_kind:     hidden_global_offset_x
      - .offset:         192
        .size:           8
        .value_kind:     hidden_global_offset_y
      - .offset:         200
        .size:           8
        .value_kind:     hidden_global_offset_z
      - .offset:         208
        .size:           2
        .value_kind:     hidden_grid_dims
    .group_segment_fixed_size: 8192
    .kernarg_segment_align: 8
    .kernarg_segment_size: 400
    .language:       OpenCL C
    .language_version:
      - 2
      - 0
    .max_flat_workgroup_size: 256
    .name:           _Z39paged_attention_ll4mi_QKV_mfma16_kernelI14__hip_bfloat16hLN4vllm18Fp8KVCacheDataTypeE1EhLi32ELi64ELi256ELb1ELi2EEvPKT_PKT0_S8_ifPKiSA_SA_iPKfiiiPfSD_PS3_PT2_iSC_SC_
    .private_segment_fixed_size: 0
    .sgpr_count:     54
    .sgpr_spill_count: 0
    .symbol:         _Z39paged_attention_ll4mi_QKV_mfma16_kernelI14__hip_bfloat16hLN4vllm18Fp8KVCacheDataTypeE1EhLi32ELi64ELi256ELb1ELi2EEvPKT_PKT0_S8_ifPKiSA_SA_iPKfiiiPfSD_PS3_PT2_iSC_SC_.kd
    .uniform_work_group_size: 1
    .uses_dynamic_stack: false
    .vgpr_count:     73
    .vgpr_spill_count: 0
    .wavefront_size: 64
  - .agpr_count:     0
    .args:
      - .actual_access:  read_only
        .address_space:  global
        .offset:         0
        .size:           8
        .value_kind:     global_buffer
      - .actual_access:  read_only
        .address_space:  global
        .offset:         8
        .size:           8
        .value_kind:     global_buffer
      - .actual_access:  read_only
        .address_space:  global
        .offset:         16
        .size:           8
        .value_kind:     global_buffer
      - .offset:         24
        .size:           4
        .value_kind:     by_value
      - .offset:         28
        .size:           4
        .value_kind:     by_value
      - .actual_access:  read_only
        .address_space:  global
        .offset:         32
        .size:           8
        .value_kind:     global_buffer
      - .actual_access:  read_only
        .address_space:  global
        .offset:         40
        .size:           8
        .value_kind:     global_buffer
      - .actual_access:  read_only
        .address_space:  global
        .offset:         48
        .size:           8
        .value_kind:     global_buffer
      - .offset:         56
        .size:           4
        .value_kind:     by_value
      - .actual_access:  read_only
        .address_space:  global
        .offset:         64
        .size:           8
        .value_kind:     global_buffer
      - .offset:         72
        .size:           4
        .value_kind:     by_value
      - .offset:         76
        .size:           4
        .value_kind:     by_value
      - .offset:         80
        .size:           4
        .value_kind:     by_value
      - .actual_access:  write_only
        .address_space:  global
        .offset:         88
        .size:           8
        .value_kind:     global_buffer
      - .actual_access:  write_only
        .address_space:  global
        .offset:         96
        .size:           8
        .value_kind:     global_buffer
      - .actual_access:  write_only
        .address_space:  global
        .offset:         104
        .size:           8
        .value_kind:     global_buffer
      - .actual_access:  read_only
        .address_space:  global
        .offset:         112
        .size:           8
        .value_kind:     global_buffer
      - .offset:         120
        .size:           4
        .value_kind:     by_value
      - .address_space:  global
        .offset:         128
        .size:           8
        .value_kind:     global_buffer
      - .address_space:  global
        .offset:         136
        .size:           8
        .value_kind:     global_buffer
      - .offset:         144
        .size:           4
        .value_kind:     hidden_block_count_x
      - .offset:         148
        .size:           4
        .value_kind:     hidden_block_count_y
      - .offset:         152
        .size:           4
        .value_kind:     hidden_block_count_z
      - .offset:         156
        .size:           2
        .value_kind:     hidden_group_size_x
      - .offset:         158
        .size:           2
        .value_kind:     hidden_group_size_y
      - .offset:         160
        .size:           2
        .value_kind:     hidden_group_size_z
      - .offset:         162
        .size:           2
        .value_kind:     hidden_remainder_x
      - .offset:         164
        .size:           2
        .value_kind:     hidden_remainder_y
      - .offset:         166
        .size:           2
        .value_kind:     hidden_remainder_z
      - .offset:         184
        .size:           8
        .value_kind:     hidden_global_offset_x
      - .offset:         192
        .size:           8
        .value_kind:     hidden_global_offset_y
      - .offset:         200
        .size:           8
        .value_kind:     hidden_global_offset_z
      - .offset:         208
        .size:           2
        .value_kind:     hidden_grid_dims
    .group_segment_fixed_size: 8192
    .kernarg_segment_align: 8
    .kernarg_segment_size: 400
    .language:       OpenCL C
    .language_version:
      - 2
      - 0
    .max_flat_workgroup_size: 256
    .name:           _Z39paged_attention_ll4mi_QKV_mfma16_kernelI14__hip_bfloat16hLN4vllm18Fp8KVCacheDataTypeE1EhLi32ELi64ELi256ELb1ELi3EEvPKT_PKT0_S8_ifPKiSA_SA_iPKfiiiPfSD_PS3_PT2_iSC_SC_
    .private_segment_fixed_size: 0
    .sgpr_count:     56
    .sgpr_spill_count: 0
    .symbol:         _Z39paged_attention_ll4mi_QKV_mfma16_kernelI14__hip_bfloat16hLN4vllm18Fp8KVCacheDataTypeE1EhLi32ELi64ELi256ELb1ELi3EEvPKT_PKT0_S8_ifPKiSA_SA_iPKfiiiPfSD_PS3_PT2_iSC_SC_.kd
    .uniform_work_group_size: 1
    .uses_dynamic_stack: false
    .vgpr_count:     71
    .vgpr_spill_count: 0
    .wavefront_size: 64
  - .agpr_count:     0
    .args:
      - .actual_access:  read_only
        .address_space:  global
        .offset:         0
        .size:           8
        .value_kind:     global_buffer
      - .actual_access:  read_only
        .address_space:  global
        .offset:         8
        .size:           8
        .value_kind:     global_buffer
      - .actual_access:  read_only
        .address_space:  global
        .offset:         16
        .size:           8
        .value_kind:     global_buffer
      - .offset:         24
        .size:           4
        .value_kind:     by_value
      - .offset:         28
        .size:           4
        .value_kind:     by_value
      - .actual_access:  read_only
        .address_space:  global
        .offset:         32
        .size:           8
        .value_kind:     global_buffer
      - .actual_access:  read_only
        .address_space:  global
        .offset:         40
        .size:           8
        .value_kind:     global_buffer
      - .actual_access:  read_only
        .address_space:  global
        .offset:         48
        .size:           8
        .value_kind:     global_buffer
      - .offset:         56
        .size:           4
        .value_kind:     by_value
      - .actual_access:  read_only
        .address_space:  global
        .offset:         64
        .size:           8
        .value_kind:     global_buffer
      - .offset:         72
        .size:           4
        .value_kind:     by_value
      - .offset:         76
        .size:           4
        .value_kind:     by_value
      - .offset:         80
        .size:           4
        .value_kind:     by_value
      - .actual_access:  write_only
        .address_space:  global
        .offset:         88
        .size:           8
        .value_kind:     global_buffer
      - .actual_access:  write_only
        .address_space:  global
        .offset:         96
        .size:           8
        .value_kind:     global_buffer
      - .actual_access:  write_only
        .address_space:  global
        .offset:         104
        .size:           8
        .value_kind:     global_buffer
      - .actual_access:  read_only
        .address_space:  global
        .offset:         112
        .size:           8
        .value_kind:     global_buffer
      - .offset:         120
        .size:           4
        .value_kind:     by_value
      - .address_space:  global
        .offset:         128
        .size:           8
        .value_kind:     global_buffer
      - .address_space:  global
        .offset:         136
        .size:           8
        .value_kind:     global_buffer
      - .offset:         144
        .size:           4
        .value_kind:     hidden_block_count_x
      - .offset:         148
        .size:           4
        .value_kind:     hidden_block_count_y
      - .offset:         152
        .size:           4
        .value_kind:     hidden_block_count_z
      - .offset:         156
        .size:           2
        .value_kind:     hidden_group_size_x
      - .offset:         158
        .size:           2
        .value_kind:     hidden_group_size_y
      - .offset:         160
        .size:           2
        .value_kind:     hidden_group_size_z
      - .offset:         162
        .size:           2
        .value_kind:     hidden_remainder_x
      - .offset:         164
        .size:           2
        .value_kind:     hidden_remainder_y
      - .offset:         166
        .size:           2
        .value_kind:     hidden_remainder_z
      - .offset:         184
        .size:           8
        .value_kind:     hidden_global_offset_x
      - .offset:         192
        .size:           8
        .value_kind:     hidden_global_offset_y
      - .offset:         200
        .size:           8
        .value_kind:     hidden_global_offset_z
      - .offset:         208
        .size:           2
        .value_kind:     hidden_grid_dims
    .group_segment_fixed_size: 8192
    .kernarg_segment_align: 8
    .kernarg_segment_size: 400
    .language:       OpenCL C
    .language_version:
      - 2
      - 0
    .max_flat_workgroup_size: 256
    .name:           _Z39paged_attention_ll4mi_QKV_mfma16_kernelI14__hip_bfloat16hLN4vllm18Fp8KVCacheDataTypeE1EhLi32ELi64ELi256ELb1ELi4EEvPKT_PKT0_S8_ifPKiSA_SA_iPKfiiiPfSD_PS3_PT2_iSC_SC_
    .private_segment_fixed_size: 0
    .sgpr_count:     56
    .sgpr_spill_count: 0
    .symbol:         _Z39paged_attention_ll4mi_QKV_mfma16_kernelI14__hip_bfloat16hLN4vllm18Fp8KVCacheDataTypeE1EhLi32ELi64ELi256ELb1ELi4EEvPKT_PKT0_S8_ifPKiSA_SA_iPKfiiiPfSD_PS3_PT2_iSC_SC_.kd
    .uniform_work_group_size: 1
    .uses_dynamic_stack: false
    .vgpr_count:     75
    .vgpr_spill_count: 0
    .wavefront_size: 64
  - .agpr_count:     4
    .args:
      - .actual_access:  read_only
        .address_space:  global
        .offset:         0
        .size:           8
        .value_kind:     global_buffer
      - .actual_access:  read_only
        .address_space:  global
        .offset:         8
        .size:           8
        .value_kind:     global_buffer
      - .actual_access:  read_only
        .address_space:  global
        .offset:         16
        .size:           8
        .value_kind:     global_buffer
      - .offset:         24
        .size:           4
        .value_kind:     by_value
      - .offset:         28
        .size:           4
        .value_kind:     by_value
      - .actual_access:  read_only
        .address_space:  global
        .offset:         32
        .size:           8
        .value_kind:     global_buffer
      - .actual_access:  read_only
        .address_space:  global
        .offset:         40
        .size:           8
        .value_kind:     global_buffer
      - .actual_access:  read_only
        .address_space:  global
        .offset:         48
        .size:           8
        .value_kind:     global_buffer
      - .offset:         56
        .size:           4
        .value_kind:     by_value
      - .actual_access:  read_only
        .address_space:  global
        .offset:         64
        .size:           8
        .value_kind:     global_buffer
      - .offset:         72
        .size:           4
        .value_kind:     by_value
      - .offset:         76
        .size:           4
        .value_kind:     by_value
      - .offset:         80
        .size:           4
        .value_kind:     by_value
      - .actual_access:  write_only
        .address_space:  global
        .offset:         88
        .size:           8
        .value_kind:     global_buffer
      - .actual_access:  write_only
        .address_space:  global
        .offset:         96
        .size:           8
        .value_kind:     global_buffer
      - .actual_access:  write_only
        .address_space:  global
        .offset:         104
        .size:           8
        .value_kind:     global_buffer
      - .actual_access:  read_only
        .address_space:  global
        .offset:         112
        .size:           8
        .value_kind:     global_buffer
      - .offset:         120
        .size:           4
        .value_kind:     by_value
      - .address_space:  global
        .offset:         128
        .size:           8
        .value_kind:     global_buffer
      - .address_space:  global
        .offset:         136
        .size:           8
        .value_kind:     global_buffer
      - .offset:         144
        .size:           4
        .value_kind:     hidden_block_count_x
      - .offset:         148
        .size:           4
        .value_kind:     hidden_block_count_y
      - .offset:         152
        .size:           4
        .value_kind:     hidden_block_count_z
      - .offset:         156
        .size:           2
        .value_kind:     hidden_group_size_x
      - .offset:         158
        .size:           2
        .value_kind:     hidden_group_size_y
      - .offset:         160
        .size:           2
        .value_kind:     hidden_group_size_z
      - .offset:         162
        .size:           2
        .value_kind:     hidden_remainder_x
      - .offset:         164
        .size:           2
        .value_kind:     hidden_remainder_y
      - .offset:         166
        .size:           2
        .value_kind:     hidden_remainder_z
      - .offset:         184
        .size:           8
        .value_kind:     hidden_global_offset_x
      - .offset:         192
        .size:           8
        .value_kind:     hidden_global_offset_y
      - .offset:         200
        .size:           8
        .value_kind:     hidden_global_offset_z
      - .offset:         208
        .size:           2
        .value_kind:     hidden_grid_dims
    .group_segment_fixed_size: 2720
    .kernarg_segment_align: 8
    .kernarg_segment_size: 400
    .language:       OpenCL C
    .language_version:
      - 2
      - 0
    .max_flat_workgroup_size: 256
    .name:           _Z38paged_attention_ll4mi_QKV_mfma4_kernelI14__hip_bfloat16hLN4vllm18Fp8KVCacheDataTypeE1EhLi32ELi64ELi256ELb0ELi1EEvPKT_PKT0_S8_ifPKiSA_SA_iPKfiiiPfSD_PS3_PT2_iSC_SC_
    .private_segment_fixed_size: 0
    .sgpr_count:     48
    .sgpr_spill_count: 0
    .symbol:         _Z38paged_attention_ll4mi_QKV_mfma4_kernelI14__hip_bfloat16hLN4vllm18Fp8KVCacheDataTypeE1EhLi32ELi64ELi256ELb0ELi1EEvPKT_PKT0_S8_ifPKiSA_SA_iPKfiiiPfSD_PS3_PT2_iSC_SC_.kd
    .uniform_work_group_size: 1
    .uses_dynamic_stack: false
    .vgpr_count:     92
    .vgpr_spill_count: 0
    .wavefront_size: 64
  - .agpr_count:     4
    .args:
      - .actual_access:  read_only
        .address_space:  global
        .offset:         0
        .size:           8
        .value_kind:     global_buffer
      - .actual_access:  read_only
        .address_space:  global
        .offset:         8
        .size:           8
        .value_kind:     global_buffer
      - .actual_access:  read_only
        .address_space:  global
        .offset:         16
        .size:           8
        .value_kind:     global_buffer
      - .offset:         24
        .size:           4
        .value_kind:     by_value
      - .offset:         28
        .size:           4
        .value_kind:     by_value
      - .actual_access:  read_only
        .address_space:  global
        .offset:         32
        .size:           8
        .value_kind:     global_buffer
      - .actual_access:  read_only
        .address_space:  global
        .offset:         40
        .size:           8
        .value_kind:     global_buffer
      - .actual_access:  read_only
        .address_space:  global
        .offset:         48
        .size:           8
        .value_kind:     global_buffer
      - .offset:         56
        .size:           4
        .value_kind:     by_value
      - .actual_access:  read_only
        .address_space:  global
        .offset:         64
        .size:           8
        .value_kind:     global_buffer
      - .offset:         72
        .size:           4
        .value_kind:     by_value
      - .offset:         76
        .size:           4
        .value_kind:     by_value
      - .offset:         80
        .size:           4
        .value_kind:     by_value
      - .actual_access:  write_only
        .address_space:  global
        .offset:         88
        .size:           8
        .value_kind:     global_buffer
      - .actual_access:  write_only
        .address_space:  global
        .offset:         96
        .size:           8
        .value_kind:     global_buffer
      - .actual_access:  write_only
        .address_space:  global
        .offset:         104
        .size:           8
        .value_kind:     global_buffer
      - .actual_access:  read_only
        .address_space:  global
        .offset:         112
        .size:           8
        .value_kind:     global_buffer
      - .offset:         120
        .size:           4
        .value_kind:     by_value
      - .address_space:  global
        .offset:         128
        .size:           8
        .value_kind:     global_buffer
      - .address_space:  global
        .offset:         136
        .size:           8
        .value_kind:     global_buffer
      - .offset:         144
        .size:           4
        .value_kind:     hidden_block_count_x
      - .offset:         148
        .size:           4
        .value_kind:     hidden_block_count_y
      - .offset:         152
        .size:           4
        .value_kind:     hidden_block_count_z
      - .offset:         156
        .size:           2
        .value_kind:     hidden_group_size_x
      - .offset:         158
        .size:           2
        .value_kind:     hidden_group_size_y
      - .offset:         160
        .size:           2
        .value_kind:     hidden_group_size_z
      - .offset:         162
        .size:           2
        .value_kind:     hidden_remainder_x
      - .offset:         164
        .size:           2
        .value_kind:     hidden_remainder_y
      - .offset:         166
        .size:           2
        .value_kind:     hidden_remainder_z
      - .offset:         184
        .size:           8
        .value_kind:     hidden_global_offset_x
      - .offset:         192
        .size:           8
        .value_kind:     hidden_global_offset_y
      - .offset:         200
        .size:           8
        .value_kind:     hidden_global_offset_z
      - .offset:         208
        .size:           2
        .value_kind:     hidden_grid_dims
    .group_segment_fixed_size: 2720
    .kernarg_segment_align: 8
    .kernarg_segment_size: 400
    .language:       OpenCL C
    .language_version:
      - 2
      - 0
    .max_flat_workgroup_size: 256
    .name:           _Z38paged_attention_ll4mi_QKV_mfma4_kernelI14__hip_bfloat16hLN4vllm18Fp8KVCacheDataTypeE1EhLi32ELi64ELi256ELb0ELi2EEvPKT_PKT0_S8_ifPKiSA_SA_iPKfiiiPfSD_PS3_PT2_iSC_SC_
    .private_segment_fixed_size: 0
    .sgpr_count:     48
    .sgpr_spill_count: 0
    .symbol:         _Z38paged_attention_ll4mi_QKV_mfma4_kernelI14__hip_bfloat16hLN4vllm18Fp8KVCacheDataTypeE1EhLi32ELi64ELi256ELb0ELi2EEvPKT_PKT0_S8_ifPKiSA_SA_iPKfiiiPfSD_PS3_PT2_iSC_SC_.kd
    .uniform_work_group_size: 1
    .uses_dynamic_stack: false
    .vgpr_count:     92
    .vgpr_spill_count: 0
    .wavefront_size: 64
  - .agpr_count:     4
    .args:
      - .actual_access:  read_only
        .address_space:  global
        .offset:         0
        .size:           8
        .value_kind:     global_buffer
      - .actual_access:  read_only
        .address_space:  global
        .offset:         8
        .size:           8
        .value_kind:     global_buffer
      - .actual_access:  read_only
        .address_space:  global
        .offset:         16
        .size:           8
        .value_kind:     global_buffer
      - .offset:         24
        .size:           4
        .value_kind:     by_value
      - .offset:         28
        .size:           4
        .value_kind:     by_value
      - .actual_access:  read_only
        .address_space:  global
        .offset:         32
        .size:           8
        .value_kind:     global_buffer
      - .actual_access:  read_only
        .address_space:  global
        .offset:         40
        .size:           8
        .value_kind:     global_buffer
      - .actual_access:  read_only
        .address_space:  global
        .offset:         48
        .size:           8
        .value_kind:     global_buffer
      - .offset:         56
        .size:           4
        .value_kind:     by_value
      - .actual_access:  read_only
        .address_space:  global
        .offset:         64
        .size:           8
        .value_kind:     global_buffer
      - .offset:         72
        .size:           4
        .value_kind:     by_value
      - .offset:         76
        .size:           4
        .value_kind:     by_value
      - .offset:         80
        .size:           4
        .value_kind:     by_value
      - .actual_access:  write_only
        .address_space:  global
        .offset:         88
        .size:           8
        .value_kind:     global_buffer
      - .actual_access:  write_only
        .address_space:  global
        .offset:         96
        .size:           8
        .value_kind:     global_buffer
      - .actual_access:  write_only
        .address_space:  global
        .offset:         104
        .size:           8
        .value_kind:     global_buffer
      - .actual_access:  read_only
        .address_space:  global
        .offset:         112
        .size:           8
        .value_kind:     global_buffer
      - .offset:         120
        .size:           4
        .value_kind:     by_value
      - .address_space:  global
        .offset:         128
        .size:           8
        .value_kind:     global_buffer
      - .address_space:  global
        .offset:         136
        .size:           8
        .value_kind:     global_buffer
      - .offset:         144
        .size:           4
        .value_kind:     hidden_block_count_x
      - .offset:         148
        .size:           4
        .value_kind:     hidden_block_count_y
      - .offset:         152
        .size:           4
        .value_kind:     hidden_block_count_z
      - .offset:         156
        .size:           2
        .value_kind:     hidden_group_size_x
      - .offset:         158
        .size:           2
        .value_kind:     hidden_group_size_y
      - .offset:         160
        .size:           2
        .value_kind:     hidden_group_size_z
      - .offset:         162
        .size:           2
        .value_kind:     hidden_remainder_x
      - .offset:         164
        .size:           2
        .value_kind:     hidden_remainder_y
      - .offset:         166
        .size:           2
        .value_kind:     hidden_remainder_z
      - .offset:         184
        .size:           8
        .value_kind:     hidden_global_offset_x
      - .offset:         192
        .size:           8
        .value_kind:     hidden_global_offset_y
      - .offset:         200
        .size:           8
        .value_kind:     hidden_global_offset_z
      - .offset:         208
        .size:           2
        .value_kind:     hidden_grid_dims
    .group_segment_fixed_size: 2720
    .kernarg_segment_align: 8
    .kernarg_segment_size: 400
    .language:       OpenCL C
    .language_version:
      - 2
      - 0
    .max_flat_workgroup_size: 256
    .name:           _Z38paged_attention_ll4mi_QKV_mfma4_kernelI14__hip_bfloat16hLN4vllm18Fp8KVCacheDataTypeE1EhLi32ELi64ELi256ELb0ELi3EEvPKT_PKT0_S8_ifPKiSA_SA_iPKfiiiPfSD_PS3_PT2_iSC_SC_
    .private_segment_fixed_size: 0
    .sgpr_count:     48
    .sgpr_spill_count: 0
    .symbol:         _Z38paged_attention_ll4mi_QKV_mfma4_kernelI14__hip_bfloat16hLN4vllm18Fp8KVCacheDataTypeE1EhLi32ELi64ELi256ELb0ELi3EEvPKT_PKT0_S8_ifPKiSA_SA_iPKfiiiPfSD_PS3_PT2_iSC_SC_.kd
    .uniform_work_group_size: 1
    .uses_dynamic_stack: false
    .vgpr_count:     92
    .vgpr_spill_count: 0
    .wavefront_size: 64
  - .agpr_count:     4
    .args:
      - .actual_access:  read_only
        .address_space:  global
        .offset:         0
        .size:           8
        .value_kind:     global_buffer
      - .actual_access:  read_only
        .address_space:  global
        .offset:         8
        .size:           8
        .value_kind:     global_buffer
      - .actual_access:  read_only
        .address_space:  global
        .offset:         16
        .size:           8
        .value_kind:     global_buffer
      - .offset:         24
        .size:           4
        .value_kind:     by_value
      - .offset:         28
        .size:           4
        .value_kind:     by_value
      - .actual_access:  read_only
        .address_space:  global
        .offset:         32
        .size:           8
        .value_kind:     global_buffer
      - .actual_access:  read_only
        .address_space:  global
        .offset:         40
        .size:           8
        .value_kind:     global_buffer
      - .actual_access:  read_only
        .address_space:  global
        .offset:         48
        .size:           8
        .value_kind:     global_buffer
      - .offset:         56
        .size:           4
        .value_kind:     by_value
      - .actual_access:  read_only
        .address_space:  global
        .offset:         64
        .size:           8
        .value_kind:     global_buffer
      - .offset:         72
        .size:           4
        .value_kind:     by_value
      - .offset:         76
        .size:           4
        .value_kind:     by_value
      - .offset:         80
        .size:           4
        .value_kind:     by_value
      - .actual_access:  write_only
        .address_space:  global
        .offset:         88
        .size:           8
        .value_kind:     global_buffer
      - .actual_access:  write_only
        .address_space:  global
        .offset:         96
        .size:           8
        .value_kind:     global_buffer
      - .actual_access:  write_only
        .address_space:  global
        .offset:         104
        .size:           8
        .value_kind:     global_buffer
      - .actual_access:  read_only
        .address_space:  global
        .offset:         112
        .size:           8
        .value_kind:     global_buffer
      - .offset:         120
        .size:           4
        .value_kind:     by_value
      - .address_space:  global
        .offset:         128
        .size:           8
        .value_kind:     global_buffer
      - .address_space:  global
        .offset:         136
        .size:           8
        .value_kind:     global_buffer
      - .offset:         144
        .size:           4
        .value_kind:     hidden_block_count_x
      - .offset:         148
        .size:           4
        .value_kind:     hidden_block_count_y
      - .offset:         152
        .size:           4
        .value_kind:     hidden_block_count_z
      - .offset:         156
        .size:           2
        .value_kind:     hidden_group_size_x
      - .offset:         158
        .size:           2
        .value_kind:     hidden_group_size_y
      - .offset:         160
        .size:           2
        .value_kind:     hidden_group_size_z
      - .offset:         162
        .size:           2
        .value_kind:     hidden_remainder_x
      - .offset:         164
        .size:           2
        .value_kind:     hidden_remainder_y
      - .offset:         166
        .size:           2
        .value_kind:     hidden_remainder_z
      - .offset:         184
        .size:           8
        .value_kind:     hidden_global_offset_x
      - .offset:         192
        .size:           8
        .value_kind:     hidden_global_offset_y
      - .offset:         200
        .size:           8
        .value_kind:     hidden_global_offset_z
      - .offset:         208
        .size:           2
        .value_kind:     hidden_grid_dims
    .group_segment_fixed_size: 2720
    .kernarg_segment_align: 8
    .kernarg_segment_size: 400
    .language:       OpenCL C
    .language_version:
      - 2
      - 0
    .max_flat_workgroup_size: 256
    .name:           _Z38paged_attention_ll4mi_QKV_mfma4_kernelI14__hip_bfloat16hLN4vllm18Fp8KVCacheDataTypeE1EhLi32ELi64ELi256ELb0ELi4EEvPKT_PKT0_S8_ifPKiSA_SA_iPKfiiiPfSD_PS3_PT2_iSC_SC_
    .private_segment_fixed_size: 0
    .sgpr_count:     48
    .sgpr_spill_count: 0
    .symbol:         _Z38paged_attention_ll4mi_QKV_mfma4_kernelI14__hip_bfloat16hLN4vllm18Fp8KVCacheDataTypeE1EhLi32ELi64ELi256ELb0ELi4EEvPKT_PKT0_S8_ifPKiSA_SA_iPKfiiiPfSD_PS3_PT2_iSC_SC_.kd
    .uniform_work_group_size: 1
    .uses_dynamic_stack: false
    .vgpr_count:     96
    .vgpr_spill_count: 0
    .wavefront_size: 64
  - .agpr_count:     0
    .args:
      - .actual_access:  read_only
        .address_space:  global
        .offset:         0
        .size:           8
        .value_kind:     global_buffer
      - .actual_access:  read_only
        .address_space:  global
        .offset:         8
        .size:           8
        .value_kind:     global_buffer
      - .actual_access:  read_only
        .address_space:  global
        .offset:         16
        .size:           8
        .value_kind:     global_buffer
      - .offset:         24
        .size:           4
        .value_kind:     by_value
      - .offset:         28
        .size:           4
        .value_kind:     by_value
      - .actual_access:  read_only
        .address_space:  global
        .offset:         32
        .size:           8
        .value_kind:     global_buffer
      - .actual_access:  read_only
        .address_space:  global
        .offset:         40
        .size:           8
        .value_kind:     global_buffer
      - .actual_access:  read_only
        .address_space:  global
        .offset:         48
        .size:           8
        .value_kind:     global_buffer
      - .offset:         56
        .size:           4
        .value_kind:     by_value
      - .actual_access:  read_only
        .address_space:  global
        .offset:         64
        .size:           8
        .value_kind:     global_buffer
      - .offset:         72
        .size:           4
        .value_kind:     by_value
      - .offset:         76
        .size:           4
        .value_kind:     by_value
      - .offset:         80
        .size:           4
        .value_kind:     by_value
      - .actual_access:  write_only
        .address_space:  global
        .offset:         88
        .size:           8
        .value_kind:     global_buffer
      - .actual_access:  write_only
        .address_space:  global
        .offset:         96
        .size:           8
        .value_kind:     global_buffer
      - .actual_access:  write_only
        .address_space:  global
        .offset:         104
        .size:           8
        .value_kind:     global_buffer
      - .actual_access:  read_only
        .address_space:  global
        .offset:         112
        .size:           8
        .value_kind:     global_buffer
      - .offset:         120
        .size:           4
        .value_kind:     by_value
      - .address_space:  global
        .offset:         128
        .size:           8
        .value_kind:     global_buffer
      - .address_space:  global
        .offset:         136
        .size:           8
        .value_kind:     global_buffer
      - .offset:         144
        .size:           4
        .value_kind:     hidden_block_count_x
      - .offset:         148
        .size:           4
        .value_kind:     hidden_block_count_y
      - .offset:         152
        .size:           4
        .value_kind:     hidden_block_count_z
      - .offset:         156
        .size:           2
        .value_kind:     hidden_group_size_x
      - .offset:         158
        .size:           2
        .value_kind:     hidden_group_size_y
      - .offset:         160
        .size:           2
        .value_kind:     hidden_group_size_z
      - .offset:         162
        .size:           2
        .value_kind:     hidden_remainder_x
      - .offset:         164
        .size:           2
        .value_kind:     hidden_remainder_y
      - .offset:         166
        .size:           2
        .value_kind:     hidden_remainder_z
      - .offset:         184
        .size:           8
        .value_kind:     hidden_global_offset_x
      - .offset:         192
        .size:           8
        .value_kind:     hidden_global_offset_y
      - .offset:         200
        .size:           8
        .value_kind:     hidden_global_offset_z
      - .offset:         208
        .size:           2
        .value_kind:     hidden_grid_dims
    .group_segment_fixed_size: 8192
    .kernarg_segment_align: 8
    .kernarg_segment_size: 400
    .language:       OpenCL C
    .language_version:
      - 2
      - 0
    .max_flat_workgroup_size: 256
    .name:           _Z39paged_attention_ll4mi_QKV_mfma16_kernelI14__hip_bfloat16hLN4vllm18Fp8KVCacheDataTypeE1EhLi32ELi64ELi256ELb0ELi5EEvPKT_PKT0_S8_ifPKiSA_SA_iPKfiiiPfSD_PS3_PT2_iSC_SC_
    .private_segment_fixed_size: 0
    .sgpr_count:     56
    .sgpr_spill_count: 0
    .symbol:         _Z39paged_attention_ll4mi_QKV_mfma16_kernelI14__hip_bfloat16hLN4vllm18Fp8KVCacheDataTypeE1EhLi32ELi64ELi256ELb0ELi5EEvPKT_PKT0_S8_ifPKiSA_SA_iPKfiiiPfSD_PS3_PT2_iSC_SC_.kd
    .uniform_work_group_size: 1
    .uses_dynamic_stack: false
    .vgpr_count:     54
    .vgpr_spill_count: 0
    .wavefront_size: 64
  - .agpr_count:     0
    .args:
      - .actual_access:  read_only
        .address_space:  global
        .offset:         0
        .size:           8
        .value_kind:     global_buffer
      - .actual_access:  read_only
        .address_space:  global
        .offset:         8
        .size:           8
        .value_kind:     global_buffer
      - .actual_access:  read_only
        .address_space:  global
        .offset:         16
        .size:           8
        .value_kind:     global_buffer
      - .offset:         24
        .size:           4
        .value_kind:     by_value
      - .offset:         28
        .size:           4
        .value_kind:     by_value
      - .actual_access:  read_only
        .address_space:  global
        .offset:         32
        .size:           8
        .value_kind:     global_buffer
      - .actual_access:  read_only
        .address_space:  global
        .offset:         40
        .size:           8
        .value_kind:     global_buffer
      - .actual_access:  read_only
        .address_space:  global
        .offset:         48
        .size:           8
        .value_kind:     global_buffer
      - .offset:         56
        .size:           4
        .value_kind:     by_value
      - .actual_access:  read_only
        .address_space:  global
        .offset:         64
        .size:           8
        .value_kind:     global_buffer
      - .offset:         72
        .size:           4
        .value_kind:     by_value
      - .offset:         76
        .size:           4
        .value_kind:     by_value
      - .offset:         80
        .size:           4
        .value_kind:     by_value
      - .actual_access:  write_only
        .address_space:  global
        .offset:         88
        .size:           8
        .value_kind:     global_buffer
      - .actual_access:  write_only
        .address_space:  global
        .offset:         96
        .size:           8
        .value_kind:     global_buffer
      - .actual_access:  write_only
        .address_space:  global
        .offset:         104
        .size:           8
        .value_kind:     global_buffer
      - .actual_access:  read_only
        .address_space:  global
        .offset:         112
        .size:           8
        .value_kind:     global_buffer
      - .offset:         120
        .size:           4
        .value_kind:     by_value
      - .address_space:  global
        .offset:         128
        .size:           8
        .value_kind:     global_buffer
      - .address_space:  global
        .offset:         136
        .size:           8
        .value_kind:     global_buffer
      - .offset:         144
        .size:           4
        .value_kind:     hidden_block_count_x
      - .offset:         148
        .size:           4
        .value_kind:     hidden_block_count_y
      - .offset:         152
        .size:           4
        .value_kind:     hidden_block_count_z
      - .offset:         156
        .size:           2
        .value_kind:     hidden_group_size_x
      - .offset:         158
        .size:           2
        .value_kind:     hidden_group_size_y
      - .offset:         160
        .size:           2
        .value_kind:     hidden_group_size_z
      - .offset:         162
        .size:           2
        .value_kind:     hidden_remainder_x
      - .offset:         164
        .size:           2
        .value_kind:     hidden_remainder_y
      - .offset:         166
        .size:           2
        .value_kind:     hidden_remainder_z
      - .offset:         184
        .size:           8
        .value_kind:     hidden_global_offset_x
      - .offset:         192
        .size:           8
        .value_kind:     hidden_global_offset_y
      - .offset:         200
        .size:           8
        .value_kind:     hidden_global_offset_z
      - .offset:         208
        .size:           2
        .value_kind:     hidden_grid_dims
    .group_segment_fixed_size: 8192
    .kernarg_segment_align: 8
    .kernarg_segment_size: 400
    .language:       OpenCL C
    .language_version:
      - 2
      - 0
    .max_flat_workgroup_size: 256
    .name:           _Z39paged_attention_ll4mi_QKV_mfma16_kernelI14__hip_bfloat16hLN4vllm18Fp8KVCacheDataTypeE1EhLi32ELi64ELi256ELb0ELi6EEvPKT_PKT0_S8_ifPKiSA_SA_iPKfiiiPfSD_PS3_PT2_iSC_SC_
    .private_segment_fixed_size: 0
    .sgpr_count:     56
    .sgpr_spill_count: 0
    .symbol:         _Z39paged_attention_ll4mi_QKV_mfma16_kernelI14__hip_bfloat16hLN4vllm18Fp8KVCacheDataTypeE1EhLi32ELi64ELi256ELb0ELi6EEvPKT_PKT0_S8_ifPKiSA_SA_iPKfiiiPfSD_PS3_PT2_iSC_SC_.kd
    .uniform_work_group_size: 1
    .uses_dynamic_stack: false
    .vgpr_count:     54
    .vgpr_spill_count: 0
    .wavefront_size: 64
  - .agpr_count:     0
    .args:
      - .actual_access:  read_only
        .address_space:  global
        .offset:         0
        .size:           8
        .value_kind:     global_buffer
      - .actual_access:  read_only
        .address_space:  global
        .offset:         8
        .size:           8
        .value_kind:     global_buffer
      - .actual_access:  read_only
        .address_space:  global
        .offset:         16
        .size:           8
        .value_kind:     global_buffer
      - .offset:         24
        .size:           4
        .value_kind:     by_value
      - .offset:         28
        .size:           4
        .value_kind:     by_value
      - .actual_access:  read_only
        .address_space:  global
        .offset:         32
        .size:           8
        .value_kind:     global_buffer
      - .actual_access:  read_only
        .address_space:  global
        .offset:         40
        .size:           8
        .value_kind:     global_buffer
      - .actual_access:  read_only
        .address_space:  global
        .offset:         48
        .size:           8
        .value_kind:     global_buffer
      - .offset:         56
        .size:           4
        .value_kind:     by_value
      - .actual_access:  read_only
        .address_space:  global
        .offset:         64
        .size:           8
        .value_kind:     global_buffer
      - .offset:         72
        .size:           4
        .value_kind:     by_value
      - .offset:         76
        .size:           4
        .value_kind:     by_value
      - .offset:         80
        .size:           4
        .value_kind:     by_value
      - .actual_access:  write_only
        .address_space:  global
        .offset:         88
        .size:           8
        .value_kind:     global_buffer
      - .actual_access:  write_only
        .address_space:  global
        .offset:         96
        .size:           8
        .value_kind:     global_buffer
      - .actual_access:  write_only
        .address_space:  global
        .offset:         104
        .size:           8
        .value_kind:     global_buffer
      - .actual_access:  read_only
        .address_space:  global
        .offset:         112
        .size:           8
        .value_kind:     global_buffer
      - .offset:         120
        .size:           4
        .value_kind:     by_value
      - .address_space:  global
        .offset:         128
        .size:           8
        .value_kind:     global_buffer
      - .address_space:  global
        .offset:         136
        .size:           8
        .value_kind:     global_buffer
      - .offset:         144
        .size:           4
        .value_kind:     hidden_block_count_x
      - .offset:         148
        .size:           4
        .value_kind:     hidden_block_count_y
      - .offset:         152
        .size:           4
        .value_kind:     hidden_block_count_z
      - .offset:         156
        .size:           2
        .value_kind:     hidden_group_size_x
      - .offset:         158
        .size:           2
        .value_kind:     hidden_group_size_y
      - .offset:         160
        .size:           2
        .value_kind:     hidden_group_size_z
      - .offset:         162
        .size:           2
        .value_kind:     hidden_remainder_x
      - .offset:         164
        .size:           2
        .value_kind:     hidden_remainder_y
      - .offset:         166
        .size:           2
        .value_kind:     hidden_remainder_z
      - .offset:         184
        .size:           8
        .value_kind:     hidden_global_offset_x
      - .offset:         192
        .size:           8
        .value_kind:     hidden_global_offset_y
      - .offset:         200
        .size:           8
        .value_kind:     hidden_global_offset_z
      - .offset:         208
        .size:           2
        .value_kind:     hidden_grid_dims
    .group_segment_fixed_size: 8192
    .kernarg_segment_align: 8
    .kernarg_segment_size: 400
    .language:       OpenCL C
    .language_version:
      - 2
      - 0
    .max_flat_workgroup_size: 256
    .name:           _Z39paged_attention_ll4mi_QKV_mfma16_kernelI14__hip_bfloat16hLN4vllm18Fp8KVCacheDataTypeE1EhLi32ELi64ELi256ELb0ELi7EEvPKT_PKT0_S8_ifPKiSA_SA_iPKfiiiPfSD_PS3_PT2_iSC_SC_
    .private_segment_fixed_size: 0
    .sgpr_count:     56
    .sgpr_spill_count: 0
    .symbol:         _Z39paged_attention_ll4mi_QKV_mfma16_kernelI14__hip_bfloat16hLN4vllm18Fp8KVCacheDataTypeE1EhLi32ELi64ELi256ELb0ELi7EEvPKT_PKT0_S8_ifPKiSA_SA_iPKfiiiPfSD_PS3_PT2_iSC_SC_.kd
    .uniform_work_group_size: 1
    .uses_dynamic_stack: false
    .vgpr_count:     54
    .vgpr_spill_count: 0
    .wavefront_size: 64
  - .agpr_count:     0
    .args:
      - .actual_access:  read_only
        .address_space:  global
        .offset:         0
        .size:           8
        .value_kind:     global_buffer
      - .actual_access:  read_only
        .address_space:  global
        .offset:         8
        .size:           8
        .value_kind:     global_buffer
      - .actual_access:  read_only
        .address_space:  global
        .offset:         16
        .size:           8
        .value_kind:     global_buffer
      - .offset:         24
        .size:           4
        .value_kind:     by_value
      - .offset:         28
        .size:           4
        .value_kind:     by_value
      - .actual_access:  read_only
        .address_space:  global
        .offset:         32
        .size:           8
        .value_kind:     global_buffer
      - .actual_access:  read_only
        .address_space:  global
        .offset:         40
        .size:           8
        .value_kind:     global_buffer
      - .actual_access:  read_only
        .address_space:  global
        .offset:         48
        .size:           8
        .value_kind:     global_buffer
      - .offset:         56
        .size:           4
        .value_kind:     by_value
      - .actual_access:  read_only
        .address_space:  global
        .offset:         64
        .size:           8
        .value_kind:     global_buffer
      - .offset:         72
        .size:           4
        .value_kind:     by_value
      - .offset:         76
        .size:           4
        .value_kind:     by_value
      - .offset:         80
        .size:           4
        .value_kind:     by_value
      - .actual_access:  write_only
        .address_space:  global
        .offset:         88
        .size:           8
        .value_kind:     global_buffer
      - .actual_access:  write_only
        .address_space:  global
        .offset:         96
        .size:           8
        .value_kind:     global_buffer
      - .actual_access:  write_only
        .address_space:  global
        .offset:         104
        .size:           8
        .value_kind:     global_buffer
      - .actual_access:  read_only
        .address_space:  global
        .offset:         112
        .size:           8
        .value_kind:     global_buffer
      - .offset:         120
        .size:           4
        .value_kind:     by_value
      - .address_space:  global
        .offset:         128
        .size:           8
        .value_kind:     global_buffer
      - .address_space:  global
        .offset:         136
        .size:           8
        .value_kind:     global_buffer
      - .offset:         144
        .size:           4
        .value_kind:     hidden_block_count_x
      - .offset:         148
        .size:           4
        .value_kind:     hidden_block_count_y
      - .offset:         152
        .size:           4
        .value_kind:     hidden_block_count_z
      - .offset:         156
        .size:           2
        .value_kind:     hidden_group_size_x
      - .offset:         158
        .size:           2
        .value_kind:     hidden_group_size_y
      - .offset:         160
        .size:           2
        .value_kind:     hidden_group_size_z
      - .offset:         162
        .size:           2
        .value_kind:     hidden_remainder_x
      - .offset:         164
        .size:           2
        .value_kind:     hidden_remainder_y
      - .offset:         166
        .size:           2
        .value_kind:     hidden_remainder_z
      - .offset:         184
        .size:           8
        .value_kind:     hidden_global_offset_x
      - .offset:         192
        .size:           8
        .value_kind:     hidden_global_offset_y
      - .offset:         200
        .size:           8
        .value_kind:     hidden_global_offset_z
      - .offset:         208
        .size:           2
        .value_kind:     hidden_grid_dims
    .group_segment_fixed_size: 8192
    .kernarg_segment_align: 8
    .kernarg_segment_size: 400
    .language:       OpenCL C
    .language_version:
      - 2
      - 0
    .max_flat_workgroup_size: 256
    .name:           _Z39paged_attention_ll4mi_QKV_mfma16_kernelI14__hip_bfloat16hLN4vllm18Fp8KVCacheDataTypeE1EhLi32ELi64ELi256ELb0ELi8EEvPKT_PKT0_S8_ifPKiSA_SA_iPKfiiiPfSD_PS3_PT2_iSC_SC_
    .private_segment_fixed_size: 0
    .sgpr_count:     55
    .sgpr_spill_count: 0
    .symbol:         _Z39paged_attention_ll4mi_QKV_mfma16_kernelI14__hip_bfloat16hLN4vllm18Fp8KVCacheDataTypeE1EhLi32ELi64ELi256ELb0ELi8EEvPKT_PKT0_S8_ifPKiSA_SA_iPKfiiiPfSD_PS3_PT2_iSC_SC_.kd
    .uniform_work_group_size: 1
    .uses_dynamic_stack: false
    .vgpr_count:     54
    .vgpr_spill_count: 0
    .wavefront_size: 64
  - .agpr_count:     0
    .args:
      - .actual_access:  read_only
        .address_space:  global
        .offset:         0
        .size:           8
        .value_kind:     global_buffer
      - .actual_access:  read_only
        .address_space:  global
        .offset:         8
        .size:           8
        .value_kind:     global_buffer
      - .actual_access:  read_only
        .address_space:  global
        .offset:         16
        .size:           8
        .value_kind:     global_buffer
      - .offset:         24
        .size:           4
        .value_kind:     by_value
      - .offset:         28
        .size:           4
        .value_kind:     by_value
      - .actual_access:  read_only
        .address_space:  global
        .offset:         32
        .size:           8
        .value_kind:     global_buffer
      - .actual_access:  read_only
        .address_space:  global
        .offset:         40
        .size:           8
        .value_kind:     global_buffer
      - .actual_access:  read_only
        .address_space:  global
        .offset:         48
        .size:           8
        .value_kind:     global_buffer
      - .offset:         56
        .size:           4
        .value_kind:     by_value
      - .actual_access:  read_only
        .address_space:  global
        .offset:         64
        .size:           8
        .value_kind:     global_buffer
      - .offset:         72
        .size:           4
        .value_kind:     by_value
      - .offset:         76
        .size:           4
        .value_kind:     by_value
      - .offset:         80
        .size:           4
        .value_kind:     by_value
      - .actual_access:  write_only
        .address_space:  global
        .offset:         88
        .size:           8
        .value_kind:     global_buffer
      - .actual_access:  write_only
        .address_space:  global
        .offset:         96
        .size:           8
        .value_kind:     global_buffer
      - .actual_access:  write_only
        .address_space:  global
        .offset:         104
        .size:           8
        .value_kind:     global_buffer
      - .actual_access:  read_only
        .address_space:  global
        .offset:         112
        .size:           8
        .value_kind:     global_buffer
      - .offset:         120
        .size:           4
        .value_kind:     by_value
      - .address_space:  global
        .offset:         128
        .size:           8
        .value_kind:     global_buffer
      - .address_space:  global
        .offset:         136
        .size:           8
        .value_kind:     global_buffer
      - .offset:         144
        .size:           4
        .value_kind:     hidden_block_count_x
      - .offset:         148
        .size:           4
        .value_kind:     hidden_block_count_y
      - .offset:         152
        .size:           4
        .value_kind:     hidden_block_count_z
      - .offset:         156
        .size:           2
        .value_kind:     hidden_group_size_x
      - .offset:         158
        .size:           2
        .value_kind:     hidden_group_size_y
      - .offset:         160
        .size:           2
        .value_kind:     hidden_group_size_z
      - .offset:         162
        .size:           2
        .value_kind:     hidden_remainder_x
      - .offset:         164
        .size:           2
        .value_kind:     hidden_remainder_y
      - .offset:         166
        .size:           2
        .value_kind:     hidden_remainder_z
      - .offset:         184
        .size:           8
        .value_kind:     hidden_global_offset_x
      - .offset:         192
        .size:           8
        .value_kind:     hidden_global_offset_y
      - .offset:         200
        .size:           8
        .value_kind:     hidden_global_offset_z
      - .offset:         208
        .size:           2
        .value_kind:     hidden_grid_dims
    .group_segment_fixed_size: 8192
    .kernarg_segment_align: 8
    .kernarg_segment_size: 400
    .language:       OpenCL C
    .language_version:
      - 2
      - 0
    .max_flat_workgroup_size: 256
    .name:           _Z39paged_attention_ll4mi_QKV_mfma16_kernelI14__hip_bfloat16hLN4vllm18Fp8KVCacheDataTypeE1EhLi32ELi64ELi256ELb0ELi9EEvPKT_PKT0_S8_ifPKiSA_SA_iPKfiiiPfSD_PS3_PT2_iSC_SC_
    .private_segment_fixed_size: 0
    .sgpr_count:     56
    .sgpr_spill_count: 0
    .symbol:         _Z39paged_attention_ll4mi_QKV_mfma16_kernelI14__hip_bfloat16hLN4vllm18Fp8KVCacheDataTypeE1EhLi32ELi64ELi256ELb0ELi9EEvPKT_PKT0_S8_ifPKiSA_SA_iPKfiiiPfSD_PS3_PT2_iSC_SC_.kd
    .uniform_work_group_size: 1
    .uses_dynamic_stack: false
    .vgpr_count:     54
    .vgpr_spill_count: 0
    .wavefront_size: 64
  - .agpr_count:     0
    .args:
      - .actual_access:  read_only
        .address_space:  global
        .offset:         0
        .size:           8
        .value_kind:     global_buffer
      - .actual_access:  read_only
        .address_space:  global
        .offset:         8
        .size:           8
        .value_kind:     global_buffer
      - .actual_access:  read_only
        .address_space:  global
        .offset:         16
        .size:           8
        .value_kind:     global_buffer
      - .offset:         24
        .size:           4
        .value_kind:     by_value
      - .offset:         28
        .size:           4
        .value_kind:     by_value
      - .actual_access:  read_only
        .address_space:  global
        .offset:         32
        .size:           8
        .value_kind:     global_buffer
      - .actual_access:  read_only
        .address_space:  global
        .offset:         40
        .size:           8
        .value_kind:     global_buffer
      - .actual_access:  read_only
        .address_space:  global
        .offset:         48
        .size:           8
        .value_kind:     global_buffer
      - .offset:         56
        .size:           4
        .value_kind:     by_value
      - .actual_access:  read_only
        .address_space:  global
        .offset:         64
        .size:           8
        .value_kind:     global_buffer
      - .offset:         72
        .size:           4
        .value_kind:     by_value
      - .offset:         76
        .size:           4
        .value_kind:     by_value
      - .offset:         80
        .size:           4
        .value_kind:     by_value
      - .actual_access:  write_only
        .address_space:  global
        .offset:         88
        .size:           8
        .value_kind:     global_buffer
      - .actual_access:  write_only
        .address_space:  global
        .offset:         96
        .size:           8
        .value_kind:     global_buffer
      - .actual_access:  write_only
        .address_space:  global
        .offset:         104
        .size:           8
        .value_kind:     global_buffer
      - .actual_access:  read_only
        .address_space:  global
        .offset:         112
        .size:           8
        .value_kind:     global_buffer
      - .offset:         120
        .size:           4
        .value_kind:     by_value
      - .address_space:  global
        .offset:         128
        .size:           8
        .value_kind:     global_buffer
      - .address_space:  global
        .offset:         136
        .size:           8
        .value_kind:     global_buffer
      - .offset:         144
        .size:           4
        .value_kind:     hidden_block_count_x
      - .offset:         148
        .size:           4
        .value_kind:     hidden_block_count_y
      - .offset:         152
        .size:           4
        .value_kind:     hidden_block_count_z
      - .offset:         156
        .size:           2
        .value_kind:     hidden_group_size_x
      - .offset:         158
        .size:           2
        .value_kind:     hidden_group_size_y
      - .offset:         160
        .size:           2
        .value_kind:     hidden_group_size_z
      - .offset:         162
        .size:           2
        .value_kind:     hidden_remainder_x
      - .offset:         164
        .size:           2
        .value_kind:     hidden_remainder_y
      - .offset:         166
        .size:           2
        .value_kind:     hidden_remainder_z
      - .offset:         184
        .size:           8
        .value_kind:     hidden_global_offset_x
      - .offset:         192
        .size:           8
        .value_kind:     hidden_global_offset_y
      - .offset:         200
        .size:           8
        .value_kind:     hidden_global_offset_z
      - .offset:         208
        .size:           2
        .value_kind:     hidden_grid_dims
    .group_segment_fixed_size: 8192
    .kernarg_segment_align: 8
    .kernarg_segment_size: 400
    .language:       OpenCL C
    .language_version:
      - 2
      - 0
    .max_flat_workgroup_size: 256
    .name:           _Z39paged_attention_ll4mi_QKV_mfma16_kernelI14__hip_bfloat16hLN4vllm18Fp8KVCacheDataTypeE1EhLi32ELi64ELi256ELb0ELi10EEvPKT_PKT0_S8_ifPKiSA_SA_iPKfiiiPfSD_PS3_PT2_iSC_SC_
    .private_segment_fixed_size: 0
    .sgpr_count:     56
    .sgpr_spill_count: 0
    .symbol:         _Z39paged_attention_ll4mi_QKV_mfma16_kernelI14__hip_bfloat16hLN4vllm18Fp8KVCacheDataTypeE1EhLi32ELi64ELi256ELb0ELi10EEvPKT_PKT0_S8_ifPKiSA_SA_iPKfiiiPfSD_PS3_PT2_iSC_SC_.kd
    .uniform_work_group_size: 1
    .uses_dynamic_stack: false
    .vgpr_count:     54
    .vgpr_spill_count: 0
    .wavefront_size: 64
  - .agpr_count:     0
    .args:
      - .actual_access:  read_only
        .address_space:  global
        .offset:         0
        .size:           8
        .value_kind:     global_buffer
      - .actual_access:  read_only
        .address_space:  global
        .offset:         8
        .size:           8
        .value_kind:     global_buffer
      - .actual_access:  read_only
        .address_space:  global
        .offset:         16
        .size:           8
        .value_kind:     global_buffer
      - .offset:         24
        .size:           4
        .value_kind:     by_value
      - .offset:         28
        .size:           4
        .value_kind:     by_value
      - .actual_access:  read_only
        .address_space:  global
        .offset:         32
        .size:           8
        .value_kind:     global_buffer
      - .actual_access:  read_only
        .address_space:  global
        .offset:         40
        .size:           8
        .value_kind:     global_buffer
      - .actual_access:  read_only
        .address_space:  global
        .offset:         48
        .size:           8
        .value_kind:     global_buffer
      - .offset:         56
        .size:           4
        .value_kind:     by_value
      - .actual_access:  read_only
        .address_space:  global
        .offset:         64
        .size:           8
        .value_kind:     global_buffer
      - .offset:         72
        .size:           4
        .value_kind:     by_value
      - .offset:         76
        .size:           4
        .value_kind:     by_value
      - .offset:         80
        .size:           4
        .value_kind:     by_value
      - .actual_access:  write_only
        .address_space:  global
        .offset:         88
        .size:           8
        .value_kind:     global_buffer
      - .actual_access:  write_only
        .address_space:  global
        .offset:         96
        .size:           8
        .value_kind:     global_buffer
      - .actual_access:  write_only
        .address_space:  global
        .offset:         104
        .size:           8
        .value_kind:     global_buffer
      - .actual_access:  read_only
        .address_space:  global
        .offset:         112
        .size:           8
        .value_kind:     global_buffer
      - .offset:         120
        .size:           4
        .value_kind:     by_value
      - .address_space:  global
        .offset:         128
        .size:           8
        .value_kind:     global_buffer
      - .address_space:  global
        .offset:         136
        .size:           8
        .value_kind:     global_buffer
      - .offset:         144
        .size:           4
        .value_kind:     hidden_block_count_x
      - .offset:         148
        .size:           4
        .value_kind:     hidden_block_count_y
      - .offset:         152
        .size:           4
        .value_kind:     hidden_block_count_z
      - .offset:         156
        .size:           2
        .value_kind:     hidden_group_size_x
      - .offset:         158
        .size:           2
        .value_kind:     hidden_group_size_y
      - .offset:         160
        .size:           2
        .value_kind:     hidden_group_size_z
      - .offset:         162
        .size:           2
        .value_kind:     hidden_remainder_x
      - .offset:         164
        .size:           2
        .value_kind:     hidden_remainder_y
      - .offset:         166
        .size:           2
        .value_kind:     hidden_remainder_z
      - .offset:         184
        .size:           8
        .value_kind:     hidden_global_offset_x
      - .offset:         192
        .size:           8
        .value_kind:     hidden_global_offset_y
      - .offset:         200
        .size:           8
        .value_kind:     hidden_global_offset_z
      - .offset:         208
        .size:           2
        .value_kind:     hidden_grid_dims
    .group_segment_fixed_size: 8192
    .kernarg_segment_align: 8
    .kernarg_segment_size: 400
    .language:       OpenCL C
    .language_version:
      - 2
      - 0
    .max_flat_workgroup_size: 256
    .name:           _Z39paged_attention_ll4mi_QKV_mfma16_kernelI14__hip_bfloat16hLN4vllm18Fp8KVCacheDataTypeE1EhLi32ELi64ELi256ELb0ELi11EEvPKT_PKT0_S8_ifPKiSA_SA_iPKfiiiPfSD_PS3_PT2_iSC_SC_
    .private_segment_fixed_size: 0
    .sgpr_count:     56
    .sgpr_spill_count: 0
    .symbol:         _Z39paged_attention_ll4mi_QKV_mfma16_kernelI14__hip_bfloat16hLN4vllm18Fp8KVCacheDataTypeE1EhLi32ELi64ELi256ELb0ELi11EEvPKT_PKT0_S8_ifPKiSA_SA_iPKfiiiPfSD_PS3_PT2_iSC_SC_.kd
    .uniform_work_group_size: 1
    .uses_dynamic_stack: false
    .vgpr_count:     54
    .vgpr_spill_count: 0
    .wavefront_size: 64
  - .agpr_count:     0
    .args:
      - .actual_access:  read_only
        .address_space:  global
        .offset:         0
        .size:           8
        .value_kind:     global_buffer
      - .actual_access:  read_only
        .address_space:  global
        .offset:         8
        .size:           8
        .value_kind:     global_buffer
      - .actual_access:  read_only
        .address_space:  global
        .offset:         16
        .size:           8
        .value_kind:     global_buffer
      - .offset:         24
        .size:           4
        .value_kind:     by_value
      - .offset:         28
        .size:           4
        .value_kind:     by_value
      - .actual_access:  read_only
        .address_space:  global
        .offset:         32
        .size:           8
        .value_kind:     global_buffer
      - .actual_access:  read_only
        .address_space:  global
        .offset:         40
        .size:           8
        .value_kind:     global_buffer
      - .actual_access:  read_only
        .address_space:  global
        .offset:         48
        .size:           8
        .value_kind:     global_buffer
      - .offset:         56
        .size:           4
        .value_kind:     by_value
      - .actual_access:  read_only
        .address_space:  global
        .offset:         64
        .size:           8
        .value_kind:     global_buffer
      - .offset:         72
        .size:           4
        .value_kind:     by_value
      - .offset:         76
        .size:           4
        .value_kind:     by_value
      - .offset:         80
        .size:           4
        .value_kind:     by_value
      - .actual_access:  write_only
        .address_space:  global
        .offset:         88
        .size:           8
        .value_kind:     global_buffer
      - .actual_access:  write_only
        .address_space:  global
        .offset:         96
        .size:           8
        .value_kind:     global_buffer
      - .actual_access:  write_only
        .address_space:  global
        .offset:         104
        .size:           8
        .value_kind:     global_buffer
      - .actual_access:  read_only
        .address_space:  global
        .offset:         112
        .size:           8
        .value_kind:     global_buffer
      - .offset:         120
        .size:           4
        .value_kind:     by_value
      - .address_space:  global
        .offset:         128
        .size:           8
        .value_kind:     global_buffer
      - .address_space:  global
        .offset:         136
        .size:           8
        .value_kind:     global_buffer
      - .offset:         144
        .size:           4
        .value_kind:     hidden_block_count_x
      - .offset:         148
        .size:           4
        .value_kind:     hidden_block_count_y
      - .offset:         152
        .size:           4
        .value_kind:     hidden_block_count_z
      - .offset:         156
        .size:           2
        .value_kind:     hidden_group_size_x
      - .offset:         158
        .size:           2
        .value_kind:     hidden_group_size_y
      - .offset:         160
        .size:           2
        .value_kind:     hidden_group_size_z
      - .offset:         162
        .size:           2
        .value_kind:     hidden_remainder_x
      - .offset:         164
        .size:           2
        .value_kind:     hidden_remainder_y
      - .offset:         166
        .size:           2
        .value_kind:     hidden_remainder_z
      - .offset:         184
        .size:           8
        .value_kind:     hidden_global_offset_x
      - .offset:         192
        .size:           8
        .value_kind:     hidden_global_offset_y
      - .offset:         200
        .size:           8
        .value_kind:     hidden_global_offset_z
      - .offset:         208
        .size:           2
        .value_kind:     hidden_grid_dims
    .group_segment_fixed_size: 8192
    .kernarg_segment_align: 8
    .kernarg_segment_size: 400
    .language:       OpenCL C
    .language_version:
      - 2
      - 0
    .max_flat_workgroup_size: 256
    .name:           _Z39paged_attention_ll4mi_QKV_mfma16_kernelI14__hip_bfloat16hLN4vllm18Fp8KVCacheDataTypeE1EhLi32ELi64ELi256ELb0ELi12EEvPKT_PKT0_S8_ifPKiSA_SA_iPKfiiiPfSD_PS3_PT2_iSC_SC_
    .private_segment_fixed_size: 0
    .sgpr_count:     56
    .sgpr_spill_count: 0
    .symbol:         _Z39paged_attention_ll4mi_QKV_mfma16_kernelI14__hip_bfloat16hLN4vllm18Fp8KVCacheDataTypeE1EhLi32ELi64ELi256ELb0ELi12EEvPKT_PKT0_S8_ifPKiSA_SA_iPKfiiiPfSD_PS3_PT2_iSC_SC_.kd
    .uniform_work_group_size: 1
    .uses_dynamic_stack: false
    .vgpr_count:     54
    .vgpr_spill_count: 0
    .wavefront_size: 64
  - .agpr_count:     0
    .args:
      - .actual_access:  read_only
        .address_space:  global
        .offset:         0
        .size:           8
        .value_kind:     global_buffer
      - .actual_access:  read_only
        .address_space:  global
        .offset:         8
        .size:           8
        .value_kind:     global_buffer
      - .actual_access:  read_only
        .address_space:  global
        .offset:         16
        .size:           8
        .value_kind:     global_buffer
      - .offset:         24
        .size:           4
        .value_kind:     by_value
      - .offset:         28
        .size:           4
        .value_kind:     by_value
      - .actual_access:  read_only
        .address_space:  global
        .offset:         32
        .size:           8
        .value_kind:     global_buffer
      - .actual_access:  read_only
        .address_space:  global
        .offset:         40
        .size:           8
        .value_kind:     global_buffer
      - .actual_access:  read_only
        .address_space:  global
        .offset:         48
        .size:           8
        .value_kind:     global_buffer
      - .offset:         56
        .size:           4
        .value_kind:     by_value
      - .actual_access:  read_only
        .address_space:  global
        .offset:         64
        .size:           8
        .value_kind:     global_buffer
      - .offset:         72
        .size:           4
        .value_kind:     by_value
      - .offset:         76
        .size:           4
        .value_kind:     by_value
      - .offset:         80
        .size:           4
        .value_kind:     by_value
      - .actual_access:  write_only
        .address_space:  global
        .offset:         88
        .size:           8
        .value_kind:     global_buffer
      - .actual_access:  write_only
        .address_space:  global
        .offset:         96
        .size:           8
        .value_kind:     global_buffer
      - .actual_access:  write_only
        .address_space:  global
        .offset:         104
        .size:           8
        .value_kind:     global_buffer
      - .actual_access:  read_only
        .address_space:  global
        .offset:         112
        .size:           8
        .value_kind:     global_buffer
      - .offset:         120
        .size:           4
        .value_kind:     by_value
      - .address_space:  global
        .offset:         128
        .size:           8
        .value_kind:     global_buffer
      - .address_space:  global
        .offset:         136
        .size:           8
        .value_kind:     global_buffer
      - .offset:         144
        .size:           4
        .value_kind:     hidden_block_count_x
      - .offset:         148
        .size:           4
        .value_kind:     hidden_block_count_y
      - .offset:         152
        .size:           4
        .value_kind:     hidden_block_count_z
      - .offset:         156
        .size:           2
        .value_kind:     hidden_group_size_x
      - .offset:         158
        .size:           2
        .value_kind:     hidden_group_size_y
      - .offset:         160
        .size:           2
        .value_kind:     hidden_group_size_z
      - .offset:         162
        .size:           2
        .value_kind:     hidden_remainder_x
      - .offset:         164
        .size:           2
        .value_kind:     hidden_remainder_y
      - .offset:         166
        .size:           2
        .value_kind:     hidden_remainder_z
      - .offset:         184
        .size:           8
        .value_kind:     hidden_global_offset_x
      - .offset:         192
        .size:           8
        .value_kind:     hidden_global_offset_y
      - .offset:         200
        .size:           8
        .value_kind:     hidden_global_offset_z
      - .offset:         208
        .size:           2
        .value_kind:     hidden_grid_dims
    .group_segment_fixed_size: 8192
    .kernarg_segment_align: 8
    .kernarg_segment_size: 400
    .language:       OpenCL C
    .language_version:
      - 2
      - 0
    .max_flat_workgroup_size: 256
    .name:           _Z39paged_attention_ll4mi_QKV_mfma16_kernelI14__hip_bfloat16hLN4vllm18Fp8KVCacheDataTypeE1EhLi32ELi64ELi256ELb0ELi13EEvPKT_PKT0_S8_ifPKiSA_SA_iPKfiiiPfSD_PS3_PT2_iSC_SC_
    .private_segment_fixed_size: 0
    .sgpr_count:     56
    .sgpr_spill_count: 0
    .symbol:         _Z39paged_attention_ll4mi_QKV_mfma16_kernelI14__hip_bfloat16hLN4vllm18Fp8KVCacheDataTypeE1EhLi32ELi64ELi256ELb0ELi13EEvPKT_PKT0_S8_ifPKiSA_SA_iPKfiiiPfSD_PS3_PT2_iSC_SC_.kd
    .uniform_work_group_size: 1
    .uses_dynamic_stack: false
    .vgpr_count:     54
    .vgpr_spill_count: 0
    .wavefront_size: 64
  - .agpr_count:     0
    .args:
      - .actual_access:  read_only
        .address_space:  global
        .offset:         0
        .size:           8
        .value_kind:     global_buffer
      - .actual_access:  read_only
        .address_space:  global
        .offset:         8
        .size:           8
        .value_kind:     global_buffer
      - .actual_access:  read_only
        .address_space:  global
        .offset:         16
        .size:           8
        .value_kind:     global_buffer
      - .offset:         24
        .size:           4
        .value_kind:     by_value
      - .offset:         28
        .size:           4
        .value_kind:     by_value
      - .actual_access:  read_only
        .address_space:  global
        .offset:         32
        .size:           8
        .value_kind:     global_buffer
      - .actual_access:  read_only
        .address_space:  global
        .offset:         40
        .size:           8
        .value_kind:     global_buffer
      - .actual_access:  read_only
        .address_space:  global
        .offset:         48
        .size:           8
        .value_kind:     global_buffer
      - .offset:         56
        .size:           4
        .value_kind:     by_value
      - .actual_access:  read_only
        .address_space:  global
        .offset:         64
        .size:           8
        .value_kind:     global_buffer
      - .offset:         72
        .size:           4
        .value_kind:     by_value
      - .offset:         76
        .size:           4
        .value_kind:     by_value
      - .offset:         80
        .size:           4
        .value_kind:     by_value
      - .actual_access:  write_only
        .address_space:  global
        .offset:         88
        .size:           8
        .value_kind:     global_buffer
      - .actual_access:  write_only
        .address_space:  global
        .offset:         96
        .size:           8
        .value_kind:     global_buffer
      - .actual_access:  write_only
        .address_space:  global
        .offset:         104
        .size:           8
        .value_kind:     global_buffer
      - .actual_access:  read_only
        .address_space:  global
        .offset:         112
        .size:           8
        .value_kind:     global_buffer
      - .offset:         120
        .size:           4
        .value_kind:     by_value
      - .address_space:  global
        .offset:         128
        .size:           8
        .value_kind:     global_buffer
      - .address_space:  global
        .offset:         136
        .size:           8
        .value_kind:     global_buffer
      - .offset:         144
        .size:           4
        .value_kind:     hidden_block_count_x
      - .offset:         148
        .size:           4
        .value_kind:     hidden_block_count_y
      - .offset:         152
        .size:           4
        .value_kind:     hidden_block_count_z
      - .offset:         156
        .size:           2
        .value_kind:     hidden_group_size_x
      - .offset:         158
        .size:           2
        .value_kind:     hidden_group_size_y
      - .offset:         160
        .size:           2
        .value_kind:     hidden_group_size_z
      - .offset:         162
        .size:           2
        .value_kind:     hidden_remainder_x
      - .offset:         164
        .size:           2
        .value_kind:     hidden_remainder_y
      - .offset:         166
        .size:           2
        .value_kind:     hidden_remainder_z
      - .offset:         184
        .size:           8
        .value_kind:     hidden_global_offset_x
      - .offset:         192
        .size:           8
        .value_kind:     hidden_global_offset_y
      - .offset:         200
        .size:           8
        .value_kind:     hidden_global_offset_z
      - .offset:         208
        .size:           2
        .value_kind:     hidden_grid_dims
    .group_segment_fixed_size: 8192
    .kernarg_segment_align: 8
    .kernarg_segment_size: 400
    .language:       OpenCL C
    .language_version:
      - 2
      - 0
    .max_flat_workgroup_size: 256
    .name:           _Z39paged_attention_ll4mi_QKV_mfma16_kernelI14__hip_bfloat16hLN4vllm18Fp8KVCacheDataTypeE1EhLi32ELi64ELi256ELb0ELi14EEvPKT_PKT0_S8_ifPKiSA_SA_iPKfiiiPfSD_PS3_PT2_iSC_SC_
    .private_segment_fixed_size: 0
    .sgpr_count:     56
    .sgpr_spill_count: 0
    .symbol:         _Z39paged_attention_ll4mi_QKV_mfma16_kernelI14__hip_bfloat16hLN4vllm18Fp8KVCacheDataTypeE1EhLi32ELi64ELi256ELb0ELi14EEvPKT_PKT0_S8_ifPKiSA_SA_iPKfiiiPfSD_PS3_PT2_iSC_SC_.kd
    .uniform_work_group_size: 1
    .uses_dynamic_stack: false
    .vgpr_count:     54
    .vgpr_spill_count: 0
    .wavefront_size: 64
  - .agpr_count:     0
    .args:
      - .actual_access:  read_only
        .address_space:  global
        .offset:         0
        .size:           8
        .value_kind:     global_buffer
      - .actual_access:  read_only
        .address_space:  global
        .offset:         8
        .size:           8
        .value_kind:     global_buffer
      - .actual_access:  read_only
        .address_space:  global
        .offset:         16
        .size:           8
        .value_kind:     global_buffer
      - .offset:         24
        .size:           4
        .value_kind:     by_value
      - .offset:         28
        .size:           4
        .value_kind:     by_value
      - .actual_access:  read_only
        .address_space:  global
        .offset:         32
        .size:           8
        .value_kind:     global_buffer
      - .actual_access:  read_only
        .address_space:  global
        .offset:         40
        .size:           8
        .value_kind:     global_buffer
      - .actual_access:  read_only
        .address_space:  global
        .offset:         48
        .size:           8
        .value_kind:     global_buffer
      - .offset:         56
        .size:           4
        .value_kind:     by_value
      - .actual_access:  read_only
        .address_space:  global
        .offset:         64
        .size:           8
        .value_kind:     global_buffer
      - .offset:         72
        .size:           4
        .value_kind:     by_value
      - .offset:         76
        .size:           4
        .value_kind:     by_value
      - .offset:         80
        .size:           4
        .value_kind:     by_value
      - .actual_access:  write_only
        .address_space:  global
        .offset:         88
        .size:           8
        .value_kind:     global_buffer
      - .actual_access:  write_only
        .address_space:  global
        .offset:         96
        .size:           8
        .value_kind:     global_buffer
      - .actual_access:  write_only
        .address_space:  global
        .offset:         104
        .size:           8
        .value_kind:     global_buffer
      - .actual_access:  read_only
        .address_space:  global
        .offset:         112
        .size:           8
        .value_kind:     global_buffer
      - .offset:         120
        .size:           4
        .value_kind:     by_value
      - .address_space:  global
        .offset:         128
        .size:           8
        .value_kind:     global_buffer
      - .address_space:  global
        .offset:         136
        .size:           8
        .value_kind:     global_buffer
      - .offset:         144
        .size:           4
        .value_kind:     hidden_block_count_x
      - .offset:         148
        .size:           4
        .value_kind:     hidden_block_count_y
      - .offset:         152
        .size:           4
        .value_kind:     hidden_block_count_z
      - .offset:         156
        .size:           2
        .value_kind:     hidden_group_size_x
      - .offset:         158
        .size:           2
        .value_kind:     hidden_group_size_y
      - .offset:         160
        .size:           2
        .value_kind:     hidden_group_size_z
      - .offset:         162
        .size:           2
        .value_kind:     hidden_remainder_x
      - .offset:         164
        .size:           2
        .value_kind:     hidden_remainder_y
      - .offset:         166
        .size:           2
        .value_kind:     hidden_remainder_z
      - .offset:         184
        .size:           8
        .value_kind:     hidden_global_offset_x
      - .offset:         192
        .size:           8
        .value_kind:     hidden_global_offset_y
      - .offset:         200
        .size:           8
        .value_kind:     hidden_global_offset_z
      - .offset:         208
        .size:           2
        .value_kind:     hidden_grid_dims
    .group_segment_fixed_size: 8192
    .kernarg_segment_align: 8
    .kernarg_segment_size: 400
    .language:       OpenCL C
    .language_version:
      - 2
      - 0
    .max_flat_workgroup_size: 256
    .name:           _Z39paged_attention_ll4mi_QKV_mfma16_kernelI14__hip_bfloat16hLN4vllm18Fp8KVCacheDataTypeE1EhLi32ELi64ELi256ELb0ELi15EEvPKT_PKT0_S8_ifPKiSA_SA_iPKfiiiPfSD_PS3_PT2_iSC_SC_
    .private_segment_fixed_size: 0
    .sgpr_count:     56
    .sgpr_spill_count: 0
    .symbol:         _Z39paged_attention_ll4mi_QKV_mfma16_kernelI14__hip_bfloat16hLN4vllm18Fp8KVCacheDataTypeE1EhLi32ELi64ELi256ELb0ELi15EEvPKT_PKT0_S8_ifPKiSA_SA_iPKfiiiPfSD_PS3_PT2_iSC_SC_.kd
    .uniform_work_group_size: 1
    .uses_dynamic_stack: false
    .vgpr_count:     54
    .vgpr_spill_count: 0
    .wavefront_size: 64
  - .agpr_count:     0
    .args:
      - .actual_access:  read_only
        .address_space:  global
        .offset:         0
        .size:           8
        .value_kind:     global_buffer
      - .actual_access:  read_only
        .address_space:  global
        .offset:         8
        .size:           8
        .value_kind:     global_buffer
      - .actual_access:  read_only
        .address_space:  global
        .offset:         16
        .size:           8
        .value_kind:     global_buffer
      - .offset:         24
        .size:           4
        .value_kind:     by_value
      - .offset:         28
        .size:           4
        .value_kind:     by_value
      - .actual_access:  read_only
        .address_space:  global
        .offset:         32
        .size:           8
        .value_kind:     global_buffer
      - .actual_access:  read_only
        .address_space:  global
        .offset:         40
        .size:           8
        .value_kind:     global_buffer
      - .actual_access:  read_only
        .address_space:  global
        .offset:         48
        .size:           8
        .value_kind:     global_buffer
      - .offset:         56
        .size:           4
        .value_kind:     by_value
      - .actual_access:  read_only
        .address_space:  global
        .offset:         64
        .size:           8
        .value_kind:     global_buffer
      - .offset:         72
        .size:           4
        .value_kind:     by_value
      - .offset:         76
        .size:           4
        .value_kind:     by_value
      - .offset:         80
        .size:           4
        .value_kind:     by_value
      - .actual_access:  write_only
        .address_space:  global
        .offset:         88
        .size:           8
        .value_kind:     global_buffer
      - .actual_access:  write_only
        .address_space:  global
        .offset:         96
        .size:           8
        .value_kind:     global_buffer
      - .actual_access:  write_only
        .address_space:  global
        .offset:         104
        .size:           8
        .value_kind:     global_buffer
      - .actual_access:  read_only
        .address_space:  global
        .offset:         112
        .size:           8
        .value_kind:     global_buffer
      - .offset:         120
        .size:           4
        .value_kind:     by_value
      - .address_space:  global
        .offset:         128
        .size:           8
        .value_kind:     global_buffer
      - .address_space:  global
        .offset:         136
        .size:           8
        .value_kind:     global_buffer
      - .offset:         144
        .size:           4
        .value_kind:     hidden_block_count_x
      - .offset:         148
        .size:           4
        .value_kind:     hidden_block_count_y
      - .offset:         152
        .size:           4
        .value_kind:     hidden_block_count_z
      - .offset:         156
        .size:           2
        .value_kind:     hidden_group_size_x
      - .offset:         158
        .size:           2
        .value_kind:     hidden_group_size_y
      - .offset:         160
        .size:           2
        .value_kind:     hidden_group_size_z
      - .offset:         162
        .size:           2
        .value_kind:     hidden_remainder_x
      - .offset:         164
        .size:           2
        .value_kind:     hidden_remainder_y
      - .offset:         166
        .size:           2
        .value_kind:     hidden_remainder_z
      - .offset:         184
        .size:           8
        .value_kind:     hidden_global_offset_x
      - .offset:         192
        .size:           8
        .value_kind:     hidden_global_offset_y
      - .offset:         200
        .size:           8
        .value_kind:     hidden_global_offset_z
      - .offset:         208
        .size:           2
        .value_kind:     hidden_grid_dims
    .group_segment_fixed_size: 8192
    .kernarg_segment_align: 8
    .kernarg_segment_size: 400
    .language:       OpenCL C
    .language_version:
      - 2
      - 0
    .max_flat_workgroup_size: 256
    .name:           _Z39paged_attention_ll4mi_QKV_mfma16_kernelI14__hip_bfloat16hLN4vllm18Fp8KVCacheDataTypeE1EhLi32ELi64ELi256ELb0ELi16EEvPKT_PKT0_S8_ifPKiSA_SA_iPKfiiiPfSD_PS3_PT2_iSC_SC_
    .private_segment_fixed_size: 0
    .sgpr_count:     55
    .sgpr_spill_count: 0
    .symbol:         _Z39paged_attention_ll4mi_QKV_mfma16_kernelI14__hip_bfloat16hLN4vllm18Fp8KVCacheDataTypeE1EhLi32ELi64ELi256ELb0ELi16EEvPKT_PKT0_S8_ifPKiSA_SA_iPKfiiiPfSD_PS3_PT2_iSC_SC_.kd
    .uniform_work_group_size: 1
    .uses_dynamic_stack: false
    .vgpr_count:     56
    .vgpr_spill_count: 0
    .wavefront_size: 64
  - .agpr_count:     0
    .args:
      - .actual_access:  read_only
        .address_space:  global
        .offset:         0
        .size:           8
        .value_kind:     global_buffer
      - .actual_access:  read_only
        .address_space:  global
        .offset:         8
        .size:           8
        .value_kind:     global_buffer
      - .actual_access:  read_only
        .address_space:  global
        .offset:         16
        .size:           8
        .value_kind:     global_buffer
      - .offset:         24
        .size:           4
        .value_kind:     by_value
      - .offset:         28
        .size:           4
        .value_kind:     by_value
      - .actual_access:  read_only
        .address_space:  global
        .offset:         32
        .size:           8
        .value_kind:     global_buffer
      - .actual_access:  read_only
        .address_space:  global
        .offset:         40
        .size:           8
        .value_kind:     global_buffer
      - .actual_access:  read_only
        .address_space:  global
        .offset:         48
        .size:           8
        .value_kind:     global_buffer
      - .offset:         56
        .size:           4
        .value_kind:     by_value
      - .actual_access:  read_only
        .address_space:  global
        .offset:         64
        .size:           8
        .value_kind:     global_buffer
      - .offset:         72
        .size:           4
        .value_kind:     by_value
      - .offset:         76
        .size:           4
        .value_kind:     by_value
      - .offset:         80
        .size:           4
        .value_kind:     by_value
      - .actual_access:  write_only
        .address_space:  global
        .offset:         88
        .size:           8
        .value_kind:     global_buffer
      - .actual_access:  write_only
        .address_space:  global
        .offset:         96
        .size:           8
        .value_kind:     global_buffer
      - .actual_access:  write_only
        .address_space:  global
        .offset:         104
        .size:           8
        .value_kind:     global_buffer
      - .actual_access:  read_only
        .address_space:  global
        .offset:         112
        .size:           8
        .value_kind:     global_buffer
      - .offset:         120
        .size:           4
        .value_kind:     by_value
      - .address_space:  global
        .offset:         128
        .size:           8
        .value_kind:     global_buffer
      - .address_space:  global
        .offset:         136
        .size:           8
        .value_kind:     global_buffer
      - .offset:         144
        .size:           4
        .value_kind:     hidden_block_count_x
      - .offset:         148
        .size:           4
        .value_kind:     hidden_block_count_y
      - .offset:         152
        .size:           4
        .value_kind:     hidden_block_count_z
      - .offset:         156
        .size:           2
        .value_kind:     hidden_group_size_x
      - .offset:         158
        .size:           2
        .value_kind:     hidden_group_size_y
      - .offset:         160
        .size:           2
        .value_kind:     hidden_group_size_z
      - .offset:         162
        .size:           2
        .value_kind:     hidden_remainder_x
      - .offset:         164
        .size:           2
        .value_kind:     hidden_remainder_y
      - .offset:         166
        .size:           2
        .value_kind:     hidden_remainder_z
      - .offset:         184
        .size:           8
        .value_kind:     hidden_global_offset_x
      - .offset:         192
        .size:           8
        .value_kind:     hidden_global_offset_y
      - .offset:         200
        .size:           8
        .value_kind:     hidden_global_offset_z
      - .offset:         208
        .size:           2
        .value_kind:     hidden_grid_dims
    .group_segment_fixed_size: 8192
    .kernarg_segment_align: 8
    .kernarg_segment_size: 400
    .language:       OpenCL C
    .language_version:
      - 2
      - 0
    .max_flat_workgroup_size: 256
    .name:           _Z39paged_attention_ll4mi_QKV_mfma16_kernelI14__hip_bfloat16hLN4vllm18Fp8KVCacheDataTypeE1EhLi32ELi64ELi256ELb0ELi1EEvPKT_PKT0_S8_ifPKiSA_SA_iPKfiiiPfSD_PS3_PT2_iSC_SC_
    .private_segment_fixed_size: 0
    .sgpr_count:     54
    .sgpr_spill_count: 0
    .symbol:         _Z39paged_attention_ll4mi_QKV_mfma16_kernelI14__hip_bfloat16hLN4vllm18Fp8KVCacheDataTypeE1EhLi32ELi64ELi256ELb0ELi1EEvPKT_PKT0_S8_ifPKiSA_SA_iPKfiiiPfSD_PS3_PT2_iSC_SC_.kd
    .uniform_work_group_size: 1
    .uses_dynamic_stack: false
    .vgpr_count:     56
    .vgpr_spill_count: 0
    .wavefront_size: 64
  - .agpr_count:     0
    .args:
      - .actual_access:  read_only
        .address_space:  global
        .offset:         0
        .size:           8
        .value_kind:     global_buffer
      - .actual_access:  read_only
        .address_space:  global
        .offset:         8
        .size:           8
        .value_kind:     global_buffer
      - .actual_access:  read_only
        .address_space:  global
        .offset:         16
        .size:           8
        .value_kind:     global_buffer
      - .offset:         24
        .size:           4
        .value_kind:     by_value
      - .offset:         28
        .size:           4
        .value_kind:     by_value
      - .actual_access:  read_only
        .address_space:  global
        .offset:         32
        .size:           8
        .value_kind:     global_buffer
      - .actual_access:  read_only
        .address_space:  global
        .offset:         40
        .size:           8
        .value_kind:     global_buffer
      - .actual_access:  read_only
        .address_space:  global
        .offset:         48
        .size:           8
        .value_kind:     global_buffer
      - .offset:         56
        .size:           4
        .value_kind:     by_value
      - .actual_access:  read_only
        .address_space:  global
        .offset:         64
        .size:           8
        .value_kind:     global_buffer
      - .offset:         72
        .size:           4
        .value_kind:     by_value
      - .offset:         76
        .size:           4
        .value_kind:     by_value
      - .offset:         80
        .size:           4
        .value_kind:     by_value
      - .actual_access:  write_only
        .address_space:  global
        .offset:         88
        .size:           8
        .value_kind:     global_buffer
      - .actual_access:  write_only
        .address_space:  global
        .offset:         96
        .size:           8
        .value_kind:     global_buffer
      - .actual_access:  write_only
        .address_space:  global
        .offset:         104
        .size:           8
        .value_kind:     global_buffer
      - .actual_access:  read_only
        .address_space:  global
        .offset:         112
        .size:           8
        .value_kind:     global_buffer
      - .offset:         120
        .size:           4
        .value_kind:     by_value
      - .address_space:  global
        .offset:         128
        .size:           8
        .value_kind:     global_buffer
      - .address_space:  global
        .offset:         136
        .size:           8
        .value_kind:     global_buffer
      - .offset:         144
        .size:           4
        .value_kind:     hidden_block_count_x
      - .offset:         148
        .size:           4
        .value_kind:     hidden_block_count_y
      - .offset:         152
        .size:           4
        .value_kind:     hidden_block_count_z
      - .offset:         156
        .size:           2
        .value_kind:     hidden_group_size_x
      - .offset:         158
        .size:           2
        .value_kind:     hidden_group_size_y
      - .offset:         160
        .size:           2
        .value_kind:     hidden_group_size_z
      - .offset:         162
        .size:           2
        .value_kind:     hidden_remainder_x
      - .offset:         164
        .size:           2
        .value_kind:     hidden_remainder_y
      - .offset:         166
        .size:           2
        .value_kind:     hidden_remainder_z
      - .offset:         184
        .size:           8
        .value_kind:     hidden_global_offset_x
      - .offset:         192
        .size:           8
        .value_kind:     hidden_global_offset_y
      - .offset:         200
        .size:           8
        .value_kind:     hidden_global_offset_z
      - .offset:         208
        .size:           2
        .value_kind:     hidden_grid_dims
    .group_segment_fixed_size: 8192
    .kernarg_segment_align: 8
    .kernarg_segment_size: 400
    .language:       OpenCL C
    .language_version:
      - 2
      - 0
    .max_flat_workgroup_size: 256
    .name:           _Z39paged_attention_ll4mi_QKV_mfma16_kernelI14__hip_bfloat16hLN4vllm18Fp8KVCacheDataTypeE1EhLi32ELi64ELi256ELb0ELi2EEvPKT_PKT0_S8_ifPKiSA_SA_iPKfiiiPfSD_PS3_PT2_iSC_SC_
    .private_segment_fixed_size: 0
    .sgpr_count:     55
    .sgpr_spill_count: 0
    .symbol:         _Z39paged_attention_ll4mi_QKV_mfma16_kernelI14__hip_bfloat16hLN4vllm18Fp8KVCacheDataTypeE1EhLi32ELi64ELi256ELb0ELi2EEvPKT_PKT0_S8_ifPKiSA_SA_iPKfiiiPfSD_PS3_PT2_iSC_SC_.kd
    .uniform_work_group_size: 1
    .uses_dynamic_stack: false
    .vgpr_count:     54
    .vgpr_spill_count: 0
    .wavefront_size: 64
  - .agpr_count:     0
    .args:
      - .actual_access:  read_only
        .address_space:  global
        .offset:         0
        .size:           8
        .value_kind:     global_buffer
      - .actual_access:  read_only
        .address_space:  global
        .offset:         8
        .size:           8
        .value_kind:     global_buffer
      - .actual_access:  read_only
        .address_space:  global
        .offset:         16
        .size:           8
        .value_kind:     global_buffer
      - .offset:         24
        .size:           4
        .value_kind:     by_value
      - .offset:         28
        .size:           4
        .value_kind:     by_value
      - .actual_access:  read_only
        .address_space:  global
        .offset:         32
        .size:           8
        .value_kind:     global_buffer
      - .actual_access:  read_only
        .address_space:  global
        .offset:         40
        .size:           8
        .value_kind:     global_buffer
      - .actual_access:  read_only
        .address_space:  global
        .offset:         48
        .size:           8
        .value_kind:     global_buffer
      - .offset:         56
        .size:           4
        .value_kind:     by_value
      - .actual_access:  read_only
        .address_space:  global
        .offset:         64
        .size:           8
        .value_kind:     global_buffer
      - .offset:         72
        .size:           4
        .value_kind:     by_value
      - .offset:         76
        .size:           4
        .value_kind:     by_value
      - .offset:         80
        .size:           4
        .value_kind:     by_value
      - .actual_access:  write_only
        .address_space:  global
        .offset:         88
        .size:           8
        .value_kind:     global_buffer
      - .actual_access:  write_only
        .address_space:  global
        .offset:         96
        .size:           8
        .value_kind:     global_buffer
      - .actual_access:  write_only
        .address_space:  global
        .offset:         104
        .size:           8
        .value_kind:     global_buffer
      - .actual_access:  read_only
        .address_space:  global
        .offset:         112
        .size:           8
        .value_kind:     global_buffer
      - .offset:         120
        .size:           4
        .value_kind:     by_value
      - .address_space:  global
        .offset:         128
        .size:           8
        .value_kind:     global_buffer
      - .address_space:  global
        .offset:         136
        .size:           8
        .value_kind:     global_buffer
      - .offset:         144
        .size:           4
        .value_kind:     hidden_block_count_x
      - .offset:         148
        .size:           4
        .value_kind:     hidden_block_count_y
      - .offset:         152
        .size:           4
        .value_kind:     hidden_block_count_z
      - .offset:         156
        .size:           2
        .value_kind:     hidden_group_size_x
      - .offset:         158
        .size:           2
        .value_kind:     hidden_group_size_y
      - .offset:         160
        .size:           2
        .value_kind:     hidden_group_size_z
      - .offset:         162
        .size:           2
        .value_kind:     hidden_remainder_x
      - .offset:         164
        .size:           2
        .value_kind:     hidden_remainder_y
      - .offset:         166
        .size:           2
        .value_kind:     hidden_remainder_z
      - .offset:         184
        .size:           8
        .value_kind:     hidden_global_offset_x
      - .offset:         192
        .size:           8
        .value_kind:     hidden_global_offset_y
      - .offset:         200
        .size:           8
        .value_kind:     hidden_global_offset_z
      - .offset:         208
        .size:           2
        .value_kind:     hidden_grid_dims
    .group_segment_fixed_size: 8192
    .kernarg_segment_align: 8
    .kernarg_segment_size: 400
    .language:       OpenCL C
    .language_version:
      - 2
      - 0
    .max_flat_workgroup_size: 256
    .name:           _Z39paged_attention_ll4mi_QKV_mfma16_kernelI14__hip_bfloat16hLN4vllm18Fp8KVCacheDataTypeE1EhLi32ELi64ELi256ELb0ELi3EEvPKT_PKT0_S8_ifPKiSA_SA_iPKfiiiPfSD_PS3_PT2_iSC_SC_
    .private_segment_fixed_size: 0
    .sgpr_count:     56
    .sgpr_spill_count: 0
    .symbol:         _Z39paged_attention_ll4mi_QKV_mfma16_kernelI14__hip_bfloat16hLN4vllm18Fp8KVCacheDataTypeE1EhLi32ELi64ELi256ELb0ELi3EEvPKT_PKT0_S8_ifPKiSA_SA_iPKfiiiPfSD_PS3_PT2_iSC_SC_.kd
    .uniform_work_group_size: 1
    .uses_dynamic_stack: false
    .vgpr_count:     54
    .vgpr_spill_count: 0
    .wavefront_size: 64
  - .agpr_count:     0
    .args:
      - .actual_access:  read_only
        .address_space:  global
        .offset:         0
        .size:           8
        .value_kind:     global_buffer
      - .actual_access:  read_only
        .address_space:  global
        .offset:         8
        .size:           8
        .value_kind:     global_buffer
      - .actual_access:  read_only
        .address_space:  global
        .offset:         16
        .size:           8
        .value_kind:     global_buffer
      - .offset:         24
        .size:           4
        .value_kind:     by_value
      - .offset:         28
        .size:           4
        .value_kind:     by_value
      - .actual_access:  read_only
        .address_space:  global
        .offset:         32
        .size:           8
        .value_kind:     global_buffer
      - .actual_access:  read_only
        .address_space:  global
        .offset:         40
        .size:           8
        .value_kind:     global_buffer
      - .actual_access:  read_only
        .address_space:  global
        .offset:         48
        .size:           8
        .value_kind:     global_buffer
      - .offset:         56
        .size:           4
        .value_kind:     by_value
      - .actual_access:  read_only
        .address_space:  global
        .offset:         64
        .size:           8
        .value_kind:     global_buffer
      - .offset:         72
        .size:           4
        .value_kind:     by_value
      - .offset:         76
        .size:           4
        .value_kind:     by_value
      - .offset:         80
        .size:           4
        .value_kind:     by_value
      - .actual_access:  write_only
        .address_space:  global
        .offset:         88
        .size:           8
        .value_kind:     global_buffer
      - .actual_access:  write_only
        .address_space:  global
        .offset:         96
        .size:           8
        .value_kind:     global_buffer
      - .actual_access:  write_only
        .address_space:  global
        .offset:         104
        .size:           8
        .value_kind:     global_buffer
      - .actual_access:  read_only
        .address_space:  global
        .offset:         112
        .size:           8
        .value_kind:     global_buffer
      - .offset:         120
        .size:           4
        .value_kind:     by_value
      - .address_space:  global
        .offset:         128
        .size:           8
        .value_kind:     global_buffer
      - .address_space:  global
        .offset:         136
        .size:           8
        .value_kind:     global_buffer
      - .offset:         144
        .size:           4
        .value_kind:     hidden_block_count_x
      - .offset:         148
        .size:           4
        .value_kind:     hidden_block_count_y
      - .offset:         152
        .size:           4
        .value_kind:     hidden_block_count_z
      - .offset:         156
        .size:           2
        .value_kind:     hidden_group_size_x
      - .offset:         158
        .size:           2
        .value_kind:     hidden_group_size_y
      - .offset:         160
        .size:           2
        .value_kind:     hidden_group_size_z
      - .offset:         162
        .size:           2
        .value_kind:     hidden_remainder_x
      - .offset:         164
        .size:           2
        .value_kind:     hidden_remainder_y
      - .offset:         166
        .size:           2
        .value_kind:     hidden_remainder_z
      - .offset:         184
        .size:           8
        .value_kind:     hidden_global_offset_x
      - .offset:         192
        .size:           8
        .value_kind:     hidden_global_offset_y
      - .offset:         200
        .size:           8
        .value_kind:     hidden_global_offset_z
      - .offset:         208
        .size:           2
        .value_kind:     hidden_grid_dims
    .group_segment_fixed_size: 8192
    .kernarg_segment_align: 8
    .kernarg_segment_size: 400
    .language:       OpenCL C
    .language_version:
      - 2
      - 0
    .max_flat_workgroup_size: 256
    .name:           _Z39paged_attention_ll4mi_QKV_mfma16_kernelI14__hip_bfloat16hLN4vllm18Fp8KVCacheDataTypeE1EhLi32ELi64ELi256ELb0ELi4EEvPKT_PKT0_S8_ifPKiSA_SA_iPKfiiiPfSD_PS3_PT2_iSC_SC_
    .private_segment_fixed_size: 0
    .sgpr_count:     56
    .sgpr_spill_count: 0
    .symbol:         _Z39paged_attention_ll4mi_QKV_mfma16_kernelI14__hip_bfloat16hLN4vllm18Fp8KVCacheDataTypeE1EhLi32ELi64ELi256ELb0ELi4EEvPKT_PKT0_S8_ifPKiSA_SA_iPKfiiiPfSD_PS3_PT2_iSC_SC_.kd
    .uniform_work_group_size: 1
    .uses_dynamic_stack: false
    .vgpr_count:     56
    .vgpr_spill_count: 0
    .wavefront_size: 64
  - .agpr_count:     4
    .args:
      - .actual_access:  read_only
        .address_space:  global
        .offset:         0
        .size:           8
        .value_kind:     global_buffer
      - .actual_access:  read_only
        .address_space:  global
        .offset:         8
        .size:           8
        .value_kind:     global_buffer
      - .actual_access:  read_only
        .address_space:  global
        .offset:         16
        .size:           8
        .value_kind:     global_buffer
      - .offset:         24
        .size:           4
        .value_kind:     by_value
      - .offset:         28
        .size:           4
        .value_kind:     by_value
      - .actual_access:  read_only
        .address_space:  global
        .offset:         32
        .size:           8
        .value_kind:     global_buffer
      - .actual_access:  read_only
        .address_space:  global
        .offset:         40
        .size:           8
        .value_kind:     global_buffer
      - .actual_access:  read_only
        .address_space:  global
        .offset:         48
        .size:           8
        .value_kind:     global_buffer
      - .offset:         56
        .size:           4
        .value_kind:     by_value
      - .actual_access:  read_only
        .address_space:  global
        .offset:         64
        .size:           8
        .value_kind:     global_buffer
      - .offset:         72
        .size:           4
        .value_kind:     by_value
      - .offset:         76
        .size:           4
        .value_kind:     by_value
      - .offset:         80
        .size:           4
        .value_kind:     by_value
      - .actual_access:  write_only
        .address_space:  global
        .offset:         88
        .size:           8
        .value_kind:     global_buffer
      - .actual_access:  write_only
        .address_space:  global
        .offset:         96
        .size:           8
        .value_kind:     global_buffer
      - .actual_access:  write_only
        .address_space:  global
        .offset:         104
        .size:           8
        .value_kind:     global_buffer
      - .actual_access:  read_only
        .address_space:  global
        .offset:         112
        .size:           8
        .value_kind:     global_buffer
      - .offset:         120
        .size:           4
        .value_kind:     by_value
      - .address_space:  global
        .offset:         128
        .size:           8
        .value_kind:     global_buffer
      - .address_space:  global
        .offset:         136
        .size:           8
        .value_kind:     global_buffer
      - .offset:         144
        .size:           4
        .value_kind:     hidden_block_count_x
      - .offset:         148
        .size:           4
        .value_kind:     hidden_block_count_y
      - .offset:         152
        .size:           4
        .value_kind:     hidden_block_count_z
      - .offset:         156
        .size:           2
        .value_kind:     hidden_group_size_x
      - .offset:         158
        .size:           2
        .value_kind:     hidden_group_size_y
      - .offset:         160
        .size:           2
        .value_kind:     hidden_group_size_z
      - .offset:         162
        .size:           2
        .value_kind:     hidden_remainder_x
      - .offset:         164
        .size:           2
        .value_kind:     hidden_remainder_y
      - .offset:         166
        .size:           2
        .value_kind:     hidden_remainder_z
      - .offset:         184
        .size:           8
        .value_kind:     hidden_global_offset_x
      - .offset:         192
        .size:           8
        .value_kind:     hidden_global_offset_y
      - .offset:         200
        .size:           8
        .value_kind:     hidden_global_offset_z
      - .offset:         208
        .size:           2
        .value_kind:     hidden_grid_dims
    .group_segment_fixed_size: 2720
    .kernarg_segment_align: 8
    .kernarg_segment_size: 400
    .language:       OpenCL C
    .language_version:
      - 2
      - 0
    .max_flat_workgroup_size: 256
    .name:           _Z38paged_attention_ll4mi_QKV_mfma4_kernelI14__hip_bfloat16hLN4vllm18Fp8KVCacheDataTypeE1ES0_Li32ELi64ELi256ELb1ELi1EEvPKT_PKT0_S8_ifPKiSA_SA_iPKfiiiPfSD_PS3_PT2_iSC_SC_
    .private_segment_fixed_size: 0
    .sgpr_count:     48
    .sgpr_spill_count: 0
    .symbol:         _Z38paged_attention_ll4mi_QKV_mfma4_kernelI14__hip_bfloat16hLN4vllm18Fp8KVCacheDataTypeE1ES0_Li32ELi64ELi256ELb1ELi1EEvPKT_PKT0_S8_ifPKiSA_SA_iPKfiiiPfSD_PS3_PT2_iSC_SC_.kd
    .uniform_work_group_size: 1
    .uses_dynamic_stack: false
    .vgpr_count:     48
    .vgpr_spill_count: 0
    .wavefront_size: 64
  - .agpr_count:     4
    .args:
      - .actual_access:  read_only
        .address_space:  global
        .offset:         0
        .size:           8
        .value_kind:     global_buffer
      - .actual_access:  read_only
        .address_space:  global
        .offset:         8
        .size:           8
        .value_kind:     global_buffer
      - .actual_access:  read_only
        .address_space:  global
        .offset:         16
        .size:           8
        .value_kind:     global_buffer
      - .offset:         24
        .size:           4
        .value_kind:     by_value
      - .offset:         28
        .size:           4
        .value_kind:     by_value
      - .actual_access:  read_only
        .address_space:  global
        .offset:         32
        .size:           8
        .value_kind:     global_buffer
      - .actual_access:  read_only
        .address_space:  global
        .offset:         40
        .size:           8
        .value_kind:     global_buffer
      - .actual_access:  read_only
        .address_space:  global
        .offset:         48
        .size:           8
        .value_kind:     global_buffer
      - .offset:         56
        .size:           4
        .value_kind:     by_value
      - .actual_access:  read_only
        .address_space:  global
        .offset:         64
        .size:           8
        .value_kind:     global_buffer
      - .offset:         72
        .size:           4
        .value_kind:     by_value
      - .offset:         76
        .size:           4
        .value_kind:     by_value
      - .offset:         80
        .size:           4
        .value_kind:     by_value
      - .actual_access:  write_only
        .address_space:  global
        .offset:         88
        .size:           8
        .value_kind:     global_buffer
      - .actual_access:  write_only
        .address_space:  global
        .offset:         96
        .size:           8
        .value_kind:     global_buffer
      - .actual_access:  write_only
        .address_space:  global
        .offset:         104
        .size:           8
        .value_kind:     global_buffer
      - .actual_access:  read_only
        .address_space:  global
        .offset:         112
        .size:           8
        .value_kind:     global_buffer
      - .offset:         120
        .size:           4
        .value_kind:     by_value
      - .address_space:  global
        .offset:         128
        .size:           8
        .value_kind:     global_buffer
      - .address_space:  global
        .offset:         136
        .size:           8
        .value_kind:     global_buffer
      - .offset:         144
        .size:           4
        .value_kind:     hidden_block_count_x
      - .offset:         148
        .size:           4
        .value_kind:     hidden_block_count_y
      - .offset:         152
        .size:           4
        .value_kind:     hidden_block_count_z
      - .offset:         156
        .size:           2
        .value_kind:     hidden_group_size_x
      - .offset:         158
        .size:           2
        .value_kind:     hidden_group_size_y
      - .offset:         160
        .size:           2
        .value_kind:     hidden_group_size_z
      - .offset:         162
        .size:           2
        .value_kind:     hidden_remainder_x
      - .offset:         164
        .size:           2
        .value_kind:     hidden_remainder_y
      - .offset:         166
        .size:           2
        .value_kind:     hidden_remainder_z
      - .offset:         184
        .size:           8
        .value_kind:     hidden_global_offset_x
      - .offset:         192
        .size:           8
        .value_kind:     hidden_global_offset_y
      - .offset:         200
        .size:           8
        .value_kind:     hidden_global_offset_z
      - .offset:         208
        .size:           2
        .value_kind:     hidden_grid_dims
    .group_segment_fixed_size: 2720
    .kernarg_segment_align: 8
    .kernarg_segment_size: 400
    .language:       OpenCL C
    .language_version:
      - 2
      - 0
    .max_flat_workgroup_size: 256
    .name:           _Z38paged_attention_ll4mi_QKV_mfma4_kernelI14__hip_bfloat16hLN4vllm18Fp8KVCacheDataTypeE1ES0_Li32ELi64ELi256ELb1ELi2EEvPKT_PKT0_S8_ifPKiSA_SA_iPKfiiiPfSD_PS3_PT2_iSC_SC_
    .private_segment_fixed_size: 0
    .sgpr_count:     50
    .sgpr_spill_count: 0
    .symbol:         _Z38paged_attention_ll4mi_QKV_mfma4_kernelI14__hip_bfloat16hLN4vllm18Fp8KVCacheDataTypeE1ES0_Li32ELi64ELi256ELb1ELi2EEvPKT_PKT0_S8_ifPKiSA_SA_iPKfiiiPfSD_PS3_PT2_iSC_SC_.kd
    .uniform_work_group_size: 1
    .uses_dynamic_stack: false
    .vgpr_count:     52
    .vgpr_spill_count: 0
    .wavefront_size: 64
  - .agpr_count:     4
    .args:
      - .actual_access:  read_only
        .address_space:  global
        .offset:         0
        .size:           8
        .value_kind:     global_buffer
      - .actual_access:  read_only
        .address_space:  global
        .offset:         8
        .size:           8
        .value_kind:     global_buffer
      - .actual_access:  read_only
        .address_space:  global
        .offset:         16
        .size:           8
        .value_kind:     global_buffer
      - .offset:         24
        .size:           4
        .value_kind:     by_value
      - .offset:         28
        .size:           4
        .value_kind:     by_value
      - .actual_access:  read_only
        .address_space:  global
        .offset:         32
        .size:           8
        .value_kind:     global_buffer
      - .actual_access:  read_only
        .address_space:  global
        .offset:         40
        .size:           8
        .value_kind:     global_buffer
      - .actual_access:  read_only
        .address_space:  global
        .offset:         48
        .size:           8
        .value_kind:     global_buffer
      - .offset:         56
        .size:           4
        .value_kind:     by_value
      - .actual_access:  read_only
        .address_space:  global
        .offset:         64
        .size:           8
        .value_kind:     global_buffer
      - .offset:         72
        .size:           4
        .value_kind:     by_value
      - .offset:         76
        .size:           4
        .value_kind:     by_value
      - .offset:         80
        .size:           4
        .value_kind:     by_value
      - .actual_access:  write_only
        .address_space:  global
        .offset:         88
        .size:           8
        .value_kind:     global_buffer
      - .actual_access:  write_only
        .address_space:  global
        .offset:         96
        .size:           8
        .value_kind:     global_buffer
      - .actual_access:  write_only
        .address_space:  global
        .offset:         104
        .size:           8
        .value_kind:     global_buffer
      - .actual_access:  read_only
        .address_space:  global
        .offset:         112
        .size:           8
        .value_kind:     global_buffer
      - .offset:         120
        .size:           4
        .value_kind:     by_value
      - .address_space:  global
        .offset:         128
        .size:           8
        .value_kind:     global_buffer
      - .address_space:  global
        .offset:         136
        .size:           8
        .value_kind:     global_buffer
      - .offset:         144
        .size:           4
        .value_kind:     hidden_block_count_x
      - .offset:         148
        .size:           4
        .value_kind:     hidden_block_count_y
      - .offset:         152
        .size:           4
        .value_kind:     hidden_block_count_z
      - .offset:         156
        .size:           2
        .value_kind:     hidden_group_size_x
      - .offset:         158
        .size:           2
        .value_kind:     hidden_group_size_y
      - .offset:         160
        .size:           2
        .value_kind:     hidden_group_size_z
      - .offset:         162
        .size:           2
        .value_kind:     hidden_remainder_x
      - .offset:         164
        .size:           2
        .value_kind:     hidden_remainder_y
      - .offset:         166
        .size:           2
        .value_kind:     hidden_remainder_z
      - .offset:         184
        .size:           8
        .value_kind:     hidden_global_offset_x
      - .offset:         192
        .size:           8
        .value_kind:     hidden_global_offset_y
      - .offset:         200
        .size:           8
        .value_kind:     hidden_global_offset_z
      - .offset:         208
        .size:           2
        .value_kind:     hidden_grid_dims
    .group_segment_fixed_size: 2720
    .kernarg_segment_align: 8
    .kernarg_segment_size: 400
    .language:       OpenCL C
    .language_version:
      - 2
      - 0
    .max_flat_workgroup_size: 256
    .name:           _Z38paged_attention_ll4mi_QKV_mfma4_kernelI14__hip_bfloat16hLN4vllm18Fp8KVCacheDataTypeE1ES0_Li32ELi64ELi256ELb1ELi3EEvPKT_PKT0_S8_ifPKiSA_SA_iPKfiiiPfSD_PS3_PT2_iSC_SC_
    .private_segment_fixed_size: 0
    .sgpr_count:     50
    .sgpr_spill_count: 0
    .symbol:         _Z38paged_attention_ll4mi_QKV_mfma4_kernelI14__hip_bfloat16hLN4vllm18Fp8KVCacheDataTypeE1ES0_Li32ELi64ELi256ELb1ELi3EEvPKT_PKT0_S8_ifPKiSA_SA_iPKfiiiPfSD_PS3_PT2_iSC_SC_.kd
    .uniform_work_group_size: 1
    .uses_dynamic_stack: false
    .vgpr_count:     48
    .vgpr_spill_count: 0
    .wavefront_size: 64
  - .agpr_count:     4
    .args:
      - .actual_access:  read_only
        .address_space:  global
        .offset:         0
        .size:           8
        .value_kind:     global_buffer
      - .actual_access:  read_only
        .address_space:  global
        .offset:         8
        .size:           8
        .value_kind:     global_buffer
      - .actual_access:  read_only
        .address_space:  global
        .offset:         16
        .size:           8
        .value_kind:     global_buffer
      - .offset:         24
        .size:           4
        .value_kind:     by_value
      - .offset:         28
        .size:           4
        .value_kind:     by_value
      - .actual_access:  read_only
        .address_space:  global
        .offset:         32
        .size:           8
        .value_kind:     global_buffer
      - .actual_access:  read_only
        .address_space:  global
        .offset:         40
        .size:           8
        .value_kind:     global_buffer
      - .actual_access:  read_only
        .address_space:  global
        .offset:         48
        .size:           8
        .value_kind:     global_buffer
      - .offset:         56
        .size:           4
        .value_kind:     by_value
      - .actual_access:  read_only
        .address_space:  global
        .offset:         64
        .size:           8
        .value_kind:     global_buffer
      - .offset:         72
        .size:           4
        .value_kind:     by_value
      - .offset:         76
        .size:           4
        .value_kind:     by_value
      - .offset:         80
        .size:           4
        .value_kind:     by_value
      - .actual_access:  write_only
        .address_space:  global
        .offset:         88
        .size:           8
        .value_kind:     global_buffer
      - .actual_access:  write_only
        .address_space:  global
        .offset:         96
        .size:           8
        .value_kind:     global_buffer
      - .actual_access:  write_only
        .address_space:  global
        .offset:         104
        .size:           8
        .value_kind:     global_buffer
      - .actual_access:  read_only
        .address_space:  global
        .offset:         112
        .size:           8
        .value_kind:     global_buffer
      - .offset:         120
        .size:           4
        .value_kind:     by_value
      - .address_space:  global
        .offset:         128
        .size:           8
        .value_kind:     global_buffer
      - .address_space:  global
        .offset:         136
        .size:           8
        .value_kind:     global_buffer
      - .offset:         144
        .size:           4
        .value_kind:     hidden_block_count_x
      - .offset:         148
        .size:           4
        .value_kind:     hidden_block_count_y
      - .offset:         152
        .size:           4
        .value_kind:     hidden_block_count_z
      - .offset:         156
        .size:           2
        .value_kind:     hidden_group_size_x
      - .offset:         158
        .size:           2
        .value_kind:     hidden_group_size_y
      - .offset:         160
        .size:           2
        .value_kind:     hidden_group_size_z
      - .offset:         162
        .size:           2
        .value_kind:     hidden_remainder_x
      - .offset:         164
        .size:           2
        .value_kind:     hidden_remainder_y
      - .offset:         166
        .size:           2
        .value_kind:     hidden_remainder_z
      - .offset:         184
        .size:           8
        .value_kind:     hidden_global_offset_x
      - .offset:         192
        .size:           8
        .value_kind:     hidden_global_offset_y
      - .offset:         200
        .size:           8
        .value_kind:     hidden_global_offset_z
      - .offset:         208
        .size:           2
        .value_kind:     hidden_grid_dims
    .group_segment_fixed_size: 2720
    .kernarg_segment_align: 8
    .kernarg_segment_size: 400
    .language:       OpenCL C
    .language_version:
      - 2
      - 0
    .max_flat_workgroup_size: 256
    .name:           _Z38paged_attention_ll4mi_QKV_mfma4_kernelI14__hip_bfloat16hLN4vllm18Fp8KVCacheDataTypeE1ES0_Li32ELi64ELi256ELb1ELi4EEvPKT_PKT0_S8_ifPKiSA_SA_iPKfiiiPfSD_PS3_PT2_iSC_SC_
    .private_segment_fixed_size: 0
    .sgpr_count:     51
    .sgpr_spill_count: 0
    .symbol:         _Z38paged_attention_ll4mi_QKV_mfma4_kernelI14__hip_bfloat16hLN4vllm18Fp8KVCacheDataTypeE1ES0_Li32ELi64ELi256ELb1ELi4EEvPKT_PKT0_S8_ifPKiSA_SA_iPKfiiiPfSD_PS3_PT2_iSC_SC_.kd
    .uniform_work_group_size: 1
    .uses_dynamic_stack: false
    .vgpr_count:     88
    .vgpr_spill_count: 0
    .wavefront_size: 64
  - .agpr_count:     0
    .args:
      - .actual_access:  read_only
        .address_space:  global
        .offset:         0
        .size:           8
        .value_kind:     global_buffer
      - .actual_access:  read_only
        .address_space:  global
        .offset:         8
        .size:           8
        .value_kind:     global_buffer
      - .actual_access:  read_only
        .address_space:  global
        .offset:         16
        .size:           8
        .value_kind:     global_buffer
      - .offset:         24
        .size:           4
        .value_kind:     by_value
      - .offset:         28
        .size:           4
        .value_kind:     by_value
      - .actual_access:  read_only
        .address_space:  global
        .offset:         32
        .size:           8
        .value_kind:     global_buffer
      - .actual_access:  read_only
        .address_space:  global
        .offset:         40
        .size:           8
        .value_kind:     global_buffer
      - .actual_access:  read_only
        .address_space:  global
        .offset:         48
        .size:           8
        .value_kind:     global_buffer
      - .offset:         56
        .size:           4
        .value_kind:     by_value
      - .actual_access:  read_only
        .address_space:  global
        .offset:         64
        .size:           8
        .value_kind:     global_buffer
      - .offset:         72
        .size:           4
        .value_kind:     by_value
      - .offset:         76
        .size:           4
        .value_kind:     by_value
      - .offset:         80
        .size:           4
        .value_kind:     by_value
      - .actual_access:  write_only
        .address_space:  global
        .offset:         88
        .size:           8
        .value_kind:     global_buffer
      - .actual_access:  write_only
        .address_space:  global
        .offset:         96
        .size:           8
        .value_kind:     global_buffer
      - .actual_access:  write_only
        .address_space:  global
        .offset:         104
        .size:           8
        .value_kind:     global_buffer
      - .actual_access:  read_only
        .address_space:  global
        .offset:         112
        .size:           8
        .value_kind:     global_buffer
      - .offset:         120
        .size:           4
        .value_kind:     by_value
      - .address_space:  global
        .offset:         128
        .size:           8
        .value_kind:     global_buffer
      - .address_space:  global
        .offset:         136
        .size:           8
        .value_kind:     global_buffer
      - .offset:         144
        .size:           4
        .value_kind:     hidden_block_count_x
      - .offset:         148
        .size:           4
        .value_kind:     hidden_block_count_y
      - .offset:         152
        .size:           4
        .value_kind:     hidden_block_count_z
      - .offset:         156
        .size:           2
        .value_kind:     hidden_group_size_x
      - .offset:         158
        .size:           2
        .value_kind:     hidden_group_size_y
      - .offset:         160
        .size:           2
        .value_kind:     hidden_group_size_z
      - .offset:         162
        .size:           2
        .value_kind:     hidden_remainder_x
      - .offset:         164
        .size:           2
        .value_kind:     hidden_remainder_y
      - .offset:         166
        .size:           2
        .value_kind:     hidden_remainder_z
      - .offset:         184
        .size:           8
        .value_kind:     hidden_global_offset_x
      - .offset:         192
        .size:           8
        .value_kind:     hidden_global_offset_y
      - .offset:         200
        .size:           8
        .value_kind:     hidden_global_offset_z
      - .offset:         208
        .size:           2
        .value_kind:     hidden_grid_dims
    .group_segment_fixed_size: 8192
    .kernarg_segment_align: 8
    .kernarg_segment_size: 400
    .language:       OpenCL C
    .language_version:
      - 2
      - 0
    .max_flat_workgroup_size: 256
    .name:           _Z39paged_attention_ll4mi_QKV_mfma16_kernelI14__hip_bfloat16hLN4vllm18Fp8KVCacheDataTypeE1ES0_Li32ELi64ELi256ELb1ELi5EEvPKT_PKT0_S8_ifPKiSA_SA_iPKfiiiPfSD_PS3_PT2_iSC_SC_
    .private_segment_fixed_size: 0
    .sgpr_count:     56
    .sgpr_spill_count: 0
    .symbol:         _Z39paged_attention_ll4mi_QKV_mfma16_kernelI14__hip_bfloat16hLN4vllm18Fp8KVCacheDataTypeE1ES0_Li32ELi64ELi256ELb1ELi5EEvPKT_PKT0_S8_ifPKiSA_SA_iPKfiiiPfSD_PS3_PT2_iSC_SC_.kd
    .uniform_work_group_size: 1
    .uses_dynamic_stack: false
    .vgpr_count:     71
    .vgpr_spill_count: 0
    .wavefront_size: 64
  - .agpr_count:     0
    .args:
      - .actual_access:  read_only
        .address_space:  global
        .offset:         0
        .size:           8
        .value_kind:     global_buffer
      - .actual_access:  read_only
        .address_space:  global
        .offset:         8
        .size:           8
        .value_kind:     global_buffer
      - .actual_access:  read_only
        .address_space:  global
        .offset:         16
        .size:           8
        .value_kind:     global_buffer
      - .offset:         24
        .size:           4
        .value_kind:     by_value
      - .offset:         28
        .size:           4
        .value_kind:     by_value
      - .actual_access:  read_only
        .address_space:  global
        .offset:         32
        .size:           8
        .value_kind:     global_buffer
      - .actual_access:  read_only
        .address_space:  global
        .offset:         40
        .size:           8
        .value_kind:     global_buffer
      - .actual_access:  read_only
        .address_space:  global
        .offset:         48
        .size:           8
        .value_kind:     global_buffer
      - .offset:         56
        .size:           4
        .value_kind:     by_value
      - .actual_access:  read_only
        .address_space:  global
        .offset:         64
        .size:           8
        .value_kind:     global_buffer
      - .offset:         72
        .size:           4
        .value_kind:     by_value
      - .offset:         76
        .size:           4
        .value_kind:     by_value
      - .offset:         80
        .size:           4
        .value_kind:     by_value
      - .actual_access:  write_only
        .address_space:  global
        .offset:         88
        .size:           8
        .value_kind:     global_buffer
      - .actual_access:  write_only
        .address_space:  global
        .offset:         96
        .size:           8
        .value_kind:     global_buffer
      - .actual_access:  write_only
        .address_space:  global
        .offset:         104
        .size:           8
        .value_kind:     global_buffer
      - .actual_access:  read_only
        .address_space:  global
        .offset:         112
        .size:           8
        .value_kind:     global_buffer
      - .offset:         120
        .size:           4
        .value_kind:     by_value
      - .address_space:  global
        .offset:         128
        .size:           8
        .value_kind:     global_buffer
      - .address_space:  global
        .offset:         136
        .size:           8
        .value_kind:     global_buffer
      - .offset:         144
        .size:           4
        .value_kind:     hidden_block_count_x
      - .offset:         148
        .size:           4
        .value_kind:     hidden_block_count_y
      - .offset:         152
        .size:           4
        .value_kind:     hidden_block_count_z
      - .offset:         156
        .size:           2
        .value_kind:     hidden_group_size_x
      - .offset:         158
        .size:           2
        .value_kind:     hidden_group_size_y
      - .offset:         160
        .size:           2
        .value_kind:     hidden_group_size_z
      - .offset:         162
        .size:           2
        .value_kind:     hidden_remainder_x
      - .offset:         164
        .size:           2
        .value_kind:     hidden_remainder_y
      - .offset:         166
        .size:           2
        .value_kind:     hidden_remainder_z
      - .offset:         184
        .size:           8
        .value_kind:     hidden_global_offset_x
      - .offset:         192
        .size:           8
        .value_kind:     hidden_global_offset_y
      - .offset:         200
        .size:           8
        .value_kind:     hidden_global_offset_z
      - .offset:         208
        .size:           2
        .value_kind:     hidden_grid_dims
    .group_segment_fixed_size: 8192
    .kernarg_segment_align: 8
    .kernarg_segment_size: 400
    .language:       OpenCL C
    .language_version:
      - 2
      - 0
    .max_flat_workgroup_size: 256
    .name:           _Z39paged_attention_ll4mi_QKV_mfma16_kernelI14__hip_bfloat16hLN4vllm18Fp8KVCacheDataTypeE1ES0_Li32ELi64ELi256ELb1ELi6EEvPKT_PKT0_S8_ifPKiSA_SA_iPKfiiiPfSD_PS3_PT2_iSC_SC_
    .private_segment_fixed_size: 0
    .sgpr_count:     56
    .sgpr_spill_count: 0
    .symbol:         _Z39paged_attention_ll4mi_QKV_mfma16_kernelI14__hip_bfloat16hLN4vllm18Fp8KVCacheDataTypeE1ES0_Li32ELi64ELi256ELb1ELi6EEvPKT_PKT0_S8_ifPKiSA_SA_iPKfiiiPfSD_PS3_PT2_iSC_SC_.kd
    .uniform_work_group_size: 1
    .uses_dynamic_stack: false
    .vgpr_count:     71
    .vgpr_spill_count: 0
    .wavefront_size: 64
  - .agpr_count:     0
    .args:
      - .actual_access:  read_only
        .address_space:  global
        .offset:         0
        .size:           8
        .value_kind:     global_buffer
      - .actual_access:  read_only
        .address_space:  global
        .offset:         8
        .size:           8
        .value_kind:     global_buffer
      - .actual_access:  read_only
        .address_space:  global
        .offset:         16
        .size:           8
        .value_kind:     global_buffer
      - .offset:         24
        .size:           4
        .value_kind:     by_value
      - .offset:         28
        .size:           4
        .value_kind:     by_value
      - .actual_access:  read_only
        .address_space:  global
        .offset:         32
        .size:           8
        .value_kind:     global_buffer
      - .actual_access:  read_only
        .address_space:  global
        .offset:         40
        .size:           8
        .value_kind:     global_buffer
      - .actual_access:  read_only
        .address_space:  global
        .offset:         48
        .size:           8
        .value_kind:     global_buffer
      - .offset:         56
        .size:           4
        .value_kind:     by_value
      - .actual_access:  read_only
        .address_space:  global
        .offset:         64
        .size:           8
        .value_kind:     global_buffer
      - .offset:         72
        .size:           4
        .value_kind:     by_value
      - .offset:         76
        .size:           4
        .value_kind:     by_value
      - .offset:         80
        .size:           4
        .value_kind:     by_value
      - .actual_access:  write_only
        .address_space:  global
        .offset:         88
        .size:           8
        .value_kind:     global_buffer
      - .actual_access:  write_only
        .address_space:  global
        .offset:         96
        .size:           8
        .value_kind:     global_buffer
      - .actual_access:  write_only
        .address_space:  global
        .offset:         104
        .size:           8
        .value_kind:     global_buffer
      - .actual_access:  read_only
        .address_space:  global
        .offset:         112
        .size:           8
        .value_kind:     global_buffer
      - .offset:         120
        .size:           4
        .value_kind:     by_value
      - .address_space:  global
        .offset:         128
        .size:           8
        .value_kind:     global_buffer
      - .address_space:  global
        .offset:         136
        .size:           8
        .value_kind:     global_buffer
      - .offset:         144
        .size:           4
        .value_kind:     hidden_block_count_x
      - .offset:         148
        .size:           4
        .value_kind:     hidden_block_count_y
      - .offset:         152
        .size:           4
        .value_kind:     hidden_block_count_z
      - .offset:         156
        .size:           2
        .value_kind:     hidden_group_size_x
      - .offset:         158
        .size:           2
        .value_kind:     hidden_group_size_y
      - .offset:         160
        .size:           2
        .value_kind:     hidden_group_size_z
      - .offset:         162
        .size:           2
        .value_kind:     hidden_remainder_x
      - .offset:         164
        .size:           2
        .value_kind:     hidden_remainder_y
      - .offset:         166
        .size:           2
        .value_kind:     hidden_remainder_z
      - .offset:         184
        .size:           8
        .value_kind:     hidden_global_offset_x
      - .offset:         192
        .size:           8
        .value_kind:     hidden_global_offset_y
      - .offset:         200
        .size:           8
        .value_kind:     hidden_global_offset_z
      - .offset:         208
        .size:           2
        .value_kind:     hidden_grid_dims
    .group_segment_fixed_size: 8192
    .kernarg_segment_align: 8
    .kernarg_segment_size: 400
    .language:       OpenCL C
    .language_version:
      - 2
      - 0
    .max_flat_workgroup_size: 256
    .name:           _Z39paged_attention_ll4mi_QKV_mfma16_kernelI14__hip_bfloat16hLN4vllm18Fp8KVCacheDataTypeE1ES0_Li32ELi64ELi256ELb1ELi7EEvPKT_PKT0_S8_ifPKiSA_SA_iPKfiiiPfSD_PS3_PT2_iSC_SC_
    .private_segment_fixed_size: 0
    .sgpr_count:     56
    .sgpr_spill_count: 0
    .symbol:         _Z39paged_attention_ll4mi_QKV_mfma16_kernelI14__hip_bfloat16hLN4vllm18Fp8KVCacheDataTypeE1ES0_Li32ELi64ELi256ELb1ELi7EEvPKT_PKT0_S8_ifPKiSA_SA_iPKfiiiPfSD_PS3_PT2_iSC_SC_.kd
    .uniform_work_group_size: 1
    .uses_dynamic_stack: false
    .vgpr_count:     71
    .vgpr_spill_count: 0
    .wavefront_size: 64
  - .agpr_count:     0
    .args:
      - .actual_access:  read_only
        .address_space:  global
        .offset:         0
        .size:           8
        .value_kind:     global_buffer
      - .actual_access:  read_only
        .address_space:  global
        .offset:         8
        .size:           8
        .value_kind:     global_buffer
      - .actual_access:  read_only
        .address_space:  global
        .offset:         16
        .size:           8
        .value_kind:     global_buffer
      - .offset:         24
        .size:           4
        .value_kind:     by_value
      - .offset:         28
        .size:           4
        .value_kind:     by_value
      - .actual_access:  read_only
        .address_space:  global
        .offset:         32
        .size:           8
        .value_kind:     global_buffer
      - .actual_access:  read_only
        .address_space:  global
        .offset:         40
        .size:           8
        .value_kind:     global_buffer
      - .actual_access:  read_only
        .address_space:  global
        .offset:         48
        .size:           8
        .value_kind:     global_buffer
      - .offset:         56
        .size:           4
        .value_kind:     by_value
      - .actual_access:  read_only
        .address_space:  global
        .offset:         64
        .size:           8
        .value_kind:     global_buffer
      - .offset:         72
        .size:           4
        .value_kind:     by_value
      - .offset:         76
        .size:           4
        .value_kind:     by_value
      - .offset:         80
        .size:           4
        .value_kind:     by_value
      - .actual_access:  write_only
        .address_space:  global
        .offset:         88
        .size:           8
        .value_kind:     global_buffer
      - .actual_access:  write_only
        .address_space:  global
        .offset:         96
        .size:           8
        .value_kind:     global_buffer
      - .actual_access:  write_only
        .address_space:  global
        .offset:         104
        .size:           8
        .value_kind:     global_buffer
      - .actual_access:  read_only
        .address_space:  global
        .offset:         112
        .size:           8
        .value_kind:     global_buffer
      - .offset:         120
        .size:           4
        .value_kind:     by_value
      - .address_space:  global
        .offset:         128
        .size:           8
        .value_kind:     global_buffer
      - .address_space:  global
        .offset:         136
        .size:           8
        .value_kind:     global_buffer
      - .offset:         144
        .size:           4
        .value_kind:     hidden_block_count_x
      - .offset:         148
        .size:           4
        .value_kind:     hidden_block_count_y
      - .offset:         152
        .size:           4
        .value_kind:     hidden_block_count_z
      - .offset:         156
        .size:           2
        .value_kind:     hidden_group_size_x
      - .offset:         158
        .size:           2
        .value_kind:     hidden_group_size_y
      - .offset:         160
        .size:           2
        .value_kind:     hidden_group_size_z
      - .offset:         162
        .size:           2
        .value_kind:     hidden_remainder_x
      - .offset:         164
        .size:           2
        .value_kind:     hidden_remainder_y
      - .offset:         166
        .size:           2
        .value_kind:     hidden_remainder_z
      - .offset:         184
        .size:           8
        .value_kind:     hidden_global_offset_x
      - .offset:         192
        .size:           8
        .value_kind:     hidden_global_offset_y
      - .offset:         200
        .size:           8
        .value_kind:     hidden_global_offset_z
      - .offset:         208
        .size:           2
        .value_kind:     hidden_grid_dims
    .group_segment_fixed_size: 8192
    .kernarg_segment_align: 8
    .kernarg_segment_size: 400
    .language:       OpenCL C
    .language_version:
      - 2
      - 0
    .max_flat_workgroup_size: 256
    .name:           _Z39paged_attention_ll4mi_QKV_mfma16_kernelI14__hip_bfloat16hLN4vllm18Fp8KVCacheDataTypeE1ES0_Li32ELi64ELi256ELb1ELi8EEvPKT_PKT0_S8_ifPKiSA_SA_iPKfiiiPfSD_PS3_PT2_iSC_SC_
    .private_segment_fixed_size: 0
    .sgpr_count:     54
    .sgpr_spill_count: 0
    .symbol:         _Z39paged_attention_ll4mi_QKV_mfma16_kernelI14__hip_bfloat16hLN4vllm18Fp8KVCacheDataTypeE1ES0_Li32ELi64ELi256ELb1ELi8EEvPKT_PKT0_S8_ifPKiSA_SA_iPKfiiiPfSD_PS3_PT2_iSC_SC_.kd
    .uniform_work_group_size: 1
    .uses_dynamic_stack: false
    .vgpr_count:     73
    .vgpr_spill_count: 0
    .wavefront_size: 64
  - .agpr_count:     0
    .args:
      - .actual_access:  read_only
        .address_space:  global
        .offset:         0
        .size:           8
        .value_kind:     global_buffer
      - .actual_access:  read_only
        .address_space:  global
        .offset:         8
        .size:           8
        .value_kind:     global_buffer
      - .actual_access:  read_only
        .address_space:  global
        .offset:         16
        .size:           8
        .value_kind:     global_buffer
      - .offset:         24
        .size:           4
        .value_kind:     by_value
      - .offset:         28
        .size:           4
        .value_kind:     by_value
      - .actual_access:  read_only
        .address_space:  global
        .offset:         32
        .size:           8
        .value_kind:     global_buffer
      - .actual_access:  read_only
        .address_space:  global
        .offset:         40
        .size:           8
        .value_kind:     global_buffer
      - .actual_access:  read_only
        .address_space:  global
        .offset:         48
        .size:           8
        .value_kind:     global_buffer
      - .offset:         56
        .size:           4
        .value_kind:     by_value
      - .actual_access:  read_only
        .address_space:  global
        .offset:         64
        .size:           8
        .value_kind:     global_buffer
      - .offset:         72
        .size:           4
        .value_kind:     by_value
      - .offset:         76
        .size:           4
        .value_kind:     by_value
      - .offset:         80
        .size:           4
        .value_kind:     by_value
      - .actual_access:  write_only
        .address_space:  global
        .offset:         88
        .size:           8
        .value_kind:     global_buffer
      - .actual_access:  write_only
        .address_space:  global
        .offset:         96
        .size:           8
        .value_kind:     global_buffer
      - .actual_access:  write_only
        .address_space:  global
        .offset:         104
        .size:           8
        .value_kind:     global_buffer
      - .actual_access:  read_only
        .address_space:  global
        .offset:         112
        .size:           8
        .value_kind:     global_buffer
      - .offset:         120
        .size:           4
        .value_kind:     by_value
      - .address_space:  global
        .offset:         128
        .size:           8
        .value_kind:     global_buffer
      - .address_space:  global
        .offset:         136
        .size:           8
        .value_kind:     global_buffer
      - .offset:         144
        .size:           4
        .value_kind:     hidden_block_count_x
      - .offset:         148
        .size:           4
        .value_kind:     hidden_block_count_y
      - .offset:         152
        .size:           4
        .value_kind:     hidden_block_count_z
      - .offset:         156
        .size:           2
        .value_kind:     hidden_group_size_x
      - .offset:         158
        .size:           2
        .value_kind:     hidden_group_size_y
      - .offset:         160
        .size:           2
        .value_kind:     hidden_group_size_z
      - .offset:         162
        .size:           2
        .value_kind:     hidden_remainder_x
      - .offset:         164
        .size:           2
        .value_kind:     hidden_remainder_y
      - .offset:         166
        .size:           2
        .value_kind:     hidden_remainder_z
      - .offset:         184
        .size:           8
        .value_kind:     hidden_global_offset_x
      - .offset:         192
        .size:           8
        .value_kind:     hidden_global_offset_y
      - .offset:         200
        .size:           8
        .value_kind:     hidden_global_offset_z
      - .offset:         208
        .size:           2
        .value_kind:     hidden_grid_dims
    .group_segment_fixed_size: 8192
    .kernarg_segment_align: 8
    .kernarg_segment_size: 400
    .language:       OpenCL C
    .language_version:
      - 2
      - 0
    .max_flat_workgroup_size: 256
    .name:           _Z39paged_attention_ll4mi_QKV_mfma16_kernelI14__hip_bfloat16hLN4vllm18Fp8KVCacheDataTypeE1ES0_Li32ELi64ELi256ELb1ELi9EEvPKT_PKT0_S8_ifPKiSA_SA_iPKfiiiPfSD_PS3_PT2_iSC_SC_
    .private_segment_fixed_size: 0
    .sgpr_count:     56
    .sgpr_spill_count: 0
    .symbol:         _Z39paged_attention_ll4mi_QKV_mfma16_kernelI14__hip_bfloat16hLN4vllm18Fp8KVCacheDataTypeE1ES0_Li32ELi64ELi256ELb1ELi9EEvPKT_PKT0_S8_ifPKiSA_SA_iPKfiiiPfSD_PS3_PT2_iSC_SC_.kd
    .uniform_work_group_size: 1
    .uses_dynamic_stack: false
    .vgpr_count:     71
    .vgpr_spill_count: 0
    .wavefront_size: 64
  - .agpr_count:     0
    .args:
      - .actual_access:  read_only
        .address_space:  global
        .offset:         0
        .size:           8
        .value_kind:     global_buffer
      - .actual_access:  read_only
        .address_space:  global
        .offset:         8
        .size:           8
        .value_kind:     global_buffer
      - .actual_access:  read_only
        .address_space:  global
        .offset:         16
        .size:           8
        .value_kind:     global_buffer
      - .offset:         24
        .size:           4
        .value_kind:     by_value
      - .offset:         28
        .size:           4
        .value_kind:     by_value
      - .actual_access:  read_only
        .address_space:  global
        .offset:         32
        .size:           8
        .value_kind:     global_buffer
      - .actual_access:  read_only
        .address_space:  global
        .offset:         40
        .size:           8
        .value_kind:     global_buffer
      - .actual_access:  read_only
        .address_space:  global
        .offset:         48
        .size:           8
        .value_kind:     global_buffer
      - .offset:         56
        .size:           4
        .value_kind:     by_value
      - .actual_access:  read_only
        .address_space:  global
        .offset:         64
        .size:           8
        .value_kind:     global_buffer
      - .offset:         72
        .size:           4
        .value_kind:     by_value
      - .offset:         76
        .size:           4
        .value_kind:     by_value
      - .offset:         80
        .size:           4
        .value_kind:     by_value
      - .actual_access:  write_only
        .address_space:  global
        .offset:         88
        .size:           8
        .value_kind:     global_buffer
      - .actual_access:  write_only
        .address_space:  global
        .offset:         96
        .size:           8
        .value_kind:     global_buffer
      - .actual_access:  write_only
        .address_space:  global
        .offset:         104
        .size:           8
        .value_kind:     global_buffer
      - .actual_access:  read_only
        .address_space:  global
        .offset:         112
        .size:           8
        .value_kind:     global_buffer
      - .offset:         120
        .size:           4
        .value_kind:     by_value
      - .address_space:  global
        .offset:         128
        .size:           8
        .value_kind:     global_buffer
      - .address_space:  global
        .offset:         136
        .size:           8
        .value_kind:     global_buffer
      - .offset:         144
        .size:           4
        .value_kind:     hidden_block_count_x
      - .offset:         148
        .size:           4
        .value_kind:     hidden_block_count_y
      - .offset:         152
        .size:           4
        .value_kind:     hidden_block_count_z
      - .offset:         156
        .size:           2
        .value_kind:     hidden_group_size_x
      - .offset:         158
        .size:           2
        .value_kind:     hidden_group_size_y
      - .offset:         160
        .size:           2
        .value_kind:     hidden_group_size_z
      - .offset:         162
        .size:           2
        .value_kind:     hidden_remainder_x
      - .offset:         164
        .size:           2
        .value_kind:     hidden_remainder_y
      - .offset:         166
        .size:           2
        .value_kind:     hidden_remainder_z
      - .offset:         184
        .size:           8
        .value_kind:     hidden_global_offset_x
      - .offset:         192
        .size:           8
        .value_kind:     hidden_global_offset_y
      - .offset:         200
        .size:           8
        .value_kind:     hidden_global_offset_z
      - .offset:         208
        .size:           2
        .value_kind:     hidden_grid_dims
    .group_segment_fixed_size: 8192
    .kernarg_segment_align: 8
    .kernarg_segment_size: 400
    .language:       OpenCL C
    .language_version:
      - 2
      - 0
    .max_flat_workgroup_size: 256
    .name:           _Z39paged_attention_ll4mi_QKV_mfma16_kernelI14__hip_bfloat16hLN4vllm18Fp8KVCacheDataTypeE1ES0_Li32ELi64ELi256ELb1ELi10EEvPKT_PKT0_S8_ifPKiSA_SA_iPKfiiiPfSD_PS3_PT2_iSC_SC_
    .private_segment_fixed_size: 0
    .sgpr_count:     56
    .sgpr_spill_count: 0
    .symbol:         _Z39paged_attention_ll4mi_QKV_mfma16_kernelI14__hip_bfloat16hLN4vllm18Fp8KVCacheDataTypeE1ES0_Li32ELi64ELi256ELb1ELi10EEvPKT_PKT0_S8_ifPKiSA_SA_iPKfiiiPfSD_PS3_PT2_iSC_SC_.kd
    .uniform_work_group_size: 1
    .uses_dynamic_stack: false
    .vgpr_count:     71
    .vgpr_spill_count: 0
    .wavefront_size: 64
  - .agpr_count:     0
    .args:
      - .actual_access:  read_only
        .address_space:  global
        .offset:         0
        .size:           8
        .value_kind:     global_buffer
      - .actual_access:  read_only
        .address_space:  global
        .offset:         8
        .size:           8
        .value_kind:     global_buffer
      - .actual_access:  read_only
        .address_space:  global
        .offset:         16
        .size:           8
        .value_kind:     global_buffer
      - .offset:         24
        .size:           4
        .value_kind:     by_value
      - .offset:         28
        .size:           4
        .value_kind:     by_value
      - .actual_access:  read_only
        .address_space:  global
        .offset:         32
        .size:           8
        .value_kind:     global_buffer
      - .actual_access:  read_only
        .address_space:  global
        .offset:         40
        .size:           8
        .value_kind:     global_buffer
      - .actual_access:  read_only
        .address_space:  global
        .offset:         48
        .size:           8
        .value_kind:     global_buffer
      - .offset:         56
        .size:           4
        .value_kind:     by_value
      - .actual_access:  read_only
        .address_space:  global
        .offset:         64
        .size:           8
        .value_kind:     global_buffer
      - .offset:         72
        .size:           4
        .value_kind:     by_value
      - .offset:         76
        .size:           4
        .value_kind:     by_value
      - .offset:         80
        .size:           4
        .value_kind:     by_value
      - .actual_access:  write_only
        .address_space:  global
        .offset:         88
        .size:           8
        .value_kind:     global_buffer
      - .actual_access:  write_only
        .address_space:  global
        .offset:         96
        .size:           8
        .value_kind:     global_buffer
      - .actual_access:  write_only
        .address_space:  global
        .offset:         104
        .size:           8
        .value_kind:     global_buffer
      - .actual_access:  read_only
        .address_space:  global
        .offset:         112
        .size:           8
        .value_kind:     global_buffer
      - .offset:         120
        .size:           4
        .value_kind:     by_value
      - .address_space:  global
        .offset:         128
        .size:           8
        .value_kind:     global_buffer
      - .address_space:  global
        .offset:         136
        .size:           8
        .value_kind:     global_buffer
      - .offset:         144
        .size:           4
        .value_kind:     hidden_block_count_x
      - .offset:         148
        .size:           4
        .value_kind:     hidden_block_count_y
      - .offset:         152
        .size:           4
        .value_kind:     hidden_block_count_z
      - .offset:         156
        .size:           2
        .value_kind:     hidden_group_size_x
      - .offset:         158
        .size:           2
        .value_kind:     hidden_group_size_y
      - .offset:         160
        .size:           2
        .value_kind:     hidden_group_size_z
      - .offset:         162
        .size:           2
        .value_kind:     hidden_remainder_x
      - .offset:         164
        .size:           2
        .value_kind:     hidden_remainder_y
      - .offset:         166
        .size:           2
        .value_kind:     hidden_remainder_z
      - .offset:         184
        .size:           8
        .value_kind:     hidden_global_offset_x
      - .offset:         192
        .size:           8
        .value_kind:     hidden_global_offset_y
      - .offset:         200
        .size:           8
        .value_kind:     hidden_global_offset_z
      - .offset:         208
        .size:           2
        .value_kind:     hidden_grid_dims
    .group_segment_fixed_size: 8192
    .kernarg_segment_align: 8
    .kernarg_segment_size: 400
    .language:       OpenCL C
    .language_version:
      - 2
      - 0
    .max_flat_workgroup_size: 256
    .name:           _Z39paged_attention_ll4mi_QKV_mfma16_kernelI14__hip_bfloat16hLN4vllm18Fp8KVCacheDataTypeE1ES0_Li32ELi64ELi256ELb1ELi11EEvPKT_PKT0_S8_ifPKiSA_SA_iPKfiiiPfSD_PS3_PT2_iSC_SC_
    .private_segment_fixed_size: 0
    .sgpr_count:     56
    .sgpr_spill_count: 0
    .symbol:         _Z39paged_attention_ll4mi_QKV_mfma16_kernelI14__hip_bfloat16hLN4vllm18Fp8KVCacheDataTypeE1ES0_Li32ELi64ELi256ELb1ELi11EEvPKT_PKT0_S8_ifPKiSA_SA_iPKfiiiPfSD_PS3_PT2_iSC_SC_.kd
    .uniform_work_group_size: 1
    .uses_dynamic_stack: false
    .vgpr_count:     71
    .vgpr_spill_count: 0
    .wavefront_size: 64
  - .agpr_count:     0
    .args:
      - .actual_access:  read_only
        .address_space:  global
        .offset:         0
        .size:           8
        .value_kind:     global_buffer
      - .actual_access:  read_only
        .address_space:  global
        .offset:         8
        .size:           8
        .value_kind:     global_buffer
      - .actual_access:  read_only
        .address_space:  global
        .offset:         16
        .size:           8
        .value_kind:     global_buffer
      - .offset:         24
        .size:           4
        .value_kind:     by_value
      - .offset:         28
        .size:           4
        .value_kind:     by_value
      - .actual_access:  read_only
        .address_space:  global
        .offset:         32
        .size:           8
        .value_kind:     global_buffer
      - .actual_access:  read_only
        .address_space:  global
        .offset:         40
        .size:           8
        .value_kind:     global_buffer
      - .actual_access:  read_only
        .address_space:  global
        .offset:         48
        .size:           8
        .value_kind:     global_buffer
      - .offset:         56
        .size:           4
        .value_kind:     by_value
      - .actual_access:  read_only
        .address_space:  global
        .offset:         64
        .size:           8
        .value_kind:     global_buffer
      - .offset:         72
        .size:           4
        .value_kind:     by_value
      - .offset:         76
        .size:           4
        .value_kind:     by_value
      - .offset:         80
        .size:           4
        .value_kind:     by_value
      - .actual_access:  write_only
        .address_space:  global
        .offset:         88
        .size:           8
        .value_kind:     global_buffer
      - .actual_access:  write_only
        .address_space:  global
        .offset:         96
        .size:           8
        .value_kind:     global_buffer
      - .actual_access:  write_only
        .address_space:  global
        .offset:         104
        .size:           8
        .value_kind:     global_buffer
      - .actual_access:  read_only
        .address_space:  global
        .offset:         112
        .size:           8
        .value_kind:     global_buffer
      - .offset:         120
        .size:           4
        .value_kind:     by_value
      - .address_space:  global
        .offset:         128
        .size:           8
        .value_kind:     global_buffer
      - .address_space:  global
        .offset:         136
        .size:           8
        .value_kind:     global_buffer
      - .offset:         144
        .size:           4
        .value_kind:     hidden_block_count_x
      - .offset:         148
        .size:           4
        .value_kind:     hidden_block_count_y
      - .offset:         152
        .size:           4
        .value_kind:     hidden_block_count_z
      - .offset:         156
        .size:           2
        .value_kind:     hidden_group_size_x
      - .offset:         158
        .size:           2
        .value_kind:     hidden_group_size_y
      - .offset:         160
        .size:           2
        .value_kind:     hidden_group_size_z
      - .offset:         162
        .size:           2
        .value_kind:     hidden_remainder_x
      - .offset:         164
        .size:           2
        .value_kind:     hidden_remainder_y
      - .offset:         166
        .size:           2
        .value_kind:     hidden_remainder_z
      - .offset:         184
        .size:           8
        .value_kind:     hidden_global_offset_x
      - .offset:         192
        .size:           8
        .value_kind:     hidden_global_offset_y
      - .offset:         200
        .size:           8
        .value_kind:     hidden_global_offset_z
      - .offset:         208
        .size:           2
        .value_kind:     hidden_grid_dims
    .group_segment_fixed_size: 8192
    .kernarg_segment_align: 8
    .kernarg_segment_size: 400
    .language:       OpenCL C
    .language_version:
      - 2
      - 0
    .max_flat_workgroup_size: 256
    .name:           _Z39paged_attention_ll4mi_QKV_mfma16_kernelI14__hip_bfloat16hLN4vllm18Fp8KVCacheDataTypeE1ES0_Li32ELi64ELi256ELb1ELi12EEvPKT_PKT0_S8_ifPKiSA_SA_iPKfiiiPfSD_PS3_PT2_iSC_SC_
    .private_segment_fixed_size: 0
    .sgpr_count:     56
    .sgpr_spill_count: 0
    .symbol:         _Z39paged_attention_ll4mi_QKV_mfma16_kernelI14__hip_bfloat16hLN4vllm18Fp8KVCacheDataTypeE1ES0_Li32ELi64ELi256ELb1ELi12EEvPKT_PKT0_S8_ifPKiSA_SA_iPKfiiiPfSD_PS3_PT2_iSC_SC_.kd
    .uniform_work_group_size: 1
    .uses_dynamic_stack: false
    .vgpr_count:     71
    .vgpr_spill_count: 0
    .wavefront_size: 64
  - .agpr_count:     0
    .args:
      - .actual_access:  read_only
        .address_space:  global
        .offset:         0
        .size:           8
        .value_kind:     global_buffer
      - .actual_access:  read_only
        .address_space:  global
        .offset:         8
        .size:           8
        .value_kind:     global_buffer
      - .actual_access:  read_only
        .address_space:  global
        .offset:         16
        .size:           8
        .value_kind:     global_buffer
      - .offset:         24
        .size:           4
        .value_kind:     by_value
      - .offset:         28
        .size:           4
        .value_kind:     by_value
      - .actual_access:  read_only
        .address_space:  global
        .offset:         32
        .size:           8
        .value_kind:     global_buffer
      - .actual_access:  read_only
        .address_space:  global
        .offset:         40
        .size:           8
        .value_kind:     global_buffer
      - .actual_access:  read_only
        .address_space:  global
        .offset:         48
        .size:           8
        .value_kind:     global_buffer
      - .offset:         56
        .size:           4
        .value_kind:     by_value
      - .actual_access:  read_only
        .address_space:  global
        .offset:         64
        .size:           8
        .value_kind:     global_buffer
      - .offset:         72
        .size:           4
        .value_kind:     by_value
      - .offset:         76
        .size:           4
        .value_kind:     by_value
      - .offset:         80
        .size:           4
        .value_kind:     by_value
      - .actual_access:  write_only
        .address_space:  global
        .offset:         88
        .size:           8
        .value_kind:     global_buffer
      - .actual_access:  write_only
        .address_space:  global
        .offset:         96
        .size:           8
        .value_kind:     global_buffer
      - .actual_access:  write_only
        .address_space:  global
        .offset:         104
        .size:           8
        .value_kind:     global_buffer
      - .actual_access:  read_only
        .address_space:  global
        .offset:         112
        .size:           8
        .value_kind:     global_buffer
      - .offset:         120
        .size:           4
        .value_kind:     by_value
      - .address_space:  global
        .offset:         128
        .size:           8
        .value_kind:     global_buffer
      - .address_space:  global
        .offset:         136
        .size:           8
        .value_kind:     global_buffer
      - .offset:         144
        .size:           4
        .value_kind:     hidden_block_count_x
      - .offset:         148
        .size:           4
        .value_kind:     hidden_block_count_y
      - .offset:         152
        .size:           4
        .value_kind:     hidden_block_count_z
      - .offset:         156
        .size:           2
        .value_kind:     hidden_group_size_x
      - .offset:         158
        .size:           2
        .value_kind:     hidden_group_size_y
      - .offset:         160
        .size:           2
        .value_kind:     hidden_group_size_z
      - .offset:         162
        .size:           2
        .value_kind:     hidden_remainder_x
      - .offset:         164
        .size:           2
        .value_kind:     hidden_remainder_y
      - .offset:         166
        .size:           2
        .value_kind:     hidden_remainder_z
      - .offset:         184
        .size:           8
        .value_kind:     hidden_global_offset_x
      - .offset:         192
        .size:           8
        .value_kind:     hidden_global_offset_y
      - .offset:         200
        .size:           8
        .value_kind:     hidden_global_offset_z
      - .offset:         208
        .size:           2
        .value_kind:     hidden_grid_dims
    .group_segment_fixed_size: 8192
    .kernarg_segment_align: 8
    .kernarg_segment_size: 400
    .language:       OpenCL C
    .language_version:
      - 2
      - 0
    .max_flat_workgroup_size: 256
    .name:           _Z39paged_attention_ll4mi_QKV_mfma16_kernelI14__hip_bfloat16hLN4vllm18Fp8KVCacheDataTypeE1ES0_Li32ELi64ELi256ELb1ELi13EEvPKT_PKT0_S8_ifPKiSA_SA_iPKfiiiPfSD_PS3_PT2_iSC_SC_
    .private_segment_fixed_size: 0
    .sgpr_count:     56
    .sgpr_spill_count: 0
    .symbol:         _Z39paged_attention_ll4mi_QKV_mfma16_kernelI14__hip_bfloat16hLN4vllm18Fp8KVCacheDataTypeE1ES0_Li32ELi64ELi256ELb1ELi13EEvPKT_PKT0_S8_ifPKiSA_SA_iPKfiiiPfSD_PS3_PT2_iSC_SC_.kd
    .uniform_work_group_size: 1
    .uses_dynamic_stack: false
    .vgpr_count:     71
    .vgpr_spill_count: 0
    .wavefront_size: 64
  - .agpr_count:     0
    .args:
      - .actual_access:  read_only
        .address_space:  global
        .offset:         0
        .size:           8
        .value_kind:     global_buffer
      - .actual_access:  read_only
        .address_space:  global
        .offset:         8
        .size:           8
        .value_kind:     global_buffer
      - .actual_access:  read_only
        .address_space:  global
        .offset:         16
        .size:           8
        .value_kind:     global_buffer
      - .offset:         24
        .size:           4
        .value_kind:     by_value
      - .offset:         28
        .size:           4
        .value_kind:     by_value
      - .actual_access:  read_only
        .address_space:  global
        .offset:         32
        .size:           8
        .value_kind:     global_buffer
      - .actual_access:  read_only
        .address_space:  global
        .offset:         40
        .size:           8
        .value_kind:     global_buffer
      - .actual_access:  read_only
        .address_space:  global
        .offset:         48
        .size:           8
        .value_kind:     global_buffer
      - .offset:         56
        .size:           4
        .value_kind:     by_value
      - .actual_access:  read_only
        .address_space:  global
        .offset:         64
        .size:           8
        .value_kind:     global_buffer
      - .offset:         72
        .size:           4
        .value_kind:     by_value
      - .offset:         76
        .size:           4
        .value_kind:     by_value
      - .offset:         80
        .size:           4
        .value_kind:     by_value
      - .actual_access:  write_only
        .address_space:  global
        .offset:         88
        .size:           8
        .value_kind:     global_buffer
      - .actual_access:  write_only
        .address_space:  global
        .offset:         96
        .size:           8
        .value_kind:     global_buffer
      - .actual_access:  write_only
        .address_space:  global
        .offset:         104
        .size:           8
        .value_kind:     global_buffer
      - .actual_access:  read_only
        .address_space:  global
        .offset:         112
        .size:           8
        .value_kind:     global_buffer
      - .offset:         120
        .size:           4
        .value_kind:     by_value
      - .address_space:  global
        .offset:         128
        .size:           8
        .value_kind:     global_buffer
      - .address_space:  global
        .offset:         136
        .size:           8
        .value_kind:     global_buffer
      - .offset:         144
        .size:           4
        .value_kind:     hidden_block_count_x
      - .offset:         148
        .size:           4
        .value_kind:     hidden_block_count_y
      - .offset:         152
        .size:           4
        .value_kind:     hidden_block_count_z
      - .offset:         156
        .size:           2
        .value_kind:     hidden_group_size_x
      - .offset:         158
        .size:           2
        .value_kind:     hidden_group_size_y
      - .offset:         160
        .size:           2
        .value_kind:     hidden_group_size_z
      - .offset:         162
        .size:           2
        .value_kind:     hidden_remainder_x
      - .offset:         164
        .size:           2
        .value_kind:     hidden_remainder_y
      - .offset:         166
        .size:           2
        .value_kind:     hidden_remainder_z
      - .offset:         184
        .size:           8
        .value_kind:     hidden_global_offset_x
      - .offset:         192
        .size:           8
        .value_kind:     hidden_global_offset_y
      - .offset:         200
        .size:           8
        .value_kind:     hidden_global_offset_z
      - .offset:         208
        .size:           2
        .value_kind:     hidden_grid_dims
    .group_segment_fixed_size: 8192
    .kernarg_segment_align: 8
    .kernarg_segment_size: 400
    .language:       OpenCL C
    .language_version:
      - 2
      - 0
    .max_flat_workgroup_size: 256
    .name:           _Z39paged_attention_ll4mi_QKV_mfma16_kernelI14__hip_bfloat16hLN4vllm18Fp8KVCacheDataTypeE1ES0_Li32ELi64ELi256ELb1ELi14EEvPKT_PKT0_S8_ifPKiSA_SA_iPKfiiiPfSD_PS3_PT2_iSC_SC_
    .private_segment_fixed_size: 0
    .sgpr_count:     56
    .sgpr_spill_count: 0
    .symbol:         _Z39paged_attention_ll4mi_QKV_mfma16_kernelI14__hip_bfloat16hLN4vllm18Fp8KVCacheDataTypeE1ES0_Li32ELi64ELi256ELb1ELi14EEvPKT_PKT0_S8_ifPKiSA_SA_iPKfiiiPfSD_PS3_PT2_iSC_SC_.kd
    .uniform_work_group_size: 1
    .uses_dynamic_stack: false
    .vgpr_count:     71
    .vgpr_spill_count: 0
    .wavefront_size: 64
  - .agpr_count:     0
    .args:
      - .actual_access:  read_only
        .address_space:  global
        .offset:         0
        .size:           8
        .value_kind:     global_buffer
      - .actual_access:  read_only
        .address_space:  global
        .offset:         8
        .size:           8
        .value_kind:     global_buffer
      - .actual_access:  read_only
        .address_space:  global
        .offset:         16
        .size:           8
        .value_kind:     global_buffer
      - .offset:         24
        .size:           4
        .value_kind:     by_value
      - .offset:         28
        .size:           4
        .value_kind:     by_value
      - .actual_access:  read_only
        .address_space:  global
        .offset:         32
        .size:           8
        .value_kind:     global_buffer
      - .actual_access:  read_only
        .address_space:  global
        .offset:         40
        .size:           8
        .value_kind:     global_buffer
      - .actual_access:  read_only
        .address_space:  global
        .offset:         48
        .size:           8
        .value_kind:     global_buffer
      - .offset:         56
        .size:           4
        .value_kind:     by_value
      - .actual_access:  read_only
        .address_space:  global
        .offset:         64
        .size:           8
        .value_kind:     global_buffer
      - .offset:         72
        .size:           4
        .value_kind:     by_value
      - .offset:         76
        .size:           4
        .value_kind:     by_value
      - .offset:         80
        .size:           4
        .value_kind:     by_value
      - .actual_access:  write_only
        .address_space:  global
        .offset:         88
        .size:           8
        .value_kind:     global_buffer
      - .actual_access:  write_only
        .address_space:  global
        .offset:         96
        .size:           8
        .value_kind:     global_buffer
      - .actual_access:  write_only
        .address_space:  global
        .offset:         104
        .size:           8
        .value_kind:     global_buffer
      - .actual_access:  read_only
        .address_space:  global
        .offset:         112
        .size:           8
        .value_kind:     global_buffer
      - .offset:         120
        .size:           4
        .value_kind:     by_value
      - .address_space:  global
        .offset:         128
        .size:           8
        .value_kind:     global_buffer
      - .address_space:  global
        .offset:         136
        .size:           8
        .value_kind:     global_buffer
      - .offset:         144
        .size:           4
        .value_kind:     hidden_block_count_x
      - .offset:         148
        .size:           4
        .value_kind:     hidden_block_count_y
      - .offset:         152
        .size:           4
        .value_kind:     hidden_block_count_z
      - .offset:         156
        .size:           2
        .value_kind:     hidden_group_size_x
      - .offset:         158
        .size:           2
        .value_kind:     hidden_group_size_y
      - .offset:         160
        .size:           2
        .value_kind:     hidden_group_size_z
      - .offset:         162
        .size:           2
        .value_kind:     hidden_remainder_x
      - .offset:         164
        .size:           2
        .value_kind:     hidden_remainder_y
      - .offset:         166
        .size:           2
        .value_kind:     hidden_remainder_z
      - .offset:         184
        .size:           8
        .value_kind:     hidden_global_offset_x
      - .offset:         192
        .size:           8
        .value_kind:     hidden_global_offset_y
      - .offset:         200
        .size:           8
        .value_kind:     hidden_global_offset_z
      - .offset:         208
        .size:           2
        .value_kind:     hidden_grid_dims
    .group_segment_fixed_size: 8192
    .kernarg_segment_align: 8
    .kernarg_segment_size: 400
    .language:       OpenCL C
    .language_version:
      - 2
      - 0
    .max_flat_workgroup_size: 256
    .name:           _Z39paged_attention_ll4mi_QKV_mfma16_kernelI14__hip_bfloat16hLN4vllm18Fp8KVCacheDataTypeE1ES0_Li32ELi64ELi256ELb1ELi15EEvPKT_PKT0_S8_ifPKiSA_SA_iPKfiiiPfSD_PS3_PT2_iSC_SC_
    .private_segment_fixed_size: 0
    .sgpr_count:     56
    .sgpr_spill_count: 0
    .symbol:         _Z39paged_attention_ll4mi_QKV_mfma16_kernelI14__hip_bfloat16hLN4vllm18Fp8KVCacheDataTypeE1ES0_Li32ELi64ELi256ELb1ELi15EEvPKT_PKT0_S8_ifPKiSA_SA_iPKfiiiPfSD_PS3_PT2_iSC_SC_.kd
    .uniform_work_group_size: 1
    .uses_dynamic_stack: false
    .vgpr_count:     71
    .vgpr_spill_count: 0
    .wavefront_size: 64
  - .agpr_count:     0
    .args:
      - .actual_access:  read_only
        .address_space:  global
        .offset:         0
        .size:           8
        .value_kind:     global_buffer
      - .actual_access:  read_only
        .address_space:  global
        .offset:         8
        .size:           8
        .value_kind:     global_buffer
      - .actual_access:  read_only
        .address_space:  global
        .offset:         16
        .size:           8
        .value_kind:     global_buffer
      - .offset:         24
        .size:           4
        .value_kind:     by_value
      - .offset:         28
        .size:           4
        .value_kind:     by_value
      - .actual_access:  read_only
        .address_space:  global
        .offset:         32
        .size:           8
        .value_kind:     global_buffer
      - .actual_access:  read_only
        .address_space:  global
        .offset:         40
        .size:           8
        .value_kind:     global_buffer
      - .actual_access:  read_only
        .address_space:  global
        .offset:         48
        .size:           8
        .value_kind:     global_buffer
      - .offset:         56
        .size:           4
        .value_kind:     by_value
      - .actual_access:  read_only
        .address_space:  global
        .offset:         64
        .size:           8
        .value_kind:     global_buffer
      - .offset:         72
        .size:           4
        .value_kind:     by_value
      - .offset:         76
        .size:           4
        .value_kind:     by_value
      - .offset:         80
        .size:           4
        .value_kind:     by_value
      - .actual_access:  write_only
        .address_space:  global
        .offset:         88
        .size:           8
        .value_kind:     global_buffer
      - .actual_access:  write_only
        .address_space:  global
        .offset:         96
        .size:           8
        .value_kind:     global_buffer
      - .actual_access:  write_only
        .address_space:  global
        .offset:         104
        .size:           8
        .value_kind:     global_buffer
      - .actual_access:  read_only
        .address_space:  global
        .offset:         112
        .size:           8
        .value_kind:     global_buffer
      - .offset:         120
        .size:           4
        .value_kind:     by_value
      - .address_space:  global
        .offset:         128
        .size:           8
        .value_kind:     global_buffer
      - .address_space:  global
        .offset:         136
        .size:           8
        .value_kind:     global_buffer
      - .offset:         144
        .size:           4
        .value_kind:     hidden_block_count_x
      - .offset:         148
        .size:           4
        .value_kind:     hidden_block_count_y
      - .offset:         152
        .size:           4
        .value_kind:     hidden_block_count_z
      - .offset:         156
        .size:           2
        .value_kind:     hidden_group_size_x
      - .offset:         158
        .size:           2
        .value_kind:     hidden_group_size_y
      - .offset:         160
        .size:           2
        .value_kind:     hidden_group_size_z
      - .offset:         162
        .size:           2
        .value_kind:     hidden_remainder_x
      - .offset:         164
        .size:           2
        .value_kind:     hidden_remainder_y
      - .offset:         166
        .size:           2
        .value_kind:     hidden_remainder_z
      - .offset:         184
        .size:           8
        .value_kind:     hidden_global_offset_x
      - .offset:         192
        .size:           8
        .value_kind:     hidden_global_offset_y
      - .offset:         200
        .size:           8
        .value_kind:     hidden_global_offset_z
      - .offset:         208
        .size:           2
        .value_kind:     hidden_grid_dims
    .group_segment_fixed_size: 8192
    .kernarg_segment_align: 8
    .kernarg_segment_size: 400
    .language:       OpenCL C
    .language_version:
      - 2
      - 0
    .max_flat_workgroup_size: 256
    .name:           _Z39paged_attention_ll4mi_QKV_mfma16_kernelI14__hip_bfloat16hLN4vllm18Fp8KVCacheDataTypeE1ES0_Li32ELi64ELi256ELb1ELi16EEvPKT_PKT0_S8_ifPKiSA_SA_iPKfiiiPfSD_PS3_PT2_iSC_SC_
    .private_segment_fixed_size: 0
    .sgpr_count:     55
    .sgpr_spill_count: 0
    .symbol:         _Z39paged_attention_ll4mi_QKV_mfma16_kernelI14__hip_bfloat16hLN4vllm18Fp8KVCacheDataTypeE1ES0_Li32ELi64ELi256ELb1ELi16EEvPKT_PKT0_S8_ifPKiSA_SA_iPKfiiiPfSD_PS3_PT2_iSC_SC_.kd
    .uniform_work_group_size: 1
    .uses_dynamic_stack: false
    .vgpr_count:     58
    .vgpr_spill_count: 0
    .wavefront_size: 64
  - .agpr_count:     0
    .args:
      - .actual_access:  read_only
        .address_space:  global
        .offset:         0
        .size:           8
        .value_kind:     global_buffer
      - .actual_access:  read_only
        .address_space:  global
        .offset:         8
        .size:           8
        .value_kind:     global_buffer
      - .actual_access:  read_only
        .address_space:  global
        .offset:         16
        .size:           8
        .value_kind:     global_buffer
      - .offset:         24
        .size:           4
        .value_kind:     by_value
      - .offset:         28
        .size:           4
        .value_kind:     by_value
      - .actual_access:  read_only
        .address_space:  global
        .offset:         32
        .size:           8
        .value_kind:     global_buffer
      - .actual_access:  read_only
        .address_space:  global
        .offset:         40
        .size:           8
        .value_kind:     global_buffer
      - .actual_access:  read_only
        .address_space:  global
        .offset:         48
        .size:           8
        .value_kind:     global_buffer
      - .offset:         56
        .size:           4
        .value_kind:     by_value
      - .actual_access:  read_only
        .address_space:  global
        .offset:         64
        .size:           8
        .value_kind:     global_buffer
      - .offset:         72
        .size:           4
        .value_kind:     by_value
      - .offset:         76
        .size:           4
        .value_kind:     by_value
      - .offset:         80
        .size:           4
        .value_kind:     by_value
      - .actual_access:  write_only
        .address_space:  global
        .offset:         88
        .size:           8
        .value_kind:     global_buffer
      - .actual_access:  write_only
        .address_space:  global
        .offset:         96
        .size:           8
        .value_kind:     global_buffer
      - .actual_access:  write_only
        .address_space:  global
        .offset:         104
        .size:           8
        .value_kind:     global_buffer
      - .actual_access:  read_only
        .address_space:  global
        .offset:         112
        .size:           8
        .value_kind:     global_buffer
      - .offset:         120
        .size:           4
        .value_kind:     by_value
      - .address_space:  global
        .offset:         128
        .size:           8
        .value_kind:     global_buffer
      - .address_space:  global
        .offset:         136
        .size:           8
        .value_kind:     global_buffer
      - .offset:         144
        .size:           4
        .value_kind:     hidden_block_count_x
      - .offset:         148
        .size:           4
        .value_kind:     hidden_block_count_y
      - .offset:         152
        .size:           4
        .value_kind:     hidden_block_count_z
      - .offset:         156
        .size:           2
        .value_kind:     hidden_group_size_x
      - .offset:         158
        .size:           2
        .value_kind:     hidden_group_size_y
      - .offset:         160
        .size:           2
        .value_kind:     hidden_group_size_z
      - .offset:         162
        .size:           2
        .value_kind:     hidden_remainder_x
      - .offset:         164
        .size:           2
        .value_kind:     hidden_remainder_y
      - .offset:         166
        .size:           2
        .value_kind:     hidden_remainder_z
      - .offset:         184
        .size:           8
        .value_kind:     hidden_global_offset_x
      - .offset:         192
        .size:           8
        .value_kind:     hidden_global_offset_y
      - .offset:         200
        .size:           8
        .value_kind:     hidden_global_offset_z
      - .offset:         208
        .size:           2
        .value_kind:     hidden_grid_dims
    .group_segment_fixed_size: 8192
    .kernarg_segment_align: 8
    .kernarg_segment_size: 400
    .language:       OpenCL C
    .language_version:
      - 2
      - 0
    .max_flat_workgroup_size: 256
    .name:           _Z39paged_attention_ll4mi_QKV_mfma16_kernelI14__hip_bfloat16hLN4vllm18Fp8KVCacheDataTypeE1ES0_Li32ELi64ELi256ELb1ELi1EEvPKT_PKT0_S8_ifPKiSA_SA_iPKfiiiPfSD_PS3_PT2_iSC_SC_
    .private_segment_fixed_size: 0
    .sgpr_count:     58
    .sgpr_spill_count: 0
    .symbol:         _Z39paged_attention_ll4mi_QKV_mfma16_kernelI14__hip_bfloat16hLN4vllm18Fp8KVCacheDataTypeE1ES0_Li32ELi64ELi256ELb1ELi1EEvPKT_PKT0_S8_ifPKiSA_SA_iPKfiiiPfSD_PS3_PT2_iSC_SC_.kd
    .uniform_work_group_size: 1
    .uses_dynamic_stack: false
    .vgpr_count:     73
    .vgpr_spill_count: 0
    .wavefront_size: 64
  - .agpr_count:     0
    .args:
      - .actual_access:  read_only
        .address_space:  global
        .offset:         0
        .size:           8
        .value_kind:     global_buffer
      - .actual_access:  read_only
        .address_space:  global
        .offset:         8
        .size:           8
        .value_kind:     global_buffer
      - .actual_access:  read_only
        .address_space:  global
        .offset:         16
        .size:           8
        .value_kind:     global_buffer
      - .offset:         24
        .size:           4
        .value_kind:     by_value
      - .offset:         28
        .size:           4
        .value_kind:     by_value
      - .actual_access:  read_only
        .address_space:  global
        .offset:         32
        .size:           8
        .value_kind:     global_buffer
      - .actual_access:  read_only
        .address_space:  global
        .offset:         40
        .size:           8
        .value_kind:     global_buffer
      - .actual_access:  read_only
        .address_space:  global
        .offset:         48
        .size:           8
        .value_kind:     global_buffer
      - .offset:         56
        .size:           4
        .value_kind:     by_value
      - .actual_access:  read_only
        .address_space:  global
        .offset:         64
        .size:           8
        .value_kind:     global_buffer
      - .offset:         72
        .size:           4
        .value_kind:     by_value
      - .offset:         76
        .size:           4
        .value_kind:     by_value
      - .offset:         80
        .size:           4
        .value_kind:     by_value
      - .actual_access:  write_only
        .address_space:  global
        .offset:         88
        .size:           8
        .value_kind:     global_buffer
      - .actual_access:  write_only
        .address_space:  global
        .offset:         96
        .size:           8
        .value_kind:     global_buffer
      - .actual_access:  write_only
        .address_space:  global
        .offset:         104
        .size:           8
        .value_kind:     global_buffer
      - .actual_access:  read_only
        .address_space:  global
        .offset:         112
        .size:           8
        .value_kind:     global_buffer
      - .offset:         120
        .size:           4
        .value_kind:     by_value
      - .address_space:  global
        .offset:         128
        .size:           8
        .value_kind:     global_buffer
      - .address_space:  global
        .offset:         136
        .size:           8
        .value_kind:     global_buffer
      - .offset:         144
        .size:           4
        .value_kind:     hidden_block_count_x
      - .offset:         148
        .size:           4
        .value_kind:     hidden_block_count_y
      - .offset:         152
        .size:           4
        .value_kind:     hidden_block_count_z
      - .offset:         156
        .size:           2
        .value_kind:     hidden_group_size_x
      - .offset:         158
        .size:           2
        .value_kind:     hidden_group_size_y
      - .offset:         160
        .size:           2
        .value_kind:     hidden_group_size_z
      - .offset:         162
        .size:           2
        .value_kind:     hidden_remainder_x
      - .offset:         164
        .size:           2
        .value_kind:     hidden_remainder_y
      - .offset:         166
        .size:           2
        .value_kind:     hidden_remainder_z
      - .offset:         184
        .size:           8
        .value_kind:     hidden_global_offset_x
      - .offset:         192
        .size:           8
        .value_kind:     hidden_global_offset_y
      - .offset:         200
        .size:           8
        .value_kind:     hidden_global_offset_z
      - .offset:         208
        .size:           2
        .value_kind:     hidden_grid_dims
    .group_segment_fixed_size: 8192
    .kernarg_segment_align: 8
    .kernarg_segment_size: 400
    .language:       OpenCL C
    .language_version:
      - 2
      - 0
    .max_flat_workgroup_size: 256
    .name:           _Z39paged_attention_ll4mi_QKV_mfma16_kernelI14__hip_bfloat16hLN4vllm18Fp8KVCacheDataTypeE1ES0_Li32ELi64ELi256ELb1ELi2EEvPKT_PKT0_S8_ifPKiSA_SA_iPKfiiiPfSD_PS3_PT2_iSC_SC_
    .private_segment_fixed_size: 0
    .sgpr_count:     54
    .sgpr_spill_count: 0
    .symbol:         _Z39paged_attention_ll4mi_QKV_mfma16_kernelI14__hip_bfloat16hLN4vllm18Fp8KVCacheDataTypeE1ES0_Li32ELi64ELi256ELb1ELi2EEvPKT_PKT0_S8_ifPKiSA_SA_iPKfiiiPfSD_PS3_PT2_iSC_SC_.kd
    .uniform_work_group_size: 1
    .uses_dynamic_stack: false
    .vgpr_count:     73
    .vgpr_spill_count: 0
    .wavefront_size: 64
  - .agpr_count:     0
    .args:
      - .actual_access:  read_only
        .address_space:  global
        .offset:         0
        .size:           8
        .value_kind:     global_buffer
      - .actual_access:  read_only
        .address_space:  global
        .offset:         8
        .size:           8
        .value_kind:     global_buffer
      - .actual_access:  read_only
        .address_space:  global
        .offset:         16
        .size:           8
        .value_kind:     global_buffer
      - .offset:         24
        .size:           4
        .value_kind:     by_value
      - .offset:         28
        .size:           4
        .value_kind:     by_value
      - .actual_access:  read_only
        .address_space:  global
        .offset:         32
        .size:           8
        .value_kind:     global_buffer
      - .actual_access:  read_only
        .address_space:  global
        .offset:         40
        .size:           8
        .value_kind:     global_buffer
      - .actual_access:  read_only
        .address_space:  global
        .offset:         48
        .size:           8
        .value_kind:     global_buffer
      - .offset:         56
        .size:           4
        .value_kind:     by_value
      - .actual_access:  read_only
        .address_space:  global
        .offset:         64
        .size:           8
        .value_kind:     global_buffer
      - .offset:         72
        .size:           4
        .value_kind:     by_value
      - .offset:         76
        .size:           4
        .value_kind:     by_value
      - .offset:         80
        .size:           4
        .value_kind:     by_value
      - .actual_access:  write_only
        .address_space:  global
        .offset:         88
        .size:           8
        .value_kind:     global_buffer
      - .actual_access:  write_only
        .address_space:  global
        .offset:         96
        .size:           8
        .value_kind:     global_buffer
      - .actual_access:  write_only
        .address_space:  global
        .offset:         104
        .size:           8
        .value_kind:     global_buffer
      - .actual_access:  read_only
        .address_space:  global
        .offset:         112
        .size:           8
        .value_kind:     global_buffer
      - .offset:         120
        .size:           4
        .value_kind:     by_value
      - .address_space:  global
        .offset:         128
        .size:           8
        .value_kind:     global_buffer
      - .address_space:  global
        .offset:         136
        .size:           8
        .value_kind:     global_buffer
      - .offset:         144
        .size:           4
        .value_kind:     hidden_block_count_x
      - .offset:         148
        .size:           4
        .value_kind:     hidden_block_count_y
      - .offset:         152
        .size:           4
        .value_kind:     hidden_block_count_z
      - .offset:         156
        .size:           2
        .value_kind:     hidden_group_size_x
      - .offset:         158
        .size:           2
        .value_kind:     hidden_group_size_y
      - .offset:         160
        .size:           2
        .value_kind:     hidden_group_size_z
      - .offset:         162
        .size:           2
        .value_kind:     hidden_remainder_x
      - .offset:         164
        .size:           2
        .value_kind:     hidden_remainder_y
      - .offset:         166
        .size:           2
        .value_kind:     hidden_remainder_z
      - .offset:         184
        .size:           8
        .value_kind:     hidden_global_offset_x
      - .offset:         192
        .size:           8
        .value_kind:     hidden_global_offset_y
      - .offset:         200
        .size:           8
        .value_kind:     hidden_global_offset_z
      - .offset:         208
        .size:           2
        .value_kind:     hidden_grid_dims
    .group_segment_fixed_size: 8192
    .kernarg_segment_align: 8
    .kernarg_segment_size: 400
    .language:       OpenCL C
    .language_version:
      - 2
      - 0
    .max_flat_workgroup_size: 256
    .name:           _Z39paged_attention_ll4mi_QKV_mfma16_kernelI14__hip_bfloat16hLN4vllm18Fp8KVCacheDataTypeE1ES0_Li32ELi64ELi256ELb1ELi3EEvPKT_PKT0_S8_ifPKiSA_SA_iPKfiiiPfSD_PS3_PT2_iSC_SC_
    .private_segment_fixed_size: 0
    .sgpr_count:     56
    .sgpr_spill_count: 0
    .symbol:         _Z39paged_attention_ll4mi_QKV_mfma16_kernelI14__hip_bfloat16hLN4vllm18Fp8KVCacheDataTypeE1ES0_Li32ELi64ELi256ELb1ELi3EEvPKT_PKT0_S8_ifPKiSA_SA_iPKfiiiPfSD_PS3_PT2_iSC_SC_.kd
    .uniform_work_group_size: 1
    .uses_dynamic_stack: false
    .vgpr_count:     71
    .vgpr_spill_count: 0
    .wavefront_size: 64
  - .agpr_count:     0
    .args:
      - .actual_access:  read_only
        .address_space:  global
        .offset:         0
        .size:           8
        .value_kind:     global_buffer
      - .actual_access:  read_only
        .address_space:  global
        .offset:         8
        .size:           8
        .value_kind:     global_buffer
      - .actual_access:  read_only
        .address_space:  global
        .offset:         16
        .size:           8
        .value_kind:     global_buffer
      - .offset:         24
        .size:           4
        .value_kind:     by_value
      - .offset:         28
        .size:           4
        .value_kind:     by_value
      - .actual_access:  read_only
        .address_space:  global
        .offset:         32
        .size:           8
        .value_kind:     global_buffer
      - .actual_access:  read_only
        .address_space:  global
        .offset:         40
        .size:           8
        .value_kind:     global_buffer
      - .actual_access:  read_only
        .address_space:  global
        .offset:         48
        .size:           8
        .value_kind:     global_buffer
      - .offset:         56
        .size:           4
        .value_kind:     by_value
      - .actual_access:  read_only
        .address_space:  global
        .offset:         64
        .size:           8
        .value_kind:     global_buffer
      - .offset:         72
        .size:           4
        .value_kind:     by_value
      - .offset:         76
        .size:           4
        .value_kind:     by_value
      - .offset:         80
        .size:           4
        .value_kind:     by_value
      - .actual_access:  write_only
        .address_space:  global
        .offset:         88
        .size:           8
        .value_kind:     global_buffer
      - .actual_access:  write_only
        .address_space:  global
        .offset:         96
        .size:           8
        .value_kind:     global_buffer
      - .actual_access:  write_only
        .address_space:  global
        .offset:         104
        .size:           8
        .value_kind:     global_buffer
      - .actual_access:  read_only
        .address_space:  global
        .offset:         112
        .size:           8
        .value_kind:     global_buffer
      - .offset:         120
        .size:           4
        .value_kind:     by_value
      - .address_space:  global
        .offset:         128
        .size:           8
        .value_kind:     global_buffer
      - .address_space:  global
        .offset:         136
        .size:           8
        .value_kind:     global_buffer
      - .offset:         144
        .size:           4
        .value_kind:     hidden_block_count_x
      - .offset:         148
        .size:           4
        .value_kind:     hidden_block_count_y
      - .offset:         152
        .size:           4
        .value_kind:     hidden_block_count_z
      - .offset:         156
        .size:           2
        .value_kind:     hidden_group_size_x
      - .offset:         158
        .size:           2
        .value_kind:     hidden_group_size_y
      - .offset:         160
        .size:           2
        .value_kind:     hidden_group_size_z
      - .offset:         162
        .size:           2
        .value_kind:     hidden_remainder_x
      - .offset:         164
        .size:           2
        .value_kind:     hidden_remainder_y
      - .offset:         166
        .size:           2
        .value_kind:     hidden_remainder_z
      - .offset:         184
        .size:           8
        .value_kind:     hidden_global_offset_x
      - .offset:         192
        .size:           8
        .value_kind:     hidden_global_offset_y
      - .offset:         200
        .size:           8
        .value_kind:     hidden_global_offset_z
      - .offset:         208
        .size:           2
        .value_kind:     hidden_grid_dims
    .group_segment_fixed_size: 8192
    .kernarg_segment_align: 8
    .kernarg_segment_size: 400
    .language:       OpenCL C
    .language_version:
      - 2
      - 0
    .max_flat_workgroup_size: 256
    .name:           _Z39paged_attention_ll4mi_QKV_mfma16_kernelI14__hip_bfloat16hLN4vllm18Fp8KVCacheDataTypeE1ES0_Li32ELi64ELi256ELb1ELi4EEvPKT_PKT0_S8_ifPKiSA_SA_iPKfiiiPfSD_PS3_PT2_iSC_SC_
    .private_segment_fixed_size: 0
    .sgpr_count:     56
    .sgpr_spill_count: 0
    .symbol:         _Z39paged_attention_ll4mi_QKV_mfma16_kernelI14__hip_bfloat16hLN4vllm18Fp8KVCacheDataTypeE1ES0_Li32ELi64ELi256ELb1ELi4EEvPKT_PKT0_S8_ifPKiSA_SA_iPKfiiiPfSD_PS3_PT2_iSC_SC_.kd
    .uniform_work_group_size: 1
    .uses_dynamic_stack: false
    .vgpr_count:     75
    .vgpr_spill_count: 0
    .wavefront_size: 64
  - .agpr_count:     4
    .args:
      - .actual_access:  read_only
        .address_space:  global
        .offset:         0
        .size:           8
        .value_kind:     global_buffer
      - .actual_access:  read_only
        .address_space:  global
        .offset:         8
        .size:           8
        .value_kind:     global_buffer
      - .actual_access:  read_only
        .address_space:  global
        .offset:         16
        .size:           8
        .value_kind:     global_buffer
      - .offset:         24
        .size:           4
        .value_kind:     by_value
      - .offset:         28
        .size:           4
        .value_kind:     by_value
      - .actual_access:  read_only
        .address_space:  global
        .offset:         32
        .size:           8
        .value_kind:     global_buffer
      - .actual_access:  read_only
        .address_space:  global
        .offset:         40
        .size:           8
        .value_kind:     global_buffer
      - .actual_access:  read_only
        .address_space:  global
        .offset:         48
        .size:           8
        .value_kind:     global_buffer
      - .offset:         56
        .size:           4
        .value_kind:     by_value
      - .actual_access:  read_only
        .address_space:  global
        .offset:         64
        .size:           8
        .value_kind:     global_buffer
      - .offset:         72
        .size:           4
        .value_kind:     by_value
      - .offset:         76
        .size:           4
        .value_kind:     by_value
      - .offset:         80
        .size:           4
        .value_kind:     by_value
      - .actual_access:  write_only
        .address_space:  global
        .offset:         88
        .size:           8
        .value_kind:     global_buffer
      - .actual_access:  write_only
        .address_space:  global
        .offset:         96
        .size:           8
        .value_kind:     global_buffer
      - .actual_access:  write_only
        .address_space:  global
        .offset:         104
        .size:           8
        .value_kind:     global_buffer
      - .actual_access:  read_only
        .address_space:  global
        .offset:         112
        .size:           8
        .value_kind:     global_buffer
      - .offset:         120
        .size:           4
        .value_kind:     by_value
      - .address_space:  global
        .offset:         128
        .size:           8
        .value_kind:     global_buffer
      - .address_space:  global
        .offset:         136
        .size:           8
        .value_kind:     global_buffer
      - .offset:         144
        .size:           4
        .value_kind:     hidden_block_count_x
      - .offset:         148
        .size:           4
        .value_kind:     hidden_block_count_y
      - .offset:         152
        .size:           4
        .value_kind:     hidden_block_count_z
      - .offset:         156
        .size:           2
        .value_kind:     hidden_group_size_x
      - .offset:         158
        .size:           2
        .value_kind:     hidden_group_size_y
      - .offset:         160
        .size:           2
        .value_kind:     hidden_group_size_z
      - .offset:         162
        .size:           2
        .value_kind:     hidden_remainder_x
      - .offset:         164
        .size:           2
        .value_kind:     hidden_remainder_y
      - .offset:         166
        .size:           2
        .value_kind:     hidden_remainder_z
      - .offset:         184
        .size:           8
        .value_kind:     hidden_global_offset_x
      - .offset:         192
        .size:           8
        .value_kind:     hidden_global_offset_y
      - .offset:         200
        .size:           8
        .value_kind:     hidden_global_offset_z
      - .offset:         208
        .size:           2
        .value_kind:     hidden_grid_dims
    .group_segment_fixed_size: 2720
    .kernarg_segment_align: 8
    .kernarg_segment_size: 400
    .language:       OpenCL C
    .language_version:
      - 2
      - 0
    .max_flat_workgroup_size: 256
    .name:           _Z38paged_attention_ll4mi_QKV_mfma4_kernelI14__hip_bfloat16hLN4vllm18Fp8KVCacheDataTypeE1ES0_Li32ELi64ELi256ELb0ELi1EEvPKT_PKT0_S8_ifPKiSA_SA_iPKfiiiPfSD_PS3_PT2_iSC_SC_
    .private_segment_fixed_size: 0
    .sgpr_count:     48
    .sgpr_spill_count: 0
    .symbol:         _Z38paged_attention_ll4mi_QKV_mfma4_kernelI14__hip_bfloat16hLN4vllm18Fp8KVCacheDataTypeE1ES0_Li32ELi64ELi256ELb0ELi1EEvPKT_PKT0_S8_ifPKiSA_SA_iPKfiiiPfSD_PS3_PT2_iSC_SC_.kd
    .uniform_work_group_size: 1
    .uses_dynamic_stack: false
    .vgpr_count:     92
    .vgpr_spill_count: 0
    .wavefront_size: 64
  - .agpr_count:     4
    .args:
      - .actual_access:  read_only
        .address_space:  global
        .offset:         0
        .size:           8
        .value_kind:     global_buffer
      - .actual_access:  read_only
        .address_space:  global
        .offset:         8
        .size:           8
        .value_kind:     global_buffer
      - .actual_access:  read_only
        .address_space:  global
        .offset:         16
        .size:           8
        .value_kind:     global_buffer
      - .offset:         24
        .size:           4
        .value_kind:     by_value
      - .offset:         28
        .size:           4
        .value_kind:     by_value
      - .actual_access:  read_only
        .address_space:  global
        .offset:         32
        .size:           8
        .value_kind:     global_buffer
      - .actual_access:  read_only
        .address_space:  global
        .offset:         40
        .size:           8
        .value_kind:     global_buffer
      - .actual_access:  read_only
        .address_space:  global
        .offset:         48
        .size:           8
        .value_kind:     global_buffer
      - .offset:         56
        .size:           4
        .value_kind:     by_value
      - .actual_access:  read_only
        .address_space:  global
        .offset:         64
        .size:           8
        .value_kind:     global_buffer
      - .offset:         72
        .size:           4
        .value_kind:     by_value
      - .offset:         76
        .size:           4
        .value_kind:     by_value
      - .offset:         80
        .size:           4
        .value_kind:     by_value
      - .actual_access:  write_only
        .address_space:  global
        .offset:         88
        .size:           8
        .value_kind:     global_buffer
      - .actual_access:  write_only
        .address_space:  global
        .offset:         96
        .size:           8
        .value_kind:     global_buffer
      - .actual_access:  write_only
        .address_space:  global
        .offset:         104
        .size:           8
        .value_kind:     global_buffer
      - .actual_access:  read_only
        .address_space:  global
        .offset:         112
        .size:           8
        .value_kind:     global_buffer
      - .offset:         120
        .size:           4
        .value_kind:     by_value
      - .address_space:  global
        .offset:         128
        .size:           8
        .value_kind:     global_buffer
      - .address_space:  global
        .offset:         136
        .size:           8
        .value_kind:     global_buffer
      - .offset:         144
        .size:           4
        .value_kind:     hidden_block_count_x
      - .offset:         148
        .size:           4
        .value_kind:     hidden_block_count_y
      - .offset:         152
        .size:           4
        .value_kind:     hidden_block_count_z
      - .offset:         156
        .size:           2
        .value_kind:     hidden_group_size_x
      - .offset:         158
        .size:           2
        .value_kind:     hidden_group_size_y
      - .offset:         160
        .size:           2
        .value_kind:     hidden_group_size_z
      - .offset:         162
        .size:           2
        .value_kind:     hidden_remainder_x
      - .offset:         164
        .size:           2
        .value_kind:     hidden_remainder_y
      - .offset:         166
        .size:           2
        .value_kind:     hidden_remainder_z
      - .offset:         184
        .size:           8
        .value_kind:     hidden_global_offset_x
      - .offset:         192
        .size:           8
        .value_kind:     hidden_global_offset_y
      - .offset:         200
        .size:           8
        .value_kind:     hidden_global_offset_z
      - .offset:         208
        .size:           2
        .value_kind:     hidden_grid_dims
    .group_segment_fixed_size: 2720
    .kernarg_segment_align: 8
    .kernarg_segment_size: 400
    .language:       OpenCL C
    .language_version:
      - 2
      - 0
    .max_flat_workgroup_size: 256
    .name:           _Z38paged_attention_ll4mi_QKV_mfma4_kernelI14__hip_bfloat16hLN4vllm18Fp8KVCacheDataTypeE1ES0_Li32ELi64ELi256ELb0ELi2EEvPKT_PKT0_S8_ifPKiSA_SA_iPKfiiiPfSD_PS3_PT2_iSC_SC_
    .private_segment_fixed_size: 0
    .sgpr_count:     48
    .sgpr_spill_count: 0
    .symbol:         _Z38paged_attention_ll4mi_QKV_mfma4_kernelI14__hip_bfloat16hLN4vllm18Fp8KVCacheDataTypeE1ES0_Li32ELi64ELi256ELb0ELi2EEvPKT_PKT0_S8_ifPKiSA_SA_iPKfiiiPfSD_PS3_PT2_iSC_SC_.kd
    .uniform_work_group_size: 1
    .uses_dynamic_stack: false
    .vgpr_count:     92
    .vgpr_spill_count: 0
    .wavefront_size: 64
  - .agpr_count:     4
    .args:
      - .actual_access:  read_only
        .address_space:  global
        .offset:         0
        .size:           8
        .value_kind:     global_buffer
      - .actual_access:  read_only
        .address_space:  global
        .offset:         8
        .size:           8
        .value_kind:     global_buffer
      - .actual_access:  read_only
        .address_space:  global
        .offset:         16
        .size:           8
        .value_kind:     global_buffer
      - .offset:         24
        .size:           4
        .value_kind:     by_value
      - .offset:         28
        .size:           4
        .value_kind:     by_value
      - .actual_access:  read_only
        .address_space:  global
        .offset:         32
        .size:           8
        .value_kind:     global_buffer
      - .actual_access:  read_only
        .address_space:  global
        .offset:         40
        .size:           8
        .value_kind:     global_buffer
      - .actual_access:  read_only
        .address_space:  global
        .offset:         48
        .size:           8
        .value_kind:     global_buffer
      - .offset:         56
        .size:           4
        .value_kind:     by_value
      - .actual_access:  read_only
        .address_space:  global
        .offset:         64
        .size:           8
        .value_kind:     global_buffer
      - .offset:         72
        .size:           4
        .value_kind:     by_value
      - .offset:         76
        .size:           4
        .value_kind:     by_value
      - .offset:         80
        .size:           4
        .value_kind:     by_value
      - .actual_access:  write_only
        .address_space:  global
        .offset:         88
        .size:           8
        .value_kind:     global_buffer
      - .actual_access:  write_only
        .address_space:  global
        .offset:         96
        .size:           8
        .value_kind:     global_buffer
      - .actual_access:  write_only
        .address_space:  global
        .offset:         104
        .size:           8
        .value_kind:     global_buffer
      - .actual_access:  read_only
        .address_space:  global
        .offset:         112
        .size:           8
        .value_kind:     global_buffer
      - .offset:         120
        .size:           4
        .value_kind:     by_value
      - .address_space:  global
        .offset:         128
        .size:           8
        .value_kind:     global_buffer
      - .address_space:  global
        .offset:         136
        .size:           8
        .value_kind:     global_buffer
      - .offset:         144
        .size:           4
        .value_kind:     hidden_block_count_x
      - .offset:         148
        .size:           4
        .value_kind:     hidden_block_count_y
      - .offset:         152
        .size:           4
        .value_kind:     hidden_block_count_z
      - .offset:         156
        .size:           2
        .value_kind:     hidden_group_size_x
      - .offset:         158
        .size:           2
        .value_kind:     hidden_group_size_y
      - .offset:         160
        .size:           2
        .value_kind:     hidden_group_size_z
      - .offset:         162
        .size:           2
        .value_kind:     hidden_remainder_x
      - .offset:         164
        .size:           2
        .value_kind:     hidden_remainder_y
      - .offset:         166
        .size:           2
        .value_kind:     hidden_remainder_z
      - .offset:         184
        .size:           8
        .value_kind:     hidden_global_offset_x
      - .offset:         192
        .size:           8
        .value_kind:     hidden_global_offset_y
      - .offset:         200
        .size:           8
        .value_kind:     hidden_global_offset_z
      - .offset:         208
        .size:           2
        .value_kind:     hidden_grid_dims
    .group_segment_fixed_size: 2720
    .kernarg_segment_align: 8
    .kernarg_segment_size: 400
    .language:       OpenCL C
    .language_version:
      - 2
      - 0
    .max_flat_workgroup_size: 256
    .name:           _Z38paged_attention_ll4mi_QKV_mfma4_kernelI14__hip_bfloat16hLN4vllm18Fp8KVCacheDataTypeE1ES0_Li32ELi64ELi256ELb0ELi3EEvPKT_PKT0_S8_ifPKiSA_SA_iPKfiiiPfSD_PS3_PT2_iSC_SC_
    .private_segment_fixed_size: 0
    .sgpr_count:     48
    .sgpr_spill_count: 0
    .symbol:         _Z38paged_attention_ll4mi_QKV_mfma4_kernelI14__hip_bfloat16hLN4vllm18Fp8KVCacheDataTypeE1ES0_Li32ELi64ELi256ELb0ELi3EEvPKT_PKT0_S8_ifPKiSA_SA_iPKfiiiPfSD_PS3_PT2_iSC_SC_.kd
    .uniform_work_group_size: 1
    .uses_dynamic_stack: false
    .vgpr_count:     92
    .vgpr_spill_count: 0
    .wavefront_size: 64
  - .agpr_count:     4
    .args:
      - .actual_access:  read_only
        .address_space:  global
        .offset:         0
        .size:           8
        .value_kind:     global_buffer
      - .actual_access:  read_only
        .address_space:  global
        .offset:         8
        .size:           8
        .value_kind:     global_buffer
      - .actual_access:  read_only
        .address_space:  global
        .offset:         16
        .size:           8
        .value_kind:     global_buffer
      - .offset:         24
        .size:           4
        .value_kind:     by_value
      - .offset:         28
        .size:           4
        .value_kind:     by_value
      - .actual_access:  read_only
        .address_space:  global
        .offset:         32
        .size:           8
        .value_kind:     global_buffer
      - .actual_access:  read_only
        .address_space:  global
        .offset:         40
        .size:           8
        .value_kind:     global_buffer
      - .actual_access:  read_only
        .address_space:  global
        .offset:         48
        .size:           8
        .value_kind:     global_buffer
      - .offset:         56
        .size:           4
        .value_kind:     by_value
      - .actual_access:  read_only
        .address_space:  global
        .offset:         64
        .size:           8
        .value_kind:     global_buffer
      - .offset:         72
        .size:           4
        .value_kind:     by_value
      - .offset:         76
        .size:           4
        .value_kind:     by_value
      - .offset:         80
        .size:           4
        .value_kind:     by_value
      - .actual_access:  write_only
        .address_space:  global
        .offset:         88
        .size:           8
        .value_kind:     global_buffer
      - .actual_access:  write_only
        .address_space:  global
        .offset:         96
        .size:           8
        .value_kind:     global_buffer
      - .actual_access:  write_only
        .address_space:  global
        .offset:         104
        .size:           8
        .value_kind:     global_buffer
      - .actual_access:  read_only
        .address_space:  global
        .offset:         112
        .size:           8
        .value_kind:     global_buffer
      - .offset:         120
        .size:           4
        .value_kind:     by_value
      - .address_space:  global
        .offset:         128
        .size:           8
        .value_kind:     global_buffer
      - .address_space:  global
        .offset:         136
        .size:           8
        .value_kind:     global_buffer
      - .offset:         144
        .size:           4
        .value_kind:     hidden_block_count_x
      - .offset:         148
        .size:           4
        .value_kind:     hidden_block_count_y
      - .offset:         152
        .size:           4
        .value_kind:     hidden_block_count_z
      - .offset:         156
        .size:           2
        .value_kind:     hidden_group_size_x
      - .offset:         158
        .size:           2
        .value_kind:     hidden_group_size_y
      - .offset:         160
        .size:           2
        .value_kind:     hidden_group_size_z
      - .offset:         162
        .size:           2
        .value_kind:     hidden_remainder_x
      - .offset:         164
        .size:           2
        .value_kind:     hidden_remainder_y
      - .offset:         166
        .size:           2
        .value_kind:     hidden_remainder_z
      - .offset:         184
        .size:           8
        .value_kind:     hidden_global_offset_x
      - .offset:         192
        .size:           8
        .value_kind:     hidden_global_offset_y
      - .offset:         200
        .size:           8
        .value_kind:     hidden_global_offset_z
      - .offset:         208
        .size:           2
        .value_kind:     hidden_grid_dims
    .group_segment_fixed_size: 2720
    .kernarg_segment_align: 8
    .kernarg_segment_size: 400
    .language:       OpenCL C
    .language_version:
      - 2
      - 0
    .max_flat_workgroup_size: 256
    .name:           _Z38paged_attention_ll4mi_QKV_mfma4_kernelI14__hip_bfloat16hLN4vllm18Fp8KVCacheDataTypeE1ES0_Li32ELi64ELi256ELb0ELi4EEvPKT_PKT0_S8_ifPKiSA_SA_iPKfiiiPfSD_PS3_PT2_iSC_SC_
    .private_segment_fixed_size: 0
    .sgpr_count:     48
    .sgpr_spill_count: 0
    .symbol:         _Z38paged_attention_ll4mi_QKV_mfma4_kernelI14__hip_bfloat16hLN4vllm18Fp8KVCacheDataTypeE1ES0_Li32ELi64ELi256ELb0ELi4EEvPKT_PKT0_S8_ifPKiSA_SA_iPKfiiiPfSD_PS3_PT2_iSC_SC_.kd
    .uniform_work_group_size: 1
    .uses_dynamic_stack: false
    .vgpr_count:     96
    .vgpr_spill_count: 0
    .wavefront_size: 64
  - .agpr_count:     0
    .args:
      - .actual_access:  read_only
        .address_space:  global
        .offset:         0
        .size:           8
        .value_kind:     global_buffer
      - .actual_access:  read_only
        .address_space:  global
        .offset:         8
        .size:           8
        .value_kind:     global_buffer
      - .actual_access:  read_only
        .address_space:  global
        .offset:         16
        .size:           8
        .value_kind:     global_buffer
      - .offset:         24
        .size:           4
        .value_kind:     by_value
      - .offset:         28
        .size:           4
        .value_kind:     by_value
      - .actual_access:  read_only
        .address_space:  global
        .offset:         32
        .size:           8
        .value_kind:     global_buffer
      - .actual_access:  read_only
        .address_space:  global
        .offset:         40
        .size:           8
        .value_kind:     global_buffer
      - .actual_access:  read_only
        .address_space:  global
        .offset:         48
        .size:           8
        .value_kind:     global_buffer
      - .offset:         56
        .size:           4
        .value_kind:     by_value
      - .actual_access:  read_only
        .address_space:  global
        .offset:         64
        .size:           8
        .value_kind:     global_buffer
      - .offset:         72
        .size:           4
        .value_kind:     by_value
      - .offset:         76
        .size:           4
        .value_kind:     by_value
      - .offset:         80
        .size:           4
        .value_kind:     by_value
      - .actual_access:  write_only
        .address_space:  global
        .offset:         88
        .size:           8
        .value_kind:     global_buffer
      - .actual_access:  write_only
        .address_space:  global
        .offset:         96
        .size:           8
        .value_kind:     global_buffer
      - .actual_access:  write_only
        .address_space:  global
        .offset:         104
        .size:           8
        .value_kind:     global_buffer
      - .actual_access:  read_only
        .address_space:  global
        .offset:         112
        .size:           8
        .value_kind:     global_buffer
      - .offset:         120
        .size:           4
        .value_kind:     by_value
      - .address_space:  global
        .offset:         128
        .size:           8
        .value_kind:     global_buffer
      - .address_space:  global
        .offset:         136
        .size:           8
        .value_kind:     global_buffer
      - .offset:         144
        .size:           4
        .value_kind:     hidden_block_count_x
      - .offset:         148
        .size:           4
        .value_kind:     hidden_block_count_y
      - .offset:         152
        .size:           4
        .value_kind:     hidden_block_count_z
      - .offset:         156
        .size:           2
        .value_kind:     hidden_group_size_x
      - .offset:         158
        .size:           2
        .value_kind:     hidden_group_size_y
      - .offset:         160
        .size:           2
        .value_kind:     hidden_group_size_z
      - .offset:         162
        .size:           2
        .value_kind:     hidden_remainder_x
      - .offset:         164
        .size:           2
        .value_kind:     hidden_remainder_y
      - .offset:         166
        .size:           2
        .value_kind:     hidden_remainder_z
      - .offset:         184
        .size:           8
        .value_kind:     hidden_global_offset_x
      - .offset:         192
        .size:           8
        .value_kind:     hidden_global_offset_y
      - .offset:         200
        .size:           8
        .value_kind:     hidden_global_offset_z
      - .offset:         208
        .size:           2
        .value_kind:     hidden_grid_dims
    .group_segment_fixed_size: 8192
    .kernarg_segment_align: 8
    .kernarg_segment_size: 400
    .language:       OpenCL C
    .language_version:
      - 2
      - 0
    .max_flat_workgroup_size: 256
    .name:           _Z39paged_attention_ll4mi_QKV_mfma16_kernelI14__hip_bfloat16hLN4vllm18Fp8KVCacheDataTypeE1ES0_Li32ELi64ELi256ELb0ELi5EEvPKT_PKT0_S8_ifPKiSA_SA_iPKfiiiPfSD_PS3_PT2_iSC_SC_
    .private_segment_fixed_size: 0
    .sgpr_count:     56
    .sgpr_spill_count: 0
    .symbol:         _Z39paged_attention_ll4mi_QKV_mfma16_kernelI14__hip_bfloat16hLN4vllm18Fp8KVCacheDataTypeE1ES0_Li32ELi64ELi256ELb0ELi5EEvPKT_PKT0_S8_ifPKiSA_SA_iPKfiiiPfSD_PS3_PT2_iSC_SC_.kd
    .uniform_work_group_size: 1
    .uses_dynamic_stack: false
    .vgpr_count:     54
    .vgpr_spill_count: 0
    .wavefront_size: 64
  - .agpr_count:     0
    .args:
      - .actual_access:  read_only
        .address_space:  global
        .offset:         0
        .size:           8
        .value_kind:     global_buffer
      - .actual_access:  read_only
        .address_space:  global
        .offset:         8
        .size:           8
        .value_kind:     global_buffer
      - .actual_access:  read_only
        .address_space:  global
        .offset:         16
        .size:           8
        .value_kind:     global_buffer
      - .offset:         24
        .size:           4
        .value_kind:     by_value
      - .offset:         28
        .size:           4
        .value_kind:     by_value
      - .actual_access:  read_only
        .address_space:  global
        .offset:         32
        .size:           8
        .value_kind:     global_buffer
      - .actual_access:  read_only
        .address_space:  global
        .offset:         40
        .size:           8
        .value_kind:     global_buffer
      - .actual_access:  read_only
        .address_space:  global
        .offset:         48
        .size:           8
        .value_kind:     global_buffer
      - .offset:         56
        .size:           4
        .value_kind:     by_value
      - .actual_access:  read_only
        .address_space:  global
        .offset:         64
        .size:           8
        .value_kind:     global_buffer
      - .offset:         72
        .size:           4
        .value_kind:     by_value
      - .offset:         76
        .size:           4
        .value_kind:     by_value
      - .offset:         80
        .size:           4
        .value_kind:     by_value
      - .actual_access:  write_only
        .address_space:  global
        .offset:         88
        .size:           8
        .value_kind:     global_buffer
      - .actual_access:  write_only
        .address_space:  global
        .offset:         96
        .size:           8
        .value_kind:     global_buffer
      - .actual_access:  write_only
        .address_space:  global
        .offset:         104
        .size:           8
        .value_kind:     global_buffer
      - .actual_access:  read_only
        .address_space:  global
        .offset:         112
        .size:           8
        .value_kind:     global_buffer
      - .offset:         120
        .size:           4
        .value_kind:     by_value
      - .address_space:  global
        .offset:         128
        .size:           8
        .value_kind:     global_buffer
      - .address_space:  global
        .offset:         136
        .size:           8
        .value_kind:     global_buffer
      - .offset:         144
        .size:           4
        .value_kind:     hidden_block_count_x
      - .offset:         148
        .size:           4
        .value_kind:     hidden_block_count_y
      - .offset:         152
        .size:           4
        .value_kind:     hidden_block_count_z
      - .offset:         156
        .size:           2
        .value_kind:     hidden_group_size_x
      - .offset:         158
        .size:           2
        .value_kind:     hidden_group_size_y
      - .offset:         160
        .size:           2
        .value_kind:     hidden_group_size_z
      - .offset:         162
        .size:           2
        .value_kind:     hidden_remainder_x
      - .offset:         164
        .size:           2
        .value_kind:     hidden_remainder_y
      - .offset:         166
        .size:           2
        .value_kind:     hidden_remainder_z
      - .offset:         184
        .size:           8
        .value_kind:     hidden_global_offset_x
      - .offset:         192
        .size:           8
        .value_kind:     hidden_global_offset_y
      - .offset:         200
        .size:           8
        .value_kind:     hidden_global_offset_z
      - .offset:         208
        .size:           2
        .value_kind:     hidden_grid_dims
    .group_segment_fixed_size: 8192
    .kernarg_segment_align: 8
    .kernarg_segment_size: 400
    .language:       OpenCL C
    .language_version:
      - 2
      - 0
    .max_flat_workgroup_size: 256
    .name:           _Z39paged_attention_ll4mi_QKV_mfma16_kernelI14__hip_bfloat16hLN4vllm18Fp8KVCacheDataTypeE1ES0_Li32ELi64ELi256ELb0ELi6EEvPKT_PKT0_S8_ifPKiSA_SA_iPKfiiiPfSD_PS3_PT2_iSC_SC_
    .private_segment_fixed_size: 0
    .sgpr_count:     56
    .sgpr_spill_count: 0
    .symbol:         _Z39paged_attention_ll4mi_QKV_mfma16_kernelI14__hip_bfloat16hLN4vllm18Fp8KVCacheDataTypeE1ES0_Li32ELi64ELi256ELb0ELi6EEvPKT_PKT0_S8_ifPKiSA_SA_iPKfiiiPfSD_PS3_PT2_iSC_SC_.kd
    .uniform_work_group_size: 1
    .uses_dynamic_stack: false
    .vgpr_count:     54
    .vgpr_spill_count: 0
    .wavefront_size: 64
  - .agpr_count:     0
    .args:
      - .actual_access:  read_only
        .address_space:  global
        .offset:         0
        .size:           8
        .value_kind:     global_buffer
      - .actual_access:  read_only
        .address_space:  global
        .offset:         8
        .size:           8
        .value_kind:     global_buffer
      - .actual_access:  read_only
        .address_space:  global
        .offset:         16
        .size:           8
        .value_kind:     global_buffer
      - .offset:         24
        .size:           4
        .value_kind:     by_value
      - .offset:         28
        .size:           4
        .value_kind:     by_value
      - .actual_access:  read_only
        .address_space:  global
        .offset:         32
        .size:           8
        .value_kind:     global_buffer
      - .actual_access:  read_only
        .address_space:  global
        .offset:         40
        .size:           8
        .value_kind:     global_buffer
      - .actual_access:  read_only
        .address_space:  global
        .offset:         48
        .size:           8
        .value_kind:     global_buffer
      - .offset:         56
        .size:           4
        .value_kind:     by_value
      - .actual_access:  read_only
        .address_space:  global
        .offset:         64
        .size:           8
        .value_kind:     global_buffer
      - .offset:         72
        .size:           4
        .value_kind:     by_value
      - .offset:         76
        .size:           4
        .value_kind:     by_value
      - .offset:         80
        .size:           4
        .value_kind:     by_value
      - .actual_access:  write_only
        .address_space:  global
        .offset:         88
        .size:           8
        .value_kind:     global_buffer
      - .actual_access:  write_only
        .address_space:  global
        .offset:         96
        .size:           8
        .value_kind:     global_buffer
      - .actual_access:  write_only
        .address_space:  global
        .offset:         104
        .size:           8
        .value_kind:     global_buffer
      - .actual_access:  read_only
        .address_space:  global
        .offset:         112
        .size:           8
        .value_kind:     global_buffer
      - .offset:         120
        .size:           4
        .value_kind:     by_value
      - .address_space:  global
        .offset:         128
        .size:           8
        .value_kind:     global_buffer
      - .address_space:  global
        .offset:         136
        .size:           8
        .value_kind:     global_buffer
      - .offset:         144
        .size:           4
        .value_kind:     hidden_block_count_x
      - .offset:         148
        .size:           4
        .value_kind:     hidden_block_count_y
      - .offset:         152
        .size:           4
        .value_kind:     hidden_block_count_z
      - .offset:         156
        .size:           2
        .value_kind:     hidden_group_size_x
      - .offset:         158
        .size:           2
        .value_kind:     hidden_group_size_y
      - .offset:         160
        .size:           2
        .value_kind:     hidden_group_size_z
      - .offset:         162
        .size:           2
        .value_kind:     hidden_remainder_x
      - .offset:         164
        .size:           2
        .value_kind:     hidden_remainder_y
      - .offset:         166
        .size:           2
        .value_kind:     hidden_remainder_z
      - .offset:         184
        .size:           8
        .value_kind:     hidden_global_offset_x
      - .offset:         192
        .size:           8
        .value_kind:     hidden_global_offset_y
      - .offset:         200
        .size:           8
        .value_kind:     hidden_global_offset_z
      - .offset:         208
        .size:           2
        .value_kind:     hidden_grid_dims
    .group_segment_fixed_size: 8192
    .kernarg_segment_align: 8
    .kernarg_segment_size: 400
    .language:       OpenCL C
    .language_version:
      - 2
      - 0
    .max_flat_workgroup_size: 256
    .name:           _Z39paged_attention_ll4mi_QKV_mfma16_kernelI14__hip_bfloat16hLN4vllm18Fp8KVCacheDataTypeE1ES0_Li32ELi64ELi256ELb0ELi7EEvPKT_PKT0_S8_ifPKiSA_SA_iPKfiiiPfSD_PS3_PT2_iSC_SC_
    .private_segment_fixed_size: 0
    .sgpr_count:     56
    .sgpr_spill_count: 0
    .symbol:         _Z39paged_attention_ll4mi_QKV_mfma16_kernelI14__hip_bfloat16hLN4vllm18Fp8KVCacheDataTypeE1ES0_Li32ELi64ELi256ELb0ELi7EEvPKT_PKT0_S8_ifPKiSA_SA_iPKfiiiPfSD_PS3_PT2_iSC_SC_.kd
    .uniform_work_group_size: 1
    .uses_dynamic_stack: false
    .vgpr_count:     54
    .vgpr_spill_count: 0
    .wavefront_size: 64
  - .agpr_count:     0
    .args:
      - .actual_access:  read_only
        .address_space:  global
        .offset:         0
        .size:           8
        .value_kind:     global_buffer
      - .actual_access:  read_only
        .address_space:  global
        .offset:         8
        .size:           8
        .value_kind:     global_buffer
      - .actual_access:  read_only
        .address_space:  global
        .offset:         16
        .size:           8
        .value_kind:     global_buffer
      - .offset:         24
        .size:           4
        .value_kind:     by_value
      - .offset:         28
        .size:           4
        .value_kind:     by_value
      - .actual_access:  read_only
        .address_space:  global
        .offset:         32
        .size:           8
        .value_kind:     global_buffer
      - .actual_access:  read_only
        .address_space:  global
        .offset:         40
        .size:           8
        .value_kind:     global_buffer
      - .actual_access:  read_only
        .address_space:  global
        .offset:         48
        .size:           8
        .value_kind:     global_buffer
      - .offset:         56
        .size:           4
        .value_kind:     by_value
      - .actual_access:  read_only
        .address_space:  global
        .offset:         64
        .size:           8
        .value_kind:     global_buffer
      - .offset:         72
        .size:           4
        .value_kind:     by_value
      - .offset:         76
        .size:           4
        .value_kind:     by_value
      - .offset:         80
        .size:           4
        .value_kind:     by_value
      - .actual_access:  write_only
        .address_space:  global
        .offset:         88
        .size:           8
        .value_kind:     global_buffer
      - .actual_access:  write_only
        .address_space:  global
        .offset:         96
        .size:           8
        .value_kind:     global_buffer
      - .actual_access:  write_only
        .address_space:  global
        .offset:         104
        .size:           8
        .value_kind:     global_buffer
      - .actual_access:  read_only
        .address_space:  global
        .offset:         112
        .size:           8
        .value_kind:     global_buffer
      - .offset:         120
        .size:           4
        .value_kind:     by_value
      - .address_space:  global
        .offset:         128
        .size:           8
        .value_kind:     global_buffer
      - .address_space:  global
        .offset:         136
        .size:           8
        .value_kind:     global_buffer
      - .offset:         144
        .size:           4
        .value_kind:     hidden_block_count_x
      - .offset:         148
        .size:           4
        .value_kind:     hidden_block_count_y
      - .offset:         152
        .size:           4
        .value_kind:     hidden_block_count_z
      - .offset:         156
        .size:           2
        .value_kind:     hidden_group_size_x
      - .offset:         158
        .size:           2
        .value_kind:     hidden_group_size_y
      - .offset:         160
        .size:           2
        .value_kind:     hidden_group_size_z
      - .offset:         162
        .size:           2
        .value_kind:     hidden_remainder_x
      - .offset:         164
        .size:           2
        .value_kind:     hidden_remainder_y
      - .offset:         166
        .size:           2
        .value_kind:     hidden_remainder_z
      - .offset:         184
        .size:           8
        .value_kind:     hidden_global_offset_x
      - .offset:         192
        .size:           8
        .value_kind:     hidden_global_offset_y
      - .offset:         200
        .size:           8
        .value_kind:     hidden_global_offset_z
      - .offset:         208
        .size:           2
        .value_kind:     hidden_grid_dims
    .group_segment_fixed_size: 8192
    .kernarg_segment_align: 8
    .kernarg_segment_size: 400
    .language:       OpenCL C
    .language_version:
      - 2
      - 0
    .max_flat_workgroup_size: 256
    .name:           _Z39paged_attention_ll4mi_QKV_mfma16_kernelI14__hip_bfloat16hLN4vllm18Fp8KVCacheDataTypeE1ES0_Li32ELi64ELi256ELb0ELi8EEvPKT_PKT0_S8_ifPKiSA_SA_iPKfiiiPfSD_PS3_PT2_iSC_SC_
    .private_segment_fixed_size: 0
    .sgpr_count:     55
    .sgpr_spill_count: 0
    .symbol:         _Z39paged_attention_ll4mi_QKV_mfma16_kernelI14__hip_bfloat16hLN4vllm18Fp8KVCacheDataTypeE1ES0_Li32ELi64ELi256ELb0ELi8EEvPKT_PKT0_S8_ifPKiSA_SA_iPKfiiiPfSD_PS3_PT2_iSC_SC_.kd
    .uniform_work_group_size: 1
    .uses_dynamic_stack: false
    .vgpr_count:     54
    .vgpr_spill_count: 0
    .wavefront_size: 64
  - .agpr_count:     0
    .args:
      - .actual_access:  read_only
        .address_space:  global
        .offset:         0
        .size:           8
        .value_kind:     global_buffer
      - .actual_access:  read_only
        .address_space:  global
        .offset:         8
        .size:           8
        .value_kind:     global_buffer
      - .actual_access:  read_only
        .address_space:  global
        .offset:         16
        .size:           8
        .value_kind:     global_buffer
      - .offset:         24
        .size:           4
        .value_kind:     by_value
      - .offset:         28
        .size:           4
        .value_kind:     by_value
      - .actual_access:  read_only
        .address_space:  global
        .offset:         32
        .size:           8
        .value_kind:     global_buffer
      - .actual_access:  read_only
        .address_space:  global
        .offset:         40
        .size:           8
        .value_kind:     global_buffer
      - .actual_access:  read_only
        .address_space:  global
        .offset:         48
        .size:           8
        .value_kind:     global_buffer
      - .offset:         56
        .size:           4
        .value_kind:     by_value
      - .actual_access:  read_only
        .address_space:  global
        .offset:         64
        .size:           8
        .value_kind:     global_buffer
      - .offset:         72
        .size:           4
        .value_kind:     by_value
      - .offset:         76
        .size:           4
        .value_kind:     by_value
      - .offset:         80
        .size:           4
        .value_kind:     by_value
      - .actual_access:  write_only
        .address_space:  global
        .offset:         88
        .size:           8
        .value_kind:     global_buffer
      - .actual_access:  write_only
        .address_space:  global
        .offset:         96
        .size:           8
        .value_kind:     global_buffer
      - .actual_access:  write_only
        .address_space:  global
        .offset:         104
        .size:           8
        .value_kind:     global_buffer
      - .actual_access:  read_only
        .address_space:  global
        .offset:         112
        .size:           8
        .value_kind:     global_buffer
      - .offset:         120
        .size:           4
        .value_kind:     by_value
      - .address_space:  global
        .offset:         128
        .size:           8
        .value_kind:     global_buffer
      - .address_space:  global
        .offset:         136
        .size:           8
        .value_kind:     global_buffer
      - .offset:         144
        .size:           4
        .value_kind:     hidden_block_count_x
      - .offset:         148
        .size:           4
        .value_kind:     hidden_block_count_y
      - .offset:         152
        .size:           4
        .value_kind:     hidden_block_count_z
      - .offset:         156
        .size:           2
        .value_kind:     hidden_group_size_x
      - .offset:         158
        .size:           2
        .value_kind:     hidden_group_size_y
      - .offset:         160
        .size:           2
        .value_kind:     hidden_group_size_z
      - .offset:         162
        .size:           2
        .value_kind:     hidden_remainder_x
      - .offset:         164
        .size:           2
        .value_kind:     hidden_remainder_y
      - .offset:         166
        .size:           2
        .value_kind:     hidden_remainder_z
      - .offset:         184
        .size:           8
        .value_kind:     hidden_global_offset_x
      - .offset:         192
        .size:           8
        .value_kind:     hidden_global_offset_y
      - .offset:         200
        .size:           8
        .value_kind:     hidden_global_offset_z
      - .offset:         208
        .size:           2
        .value_kind:     hidden_grid_dims
    .group_segment_fixed_size: 8192
    .kernarg_segment_align: 8
    .kernarg_segment_size: 400
    .language:       OpenCL C
    .language_version:
      - 2
      - 0
    .max_flat_workgroup_size: 256
    .name:           _Z39paged_attention_ll4mi_QKV_mfma16_kernelI14__hip_bfloat16hLN4vllm18Fp8KVCacheDataTypeE1ES0_Li32ELi64ELi256ELb0ELi9EEvPKT_PKT0_S8_ifPKiSA_SA_iPKfiiiPfSD_PS3_PT2_iSC_SC_
    .private_segment_fixed_size: 0
    .sgpr_count:     56
    .sgpr_spill_count: 0
    .symbol:         _Z39paged_attention_ll4mi_QKV_mfma16_kernelI14__hip_bfloat16hLN4vllm18Fp8KVCacheDataTypeE1ES0_Li32ELi64ELi256ELb0ELi9EEvPKT_PKT0_S8_ifPKiSA_SA_iPKfiiiPfSD_PS3_PT2_iSC_SC_.kd
    .uniform_work_group_size: 1
    .uses_dynamic_stack: false
    .vgpr_count:     54
    .vgpr_spill_count: 0
    .wavefront_size: 64
  - .agpr_count:     0
    .args:
      - .actual_access:  read_only
        .address_space:  global
        .offset:         0
        .size:           8
        .value_kind:     global_buffer
      - .actual_access:  read_only
        .address_space:  global
        .offset:         8
        .size:           8
        .value_kind:     global_buffer
      - .actual_access:  read_only
        .address_space:  global
        .offset:         16
        .size:           8
        .value_kind:     global_buffer
      - .offset:         24
        .size:           4
        .value_kind:     by_value
      - .offset:         28
        .size:           4
        .value_kind:     by_value
      - .actual_access:  read_only
        .address_space:  global
        .offset:         32
        .size:           8
        .value_kind:     global_buffer
      - .actual_access:  read_only
        .address_space:  global
        .offset:         40
        .size:           8
        .value_kind:     global_buffer
      - .actual_access:  read_only
        .address_space:  global
        .offset:         48
        .size:           8
        .value_kind:     global_buffer
      - .offset:         56
        .size:           4
        .value_kind:     by_value
      - .actual_access:  read_only
        .address_space:  global
        .offset:         64
        .size:           8
        .value_kind:     global_buffer
      - .offset:         72
        .size:           4
        .value_kind:     by_value
      - .offset:         76
        .size:           4
        .value_kind:     by_value
      - .offset:         80
        .size:           4
        .value_kind:     by_value
      - .actual_access:  write_only
        .address_space:  global
        .offset:         88
        .size:           8
        .value_kind:     global_buffer
      - .actual_access:  write_only
        .address_space:  global
        .offset:         96
        .size:           8
        .value_kind:     global_buffer
      - .actual_access:  write_only
        .address_space:  global
        .offset:         104
        .size:           8
        .value_kind:     global_buffer
      - .actual_access:  read_only
        .address_space:  global
        .offset:         112
        .size:           8
        .value_kind:     global_buffer
      - .offset:         120
        .size:           4
        .value_kind:     by_value
      - .address_space:  global
        .offset:         128
        .size:           8
        .value_kind:     global_buffer
      - .address_space:  global
        .offset:         136
        .size:           8
        .value_kind:     global_buffer
      - .offset:         144
        .size:           4
        .value_kind:     hidden_block_count_x
      - .offset:         148
        .size:           4
        .value_kind:     hidden_block_count_y
      - .offset:         152
        .size:           4
        .value_kind:     hidden_block_count_z
      - .offset:         156
        .size:           2
        .value_kind:     hidden_group_size_x
      - .offset:         158
        .size:           2
        .value_kind:     hidden_group_size_y
      - .offset:         160
        .size:           2
        .value_kind:     hidden_group_size_z
      - .offset:         162
        .size:           2
        .value_kind:     hidden_remainder_x
      - .offset:         164
        .size:           2
        .value_kind:     hidden_remainder_y
      - .offset:         166
        .size:           2
        .value_kind:     hidden_remainder_z
      - .offset:         184
        .size:           8
        .value_kind:     hidden_global_offset_x
      - .offset:         192
        .size:           8
        .value_kind:     hidden_global_offset_y
      - .offset:         200
        .size:           8
        .value_kind:     hidden_global_offset_z
      - .offset:         208
        .size:           2
        .value_kind:     hidden_grid_dims
    .group_segment_fixed_size: 8192
    .kernarg_segment_align: 8
    .kernarg_segment_size: 400
    .language:       OpenCL C
    .language_version:
      - 2
      - 0
    .max_flat_workgroup_size: 256
    .name:           _Z39paged_attention_ll4mi_QKV_mfma16_kernelI14__hip_bfloat16hLN4vllm18Fp8KVCacheDataTypeE1ES0_Li32ELi64ELi256ELb0ELi10EEvPKT_PKT0_S8_ifPKiSA_SA_iPKfiiiPfSD_PS3_PT2_iSC_SC_
    .private_segment_fixed_size: 0
    .sgpr_count:     56
    .sgpr_spill_count: 0
    .symbol:         _Z39paged_attention_ll4mi_QKV_mfma16_kernelI14__hip_bfloat16hLN4vllm18Fp8KVCacheDataTypeE1ES0_Li32ELi64ELi256ELb0ELi10EEvPKT_PKT0_S8_ifPKiSA_SA_iPKfiiiPfSD_PS3_PT2_iSC_SC_.kd
    .uniform_work_group_size: 1
    .uses_dynamic_stack: false
    .vgpr_count:     54
    .vgpr_spill_count: 0
    .wavefront_size: 64
  - .agpr_count:     0
    .args:
      - .actual_access:  read_only
        .address_space:  global
        .offset:         0
        .size:           8
        .value_kind:     global_buffer
      - .actual_access:  read_only
        .address_space:  global
        .offset:         8
        .size:           8
        .value_kind:     global_buffer
      - .actual_access:  read_only
        .address_space:  global
        .offset:         16
        .size:           8
        .value_kind:     global_buffer
      - .offset:         24
        .size:           4
        .value_kind:     by_value
      - .offset:         28
        .size:           4
        .value_kind:     by_value
      - .actual_access:  read_only
        .address_space:  global
        .offset:         32
        .size:           8
        .value_kind:     global_buffer
      - .actual_access:  read_only
        .address_space:  global
        .offset:         40
        .size:           8
        .value_kind:     global_buffer
      - .actual_access:  read_only
        .address_space:  global
        .offset:         48
        .size:           8
        .value_kind:     global_buffer
      - .offset:         56
        .size:           4
        .value_kind:     by_value
      - .actual_access:  read_only
        .address_space:  global
        .offset:         64
        .size:           8
        .value_kind:     global_buffer
      - .offset:         72
        .size:           4
        .value_kind:     by_value
      - .offset:         76
        .size:           4
        .value_kind:     by_value
      - .offset:         80
        .size:           4
        .value_kind:     by_value
      - .actual_access:  write_only
        .address_space:  global
        .offset:         88
        .size:           8
        .value_kind:     global_buffer
      - .actual_access:  write_only
        .address_space:  global
        .offset:         96
        .size:           8
        .value_kind:     global_buffer
      - .actual_access:  write_only
        .address_space:  global
        .offset:         104
        .size:           8
        .value_kind:     global_buffer
      - .actual_access:  read_only
        .address_space:  global
        .offset:         112
        .size:           8
        .value_kind:     global_buffer
      - .offset:         120
        .size:           4
        .value_kind:     by_value
      - .address_space:  global
        .offset:         128
        .size:           8
        .value_kind:     global_buffer
      - .address_space:  global
        .offset:         136
        .size:           8
        .value_kind:     global_buffer
      - .offset:         144
        .size:           4
        .value_kind:     hidden_block_count_x
      - .offset:         148
        .size:           4
        .value_kind:     hidden_block_count_y
      - .offset:         152
        .size:           4
        .value_kind:     hidden_block_count_z
      - .offset:         156
        .size:           2
        .value_kind:     hidden_group_size_x
      - .offset:         158
        .size:           2
        .value_kind:     hidden_group_size_y
      - .offset:         160
        .size:           2
        .value_kind:     hidden_group_size_z
      - .offset:         162
        .size:           2
        .value_kind:     hidden_remainder_x
      - .offset:         164
        .size:           2
        .value_kind:     hidden_remainder_y
      - .offset:         166
        .size:           2
        .value_kind:     hidden_remainder_z
      - .offset:         184
        .size:           8
        .value_kind:     hidden_global_offset_x
      - .offset:         192
        .size:           8
        .value_kind:     hidden_global_offset_y
      - .offset:         200
        .size:           8
        .value_kind:     hidden_global_offset_z
      - .offset:         208
        .size:           2
        .value_kind:     hidden_grid_dims
    .group_segment_fixed_size: 8192
    .kernarg_segment_align: 8
    .kernarg_segment_size: 400
    .language:       OpenCL C
    .language_version:
      - 2
      - 0
    .max_flat_workgroup_size: 256
    .name:           _Z39paged_attention_ll4mi_QKV_mfma16_kernelI14__hip_bfloat16hLN4vllm18Fp8KVCacheDataTypeE1ES0_Li32ELi64ELi256ELb0ELi11EEvPKT_PKT0_S8_ifPKiSA_SA_iPKfiiiPfSD_PS3_PT2_iSC_SC_
    .private_segment_fixed_size: 0
    .sgpr_count:     56
    .sgpr_spill_count: 0
    .symbol:         _Z39paged_attention_ll4mi_QKV_mfma16_kernelI14__hip_bfloat16hLN4vllm18Fp8KVCacheDataTypeE1ES0_Li32ELi64ELi256ELb0ELi11EEvPKT_PKT0_S8_ifPKiSA_SA_iPKfiiiPfSD_PS3_PT2_iSC_SC_.kd
    .uniform_work_group_size: 1
    .uses_dynamic_stack: false
    .vgpr_count:     54
    .vgpr_spill_count: 0
    .wavefront_size: 64
  - .agpr_count:     0
    .args:
      - .actual_access:  read_only
        .address_space:  global
        .offset:         0
        .size:           8
        .value_kind:     global_buffer
      - .actual_access:  read_only
        .address_space:  global
        .offset:         8
        .size:           8
        .value_kind:     global_buffer
      - .actual_access:  read_only
        .address_space:  global
        .offset:         16
        .size:           8
        .value_kind:     global_buffer
      - .offset:         24
        .size:           4
        .value_kind:     by_value
      - .offset:         28
        .size:           4
        .value_kind:     by_value
      - .actual_access:  read_only
        .address_space:  global
        .offset:         32
        .size:           8
        .value_kind:     global_buffer
      - .actual_access:  read_only
        .address_space:  global
        .offset:         40
        .size:           8
        .value_kind:     global_buffer
      - .actual_access:  read_only
        .address_space:  global
        .offset:         48
        .size:           8
        .value_kind:     global_buffer
      - .offset:         56
        .size:           4
        .value_kind:     by_value
      - .actual_access:  read_only
        .address_space:  global
        .offset:         64
        .size:           8
        .value_kind:     global_buffer
      - .offset:         72
        .size:           4
        .value_kind:     by_value
      - .offset:         76
        .size:           4
        .value_kind:     by_value
      - .offset:         80
        .size:           4
        .value_kind:     by_value
      - .actual_access:  write_only
        .address_space:  global
        .offset:         88
        .size:           8
        .value_kind:     global_buffer
      - .actual_access:  write_only
        .address_space:  global
        .offset:         96
        .size:           8
        .value_kind:     global_buffer
      - .actual_access:  write_only
        .address_space:  global
        .offset:         104
        .size:           8
        .value_kind:     global_buffer
      - .actual_access:  read_only
        .address_space:  global
        .offset:         112
        .size:           8
        .value_kind:     global_buffer
      - .offset:         120
        .size:           4
        .value_kind:     by_value
      - .address_space:  global
        .offset:         128
        .size:           8
        .value_kind:     global_buffer
      - .address_space:  global
        .offset:         136
        .size:           8
        .value_kind:     global_buffer
      - .offset:         144
        .size:           4
        .value_kind:     hidden_block_count_x
      - .offset:         148
        .size:           4
        .value_kind:     hidden_block_count_y
      - .offset:         152
        .size:           4
        .value_kind:     hidden_block_count_z
      - .offset:         156
        .size:           2
        .value_kind:     hidden_group_size_x
      - .offset:         158
        .size:           2
        .value_kind:     hidden_group_size_y
      - .offset:         160
        .size:           2
        .value_kind:     hidden_group_size_z
      - .offset:         162
        .size:           2
        .value_kind:     hidden_remainder_x
      - .offset:         164
        .size:           2
        .value_kind:     hidden_remainder_y
      - .offset:         166
        .size:           2
        .value_kind:     hidden_remainder_z
      - .offset:         184
        .size:           8
        .value_kind:     hidden_global_offset_x
      - .offset:         192
        .size:           8
        .value_kind:     hidden_global_offset_y
      - .offset:         200
        .size:           8
        .value_kind:     hidden_global_offset_z
      - .offset:         208
        .size:           2
        .value_kind:     hidden_grid_dims
    .group_segment_fixed_size: 8192
    .kernarg_segment_align: 8
    .kernarg_segment_size: 400
    .language:       OpenCL C
    .language_version:
      - 2
      - 0
    .max_flat_workgroup_size: 256
    .name:           _Z39paged_attention_ll4mi_QKV_mfma16_kernelI14__hip_bfloat16hLN4vllm18Fp8KVCacheDataTypeE1ES0_Li32ELi64ELi256ELb0ELi12EEvPKT_PKT0_S8_ifPKiSA_SA_iPKfiiiPfSD_PS3_PT2_iSC_SC_
    .private_segment_fixed_size: 0
    .sgpr_count:     56
    .sgpr_spill_count: 0
    .symbol:         _Z39paged_attention_ll4mi_QKV_mfma16_kernelI14__hip_bfloat16hLN4vllm18Fp8KVCacheDataTypeE1ES0_Li32ELi64ELi256ELb0ELi12EEvPKT_PKT0_S8_ifPKiSA_SA_iPKfiiiPfSD_PS3_PT2_iSC_SC_.kd
    .uniform_work_group_size: 1
    .uses_dynamic_stack: false
    .vgpr_count:     54
    .vgpr_spill_count: 0
    .wavefront_size: 64
  - .agpr_count:     0
    .args:
      - .actual_access:  read_only
        .address_space:  global
        .offset:         0
        .size:           8
        .value_kind:     global_buffer
      - .actual_access:  read_only
        .address_space:  global
        .offset:         8
        .size:           8
        .value_kind:     global_buffer
      - .actual_access:  read_only
        .address_space:  global
        .offset:         16
        .size:           8
        .value_kind:     global_buffer
      - .offset:         24
        .size:           4
        .value_kind:     by_value
      - .offset:         28
        .size:           4
        .value_kind:     by_value
      - .actual_access:  read_only
        .address_space:  global
        .offset:         32
        .size:           8
        .value_kind:     global_buffer
      - .actual_access:  read_only
        .address_space:  global
        .offset:         40
        .size:           8
        .value_kind:     global_buffer
      - .actual_access:  read_only
        .address_space:  global
        .offset:         48
        .size:           8
        .value_kind:     global_buffer
      - .offset:         56
        .size:           4
        .value_kind:     by_value
      - .actual_access:  read_only
        .address_space:  global
        .offset:         64
        .size:           8
        .value_kind:     global_buffer
      - .offset:         72
        .size:           4
        .value_kind:     by_value
      - .offset:         76
        .size:           4
        .value_kind:     by_value
      - .offset:         80
        .size:           4
        .value_kind:     by_value
      - .actual_access:  write_only
        .address_space:  global
        .offset:         88
        .size:           8
        .value_kind:     global_buffer
      - .actual_access:  write_only
        .address_space:  global
        .offset:         96
        .size:           8
        .value_kind:     global_buffer
      - .actual_access:  write_only
        .address_space:  global
        .offset:         104
        .size:           8
        .value_kind:     global_buffer
      - .actual_access:  read_only
        .address_space:  global
        .offset:         112
        .size:           8
        .value_kind:     global_buffer
      - .offset:         120
        .size:           4
        .value_kind:     by_value
      - .address_space:  global
        .offset:         128
        .size:           8
        .value_kind:     global_buffer
      - .address_space:  global
        .offset:         136
        .size:           8
        .value_kind:     global_buffer
      - .offset:         144
        .size:           4
        .value_kind:     hidden_block_count_x
      - .offset:         148
        .size:           4
        .value_kind:     hidden_block_count_y
      - .offset:         152
        .size:           4
        .value_kind:     hidden_block_count_z
      - .offset:         156
        .size:           2
        .value_kind:     hidden_group_size_x
      - .offset:         158
        .size:           2
        .value_kind:     hidden_group_size_y
      - .offset:         160
        .size:           2
        .value_kind:     hidden_group_size_z
      - .offset:         162
        .size:           2
        .value_kind:     hidden_remainder_x
      - .offset:         164
        .size:           2
        .value_kind:     hidden_remainder_y
      - .offset:         166
        .size:           2
        .value_kind:     hidden_remainder_z
      - .offset:         184
        .size:           8
        .value_kind:     hidden_global_offset_x
      - .offset:         192
        .size:           8
        .value_kind:     hidden_global_offset_y
      - .offset:         200
        .size:           8
        .value_kind:     hidden_global_offset_z
      - .offset:         208
        .size:           2
        .value_kind:     hidden_grid_dims
    .group_segment_fixed_size: 8192
    .kernarg_segment_align: 8
    .kernarg_segment_size: 400
    .language:       OpenCL C
    .language_version:
      - 2
      - 0
    .max_flat_workgroup_size: 256
    .name:           _Z39paged_attention_ll4mi_QKV_mfma16_kernelI14__hip_bfloat16hLN4vllm18Fp8KVCacheDataTypeE1ES0_Li32ELi64ELi256ELb0ELi13EEvPKT_PKT0_S8_ifPKiSA_SA_iPKfiiiPfSD_PS3_PT2_iSC_SC_
    .private_segment_fixed_size: 0
    .sgpr_count:     56
    .sgpr_spill_count: 0
    .symbol:         _Z39paged_attention_ll4mi_QKV_mfma16_kernelI14__hip_bfloat16hLN4vllm18Fp8KVCacheDataTypeE1ES0_Li32ELi64ELi256ELb0ELi13EEvPKT_PKT0_S8_ifPKiSA_SA_iPKfiiiPfSD_PS3_PT2_iSC_SC_.kd
    .uniform_work_group_size: 1
    .uses_dynamic_stack: false
    .vgpr_count:     54
    .vgpr_spill_count: 0
    .wavefront_size: 64
  - .agpr_count:     0
    .args:
      - .actual_access:  read_only
        .address_space:  global
        .offset:         0
        .size:           8
        .value_kind:     global_buffer
      - .actual_access:  read_only
        .address_space:  global
        .offset:         8
        .size:           8
        .value_kind:     global_buffer
      - .actual_access:  read_only
        .address_space:  global
        .offset:         16
        .size:           8
        .value_kind:     global_buffer
      - .offset:         24
        .size:           4
        .value_kind:     by_value
      - .offset:         28
        .size:           4
        .value_kind:     by_value
      - .actual_access:  read_only
        .address_space:  global
        .offset:         32
        .size:           8
        .value_kind:     global_buffer
      - .actual_access:  read_only
        .address_space:  global
        .offset:         40
        .size:           8
        .value_kind:     global_buffer
      - .actual_access:  read_only
        .address_space:  global
        .offset:         48
        .size:           8
        .value_kind:     global_buffer
      - .offset:         56
        .size:           4
        .value_kind:     by_value
      - .actual_access:  read_only
        .address_space:  global
        .offset:         64
        .size:           8
        .value_kind:     global_buffer
      - .offset:         72
        .size:           4
        .value_kind:     by_value
      - .offset:         76
        .size:           4
        .value_kind:     by_value
      - .offset:         80
        .size:           4
        .value_kind:     by_value
      - .actual_access:  write_only
        .address_space:  global
        .offset:         88
        .size:           8
        .value_kind:     global_buffer
      - .actual_access:  write_only
        .address_space:  global
        .offset:         96
        .size:           8
        .value_kind:     global_buffer
      - .actual_access:  write_only
        .address_space:  global
        .offset:         104
        .size:           8
        .value_kind:     global_buffer
      - .actual_access:  read_only
        .address_space:  global
        .offset:         112
        .size:           8
        .value_kind:     global_buffer
      - .offset:         120
        .size:           4
        .value_kind:     by_value
      - .address_space:  global
        .offset:         128
        .size:           8
        .value_kind:     global_buffer
      - .address_space:  global
        .offset:         136
        .size:           8
        .value_kind:     global_buffer
      - .offset:         144
        .size:           4
        .value_kind:     hidden_block_count_x
      - .offset:         148
        .size:           4
        .value_kind:     hidden_block_count_y
      - .offset:         152
        .size:           4
        .value_kind:     hidden_block_count_z
      - .offset:         156
        .size:           2
        .value_kind:     hidden_group_size_x
      - .offset:         158
        .size:           2
        .value_kind:     hidden_group_size_y
      - .offset:         160
        .size:           2
        .value_kind:     hidden_group_size_z
      - .offset:         162
        .size:           2
        .value_kind:     hidden_remainder_x
      - .offset:         164
        .size:           2
        .value_kind:     hidden_remainder_y
      - .offset:         166
        .size:           2
        .value_kind:     hidden_remainder_z
      - .offset:         184
        .size:           8
        .value_kind:     hidden_global_offset_x
      - .offset:         192
        .size:           8
        .value_kind:     hidden_global_offset_y
      - .offset:         200
        .size:           8
        .value_kind:     hidden_global_offset_z
      - .offset:         208
        .size:           2
        .value_kind:     hidden_grid_dims
    .group_segment_fixed_size: 8192
    .kernarg_segment_align: 8
    .kernarg_segment_size: 400
    .language:       OpenCL C
    .language_version:
      - 2
      - 0
    .max_flat_workgroup_size: 256
    .name:           _Z39paged_attention_ll4mi_QKV_mfma16_kernelI14__hip_bfloat16hLN4vllm18Fp8KVCacheDataTypeE1ES0_Li32ELi64ELi256ELb0ELi14EEvPKT_PKT0_S8_ifPKiSA_SA_iPKfiiiPfSD_PS3_PT2_iSC_SC_
    .private_segment_fixed_size: 0
    .sgpr_count:     56
    .sgpr_spill_count: 0
    .symbol:         _Z39paged_attention_ll4mi_QKV_mfma16_kernelI14__hip_bfloat16hLN4vllm18Fp8KVCacheDataTypeE1ES0_Li32ELi64ELi256ELb0ELi14EEvPKT_PKT0_S8_ifPKiSA_SA_iPKfiiiPfSD_PS3_PT2_iSC_SC_.kd
    .uniform_work_group_size: 1
    .uses_dynamic_stack: false
    .vgpr_count:     54
    .vgpr_spill_count: 0
    .wavefront_size: 64
  - .agpr_count:     0
    .args:
      - .actual_access:  read_only
        .address_space:  global
        .offset:         0
        .size:           8
        .value_kind:     global_buffer
      - .actual_access:  read_only
        .address_space:  global
        .offset:         8
        .size:           8
        .value_kind:     global_buffer
      - .actual_access:  read_only
        .address_space:  global
        .offset:         16
        .size:           8
        .value_kind:     global_buffer
      - .offset:         24
        .size:           4
        .value_kind:     by_value
      - .offset:         28
        .size:           4
        .value_kind:     by_value
      - .actual_access:  read_only
        .address_space:  global
        .offset:         32
        .size:           8
        .value_kind:     global_buffer
      - .actual_access:  read_only
        .address_space:  global
        .offset:         40
        .size:           8
        .value_kind:     global_buffer
      - .actual_access:  read_only
        .address_space:  global
        .offset:         48
        .size:           8
        .value_kind:     global_buffer
      - .offset:         56
        .size:           4
        .value_kind:     by_value
      - .actual_access:  read_only
        .address_space:  global
        .offset:         64
        .size:           8
        .value_kind:     global_buffer
      - .offset:         72
        .size:           4
        .value_kind:     by_value
      - .offset:         76
        .size:           4
        .value_kind:     by_value
      - .offset:         80
        .size:           4
        .value_kind:     by_value
      - .actual_access:  write_only
        .address_space:  global
        .offset:         88
        .size:           8
        .value_kind:     global_buffer
      - .actual_access:  write_only
        .address_space:  global
        .offset:         96
        .size:           8
        .value_kind:     global_buffer
      - .actual_access:  write_only
        .address_space:  global
        .offset:         104
        .size:           8
        .value_kind:     global_buffer
      - .actual_access:  read_only
        .address_space:  global
        .offset:         112
        .size:           8
        .value_kind:     global_buffer
      - .offset:         120
        .size:           4
        .value_kind:     by_value
      - .address_space:  global
        .offset:         128
        .size:           8
        .value_kind:     global_buffer
      - .address_space:  global
        .offset:         136
        .size:           8
        .value_kind:     global_buffer
      - .offset:         144
        .size:           4
        .value_kind:     hidden_block_count_x
      - .offset:         148
        .size:           4
        .value_kind:     hidden_block_count_y
      - .offset:         152
        .size:           4
        .value_kind:     hidden_block_count_z
      - .offset:         156
        .size:           2
        .value_kind:     hidden_group_size_x
      - .offset:         158
        .size:           2
        .value_kind:     hidden_group_size_y
      - .offset:         160
        .size:           2
        .value_kind:     hidden_group_size_z
      - .offset:         162
        .size:           2
        .value_kind:     hidden_remainder_x
      - .offset:         164
        .size:           2
        .value_kind:     hidden_remainder_y
      - .offset:         166
        .size:           2
        .value_kind:     hidden_remainder_z
      - .offset:         184
        .size:           8
        .value_kind:     hidden_global_offset_x
      - .offset:         192
        .size:           8
        .value_kind:     hidden_global_offset_y
      - .offset:         200
        .size:           8
        .value_kind:     hidden_global_offset_z
      - .offset:         208
        .size:           2
        .value_kind:     hidden_grid_dims
    .group_segment_fixed_size: 8192
    .kernarg_segment_align: 8
    .kernarg_segment_size: 400
    .language:       OpenCL C
    .language_version:
      - 2
      - 0
    .max_flat_workgroup_size: 256
    .name:           _Z39paged_attention_ll4mi_QKV_mfma16_kernelI14__hip_bfloat16hLN4vllm18Fp8KVCacheDataTypeE1ES0_Li32ELi64ELi256ELb0ELi15EEvPKT_PKT0_S8_ifPKiSA_SA_iPKfiiiPfSD_PS3_PT2_iSC_SC_
    .private_segment_fixed_size: 0
    .sgpr_count:     56
    .sgpr_spill_count: 0
    .symbol:         _Z39paged_attention_ll4mi_QKV_mfma16_kernelI14__hip_bfloat16hLN4vllm18Fp8KVCacheDataTypeE1ES0_Li32ELi64ELi256ELb0ELi15EEvPKT_PKT0_S8_ifPKiSA_SA_iPKfiiiPfSD_PS3_PT2_iSC_SC_.kd
    .uniform_work_group_size: 1
    .uses_dynamic_stack: false
    .vgpr_count:     54
    .vgpr_spill_count: 0
    .wavefront_size: 64
  - .agpr_count:     0
    .args:
      - .actual_access:  read_only
        .address_space:  global
        .offset:         0
        .size:           8
        .value_kind:     global_buffer
      - .actual_access:  read_only
        .address_space:  global
        .offset:         8
        .size:           8
        .value_kind:     global_buffer
      - .actual_access:  read_only
        .address_space:  global
        .offset:         16
        .size:           8
        .value_kind:     global_buffer
      - .offset:         24
        .size:           4
        .value_kind:     by_value
      - .offset:         28
        .size:           4
        .value_kind:     by_value
      - .actual_access:  read_only
        .address_space:  global
        .offset:         32
        .size:           8
        .value_kind:     global_buffer
      - .actual_access:  read_only
        .address_space:  global
        .offset:         40
        .size:           8
        .value_kind:     global_buffer
      - .actual_access:  read_only
        .address_space:  global
        .offset:         48
        .size:           8
        .value_kind:     global_buffer
      - .offset:         56
        .size:           4
        .value_kind:     by_value
      - .actual_access:  read_only
        .address_space:  global
        .offset:         64
        .size:           8
        .value_kind:     global_buffer
      - .offset:         72
        .size:           4
        .value_kind:     by_value
      - .offset:         76
        .size:           4
        .value_kind:     by_value
      - .offset:         80
        .size:           4
        .value_kind:     by_value
      - .actual_access:  write_only
        .address_space:  global
        .offset:         88
        .size:           8
        .value_kind:     global_buffer
      - .actual_access:  write_only
        .address_space:  global
        .offset:         96
        .size:           8
        .value_kind:     global_buffer
      - .actual_access:  write_only
        .address_space:  global
        .offset:         104
        .size:           8
        .value_kind:     global_buffer
      - .actual_access:  read_only
        .address_space:  global
        .offset:         112
        .size:           8
        .value_kind:     global_buffer
      - .offset:         120
        .size:           4
        .value_kind:     by_value
      - .address_space:  global
        .offset:         128
        .size:           8
        .value_kind:     global_buffer
      - .address_space:  global
        .offset:         136
        .size:           8
        .value_kind:     global_buffer
      - .offset:         144
        .size:           4
        .value_kind:     hidden_block_count_x
      - .offset:         148
        .size:           4
        .value_kind:     hidden_block_count_y
      - .offset:         152
        .size:           4
        .value_kind:     hidden_block_count_z
      - .offset:         156
        .size:           2
        .value_kind:     hidden_group_size_x
      - .offset:         158
        .size:           2
        .value_kind:     hidden_group_size_y
      - .offset:         160
        .size:           2
        .value_kind:     hidden_group_size_z
      - .offset:         162
        .size:           2
        .value_kind:     hidden_remainder_x
      - .offset:         164
        .size:           2
        .value_kind:     hidden_remainder_y
      - .offset:         166
        .size:           2
        .value_kind:     hidden_remainder_z
      - .offset:         184
        .size:           8
        .value_kind:     hidden_global_offset_x
      - .offset:         192
        .size:           8
        .value_kind:     hidden_global_offset_y
      - .offset:         200
        .size:           8
        .value_kind:     hidden_global_offset_z
      - .offset:         208
        .size:           2
        .value_kind:     hidden_grid_dims
    .group_segment_fixed_size: 8192
    .kernarg_segment_align: 8
    .kernarg_segment_size: 400
    .language:       OpenCL C
    .language_version:
      - 2
      - 0
    .max_flat_workgroup_size: 256
    .name:           _Z39paged_attention_ll4mi_QKV_mfma16_kernelI14__hip_bfloat16hLN4vllm18Fp8KVCacheDataTypeE1ES0_Li32ELi64ELi256ELb0ELi16EEvPKT_PKT0_S8_ifPKiSA_SA_iPKfiiiPfSD_PS3_PT2_iSC_SC_
    .private_segment_fixed_size: 0
    .sgpr_count:     55
    .sgpr_spill_count: 0
    .symbol:         _Z39paged_attention_ll4mi_QKV_mfma16_kernelI14__hip_bfloat16hLN4vllm18Fp8KVCacheDataTypeE1ES0_Li32ELi64ELi256ELb0ELi16EEvPKT_PKT0_S8_ifPKiSA_SA_iPKfiiiPfSD_PS3_PT2_iSC_SC_.kd
    .uniform_work_group_size: 1
    .uses_dynamic_stack: false
    .vgpr_count:     56
    .vgpr_spill_count: 0
    .wavefront_size: 64
  - .agpr_count:     0
    .args:
      - .actual_access:  read_only
        .address_space:  global
        .offset:         0
        .size:           8
        .value_kind:     global_buffer
      - .actual_access:  read_only
        .address_space:  global
        .offset:         8
        .size:           8
        .value_kind:     global_buffer
      - .actual_access:  read_only
        .address_space:  global
        .offset:         16
        .size:           8
        .value_kind:     global_buffer
      - .offset:         24
        .size:           4
        .value_kind:     by_value
      - .offset:         28
        .size:           4
        .value_kind:     by_value
      - .actual_access:  read_only
        .address_space:  global
        .offset:         32
        .size:           8
        .value_kind:     global_buffer
      - .actual_access:  read_only
        .address_space:  global
        .offset:         40
        .size:           8
        .value_kind:     global_buffer
      - .actual_access:  read_only
        .address_space:  global
        .offset:         48
        .size:           8
        .value_kind:     global_buffer
      - .offset:         56
        .size:           4
        .value_kind:     by_value
      - .actual_access:  read_only
        .address_space:  global
        .offset:         64
        .size:           8
        .value_kind:     global_buffer
      - .offset:         72
        .size:           4
        .value_kind:     by_value
      - .offset:         76
        .size:           4
        .value_kind:     by_value
      - .offset:         80
        .size:           4
        .value_kind:     by_value
      - .actual_access:  write_only
        .address_space:  global
        .offset:         88
        .size:           8
        .value_kind:     global_buffer
      - .actual_access:  write_only
        .address_space:  global
        .offset:         96
        .size:           8
        .value_kind:     global_buffer
      - .actual_access:  write_only
        .address_space:  global
        .offset:         104
        .size:           8
        .value_kind:     global_buffer
      - .actual_access:  read_only
        .address_space:  global
        .offset:         112
        .size:           8
        .value_kind:     global_buffer
      - .offset:         120
        .size:           4
        .value_kind:     by_value
      - .address_space:  global
        .offset:         128
        .size:           8
        .value_kind:     global_buffer
      - .address_space:  global
        .offset:         136
        .size:           8
        .value_kind:     global_buffer
      - .offset:         144
        .size:           4
        .value_kind:     hidden_block_count_x
      - .offset:         148
        .size:           4
        .value_kind:     hidden_block_count_y
      - .offset:         152
        .size:           4
        .value_kind:     hidden_block_count_z
      - .offset:         156
        .size:           2
        .value_kind:     hidden_group_size_x
      - .offset:         158
        .size:           2
        .value_kind:     hidden_group_size_y
      - .offset:         160
        .size:           2
        .value_kind:     hidden_group_size_z
      - .offset:         162
        .size:           2
        .value_kind:     hidden_remainder_x
      - .offset:         164
        .size:           2
        .value_kind:     hidden_remainder_y
      - .offset:         166
        .size:           2
        .value_kind:     hidden_remainder_z
      - .offset:         184
        .size:           8
        .value_kind:     hidden_global_offset_x
      - .offset:         192
        .size:           8
        .value_kind:     hidden_global_offset_y
      - .offset:         200
        .size:           8
        .value_kind:     hidden_global_offset_z
      - .offset:         208
        .size:           2
        .value_kind:     hidden_grid_dims
    .group_segment_fixed_size: 8192
    .kernarg_segment_align: 8
    .kernarg_segment_size: 400
    .language:       OpenCL C
    .language_version:
      - 2
      - 0
    .max_flat_workgroup_size: 256
    .name:           _Z39paged_attention_ll4mi_QKV_mfma16_kernelI14__hip_bfloat16hLN4vllm18Fp8KVCacheDataTypeE1ES0_Li32ELi64ELi256ELb0ELi1EEvPKT_PKT0_S8_ifPKiSA_SA_iPKfiiiPfSD_PS3_PT2_iSC_SC_
    .private_segment_fixed_size: 0
    .sgpr_count:     54
    .sgpr_spill_count: 0
    .symbol:         _Z39paged_attention_ll4mi_QKV_mfma16_kernelI14__hip_bfloat16hLN4vllm18Fp8KVCacheDataTypeE1ES0_Li32ELi64ELi256ELb0ELi1EEvPKT_PKT0_S8_ifPKiSA_SA_iPKfiiiPfSD_PS3_PT2_iSC_SC_.kd
    .uniform_work_group_size: 1
    .uses_dynamic_stack: false
    .vgpr_count:     56
    .vgpr_spill_count: 0
    .wavefront_size: 64
  - .agpr_count:     0
    .args:
      - .actual_access:  read_only
        .address_space:  global
        .offset:         0
        .size:           8
        .value_kind:     global_buffer
      - .actual_access:  read_only
        .address_space:  global
        .offset:         8
        .size:           8
        .value_kind:     global_buffer
      - .actual_access:  read_only
        .address_space:  global
        .offset:         16
        .size:           8
        .value_kind:     global_buffer
      - .offset:         24
        .size:           4
        .value_kind:     by_value
      - .offset:         28
        .size:           4
        .value_kind:     by_value
      - .actual_access:  read_only
        .address_space:  global
        .offset:         32
        .size:           8
        .value_kind:     global_buffer
      - .actual_access:  read_only
        .address_space:  global
        .offset:         40
        .size:           8
        .value_kind:     global_buffer
      - .actual_access:  read_only
        .address_space:  global
        .offset:         48
        .size:           8
        .value_kind:     global_buffer
      - .offset:         56
        .size:           4
        .value_kind:     by_value
      - .actual_access:  read_only
        .address_space:  global
        .offset:         64
        .size:           8
        .value_kind:     global_buffer
      - .offset:         72
        .size:           4
        .value_kind:     by_value
      - .offset:         76
        .size:           4
        .value_kind:     by_value
      - .offset:         80
        .size:           4
        .value_kind:     by_value
      - .actual_access:  write_only
        .address_space:  global
        .offset:         88
        .size:           8
        .value_kind:     global_buffer
      - .actual_access:  write_only
        .address_space:  global
        .offset:         96
        .size:           8
        .value_kind:     global_buffer
      - .actual_access:  write_only
        .address_space:  global
        .offset:         104
        .size:           8
        .value_kind:     global_buffer
      - .actual_access:  read_only
        .address_space:  global
        .offset:         112
        .size:           8
        .value_kind:     global_buffer
      - .offset:         120
        .size:           4
        .value_kind:     by_value
      - .address_space:  global
        .offset:         128
        .size:           8
        .value_kind:     global_buffer
      - .address_space:  global
        .offset:         136
        .size:           8
        .value_kind:     global_buffer
      - .offset:         144
        .size:           4
        .value_kind:     hidden_block_count_x
      - .offset:         148
        .size:           4
        .value_kind:     hidden_block_count_y
      - .offset:         152
        .size:           4
        .value_kind:     hidden_block_count_z
      - .offset:         156
        .size:           2
        .value_kind:     hidden_group_size_x
      - .offset:         158
        .size:           2
        .value_kind:     hidden_group_size_y
      - .offset:         160
        .size:           2
        .value_kind:     hidden_group_size_z
      - .offset:         162
        .size:           2
        .value_kind:     hidden_remainder_x
      - .offset:         164
        .size:           2
        .value_kind:     hidden_remainder_y
      - .offset:         166
        .size:           2
        .value_kind:     hidden_remainder_z
      - .offset:         184
        .size:           8
        .value_kind:     hidden_global_offset_x
      - .offset:         192
        .size:           8
        .value_kind:     hidden_global_offset_y
      - .offset:         200
        .size:           8
        .value_kind:     hidden_global_offset_z
      - .offset:         208
        .size:           2
        .value_kind:     hidden_grid_dims
    .group_segment_fixed_size: 8192
    .kernarg_segment_align: 8
    .kernarg_segment_size: 400
    .language:       OpenCL C
    .language_version:
      - 2
      - 0
    .max_flat_workgroup_size: 256
    .name:           _Z39paged_attention_ll4mi_QKV_mfma16_kernelI14__hip_bfloat16hLN4vllm18Fp8KVCacheDataTypeE1ES0_Li32ELi64ELi256ELb0ELi2EEvPKT_PKT0_S8_ifPKiSA_SA_iPKfiiiPfSD_PS3_PT2_iSC_SC_
    .private_segment_fixed_size: 0
    .sgpr_count:     55
    .sgpr_spill_count: 0
    .symbol:         _Z39paged_attention_ll4mi_QKV_mfma16_kernelI14__hip_bfloat16hLN4vllm18Fp8KVCacheDataTypeE1ES0_Li32ELi64ELi256ELb0ELi2EEvPKT_PKT0_S8_ifPKiSA_SA_iPKfiiiPfSD_PS3_PT2_iSC_SC_.kd
    .uniform_work_group_size: 1
    .uses_dynamic_stack: false
    .vgpr_count:     54
    .vgpr_spill_count: 0
    .wavefront_size: 64
  - .agpr_count:     0
    .args:
      - .actual_access:  read_only
        .address_space:  global
        .offset:         0
        .size:           8
        .value_kind:     global_buffer
      - .actual_access:  read_only
        .address_space:  global
        .offset:         8
        .size:           8
        .value_kind:     global_buffer
      - .actual_access:  read_only
        .address_space:  global
        .offset:         16
        .size:           8
        .value_kind:     global_buffer
      - .offset:         24
        .size:           4
        .value_kind:     by_value
      - .offset:         28
        .size:           4
        .value_kind:     by_value
      - .actual_access:  read_only
        .address_space:  global
        .offset:         32
        .size:           8
        .value_kind:     global_buffer
      - .actual_access:  read_only
        .address_space:  global
        .offset:         40
        .size:           8
        .value_kind:     global_buffer
      - .actual_access:  read_only
        .address_space:  global
        .offset:         48
        .size:           8
        .value_kind:     global_buffer
      - .offset:         56
        .size:           4
        .value_kind:     by_value
      - .actual_access:  read_only
        .address_space:  global
        .offset:         64
        .size:           8
        .value_kind:     global_buffer
      - .offset:         72
        .size:           4
        .value_kind:     by_value
      - .offset:         76
        .size:           4
        .value_kind:     by_value
      - .offset:         80
        .size:           4
        .value_kind:     by_value
      - .actual_access:  write_only
        .address_space:  global
        .offset:         88
        .size:           8
        .value_kind:     global_buffer
      - .actual_access:  write_only
        .address_space:  global
        .offset:         96
        .size:           8
        .value_kind:     global_buffer
      - .actual_access:  write_only
        .address_space:  global
        .offset:         104
        .size:           8
        .value_kind:     global_buffer
      - .actual_access:  read_only
        .address_space:  global
        .offset:         112
        .size:           8
        .value_kind:     global_buffer
      - .offset:         120
        .size:           4
        .value_kind:     by_value
      - .address_space:  global
        .offset:         128
        .size:           8
        .value_kind:     global_buffer
      - .address_space:  global
        .offset:         136
        .size:           8
        .value_kind:     global_buffer
      - .offset:         144
        .size:           4
        .value_kind:     hidden_block_count_x
      - .offset:         148
        .size:           4
        .value_kind:     hidden_block_count_y
      - .offset:         152
        .size:           4
        .value_kind:     hidden_block_count_z
      - .offset:         156
        .size:           2
        .value_kind:     hidden_group_size_x
      - .offset:         158
        .size:           2
        .value_kind:     hidden_group_size_y
      - .offset:         160
        .size:           2
        .value_kind:     hidden_group_size_z
      - .offset:         162
        .size:           2
        .value_kind:     hidden_remainder_x
      - .offset:         164
        .size:           2
        .value_kind:     hidden_remainder_y
      - .offset:         166
        .size:           2
        .value_kind:     hidden_remainder_z
      - .offset:         184
        .size:           8
        .value_kind:     hidden_global_offset_x
      - .offset:         192
        .size:           8
        .value_kind:     hidden_global_offset_y
      - .offset:         200
        .size:           8
        .value_kind:     hidden_global_offset_z
      - .offset:         208
        .size:           2
        .value_kind:     hidden_grid_dims
    .group_segment_fixed_size: 8192
    .kernarg_segment_align: 8
    .kernarg_segment_size: 400
    .language:       OpenCL C
    .language_version:
      - 2
      - 0
    .max_flat_workgroup_size: 256
    .name:           _Z39paged_attention_ll4mi_QKV_mfma16_kernelI14__hip_bfloat16hLN4vllm18Fp8KVCacheDataTypeE1ES0_Li32ELi64ELi256ELb0ELi3EEvPKT_PKT0_S8_ifPKiSA_SA_iPKfiiiPfSD_PS3_PT2_iSC_SC_
    .private_segment_fixed_size: 0
    .sgpr_count:     56
    .sgpr_spill_count: 0
    .symbol:         _Z39paged_attention_ll4mi_QKV_mfma16_kernelI14__hip_bfloat16hLN4vllm18Fp8KVCacheDataTypeE1ES0_Li32ELi64ELi256ELb0ELi3EEvPKT_PKT0_S8_ifPKiSA_SA_iPKfiiiPfSD_PS3_PT2_iSC_SC_.kd
    .uniform_work_group_size: 1
    .uses_dynamic_stack: false
    .vgpr_count:     54
    .vgpr_spill_count: 0
    .wavefront_size: 64
  - .agpr_count:     0
    .args:
      - .actual_access:  read_only
        .address_space:  global
        .offset:         0
        .size:           8
        .value_kind:     global_buffer
      - .actual_access:  read_only
        .address_space:  global
        .offset:         8
        .size:           8
        .value_kind:     global_buffer
      - .actual_access:  read_only
        .address_space:  global
        .offset:         16
        .size:           8
        .value_kind:     global_buffer
      - .offset:         24
        .size:           4
        .value_kind:     by_value
      - .offset:         28
        .size:           4
        .value_kind:     by_value
      - .actual_access:  read_only
        .address_space:  global
        .offset:         32
        .size:           8
        .value_kind:     global_buffer
      - .actual_access:  read_only
        .address_space:  global
        .offset:         40
        .size:           8
        .value_kind:     global_buffer
      - .actual_access:  read_only
        .address_space:  global
        .offset:         48
        .size:           8
        .value_kind:     global_buffer
      - .offset:         56
        .size:           4
        .value_kind:     by_value
      - .actual_access:  read_only
        .address_space:  global
        .offset:         64
        .size:           8
        .value_kind:     global_buffer
      - .offset:         72
        .size:           4
        .value_kind:     by_value
      - .offset:         76
        .size:           4
        .value_kind:     by_value
      - .offset:         80
        .size:           4
        .value_kind:     by_value
      - .actual_access:  write_only
        .address_space:  global
        .offset:         88
        .size:           8
        .value_kind:     global_buffer
      - .actual_access:  write_only
        .address_space:  global
        .offset:         96
        .size:           8
        .value_kind:     global_buffer
      - .actual_access:  write_only
        .address_space:  global
        .offset:         104
        .size:           8
        .value_kind:     global_buffer
      - .actual_access:  read_only
        .address_space:  global
        .offset:         112
        .size:           8
        .value_kind:     global_buffer
      - .offset:         120
        .size:           4
        .value_kind:     by_value
      - .address_space:  global
        .offset:         128
        .size:           8
        .value_kind:     global_buffer
      - .address_space:  global
        .offset:         136
        .size:           8
        .value_kind:     global_buffer
      - .offset:         144
        .size:           4
        .value_kind:     hidden_block_count_x
      - .offset:         148
        .size:           4
        .value_kind:     hidden_block_count_y
      - .offset:         152
        .size:           4
        .value_kind:     hidden_block_count_z
      - .offset:         156
        .size:           2
        .value_kind:     hidden_group_size_x
      - .offset:         158
        .size:           2
        .value_kind:     hidden_group_size_y
      - .offset:         160
        .size:           2
        .value_kind:     hidden_group_size_z
      - .offset:         162
        .size:           2
        .value_kind:     hidden_remainder_x
      - .offset:         164
        .size:           2
        .value_kind:     hidden_remainder_y
      - .offset:         166
        .size:           2
        .value_kind:     hidden_remainder_z
      - .offset:         184
        .size:           8
        .value_kind:     hidden_global_offset_x
      - .offset:         192
        .size:           8
        .value_kind:     hidden_global_offset_y
      - .offset:         200
        .size:           8
        .value_kind:     hidden_global_offset_z
      - .offset:         208
        .size:           2
        .value_kind:     hidden_grid_dims
    .group_segment_fixed_size: 8192
    .kernarg_segment_align: 8
    .kernarg_segment_size: 400
    .language:       OpenCL C
    .language_version:
      - 2
      - 0
    .max_flat_workgroup_size: 256
    .name:           _Z39paged_attention_ll4mi_QKV_mfma16_kernelI14__hip_bfloat16hLN4vllm18Fp8KVCacheDataTypeE1ES0_Li32ELi64ELi256ELb0ELi4EEvPKT_PKT0_S8_ifPKiSA_SA_iPKfiiiPfSD_PS3_PT2_iSC_SC_
    .private_segment_fixed_size: 0
    .sgpr_count:     56
    .sgpr_spill_count: 0
    .symbol:         _Z39paged_attention_ll4mi_QKV_mfma16_kernelI14__hip_bfloat16hLN4vllm18Fp8KVCacheDataTypeE1ES0_Li32ELi64ELi256ELb0ELi4EEvPKT_PKT0_S8_ifPKiSA_SA_iPKfiiiPfSD_PS3_PT2_iSC_SC_.kd
    .uniform_work_group_size: 1
    .uses_dynamic_stack: false
    .vgpr_count:     56
    .vgpr_spill_count: 0
    .wavefront_size: 64
  - .agpr_count:     4
    .args:
      - .actual_access:  read_only
        .address_space:  global
        .offset:         0
        .size:           8
        .value_kind:     global_buffer
      - .actual_access:  read_only
        .address_space:  global
        .offset:         8
        .size:           8
        .value_kind:     global_buffer
      - .actual_access:  read_only
        .address_space:  global
        .offset:         16
        .size:           8
        .value_kind:     global_buffer
      - .offset:         24
        .size:           4
        .value_kind:     by_value
      - .offset:         28
        .size:           4
        .value_kind:     by_value
      - .actual_access:  read_only
        .address_space:  global
        .offset:         32
        .size:           8
        .value_kind:     global_buffer
      - .actual_access:  read_only
        .address_space:  global
        .offset:         40
        .size:           8
        .value_kind:     global_buffer
      - .actual_access:  read_only
        .address_space:  global
        .offset:         48
        .size:           8
        .value_kind:     global_buffer
      - .offset:         56
        .size:           4
        .value_kind:     by_value
      - .actual_access:  read_only
        .address_space:  global
        .offset:         64
        .size:           8
        .value_kind:     global_buffer
      - .offset:         72
        .size:           4
        .value_kind:     by_value
      - .offset:         76
        .size:           4
        .value_kind:     by_value
      - .offset:         80
        .size:           4
        .value_kind:     by_value
      - .actual_access:  write_only
        .address_space:  global
        .offset:         88
        .size:           8
        .value_kind:     global_buffer
      - .actual_access:  write_only
        .address_space:  global
        .offset:         96
        .size:           8
        .value_kind:     global_buffer
      - .actual_access:  write_only
        .address_space:  global
        .offset:         104
        .size:           8
        .value_kind:     global_buffer
      - .actual_access:  read_only
        .address_space:  global
        .offset:         112
        .size:           8
        .value_kind:     global_buffer
      - .offset:         120
        .size:           4
        .value_kind:     by_value
      - .address_space:  global
        .offset:         128
        .size:           8
        .value_kind:     global_buffer
      - .address_space:  global
        .offset:         136
        .size:           8
        .value_kind:     global_buffer
      - .offset:         144
        .size:           4
        .value_kind:     hidden_block_count_x
      - .offset:         148
        .size:           4
        .value_kind:     hidden_block_count_y
      - .offset:         152
        .size:           4
        .value_kind:     hidden_block_count_z
      - .offset:         156
        .size:           2
        .value_kind:     hidden_group_size_x
      - .offset:         158
        .size:           2
        .value_kind:     hidden_group_size_y
      - .offset:         160
        .size:           2
        .value_kind:     hidden_group_size_z
      - .offset:         162
        .size:           2
        .value_kind:     hidden_remainder_x
      - .offset:         164
        .size:           2
        .value_kind:     hidden_remainder_y
      - .offset:         166
        .size:           2
        .value_kind:     hidden_remainder_z
      - .offset:         184
        .size:           8
        .value_kind:     hidden_global_offset_x
      - .offset:         192
        .size:           8
        .value_kind:     hidden_global_offset_y
      - .offset:         200
        .size:           8
        .value_kind:     hidden_global_offset_z
      - .offset:         208
        .size:           2
        .value_kind:     hidden_grid_dims
    .group_segment_fixed_size: 5280
    .kernarg_segment_align: 8
    .kernarg_segment_size: 400
    .language:       OpenCL C
    .language_version:
      - 2
      - 0
    .max_flat_workgroup_size: 256
    .name:           _Z38paged_attention_ll4mi_QKV_mfma4_kernelI14__hip_bfloat16hLN4vllm18Fp8KVCacheDataTypeE1EhLi16ELi128ELi256ELb1ELi1EEvPKT_PKT0_S8_ifPKiSA_SA_iPKfiiiPfSD_PS3_PT2_iSC_SC_
    .private_segment_fixed_size: 0
    .sgpr_count:     48
    .sgpr_spill_count: 0
    .symbol:         _Z38paged_attention_ll4mi_QKV_mfma4_kernelI14__hip_bfloat16hLN4vllm18Fp8KVCacheDataTypeE1EhLi16ELi128ELi256ELb1ELi1EEvPKT_PKT0_S8_ifPKiSA_SA_iPKfiiiPfSD_PS3_PT2_iSC_SC_.kd
    .uniform_work_group_size: 1
    .uses_dynamic_stack: false
    .vgpr_count:     60
    .vgpr_spill_count: 0
    .wavefront_size: 64
  - .agpr_count:     4
    .args:
      - .actual_access:  read_only
        .address_space:  global
        .offset:         0
        .size:           8
        .value_kind:     global_buffer
      - .actual_access:  read_only
        .address_space:  global
        .offset:         8
        .size:           8
        .value_kind:     global_buffer
      - .actual_access:  read_only
        .address_space:  global
        .offset:         16
        .size:           8
        .value_kind:     global_buffer
      - .offset:         24
        .size:           4
        .value_kind:     by_value
      - .offset:         28
        .size:           4
        .value_kind:     by_value
      - .actual_access:  read_only
        .address_space:  global
        .offset:         32
        .size:           8
        .value_kind:     global_buffer
      - .actual_access:  read_only
        .address_space:  global
        .offset:         40
        .size:           8
        .value_kind:     global_buffer
      - .actual_access:  read_only
        .address_space:  global
        .offset:         48
        .size:           8
        .value_kind:     global_buffer
      - .offset:         56
        .size:           4
        .value_kind:     by_value
      - .actual_access:  read_only
        .address_space:  global
        .offset:         64
        .size:           8
        .value_kind:     global_buffer
      - .offset:         72
        .size:           4
        .value_kind:     by_value
      - .offset:         76
        .size:           4
        .value_kind:     by_value
      - .offset:         80
        .size:           4
        .value_kind:     by_value
      - .actual_access:  write_only
        .address_space:  global
        .offset:         88
        .size:           8
        .value_kind:     global_buffer
      - .actual_access:  write_only
        .address_space:  global
        .offset:         96
        .size:           8
        .value_kind:     global_buffer
      - .actual_access:  write_only
        .address_space:  global
        .offset:         104
        .size:           8
        .value_kind:     global_buffer
      - .actual_access:  read_only
        .address_space:  global
        .offset:         112
        .size:           8
        .value_kind:     global_buffer
      - .offset:         120
        .size:           4
        .value_kind:     by_value
      - .address_space:  global
        .offset:         128
        .size:           8
        .value_kind:     global_buffer
      - .address_space:  global
        .offset:         136
        .size:           8
        .value_kind:     global_buffer
      - .offset:         144
        .size:           4
        .value_kind:     hidden_block_count_x
      - .offset:         148
        .size:           4
        .value_kind:     hidden_block_count_y
      - .offset:         152
        .size:           4
        .value_kind:     hidden_block_count_z
      - .offset:         156
        .size:           2
        .value_kind:     hidden_group_size_x
      - .offset:         158
        .size:           2
        .value_kind:     hidden_group_size_y
      - .offset:         160
        .size:           2
        .value_kind:     hidden_group_size_z
      - .offset:         162
        .size:           2
        .value_kind:     hidden_remainder_x
      - .offset:         164
        .size:           2
        .value_kind:     hidden_remainder_y
      - .offset:         166
        .size:           2
        .value_kind:     hidden_remainder_z
      - .offset:         184
        .size:           8
        .value_kind:     hidden_global_offset_x
      - .offset:         192
        .size:           8
        .value_kind:     hidden_global_offset_y
      - .offset:         200
        .size:           8
        .value_kind:     hidden_global_offset_z
      - .offset:         208
        .size:           2
        .value_kind:     hidden_grid_dims
    .group_segment_fixed_size: 5280
    .kernarg_segment_align: 8
    .kernarg_segment_size: 400
    .language:       OpenCL C
    .language_version:
      - 2
      - 0
    .max_flat_workgroup_size: 256
    .name:           _Z38paged_attention_ll4mi_QKV_mfma4_kernelI14__hip_bfloat16hLN4vllm18Fp8KVCacheDataTypeE1EhLi16ELi128ELi256ELb1ELi2EEvPKT_PKT0_S8_ifPKiSA_SA_iPKfiiiPfSD_PS3_PT2_iSC_SC_
    .private_segment_fixed_size: 0
    .sgpr_count:     50
    .sgpr_spill_count: 0
    .symbol:         _Z38paged_attention_ll4mi_QKV_mfma4_kernelI14__hip_bfloat16hLN4vllm18Fp8KVCacheDataTypeE1EhLi16ELi128ELi256ELb1ELi2EEvPKT_PKT0_S8_ifPKiSA_SA_iPKfiiiPfSD_PS3_PT2_iSC_SC_.kd
    .uniform_work_group_size: 1
    .uses_dynamic_stack: false
    .vgpr_count:     60
    .vgpr_spill_count: 0
    .wavefront_size: 64
  - .agpr_count:     4
    .args:
      - .actual_access:  read_only
        .address_space:  global
        .offset:         0
        .size:           8
        .value_kind:     global_buffer
      - .actual_access:  read_only
        .address_space:  global
        .offset:         8
        .size:           8
        .value_kind:     global_buffer
      - .actual_access:  read_only
        .address_space:  global
        .offset:         16
        .size:           8
        .value_kind:     global_buffer
      - .offset:         24
        .size:           4
        .value_kind:     by_value
      - .offset:         28
        .size:           4
        .value_kind:     by_value
      - .actual_access:  read_only
        .address_space:  global
        .offset:         32
        .size:           8
        .value_kind:     global_buffer
      - .actual_access:  read_only
        .address_space:  global
        .offset:         40
        .size:           8
        .value_kind:     global_buffer
      - .actual_access:  read_only
        .address_space:  global
        .offset:         48
        .size:           8
        .value_kind:     global_buffer
      - .offset:         56
        .size:           4
        .value_kind:     by_value
      - .actual_access:  read_only
        .address_space:  global
        .offset:         64
        .size:           8
        .value_kind:     global_buffer
      - .offset:         72
        .size:           4
        .value_kind:     by_value
      - .offset:         76
        .size:           4
        .value_kind:     by_value
      - .offset:         80
        .size:           4
        .value_kind:     by_value
      - .actual_access:  write_only
        .address_space:  global
        .offset:         88
        .size:           8
        .value_kind:     global_buffer
      - .actual_access:  write_only
        .address_space:  global
        .offset:         96
        .size:           8
        .value_kind:     global_buffer
      - .actual_access:  write_only
        .address_space:  global
        .offset:         104
        .size:           8
        .value_kind:     global_buffer
      - .actual_access:  read_only
        .address_space:  global
        .offset:         112
        .size:           8
        .value_kind:     global_buffer
      - .offset:         120
        .size:           4
        .value_kind:     by_value
      - .address_space:  global
        .offset:         128
        .size:           8
        .value_kind:     global_buffer
      - .address_space:  global
        .offset:         136
        .size:           8
        .value_kind:     global_buffer
      - .offset:         144
        .size:           4
        .value_kind:     hidden_block_count_x
      - .offset:         148
        .size:           4
        .value_kind:     hidden_block_count_y
      - .offset:         152
        .size:           4
        .value_kind:     hidden_block_count_z
      - .offset:         156
        .size:           2
        .value_kind:     hidden_group_size_x
      - .offset:         158
        .size:           2
        .value_kind:     hidden_group_size_y
      - .offset:         160
        .size:           2
        .value_kind:     hidden_group_size_z
      - .offset:         162
        .size:           2
        .value_kind:     hidden_remainder_x
      - .offset:         164
        .size:           2
        .value_kind:     hidden_remainder_y
      - .offset:         166
        .size:           2
        .value_kind:     hidden_remainder_z
      - .offset:         184
        .size:           8
        .value_kind:     hidden_global_offset_x
      - .offset:         192
        .size:           8
        .value_kind:     hidden_global_offset_y
      - .offset:         200
        .size:           8
        .value_kind:     hidden_global_offset_z
      - .offset:         208
        .size:           2
        .value_kind:     hidden_grid_dims
    .group_segment_fixed_size: 5280
    .kernarg_segment_align: 8
    .kernarg_segment_size: 400
    .language:       OpenCL C
    .language_version:
      - 2
      - 0
    .max_flat_workgroup_size: 256
    .name:           _Z38paged_attention_ll4mi_QKV_mfma4_kernelI14__hip_bfloat16hLN4vllm18Fp8KVCacheDataTypeE1EhLi16ELi128ELi256ELb1ELi3EEvPKT_PKT0_S8_ifPKiSA_SA_iPKfiiiPfSD_PS3_PT2_iSC_SC_
    .private_segment_fixed_size: 0
    .sgpr_count:     50
    .sgpr_spill_count: 0
    .symbol:         _Z38paged_attention_ll4mi_QKV_mfma4_kernelI14__hip_bfloat16hLN4vllm18Fp8KVCacheDataTypeE1EhLi16ELi128ELi256ELb1ELi3EEvPKT_PKT0_S8_ifPKiSA_SA_iPKfiiiPfSD_PS3_PT2_iSC_SC_.kd
    .uniform_work_group_size: 1
    .uses_dynamic_stack: false
    .vgpr_count:     60
    .vgpr_spill_count: 0
    .wavefront_size: 64
  - .agpr_count:     4
    .args:
      - .actual_access:  read_only
        .address_space:  global
        .offset:         0
        .size:           8
        .value_kind:     global_buffer
      - .actual_access:  read_only
        .address_space:  global
        .offset:         8
        .size:           8
        .value_kind:     global_buffer
      - .actual_access:  read_only
        .address_space:  global
        .offset:         16
        .size:           8
        .value_kind:     global_buffer
      - .offset:         24
        .size:           4
        .value_kind:     by_value
      - .offset:         28
        .size:           4
        .value_kind:     by_value
      - .actual_access:  read_only
        .address_space:  global
        .offset:         32
        .size:           8
        .value_kind:     global_buffer
      - .actual_access:  read_only
        .address_space:  global
        .offset:         40
        .size:           8
        .value_kind:     global_buffer
      - .actual_access:  read_only
        .address_space:  global
        .offset:         48
        .size:           8
        .value_kind:     global_buffer
      - .offset:         56
        .size:           4
        .value_kind:     by_value
      - .actual_access:  read_only
        .address_space:  global
        .offset:         64
        .size:           8
        .value_kind:     global_buffer
      - .offset:         72
        .size:           4
        .value_kind:     by_value
      - .offset:         76
        .size:           4
        .value_kind:     by_value
      - .offset:         80
        .size:           4
        .value_kind:     by_value
      - .actual_access:  write_only
        .address_space:  global
        .offset:         88
        .size:           8
        .value_kind:     global_buffer
      - .actual_access:  write_only
        .address_space:  global
        .offset:         96
        .size:           8
        .value_kind:     global_buffer
      - .actual_access:  write_only
        .address_space:  global
        .offset:         104
        .size:           8
        .value_kind:     global_buffer
      - .actual_access:  read_only
        .address_space:  global
        .offset:         112
        .size:           8
        .value_kind:     global_buffer
      - .offset:         120
        .size:           4
        .value_kind:     by_value
      - .address_space:  global
        .offset:         128
        .size:           8
        .value_kind:     global_buffer
      - .address_space:  global
        .offset:         136
        .size:           8
        .value_kind:     global_buffer
      - .offset:         144
        .size:           4
        .value_kind:     hidden_block_count_x
      - .offset:         148
        .size:           4
        .value_kind:     hidden_block_count_y
      - .offset:         152
        .size:           4
        .value_kind:     hidden_block_count_z
      - .offset:         156
        .size:           2
        .value_kind:     hidden_group_size_x
      - .offset:         158
        .size:           2
        .value_kind:     hidden_group_size_y
      - .offset:         160
        .size:           2
        .value_kind:     hidden_group_size_z
      - .offset:         162
        .size:           2
        .value_kind:     hidden_remainder_x
      - .offset:         164
        .size:           2
        .value_kind:     hidden_remainder_y
      - .offset:         166
        .size:           2
        .value_kind:     hidden_remainder_z
      - .offset:         184
        .size:           8
        .value_kind:     hidden_global_offset_x
      - .offset:         192
        .size:           8
        .value_kind:     hidden_global_offset_y
      - .offset:         200
        .size:           8
        .value_kind:     hidden_global_offset_z
      - .offset:         208
        .size:           2
        .value_kind:     hidden_grid_dims
    .group_segment_fixed_size: 5280
    .kernarg_segment_align: 8
    .kernarg_segment_size: 400
    .language:       OpenCL C
    .language_version:
      - 2
      - 0
    .max_flat_workgroup_size: 256
    .name:           _Z38paged_attention_ll4mi_QKV_mfma4_kernelI14__hip_bfloat16hLN4vllm18Fp8KVCacheDataTypeE1EhLi16ELi128ELi256ELb1ELi4EEvPKT_PKT0_S8_ifPKiSA_SA_iPKfiiiPfSD_PS3_PT2_iSC_SC_
    .private_segment_fixed_size: 0
    .sgpr_count:     51
    .sgpr_spill_count: 0
    .symbol:         _Z38paged_attention_ll4mi_QKV_mfma4_kernelI14__hip_bfloat16hLN4vllm18Fp8KVCacheDataTypeE1EhLi16ELi128ELi256ELb1ELi4EEvPKT_PKT0_S8_ifPKiSA_SA_iPKfiiiPfSD_PS3_PT2_iSC_SC_.kd
    .uniform_work_group_size: 1
    .uses_dynamic_stack: false
    .vgpr_count:     88
    .vgpr_spill_count: 0
    .wavefront_size: 64
  - .agpr_count:     0
    .args:
      - .actual_access:  read_only
        .address_space:  global
        .offset:         0
        .size:           8
        .value_kind:     global_buffer
      - .actual_access:  read_only
        .address_space:  global
        .offset:         8
        .size:           8
        .value_kind:     global_buffer
      - .actual_access:  read_only
        .address_space:  global
        .offset:         16
        .size:           8
        .value_kind:     global_buffer
      - .offset:         24
        .size:           4
        .value_kind:     by_value
      - .offset:         28
        .size:           4
        .value_kind:     by_value
      - .actual_access:  read_only
        .address_space:  global
        .offset:         32
        .size:           8
        .value_kind:     global_buffer
      - .actual_access:  read_only
        .address_space:  global
        .offset:         40
        .size:           8
        .value_kind:     global_buffer
      - .actual_access:  read_only
        .address_space:  global
        .offset:         48
        .size:           8
        .value_kind:     global_buffer
      - .offset:         56
        .size:           4
        .value_kind:     by_value
      - .actual_access:  read_only
        .address_space:  global
        .offset:         64
        .size:           8
        .value_kind:     global_buffer
      - .offset:         72
        .size:           4
        .value_kind:     by_value
      - .offset:         76
        .size:           4
        .value_kind:     by_value
      - .offset:         80
        .size:           4
        .value_kind:     by_value
      - .actual_access:  write_only
        .address_space:  global
        .offset:         88
        .size:           8
        .value_kind:     global_buffer
      - .actual_access:  write_only
        .address_space:  global
        .offset:         96
        .size:           8
        .value_kind:     global_buffer
      - .actual_access:  write_only
        .address_space:  global
        .offset:         104
        .size:           8
        .value_kind:     global_buffer
      - .actual_access:  read_only
        .address_space:  global
        .offset:         112
        .size:           8
        .value_kind:     global_buffer
      - .offset:         120
        .size:           4
        .value_kind:     by_value
      - .address_space:  global
        .offset:         128
        .size:           8
        .value_kind:     global_buffer
      - .address_space:  global
        .offset:         136
        .size:           8
        .value_kind:     global_buffer
      - .offset:         144
        .size:           4
        .value_kind:     hidden_block_count_x
      - .offset:         148
        .size:           4
        .value_kind:     hidden_block_count_y
      - .offset:         152
        .size:           4
        .value_kind:     hidden_block_count_z
      - .offset:         156
        .size:           2
        .value_kind:     hidden_group_size_x
      - .offset:         158
        .size:           2
        .value_kind:     hidden_group_size_y
      - .offset:         160
        .size:           2
        .value_kind:     hidden_group_size_z
      - .offset:         162
        .size:           2
        .value_kind:     hidden_remainder_x
      - .offset:         164
        .size:           2
        .value_kind:     hidden_remainder_y
      - .offset:         166
        .size:           2
        .value_kind:     hidden_remainder_z
      - .offset:         184
        .size:           8
        .value_kind:     hidden_global_offset_x
      - .offset:         192
        .size:           8
        .value_kind:     hidden_global_offset_y
      - .offset:         200
        .size:           8
        .value_kind:     hidden_global_offset_z
      - .offset:         208
        .size:           2
        .value_kind:     hidden_grid_dims
    .group_segment_fixed_size: 8192
    .kernarg_segment_align: 8
    .kernarg_segment_size: 400
    .language:       OpenCL C
    .language_version:
      - 2
      - 0
    .max_flat_workgroup_size: 256
    .name:           _Z39paged_attention_ll4mi_QKV_mfma16_kernelI14__hip_bfloat16hLN4vllm18Fp8KVCacheDataTypeE1EhLi16ELi128ELi256ELb1ELi5EEvPKT_PKT0_S8_ifPKiSA_SA_iPKfiiiPfSD_PS3_PT2_iSC_SC_
    .private_segment_fixed_size: 0
    .sgpr_count:     56
    .sgpr_spill_count: 0
    .symbol:         _Z39paged_attention_ll4mi_QKV_mfma16_kernelI14__hip_bfloat16hLN4vllm18Fp8KVCacheDataTypeE1EhLi16ELi128ELi256ELb1ELi5EEvPKT_PKT0_S8_ifPKiSA_SA_iPKfiiiPfSD_PS3_PT2_iSC_SC_.kd
    .uniform_work_group_size: 1
    .uses_dynamic_stack: false
    .vgpr_count:     76
    .vgpr_spill_count: 0
    .wavefront_size: 64
  - .agpr_count:     0
    .args:
      - .actual_access:  read_only
        .address_space:  global
        .offset:         0
        .size:           8
        .value_kind:     global_buffer
      - .actual_access:  read_only
        .address_space:  global
        .offset:         8
        .size:           8
        .value_kind:     global_buffer
      - .actual_access:  read_only
        .address_space:  global
        .offset:         16
        .size:           8
        .value_kind:     global_buffer
      - .offset:         24
        .size:           4
        .value_kind:     by_value
      - .offset:         28
        .size:           4
        .value_kind:     by_value
      - .actual_access:  read_only
        .address_space:  global
        .offset:         32
        .size:           8
        .value_kind:     global_buffer
      - .actual_access:  read_only
        .address_space:  global
        .offset:         40
        .size:           8
        .value_kind:     global_buffer
      - .actual_access:  read_only
        .address_space:  global
        .offset:         48
        .size:           8
        .value_kind:     global_buffer
      - .offset:         56
        .size:           4
        .value_kind:     by_value
      - .actual_access:  read_only
        .address_space:  global
        .offset:         64
        .size:           8
        .value_kind:     global_buffer
      - .offset:         72
        .size:           4
        .value_kind:     by_value
      - .offset:         76
        .size:           4
        .value_kind:     by_value
      - .offset:         80
        .size:           4
        .value_kind:     by_value
      - .actual_access:  write_only
        .address_space:  global
        .offset:         88
        .size:           8
        .value_kind:     global_buffer
      - .actual_access:  write_only
        .address_space:  global
        .offset:         96
        .size:           8
        .value_kind:     global_buffer
      - .actual_access:  write_only
        .address_space:  global
        .offset:         104
        .size:           8
        .value_kind:     global_buffer
      - .actual_access:  read_only
        .address_space:  global
        .offset:         112
        .size:           8
        .value_kind:     global_buffer
      - .offset:         120
        .size:           4
        .value_kind:     by_value
      - .address_space:  global
        .offset:         128
        .size:           8
        .value_kind:     global_buffer
      - .address_space:  global
        .offset:         136
        .size:           8
        .value_kind:     global_buffer
      - .offset:         144
        .size:           4
        .value_kind:     hidden_block_count_x
      - .offset:         148
        .size:           4
        .value_kind:     hidden_block_count_y
      - .offset:         152
        .size:           4
        .value_kind:     hidden_block_count_z
      - .offset:         156
        .size:           2
        .value_kind:     hidden_group_size_x
      - .offset:         158
        .size:           2
        .value_kind:     hidden_group_size_y
      - .offset:         160
        .size:           2
        .value_kind:     hidden_group_size_z
      - .offset:         162
        .size:           2
        .value_kind:     hidden_remainder_x
      - .offset:         164
        .size:           2
        .value_kind:     hidden_remainder_y
      - .offset:         166
        .size:           2
        .value_kind:     hidden_remainder_z
      - .offset:         184
        .size:           8
        .value_kind:     hidden_global_offset_x
      - .offset:         192
        .size:           8
        .value_kind:     hidden_global_offset_y
      - .offset:         200
        .size:           8
        .value_kind:     hidden_global_offset_z
      - .offset:         208
        .size:           2
        .value_kind:     hidden_grid_dims
    .group_segment_fixed_size: 8192
    .kernarg_segment_align: 8
    .kernarg_segment_size: 400
    .language:       OpenCL C
    .language_version:
      - 2
      - 0
    .max_flat_workgroup_size: 256
    .name:           _Z39paged_attention_ll4mi_QKV_mfma16_kernelI14__hip_bfloat16hLN4vllm18Fp8KVCacheDataTypeE1EhLi16ELi128ELi256ELb1ELi6EEvPKT_PKT0_S8_ifPKiSA_SA_iPKfiiiPfSD_PS3_PT2_iSC_SC_
    .private_segment_fixed_size: 0
    .sgpr_count:     56
    .sgpr_spill_count: 0
    .symbol:         _Z39paged_attention_ll4mi_QKV_mfma16_kernelI14__hip_bfloat16hLN4vllm18Fp8KVCacheDataTypeE1EhLi16ELi128ELi256ELb1ELi6EEvPKT_PKT0_S8_ifPKiSA_SA_iPKfiiiPfSD_PS3_PT2_iSC_SC_.kd
    .uniform_work_group_size: 1
    .uses_dynamic_stack: false
    .vgpr_count:     76
    .vgpr_spill_count: 0
    .wavefront_size: 64
  - .agpr_count:     0
    .args:
      - .actual_access:  read_only
        .address_space:  global
        .offset:         0
        .size:           8
        .value_kind:     global_buffer
      - .actual_access:  read_only
        .address_space:  global
        .offset:         8
        .size:           8
        .value_kind:     global_buffer
      - .actual_access:  read_only
        .address_space:  global
        .offset:         16
        .size:           8
        .value_kind:     global_buffer
      - .offset:         24
        .size:           4
        .value_kind:     by_value
      - .offset:         28
        .size:           4
        .value_kind:     by_value
      - .actual_access:  read_only
        .address_space:  global
        .offset:         32
        .size:           8
        .value_kind:     global_buffer
      - .actual_access:  read_only
        .address_space:  global
        .offset:         40
        .size:           8
        .value_kind:     global_buffer
      - .actual_access:  read_only
        .address_space:  global
        .offset:         48
        .size:           8
        .value_kind:     global_buffer
      - .offset:         56
        .size:           4
        .value_kind:     by_value
      - .actual_access:  read_only
        .address_space:  global
        .offset:         64
        .size:           8
        .value_kind:     global_buffer
      - .offset:         72
        .size:           4
        .value_kind:     by_value
      - .offset:         76
        .size:           4
        .value_kind:     by_value
      - .offset:         80
        .size:           4
        .value_kind:     by_value
      - .actual_access:  write_only
        .address_space:  global
        .offset:         88
        .size:           8
        .value_kind:     global_buffer
      - .actual_access:  write_only
        .address_space:  global
        .offset:         96
        .size:           8
        .value_kind:     global_buffer
      - .actual_access:  write_only
        .address_space:  global
        .offset:         104
        .size:           8
        .value_kind:     global_buffer
      - .actual_access:  read_only
        .address_space:  global
        .offset:         112
        .size:           8
        .value_kind:     global_buffer
      - .offset:         120
        .size:           4
        .value_kind:     by_value
      - .address_space:  global
        .offset:         128
        .size:           8
        .value_kind:     global_buffer
      - .address_space:  global
        .offset:         136
        .size:           8
        .value_kind:     global_buffer
      - .offset:         144
        .size:           4
        .value_kind:     hidden_block_count_x
      - .offset:         148
        .size:           4
        .value_kind:     hidden_block_count_y
      - .offset:         152
        .size:           4
        .value_kind:     hidden_block_count_z
      - .offset:         156
        .size:           2
        .value_kind:     hidden_group_size_x
      - .offset:         158
        .size:           2
        .value_kind:     hidden_group_size_y
      - .offset:         160
        .size:           2
        .value_kind:     hidden_group_size_z
      - .offset:         162
        .size:           2
        .value_kind:     hidden_remainder_x
      - .offset:         164
        .size:           2
        .value_kind:     hidden_remainder_y
      - .offset:         166
        .size:           2
        .value_kind:     hidden_remainder_z
      - .offset:         184
        .size:           8
        .value_kind:     hidden_global_offset_x
      - .offset:         192
        .size:           8
        .value_kind:     hidden_global_offset_y
      - .offset:         200
        .size:           8
        .value_kind:     hidden_global_offset_z
      - .offset:         208
        .size:           2
        .value_kind:     hidden_grid_dims
    .group_segment_fixed_size: 8192
    .kernarg_segment_align: 8
    .kernarg_segment_size: 400
    .language:       OpenCL C
    .language_version:
      - 2
      - 0
    .max_flat_workgroup_size: 256
    .name:           _Z39paged_attention_ll4mi_QKV_mfma16_kernelI14__hip_bfloat16hLN4vllm18Fp8KVCacheDataTypeE1EhLi16ELi128ELi256ELb1ELi7EEvPKT_PKT0_S8_ifPKiSA_SA_iPKfiiiPfSD_PS3_PT2_iSC_SC_
    .private_segment_fixed_size: 0
    .sgpr_count:     56
    .sgpr_spill_count: 0
    .symbol:         _Z39paged_attention_ll4mi_QKV_mfma16_kernelI14__hip_bfloat16hLN4vllm18Fp8KVCacheDataTypeE1EhLi16ELi128ELi256ELb1ELi7EEvPKT_PKT0_S8_ifPKiSA_SA_iPKfiiiPfSD_PS3_PT2_iSC_SC_.kd
    .uniform_work_group_size: 1
    .uses_dynamic_stack: false
    .vgpr_count:     76
    .vgpr_spill_count: 0
    .wavefront_size: 64
  - .agpr_count:     0
    .args:
      - .actual_access:  read_only
        .address_space:  global
        .offset:         0
        .size:           8
        .value_kind:     global_buffer
      - .actual_access:  read_only
        .address_space:  global
        .offset:         8
        .size:           8
        .value_kind:     global_buffer
      - .actual_access:  read_only
        .address_space:  global
        .offset:         16
        .size:           8
        .value_kind:     global_buffer
      - .offset:         24
        .size:           4
        .value_kind:     by_value
      - .offset:         28
        .size:           4
        .value_kind:     by_value
      - .actual_access:  read_only
        .address_space:  global
        .offset:         32
        .size:           8
        .value_kind:     global_buffer
      - .actual_access:  read_only
        .address_space:  global
        .offset:         40
        .size:           8
        .value_kind:     global_buffer
      - .actual_access:  read_only
        .address_space:  global
        .offset:         48
        .size:           8
        .value_kind:     global_buffer
      - .offset:         56
        .size:           4
        .value_kind:     by_value
      - .actual_access:  read_only
        .address_space:  global
        .offset:         64
        .size:           8
        .value_kind:     global_buffer
      - .offset:         72
        .size:           4
        .value_kind:     by_value
      - .offset:         76
        .size:           4
        .value_kind:     by_value
      - .offset:         80
        .size:           4
        .value_kind:     by_value
      - .actual_access:  write_only
        .address_space:  global
        .offset:         88
        .size:           8
        .value_kind:     global_buffer
      - .actual_access:  write_only
        .address_space:  global
        .offset:         96
        .size:           8
        .value_kind:     global_buffer
      - .actual_access:  write_only
        .address_space:  global
        .offset:         104
        .size:           8
        .value_kind:     global_buffer
      - .actual_access:  read_only
        .address_space:  global
        .offset:         112
        .size:           8
        .value_kind:     global_buffer
      - .offset:         120
        .size:           4
        .value_kind:     by_value
      - .address_space:  global
        .offset:         128
        .size:           8
        .value_kind:     global_buffer
      - .address_space:  global
        .offset:         136
        .size:           8
        .value_kind:     global_buffer
      - .offset:         144
        .size:           4
        .value_kind:     hidden_block_count_x
      - .offset:         148
        .size:           4
        .value_kind:     hidden_block_count_y
      - .offset:         152
        .size:           4
        .value_kind:     hidden_block_count_z
      - .offset:         156
        .size:           2
        .value_kind:     hidden_group_size_x
      - .offset:         158
        .size:           2
        .value_kind:     hidden_group_size_y
      - .offset:         160
        .size:           2
        .value_kind:     hidden_group_size_z
      - .offset:         162
        .size:           2
        .value_kind:     hidden_remainder_x
      - .offset:         164
        .size:           2
        .value_kind:     hidden_remainder_y
      - .offset:         166
        .size:           2
        .value_kind:     hidden_remainder_z
      - .offset:         184
        .size:           8
        .value_kind:     hidden_global_offset_x
      - .offset:         192
        .size:           8
        .value_kind:     hidden_global_offset_y
      - .offset:         200
        .size:           8
        .value_kind:     hidden_global_offset_z
      - .offset:         208
        .size:           2
        .value_kind:     hidden_grid_dims
    .group_segment_fixed_size: 8192
    .kernarg_segment_align: 8
    .kernarg_segment_size: 400
    .language:       OpenCL C
    .language_version:
      - 2
      - 0
    .max_flat_workgroup_size: 256
    .name:           _Z39paged_attention_ll4mi_QKV_mfma16_kernelI14__hip_bfloat16hLN4vllm18Fp8KVCacheDataTypeE1EhLi16ELi128ELi256ELb1ELi8EEvPKT_PKT0_S8_ifPKiSA_SA_iPKfiiiPfSD_PS3_PT2_iSC_SC_
    .private_segment_fixed_size: 0
    .sgpr_count:     54
    .sgpr_spill_count: 0
    .symbol:         _Z39paged_attention_ll4mi_QKV_mfma16_kernelI14__hip_bfloat16hLN4vllm18Fp8KVCacheDataTypeE1EhLi16ELi128ELi256ELb1ELi8EEvPKT_PKT0_S8_ifPKiSA_SA_iPKfiiiPfSD_PS3_PT2_iSC_SC_.kd
    .uniform_work_group_size: 1
    .uses_dynamic_stack: false
    .vgpr_count:     80
    .vgpr_spill_count: 0
    .wavefront_size: 64
  - .agpr_count:     0
    .args:
      - .actual_access:  read_only
        .address_space:  global
        .offset:         0
        .size:           8
        .value_kind:     global_buffer
      - .actual_access:  read_only
        .address_space:  global
        .offset:         8
        .size:           8
        .value_kind:     global_buffer
      - .actual_access:  read_only
        .address_space:  global
        .offset:         16
        .size:           8
        .value_kind:     global_buffer
      - .offset:         24
        .size:           4
        .value_kind:     by_value
      - .offset:         28
        .size:           4
        .value_kind:     by_value
      - .actual_access:  read_only
        .address_space:  global
        .offset:         32
        .size:           8
        .value_kind:     global_buffer
      - .actual_access:  read_only
        .address_space:  global
        .offset:         40
        .size:           8
        .value_kind:     global_buffer
      - .actual_access:  read_only
        .address_space:  global
        .offset:         48
        .size:           8
        .value_kind:     global_buffer
      - .offset:         56
        .size:           4
        .value_kind:     by_value
      - .actual_access:  read_only
        .address_space:  global
        .offset:         64
        .size:           8
        .value_kind:     global_buffer
      - .offset:         72
        .size:           4
        .value_kind:     by_value
      - .offset:         76
        .size:           4
        .value_kind:     by_value
      - .offset:         80
        .size:           4
        .value_kind:     by_value
      - .actual_access:  write_only
        .address_space:  global
        .offset:         88
        .size:           8
        .value_kind:     global_buffer
      - .actual_access:  write_only
        .address_space:  global
        .offset:         96
        .size:           8
        .value_kind:     global_buffer
      - .actual_access:  write_only
        .address_space:  global
        .offset:         104
        .size:           8
        .value_kind:     global_buffer
      - .actual_access:  read_only
        .address_space:  global
        .offset:         112
        .size:           8
        .value_kind:     global_buffer
      - .offset:         120
        .size:           4
        .value_kind:     by_value
      - .address_space:  global
        .offset:         128
        .size:           8
        .value_kind:     global_buffer
      - .address_space:  global
        .offset:         136
        .size:           8
        .value_kind:     global_buffer
      - .offset:         144
        .size:           4
        .value_kind:     hidden_block_count_x
      - .offset:         148
        .size:           4
        .value_kind:     hidden_block_count_y
      - .offset:         152
        .size:           4
        .value_kind:     hidden_block_count_z
      - .offset:         156
        .size:           2
        .value_kind:     hidden_group_size_x
      - .offset:         158
        .size:           2
        .value_kind:     hidden_group_size_y
      - .offset:         160
        .size:           2
        .value_kind:     hidden_group_size_z
      - .offset:         162
        .size:           2
        .value_kind:     hidden_remainder_x
      - .offset:         164
        .size:           2
        .value_kind:     hidden_remainder_y
      - .offset:         166
        .size:           2
        .value_kind:     hidden_remainder_z
      - .offset:         184
        .size:           8
        .value_kind:     hidden_global_offset_x
      - .offset:         192
        .size:           8
        .value_kind:     hidden_global_offset_y
      - .offset:         200
        .size:           8
        .value_kind:     hidden_global_offset_z
      - .offset:         208
        .size:           2
        .value_kind:     hidden_grid_dims
    .group_segment_fixed_size: 8192
    .kernarg_segment_align: 8
    .kernarg_segment_size: 400
    .language:       OpenCL C
    .language_version:
      - 2
      - 0
    .max_flat_workgroup_size: 256
    .name:           _Z39paged_attention_ll4mi_QKV_mfma16_kernelI14__hip_bfloat16hLN4vllm18Fp8KVCacheDataTypeE1EhLi16ELi128ELi256ELb1ELi9EEvPKT_PKT0_S8_ifPKiSA_SA_iPKfiiiPfSD_PS3_PT2_iSC_SC_
    .private_segment_fixed_size: 0
    .sgpr_count:     56
    .sgpr_spill_count: 0
    .symbol:         _Z39paged_attention_ll4mi_QKV_mfma16_kernelI14__hip_bfloat16hLN4vllm18Fp8KVCacheDataTypeE1EhLi16ELi128ELi256ELb1ELi9EEvPKT_PKT0_S8_ifPKiSA_SA_iPKfiiiPfSD_PS3_PT2_iSC_SC_.kd
    .uniform_work_group_size: 1
    .uses_dynamic_stack: false
    .vgpr_count:     76
    .vgpr_spill_count: 0
    .wavefront_size: 64
  - .agpr_count:     0
    .args:
      - .actual_access:  read_only
        .address_space:  global
        .offset:         0
        .size:           8
        .value_kind:     global_buffer
      - .actual_access:  read_only
        .address_space:  global
        .offset:         8
        .size:           8
        .value_kind:     global_buffer
      - .actual_access:  read_only
        .address_space:  global
        .offset:         16
        .size:           8
        .value_kind:     global_buffer
      - .offset:         24
        .size:           4
        .value_kind:     by_value
      - .offset:         28
        .size:           4
        .value_kind:     by_value
      - .actual_access:  read_only
        .address_space:  global
        .offset:         32
        .size:           8
        .value_kind:     global_buffer
      - .actual_access:  read_only
        .address_space:  global
        .offset:         40
        .size:           8
        .value_kind:     global_buffer
      - .actual_access:  read_only
        .address_space:  global
        .offset:         48
        .size:           8
        .value_kind:     global_buffer
      - .offset:         56
        .size:           4
        .value_kind:     by_value
      - .actual_access:  read_only
        .address_space:  global
        .offset:         64
        .size:           8
        .value_kind:     global_buffer
      - .offset:         72
        .size:           4
        .value_kind:     by_value
      - .offset:         76
        .size:           4
        .value_kind:     by_value
      - .offset:         80
        .size:           4
        .value_kind:     by_value
      - .actual_access:  write_only
        .address_space:  global
        .offset:         88
        .size:           8
        .value_kind:     global_buffer
      - .actual_access:  write_only
        .address_space:  global
        .offset:         96
        .size:           8
        .value_kind:     global_buffer
      - .actual_access:  write_only
        .address_space:  global
        .offset:         104
        .size:           8
        .value_kind:     global_buffer
      - .actual_access:  read_only
        .address_space:  global
        .offset:         112
        .size:           8
        .value_kind:     global_buffer
      - .offset:         120
        .size:           4
        .value_kind:     by_value
      - .address_space:  global
        .offset:         128
        .size:           8
        .value_kind:     global_buffer
      - .address_space:  global
        .offset:         136
        .size:           8
        .value_kind:     global_buffer
      - .offset:         144
        .size:           4
        .value_kind:     hidden_block_count_x
      - .offset:         148
        .size:           4
        .value_kind:     hidden_block_count_y
      - .offset:         152
        .size:           4
        .value_kind:     hidden_block_count_z
      - .offset:         156
        .size:           2
        .value_kind:     hidden_group_size_x
      - .offset:         158
        .size:           2
        .value_kind:     hidden_group_size_y
      - .offset:         160
        .size:           2
        .value_kind:     hidden_group_size_z
      - .offset:         162
        .size:           2
        .value_kind:     hidden_remainder_x
      - .offset:         164
        .size:           2
        .value_kind:     hidden_remainder_y
      - .offset:         166
        .size:           2
        .value_kind:     hidden_remainder_z
      - .offset:         184
        .size:           8
        .value_kind:     hidden_global_offset_x
      - .offset:         192
        .size:           8
        .value_kind:     hidden_global_offset_y
      - .offset:         200
        .size:           8
        .value_kind:     hidden_global_offset_z
      - .offset:         208
        .size:           2
        .value_kind:     hidden_grid_dims
    .group_segment_fixed_size: 8192
    .kernarg_segment_align: 8
    .kernarg_segment_size: 400
    .language:       OpenCL C
    .language_version:
      - 2
      - 0
    .max_flat_workgroup_size: 256
    .name:           _Z39paged_attention_ll4mi_QKV_mfma16_kernelI14__hip_bfloat16hLN4vllm18Fp8KVCacheDataTypeE1EhLi16ELi128ELi256ELb1ELi10EEvPKT_PKT0_S8_ifPKiSA_SA_iPKfiiiPfSD_PS3_PT2_iSC_SC_
    .private_segment_fixed_size: 0
    .sgpr_count:     56
    .sgpr_spill_count: 0
    .symbol:         _Z39paged_attention_ll4mi_QKV_mfma16_kernelI14__hip_bfloat16hLN4vllm18Fp8KVCacheDataTypeE1EhLi16ELi128ELi256ELb1ELi10EEvPKT_PKT0_S8_ifPKiSA_SA_iPKfiiiPfSD_PS3_PT2_iSC_SC_.kd
    .uniform_work_group_size: 1
    .uses_dynamic_stack: false
    .vgpr_count:     76
    .vgpr_spill_count: 0
    .wavefront_size: 64
  - .agpr_count:     0
    .args:
      - .actual_access:  read_only
        .address_space:  global
        .offset:         0
        .size:           8
        .value_kind:     global_buffer
      - .actual_access:  read_only
        .address_space:  global
        .offset:         8
        .size:           8
        .value_kind:     global_buffer
      - .actual_access:  read_only
        .address_space:  global
        .offset:         16
        .size:           8
        .value_kind:     global_buffer
      - .offset:         24
        .size:           4
        .value_kind:     by_value
      - .offset:         28
        .size:           4
        .value_kind:     by_value
      - .actual_access:  read_only
        .address_space:  global
        .offset:         32
        .size:           8
        .value_kind:     global_buffer
      - .actual_access:  read_only
        .address_space:  global
        .offset:         40
        .size:           8
        .value_kind:     global_buffer
      - .actual_access:  read_only
        .address_space:  global
        .offset:         48
        .size:           8
        .value_kind:     global_buffer
      - .offset:         56
        .size:           4
        .value_kind:     by_value
      - .actual_access:  read_only
        .address_space:  global
        .offset:         64
        .size:           8
        .value_kind:     global_buffer
      - .offset:         72
        .size:           4
        .value_kind:     by_value
      - .offset:         76
        .size:           4
        .value_kind:     by_value
      - .offset:         80
        .size:           4
        .value_kind:     by_value
      - .actual_access:  write_only
        .address_space:  global
        .offset:         88
        .size:           8
        .value_kind:     global_buffer
      - .actual_access:  write_only
        .address_space:  global
        .offset:         96
        .size:           8
        .value_kind:     global_buffer
      - .actual_access:  write_only
        .address_space:  global
        .offset:         104
        .size:           8
        .value_kind:     global_buffer
      - .actual_access:  read_only
        .address_space:  global
        .offset:         112
        .size:           8
        .value_kind:     global_buffer
      - .offset:         120
        .size:           4
        .value_kind:     by_value
      - .address_space:  global
        .offset:         128
        .size:           8
        .value_kind:     global_buffer
      - .address_space:  global
        .offset:         136
        .size:           8
        .value_kind:     global_buffer
      - .offset:         144
        .size:           4
        .value_kind:     hidden_block_count_x
      - .offset:         148
        .size:           4
        .value_kind:     hidden_block_count_y
      - .offset:         152
        .size:           4
        .value_kind:     hidden_block_count_z
      - .offset:         156
        .size:           2
        .value_kind:     hidden_group_size_x
      - .offset:         158
        .size:           2
        .value_kind:     hidden_group_size_y
      - .offset:         160
        .size:           2
        .value_kind:     hidden_group_size_z
      - .offset:         162
        .size:           2
        .value_kind:     hidden_remainder_x
      - .offset:         164
        .size:           2
        .value_kind:     hidden_remainder_y
      - .offset:         166
        .size:           2
        .value_kind:     hidden_remainder_z
      - .offset:         184
        .size:           8
        .value_kind:     hidden_global_offset_x
      - .offset:         192
        .size:           8
        .value_kind:     hidden_global_offset_y
      - .offset:         200
        .size:           8
        .value_kind:     hidden_global_offset_z
      - .offset:         208
        .size:           2
        .value_kind:     hidden_grid_dims
    .group_segment_fixed_size: 8192
    .kernarg_segment_align: 8
    .kernarg_segment_size: 400
    .language:       OpenCL C
    .language_version:
      - 2
      - 0
    .max_flat_workgroup_size: 256
    .name:           _Z39paged_attention_ll4mi_QKV_mfma16_kernelI14__hip_bfloat16hLN4vllm18Fp8KVCacheDataTypeE1EhLi16ELi128ELi256ELb1ELi11EEvPKT_PKT0_S8_ifPKiSA_SA_iPKfiiiPfSD_PS3_PT2_iSC_SC_
    .private_segment_fixed_size: 0
    .sgpr_count:     56
    .sgpr_spill_count: 0
    .symbol:         _Z39paged_attention_ll4mi_QKV_mfma16_kernelI14__hip_bfloat16hLN4vllm18Fp8KVCacheDataTypeE1EhLi16ELi128ELi256ELb1ELi11EEvPKT_PKT0_S8_ifPKiSA_SA_iPKfiiiPfSD_PS3_PT2_iSC_SC_.kd
    .uniform_work_group_size: 1
    .uses_dynamic_stack: false
    .vgpr_count:     76
    .vgpr_spill_count: 0
    .wavefront_size: 64
  - .agpr_count:     0
    .args:
      - .actual_access:  read_only
        .address_space:  global
        .offset:         0
        .size:           8
        .value_kind:     global_buffer
      - .actual_access:  read_only
        .address_space:  global
        .offset:         8
        .size:           8
        .value_kind:     global_buffer
      - .actual_access:  read_only
        .address_space:  global
        .offset:         16
        .size:           8
        .value_kind:     global_buffer
      - .offset:         24
        .size:           4
        .value_kind:     by_value
      - .offset:         28
        .size:           4
        .value_kind:     by_value
      - .actual_access:  read_only
        .address_space:  global
        .offset:         32
        .size:           8
        .value_kind:     global_buffer
      - .actual_access:  read_only
        .address_space:  global
        .offset:         40
        .size:           8
        .value_kind:     global_buffer
      - .actual_access:  read_only
        .address_space:  global
        .offset:         48
        .size:           8
        .value_kind:     global_buffer
      - .offset:         56
        .size:           4
        .value_kind:     by_value
      - .actual_access:  read_only
        .address_space:  global
        .offset:         64
        .size:           8
        .value_kind:     global_buffer
      - .offset:         72
        .size:           4
        .value_kind:     by_value
      - .offset:         76
        .size:           4
        .value_kind:     by_value
      - .offset:         80
        .size:           4
        .value_kind:     by_value
      - .actual_access:  write_only
        .address_space:  global
        .offset:         88
        .size:           8
        .value_kind:     global_buffer
      - .actual_access:  write_only
        .address_space:  global
        .offset:         96
        .size:           8
        .value_kind:     global_buffer
      - .actual_access:  write_only
        .address_space:  global
        .offset:         104
        .size:           8
        .value_kind:     global_buffer
      - .actual_access:  read_only
        .address_space:  global
        .offset:         112
        .size:           8
        .value_kind:     global_buffer
      - .offset:         120
        .size:           4
        .value_kind:     by_value
      - .address_space:  global
        .offset:         128
        .size:           8
        .value_kind:     global_buffer
      - .address_space:  global
        .offset:         136
        .size:           8
        .value_kind:     global_buffer
      - .offset:         144
        .size:           4
        .value_kind:     hidden_block_count_x
      - .offset:         148
        .size:           4
        .value_kind:     hidden_block_count_y
      - .offset:         152
        .size:           4
        .value_kind:     hidden_block_count_z
      - .offset:         156
        .size:           2
        .value_kind:     hidden_group_size_x
      - .offset:         158
        .size:           2
        .value_kind:     hidden_group_size_y
      - .offset:         160
        .size:           2
        .value_kind:     hidden_group_size_z
      - .offset:         162
        .size:           2
        .value_kind:     hidden_remainder_x
      - .offset:         164
        .size:           2
        .value_kind:     hidden_remainder_y
      - .offset:         166
        .size:           2
        .value_kind:     hidden_remainder_z
      - .offset:         184
        .size:           8
        .value_kind:     hidden_global_offset_x
      - .offset:         192
        .size:           8
        .value_kind:     hidden_global_offset_y
      - .offset:         200
        .size:           8
        .value_kind:     hidden_global_offset_z
      - .offset:         208
        .size:           2
        .value_kind:     hidden_grid_dims
    .group_segment_fixed_size: 8192
    .kernarg_segment_align: 8
    .kernarg_segment_size: 400
    .language:       OpenCL C
    .language_version:
      - 2
      - 0
    .max_flat_workgroup_size: 256
    .name:           _Z39paged_attention_ll4mi_QKV_mfma16_kernelI14__hip_bfloat16hLN4vllm18Fp8KVCacheDataTypeE1EhLi16ELi128ELi256ELb1ELi12EEvPKT_PKT0_S8_ifPKiSA_SA_iPKfiiiPfSD_PS3_PT2_iSC_SC_
    .private_segment_fixed_size: 0
    .sgpr_count:     56
    .sgpr_spill_count: 0
    .symbol:         _Z39paged_attention_ll4mi_QKV_mfma16_kernelI14__hip_bfloat16hLN4vllm18Fp8KVCacheDataTypeE1EhLi16ELi128ELi256ELb1ELi12EEvPKT_PKT0_S8_ifPKiSA_SA_iPKfiiiPfSD_PS3_PT2_iSC_SC_.kd
    .uniform_work_group_size: 1
    .uses_dynamic_stack: false
    .vgpr_count:     76
    .vgpr_spill_count: 0
    .wavefront_size: 64
  - .agpr_count:     0
    .args:
      - .actual_access:  read_only
        .address_space:  global
        .offset:         0
        .size:           8
        .value_kind:     global_buffer
      - .actual_access:  read_only
        .address_space:  global
        .offset:         8
        .size:           8
        .value_kind:     global_buffer
      - .actual_access:  read_only
        .address_space:  global
        .offset:         16
        .size:           8
        .value_kind:     global_buffer
      - .offset:         24
        .size:           4
        .value_kind:     by_value
      - .offset:         28
        .size:           4
        .value_kind:     by_value
      - .actual_access:  read_only
        .address_space:  global
        .offset:         32
        .size:           8
        .value_kind:     global_buffer
      - .actual_access:  read_only
        .address_space:  global
        .offset:         40
        .size:           8
        .value_kind:     global_buffer
      - .actual_access:  read_only
        .address_space:  global
        .offset:         48
        .size:           8
        .value_kind:     global_buffer
      - .offset:         56
        .size:           4
        .value_kind:     by_value
      - .actual_access:  read_only
        .address_space:  global
        .offset:         64
        .size:           8
        .value_kind:     global_buffer
      - .offset:         72
        .size:           4
        .value_kind:     by_value
      - .offset:         76
        .size:           4
        .value_kind:     by_value
      - .offset:         80
        .size:           4
        .value_kind:     by_value
      - .actual_access:  write_only
        .address_space:  global
        .offset:         88
        .size:           8
        .value_kind:     global_buffer
      - .actual_access:  write_only
        .address_space:  global
        .offset:         96
        .size:           8
        .value_kind:     global_buffer
      - .actual_access:  write_only
        .address_space:  global
        .offset:         104
        .size:           8
        .value_kind:     global_buffer
      - .actual_access:  read_only
        .address_space:  global
        .offset:         112
        .size:           8
        .value_kind:     global_buffer
      - .offset:         120
        .size:           4
        .value_kind:     by_value
      - .address_space:  global
        .offset:         128
        .size:           8
        .value_kind:     global_buffer
      - .address_space:  global
        .offset:         136
        .size:           8
        .value_kind:     global_buffer
      - .offset:         144
        .size:           4
        .value_kind:     hidden_block_count_x
      - .offset:         148
        .size:           4
        .value_kind:     hidden_block_count_y
      - .offset:         152
        .size:           4
        .value_kind:     hidden_block_count_z
      - .offset:         156
        .size:           2
        .value_kind:     hidden_group_size_x
      - .offset:         158
        .size:           2
        .value_kind:     hidden_group_size_y
      - .offset:         160
        .size:           2
        .value_kind:     hidden_group_size_z
      - .offset:         162
        .size:           2
        .value_kind:     hidden_remainder_x
      - .offset:         164
        .size:           2
        .value_kind:     hidden_remainder_y
      - .offset:         166
        .size:           2
        .value_kind:     hidden_remainder_z
      - .offset:         184
        .size:           8
        .value_kind:     hidden_global_offset_x
      - .offset:         192
        .size:           8
        .value_kind:     hidden_global_offset_y
      - .offset:         200
        .size:           8
        .value_kind:     hidden_global_offset_z
      - .offset:         208
        .size:           2
        .value_kind:     hidden_grid_dims
    .group_segment_fixed_size: 8192
    .kernarg_segment_align: 8
    .kernarg_segment_size: 400
    .language:       OpenCL C
    .language_version:
      - 2
      - 0
    .max_flat_workgroup_size: 256
    .name:           _Z39paged_attention_ll4mi_QKV_mfma16_kernelI14__hip_bfloat16hLN4vllm18Fp8KVCacheDataTypeE1EhLi16ELi128ELi256ELb1ELi13EEvPKT_PKT0_S8_ifPKiSA_SA_iPKfiiiPfSD_PS3_PT2_iSC_SC_
    .private_segment_fixed_size: 0
    .sgpr_count:     56
    .sgpr_spill_count: 0
    .symbol:         _Z39paged_attention_ll4mi_QKV_mfma16_kernelI14__hip_bfloat16hLN4vllm18Fp8KVCacheDataTypeE1EhLi16ELi128ELi256ELb1ELi13EEvPKT_PKT0_S8_ifPKiSA_SA_iPKfiiiPfSD_PS3_PT2_iSC_SC_.kd
    .uniform_work_group_size: 1
    .uses_dynamic_stack: false
    .vgpr_count:     76
    .vgpr_spill_count: 0
    .wavefront_size: 64
  - .agpr_count:     0
    .args:
      - .actual_access:  read_only
        .address_space:  global
        .offset:         0
        .size:           8
        .value_kind:     global_buffer
      - .actual_access:  read_only
        .address_space:  global
        .offset:         8
        .size:           8
        .value_kind:     global_buffer
      - .actual_access:  read_only
        .address_space:  global
        .offset:         16
        .size:           8
        .value_kind:     global_buffer
      - .offset:         24
        .size:           4
        .value_kind:     by_value
      - .offset:         28
        .size:           4
        .value_kind:     by_value
      - .actual_access:  read_only
        .address_space:  global
        .offset:         32
        .size:           8
        .value_kind:     global_buffer
      - .actual_access:  read_only
        .address_space:  global
        .offset:         40
        .size:           8
        .value_kind:     global_buffer
      - .actual_access:  read_only
        .address_space:  global
        .offset:         48
        .size:           8
        .value_kind:     global_buffer
      - .offset:         56
        .size:           4
        .value_kind:     by_value
      - .actual_access:  read_only
        .address_space:  global
        .offset:         64
        .size:           8
        .value_kind:     global_buffer
      - .offset:         72
        .size:           4
        .value_kind:     by_value
      - .offset:         76
        .size:           4
        .value_kind:     by_value
      - .offset:         80
        .size:           4
        .value_kind:     by_value
      - .actual_access:  write_only
        .address_space:  global
        .offset:         88
        .size:           8
        .value_kind:     global_buffer
      - .actual_access:  write_only
        .address_space:  global
        .offset:         96
        .size:           8
        .value_kind:     global_buffer
      - .actual_access:  write_only
        .address_space:  global
        .offset:         104
        .size:           8
        .value_kind:     global_buffer
      - .actual_access:  read_only
        .address_space:  global
        .offset:         112
        .size:           8
        .value_kind:     global_buffer
      - .offset:         120
        .size:           4
        .value_kind:     by_value
      - .address_space:  global
        .offset:         128
        .size:           8
        .value_kind:     global_buffer
      - .address_space:  global
        .offset:         136
        .size:           8
        .value_kind:     global_buffer
      - .offset:         144
        .size:           4
        .value_kind:     hidden_block_count_x
      - .offset:         148
        .size:           4
        .value_kind:     hidden_block_count_y
      - .offset:         152
        .size:           4
        .value_kind:     hidden_block_count_z
      - .offset:         156
        .size:           2
        .value_kind:     hidden_group_size_x
      - .offset:         158
        .size:           2
        .value_kind:     hidden_group_size_y
      - .offset:         160
        .size:           2
        .value_kind:     hidden_group_size_z
      - .offset:         162
        .size:           2
        .value_kind:     hidden_remainder_x
      - .offset:         164
        .size:           2
        .value_kind:     hidden_remainder_y
      - .offset:         166
        .size:           2
        .value_kind:     hidden_remainder_z
      - .offset:         184
        .size:           8
        .value_kind:     hidden_global_offset_x
      - .offset:         192
        .size:           8
        .value_kind:     hidden_global_offset_y
      - .offset:         200
        .size:           8
        .value_kind:     hidden_global_offset_z
      - .offset:         208
        .size:           2
        .value_kind:     hidden_grid_dims
    .group_segment_fixed_size: 8192
    .kernarg_segment_align: 8
    .kernarg_segment_size: 400
    .language:       OpenCL C
    .language_version:
      - 2
      - 0
    .max_flat_workgroup_size: 256
    .name:           _Z39paged_attention_ll4mi_QKV_mfma16_kernelI14__hip_bfloat16hLN4vllm18Fp8KVCacheDataTypeE1EhLi16ELi128ELi256ELb1ELi14EEvPKT_PKT0_S8_ifPKiSA_SA_iPKfiiiPfSD_PS3_PT2_iSC_SC_
    .private_segment_fixed_size: 0
    .sgpr_count:     56
    .sgpr_spill_count: 0
    .symbol:         _Z39paged_attention_ll4mi_QKV_mfma16_kernelI14__hip_bfloat16hLN4vllm18Fp8KVCacheDataTypeE1EhLi16ELi128ELi256ELb1ELi14EEvPKT_PKT0_S8_ifPKiSA_SA_iPKfiiiPfSD_PS3_PT2_iSC_SC_.kd
    .uniform_work_group_size: 1
    .uses_dynamic_stack: false
    .vgpr_count:     76
    .vgpr_spill_count: 0
    .wavefront_size: 64
  - .agpr_count:     0
    .args:
      - .actual_access:  read_only
        .address_space:  global
        .offset:         0
        .size:           8
        .value_kind:     global_buffer
      - .actual_access:  read_only
        .address_space:  global
        .offset:         8
        .size:           8
        .value_kind:     global_buffer
      - .actual_access:  read_only
        .address_space:  global
        .offset:         16
        .size:           8
        .value_kind:     global_buffer
      - .offset:         24
        .size:           4
        .value_kind:     by_value
      - .offset:         28
        .size:           4
        .value_kind:     by_value
      - .actual_access:  read_only
        .address_space:  global
        .offset:         32
        .size:           8
        .value_kind:     global_buffer
      - .actual_access:  read_only
        .address_space:  global
        .offset:         40
        .size:           8
        .value_kind:     global_buffer
      - .actual_access:  read_only
        .address_space:  global
        .offset:         48
        .size:           8
        .value_kind:     global_buffer
      - .offset:         56
        .size:           4
        .value_kind:     by_value
      - .actual_access:  read_only
        .address_space:  global
        .offset:         64
        .size:           8
        .value_kind:     global_buffer
      - .offset:         72
        .size:           4
        .value_kind:     by_value
      - .offset:         76
        .size:           4
        .value_kind:     by_value
      - .offset:         80
        .size:           4
        .value_kind:     by_value
      - .actual_access:  write_only
        .address_space:  global
        .offset:         88
        .size:           8
        .value_kind:     global_buffer
      - .actual_access:  write_only
        .address_space:  global
        .offset:         96
        .size:           8
        .value_kind:     global_buffer
      - .actual_access:  write_only
        .address_space:  global
        .offset:         104
        .size:           8
        .value_kind:     global_buffer
      - .actual_access:  read_only
        .address_space:  global
        .offset:         112
        .size:           8
        .value_kind:     global_buffer
      - .offset:         120
        .size:           4
        .value_kind:     by_value
      - .address_space:  global
        .offset:         128
        .size:           8
        .value_kind:     global_buffer
      - .address_space:  global
        .offset:         136
        .size:           8
        .value_kind:     global_buffer
      - .offset:         144
        .size:           4
        .value_kind:     hidden_block_count_x
      - .offset:         148
        .size:           4
        .value_kind:     hidden_block_count_y
      - .offset:         152
        .size:           4
        .value_kind:     hidden_block_count_z
      - .offset:         156
        .size:           2
        .value_kind:     hidden_group_size_x
      - .offset:         158
        .size:           2
        .value_kind:     hidden_group_size_y
      - .offset:         160
        .size:           2
        .value_kind:     hidden_group_size_z
      - .offset:         162
        .size:           2
        .value_kind:     hidden_remainder_x
      - .offset:         164
        .size:           2
        .value_kind:     hidden_remainder_y
      - .offset:         166
        .size:           2
        .value_kind:     hidden_remainder_z
      - .offset:         184
        .size:           8
        .value_kind:     hidden_global_offset_x
      - .offset:         192
        .size:           8
        .value_kind:     hidden_global_offset_y
      - .offset:         200
        .size:           8
        .value_kind:     hidden_global_offset_z
      - .offset:         208
        .size:           2
        .value_kind:     hidden_grid_dims
    .group_segment_fixed_size: 8192
    .kernarg_segment_align: 8
    .kernarg_segment_size: 400
    .language:       OpenCL C
    .language_version:
      - 2
      - 0
    .max_flat_workgroup_size: 256
    .name:           _Z39paged_attention_ll4mi_QKV_mfma16_kernelI14__hip_bfloat16hLN4vllm18Fp8KVCacheDataTypeE1EhLi16ELi128ELi256ELb1ELi15EEvPKT_PKT0_S8_ifPKiSA_SA_iPKfiiiPfSD_PS3_PT2_iSC_SC_
    .private_segment_fixed_size: 0
    .sgpr_count:     56
    .sgpr_spill_count: 0
    .symbol:         _Z39paged_attention_ll4mi_QKV_mfma16_kernelI14__hip_bfloat16hLN4vllm18Fp8KVCacheDataTypeE1EhLi16ELi128ELi256ELb1ELi15EEvPKT_PKT0_S8_ifPKiSA_SA_iPKfiiiPfSD_PS3_PT2_iSC_SC_.kd
    .uniform_work_group_size: 1
    .uses_dynamic_stack: false
    .vgpr_count:     76
    .vgpr_spill_count: 0
    .wavefront_size: 64
  - .agpr_count:     0
    .args:
      - .actual_access:  read_only
        .address_space:  global
        .offset:         0
        .size:           8
        .value_kind:     global_buffer
      - .actual_access:  read_only
        .address_space:  global
        .offset:         8
        .size:           8
        .value_kind:     global_buffer
      - .actual_access:  read_only
        .address_space:  global
        .offset:         16
        .size:           8
        .value_kind:     global_buffer
      - .offset:         24
        .size:           4
        .value_kind:     by_value
      - .offset:         28
        .size:           4
        .value_kind:     by_value
      - .actual_access:  read_only
        .address_space:  global
        .offset:         32
        .size:           8
        .value_kind:     global_buffer
      - .actual_access:  read_only
        .address_space:  global
        .offset:         40
        .size:           8
        .value_kind:     global_buffer
      - .actual_access:  read_only
        .address_space:  global
        .offset:         48
        .size:           8
        .value_kind:     global_buffer
      - .offset:         56
        .size:           4
        .value_kind:     by_value
      - .actual_access:  read_only
        .address_space:  global
        .offset:         64
        .size:           8
        .value_kind:     global_buffer
      - .offset:         72
        .size:           4
        .value_kind:     by_value
      - .offset:         76
        .size:           4
        .value_kind:     by_value
      - .offset:         80
        .size:           4
        .value_kind:     by_value
      - .actual_access:  write_only
        .address_space:  global
        .offset:         88
        .size:           8
        .value_kind:     global_buffer
      - .actual_access:  write_only
        .address_space:  global
        .offset:         96
        .size:           8
        .value_kind:     global_buffer
      - .actual_access:  write_only
        .address_space:  global
        .offset:         104
        .size:           8
        .value_kind:     global_buffer
      - .actual_access:  read_only
        .address_space:  global
        .offset:         112
        .size:           8
        .value_kind:     global_buffer
      - .offset:         120
        .size:           4
        .value_kind:     by_value
      - .address_space:  global
        .offset:         128
        .size:           8
        .value_kind:     global_buffer
      - .address_space:  global
        .offset:         136
        .size:           8
        .value_kind:     global_buffer
      - .offset:         144
        .size:           4
        .value_kind:     hidden_block_count_x
      - .offset:         148
        .size:           4
        .value_kind:     hidden_block_count_y
      - .offset:         152
        .size:           4
        .value_kind:     hidden_block_count_z
      - .offset:         156
        .size:           2
        .value_kind:     hidden_group_size_x
      - .offset:         158
        .size:           2
        .value_kind:     hidden_group_size_y
      - .offset:         160
        .size:           2
        .value_kind:     hidden_group_size_z
      - .offset:         162
        .size:           2
        .value_kind:     hidden_remainder_x
      - .offset:         164
        .size:           2
        .value_kind:     hidden_remainder_y
      - .offset:         166
        .size:           2
        .value_kind:     hidden_remainder_z
      - .offset:         184
        .size:           8
        .value_kind:     hidden_global_offset_x
      - .offset:         192
        .size:           8
        .value_kind:     hidden_global_offset_y
      - .offset:         200
        .size:           8
        .value_kind:     hidden_global_offset_z
      - .offset:         208
        .size:           2
        .value_kind:     hidden_grid_dims
    .group_segment_fixed_size: 8192
    .kernarg_segment_align: 8
    .kernarg_segment_size: 400
    .language:       OpenCL C
    .language_version:
      - 2
      - 0
    .max_flat_workgroup_size: 256
    .name:           _Z39paged_attention_ll4mi_QKV_mfma16_kernelI14__hip_bfloat16hLN4vllm18Fp8KVCacheDataTypeE1EhLi16ELi128ELi256ELb1ELi16EEvPKT_PKT0_S8_ifPKiSA_SA_iPKfiiiPfSD_PS3_PT2_iSC_SC_
    .private_segment_fixed_size: 0
    .sgpr_count:     54
    .sgpr_spill_count: 0
    .symbol:         _Z39paged_attention_ll4mi_QKV_mfma16_kernelI14__hip_bfloat16hLN4vllm18Fp8KVCacheDataTypeE1EhLi16ELi128ELi256ELb1ELi16EEvPKT_PKT0_S8_ifPKiSA_SA_iPKfiiiPfSD_PS3_PT2_iSC_SC_.kd
    .uniform_work_group_size: 1
    .uses_dynamic_stack: false
    .vgpr_count:     94
    .vgpr_spill_count: 0
    .wavefront_size: 64
  - .agpr_count:     0
    .args:
      - .actual_access:  read_only
        .address_space:  global
        .offset:         0
        .size:           8
        .value_kind:     global_buffer
      - .actual_access:  read_only
        .address_space:  global
        .offset:         8
        .size:           8
        .value_kind:     global_buffer
      - .actual_access:  read_only
        .address_space:  global
        .offset:         16
        .size:           8
        .value_kind:     global_buffer
      - .offset:         24
        .size:           4
        .value_kind:     by_value
      - .offset:         28
        .size:           4
        .value_kind:     by_value
      - .actual_access:  read_only
        .address_space:  global
        .offset:         32
        .size:           8
        .value_kind:     global_buffer
      - .actual_access:  read_only
        .address_space:  global
        .offset:         40
        .size:           8
        .value_kind:     global_buffer
      - .actual_access:  read_only
        .address_space:  global
        .offset:         48
        .size:           8
        .value_kind:     global_buffer
      - .offset:         56
        .size:           4
        .value_kind:     by_value
      - .actual_access:  read_only
        .address_space:  global
        .offset:         64
        .size:           8
        .value_kind:     global_buffer
      - .offset:         72
        .size:           4
        .value_kind:     by_value
      - .offset:         76
        .size:           4
        .value_kind:     by_value
      - .offset:         80
        .size:           4
        .value_kind:     by_value
      - .actual_access:  write_only
        .address_space:  global
        .offset:         88
        .size:           8
        .value_kind:     global_buffer
      - .actual_access:  write_only
        .address_space:  global
        .offset:         96
        .size:           8
        .value_kind:     global_buffer
      - .actual_access:  write_only
        .address_space:  global
        .offset:         104
        .size:           8
        .value_kind:     global_buffer
      - .actual_access:  read_only
        .address_space:  global
        .offset:         112
        .size:           8
        .value_kind:     global_buffer
      - .offset:         120
        .size:           4
        .value_kind:     by_value
      - .address_space:  global
        .offset:         128
        .size:           8
        .value_kind:     global_buffer
      - .address_space:  global
        .offset:         136
        .size:           8
        .value_kind:     global_buffer
      - .offset:         144
        .size:           4
        .value_kind:     hidden_block_count_x
      - .offset:         148
        .size:           4
        .value_kind:     hidden_block_count_y
      - .offset:         152
        .size:           4
        .value_kind:     hidden_block_count_z
      - .offset:         156
        .size:           2
        .value_kind:     hidden_group_size_x
      - .offset:         158
        .size:           2
        .value_kind:     hidden_group_size_y
      - .offset:         160
        .size:           2
        .value_kind:     hidden_group_size_z
      - .offset:         162
        .size:           2
        .value_kind:     hidden_remainder_x
      - .offset:         164
        .size:           2
        .value_kind:     hidden_remainder_y
      - .offset:         166
        .size:           2
        .value_kind:     hidden_remainder_z
      - .offset:         184
        .size:           8
        .value_kind:     hidden_global_offset_x
      - .offset:         192
        .size:           8
        .value_kind:     hidden_global_offset_y
      - .offset:         200
        .size:           8
        .value_kind:     hidden_global_offset_z
      - .offset:         208
        .size:           2
        .value_kind:     hidden_grid_dims
    .group_segment_fixed_size: 8192
    .kernarg_segment_align: 8
    .kernarg_segment_size: 400
    .language:       OpenCL C
    .language_version:
      - 2
      - 0
    .max_flat_workgroup_size: 256
    .name:           _Z39paged_attention_ll4mi_QKV_mfma16_kernelI14__hip_bfloat16hLN4vllm18Fp8KVCacheDataTypeE1EhLi16ELi128ELi256ELb1ELi1EEvPKT_PKT0_S8_ifPKiSA_SA_iPKfiiiPfSD_PS3_PT2_iSC_SC_
    .private_segment_fixed_size: 0
    .sgpr_count:     54
    .sgpr_spill_count: 0
    .symbol:         _Z39paged_attention_ll4mi_QKV_mfma16_kernelI14__hip_bfloat16hLN4vllm18Fp8KVCacheDataTypeE1EhLi16ELi128ELi256ELb1ELi1EEvPKT_PKT0_S8_ifPKiSA_SA_iPKfiiiPfSD_PS3_PT2_iSC_SC_.kd
    .uniform_work_group_size: 1
    .uses_dynamic_stack: false
    .vgpr_count:     80
    .vgpr_spill_count: 0
    .wavefront_size: 64
  - .agpr_count:     0
    .args:
      - .actual_access:  read_only
        .address_space:  global
        .offset:         0
        .size:           8
        .value_kind:     global_buffer
      - .actual_access:  read_only
        .address_space:  global
        .offset:         8
        .size:           8
        .value_kind:     global_buffer
      - .actual_access:  read_only
        .address_space:  global
        .offset:         16
        .size:           8
        .value_kind:     global_buffer
      - .offset:         24
        .size:           4
        .value_kind:     by_value
      - .offset:         28
        .size:           4
        .value_kind:     by_value
      - .actual_access:  read_only
        .address_space:  global
        .offset:         32
        .size:           8
        .value_kind:     global_buffer
      - .actual_access:  read_only
        .address_space:  global
        .offset:         40
        .size:           8
        .value_kind:     global_buffer
      - .actual_access:  read_only
        .address_space:  global
        .offset:         48
        .size:           8
        .value_kind:     global_buffer
      - .offset:         56
        .size:           4
        .value_kind:     by_value
      - .actual_access:  read_only
        .address_space:  global
        .offset:         64
        .size:           8
        .value_kind:     global_buffer
      - .offset:         72
        .size:           4
        .value_kind:     by_value
      - .offset:         76
        .size:           4
        .value_kind:     by_value
      - .offset:         80
        .size:           4
        .value_kind:     by_value
      - .actual_access:  write_only
        .address_space:  global
        .offset:         88
        .size:           8
        .value_kind:     global_buffer
      - .actual_access:  write_only
        .address_space:  global
        .offset:         96
        .size:           8
        .value_kind:     global_buffer
      - .actual_access:  write_only
        .address_space:  global
        .offset:         104
        .size:           8
        .value_kind:     global_buffer
      - .actual_access:  read_only
        .address_space:  global
        .offset:         112
        .size:           8
        .value_kind:     global_buffer
      - .offset:         120
        .size:           4
        .value_kind:     by_value
      - .address_space:  global
        .offset:         128
        .size:           8
        .value_kind:     global_buffer
      - .address_space:  global
        .offset:         136
        .size:           8
        .value_kind:     global_buffer
      - .offset:         144
        .size:           4
        .value_kind:     hidden_block_count_x
      - .offset:         148
        .size:           4
        .value_kind:     hidden_block_count_y
      - .offset:         152
        .size:           4
        .value_kind:     hidden_block_count_z
      - .offset:         156
        .size:           2
        .value_kind:     hidden_group_size_x
      - .offset:         158
        .size:           2
        .value_kind:     hidden_group_size_y
      - .offset:         160
        .size:           2
        .value_kind:     hidden_group_size_z
      - .offset:         162
        .size:           2
        .value_kind:     hidden_remainder_x
      - .offset:         164
        .size:           2
        .value_kind:     hidden_remainder_y
      - .offset:         166
        .size:           2
        .value_kind:     hidden_remainder_z
      - .offset:         184
        .size:           8
        .value_kind:     hidden_global_offset_x
      - .offset:         192
        .size:           8
        .value_kind:     hidden_global_offset_y
      - .offset:         200
        .size:           8
        .value_kind:     hidden_global_offset_z
      - .offset:         208
        .size:           2
        .value_kind:     hidden_grid_dims
    .group_segment_fixed_size: 8192
    .kernarg_segment_align: 8
    .kernarg_segment_size: 400
    .language:       OpenCL C
    .language_version:
      - 2
      - 0
    .max_flat_workgroup_size: 256
    .name:           _Z39paged_attention_ll4mi_QKV_mfma16_kernelI14__hip_bfloat16hLN4vllm18Fp8KVCacheDataTypeE1EhLi16ELi128ELi256ELb1ELi2EEvPKT_PKT0_S8_ifPKiSA_SA_iPKfiiiPfSD_PS3_PT2_iSC_SC_
    .private_segment_fixed_size: 0
    .sgpr_count:     54
    .sgpr_spill_count: 0
    .symbol:         _Z39paged_attention_ll4mi_QKV_mfma16_kernelI14__hip_bfloat16hLN4vllm18Fp8KVCacheDataTypeE1EhLi16ELi128ELi256ELb1ELi2EEvPKT_PKT0_S8_ifPKiSA_SA_iPKfiiiPfSD_PS3_PT2_iSC_SC_.kd
    .uniform_work_group_size: 1
    .uses_dynamic_stack: false
    .vgpr_count:     80
    .vgpr_spill_count: 0
    .wavefront_size: 64
  - .agpr_count:     0
    .args:
      - .actual_access:  read_only
        .address_space:  global
        .offset:         0
        .size:           8
        .value_kind:     global_buffer
      - .actual_access:  read_only
        .address_space:  global
        .offset:         8
        .size:           8
        .value_kind:     global_buffer
      - .actual_access:  read_only
        .address_space:  global
        .offset:         16
        .size:           8
        .value_kind:     global_buffer
      - .offset:         24
        .size:           4
        .value_kind:     by_value
      - .offset:         28
        .size:           4
        .value_kind:     by_value
      - .actual_access:  read_only
        .address_space:  global
        .offset:         32
        .size:           8
        .value_kind:     global_buffer
      - .actual_access:  read_only
        .address_space:  global
        .offset:         40
        .size:           8
        .value_kind:     global_buffer
      - .actual_access:  read_only
        .address_space:  global
        .offset:         48
        .size:           8
        .value_kind:     global_buffer
      - .offset:         56
        .size:           4
        .value_kind:     by_value
      - .actual_access:  read_only
        .address_space:  global
        .offset:         64
        .size:           8
        .value_kind:     global_buffer
      - .offset:         72
        .size:           4
        .value_kind:     by_value
      - .offset:         76
        .size:           4
        .value_kind:     by_value
      - .offset:         80
        .size:           4
        .value_kind:     by_value
      - .actual_access:  write_only
        .address_space:  global
        .offset:         88
        .size:           8
        .value_kind:     global_buffer
      - .actual_access:  write_only
        .address_space:  global
        .offset:         96
        .size:           8
        .value_kind:     global_buffer
      - .actual_access:  write_only
        .address_space:  global
        .offset:         104
        .size:           8
        .value_kind:     global_buffer
      - .actual_access:  read_only
        .address_space:  global
        .offset:         112
        .size:           8
        .value_kind:     global_buffer
      - .offset:         120
        .size:           4
        .value_kind:     by_value
      - .address_space:  global
        .offset:         128
        .size:           8
        .value_kind:     global_buffer
      - .address_space:  global
        .offset:         136
        .size:           8
        .value_kind:     global_buffer
      - .offset:         144
        .size:           4
        .value_kind:     hidden_block_count_x
      - .offset:         148
        .size:           4
        .value_kind:     hidden_block_count_y
      - .offset:         152
        .size:           4
        .value_kind:     hidden_block_count_z
      - .offset:         156
        .size:           2
        .value_kind:     hidden_group_size_x
      - .offset:         158
        .size:           2
        .value_kind:     hidden_group_size_y
      - .offset:         160
        .size:           2
        .value_kind:     hidden_group_size_z
      - .offset:         162
        .size:           2
        .value_kind:     hidden_remainder_x
      - .offset:         164
        .size:           2
        .value_kind:     hidden_remainder_y
      - .offset:         166
        .size:           2
        .value_kind:     hidden_remainder_z
      - .offset:         184
        .size:           8
        .value_kind:     hidden_global_offset_x
      - .offset:         192
        .size:           8
        .value_kind:     hidden_global_offset_y
      - .offset:         200
        .size:           8
        .value_kind:     hidden_global_offset_z
      - .offset:         208
        .size:           2
        .value_kind:     hidden_grid_dims
    .group_segment_fixed_size: 8192
    .kernarg_segment_align: 8
    .kernarg_segment_size: 400
    .language:       OpenCL C
    .language_version:
      - 2
      - 0
    .max_flat_workgroup_size: 256
    .name:           _Z39paged_attention_ll4mi_QKV_mfma16_kernelI14__hip_bfloat16hLN4vllm18Fp8KVCacheDataTypeE1EhLi16ELi128ELi256ELb1ELi3EEvPKT_PKT0_S8_ifPKiSA_SA_iPKfiiiPfSD_PS3_PT2_iSC_SC_
    .private_segment_fixed_size: 0
    .sgpr_count:     56
    .sgpr_spill_count: 0
    .symbol:         _Z39paged_attention_ll4mi_QKV_mfma16_kernelI14__hip_bfloat16hLN4vllm18Fp8KVCacheDataTypeE1EhLi16ELi128ELi256ELb1ELi3EEvPKT_PKT0_S8_ifPKiSA_SA_iPKfiiiPfSD_PS3_PT2_iSC_SC_.kd
    .uniform_work_group_size: 1
    .uses_dynamic_stack: false
    .vgpr_count:     77
    .vgpr_spill_count: 0
    .wavefront_size: 64
  - .agpr_count:     0
    .args:
      - .actual_access:  read_only
        .address_space:  global
        .offset:         0
        .size:           8
        .value_kind:     global_buffer
      - .actual_access:  read_only
        .address_space:  global
        .offset:         8
        .size:           8
        .value_kind:     global_buffer
      - .actual_access:  read_only
        .address_space:  global
        .offset:         16
        .size:           8
        .value_kind:     global_buffer
      - .offset:         24
        .size:           4
        .value_kind:     by_value
      - .offset:         28
        .size:           4
        .value_kind:     by_value
      - .actual_access:  read_only
        .address_space:  global
        .offset:         32
        .size:           8
        .value_kind:     global_buffer
      - .actual_access:  read_only
        .address_space:  global
        .offset:         40
        .size:           8
        .value_kind:     global_buffer
      - .actual_access:  read_only
        .address_space:  global
        .offset:         48
        .size:           8
        .value_kind:     global_buffer
      - .offset:         56
        .size:           4
        .value_kind:     by_value
      - .actual_access:  read_only
        .address_space:  global
        .offset:         64
        .size:           8
        .value_kind:     global_buffer
      - .offset:         72
        .size:           4
        .value_kind:     by_value
      - .offset:         76
        .size:           4
        .value_kind:     by_value
      - .offset:         80
        .size:           4
        .value_kind:     by_value
      - .actual_access:  write_only
        .address_space:  global
        .offset:         88
        .size:           8
        .value_kind:     global_buffer
      - .actual_access:  write_only
        .address_space:  global
        .offset:         96
        .size:           8
        .value_kind:     global_buffer
      - .actual_access:  write_only
        .address_space:  global
        .offset:         104
        .size:           8
        .value_kind:     global_buffer
      - .actual_access:  read_only
        .address_space:  global
        .offset:         112
        .size:           8
        .value_kind:     global_buffer
      - .offset:         120
        .size:           4
        .value_kind:     by_value
      - .address_space:  global
        .offset:         128
        .size:           8
        .value_kind:     global_buffer
      - .address_space:  global
        .offset:         136
        .size:           8
        .value_kind:     global_buffer
      - .offset:         144
        .size:           4
        .value_kind:     hidden_block_count_x
      - .offset:         148
        .size:           4
        .value_kind:     hidden_block_count_y
      - .offset:         152
        .size:           4
        .value_kind:     hidden_block_count_z
      - .offset:         156
        .size:           2
        .value_kind:     hidden_group_size_x
      - .offset:         158
        .size:           2
        .value_kind:     hidden_group_size_y
      - .offset:         160
        .size:           2
        .value_kind:     hidden_group_size_z
      - .offset:         162
        .size:           2
        .value_kind:     hidden_remainder_x
      - .offset:         164
        .size:           2
        .value_kind:     hidden_remainder_y
      - .offset:         166
        .size:           2
        .value_kind:     hidden_remainder_z
      - .offset:         184
        .size:           8
        .value_kind:     hidden_global_offset_x
      - .offset:         192
        .size:           8
        .value_kind:     hidden_global_offset_y
      - .offset:         200
        .size:           8
        .value_kind:     hidden_global_offset_z
      - .offset:         208
        .size:           2
        .value_kind:     hidden_grid_dims
    .group_segment_fixed_size: 8192
    .kernarg_segment_align: 8
    .kernarg_segment_size: 400
    .language:       OpenCL C
    .language_version:
      - 2
      - 0
    .max_flat_workgroup_size: 256
    .name:           _Z39paged_attention_ll4mi_QKV_mfma16_kernelI14__hip_bfloat16hLN4vllm18Fp8KVCacheDataTypeE1EhLi16ELi128ELi256ELb1ELi4EEvPKT_PKT0_S8_ifPKiSA_SA_iPKfiiiPfSD_PS3_PT2_iSC_SC_
    .private_segment_fixed_size: 0
    .sgpr_count:     54
    .sgpr_spill_count: 0
    .symbol:         _Z39paged_attention_ll4mi_QKV_mfma16_kernelI14__hip_bfloat16hLN4vllm18Fp8KVCacheDataTypeE1EhLi16ELi128ELi256ELb1ELi4EEvPKT_PKT0_S8_ifPKiSA_SA_iPKfiiiPfSD_PS3_PT2_iSC_SC_.kd
    .uniform_work_group_size: 1
    .uses_dynamic_stack: false
    .vgpr_count:     82
    .vgpr_spill_count: 0
    .wavefront_size: 64
  - .agpr_count:     4
    .args:
      - .actual_access:  read_only
        .address_space:  global
        .offset:         0
        .size:           8
        .value_kind:     global_buffer
      - .actual_access:  read_only
        .address_space:  global
        .offset:         8
        .size:           8
        .value_kind:     global_buffer
      - .actual_access:  read_only
        .address_space:  global
        .offset:         16
        .size:           8
        .value_kind:     global_buffer
      - .offset:         24
        .size:           4
        .value_kind:     by_value
      - .offset:         28
        .size:           4
        .value_kind:     by_value
      - .actual_access:  read_only
        .address_space:  global
        .offset:         32
        .size:           8
        .value_kind:     global_buffer
      - .actual_access:  read_only
        .address_space:  global
        .offset:         40
        .size:           8
        .value_kind:     global_buffer
      - .actual_access:  read_only
        .address_space:  global
        .offset:         48
        .size:           8
        .value_kind:     global_buffer
      - .offset:         56
        .size:           4
        .value_kind:     by_value
      - .actual_access:  read_only
        .address_space:  global
        .offset:         64
        .size:           8
        .value_kind:     global_buffer
      - .offset:         72
        .size:           4
        .value_kind:     by_value
      - .offset:         76
        .size:           4
        .value_kind:     by_value
      - .offset:         80
        .size:           4
        .value_kind:     by_value
      - .actual_access:  write_only
        .address_space:  global
        .offset:         88
        .size:           8
        .value_kind:     global_buffer
      - .actual_access:  write_only
        .address_space:  global
        .offset:         96
        .size:           8
        .value_kind:     global_buffer
      - .actual_access:  write_only
        .address_space:  global
        .offset:         104
        .size:           8
        .value_kind:     global_buffer
      - .actual_access:  read_only
        .address_space:  global
        .offset:         112
        .size:           8
        .value_kind:     global_buffer
      - .offset:         120
        .size:           4
        .value_kind:     by_value
      - .address_space:  global
        .offset:         128
        .size:           8
        .value_kind:     global_buffer
      - .address_space:  global
        .offset:         136
        .size:           8
        .value_kind:     global_buffer
      - .offset:         144
        .size:           4
        .value_kind:     hidden_block_count_x
      - .offset:         148
        .size:           4
        .value_kind:     hidden_block_count_y
      - .offset:         152
        .size:           4
        .value_kind:     hidden_block_count_z
      - .offset:         156
        .size:           2
        .value_kind:     hidden_group_size_x
      - .offset:         158
        .size:           2
        .value_kind:     hidden_group_size_y
      - .offset:         160
        .size:           2
        .value_kind:     hidden_group_size_z
      - .offset:         162
        .size:           2
        .value_kind:     hidden_remainder_x
      - .offset:         164
        .size:           2
        .value_kind:     hidden_remainder_y
      - .offset:         166
        .size:           2
        .value_kind:     hidden_remainder_z
      - .offset:         184
        .size:           8
        .value_kind:     hidden_global_offset_x
      - .offset:         192
        .size:           8
        .value_kind:     hidden_global_offset_y
      - .offset:         200
        .size:           8
        .value_kind:     hidden_global_offset_z
      - .offset:         208
        .size:           2
        .value_kind:     hidden_grid_dims
    .group_segment_fixed_size: 5280
    .kernarg_segment_align: 8
    .kernarg_segment_size: 400
    .language:       OpenCL C
    .language_version:
      - 2
      - 0
    .max_flat_workgroup_size: 256
    .name:           _Z38paged_attention_ll4mi_QKV_mfma4_kernelI14__hip_bfloat16hLN4vllm18Fp8KVCacheDataTypeE1EhLi16ELi128ELi256ELb0ELi1EEvPKT_PKT0_S8_ifPKiSA_SA_iPKfiiiPfSD_PS3_PT2_iSC_SC_
    .private_segment_fixed_size: 0
    .sgpr_count:     48
    .sgpr_spill_count: 0
    .symbol:         _Z38paged_attention_ll4mi_QKV_mfma4_kernelI14__hip_bfloat16hLN4vllm18Fp8KVCacheDataTypeE1EhLi16ELi128ELi256ELb0ELi1EEvPKT_PKT0_S8_ifPKiSA_SA_iPKfiiiPfSD_PS3_PT2_iSC_SC_.kd
    .uniform_work_group_size: 1
    .uses_dynamic_stack: false
    .vgpr_count:     68
    .vgpr_spill_count: 0
    .wavefront_size: 64
  - .agpr_count:     4
    .args:
      - .actual_access:  read_only
        .address_space:  global
        .offset:         0
        .size:           8
        .value_kind:     global_buffer
      - .actual_access:  read_only
        .address_space:  global
        .offset:         8
        .size:           8
        .value_kind:     global_buffer
      - .actual_access:  read_only
        .address_space:  global
        .offset:         16
        .size:           8
        .value_kind:     global_buffer
      - .offset:         24
        .size:           4
        .value_kind:     by_value
      - .offset:         28
        .size:           4
        .value_kind:     by_value
      - .actual_access:  read_only
        .address_space:  global
        .offset:         32
        .size:           8
        .value_kind:     global_buffer
      - .actual_access:  read_only
        .address_space:  global
        .offset:         40
        .size:           8
        .value_kind:     global_buffer
      - .actual_access:  read_only
        .address_space:  global
        .offset:         48
        .size:           8
        .value_kind:     global_buffer
      - .offset:         56
        .size:           4
        .value_kind:     by_value
      - .actual_access:  read_only
        .address_space:  global
        .offset:         64
        .size:           8
        .value_kind:     global_buffer
      - .offset:         72
        .size:           4
        .value_kind:     by_value
      - .offset:         76
        .size:           4
        .value_kind:     by_value
      - .offset:         80
        .size:           4
        .value_kind:     by_value
      - .actual_access:  write_only
        .address_space:  global
        .offset:         88
        .size:           8
        .value_kind:     global_buffer
      - .actual_access:  write_only
        .address_space:  global
        .offset:         96
        .size:           8
        .value_kind:     global_buffer
      - .actual_access:  write_only
        .address_space:  global
        .offset:         104
        .size:           8
        .value_kind:     global_buffer
      - .actual_access:  read_only
        .address_space:  global
        .offset:         112
        .size:           8
        .value_kind:     global_buffer
      - .offset:         120
        .size:           4
        .value_kind:     by_value
      - .address_space:  global
        .offset:         128
        .size:           8
        .value_kind:     global_buffer
      - .address_space:  global
        .offset:         136
        .size:           8
        .value_kind:     global_buffer
      - .offset:         144
        .size:           4
        .value_kind:     hidden_block_count_x
      - .offset:         148
        .size:           4
        .value_kind:     hidden_block_count_y
      - .offset:         152
        .size:           4
        .value_kind:     hidden_block_count_z
      - .offset:         156
        .size:           2
        .value_kind:     hidden_group_size_x
      - .offset:         158
        .size:           2
        .value_kind:     hidden_group_size_y
      - .offset:         160
        .size:           2
        .value_kind:     hidden_group_size_z
      - .offset:         162
        .size:           2
        .value_kind:     hidden_remainder_x
      - .offset:         164
        .size:           2
        .value_kind:     hidden_remainder_y
      - .offset:         166
        .size:           2
        .value_kind:     hidden_remainder_z
      - .offset:         184
        .size:           8
        .value_kind:     hidden_global_offset_x
      - .offset:         192
        .size:           8
        .value_kind:     hidden_global_offset_y
      - .offset:         200
        .size:           8
        .value_kind:     hidden_global_offset_z
      - .offset:         208
        .size:           2
        .value_kind:     hidden_grid_dims
    .group_segment_fixed_size: 5280
    .kernarg_segment_align: 8
    .kernarg_segment_size: 400
    .language:       OpenCL C
    .language_version:
      - 2
      - 0
    .max_flat_workgroup_size: 256
    .name:           _Z38paged_attention_ll4mi_QKV_mfma4_kernelI14__hip_bfloat16hLN4vllm18Fp8KVCacheDataTypeE1EhLi16ELi128ELi256ELb0ELi2EEvPKT_PKT0_S8_ifPKiSA_SA_iPKfiiiPfSD_PS3_PT2_iSC_SC_
    .private_segment_fixed_size: 0
    .sgpr_count:     48
    .sgpr_spill_count: 0
    .symbol:         _Z38paged_attention_ll4mi_QKV_mfma4_kernelI14__hip_bfloat16hLN4vllm18Fp8KVCacheDataTypeE1EhLi16ELi128ELi256ELb0ELi2EEvPKT_PKT0_S8_ifPKiSA_SA_iPKfiiiPfSD_PS3_PT2_iSC_SC_.kd
    .uniform_work_group_size: 1
    .uses_dynamic_stack: false
    .vgpr_count:     64
    .vgpr_spill_count: 0
    .wavefront_size: 64
  - .agpr_count:     4
    .args:
      - .actual_access:  read_only
        .address_space:  global
        .offset:         0
        .size:           8
        .value_kind:     global_buffer
      - .actual_access:  read_only
        .address_space:  global
        .offset:         8
        .size:           8
        .value_kind:     global_buffer
      - .actual_access:  read_only
        .address_space:  global
        .offset:         16
        .size:           8
        .value_kind:     global_buffer
      - .offset:         24
        .size:           4
        .value_kind:     by_value
      - .offset:         28
        .size:           4
        .value_kind:     by_value
      - .actual_access:  read_only
        .address_space:  global
        .offset:         32
        .size:           8
        .value_kind:     global_buffer
      - .actual_access:  read_only
        .address_space:  global
        .offset:         40
        .size:           8
        .value_kind:     global_buffer
      - .actual_access:  read_only
        .address_space:  global
        .offset:         48
        .size:           8
        .value_kind:     global_buffer
      - .offset:         56
        .size:           4
        .value_kind:     by_value
      - .actual_access:  read_only
        .address_space:  global
        .offset:         64
        .size:           8
        .value_kind:     global_buffer
      - .offset:         72
        .size:           4
        .value_kind:     by_value
      - .offset:         76
        .size:           4
        .value_kind:     by_value
      - .offset:         80
        .size:           4
        .value_kind:     by_value
      - .actual_access:  write_only
        .address_space:  global
        .offset:         88
        .size:           8
        .value_kind:     global_buffer
      - .actual_access:  write_only
        .address_space:  global
        .offset:         96
        .size:           8
        .value_kind:     global_buffer
      - .actual_access:  write_only
        .address_space:  global
        .offset:         104
        .size:           8
        .value_kind:     global_buffer
      - .actual_access:  read_only
        .address_space:  global
        .offset:         112
        .size:           8
        .value_kind:     global_buffer
      - .offset:         120
        .size:           4
        .value_kind:     by_value
      - .address_space:  global
        .offset:         128
        .size:           8
        .value_kind:     global_buffer
      - .address_space:  global
        .offset:         136
        .size:           8
        .value_kind:     global_buffer
      - .offset:         144
        .size:           4
        .value_kind:     hidden_block_count_x
      - .offset:         148
        .size:           4
        .value_kind:     hidden_block_count_y
      - .offset:         152
        .size:           4
        .value_kind:     hidden_block_count_z
      - .offset:         156
        .size:           2
        .value_kind:     hidden_group_size_x
      - .offset:         158
        .size:           2
        .value_kind:     hidden_group_size_y
      - .offset:         160
        .size:           2
        .value_kind:     hidden_group_size_z
      - .offset:         162
        .size:           2
        .value_kind:     hidden_remainder_x
      - .offset:         164
        .size:           2
        .value_kind:     hidden_remainder_y
      - .offset:         166
        .size:           2
        .value_kind:     hidden_remainder_z
      - .offset:         184
        .size:           8
        .value_kind:     hidden_global_offset_x
      - .offset:         192
        .size:           8
        .value_kind:     hidden_global_offset_y
      - .offset:         200
        .size:           8
        .value_kind:     hidden_global_offset_z
      - .offset:         208
        .size:           2
        .value_kind:     hidden_grid_dims
    .group_segment_fixed_size: 5280
    .kernarg_segment_align: 8
    .kernarg_segment_size: 400
    .language:       OpenCL C
    .language_version:
      - 2
      - 0
    .max_flat_workgroup_size: 256
    .name:           _Z38paged_attention_ll4mi_QKV_mfma4_kernelI14__hip_bfloat16hLN4vllm18Fp8KVCacheDataTypeE1EhLi16ELi128ELi256ELb0ELi3EEvPKT_PKT0_S8_ifPKiSA_SA_iPKfiiiPfSD_PS3_PT2_iSC_SC_
    .private_segment_fixed_size: 0
    .sgpr_count:     48
    .sgpr_spill_count: 0
    .symbol:         _Z38paged_attention_ll4mi_QKV_mfma4_kernelI14__hip_bfloat16hLN4vllm18Fp8KVCacheDataTypeE1EhLi16ELi128ELi256ELb0ELi3EEvPKT_PKT0_S8_ifPKiSA_SA_iPKfiiiPfSD_PS3_PT2_iSC_SC_.kd
    .uniform_work_group_size: 1
    .uses_dynamic_stack: false
    .vgpr_count:     68
    .vgpr_spill_count: 0
    .wavefront_size: 64
  - .agpr_count:     4
    .args:
      - .actual_access:  read_only
        .address_space:  global
        .offset:         0
        .size:           8
        .value_kind:     global_buffer
      - .actual_access:  read_only
        .address_space:  global
        .offset:         8
        .size:           8
        .value_kind:     global_buffer
      - .actual_access:  read_only
        .address_space:  global
        .offset:         16
        .size:           8
        .value_kind:     global_buffer
      - .offset:         24
        .size:           4
        .value_kind:     by_value
      - .offset:         28
        .size:           4
        .value_kind:     by_value
      - .actual_access:  read_only
        .address_space:  global
        .offset:         32
        .size:           8
        .value_kind:     global_buffer
      - .actual_access:  read_only
        .address_space:  global
        .offset:         40
        .size:           8
        .value_kind:     global_buffer
      - .actual_access:  read_only
        .address_space:  global
        .offset:         48
        .size:           8
        .value_kind:     global_buffer
      - .offset:         56
        .size:           4
        .value_kind:     by_value
      - .actual_access:  read_only
        .address_space:  global
        .offset:         64
        .size:           8
        .value_kind:     global_buffer
      - .offset:         72
        .size:           4
        .value_kind:     by_value
      - .offset:         76
        .size:           4
        .value_kind:     by_value
      - .offset:         80
        .size:           4
        .value_kind:     by_value
      - .actual_access:  write_only
        .address_space:  global
        .offset:         88
        .size:           8
        .value_kind:     global_buffer
      - .actual_access:  write_only
        .address_space:  global
        .offset:         96
        .size:           8
        .value_kind:     global_buffer
      - .actual_access:  write_only
        .address_space:  global
        .offset:         104
        .size:           8
        .value_kind:     global_buffer
      - .actual_access:  read_only
        .address_space:  global
        .offset:         112
        .size:           8
        .value_kind:     global_buffer
      - .offset:         120
        .size:           4
        .value_kind:     by_value
      - .address_space:  global
        .offset:         128
        .size:           8
        .value_kind:     global_buffer
      - .address_space:  global
        .offset:         136
        .size:           8
        .value_kind:     global_buffer
      - .offset:         144
        .size:           4
        .value_kind:     hidden_block_count_x
      - .offset:         148
        .size:           4
        .value_kind:     hidden_block_count_y
      - .offset:         152
        .size:           4
        .value_kind:     hidden_block_count_z
      - .offset:         156
        .size:           2
        .value_kind:     hidden_group_size_x
      - .offset:         158
        .size:           2
        .value_kind:     hidden_group_size_y
      - .offset:         160
        .size:           2
        .value_kind:     hidden_group_size_z
      - .offset:         162
        .size:           2
        .value_kind:     hidden_remainder_x
      - .offset:         164
        .size:           2
        .value_kind:     hidden_remainder_y
      - .offset:         166
        .size:           2
        .value_kind:     hidden_remainder_z
      - .offset:         184
        .size:           8
        .value_kind:     hidden_global_offset_x
      - .offset:         192
        .size:           8
        .value_kind:     hidden_global_offset_y
      - .offset:         200
        .size:           8
        .value_kind:     hidden_global_offset_z
      - .offset:         208
        .size:           2
        .value_kind:     hidden_grid_dims
    .group_segment_fixed_size: 5280
    .kernarg_segment_align: 8
    .kernarg_segment_size: 400
    .language:       OpenCL C
    .language_version:
      - 2
      - 0
    .max_flat_workgroup_size: 256
    .name:           _Z38paged_attention_ll4mi_QKV_mfma4_kernelI14__hip_bfloat16hLN4vllm18Fp8KVCacheDataTypeE1EhLi16ELi128ELi256ELb0ELi4EEvPKT_PKT0_S8_ifPKiSA_SA_iPKfiiiPfSD_PS3_PT2_iSC_SC_
    .private_segment_fixed_size: 0
    .sgpr_count:     48
    .sgpr_spill_count: 0
    .symbol:         _Z38paged_attention_ll4mi_QKV_mfma4_kernelI14__hip_bfloat16hLN4vllm18Fp8KVCacheDataTypeE1EhLi16ELi128ELi256ELb0ELi4EEvPKT_PKT0_S8_ifPKiSA_SA_iPKfiiiPfSD_PS3_PT2_iSC_SC_.kd
    .uniform_work_group_size: 1
    .uses_dynamic_stack: false
    .vgpr_count:     84
    .vgpr_spill_count: 0
    .wavefront_size: 64
  - .agpr_count:     0
    .args:
      - .actual_access:  read_only
        .address_space:  global
        .offset:         0
        .size:           8
        .value_kind:     global_buffer
      - .actual_access:  read_only
        .address_space:  global
        .offset:         8
        .size:           8
        .value_kind:     global_buffer
      - .actual_access:  read_only
        .address_space:  global
        .offset:         16
        .size:           8
        .value_kind:     global_buffer
      - .offset:         24
        .size:           4
        .value_kind:     by_value
      - .offset:         28
        .size:           4
        .value_kind:     by_value
      - .actual_access:  read_only
        .address_space:  global
        .offset:         32
        .size:           8
        .value_kind:     global_buffer
      - .actual_access:  read_only
        .address_space:  global
        .offset:         40
        .size:           8
        .value_kind:     global_buffer
      - .actual_access:  read_only
        .address_space:  global
        .offset:         48
        .size:           8
        .value_kind:     global_buffer
      - .offset:         56
        .size:           4
        .value_kind:     by_value
      - .actual_access:  read_only
        .address_space:  global
        .offset:         64
        .size:           8
        .value_kind:     global_buffer
      - .offset:         72
        .size:           4
        .value_kind:     by_value
      - .offset:         76
        .size:           4
        .value_kind:     by_value
      - .offset:         80
        .size:           4
        .value_kind:     by_value
      - .actual_access:  write_only
        .address_space:  global
        .offset:         88
        .size:           8
        .value_kind:     global_buffer
      - .actual_access:  write_only
        .address_space:  global
        .offset:         96
        .size:           8
        .value_kind:     global_buffer
      - .actual_access:  write_only
        .address_space:  global
        .offset:         104
        .size:           8
        .value_kind:     global_buffer
      - .actual_access:  read_only
        .address_space:  global
        .offset:         112
        .size:           8
        .value_kind:     global_buffer
      - .offset:         120
        .size:           4
        .value_kind:     by_value
      - .address_space:  global
        .offset:         128
        .size:           8
        .value_kind:     global_buffer
      - .address_space:  global
        .offset:         136
        .size:           8
        .value_kind:     global_buffer
      - .offset:         144
        .size:           4
        .value_kind:     hidden_block_count_x
      - .offset:         148
        .size:           4
        .value_kind:     hidden_block_count_y
      - .offset:         152
        .size:           4
        .value_kind:     hidden_block_count_z
      - .offset:         156
        .size:           2
        .value_kind:     hidden_group_size_x
      - .offset:         158
        .size:           2
        .value_kind:     hidden_group_size_y
      - .offset:         160
        .size:           2
        .value_kind:     hidden_group_size_z
      - .offset:         162
        .size:           2
        .value_kind:     hidden_remainder_x
      - .offset:         164
        .size:           2
        .value_kind:     hidden_remainder_y
      - .offset:         166
        .size:           2
        .value_kind:     hidden_remainder_z
      - .offset:         184
        .size:           8
        .value_kind:     hidden_global_offset_x
      - .offset:         192
        .size:           8
        .value_kind:     hidden_global_offset_y
      - .offset:         200
        .size:           8
        .value_kind:     hidden_global_offset_z
      - .offset:         208
        .size:           2
        .value_kind:     hidden_grid_dims
    .group_segment_fixed_size: 8192
    .kernarg_segment_align: 8
    .kernarg_segment_size: 400
    .language:       OpenCL C
    .language_version:
      - 2
      - 0
    .max_flat_workgroup_size: 256
    .name:           _Z39paged_attention_ll4mi_QKV_mfma16_kernelI14__hip_bfloat16hLN4vllm18Fp8KVCacheDataTypeE1EhLi16ELi128ELi256ELb0ELi5EEvPKT_PKT0_S8_ifPKiSA_SA_iPKfiiiPfSD_PS3_PT2_iSC_SC_
    .private_segment_fixed_size: 0
    .sgpr_count:     56
    .sgpr_spill_count: 0
    .symbol:         _Z39paged_attention_ll4mi_QKV_mfma16_kernelI14__hip_bfloat16hLN4vllm18Fp8KVCacheDataTypeE1EhLi16ELi128ELi256ELb0ELi5EEvPKT_PKT0_S8_ifPKiSA_SA_iPKfiiiPfSD_PS3_PT2_iSC_SC_.kd
    .uniform_work_group_size: 1
    .uses_dynamic_stack: false
    .vgpr_count:     86
    .vgpr_spill_count: 0
    .wavefront_size: 64
  - .agpr_count:     0
    .args:
      - .actual_access:  read_only
        .address_space:  global
        .offset:         0
        .size:           8
        .value_kind:     global_buffer
      - .actual_access:  read_only
        .address_space:  global
        .offset:         8
        .size:           8
        .value_kind:     global_buffer
      - .actual_access:  read_only
        .address_space:  global
        .offset:         16
        .size:           8
        .value_kind:     global_buffer
      - .offset:         24
        .size:           4
        .value_kind:     by_value
      - .offset:         28
        .size:           4
        .value_kind:     by_value
      - .actual_access:  read_only
        .address_space:  global
        .offset:         32
        .size:           8
        .value_kind:     global_buffer
      - .actual_access:  read_only
        .address_space:  global
        .offset:         40
        .size:           8
        .value_kind:     global_buffer
      - .actual_access:  read_only
        .address_space:  global
        .offset:         48
        .size:           8
        .value_kind:     global_buffer
      - .offset:         56
        .size:           4
        .value_kind:     by_value
      - .actual_access:  read_only
        .address_space:  global
        .offset:         64
        .size:           8
        .value_kind:     global_buffer
      - .offset:         72
        .size:           4
        .value_kind:     by_value
      - .offset:         76
        .size:           4
        .value_kind:     by_value
      - .offset:         80
        .size:           4
        .value_kind:     by_value
      - .actual_access:  write_only
        .address_space:  global
        .offset:         88
        .size:           8
        .value_kind:     global_buffer
      - .actual_access:  write_only
        .address_space:  global
        .offset:         96
        .size:           8
        .value_kind:     global_buffer
      - .actual_access:  write_only
        .address_space:  global
        .offset:         104
        .size:           8
        .value_kind:     global_buffer
      - .actual_access:  read_only
        .address_space:  global
        .offset:         112
        .size:           8
        .value_kind:     global_buffer
      - .offset:         120
        .size:           4
        .value_kind:     by_value
      - .address_space:  global
        .offset:         128
        .size:           8
        .value_kind:     global_buffer
      - .address_space:  global
        .offset:         136
        .size:           8
        .value_kind:     global_buffer
      - .offset:         144
        .size:           4
        .value_kind:     hidden_block_count_x
      - .offset:         148
        .size:           4
        .value_kind:     hidden_block_count_y
      - .offset:         152
        .size:           4
        .value_kind:     hidden_block_count_z
      - .offset:         156
        .size:           2
        .value_kind:     hidden_group_size_x
      - .offset:         158
        .size:           2
        .value_kind:     hidden_group_size_y
      - .offset:         160
        .size:           2
        .value_kind:     hidden_group_size_z
      - .offset:         162
        .size:           2
        .value_kind:     hidden_remainder_x
      - .offset:         164
        .size:           2
        .value_kind:     hidden_remainder_y
      - .offset:         166
        .size:           2
        .value_kind:     hidden_remainder_z
      - .offset:         184
        .size:           8
        .value_kind:     hidden_global_offset_x
      - .offset:         192
        .size:           8
        .value_kind:     hidden_global_offset_y
      - .offset:         200
        .size:           8
        .value_kind:     hidden_global_offset_z
      - .offset:         208
        .size:           2
        .value_kind:     hidden_grid_dims
    .group_segment_fixed_size: 8192
    .kernarg_segment_align: 8
    .kernarg_segment_size: 400
    .language:       OpenCL C
    .language_version:
      - 2
      - 0
    .max_flat_workgroup_size: 256
    .name:           _Z39paged_attention_ll4mi_QKV_mfma16_kernelI14__hip_bfloat16hLN4vllm18Fp8KVCacheDataTypeE1EhLi16ELi128ELi256ELb0ELi6EEvPKT_PKT0_S8_ifPKiSA_SA_iPKfiiiPfSD_PS3_PT2_iSC_SC_
    .private_segment_fixed_size: 0
    .sgpr_count:     56
    .sgpr_spill_count: 0
    .symbol:         _Z39paged_attention_ll4mi_QKV_mfma16_kernelI14__hip_bfloat16hLN4vllm18Fp8KVCacheDataTypeE1EhLi16ELi128ELi256ELb0ELi6EEvPKT_PKT0_S8_ifPKiSA_SA_iPKfiiiPfSD_PS3_PT2_iSC_SC_.kd
    .uniform_work_group_size: 1
    .uses_dynamic_stack: false
    .vgpr_count:     86
    .vgpr_spill_count: 0
    .wavefront_size: 64
  - .agpr_count:     0
    .args:
      - .actual_access:  read_only
        .address_space:  global
        .offset:         0
        .size:           8
        .value_kind:     global_buffer
      - .actual_access:  read_only
        .address_space:  global
        .offset:         8
        .size:           8
        .value_kind:     global_buffer
      - .actual_access:  read_only
        .address_space:  global
        .offset:         16
        .size:           8
        .value_kind:     global_buffer
      - .offset:         24
        .size:           4
        .value_kind:     by_value
      - .offset:         28
        .size:           4
        .value_kind:     by_value
      - .actual_access:  read_only
        .address_space:  global
        .offset:         32
        .size:           8
        .value_kind:     global_buffer
      - .actual_access:  read_only
        .address_space:  global
        .offset:         40
        .size:           8
        .value_kind:     global_buffer
      - .actual_access:  read_only
        .address_space:  global
        .offset:         48
        .size:           8
        .value_kind:     global_buffer
      - .offset:         56
        .size:           4
        .value_kind:     by_value
      - .actual_access:  read_only
        .address_space:  global
        .offset:         64
        .size:           8
        .value_kind:     global_buffer
      - .offset:         72
        .size:           4
        .value_kind:     by_value
      - .offset:         76
        .size:           4
        .value_kind:     by_value
      - .offset:         80
        .size:           4
        .value_kind:     by_value
      - .actual_access:  write_only
        .address_space:  global
        .offset:         88
        .size:           8
        .value_kind:     global_buffer
      - .actual_access:  write_only
        .address_space:  global
        .offset:         96
        .size:           8
        .value_kind:     global_buffer
      - .actual_access:  write_only
        .address_space:  global
        .offset:         104
        .size:           8
        .value_kind:     global_buffer
      - .actual_access:  read_only
        .address_space:  global
        .offset:         112
        .size:           8
        .value_kind:     global_buffer
      - .offset:         120
        .size:           4
        .value_kind:     by_value
      - .address_space:  global
        .offset:         128
        .size:           8
        .value_kind:     global_buffer
      - .address_space:  global
        .offset:         136
        .size:           8
        .value_kind:     global_buffer
      - .offset:         144
        .size:           4
        .value_kind:     hidden_block_count_x
      - .offset:         148
        .size:           4
        .value_kind:     hidden_block_count_y
      - .offset:         152
        .size:           4
        .value_kind:     hidden_block_count_z
      - .offset:         156
        .size:           2
        .value_kind:     hidden_group_size_x
      - .offset:         158
        .size:           2
        .value_kind:     hidden_group_size_y
      - .offset:         160
        .size:           2
        .value_kind:     hidden_group_size_z
      - .offset:         162
        .size:           2
        .value_kind:     hidden_remainder_x
      - .offset:         164
        .size:           2
        .value_kind:     hidden_remainder_y
      - .offset:         166
        .size:           2
        .value_kind:     hidden_remainder_z
      - .offset:         184
        .size:           8
        .value_kind:     hidden_global_offset_x
      - .offset:         192
        .size:           8
        .value_kind:     hidden_global_offset_y
      - .offset:         200
        .size:           8
        .value_kind:     hidden_global_offset_z
      - .offset:         208
        .size:           2
        .value_kind:     hidden_grid_dims
    .group_segment_fixed_size: 8192
    .kernarg_segment_align: 8
    .kernarg_segment_size: 400
    .language:       OpenCL C
    .language_version:
      - 2
      - 0
    .max_flat_workgroup_size: 256
    .name:           _Z39paged_attention_ll4mi_QKV_mfma16_kernelI14__hip_bfloat16hLN4vllm18Fp8KVCacheDataTypeE1EhLi16ELi128ELi256ELb0ELi7EEvPKT_PKT0_S8_ifPKiSA_SA_iPKfiiiPfSD_PS3_PT2_iSC_SC_
    .private_segment_fixed_size: 0
    .sgpr_count:     56
    .sgpr_spill_count: 0
    .symbol:         _Z39paged_attention_ll4mi_QKV_mfma16_kernelI14__hip_bfloat16hLN4vllm18Fp8KVCacheDataTypeE1EhLi16ELi128ELi256ELb0ELi7EEvPKT_PKT0_S8_ifPKiSA_SA_iPKfiiiPfSD_PS3_PT2_iSC_SC_.kd
    .uniform_work_group_size: 1
    .uses_dynamic_stack: false
    .vgpr_count:     86
    .vgpr_spill_count: 0
    .wavefront_size: 64
  - .agpr_count:     0
    .args:
      - .actual_access:  read_only
        .address_space:  global
        .offset:         0
        .size:           8
        .value_kind:     global_buffer
      - .actual_access:  read_only
        .address_space:  global
        .offset:         8
        .size:           8
        .value_kind:     global_buffer
      - .actual_access:  read_only
        .address_space:  global
        .offset:         16
        .size:           8
        .value_kind:     global_buffer
      - .offset:         24
        .size:           4
        .value_kind:     by_value
      - .offset:         28
        .size:           4
        .value_kind:     by_value
      - .actual_access:  read_only
        .address_space:  global
        .offset:         32
        .size:           8
        .value_kind:     global_buffer
      - .actual_access:  read_only
        .address_space:  global
        .offset:         40
        .size:           8
        .value_kind:     global_buffer
      - .actual_access:  read_only
        .address_space:  global
        .offset:         48
        .size:           8
        .value_kind:     global_buffer
      - .offset:         56
        .size:           4
        .value_kind:     by_value
      - .actual_access:  read_only
        .address_space:  global
        .offset:         64
        .size:           8
        .value_kind:     global_buffer
      - .offset:         72
        .size:           4
        .value_kind:     by_value
      - .offset:         76
        .size:           4
        .value_kind:     by_value
      - .offset:         80
        .size:           4
        .value_kind:     by_value
      - .actual_access:  write_only
        .address_space:  global
        .offset:         88
        .size:           8
        .value_kind:     global_buffer
      - .actual_access:  write_only
        .address_space:  global
        .offset:         96
        .size:           8
        .value_kind:     global_buffer
      - .actual_access:  write_only
        .address_space:  global
        .offset:         104
        .size:           8
        .value_kind:     global_buffer
      - .actual_access:  read_only
        .address_space:  global
        .offset:         112
        .size:           8
        .value_kind:     global_buffer
      - .offset:         120
        .size:           4
        .value_kind:     by_value
      - .address_space:  global
        .offset:         128
        .size:           8
        .value_kind:     global_buffer
      - .address_space:  global
        .offset:         136
        .size:           8
        .value_kind:     global_buffer
      - .offset:         144
        .size:           4
        .value_kind:     hidden_block_count_x
      - .offset:         148
        .size:           4
        .value_kind:     hidden_block_count_y
      - .offset:         152
        .size:           4
        .value_kind:     hidden_block_count_z
      - .offset:         156
        .size:           2
        .value_kind:     hidden_group_size_x
      - .offset:         158
        .size:           2
        .value_kind:     hidden_group_size_y
      - .offset:         160
        .size:           2
        .value_kind:     hidden_group_size_z
      - .offset:         162
        .size:           2
        .value_kind:     hidden_remainder_x
      - .offset:         164
        .size:           2
        .value_kind:     hidden_remainder_y
      - .offset:         166
        .size:           2
        .value_kind:     hidden_remainder_z
      - .offset:         184
        .size:           8
        .value_kind:     hidden_global_offset_x
      - .offset:         192
        .size:           8
        .value_kind:     hidden_global_offset_y
      - .offset:         200
        .size:           8
        .value_kind:     hidden_global_offset_z
      - .offset:         208
        .size:           2
        .value_kind:     hidden_grid_dims
    .group_segment_fixed_size: 8192
    .kernarg_segment_align: 8
    .kernarg_segment_size: 400
    .language:       OpenCL C
    .language_version:
      - 2
      - 0
    .max_flat_workgroup_size: 256
    .name:           _Z39paged_attention_ll4mi_QKV_mfma16_kernelI14__hip_bfloat16hLN4vllm18Fp8KVCacheDataTypeE1EhLi16ELi128ELi256ELb0ELi8EEvPKT_PKT0_S8_ifPKiSA_SA_iPKfiiiPfSD_PS3_PT2_iSC_SC_
    .private_segment_fixed_size: 0
    .sgpr_count:     54
    .sgpr_spill_count: 0
    .symbol:         _Z39paged_attention_ll4mi_QKV_mfma16_kernelI14__hip_bfloat16hLN4vllm18Fp8KVCacheDataTypeE1EhLi16ELi128ELi256ELb0ELi8EEvPKT_PKT0_S8_ifPKiSA_SA_iPKfiiiPfSD_PS3_PT2_iSC_SC_.kd
    .uniform_work_group_size: 1
    .uses_dynamic_stack: false
    .vgpr_count:     90
    .vgpr_spill_count: 0
    .wavefront_size: 64
  - .agpr_count:     0
    .args:
      - .actual_access:  read_only
        .address_space:  global
        .offset:         0
        .size:           8
        .value_kind:     global_buffer
      - .actual_access:  read_only
        .address_space:  global
        .offset:         8
        .size:           8
        .value_kind:     global_buffer
      - .actual_access:  read_only
        .address_space:  global
        .offset:         16
        .size:           8
        .value_kind:     global_buffer
      - .offset:         24
        .size:           4
        .value_kind:     by_value
      - .offset:         28
        .size:           4
        .value_kind:     by_value
      - .actual_access:  read_only
        .address_space:  global
        .offset:         32
        .size:           8
        .value_kind:     global_buffer
      - .actual_access:  read_only
        .address_space:  global
        .offset:         40
        .size:           8
        .value_kind:     global_buffer
      - .actual_access:  read_only
        .address_space:  global
        .offset:         48
        .size:           8
        .value_kind:     global_buffer
      - .offset:         56
        .size:           4
        .value_kind:     by_value
      - .actual_access:  read_only
        .address_space:  global
        .offset:         64
        .size:           8
        .value_kind:     global_buffer
      - .offset:         72
        .size:           4
        .value_kind:     by_value
      - .offset:         76
        .size:           4
        .value_kind:     by_value
      - .offset:         80
        .size:           4
        .value_kind:     by_value
      - .actual_access:  write_only
        .address_space:  global
        .offset:         88
        .size:           8
        .value_kind:     global_buffer
      - .actual_access:  write_only
        .address_space:  global
        .offset:         96
        .size:           8
        .value_kind:     global_buffer
      - .actual_access:  write_only
        .address_space:  global
        .offset:         104
        .size:           8
        .value_kind:     global_buffer
      - .actual_access:  read_only
        .address_space:  global
        .offset:         112
        .size:           8
        .value_kind:     global_buffer
      - .offset:         120
        .size:           4
        .value_kind:     by_value
      - .address_space:  global
        .offset:         128
        .size:           8
        .value_kind:     global_buffer
      - .address_space:  global
        .offset:         136
        .size:           8
        .value_kind:     global_buffer
      - .offset:         144
        .size:           4
        .value_kind:     hidden_block_count_x
      - .offset:         148
        .size:           4
        .value_kind:     hidden_block_count_y
      - .offset:         152
        .size:           4
        .value_kind:     hidden_block_count_z
      - .offset:         156
        .size:           2
        .value_kind:     hidden_group_size_x
      - .offset:         158
        .size:           2
        .value_kind:     hidden_group_size_y
      - .offset:         160
        .size:           2
        .value_kind:     hidden_group_size_z
      - .offset:         162
        .size:           2
        .value_kind:     hidden_remainder_x
      - .offset:         164
        .size:           2
        .value_kind:     hidden_remainder_y
      - .offset:         166
        .size:           2
        .value_kind:     hidden_remainder_z
      - .offset:         184
        .size:           8
        .value_kind:     hidden_global_offset_x
      - .offset:         192
        .size:           8
        .value_kind:     hidden_global_offset_y
      - .offset:         200
        .size:           8
        .value_kind:     hidden_global_offset_z
      - .offset:         208
        .size:           2
        .value_kind:     hidden_grid_dims
    .group_segment_fixed_size: 8192
    .kernarg_segment_align: 8
    .kernarg_segment_size: 400
    .language:       OpenCL C
    .language_version:
      - 2
      - 0
    .max_flat_workgroup_size: 256
    .name:           _Z39paged_attention_ll4mi_QKV_mfma16_kernelI14__hip_bfloat16hLN4vllm18Fp8KVCacheDataTypeE1EhLi16ELi128ELi256ELb0ELi9EEvPKT_PKT0_S8_ifPKiSA_SA_iPKfiiiPfSD_PS3_PT2_iSC_SC_
    .private_segment_fixed_size: 0
    .sgpr_count:     56
    .sgpr_spill_count: 0
    .symbol:         _Z39paged_attention_ll4mi_QKV_mfma16_kernelI14__hip_bfloat16hLN4vllm18Fp8KVCacheDataTypeE1EhLi16ELi128ELi256ELb0ELi9EEvPKT_PKT0_S8_ifPKiSA_SA_iPKfiiiPfSD_PS3_PT2_iSC_SC_.kd
    .uniform_work_group_size: 1
    .uses_dynamic_stack: false
    .vgpr_count:     86
    .vgpr_spill_count: 0
    .wavefront_size: 64
  - .agpr_count:     0
    .args:
      - .actual_access:  read_only
        .address_space:  global
        .offset:         0
        .size:           8
        .value_kind:     global_buffer
      - .actual_access:  read_only
        .address_space:  global
        .offset:         8
        .size:           8
        .value_kind:     global_buffer
      - .actual_access:  read_only
        .address_space:  global
        .offset:         16
        .size:           8
        .value_kind:     global_buffer
      - .offset:         24
        .size:           4
        .value_kind:     by_value
      - .offset:         28
        .size:           4
        .value_kind:     by_value
      - .actual_access:  read_only
        .address_space:  global
        .offset:         32
        .size:           8
        .value_kind:     global_buffer
      - .actual_access:  read_only
        .address_space:  global
        .offset:         40
        .size:           8
        .value_kind:     global_buffer
      - .actual_access:  read_only
        .address_space:  global
        .offset:         48
        .size:           8
        .value_kind:     global_buffer
      - .offset:         56
        .size:           4
        .value_kind:     by_value
      - .actual_access:  read_only
        .address_space:  global
        .offset:         64
        .size:           8
        .value_kind:     global_buffer
      - .offset:         72
        .size:           4
        .value_kind:     by_value
      - .offset:         76
        .size:           4
        .value_kind:     by_value
      - .offset:         80
        .size:           4
        .value_kind:     by_value
      - .actual_access:  write_only
        .address_space:  global
        .offset:         88
        .size:           8
        .value_kind:     global_buffer
      - .actual_access:  write_only
        .address_space:  global
        .offset:         96
        .size:           8
        .value_kind:     global_buffer
      - .actual_access:  write_only
        .address_space:  global
        .offset:         104
        .size:           8
        .value_kind:     global_buffer
      - .actual_access:  read_only
        .address_space:  global
        .offset:         112
        .size:           8
        .value_kind:     global_buffer
      - .offset:         120
        .size:           4
        .value_kind:     by_value
      - .address_space:  global
        .offset:         128
        .size:           8
        .value_kind:     global_buffer
      - .address_space:  global
        .offset:         136
        .size:           8
        .value_kind:     global_buffer
      - .offset:         144
        .size:           4
        .value_kind:     hidden_block_count_x
      - .offset:         148
        .size:           4
        .value_kind:     hidden_block_count_y
      - .offset:         152
        .size:           4
        .value_kind:     hidden_block_count_z
      - .offset:         156
        .size:           2
        .value_kind:     hidden_group_size_x
      - .offset:         158
        .size:           2
        .value_kind:     hidden_group_size_y
      - .offset:         160
        .size:           2
        .value_kind:     hidden_group_size_z
      - .offset:         162
        .size:           2
        .value_kind:     hidden_remainder_x
      - .offset:         164
        .size:           2
        .value_kind:     hidden_remainder_y
      - .offset:         166
        .size:           2
        .value_kind:     hidden_remainder_z
      - .offset:         184
        .size:           8
        .value_kind:     hidden_global_offset_x
      - .offset:         192
        .size:           8
        .value_kind:     hidden_global_offset_y
      - .offset:         200
        .size:           8
        .value_kind:     hidden_global_offset_z
      - .offset:         208
        .size:           2
        .value_kind:     hidden_grid_dims
    .group_segment_fixed_size: 8192
    .kernarg_segment_align: 8
    .kernarg_segment_size: 400
    .language:       OpenCL C
    .language_version:
      - 2
      - 0
    .max_flat_workgroup_size: 256
    .name:           _Z39paged_attention_ll4mi_QKV_mfma16_kernelI14__hip_bfloat16hLN4vllm18Fp8KVCacheDataTypeE1EhLi16ELi128ELi256ELb0ELi10EEvPKT_PKT0_S8_ifPKiSA_SA_iPKfiiiPfSD_PS3_PT2_iSC_SC_
    .private_segment_fixed_size: 0
    .sgpr_count:     56
    .sgpr_spill_count: 0
    .symbol:         _Z39paged_attention_ll4mi_QKV_mfma16_kernelI14__hip_bfloat16hLN4vllm18Fp8KVCacheDataTypeE1EhLi16ELi128ELi256ELb0ELi10EEvPKT_PKT0_S8_ifPKiSA_SA_iPKfiiiPfSD_PS3_PT2_iSC_SC_.kd
    .uniform_work_group_size: 1
    .uses_dynamic_stack: false
    .vgpr_count:     86
    .vgpr_spill_count: 0
    .wavefront_size: 64
  - .agpr_count:     0
    .args:
      - .actual_access:  read_only
        .address_space:  global
        .offset:         0
        .size:           8
        .value_kind:     global_buffer
      - .actual_access:  read_only
        .address_space:  global
        .offset:         8
        .size:           8
        .value_kind:     global_buffer
      - .actual_access:  read_only
        .address_space:  global
        .offset:         16
        .size:           8
        .value_kind:     global_buffer
      - .offset:         24
        .size:           4
        .value_kind:     by_value
      - .offset:         28
        .size:           4
        .value_kind:     by_value
      - .actual_access:  read_only
        .address_space:  global
        .offset:         32
        .size:           8
        .value_kind:     global_buffer
      - .actual_access:  read_only
        .address_space:  global
        .offset:         40
        .size:           8
        .value_kind:     global_buffer
      - .actual_access:  read_only
        .address_space:  global
        .offset:         48
        .size:           8
        .value_kind:     global_buffer
      - .offset:         56
        .size:           4
        .value_kind:     by_value
      - .actual_access:  read_only
        .address_space:  global
        .offset:         64
        .size:           8
        .value_kind:     global_buffer
      - .offset:         72
        .size:           4
        .value_kind:     by_value
      - .offset:         76
        .size:           4
        .value_kind:     by_value
      - .offset:         80
        .size:           4
        .value_kind:     by_value
      - .actual_access:  write_only
        .address_space:  global
        .offset:         88
        .size:           8
        .value_kind:     global_buffer
      - .actual_access:  write_only
        .address_space:  global
        .offset:         96
        .size:           8
        .value_kind:     global_buffer
      - .actual_access:  write_only
        .address_space:  global
        .offset:         104
        .size:           8
        .value_kind:     global_buffer
      - .actual_access:  read_only
        .address_space:  global
        .offset:         112
        .size:           8
        .value_kind:     global_buffer
      - .offset:         120
        .size:           4
        .value_kind:     by_value
      - .address_space:  global
        .offset:         128
        .size:           8
        .value_kind:     global_buffer
      - .address_space:  global
        .offset:         136
        .size:           8
        .value_kind:     global_buffer
      - .offset:         144
        .size:           4
        .value_kind:     hidden_block_count_x
      - .offset:         148
        .size:           4
        .value_kind:     hidden_block_count_y
      - .offset:         152
        .size:           4
        .value_kind:     hidden_block_count_z
      - .offset:         156
        .size:           2
        .value_kind:     hidden_group_size_x
      - .offset:         158
        .size:           2
        .value_kind:     hidden_group_size_y
      - .offset:         160
        .size:           2
        .value_kind:     hidden_group_size_z
      - .offset:         162
        .size:           2
        .value_kind:     hidden_remainder_x
      - .offset:         164
        .size:           2
        .value_kind:     hidden_remainder_y
      - .offset:         166
        .size:           2
        .value_kind:     hidden_remainder_z
      - .offset:         184
        .size:           8
        .value_kind:     hidden_global_offset_x
      - .offset:         192
        .size:           8
        .value_kind:     hidden_global_offset_y
      - .offset:         200
        .size:           8
        .value_kind:     hidden_global_offset_z
      - .offset:         208
        .size:           2
        .value_kind:     hidden_grid_dims
    .group_segment_fixed_size: 8192
    .kernarg_segment_align: 8
    .kernarg_segment_size: 400
    .language:       OpenCL C
    .language_version:
      - 2
      - 0
    .max_flat_workgroup_size: 256
    .name:           _Z39paged_attention_ll4mi_QKV_mfma16_kernelI14__hip_bfloat16hLN4vllm18Fp8KVCacheDataTypeE1EhLi16ELi128ELi256ELb0ELi11EEvPKT_PKT0_S8_ifPKiSA_SA_iPKfiiiPfSD_PS3_PT2_iSC_SC_
    .private_segment_fixed_size: 0
    .sgpr_count:     56
    .sgpr_spill_count: 0
    .symbol:         _Z39paged_attention_ll4mi_QKV_mfma16_kernelI14__hip_bfloat16hLN4vllm18Fp8KVCacheDataTypeE1EhLi16ELi128ELi256ELb0ELi11EEvPKT_PKT0_S8_ifPKiSA_SA_iPKfiiiPfSD_PS3_PT2_iSC_SC_.kd
    .uniform_work_group_size: 1
    .uses_dynamic_stack: false
    .vgpr_count:     86
    .vgpr_spill_count: 0
    .wavefront_size: 64
  - .agpr_count:     0
    .args:
      - .actual_access:  read_only
        .address_space:  global
        .offset:         0
        .size:           8
        .value_kind:     global_buffer
      - .actual_access:  read_only
        .address_space:  global
        .offset:         8
        .size:           8
        .value_kind:     global_buffer
      - .actual_access:  read_only
        .address_space:  global
        .offset:         16
        .size:           8
        .value_kind:     global_buffer
      - .offset:         24
        .size:           4
        .value_kind:     by_value
      - .offset:         28
        .size:           4
        .value_kind:     by_value
      - .actual_access:  read_only
        .address_space:  global
        .offset:         32
        .size:           8
        .value_kind:     global_buffer
      - .actual_access:  read_only
        .address_space:  global
        .offset:         40
        .size:           8
        .value_kind:     global_buffer
      - .actual_access:  read_only
        .address_space:  global
        .offset:         48
        .size:           8
        .value_kind:     global_buffer
      - .offset:         56
        .size:           4
        .value_kind:     by_value
      - .actual_access:  read_only
        .address_space:  global
        .offset:         64
        .size:           8
        .value_kind:     global_buffer
      - .offset:         72
        .size:           4
        .value_kind:     by_value
      - .offset:         76
        .size:           4
        .value_kind:     by_value
      - .offset:         80
        .size:           4
        .value_kind:     by_value
      - .actual_access:  write_only
        .address_space:  global
        .offset:         88
        .size:           8
        .value_kind:     global_buffer
      - .actual_access:  write_only
        .address_space:  global
        .offset:         96
        .size:           8
        .value_kind:     global_buffer
      - .actual_access:  write_only
        .address_space:  global
        .offset:         104
        .size:           8
        .value_kind:     global_buffer
      - .actual_access:  read_only
        .address_space:  global
        .offset:         112
        .size:           8
        .value_kind:     global_buffer
      - .offset:         120
        .size:           4
        .value_kind:     by_value
      - .address_space:  global
        .offset:         128
        .size:           8
        .value_kind:     global_buffer
      - .address_space:  global
        .offset:         136
        .size:           8
        .value_kind:     global_buffer
      - .offset:         144
        .size:           4
        .value_kind:     hidden_block_count_x
      - .offset:         148
        .size:           4
        .value_kind:     hidden_block_count_y
      - .offset:         152
        .size:           4
        .value_kind:     hidden_block_count_z
      - .offset:         156
        .size:           2
        .value_kind:     hidden_group_size_x
      - .offset:         158
        .size:           2
        .value_kind:     hidden_group_size_y
      - .offset:         160
        .size:           2
        .value_kind:     hidden_group_size_z
      - .offset:         162
        .size:           2
        .value_kind:     hidden_remainder_x
      - .offset:         164
        .size:           2
        .value_kind:     hidden_remainder_y
      - .offset:         166
        .size:           2
        .value_kind:     hidden_remainder_z
      - .offset:         184
        .size:           8
        .value_kind:     hidden_global_offset_x
      - .offset:         192
        .size:           8
        .value_kind:     hidden_global_offset_y
      - .offset:         200
        .size:           8
        .value_kind:     hidden_global_offset_z
      - .offset:         208
        .size:           2
        .value_kind:     hidden_grid_dims
    .group_segment_fixed_size: 8192
    .kernarg_segment_align: 8
    .kernarg_segment_size: 400
    .language:       OpenCL C
    .language_version:
      - 2
      - 0
    .max_flat_workgroup_size: 256
    .name:           _Z39paged_attention_ll4mi_QKV_mfma16_kernelI14__hip_bfloat16hLN4vllm18Fp8KVCacheDataTypeE1EhLi16ELi128ELi256ELb0ELi12EEvPKT_PKT0_S8_ifPKiSA_SA_iPKfiiiPfSD_PS3_PT2_iSC_SC_
    .private_segment_fixed_size: 0
    .sgpr_count:     56
    .sgpr_spill_count: 0
    .symbol:         _Z39paged_attention_ll4mi_QKV_mfma16_kernelI14__hip_bfloat16hLN4vllm18Fp8KVCacheDataTypeE1EhLi16ELi128ELi256ELb0ELi12EEvPKT_PKT0_S8_ifPKiSA_SA_iPKfiiiPfSD_PS3_PT2_iSC_SC_.kd
    .uniform_work_group_size: 1
    .uses_dynamic_stack: false
    .vgpr_count:     86
    .vgpr_spill_count: 0
    .wavefront_size: 64
  - .agpr_count:     0
    .args:
      - .actual_access:  read_only
        .address_space:  global
        .offset:         0
        .size:           8
        .value_kind:     global_buffer
      - .actual_access:  read_only
        .address_space:  global
        .offset:         8
        .size:           8
        .value_kind:     global_buffer
      - .actual_access:  read_only
        .address_space:  global
        .offset:         16
        .size:           8
        .value_kind:     global_buffer
      - .offset:         24
        .size:           4
        .value_kind:     by_value
      - .offset:         28
        .size:           4
        .value_kind:     by_value
      - .actual_access:  read_only
        .address_space:  global
        .offset:         32
        .size:           8
        .value_kind:     global_buffer
      - .actual_access:  read_only
        .address_space:  global
        .offset:         40
        .size:           8
        .value_kind:     global_buffer
      - .actual_access:  read_only
        .address_space:  global
        .offset:         48
        .size:           8
        .value_kind:     global_buffer
      - .offset:         56
        .size:           4
        .value_kind:     by_value
      - .actual_access:  read_only
        .address_space:  global
        .offset:         64
        .size:           8
        .value_kind:     global_buffer
      - .offset:         72
        .size:           4
        .value_kind:     by_value
      - .offset:         76
        .size:           4
        .value_kind:     by_value
      - .offset:         80
        .size:           4
        .value_kind:     by_value
      - .actual_access:  write_only
        .address_space:  global
        .offset:         88
        .size:           8
        .value_kind:     global_buffer
      - .actual_access:  write_only
        .address_space:  global
        .offset:         96
        .size:           8
        .value_kind:     global_buffer
      - .actual_access:  write_only
        .address_space:  global
        .offset:         104
        .size:           8
        .value_kind:     global_buffer
      - .actual_access:  read_only
        .address_space:  global
        .offset:         112
        .size:           8
        .value_kind:     global_buffer
      - .offset:         120
        .size:           4
        .value_kind:     by_value
      - .address_space:  global
        .offset:         128
        .size:           8
        .value_kind:     global_buffer
      - .address_space:  global
        .offset:         136
        .size:           8
        .value_kind:     global_buffer
      - .offset:         144
        .size:           4
        .value_kind:     hidden_block_count_x
      - .offset:         148
        .size:           4
        .value_kind:     hidden_block_count_y
      - .offset:         152
        .size:           4
        .value_kind:     hidden_block_count_z
      - .offset:         156
        .size:           2
        .value_kind:     hidden_group_size_x
      - .offset:         158
        .size:           2
        .value_kind:     hidden_group_size_y
      - .offset:         160
        .size:           2
        .value_kind:     hidden_group_size_z
      - .offset:         162
        .size:           2
        .value_kind:     hidden_remainder_x
      - .offset:         164
        .size:           2
        .value_kind:     hidden_remainder_y
      - .offset:         166
        .size:           2
        .value_kind:     hidden_remainder_z
      - .offset:         184
        .size:           8
        .value_kind:     hidden_global_offset_x
      - .offset:         192
        .size:           8
        .value_kind:     hidden_global_offset_y
      - .offset:         200
        .size:           8
        .value_kind:     hidden_global_offset_z
      - .offset:         208
        .size:           2
        .value_kind:     hidden_grid_dims
    .group_segment_fixed_size: 8192
    .kernarg_segment_align: 8
    .kernarg_segment_size: 400
    .language:       OpenCL C
    .language_version:
      - 2
      - 0
    .max_flat_workgroup_size: 256
    .name:           _Z39paged_attention_ll4mi_QKV_mfma16_kernelI14__hip_bfloat16hLN4vllm18Fp8KVCacheDataTypeE1EhLi16ELi128ELi256ELb0ELi13EEvPKT_PKT0_S8_ifPKiSA_SA_iPKfiiiPfSD_PS3_PT2_iSC_SC_
    .private_segment_fixed_size: 0
    .sgpr_count:     56
    .sgpr_spill_count: 0
    .symbol:         _Z39paged_attention_ll4mi_QKV_mfma16_kernelI14__hip_bfloat16hLN4vllm18Fp8KVCacheDataTypeE1EhLi16ELi128ELi256ELb0ELi13EEvPKT_PKT0_S8_ifPKiSA_SA_iPKfiiiPfSD_PS3_PT2_iSC_SC_.kd
    .uniform_work_group_size: 1
    .uses_dynamic_stack: false
    .vgpr_count:     86
    .vgpr_spill_count: 0
    .wavefront_size: 64
  - .agpr_count:     0
    .args:
      - .actual_access:  read_only
        .address_space:  global
        .offset:         0
        .size:           8
        .value_kind:     global_buffer
      - .actual_access:  read_only
        .address_space:  global
        .offset:         8
        .size:           8
        .value_kind:     global_buffer
      - .actual_access:  read_only
        .address_space:  global
        .offset:         16
        .size:           8
        .value_kind:     global_buffer
      - .offset:         24
        .size:           4
        .value_kind:     by_value
      - .offset:         28
        .size:           4
        .value_kind:     by_value
      - .actual_access:  read_only
        .address_space:  global
        .offset:         32
        .size:           8
        .value_kind:     global_buffer
      - .actual_access:  read_only
        .address_space:  global
        .offset:         40
        .size:           8
        .value_kind:     global_buffer
      - .actual_access:  read_only
        .address_space:  global
        .offset:         48
        .size:           8
        .value_kind:     global_buffer
      - .offset:         56
        .size:           4
        .value_kind:     by_value
      - .actual_access:  read_only
        .address_space:  global
        .offset:         64
        .size:           8
        .value_kind:     global_buffer
      - .offset:         72
        .size:           4
        .value_kind:     by_value
      - .offset:         76
        .size:           4
        .value_kind:     by_value
      - .offset:         80
        .size:           4
        .value_kind:     by_value
      - .actual_access:  write_only
        .address_space:  global
        .offset:         88
        .size:           8
        .value_kind:     global_buffer
      - .actual_access:  write_only
        .address_space:  global
        .offset:         96
        .size:           8
        .value_kind:     global_buffer
      - .actual_access:  write_only
        .address_space:  global
        .offset:         104
        .size:           8
        .value_kind:     global_buffer
      - .actual_access:  read_only
        .address_space:  global
        .offset:         112
        .size:           8
        .value_kind:     global_buffer
      - .offset:         120
        .size:           4
        .value_kind:     by_value
      - .address_space:  global
        .offset:         128
        .size:           8
        .value_kind:     global_buffer
      - .address_space:  global
        .offset:         136
        .size:           8
        .value_kind:     global_buffer
      - .offset:         144
        .size:           4
        .value_kind:     hidden_block_count_x
      - .offset:         148
        .size:           4
        .value_kind:     hidden_block_count_y
      - .offset:         152
        .size:           4
        .value_kind:     hidden_block_count_z
      - .offset:         156
        .size:           2
        .value_kind:     hidden_group_size_x
      - .offset:         158
        .size:           2
        .value_kind:     hidden_group_size_y
      - .offset:         160
        .size:           2
        .value_kind:     hidden_group_size_z
      - .offset:         162
        .size:           2
        .value_kind:     hidden_remainder_x
      - .offset:         164
        .size:           2
        .value_kind:     hidden_remainder_y
      - .offset:         166
        .size:           2
        .value_kind:     hidden_remainder_z
      - .offset:         184
        .size:           8
        .value_kind:     hidden_global_offset_x
      - .offset:         192
        .size:           8
        .value_kind:     hidden_global_offset_y
      - .offset:         200
        .size:           8
        .value_kind:     hidden_global_offset_z
      - .offset:         208
        .size:           2
        .value_kind:     hidden_grid_dims
    .group_segment_fixed_size: 8192
    .kernarg_segment_align: 8
    .kernarg_segment_size: 400
    .language:       OpenCL C
    .language_version:
      - 2
      - 0
    .max_flat_workgroup_size: 256
    .name:           _Z39paged_attention_ll4mi_QKV_mfma16_kernelI14__hip_bfloat16hLN4vllm18Fp8KVCacheDataTypeE1EhLi16ELi128ELi256ELb0ELi14EEvPKT_PKT0_S8_ifPKiSA_SA_iPKfiiiPfSD_PS3_PT2_iSC_SC_
    .private_segment_fixed_size: 0
    .sgpr_count:     56
    .sgpr_spill_count: 0
    .symbol:         _Z39paged_attention_ll4mi_QKV_mfma16_kernelI14__hip_bfloat16hLN4vllm18Fp8KVCacheDataTypeE1EhLi16ELi128ELi256ELb0ELi14EEvPKT_PKT0_S8_ifPKiSA_SA_iPKfiiiPfSD_PS3_PT2_iSC_SC_.kd
    .uniform_work_group_size: 1
    .uses_dynamic_stack: false
    .vgpr_count:     86
    .vgpr_spill_count: 0
    .wavefront_size: 64
  - .agpr_count:     0
    .args:
      - .actual_access:  read_only
        .address_space:  global
        .offset:         0
        .size:           8
        .value_kind:     global_buffer
      - .actual_access:  read_only
        .address_space:  global
        .offset:         8
        .size:           8
        .value_kind:     global_buffer
      - .actual_access:  read_only
        .address_space:  global
        .offset:         16
        .size:           8
        .value_kind:     global_buffer
      - .offset:         24
        .size:           4
        .value_kind:     by_value
      - .offset:         28
        .size:           4
        .value_kind:     by_value
      - .actual_access:  read_only
        .address_space:  global
        .offset:         32
        .size:           8
        .value_kind:     global_buffer
      - .actual_access:  read_only
        .address_space:  global
        .offset:         40
        .size:           8
        .value_kind:     global_buffer
      - .actual_access:  read_only
        .address_space:  global
        .offset:         48
        .size:           8
        .value_kind:     global_buffer
      - .offset:         56
        .size:           4
        .value_kind:     by_value
      - .actual_access:  read_only
        .address_space:  global
        .offset:         64
        .size:           8
        .value_kind:     global_buffer
      - .offset:         72
        .size:           4
        .value_kind:     by_value
      - .offset:         76
        .size:           4
        .value_kind:     by_value
      - .offset:         80
        .size:           4
        .value_kind:     by_value
      - .actual_access:  write_only
        .address_space:  global
        .offset:         88
        .size:           8
        .value_kind:     global_buffer
      - .actual_access:  write_only
        .address_space:  global
        .offset:         96
        .size:           8
        .value_kind:     global_buffer
      - .actual_access:  write_only
        .address_space:  global
        .offset:         104
        .size:           8
        .value_kind:     global_buffer
      - .actual_access:  read_only
        .address_space:  global
        .offset:         112
        .size:           8
        .value_kind:     global_buffer
      - .offset:         120
        .size:           4
        .value_kind:     by_value
      - .address_space:  global
        .offset:         128
        .size:           8
        .value_kind:     global_buffer
      - .address_space:  global
        .offset:         136
        .size:           8
        .value_kind:     global_buffer
      - .offset:         144
        .size:           4
        .value_kind:     hidden_block_count_x
      - .offset:         148
        .size:           4
        .value_kind:     hidden_block_count_y
      - .offset:         152
        .size:           4
        .value_kind:     hidden_block_count_z
      - .offset:         156
        .size:           2
        .value_kind:     hidden_group_size_x
      - .offset:         158
        .size:           2
        .value_kind:     hidden_group_size_y
      - .offset:         160
        .size:           2
        .value_kind:     hidden_group_size_z
      - .offset:         162
        .size:           2
        .value_kind:     hidden_remainder_x
      - .offset:         164
        .size:           2
        .value_kind:     hidden_remainder_y
      - .offset:         166
        .size:           2
        .value_kind:     hidden_remainder_z
      - .offset:         184
        .size:           8
        .value_kind:     hidden_global_offset_x
      - .offset:         192
        .size:           8
        .value_kind:     hidden_global_offset_y
      - .offset:         200
        .size:           8
        .value_kind:     hidden_global_offset_z
      - .offset:         208
        .size:           2
        .value_kind:     hidden_grid_dims
    .group_segment_fixed_size: 8192
    .kernarg_segment_align: 8
    .kernarg_segment_size: 400
    .language:       OpenCL C
    .language_version:
      - 2
      - 0
    .max_flat_workgroup_size: 256
    .name:           _Z39paged_attention_ll4mi_QKV_mfma16_kernelI14__hip_bfloat16hLN4vllm18Fp8KVCacheDataTypeE1EhLi16ELi128ELi256ELb0ELi15EEvPKT_PKT0_S8_ifPKiSA_SA_iPKfiiiPfSD_PS3_PT2_iSC_SC_
    .private_segment_fixed_size: 0
    .sgpr_count:     56
    .sgpr_spill_count: 0
    .symbol:         _Z39paged_attention_ll4mi_QKV_mfma16_kernelI14__hip_bfloat16hLN4vllm18Fp8KVCacheDataTypeE1EhLi16ELi128ELi256ELb0ELi15EEvPKT_PKT0_S8_ifPKiSA_SA_iPKfiiiPfSD_PS3_PT2_iSC_SC_.kd
    .uniform_work_group_size: 1
    .uses_dynamic_stack: false
    .vgpr_count:     88
    .vgpr_spill_count: 0
    .wavefront_size: 64
  - .agpr_count:     0
    .args:
      - .actual_access:  read_only
        .address_space:  global
        .offset:         0
        .size:           8
        .value_kind:     global_buffer
      - .actual_access:  read_only
        .address_space:  global
        .offset:         8
        .size:           8
        .value_kind:     global_buffer
      - .actual_access:  read_only
        .address_space:  global
        .offset:         16
        .size:           8
        .value_kind:     global_buffer
      - .offset:         24
        .size:           4
        .value_kind:     by_value
      - .offset:         28
        .size:           4
        .value_kind:     by_value
      - .actual_access:  read_only
        .address_space:  global
        .offset:         32
        .size:           8
        .value_kind:     global_buffer
      - .actual_access:  read_only
        .address_space:  global
        .offset:         40
        .size:           8
        .value_kind:     global_buffer
      - .actual_access:  read_only
        .address_space:  global
        .offset:         48
        .size:           8
        .value_kind:     global_buffer
      - .offset:         56
        .size:           4
        .value_kind:     by_value
      - .actual_access:  read_only
        .address_space:  global
        .offset:         64
        .size:           8
        .value_kind:     global_buffer
      - .offset:         72
        .size:           4
        .value_kind:     by_value
      - .offset:         76
        .size:           4
        .value_kind:     by_value
      - .offset:         80
        .size:           4
        .value_kind:     by_value
      - .actual_access:  write_only
        .address_space:  global
        .offset:         88
        .size:           8
        .value_kind:     global_buffer
      - .actual_access:  write_only
        .address_space:  global
        .offset:         96
        .size:           8
        .value_kind:     global_buffer
      - .actual_access:  write_only
        .address_space:  global
        .offset:         104
        .size:           8
        .value_kind:     global_buffer
      - .actual_access:  read_only
        .address_space:  global
        .offset:         112
        .size:           8
        .value_kind:     global_buffer
      - .offset:         120
        .size:           4
        .value_kind:     by_value
      - .address_space:  global
        .offset:         128
        .size:           8
        .value_kind:     global_buffer
      - .address_space:  global
        .offset:         136
        .size:           8
        .value_kind:     global_buffer
      - .offset:         144
        .size:           4
        .value_kind:     hidden_block_count_x
      - .offset:         148
        .size:           4
        .value_kind:     hidden_block_count_y
      - .offset:         152
        .size:           4
        .value_kind:     hidden_block_count_z
      - .offset:         156
        .size:           2
        .value_kind:     hidden_group_size_x
      - .offset:         158
        .size:           2
        .value_kind:     hidden_group_size_y
      - .offset:         160
        .size:           2
        .value_kind:     hidden_group_size_z
      - .offset:         162
        .size:           2
        .value_kind:     hidden_remainder_x
      - .offset:         164
        .size:           2
        .value_kind:     hidden_remainder_y
      - .offset:         166
        .size:           2
        .value_kind:     hidden_remainder_z
      - .offset:         184
        .size:           8
        .value_kind:     hidden_global_offset_x
      - .offset:         192
        .size:           8
        .value_kind:     hidden_global_offset_y
      - .offset:         200
        .size:           8
        .value_kind:     hidden_global_offset_z
      - .offset:         208
        .size:           2
        .value_kind:     hidden_grid_dims
    .group_segment_fixed_size: 8192
    .kernarg_segment_align: 8
    .kernarg_segment_size: 400
    .language:       OpenCL C
    .language_version:
      - 2
      - 0
    .max_flat_workgroup_size: 256
    .name:           _Z39paged_attention_ll4mi_QKV_mfma16_kernelI14__hip_bfloat16hLN4vllm18Fp8KVCacheDataTypeE1EhLi16ELi128ELi256ELb0ELi16EEvPKT_PKT0_S8_ifPKiSA_SA_iPKfiiiPfSD_PS3_PT2_iSC_SC_
    .private_segment_fixed_size: 0
    .sgpr_count:     53
    .sgpr_spill_count: 0
    .symbol:         _Z39paged_attention_ll4mi_QKV_mfma16_kernelI14__hip_bfloat16hLN4vllm18Fp8KVCacheDataTypeE1EhLi16ELi128ELi256ELb0ELi16EEvPKT_PKT0_S8_ifPKiSA_SA_iPKfiiiPfSD_PS3_PT2_iSC_SC_.kd
    .uniform_work_group_size: 1
    .uses_dynamic_stack: false
    .vgpr_count:     92
    .vgpr_spill_count: 0
    .wavefront_size: 64
  - .agpr_count:     0
    .args:
      - .actual_access:  read_only
        .address_space:  global
        .offset:         0
        .size:           8
        .value_kind:     global_buffer
      - .actual_access:  read_only
        .address_space:  global
        .offset:         8
        .size:           8
        .value_kind:     global_buffer
      - .actual_access:  read_only
        .address_space:  global
        .offset:         16
        .size:           8
        .value_kind:     global_buffer
      - .offset:         24
        .size:           4
        .value_kind:     by_value
      - .offset:         28
        .size:           4
        .value_kind:     by_value
      - .actual_access:  read_only
        .address_space:  global
        .offset:         32
        .size:           8
        .value_kind:     global_buffer
      - .actual_access:  read_only
        .address_space:  global
        .offset:         40
        .size:           8
        .value_kind:     global_buffer
      - .actual_access:  read_only
        .address_space:  global
        .offset:         48
        .size:           8
        .value_kind:     global_buffer
      - .offset:         56
        .size:           4
        .value_kind:     by_value
      - .actual_access:  read_only
        .address_space:  global
        .offset:         64
        .size:           8
        .value_kind:     global_buffer
      - .offset:         72
        .size:           4
        .value_kind:     by_value
      - .offset:         76
        .size:           4
        .value_kind:     by_value
      - .offset:         80
        .size:           4
        .value_kind:     by_value
      - .actual_access:  write_only
        .address_space:  global
        .offset:         88
        .size:           8
        .value_kind:     global_buffer
      - .actual_access:  write_only
        .address_space:  global
        .offset:         96
        .size:           8
        .value_kind:     global_buffer
      - .actual_access:  write_only
        .address_space:  global
        .offset:         104
        .size:           8
        .value_kind:     global_buffer
      - .actual_access:  read_only
        .address_space:  global
        .offset:         112
        .size:           8
        .value_kind:     global_buffer
      - .offset:         120
        .size:           4
        .value_kind:     by_value
      - .address_space:  global
        .offset:         128
        .size:           8
        .value_kind:     global_buffer
      - .address_space:  global
        .offset:         136
        .size:           8
        .value_kind:     global_buffer
      - .offset:         144
        .size:           4
        .value_kind:     hidden_block_count_x
      - .offset:         148
        .size:           4
        .value_kind:     hidden_block_count_y
      - .offset:         152
        .size:           4
        .value_kind:     hidden_block_count_z
      - .offset:         156
        .size:           2
        .value_kind:     hidden_group_size_x
      - .offset:         158
        .size:           2
        .value_kind:     hidden_group_size_y
      - .offset:         160
        .size:           2
        .value_kind:     hidden_group_size_z
      - .offset:         162
        .size:           2
        .value_kind:     hidden_remainder_x
      - .offset:         164
        .size:           2
        .value_kind:     hidden_remainder_y
      - .offset:         166
        .size:           2
        .value_kind:     hidden_remainder_z
      - .offset:         184
        .size:           8
        .value_kind:     hidden_global_offset_x
      - .offset:         192
        .size:           8
        .value_kind:     hidden_global_offset_y
      - .offset:         200
        .size:           8
        .value_kind:     hidden_global_offset_z
      - .offset:         208
        .size:           2
        .value_kind:     hidden_grid_dims
    .group_segment_fixed_size: 8192
    .kernarg_segment_align: 8
    .kernarg_segment_size: 400
    .language:       OpenCL C
    .language_version:
      - 2
      - 0
    .max_flat_workgroup_size: 256
    .name:           _Z39paged_attention_ll4mi_QKV_mfma16_kernelI14__hip_bfloat16hLN4vllm18Fp8KVCacheDataTypeE1EhLi16ELi128ELi256ELb0ELi1EEvPKT_PKT0_S8_ifPKiSA_SA_iPKfiiiPfSD_PS3_PT2_iSC_SC_
    .private_segment_fixed_size: 0
    .sgpr_count:     54
    .sgpr_spill_count: 0
    .symbol:         _Z39paged_attention_ll4mi_QKV_mfma16_kernelI14__hip_bfloat16hLN4vllm18Fp8KVCacheDataTypeE1EhLi16ELi128ELi256ELb0ELi1EEvPKT_PKT0_S8_ifPKiSA_SA_iPKfiiiPfSD_PS3_PT2_iSC_SC_.kd
    .uniform_work_group_size: 1
    .uses_dynamic_stack: false
    .vgpr_count:     78
    .vgpr_spill_count: 0
    .wavefront_size: 64
  - .agpr_count:     0
    .args:
      - .actual_access:  read_only
        .address_space:  global
        .offset:         0
        .size:           8
        .value_kind:     global_buffer
      - .actual_access:  read_only
        .address_space:  global
        .offset:         8
        .size:           8
        .value_kind:     global_buffer
      - .actual_access:  read_only
        .address_space:  global
        .offset:         16
        .size:           8
        .value_kind:     global_buffer
      - .offset:         24
        .size:           4
        .value_kind:     by_value
      - .offset:         28
        .size:           4
        .value_kind:     by_value
      - .actual_access:  read_only
        .address_space:  global
        .offset:         32
        .size:           8
        .value_kind:     global_buffer
      - .actual_access:  read_only
        .address_space:  global
        .offset:         40
        .size:           8
        .value_kind:     global_buffer
      - .actual_access:  read_only
        .address_space:  global
        .offset:         48
        .size:           8
        .value_kind:     global_buffer
      - .offset:         56
        .size:           4
        .value_kind:     by_value
      - .actual_access:  read_only
        .address_space:  global
        .offset:         64
        .size:           8
        .value_kind:     global_buffer
      - .offset:         72
        .size:           4
        .value_kind:     by_value
      - .offset:         76
        .size:           4
        .value_kind:     by_value
      - .offset:         80
        .size:           4
        .value_kind:     by_value
      - .actual_access:  write_only
        .address_space:  global
        .offset:         88
        .size:           8
        .value_kind:     global_buffer
      - .actual_access:  write_only
        .address_space:  global
        .offset:         96
        .size:           8
        .value_kind:     global_buffer
      - .actual_access:  write_only
        .address_space:  global
        .offset:         104
        .size:           8
        .value_kind:     global_buffer
      - .actual_access:  read_only
        .address_space:  global
        .offset:         112
        .size:           8
        .value_kind:     global_buffer
      - .offset:         120
        .size:           4
        .value_kind:     by_value
      - .address_space:  global
        .offset:         128
        .size:           8
        .value_kind:     global_buffer
      - .address_space:  global
        .offset:         136
        .size:           8
        .value_kind:     global_buffer
      - .offset:         144
        .size:           4
        .value_kind:     hidden_block_count_x
      - .offset:         148
        .size:           4
        .value_kind:     hidden_block_count_y
      - .offset:         152
        .size:           4
        .value_kind:     hidden_block_count_z
      - .offset:         156
        .size:           2
        .value_kind:     hidden_group_size_x
      - .offset:         158
        .size:           2
        .value_kind:     hidden_group_size_y
      - .offset:         160
        .size:           2
        .value_kind:     hidden_group_size_z
      - .offset:         162
        .size:           2
        .value_kind:     hidden_remainder_x
      - .offset:         164
        .size:           2
        .value_kind:     hidden_remainder_y
      - .offset:         166
        .size:           2
        .value_kind:     hidden_remainder_z
      - .offset:         184
        .size:           8
        .value_kind:     hidden_global_offset_x
      - .offset:         192
        .size:           8
        .value_kind:     hidden_global_offset_y
      - .offset:         200
        .size:           8
        .value_kind:     hidden_global_offset_z
      - .offset:         208
        .size:           2
        .value_kind:     hidden_grid_dims
    .group_segment_fixed_size: 8192
    .kernarg_segment_align: 8
    .kernarg_segment_size: 400
    .language:       OpenCL C
    .language_version:
      - 2
      - 0
    .max_flat_workgroup_size: 256
    .name:           _Z39paged_attention_ll4mi_QKV_mfma16_kernelI14__hip_bfloat16hLN4vllm18Fp8KVCacheDataTypeE1EhLi16ELi128ELi256ELb0ELi2EEvPKT_PKT0_S8_ifPKiSA_SA_iPKfiiiPfSD_PS3_PT2_iSC_SC_
    .private_segment_fixed_size: 0
    .sgpr_count:     54
    .sgpr_spill_count: 0
    .symbol:         _Z39paged_attention_ll4mi_QKV_mfma16_kernelI14__hip_bfloat16hLN4vllm18Fp8KVCacheDataTypeE1EhLi16ELi128ELi256ELb0ELi2EEvPKT_PKT0_S8_ifPKiSA_SA_iPKfiiiPfSD_PS3_PT2_iSC_SC_.kd
    .uniform_work_group_size: 1
    .uses_dynamic_stack: false
    .vgpr_count:     90
    .vgpr_spill_count: 0
    .wavefront_size: 64
  - .agpr_count:     0
    .args:
      - .actual_access:  read_only
        .address_space:  global
        .offset:         0
        .size:           8
        .value_kind:     global_buffer
      - .actual_access:  read_only
        .address_space:  global
        .offset:         8
        .size:           8
        .value_kind:     global_buffer
      - .actual_access:  read_only
        .address_space:  global
        .offset:         16
        .size:           8
        .value_kind:     global_buffer
      - .offset:         24
        .size:           4
        .value_kind:     by_value
      - .offset:         28
        .size:           4
        .value_kind:     by_value
      - .actual_access:  read_only
        .address_space:  global
        .offset:         32
        .size:           8
        .value_kind:     global_buffer
      - .actual_access:  read_only
        .address_space:  global
        .offset:         40
        .size:           8
        .value_kind:     global_buffer
      - .actual_access:  read_only
        .address_space:  global
        .offset:         48
        .size:           8
        .value_kind:     global_buffer
      - .offset:         56
        .size:           4
        .value_kind:     by_value
      - .actual_access:  read_only
        .address_space:  global
        .offset:         64
        .size:           8
        .value_kind:     global_buffer
      - .offset:         72
        .size:           4
        .value_kind:     by_value
      - .offset:         76
        .size:           4
        .value_kind:     by_value
      - .offset:         80
        .size:           4
        .value_kind:     by_value
      - .actual_access:  write_only
        .address_space:  global
        .offset:         88
        .size:           8
        .value_kind:     global_buffer
      - .actual_access:  write_only
        .address_space:  global
        .offset:         96
        .size:           8
        .value_kind:     global_buffer
      - .actual_access:  write_only
        .address_space:  global
        .offset:         104
        .size:           8
        .value_kind:     global_buffer
      - .actual_access:  read_only
        .address_space:  global
        .offset:         112
        .size:           8
        .value_kind:     global_buffer
      - .offset:         120
        .size:           4
        .value_kind:     by_value
      - .address_space:  global
        .offset:         128
        .size:           8
        .value_kind:     global_buffer
      - .address_space:  global
        .offset:         136
        .size:           8
        .value_kind:     global_buffer
      - .offset:         144
        .size:           4
        .value_kind:     hidden_block_count_x
      - .offset:         148
        .size:           4
        .value_kind:     hidden_block_count_y
      - .offset:         152
        .size:           4
        .value_kind:     hidden_block_count_z
      - .offset:         156
        .size:           2
        .value_kind:     hidden_group_size_x
      - .offset:         158
        .size:           2
        .value_kind:     hidden_group_size_y
      - .offset:         160
        .size:           2
        .value_kind:     hidden_group_size_z
      - .offset:         162
        .size:           2
        .value_kind:     hidden_remainder_x
      - .offset:         164
        .size:           2
        .value_kind:     hidden_remainder_y
      - .offset:         166
        .size:           2
        .value_kind:     hidden_remainder_z
      - .offset:         184
        .size:           8
        .value_kind:     hidden_global_offset_x
      - .offset:         192
        .size:           8
        .value_kind:     hidden_global_offset_y
      - .offset:         200
        .size:           8
        .value_kind:     hidden_global_offset_z
      - .offset:         208
        .size:           2
        .value_kind:     hidden_grid_dims
    .group_segment_fixed_size: 8192
    .kernarg_segment_align: 8
    .kernarg_segment_size: 400
    .language:       OpenCL C
    .language_version:
      - 2
      - 0
    .max_flat_workgroup_size: 256
    .name:           _Z39paged_attention_ll4mi_QKV_mfma16_kernelI14__hip_bfloat16hLN4vllm18Fp8KVCacheDataTypeE1EhLi16ELi128ELi256ELb0ELi3EEvPKT_PKT0_S8_ifPKiSA_SA_iPKfiiiPfSD_PS3_PT2_iSC_SC_
    .private_segment_fixed_size: 0
    .sgpr_count:     56
    .sgpr_spill_count: 0
    .symbol:         _Z39paged_attention_ll4mi_QKV_mfma16_kernelI14__hip_bfloat16hLN4vllm18Fp8KVCacheDataTypeE1EhLi16ELi128ELi256ELb0ELi3EEvPKT_PKT0_S8_ifPKiSA_SA_iPKfiiiPfSD_PS3_PT2_iSC_SC_.kd
    .uniform_work_group_size: 1
    .uses_dynamic_stack: false
    .vgpr_count:     88
    .vgpr_spill_count: 0
    .wavefront_size: 64
  - .agpr_count:     0
    .args:
      - .actual_access:  read_only
        .address_space:  global
        .offset:         0
        .size:           8
        .value_kind:     global_buffer
      - .actual_access:  read_only
        .address_space:  global
        .offset:         8
        .size:           8
        .value_kind:     global_buffer
      - .actual_access:  read_only
        .address_space:  global
        .offset:         16
        .size:           8
        .value_kind:     global_buffer
      - .offset:         24
        .size:           4
        .value_kind:     by_value
      - .offset:         28
        .size:           4
        .value_kind:     by_value
      - .actual_access:  read_only
        .address_space:  global
        .offset:         32
        .size:           8
        .value_kind:     global_buffer
      - .actual_access:  read_only
        .address_space:  global
        .offset:         40
        .size:           8
        .value_kind:     global_buffer
      - .actual_access:  read_only
        .address_space:  global
        .offset:         48
        .size:           8
        .value_kind:     global_buffer
      - .offset:         56
        .size:           4
        .value_kind:     by_value
      - .actual_access:  read_only
        .address_space:  global
        .offset:         64
        .size:           8
        .value_kind:     global_buffer
      - .offset:         72
        .size:           4
        .value_kind:     by_value
      - .offset:         76
        .size:           4
        .value_kind:     by_value
      - .offset:         80
        .size:           4
        .value_kind:     by_value
      - .actual_access:  write_only
        .address_space:  global
        .offset:         88
        .size:           8
        .value_kind:     global_buffer
      - .actual_access:  write_only
        .address_space:  global
        .offset:         96
        .size:           8
        .value_kind:     global_buffer
      - .actual_access:  write_only
        .address_space:  global
        .offset:         104
        .size:           8
        .value_kind:     global_buffer
      - .actual_access:  read_only
        .address_space:  global
        .offset:         112
        .size:           8
        .value_kind:     global_buffer
      - .offset:         120
        .size:           4
        .value_kind:     by_value
      - .address_space:  global
        .offset:         128
        .size:           8
        .value_kind:     global_buffer
      - .address_space:  global
        .offset:         136
        .size:           8
        .value_kind:     global_buffer
      - .offset:         144
        .size:           4
        .value_kind:     hidden_block_count_x
      - .offset:         148
        .size:           4
        .value_kind:     hidden_block_count_y
      - .offset:         152
        .size:           4
        .value_kind:     hidden_block_count_z
      - .offset:         156
        .size:           2
        .value_kind:     hidden_group_size_x
      - .offset:         158
        .size:           2
        .value_kind:     hidden_group_size_y
      - .offset:         160
        .size:           2
        .value_kind:     hidden_group_size_z
      - .offset:         162
        .size:           2
        .value_kind:     hidden_remainder_x
      - .offset:         164
        .size:           2
        .value_kind:     hidden_remainder_y
      - .offset:         166
        .size:           2
        .value_kind:     hidden_remainder_z
      - .offset:         184
        .size:           8
        .value_kind:     hidden_global_offset_x
      - .offset:         192
        .size:           8
        .value_kind:     hidden_global_offset_y
      - .offset:         200
        .size:           8
        .value_kind:     hidden_global_offset_z
      - .offset:         208
        .size:           2
        .value_kind:     hidden_grid_dims
    .group_segment_fixed_size: 8192
    .kernarg_segment_align: 8
    .kernarg_segment_size: 400
    .language:       OpenCL C
    .language_version:
      - 2
      - 0
    .max_flat_workgroup_size: 256
    .name:           _Z39paged_attention_ll4mi_QKV_mfma16_kernelI14__hip_bfloat16hLN4vllm18Fp8KVCacheDataTypeE1EhLi16ELi128ELi256ELb0ELi4EEvPKT_PKT0_S8_ifPKiSA_SA_iPKfiiiPfSD_PS3_PT2_iSC_SC_
    .private_segment_fixed_size: 0
    .sgpr_count:     55
    .sgpr_spill_count: 0
    .symbol:         _Z39paged_attention_ll4mi_QKV_mfma16_kernelI14__hip_bfloat16hLN4vllm18Fp8KVCacheDataTypeE1EhLi16ELi128ELi256ELb0ELi4EEvPKT_PKT0_S8_ifPKiSA_SA_iPKfiiiPfSD_PS3_PT2_iSC_SC_.kd
    .uniform_work_group_size: 1
    .uses_dynamic_stack: false
    .vgpr_count:     92
    .vgpr_spill_count: 0
    .wavefront_size: 64
  - .agpr_count:     4
    .args:
      - .actual_access:  read_only
        .address_space:  global
        .offset:         0
        .size:           8
        .value_kind:     global_buffer
      - .actual_access:  read_only
        .address_space:  global
        .offset:         8
        .size:           8
        .value_kind:     global_buffer
      - .actual_access:  read_only
        .address_space:  global
        .offset:         16
        .size:           8
        .value_kind:     global_buffer
      - .offset:         24
        .size:           4
        .value_kind:     by_value
      - .offset:         28
        .size:           4
        .value_kind:     by_value
      - .actual_access:  read_only
        .address_space:  global
        .offset:         32
        .size:           8
        .value_kind:     global_buffer
      - .actual_access:  read_only
        .address_space:  global
        .offset:         40
        .size:           8
        .value_kind:     global_buffer
      - .actual_access:  read_only
        .address_space:  global
        .offset:         48
        .size:           8
        .value_kind:     global_buffer
      - .offset:         56
        .size:           4
        .value_kind:     by_value
      - .actual_access:  read_only
        .address_space:  global
        .offset:         64
        .size:           8
        .value_kind:     global_buffer
      - .offset:         72
        .size:           4
        .value_kind:     by_value
      - .offset:         76
        .size:           4
        .value_kind:     by_value
      - .offset:         80
        .size:           4
        .value_kind:     by_value
      - .actual_access:  write_only
        .address_space:  global
        .offset:         88
        .size:           8
        .value_kind:     global_buffer
      - .actual_access:  write_only
        .address_space:  global
        .offset:         96
        .size:           8
        .value_kind:     global_buffer
      - .actual_access:  write_only
        .address_space:  global
        .offset:         104
        .size:           8
        .value_kind:     global_buffer
      - .actual_access:  read_only
        .address_space:  global
        .offset:         112
        .size:           8
        .value_kind:     global_buffer
      - .offset:         120
        .size:           4
        .value_kind:     by_value
      - .address_space:  global
        .offset:         128
        .size:           8
        .value_kind:     global_buffer
      - .address_space:  global
        .offset:         136
        .size:           8
        .value_kind:     global_buffer
      - .offset:         144
        .size:           4
        .value_kind:     hidden_block_count_x
      - .offset:         148
        .size:           4
        .value_kind:     hidden_block_count_y
      - .offset:         152
        .size:           4
        .value_kind:     hidden_block_count_z
      - .offset:         156
        .size:           2
        .value_kind:     hidden_group_size_x
      - .offset:         158
        .size:           2
        .value_kind:     hidden_group_size_y
      - .offset:         160
        .size:           2
        .value_kind:     hidden_group_size_z
      - .offset:         162
        .size:           2
        .value_kind:     hidden_remainder_x
      - .offset:         164
        .size:           2
        .value_kind:     hidden_remainder_y
      - .offset:         166
        .size:           2
        .value_kind:     hidden_remainder_z
      - .offset:         184
        .size:           8
        .value_kind:     hidden_global_offset_x
      - .offset:         192
        .size:           8
        .value_kind:     hidden_global_offset_y
      - .offset:         200
        .size:           8
        .value_kind:     hidden_global_offset_z
      - .offset:         208
        .size:           2
        .value_kind:     hidden_grid_dims
    .group_segment_fixed_size: 5280
    .kernarg_segment_align: 8
    .kernarg_segment_size: 400
    .language:       OpenCL C
    .language_version:
      - 2
      - 0
    .max_flat_workgroup_size: 256
    .name:           _Z38paged_attention_ll4mi_QKV_mfma4_kernelI14__hip_bfloat16hLN4vllm18Fp8KVCacheDataTypeE1ES0_Li16ELi128ELi256ELb1ELi1EEvPKT_PKT0_S8_ifPKiSA_SA_iPKfiiiPfSD_PS3_PT2_iSC_SC_
    .private_segment_fixed_size: 0
    .sgpr_count:     48
    .sgpr_spill_count: 0
    .symbol:         _Z38paged_attention_ll4mi_QKV_mfma4_kernelI14__hip_bfloat16hLN4vllm18Fp8KVCacheDataTypeE1ES0_Li16ELi128ELi256ELb1ELi1EEvPKT_PKT0_S8_ifPKiSA_SA_iPKfiiiPfSD_PS3_PT2_iSC_SC_.kd
    .uniform_work_group_size: 1
    .uses_dynamic_stack: false
    .vgpr_count:     60
    .vgpr_spill_count: 0
    .wavefront_size: 64
  - .agpr_count:     4
    .args:
      - .actual_access:  read_only
        .address_space:  global
        .offset:         0
        .size:           8
        .value_kind:     global_buffer
      - .actual_access:  read_only
        .address_space:  global
        .offset:         8
        .size:           8
        .value_kind:     global_buffer
      - .actual_access:  read_only
        .address_space:  global
        .offset:         16
        .size:           8
        .value_kind:     global_buffer
      - .offset:         24
        .size:           4
        .value_kind:     by_value
      - .offset:         28
        .size:           4
        .value_kind:     by_value
      - .actual_access:  read_only
        .address_space:  global
        .offset:         32
        .size:           8
        .value_kind:     global_buffer
      - .actual_access:  read_only
        .address_space:  global
        .offset:         40
        .size:           8
        .value_kind:     global_buffer
      - .actual_access:  read_only
        .address_space:  global
        .offset:         48
        .size:           8
        .value_kind:     global_buffer
      - .offset:         56
        .size:           4
        .value_kind:     by_value
      - .actual_access:  read_only
        .address_space:  global
        .offset:         64
        .size:           8
        .value_kind:     global_buffer
      - .offset:         72
        .size:           4
        .value_kind:     by_value
      - .offset:         76
        .size:           4
        .value_kind:     by_value
      - .offset:         80
        .size:           4
        .value_kind:     by_value
      - .actual_access:  write_only
        .address_space:  global
        .offset:         88
        .size:           8
        .value_kind:     global_buffer
      - .actual_access:  write_only
        .address_space:  global
        .offset:         96
        .size:           8
        .value_kind:     global_buffer
      - .actual_access:  write_only
        .address_space:  global
        .offset:         104
        .size:           8
        .value_kind:     global_buffer
      - .actual_access:  read_only
        .address_space:  global
        .offset:         112
        .size:           8
        .value_kind:     global_buffer
      - .offset:         120
        .size:           4
        .value_kind:     by_value
      - .address_space:  global
        .offset:         128
        .size:           8
        .value_kind:     global_buffer
      - .address_space:  global
        .offset:         136
        .size:           8
        .value_kind:     global_buffer
      - .offset:         144
        .size:           4
        .value_kind:     hidden_block_count_x
      - .offset:         148
        .size:           4
        .value_kind:     hidden_block_count_y
      - .offset:         152
        .size:           4
        .value_kind:     hidden_block_count_z
      - .offset:         156
        .size:           2
        .value_kind:     hidden_group_size_x
      - .offset:         158
        .size:           2
        .value_kind:     hidden_group_size_y
      - .offset:         160
        .size:           2
        .value_kind:     hidden_group_size_z
      - .offset:         162
        .size:           2
        .value_kind:     hidden_remainder_x
      - .offset:         164
        .size:           2
        .value_kind:     hidden_remainder_y
      - .offset:         166
        .size:           2
        .value_kind:     hidden_remainder_z
      - .offset:         184
        .size:           8
        .value_kind:     hidden_global_offset_x
      - .offset:         192
        .size:           8
        .value_kind:     hidden_global_offset_y
      - .offset:         200
        .size:           8
        .value_kind:     hidden_global_offset_z
      - .offset:         208
        .size:           2
        .value_kind:     hidden_grid_dims
    .group_segment_fixed_size: 5280
    .kernarg_segment_align: 8
    .kernarg_segment_size: 400
    .language:       OpenCL C
    .language_version:
      - 2
      - 0
    .max_flat_workgroup_size: 256
    .name:           _Z38paged_attention_ll4mi_QKV_mfma4_kernelI14__hip_bfloat16hLN4vllm18Fp8KVCacheDataTypeE1ES0_Li16ELi128ELi256ELb1ELi2EEvPKT_PKT0_S8_ifPKiSA_SA_iPKfiiiPfSD_PS3_PT2_iSC_SC_
    .private_segment_fixed_size: 0
    .sgpr_count:     50
    .sgpr_spill_count: 0
    .symbol:         _Z38paged_attention_ll4mi_QKV_mfma4_kernelI14__hip_bfloat16hLN4vllm18Fp8KVCacheDataTypeE1ES0_Li16ELi128ELi256ELb1ELi2EEvPKT_PKT0_S8_ifPKiSA_SA_iPKfiiiPfSD_PS3_PT2_iSC_SC_.kd
    .uniform_work_group_size: 1
    .uses_dynamic_stack: false
    .vgpr_count:     60
    .vgpr_spill_count: 0
    .wavefront_size: 64
  - .agpr_count:     4
    .args:
      - .actual_access:  read_only
        .address_space:  global
        .offset:         0
        .size:           8
        .value_kind:     global_buffer
      - .actual_access:  read_only
        .address_space:  global
        .offset:         8
        .size:           8
        .value_kind:     global_buffer
      - .actual_access:  read_only
        .address_space:  global
        .offset:         16
        .size:           8
        .value_kind:     global_buffer
      - .offset:         24
        .size:           4
        .value_kind:     by_value
      - .offset:         28
        .size:           4
        .value_kind:     by_value
      - .actual_access:  read_only
        .address_space:  global
        .offset:         32
        .size:           8
        .value_kind:     global_buffer
      - .actual_access:  read_only
        .address_space:  global
        .offset:         40
        .size:           8
        .value_kind:     global_buffer
      - .actual_access:  read_only
        .address_space:  global
        .offset:         48
        .size:           8
        .value_kind:     global_buffer
      - .offset:         56
        .size:           4
        .value_kind:     by_value
      - .actual_access:  read_only
        .address_space:  global
        .offset:         64
        .size:           8
        .value_kind:     global_buffer
      - .offset:         72
        .size:           4
        .value_kind:     by_value
      - .offset:         76
        .size:           4
        .value_kind:     by_value
      - .offset:         80
        .size:           4
        .value_kind:     by_value
      - .actual_access:  write_only
        .address_space:  global
        .offset:         88
        .size:           8
        .value_kind:     global_buffer
      - .actual_access:  write_only
        .address_space:  global
        .offset:         96
        .size:           8
        .value_kind:     global_buffer
      - .actual_access:  write_only
        .address_space:  global
        .offset:         104
        .size:           8
        .value_kind:     global_buffer
      - .actual_access:  read_only
        .address_space:  global
        .offset:         112
        .size:           8
        .value_kind:     global_buffer
      - .offset:         120
        .size:           4
        .value_kind:     by_value
      - .address_space:  global
        .offset:         128
        .size:           8
        .value_kind:     global_buffer
      - .address_space:  global
        .offset:         136
        .size:           8
        .value_kind:     global_buffer
      - .offset:         144
        .size:           4
        .value_kind:     hidden_block_count_x
      - .offset:         148
        .size:           4
        .value_kind:     hidden_block_count_y
      - .offset:         152
        .size:           4
        .value_kind:     hidden_block_count_z
      - .offset:         156
        .size:           2
        .value_kind:     hidden_group_size_x
      - .offset:         158
        .size:           2
        .value_kind:     hidden_group_size_y
      - .offset:         160
        .size:           2
        .value_kind:     hidden_group_size_z
      - .offset:         162
        .size:           2
        .value_kind:     hidden_remainder_x
      - .offset:         164
        .size:           2
        .value_kind:     hidden_remainder_y
      - .offset:         166
        .size:           2
        .value_kind:     hidden_remainder_z
      - .offset:         184
        .size:           8
        .value_kind:     hidden_global_offset_x
      - .offset:         192
        .size:           8
        .value_kind:     hidden_global_offset_y
      - .offset:         200
        .size:           8
        .value_kind:     hidden_global_offset_z
      - .offset:         208
        .size:           2
        .value_kind:     hidden_grid_dims
    .group_segment_fixed_size: 5280
    .kernarg_segment_align: 8
    .kernarg_segment_size: 400
    .language:       OpenCL C
    .language_version:
      - 2
      - 0
    .max_flat_workgroup_size: 256
    .name:           _Z38paged_attention_ll4mi_QKV_mfma4_kernelI14__hip_bfloat16hLN4vllm18Fp8KVCacheDataTypeE1ES0_Li16ELi128ELi256ELb1ELi3EEvPKT_PKT0_S8_ifPKiSA_SA_iPKfiiiPfSD_PS3_PT2_iSC_SC_
    .private_segment_fixed_size: 0
    .sgpr_count:     50
    .sgpr_spill_count: 0
    .symbol:         _Z38paged_attention_ll4mi_QKV_mfma4_kernelI14__hip_bfloat16hLN4vllm18Fp8KVCacheDataTypeE1ES0_Li16ELi128ELi256ELb1ELi3EEvPKT_PKT0_S8_ifPKiSA_SA_iPKfiiiPfSD_PS3_PT2_iSC_SC_.kd
    .uniform_work_group_size: 1
    .uses_dynamic_stack: false
    .vgpr_count:     60
    .vgpr_spill_count: 0
    .wavefront_size: 64
  - .agpr_count:     4
    .args:
      - .actual_access:  read_only
        .address_space:  global
        .offset:         0
        .size:           8
        .value_kind:     global_buffer
      - .actual_access:  read_only
        .address_space:  global
        .offset:         8
        .size:           8
        .value_kind:     global_buffer
      - .actual_access:  read_only
        .address_space:  global
        .offset:         16
        .size:           8
        .value_kind:     global_buffer
      - .offset:         24
        .size:           4
        .value_kind:     by_value
      - .offset:         28
        .size:           4
        .value_kind:     by_value
      - .actual_access:  read_only
        .address_space:  global
        .offset:         32
        .size:           8
        .value_kind:     global_buffer
      - .actual_access:  read_only
        .address_space:  global
        .offset:         40
        .size:           8
        .value_kind:     global_buffer
      - .actual_access:  read_only
        .address_space:  global
        .offset:         48
        .size:           8
        .value_kind:     global_buffer
      - .offset:         56
        .size:           4
        .value_kind:     by_value
      - .actual_access:  read_only
        .address_space:  global
        .offset:         64
        .size:           8
        .value_kind:     global_buffer
      - .offset:         72
        .size:           4
        .value_kind:     by_value
      - .offset:         76
        .size:           4
        .value_kind:     by_value
      - .offset:         80
        .size:           4
        .value_kind:     by_value
      - .actual_access:  write_only
        .address_space:  global
        .offset:         88
        .size:           8
        .value_kind:     global_buffer
      - .actual_access:  write_only
        .address_space:  global
        .offset:         96
        .size:           8
        .value_kind:     global_buffer
      - .actual_access:  write_only
        .address_space:  global
        .offset:         104
        .size:           8
        .value_kind:     global_buffer
      - .actual_access:  read_only
        .address_space:  global
        .offset:         112
        .size:           8
        .value_kind:     global_buffer
      - .offset:         120
        .size:           4
        .value_kind:     by_value
      - .address_space:  global
        .offset:         128
        .size:           8
        .value_kind:     global_buffer
      - .address_space:  global
        .offset:         136
        .size:           8
        .value_kind:     global_buffer
      - .offset:         144
        .size:           4
        .value_kind:     hidden_block_count_x
      - .offset:         148
        .size:           4
        .value_kind:     hidden_block_count_y
      - .offset:         152
        .size:           4
        .value_kind:     hidden_block_count_z
      - .offset:         156
        .size:           2
        .value_kind:     hidden_group_size_x
      - .offset:         158
        .size:           2
        .value_kind:     hidden_group_size_y
      - .offset:         160
        .size:           2
        .value_kind:     hidden_group_size_z
      - .offset:         162
        .size:           2
        .value_kind:     hidden_remainder_x
      - .offset:         164
        .size:           2
        .value_kind:     hidden_remainder_y
      - .offset:         166
        .size:           2
        .value_kind:     hidden_remainder_z
      - .offset:         184
        .size:           8
        .value_kind:     hidden_global_offset_x
      - .offset:         192
        .size:           8
        .value_kind:     hidden_global_offset_y
      - .offset:         200
        .size:           8
        .value_kind:     hidden_global_offset_z
      - .offset:         208
        .size:           2
        .value_kind:     hidden_grid_dims
    .group_segment_fixed_size: 5280
    .kernarg_segment_align: 8
    .kernarg_segment_size: 400
    .language:       OpenCL C
    .language_version:
      - 2
      - 0
    .max_flat_workgroup_size: 256
    .name:           _Z38paged_attention_ll4mi_QKV_mfma4_kernelI14__hip_bfloat16hLN4vllm18Fp8KVCacheDataTypeE1ES0_Li16ELi128ELi256ELb1ELi4EEvPKT_PKT0_S8_ifPKiSA_SA_iPKfiiiPfSD_PS3_PT2_iSC_SC_
    .private_segment_fixed_size: 0
    .sgpr_count:     51
    .sgpr_spill_count: 0
    .symbol:         _Z38paged_attention_ll4mi_QKV_mfma4_kernelI14__hip_bfloat16hLN4vllm18Fp8KVCacheDataTypeE1ES0_Li16ELi128ELi256ELb1ELi4EEvPKT_PKT0_S8_ifPKiSA_SA_iPKfiiiPfSD_PS3_PT2_iSC_SC_.kd
    .uniform_work_group_size: 1
    .uses_dynamic_stack: false
    .vgpr_count:     88
    .vgpr_spill_count: 0
    .wavefront_size: 64
  - .agpr_count:     0
    .args:
      - .actual_access:  read_only
        .address_space:  global
        .offset:         0
        .size:           8
        .value_kind:     global_buffer
      - .actual_access:  read_only
        .address_space:  global
        .offset:         8
        .size:           8
        .value_kind:     global_buffer
      - .actual_access:  read_only
        .address_space:  global
        .offset:         16
        .size:           8
        .value_kind:     global_buffer
      - .offset:         24
        .size:           4
        .value_kind:     by_value
      - .offset:         28
        .size:           4
        .value_kind:     by_value
      - .actual_access:  read_only
        .address_space:  global
        .offset:         32
        .size:           8
        .value_kind:     global_buffer
      - .actual_access:  read_only
        .address_space:  global
        .offset:         40
        .size:           8
        .value_kind:     global_buffer
      - .actual_access:  read_only
        .address_space:  global
        .offset:         48
        .size:           8
        .value_kind:     global_buffer
      - .offset:         56
        .size:           4
        .value_kind:     by_value
      - .actual_access:  read_only
        .address_space:  global
        .offset:         64
        .size:           8
        .value_kind:     global_buffer
      - .offset:         72
        .size:           4
        .value_kind:     by_value
      - .offset:         76
        .size:           4
        .value_kind:     by_value
      - .offset:         80
        .size:           4
        .value_kind:     by_value
      - .actual_access:  write_only
        .address_space:  global
        .offset:         88
        .size:           8
        .value_kind:     global_buffer
      - .actual_access:  write_only
        .address_space:  global
        .offset:         96
        .size:           8
        .value_kind:     global_buffer
      - .actual_access:  write_only
        .address_space:  global
        .offset:         104
        .size:           8
        .value_kind:     global_buffer
      - .actual_access:  read_only
        .address_space:  global
        .offset:         112
        .size:           8
        .value_kind:     global_buffer
      - .offset:         120
        .size:           4
        .value_kind:     by_value
      - .address_space:  global
        .offset:         128
        .size:           8
        .value_kind:     global_buffer
      - .address_space:  global
        .offset:         136
        .size:           8
        .value_kind:     global_buffer
      - .offset:         144
        .size:           4
        .value_kind:     hidden_block_count_x
      - .offset:         148
        .size:           4
        .value_kind:     hidden_block_count_y
      - .offset:         152
        .size:           4
        .value_kind:     hidden_block_count_z
      - .offset:         156
        .size:           2
        .value_kind:     hidden_group_size_x
      - .offset:         158
        .size:           2
        .value_kind:     hidden_group_size_y
      - .offset:         160
        .size:           2
        .value_kind:     hidden_group_size_z
      - .offset:         162
        .size:           2
        .value_kind:     hidden_remainder_x
      - .offset:         164
        .size:           2
        .value_kind:     hidden_remainder_y
      - .offset:         166
        .size:           2
        .value_kind:     hidden_remainder_z
      - .offset:         184
        .size:           8
        .value_kind:     hidden_global_offset_x
      - .offset:         192
        .size:           8
        .value_kind:     hidden_global_offset_y
      - .offset:         200
        .size:           8
        .value_kind:     hidden_global_offset_z
      - .offset:         208
        .size:           2
        .value_kind:     hidden_grid_dims
    .group_segment_fixed_size: 8192
    .kernarg_segment_align: 8
    .kernarg_segment_size: 400
    .language:       OpenCL C
    .language_version:
      - 2
      - 0
    .max_flat_workgroup_size: 256
    .name:           _Z39paged_attention_ll4mi_QKV_mfma16_kernelI14__hip_bfloat16hLN4vllm18Fp8KVCacheDataTypeE1ES0_Li16ELi128ELi256ELb1ELi5EEvPKT_PKT0_S8_ifPKiSA_SA_iPKfiiiPfSD_PS3_PT2_iSC_SC_
    .private_segment_fixed_size: 0
    .sgpr_count:     56
    .sgpr_spill_count: 0
    .symbol:         _Z39paged_attention_ll4mi_QKV_mfma16_kernelI14__hip_bfloat16hLN4vllm18Fp8KVCacheDataTypeE1ES0_Li16ELi128ELi256ELb1ELi5EEvPKT_PKT0_S8_ifPKiSA_SA_iPKfiiiPfSD_PS3_PT2_iSC_SC_.kd
    .uniform_work_group_size: 1
    .uses_dynamic_stack: false
    .vgpr_count:     76
    .vgpr_spill_count: 0
    .wavefront_size: 64
  - .agpr_count:     0
    .args:
      - .actual_access:  read_only
        .address_space:  global
        .offset:         0
        .size:           8
        .value_kind:     global_buffer
      - .actual_access:  read_only
        .address_space:  global
        .offset:         8
        .size:           8
        .value_kind:     global_buffer
      - .actual_access:  read_only
        .address_space:  global
        .offset:         16
        .size:           8
        .value_kind:     global_buffer
      - .offset:         24
        .size:           4
        .value_kind:     by_value
      - .offset:         28
        .size:           4
        .value_kind:     by_value
      - .actual_access:  read_only
        .address_space:  global
        .offset:         32
        .size:           8
        .value_kind:     global_buffer
      - .actual_access:  read_only
        .address_space:  global
        .offset:         40
        .size:           8
        .value_kind:     global_buffer
      - .actual_access:  read_only
        .address_space:  global
        .offset:         48
        .size:           8
        .value_kind:     global_buffer
      - .offset:         56
        .size:           4
        .value_kind:     by_value
      - .actual_access:  read_only
        .address_space:  global
        .offset:         64
        .size:           8
        .value_kind:     global_buffer
      - .offset:         72
        .size:           4
        .value_kind:     by_value
      - .offset:         76
        .size:           4
        .value_kind:     by_value
      - .offset:         80
        .size:           4
        .value_kind:     by_value
      - .actual_access:  write_only
        .address_space:  global
        .offset:         88
        .size:           8
        .value_kind:     global_buffer
      - .actual_access:  write_only
        .address_space:  global
        .offset:         96
        .size:           8
        .value_kind:     global_buffer
      - .actual_access:  write_only
        .address_space:  global
        .offset:         104
        .size:           8
        .value_kind:     global_buffer
      - .actual_access:  read_only
        .address_space:  global
        .offset:         112
        .size:           8
        .value_kind:     global_buffer
      - .offset:         120
        .size:           4
        .value_kind:     by_value
      - .address_space:  global
        .offset:         128
        .size:           8
        .value_kind:     global_buffer
      - .address_space:  global
        .offset:         136
        .size:           8
        .value_kind:     global_buffer
      - .offset:         144
        .size:           4
        .value_kind:     hidden_block_count_x
      - .offset:         148
        .size:           4
        .value_kind:     hidden_block_count_y
      - .offset:         152
        .size:           4
        .value_kind:     hidden_block_count_z
      - .offset:         156
        .size:           2
        .value_kind:     hidden_group_size_x
      - .offset:         158
        .size:           2
        .value_kind:     hidden_group_size_y
      - .offset:         160
        .size:           2
        .value_kind:     hidden_group_size_z
      - .offset:         162
        .size:           2
        .value_kind:     hidden_remainder_x
      - .offset:         164
        .size:           2
        .value_kind:     hidden_remainder_y
      - .offset:         166
        .size:           2
        .value_kind:     hidden_remainder_z
      - .offset:         184
        .size:           8
        .value_kind:     hidden_global_offset_x
      - .offset:         192
        .size:           8
        .value_kind:     hidden_global_offset_y
      - .offset:         200
        .size:           8
        .value_kind:     hidden_global_offset_z
      - .offset:         208
        .size:           2
        .value_kind:     hidden_grid_dims
    .group_segment_fixed_size: 8192
    .kernarg_segment_align: 8
    .kernarg_segment_size: 400
    .language:       OpenCL C
    .language_version:
      - 2
      - 0
    .max_flat_workgroup_size: 256
    .name:           _Z39paged_attention_ll4mi_QKV_mfma16_kernelI14__hip_bfloat16hLN4vllm18Fp8KVCacheDataTypeE1ES0_Li16ELi128ELi256ELb1ELi6EEvPKT_PKT0_S8_ifPKiSA_SA_iPKfiiiPfSD_PS3_PT2_iSC_SC_
    .private_segment_fixed_size: 0
    .sgpr_count:     56
    .sgpr_spill_count: 0
    .symbol:         _Z39paged_attention_ll4mi_QKV_mfma16_kernelI14__hip_bfloat16hLN4vllm18Fp8KVCacheDataTypeE1ES0_Li16ELi128ELi256ELb1ELi6EEvPKT_PKT0_S8_ifPKiSA_SA_iPKfiiiPfSD_PS3_PT2_iSC_SC_.kd
    .uniform_work_group_size: 1
    .uses_dynamic_stack: false
    .vgpr_count:     76
    .vgpr_spill_count: 0
    .wavefront_size: 64
  - .agpr_count:     0
    .args:
      - .actual_access:  read_only
        .address_space:  global
        .offset:         0
        .size:           8
        .value_kind:     global_buffer
      - .actual_access:  read_only
        .address_space:  global
        .offset:         8
        .size:           8
        .value_kind:     global_buffer
      - .actual_access:  read_only
        .address_space:  global
        .offset:         16
        .size:           8
        .value_kind:     global_buffer
      - .offset:         24
        .size:           4
        .value_kind:     by_value
      - .offset:         28
        .size:           4
        .value_kind:     by_value
      - .actual_access:  read_only
        .address_space:  global
        .offset:         32
        .size:           8
        .value_kind:     global_buffer
      - .actual_access:  read_only
        .address_space:  global
        .offset:         40
        .size:           8
        .value_kind:     global_buffer
      - .actual_access:  read_only
        .address_space:  global
        .offset:         48
        .size:           8
        .value_kind:     global_buffer
      - .offset:         56
        .size:           4
        .value_kind:     by_value
      - .actual_access:  read_only
        .address_space:  global
        .offset:         64
        .size:           8
        .value_kind:     global_buffer
      - .offset:         72
        .size:           4
        .value_kind:     by_value
      - .offset:         76
        .size:           4
        .value_kind:     by_value
      - .offset:         80
        .size:           4
        .value_kind:     by_value
      - .actual_access:  write_only
        .address_space:  global
        .offset:         88
        .size:           8
        .value_kind:     global_buffer
      - .actual_access:  write_only
        .address_space:  global
        .offset:         96
        .size:           8
        .value_kind:     global_buffer
      - .actual_access:  write_only
        .address_space:  global
        .offset:         104
        .size:           8
        .value_kind:     global_buffer
      - .actual_access:  read_only
        .address_space:  global
        .offset:         112
        .size:           8
        .value_kind:     global_buffer
      - .offset:         120
        .size:           4
        .value_kind:     by_value
      - .address_space:  global
        .offset:         128
        .size:           8
        .value_kind:     global_buffer
      - .address_space:  global
        .offset:         136
        .size:           8
        .value_kind:     global_buffer
      - .offset:         144
        .size:           4
        .value_kind:     hidden_block_count_x
      - .offset:         148
        .size:           4
        .value_kind:     hidden_block_count_y
      - .offset:         152
        .size:           4
        .value_kind:     hidden_block_count_z
      - .offset:         156
        .size:           2
        .value_kind:     hidden_group_size_x
      - .offset:         158
        .size:           2
        .value_kind:     hidden_group_size_y
      - .offset:         160
        .size:           2
        .value_kind:     hidden_group_size_z
      - .offset:         162
        .size:           2
        .value_kind:     hidden_remainder_x
      - .offset:         164
        .size:           2
        .value_kind:     hidden_remainder_y
      - .offset:         166
        .size:           2
        .value_kind:     hidden_remainder_z
      - .offset:         184
        .size:           8
        .value_kind:     hidden_global_offset_x
      - .offset:         192
        .size:           8
        .value_kind:     hidden_global_offset_y
      - .offset:         200
        .size:           8
        .value_kind:     hidden_global_offset_z
      - .offset:         208
        .size:           2
        .value_kind:     hidden_grid_dims
    .group_segment_fixed_size: 8192
    .kernarg_segment_align: 8
    .kernarg_segment_size: 400
    .language:       OpenCL C
    .language_version:
      - 2
      - 0
    .max_flat_workgroup_size: 256
    .name:           _Z39paged_attention_ll4mi_QKV_mfma16_kernelI14__hip_bfloat16hLN4vllm18Fp8KVCacheDataTypeE1ES0_Li16ELi128ELi256ELb1ELi7EEvPKT_PKT0_S8_ifPKiSA_SA_iPKfiiiPfSD_PS3_PT2_iSC_SC_
    .private_segment_fixed_size: 0
    .sgpr_count:     56
    .sgpr_spill_count: 0
    .symbol:         _Z39paged_attention_ll4mi_QKV_mfma16_kernelI14__hip_bfloat16hLN4vllm18Fp8KVCacheDataTypeE1ES0_Li16ELi128ELi256ELb1ELi7EEvPKT_PKT0_S8_ifPKiSA_SA_iPKfiiiPfSD_PS3_PT2_iSC_SC_.kd
    .uniform_work_group_size: 1
    .uses_dynamic_stack: false
    .vgpr_count:     76
    .vgpr_spill_count: 0
    .wavefront_size: 64
  - .agpr_count:     0
    .args:
      - .actual_access:  read_only
        .address_space:  global
        .offset:         0
        .size:           8
        .value_kind:     global_buffer
      - .actual_access:  read_only
        .address_space:  global
        .offset:         8
        .size:           8
        .value_kind:     global_buffer
      - .actual_access:  read_only
        .address_space:  global
        .offset:         16
        .size:           8
        .value_kind:     global_buffer
      - .offset:         24
        .size:           4
        .value_kind:     by_value
      - .offset:         28
        .size:           4
        .value_kind:     by_value
      - .actual_access:  read_only
        .address_space:  global
        .offset:         32
        .size:           8
        .value_kind:     global_buffer
      - .actual_access:  read_only
        .address_space:  global
        .offset:         40
        .size:           8
        .value_kind:     global_buffer
      - .actual_access:  read_only
        .address_space:  global
        .offset:         48
        .size:           8
        .value_kind:     global_buffer
      - .offset:         56
        .size:           4
        .value_kind:     by_value
      - .actual_access:  read_only
        .address_space:  global
        .offset:         64
        .size:           8
        .value_kind:     global_buffer
      - .offset:         72
        .size:           4
        .value_kind:     by_value
      - .offset:         76
        .size:           4
        .value_kind:     by_value
      - .offset:         80
        .size:           4
        .value_kind:     by_value
      - .actual_access:  write_only
        .address_space:  global
        .offset:         88
        .size:           8
        .value_kind:     global_buffer
      - .actual_access:  write_only
        .address_space:  global
        .offset:         96
        .size:           8
        .value_kind:     global_buffer
      - .actual_access:  write_only
        .address_space:  global
        .offset:         104
        .size:           8
        .value_kind:     global_buffer
      - .actual_access:  read_only
        .address_space:  global
        .offset:         112
        .size:           8
        .value_kind:     global_buffer
      - .offset:         120
        .size:           4
        .value_kind:     by_value
      - .address_space:  global
        .offset:         128
        .size:           8
        .value_kind:     global_buffer
      - .address_space:  global
        .offset:         136
        .size:           8
        .value_kind:     global_buffer
      - .offset:         144
        .size:           4
        .value_kind:     hidden_block_count_x
      - .offset:         148
        .size:           4
        .value_kind:     hidden_block_count_y
      - .offset:         152
        .size:           4
        .value_kind:     hidden_block_count_z
      - .offset:         156
        .size:           2
        .value_kind:     hidden_group_size_x
      - .offset:         158
        .size:           2
        .value_kind:     hidden_group_size_y
      - .offset:         160
        .size:           2
        .value_kind:     hidden_group_size_z
      - .offset:         162
        .size:           2
        .value_kind:     hidden_remainder_x
      - .offset:         164
        .size:           2
        .value_kind:     hidden_remainder_y
      - .offset:         166
        .size:           2
        .value_kind:     hidden_remainder_z
      - .offset:         184
        .size:           8
        .value_kind:     hidden_global_offset_x
      - .offset:         192
        .size:           8
        .value_kind:     hidden_global_offset_y
      - .offset:         200
        .size:           8
        .value_kind:     hidden_global_offset_z
      - .offset:         208
        .size:           2
        .value_kind:     hidden_grid_dims
    .group_segment_fixed_size: 8192
    .kernarg_segment_align: 8
    .kernarg_segment_size: 400
    .language:       OpenCL C
    .language_version:
      - 2
      - 0
    .max_flat_workgroup_size: 256
    .name:           _Z39paged_attention_ll4mi_QKV_mfma16_kernelI14__hip_bfloat16hLN4vllm18Fp8KVCacheDataTypeE1ES0_Li16ELi128ELi256ELb1ELi8EEvPKT_PKT0_S8_ifPKiSA_SA_iPKfiiiPfSD_PS3_PT2_iSC_SC_
    .private_segment_fixed_size: 0
    .sgpr_count:     54
    .sgpr_spill_count: 0
    .symbol:         _Z39paged_attention_ll4mi_QKV_mfma16_kernelI14__hip_bfloat16hLN4vllm18Fp8KVCacheDataTypeE1ES0_Li16ELi128ELi256ELb1ELi8EEvPKT_PKT0_S8_ifPKiSA_SA_iPKfiiiPfSD_PS3_PT2_iSC_SC_.kd
    .uniform_work_group_size: 1
    .uses_dynamic_stack: false
    .vgpr_count:     80
    .vgpr_spill_count: 0
    .wavefront_size: 64
  - .agpr_count:     0
    .args:
      - .actual_access:  read_only
        .address_space:  global
        .offset:         0
        .size:           8
        .value_kind:     global_buffer
      - .actual_access:  read_only
        .address_space:  global
        .offset:         8
        .size:           8
        .value_kind:     global_buffer
      - .actual_access:  read_only
        .address_space:  global
        .offset:         16
        .size:           8
        .value_kind:     global_buffer
      - .offset:         24
        .size:           4
        .value_kind:     by_value
      - .offset:         28
        .size:           4
        .value_kind:     by_value
      - .actual_access:  read_only
        .address_space:  global
        .offset:         32
        .size:           8
        .value_kind:     global_buffer
      - .actual_access:  read_only
        .address_space:  global
        .offset:         40
        .size:           8
        .value_kind:     global_buffer
      - .actual_access:  read_only
        .address_space:  global
        .offset:         48
        .size:           8
        .value_kind:     global_buffer
      - .offset:         56
        .size:           4
        .value_kind:     by_value
      - .actual_access:  read_only
        .address_space:  global
        .offset:         64
        .size:           8
        .value_kind:     global_buffer
      - .offset:         72
        .size:           4
        .value_kind:     by_value
      - .offset:         76
        .size:           4
        .value_kind:     by_value
      - .offset:         80
        .size:           4
        .value_kind:     by_value
      - .actual_access:  write_only
        .address_space:  global
        .offset:         88
        .size:           8
        .value_kind:     global_buffer
      - .actual_access:  write_only
        .address_space:  global
        .offset:         96
        .size:           8
        .value_kind:     global_buffer
      - .actual_access:  write_only
        .address_space:  global
        .offset:         104
        .size:           8
        .value_kind:     global_buffer
      - .actual_access:  read_only
        .address_space:  global
        .offset:         112
        .size:           8
        .value_kind:     global_buffer
      - .offset:         120
        .size:           4
        .value_kind:     by_value
      - .address_space:  global
        .offset:         128
        .size:           8
        .value_kind:     global_buffer
      - .address_space:  global
        .offset:         136
        .size:           8
        .value_kind:     global_buffer
      - .offset:         144
        .size:           4
        .value_kind:     hidden_block_count_x
      - .offset:         148
        .size:           4
        .value_kind:     hidden_block_count_y
      - .offset:         152
        .size:           4
        .value_kind:     hidden_block_count_z
      - .offset:         156
        .size:           2
        .value_kind:     hidden_group_size_x
      - .offset:         158
        .size:           2
        .value_kind:     hidden_group_size_y
      - .offset:         160
        .size:           2
        .value_kind:     hidden_group_size_z
      - .offset:         162
        .size:           2
        .value_kind:     hidden_remainder_x
      - .offset:         164
        .size:           2
        .value_kind:     hidden_remainder_y
      - .offset:         166
        .size:           2
        .value_kind:     hidden_remainder_z
      - .offset:         184
        .size:           8
        .value_kind:     hidden_global_offset_x
      - .offset:         192
        .size:           8
        .value_kind:     hidden_global_offset_y
      - .offset:         200
        .size:           8
        .value_kind:     hidden_global_offset_z
      - .offset:         208
        .size:           2
        .value_kind:     hidden_grid_dims
    .group_segment_fixed_size: 8192
    .kernarg_segment_align: 8
    .kernarg_segment_size: 400
    .language:       OpenCL C
    .language_version:
      - 2
      - 0
    .max_flat_workgroup_size: 256
    .name:           _Z39paged_attention_ll4mi_QKV_mfma16_kernelI14__hip_bfloat16hLN4vllm18Fp8KVCacheDataTypeE1ES0_Li16ELi128ELi256ELb1ELi9EEvPKT_PKT0_S8_ifPKiSA_SA_iPKfiiiPfSD_PS3_PT2_iSC_SC_
    .private_segment_fixed_size: 0
    .sgpr_count:     56
    .sgpr_spill_count: 0
    .symbol:         _Z39paged_attention_ll4mi_QKV_mfma16_kernelI14__hip_bfloat16hLN4vllm18Fp8KVCacheDataTypeE1ES0_Li16ELi128ELi256ELb1ELi9EEvPKT_PKT0_S8_ifPKiSA_SA_iPKfiiiPfSD_PS3_PT2_iSC_SC_.kd
    .uniform_work_group_size: 1
    .uses_dynamic_stack: false
    .vgpr_count:     76
    .vgpr_spill_count: 0
    .wavefront_size: 64
  - .agpr_count:     0
    .args:
      - .actual_access:  read_only
        .address_space:  global
        .offset:         0
        .size:           8
        .value_kind:     global_buffer
      - .actual_access:  read_only
        .address_space:  global
        .offset:         8
        .size:           8
        .value_kind:     global_buffer
      - .actual_access:  read_only
        .address_space:  global
        .offset:         16
        .size:           8
        .value_kind:     global_buffer
      - .offset:         24
        .size:           4
        .value_kind:     by_value
      - .offset:         28
        .size:           4
        .value_kind:     by_value
      - .actual_access:  read_only
        .address_space:  global
        .offset:         32
        .size:           8
        .value_kind:     global_buffer
      - .actual_access:  read_only
        .address_space:  global
        .offset:         40
        .size:           8
        .value_kind:     global_buffer
      - .actual_access:  read_only
        .address_space:  global
        .offset:         48
        .size:           8
        .value_kind:     global_buffer
      - .offset:         56
        .size:           4
        .value_kind:     by_value
      - .actual_access:  read_only
        .address_space:  global
        .offset:         64
        .size:           8
        .value_kind:     global_buffer
      - .offset:         72
        .size:           4
        .value_kind:     by_value
      - .offset:         76
        .size:           4
        .value_kind:     by_value
      - .offset:         80
        .size:           4
        .value_kind:     by_value
      - .actual_access:  write_only
        .address_space:  global
        .offset:         88
        .size:           8
        .value_kind:     global_buffer
      - .actual_access:  write_only
        .address_space:  global
        .offset:         96
        .size:           8
        .value_kind:     global_buffer
      - .actual_access:  write_only
        .address_space:  global
        .offset:         104
        .size:           8
        .value_kind:     global_buffer
      - .actual_access:  read_only
        .address_space:  global
        .offset:         112
        .size:           8
        .value_kind:     global_buffer
      - .offset:         120
        .size:           4
        .value_kind:     by_value
      - .address_space:  global
        .offset:         128
        .size:           8
        .value_kind:     global_buffer
      - .address_space:  global
        .offset:         136
        .size:           8
        .value_kind:     global_buffer
      - .offset:         144
        .size:           4
        .value_kind:     hidden_block_count_x
      - .offset:         148
        .size:           4
        .value_kind:     hidden_block_count_y
      - .offset:         152
        .size:           4
        .value_kind:     hidden_block_count_z
      - .offset:         156
        .size:           2
        .value_kind:     hidden_group_size_x
      - .offset:         158
        .size:           2
        .value_kind:     hidden_group_size_y
      - .offset:         160
        .size:           2
        .value_kind:     hidden_group_size_z
      - .offset:         162
        .size:           2
        .value_kind:     hidden_remainder_x
      - .offset:         164
        .size:           2
        .value_kind:     hidden_remainder_y
      - .offset:         166
        .size:           2
        .value_kind:     hidden_remainder_z
      - .offset:         184
        .size:           8
        .value_kind:     hidden_global_offset_x
      - .offset:         192
        .size:           8
        .value_kind:     hidden_global_offset_y
      - .offset:         200
        .size:           8
        .value_kind:     hidden_global_offset_z
      - .offset:         208
        .size:           2
        .value_kind:     hidden_grid_dims
    .group_segment_fixed_size: 8192
    .kernarg_segment_align: 8
    .kernarg_segment_size: 400
    .language:       OpenCL C
    .language_version:
      - 2
      - 0
    .max_flat_workgroup_size: 256
    .name:           _Z39paged_attention_ll4mi_QKV_mfma16_kernelI14__hip_bfloat16hLN4vllm18Fp8KVCacheDataTypeE1ES0_Li16ELi128ELi256ELb1ELi10EEvPKT_PKT0_S8_ifPKiSA_SA_iPKfiiiPfSD_PS3_PT2_iSC_SC_
    .private_segment_fixed_size: 0
    .sgpr_count:     56
    .sgpr_spill_count: 0
    .symbol:         _Z39paged_attention_ll4mi_QKV_mfma16_kernelI14__hip_bfloat16hLN4vllm18Fp8KVCacheDataTypeE1ES0_Li16ELi128ELi256ELb1ELi10EEvPKT_PKT0_S8_ifPKiSA_SA_iPKfiiiPfSD_PS3_PT2_iSC_SC_.kd
    .uniform_work_group_size: 1
    .uses_dynamic_stack: false
    .vgpr_count:     76
    .vgpr_spill_count: 0
    .wavefront_size: 64
  - .agpr_count:     0
    .args:
      - .actual_access:  read_only
        .address_space:  global
        .offset:         0
        .size:           8
        .value_kind:     global_buffer
      - .actual_access:  read_only
        .address_space:  global
        .offset:         8
        .size:           8
        .value_kind:     global_buffer
      - .actual_access:  read_only
        .address_space:  global
        .offset:         16
        .size:           8
        .value_kind:     global_buffer
      - .offset:         24
        .size:           4
        .value_kind:     by_value
      - .offset:         28
        .size:           4
        .value_kind:     by_value
      - .actual_access:  read_only
        .address_space:  global
        .offset:         32
        .size:           8
        .value_kind:     global_buffer
      - .actual_access:  read_only
        .address_space:  global
        .offset:         40
        .size:           8
        .value_kind:     global_buffer
      - .actual_access:  read_only
        .address_space:  global
        .offset:         48
        .size:           8
        .value_kind:     global_buffer
      - .offset:         56
        .size:           4
        .value_kind:     by_value
      - .actual_access:  read_only
        .address_space:  global
        .offset:         64
        .size:           8
        .value_kind:     global_buffer
      - .offset:         72
        .size:           4
        .value_kind:     by_value
      - .offset:         76
        .size:           4
        .value_kind:     by_value
      - .offset:         80
        .size:           4
        .value_kind:     by_value
      - .actual_access:  write_only
        .address_space:  global
        .offset:         88
        .size:           8
        .value_kind:     global_buffer
      - .actual_access:  write_only
        .address_space:  global
        .offset:         96
        .size:           8
        .value_kind:     global_buffer
      - .actual_access:  write_only
        .address_space:  global
        .offset:         104
        .size:           8
        .value_kind:     global_buffer
      - .actual_access:  read_only
        .address_space:  global
        .offset:         112
        .size:           8
        .value_kind:     global_buffer
      - .offset:         120
        .size:           4
        .value_kind:     by_value
      - .address_space:  global
        .offset:         128
        .size:           8
        .value_kind:     global_buffer
      - .address_space:  global
        .offset:         136
        .size:           8
        .value_kind:     global_buffer
      - .offset:         144
        .size:           4
        .value_kind:     hidden_block_count_x
      - .offset:         148
        .size:           4
        .value_kind:     hidden_block_count_y
      - .offset:         152
        .size:           4
        .value_kind:     hidden_block_count_z
      - .offset:         156
        .size:           2
        .value_kind:     hidden_group_size_x
      - .offset:         158
        .size:           2
        .value_kind:     hidden_group_size_y
      - .offset:         160
        .size:           2
        .value_kind:     hidden_group_size_z
      - .offset:         162
        .size:           2
        .value_kind:     hidden_remainder_x
      - .offset:         164
        .size:           2
        .value_kind:     hidden_remainder_y
      - .offset:         166
        .size:           2
        .value_kind:     hidden_remainder_z
      - .offset:         184
        .size:           8
        .value_kind:     hidden_global_offset_x
      - .offset:         192
        .size:           8
        .value_kind:     hidden_global_offset_y
      - .offset:         200
        .size:           8
        .value_kind:     hidden_global_offset_z
      - .offset:         208
        .size:           2
        .value_kind:     hidden_grid_dims
    .group_segment_fixed_size: 8192
    .kernarg_segment_align: 8
    .kernarg_segment_size: 400
    .language:       OpenCL C
    .language_version:
      - 2
      - 0
    .max_flat_workgroup_size: 256
    .name:           _Z39paged_attention_ll4mi_QKV_mfma16_kernelI14__hip_bfloat16hLN4vllm18Fp8KVCacheDataTypeE1ES0_Li16ELi128ELi256ELb1ELi11EEvPKT_PKT0_S8_ifPKiSA_SA_iPKfiiiPfSD_PS3_PT2_iSC_SC_
    .private_segment_fixed_size: 0
    .sgpr_count:     56
    .sgpr_spill_count: 0
    .symbol:         _Z39paged_attention_ll4mi_QKV_mfma16_kernelI14__hip_bfloat16hLN4vllm18Fp8KVCacheDataTypeE1ES0_Li16ELi128ELi256ELb1ELi11EEvPKT_PKT0_S8_ifPKiSA_SA_iPKfiiiPfSD_PS3_PT2_iSC_SC_.kd
    .uniform_work_group_size: 1
    .uses_dynamic_stack: false
    .vgpr_count:     76
    .vgpr_spill_count: 0
    .wavefront_size: 64
  - .agpr_count:     0
    .args:
      - .actual_access:  read_only
        .address_space:  global
        .offset:         0
        .size:           8
        .value_kind:     global_buffer
      - .actual_access:  read_only
        .address_space:  global
        .offset:         8
        .size:           8
        .value_kind:     global_buffer
      - .actual_access:  read_only
        .address_space:  global
        .offset:         16
        .size:           8
        .value_kind:     global_buffer
      - .offset:         24
        .size:           4
        .value_kind:     by_value
      - .offset:         28
        .size:           4
        .value_kind:     by_value
      - .actual_access:  read_only
        .address_space:  global
        .offset:         32
        .size:           8
        .value_kind:     global_buffer
      - .actual_access:  read_only
        .address_space:  global
        .offset:         40
        .size:           8
        .value_kind:     global_buffer
      - .actual_access:  read_only
        .address_space:  global
        .offset:         48
        .size:           8
        .value_kind:     global_buffer
      - .offset:         56
        .size:           4
        .value_kind:     by_value
      - .actual_access:  read_only
        .address_space:  global
        .offset:         64
        .size:           8
        .value_kind:     global_buffer
      - .offset:         72
        .size:           4
        .value_kind:     by_value
      - .offset:         76
        .size:           4
        .value_kind:     by_value
      - .offset:         80
        .size:           4
        .value_kind:     by_value
      - .actual_access:  write_only
        .address_space:  global
        .offset:         88
        .size:           8
        .value_kind:     global_buffer
      - .actual_access:  write_only
        .address_space:  global
        .offset:         96
        .size:           8
        .value_kind:     global_buffer
      - .actual_access:  write_only
        .address_space:  global
        .offset:         104
        .size:           8
        .value_kind:     global_buffer
      - .actual_access:  read_only
        .address_space:  global
        .offset:         112
        .size:           8
        .value_kind:     global_buffer
      - .offset:         120
        .size:           4
        .value_kind:     by_value
      - .address_space:  global
        .offset:         128
        .size:           8
        .value_kind:     global_buffer
      - .address_space:  global
        .offset:         136
        .size:           8
        .value_kind:     global_buffer
      - .offset:         144
        .size:           4
        .value_kind:     hidden_block_count_x
      - .offset:         148
        .size:           4
        .value_kind:     hidden_block_count_y
      - .offset:         152
        .size:           4
        .value_kind:     hidden_block_count_z
      - .offset:         156
        .size:           2
        .value_kind:     hidden_group_size_x
      - .offset:         158
        .size:           2
        .value_kind:     hidden_group_size_y
      - .offset:         160
        .size:           2
        .value_kind:     hidden_group_size_z
      - .offset:         162
        .size:           2
        .value_kind:     hidden_remainder_x
      - .offset:         164
        .size:           2
        .value_kind:     hidden_remainder_y
      - .offset:         166
        .size:           2
        .value_kind:     hidden_remainder_z
      - .offset:         184
        .size:           8
        .value_kind:     hidden_global_offset_x
      - .offset:         192
        .size:           8
        .value_kind:     hidden_global_offset_y
      - .offset:         200
        .size:           8
        .value_kind:     hidden_global_offset_z
      - .offset:         208
        .size:           2
        .value_kind:     hidden_grid_dims
    .group_segment_fixed_size: 8192
    .kernarg_segment_align: 8
    .kernarg_segment_size: 400
    .language:       OpenCL C
    .language_version:
      - 2
      - 0
    .max_flat_workgroup_size: 256
    .name:           _Z39paged_attention_ll4mi_QKV_mfma16_kernelI14__hip_bfloat16hLN4vllm18Fp8KVCacheDataTypeE1ES0_Li16ELi128ELi256ELb1ELi12EEvPKT_PKT0_S8_ifPKiSA_SA_iPKfiiiPfSD_PS3_PT2_iSC_SC_
    .private_segment_fixed_size: 0
    .sgpr_count:     56
    .sgpr_spill_count: 0
    .symbol:         _Z39paged_attention_ll4mi_QKV_mfma16_kernelI14__hip_bfloat16hLN4vllm18Fp8KVCacheDataTypeE1ES0_Li16ELi128ELi256ELb1ELi12EEvPKT_PKT0_S8_ifPKiSA_SA_iPKfiiiPfSD_PS3_PT2_iSC_SC_.kd
    .uniform_work_group_size: 1
    .uses_dynamic_stack: false
    .vgpr_count:     76
    .vgpr_spill_count: 0
    .wavefront_size: 64
  - .agpr_count:     0
    .args:
      - .actual_access:  read_only
        .address_space:  global
        .offset:         0
        .size:           8
        .value_kind:     global_buffer
      - .actual_access:  read_only
        .address_space:  global
        .offset:         8
        .size:           8
        .value_kind:     global_buffer
      - .actual_access:  read_only
        .address_space:  global
        .offset:         16
        .size:           8
        .value_kind:     global_buffer
      - .offset:         24
        .size:           4
        .value_kind:     by_value
      - .offset:         28
        .size:           4
        .value_kind:     by_value
      - .actual_access:  read_only
        .address_space:  global
        .offset:         32
        .size:           8
        .value_kind:     global_buffer
      - .actual_access:  read_only
        .address_space:  global
        .offset:         40
        .size:           8
        .value_kind:     global_buffer
      - .actual_access:  read_only
        .address_space:  global
        .offset:         48
        .size:           8
        .value_kind:     global_buffer
      - .offset:         56
        .size:           4
        .value_kind:     by_value
      - .actual_access:  read_only
        .address_space:  global
        .offset:         64
        .size:           8
        .value_kind:     global_buffer
      - .offset:         72
        .size:           4
        .value_kind:     by_value
      - .offset:         76
        .size:           4
        .value_kind:     by_value
      - .offset:         80
        .size:           4
        .value_kind:     by_value
      - .actual_access:  write_only
        .address_space:  global
        .offset:         88
        .size:           8
        .value_kind:     global_buffer
      - .actual_access:  write_only
        .address_space:  global
        .offset:         96
        .size:           8
        .value_kind:     global_buffer
      - .actual_access:  write_only
        .address_space:  global
        .offset:         104
        .size:           8
        .value_kind:     global_buffer
      - .actual_access:  read_only
        .address_space:  global
        .offset:         112
        .size:           8
        .value_kind:     global_buffer
      - .offset:         120
        .size:           4
        .value_kind:     by_value
      - .address_space:  global
        .offset:         128
        .size:           8
        .value_kind:     global_buffer
      - .address_space:  global
        .offset:         136
        .size:           8
        .value_kind:     global_buffer
      - .offset:         144
        .size:           4
        .value_kind:     hidden_block_count_x
      - .offset:         148
        .size:           4
        .value_kind:     hidden_block_count_y
      - .offset:         152
        .size:           4
        .value_kind:     hidden_block_count_z
      - .offset:         156
        .size:           2
        .value_kind:     hidden_group_size_x
      - .offset:         158
        .size:           2
        .value_kind:     hidden_group_size_y
      - .offset:         160
        .size:           2
        .value_kind:     hidden_group_size_z
      - .offset:         162
        .size:           2
        .value_kind:     hidden_remainder_x
      - .offset:         164
        .size:           2
        .value_kind:     hidden_remainder_y
      - .offset:         166
        .size:           2
        .value_kind:     hidden_remainder_z
      - .offset:         184
        .size:           8
        .value_kind:     hidden_global_offset_x
      - .offset:         192
        .size:           8
        .value_kind:     hidden_global_offset_y
      - .offset:         200
        .size:           8
        .value_kind:     hidden_global_offset_z
      - .offset:         208
        .size:           2
        .value_kind:     hidden_grid_dims
    .group_segment_fixed_size: 8192
    .kernarg_segment_align: 8
    .kernarg_segment_size: 400
    .language:       OpenCL C
    .language_version:
      - 2
      - 0
    .max_flat_workgroup_size: 256
    .name:           _Z39paged_attention_ll4mi_QKV_mfma16_kernelI14__hip_bfloat16hLN4vllm18Fp8KVCacheDataTypeE1ES0_Li16ELi128ELi256ELb1ELi13EEvPKT_PKT0_S8_ifPKiSA_SA_iPKfiiiPfSD_PS3_PT2_iSC_SC_
    .private_segment_fixed_size: 0
    .sgpr_count:     56
    .sgpr_spill_count: 0
    .symbol:         _Z39paged_attention_ll4mi_QKV_mfma16_kernelI14__hip_bfloat16hLN4vllm18Fp8KVCacheDataTypeE1ES0_Li16ELi128ELi256ELb1ELi13EEvPKT_PKT0_S8_ifPKiSA_SA_iPKfiiiPfSD_PS3_PT2_iSC_SC_.kd
    .uniform_work_group_size: 1
    .uses_dynamic_stack: false
    .vgpr_count:     76
    .vgpr_spill_count: 0
    .wavefront_size: 64
  - .agpr_count:     0
    .args:
      - .actual_access:  read_only
        .address_space:  global
        .offset:         0
        .size:           8
        .value_kind:     global_buffer
      - .actual_access:  read_only
        .address_space:  global
        .offset:         8
        .size:           8
        .value_kind:     global_buffer
      - .actual_access:  read_only
        .address_space:  global
        .offset:         16
        .size:           8
        .value_kind:     global_buffer
      - .offset:         24
        .size:           4
        .value_kind:     by_value
      - .offset:         28
        .size:           4
        .value_kind:     by_value
      - .actual_access:  read_only
        .address_space:  global
        .offset:         32
        .size:           8
        .value_kind:     global_buffer
      - .actual_access:  read_only
        .address_space:  global
        .offset:         40
        .size:           8
        .value_kind:     global_buffer
      - .actual_access:  read_only
        .address_space:  global
        .offset:         48
        .size:           8
        .value_kind:     global_buffer
      - .offset:         56
        .size:           4
        .value_kind:     by_value
      - .actual_access:  read_only
        .address_space:  global
        .offset:         64
        .size:           8
        .value_kind:     global_buffer
      - .offset:         72
        .size:           4
        .value_kind:     by_value
      - .offset:         76
        .size:           4
        .value_kind:     by_value
      - .offset:         80
        .size:           4
        .value_kind:     by_value
      - .actual_access:  write_only
        .address_space:  global
        .offset:         88
        .size:           8
        .value_kind:     global_buffer
      - .actual_access:  write_only
        .address_space:  global
        .offset:         96
        .size:           8
        .value_kind:     global_buffer
      - .actual_access:  write_only
        .address_space:  global
        .offset:         104
        .size:           8
        .value_kind:     global_buffer
      - .actual_access:  read_only
        .address_space:  global
        .offset:         112
        .size:           8
        .value_kind:     global_buffer
      - .offset:         120
        .size:           4
        .value_kind:     by_value
      - .address_space:  global
        .offset:         128
        .size:           8
        .value_kind:     global_buffer
      - .address_space:  global
        .offset:         136
        .size:           8
        .value_kind:     global_buffer
      - .offset:         144
        .size:           4
        .value_kind:     hidden_block_count_x
      - .offset:         148
        .size:           4
        .value_kind:     hidden_block_count_y
      - .offset:         152
        .size:           4
        .value_kind:     hidden_block_count_z
      - .offset:         156
        .size:           2
        .value_kind:     hidden_group_size_x
      - .offset:         158
        .size:           2
        .value_kind:     hidden_group_size_y
      - .offset:         160
        .size:           2
        .value_kind:     hidden_group_size_z
      - .offset:         162
        .size:           2
        .value_kind:     hidden_remainder_x
      - .offset:         164
        .size:           2
        .value_kind:     hidden_remainder_y
      - .offset:         166
        .size:           2
        .value_kind:     hidden_remainder_z
      - .offset:         184
        .size:           8
        .value_kind:     hidden_global_offset_x
      - .offset:         192
        .size:           8
        .value_kind:     hidden_global_offset_y
      - .offset:         200
        .size:           8
        .value_kind:     hidden_global_offset_z
      - .offset:         208
        .size:           2
        .value_kind:     hidden_grid_dims
    .group_segment_fixed_size: 8192
    .kernarg_segment_align: 8
    .kernarg_segment_size: 400
    .language:       OpenCL C
    .language_version:
      - 2
      - 0
    .max_flat_workgroup_size: 256
    .name:           _Z39paged_attention_ll4mi_QKV_mfma16_kernelI14__hip_bfloat16hLN4vllm18Fp8KVCacheDataTypeE1ES0_Li16ELi128ELi256ELb1ELi14EEvPKT_PKT0_S8_ifPKiSA_SA_iPKfiiiPfSD_PS3_PT2_iSC_SC_
    .private_segment_fixed_size: 0
    .sgpr_count:     56
    .sgpr_spill_count: 0
    .symbol:         _Z39paged_attention_ll4mi_QKV_mfma16_kernelI14__hip_bfloat16hLN4vllm18Fp8KVCacheDataTypeE1ES0_Li16ELi128ELi256ELb1ELi14EEvPKT_PKT0_S8_ifPKiSA_SA_iPKfiiiPfSD_PS3_PT2_iSC_SC_.kd
    .uniform_work_group_size: 1
    .uses_dynamic_stack: false
    .vgpr_count:     76
    .vgpr_spill_count: 0
    .wavefront_size: 64
  - .agpr_count:     0
    .args:
      - .actual_access:  read_only
        .address_space:  global
        .offset:         0
        .size:           8
        .value_kind:     global_buffer
      - .actual_access:  read_only
        .address_space:  global
        .offset:         8
        .size:           8
        .value_kind:     global_buffer
      - .actual_access:  read_only
        .address_space:  global
        .offset:         16
        .size:           8
        .value_kind:     global_buffer
      - .offset:         24
        .size:           4
        .value_kind:     by_value
      - .offset:         28
        .size:           4
        .value_kind:     by_value
      - .actual_access:  read_only
        .address_space:  global
        .offset:         32
        .size:           8
        .value_kind:     global_buffer
      - .actual_access:  read_only
        .address_space:  global
        .offset:         40
        .size:           8
        .value_kind:     global_buffer
      - .actual_access:  read_only
        .address_space:  global
        .offset:         48
        .size:           8
        .value_kind:     global_buffer
      - .offset:         56
        .size:           4
        .value_kind:     by_value
      - .actual_access:  read_only
        .address_space:  global
        .offset:         64
        .size:           8
        .value_kind:     global_buffer
      - .offset:         72
        .size:           4
        .value_kind:     by_value
      - .offset:         76
        .size:           4
        .value_kind:     by_value
      - .offset:         80
        .size:           4
        .value_kind:     by_value
      - .actual_access:  write_only
        .address_space:  global
        .offset:         88
        .size:           8
        .value_kind:     global_buffer
      - .actual_access:  write_only
        .address_space:  global
        .offset:         96
        .size:           8
        .value_kind:     global_buffer
      - .actual_access:  write_only
        .address_space:  global
        .offset:         104
        .size:           8
        .value_kind:     global_buffer
      - .actual_access:  read_only
        .address_space:  global
        .offset:         112
        .size:           8
        .value_kind:     global_buffer
      - .offset:         120
        .size:           4
        .value_kind:     by_value
      - .address_space:  global
        .offset:         128
        .size:           8
        .value_kind:     global_buffer
      - .address_space:  global
        .offset:         136
        .size:           8
        .value_kind:     global_buffer
      - .offset:         144
        .size:           4
        .value_kind:     hidden_block_count_x
      - .offset:         148
        .size:           4
        .value_kind:     hidden_block_count_y
      - .offset:         152
        .size:           4
        .value_kind:     hidden_block_count_z
      - .offset:         156
        .size:           2
        .value_kind:     hidden_group_size_x
      - .offset:         158
        .size:           2
        .value_kind:     hidden_group_size_y
      - .offset:         160
        .size:           2
        .value_kind:     hidden_group_size_z
      - .offset:         162
        .size:           2
        .value_kind:     hidden_remainder_x
      - .offset:         164
        .size:           2
        .value_kind:     hidden_remainder_y
      - .offset:         166
        .size:           2
        .value_kind:     hidden_remainder_z
      - .offset:         184
        .size:           8
        .value_kind:     hidden_global_offset_x
      - .offset:         192
        .size:           8
        .value_kind:     hidden_global_offset_y
      - .offset:         200
        .size:           8
        .value_kind:     hidden_global_offset_z
      - .offset:         208
        .size:           2
        .value_kind:     hidden_grid_dims
    .group_segment_fixed_size: 8192
    .kernarg_segment_align: 8
    .kernarg_segment_size: 400
    .language:       OpenCL C
    .language_version:
      - 2
      - 0
    .max_flat_workgroup_size: 256
    .name:           _Z39paged_attention_ll4mi_QKV_mfma16_kernelI14__hip_bfloat16hLN4vllm18Fp8KVCacheDataTypeE1ES0_Li16ELi128ELi256ELb1ELi15EEvPKT_PKT0_S8_ifPKiSA_SA_iPKfiiiPfSD_PS3_PT2_iSC_SC_
    .private_segment_fixed_size: 0
    .sgpr_count:     56
    .sgpr_spill_count: 0
    .symbol:         _Z39paged_attention_ll4mi_QKV_mfma16_kernelI14__hip_bfloat16hLN4vllm18Fp8KVCacheDataTypeE1ES0_Li16ELi128ELi256ELb1ELi15EEvPKT_PKT0_S8_ifPKiSA_SA_iPKfiiiPfSD_PS3_PT2_iSC_SC_.kd
    .uniform_work_group_size: 1
    .uses_dynamic_stack: false
    .vgpr_count:     76
    .vgpr_spill_count: 0
    .wavefront_size: 64
  - .agpr_count:     0
    .args:
      - .actual_access:  read_only
        .address_space:  global
        .offset:         0
        .size:           8
        .value_kind:     global_buffer
      - .actual_access:  read_only
        .address_space:  global
        .offset:         8
        .size:           8
        .value_kind:     global_buffer
      - .actual_access:  read_only
        .address_space:  global
        .offset:         16
        .size:           8
        .value_kind:     global_buffer
      - .offset:         24
        .size:           4
        .value_kind:     by_value
      - .offset:         28
        .size:           4
        .value_kind:     by_value
      - .actual_access:  read_only
        .address_space:  global
        .offset:         32
        .size:           8
        .value_kind:     global_buffer
      - .actual_access:  read_only
        .address_space:  global
        .offset:         40
        .size:           8
        .value_kind:     global_buffer
      - .actual_access:  read_only
        .address_space:  global
        .offset:         48
        .size:           8
        .value_kind:     global_buffer
      - .offset:         56
        .size:           4
        .value_kind:     by_value
      - .actual_access:  read_only
        .address_space:  global
        .offset:         64
        .size:           8
        .value_kind:     global_buffer
      - .offset:         72
        .size:           4
        .value_kind:     by_value
      - .offset:         76
        .size:           4
        .value_kind:     by_value
      - .offset:         80
        .size:           4
        .value_kind:     by_value
      - .actual_access:  write_only
        .address_space:  global
        .offset:         88
        .size:           8
        .value_kind:     global_buffer
      - .actual_access:  write_only
        .address_space:  global
        .offset:         96
        .size:           8
        .value_kind:     global_buffer
      - .actual_access:  write_only
        .address_space:  global
        .offset:         104
        .size:           8
        .value_kind:     global_buffer
      - .actual_access:  read_only
        .address_space:  global
        .offset:         112
        .size:           8
        .value_kind:     global_buffer
      - .offset:         120
        .size:           4
        .value_kind:     by_value
      - .address_space:  global
        .offset:         128
        .size:           8
        .value_kind:     global_buffer
      - .address_space:  global
        .offset:         136
        .size:           8
        .value_kind:     global_buffer
      - .offset:         144
        .size:           4
        .value_kind:     hidden_block_count_x
      - .offset:         148
        .size:           4
        .value_kind:     hidden_block_count_y
      - .offset:         152
        .size:           4
        .value_kind:     hidden_block_count_z
      - .offset:         156
        .size:           2
        .value_kind:     hidden_group_size_x
      - .offset:         158
        .size:           2
        .value_kind:     hidden_group_size_y
      - .offset:         160
        .size:           2
        .value_kind:     hidden_group_size_z
      - .offset:         162
        .size:           2
        .value_kind:     hidden_remainder_x
      - .offset:         164
        .size:           2
        .value_kind:     hidden_remainder_y
      - .offset:         166
        .size:           2
        .value_kind:     hidden_remainder_z
      - .offset:         184
        .size:           8
        .value_kind:     hidden_global_offset_x
      - .offset:         192
        .size:           8
        .value_kind:     hidden_global_offset_y
      - .offset:         200
        .size:           8
        .value_kind:     hidden_global_offset_z
      - .offset:         208
        .size:           2
        .value_kind:     hidden_grid_dims
    .group_segment_fixed_size: 8192
    .kernarg_segment_align: 8
    .kernarg_segment_size: 400
    .language:       OpenCL C
    .language_version:
      - 2
      - 0
    .max_flat_workgroup_size: 256
    .name:           _Z39paged_attention_ll4mi_QKV_mfma16_kernelI14__hip_bfloat16hLN4vllm18Fp8KVCacheDataTypeE1ES0_Li16ELi128ELi256ELb1ELi16EEvPKT_PKT0_S8_ifPKiSA_SA_iPKfiiiPfSD_PS3_PT2_iSC_SC_
    .private_segment_fixed_size: 0
    .sgpr_count:     54
    .sgpr_spill_count: 0
    .symbol:         _Z39paged_attention_ll4mi_QKV_mfma16_kernelI14__hip_bfloat16hLN4vllm18Fp8KVCacheDataTypeE1ES0_Li16ELi128ELi256ELb1ELi16EEvPKT_PKT0_S8_ifPKiSA_SA_iPKfiiiPfSD_PS3_PT2_iSC_SC_.kd
    .uniform_work_group_size: 1
    .uses_dynamic_stack: false
    .vgpr_count:     94
    .vgpr_spill_count: 0
    .wavefront_size: 64
  - .agpr_count:     0
    .args:
      - .actual_access:  read_only
        .address_space:  global
        .offset:         0
        .size:           8
        .value_kind:     global_buffer
      - .actual_access:  read_only
        .address_space:  global
        .offset:         8
        .size:           8
        .value_kind:     global_buffer
      - .actual_access:  read_only
        .address_space:  global
        .offset:         16
        .size:           8
        .value_kind:     global_buffer
      - .offset:         24
        .size:           4
        .value_kind:     by_value
      - .offset:         28
        .size:           4
        .value_kind:     by_value
      - .actual_access:  read_only
        .address_space:  global
        .offset:         32
        .size:           8
        .value_kind:     global_buffer
      - .actual_access:  read_only
        .address_space:  global
        .offset:         40
        .size:           8
        .value_kind:     global_buffer
      - .actual_access:  read_only
        .address_space:  global
        .offset:         48
        .size:           8
        .value_kind:     global_buffer
      - .offset:         56
        .size:           4
        .value_kind:     by_value
      - .actual_access:  read_only
        .address_space:  global
        .offset:         64
        .size:           8
        .value_kind:     global_buffer
      - .offset:         72
        .size:           4
        .value_kind:     by_value
      - .offset:         76
        .size:           4
        .value_kind:     by_value
      - .offset:         80
        .size:           4
        .value_kind:     by_value
      - .actual_access:  write_only
        .address_space:  global
        .offset:         88
        .size:           8
        .value_kind:     global_buffer
      - .actual_access:  write_only
        .address_space:  global
        .offset:         96
        .size:           8
        .value_kind:     global_buffer
      - .actual_access:  write_only
        .address_space:  global
        .offset:         104
        .size:           8
        .value_kind:     global_buffer
      - .actual_access:  read_only
        .address_space:  global
        .offset:         112
        .size:           8
        .value_kind:     global_buffer
      - .offset:         120
        .size:           4
        .value_kind:     by_value
      - .address_space:  global
        .offset:         128
        .size:           8
        .value_kind:     global_buffer
      - .address_space:  global
        .offset:         136
        .size:           8
        .value_kind:     global_buffer
      - .offset:         144
        .size:           4
        .value_kind:     hidden_block_count_x
      - .offset:         148
        .size:           4
        .value_kind:     hidden_block_count_y
      - .offset:         152
        .size:           4
        .value_kind:     hidden_block_count_z
      - .offset:         156
        .size:           2
        .value_kind:     hidden_group_size_x
      - .offset:         158
        .size:           2
        .value_kind:     hidden_group_size_y
      - .offset:         160
        .size:           2
        .value_kind:     hidden_group_size_z
      - .offset:         162
        .size:           2
        .value_kind:     hidden_remainder_x
      - .offset:         164
        .size:           2
        .value_kind:     hidden_remainder_y
      - .offset:         166
        .size:           2
        .value_kind:     hidden_remainder_z
      - .offset:         184
        .size:           8
        .value_kind:     hidden_global_offset_x
      - .offset:         192
        .size:           8
        .value_kind:     hidden_global_offset_y
      - .offset:         200
        .size:           8
        .value_kind:     hidden_global_offset_z
      - .offset:         208
        .size:           2
        .value_kind:     hidden_grid_dims
    .group_segment_fixed_size: 8192
    .kernarg_segment_align: 8
    .kernarg_segment_size: 400
    .language:       OpenCL C
    .language_version:
      - 2
      - 0
    .max_flat_workgroup_size: 256
    .name:           _Z39paged_attention_ll4mi_QKV_mfma16_kernelI14__hip_bfloat16hLN4vllm18Fp8KVCacheDataTypeE1ES0_Li16ELi128ELi256ELb1ELi1EEvPKT_PKT0_S8_ifPKiSA_SA_iPKfiiiPfSD_PS3_PT2_iSC_SC_
    .private_segment_fixed_size: 0
    .sgpr_count:     54
    .sgpr_spill_count: 0
    .symbol:         _Z39paged_attention_ll4mi_QKV_mfma16_kernelI14__hip_bfloat16hLN4vllm18Fp8KVCacheDataTypeE1ES0_Li16ELi128ELi256ELb1ELi1EEvPKT_PKT0_S8_ifPKiSA_SA_iPKfiiiPfSD_PS3_PT2_iSC_SC_.kd
    .uniform_work_group_size: 1
    .uses_dynamic_stack: false
    .vgpr_count:     80
    .vgpr_spill_count: 0
    .wavefront_size: 64
  - .agpr_count:     0
    .args:
      - .actual_access:  read_only
        .address_space:  global
        .offset:         0
        .size:           8
        .value_kind:     global_buffer
      - .actual_access:  read_only
        .address_space:  global
        .offset:         8
        .size:           8
        .value_kind:     global_buffer
      - .actual_access:  read_only
        .address_space:  global
        .offset:         16
        .size:           8
        .value_kind:     global_buffer
      - .offset:         24
        .size:           4
        .value_kind:     by_value
      - .offset:         28
        .size:           4
        .value_kind:     by_value
      - .actual_access:  read_only
        .address_space:  global
        .offset:         32
        .size:           8
        .value_kind:     global_buffer
      - .actual_access:  read_only
        .address_space:  global
        .offset:         40
        .size:           8
        .value_kind:     global_buffer
      - .actual_access:  read_only
        .address_space:  global
        .offset:         48
        .size:           8
        .value_kind:     global_buffer
      - .offset:         56
        .size:           4
        .value_kind:     by_value
      - .actual_access:  read_only
        .address_space:  global
        .offset:         64
        .size:           8
        .value_kind:     global_buffer
      - .offset:         72
        .size:           4
        .value_kind:     by_value
      - .offset:         76
        .size:           4
        .value_kind:     by_value
      - .offset:         80
        .size:           4
        .value_kind:     by_value
      - .actual_access:  write_only
        .address_space:  global
        .offset:         88
        .size:           8
        .value_kind:     global_buffer
      - .actual_access:  write_only
        .address_space:  global
        .offset:         96
        .size:           8
        .value_kind:     global_buffer
      - .actual_access:  write_only
        .address_space:  global
        .offset:         104
        .size:           8
        .value_kind:     global_buffer
      - .actual_access:  read_only
        .address_space:  global
        .offset:         112
        .size:           8
        .value_kind:     global_buffer
      - .offset:         120
        .size:           4
        .value_kind:     by_value
      - .address_space:  global
        .offset:         128
        .size:           8
        .value_kind:     global_buffer
      - .address_space:  global
        .offset:         136
        .size:           8
        .value_kind:     global_buffer
      - .offset:         144
        .size:           4
        .value_kind:     hidden_block_count_x
      - .offset:         148
        .size:           4
        .value_kind:     hidden_block_count_y
      - .offset:         152
        .size:           4
        .value_kind:     hidden_block_count_z
      - .offset:         156
        .size:           2
        .value_kind:     hidden_group_size_x
      - .offset:         158
        .size:           2
        .value_kind:     hidden_group_size_y
      - .offset:         160
        .size:           2
        .value_kind:     hidden_group_size_z
      - .offset:         162
        .size:           2
        .value_kind:     hidden_remainder_x
      - .offset:         164
        .size:           2
        .value_kind:     hidden_remainder_y
      - .offset:         166
        .size:           2
        .value_kind:     hidden_remainder_z
      - .offset:         184
        .size:           8
        .value_kind:     hidden_global_offset_x
      - .offset:         192
        .size:           8
        .value_kind:     hidden_global_offset_y
      - .offset:         200
        .size:           8
        .value_kind:     hidden_global_offset_z
      - .offset:         208
        .size:           2
        .value_kind:     hidden_grid_dims
    .group_segment_fixed_size: 8192
    .kernarg_segment_align: 8
    .kernarg_segment_size: 400
    .language:       OpenCL C
    .language_version:
      - 2
      - 0
    .max_flat_workgroup_size: 256
    .name:           _Z39paged_attention_ll4mi_QKV_mfma16_kernelI14__hip_bfloat16hLN4vllm18Fp8KVCacheDataTypeE1ES0_Li16ELi128ELi256ELb1ELi2EEvPKT_PKT0_S8_ifPKiSA_SA_iPKfiiiPfSD_PS3_PT2_iSC_SC_
    .private_segment_fixed_size: 0
    .sgpr_count:     54
    .sgpr_spill_count: 0
    .symbol:         _Z39paged_attention_ll4mi_QKV_mfma16_kernelI14__hip_bfloat16hLN4vllm18Fp8KVCacheDataTypeE1ES0_Li16ELi128ELi256ELb1ELi2EEvPKT_PKT0_S8_ifPKiSA_SA_iPKfiiiPfSD_PS3_PT2_iSC_SC_.kd
    .uniform_work_group_size: 1
    .uses_dynamic_stack: false
    .vgpr_count:     80
    .vgpr_spill_count: 0
    .wavefront_size: 64
  - .agpr_count:     0
    .args:
      - .actual_access:  read_only
        .address_space:  global
        .offset:         0
        .size:           8
        .value_kind:     global_buffer
      - .actual_access:  read_only
        .address_space:  global
        .offset:         8
        .size:           8
        .value_kind:     global_buffer
      - .actual_access:  read_only
        .address_space:  global
        .offset:         16
        .size:           8
        .value_kind:     global_buffer
      - .offset:         24
        .size:           4
        .value_kind:     by_value
      - .offset:         28
        .size:           4
        .value_kind:     by_value
      - .actual_access:  read_only
        .address_space:  global
        .offset:         32
        .size:           8
        .value_kind:     global_buffer
      - .actual_access:  read_only
        .address_space:  global
        .offset:         40
        .size:           8
        .value_kind:     global_buffer
      - .actual_access:  read_only
        .address_space:  global
        .offset:         48
        .size:           8
        .value_kind:     global_buffer
      - .offset:         56
        .size:           4
        .value_kind:     by_value
      - .actual_access:  read_only
        .address_space:  global
        .offset:         64
        .size:           8
        .value_kind:     global_buffer
      - .offset:         72
        .size:           4
        .value_kind:     by_value
      - .offset:         76
        .size:           4
        .value_kind:     by_value
      - .offset:         80
        .size:           4
        .value_kind:     by_value
      - .actual_access:  write_only
        .address_space:  global
        .offset:         88
        .size:           8
        .value_kind:     global_buffer
      - .actual_access:  write_only
        .address_space:  global
        .offset:         96
        .size:           8
        .value_kind:     global_buffer
      - .actual_access:  write_only
        .address_space:  global
        .offset:         104
        .size:           8
        .value_kind:     global_buffer
      - .actual_access:  read_only
        .address_space:  global
        .offset:         112
        .size:           8
        .value_kind:     global_buffer
      - .offset:         120
        .size:           4
        .value_kind:     by_value
      - .address_space:  global
        .offset:         128
        .size:           8
        .value_kind:     global_buffer
      - .address_space:  global
        .offset:         136
        .size:           8
        .value_kind:     global_buffer
      - .offset:         144
        .size:           4
        .value_kind:     hidden_block_count_x
      - .offset:         148
        .size:           4
        .value_kind:     hidden_block_count_y
      - .offset:         152
        .size:           4
        .value_kind:     hidden_block_count_z
      - .offset:         156
        .size:           2
        .value_kind:     hidden_group_size_x
      - .offset:         158
        .size:           2
        .value_kind:     hidden_group_size_y
      - .offset:         160
        .size:           2
        .value_kind:     hidden_group_size_z
      - .offset:         162
        .size:           2
        .value_kind:     hidden_remainder_x
      - .offset:         164
        .size:           2
        .value_kind:     hidden_remainder_y
      - .offset:         166
        .size:           2
        .value_kind:     hidden_remainder_z
      - .offset:         184
        .size:           8
        .value_kind:     hidden_global_offset_x
      - .offset:         192
        .size:           8
        .value_kind:     hidden_global_offset_y
      - .offset:         200
        .size:           8
        .value_kind:     hidden_global_offset_z
      - .offset:         208
        .size:           2
        .value_kind:     hidden_grid_dims
    .group_segment_fixed_size: 8192
    .kernarg_segment_align: 8
    .kernarg_segment_size: 400
    .language:       OpenCL C
    .language_version:
      - 2
      - 0
    .max_flat_workgroup_size: 256
    .name:           _Z39paged_attention_ll4mi_QKV_mfma16_kernelI14__hip_bfloat16hLN4vllm18Fp8KVCacheDataTypeE1ES0_Li16ELi128ELi256ELb1ELi3EEvPKT_PKT0_S8_ifPKiSA_SA_iPKfiiiPfSD_PS3_PT2_iSC_SC_
    .private_segment_fixed_size: 0
    .sgpr_count:     56
    .sgpr_spill_count: 0
    .symbol:         _Z39paged_attention_ll4mi_QKV_mfma16_kernelI14__hip_bfloat16hLN4vllm18Fp8KVCacheDataTypeE1ES0_Li16ELi128ELi256ELb1ELi3EEvPKT_PKT0_S8_ifPKiSA_SA_iPKfiiiPfSD_PS3_PT2_iSC_SC_.kd
    .uniform_work_group_size: 1
    .uses_dynamic_stack: false
    .vgpr_count:     77
    .vgpr_spill_count: 0
    .wavefront_size: 64
  - .agpr_count:     0
    .args:
      - .actual_access:  read_only
        .address_space:  global
        .offset:         0
        .size:           8
        .value_kind:     global_buffer
      - .actual_access:  read_only
        .address_space:  global
        .offset:         8
        .size:           8
        .value_kind:     global_buffer
      - .actual_access:  read_only
        .address_space:  global
        .offset:         16
        .size:           8
        .value_kind:     global_buffer
      - .offset:         24
        .size:           4
        .value_kind:     by_value
      - .offset:         28
        .size:           4
        .value_kind:     by_value
      - .actual_access:  read_only
        .address_space:  global
        .offset:         32
        .size:           8
        .value_kind:     global_buffer
      - .actual_access:  read_only
        .address_space:  global
        .offset:         40
        .size:           8
        .value_kind:     global_buffer
      - .actual_access:  read_only
        .address_space:  global
        .offset:         48
        .size:           8
        .value_kind:     global_buffer
      - .offset:         56
        .size:           4
        .value_kind:     by_value
      - .actual_access:  read_only
        .address_space:  global
        .offset:         64
        .size:           8
        .value_kind:     global_buffer
      - .offset:         72
        .size:           4
        .value_kind:     by_value
      - .offset:         76
        .size:           4
        .value_kind:     by_value
      - .offset:         80
        .size:           4
        .value_kind:     by_value
      - .actual_access:  write_only
        .address_space:  global
        .offset:         88
        .size:           8
        .value_kind:     global_buffer
      - .actual_access:  write_only
        .address_space:  global
        .offset:         96
        .size:           8
        .value_kind:     global_buffer
      - .actual_access:  write_only
        .address_space:  global
        .offset:         104
        .size:           8
        .value_kind:     global_buffer
      - .actual_access:  read_only
        .address_space:  global
        .offset:         112
        .size:           8
        .value_kind:     global_buffer
      - .offset:         120
        .size:           4
        .value_kind:     by_value
      - .address_space:  global
        .offset:         128
        .size:           8
        .value_kind:     global_buffer
      - .address_space:  global
        .offset:         136
        .size:           8
        .value_kind:     global_buffer
      - .offset:         144
        .size:           4
        .value_kind:     hidden_block_count_x
      - .offset:         148
        .size:           4
        .value_kind:     hidden_block_count_y
      - .offset:         152
        .size:           4
        .value_kind:     hidden_block_count_z
      - .offset:         156
        .size:           2
        .value_kind:     hidden_group_size_x
      - .offset:         158
        .size:           2
        .value_kind:     hidden_group_size_y
      - .offset:         160
        .size:           2
        .value_kind:     hidden_group_size_z
      - .offset:         162
        .size:           2
        .value_kind:     hidden_remainder_x
      - .offset:         164
        .size:           2
        .value_kind:     hidden_remainder_y
      - .offset:         166
        .size:           2
        .value_kind:     hidden_remainder_z
      - .offset:         184
        .size:           8
        .value_kind:     hidden_global_offset_x
      - .offset:         192
        .size:           8
        .value_kind:     hidden_global_offset_y
      - .offset:         200
        .size:           8
        .value_kind:     hidden_global_offset_z
      - .offset:         208
        .size:           2
        .value_kind:     hidden_grid_dims
    .group_segment_fixed_size: 8192
    .kernarg_segment_align: 8
    .kernarg_segment_size: 400
    .language:       OpenCL C
    .language_version:
      - 2
      - 0
    .max_flat_workgroup_size: 256
    .name:           _Z39paged_attention_ll4mi_QKV_mfma16_kernelI14__hip_bfloat16hLN4vllm18Fp8KVCacheDataTypeE1ES0_Li16ELi128ELi256ELb1ELi4EEvPKT_PKT0_S8_ifPKiSA_SA_iPKfiiiPfSD_PS3_PT2_iSC_SC_
    .private_segment_fixed_size: 0
    .sgpr_count:     54
    .sgpr_spill_count: 0
    .symbol:         _Z39paged_attention_ll4mi_QKV_mfma16_kernelI14__hip_bfloat16hLN4vllm18Fp8KVCacheDataTypeE1ES0_Li16ELi128ELi256ELb1ELi4EEvPKT_PKT0_S8_ifPKiSA_SA_iPKfiiiPfSD_PS3_PT2_iSC_SC_.kd
    .uniform_work_group_size: 1
    .uses_dynamic_stack: false
    .vgpr_count:     82
    .vgpr_spill_count: 0
    .wavefront_size: 64
  - .agpr_count:     4
    .args:
      - .actual_access:  read_only
        .address_space:  global
        .offset:         0
        .size:           8
        .value_kind:     global_buffer
      - .actual_access:  read_only
        .address_space:  global
        .offset:         8
        .size:           8
        .value_kind:     global_buffer
      - .actual_access:  read_only
        .address_space:  global
        .offset:         16
        .size:           8
        .value_kind:     global_buffer
      - .offset:         24
        .size:           4
        .value_kind:     by_value
      - .offset:         28
        .size:           4
        .value_kind:     by_value
      - .actual_access:  read_only
        .address_space:  global
        .offset:         32
        .size:           8
        .value_kind:     global_buffer
      - .actual_access:  read_only
        .address_space:  global
        .offset:         40
        .size:           8
        .value_kind:     global_buffer
      - .actual_access:  read_only
        .address_space:  global
        .offset:         48
        .size:           8
        .value_kind:     global_buffer
      - .offset:         56
        .size:           4
        .value_kind:     by_value
      - .actual_access:  read_only
        .address_space:  global
        .offset:         64
        .size:           8
        .value_kind:     global_buffer
      - .offset:         72
        .size:           4
        .value_kind:     by_value
      - .offset:         76
        .size:           4
        .value_kind:     by_value
      - .offset:         80
        .size:           4
        .value_kind:     by_value
      - .actual_access:  write_only
        .address_space:  global
        .offset:         88
        .size:           8
        .value_kind:     global_buffer
      - .actual_access:  write_only
        .address_space:  global
        .offset:         96
        .size:           8
        .value_kind:     global_buffer
      - .actual_access:  write_only
        .address_space:  global
        .offset:         104
        .size:           8
        .value_kind:     global_buffer
      - .actual_access:  read_only
        .address_space:  global
        .offset:         112
        .size:           8
        .value_kind:     global_buffer
      - .offset:         120
        .size:           4
        .value_kind:     by_value
      - .address_space:  global
        .offset:         128
        .size:           8
        .value_kind:     global_buffer
      - .address_space:  global
        .offset:         136
        .size:           8
        .value_kind:     global_buffer
      - .offset:         144
        .size:           4
        .value_kind:     hidden_block_count_x
      - .offset:         148
        .size:           4
        .value_kind:     hidden_block_count_y
      - .offset:         152
        .size:           4
        .value_kind:     hidden_block_count_z
      - .offset:         156
        .size:           2
        .value_kind:     hidden_group_size_x
      - .offset:         158
        .size:           2
        .value_kind:     hidden_group_size_y
      - .offset:         160
        .size:           2
        .value_kind:     hidden_group_size_z
      - .offset:         162
        .size:           2
        .value_kind:     hidden_remainder_x
      - .offset:         164
        .size:           2
        .value_kind:     hidden_remainder_y
      - .offset:         166
        .size:           2
        .value_kind:     hidden_remainder_z
      - .offset:         184
        .size:           8
        .value_kind:     hidden_global_offset_x
      - .offset:         192
        .size:           8
        .value_kind:     hidden_global_offset_y
      - .offset:         200
        .size:           8
        .value_kind:     hidden_global_offset_z
      - .offset:         208
        .size:           2
        .value_kind:     hidden_grid_dims
    .group_segment_fixed_size: 5280
    .kernarg_segment_align: 8
    .kernarg_segment_size: 400
    .language:       OpenCL C
    .language_version:
      - 2
      - 0
    .max_flat_workgroup_size: 256
    .name:           _Z38paged_attention_ll4mi_QKV_mfma4_kernelI14__hip_bfloat16hLN4vllm18Fp8KVCacheDataTypeE1ES0_Li16ELi128ELi256ELb0ELi1EEvPKT_PKT0_S8_ifPKiSA_SA_iPKfiiiPfSD_PS3_PT2_iSC_SC_
    .private_segment_fixed_size: 0
    .sgpr_count:     48
    .sgpr_spill_count: 0
    .symbol:         _Z38paged_attention_ll4mi_QKV_mfma4_kernelI14__hip_bfloat16hLN4vllm18Fp8KVCacheDataTypeE1ES0_Li16ELi128ELi256ELb0ELi1EEvPKT_PKT0_S8_ifPKiSA_SA_iPKfiiiPfSD_PS3_PT2_iSC_SC_.kd
    .uniform_work_group_size: 1
    .uses_dynamic_stack: false
    .vgpr_count:     68
    .vgpr_spill_count: 0
    .wavefront_size: 64
  - .agpr_count:     4
    .args:
      - .actual_access:  read_only
        .address_space:  global
        .offset:         0
        .size:           8
        .value_kind:     global_buffer
      - .actual_access:  read_only
        .address_space:  global
        .offset:         8
        .size:           8
        .value_kind:     global_buffer
      - .actual_access:  read_only
        .address_space:  global
        .offset:         16
        .size:           8
        .value_kind:     global_buffer
      - .offset:         24
        .size:           4
        .value_kind:     by_value
      - .offset:         28
        .size:           4
        .value_kind:     by_value
      - .actual_access:  read_only
        .address_space:  global
        .offset:         32
        .size:           8
        .value_kind:     global_buffer
      - .actual_access:  read_only
        .address_space:  global
        .offset:         40
        .size:           8
        .value_kind:     global_buffer
      - .actual_access:  read_only
        .address_space:  global
        .offset:         48
        .size:           8
        .value_kind:     global_buffer
      - .offset:         56
        .size:           4
        .value_kind:     by_value
      - .actual_access:  read_only
        .address_space:  global
        .offset:         64
        .size:           8
        .value_kind:     global_buffer
      - .offset:         72
        .size:           4
        .value_kind:     by_value
      - .offset:         76
        .size:           4
        .value_kind:     by_value
      - .offset:         80
        .size:           4
        .value_kind:     by_value
      - .actual_access:  write_only
        .address_space:  global
        .offset:         88
        .size:           8
        .value_kind:     global_buffer
      - .actual_access:  write_only
        .address_space:  global
        .offset:         96
        .size:           8
        .value_kind:     global_buffer
      - .actual_access:  write_only
        .address_space:  global
        .offset:         104
        .size:           8
        .value_kind:     global_buffer
      - .actual_access:  read_only
        .address_space:  global
        .offset:         112
        .size:           8
        .value_kind:     global_buffer
      - .offset:         120
        .size:           4
        .value_kind:     by_value
      - .address_space:  global
        .offset:         128
        .size:           8
        .value_kind:     global_buffer
      - .address_space:  global
        .offset:         136
        .size:           8
        .value_kind:     global_buffer
      - .offset:         144
        .size:           4
        .value_kind:     hidden_block_count_x
      - .offset:         148
        .size:           4
        .value_kind:     hidden_block_count_y
      - .offset:         152
        .size:           4
        .value_kind:     hidden_block_count_z
      - .offset:         156
        .size:           2
        .value_kind:     hidden_group_size_x
      - .offset:         158
        .size:           2
        .value_kind:     hidden_group_size_y
      - .offset:         160
        .size:           2
        .value_kind:     hidden_group_size_z
      - .offset:         162
        .size:           2
        .value_kind:     hidden_remainder_x
      - .offset:         164
        .size:           2
        .value_kind:     hidden_remainder_y
      - .offset:         166
        .size:           2
        .value_kind:     hidden_remainder_z
      - .offset:         184
        .size:           8
        .value_kind:     hidden_global_offset_x
      - .offset:         192
        .size:           8
        .value_kind:     hidden_global_offset_y
      - .offset:         200
        .size:           8
        .value_kind:     hidden_global_offset_z
      - .offset:         208
        .size:           2
        .value_kind:     hidden_grid_dims
    .group_segment_fixed_size: 5280
    .kernarg_segment_align: 8
    .kernarg_segment_size: 400
    .language:       OpenCL C
    .language_version:
      - 2
      - 0
    .max_flat_workgroup_size: 256
    .name:           _Z38paged_attention_ll4mi_QKV_mfma4_kernelI14__hip_bfloat16hLN4vllm18Fp8KVCacheDataTypeE1ES0_Li16ELi128ELi256ELb0ELi2EEvPKT_PKT0_S8_ifPKiSA_SA_iPKfiiiPfSD_PS3_PT2_iSC_SC_
    .private_segment_fixed_size: 0
    .sgpr_count:     48
    .sgpr_spill_count: 0
    .symbol:         _Z38paged_attention_ll4mi_QKV_mfma4_kernelI14__hip_bfloat16hLN4vllm18Fp8KVCacheDataTypeE1ES0_Li16ELi128ELi256ELb0ELi2EEvPKT_PKT0_S8_ifPKiSA_SA_iPKfiiiPfSD_PS3_PT2_iSC_SC_.kd
    .uniform_work_group_size: 1
    .uses_dynamic_stack: false
    .vgpr_count:     64
    .vgpr_spill_count: 0
    .wavefront_size: 64
  - .agpr_count:     4
    .args:
      - .actual_access:  read_only
        .address_space:  global
        .offset:         0
        .size:           8
        .value_kind:     global_buffer
      - .actual_access:  read_only
        .address_space:  global
        .offset:         8
        .size:           8
        .value_kind:     global_buffer
      - .actual_access:  read_only
        .address_space:  global
        .offset:         16
        .size:           8
        .value_kind:     global_buffer
      - .offset:         24
        .size:           4
        .value_kind:     by_value
      - .offset:         28
        .size:           4
        .value_kind:     by_value
      - .actual_access:  read_only
        .address_space:  global
        .offset:         32
        .size:           8
        .value_kind:     global_buffer
      - .actual_access:  read_only
        .address_space:  global
        .offset:         40
        .size:           8
        .value_kind:     global_buffer
      - .actual_access:  read_only
        .address_space:  global
        .offset:         48
        .size:           8
        .value_kind:     global_buffer
      - .offset:         56
        .size:           4
        .value_kind:     by_value
      - .actual_access:  read_only
        .address_space:  global
        .offset:         64
        .size:           8
        .value_kind:     global_buffer
      - .offset:         72
        .size:           4
        .value_kind:     by_value
      - .offset:         76
        .size:           4
        .value_kind:     by_value
      - .offset:         80
        .size:           4
        .value_kind:     by_value
      - .actual_access:  write_only
        .address_space:  global
        .offset:         88
        .size:           8
        .value_kind:     global_buffer
      - .actual_access:  write_only
        .address_space:  global
        .offset:         96
        .size:           8
        .value_kind:     global_buffer
      - .actual_access:  write_only
        .address_space:  global
        .offset:         104
        .size:           8
        .value_kind:     global_buffer
      - .actual_access:  read_only
        .address_space:  global
        .offset:         112
        .size:           8
        .value_kind:     global_buffer
      - .offset:         120
        .size:           4
        .value_kind:     by_value
      - .address_space:  global
        .offset:         128
        .size:           8
        .value_kind:     global_buffer
      - .address_space:  global
        .offset:         136
        .size:           8
        .value_kind:     global_buffer
      - .offset:         144
        .size:           4
        .value_kind:     hidden_block_count_x
      - .offset:         148
        .size:           4
        .value_kind:     hidden_block_count_y
      - .offset:         152
        .size:           4
        .value_kind:     hidden_block_count_z
      - .offset:         156
        .size:           2
        .value_kind:     hidden_group_size_x
      - .offset:         158
        .size:           2
        .value_kind:     hidden_group_size_y
      - .offset:         160
        .size:           2
        .value_kind:     hidden_group_size_z
      - .offset:         162
        .size:           2
        .value_kind:     hidden_remainder_x
      - .offset:         164
        .size:           2
        .value_kind:     hidden_remainder_y
      - .offset:         166
        .size:           2
        .value_kind:     hidden_remainder_z
      - .offset:         184
        .size:           8
        .value_kind:     hidden_global_offset_x
      - .offset:         192
        .size:           8
        .value_kind:     hidden_global_offset_y
      - .offset:         200
        .size:           8
        .value_kind:     hidden_global_offset_z
      - .offset:         208
        .size:           2
        .value_kind:     hidden_grid_dims
    .group_segment_fixed_size: 5280
    .kernarg_segment_align: 8
    .kernarg_segment_size: 400
    .language:       OpenCL C
    .language_version:
      - 2
      - 0
    .max_flat_workgroup_size: 256
    .name:           _Z38paged_attention_ll4mi_QKV_mfma4_kernelI14__hip_bfloat16hLN4vllm18Fp8KVCacheDataTypeE1ES0_Li16ELi128ELi256ELb0ELi3EEvPKT_PKT0_S8_ifPKiSA_SA_iPKfiiiPfSD_PS3_PT2_iSC_SC_
    .private_segment_fixed_size: 0
    .sgpr_count:     48
    .sgpr_spill_count: 0
    .symbol:         _Z38paged_attention_ll4mi_QKV_mfma4_kernelI14__hip_bfloat16hLN4vllm18Fp8KVCacheDataTypeE1ES0_Li16ELi128ELi256ELb0ELi3EEvPKT_PKT0_S8_ifPKiSA_SA_iPKfiiiPfSD_PS3_PT2_iSC_SC_.kd
    .uniform_work_group_size: 1
    .uses_dynamic_stack: false
    .vgpr_count:     68
    .vgpr_spill_count: 0
    .wavefront_size: 64
  - .agpr_count:     4
    .args:
      - .actual_access:  read_only
        .address_space:  global
        .offset:         0
        .size:           8
        .value_kind:     global_buffer
      - .actual_access:  read_only
        .address_space:  global
        .offset:         8
        .size:           8
        .value_kind:     global_buffer
      - .actual_access:  read_only
        .address_space:  global
        .offset:         16
        .size:           8
        .value_kind:     global_buffer
      - .offset:         24
        .size:           4
        .value_kind:     by_value
      - .offset:         28
        .size:           4
        .value_kind:     by_value
      - .actual_access:  read_only
        .address_space:  global
        .offset:         32
        .size:           8
        .value_kind:     global_buffer
      - .actual_access:  read_only
        .address_space:  global
        .offset:         40
        .size:           8
        .value_kind:     global_buffer
      - .actual_access:  read_only
        .address_space:  global
        .offset:         48
        .size:           8
        .value_kind:     global_buffer
      - .offset:         56
        .size:           4
        .value_kind:     by_value
      - .actual_access:  read_only
        .address_space:  global
        .offset:         64
        .size:           8
        .value_kind:     global_buffer
      - .offset:         72
        .size:           4
        .value_kind:     by_value
      - .offset:         76
        .size:           4
        .value_kind:     by_value
      - .offset:         80
        .size:           4
        .value_kind:     by_value
      - .actual_access:  write_only
        .address_space:  global
        .offset:         88
        .size:           8
        .value_kind:     global_buffer
      - .actual_access:  write_only
        .address_space:  global
        .offset:         96
        .size:           8
        .value_kind:     global_buffer
      - .actual_access:  write_only
        .address_space:  global
        .offset:         104
        .size:           8
        .value_kind:     global_buffer
      - .actual_access:  read_only
        .address_space:  global
        .offset:         112
        .size:           8
        .value_kind:     global_buffer
      - .offset:         120
        .size:           4
        .value_kind:     by_value
      - .address_space:  global
        .offset:         128
        .size:           8
        .value_kind:     global_buffer
      - .address_space:  global
        .offset:         136
        .size:           8
        .value_kind:     global_buffer
      - .offset:         144
        .size:           4
        .value_kind:     hidden_block_count_x
      - .offset:         148
        .size:           4
        .value_kind:     hidden_block_count_y
      - .offset:         152
        .size:           4
        .value_kind:     hidden_block_count_z
      - .offset:         156
        .size:           2
        .value_kind:     hidden_group_size_x
      - .offset:         158
        .size:           2
        .value_kind:     hidden_group_size_y
      - .offset:         160
        .size:           2
        .value_kind:     hidden_group_size_z
      - .offset:         162
        .size:           2
        .value_kind:     hidden_remainder_x
      - .offset:         164
        .size:           2
        .value_kind:     hidden_remainder_y
      - .offset:         166
        .size:           2
        .value_kind:     hidden_remainder_z
      - .offset:         184
        .size:           8
        .value_kind:     hidden_global_offset_x
      - .offset:         192
        .size:           8
        .value_kind:     hidden_global_offset_y
      - .offset:         200
        .size:           8
        .value_kind:     hidden_global_offset_z
      - .offset:         208
        .size:           2
        .value_kind:     hidden_grid_dims
    .group_segment_fixed_size: 5280
    .kernarg_segment_align: 8
    .kernarg_segment_size: 400
    .language:       OpenCL C
    .language_version:
      - 2
      - 0
    .max_flat_workgroup_size: 256
    .name:           _Z38paged_attention_ll4mi_QKV_mfma4_kernelI14__hip_bfloat16hLN4vllm18Fp8KVCacheDataTypeE1ES0_Li16ELi128ELi256ELb0ELi4EEvPKT_PKT0_S8_ifPKiSA_SA_iPKfiiiPfSD_PS3_PT2_iSC_SC_
    .private_segment_fixed_size: 0
    .sgpr_count:     48
    .sgpr_spill_count: 0
    .symbol:         _Z38paged_attention_ll4mi_QKV_mfma4_kernelI14__hip_bfloat16hLN4vllm18Fp8KVCacheDataTypeE1ES0_Li16ELi128ELi256ELb0ELi4EEvPKT_PKT0_S8_ifPKiSA_SA_iPKfiiiPfSD_PS3_PT2_iSC_SC_.kd
    .uniform_work_group_size: 1
    .uses_dynamic_stack: false
    .vgpr_count:     84
    .vgpr_spill_count: 0
    .wavefront_size: 64
  - .agpr_count:     0
    .args:
      - .actual_access:  read_only
        .address_space:  global
        .offset:         0
        .size:           8
        .value_kind:     global_buffer
      - .actual_access:  read_only
        .address_space:  global
        .offset:         8
        .size:           8
        .value_kind:     global_buffer
      - .actual_access:  read_only
        .address_space:  global
        .offset:         16
        .size:           8
        .value_kind:     global_buffer
      - .offset:         24
        .size:           4
        .value_kind:     by_value
      - .offset:         28
        .size:           4
        .value_kind:     by_value
      - .actual_access:  read_only
        .address_space:  global
        .offset:         32
        .size:           8
        .value_kind:     global_buffer
      - .actual_access:  read_only
        .address_space:  global
        .offset:         40
        .size:           8
        .value_kind:     global_buffer
      - .actual_access:  read_only
        .address_space:  global
        .offset:         48
        .size:           8
        .value_kind:     global_buffer
      - .offset:         56
        .size:           4
        .value_kind:     by_value
      - .actual_access:  read_only
        .address_space:  global
        .offset:         64
        .size:           8
        .value_kind:     global_buffer
      - .offset:         72
        .size:           4
        .value_kind:     by_value
      - .offset:         76
        .size:           4
        .value_kind:     by_value
      - .offset:         80
        .size:           4
        .value_kind:     by_value
      - .actual_access:  write_only
        .address_space:  global
        .offset:         88
        .size:           8
        .value_kind:     global_buffer
      - .actual_access:  write_only
        .address_space:  global
        .offset:         96
        .size:           8
        .value_kind:     global_buffer
      - .actual_access:  write_only
        .address_space:  global
        .offset:         104
        .size:           8
        .value_kind:     global_buffer
      - .actual_access:  read_only
        .address_space:  global
        .offset:         112
        .size:           8
        .value_kind:     global_buffer
      - .offset:         120
        .size:           4
        .value_kind:     by_value
      - .address_space:  global
        .offset:         128
        .size:           8
        .value_kind:     global_buffer
      - .address_space:  global
        .offset:         136
        .size:           8
        .value_kind:     global_buffer
      - .offset:         144
        .size:           4
        .value_kind:     hidden_block_count_x
      - .offset:         148
        .size:           4
        .value_kind:     hidden_block_count_y
      - .offset:         152
        .size:           4
        .value_kind:     hidden_block_count_z
      - .offset:         156
        .size:           2
        .value_kind:     hidden_group_size_x
      - .offset:         158
        .size:           2
        .value_kind:     hidden_group_size_y
      - .offset:         160
        .size:           2
        .value_kind:     hidden_group_size_z
      - .offset:         162
        .size:           2
        .value_kind:     hidden_remainder_x
      - .offset:         164
        .size:           2
        .value_kind:     hidden_remainder_y
      - .offset:         166
        .size:           2
        .value_kind:     hidden_remainder_z
      - .offset:         184
        .size:           8
        .value_kind:     hidden_global_offset_x
      - .offset:         192
        .size:           8
        .value_kind:     hidden_global_offset_y
      - .offset:         200
        .size:           8
        .value_kind:     hidden_global_offset_z
      - .offset:         208
        .size:           2
        .value_kind:     hidden_grid_dims
    .group_segment_fixed_size: 8192
    .kernarg_segment_align: 8
    .kernarg_segment_size: 400
    .language:       OpenCL C
    .language_version:
      - 2
      - 0
    .max_flat_workgroup_size: 256
    .name:           _Z39paged_attention_ll4mi_QKV_mfma16_kernelI14__hip_bfloat16hLN4vllm18Fp8KVCacheDataTypeE1ES0_Li16ELi128ELi256ELb0ELi5EEvPKT_PKT0_S8_ifPKiSA_SA_iPKfiiiPfSD_PS3_PT2_iSC_SC_
    .private_segment_fixed_size: 0
    .sgpr_count:     56
    .sgpr_spill_count: 0
    .symbol:         _Z39paged_attention_ll4mi_QKV_mfma16_kernelI14__hip_bfloat16hLN4vllm18Fp8KVCacheDataTypeE1ES0_Li16ELi128ELi256ELb0ELi5EEvPKT_PKT0_S8_ifPKiSA_SA_iPKfiiiPfSD_PS3_PT2_iSC_SC_.kd
    .uniform_work_group_size: 1
    .uses_dynamic_stack: false
    .vgpr_count:     86
    .vgpr_spill_count: 0
    .wavefront_size: 64
  - .agpr_count:     0
    .args:
      - .actual_access:  read_only
        .address_space:  global
        .offset:         0
        .size:           8
        .value_kind:     global_buffer
      - .actual_access:  read_only
        .address_space:  global
        .offset:         8
        .size:           8
        .value_kind:     global_buffer
      - .actual_access:  read_only
        .address_space:  global
        .offset:         16
        .size:           8
        .value_kind:     global_buffer
      - .offset:         24
        .size:           4
        .value_kind:     by_value
      - .offset:         28
        .size:           4
        .value_kind:     by_value
      - .actual_access:  read_only
        .address_space:  global
        .offset:         32
        .size:           8
        .value_kind:     global_buffer
      - .actual_access:  read_only
        .address_space:  global
        .offset:         40
        .size:           8
        .value_kind:     global_buffer
      - .actual_access:  read_only
        .address_space:  global
        .offset:         48
        .size:           8
        .value_kind:     global_buffer
      - .offset:         56
        .size:           4
        .value_kind:     by_value
      - .actual_access:  read_only
        .address_space:  global
        .offset:         64
        .size:           8
        .value_kind:     global_buffer
      - .offset:         72
        .size:           4
        .value_kind:     by_value
      - .offset:         76
        .size:           4
        .value_kind:     by_value
      - .offset:         80
        .size:           4
        .value_kind:     by_value
      - .actual_access:  write_only
        .address_space:  global
        .offset:         88
        .size:           8
        .value_kind:     global_buffer
      - .actual_access:  write_only
        .address_space:  global
        .offset:         96
        .size:           8
        .value_kind:     global_buffer
      - .actual_access:  write_only
        .address_space:  global
        .offset:         104
        .size:           8
        .value_kind:     global_buffer
      - .actual_access:  read_only
        .address_space:  global
        .offset:         112
        .size:           8
        .value_kind:     global_buffer
      - .offset:         120
        .size:           4
        .value_kind:     by_value
      - .address_space:  global
        .offset:         128
        .size:           8
        .value_kind:     global_buffer
      - .address_space:  global
        .offset:         136
        .size:           8
        .value_kind:     global_buffer
      - .offset:         144
        .size:           4
        .value_kind:     hidden_block_count_x
      - .offset:         148
        .size:           4
        .value_kind:     hidden_block_count_y
      - .offset:         152
        .size:           4
        .value_kind:     hidden_block_count_z
      - .offset:         156
        .size:           2
        .value_kind:     hidden_group_size_x
      - .offset:         158
        .size:           2
        .value_kind:     hidden_group_size_y
      - .offset:         160
        .size:           2
        .value_kind:     hidden_group_size_z
      - .offset:         162
        .size:           2
        .value_kind:     hidden_remainder_x
      - .offset:         164
        .size:           2
        .value_kind:     hidden_remainder_y
      - .offset:         166
        .size:           2
        .value_kind:     hidden_remainder_z
      - .offset:         184
        .size:           8
        .value_kind:     hidden_global_offset_x
      - .offset:         192
        .size:           8
        .value_kind:     hidden_global_offset_y
      - .offset:         200
        .size:           8
        .value_kind:     hidden_global_offset_z
      - .offset:         208
        .size:           2
        .value_kind:     hidden_grid_dims
    .group_segment_fixed_size: 8192
    .kernarg_segment_align: 8
    .kernarg_segment_size: 400
    .language:       OpenCL C
    .language_version:
      - 2
      - 0
    .max_flat_workgroup_size: 256
    .name:           _Z39paged_attention_ll4mi_QKV_mfma16_kernelI14__hip_bfloat16hLN4vllm18Fp8KVCacheDataTypeE1ES0_Li16ELi128ELi256ELb0ELi6EEvPKT_PKT0_S8_ifPKiSA_SA_iPKfiiiPfSD_PS3_PT2_iSC_SC_
    .private_segment_fixed_size: 0
    .sgpr_count:     56
    .sgpr_spill_count: 0
    .symbol:         _Z39paged_attention_ll4mi_QKV_mfma16_kernelI14__hip_bfloat16hLN4vllm18Fp8KVCacheDataTypeE1ES0_Li16ELi128ELi256ELb0ELi6EEvPKT_PKT0_S8_ifPKiSA_SA_iPKfiiiPfSD_PS3_PT2_iSC_SC_.kd
    .uniform_work_group_size: 1
    .uses_dynamic_stack: false
    .vgpr_count:     86
    .vgpr_spill_count: 0
    .wavefront_size: 64
  - .agpr_count:     0
    .args:
      - .actual_access:  read_only
        .address_space:  global
        .offset:         0
        .size:           8
        .value_kind:     global_buffer
      - .actual_access:  read_only
        .address_space:  global
        .offset:         8
        .size:           8
        .value_kind:     global_buffer
      - .actual_access:  read_only
        .address_space:  global
        .offset:         16
        .size:           8
        .value_kind:     global_buffer
      - .offset:         24
        .size:           4
        .value_kind:     by_value
      - .offset:         28
        .size:           4
        .value_kind:     by_value
      - .actual_access:  read_only
        .address_space:  global
        .offset:         32
        .size:           8
        .value_kind:     global_buffer
      - .actual_access:  read_only
        .address_space:  global
        .offset:         40
        .size:           8
        .value_kind:     global_buffer
      - .actual_access:  read_only
        .address_space:  global
        .offset:         48
        .size:           8
        .value_kind:     global_buffer
      - .offset:         56
        .size:           4
        .value_kind:     by_value
      - .actual_access:  read_only
        .address_space:  global
        .offset:         64
        .size:           8
        .value_kind:     global_buffer
      - .offset:         72
        .size:           4
        .value_kind:     by_value
      - .offset:         76
        .size:           4
        .value_kind:     by_value
      - .offset:         80
        .size:           4
        .value_kind:     by_value
      - .actual_access:  write_only
        .address_space:  global
        .offset:         88
        .size:           8
        .value_kind:     global_buffer
      - .actual_access:  write_only
        .address_space:  global
        .offset:         96
        .size:           8
        .value_kind:     global_buffer
      - .actual_access:  write_only
        .address_space:  global
        .offset:         104
        .size:           8
        .value_kind:     global_buffer
      - .actual_access:  read_only
        .address_space:  global
        .offset:         112
        .size:           8
        .value_kind:     global_buffer
      - .offset:         120
        .size:           4
        .value_kind:     by_value
      - .address_space:  global
        .offset:         128
        .size:           8
        .value_kind:     global_buffer
      - .address_space:  global
        .offset:         136
        .size:           8
        .value_kind:     global_buffer
      - .offset:         144
        .size:           4
        .value_kind:     hidden_block_count_x
      - .offset:         148
        .size:           4
        .value_kind:     hidden_block_count_y
      - .offset:         152
        .size:           4
        .value_kind:     hidden_block_count_z
      - .offset:         156
        .size:           2
        .value_kind:     hidden_group_size_x
      - .offset:         158
        .size:           2
        .value_kind:     hidden_group_size_y
      - .offset:         160
        .size:           2
        .value_kind:     hidden_group_size_z
      - .offset:         162
        .size:           2
        .value_kind:     hidden_remainder_x
      - .offset:         164
        .size:           2
        .value_kind:     hidden_remainder_y
      - .offset:         166
        .size:           2
        .value_kind:     hidden_remainder_z
      - .offset:         184
        .size:           8
        .value_kind:     hidden_global_offset_x
      - .offset:         192
        .size:           8
        .value_kind:     hidden_global_offset_y
      - .offset:         200
        .size:           8
        .value_kind:     hidden_global_offset_z
      - .offset:         208
        .size:           2
        .value_kind:     hidden_grid_dims
    .group_segment_fixed_size: 8192
    .kernarg_segment_align: 8
    .kernarg_segment_size: 400
    .language:       OpenCL C
    .language_version:
      - 2
      - 0
    .max_flat_workgroup_size: 256
    .name:           _Z39paged_attention_ll4mi_QKV_mfma16_kernelI14__hip_bfloat16hLN4vllm18Fp8KVCacheDataTypeE1ES0_Li16ELi128ELi256ELb0ELi7EEvPKT_PKT0_S8_ifPKiSA_SA_iPKfiiiPfSD_PS3_PT2_iSC_SC_
    .private_segment_fixed_size: 0
    .sgpr_count:     56
    .sgpr_spill_count: 0
    .symbol:         _Z39paged_attention_ll4mi_QKV_mfma16_kernelI14__hip_bfloat16hLN4vllm18Fp8KVCacheDataTypeE1ES0_Li16ELi128ELi256ELb0ELi7EEvPKT_PKT0_S8_ifPKiSA_SA_iPKfiiiPfSD_PS3_PT2_iSC_SC_.kd
    .uniform_work_group_size: 1
    .uses_dynamic_stack: false
    .vgpr_count:     86
    .vgpr_spill_count: 0
    .wavefront_size: 64
  - .agpr_count:     0
    .args:
      - .actual_access:  read_only
        .address_space:  global
        .offset:         0
        .size:           8
        .value_kind:     global_buffer
      - .actual_access:  read_only
        .address_space:  global
        .offset:         8
        .size:           8
        .value_kind:     global_buffer
      - .actual_access:  read_only
        .address_space:  global
        .offset:         16
        .size:           8
        .value_kind:     global_buffer
      - .offset:         24
        .size:           4
        .value_kind:     by_value
      - .offset:         28
        .size:           4
        .value_kind:     by_value
      - .actual_access:  read_only
        .address_space:  global
        .offset:         32
        .size:           8
        .value_kind:     global_buffer
      - .actual_access:  read_only
        .address_space:  global
        .offset:         40
        .size:           8
        .value_kind:     global_buffer
      - .actual_access:  read_only
        .address_space:  global
        .offset:         48
        .size:           8
        .value_kind:     global_buffer
      - .offset:         56
        .size:           4
        .value_kind:     by_value
      - .actual_access:  read_only
        .address_space:  global
        .offset:         64
        .size:           8
        .value_kind:     global_buffer
      - .offset:         72
        .size:           4
        .value_kind:     by_value
      - .offset:         76
        .size:           4
        .value_kind:     by_value
      - .offset:         80
        .size:           4
        .value_kind:     by_value
      - .actual_access:  write_only
        .address_space:  global
        .offset:         88
        .size:           8
        .value_kind:     global_buffer
      - .actual_access:  write_only
        .address_space:  global
        .offset:         96
        .size:           8
        .value_kind:     global_buffer
      - .actual_access:  write_only
        .address_space:  global
        .offset:         104
        .size:           8
        .value_kind:     global_buffer
      - .actual_access:  read_only
        .address_space:  global
        .offset:         112
        .size:           8
        .value_kind:     global_buffer
      - .offset:         120
        .size:           4
        .value_kind:     by_value
      - .address_space:  global
        .offset:         128
        .size:           8
        .value_kind:     global_buffer
      - .address_space:  global
        .offset:         136
        .size:           8
        .value_kind:     global_buffer
      - .offset:         144
        .size:           4
        .value_kind:     hidden_block_count_x
      - .offset:         148
        .size:           4
        .value_kind:     hidden_block_count_y
      - .offset:         152
        .size:           4
        .value_kind:     hidden_block_count_z
      - .offset:         156
        .size:           2
        .value_kind:     hidden_group_size_x
      - .offset:         158
        .size:           2
        .value_kind:     hidden_group_size_y
      - .offset:         160
        .size:           2
        .value_kind:     hidden_group_size_z
      - .offset:         162
        .size:           2
        .value_kind:     hidden_remainder_x
      - .offset:         164
        .size:           2
        .value_kind:     hidden_remainder_y
      - .offset:         166
        .size:           2
        .value_kind:     hidden_remainder_z
      - .offset:         184
        .size:           8
        .value_kind:     hidden_global_offset_x
      - .offset:         192
        .size:           8
        .value_kind:     hidden_global_offset_y
      - .offset:         200
        .size:           8
        .value_kind:     hidden_global_offset_z
      - .offset:         208
        .size:           2
        .value_kind:     hidden_grid_dims
    .group_segment_fixed_size: 8192
    .kernarg_segment_align: 8
    .kernarg_segment_size: 400
    .language:       OpenCL C
    .language_version:
      - 2
      - 0
    .max_flat_workgroup_size: 256
    .name:           _Z39paged_attention_ll4mi_QKV_mfma16_kernelI14__hip_bfloat16hLN4vllm18Fp8KVCacheDataTypeE1ES0_Li16ELi128ELi256ELb0ELi8EEvPKT_PKT0_S8_ifPKiSA_SA_iPKfiiiPfSD_PS3_PT2_iSC_SC_
    .private_segment_fixed_size: 0
    .sgpr_count:     54
    .sgpr_spill_count: 0
    .symbol:         _Z39paged_attention_ll4mi_QKV_mfma16_kernelI14__hip_bfloat16hLN4vllm18Fp8KVCacheDataTypeE1ES0_Li16ELi128ELi256ELb0ELi8EEvPKT_PKT0_S8_ifPKiSA_SA_iPKfiiiPfSD_PS3_PT2_iSC_SC_.kd
    .uniform_work_group_size: 1
    .uses_dynamic_stack: false
    .vgpr_count:     90
    .vgpr_spill_count: 0
    .wavefront_size: 64
  - .agpr_count:     0
    .args:
      - .actual_access:  read_only
        .address_space:  global
        .offset:         0
        .size:           8
        .value_kind:     global_buffer
      - .actual_access:  read_only
        .address_space:  global
        .offset:         8
        .size:           8
        .value_kind:     global_buffer
      - .actual_access:  read_only
        .address_space:  global
        .offset:         16
        .size:           8
        .value_kind:     global_buffer
      - .offset:         24
        .size:           4
        .value_kind:     by_value
      - .offset:         28
        .size:           4
        .value_kind:     by_value
      - .actual_access:  read_only
        .address_space:  global
        .offset:         32
        .size:           8
        .value_kind:     global_buffer
      - .actual_access:  read_only
        .address_space:  global
        .offset:         40
        .size:           8
        .value_kind:     global_buffer
      - .actual_access:  read_only
        .address_space:  global
        .offset:         48
        .size:           8
        .value_kind:     global_buffer
      - .offset:         56
        .size:           4
        .value_kind:     by_value
      - .actual_access:  read_only
        .address_space:  global
        .offset:         64
        .size:           8
        .value_kind:     global_buffer
      - .offset:         72
        .size:           4
        .value_kind:     by_value
      - .offset:         76
        .size:           4
        .value_kind:     by_value
      - .offset:         80
        .size:           4
        .value_kind:     by_value
      - .actual_access:  write_only
        .address_space:  global
        .offset:         88
        .size:           8
        .value_kind:     global_buffer
      - .actual_access:  write_only
        .address_space:  global
        .offset:         96
        .size:           8
        .value_kind:     global_buffer
      - .actual_access:  write_only
        .address_space:  global
        .offset:         104
        .size:           8
        .value_kind:     global_buffer
      - .actual_access:  read_only
        .address_space:  global
        .offset:         112
        .size:           8
        .value_kind:     global_buffer
      - .offset:         120
        .size:           4
        .value_kind:     by_value
      - .address_space:  global
        .offset:         128
        .size:           8
        .value_kind:     global_buffer
      - .address_space:  global
        .offset:         136
        .size:           8
        .value_kind:     global_buffer
      - .offset:         144
        .size:           4
        .value_kind:     hidden_block_count_x
      - .offset:         148
        .size:           4
        .value_kind:     hidden_block_count_y
      - .offset:         152
        .size:           4
        .value_kind:     hidden_block_count_z
      - .offset:         156
        .size:           2
        .value_kind:     hidden_group_size_x
      - .offset:         158
        .size:           2
        .value_kind:     hidden_group_size_y
      - .offset:         160
        .size:           2
        .value_kind:     hidden_group_size_z
      - .offset:         162
        .size:           2
        .value_kind:     hidden_remainder_x
      - .offset:         164
        .size:           2
        .value_kind:     hidden_remainder_y
      - .offset:         166
        .size:           2
        .value_kind:     hidden_remainder_z
      - .offset:         184
        .size:           8
        .value_kind:     hidden_global_offset_x
      - .offset:         192
        .size:           8
        .value_kind:     hidden_global_offset_y
      - .offset:         200
        .size:           8
        .value_kind:     hidden_global_offset_z
      - .offset:         208
        .size:           2
        .value_kind:     hidden_grid_dims
    .group_segment_fixed_size: 8192
    .kernarg_segment_align: 8
    .kernarg_segment_size: 400
    .language:       OpenCL C
    .language_version:
      - 2
      - 0
    .max_flat_workgroup_size: 256
    .name:           _Z39paged_attention_ll4mi_QKV_mfma16_kernelI14__hip_bfloat16hLN4vllm18Fp8KVCacheDataTypeE1ES0_Li16ELi128ELi256ELb0ELi9EEvPKT_PKT0_S8_ifPKiSA_SA_iPKfiiiPfSD_PS3_PT2_iSC_SC_
    .private_segment_fixed_size: 0
    .sgpr_count:     56
    .sgpr_spill_count: 0
    .symbol:         _Z39paged_attention_ll4mi_QKV_mfma16_kernelI14__hip_bfloat16hLN4vllm18Fp8KVCacheDataTypeE1ES0_Li16ELi128ELi256ELb0ELi9EEvPKT_PKT0_S8_ifPKiSA_SA_iPKfiiiPfSD_PS3_PT2_iSC_SC_.kd
    .uniform_work_group_size: 1
    .uses_dynamic_stack: false
    .vgpr_count:     86
    .vgpr_spill_count: 0
    .wavefront_size: 64
  - .agpr_count:     0
    .args:
      - .actual_access:  read_only
        .address_space:  global
        .offset:         0
        .size:           8
        .value_kind:     global_buffer
      - .actual_access:  read_only
        .address_space:  global
        .offset:         8
        .size:           8
        .value_kind:     global_buffer
      - .actual_access:  read_only
        .address_space:  global
        .offset:         16
        .size:           8
        .value_kind:     global_buffer
      - .offset:         24
        .size:           4
        .value_kind:     by_value
      - .offset:         28
        .size:           4
        .value_kind:     by_value
      - .actual_access:  read_only
        .address_space:  global
        .offset:         32
        .size:           8
        .value_kind:     global_buffer
      - .actual_access:  read_only
        .address_space:  global
        .offset:         40
        .size:           8
        .value_kind:     global_buffer
      - .actual_access:  read_only
        .address_space:  global
        .offset:         48
        .size:           8
        .value_kind:     global_buffer
      - .offset:         56
        .size:           4
        .value_kind:     by_value
      - .actual_access:  read_only
        .address_space:  global
        .offset:         64
        .size:           8
        .value_kind:     global_buffer
      - .offset:         72
        .size:           4
        .value_kind:     by_value
      - .offset:         76
        .size:           4
        .value_kind:     by_value
      - .offset:         80
        .size:           4
        .value_kind:     by_value
      - .actual_access:  write_only
        .address_space:  global
        .offset:         88
        .size:           8
        .value_kind:     global_buffer
      - .actual_access:  write_only
        .address_space:  global
        .offset:         96
        .size:           8
        .value_kind:     global_buffer
      - .actual_access:  write_only
        .address_space:  global
        .offset:         104
        .size:           8
        .value_kind:     global_buffer
      - .actual_access:  read_only
        .address_space:  global
        .offset:         112
        .size:           8
        .value_kind:     global_buffer
      - .offset:         120
        .size:           4
        .value_kind:     by_value
      - .address_space:  global
        .offset:         128
        .size:           8
        .value_kind:     global_buffer
      - .address_space:  global
        .offset:         136
        .size:           8
        .value_kind:     global_buffer
      - .offset:         144
        .size:           4
        .value_kind:     hidden_block_count_x
      - .offset:         148
        .size:           4
        .value_kind:     hidden_block_count_y
      - .offset:         152
        .size:           4
        .value_kind:     hidden_block_count_z
      - .offset:         156
        .size:           2
        .value_kind:     hidden_group_size_x
      - .offset:         158
        .size:           2
        .value_kind:     hidden_group_size_y
      - .offset:         160
        .size:           2
        .value_kind:     hidden_group_size_z
      - .offset:         162
        .size:           2
        .value_kind:     hidden_remainder_x
      - .offset:         164
        .size:           2
        .value_kind:     hidden_remainder_y
      - .offset:         166
        .size:           2
        .value_kind:     hidden_remainder_z
      - .offset:         184
        .size:           8
        .value_kind:     hidden_global_offset_x
      - .offset:         192
        .size:           8
        .value_kind:     hidden_global_offset_y
      - .offset:         200
        .size:           8
        .value_kind:     hidden_global_offset_z
      - .offset:         208
        .size:           2
        .value_kind:     hidden_grid_dims
    .group_segment_fixed_size: 8192
    .kernarg_segment_align: 8
    .kernarg_segment_size: 400
    .language:       OpenCL C
    .language_version:
      - 2
      - 0
    .max_flat_workgroup_size: 256
    .name:           _Z39paged_attention_ll4mi_QKV_mfma16_kernelI14__hip_bfloat16hLN4vllm18Fp8KVCacheDataTypeE1ES0_Li16ELi128ELi256ELb0ELi10EEvPKT_PKT0_S8_ifPKiSA_SA_iPKfiiiPfSD_PS3_PT2_iSC_SC_
    .private_segment_fixed_size: 0
    .sgpr_count:     56
    .sgpr_spill_count: 0
    .symbol:         _Z39paged_attention_ll4mi_QKV_mfma16_kernelI14__hip_bfloat16hLN4vllm18Fp8KVCacheDataTypeE1ES0_Li16ELi128ELi256ELb0ELi10EEvPKT_PKT0_S8_ifPKiSA_SA_iPKfiiiPfSD_PS3_PT2_iSC_SC_.kd
    .uniform_work_group_size: 1
    .uses_dynamic_stack: false
    .vgpr_count:     86
    .vgpr_spill_count: 0
    .wavefront_size: 64
  - .agpr_count:     0
    .args:
      - .actual_access:  read_only
        .address_space:  global
        .offset:         0
        .size:           8
        .value_kind:     global_buffer
      - .actual_access:  read_only
        .address_space:  global
        .offset:         8
        .size:           8
        .value_kind:     global_buffer
      - .actual_access:  read_only
        .address_space:  global
        .offset:         16
        .size:           8
        .value_kind:     global_buffer
      - .offset:         24
        .size:           4
        .value_kind:     by_value
      - .offset:         28
        .size:           4
        .value_kind:     by_value
      - .actual_access:  read_only
        .address_space:  global
        .offset:         32
        .size:           8
        .value_kind:     global_buffer
      - .actual_access:  read_only
        .address_space:  global
        .offset:         40
        .size:           8
        .value_kind:     global_buffer
      - .actual_access:  read_only
        .address_space:  global
        .offset:         48
        .size:           8
        .value_kind:     global_buffer
      - .offset:         56
        .size:           4
        .value_kind:     by_value
      - .actual_access:  read_only
        .address_space:  global
        .offset:         64
        .size:           8
        .value_kind:     global_buffer
      - .offset:         72
        .size:           4
        .value_kind:     by_value
      - .offset:         76
        .size:           4
        .value_kind:     by_value
      - .offset:         80
        .size:           4
        .value_kind:     by_value
      - .actual_access:  write_only
        .address_space:  global
        .offset:         88
        .size:           8
        .value_kind:     global_buffer
      - .actual_access:  write_only
        .address_space:  global
        .offset:         96
        .size:           8
        .value_kind:     global_buffer
      - .actual_access:  write_only
        .address_space:  global
        .offset:         104
        .size:           8
        .value_kind:     global_buffer
      - .actual_access:  read_only
        .address_space:  global
        .offset:         112
        .size:           8
        .value_kind:     global_buffer
      - .offset:         120
        .size:           4
        .value_kind:     by_value
      - .address_space:  global
        .offset:         128
        .size:           8
        .value_kind:     global_buffer
      - .address_space:  global
        .offset:         136
        .size:           8
        .value_kind:     global_buffer
      - .offset:         144
        .size:           4
        .value_kind:     hidden_block_count_x
      - .offset:         148
        .size:           4
        .value_kind:     hidden_block_count_y
      - .offset:         152
        .size:           4
        .value_kind:     hidden_block_count_z
      - .offset:         156
        .size:           2
        .value_kind:     hidden_group_size_x
      - .offset:         158
        .size:           2
        .value_kind:     hidden_group_size_y
      - .offset:         160
        .size:           2
        .value_kind:     hidden_group_size_z
      - .offset:         162
        .size:           2
        .value_kind:     hidden_remainder_x
      - .offset:         164
        .size:           2
        .value_kind:     hidden_remainder_y
      - .offset:         166
        .size:           2
        .value_kind:     hidden_remainder_z
      - .offset:         184
        .size:           8
        .value_kind:     hidden_global_offset_x
      - .offset:         192
        .size:           8
        .value_kind:     hidden_global_offset_y
      - .offset:         200
        .size:           8
        .value_kind:     hidden_global_offset_z
      - .offset:         208
        .size:           2
        .value_kind:     hidden_grid_dims
    .group_segment_fixed_size: 8192
    .kernarg_segment_align: 8
    .kernarg_segment_size: 400
    .language:       OpenCL C
    .language_version:
      - 2
      - 0
    .max_flat_workgroup_size: 256
    .name:           _Z39paged_attention_ll4mi_QKV_mfma16_kernelI14__hip_bfloat16hLN4vllm18Fp8KVCacheDataTypeE1ES0_Li16ELi128ELi256ELb0ELi11EEvPKT_PKT0_S8_ifPKiSA_SA_iPKfiiiPfSD_PS3_PT2_iSC_SC_
    .private_segment_fixed_size: 0
    .sgpr_count:     56
    .sgpr_spill_count: 0
    .symbol:         _Z39paged_attention_ll4mi_QKV_mfma16_kernelI14__hip_bfloat16hLN4vllm18Fp8KVCacheDataTypeE1ES0_Li16ELi128ELi256ELb0ELi11EEvPKT_PKT0_S8_ifPKiSA_SA_iPKfiiiPfSD_PS3_PT2_iSC_SC_.kd
    .uniform_work_group_size: 1
    .uses_dynamic_stack: false
    .vgpr_count:     86
    .vgpr_spill_count: 0
    .wavefront_size: 64
  - .agpr_count:     0
    .args:
      - .actual_access:  read_only
        .address_space:  global
        .offset:         0
        .size:           8
        .value_kind:     global_buffer
      - .actual_access:  read_only
        .address_space:  global
        .offset:         8
        .size:           8
        .value_kind:     global_buffer
      - .actual_access:  read_only
        .address_space:  global
        .offset:         16
        .size:           8
        .value_kind:     global_buffer
      - .offset:         24
        .size:           4
        .value_kind:     by_value
      - .offset:         28
        .size:           4
        .value_kind:     by_value
      - .actual_access:  read_only
        .address_space:  global
        .offset:         32
        .size:           8
        .value_kind:     global_buffer
      - .actual_access:  read_only
        .address_space:  global
        .offset:         40
        .size:           8
        .value_kind:     global_buffer
      - .actual_access:  read_only
        .address_space:  global
        .offset:         48
        .size:           8
        .value_kind:     global_buffer
      - .offset:         56
        .size:           4
        .value_kind:     by_value
      - .actual_access:  read_only
        .address_space:  global
        .offset:         64
        .size:           8
        .value_kind:     global_buffer
      - .offset:         72
        .size:           4
        .value_kind:     by_value
      - .offset:         76
        .size:           4
        .value_kind:     by_value
      - .offset:         80
        .size:           4
        .value_kind:     by_value
      - .actual_access:  write_only
        .address_space:  global
        .offset:         88
        .size:           8
        .value_kind:     global_buffer
      - .actual_access:  write_only
        .address_space:  global
        .offset:         96
        .size:           8
        .value_kind:     global_buffer
      - .actual_access:  write_only
        .address_space:  global
        .offset:         104
        .size:           8
        .value_kind:     global_buffer
      - .actual_access:  read_only
        .address_space:  global
        .offset:         112
        .size:           8
        .value_kind:     global_buffer
      - .offset:         120
        .size:           4
        .value_kind:     by_value
      - .address_space:  global
        .offset:         128
        .size:           8
        .value_kind:     global_buffer
      - .address_space:  global
        .offset:         136
        .size:           8
        .value_kind:     global_buffer
      - .offset:         144
        .size:           4
        .value_kind:     hidden_block_count_x
      - .offset:         148
        .size:           4
        .value_kind:     hidden_block_count_y
      - .offset:         152
        .size:           4
        .value_kind:     hidden_block_count_z
      - .offset:         156
        .size:           2
        .value_kind:     hidden_group_size_x
      - .offset:         158
        .size:           2
        .value_kind:     hidden_group_size_y
      - .offset:         160
        .size:           2
        .value_kind:     hidden_group_size_z
      - .offset:         162
        .size:           2
        .value_kind:     hidden_remainder_x
      - .offset:         164
        .size:           2
        .value_kind:     hidden_remainder_y
      - .offset:         166
        .size:           2
        .value_kind:     hidden_remainder_z
      - .offset:         184
        .size:           8
        .value_kind:     hidden_global_offset_x
      - .offset:         192
        .size:           8
        .value_kind:     hidden_global_offset_y
      - .offset:         200
        .size:           8
        .value_kind:     hidden_global_offset_z
      - .offset:         208
        .size:           2
        .value_kind:     hidden_grid_dims
    .group_segment_fixed_size: 8192
    .kernarg_segment_align: 8
    .kernarg_segment_size: 400
    .language:       OpenCL C
    .language_version:
      - 2
      - 0
    .max_flat_workgroup_size: 256
    .name:           _Z39paged_attention_ll4mi_QKV_mfma16_kernelI14__hip_bfloat16hLN4vllm18Fp8KVCacheDataTypeE1ES0_Li16ELi128ELi256ELb0ELi12EEvPKT_PKT0_S8_ifPKiSA_SA_iPKfiiiPfSD_PS3_PT2_iSC_SC_
    .private_segment_fixed_size: 0
    .sgpr_count:     56
    .sgpr_spill_count: 0
    .symbol:         _Z39paged_attention_ll4mi_QKV_mfma16_kernelI14__hip_bfloat16hLN4vllm18Fp8KVCacheDataTypeE1ES0_Li16ELi128ELi256ELb0ELi12EEvPKT_PKT0_S8_ifPKiSA_SA_iPKfiiiPfSD_PS3_PT2_iSC_SC_.kd
    .uniform_work_group_size: 1
    .uses_dynamic_stack: false
    .vgpr_count:     86
    .vgpr_spill_count: 0
    .wavefront_size: 64
  - .agpr_count:     0
    .args:
      - .actual_access:  read_only
        .address_space:  global
        .offset:         0
        .size:           8
        .value_kind:     global_buffer
      - .actual_access:  read_only
        .address_space:  global
        .offset:         8
        .size:           8
        .value_kind:     global_buffer
      - .actual_access:  read_only
        .address_space:  global
        .offset:         16
        .size:           8
        .value_kind:     global_buffer
      - .offset:         24
        .size:           4
        .value_kind:     by_value
      - .offset:         28
        .size:           4
        .value_kind:     by_value
      - .actual_access:  read_only
        .address_space:  global
        .offset:         32
        .size:           8
        .value_kind:     global_buffer
      - .actual_access:  read_only
        .address_space:  global
        .offset:         40
        .size:           8
        .value_kind:     global_buffer
      - .actual_access:  read_only
        .address_space:  global
        .offset:         48
        .size:           8
        .value_kind:     global_buffer
      - .offset:         56
        .size:           4
        .value_kind:     by_value
      - .actual_access:  read_only
        .address_space:  global
        .offset:         64
        .size:           8
        .value_kind:     global_buffer
      - .offset:         72
        .size:           4
        .value_kind:     by_value
      - .offset:         76
        .size:           4
        .value_kind:     by_value
      - .offset:         80
        .size:           4
        .value_kind:     by_value
      - .actual_access:  write_only
        .address_space:  global
        .offset:         88
        .size:           8
        .value_kind:     global_buffer
      - .actual_access:  write_only
        .address_space:  global
        .offset:         96
        .size:           8
        .value_kind:     global_buffer
      - .actual_access:  write_only
        .address_space:  global
        .offset:         104
        .size:           8
        .value_kind:     global_buffer
      - .actual_access:  read_only
        .address_space:  global
        .offset:         112
        .size:           8
        .value_kind:     global_buffer
      - .offset:         120
        .size:           4
        .value_kind:     by_value
      - .address_space:  global
        .offset:         128
        .size:           8
        .value_kind:     global_buffer
      - .address_space:  global
        .offset:         136
        .size:           8
        .value_kind:     global_buffer
      - .offset:         144
        .size:           4
        .value_kind:     hidden_block_count_x
      - .offset:         148
        .size:           4
        .value_kind:     hidden_block_count_y
      - .offset:         152
        .size:           4
        .value_kind:     hidden_block_count_z
      - .offset:         156
        .size:           2
        .value_kind:     hidden_group_size_x
      - .offset:         158
        .size:           2
        .value_kind:     hidden_group_size_y
      - .offset:         160
        .size:           2
        .value_kind:     hidden_group_size_z
      - .offset:         162
        .size:           2
        .value_kind:     hidden_remainder_x
      - .offset:         164
        .size:           2
        .value_kind:     hidden_remainder_y
      - .offset:         166
        .size:           2
        .value_kind:     hidden_remainder_z
      - .offset:         184
        .size:           8
        .value_kind:     hidden_global_offset_x
      - .offset:         192
        .size:           8
        .value_kind:     hidden_global_offset_y
      - .offset:         200
        .size:           8
        .value_kind:     hidden_global_offset_z
      - .offset:         208
        .size:           2
        .value_kind:     hidden_grid_dims
    .group_segment_fixed_size: 8192
    .kernarg_segment_align: 8
    .kernarg_segment_size: 400
    .language:       OpenCL C
    .language_version:
      - 2
      - 0
    .max_flat_workgroup_size: 256
    .name:           _Z39paged_attention_ll4mi_QKV_mfma16_kernelI14__hip_bfloat16hLN4vllm18Fp8KVCacheDataTypeE1ES0_Li16ELi128ELi256ELb0ELi13EEvPKT_PKT0_S8_ifPKiSA_SA_iPKfiiiPfSD_PS3_PT2_iSC_SC_
    .private_segment_fixed_size: 0
    .sgpr_count:     56
    .sgpr_spill_count: 0
    .symbol:         _Z39paged_attention_ll4mi_QKV_mfma16_kernelI14__hip_bfloat16hLN4vllm18Fp8KVCacheDataTypeE1ES0_Li16ELi128ELi256ELb0ELi13EEvPKT_PKT0_S8_ifPKiSA_SA_iPKfiiiPfSD_PS3_PT2_iSC_SC_.kd
    .uniform_work_group_size: 1
    .uses_dynamic_stack: false
    .vgpr_count:     86
    .vgpr_spill_count: 0
    .wavefront_size: 64
  - .agpr_count:     0
    .args:
      - .actual_access:  read_only
        .address_space:  global
        .offset:         0
        .size:           8
        .value_kind:     global_buffer
      - .actual_access:  read_only
        .address_space:  global
        .offset:         8
        .size:           8
        .value_kind:     global_buffer
      - .actual_access:  read_only
        .address_space:  global
        .offset:         16
        .size:           8
        .value_kind:     global_buffer
      - .offset:         24
        .size:           4
        .value_kind:     by_value
      - .offset:         28
        .size:           4
        .value_kind:     by_value
      - .actual_access:  read_only
        .address_space:  global
        .offset:         32
        .size:           8
        .value_kind:     global_buffer
      - .actual_access:  read_only
        .address_space:  global
        .offset:         40
        .size:           8
        .value_kind:     global_buffer
      - .actual_access:  read_only
        .address_space:  global
        .offset:         48
        .size:           8
        .value_kind:     global_buffer
      - .offset:         56
        .size:           4
        .value_kind:     by_value
      - .actual_access:  read_only
        .address_space:  global
        .offset:         64
        .size:           8
        .value_kind:     global_buffer
      - .offset:         72
        .size:           4
        .value_kind:     by_value
      - .offset:         76
        .size:           4
        .value_kind:     by_value
      - .offset:         80
        .size:           4
        .value_kind:     by_value
      - .actual_access:  write_only
        .address_space:  global
        .offset:         88
        .size:           8
        .value_kind:     global_buffer
      - .actual_access:  write_only
        .address_space:  global
        .offset:         96
        .size:           8
        .value_kind:     global_buffer
      - .actual_access:  write_only
        .address_space:  global
        .offset:         104
        .size:           8
        .value_kind:     global_buffer
      - .actual_access:  read_only
        .address_space:  global
        .offset:         112
        .size:           8
        .value_kind:     global_buffer
      - .offset:         120
        .size:           4
        .value_kind:     by_value
      - .address_space:  global
        .offset:         128
        .size:           8
        .value_kind:     global_buffer
      - .address_space:  global
        .offset:         136
        .size:           8
        .value_kind:     global_buffer
      - .offset:         144
        .size:           4
        .value_kind:     hidden_block_count_x
      - .offset:         148
        .size:           4
        .value_kind:     hidden_block_count_y
      - .offset:         152
        .size:           4
        .value_kind:     hidden_block_count_z
      - .offset:         156
        .size:           2
        .value_kind:     hidden_group_size_x
      - .offset:         158
        .size:           2
        .value_kind:     hidden_group_size_y
      - .offset:         160
        .size:           2
        .value_kind:     hidden_group_size_z
      - .offset:         162
        .size:           2
        .value_kind:     hidden_remainder_x
      - .offset:         164
        .size:           2
        .value_kind:     hidden_remainder_y
      - .offset:         166
        .size:           2
        .value_kind:     hidden_remainder_z
      - .offset:         184
        .size:           8
        .value_kind:     hidden_global_offset_x
      - .offset:         192
        .size:           8
        .value_kind:     hidden_global_offset_y
      - .offset:         200
        .size:           8
        .value_kind:     hidden_global_offset_z
      - .offset:         208
        .size:           2
        .value_kind:     hidden_grid_dims
    .group_segment_fixed_size: 8192
    .kernarg_segment_align: 8
    .kernarg_segment_size: 400
    .language:       OpenCL C
    .language_version:
      - 2
      - 0
    .max_flat_workgroup_size: 256
    .name:           _Z39paged_attention_ll4mi_QKV_mfma16_kernelI14__hip_bfloat16hLN4vllm18Fp8KVCacheDataTypeE1ES0_Li16ELi128ELi256ELb0ELi14EEvPKT_PKT0_S8_ifPKiSA_SA_iPKfiiiPfSD_PS3_PT2_iSC_SC_
    .private_segment_fixed_size: 0
    .sgpr_count:     56
    .sgpr_spill_count: 0
    .symbol:         _Z39paged_attention_ll4mi_QKV_mfma16_kernelI14__hip_bfloat16hLN4vllm18Fp8KVCacheDataTypeE1ES0_Li16ELi128ELi256ELb0ELi14EEvPKT_PKT0_S8_ifPKiSA_SA_iPKfiiiPfSD_PS3_PT2_iSC_SC_.kd
    .uniform_work_group_size: 1
    .uses_dynamic_stack: false
    .vgpr_count:     86
    .vgpr_spill_count: 0
    .wavefront_size: 64
  - .agpr_count:     0
    .args:
      - .actual_access:  read_only
        .address_space:  global
        .offset:         0
        .size:           8
        .value_kind:     global_buffer
      - .actual_access:  read_only
        .address_space:  global
        .offset:         8
        .size:           8
        .value_kind:     global_buffer
      - .actual_access:  read_only
        .address_space:  global
        .offset:         16
        .size:           8
        .value_kind:     global_buffer
      - .offset:         24
        .size:           4
        .value_kind:     by_value
      - .offset:         28
        .size:           4
        .value_kind:     by_value
      - .actual_access:  read_only
        .address_space:  global
        .offset:         32
        .size:           8
        .value_kind:     global_buffer
      - .actual_access:  read_only
        .address_space:  global
        .offset:         40
        .size:           8
        .value_kind:     global_buffer
      - .actual_access:  read_only
        .address_space:  global
        .offset:         48
        .size:           8
        .value_kind:     global_buffer
      - .offset:         56
        .size:           4
        .value_kind:     by_value
      - .actual_access:  read_only
        .address_space:  global
        .offset:         64
        .size:           8
        .value_kind:     global_buffer
      - .offset:         72
        .size:           4
        .value_kind:     by_value
      - .offset:         76
        .size:           4
        .value_kind:     by_value
      - .offset:         80
        .size:           4
        .value_kind:     by_value
      - .actual_access:  write_only
        .address_space:  global
        .offset:         88
        .size:           8
        .value_kind:     global_buffer
      - .actual_access:  write_only
        .address_space:  global
        .offset:         96
        .size:           8
        .value_kind:     global_buffer
      - .actual_access:  write_only
        .address_space:  global
        .offset:         104
        .size:           8
        .value_kind:     global_buffer
      - .actual_access:  read_only
        .address_space:  global
        .offset:         112
        .size:           8
        .value_kind:     global_buffer
      - .offset:         120
        .size:           4
        .value_kind:     by_value
      - .address_space:  global
        .offset:         128
        .size:           8
        .value_kind:     global_buffer
      - .address_space:  global
        .offset:         136
        .size:           8
        .value_kind:     global_buffer
      - .offset:         144
        .size:           4
        .value_kind:     hidden_block_count_x
      - .offset:         148
        .size:           4
        .value_kind:     hidden_block_count_y
      - .offset:         152
        .size:           4
        .value_kind:     hidden_block_count_z
      - .offset:         156
        .size:           2
        .value_kind:     hidden_group_size_x
      - .offset:         158
        .size:           2
        .value_kind:     hidden_group_size_y
      - .offset:         160
        .size:           2
        .value_kind:     hidden_group_size_z
      - .offset:         162
        .size:           2
        .value_kind:     hidden_remainder_x
      - .offset:         164
        .size:           2
        .value_kind:     hidden_remainder_y
      - .offset:         166
        .size:           2
        .value_kind:     hidden_remainder_z
      - .offset:         184
        .size:           8
        .value_kind:     hidden_global_offset_x
      - .offset:         192
        .size:           8
        .value_kind:     hidden_global_offset_y
      - .offset:         200
        .size:           8
        .value_kind:     hidden_global_offset_z
      - .offset:         208
        .size:           2
        .value_kind:     hidden_grid_dims
    .group_segment_fixed_size: 8192
    .kernarg_segment_align: 8
    .kernarg_segment_size: 400
    .language:       OpenCL C
    .language_version:
      - 2
      - 0
    .max_flat_workgroup_size: 256
    .name:           _Z39paged_attention_ll4mi_QKV_mfma16_kernelI14__hip_bfloat16hLN4vllm18Fp8KVCacheDataTypeE1ES0_Li16ELi128ELi256ELb0ELi15EEvPKT_PKT0_S8_ifPKiSA_SA_iPKfiiiPfSD_PS3_PT2_iSC_SC_
    .private_segment_fixed_size: 0
    .sgpr_count:     56
    .sgpr_spill_count: 0
    .symbol:         _Z39paged_attention_ll4mi_QKV_mfma16_kernelI14__hip_bfloat16hLN4vllm18Fp8KVCacheDataTypeE1ES0_Li16ELi128ELi256ELb0ELi15EEvPKT_PKT0_S8_ifPKiSA_SA_iPKfiiiPfSD_PS3_PT2_iSC_SC_.kd
    .uniform_work_group_size: 1
    .uses_dynamic_stack: false
    .vgpr_count:     88
    .vgpr_spill_count: 0
    .wavefront_size: 64
  - .agpr_count:     0
    .args:
      - .actual_access:  read_only
        .address_space:  global
        .offset:         0
        .size:           8
        .value_kind:     global_buffer
      - .actual_access:  read_only
        .address_space:  global
        .offset:         8
        .size:           8
        .value_kind:     global_buffer
      - .actual_access:  read_only
        .address_space:  global
        .offset:         16
        .size:           8
        .value_kind:     global_buffer
      - .offset:         24
        .size:           4
        .value_kind:     by_value
      - .offset:         28
        .size:           4
        .value_kind:     by_value
      - .actual_access:  read_only
        .address_space:  global
        .offset:         32
        .size:           8
        .value_kind:     global_buffer
      - .actual_access:  read_only
        .address_space:  global
        .offset:         40
        .size:           8
        .value_kind:     global_buffer
      - .actual_access:  read_only
        .address_space:  global
        .offset:         48
        .size:           8
        .value_kind:     global_buffer
      - .offset:         56
        .size:           4
        .value_kind:     by_value
      - .actual_access:  read_only
        .address_space:  global
        .offset:         64
        .size:           8
        .value_kind:     global_buffer
      - .offset:         72
        .size:           4
        .value_kind:     by_value
      - .offset:         76
        .size:           4
        .value_kind:     by_value
      - .offset:         80
        .size:           4
        .value_kind:     by_value
      - .actual_access:  write_only
        .address_space:  global
        .offset:         88
        .size:           8
        .value_kind:     global_buffer
      - .actual_access:  write_only
        .address_space:  global
        .offset:         96
        .size:           8
        .value_kind:     global_buffer
      - .actual_access:  write_only
        .address_space:  global
        .offset:         104
        .size:           8
        .value_kind:     global_buffer
      - .actual_access:  read_only
        .address_space:  global
        .offset:         112
        .size:           8
        .value_kind:     global_buffer
      - .offset:         120
        .size:           4
        .value_kind:     by_value
      - .address_space:  global
        .offset:         128
        .size:           8
        .value_kind:     global_buffer
      - .address_space:  global
        .offset:         136
        .size:           8
        .value_kind:     global_buffer
      - .offset:         144
        .size:           4
        .value_kind:     hidden_block_count_x
      - .offset:         148
        .size:           4
        .value_kind:     hidden_block_count_y
      - .offset:         152
        .size:           4
        .value_kind:     hidden_block_count_z
      - .offset:         156
        .size:           2
        .value_kind:     hidden_group_size_x
      - .offset:         158
        .size:           2
        .value_kind:     hidden_group_size_y
      - .offset:         160
        .size:           2
        .value_kind:     hidden_group_size_z
      - .offset:         162
        .size:           2
        .value_kind:     hidden_remainder_x
      - .offset:         164
        .size:           2
        .value_kind:     hidden_remainder_y
      - .offset:         166
        .size:           2
        .value_kind:     hidden_remainder_z
      - .offset:         184
        .size:           8
        .value_kind:     hidden_global_offset_x
      - .offset:         192
        .size:           8
        .value_kind:     hidden_global_offset_y
      - .offset:         200
        .size:           8
        .value_kind:     hidden_global_offset_z
      - .offset:         208
        .size:           2
        .value_kind:     hidden_grid_dims
    .group_segment_fixed_size: 8192
    .kernarg_segment_align: 8
    .kernarg_segment_size: 400
    .language:       OpenCL C
    .language_version:
      - 2
      - 0
    .max_flat_workgroup_size: 256
    .name:           _Z39paged_attention_ll4mi_QKV_mfma16_kernelI14__hip_bfloat16hLN4vllm18Fp8KVCacheDataTypeE1ES0_Li16ELi128ELi256ELb0ELi16EEvPKT_PKT0_S8_ifPKiSA_SA_iPKfiiiPfSD_PS3_PT2_iSC_SC_
    .private_segment_fixed_size: 0
    .sgpr_count:     53
    .sgpr_spill_count: 0
    .symbol:         _Z39paged_attention_ll4mi_QKV_mfma16_kernelI14__hip_bfloat16hLN4vllm18Fp8KVCacheDataTypeE1ES0_Li16ELi128ELi256ELb0ELi16EEvPKT_PKT0_S8_ifPKiSA_SA_iPKfiiiPfSD_PS3_PT2_iSC_SC_.kd
    .uniform_work_group_size: 1
    .uses_dynamic_stack: false
    .vgpr_count:     92
    .vgpr_spill_count: 0
    .wavefront_size: 64
  - .agpr_count:     0
    .args:
      - .actual_access:  read_only
        .address_space:  global
        .offset:         0
        .size:           8
        .value_kind:     global_buffer
      - .actual_access:  read_only
        .address_space:  global
        .offset:         8
        .size:           8
        .value_kind:     global_buffer
      - .actual_access:  read_only
        .address_space:  global
        .offset:         16
        .size:           8
        .value_kind:     global_buffer
      - .offset:         24
        .size:           4
        .value_kind:     by_value
      - .offset:         28
        .size:           4
        .value_kind:     by_value
      - .actual_access:  read_only
        .address_space:  global
        .offset:         32
        .size:           8
        .value_kind:     global_buffer
      - .actual_access:  read_only
        .address_space:  global
        .offset:         40
        .size:           8
        .value_kind:     global_buffer
      - .actual_access:  read_only
        .address_space:  global
        .offset:         48
        .size:           8
        .value_kind:     global_buffer
      - .offset:         56
        .size:           4
        .value_kind:     by_value
      - .actual_access:  read_only
        .address_space:  global
        .offset:         64
        .size:           8
        .value_kind:     global_buffer
      - .offset:         72
        .size:           4
        .value_kind:     by_value
      - .offset:         76
        .size:           4
        .value_kind:     by_value
      - .offset:         80
        .size:           4
        .value_kind:     by_value
      - .actual_access:  write_only
        .address_space:  global
        .offset:         88
        .size:           8
        .value_kind:     global_buffer
      - .actual_access:  write_only
        .address_space:  global
        .offset:         96
        .size:           8
        .value_kind:     global_buffer
      - .actual_access:  write_only
        .address_space:  global
        .offset:         104
        .size:           8
        .value_kind:     global_buffer
      - .actual_access:  read_only
        .address_space:  global
        .offset:         112
        .size:           8
        .value_kind:     global_buffer
      - .offset:         120
        .size:           4
        .value_kind:     by_value
      - .address_space:  global
        .offset:         128
        .size:           8
        .value_kind:     global_buffer
      - .address_space:  global
        .offset:         136
        .size:           8
        .value_kind:     global_buffer
      - .offset:         144
        .size:           4
        .value_kind:     hidden_block_count_x
      - .offset:         148
        .size:           4
        .value_kind:     hidden_block_count_y
      - .offset:         152
        .size:           4
        .value_kind:     hidden_block_count_z
      - .offset:         156
        .size:           2
        .value_kind:     hidden_group_size_x
      - .offset:         158
        .size:           2
        .value_kind:     hidden_group_size_y
      - .offset:         160
        .size:           2
        .value_kind:     hidden_group_size_z
      - .offset:         162
        .size:           2
        .value_kind:     hidden_remainder_x
      - .offset:         164
        .size:           2
        .value_kind:     hidden_remainder_y
      - .offset:         166
        .size:           2
        .value_kind:     hidden_remainder_z
      - .offset:         184
        .size:           8
        .value_kind:     hidden_global_offset_x
      - .offset:         192
        .size:           8
        .value_kind:     hidden_global_offset_y
      - .offset:         200
        .size:           8
        .value_kind:     hidden_global_offset_z
      - .offset:         208
        .size:           2
        .value_kind:     hidden_grid_dims
    .group_segment_fixed_size: 8192
    .kernarg_segment_align: 8
    .kernarg_segment_size: 400
    .language:       OpenCL C
    .language_version:
      - 2
      - 0
    .max_flat_workgroup_size: 256
    .name:           _Z39paged_attention_ll4mi_QKV_mfma16_kernelI14__hip_bfloat16hLN4vllm18Fp8KVCacheDataTypeE1ES0_Li16ELi128ELi256ELb0ELi1EEvPKT_PKT0_S8_ifPKiSA_SA_iPKfiiiPfSD_PS3_PT2_iSC_SC_
    .private_segment_fixed_size: 0
    .sgpr_count:     54
    .sgpr_spill_count: 0
    .symbol:         _Z39paged_attention_ll4mi_QKV_mfma16_kernelI14__hip_bfloat16hLN4vllm18Fp8KVCacheDataTypeE1ES0_Li16ELi128ELi256ELb0ELi1EEvPKT_PKT0_S8_ifPKiSA_SA_iPKfiiiPfSD_PS3_PT2_iSC_SC_.kd
    .uniform_work_group_size: 1
    .uses_dynamic_stack: false
    .vgpr_count:     78
    .vgpr_spill_count: 0
    .wavefront_size: 64
  - .agpr_count:     0
    .args:
      - .actual_access:  read_only
        .address_space:  global
        .offset:         0
        .size:           8
        .value_kind:     global_buffer
      - .actual_access:  read_only
        .address_space:  global
        .offset:         8
        .size:           8
        .value_kind:     global_buffer
      - .actual_access:  read_only
        .address_space:  global
        .offset:         16
        .size:           8
        .value_kind:     global_buffer
      - .offset:         24
        .size:           4
        .value_kind:     by_value
      - .offset:         28
        .size:           4
        .value_kind:     by_value
      - .actual_access:  read_only
        .address_space:  global
        .offset:         32
        .size:           8
        .value_kind:     global_buffer
      - .actual_access:  read_only
        .address_space:  global
        .offset:         40
        .size:           8
        .value_kind:     global_buffer
      - .actual_access:  read_only
        .address_space:  global
        .offset:         48
        .size:           8
        .value_kind:     global_buffer
      - .offset:         56
        .size:           4
        .value_kind:     by_value
      - .actual_access:  read_only
        .address_space:  global
        .offset:         64
        .size:           8
        .value_kind:     global_buffer
      - .offset:         72
        .size:           4
        .value_kind:     by_value
      - .offset:         76
        .size:           4
        .value_kind:     by_value
      - .offset:         80
        .size:           4
        .value_kind:     by_value
      - .actual_access:  write_only
        .address_space:  global
        .offset:         88
        .size:           8
        .value_kind:     global_buffer
      - .actual_access:  write_only
        .address_space:  global
        .offset:         96
        .size:           8
        .value_kind:     global_buffer
      - .actual_access:  write_only
        .address_space:  global
        .offset:         104
        .size:           8
        .value_kind:     global_buffer
      - .actual_access:  read_only
        .address_space:  global
        .offset:         112
        .size:           8
        .value_kind:     global_buffer
      - .offset:         120
        .size:           4
        .value_kind:     by_value
      - .address_space:  global
        .offset:         128
        .size:           8
        .value_kind:     global_buffer
      - .address_space:  global
        .offset:         136
        .size:           8
        .value_kind:     global_buffer
      - .offset:         144
        .size:           4
        .value_kind:     hidden_block_count_x
      - .offset:         148
        .size:           4
        .value_kind:     hidden_block_count_y
      - .offset:         152
        .size:           4
        .value_kind:     hidden_block_count_z
      - .offset:         156
        .size:           2
        .value_kind:     hidden_group_size_x
      - .offset:         158
        .size:           2
        .value_kind:     hidden_group_size_y
      - .offset:         160
        .size:           2
        .value_kind:     hidden_group_size_z
      - .offset:         162
        .size:           2
        .value_kind:     hidden_remainder_x
      - .offset:         164
        .size:           2
        .value_kind:     hidden_remainder_y
      - .offset:         166
        .size:           2
        .value_kind:     hidden_remainder_z
      - .offset:         184
        .size:           8
        .value_kind:     hidden_global_offset_x
      - .offset:         192
        .size:           8
        .value_kind:     hidden_global_offset_y
      - .offset:         200
        .size:           8
        .value_kind:     hidden_global_offset_z
      - .offset:         208
        .size:           2
        .value_kind:     hidden_grid_dims
    .group_segment_fixed_size: 8192
    .kernarg_segment_align: 8
    .kernarg_segment_size: 400
    .language:       OpenCL C
    .language_version:
      - 2
      - 0
    .max_flat_workgroup_size: 256
    .name:           _Z39paged_attention_ll4mi_QKV_mfma16_kernelI14__hip_bfloat16hLN4vllm18Fp8KVCacheDataTypeE1ES0_Li16ELi128ELi256ELb0ELi2EEvPKT_PKT0_S8_ifPKiSA_SA_iPKfiiiPfSD_PS3_PT2_iSC_SC_
    .private_segment_fixed_size: 0
    .sgpr_count:     54
    .sgpr_spill_count: 0
    .symbol:         _Z39paged_attention_ll4mi_QKV_mfma16_kernelI14__hip_bfloat16hLN4vllm18Fp8KVCacheDataTypeE1ES0_Li16ELi128ELi256ELb0ELi2EEvPKT_PKT0_S8_ifPKiSA_SA_iPKfiiiPfSD_PS3_PT2_iSC_SC_.kd
    .uniform_work_group_size: 1
    .uses_dynamic_stack: false
    .vgpr_count:     90
    .vgpr_spill_count: 0
    .wavefront_size: 64
  - .agpr_count:     0
    .args:
      - .actual_access:  read_only
        .address_space:  global
        .offset:         0
        .size:           8
        .value_kind:     global_buffer
      - .actual_access:  read_only
        .address_space:  global
        .offset:         8
        .size:           8
        .value_kind:     global_buffer
      - .actual_access:  read_only
        .address_space:  global
        .offset:         16
        .size:           8
        .value_kind:     global_buffer
      - .offset:         24
        .size:           4
        .value_kind:     by_value
      - .offset:         28
        .size:           4
        .value_kind:     by_value
      - .actual_access:  read_only
        .address_space:  global
        .offset:         32
        .size:           8
        .value_kind:     global_buffer
      - .actual_access:  read_only
        .address_space:  global
        .offset:         40
        .size:           8
        .value_kind:     global_buffer
      - .actual_access:  read_only
        .address_space:  global
        .offset:         48
        .size:           8
        .value_kind:     global_buffer
      - .offset:         56
        .size:           4
        .value_kind:     by_value
      - .actual_access:  read_only
        .address_space:  global
        .offset:         64
        .size:           8
        .value_kind:     global_buffer
      - .offset:         72
        .size:           4
        .value_kind:     by_value
      - .offset:         76
        .size:           4
        .value_kind:     by_value
      - .offset:         80
        .size:           4
        .value_kind:     by_value
      - .actual_access:  write_only
        .address_space:  global
        .offset:         88
        .size:           8
        .value_kind:     global_buffer
      - .actual_access:  write_only
        .address_space:  global
        .offset:         96
        .size:           8
        .value_kind:     global_buffer
      - .actual_access:  write_only
        .address_space:  global
        .offset:         104
        .size:           8
        .value_kind:     global_buffer
      - .actual_access:  read_only
        .address_space:  global
        .offset:         112
        .size:           8
        .value_kind:     global_buffer
      - .offset:         120
        .size:           4
        .value_kind:     by_value
      - .address_space:  global
        .offset:         128
        .size:           8
        .value_kind:     global_buffer
      - .address_space:  global
        .offset:         136
        .size:           8
        .value_kind:     global_buffer
      - .offset:         144
        .size:           4
        .value_kind:     hidden_block_count_x
      - .offset:         148
        .size:           4
        .value_kind:     hidden_block_count_y
      - .offset:         152
        .size:           4
        .value_kind:     hidden_block_count_z
      - .offset:         156
        .size:           2
        .value_kind:     hidden_group_size_x
      - .offset:         158
        .size:           2
        .value_kind:     hidden_group_size_y
      - .offset:         160
        .size:           2
        .value_kind:     hidden_group_size_z
      - .offset:         162
        .size:           2
        .value_kind:     hidden_remainder_x
      - .offset:         164
        .size:           2
        .value_kind:     hidden_remainder_y
      - .offset:         166
        .size:           2
        .value_kind:     hidden_remainder_z
      - .offset:         184
        .size:           8
        .value_kind:     hidden_global_offset_x
      - .offset:         192
        .size:           8
        .value_kind:     hidden_global_offset_y
      - .offset:         200
        .size:           8
        .value_kind:     hidden_global_offset_z
      - .offset:         208
        .size:           2
        .value_kind:     hidden_grid_dims
    .group_segment_fixed_size: 8192
    .kernarg_segment_align: 8
    .kernarg_segment_size: 400
    .language:       OpenCL C
    .language_version:
      - 2
      - 0
    .max_flat_workgroup_size: 256
    .name:           _Z39paged_attention_ll4mi_QKV_mfma16_kernelI14__hip_bfloat16hLN4vllm18Fp8KVCacheDataTypeE1ES0_Li16ELi128ELi256ELb0ELi3EEvPKT_PKT0_S8_ifPKiSA_SA_iPKfiiiPfSD_PS3_PT2_iSC_SC_
    .private_segment_fixed_size: 0
    .sgpr_count:     56
    .sgpr_spill_count: 0
    .symbol:         _Z39paged_attention_ll4mi_QKV_mfma16_kernelI14__hip_bfloat16hLN4vllm18Fp8KVCacheDataTypeE1ES0_Li16ELi128ELi256ELb0ELi3EEvPKT_PKT0_S8_ifPKiSA_SA_iPKfiiiPfSD_PS3_PT2_iSC_SC_.kd
    .uniform_work_group_size: 1
    .uses_dynamic_stack: false
    .vgpr_count:     88
    .vgpr_spill_count: 0
    .wavefront_size: 64
  - .agpr_count:     0
    .args:
      - .actual_access:  read_only
        .address_space:  global
        .offset:         0
        .size:           8
        .value_kind:     global_buffer
      - .actual_access:  read_only
        .address_space:  global
        .offset:         8
        .size:           8
        .value_kind:     global_buffer
      - .actual_access:  read_only
        .address_space:  global
        .offset:         16
        .size:           8
        .value_kind:     global_buffer
      - .offset:         24
        .size:           4
        .value_kind:     by_value
      - .offset:         28
        .size:           4
        .value_kind:     by_value
      - .actual_access:  read_only
        .address_space:  global
        .offset:         32
        .size:           8
        .value_kind:     global_buffer
      - .actual_access:  read_only
        .address_space:  global
        .offset:         40
        .size:           8
        .value_kind:     global_buffer
      - .actual_access:  read_only
        .address_space:  global
        .offset:         48
        .size:           8
        .value_kind:     global_buffer
      - .offset:         56
        .size:           4
        .value_kind:     by_value
      - .actual_access:  read_only
        .address_space:  global
        .offset:         64
        .size:           8
        .value_kind:     global_buffer
      - .offset:         72
        .size:           4
        .value_kind:     by_value
      - .offset:         76
        .size:           4
        .value_kind:     by_value
      - .offset:         80
        .size:           4
        .value_kind:     by_value
      - .actual_access:  write_only
        .address_space:  global
        .offset:         88
        .size:           8
        .value_kind:     global_buffer
      - .actual_access:  write_only
        .address_space:  global
        .offset:         96
        .size:           8
        .value_kind:     global_buffer
      - .actual_access:  write_only
        .address_space:  global
        .offset:         104
        .size:           8
        .value_kind:     global_buffer
      - .actual_access:  read_only
        .address_space:  global
        .offset:         112
        .size:           8
        .value_kind:     global_buffer
      - .offset:         120
        .size:           4
        .value_kind:     by_value
      - .address_space:  global
        .offset:         128
        .size:           8
        .value_kind:     global_buffer
      - .address_space:  global
        .offset:         136
        .size:           8
        .value_kind:     global_buffer
      - .offset:         144
        .size:           4
        .value_kind:     hidden_block_count_x
      - .offset:         148
        .size:           4
        .value_kind:     hidden_block_count_y
      - .offset:         152
        .size:           4
        .value_kind:     hidden_block_count_z
      - .offset:         156
        .size:           2
        .value_kind:     hidden_group_size_x
      - .offset:         158
        .size:           2
        .value_kind:     hidden_group_size_y
      - .offset:         160
        .size:           2
        .value_kind:     hidden_group_size_z
      - .offset:         162
        .size:           2
        .value_kind:     hidden_remainder_x
      - .offset:         164
        .size:           2
        .value_kind:     hidden_remainder_y
      - .offset:         166
        .size:           2
        .value_kind:     hidden_remainder_z
      - .offset:         184
        .size:           8
        .value_kind:     hidden_global_offset_x
      - .offset:         192
        .size:           8
        .value_kind:     hidden_global_offset_y
      - .offset:         200
        .size:           8
        .value_kind:     hidden_global_offset_z
      - .offset:         208
        .size:           2
        .value_kind:     hidden_grid_dims
    .group_segment_fixed_size: 8192
    .kernarg_segment_align: 8
    .kernarg_segment_size: 400
    .language:       OpenCL C
    .language_version:
      - 2
      - 0
    .max_flat_workgroup_size: 256
    .name:           _Z39paged_attention_ll4mi_QKV_mfma16_kernelI14__hip_bfloat16hLN4vllm18Fp8KVCacheDataTypeE1ES0_Li16ELi128ELi256ELb0ELi4EEvPKT_PKT0_S8_ifPKiSA_SA_iPKfiiiPfSD_PS3_PT2_iSC_SC_
    .private_segment_fixed_size: 0
    .sgpr_count:     55
    .sgpr_spill_count: 0
    .symbol:         _Z39paged_attention_ll4mi_QKV_mfma16_kernelI14__hip_bfloat16hLN4vllm18Fp8KVCacheDataTypeE1ES0_Li16ELi128ELi256ELb0ELi4EEvPKT_PKT0_S8_ifPKiSA_SA_iPKfiiiPfSD_PS3_PT2_iSC_SC_.kd
    .uniform_work_group_size: 1
    .uses_dynamic_stack: false
    .vgpr_count:     92
    .vgpr_spill_count: 0
    .wavefront_size: 64
  - .agpr_count:     4
    .args:
      - .actual_access:  read_only
        .address_space:  global
        .offset:         0
        .size:           8
        .value_kind:     global_buffer
      - .actual_access:  read_only
        .address_space:  global
        .offset:         8
        .size:           8
        .value_kind:     global_buffer
      - .actual_access:  read_only
        .address_space:  global
        .offset:         16
        .size:           8
        .value_kind:     global_buffer
      - .offset:         24
        .size:           4
        .value_kind:     by_value
      - .offset:         28
        .size:           4
        .value_kind:     by_value
      - .actual_access:  read_only
        .address_space:  global
        .offset:         32
        .size:           8
        .value_kind:     global_buffer
      - .actual_access:  read_only
        .address_space:  global
        .offset:         40
        .size:           8
        .value_kind:     global_buffer
      - .actual_access:  read_only
        .address_space:  global
        .offset:         48
        .size:           8
        .value_kind:     global_buffer
      - .offset:         56
        .size:           4
        .value_kind:     by_value
      - .actual_access:  read_only
        .address_space:  global
        .offset:         64
        .size:           8
        .value_kind:     global_buffer
      - .offset:         72
        .size:           4
        .value_kind:     by_value
      - .offset:         76
        .size:           4
        .value_kind:     by_value
      - .offset:         80
        .size:           4
        .value_kind:     by_value
      - .actual_access:  write_only
        .address_space:  global
        .offset:         88
        .size:           8
        .value_kind:     global_buffer
      - .actual_access:  write_only
        .address_space:  global
        .offset:         96
        .size:           8
        .value_kind:     global_buffer
      - .actual_access:  write_only
        .address_space:  global
        .offset:         104
        .size:           8
        .value_kind:     global_buffer
      - .actual_access:  read_only
        .address_space:  global
        .offset:         112
        .size:           8
        .value_kind:     global_buffer
      - .offset:         120
        .size:           4
        .value_kind:     by_value
      - .address_space:  global
        .offset:         128
        .size:           8
        .value_kind:     global_buffer
      - .address_space:  global
        .offset:         136
        .size:           8
        .value_kind:     global_buffer
      - .offset:         144
        .size:           4
        .value_kind:     hidden_block_count_x
      - .offset:         148
        .size:           4
        .value_kind:     hidden_block_count_y
      - .offset:         152
        .size:           4
        .value_kind:     hidden_block_count_z
      - .offset:         156
        .size:           2
        .value_kind:     hidden_group_size_x
      - .offset:         158
        .size:           2
        .value_kind:     hidden_group_size_y
      - .offset:         160
        .size:           2
        .value_kind:     hidden_group_size_z
      - .offset:         162
        .size:           2
        .value_kind:     hidden_remainder_x
      - .offset:         164
        .size:           2
        .value_kind:     hidden_remainder_y
      - .offset:         166
        .size:           2
        .value_kind:     hidden_remainder_z
      - .offset:         184
        .size:           8
        .value_kind:     hidden_global_offset_x
      - .offset:         192
        .size:           8
        .value_kind:     hidden_global_offset_y
      - .offset:         200
        .size:           8
        .value_kind:     hidden_global_offset_z
      - .offset:         208
        .size:           2
        .value_kind:     hidden_grid_dims
    .group_segment_fixed_size: 5280
    .kernarg_segment_align: 8
    .kernarg_segment_size: 400
    .language:       OpenCL C
    .language_version:
      - 2
      - 0
    .max_flat_workgroup_size: 256
    .name:           _Z38paged_attention_ll4mi_QKV_mfma4_kernelI14__hip_bfloat16hLN4vllm18Fp8KVCacheDataTypeE1EhLi32ELi128ELi256ELb1ELi1EEvPKT_PKT0_S8_ifPKiSA_SA_iPKfiiiPfSD_PS3_PT2_iSC_SC_
    .private_segment_fixed_size: 0
    .sgpr_count:     48
    .sgpr_spill_count: 0
    .symbol:         _Z38paged_attention_ll4mi_QKV_mfma4_kernelI14__hip_bfloat16hLN4vllm18Fp8KVCacheDataTypeE1EhLi32ELi128ELi256ELb1ELi1EEvPKT_PKT0_S8_ifPKiSA_SA_iPKfiiiPfSD_PS3_PT2_iSC_SC_.kd
    .uniform_work_group_size: 1
    .uses_dynamic_stack: false
    .vgpr_count:     60
    .vgpr_spill_count: 0
    .wavefront_size: 64
  - .agpr_count:     4
    .args:
      - .actual_access:  read_only
        .address_space:  global
        .offset:         0
        .size:           8
        .value_kind:     global_buffer
      - .actual_access:  read_only
        .address_space:  global
        .offset:         8
        .size:           8
        .value_kind:     global_buffer
      - .actual_access:  read_only
        .address_space:  global
        .offset:         16
        .size:           8
        .value_kind:     global_buffer
      - .offset:         24
        .size:           4
        .value_kind:     by_value
      - .offset:         28
        .size:           4
        .value_kind:     by_value
      - .actual_access:  read_only
        .address_space:  global
        .offset:         32
        .size:           8
        .value_kind:     global_buffer
      - .actual_access:  read_only
        .address_space:  global
        .offset:         40
        .size:           8
        .value_kind:     global_buffer
      - .actual_access:  read_only
        .address_space:  global
        .offset:         48
        .size:           8
        .value_kind:     global_buffer
      - .offset:         56
        .size:           4
        .value_kind:     by_value
      - .actual_access:  read_only
        .address_space:  global
        .offset:         64
        .size:           8
        .value_kind:     global_buffer
      - .offset:         72
        .size:           4
        .value_kind:     by_value
      - .offset:         76
        .size:           4
        .value_kind:     by_value
      - .offset:         80
        .size:           4
        .value_kind:     by_value
      - .actual_access:  write_only
        .address_space:  global
        .offset:         88
        .size:           8
        .value_kind:     global_buffer
      - .actual_access:  write_only
        .address_space:  global
        .offset:         96
        .size:           8
        .value_kind:     global_buffer
      - .actual_access:  write_only
        .address_space:  global
        .offset:         104
        .size:           8
        .value_kind:     global_buffer
      - .actual_access:  read_only
        .address_space:  global
        .offset:         112
        .size:           8
        .value_kind:     global_buffer
      - .offset:         120
        .size:           4
        .value_kind:     by_value
      - .address_space:  global
        .offset:         128
        .size:           8
        .value_kind:     global_buffer
      - .address_space:  global
        .offset:         136
        .size:           8
        .value_kind:     global_buffer
      - .offset:         144
        .size:           4
        .value_kind:     hidden_block_count_x
      - .offset:         148
        .size:           4
        .value_kind:     hidden_block_count_y
      - .offset:         152
        .size:           4
        .value_kind:     hidden_block_count_z
      - .offset:         156
        .size:           2
        .value_kind:     hidden_group_size_x
      - .offset:         158
        .size:           2
        .value_kind:     hidden_group_size_y
      - .offset:         160
        .size:           2
        .value_kind:     hidden_group_size_z
      - .offset:         162
        .size:           2
        .value_kind:     hidden_remainder_x
      - .offset:         164
        .size:           2
        .value_kind:     hidden_remainder_y
      - .offset:         166
        .size:           2
        .value_kind:     hidden_remainder_z
      - .offset:         184
        .size:           8
        .value_kind:     hidden_global_offset_x
      - .offset:         192
        .size:           8
        .value_kind:     hidden_global_offset_y
      - .offset:         200
        .size:           8
        .value_kind:     hidden_global_offset_z
      - .offset:         208
        .size:           2
        .value_kind:     hidden_grid_dims
    .group_segment_fixed_size: 5280
    .kernarg_segment_align: 8
    .kernarg_segment_size: 400
    .language:       OpenCL C
    .language_version:
      - 2
      - 0
    .max_flat_workgroup_size: 256
    .name:           _Z38paged_attention_ll4mi_QKV_mfma4_kernelI14__hip_bfloat16hLN4vllm18Fp8KVCacheDataTypeE1EhLi32ELi128ELi256ELb1ELi2EEvPKT_PKT0_S8_ifPKiSA_SA_iPKfiiiPfSD_PS3_PT2_iSC_SC_
    .private_segment_fixed_size: 0
    .sgpr_count:     50
    .sgpr_spill_count: 0
    .symbol:         _Z38paged_attention_ll4mi_QKV_mfma4_kernelI14__hip_bfloat16hLN4vllm18Fp8KVCacheDataTypeE1EhLi32ELi128ELi256ELb1ELi2EEvPKT_PKT0_S8_ifPKiSA_SA_iPKfiiiPfSD_PS3_PT2_iSC_SC_.kd
    .uniform_work_group_size: 1
    .uses_dynamic_stack: false
    .vgpr_count:     60
    .vgpr_spill_count: 0
    .wavefront_size: 64
  - .agpr_count:     4
    .args:
      - .actual_access:  read_only
        .address_space:  global
        .offset:         0
        .size:           8
        .value_kind:     global_buffer
      - .actual_access:  read_only
        .address_space:  global
        .offset:         8
        .size:           8
        .value_kind:     global_buffer
      - .actual_access:  read_only
        .address_space:  global
        .offset:         16
        .size:           8
        .value_kind:     global_buffer
      - .offset:         24
        .size:           4
        .value_kind:     by_value
      - .offset:         28
        .size:           4
        .value_kind:     by_value
      - .actual_access:  read_only
        .address_space:  global
        .offset:         32
        .size:           8
        .value_kind:     global_buffer
      - .actual_access:  read_only
        .address_space:  global
        .offset:         40
        .size:           8
        .value_kind:     global_buffer
      - .actual_access:  read_only
        .address_space:  global
        .offset:         48
        .size:           8
        .value_kind:     global_buffer
      - .offset:         56
        .size:           4
        .value_kind:     by_value
      - .actual_access:  read_only
        .address_space:  global
        .offset:         64
        .size:           8
        .value_kind:     global_buffer
      - .offset:         72
        .size:           4
        .value_kind:     by_value
      - .offset:         76
        .size:           4
        .value_kind:     by_value
      - .offset:         80
        .size:           4
        .value_kind:     by_value
      - .actual_access:  write_only
        .address_space:  global
        .offset:         88
        .size:           8
        .value_kind:     global_buffer
      - .actual_access:  write_only
        .address_space:  global
        .offset:         96
        .size:           8
        .value_kind:     global_buffer
      - .actual_access:  write_only
        .address_space:  global
        .offset:         104
        .size:           8
        .value_kind:     global_buffer
      - .actual_access:  read_only
        .address_space:  global
        .offset:         112
        .size:           8
        .value_kind:     global_buffer
      - .offset:         120
        .size:           4
        .value_kind:     by_value
      - .address_space:  global
        .offset:         128
        .size:           8
        .value_kind:     global_buffer
      - .address_space:  global
        .offset:         136
        .size:           8
        .value_kind:     global_buffer
      - .offset:         144
        .size:           4
        .value_kind:     hidden_block_count_x
      - .offset:         148
        .size:           4
        .value_kind:     hidden_block_count_y
      - .offset:         152
        .size:           4
        .value_kind:     hidden_block_count_z
      - .offset:         156
        .size:           2
        .value_kind:     hidden_group_size_x
      - .offset:         158
        .size:           2
        .value_kind:     hidden_group_size_y
      - .offset:         160
        .size:           2
        .value_kind:     hidden_group_size_z
      - .offset:         162
        .size:           2
        .value_kind:     hidden_remainder_x
      - .offset:         164
        .size:           2
        .value_kind:     hidden_remainder_y
      - .offset:         166
        .size:           2
        .value_kind:     hidden_remainder_z
      - .offset:         184
        .size:           8
        .value_kind:     hidden_global_offset_x
      - .offset:         192
        .size:           8
        .value_kind:     hidden_global_offset_y
      - .offset:         200
        .size:           8
        .value_kind:     hidden_global_offset_z
      - .offset:         208
        .size:           2
        .value_kind:     hidden_grid_dims
    .group_segment_fixed_size: 5280
    .kernarg_segment_align: 8
    .kernarg_segment_size: 400
    .language:       OpenCL C
    .language_version:
      - 2
      - 0
    .max_flat_workgroup_size: 256
    .name:           _Z38paged_attention_ll4mi_QKV_mfma4_kernelI14__hip_bfloat16hLN4vllm18Fp8KVCacheDataTypeE1EhLi32ELi128ELi256ELb1ELi3EEvPKT_PKT0_S8_ifPKiSA_SA_iPKfiiiPfSD_PS3_PT2_iSC_SC_
    .private_segment_fixed_size: 0
    .sgpr_count:     50
    .sgpr_spill_count: 0
    .symbol:         _Z38paged_attention_ll4mi_QKV_mfma4_kernelI14__hip_bfloat16hLN4vllm18Fp8KVCacheDataTypeE1EhLi32ELi128ELi256ELb1ELi3EEvPKT_PKT0_S8_ifPKiSA_SA_iPKfiiiPfSD_PS3_PT2_iSC_SC_.kd
    .uniform_work_group_size: 1
    .uses_dynamic_stack: false
    .vgpr_count:     60
    .vgpr_spill_count: 0
    .wavefront_size: 64
  - .agpr_count:     4
    .args:
      - .actual_access:  read_only
        .address_space:  global
        .offset:         0
        .size:           8
        .value_kind:     global_buffer
      - .actual_access:  read_only
        .address_space:  global
        .offset:         8
        .size:           8
        .value_kind:     global_buffer
      - .actual_access:  read_only
        .address_space:  global
        .offset:         16
        .size:           8
        .value_kind:     global_buffer
      - .offset:         24
        .size:           4
        .value_kind:     by_value
      - .offset:         28
        .size:           4
        .value_kind:     by_value
      - .actual_access:  read_only
        .address_space:  global
        .offset:         32
        .size:           8
        .value_kind:     global_buffer
      - .actual_access:  read_only
        .address_space:  global
        .offset:         40
        .size:           8
        .value_kind:     global_buffer
      - .actual_access:  read_only
        .address_space:  global
        .offset:         48
        .size:           8
        .value_kind:     global_buffer
      - .offset:         56
        .size:           4
        .value_kind:     by_value
      - .actual_access:  read_only
        .address_space:  global
        .offset:         64
        .size:           8
        .value_kind:     global_buffer
      - .offset:         72
        .size:           4
        .value_kind:     by_value
      - .offset:         76
        .size:           4
        .value_kind:     by_value
      - .offset:         80
        .size:           4
        .value_kind:     by_value
      - .actual_access:  write_only
        .address_space:  global
        .offset:         88
        .size:           8
        .value_kind:     global_buffer
      - .actual_access:  write_only
        .address_space:  global
        .offset:         96
        .size:           8
        .value_kind:     global_buffer
      - .actual_access:  write_only
        .address_space:  global
        .offset:         104
        .size:           8
        .value_kind:     global_buffer
      - .actual_access:  read_only
        .address_space:  global
        .offset:         112
        .size:           8
        .value_kind:     global_buffer
      - .offset:         120
        .size:           4
        .value_kind:     by_value
      - .address_space:  global
        .offset:         128
        .size:           8
        .value_kind:     global_buffer
      - .address_space:  global
        .offset:         136
        .size:           8
        .value_kind:     global_buffer
      - .offset:         144
        .size:           4
        .value_kind:     hidden_block_count_x
      - .offset:         148
        .size:           4
        .value_kind:     hidden_block_count_y
      - .offset:         152
        .size:           4
        .value_kind:     hidden_block_count_z
      - .offset:         156
        .size:           2
        .value_kind:     hidden_group_size_x
      - .offset:         158
        .size:           2
        .value_kind:     hidden_group_size_y
      - .offset:         160
        .size:           2
        .value_kind:     hidden_group_size_z
      - .offset:         162
        .size:           2
        .value_kind:     hidden_remainder_x
      - .offset:         164
        .size:           2
        .value_kind:     hidden_remainder_y
      - .offset:         166
        .size:           2
        .value_kind:     hidden_remainder_z
      - .offset:         184
        .size:           8
        .value_kind:     hidden_global_offset_x
      - .offset:         192
        .size:           8
        .value_kind:     hidden_global_offset_y
      - .offset:         200
        .size:           8
        .value_kind:     hidden_global_offset_z
      - .offset:         208
        .size:           2
        .value_kind:     hidden_grid_dims
    .group_segment_fixed_size: 5280
    .kernarg_segment_align: 8
    .kernarg_segment_size: 400
    .language:       OpenCL C
    .language_version:
      - 2
      - 0
    .max_flat_workgroup_size: 256
    .name:           _Z38paged_attention_ll4mi_QKV_mfma4_kernelI14__hip_bfloat16hLN4vllm18Fp8KVCacheDataTypeE1EhLi32ELi128ELi256ELb1ELi4EEvPKT_PKT0_S8_ifPKiSA_SA_iPKfiiiPfSD_PS3_PT2_iSC_SC_
    .private_segment_fixed_size: 0
    .sgpr_count:     51
    .sgpr_spill_count: 0
    .symbol:         _Z38paged_attention_ll4mi_QKV_mfma4_kernelI14__hip_bfloat16hLN4vllm18Fp8KVCacheDataTypeE1EhLi32ELi128ELi256ELb1ELi4EEvPKT_PKT0_S8_ifPKiSA_SA_iPKfiiiPfSD_PS3_PT2_iSC_SC_.kd
    .uniform_work_group_size: 1
    .uses_dynamic_stack: false
    .vgpr_count:     92
    .vgpr_spill_count: 0
    .wavefront_size: 64
  - .agpr_count:     0
    .args:
      - .actual_access:  read_only
        .address_space:  global
        .offset:         0
        .size:           8
        .value_kind:     global_buffer
      - .actual_access:  read_only
        .address_space:  global
        .offset:         8
        .size:           8
        .value_kind:     global_buffer
      - .actual_access:  read_only
        .address_space:  global
        .offset:         16
        .size:           8
        .value_kind:     global_buffer
      - .offset:         24
        .size:           4
        .value_kind:     by_value
      - .offset:         28
        .size:           4
        .value_kind:     by_value
      - .actual_access:  read_only
        .address_space:  global
        .offset:         32
        .size:           8
        .value_kind:     global_buffer
      - .actual_access:  read_only
        .address_space:  global
        .offset:         40
        .size:           8
        .value_kind:     global_buffer
      - .actual_access:  read_only
        .address_space:  global
        .offset:         48
        .size:           8
        .value_kind:     global_buffer
      - .offset:         56
        .size:           4
        .value_kind:     by_value
      - .actual_access:  read_only
        .address_space:  global
        .offset:         64
        .size:           8
        .value_kind:     global_buffer
      - .offset:         72
        .size:           4
        .value_kind:     by_value
      - .offset:         76
        .size:           4
        .value_kind:     by_value
      - .offset:         80
        .size:           4
        .value_kind:     by_value
      - .actual_access:  write_only
        .address_space:  global
        .offset:         88
        .size:           8
        .value_kind:     global_buffer
      - .actual_access:  write_only
        .address_space:  global
        .offset:         96
        .size:           8
        .value_kind:     global_buffer
      - .actual_access:  write_only
        .address_space:  global
        .offset:         104
        .size:           8
        .value_kind:     global_buffer
      - .actual_access:  read_only
        .address_space:  global
        .offset:         112
        .size:           8
        .value_kind:     global_buffer
      - .offset:         120
        .size:           4
        .value_kind:     by_value
      - .address_space:  global
        .offset:         128
        .size:           8
        .value_kind:     global_buffer
      - .address_space:  global
        .offset:         136
        .size:           8
        .value_kind:     global_buffer
      - .offset:         144
        .size:           4
        .value_kind:     hidden_block_count_x
      - .offset:         148
        .size:           4
        .value_kind:     hidden_block_count_y
      - .offset:         152
        .size:           4
        .value_kind:     hidden_block_count_z
      - .offset:         156
        .size:           2
        .value_kind:     hidden_group_size_x
      - .offset:         158
        .size:           2
        .value_kind:     hidden_group_size_y
      - .offset:         160
        .size:           2
        .value_kind:     hidden_group_size_z
      - .offset:         162
        .size:           2
        .value_kind:     hidden_remainder_x
      - .offset:         164
        .size:           2
        .value_kind:     hidden_remainder_y
      - .offset:         166
        .size:           2
        .value_kind:     hidden_remainder_z
      - .offset:         184
        .size:           8
        .value_kind:     hidden_global_offset_x
      - .offset:         192
        .size:           8
        .value_kind:     hidden_global_offset_y
      - .offset:         200
        .size:           8
        .value_kind:     hidden_global_offset_z
      - .offset:         208
        .size:           2
        .value_kind:     hidden_grid_dims
    .group_segment_fixed_size: 8192
    .kernarg_segment_align: 8
    .kernarg_segment_size: 400
    .language:       OpenCL C
    .language_version:
      - 2
      - 0
    .max_flat_workgroup_size: 256
    .name:           _Z39paged_attention_ll4mi_QKV_mfma16_kernelI14__hip_bfloat16hLN4vllm18Fp8KVCacheDataTypeE1EhLi32ELi128ELi256ELb1ELi5EEvPKT_PKT0_S8_ifPKiSA_SA_iPKfiiiPfSD_PS3_PT2_iSC_SC_
    .private_segment_fixed_size: 0
    .sgpr_count:     56
    .sgpr_spill_count: 0
    .symbol:         _Z39paged_attention_ll4mi_QKV_mfma16_kernelI14__hip_bfloat16hLN4vllm18Fp8KVCacheDataTypeE1EhLi32ELi128ELi256ELb1ELi5EEvPKT_PKT0_S8_ifPKiSA_SA_iPKfiiiPfSD_PS3_PT2_iSC_SC_.kd
    .uniform_work_group_size: 1
    .uses_dynamic_stack: false
    .vgpr_count:     78
    .vgpr_spill_count: 0
    .wavefront_size: 64
  - .agpr_count:     0
    .args:
      - .actual_access:  read_only
        .address_space:  global
        .offset:         0
        .size:           8
        .value_kind:     global_buffer
      - .actual_access:  read_only
        .address_space:  global
        .offset:         8
        .size:           8
        .value_kind:     global_buffer
      - .actual_access:  read_only
        .address_space:  global
        .offset:         16
        .size:           8
        .value_kind:     global_buffer
      - .offset:         24
        .size:           4
        .value_kind:     by_value
      - .offset:         28
        .size:           4
        .value_kind:     by_value
      - .actual_access:  read_only
        .address_space:  global
        .offset:         32
        .size:           8
        .value_kind:     global_buffer
      - .actual_access:  read_only
        .address_space:  global
        .offset:         40
        .size:           8
        .value_kind:     global_buffer
      - .actual_access:  read_only
        .address_space:  global
        .offset:         48
        .size:           8
        .value_kind:     global_buffer
      - .offset:         56
        .size:           4
        .value_kind:     by_value
      - .actual_access:  read_only
        .address_space:  global
        .offset:         64
        .size:           8
        .value_kind:     global_buffer
      - .offset:         72
        .size:           4
        .value_kind:     by_value
      - .offset:         76
        .size:           4
        .value_kind:     by_value
      - .offset:         80
        .size:           4
        .value_kind:     by_value
      - .actual_access:  write_only
        .address_space:  global
        .offset:         88
        .size:           8
        .value_kind:     global_buffer
      - .actual_access:  write_only
        .address_space:  global
        .offset:         96
        .size:           8
        .value_kind:     global_buffer
      - .actual_access:  write_only
        .address_space:  global
        .offset:         104
        .size:           8
        .value_kind:     global_buffer
      - .actual_access:  read_only
        .address_space:  global
        .offset:         112
        .size:           8
        .value_kind:     global_buffer
      - .offset:         120
        .size:           4
        .value_kind:     by_value
      - .address_space:  global
        .offset:         128
        .size:           8
        .value_kind:     global_buffer
      - .address_space:  global
        .offset:         136
        .size:           8
        .value_kind:     global_buffer
      - .offset:         144
        .size:           4
        .value_kind:     hidden_block_count_x
      - .offset:         148
        .size:           4
        .value_kind:     hidden_block_count_y
      - .offset:         152
        .size:           4
        .value_kind:     hidden_block_count_z
      - .offset:         156
        .size:           2
        .value_kind:     hidden_group_size_x
      - .offset:         158
        .size:           2
        .value_kind:     hidden_group_size_y
      - .offset:         160
        .size:           2
        .value_kind:     hidden_group_size_z
      - .offset:         162
        .size:           2
        .value_kind:     hidden_remainder_x
      - .offset:         164
        .size:           2
        .value_kind:     hidden_remainder_y
      - .offset:         166
        .size:           2
        .value_kind:     hidden_remainder_z
      - .offset:         184
        .size:           8
        .value_kind:     hidden_global_offset_x
      - .offset:         192
        .size:           8
        .value_kind:     hidden_global_offset_y
      - .offset:         200
        .size:           8
        .value_kind:     hidden_global_offset_z
      - .offset:         208
        .size:           2
        .value_kind:     hidden_grid_dims
    .group_segment_fixed_size: 8192
    .kernarg_segment_align: 8
    .kernarg_segment_size: 400
    .language:       OpenCL C
    .language_version:
      - 2
      - 0
    .max_flat_workgroup_size: 256
    .name:           _Z39paged_attention_ll4mi_QKV_mfma16_kernelI14__hip_bfloat16hLN4vllm18Fp8KVCacheDataTypeE1EhLi32ELi128ELi256ELb1ELi6EEvPKT_PKT0_S8_ifPKiSA_SA_iPKfiiiPfSD_PS3_PT2_iSC_SC_
    .private_segment_fixed_size: 0
    .sgpr_count:     56
    .sgpr_spill_count: 0
    .symbol:         _Z39paged_attention_ll4mi_QKV_mfma16_kernelI14__hip_bfloat16hLN4vllm18Fp8KVCacheDataTypeE1EhLi32ELi128ELi256ELb1ELi6EEvPKT_PKT0_S8_ifPKiSA_SA_iPKfiiiPfSD_PS3_PT2_iSC_SC_.kd
    .uniform_work_group_size: 1
    .uses_dynamic_stack: false
    .vgpr_count:     78
    .vgpr_spill_count: 0
    .wavefront_size: 64
  - .agpr_count:     0
    .args:
      - .actual_access:  read_only
        .address_space:  global
        .offset:         0
        .size:           8
        .value_kind:     global_buffer
      - .actual_access:  read_only
        .address_space:  global
        .offset:         8
        .size:           8
        .value_kind:     global_buffer
      - .actual_access:  read_only
        .address_space:  global
        .offset:         16
        .size:           8
        .value_kind:     global_buffer
      - .offset:         24
        .size:           4
        .value_kind:     by_value
      - .offset:         28
        .size:           4
        .value_kind:     by_value
      - .actual_access:  read_only
        .address_space:  global
        .offset:         32
        .size:           8
        .value_kind:     global_buffer
      - .actual_access:  read_only
        .address_space:  global
        .offset:         40
        .size:           8
        .value_kind:     global_buffer
      - .actual_access:  read_only
        .address_space:  global
        .offset:         48
        .size:           8
        .value_kind:     global_buffer
      - .offset:         56
        .size:           4
        .value_kind:     by_value
      - .actual_access:  read_only
        .address_space:  global
        .offset:         64
        .size:           8
        .value_kind:     global_buffer
      - .offset:         72
        .size:           4
        .value_kind:     by_value
      - .offset:         76
        .size:           4
        .value_kind:     by_value
      - .offset:         80
        .size:           4
        .value_kind:     by_value
      - .actual_access:  write_only
        .address_space:  global
        .offset:         88
        .size:           8
        .value_kind:     global_buffer
      - .actual_access:  write_only
        .address_space:  global
        .offset:         96
        .size:           8
        .value_kind:     global_buffer
      - .actual_access:  write_only
        .address_space:  global
        .offset:         104
        .size:           8
        .value_kind:     global_buffer
      - .actual_access:  read_only
        .address_space:  global
        .offset:         112
        .size:           8
        .value_kind:     global_buffer
      - .offset:         120
        .size:           4
        .value_kind:     by_value
      - .address_space:  global
        .offset:         128
        .size:           8
        .value_kind:     global_buffer
      - .address_space:  global
        .offset:         136
        .size:           8
        .value_kind:     global_buffer
      - .offset:         144
        .size:           4
        .value_kind:     hidden_block_count_x
      - .offset:         148
        .size:           4
        .value_kind:     hidden_block_count_y
      - .offset:         152
        .size:           4
        .value_kind:     hidden_block_count_z
      - .offset:         156
        .size:           2
        .value_kind:     hidden_group_size_x
      - .offset:         158
        .size:           2
        .value_kind:     hidden_group_size_y
      - .offset:         160
        .size:           2
        .value_kind:     hidden_group_size_z
      - .offset:         162
        .size:           2
        .value_kind:     hidden_remainder_x
      - .offset:         164
        .size:           2
        .value_kind:     hidden_remainder_y
      - .offset:         166
        .size:           2
        .value_kind:     hidden_remainder_z
      - .offset:         184
        .size:           8
        .value_kind:     hidden_global_offset_x
      - .offset:         192
        .size:           8
        .value_kind:     hidden_global_offset_y
      - .offset:         200
        .size:           8
        .value_kind:     hidden_global_offset_z
      - .offset:         208
        .size:           2
        .value_kind:     hidden_grid_dims
    .group_segment_fixed_size: 8192
    .kernarg_segment_align: 8
    .kernarg_segment_size: 400
    .language:       OpenCL C
    .language_version:
      - 2
      - 0
    .max_flat_workgroup_size: 256
    .name:           _Z39paged_attention_ll4mi_QKV_mfma16_kernelI14__hip_bfloat16hLN4vllm18Fp8KVCacheDataTypeE1EhLi32ELi128ELi256ELb1ELi7EEvPKT_PKT0_S8_ifPKiSA_SA_iPKfiiiPfSD_PS3_PT2_iSC_SC_
    .private_segment_fixed_size: 0
    .sgpr_count:     56
    .sgpr_spill_count: 0
    .symbol:         _Z39paged_attention_ll4mi_QKV_mfma16_kernelI14__hip_bfloat16hLN4vllm18Fp8KVCacheDataTypeE1EhLi32ELi128ELi256ELb1ELi7EEvPKT_PKT0_S8_ifPKiSA_SA_iPKfiiiPfSD_PS3_PT2_iSC_SC_.kd
    .uniform_work_group_size: 1
    .uses_dynamic_stack: false
    .vgpr_count:     78
    .vgpr_spill_count: 0
    .wavefront_size: 64
  - .agpr_count:     0
    .args:
      - .actual_access:  read_only
        .address_space:  global
        .offset:         0
        .size:           8
        .value_kind:     global_buffer
      - .actual_access:  read_only
        .address_space:  global
        .offset:         8
        .size:           8
        .value_kind:     global_buffer
      - .actual_access:  read_only
        .address_space:  global
        .offset:         16
        .size:           8
        .value_kind:     global_buffer
      - .offset:         24
        .size:           4
        .value_kind:     by_value
      - .offset:         28
        .size:           4
        .value_kind:     by_value
      - .actual_access:  read_only
        .address_space:  global
        .offset:         32
        .size:           8
        .value_kind:     global_buffer
      - .actual_access:  read_only
        .address_space:  global
        .offset:         40
        .size:           8
        .value_kind:     global_buffer
      - .actual_access:  read_only
        .address_space:  global
        .offset:         48
        .size:           8
        .value_kind:     global_buffer
      - .offset:         56
        .size:           4
        .value_kind:     by_value
      - .actual_access:  read_only
        .address_space:  global
        .offset:         64
        .size:           8
        .value_kind:     global_buffer
      - .offset:         72
        .size:           4
        .value_kind:     by_value
      - .offset:         76
        .size:           4
        .value_kind:     by_value
      - .offset:         80
        .size:           4
        .value_kind:     by_value
      - .actual_access:  write_only
        .address_space:  global
        .offset:         88
        .size:           8
        .value_kind:     global_buffer
      - .actual_access:  write_only
        .address_space:  global
        .offset:         96
        .size:           8
        .value_kind:     global_buffer
      - .actual_access:  write_only
        .address_space:  global
        .offset:         104
        .size:           8
        .value_kind:     global_buffer
      - .actual_access:  read_only
        .address_space:  global
        .offset:         112
        .size:           8
        .value_kind:     global_buffer
      - .offset:         120
        .size:           4
        .value_kind:     by_value
      - .address_space:  global
        .offset:         128
        .size:           8
        .value_kind:     global_buffer
      - .address_space:  global
        .offset:         136
        .size:           8
        .value_kind:     global_buffer
      - .offset:         144
        .size:           4
        .value_kind:     hidden_block_count_x
      - .offset:         148
        .size:           4
        .value_kind:     hidden_block_count_y
      - .offset:         152
        .size:           4
        .value_kind:     hidden_block_count_z
      - .offset:         156
        .size:           2
        .value_kind:     hidden_group_size_x
      - .offset:         158
        .size:           2
        .value_kind:     hidden_group_size_y
      - .offset:         160
        .size:           2
        .value_kind:     hidden_group_size_z
      - .offset:         162
        .size:           2
        .value_kind:     hidden_remainder_x
      - .offset:         164
        .size:           2
        .value_kind:     hidden_remainder_y
      - .offset:         166
        .size:           2
        .value_kind:     hidden_remainder_z
      - .offset:         184
        .size:           8
        .value_kind:     hidden_global_offset_x
      - .offset:         192
        .size:           8
        .value_kind:     hidden_global_offset_y
      - .offset:         200
        .size:           8
        .value_kind:     hidden_global_offset_z
      - .offset:         208
        .size:           2
        .value_kind:     hidden_grid_dims
    .group_segment_fixed_size: 8192
    .kernarg_segment_align: 8
    .kernarg_segment_size: 400
    .language:       OpenCL C
    .language_version:
      - 2
      - 0
    .max_flat_workgroup_size: 256
    .name:           _Z39paged_attention_ll4mi_QKV_mfma16_kernelI14__hip_bfloat16hLN4vllm18Fp8KVCacheDataTypeE1EhLi32ELi128ELi256ELb1ELi8EEvPKT_PKT0_S8_ifPKiSA_SA_iPKfiiiPfSD_PS3_PT2_iSC_SC_
    .private_segment_fixed_size: 0
    .sgpr_count:     54
    .sgpr_spill_count: 0
    .symbol:         _Z39paged_attention_ll4mi_QKV_mfma16_kernelI14__hip_bfloat16hLN4vllm18Fp8KVCacheDataTypeE1EhLi32ELi128ELi256ELb1ELi8EEvPKT_PKT0_S8_ifPKiSA_SA_iPKfiiiPfSD_PS3_PT2_iSC_SC_.kd
    .uniform_work_group_size: 1
    .uses_dynamic_stack: false
    .vgpr_count:     78
    .vgpr_spill_count: 0
    .wavefront_size: 64
  - .agpr_count:     0
    .args:
      - .actual_access:  read_only
        .address_space:  global
        .offset:         0
        .size:           8
        .value_kind:     global_buffer
      - .actual_access:  read_only
        .address_space:  global
        .offset:         8
        .size:           8
        .value_kind:     global_buffer
      - .actual_access:  read_only
        .address_space:  global
        .offset:         16
        .size:           8
        .value_kind:     global_buffer
      - .offset:         24
        .size:           4
        .value_kind:     by_value
      - .offset:         28
        .size:           4
        .value_kind:     by_value
      - .actual_access:  read_only
        .address_space:  global
        .offset:         32
        .size:           8
        .value_kind:     global_buffer
      - .actual_access:  read_only
        .address_space:  global
        .offset:         40
        .size:           8
        .value_kind:     global_buffer
      - .actual_access:  read_only
        .address_space:  global
        .offset:         48
        .size:           8
        .value_kind:     global_buffer
      - .offset:         56
        .size:           4
        .value_kind:     by_value
      - .actual_access:  read_only
        .address_space:  global
        .offset:         64
        .size:           8
        .value_kind:     global_buffer
      - .offset:         72
        .size:           4
        .value_kind:     by_value
      - .offset:         76
        .size:           4
        .value_kind:     by_value
      - .offset:         80
        .size:           4
        .value_kind:     by_value
      - .actual_access:  write_only
        .address_space:  global
        .offset:         88
        .size:           8
        .value_kind:     global_buffer
      - .actual_access:  write_only
        .address_space:  global
        .offset:         96
        .size:           8
        .value_kind:     global_buffer
      - .actual_access:  write_only
        .address_space:  global
        .offset:         104
        .size:           8
        .value_kind:     global_buffer
      - .actual_access:  read_only
        .address_space:  global
        .offset:         112
        .size:           8
        .value_kind:     global_buffer
      - .offset:         120
        .size:           4
        .value_kind:     by_value
      - .address_space:  global
        .offset:         128
        .size:           8
        .value_kind:     global_buffer
      - .address_space:  global
        .offset:         136
        .size:           8
        .value_kind:     global_buffer
      - .offset:         144
        .size:           4
        .value_kind:     hidden_block_count_x
      - .offset:         148
        .size:           4
        .value_kind:     hidden_block_count_y
      - .offset:         152
        .size:           4
        .value_kind:     hidden_block_count_z
      - .offset:         156
        .size:           2
        .value_kind:     hidden_group_size_x
      - .offset:         158
        .size:           2
        .value_kind:     hidden_group_size_y
      - .offset:         160
        .size:           2
        .value_kind:     hidden_group_size_z
      - .offset:         162
        .size:           2
        .value_kind:     hidden_remainder_x
      - .offset:         164
        .size:           2
        .value_kind:     hidden_remainder_y
      - .offset:         166
        .size:           2
        .value_kind:     hidden_remainder_z
      - .offset:         184
        .size:           8
        .value_kind:     hidden_global_offset_x
      - .offset:         192
        .size:           8
        .value_kind:     hidden_global_offset_y
      - .offset:         200
        .size:           8
        .value_kind:     hidden_global_offset_z
      - .offset:         208
        .size:           2
        .value_kind:     hidden_grid_dims
    .group_segment_fixed_size: 8192
    .kernarg_segment_align: 8
    .kernarg_segment_size: 400
    .language:       OpenCL C
    .language_version:
      - 2
      - 0
    .max_flat_workgroup_size: 256
    .name:           _Z39paged_attention_ll4mi_QKV_mfma16_kernelI14__hip_bfloat16hLN4vllm18Fp8KVCacheDataTypeE1EhLi32ELi128ELi256ELb1ELi9EEvPKT_PKT0_S8_ifPKiSA_SA_iPKfiiiPfSD_PS3_PT2_iSC_SC_
    .private_segment_fixed_size: 0
    .sgpr_count:     56
    .sgpr_spill_count: 0
    .symbol:         _Z39paged_attention_ll4mi_QKV_mfma16_kernelI14__hip_bfloat16hLN4vllm18Fp8KVCacheDataTypeE1EhLi32ELi128ELi256ELb1ELi9EEvPKT_PKT0_S8_ifPKiSA_SA_iPKfiiiPfSD_PS3_PT2_iSC_SC_.kd
    .uniform_work_group_size: 1
    .uses_dynamic_stack: false
    .vgpr_count:     78
    .vgpr_spill_count: 0
    .wavefront_size: 64
  - .agpr_count:     0
    .args:
      - .actual_access:  read_only
        .address_space:  global
        .offset:         0
        .size:           8
        .value_kind:     global_buffer
      - .actual_access:  read_only
        .address_space:  global
        .offset:         8
        .size:           8
        .value_kind:     global_buffer
      - .actual_access:  read_only
        .address_space:  global
        .offset:         16
        .size:           8
        .value_kind:     global_buffer
      - .offset:         24
        .size:           4
        .value_kind:     by_value
      - .offset:         28
        .size:           4
        .value_kind:     by_value
      - .actual_access:  read_only
        .address_space:  global
        .offset:         32
        .size:           8
        .value_kind:     global_buffer
      - .actual_access:  read_only
        .address_space:  global
        .offset:         40
        .size:           8
        .value_kind:     global_buffer
      - .actual_access:  read_only
        .address_space:  global
        .offset:         48
        .size:           8
        .value_kind:     global_buffer
      - .offset:         56
        .size:           4
        .value_kind:     by_value
      - .actual_access:  read_only
        .address_space:  global
        .offset:         64
        .size:           8
        .value_kind:     global_buffer
      - .offset:         72
        .size:           4
        .value_kind:     by_value
      - .offset:         76
        .size:           4
        .value_kind:     by_value
      - .offset:         80
        .size:           4
        .value_kind:     by_value
      - .actual_access:  write_only
        .address_space:  global
        .offset:         88
        .size:           8
        .value_kind:     global_buffer
      - .actual_access:  write_only
        .address_space:  global
        .offset:         96
        .size:           8
        .value_kind:     global_buffer
      - .actual_access:  write_only
        .address_space:  global
        .offset:         104
        .size:           8
        .value_kind:     global_buffer
      - .actual_access:  read_only
        .address_space:  global
        .offset:         112
        .size:           8
        .value_kind:     global_buffer
      - .offset:         120
        .size:           4
        .value_kind:     by_value
      - .address_space:  global
        .offset:         128
        .size:           8
        .value_kind:     global_buffer
      - .address_space:  global
        .offset:         136
        .size:           8
        .value_kind:     global_buffer
      - .offset:         144
        .size:           4
        .value_kind:     hidden_block_count_x
      - .offset:         148
        .size:           4
        .value_kind:     hidden_block_count_y
      - .offset:         152
        .size:           4
        .value_kind:     hidden_block_count_z
      - .offset:         156
        .size:           2
        .value_kind:     hidden_group_size_x
      - .offset:         158
        .size:           2
        .value_kind:     hidden_group_size_y
      - .offset:         160
        .size:           2
        .value_kind:     hidden_group_size_z
      - .offset:         162
        .size:           2
        .value_kind:     hidden_remainder_x
      - .offset:         164
        .size:           2
        .value_kind:     hidden_remainder_y
      - .offset:         166
        .size:           2
        .value_kind:     hidden_remainder_z
      - .offset:         184
        .size:           8
        .value_kind:     hidden_global_offset_x
      - .offset:         192
        .size:           8
        .value_kind:     hidden_global_offset_y
      - .offset:         200
        .size:           8
        .value_kind:     hidden_global_offset_z
      - .offset:         208
        .size:           2
        .value_kind:     hidden_grid_dims
    .group_segment_fixed_size: 8192
    .kernarg_segment_align: 8
    .kernarg_segment_size: 400
    .language:       OpenCL C
    .language_version:
      - 2
      - 0
    .max_flat_workgroup_size: 256
    .name:           _Z39paged_attention_ll4mi_QKV_mfma16_kernelI14__hip_bfloat16hLN4vllm18Fp8KVCacheDataTypeE1EhLi32ELi128ELi256ELb1ELi10EEvPKT_PKT0_S8_ifPKiSA_SA_iPKfiiiPfSD_PS3_PT2_iSC_SC_
    .private_segment_fixed_size: 0
    .sgpr_count:     56
    .sgpr_spill_count: 0
    .symbol:         _Z39paged_attention_ll4mi_QKV_mfma16_kernelI14__hip_bfloat16hLN4vllm18Fp8KVCacheDataTypeE1EhLi32ELi128ELi256ELb1ELi10EEvPKT_PKT0_S8_ifPKiSA_SA_iPKfiiiPfSD_PS3_PT2_iSC_SC_.kd
    .uniform_work_group_size: 1
    .uses_dynamic_stack: false
    .vgpr_count:     78
    .vgpr_spill_count: 0
    .wavefront_size: 64
  - .agpr_count:     0
    .args:
      - .actual_access:  read_only
        .address_space:  global
        .offset:         0
        .size:           8
        .value_kind:     global_buffer
      - .actual_access:  read_only
        .address_space:  global
        .offset:         8
        .size:           8
        .value_kind:     global_buffer
      - .actual_access:  read_only
        .address_space:  global
        .offset:         16
        .size:           8
        .value_kind:     global_buffer
      - .offset:         24
        .size:           4
        .value_kind:     by_value
      - .offset:         28
        .size:           4
        .value_kind:     by_value
      - .actual_access:  read_only
        .address_space:  global
        .offset:         32
        .size:           8
        .value_kind:     global_buffer
      - .actual_access:  read_only
        .address_space:  global
        .offset:         40
        .size:           8
        .value_kind:     global_buffer
      - .actual_access:  read_only
        .address_space:  global
        .offset:         48
        .size:           8
        .value_kind:     global_buffer
      - .offset:         56
        .size:           4
        .value_kind:     by_value
      - .actual_access:  read_only
        .address_space:  global
        .offset:         64
        .size:           8
        .value_kind:     global_buffer
      - .offset:         72
        .size:           4
        .value_kind:     by_value
      - .offset:         76
        .size:           4
        .value_kind:     by_value
      - .offset:         80
        .size:           4
        .value_kind:     by_value
      - .actual_access:  write_only
        .address_space:  global
        .offset:         88
        .size:           8
        .value_kind:     global_buffer
      - .actual_access:  write_only
        .address_space:  global
        .offset:         96
        .size:           8
        .value_kind:     global_buffer
      - .actual_access:  write_only
        .address_space:  global
        .offset:         104
        .size:           8
        .value_kind:     global_buffer
      - .actual_access:  read_only
        .address_space:  global
        .offset:         112
        .size:           8
        .value_kind:     global_buffer
      - .offset:         120
        .size:           4
        .value_kind:     by_value
      - .address_space:  global
        .offset:         128
        .size:           8
        .value_kind:     global_buffer
      - .address_space:  global
        .offset:         136
        .size:           8
        .value_kind:     global_buffer
      - .offset:         144
        .size:           4
        .value_kind:     hidden_block_count_x
      - .offset:         148
        .size:           4
        .value_kind:     hidden_block_count_y
      - .offset:         152
        .size:           4
        .value_kind:     hidden_block_count_z
      - .offset:         156
        .size:           2
        .value_kind:     hidden_group_size_x
      - .offset:         158
        .size:           2
        .value_kind:     hidden_group_size_y
      - .offset:         160
        .size:           2
        .value_kind:     hidden_group_size_z
      - .offset:         162
        .size:           2
        .value_kind:     hidden_remainder_x
      - .offset:         164
        .size:           2
        .value_kind:     hidden_remainder_y
      - .offset:         166
        .size:           2
        .value_kind:     hidden_remainder_z
      - .offset:         184
        .size:           8
        .value_kind:     hidden_global_offset_x
      - .offset:         192
        .size:           8
        .value_kind:     hidden_global_offset_y
      - .offset:         200
        .size:           8
        .value_kind:     hidden_global_offset_z
      - .offset:         208
        .size:           2
        .value_kind:     hidden_grid_dims
    .group_segment_fixed_size: 8192
    .kernarg_segment_align: 8
    .kernarg_segment_size: 400
    .language:       OpenCL C
    .language_version:
      - 2
      - 0
    .max_flat_workgroup_size: 256
    .name:           _Z39paged_attention_ll4mi_QKV_mfma16_kernelI14__hip_bfloat16hLN4vllm18Fp8KVCacheDataTypeE1EhLi32ELi128ELi256ELb1ELi11EEvPKT_PKT0_S8_ifPKiSA_SA_iPKfiiiPfSD_PS3_PT2_iSC_SC_
    .private_segment_fixed_size: 0
    .sgpr_count:     56
    .sgpr_spill_count: 0
    .symbol:         _Z39paged_attention_ll4mi_QKV_mfma16_kernelI14__hip_bfloat16hLN4vllm18Fp8KVCacheDataTypeE1EhLi32ELi128ELi256ELb1ELi11EEvPKT_PKT0_S8_ifPKiSA_SA_iPKfiiiPfSD_PS3_PT2_iSC_SC_.kd
    .uniform_work_group_size: 1
    .uses_dynamic_stack: false
    .vgpr_count:     78
    .vgpr_spill_count: 0
    .wavefront_size: 64
  - .agpr_count:     0
    .args:
      - .actual_access:  read_only
        .address_space:  global
        .offset:         0
        .size:           8
        .value_kind:     global_buffer
      - .actual_access:  read_only
        .address_space:  global
        .offset:         8
        .size:           8
        .value_kind:     global_buffer
      - .actual_access:  read_only
        .address_space:  global
        .offset:         16
        .size:           8
        .value_kind:     global_buffer
      - .offset:         24
        .size:           4
        .value_kind:     by_value
      - .offset:         28
        .size:           4
        .value_kind:     by_value
      - .actual_access:  read_only
        .address_space:  global
        .offset:         32
        .size:           8
        .value_kind:     global_buffer
      - .actual_access:  read_only
        .address_space:  global
        .offset:         40
        .size:           8
        .value_kind:     global_buffer
      - .actual_access:  read_only
        .address_space:  global
        .offset:         48
        .size:           8
        .value_kind:     global_buffer
      - .offset:         56
        .size:           4
        .value_kind:     by_value
      - .actual_access:  read_only
        .address_space:  global
        .offset:         64
        .size:           8
        .value_kind:     global_buffer
      - .offset:         72
        .size:           4
        .value_kind:     by_value
      - .offset:         76
        .size:           4
        .value_kind:     by_value
      - .offset:         80
        .size:           4
        .value_kind:     by_value
      - .actual_access:  write_only
        .address_space:  global
        .offset:         88
        .size:           8
        .value_kind:     global_buffer
      - .actual_access:  write_only
        .address_space:  global
        .offset:         96
        .size:           8
        .value_kind:     global_buffer
      - .actual_access:  write_only
        .address_space:  global
        .offset:         104
        .size:           8
        .value_kind:     global_buffer
      - .actual_access:  read_only
        .address_space:  global
        .offset:         112
        .size:           8
        .value_kind:     global_buffer
      - .offset:         120
        .size:           4
        .value_kind:     by_value
      - .address_space:  global
        .offset:         128
        .size:           8
        .value_kind:     global_buffer
      - .address_space:  global
        .offset:         136
        .size:           8
        .value_kind:     global_buffer
      - .offset:         144
        .size:           4
        .value_kind:     hidden_block_count_x
      - .offset:         148
        .size:           4
        .value_kind:     hidden_block_count_y
      - .offset:         152
        .size:           4
        .value_kind:     hidden_block_count_z
      - .offset:         156
        .size:           2
        .value_kind:     hidden_group_size_x
      - .offset:         158
        .size:           2
        .value_kind:     hidden_group_size_y
      - .offset:         160
        .size:           2
        .value_kind:     hidden_group_size_z
      - .offset:         162
        .size:           2
        .value_kind:     hidden_remainder_x
      - .offset:         164
        .size:           2
        .value_kind:     hidden_remainder_y
      - .offset:         166
        .size:           2
        .value_kind:     hidden_remainder_z
      - .offset:         184
        .size:           8
        .value_kind:     hidden_global_offset_x
      - .offset:         192
        .size:           8
        .value_kind:     hidden_global_offset_y
      - .offset:         200
        .size:           8
        .value_kind:     hidden_global_offset_z
      - .offset:         208
        .size:           2
        .value_kind:     hidden_grid_dims
    .group_segment_fixed_size: 8192
    .kernarg_segment_align: 8
    .kernarg_segment_size: 400
    .language:       OpenCL C
    .language_version:
      - 2
      - 0
    .max_flat_workgroup_size: 256
    .name:           _Z39paged_attention_ll4mi_QKV_mfma16_kernelI14__hip_bfloat16hLN4vllm18Fp8KVCacheDataTypeE1EhLi32ELi128ELi256ELb1ELi12EEvPKT_PKT0_S8_ifPKiSA_SA_iPKfiiiPfSD_PS3_PT2_iSC_SC_
    .private_segment_fixed_size: 0
    .sgpr_count:     56
    .sgpr_spill_count: 0
    .symbol:         _Z39paged_attention_ll4mi_QKV_mfma16_kernelI14__hip_bfloat16hLN4vllm18Fp8KVCacheDataTypeE1EhLi32ELi128ELi256ELb1ELi12EEvPKT_PKT0_S8_ifPKiSA_SA_iPKfiiiPfSD_PS3_PT2_iSC_SC_.kd
    .uniform_work_group_size: 1
    .uses_dynamic_stack: false
    .vgpr_count:     78
    .vgpr_spill_count: 0
    .wavefront_size: 64
  - .agpr_count:     0
    .args:
      - .actual_access:  read_only
        .address_space:  global
        .offset:         0
        .size:           8
        .value_kind:     global_buffer
      - .actual_access:  read_only
        .address_space:  global
        .offset:         8
        .size:           8
        .value_kind:     global_buffer
      - .actual_access:  read_only
        .address_space:  global
        .offset:         16
        .size:           8
        .value_kind:     global_buffer
      - .offset:         24
        .size:           4
        .value_kind:     by_value
      - .offset:         28
        .size:           4
        .value_kind:     by_value
      - .actual_access:  read_only
        .address_space:  global
        .offset:         32
        .size:           8
        .value_kind:     global_buffer
      - .actual_access:  read_only
        .address_space:  global
        .offset:         40
        .size:           8
        .value_kind:     global_buffer
      - .actual_access:  read_only
        .address_space:  global
        .offset:         48
        .size:           8
        .value_kind:     global_buffer
      - .offset:         56
        .size:           4
        .value_kind:     by_value
      - .actual_access:  read_only
        .address_space:  global
        .offset:         64
        .size:           8
        .value_kind:     global_buffer
      - .offset:         72
        .size:           4
        .value_kind:     by_value
      - .offset:         76
        .size:           4
        .value_kind:     by_value
      - .offset:         80
        .size:           4
        .value_kind:     by_value
      - .actual_access:  write_only
        .address_space:  global
        .offset:         88
        .size:           8
        .value_kind:     global_buffer
      - .actual_access:  write_only
        .address_space:  global
        .offset:         96
        .size:           8
        .value_kind:     global_buffer
      - .actual_access:  write_only
        .address_space:  global
        .offset:         104
        .size:           8
        .value_kind:     global_buffer
      - .actual_access:  read_only
        .address_space:  global
        .offset:         112
        .size:           8
        .value_kind:     global_buffer
      - .offset:         120
        .size:           4
        .value_kind:     by_value
      - .address_space:  global
        .offset:         128
        .size:           8
        .value_kind:     global_buffer
      - .address_space:  global
        .offset:         136
        .size:           8
        .value_kind:     global_buffer
      - .offset:         144
        .size:           4
        .value_kind:     hidden_block_count_x
      - .offset:         148
        .size:           4
        .value_kind:     hidden_block_count_y
      - .offset:         152
        .size:           4
        .value_kind:     hidden_block_count_z
      - .offset:         156
        .size:           2
        .value_kind:     hidden_group_size_x
      - .offset:         158
        .size:           2
        .value_kind:     hidden_group_size_y
      - .offset:         160
        .size:           2
        .value_kind:     hidden_group_size_z
      - .offset:         162
        .size:           2
        .value_kind:     hidden_remainder_x
      - .offset:         164
        .size:           2
        .value_kind:     hidden_remainder_y
      - .offset:         166
        .size:           2
        .value_kind:     hidden_remainder_z
      - .offset:         184
        .size:           8
        .value_kind:     hidden_global_offset_x
      - .offset:         192
        .size:           8
        .value_kind:     hidden_global_offset_y
      - .offset:         200
        .size:           8
        .value_kind:     hidden_global_offset_z
      - .offset:         208
        .size:           2
        .value_kind:     hidden_grid_dims
    .group_segment_fixed_size: 8192
    .kernarg_segment_align: 8
    .kernarg_segment_size: 400
    .language:       OpenCL C
    .language_version:
      - 2
      - 0
    .max_flat_workgroup_size: 256
    .name:           _Z39paged_attention_ll4mi_QKV_mfma16_kernelI14__hip_bfloat16hLN4vllm18Fp8KVCacheDataTypeE1EhLi32ELi128ELi256ELb1ELi13EEvPKT_PKT0_S8_ifPKiSA_SA_iPKfiiiPfSD_PS3_PT2_iSC_SC_
    .private_segment_fixed_size: 0
    .sgpr_count:     56
    .sgpr_spill_count: 0
    .symbol:         _Z39paged_attention_ll4mi_QKV_mfma16_kernelI14__hip_bfloat16hLN4vllm18Fp8KVCacheDataTypeE1EhLi32ELi128ELi256ELb1ELi13EEvPKT_PKT0_S8_ifPKiSA_SA_iPKfiiiPfSD_PS3_PT2_iSC_SC_.kd
    .uniform_work_group_size: 1
    .uses_dynamic_stack: false
    .vgpr_count:     78
    .vgpr_spill_count: 0
    .wavefront_size: 64
  - .agpr_count:     0
    .args:
      - .actual_access:  read_only
        .address_space:  global
        .offset:         0
        .size:           8
        .value_kind:     global_buffer
      - .actual_access:  read_only
        .address_space:  global
        .offset:         8
        .size:           8
        .value_kind:     global_buffer
      - .actual_access:  read_only
        .address_space:  global
        .offset:         16
        .size:           8
        .value_kind:     global_buffer
      - .offset:         24
        .size:           4
        .value_kind:     by_value
      - .offset:         28
        .size:           4
        .value_kind:     by_value
      - .actual_access:  read_only
        .address_space:  global
        .offset:         32
        .size:           8
        .value_kind:     global_buffer
      - .actual_access:  read_only
        .address_space:  global
        .offset:         40
        .size:           8
        .value_kind:     global_buffer
      - .actual_access:  read_only
        .address_space:  global
        .offset:         48
        .size:           8
        .value_kind:     global_buffer
      - .offset:         56
        .size:           4
        .value_kind:     by_value
      - .actual_access:  read_only
        .address_space:  global
        .offset:         64
        .size:           8
        .value_kind:     global_buffer
      - .offset:         72
        .size:           4
        .value_kind:     by_value
      - .offset:         76
        .size:           4
        .value_kind:     by_value
      - .offset:         80
        .size:           4
        .value_kind:     by_value
      - .actual_access:  write_only
        .address_space:  global
        .offset:         88
        .size:           8
        .value_kind:     global_buffer
      - .actual_access:  write_only
        .address_space:  global
        .offset:         96
        .size:           8
        .value_kind:     global_buffer
      - .actual_access:  write_only
        .address_space:  global
        .offset:         104
        .size:           8
        .value_kind:     global_buffer
      - .actual_access:  read_only
        .address_space:  global
        .offset:         112
        .size:           8
        .value_kind:     global_buffer
      - .offset:         120
        .size:           4
        .value_kind:     by_value
      - .address_space:  global
        .offset:         128
        .size:           8
        .value_kind:     global_buffer
      - .address_space:  global
        .offset:         136
        .size:           8
        .value_kind:     global_buffer
      - .offset:         144
        .size:           4
        .value_kind:     hidden_block_count_x
      - .offset:         148
        .size:           4
        .value_kind:     hidden_block_count_y
      - .offset:         152
        .size:           4
        .value_kind:     hidden_block_count_z
      - .offset:         156
        .size:           2
        .value_kind:     hidden_group_size_x
      - .offset:         158
        .size:           2
        .value_kind:     hidden_group_size_y
      - .offset:         160
        .size:           2
        .value_kind:     hidden_group_size_z
      - .offset:         162
        .size:           2
        .value_kind:     hidden_remainder_x
      - .offset:         164
        .size:           2
        .value_kind:     hidden_remainder_y
      - .offset:         166
        .size:           2
        .value_kind:     hidden_remainder_z
      - .offset:         184
        .size:           8
        .value_kind:     hidden_global_offset_x
      - .offset:         192
        .size:           8
        .value_kind:     hidden_global_offset_y
      - .offset:         200
        .size:           8
        .value_kind:     hidden_global_offset_z
      - .offset:         208
        .size:           2
        .value_kind:     hidden_grid_dims
    .group_segment_fixed_size: 8192
    .kernarg_segment_align: 8
    .kernarg_segment_size: 400
    .language:       OpenCL C
    .language_version:
      - 2
      - 0
    .max_flat_workgroup_size: 256
    .name:           _Z39paged_attention_ll4mi_QKV_mfma16_kernelI14__hip_bfloat16hLN4vllm18Fp8KVCacheDataTypeE1EhLi32ELi128ELi256ELb1ELi14EEvPKT_PKT0_S8_ifPKiSA_SA_iPKfiiiPfSD_PS3_PT2_iSC_SC_
    .private_segment_fixed_size: 0
    .sgpr_count:     56
    .sgpr_spill_count: 0
    .symbol:         _Z39paged_attention_ll4mi_QKV_mfma16_kernelI14__hip_bfloat16hLN4vllm18Fp8KVCacheDataTypeE1EhLi32ELi128ELi256ELb1ELi14EEvPKT_PKT0_S8_ifPKiSA_SA_iPKfiiiPfSD_PS3_PT2_iSC_SC_.kd
    .uniform_work_group_size: 1
    .uses_dynamic_stack: false
    .vgpr_count:     78
    .vgpr_spill_count: 0
    .wavefront_size: 64
  - .agpr_count:     0
    .args:
      - .actual_access:  read_only
        .address_space:  global
        .offset:         0
        .size:           8
        .value_kind:     global_buffer
      - .actual_access:  read_only
        .address_space:  global
        .offset:         8
        .size:           8
        .value_kind:     global_buffer
      - .actual_access:  read_only
        .address_space:  global
        .offset:         16
        .size:           8
        .value_kind:     global_buffer
      - .offset:         24
        .size:           4
        .value_kind:     by_value
      - .offset:         28
        .size:           4
        .value_kind:     by_value
      - .actual_access:  read_only
        .address_space:  global
        .offset:         32
        .size:           8
        .value_kind:     global_buffer
      - .actual_access:  read_only
        .address_space:  global
        .offset:         40
        .size:           8
        .value_kind:     global_buffer
      - .actual_access:  read_only
        .address_space:  global
        .offset:         48
        .size:           8
        .value_kind:     global_buffer
      - .offset:         56
        .size:           4
        .value_kind:     by_value
      - .actual_access:  read_only
        .address_space:  global
        .offset:         64
        .size:           8
        .value_kind:     global_buffer
      - .offset:         72
        .size:           4
        .value_kind:     by_value
      - .offset:         76
        .size:           4
        .value_kind:     by_value
      - .offset:         80
        .size:           4
        .value_kind:     by_value
      - .actual_access:  write_only
        .address_space:  global
        .offset:         88
        .size:           8
        .value_kind:     global_buffer
      - .actual_access:  write_only
        .address_space:  global
        .offset:         96
        .size:           8
        .value_kind:     global_buffer
      - .actual_access:  write_only
        .address_space:  global
        .offset:         104
        .size:           8
        .value_kind:     global_buffer
      - .actual_access:  read_only
        .address_space:  global
        .offset:         112
        .size:           8
        .value_kind:     global_buffer
      - .offset:         120
        .size:           4
        .value_kind:     by_value
      - .address_space:  global
        .offset:         128
        .size:           8
        .value_kind:     global_buffer
      - .address_space:  global
        .offset:         136
        .size:           8
        .value_kind:     global_buffer
      - .offset:         144
        .size:           4
        .value_kind:     hidden_block_count_x
      - .offset:         148
        .size:           4
        .value_kind:     hidden_block_count_y
      - .offset:         152
        .size:           4
        .value_kind:     hidden_block_count_z
      - .offset:         156
        .size:           2
        .value_kind:     hidden_group_size_x
      - .offset:         158
        .size:           2
        .value_kind:     hidden_group_size_y
      - .offset:         160
        .size:           2
        .value_kind:     hidden_group_size_z
      - .offset:         162
        .size:           2
        .value_kind:     hidden_remainder_x
      - .offset:         164
        .size:           2
        .value_kind:     hidden_remainder_y
      - .offset:         166
        .size:           2
        .value_kind:     hidden_remainder_z
      - .offset:         184
        .size:           8
        .value_kind:     hidden_global_offset_x
      - .offset:         192
        .size:           8
        .value_kind:     hidden_global_offset_y
      - .offset:         200
        .size:           8
        .value_kind:     hidden_global_offset_z
      - .offset:         208
        .size:           2
        .value_kind:     hidden_grid_dims
    .group_segment_fixed_size: 8192
    .kernarg_segment_align: 8
    .kernarg_segment_size: 400
    .language:       OpenCL C
    .language_version:
      - 2
      - 0
    .max_flat_workgroup_size: 256
    .name:           _Z39paged_attention_ll4mi_QKV_mfma16_kernelI14__hip_bfloat16hLN4vllm18Fp8KVCacheDataTypeE1EhLi32ELi128ELi256ELb1ELi15EEvPKT_PKT0_S8_ifPKiSA_SA_iPKfiiiPfSD_PS3_PT2_iSC_SC_
    .private_segment_fixed_size: 0
    .sgpr_count:     56
    .sgpr_spill_count: 0
    .symbol:         _Z39paged_attention_ll4mi_QKV_mfma16_kernelI14__hip_bfloat16hLN4vllm18Fp8KVCacheDataTypeE1EhLi32ELi128ELi256ELb1ELi15EEvPKT_PKT0_S8_ifPKiSA_SA_iPKfiiiPfSD_PS3_PT2_iSC_SC_.kd
    .uniform_work_group_size: 1
    .uses_dynamic_stack: false
    .vgpr_count:     78
    .vgpr_spill_count: 0
    .wavefront_size: 64
  - .agpr_count:     0
    .args:
      - .actual_access:  read_only
        .address_space:  global
        .offset:         0
        .size:           8
        .value_kind:     global_buffer
      - .actual_access:  read_only
        .address_space:  global
        .offset:         8
        .size:           8
        .value_kind:     global_buffer
      - .actual_access:  read_only
        .address_space:  global
        .offset:         16
        .size:           8
        .value_kind:     global_buffer
      - .offset:         24
        .size:           4
        .value_kind:     by_value
      - .offset:         28
        .size:           4
        .value_kind:     by_value
      - .actual_access:  read_only
        .address_space:  global
        .offset:         32
        .size:           8
        .value_kind:     global_buffer
      - .actual_access:  read_only
        .address_space:  global
        .offset:         40
        .size:           8
        .value_kind:     global_buffer
      - .actual_access:  read_only
        .address_space:  global
        .offset:         48
        .size:           8
        .value_kind:     global_buffer
      - .offset:         56
        .size:           4
        .value_kind:     by_value
      - .actual_access:  read_only
        .address_space:  global
        .offset:         64
        .size:           8
        .value_kind:     global_buffer
      - .offset:         72
        .size:           4
        .value_kind:     by_value
      - .offset:         76
        .size:           4
        .value_kind:     by_value
      - .offset:         80
        .size:           4
        .value_kind:     by_value
      - .actual_access:  write_only
        .address_space:  global
        .offset:         88
        .size:           8
        .value_kind:     global_buffer
      - .actual_access:  write_only
        .address_space:  global
        .offset:         96
        .size:           8
        .value_kind:     global_buffer
      - .actual_access:  write_only
        .address_space:  global
        .offset:         104
        .size:           8
        .value_kind:     global_buffer
      - .actual_access:  read_only
        .address_space:  global
        .offset:         112
        .size:           8
        .value_kind:     global_buffer
      - .offset:         120
        .size:           4
        .value_kind:     by_value
      - .address_space:  global
        .offset:         128
        .size:           8
        .value_kind:     global_buffer
      - .address_space:  global
        .offset:         136
        .size:           8
        .value_kind:     global_buffer
      - .offset:         144
        .size:           4
        .value_kind:     hidden_block_count_x
      - .offset:         148
        .size:           4
        .value_kind:     hidden_block_count_y
      - .offset:         152
        .size:           4
        .value_kind:     hidden_block_count_z
      - .offset:         156
        .size:           2
        .value_kind:     hidden_group_size_x
      - .offset:         158
        .size:           2
        .value_kind:     hidden_group_size_y
      - .offset:         160
        .size:           2
        .value_kind:     hidden_group_size_z
      - .offset:         162
        .size:           2
        .value_kind:     hidden_remainder_x
      - .offset:         164
        .size:           2
        .value_kind:     hidden_remainder_y
      - .offset:         166
        .size:           2
        .value_kind:     hidden_remainder_z
      - .offset:         184
        .size:           8
        .value_kind:     hidden_global_offset_x
      - .offset:         192
        .size:           8
        .value_kind:     hidden_global_offset_y
      - .offset:         200
        .size:           8
        .value_kind:     hidden_global_offset_z
      - .offset:         208
        .size:           2
        .value_kind:     hidden_grid_dims
    .group_segment_fixed_size: 8192
    .kernarg_segment_align: 8
    .kernarg_segment_size: 400
    .language:       OpenCL C
    .language_version:
      - 2
      - 0
    .max_flat_workgroup_size: 256
    .name:           _Z39paged_attention_ll4mi_QKV_mfma16_kernelI14__hip_bfloat16hLN4vllm18Fp8KVCacheDataTypeE1EhLi32ELi128ELi256ELb1ELi16EEvPKT_PKT0_S8_ifPKiSA_SA_iPKfiiiPfSD_PS3_PT2_iSC_SC_
    .private_segment_fixed_size: 0
    .sgpr_count:     51
    .sgpr_spill_count: 0
    .symbol:         _Z39paged_attention_ll4mi_QKV_mfma16_kernelI14__hip_bfloat16hLN4vllm18Fp8KVCacheDataTypeE1EhLi32ELi128ELi256ELb1ELi16EEvPKT_PKT0_S8_ifPKiSA_SA_iPKfiiiPfSD_PS3_PT2_iSC_SC_.kd
    .uniform_work_group_size: 1
    .uses_dynamic_stack: false
    .vgpr_count:     84
    .vgpr_spill_count: 0
    .wavefront_size: 64
  - .agpr_count:     0
    .args:
      - .actual_access:  read_only
        .address_space:  global
        .offset:         0
        .size:           8
        .value_kind:     global_buffer
      - .actual_access:  read_only
        .address_space:  global
        .offset:         8
        .size:           8
        .value_kind:     global_buffer
      - .actual_access:  read_only
        .address_space:  global
        .offset:         16
        .size:           8
        .value_kind:     global_buffer
      - .offset:         24
        .size:           4
        .value_kind:     by_value
      - .offset:         28
        .size:           4
        .value_kind:     by_value
      - .actual_access:  read_only
        .address_space:  global
        .offset:         32
        .size:           8
        .value_kind:     global_buffer
      - .actual_access:  read_only
        .address_space:  global
        .offset:         40
        .size:           8
        .value_kind:     global_buffer
      - .actual_access:  read_only
        .address_space:  global
        .offset:         48
        .size:           8
        .value_kind:     global_buffer
      - .offset:         56
        .size:           4
        .value_kind:     by_value
      - .actual_access:  read_only
        .address_space:  global
        .offset:         64
        .size:           8
        .value_kind:     global_buffer
      - .offset:         72
        .size:           4
        .value_kind:     by_value
      - .offset:         76
        .size:           4
        .value_kind:     by_value
      - .offset:         80
        .size:           4
        .value_kind:     by_value
      - .actual_access:  write_only
        .address_space:  global
        .offset:         88
        .size:           8
        .value_kind:     global_buffer
      - .actual_access:  write_only
        .address_space:  global
        .offset:         96
        .size:           8
        .value_kind:     global_buffer
      - .actual_access:  write_only
        .address_space:  global
        .offset:         104
        .size:           8
        .value_kind:     global_buffer
      - .actual_access:  read_only
        .address_space:  global
        .offset:         112
        .size:           8
        .value_kind:     global_buffer
      - .offset:         120
        .size:           4
        .value_kind:     by_value
      - .address_space:  global
        .offset:         128
        .size:           8
        .value_kind:     global_buffer
      - .address_space:  global
        .offset:         136
        .size:           8
        .value_kind:     global_buffer
      - .offset:         144
        .size:           4
        .value_kind:     hidden_block_count_x
      - .offset:         148
        .size:           4
        .value_kind:     hidden_block_count_y
      - .offset:         152
        .size:           4
        .value_kind:     hidden_block_count_z
      - .offset:         156
        .size:           2
        .value_kind:     hidden_group_size_x
      - .offset:         158
        .size:           2
        .value_kind:     hidden_group_size_y
      - .offset:         160
        .size:           2
        .value_kind:     hidden_group_size_z
      - .offset:         162
        .size:           2
        .value_kind:     hidden_remainder_x
      - .offset:         164
        .size:           2
        .value_kind:     hidden_remainder_y
      - .offset:         166
        .size:           2
        .value_kind:     hidden_remainder_z
      - .offset:         184
        .size:           8
        .value_kind:     hidden_global_offset_x
      - .offset:         192
        .size:           8
        .value_kind:     hidden_global_offset_y
      - .offset:         200
        .size:           8
        .value_kind:     hidden_global_offset_z
      - .offset:         208
        .size:           2
        .value_kind:     hidden_grid_dims
    .group_segment_fixed_size: 8192
    .kernarg_segment_align: 8
    .kernarg_segment_size: 400
    .language:       OpenCL C
    .language_version:
      - 2
      - 0
    .max_flat_workgroup_size: 256
    .name:           _Z39paged_attention_ll4mi_QKV_mfma16_kernelI14__hip_bfloat16hLN4vllm18Fp8KVCacheDataTypeE1EhLi32ELi128ELi256ELb1ELi1EEvPKT_PKT0_S8_ifPKiSA_SA_iPKfiiiPfSD_PS3_PT2_iSC_SC_
    .private_segment_fixed_size: 0
    .sgpr_count:     54
    .sgpr_spill_count: 0
    .symbol:         _Z39paged_attention_ll4mi_QKV_mfma16_kernelI14__hip_bfloat16hLN4vllm18Fp8KVCacheDataTypeE1EhLi32ELi128ELi256ELb1ELi1EEvPKT_PKT0_S8_ifPKiSA_SA_iPKfiiiPfSD_PS3_PT2_iSC_SC_.kd
    .uniform_work_group_size: 1
    .uses_dynamic_stack: false
    .vgpr_count:     78
    .vgpr_spill_count: 0
    .wavefront_size: 64
  - .agpr_count:     0
    .args:
      - .actual_access:  read_only
        .address_space:  global
        .offset:         0
        .size:           8
        .value_kind:     global_buffer
      - .actual_access:  read_only
        .address_space:  global
        .offset:         8
        .size:           8
        .value_kind:     global_buffer
      - .actual_access:  read_only
        .address_space:  global
        .offset:         16
        .size:           8
        .value_kind:     global_buffer
      - .offset:         24
        .size:           4
        .value_kind:     by_value
      - .offset:         28
        .size:           4
        .value_kind:     by_value
      - .actual_access:  read_only
        .address_space:  global
        .offset:         32
        .size:           8
        .value_kind:     global_buffer
      - .actual_access:  read_only
        .address_space:  global
        .offset:         40
        .size:           8
        .value_kind:     global_buffer
      - .actual_access:  read_only
        .address_space:  global
        .offset:         48
        .size:           8
        .value_kind:     global_buffer
      - .offset:         56
        .size:           4
        .value_kind:     by_value
      - .actual_access:  read_only
        .address_space:  global
        .offset:         64
        .size:           8
        .value_kind:     global_buffer
      - .offset:         72
        .size:           4
        .value_kind:     by_value
      - .offset:         76
        .size:           4
        .value_kind:     by_value
      - .offset:         80
        .size:           4
        .value_kind:     by_value
      - .actual_access:  write_only
        .address_space:  global
        .offset:         88
        .size:           8
        .value_kind:     global_buffer
      - .actual_access:  write_only
        .address_space:  global
        .offset:         96
        .size:           8
        .value_kind:     global_buffer
      - .actual_access:  write_only
        .address_space:  global
        .offset:         104
        .size:           8
        .value_kind:     global_buffer
      - .actual_access:  read_only
        .address_space:  global
        .offset:         112
        .size:           8
        .value_kind:     global_buffer
      - .offset:         120
        .size:           4
        .value_kind:     by_value
      - .address_space:  global
        .offset:         128
        .size:           8
        .value_kind:     global_buffer
      - .address_space:  global
        .offset:         136
        .size:           8
        .value_kind:     global_buffer
      - .offset:         144
        .size:           4
        .value_kind:     hidden_block_count_x
      - .offset:         148
        .size:           4
        .value_kind:     hidden_block_count_y
      - .offset:         152
        .size:           4
        .value_kind:     hidden_block_count_z
      - .offset:         156
        .size:           2
        .value_kind:     hidden_group_size_x
      - .offset:         158
        .size:           2
        .value_kind:     hidden_group_size_y
      - .offset:         160
        .size:           2
        .value_kind:     hidden_group_size_z
      - .offset:         162
        .size:           2
        .value_kind:     hidden_remainder_x
      - .offset:         164
        .size:           2
        .value_kind:     hidden_remainder_y
      - .offset:         166
        .size:           2
        .value_kind:     hidden_remainder_z
      - .offset:         184
        .size:           8
        .value_kind:     hidden_global_offset_x
      - .offset:         192
        .size:           8
        .value_kind:     hidden_global_offset_y
      - .offset:         200
        .size:           8
        .value_kind:     hidden_global_offset_z
      - .offset:         208
        .size:           2
        .value_kind:     hidden_grid_dims
    .group_segment_fixed_size: 8192
    .kernarg_segment_align: 8
    .kernarg_segment_size: 400
    .language:       OpenCL C
    .language_version:
      - 2
      - 0
    .max_flat_workgroup_size: 256
    .name:           _Z39paged_attention_ll4mi_QKV_mfma16_kernelI14__hip_bfloat16hLN4vllm18Fp8KVCacheDataTypeE1EhLi32ELi128ELi256ELb1ELi2EEvPKT_PKT0_S8_ifPKiSA_SA_iPKfiiiPfSD_PS3_PT2_iSC_SC_
    .private_segment_fixed_size: 0
    .sgpr_count:     54
    .sgpr_spill_count: 0
    .symbol:         _Z39paged_attention_ll4mi_QKV_mfma16_kernelI14__hip_bfloat16hLN4vllm18Fp8KVCacheDataTypeE1EhLi32ELi128ELi256ELb1ELi2EEvPKT_PKT0_S8_ifPKiSA_SA_iPKfiiiPfSD_PS3_PT2_iSC_SC_.kd
    .uniform_work_group_size: 1
    .uses_dynamic_stack: false
    .vgpr_count:     78
    .vgpr_spill_count: 0
    .wavefront_size: 64
  - .agpr_count:     0
    .args:
      - .actual_access:  read_only
        .address_space:  global
        .offset:         0
        .size:           8
        .value_kind:     global_buffer
      - .actual_access:  read_only
        .address_space:  global
        .offset:         8
        .size:           8
        .value_kind:     global_buffer
      - .actual_access:  read_only
        .address_space:  global
        .offset:         16
        .size:           8
        .value_kind:     global_buffer
      - .offset:         24
        .size:           4
        .value_kind:     by_value
      - .offset:         28
        .size:           4
        .value_kind:     by_value
      - .actual_access:  read_only
        .address_space:  global
        .offset:         32
        .size:           8
        .value_kind:     global_buffer
      - .actual_access:  read_only
        .address_space:  global
        .offset:         40
        .size:           8
        .value_kind:     global_buffer
      - .actual_access:  read_only
        .address_space:  global
        .offset:         48
        .size:           8
        .value_kind:     global_buffer
      - .offset:         56
        .size:           4
        .value_kind:     by_value
      - .actual_access:  read_only
        .address_space:  global
        .offset:         64
        .size:           8
        .value_kind:     global_buffer
      - .offset:         72
        .size:           4
        .value_kind:     by_value
      - .offset:         76
        .size:           4
        .value_kind:     by_value
      - .offset:         80
        .size:           4
        .value_kind:     by_value
      - .actual_access:  write_only
        .address_space:  global
        .offset:         88
        .size:           8
        .value_kind:     global_buffer
      - .actual_access:  write_only
        .address_space:  global
        .offset:         96
        .size:           8
        .value_kind:     global_buffer
      - .actual_access:  write_only
        .address_space:  global
        .offset:         104
        .size:           8
        .value_kind:     global_buffer
      - .actual_access:  read_only
        .address_space:  global
        .offset:         112
        .size:           8
        .value_kind:     global_buffer
      - .offset:         120
        .size:           4
        .value_kind:     by_value
      - .address_space:  global
        .offset:         128
        .size:           8
        .value_kind:     global_buffer
      - .address_space:  global
        .offset:         136
        .size:           8
        .value_kind:     global_buffer
      - .offset:         144
        .size:           4
        .value_kind:     hidden_block_count_x
      - .offset:         148
        .size:           4
        .value_kind:     hidden_block_count_y
      - .offset:         152
        .size:           4
        .value_kind:     hidden_block_count_z
      - .offset:         156
        .size:           2
        .value_kind:     hidden_group_size_x
      - .offset:         158
        .size:           2
        .value_kind:     hidden_group_size_y
      - .offset:         160
        .size:           2
        .value_kind:     hidden_group_size_z
      - .offset:         162
        .size:           2
        .value_kind:     hidden_remainder_x
      - .offset:         164
        .size:           2
        .value_kind:     hidden_remainder_y
      - .offset:         166
        .size:           2
        .value_kind:     hidden_remainder_z
      - .offset:         184
        .size:           8
        .value_kind:     hidden_global_offset_x
      - .offset:         192
        .size:           8
        .value_kind:     hidden_global_offset_y
      - .offset:         200
        .size:           8
        .value_kind:     hidden_global_offset_z
      - .offset:         208
        .size:           2
        .value_kind:     hidden_grid_dims
    .group_segment_fixed_size: 8192
    .kernarg_segment_align: 8
    .kernarg_segment_size: 400
    .language:       OpenCL C
    .language_version:
      - 2
      - 0
    .max_flat_workgroup_size: 256
    .name:           _Z39paged_attention_ll4mi_QKV_mfma16_kernelI14__hip_bfloat16hLN4vllm18Fp8KVCacheDataTypeE1EhLi32ELi128ELi256ELb1ELi3EEvPKT_PKT0_S8_ifPKiSA_SA_iPKfiiiPfSD_PS3_PT2_iSC_SC_
    .private_segment_fixed_size: 0
    .sgpr_count:     56
    .sgpr_spill_count: 0
    .symbol:         _Z39paged_attention_ll4mi_QKV_mfma16_kernelI14__hip_bfloat16hLN4vllm18Fp8KVCacheDataTypeE1EhLi32ELi128ELi256ELb1ELi3EEvPKT_PKT0_S8_ifPKiSA_SA_iPKfiiiPfSD_PS3_PT2_iSC_SC_.kd
    .uniform_work_group_size: 1
    .uses_dynamic_stack: false
    .vgpr_count:     80
    .vgpr_spill_count: 0
    .wavefront_size: 64
  - .agpr_count:     0
    .args:
      - .actual_access:  read_only
        .address_space:  global
        .offset:         0
        .size:           8
        .value_kind:     global_buffer
      - .actual_access:  read_only
        .address_space:  global
        .offset:         8
        .size:           8
        .value_kind:     global_buffer
      - .actual_access:  read_only
        .address_space:  global
        .offset:         16
        .size:           8
        .value_kind:     global_buffer
      - .offset:         24
        .size:           4
        .value_kind:     by_value
      - .offset:         28
        .size:           4
        .value_kind:     by_value
      - .actual_access:  read_only
        .address_space:  global
        .offset:         32
        .size:           8
        .value_kind:     global_buffer
      - .actual_access:  read_only
        .address_space:  global
        .offset:         40
        .size:           8
        .value_kind:     global_buffer
      - .actual_access:  read_only
        .address_space:  global
        .offset:         48
        .size:           8
        .value_kind:     global_buffer
      - .offset:         56
        .size:           4
        .value_kind:     by_value
      - .actual_access:  read_only
        .address_space:  global
        .offset:         64
        .size:           8
        .value_kind:     global_buffer
      - .offset:         72
        .size:           4
        .value_kind:     by_value
      - .offset:         76
        .size:           4
        .value_kind:     by_value
      - .offset:         80
        .size:           4
        .value_kind:     by_value
      - .actual_access:  write_only
        .address_space:  global
        .offset:         88
        .size:           8
        .value_kind:     global_buffer
      - .actual_access:  write_only
        .address_space:  global
        .offset:         96
        .size:           8
        .value_kind:     global_buffer
      - .actual_access:  write_only
        .address_space:  global
        .offset:         104
        .size:           8
        .value_kind:     global_buffer
      - .actual_access:  read_only
        .address_space:  global
        .offset:         112
        .size:           8
        .value_kind:     global_buffer
      - .offset:         120
        .size:           4
        .value_kind:     by_value
      - .address_space:  global
        .offset:         128
        .size:           8
        .value_kind:     global_buffer
      - .address_space:  global
        .offset:         136
        .size:           8
        .value_kind:     global_buffer
      - .offset:         144
        .size:           4
        .value_kind:     hidden_block_count_x
      - .offset:         148
        .size:           4
        .value_kind:     hidden_block_count_y
      - .offset:         152
        .size:           4
        .value_kind:     hidden_block_count_z
      - .offset:         156
        .size:           2
        .value_kind:     hidden_group_size_x
      - .offset:         158
        .size:           2
        .value_kind:     hidden_group_size_y
      - .offset:         160
        .size:           2
        .value_kind:     hidden_group_size_z
      - .offset:         162
        .size:           2
        .value_kind:     hidden_remainder_x
      - .offset:         164
        .size:           2
        .value_kind:     hidden_remainder_y
      - .offset:         166
        .size:           2
        .value_kind:     hidden_remainder_z
      - .offset:         184
        .size:           8
        .value_kind:     hidden_global_offset_x
      - .offset:         192
        .size:           8
        .value_kind:     hidden_global_offset_y
      - .offset:         200
        .size:           8
        .value_kind:     hidden_global_offset_z
      - .offset:         208
        .size:           2
        .value_kind:     hidden_grid_dims
    .group_segment_fixed_size: 8192
    .kernarg_segment_align: 8
    .kernarg_segment_size: 400
    .language:       OpenCL C
    .language_version:
      - 2
      - 0
    .max_flat_workgroup_size: 256
    .name:           _Z39paged_attention_ll4mi_QKV_mfma16_kernelI14__hip_bfloat16hLN4vllm18Fp8KVCacheDataTypeE1EhLi32ELi128ELi256ELb1ELi4EEvPKT_PKT0_S8_ifPKiSA_SA_iPKfiiiPfSD_PS3_PT2_iSC_SC_
    .private_segment_fixed_size: 0
    .sgpr_count:     54
    .sgpr_spill_count: 0
    .symbol:         _Z39paged_attention_ll4mi_QKV_mfma16_kernelI14__hip_bfloat16hLN4vllm18Fp8KVCacheDataTypeE1EhLi32ELi128ELi256ELb1ELi4EEvPKT_PKT0_S8_ifPKiSA_SA_iPKfiiiPfSD_PS3_PT2_iSC_SC_.kd
    .uniform_work_group_size: 1
    .uses_dynamic_stack: false
    .vgpr_count:     80
    .vgpr_spill_count: 0
    .wavefront_size: 64
  - .agpr_count:     4
    .args:
      - .actual_access:  read_only
        .address_space:  global
        .offset:         0
        .size:           8
        .value_kind:     global_buffer
      - .actual_access:  read_only
        .address_space:  global
        .offset:         8
        .size:           8
        .value_kind:     global_buffer
      - .actual_access:  read_only
        .address_space:  global
        .offset:         16
        .size:           8
        .value_kind:     global_buffer
      - .offset:         24
        .size:           4
        .value_kind:     by_value
      - .offset:         28
        .size:           4
        .value_kind:     by_value
      - .actual_access:  read_only
        .address_space:  global
        .offset:         32
        .size:           8
        .value_kind:     global_buffer
      - .actual_access:  read_only
        .address_space:  global
        .offset:         40
        .size:           8
        .value_kind:     global_buffer
      - .actual_access:  read_only
        .address_space:  global
        .offset:         48
        .size:           8
        .value_kind:     global_buffer
      - .offset:         56
        .size:           4
        .value_kind:     by_value
      - .actual_access:  read_only
        .address_space:  global
        .offset:         64
        .size:           8
        .value_kind:     global_buffer
      - .offset:         72
        .size:           4
        .value_kind:     by_value
      - .offset:         76
        .size:           4
        .value_kind:     by_value
      - .offset:         80
        .size:           4
        .value_kind:     by_value
      - .actual_access:  write_only
        .address_space:  global
        .offset:         88
        .size:           8
        .value_kind:     global_buffer
      - .actual_access:  write_only
        .address_space:  global
        .offset:         96
        .size:           8
        .value_kind:     global_buffer
      - .actual_access:  write_only
        .address_space:  global
        .offset:         104
        .size:           8
        .value_kind:     global_buffer
      - .actual_access:  read_only
        .address_space:  global
        .offset:         112
        .size:           8
        .value_kind:     global_buffer
      - .offset:         120
        .size:           4
        .value_kind:     by_value
      - .address_space:  global
        .offset:         128
        .size:           8
        .value_kind:     global_buffer
      - .address_space:  global
        .offset:         136
        .size:           8
        .value_kind:     global_buffer
      - .offset:         144
        .size:           4
        .value_kind:     hidden_block_count_x
      - .offset:         148
        .size:           4
        .value_kind:     hidden_block_count_y
      - .offset:         152
        .size:           4
        .value_kind:     hidden_block_count_z
      - .offset:         156
        .size:           2
        .value_kind:     hidden_group_size_x
      - .offset:         158
        .size:           2
        .value_kind:     hidden_group_size_y
      - .offset:         160
        .size:           2
        .value_kind:     hidden_group_size_z
      - .offset:         162
        .size:           2
        .value_kind:     hidden_remainder_x
      - .offset:         164
        .size:           2
        .value_kind:     hidden_remainder_y
      - .offset:         166
        .size:           2
        .value_kind:     hidden_remainder_z
      - .offset:         184
        .size:           8
        .value_kind:     hidden_global_offset_x
      - .offset:         192
        .size:           8
        .value_kind:     hidden_global_offset_y
      - .offset:         200
        .size:           8
        .value_kind:     hidden_global_offset_z
      - .offset:         208
        .size:           2
        .value_kind:     hidden_grid_dims
    .group_segment_fixed_size: 5280
    .kernarg_segment_align: 8
    .kernarg_segment_size: 400
    .language:       OpenCL C
    .language_version:
      - 2
      - 0
    .max_flat_workgroup_size: 256
    .name:           _Z38paged_attention_ll4mi_QKV_mfma4_kernelI14__hip_bfloat16hLN4vllm18Fp8KVCacheDataTypeE1EhLi32ELi128ELi256ELb0ELi1EEvPKT_PKT0_S8_ifPKiSA_SA_iPKfiiiPfSD_PS3_PT2_iSC_SC_
    .private_segment_fixed_size: 0
    .sgpr_count:     48
    .sgpr_spill_count: 0
    .symbol:         _Z38paged_attention_ll4mi_QKV_mfma4_kernelI14__hip_bfloat16hLN4vllm18Fp8KVCacheDataTypeE1EhLi32ELi128ELi256ELb0ELi1EEvPKT_PKT0_S8_ifPKiSA_SA_iPKfiiiPfSD_PS3_PT2_iSC_SC_.kd
    .uniform_work_group_size: 1
    .uses_dynamic_stack: false
    .vgpr_count:     108
    .vgpr_spill_count: 0
    .wavefront_size: 64
  - .agpr_count:     4
    .args:
      - .actual_access:  read_only
        .address_space:  global
        .offset:         0
        .size:           8
        .value_kind:     global_buffer
      - .actual_access:  read_only
        .address_space:  global
        .offset:         8
        .size:           8
        .value_kind:     global_buffer
      - .actual_access:  read_only
        .address_space:  global
        .offset:         16
        .size:           8
        .value_kind:     global_buffer
      - .offset:         24
        .size:           4
        .value_kind:     by_value
      - .offset:         28
        .size:           4
        .value_kind:     by_value
      - .actual_access:  read_only
        .address_space:  global
        .offset:         32
        .size:           8
        .value_kind:     global_buffer
      - .actual_access:  read_only
        .address_space:  global
        .offset:         40
        .size:           8
        .value_kind:     global_buffer
      - .actual_access:  read_only
        .address_space:  global
        .offset:         48
        .size:           8
        .value_kind:     global_buffer
      - .offset:         56
        .size:           4
        .value_kind:     by_value
      - .actual_access:  read_only
        .address_space:  global
        .offset:         64
        .size:           8
        .value_kind:     global_buffer
      - .offset:         72
        .size:           4
        .value_kind:     by_value
      - .offset:         76
        .size:           4
        .value_kind:     by_value
      - .offset:         80
        .size:           4
        .value_kind:     by_value
      - .actual_access:  write_only
        .address_space:  global
        .offset:         88
        .size:           8
        .value_kind:     global_buffer
      - .actual_access:  write_only
        .address_space:  global
        .offset:         96
        .size:           8
        .value_kind:     global_buffer
      - .actual_access:  write_only
        .address_space:  global
        .offset:         104
        .size:           8
        .value_kind:     global_buffer
      - .actual_access:  read_only
        .address_space:  global
        .offset:         112
        .size:           8
        .value_kind:     global_buffer
      - .offset:         120
        .size:           4
        .value_kind:     by_value
      - .address_space:  global
        .offset:         128
        .size:           8
        .value_kind:     global_buffer
      - .address_space:  global
        .offset:         136
        .size:           8
        .value_kind:     global_buffer
      - .offset:         144
        .size:           4
        .value_kind:     hidden_block_count_x
      - .offset:         148
        .size:           4
        .value_kind:     hidden_block_count_y
      - .offset:         152
        .size:           4
        .value_kind:     hidden_block_count_z
      - .offset:         156
        .size:           2
        .value_kind:     hidden_group_size_x
      - .offset:         158
        .size:           2
        .value_kind:     hidden_group_size_y
      - .offset:         160
        .size:           2
        .value_kind:     hidden_group_size_z
      - .offset:         162
        .size:           2
        .value_kind:     hidden_remainder_x
      - .offset:         164
        .size:           2
        .value_kind:     hidden_remainder_y
      - .offset:         166
        .size:           2
        .value_kind:     hidden_remainder_z
      - .offset:         184
        .size:           8
        .value_kind:     hidden_global_offset_x
      - .offset:         192
        .size:           8
        .value_kind:     hidden_global_offset_y
      - .offset:         200
        .size:           8
        .value_kind:     hidden_global_offset_z
      - .offset:         208
        .size:           2
        .value_kind:     hidden_grid_dims
    .group_segment_fixed_size: 5280
    .kernarg_segment_align: 8
    .kernarg_segment_size: 400
    .language:       OpenCL C
    .language_version:
      - 2
      - 0
    .max_flat_workgroup_size: 256
    .name:           _Z38paged_attention_ll4mi_QKV_mfma4_kernelI14__hip_bfloat16hLN4vllm18Fp8KVCacheDataTypeE1EhLi32ELi128ELi256ELb0ELi2EEvPKT_PKT0_S8_ifPKiSA_SA_iPKfiiiPfSD_PS3_PT2_iSC_SC_
    .private_segment_fixed_size: 0
    .sgpr_count:     48
    .sgpr_spill_count: 0
    .symbol:         _Z38paged_attention_ll4mi_QKV_mfma4_kernelI14__hip_bfloat16hLN4vllm18Fp8KVCacheDataTypeE1EhLi32ELi128ELi256ELb0ELi2EEvPKT_PKT0_S8_ifPKiSA_SA_iPKfiiiPfSD_PS3_PT2_iSC_SC_.kd
    .uniform_work_group_size: 1
    .uses_dynamic_stack: false
    .vgpr_count:     88
    .vgpr_spill_count: 0
    .wavefront_size: 64
  - .agpr_count:     4
    .args:
      - .actual_access:  read_only
        .address_space:  global
        .offset:         0
        .size:           8
        .value_kind:     global_buffer
      - .actual_access:  read_only
        .address_space:  global
        .offset:         8
        .size:           8
        .value_kind:     global_buffer
      - .actual_access:  read_only
        .address_space:  global
        .offset:         16
        .size:           8
        .value_kind:     global_buffer
      - .offset:         24
        .size:           4
        .value_kind:     by_value
      - .offset:         28
        .size:           4
        .value_kind:     by_value
      - .actual_access:  read_only
        .address_space:  global
        .offset:         32
        .size:           8
        .value_kind:     global_buffer
      - .actual_access:  read_only
        .address_space:  global
        .offset:         40
        .size:           8
        .value_kind:     global_buffer
      - .actual_access:  read_only
        .address_space:  global
        .offset:         48
        .size:           8
        .value_kind:     global_buffer
      - .offset:         56
        .size:           4
        .value_kind:     by_value
      - .actual_access:  read_only
        .address_space:  global
        .offset:         64
        .size:           8
        .value_kind:     global_buffer
      - .offset:         72
        .size:           4
        .value_kind:     by_value
      - .offset:         76
        .size:           4
        .value_kind:     by_value
      - .offset:         80
        .size:           4
        .value_kind:     by_value
      - .actual_access:  write_only
        .address_space:  global
        .offset:         88
        .size:           8
        .value_kind:     global_buffer
      - .actual_access:  write_only
        .address_space:  global
        .offset:         96
        .size:           8
        .value_kind:     global_buffer
      - .actual_access:  write_only
        .address_space:  global
        .offset:         104
        .size:           8
        .value_kind:     global_buffer
      - .actual_access:  read_only
        .address_space:  global
        .offset:         112
        .size:           8
        .value_kind:     global_buffer
      - .offset:         120
        .size:           4
        .value_kind:     by_value
      - .address_space:  global
        .offset:         128
        .size:           8
        .value_kind:     global_buffer
      - .address_space:  global
        .offset:         136
        .size:           8
        .value_kind:     global_buffer
      - .offset:         144
        .size:           4
        .value_kind:     hidden_block_count_x
      - .offset:         148
        .size:           4
        .value_kind:     hidden_block_count_y
      - .offset:         152
        .size:           4
        .value_kind:     hidden_block_count_z
      - .offset:         156
        .size:           2
        .value_kind:     hidden_group_size_x
      - .offset:         158
        .size:           2
        .value_kind:     hidden_group_size_y
      - .offset:         160
        .size:           2
        .value_kind:     hidden_group_size_z
      - .offset:         162
        .size:           2
        .value_kind:     hidden_remainder_x
      - .offset:         164
        .size:           2
        .value_kind:     hidden_remainder_y
      - .offset:         166
        .size:           2
        .value_kind:     hidden_remainder_z
      - .offset:         184
        .size:           8
        .value_kind:     hidden_global_offset_x
      - .offset:         192
        .size:           8
        .value_kind:     hidden_global_offset_y
      - .offset:         200
        .size:           8
        .value_kind:     hidden_global_offset_z
      - .offset:         208
        .size:           2
        .value_kind:     hidden_grid_dims
    .group_segment_fixed_size: 5280
    .kernarg_segment_align: 8
    .kernarg_segment_size: 400
    .language:       OpenCL C
    .language_version:
      - 2
      - 0
    .max_flat_workgroup_size: 256
    .name:           _Z38paged_attention_ll4mi_QKV_mfma4_kernelI14__hip_bfloat16hLN4vllm18Fp8KVCacheDataTypeE1EhLi32ELi128ELi256ELb0ELi3EEvPKT_PKT0_S8_ifPKiSA_SA_iPKfiiiPfSD_PS3_PT2_iSC_SC_
    .private_segment_fixed_size: 0
    .sgpr_count:     48
    .sgpr_spill_count: 0
    .symbol:         _Z38paged_attention_ll4mi_QKV_mfma4_kernelI14__hip_bfloat16hLN4vllm18Fp8KVCacheDataTypeE1EhLi32ELi128ELi256ELb0ELi3EEvPKT_PKT0_S8_ifPKiSA_SA_iPKfiiiPfSD_PS3_PT2_iSC_SC_.kd
    .uniform_work_group_size: 1
    .uses_dynamic_stack: false
    .vgpr_count:     108
    .vgpr_spill_count: 0
    .wavefront_size: 64
  - .agpr_count:     4
    .args:
      - .actual_access:  read_only
        .address_space:  global
        .offset:         0
        .size:           8
        .value_kind:     global_buffer
      - .actual_access:  read_only
        .address_space:  global
        .offset:         8
        .size:           8
        .value_kind:     global_buffer
      - .actual_access:  read_only
        .address_space:  global
        .offset:         16
        .size:           8
        .value_kind:     global_buffer
      - .offset:         24
        .size:           4
        .value_kind:     by_value
      - .offset:         28
        .size:           4
        .value_kind:     by_value
      - .actual_access:  read_only
        .address_space:  global
        .offset:         32
        .size:           8
        .value_kind:     global_buffer
      - .actual_access:  read_only
        .address_space:  global
        .offset:         40
        .size:           8
        .value_kind:     global_buffer
      - .actual_access:  read_only
        .address_space:  global
        .offset:         48
        .size:           8
        .value_kind:     global_buffer
      - .offset:         56
        .size:           4
        .value_kind:     by_value
      - .actual_access:  read_only
        .address_space:  global
        .offset:         64
        .size:           8
        .value_kind:     global_buffer
      - .offset:         72
        .size:           4
        .value_kind:     by_value
      - .offset:         76
        .size:           4
        .value_kind:     by_value
      - .offset:         80
        .size:           4
        .value_kind:     by_value
      - .actual_access:  write_only
        .address_space:  global
        .offset:         88
        .size:           8
        .value_kind:     global_buffer
      - .actual_access:  write_only
        .address_space:  global
        .offset:         96
        .size:           8
        .value_kind:     global_buffer
      - .actual_access:  write_only
        .address_space:  global
        .offset:         104
        .size:           8
        .value_kind:     global_buffer
      - .actual_access:  read_only
        .address_space:  global
        .offset:         112
        .size:           8
        .value_kind:     global_buffer
      - .offset:         120
        .size:           4
        .value_kind:     by_value
      - .address_space:  global
        .offset:         128
        .size:           8
        .value_kind:     global_buffer
      - .address_space:  global
        .offset:         136
        .size:           8
        .value_kind:     global_buffer
      - .offset:         144
        .size:           4
        .value_kind:     hidden_block_count_x
      - .offset:         148
        .size:           4
        .value_kind:     hidden_block_count_y
      - .offset:         152
        .size:           4
        .value_kind:     hidden_block_count_z
      - .offset:         156
        .size:           2
        .value_kind:     hidden_group_size_x
      - .offset:         158
        .size:           2
        .value_kind:     hidden_group_size_y
      - .offset:         160
        .size:           2
        .value_kind:     hidden_group_size_z
      - .offset:         162
        .size:           2
        .value_kind:     hidden_remainder_x
      - .offset:         164
        .size:           2
        .value_kind:     hidden_remainder_y
      - .offset:         166
        .size:           2
        .value_kind:     hidden_remainder_z
      - .offset:         184
        .size:           8
        .value_kind:     hidden_global_offset_x
      - .offset:         192
        .size:           8
        .value_kind:     hidden_global_offset_y
      - .offset:         200
        .size:           8
        .value_kind:     hidden_global_offset_z
      - .offset:         208
        .size:           2
        .value_kind:     hidden_grid_dims
    .group_segment_fixed_size: 5280
    .kernarg_segment_align: 8
    .kernarg_segment_size: 400
    .language:       OpenCL C
    .language_version:
      - 2
      - 0
    .max_flat_workgroup_size: 256
    .name:           _Z38paged_attention_ll4mi_QKV_mfma4_kernelI14__hip_bfloat16hLN4vllm18Fp8KVCacheDataTypeE1EhLi32ELi128ELi256ELb0ELi4EEvPKT_PKT0_S8_ifPKiSA_SA_iPKfiiiPfSD_PS3_PT2_iSC_SC_
    .private_segment_fixed_size: 0
    .sgpr_count:     48
    .sgpr_spill_count: 0
    .symbol:         _Z38paged_attention_ll4mi_QKV_mfma4_kernelI14__hip_bfloat16hLN4vllm18Fp8KVCacheDataTypeE1EhLi32ELi128ELi256ELb0ELi4EEvPKT_PKT0_S8_ifPKiSA_SA_iPKfiiiPfSD_PS3_PT2_iSC_SC_.kd
    .uniform_work_group_size: 1
    .uses_dynamic_stack: false
    .vgpr_count:     96
    .vgpr_spill_count: 0
    .wavefront_size: 64
  - .agpr_count:     0
    .args:
      - .actual_access:  read_only
        .address_space:  global
        .offset:         0
        .size:           8
        .value_kind:     global_buffer
      - .actual_access:  read_only
        .address_space:  global
        .offset:         8
        .size:           8
        .value_kind:     global_buffer
      - .actual_access:  read_only
        .address_space:  global
        .offset:         16
        .size:           8
        .value_kind:     global_buffer
      - .offset:         24
        .size:           4
        .value_kind:     by_value
      - .offset:         28
        .size:           4
        .value_kind:     by_value
      - .actual_access:  read_only
        .address_space:  global
        .offset:         32
        .size:           8
        .value_kind:     global_buffer
      - .actual_access:  read_only
        .address_space:  global
        .offset:         40
        .size:           8
        .value_kind:     global_buffer
      - .actual_access:  read_only
        .address_space:  global
        .offset:         48
        .size:           8
        .value_kind:     global_buffer
      - .offset:         56
        .size:           4
        .value_kind:     by_value
      - .actual_access:  read_only
        .address_space:  global
        .offset:         64
        .size:           8
        .value_kind:     global_buffer
      - .offset:         72
        .size:           4
        .value_kind:     by_value
      - .offset:         76
        .size:           4
        .value_kind:     by_value
      - .offset:         80
        .size:           4
        .value_kind:     by_value
      - .actual_access:  write_only
        .address_space:  global
        .offset:         88
        .size:           8
        .value_kind:     global_buffer
      - .actual_access:  write_only
        .address_space:  global
        .offset:         96
        .size:           8
        .value_kind:     global_buffer
      - .actual_access:  write_only
        .address_space:  global
        .offset:         104
        .size:           8
        .value_kind:     global_buffer
      - .actual_access:  read_only
        .address_space:  global
        .offset:         112
        .size:           8
        .value_kind:     global_buffer
      - .offset:         120
        .size:           4
        .value_kind:     by_value
      - .address_space:  global
        .offset:         128
        .size:           8
        .value_kind:     global_buffer
      - .address_space:  global
        .offset:         136
        .size:           8
        .value_kind:     global_buffer
      - .offset:         144
        .size:           4
        .value_kind:     hidden_block_count_x
      - .offset:         148
        .size:           4
        .value_kind:     hidden_block_count_y
      - .offset:         152
        .size:           4
        .value_kind:     hidden_block_count_z
      - .offset:         156
        .size:           2
        .value_kind:     hidden_group_size_x
      - .offset:         158
        .size:           2
        .value_kind:     hidden_group_size_y
      - .offset:         160
        .size:           2
        .value_kind:     hidden_group_size_z
      - .offset:         162
        .size:           2
        .value_kind:     hidden_remainder_x
      - .offset:         164
        .size:           2
        .value_kind:     hidden_remainder_y
      - .offset:         166
        .size:           2
        .value_kind:     hidden_remainder_z
      - .offset:         184
        .size:           8
        .value_kind:     hidden_global_offset_x
      - .offset:         192
        .size:           8
        .value_kind:     hidden_global_offset_y
      - .offset:         200
        .size:           8
        .value_kind:     hidden_global_offset_z
      - .offset:         208
        .size:           2
        .value_kind:     hidden_grid_dims
    .group_segment_fixed_size: 8192
    .kernarg_segment_align: 8
    .kernarg_segment_size: 400
    .language:       OpenCL C
    .language_version:
      - 2
      - 0
    .max_flat_workgroup_size: 256
    .name:           _Z39paged_attention_ll4mi_QKV_mfma16_kernelI14__hip_bfloat16hLN4vllm18Fp8KVCacheDataTypeE1EhLi32ELi128ELi256ELb0ELi5EEvPKT_PKT0_S8_ifPKiSA_SA_iPKfiiiPfSD_PS3_PT2_iSC_SC_
    .private_segment_fixed_size: 0
    .sgpr_count:     56
    .sgpr_spill_count: 0
    .symbol:         _Z39paged_attention_ll4mi_QKV_mfma16_kernelI14__hip_bfloat16hLN4vllm18Fp8KVCacheDataTypeE1EhLi32ELi128ELi256ELb0ELi5EEvPKT_PKT0_S8_ifPKiSA_SA_iPKfiiiPfSD_PS3_PT2_iSC_SC_.kd
    .uniform_work_group_size: 1
    .uses_dynamic_stack: false
    .vgpr_count:     80
    .vgpr_spill_count: 0
    .wavefront_size: 64
  - .agpr_count:     0
    .args:
      - .actual_access:  read_only
        .address_space:  global
        .offset:         0
        .size:           8
        .value_kind:     global_buffer
      - .actual_access:  read_only
        .address_space:  global
        .offset:         8
        .size:           8
        .value_kind:     global_buffer
      - .actual_access:  read_only
        .address_space:  global
        .offset:         16
        .size:           8
        .value_kind:     global_buffer
      - .offset:         24
        .size:           4
        .value_kind:     by_value
      - .offset:         28
        .size:           4
        .value_kind:     by_value
      - .actual_access:  read_only
        .address_space:  global
        .offset:         32
        .size:           8
        .value_kind:     global_buffer
      - .actual_access:  read_only
        .address_space:  global
        .offset:         40
        .size:           8
        .value_kind:     global_buffer
      - .actual_access:  read_only
        .address_space:  global
        .offset:         48
        .size:           8
        .value_kind:     global_buffer
      - .offset:         56
        .size:           4
        .value_kind:     by_value
      - .actual_access:  read_only
        .address_space:  global
        .offset:         64
        .size:           8
        .value_kind:     global_buffer
      - .offset:         72
        .size:           4
        .value_kind:     by_value
      - .offset:         76
        .size:           4
        .value_kind:     by_value
      - .offset:         80
        .size:           4
        .value_kind:     by_value
      - .actual_access:  write_only
        .address_space:  global
        .offset:         88
        .size:           8
        .value_kind:     global_buffer
      - .actual_access:  write_only
        .address_space:  global
        .offset:         96
        .size:           8
        .value_kind:     global_buffer
      - .actual_access:  write_only
        .address_space:  global
        .offset:         104
        .size:           8
        .value_kind:     global_buffer
      - .actual_access:  read_only
        .address_space:  global
        .offset:         112
        .size:           8
        .value_kind:     global_buffer
      - .offset:         120
        .size:           4
        .value_kind:     by_value
      - .address_space:  global
        .offset:         128
        .size:           8
        .value_kind:     global_buffer
      - .address_space:  global
        .offset:         136
        .size:           8
        .value_kind:     global_buffer
      - .offset:         144
        .size:           4
        .value_kind:     hidden_block_count_x
      - .offset:         148
        .size:           4
        .value_kind:     hidden_block_count_y
      - .offset:         152
        .size:           4
        .value_kind:     hidden_block_count_z
      - .offset:         156
        .size:           2
        .value_kind:     hidden_group_size_x
      - .offset:         158
        .size:           2
        .value_kind:     hidden_group_size_y
      - .offset:         160
        .size:           2
        .value_kind:     hidden_group_size_z
      - .offset:         162
        .size:           2
        .value_kind:     hidden_remainder_x
      - .offset:         164
        .size:           2
        .value_kind:     hidden_remainder_y
      - .offset:         166
        .size:           2
        .value_kind:     hidden_remainder_z
      - .offset:         184
        .size:           8
        .value_kind:     hidden_global_offset_x
      - .offset:         192
        .size:           8
        .value_kind:     hidden_global_offset_y
      - .offset:         200
        .size:           8
        .value_kind:     hidden_global_offset_z
      - .offset:         208
        .size:           2
        .value_kind:     hidden_grid_dims
    .group_segment_fixed_size: 8192
    .kernarg_segment_align: 8
    .kernarg_segment_size: 400
    .language:       OpenCL C
    .language_version:
      - 2
      - 0
    .max_flat_workgroup_size: 256
    .name:           _Z39paged_attention_ll4mi_QKV_mfma16_kernelI14__hip_bfloat16hLN4vllm18Fp8KVCacheDataTypeE1EhLi32ELi128ELi256ELb0ELi6EEvPKT_PKT0_S8_ifPKiSA_SA_iPKfiiiPfSD_PS3_PT2_iSC_SC_
    .private_segment_fixed_size: 0
    .sgpr_count:     56
    .sgpr_spill_count: 0
    .symbol:         _Z39paged_attention_ll4mi_QKV_mfma16_kernelI14__hip_bfloat16hLN4vllm18Fp8KVCacheDataTypeE1EhLi32ELi128ELi256ELb0ELi6EEvPKT_PKT0_S8_ifPKiSA_SA_iPKfiiiPfSD_PS3_PT2_iSC_SC_.kd
    .uniform_work_group_size: 1
    .uses_dynamic_stack: false
    .vgpr_count:     80
    .vgpr_spill_count: 0
    .wavefront_size: 64
  - .agpr_count:     0
    .args:
      - .actual_access:  read_only
        .address_space:  global
        .offset:         0
        .size:           8
        .value_kind:     global_buffer
      - .actual_access:  read_only
        .address_space:  global
        .offset:         8
        .size:           8
        .value_kind:     global_buffer
      - .actual_access:  read_only
        .address_space:  global
        .offset:         16
        .size:           8
        .value_kind:     global_buffer
      - .offset:         24
        .size:           4
        .value_kind:     by_value
      - .offset:         28
        .size:           4
        .value_kind:     by_value
      - .actual_access:  read_only
        .address_space:  global
        .offset:         32
        .size:           8
        .value_kind:     global_buffer
      - .actual_access:  read_only
        .address_space:  global
        .offset:         40
        .size:           8
        .value_kind:     global_buffer
      - .actual_access:  read_only
        .address_space:  global
        .offset:         48
        .size:           8
        .value_kind:     global_buffer
      - .offset:         56
        .size:           4
        .value_kind:     by_value
      - .actual_access:  read_only
        .address_space:  global
        .offset:         64
        .size:           8
        .value_kind:     global_buffer
      - .offset:         72
        .size:           4
        .value_kind:     by_value
      - .offset:         76
        .size:           4
        .value_kind:     by_value
      - .offset:         80
        .size:           4
        .value_kind:     by_value
      - .actual_access:  write_only
        .address_space:  global
        .offset:         88
        .size:           8
        .value_kind:     global_buffer
      - .actual_access:  write_only
        .address_space:  global
        .offset:         96
        .size:           8
        .value_kind:     global_buffer
      - .actual_access:  write_only
        .address_space:  global
        .offset:         104
        .size:           8
        .value_kind:     global_buffer
      - .actual_access:  read_only
        .address_space:  global
        .offset:         112
        .size:           8
        .value_kind:     global_buffer
      - .offset:         120
        .size:           4
        .value_kind:     by_value
      - .address_space:  global
        .offset:         128
        .size:           8
        .value_kind:     global_buffer
      - .address_space:  global
        .offset:         136
        .size:           8
        .value_kind:     global_buffer
      - .offset:         144
        .size:           4
        .value_kind:     hidden_block_count_x
      - .offset:         148
        .size:           4
        .value_kind:     hidden_block_count_y
      - .offset:         152
        .size:           4
        .value_kind:     hidden_block_count_z
      - .offset:         156
        .size:           2
        .value_kind:     hidden_group_size_x
      - .offset:         158
        .size:           2
        .value_kind:     hidden_group_size_y
      - .offset:         160
        .size:           2
        .value_kind:     hidden_group_size_z
      - .offset:         162
        .size:           2
        .value_kind:     hidden_remainder_x
      - .offset:         164
        .size:           2
        .value_kind:     hidden_remainder_y
      - .offset:         166
        .size:           2
        .value_kind:     hidden_remainder_z
      - .offset:         184
        .size:           8
        .value_kind:     hidden_global_offset_x
      - .offset:         192
        .size:           8
        .value_kind:     hidden_global_offset_y
      - .offset:         200
        .size:           8
        .value_kind:     hidden_global_offset_z
      - .offset:         208
        .size:           2
        .value_kind:     hidden_grid_dims
    .group_segment_fixed_size: 8192
    .kernarg_segment_align: 8
    .kernarg_segment_size: 400
    .language:       OpenCL C
    .language_version:
      - 2
      - 0
    .max_flat_workgroup_size: 256
    .name:           _Z39paged_attention_ll4mi_QKV_mfma16_kernelI14__hip_bfloat16hLN4vllm18Fp8KVCacheDataTypeE1EhLi32ELi128ELi256ELb0ELi7EEvPKT_PKT0_S8_ifPKiSA_SA_iPKfiiiPfSD_PS3_PT2_iSC_SC_
    .private_segment_fixed_size: 0
    .sgpr_count:     56
    .sgpr_spill_count: 0
    .symbol:         _Z39paged_attention_ll4mi_QKV_mfma16_kernelI14__hip_bfloat16hLN4vllm18Fp8KVCacheDataTypeE1EhLi32ELi128ELi256ELb0ELi7EEvPKT_PKT0_S8_ifPKiSA_SA_iPKfiiiPfSD_PS3_PT2_iSC_SC_.kd
    .uniform_work_group_size: 1
    .uses_dynamic_stack: false
    .vgpr_count:     80
    .vgpr_spill_count: 0
    .wavefront_size: 64
  - .agpr_count:     0
    .args:
      - .actual_access:  read_only
        .address_space:  global
        .offset:         0
        .size:           8
        .value_kind:     global_buffer
      - .actual_access:  read_only
        .address_space:  global
        .offset:         8
        .size:           8
        .value_kind:     global_buffer
      - .actual_access:  read_only
        .address_space:  global
        .offset:         16
        .size:           8
        .value_kind:     global_buffer
      - .offset:         24
        .size:           4
        .value_kind:     by_value
      - .offset:         28
        .size:           4
        .value_kind:     by_value
      - .actual_access:  read_only
        .address_space:  global
        .offset:         32
        .size:           8
        .value_kind:     global_buffer
      - .actual_access:  read_only
        .address_space:  global
        .offset:         40
        .size:           8
        .value_kind:     global_buffer
      - .actual_access:  read_only
        .address_space:  global
        .offset:         48
        .size:           8
        .value_kind:     global_buffer
      - .offset:         56
        .size:           4
        .value_kind:     by_value
      - .actual_access:  read_only
        .address_space:  global
        .offset:         64
        .size:           8
        .value_kind:     global_buffer
      - .offset:         72
        .size:           4
        .value_kind:     by_value
      - .offset:         76
        .size:           4
        .value_kind:     by_value
      - .offset:         80
        .size:           4
        .value_kind:     by_value
      - .actual_access:  write_only
        .address_space:  global
        .offset:         88
        .size:           8
        .value_kind:     global_buffer
      - .actual_access:  write_only
        .address_space:  global
        .offset:         96
        .size:           8
        .value_kind:     global_buffer
      - .actual_access:  write_only
        .address_space:  global
        .offset:         104
        .size:           8
        .value_kind:     global_buffer
      - .actual_access:  read_only
        .address_space:  global
        .offset:         112
        .size:           8
        .value_kind:     global_buffer
      - .offset:         120
        .size:           4
        .value_kind:     by_value
      - .address_space:  global
        .offset:         128
        .size:           8
        .value_kind:     global_buffer
      - .address_space:  global
        .offset:         136
        .size:           8
        .value_kind:     global_buffer
      - .offset:         144
        .size:           4
        .value_kind:     hidden_block_count_x
      - .offset:         148
        .size:           4
        .value_kind:     hidden_block_count_y
      - .offset:         152
        .size:           4
        .value_kind:     hidden_block_count_z
      - .offset:         156
        .size:           2
        .value_kind:     hidden_group_size_x
      - .offset:         158
        .size:           2
        .value_kind:     hidden_group_size_y
      - .offset:         160
        .size:           2
        .value_kind:     hidden_group_size_z
      - .offset:         162
        .size:           2
        .value_kind:     hidden_remainder_x
      - .offset:         164
        .size:           2
        .value_kind:     hidden_remainder_y
      - .offset:         166
        .size:           2
        .value_kind:     hidden_remainder_z
      - .offset:         184
        .size:           8
        .value_kind:     hidden_global_offset_x
      - .offset:         192
        .size:           8
        .value_kind:     hidden_global_offset_y
      - .offset:         200
        .size:           8
        .value_kind:     hidden_global_offset_z
      - .offset:         208
        .size:           2
        .value_kind:     hidden_grid_dims
    .group_segment_fixed_size: 8192
    .kernarg_segment_align: 8
    .kernarg_segment_size: 400
    .language:       OpenCL C
    .language_version:
      - 2
      - 0
    .max_flat_workgroup_size: 256
    .name:           _Z39paged_attention_ll4mi_QKV_mfma16_kernelI14__hip_bfloat16hLN4vllm18Fp8KVCacheDataTypeE1EhLi32ELi128ELi256ELb0ELi8EEvPKT_PKT0_S8_ifPKiSA_SA_iPKfiiiPfSD_PS3_PT2_iSC_SC_
    .private_segment_fixed_size: 0
    .sgpr_count:     54
    .sgpr_spill_count: 0
    .symbol:         _Z39paged_attention_ll4mi_QKV_mfma16_kernelI14__hip_bfloat16hLN4vllm18Fp8KVCacheDataTypeE1EhLi32ELi128ELi256ELb0ELi8EEvPKT_PKT0_S8_ifPKiSA_SA_iPKfiiiPfSD_PS3_PT2_iSC_SC_.kd
    .uniform_work_group_size: 1
    .uses_dynamic_stack: false
    .vgpr_count:     80
    .vgpr_spill_count: 0
    .wavefront_size: 64
  - .agpr_count:     0
    .args:
      - .actual_access:  read_only
        .address_space:  global
        .offset:         0
        .size:           8
        .value_kind:     global_buffer
      - .actual_access:  read_only
        .address_space:  global
        .offset:         8
        .size:           8
        .value_kind:     global_buffer
      - .actual_access:  read_only
        .address_space:  global
        .offset:         16
        .size:           8
        .value_kind:     global_buffer
      - .offset:         24
        .size:           4
        .value_kind:     by_value
      - .offset:         28
        .size:           4
        .value_kind:     by_value
      - .actual_access:  read_only
        .address_space:  global
        .offset:         32
        .size:           8
        .value_kind:     global_buffer
      - .actual_access:  read_only
        .address_space:  global
        .offset:         40
        .size:           8
        .value_kind:     global_buffer
      - .actual_access:  read_only
        .address_space:  global
        .offset:         48
        .size:           8
        .value_kind:     global_buffer
      - .offset:         56
        .size:           4
        .value_kind:     by_value
      - .actual_access:  read_only
        .address_space:  global
        .offset:         64
        .size:           8
        .value_kind:     global_buffer
      - .offset:         72
        .size:           4
        .value_kind:     by_value
      - .offset:         76
        .size:           4
        .value_kind:     by_value
      - .offset:         80
        .size:           4
        .value_kind:     by_value
      - .actual_access:  write_only
        .address_space:  global
        .offset:         88
        .size:           8
        .value_kind:     global_buffer
      - .actual_access:  write_only
        .address_space:  global
        .offset:         96
        .size:           8
        .value_kind:     global_buffer
      - .actual_access:  write_only
        .address_space:  global
        .offset:         104
        .size:           8
        .value_kind:     global_buffer
      - .actual_access:  read_only
        .address_space:  global
        .offset:         112
        .size:           8
        .value_kind:     global_buffer
      - .offset:         120
        .size:           4
        .value_kind:     by_value
      - .address_space:  global
        .offset:         128
        .size:           8
        .value_kind:     global_buffer
      - .address_space:  global
        .offset:         136
        .size:           8
        .value_kind:     global_buffer
      - .offset:         144
        .size:           4
        .value_kind:     hidden_block_count_x
      - .offset:         148
        .size:           4
        .value_kind:     hidden_block_count_y
      - .offset:         152
        .size:           4
        .value_kind:     hidden_block_count_z
      - .offset:         156
        .size:           2
        .value_kind:     hidden_group_size_x
      - .offset:         158
        .size:           2
        .value_kind:     hidden_group_size_y
      - .offset:         160
        .size:           2
        .value_kind:     hidden_group_size_z
      - .offset:         162
        .size:           2
        .value_kind:     hidden_remainder_x
      - .offset:         164
        .size:           2
        .value_kind:     hidden_remainder_y
      - .offset:         166
        .size:           2
        .value_kind:     hidden_remainder_z
      - .offset:         184
        .size:           8
        .value_kind:     hidden_global_offset_x
      - .offset:         192
        .size:           8
        .value_kind:     hidden_global_offset_y
      - .offset:         200
        .size:           8
        .value_kind:     hidden_global_offset_z
      - .offset:         208
        .size:           2
        .value_kind:     hidden_grid_dims
    .group_segment_fixed_size: 8192
    .kernarg_segment_align: 8
    .kernarg_segment_size: 400
    .language:       OpenCL C
    .language_version:
      - 2
      - 0
    .max_flat_workgroup_size: 256
    .name:           _Z39paged_attention_ll4mi_QKV_mfma16_kernelI14__hip_bfloat16hLN4vllm18Fp8KVCacheDataTypeE1EhLi32ELi128ELi256ELb0ELi9EEvPKT_PKT0_S8_ifPKiSA_SA_iPKfiiiPfSD_PS3_PT2_iSC_SC_
    .private_segment_fixed_size: 0
    .sgpr_count:     56
    .sgpr_spill_count: 0
    .symbol:         _Z39paged_attention_ll4mi_QKV_mfma16_kernelI14__hip_bfloat16hLN4vllm18Fp8KVCacheDataTypeE1EhLi32ELi128ELi256ELb0ELi9EEvPKT_PKT0_S8_ifPKiSA_SA_iPKfiiiPfSD_PS3_PT2_iSC_SC_.kd
    .uniform_work_group_size: 1
    .uses_dynamic_stack: false
    .vgpr_count:     82
    .vgpr_spill_count: 0
    .wavefront_size: 64
  - .agpr_count:     0
    .args:
      - .actual_access:  read_only
        .address_space:  global
        .offset:         0
        .size:           8
        .value_kind:     global_buffer
      - .actual_access:  read_only
        .address_space:  global
        .offset:         8
        .size:           8
        .value_kind:     global_buffer
      - .actual_access:  read_only
        .address_space:  global
        .offset:         16
        .size:           8
        .value_kind:     global_buffer
      - .offset:         24
        .size:           4
        .value_kind:     by_value
      - .offset:         28
        .size:           4
        .value_kind:     by_value
      - .actual_access:  read_only
        .address_space:  global
        .offset:         32
        .size:           8
        .value_kind:     global_buffer
      - .actual_access:  read_only
        .address_space:  global
        .offset:         40
        .size:           8
        .value_kind:     global_buffer
      - .actual_access:  read_only
        .address_space:  global
        .offset:         48
        .size:           8
        .value_kind:     global_buffer
      - .offset:         56
        .size:           4
        .value_kind:     by_value
      - .actual_access:  read_only
        .address_space:  global
        .offset:         64
        .size:           8
        .value_kind:     global_buffer
      - .offset:         72
        .size:           4
        .value_kind:     by_value
      - .offset:         76
        .size:           4
        .value_kind:     by_value
      - .offset:         80
        .size:           4
        .value_kind:     by_value
      - .actual_access:  write_only
        .address_space:  global
        .offset:         88
        .size:           8
        .value_kind:     global_buffer
      - .actual_access:  write_only
        .address_space:  global
        .offset:         96
        .size:           8
        .value_kind:     global_buffer
      - .actual_access:  write_only
        .address_space:  global
        .offset:         104
        .size:           8
        .value_kind:     global_buffer
      - .actual_access:  read_only
        .address_space:  global
        .offset:         112
        .size:           8
        .value_kind:     global_buffer
      - .offset:         120
        .size:           4
        .value_kind:     by_value
      - .address_space:  global
        .offset:         128
        .size:           8
        .value_kind:     global_buffer
      - .address_space:  global
        .offset:         136
        .size:           8
        .value_kind:     global_buffer
      - .offset:         144
        .size:           4
        .value_kind:     hidden_block_count_x
      - .offset:         148
        .size:           4
        .value_kind:     hidden_block_count_y
      - .offset:         152
        .size:           4
        .value_kind:     hidden_block_count_z
      - .offset:         156
        .size:           2
        .value_kind:     hidden_group_size_x
      - .offset:         158
        .size:           2
        .value_kind:     hidden_group_size_y
      - .offset:         160
        .size:           2
        .value_kind:     hidden_group_size_z
      - .offset:         162
        .size:           2
        .value_kind:     hidden_remainder_x
      - .offset:         164
        .size:           2
        .value_kind:     hidden_remainder_y
      - .offset:         166
        .size:           2
        .value_kind:     hidden_remainder_z
      - .offset:         184
        .size:           8
        .value_kind:     hidden_global_offset_x
      - .offset:         192
        .size:           8
        .value_kind:     hidden_global_offset_y
      - .offset:         200
        .size:           8
        .value_kind:     hidden_global_offset_z
      - .offset:         208
        .size:           2
        .value_kind:     hidden_grid_dims
    .group_segment_fixed_size: 8192
    .kernarg_segment_align: 8
    .kernarg_segment_size: 400
    .language:       OpenCL C
    .language_version:
      - 2
      - 0
    .max_flat_workgroup_size: 256
    .name:           _Z39paged_attention_ll4mi_QKV_mfma16_kernelI14__hip_bfloat16hLN4vllm18Fp8KVCacheDataTypeE1EhLi32ELi128ELi256ELb0ELi10EEvPKT_PKT0_S8_ifPKiSA_SA_iPKfiiiPfSD_PS3_PT2_iSC_SC_
    .private_segment_fixed_size: 0
    .sgpr_count:     56
    .sgpr_spill_count: 0
    .symbol:         _Z39paged_attention_ll4mi_QKV_mfma16_kernelI14__hip_bfloat16hLN4vllm18Fp8KVCacheDataTypeE1EhLi32ELi128ELi256ELb0ELi10EEvPKT_PKT0_S8_ifPKiSA_SA_iPKfiiiPfSD_PS3_PT2_iSC_SC_.kd
    .uniform_work_group_size: 1
    .uses_dynamic_stack: false
    .vgpr_count:     82
    .vgpr_spill_count: 0
    .wavefront_size: 64
  - .agpr_count:     0
    .args:
      - .actual_access:  read_only
        .address_space:  global
        .offset:         0
        .size:           8
        .value_kind:     global_buffer
      - .actual_access:  read_only
        .address_space:  global
        .offset:         8
        .size:           8
        .value_kind:     global_buffer
      - .actual_access:  read_only
        .address_space:  global
        .offset:         16
        .size:           8
        .value_kind:     global_buffer
      - .offset:         24
        .size:           4
        .value_kind:     by_value
      - .offset:         28
        .size:           4
        .value_kind:     by_value
      - .actual_access:  read_only
        .address_space:  global
        .offset:         32
        .size:           8
        .value_kind:     global_buffer
      - .actual_access:  read_only
        .address_space:  global
        .offset:         40
        .size:           8
        .value_kind:     global_buffer
      - .actual_access:  read_only
        .address_space:  global
        .offset:         48
        .size:           8
        .value_kind:     global_buffer
      - .offset:         56
        .size:           4
        .value_kind:     by_value
      - .actual_access:  read_only
        .address_space:  global
        .offset:         64
        .size:           8
        .value_kind:     global_buffer
      - .offset:         72
        .size:           4
        .value_kind:     by_value
      - .offset:         76
        .size:           4
        .value_kind:     by_value
      - .offset:         80
        .size:           4
        .value_kind:     by_value
      - .actual_access:  write_only
        .address_space:  global
        .offset:         88
        .size:           8
        .value_kind:     global_buffer
      - .actual_access:  write_only
        .address_space:  global
        .offset:         96
        .size:           8
        .value_kind:     global_buffer
      - .actual_access:  write_only
        .address_space:  global
        .offset:         104
        .size:           8
        .value_kind:     global_buffer
      - .actual_access:  read_only
        .address_space:  global
        .offset:         112
        .size:           8
        .value_kind:     global_buffer
      - .offset:         120
        .size:           4
        .value_kind:     by_value
      - .address_space:  global
        .offset:         128
        .size:           8
        .value_kind:     global_buffer
      - .address_space:  global
        .offset:         136
        .size:           8
        .value_kind:     global_buffer
      - .offset:         144
        .size:           4
        .value_kind:     hidden_block_count_x
      - .offset:         148
        .size:           4
        .value_kind:     hidden_block_count_y
      - .offset:         152
        .size:           4
        .value_kind:     hidden_block_count_z
      - .offset:         156
        .size:           2
        .value_kind:     hidden_group_size_x
      - .offset:         158
        .size:           2
        .value_kind:     hidden_group_size_y
      - .offset:         160
        .size:           2
        .value_kind:     hidden_group_size_z
      - .offset:         162
        .size:           2
        .value_kind:     hidden_remainder_x
      - .offset:         164
        .size:           2
        .value_kind:     hidden_remainder_y
      - .offset:         166
        .size:           2
        .value_kind:     hidden_remainder_z
      - .offset:         184
        .size:           8
        .value_kind:     hidden_global_offset_x
      - .offset:         192
        .size:           8
        .value_kind:     hidden_global_offset_y
      - .offset:         200
        .size:           8
        .value_kind:     hidden_global_offset_z
      - .offset:         208
        .size:           2
        .value_kind:     hidden_grid_dims
    .group_segment_fixed_size: 8192
    .kernarg_segment_align: 8
    .kernarg_segment_size: 400
    .language:       OpenCL C
    .language_version:
      - 2
      - 0
    .max_flat_workgroup_size: 256
    .name:           _Z39paged_attention_ll4mi_QKV_mfma16_kernelI14__hip_bfloat16hLN4vllm18Fp8KVCacheDataTypeE1EhLi32ELi128ELi256ELb0ELi11EEvPKT_PKT0_S8_ifPKiSA_SA_iPKfiiiPfSD_PS3_PT2_iSC_SC_
    .private_segment_fixed_size: 0
    .sgpr_count:     56
    .sgpr_spill_count: 0
    .symbol:         _Z39paged_attention_ll4mi_QKV_mfma16_kernelI14__hip_bfloat16hLN4vllm18Fp8KVCacheDataTypeE1EhLi32ELi128ELi256ELb0ELi11EEvPKT_PKT0_S8_ifPKiSA_SA_iPKfiiiPfSD_PS3_PT2_iSC_SC_.kd
    .uniform_work_group_size: 1
    .uses_dynamic_stack: false
    .vgpr_count:     82
    .vgpr_spill_count: 0
    .wavefront_size: 64
  - .agpr_count:     0
    .args:
      - .actual_access:  read_only
        .address_space:  global
        .offset:         0
        .size:           8
        .value_kind:     global_buffer
      - .actual_access:  read_only
        .address_space:  global
        .offset:         8
        .size:           8
        .value_kind:     global_buffer
      - .actual_access:  read_only
        .address_space:  global
        .offset:         16
        .size:           8
        .value_kind:     global_buffer
      - .offset:         24
        .size:           4
        .value_kind:     by_value
      - .offset:         28
        .size:           4
        .value_kind:     by_value
      - .actual_access:  read_only
        .address_space:  global
        .offset:         32
        .size:           8
        .value_kind:     global_buffer
      - .actual_access:  read_only
        .address_space:  global
        .offset:         40
        .size:           8
        .value_kind:     global_buffer
      - .actual_access:  read_only
        .address_space:  global
        .offset:         48
        .size:           8
        .value_kind:     global_buffer
      - .offset:         56
        .size:           4
        .value_kind:     by_value
      - .actual_access:  read_only
        .address_space:  global
        .offset:         64
        .size:           8
        .value_kind:     global_buffer
      - .offset:         72
        .size:           4
        .value_kind:     by_value
      - .offset:         76
        .size:           4
        .value_kind:     by_value
      - .offset:         80
        .size:           4
        .value_kind:     by_value
      - .actual_access:  write_only
        .address_space:  global
        .offset:         88
        .size:           8
        .value_kind:     global_buffer
      - .actual_access:  write_only
        .address_space:  global
        .offset:         96
        .size:           8
        .value_kind:     global_buffer
      - .actual_access:  write_only
        .address_space:  global
        .offset:         104
        .size:           8
        .value_kind:     global_buffer
      - .actual_access:  read_only
        .address_space:  global
        .offset:         112
        .size:           8
        .value_kind:     global_buffer
      - .offset:         120
        .size:           4
        .value_kind:     by_value
      - .address_space:  global
        .offset:         128
        .size:           8
        .value_kind:     global_buffer
      - .address_space:  global
        .offset:         136
        .size:           8
        .value_kind:     global_buffer
      - .offset:         144
        .size:           4
        .value_kind:     hidden_block_count_x
      - .offset:         148
        .size:           4
        .value_kind:     hidden_block_count_y
      - .offset:         152
        .size:           4
        .value_kind:     hidden_block_count_z
      - .offset:         156
        .size:           2
        .value_kind:     hidden_group_size_x
      - .offset:         158
        .size:           2
        .value_kind:     hidden_group_size_y
      - .offset:         160
        .size:           2
        .value_kind:     hidden_group_size_z
      - .offset:         162
        .size:           2
        .value_kind:     hidden_remainder_x
      - .offset:         164
        .size:           2
        .value_kind:     hidden_remainder_y
      - .offset:         166
        .size:           2
        .value_kind:     hidden_remainder_z
      - .offset:         184
        .size:           8
        .value_kind:     hidden_global_offset_x
      - .offset:         192
        .size:           8
        .value_kind:     hidden_global_offset_y
      - .offset:         200
        .size:           8
        .value_kind:     hidden_global_offset_z
      - .offset:         208
        .size:           2
        .value_kind:     hidden_grid_dims
    .group_segment_fixed_size: 8192
    .kernarg_segment_align: 8
    .kernarg_segment_size: 400
    .language:       OpenCL C
    .language_version:
      - 2
      - 0
    .max_flat_workgroup_size: 256
    .name:           _Z39paged_attention_ll4mi_QKV_mfma16_kernelI14__hip_bfloat16hLN4vllm18Fp8KVCacheDataTypeE1EhLi32ELi128ELi256ELb0ELi12EEvPKT_PKT0_S8_ifPKiSA_SA_iPKfiiiPfSD_PS3_PT2_iSC_SC_
    .private_segment_fixed_size: 0
    .sgpr_count:     56
    .sgpr_spill_count: 0
    .symbol:         _Z39paged_attention_ll4mi_QKV_mfma16_kernelI14__hip_bfloat16hLN4vllm18Fp8KVCacheDataTypeE1EhLi32ELi128ELi256ELb0ELi12EEvPKT_PKT0_S8_ifPKiSA_SA_iPKfiiiPfSD_PS3_PT2_iSC_SC_.kd
    .uniform_work_group_size: 1
    .uses_dynamic_stack: false
    .vgpr_count:     82
    .vgpr_spill_count: 0
    .wavefront_size: 64
  - .agpr_count:     0
    .args:
      - .actual_access:  read_only
        .address_space:  global
        .offset:         0
        .size:           8
        .value_kind:     global_buffer
      - .actual_access:  read_only
        .address_space:  global
        .offset:         8
        .size:           8
        .value_kind:     global_buffer
      - .actual_access:  read_only
        .address_space:  global
        .offset:         16
        .size:           8
        .value_kind:     global_buffer
      - .offset:         24
        .size:           4
        .value_kind:     by_value
      - .offset:         28
        .size:           4
        .value_kind:     by_value
      - .actual_access:  read_only
        .address_space:  global
        .offset:         32
        .size:           8
        .value_kind:     global_buffer
      - .actual_access:  read_only
        .address_space:  global
        .offset:         40
        .size:           8
        .value_kind:     global_buffer
      - .actual_access:  read_only
        .address_space:  global
        .offset:         48
        .size:           8
        .value_kind:     global_buffer
      - .offset:         56
        .size:           4
        .value_kind:     by_value
      - .actual_access:  read_only
        .address_space:  global
        .offset:         64
        .size:           8
        .value_kind:     global_buffer
      - .offset:         72
        .size:           4
        .value_kind:     by_value
      - .offset:         76
        .size:           4
        .value_kind:     by_value
      - .offset:         80
        .size:           4
        .value_kind:     by_value
      - .actual_access:  write_only
        .address_space:  global
        .offset:         88
        .size:           8
        .value_kind:     global_buffer
      - .actual_access:  write_only
        .address_space:  global
        .offset:         96
        .size:           8
        .value_kind:     global_buffer
      - .actual_access:  write_only
        .address_space:  global
        .offset:         104
        .size:           8
        .value_kind:     global_buffer
      - .actual_access:  read_only
        .address_space:  global
        .offset:         112
        .size:           8
        .value_kind:     global_buffer
      - .offset:         120
        .size:           4
        .value_kind:     by_value
      - .address_space:  global
        .offset:         128
        .size:           8
        .value_kind:     global_buffer
      - .address_space:  global
        .offset:         136
        .size:           8
        .value_kind:     global_buffer
      - .offset:         144
        .size:           4
        .value_kind:     hidden_block_count_x
      - .offset:         148
        .size:           4
        .value_kind:     hidden_block_count_y
      - .offset:         152
        .size:           4
        .value_kind:     hidden_block_count_z
      - .offset:         156
        .size:           2
        .value_kind:     hidden_group_size_x
      - .offset:         158
        .size:           2
        .value_kind:     hidden_group_size_y
      - .offset:         160
        .size:           2
        .value_kind:     hidden_group_size_z
      - .offset:         162
        .size:           2
        .value_kind:     hidden_remainder_x
      - .offset:         164
        .size:           2
        .value_kind:     hidden_remainder_y
      - .offset:         166
        .size:           2
        .value_kind:     hidden_remainder_z
      - .offset:         184
        .size:           8
        .value_kind:     hidden_global_offset_x
      - .offset:         192
        .size:           8
        .value_kind:     hidden_global_offset_y
      - .offset:         200
        .size:           8
        .value_kind:     hidden_global_offset_z
      - .offset:         208
        .size:           2
        .value_kind:     hidden_grid_dims
    .group_segment_fixed_size: 8192
    .kernarg_segment_align: 8
    .kernarg_segment_size: 400
    .language:       OpenCL C
    .language_version:
      - 2
      - 0
    .max_flat_workgroup_size: 256
    .name:           _Z39paged_attention_ll4mi_QKV_mfma16_kernelI14__hip_bfloat16hLN4vllm18Fp8KVCacheDataTypeE1EhLi32ELi128ELi256ELb0ELi13EEvPKT_PKT0_S8_ifPKiSA_SA_iPKfiiiPfSD_PS3_PT2_iSC_SC_
    .private_segment_fixed_size: 0
    .sgpr_count:     56
    .sgpr_spill_count: 0
    .symbol:         _Z39paged_attention_ll4mi_QKV_mfma16_kernelI14__hip_bfloat16hLN4vllm18Fp8KVCacheDataTypeE1EhLi32ELi128ELi256ELb0ELi13EEvPKT_PKT0_S8_ifPKiSA_SA_iPKfiiiPfSD_PS3_PT2_iSC_SC_.kd
    .uniform_work_group_size: 1
    .uses_dynamic_stack: false
    .vgpr_count:     82
    .vgpr_spill_count: 0
    .wavefront_size: 64
  - .agpr_count:     0
    .args:
      - .actual_access:  read_only
        .address_space:  global
        .offset:         0
        .size:           8
        .value_kind:     global_buffer
      - .actual_access:  read_only
        .address_space:  global
        .offset:         8
        .size:           8
        .value_kind:     global_buffer
      - .actual_access:  read_only
        .address_space:  global
        .offset:         16
        .size:           8
        .value_kind:     global_buffer
      - .offset:         24
        .size:           4
        .value_kind:     by_value
      - .offset:         28
        .size:           4
        .value_kind:     by_value
      - .actual_access:  read_only
        .address_space:  global
        .offset:         32
        .size:           8
        .value_kind:     global_buffer
      - .actual_access:  read_only
        .address_space:  global
        .offset:         40
        .size:           8
        .value_kind:     global_buffer
      - .actual_access:  read_only
        .address_space:  global
        .offset:         48
        .size:           8
        .value_kind:     global_buffer
      - .offset:         56
        .size:           4
        .value_kind:     by_value
      - .actual_access:  read_only
        .address_space:  global
        .offset:         64
        .size:           8
        .value_kind:     global_buffer
      - .offset:         72
        .size:           4
        .value_kind:     by_value
      - .offset:         76
        .size:           4
        .value_kind:     by_value
      - .offset:         80
        .size:           4
        .value_kind:     by_value
      - .actual_access:  write_only
        .address_space:  global
        .offset:         88
        .size:           8
        .value_kind:     global_buffer
      - .actual_access:  write_only
        .address_space:  global
        .offset:         96
        .size:           8
        .value_kind:     global_buffer
      - .actual_access:  write_only
        .address_space:  global
        .offset:         104
        .size:           8
        .value_kind:     global_buffer
      - .actual_access:  read_only
        .address_space:  global
        .offset:         112
        .size:           8
        .value_kind:     global_buffer
      - .offset:         120
        .size:           4
        .value_kind:     by_value
      - .address_space:  global
        .offset:         128
        .size:           8
        .value_kind:     global_buffer
      - .address_space:  global
        .offset:         136
        .size:           8
        .value_kind:     global_buffer
      - .offset:         144
        .size:           4
        .value_kind:     hidden_block_count_x
      - .offset:         148
        .size:           4
        .value_kind:     hidden_block_count_y
      - .offset:         152
        .size:           4
        .value_kind:     hidden_block_count_z
      - .offset:         156
        .size:           2
        .value_kind:     hidden_group_size_x
      - .offset:         158
        .size:           2
        .value_kind:     hidden_group_size_y
      - .offset:         160
        .size:           2
        .value_kind:     hidden_group_size_z
      - .offset:         162
        .size:           2
        .value_kind:     hidden_remainder_x
      - .offset:         164
        .size:           2
        .value_kind:     hidden_remainder_y
      - .offset:         166
        .size:           2
        .value_kind:     hidden_remainder_z
      - .offset:         184
        .size:           8
        .value_kind:     hidden_global_offset_x
      - .offset:         192
        .size:           8
        .value_kind:     hidden_global_offset_y
      - .offset:         200
        .size:           8
        .value_kind:     hidden_global_offset_z
      - .offset:         208
        .size:           2
        .value_kind:     hidden_grid_dims
    .group_segment_fixed_size: 8192
    .kernarg_segment_align: 8
    .kernarg_segment_size: 400
    .language:       OpenCL C
    .language_version:
      - 2
      - 0
    .max_flat_workgroup_size: 256
    .name:           _Z39paged_attention_ll4mi_QKV_mfma16_kernelI14__hip_bfloat16hLN4vllm18Fp8KVCacheDataTypeE1EhLi32ELi128ELi256ELb0ELi14EEvPKT_PKT0_S8_ifPKiSA_SA_iPKfiiiPfSD_PS3_PT2_iSC_SC_
    .private_segment_fixed_size: 0
    .sgpr_count:     56
    .sgpr_spill_count: 0
    .symbol:         _Z39paged_attention_ll4mi_QKV_mfma16_kernelI14__hip_bfloat16hLN4vllm18Fp8KVCacheDataTypeE1EhLi32ELi128ELi256ELb0ELi14EEvPKT_PKT0_S8_ifPKiSA_SA_iPKfiiiPfSD_PS3_PT2_iSC_SC_.kd
    .uniform_work_group_size: 1
    .uses_dynamic_stack: false
    .vgpr_count:     82
    .vgpr_spill_count: 0
    .wavefront_size: 64
  - .agpr_count:     0
    .args:
      - .actual_access:  read_only
        .address_space:  global
        .offset:         0
        .size:           8
        .value_kind:     global_buffer
      - .actual_access:  read_only
        .address_space:  global
        .offset:         8
        .size:           8
        .value_kind:     global_buffer
      - .actual_access:  read_only
        .address_space:  global
        .offset:         16
        .size:           8
        .value_kind:     global_buffer
      - .offset:         24
        .size:           4
        .value_kind:     by_value
      - .offset:         28
        .size:           4
        .value_kind:     by_value
      - .actual_access:  read_only
        .address_space:  global
        .offset:         32
        .size:           8
        .value_kind:     global_buffer
      - .actual_access:  read_only
        .address_space:  global
        .offset:         40
        .size:           8
        .value_kind:     global_buffer
      - .actual_access:  read_only
        .address_space:  global
        .offset:         48
        .size:           8
        .value_kind:     global_buffer
      - .offset:         56
        .size:           4
        .value_kind:     by_value
      - .actual_access:  read_only
        .address_space:  global
        .offset:         64
        .size:           8
        .value_kind:     global_buffer
      - .offset:         72
        .size:           4
        .value_kind:     by_value
      - .offset:         76
        .size:           4
        .value_kind:     by_value
      - .offset:         80
        .size:           4
        .value_kind:     by_value
      - .actual_access:  write_only
        .address_space:  global
        .offset:         88
        .size:           8
        .value_kind:     global_buffer
      - .actual_access:  write_only
        .address_space:  global
        .offset:         96
        .size:           8
        .value_kind:     global_buffer
      - .actual_access:  write_only
        .address_space:  global
        .offset:         104
        .size:           8
        .value_kind:     global_buffer
      - .actual_access:  read_only
        .address_space:  global
        .offset:         112
        .size:           8
        .value_kind:     global_buffer
      - .offset:         120
        .size:           4
        .value_kind:     by_value
      - .address_space:  global
        .offset:         128
        .size:           8
        .value_kind:     global_buffer
      - .address_space:  global
        .offset:         136
        .size:           8
        .value_kind:     global_buffer
      - .offset:         144
        .size:           4
        .value_kind:     hidden_block_count_x
      - .offset:         148
        .size:           4
        .value_kind:     hidden_block_count_y
      - .offset:         152
        .size:           4
        .value_kind:     hidden_block_count_z
      - .offset:         156
        .size:           2
        .value_kind:     hidden_group_size_x
      - .offset:         158
        .size:           2
        .value_kind:     hidden_group_size_y
      - .offset:         160
        .size:           2
        .value_kind:     hidden_group_size_z
      - .offset:         162
        .size:           2
        .value_kind:     hidden_remainder_x
      - .offset:         164
        .size:           2
        .value_kind:     hidden_remainder_y
      - .offset:         166
        .size:           2
        .value_kind:     hidden_remainder_z
      - .offset:         184
        .size:           8
        .value_kind:     hidden_global_offset_x
      - .offset:         192
        .size:           8
        .value_kind:     hidden_global_offset_y
      - .offset:         200
        .size:           8
        .value_kind:     hidden_global_offset_z
      - .offset:         208
        .size:           2
        .value_kind:     hidden_grid_dims
    .group_segment_fixed_size: 8192
    .kernarg_segment_align: 8
    .kernarg_segment_size: 400
    .language:       OpenCL C
    .language_version:
      - 2
      - 0
    .max_flat_workgroup_size: 256
    .name:           _Z39paged_attention_ll4mi_QKV_mfma16_kernelI14__hip_bfloat16hLN4vllm18Fp8KVCacheDataTypeE1EhLi32ELi128ELi256ELb0ELi15EEvPKT_PKT0_S8_ifPKiSA_SA_iPKfiiiPfSD_PS3_PT2_iSC_SC_
    .private_segment_fixed_size: 0
    .sgpr_count:     56
    .sgpr_spill_count: 0
    .symbol:         _Z39paged_attention_ll4mi_QKV_mfma16_kernelI14__hip_bfloat16hLN4vllm18Fp8KVCacheDataTypeE1EhLi32ELi128ELi256ELb0ELi15EEvPKT_PKT0_S8_ifPKiSA_SA_iPKfiiiPfSD_PS3_PT2_iSC_SC_.kd
    .uniform_work_group_size: 1
    .uses_dynamic_stack: false
    .vgpr_count:     80
    .vgpr_spill_count: 0
    .wavefront_size: 64
  - .agpr_count:     0
    .args:
      - .actual_access:  read_only
        .address_space:  global
        .offset:         0
        .size:           8
        .value_kind:     global_buffer
      - .actual_access:  read_only
        .address_space:  global
        .offset:         8
        .size:           8
        .value_kind:     global_buffer
      - .actual_access:  read_only
        .address_space:  global
        .offset:         16
        .size:           8
        .value_kind:     global_buffer
      - .offset:         24
        .size:           4
        .value_kind:     by_value
      - .offset:         28
        .size:           4
        .value_kind:     by_value
      - .actual_access:  read_only
        .address_space:  global
        .offset:         32
        .size:           8
        .value_kind:     global_buffer
      - .actual_access:  read_only
        .address_space:  global
        .offset:         40
        .size:           8
        .value_kind:     global_buffer
      - .actual_access:  read_only
        .address_space:  global
        .offset:         48
        .size:           8
        .value_kind:     global_buffer
      - .offset:         56
        .size:           4
        .value_kind:     by_value
      - .actual_access:  read_only
        .address_space:  global
        .offset:         64
        .size:           8
        .value_kind:     global_buffer
      - .offset:         72
        .size:           4
        .value_kind:     by_value
      - .offset:         76
        .size:           4
        .value_kind:     by_value
      - .offset:         80
        .size:           4
        .value_kind:     by_value
      - .actual_access:  write_only
        .address_space:  global
        .offset:         88
        .size:           8
        .value_kind:     global_buffer
      - .actual_access:  write_only
        .address_space:  global
        .offset:         96
        .size:           8
        .value_kind:     global_buffer
      - .actual_access:  write_only
        .address_space:  global
        .offset:         104
        .size:           8
        .value_kind:     global_buffer
      - .actual_access:  read_only
        .address_space:  global
        .offset:         112
        .size:           8
        .value_kind:     global_buffer
      - .offset:         120
        .size:           4
        .value_kind:     by_value
      - .address_space:  global
        .offset:         128
        .size:           8
        .value_kind:     global_buffer
      - .address_space:  global
        .offset:         136
        .size:           8
        .value_kind:     global_buffer
      - .offset:         144
        .size:           4
        .value_kind:     hidden_block_count_x
      - .offset:         148
        .size:           4
        .value_kind:     hidden_block_count_y
      - .offset:         152
        .size:           4
        .value_kind:     hidden_block_count_z
      - .offset:         156
        .size:           2
        .value_kind:     hidden_group_size_x
      - .offset:         158
        .size:           2
        .value_kind:     hidden_group_size_y
      - .offset:         160
        .size:           2
        .value_kind:     hidden_group_size_z
      - .offset:         162
        .size:           2
        .value_kind:     hidden_remainder_x
      - .offset:         164
        .size:           2
        .value_kind:     hidden_remainder_y
      - .offset:         166
        .size:           2
        .value_kind:     hidden_remainder_z
      - .offset:         184
        .size:           8
        .value_kind:     hidden_global_offset_x
      - .offset:         192
        .size:           8
        .value_kind:     hidden_global_offset_y
      - .offset:         200
        .size:           8
        .value_kind:     hidden_global_offset_z
      - .offset:         208
        .size:           2
        .value_kind:     hidden_grid_dims
    .group_segment_fixed_size: 8192
    .kernarg_segment_align: 8
    .kernarg_segment_size: 400
    .language:       OpenCL C
    .language_version:
      - 2
      - 0
    .max_flat_workgroup_size: 256
    .name:           _Z39paged_attention_ll4mi_QKV_mfma16_kernelI14__hip_bfloat16hLN4vllm18Fp8KVCacheDataTypeE1EhLi32ELi128ELi256ELb0ELi16EEvPKT_PKT0_S8_ifPKiSA_SA_iPKfiiiPfSD_PS3_PT2_iSC_SC_
    .private_segment_fixed_size: 0
    .sgpr_count:     54
    .sgpr_spill_count: 0
    .symbol:         _Z39paged_attention_ll4mi_QKV_mfma16_kernelI14__hip_bfloat16hLN4vllm18Fp8KVCacheDataTypeE1EhLi32ELi128ELi256ELb0ELi16EEvPKT_PKT0_S8_ifPKiSA_SA_iPKfiiiPfSD_PS3_PT2_iSC_SC_.kd
    .uniform_work_group_size: 1
    .uses_dynamic_stack: false
    .vgpr_count:     84
    .vgpr_spill_count: 0
    .wavefront_size: 64
  - .agpr_count:     0
    .args:
      - .actual_access:  read_only
        .address_space:  global
        .offset:         0
        .size:           8
        .value_kind:     global_buffer
      - .actual_access:  read_only
        .address_space:  global
        .offset:         8
        .size:           8
        .value_kind:     global_buffer
      - .actual_access:  read_only
        .address_space:  global
        .offset:         16
        .size:           8
        .value_kind:     global_buffer
      - .offset:         24
        .size:           4
        .value_kind:     by_value
      - .offset:         28
        .size:           4
        .value_kind:     by_value
      - .actual_access:  read_only
        .address_space:  global
        .offset:         32
        .size:           8
        .value_kind:     global_buffer
      - .actual_access:  read_only
        .address_space:  global
        .offset:         40
        .size:           8
        .value_kind:     global_buffer
      - .actual_access:  read_only
        .address_space:  global
        .offset:         48
        .size:           8
        .value_kind:     global_buffer
      - .offset:         56
        .size:           4
        .value_kind:     by_value
      - .actual_access:  read_only
        .address_space:  global
        .offset:         64
        .size:           8
        .value_kind:     global_buffer
      - .offset:         72
        .size:           4
        .value_kind:     by_value
      - .offset:         76
        .size:           4
        .value_kind:     by_value
      - .offset:         80
        .size:           4
        .value_kind:     by_value
      - .actual_access:  write_only
        .address_space:  global
        .offset:         88
        .size:           8
        .value_kind:     global_buffer
      - .actual_access:  write_only
        .address_space:  global
        .offset:         96
        .size:           8
        .value_kind:     global_buffer
      - .actual_access:  write_only
        .address_space:  global
        .offset:         104
        .size:           8
        .value_kind:     global_buffer
      - .actual_access:  read_only
        .address_space:  global
        .offset:         112
        .size:           8
        .value_kind:     global_buffer
      - .offset:         120
        .size:           4
        .value_kind:     by_value
      - .address_space:  global
        .offset:         128
        .size:           8
        .value_kind:     global_buffer
      - .address_space:  global
        .offset:         136
        .size:           8
        .value_kind:     global_buffer
      - .offset:         144
        .size:           4
        .value_kind:     hidden_block_count_x
      - .offset:         148
        .size:           4
        .value_kind:     hidden_block_count_y
      - .offset:         152
        .size:           4
        .value_kind:     hidden_block_count_z
      - .offset:         156
        .size:           2
        .value_kind:     hidden_group_size_x
      - .offset:         158
        .size:           2
        .value_kind:     hidden_group_size_y
      - .offset:         160
        .size:           2
        .value_kind:     hidden_group_size_z
      - .offset:         162
        .size:           2
        .value_kind:     hidden_remainder_x
      - .offset:         164
        .size:           2
        .value_kind:     hidden_remainder_y
      - .offset:         166
        .size:           2
        .value_kind:     hidden_remainder_z
      - .offset:         184
        .size:           8
        .value_kind:     hidden_global_offset_x
      - .offset:         192
        .size:           8
        .value_kind:     hidden_global_offset_y
      - .offset:         200
        .size:           8
        .value_kind:     hidden_global_offset_z
      - .offset:         208
        .size:           2
        .value_kind:     hidden_grid_dims
    .group_segment_fixed_size: 8192
    .kernarg_segment_align: 8
    .kernarg_segment_size: 400
    .language:       OpenCL C
    .language_version:
      - 2
      - 0
    .max_flat_workgroup_size: 256
    .name:           _Z39paged_attention_ll4mi_QKV_mfma16_kernelI14__hip_bfloat16hLN4vllm18Fp8KVCacheDataTypeE1EhLi32ELi128ELi256ELb0ELi1EEvPKT_PKT0_S8_ifPKiSA_SA_iPKfiiiPfSD_PS3_PT2_iSC_SC_
    .private_segment_fixed_size: 0
    .sgpr_count:     54
    .sgpr_spill_count: 0
    .symbol:         _Z39paged_attention_ll4mi_QKV_mfma16_kernelI14__hip_bfloat16hLN4vllm18Fp8KVCacheDataTypeE1EhLi32ELi128ELi256ELb0ELi1EEvPKT_PKT0_S8_ifPKiSA_SA_iPKfiiiPfSD_PS3_PT2_iSC_SC_.kd
    .uniform_work_group_size: 1
    .uses_dynamic_stack: false
    .vgpr_count:     80
    .vgpr_spill_count: 0
    .wavefront_size: 64
  - .agpr_count:     0
    .args:
      - .actual_access:  read_only
        .address_space:  global
        .offset:         0
        .size:           8
        .value_kind:     global_buffer
      - .actual_access:  read_only
        .address_space:  global
        .offset:         8
        .size:           8
        .value_kind:     global_buffer
      - .actual_access:  read_only
        .address_space:  global
        .offset:         16
        .size:           8
        .value_kind:     global_buffer
      - .offset:         24
        .size:           4
        .value_kind:     by_value
      - .offset:         28
        .size:           4
        .value_kind:     by_value
      - .actual_access:  read_only
        .address_space:  global
        .offset:         32
        .size:           8
        .value_kind:     global_buffer
      - .actual_access:  read_only
        .address_space:  global
        .offset:         40
        .size:           8
        .value_kind:     global_buffer
      - .actual_access:  read_only
        .address_space:  global
        .offset:         48
        .size:           8
        .value_kind:     global_buffer
      - .offset:         56
        .size:           4
        .value_kind:     by_value
      - .actual_access:  read_only
        .address_space:  global
        .offset:         64
        .size:           8
        .value_kind:     global_buffer
      - .offset:         72
        .size:           4
        .value_kind:     by_value
      - .offset:         76
        .size:           4
        .value_kind:     by_value
      - .offset:         80
        .size:           4
        .value_kind:     by_value
      - .actual_access:  write_only
        .address_space:  global
        .offset:         88
        .size:           8
        .value_kind:     global_buffer
      - .actual_access:  write_only
        .address_space:  global
        .offset:         96
        .size:           8
        .value_kind:     global_buffer
      - .actual_access:  write_only
        .address_space:  global
        .offset:         104
        .size:           8
        .value_kind:     global_buffer
      - .actual_access:  read_only
        .address_space:  global
        .offset:         112
        .size:           8
        .value_kind:     global_buffer
      - .offset:         120
        .size:           4
        .value_kind:     by_value
      - .address_space:  global
        .offset:         128
        .size:           8
        .value_kind:     global_buffer
      - .address_space:  global
        .offset:         136
        .size:           8
        .value_kind:     global_buffer
      - .offset:         144
        .size:           4
        .value_kind:     hidden_block_count_x
      - .offset:         148
        .size:           4
        .value_kind:     hidden_block_count_y
      - .offset:         152
        .size:           4
        .value_kind:     hidden_block_count_z
      - .offset:         156
        .size:           2
        .value_kind:     hidden_group_size_x
      - .offset:         158
        .size:           2
        .value_kind:     hidden_group_size_y
      - .offset:         160
        .size:           2
        .value_kind:     hidden_group_size_z
      - .offset:         162
        .size:           2
        .value_kind:     hidden_remainder_x
      - .offset:         164
        .size:           2
        .value_kind:     hidden_remainder_y
      - .offset:         166
        .size:           2
        .value_kind:     hidden_remainder_z
      - .offset:         184
        .size:           8
        .value_kind:     hidden_global_offset_x
      - .offset:         192
        .size:           8
        .value_kind:     hidden_global_offset_y
      - .offset:         200
        .size:           8
        .value_kind:     hidden_global_offset_z
      - .offset:         208
        .size:           2
        .value_kind:     hidden_grid_dims
    .group_segment_fixed_size: 8192
    .kernarg_segment_align: 8
    .kernarg_segment_size: 400
    .language:       OpenCL C
    .language_version:
      - 2
      - 0
    .max_flat_workgroup_size: 256
    .name:           _Z39paged_attention_ll4mi_QKV_mfma16_kernelI14__hip_bfloat16hLN4vllm18Fp8KVCacheDataTypeE1EhLi32ELi128ELi256ELb0ELi2EEvPKT_PKT0_S8_ifPKiSA_SA_iPKfiiiPfSD_PS3_PT2_iSC_SC_
    .private_segment_fixed_size: 0
    .sgpr_count:     54
    .sgpr_spill_count: 0
    .symbol:         _Z39paged_attention_ll4mi_QKV_mfma16_kernelI14__hip_bfloat16hLN4vllm18Fp8KVCacheDataTypeE1EhLi32ELi128ELi256ELb0ELi2EEvPKT_PKT0_S8_ifPKiSA_SA_iPKfiiiPfSD_PS3_PT2_iSC_SC_.kd
    .uniform_work_group_size: 1
    .uses_dynamic_stack: false
    .vgpr_count:     80
    .vgpr_spill_count: 0
    .wavefront_size: 64
  - .agpr_count:     0
    .args:
      - .actual_access:  read_only
        .address_space:  global
        .offset:         0
        .size:           8
        .value_kind:     global_buffer
      - .actual_access:  read_only
        .address_space:  global
        .offset:         8
        .size:           8
        .value_kind:     global_buffer
      - .actual_access:  read_only
        .address_space:  global
        .offset:         16
        .size:           8
        .value_kind:     global_buffer
      - .offset:         24
        .size:           4
        .value_kind:     by_value
      - .offset:         28
        .size:           4
        .value_kind:     by_value
      - .actual_access:  read_only
        .address_space:  global
        .offset:         32
        .size:           8
        .value_kind:     global_buffer
      - .actual_access:  read_only
        .address_space:  global
        .offset:         40
        .size:           8
        .value_kind:     global_buffer
      - .actual_access:  read_only
        .address_space:  global
        .offset:         48
        .size:           8
        .value_kind:     global_buffer
      - .offset:         56
        .size:           4
        .value_kind:     by_value
      - .actual_access:  read_only
        .address_space:  global
        .offset:         64
        .size:           8
        .value_kind:     global_buffer
      - .offset:         72
        .size:           4
        .value_kind:     by_value
      - .offset:         76
        .size:           4
        .value_kind:     by_value
      - .offset:         80
        .size:           4
        .value_kind:     by_value
      - .actual_access:  write_only
        .address_space:  global
        .offset:         88
        .size:           8
        .value_kind:     global_buffer
      - .actual_access:  write_only
        .address_space:  global
        .offset:         96
        .size:           8
        .value_kind:     global_buffer
      - .actual_access:  write_only
        .address_space:  global
        .offset:         104
        .size:           8
        .value_kind:     global_buffer
      - .actual_access:  read_only
        .address_space:  global
        .offset:         112
        .size:           8
        .value_kind:     global_buffer
      - .offset:         120
        .size:           4
        .value_kind:     by_value
      - .address_space:  global
        .offset:         128
        .size:           8
        .value_kind:     global_buffer
      - .address_space:  global
        .offset:         136
        .size:           8
        .value_kind:     global_buffer
      - .offset:         144
        .size:           4
        .value_kind:     hidden_block_count_x
      - .offset:         148
        .size:           4
        .value_kind:     hidden_block_count_y
      - .offset:         152
        .size:           4
        .value_kind:     hidden_block_count_z
      - .offset:         156
        .size:           2
        .value_kind:     hidden_group_size_x
      - .offset:         158
        .size:           2
        .value_kind:     hidden_group_size_y
      - .offset:         160
        .size:           2
        .value_kind:     hidden_group_size_z
      - .offset:         162
        .size:           2
        .value_kind:     hidden_remainder_x
      - .offset:         164
        .size:           2
        .value_kind:     hidden_remainder_y
      - .offset:         166
        .size:           2
        .value_kind:     hidden_remainder_z
      - .offset:         184
        .size:           8
        .value_kind:     hidden_global_offset_x
      - .offset:         192
        .size:           8
        .value_kind:     hidden_global_offset_y
      - .offset:         200
        .size:           8
        .value_kind:     hidden_global_offset_z
      - .offset:         208
        .size:           2
        .value_kind:     hidden_grid_dims
    .group_segment_fixed_size: 8192
    .kernarg_segment_align: 8
    .kernarg_segment_size: 400
    .language:       OpenCL C
    .language_version:
      - 2
      - 0
    .max_flat_workgroup_size: 256
    .name:           _Z39paged_attention_ll4mi_QKV_mfma16_kernelI14__hip_bfloat16hLN4vllm18Fp8KVCacheDataTypeE1EhLi32ELi128ELi256ELb0ELi3EEvPKT_PKT0_S8_ifPKiSA_SA_iPKfiiiPfSD_PS3_PT2_iSC_SC_
    .private_segment_fixed_size: 0
    .sgpr_count:     56
    .sgpr_spill_count: 0
    .symbol:         _Z39paged_attention_ll4mi_QKV_mfma16_kernelI14__hip_bfloat16hLN4vllm18Fp8KVCacheDataTypeE1EhLi32ELi128ELi256ELb0ELi3EEvPKT_PKT0_S8_ifPKiSA_SA_iPKfiiiPfSD_PS3_PT2_iSC_SC_.kd
    .uniform_work_group_size: 1
    .uses_dynamic_stack: false
    .vgpr_count:     82
    .vgpr_spill_count: 0
    .wavefront_size: 64
  - .agpr_count:     0
    .args:
      - .actual_access:  read_only
        .address_space:  global
        .offset:         0
        .size:           8
        .value_kind:     global_buffer
      - .actual_access:  read_only
        .address_space:  global
        .offset:         8
        .size:           8
        .value_kind:     global_buffer
      - .actual_access:  read_only
        .address_space:  global
        .offset:         16
        .size:           8
        .value_kind:     global_buffer
      - .offset:         24
        .size:           4
        .value_kind:     by_value
      - .offset:         28
        .size:           4
        .value_kind:     by_value
      - .actual_access:  read_only
        .address_space:  global
        .offset:         32
        .size:           8
        .value_kind:     global_buffer
      - .actual_access:  read_only
        .address_space:  global
        .offset:         40
        .size:           8
        .value_kind:     global_buffer
      - .actual_access:  read_only
        .address_space:  global
        .offset:         48
        .size:           8
        .value_kind:     global_buffer
      - .offset:         56
        .size:           4
        .value_kind:     by_value
      - .actual_access:  read_only
        .address_space:  global
        .offset:         64
        .size:           8
        .value_kind:     global_buffer
      - .offset:         72
        .size:           4
        .value_kind:     by_value
      - .offset:         76
        .size:           4
        .value_kind:     by_value
      - .offset:         80
        .size:           4
        .value_kind:     by_value
      - .actual_access:  write_only
        .address_space:  global
        .offset:         88
        .size:           8
        .value_kind:     global_buffer
      - .actual_access:  write_only
        .address_space:  global
        .offset:         96
        .size:           8
        .value_kind:     global_buffer
      - .actual_access:  write_only
        .address_space:  global
        .offset:         104
        .size:           8
        .value_kind:     global_buffer
      - .actual_access:  read_only
        .address_space:  global
        .offset:         112
        .size:           8
        .value_kind:     global_buffer
      - .offset:         120
        .size:           4
        .value_kind:     by_value
      - .address_space:  global
        .offset:         128
        .size:           8
        .value_kind:     global_buffer
      - .address_space:  global
        .offset:         136
        .size:           8
        .value_kind:     global_buffer
      - .offset:         144
        .size:           4
        .value_kind:     hidden_block_count_x
      - .offset:         148
        .size:           4
        .value_kind:     hidden_block_count_y
      - .offset:         152
        .size:           4
        .value_kind:     hidden_block_count_z
      - .offset:         156
        .size:           2
        .value_kind:     hidden_group_size_x
      - .offset:         158
        .size:           2
        .value_kind:     hidden_group_size_y
      - .offset:         160
        .size:           2
        .value_kind:     hidden_group_size_z
      - .offset:         162
        .size:           2
        .value_kind:     hidden_remainder_x
      - .offset:         164
        .size:           2
        .value_kind:     hidden_remainder_y
      - .offset:         166
        .size:           2
        .value_kind:     hidden_remainder_z
      - .offset:         184
        .size:           8
        .value_kind:     hidden_global_offset_x
      - .offset:         192
        .size:           8
        .value_kind:     hidden_global_offset_y
      - .offset:         200
        .size:           8
        .value_kind:     hidden_global_offset_z
      - .offset:         208
        .size:           2
        .value_kind:     hidden_grid_dims
    .group_segment_fixed_size: 8192
    .kernarg_segment_align: 8
    .kernarg_segment_size: 400
    .language:       OpenCL C
    .language_version:
      - 2
      - 0
    .max_flat_workgroup_size: 256
    .name:           _Z39paged_attention_ll4mi_QKV_mfma16_kernelI14__hip_bfloat16hLN4vllm18Fp8KVCacheDataTypeE1EhLi32ELi128ELi256ELb0ELi4EEvPKT_PKT0_S8_ifPKiSA_SA_iPKfiiiPfSD_PS3_PT2_iSC_SC_
    .private_segment_fixed_size: 0
    .sgpr_count:     55
    .sgpr_spill_count: 0
    .symbol:         _Z39paged_attention_ll4mi_QKV_mfma16_kernelI14__hip_bfloat16hLN4vllm18Fp8KVCacheDataTypeE1EhLi32ELi128ELi256ELb0ELi4EEvPKT_PKT0_S8_ifPKiSA_SA_iPKfiiiPfSD_PS3_PT2_iSC_SC_.kd
    .uniform_work_group_size: 1
    .uses_dynamic_stack: false
    .vgpr_count:     82
    .vgpr_spill_count: 0
    .wavefront_size: 64
  - .agpr_count:     4
    .args:
      - .actual_access:  read_only
        .address_space:  global
        .offset:         0
        .size:           8
        .value_kind:     global_buffer
      - .actual_access:  read_only
        .address_space:  global
        .offset:         8
        .size:           8
        .value_kind:     global_buffer
      - .actual_access:  read_only
        .address_space:  global
        .offset:         16
        .size:           8
        .value_kind:     global_buffer
      - .offset:         24
        .size:           4
        .value_kind:     by_value
      - .offset:         28
        .size:           4
        .value_kind:     by_value
      - .actual_access:  read_only
        .address_space:  global
        .offset:         32
        .size:           8
        .value_kind:     global_buffer
      - .actual_access:  read_only
        .address_space:  global
        .offset:         40
        .size:           8
        .value_kind:     global_buffer
      - .actual_access:  read_only
        .address_space:  global
        .offset:         48
        .size:           8
        .value_kind:     global_buffer
      - .offset:         56
        .size:           4
        .value_kind:     by_value
      - .actual_access:  read_only
        .address_space:  global
        .offset:         64
        .size:           8
        .value_kind:     global_buffer
      - .offset:         72
        .size:           4
        .value_kind:     by_value
      - .offset:         76
        .size:           4
        .value_kind:     by_value
      - .offset:         80
        .size:           4
        .value_kind:     by_value
      - .actual_access:  write_only
        .address_space:  global
        .offset:         88
        .size:           8
        .value_kind:     global_buffer
      - .actual_access:  write_only
        .address_space:  global
        .offset:         96
        .size:           8
        .value_kind:     global_buffer
      - .actual_access:  write_only
        .address_space:  global
        .offset:         104
        .size:           8
        .value_kind:     global_buffer
      - .actual_access:  read_only
        .address_space:  global
        .offset:         112
        .size:           8
        .value_kind:     global_buffer
      - .offset:         120
        .size:           4
        .value_kind:     by_value
      - .address_space:  global
        .offset:         128
        .size:           8
        .value_kind:     global_buffer
      - .address_space:  global
        .offset:         136
        .size:           8
        .value_kind:     global_buffer
      - .offset:         144
        .size:           4
        .value_kind:     hidden_block_count_x
      - .offset:         148
        .size:           4
        .value_kind:     hidden_block_count_y
      - .offset:         152
        .size:           4
        .value_kind:     hidden_block_count_z
      - .offset:         156
        .size:           2
        .value_kind:     hidden_group_size_x
      - .offset:         158
        .size:           2
        .value_kind:     hidden_group_size_y
      - .offset:         160
        .size:           2
        .value_kind:     hidden_group_size_z
      - .offset:         162
        .size:           2
        .value_kind:     hidden_remainder_x
      - .offset:         164
        .size:           2
        .value_kind:     hidden_remainder_y
      - .offset:         166
        .size:           2
        .value_kind:     hidden_remainder_z
      - .offset:         184
        .size:           8
        .value_kind:     hidden_global_offset_x
      - .offset:         192
        .size:           8
        .value_kind:     hidden_global_offset_y
      - .offset:         200
        .size:           8
        .value_kind:     hidden_global_offset_z
      - .offset:         208
        .size:           2
        .value_kind:     hidden_grid_dims
    .group_segment_fixed_size: 5280
    .kernarg_segment_align: 8
    .kernarg_segment_size: 400
    .language:       OpenCL C
    .language_version:
      - 2
      - 0
    .max_flat_workgroup_size: 256
    .name:           _Z38paged_attention_ll4mi_QKV_mfma4_kernelI14__hip_bfloat16hLN4vllm18Fp8KVCacheDataTypeE1ES0_Li32ELi128ELi256ELb1ELi1EEvPKT_PKT0_S8_ifPKiSA_SA_iPKfiiiPfSD_PS3_PT2_iSC_SC_
    .private_segment_fixed_size: 0
    .sgpr_count:     48
    .sgpr_spill_count: 0
    .symbol:         _Z38paged_attention_ll4mi_QKV_mfma4_kernelI14__hip_bfloat16hLN4vllm18Fp8KVCacheDataTypeE1ES0_Li32ELi128ELi256ELb1ELi1EEvPKT_PKT0_S8_ifPKiSA_SA_iPKfiiiPfSD_PS3_PT2_iSC_SC_.kd
    .uniform_work_group_size: 1
    .uses_dynamic_stack: false
    .vgpr_count:     60
    .vgpr_spill_count: 0
    .wavefront_size: 64
  - .agpr_count:     4
    .args:
      - .actual_access:  read_only
        .address_space:  global
        .offset:         0
        .size:           8
        .value_kind:     global_buffer
      - .actual_access:  read_only
        .address_space:  global
        .offset:         8
        .size:           8
        .value_kind:     global_buffer
      - .actual_access:  read_only
        .address_space:  global
        .offset:         16
        .size:           8
        .value_kind:     global_buffer
      - .offset:         24
        .size:           4
        .value_kind:     by_value
      - .offset:         28
        .size:           4
        .value_kind:     by_value
      - .actual_access:  read_only
        .address_space:  global
        .offset:         32
        .size:           8
        .value_kind:     global_buffer
      - .actual_access:  read_only
        .address_space:  global
        .offset:         40
        .size:           8
        .value_kind:     global_buffer
      - .actual_access:  read_only
        .address_space:  global
        .offset:         48
        .size:           8
        .value_kind:     global_buffer
      - .offset:         56
        .size:           4
        .value_kind:     by_value
      - .actual_access:  read_only
        .address_space:  global
        .offset:         64
        .size:           8
        .value_kind:     global_buffer
      - .offset:         72
        .size:           4
        .value_kind:     by_value
      - .offset:         76
        .size:           4
        .value_kind:     by_value
      - .offset:         80
        .size:           4
        .value_kind:     by_value
      - .actual_access:  write_only
        .address_space:  global
        .offset:         88
        .size:           8
        .value_kind:     global_buffer
      - .actual_access:  write_only
        .address_space:  global
        .offset:         96
        .size:           8
        .value_kind:     global_buffer
      - .actual_access:  write_only
        .address_space:  global
        .offset:         104
        .size:           8
        .value_kind:     global_buffer
      - .actual_access:  read_only
        .address_space:  global
        .offset:         112
        .size:           8
        .value_kind:     global_buffer
      - .offset:         120
        .size:           4
        .value_kind:     by_value
      - .address_space:  global
        .offset:         128
        .size:           8
        .value_kind:     global_buffer
      - .address_space:  global
        .offset:         136
        .size:           8
        .value_kind:     global_buffer
      - .offset:         144
        .size:           4
        .value_kind:     hidden_block_count_x
      - .offset:         148
        .size:           4
        .value_kind:     hidden_block_count_y
      - .offset:         152
        .size:           4
        .value_kind:     hidden_block_count_z
      - .offset:         156
        .size:           2
        .value_kind:     hidden_group_size_x
      - .offset:         158
        .size:           2
        .value_kind:     hidden_group_size_y
      - .offset:         160
        .size:           2
        .value_kind:     hidden_group_size_z
      - .offset:         162
        .size:           2
        .value_kind:     hidden_remainder_x
      - .offset:         164
        .size:           2
        .value_kind:     hidden_remainder_y
      - .offset:         166
        .size:           2
        .value_kind:     hidden_remainder_z
      - .offset:         184
        .size:           8
        .value_kind:     hidden_global_offset_x
      - .offset:         192
        .size:           8
        .value_kind:     hidden_global_offset_y
      - .offset:         200
        .size:           8
        .value_kind:     hidden_global_offset_z
      - .offset:         208
        .size:           2
        .value_kind:     hidden_grid_dims
    .group_segment_fixed_size: 5280
    .kernarg_segment_align: 8
    .kernarg_segment_size: 400
    .language:       OpenCL C
    .language_version:
      - 2
      - 0
    .max_flat_workgroup_size: 256
    .name:           _Z38paged_attention_ll4mi_QKV_mfma4_kernelI14__hip_bfloat16hLN4vllm18Fp8KVCacheDataTypeE1ES0_Li32ELi128ELi256ELb1ELi2EEvPKT_PKT0_S8_ifPKiSA_SA_iPKfiiiPfSD_PS3_PT2_iSC_SC_
    .private_segment_fixed_size: 0
    .sgpr_count:     50
    .sgpr_spill_count: 0
    .symbol:         _Z38paged_attention_ll4mi_QKV_mfma4_kernelI14__hip_bfloat16hLN4vllm18Fp8KVCacheDataTypeE1ES0_Li32ELi128ELi256ELb1ELi2EEvPKT_PKT0_S8_ifPKiSA_SA_iPKfiiiPfSD_PS3_PT2_iSC_SC_.kd
    .uniform_work_group_size: 1
    .uses_dynamic_stack: false
    .vgpr_count:     60
    .vgpr_spill_count: 0
    .wavefront_size: 64
  - .agpr_count:     4
    .args:
      - .actual_access:  read_only
        .address_space:  global
        .offset:         0
        .size:           8
        .value_kind:     global_buffer
      - .actual_access:  read_only
        .address_space:  global
        .offset:         8
        .size:           8
        .value_kind:     global_buffer
      - .actual_access:  read_only
        .address_space:  global
        .offset:         16
        .size:           8
        .value_kind:     global_buffer
      - .offset:         24
        .size:           4
        .value_kind:     by_value
      - .offset:         28
        .size:           4
        .value_kind:     by_value
      - .actual_access:  read_only
        .address_space:  global
        .offset:         32
        .size:           8
        .value_kind:     global_buffer
      - .actual_access:  read_only
        .address_space:  global
        .offset:         40
        .size:           8
        .value_kind:     global_buffer
      - .actual_access:  read_only
        .address_space:  global
        .offset:         48
        .size:           8
        .value_kind:     global_buffer
      - .offset:         56
        .size:           4
        .value_kind:     by_value
      - .actual_access:  read_only
        .address_space:  global
        .offset:         64
        .size:           8
        .value_kind:     global_buffer
      - .offset:         72
        .size:           4
        .value_kind:     by_value
      - .offset:         76
        .size:           4
        .value_kind:     by_value
      - .offset:         80
        .size:           4
        .value_kind:     by_value
      - .actual_access:  write_only
        .address_space:  global
        .offset:         88
        .size:           8
        .value_kind:     global_buffer
      - .actual_access:  write_only
        .address_space:  global
        .offset:         96
        .size:           8
        .value_kind:     global_buffer
      - .actual_access:  write_only
        .address_space:  global
        .offset:         104
        .size:           8
        .value_kind:     global_buffer
      - .actual_access:  read_only
        .address_space:  global
        .offset:         112
        .size:           8
        .value_kind:     global_buffer
      - .offset:         120
        .size:           4
        .value_kind:     by_value
      - .address_space:  global
        .offset:         128
        .size:           8
        .value_kind:     global_buffer
      - .address_space:  global
        .offset:         136
        .size:           8
        .value_kind:     global_buffer
      - .offset:         144
        .size:           4
        .value_kind:     hidden_block_count_x
      - .offset:         148
        .size:           4
        .value_kind:     hidden_block_count_y
      - .offset:         152
        .size:           4
        .value_kind:     hidden_block_count_z
      - .offset:         156
        .size:           2
        .value_kind:     hidden_group_size_x
      - .offset:         158
        .size:           2
        .value_kind:     hidden_group_size_y
      - .offset:         160
        .size:           2
        .value_kind:     hidden_group_size_z
      - .offset:         162
        .size:           2
        .value_kind:     hidden_remainder_x
      - .offset:         164
        .size:           2
        .value_kind:     hidden_remainder_y
      - .offset:         166
        .size:           2
        .value_kind:     hidden_remainder_z
      - .offset:         184
        .size:           8
        .value_kind:     hidden_global_offset_x
      - .offset:         192
        .size:           8
        .value_kind:     hidden_global_offset_y
      - .offset:         200
        .size:           8
        .value_kind:     hidden_global_offset_z
      - .offset:         208
        .size:           2
        .value_kind:     hidden_grid_dims
    .group_segment_fixed_size: 5280
    .kernarg_segment_align: 8
    .kernarg_segment_size: 400
    .language:       OpenCL C
    .language_version:
      - 2
      - 0
    .max_flat_workgroup_size: 256
    .name:           _Z38paged_attention_ll4mi_QKV_mfma4_kernelI14__hip_bfloat16hLN4vllm18Fp8KVCacheDataTypeE1ES0_Li32ELi128ELi256ELb1ELi3EEvPKT_PKT0_S8_ifPKiSA_SA_iPKfiiiPfSD_PS3_PT2_iSC_SC_
    .private_segment_fixed_size: 0
    .sgpr_count:     50
    .sgpr_spill_count: 0
    .symbol:         _Z38paged_attention_ll4mi_QKV_mfma4_kernelI14__hip_bfloat16hLN4vllm18Fp8KVCacheDataTypeE1ES0_Li32ELi128ELi256ELb1ELi3EEvPKT_PKT0_S8_ifPKiSA_SA_iPKfiiiPfSD_PS3_PT2_iSC_SC_.kd
    .uniform_work_group_size: 1
    .uses_dynamic_stack: false
    .vgpr_count:     60
    .vgpr_spill_count: 0
    .wavefront_size: 64
  - .agpr_count:     4
    .args:
      - .actual_access:  read_only
        .address_space:  global
        .offset:         0
        .size:           8
        .value_kind:     global_buffer
      - .actual_access:  read_only
        .address_space:  global
        .offset:         8
        .size:           8
        .value_kind:     global_buffer
      - .actual_access:  read_only
        .address_space:  global
        .offset:         16
        .size:           8
        .value_kind:     global_buffer
      - .offset:         24
        .size:           4
        .value_kind:     by_value
      - .offset:         28
        .size:           4
        .value_kind:     by_value
      - .actual_access:  read_only
        .address_space:  global
        .offset:         32
        .size:           8
        .value_kind:     global_buffer
      - .actual_access:  read_only
        .address_space:  global
        .offset:         40
        .size:           8
        .value_kind:     global_buffer
      - .actual_access:  read_only
        .address_space:  global
        .offset:         48
        .size:           8
        .value_kind:     global_buffer
      - .offset:         56
        .size:           4
        .value_kind:     by_value
      - .actual_access:  read_only
        .address_space:  global
        .offset:         64
        .size:           8
        .value_kind:     global_buffer
      - .offset:         72
        .size:           4
        .value_kind:     by_value
      - .offset:         76
        .size:           4
        .value_kind:     by_value
      - .offset:         80
        .size:           4
        .value_kind:     by_value
      - .actual_access:  write_only
        .address_space:  global
        .offset:         88
        .size:           8
        .value_kind:     global_buffer
      - .actual_access:  write_only
        .address_space:  global
        .offset:         96
        .size:           8
        .value_kind:     global_buffer
      - .actual_access:  write_only
        .address_space:  global
        .offset:         104
        .size:           8
        .value_kind:     global_buffer
      - .actual_access:  read_only
        .address_space:  global
        .offset:         112
        .size:           8
        .value_kind:     global_buffer
      - .offset:         120
        .size:           4
        .value_kind:     by_value
      - .address_space:  global
        .offset:         128
        .size:           8
        .value_kind:     global_buffer
      - .address_space:  global
        .offset:         136
        .size:           8
        .value_kind:     global_buffer
      - .offset:         144
        .size:           4
        .value_kind:     hidden_block_count_x
      - .offset:         148
        .size:           4
        .value_kind:     hidden_block_count_y
      - .offset:         152
        .size:           4
        .value_kind:     hidden_block_count_z
      - .offset:         156
        .size:           2
        .value_kind:     hidden_group_size_x
      - .offset:         158
        .size:           2
        .value_kind:     hidden_group_size_y
      - .offset:         160
        .size:           2
        .value_kind:     hidden_group_size_z
      - .offset:         162
        .size:           2
        .value_kind:     hidden_remainder_x
      - .offset:         164
        .size:           2
        .value_kind:     hidden_remainder_y
      - .offset:         166
        .size:           2
        .value_kind:     hidden_remainder_z
      - .offset:         184
        .size:           8
        .value_kind:     hidden_global_offset_x
      - .offset:         192
        .size:           8
        .value_kind:     hidden_global_offset_y
      - .offset:         200
        .size:           8
        .value_kind:     hidden_global_offset_z
      - .offset:         208
        .size:           2
        .value_kind:     hidden_grid_dims
    .group_segment_fixed_size: 5280
    .kernarg_segment_align: 8
    .kernarg_segment_size: 400
    .language:       OpenCL C
    .language_version:
      - 2
      - 0
    .max_flat_workgroup_size: 256
    .name:           _Z38paged_attention_ll4mi_QKV_mfma4_kernelI14__hip_bfloat16hLN4vllm18Fp8KVCacheDataTypeE1ES0_Li32ELi128ELi256ELb1ELi4EEvPKT_PKT0_S8_ifPKiSA_SA_iPKfiiiPfSD_PS3_PT2_iSC_SC_
    .private_segment_fixed_size: 0
    .sgpr_count:     51
    .sgpr_spill_count: 0
    .symbol:         _Z38paged_attention_ll4mi_QKV_mfma4_kernelI14__hip_bfloat16hLN4vllm18Fp8KVCacheDataTypeE1ES0_Li32ELi128ELi256ELb1ELi4EEvPKT_PKT0_S8_ifPKiSA_SA_iPKfiiiPfSD_PS3_PT2_iSC_SC_.kd
    .uniform_work_group_size: 1
    .uses_dynamic_stack: false
    .vgpr_count:     92
    .vgpr_spill_count: 0
    .wavefront_size: 64
  - .agpr_count:     0
    .args:
      - .actual_access:  read_only
        .address_space:  global
        .offset:         0
        .size:           8
        .value_kind:     global_buffer
      - .actual_access:  read_only
        .address_space:  global
        .offset:         8
        .size:           8
        .value_kind:     global_buffer
      - .actual_access:  read_only
        .address_space:  global
        .offset:         16
        .size:           8
        .value_kind:     global_buffer
      - .offset:         24
        .size:           4
        .value_kind:     by_value
      - .offset:         28
        .size:           4
        .value_kind:     by_value
      - .actual_access:  read_only
        .address_space:  global
        .offset:         32
        .size:           8
        .value_kind:     global_buffer
      - .actual_access:  read_only
        .address_space:  global
        .offset:         40
        .size:           8
        .value_kind:     global_buffer
      - .actual_access:  read_only
        .address_space:  global
        .offset:         48
        .size:           8
        .value_kind:     global_buffer
      - .offset:         56
        .size:           4
        .value_kind:     by_value
      - .actual_access:  read_only
        .address_space:  global
        .offset:         64
        .size:           8
        .value_kind:     global_buffer
      - .offset:         72
        .size:           4
        .value_kind:     by_value
      - .offset:         76
        .size:           4
        .value_kind:     by_value
      - .offset:         80
        .size:           4
        .value_kind:     by_value
      - .actual_access:  write_only
        .address_space:  global
        .offset:         88
        .size:           8
        .value_kind:     global_buffer
      - .actual_access:  write_only
        .address_space:  global
        .offset:         96
        .size:           8
        .value_kind:     global_buffer
      - .actual_access:  write_only
        .address_space:  global
        .offset:         104
        .size:           8
        .value_kind:     global_buffer
      - .actual_access:  read_only
        .address_space:  global
        .offset:         112
        .size:           8
        .value_kind:     global_buffer
      - .offset:         120
        .size:           4
        .value_kind:     by_value
      - .address_space:  global
        .offset:         128
        .size:           8
        .value_kind:     global_buffer
      - .address_space:  global
        .offset:         136
        .size:           8
        .value_kind:     global_buffer
      - .offset:         144
        .size:           4
        .value_kind:     hidden_block_count_x
      - .offset:         148
        .size:           4
        .value_kind:     hidden_block_count_y
      - .offset:         152
        .size:           4
        .value_kind:     hidden_block_count_z
      - .offset:         156
        .size:           2
        .value_kind:     hidden_group_size_x
      - .offset:         158
        .size:           2
        .value_kind:     hidden_group_size_y
      - .offset:         160
        .size:           2
        .value_kind:     hidden_group_size_z
      - .offset:         162
        .size:           2
        .value_kind:     hidden_remainder_x
      - .offset:         164
        .size:           2
        .value_kind:     hidden_remainder_y
      - .offset:         166
        .size:           2
        .value_kind:     hidden_remainder_z
      - .offset:         184
        .size:           8
        .value_kind:     hidden_global_offset_x
      - .offset:         192
        .size:           8
        .value_kind:     hidden_global_offset_y
      - .offset:         200
        .size:           8
        .value_kind:     hidden_global_offset_z
      - .offset:         208
        .size:           2
        .value_kind:     hidden_grid_dims
    .group_segment_fixed_size: 8192
    .kernarg_segment_align: 8
    .kernarg_segment_size: 400
    .language:       OpenCL C
    .language_version:
      - 2
      - 0
    .max_flat_workgroup_size: 256
    .name:           _Z39paged_attention_ll4mi_QKV_mfma16_kernelI14__hip_bfloat16hLN4vllm18Fp8KVCacheDataTypeE1ES0_Li32ELi128ELi256ELb1ELi5EEvPKT_PKT0_S8_ifPKiSA_SA_iPKfiiiPfSD_PS3_PT2_iSC_SC_
    .private_segment_fixed_size: 0
    .sgpr_count:     56
    .sgpr_spill_count: 0
    .symbol:         _Z39paged_attention_ll4mi_QKV_mfma16_kernelI14__hip_bfloat16hLN4vllm18Fp8KVCacheDataTypeE1ES0_Li32ELi128ELi256ELb1ELi5EEvPKT_PKT0_S8_ifPKiSA_SA_iPKfiiiPfSD_PS3_PT2_iSC_SC_.kd
    .uniform_work_group_size: 1
    .uses_dynamic_stack: false
    .vgpr_count:     78
    .vgpr_spill_count: 0
    .wavefront_size: 64
  - .agpr_count:     0
    .args:
      - .actual_access:  read_only
        .address_space:  global
        .offset:         0
        .size:           8
        .value_kind:     global_buffer
      - .actual_access:  read_only
        .address_space:  global
        .offset:         8
        .size:           8
        .value_kind:     global_buffer
      - .actual_access:  read_only
        .address_space:  global
        .offset:         16
        .size:           8
        .value_kind:     global_buffer
      - .offset:         24
        .size:           4
        .value_kind:     by_value
      - .offset:         28
        .size:           4
        .value_kind:     by_value
      - .actual_access:  read_only
        .address_space:  global
        .offset:         32
        .size:           8
        .value_kind:     global_buffer
      - .actual_access:  read_only
        .address_space:  global
        .offset:         40
        .size:           8
        .value_kind:     global_buffer
      - .actual_access:  read_only
        .address_space:  global
        .offset:         48
        .size:           8
        .value_kind:     global_buffer
      - .offset:         56
        .size:           4
        .value_kind:     by_value
      - .actual_access:  read_only
        .address_space:  global
        .offset:         64
        .size:           8
        .value_kind:     global_buffer
      - .offset:         72
        .size:           4
        .value_kind:     by_value
      - .offset:         76
        .size:           4
        .value_kind:     by_value
      - .offset:         80
        .size:           4
        .value_kind:     by_value
      - .actual_access:  write_only
        .address_space:  global
        .offset:         88
        .size:           8
        .value_kind:     global_buffer
      - .actual_access:  write_only
        .address_space:  global
        .offset:         96
        .size:           8
        .value_kind:     global_buffer
      - .actual_access:  write_only
        .address_space:  global
        .offset:         104
        .size:           8
        .value_kind:     global_buffer
      - .actual_access:  read_only
        .address_space:  global
        .offset:         112
        .size:           8
        .value_kind:     global_buffer
      - .offset:         120
        .size:           4
        .value_kind:     by_value
      - .address_space:  global
        .offset:         128
        .size:           8
        .value_kind:     global_buffer
      - .address_space:  global
        .offset:         136
        .size:           8
        .value_kind:     global_buffer
      - .offset:         144
        .size:           4
        .value_kind:     hidden_block_count_x
      - .offset:         148
        .size:           4
        .value_kind:     hidden_block_count_y
      - .offset:         152
        .size:           4
        .value_kind:     hidden_block_count_z
      - .offset:         156
        .size:           2
        .value_kind:     hidden_group_size_x
      - .offset:         158
        .size:           2
        .value_kind:     hidden_group_size_y
      - .offset:         160
        .size:           2
        .value_kind:     hidden_group_size_z
      - .offset:         162
        .size:           2
        .value_kind:     hidden_remainder_x
      - .offset:         164
        .size:           2
        .value_kind:     hidden_remainder_y
      - .offset:         166
        .size:           2
        .value_kind:     hidden_remainder_z
      - .offset:         184
        .size:           8
        .value_kind:     hidden_global_offset_x
      - .offset:         192
        .size:           8
        .value_kind:     hidden_global_offset_y
      - .offset:         200
        .size:           8
        .value_kind:     hidden_global_offset_z
      - .offset:         208
        .size:           2
        .value_kind:     hidden_grid_dims
    .group_segment_fixed_size: 8192
    .kernarg_segment_align: 8
    .kernarg_segment_size: 400
    .language:       OpenCL C
    .language_version:
      - 2
      - 0
    .max_flat_workgroup_size: 256
    .name:           _Z39paged_attention_ll4mi_QKV_mfma16_kernelI14__hip_bfloat16hLN4vllm18Fp8KVCacheDataTypeE1ES0_Li32ELi128ELi256ELb1ELi6EEvPKT_PKT0_S8_ifPKiSA_SA_iPKfiiiPfSD_PS3_PT2_iSC_SC_
    .private_segment_fixed_size: 0
    .sgpr_count:     56
    .sgpr_spill_count: 0
    .symbol:         _Z39paged_attention_ll4mi_QKV_mfma16_kernelI14__hip_bfloat16hLN4vllm18Fp8KVCacheDataTypeE1ES0_Li32ELi128ELi256ELb1ELi6EEvPKT_PKT0_S8_ifPKiSA_SA_iPKfiiiPfSD_PS3_PT2_iSC_SC_.kd
    .uniform_work_group_size: 1
    .uses_dynamic_stack: false
    .vgpr_count:     78
    .vgpr_spill_count: 0
    .wavefront_size: 64
  - .agpr_count:     0
    .args:
      - .actual_access:  read_only
        .address_space:  global
        .offset:         0
        .size:           8
        .value_kind:     global_buffer
      - .actual_access:  read_only
        .address_space:  global
        .offset:         8
        .size:           8
        .value_kind:     global_buffer
      - .actual_access:  read_only
        .address_space:  global
        .offset:         16
        .size:           8
        .value_kind:     global_buffer
      - .offset:         24
        .size:           4
        .value_kind:     by_value
      - .offset:         28
        .size:           4
        .value_kind:     by_value
      - .actual_access:  read_only
        .address_space:  global
        .offset:         32
        .size:           8
        .value_kind:     global_buffer
      - .actual_access:  read_only
        .address_space:  global
        .offset:         40
        .size:           8
        .value_kind:     global_buffer
      - .actual_access:  read_only
        .address_space:  global
        .offset:         48
        .size:           8
        .value_kind:     global_buffer
      - .offset:         56
        .size:           4
        .value_kind:     by_value
      - .actual_access:  read_only
        .address_space:  global
        .offset:         64
        .size:           8
        .value_kind:     global_buffer
      - .offset:         72
        .size:           4
        .value_kind:     by_value
      - .offset:         76
        .size:           4
        .value_kind:     by_value
      - .offset:         80
        .size:           4
        .value_kind:     by_value
      - .actual_access:  write_only
        .address_space:  global
        .offset:         88
        .size:           8
        .value_kind:     global_buffer
      - .actual_access:  write_only
        .address_space:  global
        .offset:         96
        .size:           8
        .value_kind:     global_buffer
      - .actual_access:  write_only
        .address_space:  global
        .offset:         104
        .size:           8
        .value_kind:     global_buffer
      - .actual_access:  read_only
        .address_space:  global
        .offset:         112
        .size:           8
        .value_kind:     global_buffer
      - .offset:         120
        .size:           4
        .value_kind:     by_value
      - .address_space:  global
        .offset:         128
        .size:           8
        .value_kind:     global_buffer
      - .address_space:  global
        .offset:         136
        .size:           8
        .value_kind:     global_buffer
      - .offset:         144
        .size:           4
        .value_kind:     hidden_block_count_x
      - .offset:         148
        .size:           4
        .value_kind:     hidden_block_count_y
      - .offset:         152
        .size:           4
        .value_kind:     hidden_block_count_z
      - .offset:         156
        .size:           2
        .value_kind:     hidden_group_size_x
      - .offset:         158
        .size:           2
        .value_kind:     hidden_group_size_y
      - .offset:         160
        .size:           2
        .value_kind:     hidden_group_size_z
      - .offset:         162
        .size:           2
        .value_kind:     hidden_remainder_x
      - .offset:         164
        .size:           2
        .value_kind:     hidden_remainder_y
      - .offset:         166
        .size:           2
        .value_kind:     hidden_remainder_z
      - .offset:         184
        .size:           8
        .value_kind:     hidden_global_offset_x
      - .offset:         192
        .size:           8
        .value_kind:     hidden_global_offset_y
      - .offset:         200
        .size:           8
        .value_kind:     hidden_global_offset_z
      - .offset:         208
        .size:           2
        .value_kind:     hidden_grid_dims
    .group_segment_fixed_size: 8192
    .kernarg_segment_align: 8
    .kernarg_segment_size: 400
    .language:       OpenCL C
    .language_version:
      - 2
      - 0
    .max_flat_workgroup_size: 256
    .name:           _Z39paged_attention_ll4mi_QKV_mfma16_kernelI14__hip_bfloat16hLN4vllm18Fp8KVCacheDataTypeE1ES0_Li32ELi128ELi256ELb1ELi7EEvPKT_PKT0_S8_ifPKiSA_SA_iPKfiiiPfSD_PS3_PT2_iSC_SC_
    .private_segment_fixed_size: 0
    .sgpr_count:     56
    .sgpr_spill_count: 0
    .symbol:         _Z39paged_attention_ll4mi_QKV_mfma16_kernelI14__hip_bfloat16hLN4vllm18Fp8KVCacheDataTypeE1ES0_Li32ELi128ELi256ELb1ELi7EEvPKT_PKT0_S8_ifPKiSA_SA_iPKfiiiPfSD_PS3_PT2_iSC_SC_.kd
    .uniform_work_group_size: 1
    .uses_dynamic_stack: false
    .vgpr_count:     78
    .vgpr_spill_count: 0
    .wavefront_size: 64
  - .agpr_count:     0
    .args:
      - .actual_access:  read_only
        .address_space:  global
        .offset:         0
        .size:           8
        .value_kind:     global_buffer
      - .actual_access:  read_only
        .address_space:  global
        .offset:         8
        .size:           8
        .value_kind:     global_buffer
      - .actual_access:  read_only
        .address_space:  global
        .offset:         16
        .size:           8
        .value_kind:     global_buffer
      - .offset:         24
        .size:           4
        .value_kind:     by_value
      - .offset:         28
        .size:           4
        .value_kind:     by_value
      - .actual_access:  read_only
        .address_space:  global
        .offset:         32
        .size:           8
        .value_kind:     global_buffer
      - .actual_access:  read_only
        .address_space:  global
        .offset:         40
        .size:           8
        .value_kind:     global_buffer
      - .actual_access:  read_only
        .address_space:  global
        .offset:         48
        .size:           8
        .value_kind:     global_buffer
      - .offset:         56
        .size:           4
        .value_kind:     by_value
      - .actual_access:  read_only
        .address_space:  global
        .offset:         64
        .size:           8
        .value_kind:     global_buffer
      - .offset:         72
        .size:           4
        .value_kind:     by_value
      - .offset:         76
        .size:           4
        .value_kind:     by_value
      - .offset:         80
        .size:           4
        .value_kind:     by_value
      - .actual_access:  write_only
        .address_space:  global
        .offset:         88
        .size:           8
        .value_kind:     global_buffer
      - .actual_access:  write_only
        .address_space:  global
        .offset:         96
        .size:           8
        .value_kind:     global_buffer
      - .actual_access:  write_only
        .address_space:  global
        .offset:         104
        .size:           8
        .value_kind:     global_buffer
      - .actual_access:  read_only
        .address_space:  global
        .offset:         112
        .size:           8
        .value_kind:     global_buffer
      - .offset:         120
        .size:           4
        .value_kind:     by_value
      - .address_space:  global
        .offset:         128
        .size:           8
        .value_kind:     global_buffer
      - .address_space:  global
        .offset:         136
        .size:           8
        .value_kind:     global_buffer
      - .offset:         144
        .size:           4
        .value_kind:     hidden_block_count_x
      - .offset:         148
        .size:           4
        .value_kind:     hidden_block_count_y
      - .offset:         152
        .size:           4
        .value_kind:     hidden_block_count_z
      - .offset:         156
        .size:           2
        .value_kind:     hidden_group_size_x
      - .offset:         158
        .size:           2
        .value_kind:     hidden_group_size_y
      - .offset:         160
        .size:           2
        .value_kind:     hidden_group_size_z
      - .offset:         162
        .size:           2
        .value_kind:     hidden_remainder_x
      - .offset:         164
        .size:           2
        .value_kind:     hidden_remainder_y
      - .offset:         166
        .size:           2
        .value_kind:     hidden_remainder_z
      - .offset:         184
        .size:           8
        .value_kind:     hidden_global_offset_x
      - .offset:         192
        .size:           8
        .value_kind:     hidden_global_offset_y
      - .offset:         200
        .size:           8
        .value_kind:     hidden_global_offset_z
      - .offset:         208
        .size:           2
        .value_kind:     hidden_grid_dims
    .group_segment_fixed_size: 8192
    .kernarg_segment_align: 8
    .kernarg_segment_size: 400
    .language:       OpenCL C
    .language_version:
      - 2
      - 0
    .max_flat_workgroup_size: 256
    .name:           _Z39paged_attention_ll4mi_QKV_mfma16_kernelI14__hip_bfloat16hLN4vllm18Fp8KVCacheDataTypeE1ES0_Li32ELi128ELi256ELb1ELi8EEvPKT_PKT0_S8_ifPKiSA_SA_iPKfiiiPfSD_PS3_PT2_iSC_SC_
    .private_segment_fixed_size: 0
    .sgpr_count:     54
    .sgpr_spill_count: 0
    .symbol:         _Z39paged_attention_ll4mi_QKV_mfma16_kernelI14__hip_bfloat16hLN4vllm18Fp8KVCacheDataTypeE1ES0_Li32ELi128ELi256ELb1ELi8EEvPKT_PKT0_S8_ifPKiSA_SA_iPKfiiiPfSD_PS3_PT2_iSC_SC_.kd
    .uniform_work_group_size: 1
    .uses_dynamic_stack: false
    .vgpr_count:     78
    .vgpr_spill_count: 0
    .wavefront_size: 64
  - .agpr_count:     0
    .args:
      - .actual_access:  read_only
        .address_space:  global
        .offset:         0
        .size:           8
        .value_kind:     global_buffer
      - .actual_access:  read_only
        .address_space:  global
        .offset:         8
        .size:           8
        .value_kind:     global_buffer
      - .actual_access:  read_only
        .address_space:  global
        .offset:         16
        .size:           8
        .value_kind:     global_buffer
      - .offset:         24
        .size:           4
        .value_kind:     by_value
      - .offset:         28
        .size:           4
        .value_kind:     by_value
      - .actual_access:  read_only
        .address_space:  global
        .offset:         32
        .size:           8
        .value_kind:     global_buffer
      - .actual_access:  read_only
        .address_space:  global
        .offset:         40
        .size:           8
        .value_kind:     global_buffer
      - .actual_access:  read_only
        .address_space:  global
        .offset:         48
        .size:           8
        .value_kind:     global_buffer
      - .offset:         56
        .size:           4
        .value_kind:     by_value
      - .actual_access:  read_only
        .address_space:  global
        .offset:         64
        .size:           8
        .value_kind:     global_buffer
      - .offset:         72
        .size:           4
        .value_kind:     by_value
      - .offset:         76
        .size:           4
        .value_kind:     by_value
      - .offset:         80
        .size:           4
        .value_kind:     by_value
      - .actual_access:  write_only
        .address_space:  global
        .offset:         88
        .size:           8
        .value_kind:     global_buffer
      - .actual_access:  write_only
        .address_space:  global
        .offset:         96
        .size:           8
        .value_kind:     global_buffer
      - .actual_access:  write_only
        .address_space:  global
        .offset:         104
        .size:           8
        .value_kind:     global_buffer
      - .actual_access:  read_only
        .address_space:  global
        .offset:         112
        .size:           8
        .value_kind:     global_buffer
      - .offset:         120
        .size:           4
        .value_kind:     by_value
      - .address_space:  global
        .offset:         128
        .size:           8
        .value_kind:     global_buffer
      - .address_space:  global
        .offset:         136
        .size:           8
        .value_kind:     global_buffer
      - .offset:         144
        .size:           4
        .value_kind:     hidden_block_count_x
      - .offset:         148
        .size:           4
        .value_kind:     hidden_block_count_y
      - .offset:         152
        .size:           4
        .value_kind:     hidden_block_count_z
      - .offset:         156
        .size:           2
        .value_kind:     hidden_group_size_x
      - .offset:         158
        .size:           2
        .value_kind:     hidden_group_size_y
      - .offset:         160
        .size:           2
        .value_kind:     hidden_group_size_z
      - .offset:         162
        .size:           2
        .value_kind:     hidden_remainder_x
      - .offset:         164
        .size:           2
        .value_kind:     hidden_remainder_y
      - .offset:         166
        .size:           2
        .value_kind:     hidden_remainder_z
      - .offset:         184
        .size:           8
        .value_kind:     hidden_global_offset_x
      - .offset:         192
        .size:           8
        .value_kind:     hidden_global_offset_y
      - .offset:         200
        .size:           8
        .value_kind:     hidden_global_offset_z
      - .offset:         208
        .size:           2
        .value_kind:     hidden_grid_dims
    .group_segment_fixed_size: 8192
    .kernarg_segment_align: 8
    .kernarg_segment_size: 400
    .language:       OpenCL C
    .language_version:
      - 2
      - 0
    .max_flat_workgroup_size: 256
    .name:           _Z39paged_attention_ll4mi_QKV_mfma16_kernelI14__hip_bfloat16hLN4vllm18Fp8KVCacheDataTypeE1ES0_Li32ELi128ELi256ELb1ELi9EEvPKT_PKT0_S8_ifPKiSA_SA_iPKfiiiPfSD_PS3_PT2_iSC_SC_
    .private_segment_fixed_size: 0
    .sgpr_count:     56
    .sgpr_spill_count: 0
    .symbol:         _Z39paged_attention_ll4mi_QKV_mfma16_kernelI14__hip_bfloat16hLN4vllm18Fp8KVCacheDataTypeE1ES0_Li32ELi128ELi256ELb1ELi9EEvPKT_PKT0_S8_ifPKiSA_SA_iPKfiiiPfSD_PS3_PT2_iSC_SC_.kd
    .uniform_work_group_size: 1
    .uses_dynamic_stack: false
    .vgpr_count:     78
    .vgpr_spill_count: 0
    .wavefront_size: 64
  - .agpr_count:     0
    .args:
      - .actual_access:  read_only
        .address_space:  global
        .offset:         0
        .size:           8
        .value_kind:     global_buffer
      - .actual_access:  read_only
        .address_space:  global
        .offset:         8
        .size:           8
        .value_kind:     global_buffer
      - .actual_access:  read_only
        .address_space:  global
        .offset:         16
        .size:           8
        .value_kind:     global_buffer
      - .offset:         24
        .size:           4
        .value_kind:     by_value
      - .offset:         28
        .size:           4
        .value_kind:     by_value
      - .actual_access:  read_only
        .address_space:  global
        .offset:         32
        .size:           8
        .value_kind:     global_buffer
      - .actual_access:  read_only
        .address_space:  global
        .offset:         40
        .size:           8
        .value_kind:     global_buffer
      - .actual_access:  read_only
        .address_space:  global
        .offset:         48
        .size:           8
        .value_kind:     global_buffer
      - .offset:         56
        .size:           4
        .value_kind:     by_value
      - .actual_access:  read_only
        .address_space:  global
        .offset:         64
        .size:           8
        .value_kind:     global_buffer
      - .offset:         72
        .size:           4
        .value_kind:     by_value
      - .offset:         76
        .size:           4
        .value_kind:     by_value
      - .offset:         80
        .size:           4
        .value_kind:     by_value
      - .actual_access:  write_only
        .address_space:  global
        .offset:         88
        .size:           8
        .value_kind:     global_buffer
      - .actual_access:  write_only
        .address_space:  global
        .offset:         96
        .size:           8
        .value_kind:     global_buffer
      - .actual_access:  write_only
        .address_space:  global
        .offset:         104
        .size:           8
        .value_kind:     global_buffer
      - .actual_access:  read_only
        .address_space:  global
        .offset:         112
        .size:           8
        .value_kind:     global_buffer
      - .offset:         120
        .size:           4
        .value_kind:     by_value
      - .address_space:  global
        .offset:         128
        .size:           8
        .value_kind:     global_buffer
      - .address_space:  global
        .offset:         136
        .size:           8
        .value_kind:     global_buffer
      - .offset:         144
        .size:           4
        .value_kind:     hidden_block_count_x
      - .offset:         148
        .size:           4
        .value_kind:     hidden_block_count_y
      - .offset:         152
        .size:           4
        .value_kind:     hidden_block_count_z
      - .offset:         156
        .size:           2
        .value_kind:     hidden_group_size_x
      - .offset:         158
        .size:           2
        .value_kind:     hidden_group_size_y
      - .offset:         160
        .size:           2
        .value_kind:     hidden_group_size_z
      - .offset:         162
        .size:           2
        .value_kind:     hidden_remainder_x
      - .offset:         164
        .size:           2
        .value_kind:     hidden_remainder_y
      - .offset:         166
        .size:           2
        .value_kind:     hidden_remainder_z
      - .offset:         184
        .size:           8
        .value_kind:     hidden_global_offset_x
      - .offset:         192
        .size:           8
        .value_kind:     hidden_global_offset_y
      - .offset:         200
        .size:           8
        .value_kind:     hidden_global_offset_z
      - .offset:         208
        .size:           2
        .value_kind:     hidden_grid_dims
    .group_segment_fixed_size: 8192
    .kernarg_segment_align: 8
    .kernarg_segment_size: 400
    .language:       OpenCL C
    .language_version:
      - 2
      - 0
    .max_flat_workgroup_size: 256
    .name:           _Z39paged_attention_ll4mi_QKV_mfma16_kernelI14__hip_bfloat16hLN4vllm18Fp8KVCacheDataTypeE1ES0_Li32ELi128ELi256ELb1ELi10EEvPKT_PKT0_S8_ifPKiSA_SA_iPKfiiiPfSD_PS3_PT2_iSC_SC_
    .private_segment_fixed_size: 0
    .sgpr_count:     56
    .sgpr_spill_count: 0
    .symbol:         _Z39paged_attention_ll4mi_QKV_mfma16_kernelI14__hip_bfloat16hLN4vllm18Fp8KVCacheDataTypeE1ES0_Li32ELi128ELi256ELb1ELi10EEvPKT_PKT0_S8_ifPKiSA_SA_iPKfiiiPfSD_PS3_PT2_iSC_SC_.kd
    .uniform_work_group_size: 1
    .uses_dynamic_stack: false
    .vgpr_count:     78
    .vgpr_spill_count: 0
    .wavefront_size: 64
  - .agpr_count:     0
    .args:
      - .actual_access:  read_only
        .address_space:  global
        .offset:         0
        .size:           8
        .value_kind:     global_buffer
      - .actual_access:  read_only
        .address_space:  global
        .offset:         8
        .size:           8
        .value_kind:     global_buffer
      - .actual_access:  read_only
        .address_space:  global
        .offset:         16
        .size:           8
        .value_kind:     global_buffer
      - .offset:         24
        .size:           4
        .value_kind:     by_value
      - .offset:         28
        .size:           4
        .value_kind:     by_value
      - .actual_access:  read_only
        .address_space:  global
        .offset:         32
        .size:           8
        .value_kind:     global_buffer
      - .actual_access:  read_only
        .address_space:  global
        .offset:         40
        .size:           8
        .value_kind:     global_buffer
      - .actual_access:  read_only
        .address_space:  global
        .offset:         48
        .size:           8
        .value_kind:     global_buffer
      - .offset:         56
        .size:           4
        .value_kind:     by_value
      - .actual_access:  read_only
        .address_space:  global
        .offset:         64
        .size:           8
        .value_kind:     global_buffer
      - .offset:         72
        .size:           4
        .value_kind:     by_value
      - .offset:         76
        .size:           4
        .value_kind:     by_value
      - .offset:         80
        .size:           4
        .value_kind:     by_value
      - .actual_access:  write_only
        .address_space:  global
        .offset:         88
        .size:           8
        .value_kind:     global_buffer
      - .actual_access:  write_only
        .address_space:  global
        .offset:         96
        .size:           8
        .value_kind:     global_buffer
      - .actual_access:  write_only
        .address_space:  global
        .offset:         104
        .size:           8
        .value_kind:     global_buffer
      - .actual_access:  read_only
        .address_space:  global
        .offset:         112
        .size:           8
        .value_kind:     global_buffer
      - .offset:         120
        .size:           4
        .value_kind:     by_value
      - .address_space:  global
        .offset:         128
        .size:           8
        .value_kind:     global_buffer
      - .address_space:  global
        .offset:         136
        .size:           8
        .value_kind:     global_buffer
      - .offset:         144
        .size:           4
        .value_kind:     hidden_block_count_x
      - .offset:         148
        .size:           4
        .value_kind:     hidden_block_count_y
      - .offset:         152
        .size:           4
        .value_kind:     hidden_block_count_z
      - .offset:         156
        .size:           2
        .value_kind:     hidden_group_size_x
      - .offset:         158
        .size:           2
        .value_kind:     hidden_group_size_y
      - .offset:         160
        .size:           2
        .value_kind:     hidden_group_size_z
      - .offset:         162
        .size:           2
        .value_kind:     hidden_remainder_x
      - .offset:         164
        .size:           2
        .value_kind:     hidden_remainder_y
      - .offset:         166
        .size:           2
        .value_kind:     hidden_remainder_z
      - .offset:         184
        .size:           8
        .value_kind:     hidden_global_offset_x
      - .offset:         192
        .size:           8
        .value_kind:     hidden_global_offset_y
      - .offset:         200
        .size:           8
        .value_kind:     hidden_global_offset_z
      - .offset:         208
        .size:           2
        .value_kind:     hidden_grid_dims
    .group_segment_fixed_size: 8192
    .kernarg_segment_align: 8
    .kernarg_segment_size: 400
    .language:       OpenCL C
    .language_version:
      - 2
      - 0
    .max_flat_workgroup_size: 256
    .name:           _Z39paged_attention_ll4mi_QKV_mfma16_kernelI14__hip_bfloat16hLN4vllm18Fp8KVCacheDataTypeE1ES0_Li32ELi128ELi256ELb1ELi11EEvPKT_PKT0_S8_ifPKiSA_SA_iPKfiiiPfSD_PS3_PT2_iSC_SC_
    .private_segment_fixed_size: 0
    .sgpr_count:     56
    .sgpr_spill_count: 0
    .symbol:         _Z39paged_attention_ll4mi_QKV_mfma16_kernelI14__hip_bfloat16hLN4vllm18Fp8KVCacheDataTypeE1ES0_Li32ELi128ELi256ELb1ELi11EEvPKT_PKT0_S8_ifPKiSA_SA_iPKfiiiPfSD_PS3_PT2_iSC_SC_.kd
    .uniform_work_group_size: 1
    .uses_dynamic_stack: false
    .vgpr_count:     78
    .vgpr_spill_count: 0
    .wavefront_size: 64
  - .agpr_count:     0
    .args:
      - .actual_access:  read_only
        .address_space:  global
        .offset:         0
        .size:           8
        .value_kind:     global_buffer
      - .actual_access:  read_only
        .address_space:  global
        .offset:         8
        .size:           8
        .value_kind:     global_buffer
      - .actual_access:  read_only
        .address_space:  global
        .offset:         16
        .size:           8
        .value_kind:     global_buffer
      - .offset:         24
        .size:           4
        .value_kind:     by_value
      - .offset:         28
        .size:           4
        .value_kind:     by_value
      - .actual_access:  read_only
        .address_space:  global
        .offset:         32
        .size:           8
        .value_kind:     global_buffer
      - .actual_access:  read_only
        .address_space:  global
        .offset:         40
        .size:           8
        .value_kind:     global_buffer
      - .actual_access:  read_only
        .address_space:  global
        .offset:         48
        .size:           8
        .value_kind:     global_buffer
      - .offset:         56
        .size:           4
        .value_kind:     by_value
      - .actual_access:  read_only
        .address_space:  global
        .offset:         64
        .size:           8
        .value_kind:     global_buffer
      - .offset:         72
        .size:           4
        .value_kind:     by_value
      - .offset:         76
        .size:           4
        .value_kind:     by_value
      - .offset:         80
        .size:           4
        .value_kind:     by_value
      - .actual_access:  write_only
        .address_space:  global
        .offset:         88
        .size:           8
        .value_kind:     global_buffer
      - .actual_access:  write_only
        .address_space:  global
        .offset:         96
        .size:           8
        .value_kind:     global_buffer
      - .actual_access:  write_only
        .address_space:  global
        .offset:         104
        .size:           8
        .value_kind:     global_buffer
      - .actual_access:  read_only
        .address_space:  global
        .offset:         112
        .size:           8
        .value_kind:     global_buffer
      - .offset:         120
        .size:           4
        .value_kind:     by_value
      - .address_space:  global
        .offset:         128
        .size:           8
        .value_kind:     global_buffer
      - .address_space:  global
        .offset:         136
        .size:           8
        .value_kind:     global_buffer
      - .offset:         144
        .size:           4
        .value_kind:     hidden_block_count_x
      - .offset:         148
        .size:           4
        .value_kind:     hidden_block_count_y
      - .offset:         152
        .size:           4
        .value_kind:     hidden_block_count_z
      - .offset:         156
        .size:           2
        .value_kind:     hidden_group_size_x
      - .offset:         158
        .size:           2
        .value_kind:     hidden_group_size_y
      - .offset:         160
        .size:           2
        .value_kind:     hidden_group_size_z
      - .offset:         162
        .size:           2
        .value_kind:     hidden_remainder_x
      - .offset:         164
        .size:           2
        .value_kind:     hidden_remainder_y
      - .offset:         166
        .size:           2
        .value_kind:     hidden_remainder_z
      - .offset:         184
        .size:           8
        .value_kind:     hidden_global_offset_x
      - .offset:         192
        .size:           8
        .value_kind:     hidden_global_offset_y
      - .offset:         200
        .size:           8
        .value_kind:     hidden_global_offset_z
      - .offset:         208
        .size:           2
        .value_kind:     hidden_grid_dims
    .group_segment_fixed_size: 8192
    .kernarg_segment_align: 8
    .kernarg_segment_size: 400
    .language:       OpenCL C
    .language_version:
      - 2
      - 0
    .max_flat_workgroup_size: 256
    .name:           _Z39paged_attention_ll4mi_QKV_mfma16_kernelI14__hip_bfloat16hLN4vllm18Fp8KVCacheDataTypeE1ES0_Li32ELi128ELi256ELb1ELi12EEvPKT_PKT0_S8_ifPKiSA_SA_iPKfiiiPfSD_PS3_PT2_iSC_SC_
    .private_segment_fixed_size: 0
    .sgpr_count:     56
    .sgpr_spill_count: 0
    .symbol:         _Z39paged_attention_ll4mi_QKV_mfma16_kernelI14__hip_bfloat16hLN4vllm18Fp8KVCacheDataTypeE1ES0_Li32ELi128ELi256ELb1ELi12EEvPKT_PKT0_S8_ifPKiSA_SA_iPKfiiiPfSD_PS3_PT2_iSC_SC_.kd
    .uniform_work_group_size: 1
    .uses_dynamic_stack: false
    .vgpr_count:     78
    .vgpr_spill_count: 0
    .wavefront_size: 64
  - .agpr_count:     0
    .args:
      - .actual_access:  read_only
        .address_space:  global
        .offset:         0
        .size:           8
        .value_kind:     global_buffer
      - .actual_access:  read_only
        .address_space:  global
        .offset:         8
        .size:           8
        .value_kind:     global_buffer
      - .actual_access:  read_only
        .address_space:  global
        .offset:         16
        .size:           8
        .value_kind:     global_buffer
      - .offset:         24
        .size:           4
        .value_kind:     by_value
      - .offset:         28
        .size:           4
        .value_kind:     by_value
      - .actual_access:  read_only
        .address_space:  global
        .offset:         32
        .size:           8
        .value_kind:     global_buffer
      - .actual_access:  read_only
        .address_space:  global
        .offset:         40
        .size:           8
        .value_kind:     global_buffer
      - .actual_access:  read_only
        .address_space:  global
        .offset:         48
        .size:           8
        .value_kind:     global_buffer
      - .offset:         56
        .size:           4
        .value_kind:     by_value
      - .actual_access:  read_only
        .address_space:  global
        .offset:         64
        .size:           8
        .value_kind:     global_buffer
      - .offset:         72
        .size:           4
        .value_kind:     by_value
      - .offset:         76
        .size:           4
        .value_kind:     by_value
      - .offset:         80
        .size:           4
        .value_kind:     by_value
      - .actual_access:  write_only
        .address_space:  global
        .offset:         88
        .size:           8
        .value_kind:     global_buffer
      - .actual_access:  write_only
        .address_space:  global
        .offset:         96
        .size:           8
        .value_kind:     global_buffer
      - .actual_access:  write_only
        .address_space:  global
        .offset:         104
        .size:           8
        .value_kind:     global_buffer
      - .actual_access:  read_only
        .address_space:  global
        .offset:         112
        .size:           8
        .value_kind:     global_buffer
      - .offset:         120
        .size:           4
        .value_kind:     by_value
      - .address_space:  global
        .offset:         128
        .size:           8
        .value_kind:     global_buffer
      - .address_space:  global
        .offset:         136
        .size:           8
        .value_kind:     global_buffer
      - .offset:         144
        .size:           4
        .value_kind:     hidden_block_count_x
      - .offset:         148
        .size:           4
        .value_kind:     hidden_block_count_y
      - .offset:         152
        .size:           4
        .value_kind:     hidden_block_count_z
      - .offset:         156
        .size:           2
        .value_kind:     hidden_group_size_x
      - .offset:         158
        .size:           2
        .value_kind:     hidden_group_size_y
      - .offset:         160
        .size:           2
        .value_kind:     hidden_group_size_z
      - .offset:         162
        .size:           2
        .value_kind:     hidden_remainder_x
      - .offset:         164
        .size:           2
        .value_kind:     hidden_remainder_y
      - .offset:         166
        .size:           2
        .value_kind:     hidden_remainder_z
      - .offset:         184
        .size:           8
        .value_kind:     hidden_global_offset_x
      - .offset:         192
        .size:           8
        .value_kind:     hidden_global_offset_y
      - .offset:         200
        .size:           8
        .value_kind:     hidden_global_offset_z
      - .offset:         208
        .size:           2
        .value_kind:     hidden_grid_dims
    .group_segment_fixed_size: 8192
    .kernarg_segment_align: 8
    .kernarg_segment_size: 400
    .language:       OpenCL C
    .language_version:
      - 2
      - 0
    .max_flat_workgroup_size: 256
    .name:           _Z39paged_attention_ll4mi_QKV_mfma16_kernelI14__hip_bfloat16hLN4vllm18Fp8KVCacheDataTypeE1ES0_Li32ELi128ELi256ELb1ELi13EEvPKT_PKT0_S8_ifPKiSA_SA_iPKfiiiPfSD_PS3_PT2_iSC_SC_
    .private_segment_fixed_size: 0
    .sgpr_count:     56
    .sgpr_spill_count: 0
    .symbol:         _Z39paged_attention_ll4mi_QKV_mfma16_kernelI14__hip_bfloat16hLN4vllm18Fp8KVCacheDataTypeE1ES0_Li32ELi128ELi256ELb1ELi13EEvPKT_PKT0_S8_ifPKiSA_SA_iPKfiiiPfSD_PS3_PT2_iSC_SC_.kd
    .uniform_work_group_size: 1
    .uses_dynamic_stack: false
    .vgpr_count:     78
    .vgpr_spill_count: 0
    .wavefront_size: 64
  - .agpr_count:     0
    .args:
      - .actual_access:  read_only
        .address_space:  global
        .offset:         0
        .size:           8
        .value_kind:     global_buffer
      - .actual_access:  read_only
        .address_space:  global
        .offset:         8
        .size:           8
        .value_kind:     global_buffer
      - .actual_access:  read_only
        .address_space:  global
        .offset:         16
        .size:           8
        .value_kind:     global_buffer
      - .offset:         24
        .size:           4
        .value_kind:     by_value
      - .offset:         28
        .size:           4
        .value_kind:     by_value
      - .actual_access:  read_only
        .address_space:  global
        .offset:         32
        .size:           8
        .value_kind:     global_buffer
      - .actual_access:  read_only
        .address_space:  global
        .offset:         40
        .size:           8
        .value_kind:     global_buffer
      - .actual_access:  read_only
        .address_space:  global
        .offset:         48
        .size:           8
        .value_kind:     global_buffer
      - .offset:         56
        .size:           4
        .value_kind:     by_value
      - .actual_access:  read_only
        .address_space:  global
        .offset:         64
        .size:           8
        .value_kind:     global_buffer
      - .offset:         72
        .size:           4
        .value_kind:     by_value
      - .offset:         76
        .size:           4
        .value_kind:     by_value
      - .offset:         80
        .size:           4
        .value_kind:     by_value
      - .actual_access:  write_only
        .address_space:  global
        .offset:         88
        .size:           8
        .value_kind:     global_buffer
      - .actual_access:  write_only
        .address_space:  global
        .offset:         96
        .size:           8
        .value_kind:     global_buffer
      - .actual_access:  write_only
        .address_space:  global
        .offset:         104
        .size:           8
        .value_kind:     global_buffer
      - .actual_access:  read_only
        .address_space:  global
        .offset:         112
        .size:           8
        .value_kind:     global_buffer
      - .offset:         120
        .size:           4
        .value_kind:     by_value
      - .address_space:  global
        .offset:         128
        .size:           8
        .value_kind:     global_buffer
      - .address_space:  global
        .offset:         136
        .size:           8
        .value_kind:     global_buffer
      - .offset:         144
        .size:           4
        .value_kind:     hidden_block_count_x
      - .offset:         148
        .size:           4
        .value_kind:     hidden_block_count_y
      - .offset:         152
        .size:           4
        .value_kind:     hidden_block_count_z
      - .offset:         156
        .size:           2
        .value_kind:     hidden_group_size_x
      - .offset:         158
        .size:           2
        .value_kind:     hidden_group_size_y
      - .offset:         160
        .size:           2
        .value_kind:     hidden_group_size_z
      - .offset:         162
        .size:           2
        .value_kind:     hidden_remainder_x
      - .offset:         164
        .size:           2
        .value_kind:     hidden_remainder_y
      - .offset:         166
        .size:           2
        .value_kind:     hidden_remainder_z
      - .offset:         184
        .size:           8
        .value_kind:     hidden_global_offset_x
      - .offset:         192
        .size:           8
        .value_kind:     hidden_global_offset_y
      - .offset:         200
        .size:           8
        .value_kind:     hidden_global_offset_z
      - .offset:         208
        .size:           2
        .value_kind:     hidden_grid_dims
    .group_segment_fixed_size: 8192
    .kernarg_segment_align: 8
    .kernarg_segment_size: 400
    .language:       OpenCL C
    .language_version:
      - 2
      - 0
    .max_flat_workgroup_size: 256
    .name:           _Z39paged_attention_ll4mi_QKV_mfma16_kernelI14__hip_bfloat16hLN4vllm18Fp8KVCacheDataTypeE1ES0_Li32ELi128ELi256ELb1ELi14EEvPKT_PKT0_S8_ifPKiSA_SA_iPKfiiiPfSD_PS3_PT2_iSC_SC_
    .private_segment_fixed_size: 0
    .sgpr_count:     56
    .sgpr_spill_count: 0
    .symbol:         _Z39paged_attention_ll4mi_QKV_mfma16_kernelI14__hip_bfloat16hLN4vllm18Fp8KVCacheDataTypeE1ES0_Li32ELi128ELi256ELb1ELi14EEvPKT_PKT0_S8_ifPKiSA_SA_iPKfiiiPfSD_PS3_PT2_iSC_SC_.kd
    .uniform_work_group_size: 1
    .uses_dynamic_stack: false
    .vgpr_count:     78
    .vgpr_spill_count: 0
    .wavefront_size: 64
  - .agpr_count:     0
    .args:
      - .actual_access:  read_only
        .address_space:  global
        .offset:         0
        .size:           8
        .value_kind:     global_buffer
      - .actual_access:  read_only
        .address_space:  global
        .offset:         8
        .size:           8
        .value_kind:     global_buffer
      - .actual_access:  read_only
        .address_space:  global
        .offset:         16
        .size:           8
        .value_kind:     global_buffer
      - .offset:         24
        .size:           4
        .value_kind:     by_value
      - .offset:         28
        .size:           4
        .value_kind:     by_value
      - .actual_access:  read_only
        .address_space:  global
        .offset:         32
        .size:           8
        .value_kind:     global_buffer
      - .actual_access:  read_only
        .address_space:  global
        .offset:         40
        .size:           8
        .value_kind:     global_buffer
      - .actual_access:  read_only
        .address_space:  global
        .offset:         48
        .size:           8
        .value_kind:     global_buffer
      - .offset:         56
        .size:           4
        .value_kind:     by_value
      - .actual_access:  read_only
        .address_space:  global
        .offset:         64
        .size:           8
        .value_kind:     global_buffer
      - .offset:         72
        .size:           4
        .value_kind:     by_value
      - .offset:         76
        .size:           4
        .value_kind:     by_value
      - .offset:         80
        .size:           4
        .value_kind:     by_value
      - .actual_access:  write_only
        .address_space:  global
        .offset:         88
        .size:           8
        .value_kind:     global_buffer
      - .actual_access:  write_only
        .address_space:  global
        .offset:         96
        .size:           8
        .value_kind:     global_buffer
      - .actual_access:  write_only
        .address_space:  global
        .offset:         104
        .size:           8
        .value_kind:     global_buffer
      - .actual_access:  read_only
        .address_space:  global
        .offset:         112
        .size:           8
        .value_kind:     global_buffer
      - .offset:         120
        .size:           4
        .value_kind:     by_value
      - .address_space:  global
        .offset:         128
        .size:           8
        .value_kind:     global_buffer
      - .address_space:  global
        .offset:         136
        .size:           8
        .value_kind:     global_buffer
      - .offset:         144
        .size:           4
        .value_kind:     hidden_block_count_x
      - .offset:         148
        .size:           4
        .value_kind:     hidden_block_count_y
      - .offset:         152
        .size:           4
        .value_kind:     hidden_block_count_z
      - .offset:         156
        .size:           2
        .value_kind:     hidden_group_size_x
      - .offset:         158
        .size:           2
        .value_kind:     hidden_group_size_y
      - .offset:         160
        .size:           2
        .value_kind:     hidden_group_size_z
      - .offset:         162
        .size:           2
        .value_kind:     hidden_remainder_x
      - .offset:         164
        .size:           2
        .value_kind:     hidden_remainder_y
      - .offset:         166
        .size:           2
        .value_kind:     hidden_remainder_z
      - .offset:         184
        .size:           8
        .value_kind:     hidden_global_offset_x
      - .offset:         192
        .size:           8
        .value_kind:     hidden_global_offset_y
      - .offset:         200
        .size:           8
        .value_kind:     hidden_global_offset_z
      - .offset:         208
        .size:           2
        .value_kind:     hidden_grid_dims
    .group_segment_fixed_size: 8192
    .kernarg_segment_align: 8
    .kernarg_segment_size: 400
    .language:       OpenCL C
    .language_version:
      - 2
      - 0
    .max_flat_workgroup_size: 256
    .name:           _Z39paged_attention_ll4mi_QKV_mfma16_kernelI14__hip_bfloat16hLN4vllm18Fp8KVCacheDataTypeE1ES0_Li32ELi128ELi256ELb1ELi15EEvPKT_PKT0_S8_ifPKiSA_SA_iPKfiiiPfSD_PS3_PT2_iSC_SC_
    .private_segment_fixed_size: 0
    .sgpr_count:     56
    .sgpr_spill_count: 0
    .symbol:         _Z39paged_attention_ll4mi_QKV_mfma16_kernelI14__hip_bfloat16hLN4vllm18Fp8KVCacheDataTypeE1ES0_Li32ELi128ELi256ELb1ELi15EEvPKT_PKT0_S8_ifPKiSA_SA_iPKfiiiPfSD_PS3_PT2_iSC_SC_.kd
    .uniform_work_group_size: 1
    .uses_dynamic_stack: false
    .vgpr_count:     78
    .vgpr_spill_count: 0
    .wavefront_size: 64
  - .agpr_count:     0
    .args:
      - .actual_access:  read_only
        .address_space:  global
        .offset:         0
        .size:           8
        .value_kind:     global_buffer
      - .actual_access:  read_only
        .address_space:  global
        .offset:         8
        .size:           8
        .value_kind:     global_buffer
      - .actual_access:  read_only
        .address_space:  global
        .offset:         16
        .size:           8
        .value_kind:     global_buffer
      - .offset:         24
        .size:           4
        .value_kind:     by_value
      - .offset:         28
        .size:           4
        .value_kind:     by_value
      - .actual_access:  read_only
        .address_space:  global
        .offset:         32
        .size:           8
        .value_kind:     global_buffer
      - .actual_access:  read_only
        .address_space:  global
        .offset:         40
        .size:           8
        .value_kind:     global_buffer
      - .actual_access:  read_only
        .address_space:  global
        .offset:         48
        .size:           8
        .value_kind:     global_buffer
      - .offset:         56
        .size:           4
        .value_kind:     by_value
      - .actual_access:  read_only
        .address_space:  global
        .offset:         64
        .size:           8
        .value_kind:     global_buffer
      - .offset:         72
        .size:           4
        .value_kind:     by_value
      - .offset:         76
        .size:           4
        .value_kind:     by_value
      - .offset:         80
        .size:           4
        .value_kind:     by_value
      - .actual_access:  write_only
        .address_space:  global
        .offset:         88
        .size:           8
        .value_kind:     global_buffer
      - .actual_access:  write_only
        .address_space:  global
        .offset:         96
        .size:           8
        .value_kind:     global_buffer
      - .actual_access:  write_only
        .address_space:  global
        .offset:         104
        .size:           8
        .value_kind:     global_buffer
      - .actual_access:  read_only
        .address_space:  global
        .offset:         112
        .size:           8
        .value_kind:     global_buffer
      - .offset:         120
        .size:           4
        .value_kind:     by_value
      - .address_space:  global
        .offset:         128
        .size:           8
        .value_kind:     global_buffer
      - .address_space:  global
        .offset:         136
        .size:           8
        .value_kind:     global_buffer
      - .offset:         144
        .size:           4
        .value_kind:     hidden_block_count_x
      - .offset:         148
        .size:           4
        .value_kind:     hidden_block_count_y
      - .offset:         152
        .size:           4
        .value_kind:     hidden_block_count_z
      - .offset:         156
        .size:           2
        .value_kind:     hidden_group_size_x
      - .offset:         158
        .size:           2
        .value_kind:     hidden_group_size_y
      - .offset:         160
        .size:           2
        .value_kind:     hidden_group_size_z
      - .offset:         162
        .size:           2
        .value_kind:     hidden_remainder_x
      - .offset:         164
        .size:           2
        .value_kind:     hidden_remainder_y
      - .offset:         166
        .size:           2
        .value_kind:     hidden_remainder_z
      - .offset:         184
        .size:           8
        .value_kind:     hidden_global_offset_x
      - .offset:         192
        .size:           8
        .value_kind:     hidden_global_offset_y
      - .offset:         200
        .size:           8
        .value_kind:     hidden_global_offset_z
      - .offset:         208
        .size:           2
        .value_kind:     hidden_grid_dims
    .group_segment_fixed_size: 8192
    .kernarg_segment_align: 8
    .kernarg_segment_size: 400
    .language:       OpenCL C
    .language_version:
      - 2
      - 0
    .max_flat_workgroup_size: 256
    .name:           _Z39paged_attention_ll4mi_QKV_mfma16_kernelI14__hip_bfloat16hLN4vllm18Fp8KVCacheDataTypeE1ES0_Li32ELi128ELi256ELb1ELi16EEvPKT_PKT0_S8_ifPKiSA_SA_iPKfiiiPfSD_PS3_PT2_iSC_SC_
    .private_segment_fixed_size: 0
    .sgpr_count:     51
    .sgpr_spill_count: 0
    .symbol:         _Z39paged_attention_ll4mi_QKV_mfma16_kernelI14__hip_bfloat16hLN4vllm18Fp8KVCacheDataTypeE1ES0_Li32ELi128ELi256ELb1ELi16EEvPKT_PKT0_S8_ifPKiSA_SA_iPKfiiiPfSD_PS3_PT2_iSC_SC_.kd
    .uniform_work_group_size: 1
    .uses_dynamic_stack: false
    .vgpr_count:     84
    .vgpr_spill_count: 0
    .wavefront_size: 64
  - .agpr_count:     0
    .args:
      - .actual_access:  read_only
        .address_space:  global
        .offset:         0
        .size:           8
        .value_kind:     global_buffer
      - .actual_access:  read_only
        .address_space:  global
        .offset:         8
        .size:           8
        .value_kind:     global_buffer
      - .actual_access:  read_only
        .address_space:  global
        .offset:         16
        .size:           8
        .value_kind:     global_buffer
      - .offset:         24
        .size:           4
        .value_kind:     by_value
      - .offset:         28
        .size:           4
        .value_kind:     by_value
      - .actual_access:  read_only
        .address_space:  global
        .offset:         32
        .size:           8
        .value_kind:     global_buffer
      - .actual_access:  read_only
        .address_space:  global
        .offset:         40
        .size:           8
        .value_kind:     global_buffer
      - .actual_access:  read_only
        .address_space:  global
        .offset:         48
        .size:           8
        .value_kind:     global_buffer
      - .offset:         56
        .size:           4
        .value_kind:     by_value
      - .actual_access:  read_only
        .address_space:  global
        .offset:         64
        .size:           8
        .value_kind:     global_buffer
      - .offset:         72
        .size:           4
        .value_kind:     by_value
      - .offset:         76
        .size:           4
        .value_kind:     by_value
      - .offset:         80
        .size:           4
        .value_kind:     by_value
      - .actual_access:  write_only
        .address_space:  global
        .offset:         88
        .size:           8
        .value_kind:     global_buffer
      - .actual_access:  write_only
        .address_space:  global
        .offset:         96
        .size:           8
        .value_kind:     global_buffer
      - .actual_access:  write_only
        .address_space:  global
        .offset:         104
        .size:           8
        .value_kind:     global_buffer
      - .actual_access:  read_only
        .address_space:  global
        .offset:         112
        .size:           8
        .value_kind:     global_buffer
      - .offset:         120
        .size:           4
        .value_kind:     by_value
      - .address_space:  global
        .offset:         128
        .size:           8
        .value_kind:     global_buffer
      - .address_space:  global
        .offset:         136
        .size:           8
        .value_kind:     global_buffer
      - .offset:         144
        .size:           4
        .value_kind:     hidden_block_count_x
      - .offset:         148
        .size:           4
        .value_kind:     hidden_block_count_y
      - .offset:         152
        .size:           4
        .value_kind:     hidden_block_count_z
      - .offset:         156
        .size:           2
        .value_kind:     hidden_group_size_x
      - .offset:         158
        .size:           2
        .value_kind:     hidden_group_size_y
      - .offset:         160
        .size:           2
        .value_kind:     hidden_group_size_z
      - .offset:         162
        .size:           2
        .value_kind:     hidden_remainder_x
      - .offset:         164
        .size:           2
        .value_kind:     hidden_remainder_y
      - .offset:         166
        .size:           2
        .value_kind:     hidden_remainder_z
      - .offset:         184
        .size:           8
        .value_kind:     hidden_global_offset_x
      - .offset:         192
        .size:           8
        .value_kind:     hidden_global_offset_y
      - .offset:         200
        .size:           8
        .value_kind:     hidden_global_offset_z
      - .offset:         208
        .size:           2
        .value_kind:     hidden_grid_dims
    .group_segment_fixed_size: 8192
    .kernarg_segment_align: 8
    .kernarg_segment_size: 400
    .language:       OpenCL C
    .language_version:
      - 2
      - 0
    .max_flat_workgroup_size: 256
    .name:           _Z39paged_attention_ll4mi_QKV_mfma16_kernelI14__hip_bfloat16hLN4vllm18Fp8KVCacheDataTypeE1ES0_Li32ELi128ELi256ELb1ELi1EEvPKT_PKT0_S8_ifPKiSA_SA_iPKfiiiPfSD_PS3_PT2_iSC_SC_
    .private_segment_fixed_size: 0
    .sgpr_count:     54
    .sgpr_spill_count: 0
    .symbol:         _Z39paged_attention_ll4mi_QKV_mfma16_kernelI14__hip_bfloat16hLN4vllm18Fp8KVCacheDataTypeE1ES0_Li32ELi128ELi256ELb1ELi1EEvPKT_PKT0_S8_ifPKiSA_SA_iPKfiiiPfSD_PS3_PT2_iSC_SC_.kd
    .uniform_work_group_size: 1
    .uses_dynamic_stack: false
    .vgpr_count:     78
    .vgpr_spill_count: 0
    .wavefront_size: 64
  - .agpr_count:     0
    .args:
      - .actual_access:  read_only
        .address_space:  global
        .offset:         0
        .size:           8
        .value_kind:     global_buffer
      - .actual_access:  read_only
        .address_space:  global
        .offset:         8
        .size:           8
        .value_kind:     global_buffer
      - .actual_access:  read_only
        .address_space:  global
        .offset:         16
        .size:           8
        .value_kind:     global_buffer
      - .offset:         24
        .size:           4
        .value_kind:     by_value
      - .offset:         28
        .size:           4
        .value_kind:     by_value
      - .actual_access:  read_only
        .address_space:  global
        .offset:         32
        .size:           8
        .value_kind:     global_buffer
      - .actual_access:  read_only
        .address_space:  global
        .offset:         40
        .size:           8
        .value_kind:     global_buffer
      - .actual_access:  read_only
        .address_space:  global
        .offset:         48
        .size:           8
        .value_kind:     global_buffer
      - .offset:         56
        .size:           4
        .value_kind:     by_value
      - .actual_access:  read_only
        .address_space:  global
        .offset:         64
        .size:           8
        .value_kind:     global_buffer
      - .offset:         72
        .size:           4
        .value_kind:     by_value
      - .offset:         76
        .size:           4
        .value_kind:     by_value
      - .offset:         80
        .size:           4
        .value_kind:     by_value
      - .actual_access:  write_only
        .address_space:  global
        .offset:         88
        .size:           8
        .value_kind:     global_buffer
      - .actual_access:  write_only
        .address_space:  global
        .offset:         96
        .size:           8
        .value_kind:     global_buffer
      - .actual_access:  write_only
        .address_space:  global
        .offset:         104
        .size:           8
        .value_kind:     global_buffer
      - .actual_access:  read_only
        .address_space:  global
        .offset:         112
        .size:           8
        .value_kind:     global_buffer
      - .offset:         120
        .size:           4
        .value_kind:     by_value
      - .address_space:  global
        .offset:         128
        .size:           8
        .value_kind:     global_buffer
      - .address_space:  global
        .offset:         136
        .size:           8
        .value_kind:     global_buffer
      - .offset:         144
        .size:           4
        .value_kind:     hidden_block_count_x
      - .offset:         148
        .size:           4
        .value_kind:     hidden_block_count_y
      - .offset:         152
        .size:           4
        .value_kind:     hidden_block_count_z
      - .offset:         156
        .size:           2
        .value_kind:     hidden_group_size_x
      - .offset:         158
        .size:           2
        .value_kind:     hidden_group_size_y
      - .offset:         160
        .size:           2
        .value_kind:     hidden_group_size_z
      - .offset:         162
        .size:           2
        .value_kind:     hidden_remainder_x
      - .offset:         164
        .size:           2
        .value_kind:     hidden_remainder_y
      - .offset:         166
        .size:           2
        .value_kind:     hidden_remainder_z
      - .offset:         184
        .size:           8
        .value_kind:     hidden_global_offset_x
      - .offset:         192
        .size:           8
        .value_kind:     hidden_global_offset_y
      - .offset:         200
        .size:           8
        .value_kind:     hidden_global_offset_z
      - .offset:         208
        .size:           2
        .value_kind:     hidden_grid_dims
    .group_segment_fixed_size: 8192
    .kernarg_segment_align: 8
    .kernarg_segment_size: 400
    .language:       OpenCL C
    .language_version:
      - 2
      - 0
    .max_flat_workgroup_size: 256
    .name:           _Z39paged_attention_ll4mi_QKV_mfma16_kernelI14__hip_bfloat16hLN4vllm18Fp8KVCacheDataTypeE1ES0_Li32ELi128ELi256ELb1ELi2EEvPKT_PKT0_S8_ifPKiSA_SA_iPKfiiiPfSD_PS3_PT2_iSC_SC_
    .private_segment_fixed_size: 0
    .sgpr_count:     54
    .sgpr_spill_count: 0
    .symbol:         _Z39paged_attention_ll4mi_QKV_mfma16_kernelI14__hip_bfloat16hLN4vllm18Fp8KVCacheDataTypeE1ES0_Li32ELi128ELi256ELb1ELi2EEvPKT_PKT0_S8_ifPKiSA_SA_iPKfiiiPfSD_PS3_PT2_iSC_SC_.kd
    .uniform_work_group_size: 1
    .uses_dynamic_stack: false
    .vgpr_count:     78
    .vgpr_spill_count: 0
    .wavefront_size: 64
  - .agpr_count:     0
    .args:
      - .actual_access:  read_only
        .address_space:  global
        .offset:         0
        .size:           8
        .value_kind:     global_buffer
      - .actual_access:  read_only
        .address_space:  global
        .offset:         8
        .size:           8
        .value_kind:     global_buffer
      - .actual_access:  read_only
        .address_space:  global
        .offset:         16
        .size:           8
        .value_kind:     global_buffer
      - .offset:         24
        .size:           4
        .value_kind:     by_value
      - .offset:         28
        .size:           4
        .value_kind:     by_value
      - .actual_access:  read_only
        .address_space:  global
        .offset:         32
        .size:           8
        .value_kind:     global_buffer
      - .actual_access:  read_only
        .address_space:  global
        .offset:         40
        .size:           8
        .value_kind:     global_buffer
      - .actual_access:  read_only
        .address_space:  global
        .offset:         48
        .size:           8
        .value_kind:     global_buffer
      - .offset:         56
        .size:           4
        .value_kind:     by_value
      - .actual_access:  read_only
        .address_space:  global
        .offset:         64
        .size:           8
        .value_kind:     global_buffer
      - .offset:         72
        .size:           4
        .value_kind:     by_value
      - .offset:         76
        .size:           4
        .value_kind:     by_value
      - .offset:         80
        .size:           4
        .value_kind:     by_value
      - .actual_access:  write_only
        .address_space:  global
        .offset:         88
        .size:           8
        .value_kind:     global_buffer
      - .actual_access:  write_only
        .address_space:  global
        .offset:         96
        .size:           8
        .value_kind:     global_buffer
      - .actual_access:  write_only
        .address_space:  global
        .offset:         104
        .size:           8
        .value_kind:     global_buffer
      - .actual_access:  read_only
        .address_space:  global
        .offset:         112
        .size:           8
        .value_kind:     global_buffer
      - .offset:         120
        .size:           4
        .value_kind:     by_value
      - .address_space:  global
        .offset:         128
        .size:           8
        .value_kind:     global_buffer
      - .address_space:  global
        .offset:         136
        .size:           8
        .value_kind:     global_buffer
      - .offset:         144
        .size:           4
        .value_kind:     hidden_block_count_x
      - .offset:         148
        .size:           4
        .value_kind:     hidden_block_count_y
      - .offset:         152
        .size:           4
        .value_kind:     hidden_block_count_z
      - .offset:         156
        .size:           2
        .value_kind:     hidden_group_size_x
      - .offset:         158
        .size:           2
        .value_kind:     hidden_group_size_y
      - .offset:         160
        .size:           2
        .value_kind:     hidden_group_size_z
      - .offset:         162
        .size:           2
        .value_kind:     hidden_remainder_x
      - .offset:         164
        .size:           2
        .value_kind:     hidden_remainder_y
      - .offset:         166
        .size:           2
        .value_kind:     hidden_remainder_z
      - .offset:         184
        .size:           8
        .value_kind:     hidden_global_offset_x
      - .offset:         192
        .size:           8
        .value_kind:     hidden_global_offset_y
      - .offset:         200
        .size:           8
        .value_kind:     hidden_global_offset_z
      - .offset:         208
        .size:           2
        .value_kind:     hidden_grid_dims
    .group_segment_fixed_size: 8192
    .kernarg_segment_align: 8
    .kernarg_segment_size: 400
    .language:       OpenCL C
    .language_version:
      - 2
      - 0
    .max_flat_workgroup_size: 256
    .name:           _Z39paged_attention_ll4mi_QKV_mfma16_kernelI14__hip_bfloat16hLN4vllm18Fp8KVCacheDataTypeE1ES0_Li32ELi128ELi256ELb1ELi3EEvPKT_PKT0_S8_ifPKiSA_SA_iPKfiiiPfSD_PS3_PT2_iSC_SC_
    .private_segment_fixed_size: 0
    .sgpr_count:     56
    .sgpr_spill_count: 0
    .symbol:         _Z39paged_attention_ll4mi_QKV_mfma16_kernelI14__hip_bfloat16hLN4vllm18Fp8KVCacheDataTypeE1ES0_Li32ELi128ELi256ELb1ELi3EEvPKT_PKT0_S8_ifPKiSA_SA_iPKfiiiPfSD_PS3_PT2_iSC_SC_.kd
    .uniform_work_group_size: 1
    .uses_dynamic_stack: false
    .vgpr_count:     80
    .vgpr_spill_count: 0
    .wavefront_size: 64
  - .agpr_count:     0
    .args:
      - .actual_access:  read_only
        .address_space:  global
        .offset:         0
        .size:           8
        .value_kind:     global_buffer
      - .actual_access:  read_only
        .address_space:  global
        .offset:         8
        .size:           8
        .value_kind:     global_buffer
      - .actual_access:  read_only
        .address_space:  global
        .offset:         16
        .size:           8
        .value_kind:     global_buffer
      - .offset:         24
        .size:           4
        .value_kind:     by_value
      - .offset:         28
        .size:           4
        .value_kind:     by_value
      - .actual_access:  read_only
        .address_space:  global
        .offset:         32
        .size:           8
        .value_kind:     global_buffer
      - .actual_access:  read_only
        .address_space:  global
        .offset:         40
        .size:           8
        .value_kind:     global_buffer
      - .actual_access:  read_only
        .address_space:  global
        .offset:         48
        .size:           8
        .value_kind:     global_buffer
      - .offset:         56
        .size:           4
        .value_kind:     by_value
      - .actual_access:  read_only
        .address_space:  global
        .offset:         64
        .size:           8
        .value_kind:     global_buffer
      - .offset:         72
        .size:           4
        .value_kind:     by_value
      - .offset:         76
        .size:           4
        .value_kind:     by_value
      - .offset:         80
        .size:           4
        .value_kind:     by_value
      - .actual_access:  write_only
        .address_space:  global
        .offset:         88
        .size:           8
        .value_kind:     global_buffer
      - .actual_access:  write_only
        .address_space:  global
        .offset:         96
        .size:           8
        .value_kind:     global_buffer
      - .actual_access:  write_only
        .address_space:  global
        .offset:         104
        .size:           8
        .value_kind:     global_buffer
      - .actual_access:  read_only
        .address_space:  global
        .offset:         112
        .size:           8
        .value_kind:     global_buffer
      - .offset:         120
        .size:           4
        .value_kind:     by_value
      - .address_space:  global
        .offset:         128
        .size:           8
        .value_kind:     global_buffer
      - .address_space:  global
        .offset:         136
        .size:           8
        .value_kind:     global_buffer
      - .offset:         144
        .size:           4
        .value_kind:     hidden_block_count_x
      - .offset:         148
        .size:           4
        .value_kind:     hidden_block_count_y
      - .offset:         152
        .size:           4
        .value_kind:     hidden_block_count_z
      - .offset:         156
        .size:           2
        .value_kind:     hidden_group_size_x
      - .offset:         158
        .size:           2
        .value_kind:     hidden_group_size_y
      - .offset:         160
        .size:           2
        .value_kind:     hidden_group_size_z
      - .offset:         162
        .size:           2
        .value_kind:     hidden_remainder_x
      - .offset:         164
        .size:           2
        .value_kind:     hidden_remainder_y
      - .offset:         166
        .size:           2
        .value_kind:     hidden_remainder_z
      - .offset:         184
        .size:           8
        .value_kind:     hidden_global_offset_x
      - .offset:         192
        .size:           8
        .value_kind:     hidden_global_offset_y
      - .offset:         200
        .size:           8
        .value_kind:     hidden_global_offset_z
      - .offset:         208
        .size:           2
        .value_kind:     hidden_grid_dims
    .group_segment_fixed_size: 8192
    .kernarg_segment_align: 8
    .kernarg_segment_size: 400
    .language:       OpenCL C
    .language_version:
      - 2
      - 0
    .max_flat_workgroup_size: 256
    .name:           _Z39paged_attention_ll4mi_QKV_mfma16_kernelI14__hip_bfloat16hLN4vllm18Fp8KVCacheDataTypeE1ES0_Li32ELi128ELi256ELb1ELi4EEvPKT_PKT0_S8_ifPKiSA_SA_iPKfiiiPfSD_PS3_PT2_iSC_SC_
    .private_segment_fixed_size: 0
    .sgpr_count:     54
    .sgpr_spill_count: 0
    .symbol:         _Z39paged_attention_ll4mi_QKV_mfma16_kernelI14__hip_bfloat16hLN4vllm18Fp8KVCacheDataTypeE1ES0_Li32ELi128ELi256ELb1ELi4EEvPKT_PKT0_S8_ifPKiSA_SA_iPKfiiiPfSD_PS3_PT2_iSC_SC_.kd
    .uniform_work_group_size: 1
    .uses_dynamic_stack: false
    .vgpr_count:     80
    .vgpr_spill_count: 0
    .wavefront_size: 64
  - .agpr_count:     4
    .args:
      - .actual_access:  read_only
        .address_space:  global
        .offset:         0
        .size:           8
        .value_kind:     global_buffer
      - .actual_access:  read_only
        .address_space:  global
        .offset:         8
        .size:           8
        .value_kind:     global_buffer
      - .actual_access:  read_only
        .address_space:  global
        .offset:         16
        .size:           8
        .value_kind:     global_buffer
      - .offset:         24
        .size:           4
        .value_kind:     by_value
      - .offset:         28
        .size:           4
        .value_kind:     by_value
      - .actual_access:  read_only
        .address_space:  global
        .offset:         32
        .size:           8
        .value_kind:     global_buffer
      - .actual_access:  read_only
        .address_space:  global
        .offset:         40
        .size:           8
        .value_kind:     global_buffer
      - .actual_access:  read_only
        .address_space:  global
        .offset:         48
        .size:           8
        .value_kind:     global_buffer
      - .offset:         56
        .size:           4
        .value_kind:     by_value
      - .actual_access:  read_only
        .address_space:  global
        .offset:         64
        .size:           8
        .value_kind:     global_buffer
      - .offset:         72
        .size:           4
        .value_kind:     by_value
      - .offset:         76
        .size:           4
        .value_kind:     by_value
      - .offset:         80
        .size:           4
        .value_kind:     by_value
      - .actual_access:  write_only
        .address_space:  global
        .offset:         88
        .size:           8
        .value_kind:     global_buffer
      - .actual_access:  write_only
        .address_space:  global
        .offset:         96
        .size:           8
        .value_kind:     global_buffer
      - .actual_access:  write_only
        .address_space:  global
        .offset:         104
        .size:           8
        .value_kind:     global_buffer
      - .actual_access:  read_only
        .address_space:  global
        .offset:         112
        .size:           8
        .value_kind:     global_buffer
      - .offset:         120
        .size:           4
        .value_kind:     by_value
      - .address_space:  global
        .offset:         128
        .size:           8
        .value_kind:     global_buffer
      - .address_space:  global
        .offset:         136
        .size:           8
        .value_kind:     global_buffer
      - .offset:         144
        .size:           4
        .value_kind:     hidden_block_count_x
      - .offset:         148
        .size:           4
        .value_kind:     hidden_block_count_y
      - .offset:         152
        .size:           4
        .value_kind:     hidden_block_count_z
      - .offset:         156
        .size:           2
        .value_kind:     hidden_group_size_x
      - .offset:         158
        .size:           2
        .value_kind:     hidden_group_size_y
      - .offset:         160
        .size:           2
        .value_kind:     hidden_group_size_z
      - .offset:         162
        .size:           2
        .value_kind:     hidden_remainder_x
      - .offset:         164
        .size:           2
        .value_kind:     hidden_remainder_y
      - .offset:         166
        .size:           2
        .value_kind:     hidden_remainder_z
      - .offset:         184
        .size:           8
        .value_kind:     hidden_global_offset_x
      - .offset:         192
        .size:           8
        .value_kind:     hidden_global_offset_y
      - .offset:         200
        .size:           8
        .value_kind:     hidden_global_offset_z
      - .offset:         208
        .size:           2
        .value_kind:     hidden_grid_dims
    .group_segment_fixed_size: 5280
    .kernarg_segment_align: 8
    .kernarg_segment_size: 400
    .language:       OpenCL C
    .language_version:
      - 2
      - 0
    .max_flat_workgroup_size: 256
    .name:           _Z38paged_attention_ll4mi_QKV_mfma4_kernelI14__hip_bfloat16hLN4vllm18Fp8KVCacheDataTypeE1ES0_Li32ELi128ELi256ELb0ELi1EEvPKT_PKT0_S8_ifPKiSA_SA_iPKfiiiPfSD_PS3_PT2_iSC_SC_
    .private_segment_fixed_size: 0
    .sgpr_count:     48
    .sgpr_spill_count: 0
    .symbol:         _Z38paged_attention_ll4mi_QKV_mfma4_kernelI14__hip_bfloat16hLN4vllm18Fp8KVCacheDataTypeE1ES0_Li32ELi128ELi256ELb0ELi1EEvPKT_PKT0_S8_ifPKiSA_SA_iPKfiiiPfSD_PS3_PT2_iSC_SC_.kd
    .uniform_work_group_size: 1
    .uses_dynamic_stack: false
    .vgpr_count:     108
    .vgpr_spill_count: 0
    .wavefront_size: 64
  - .agpr_count:     4
    .args:
      - .actual_access:  read_only
        .address_space:  global
        .offset:         0
        .size:           8
        .value_kind:     global_buffer
      - .actual_access:  read_only
        .address_space:  global
        .offset:         8
        .size:           8
        .value_kind:     global_buffer
      - .actual_access:  read_only
        .address_space:  global
        .offset:         16
        .size:           8
        .value_kind:     global_buffer
      - .offset:         24
        .size:           4
        .value_kind:     by_value
      - .offset:         28
        .size:           4
        .value_kind:     by_value
      - .actual_access:  read_only
        .address_space:  global
        .offset:         32
        .size:           8
        .value_kind:     global_buffer
      - .actual_access:  read_only
        .address_space:  global
        .offset:         40
        .size:           8
        .value_kind:     global_buffer
      - .actual_access:  read_only
        .address_space:  global
        .offset:         48
        .size:           8
        .value_kind:     global_buffer
      - .offset:         56
        .size:           4
        .value_kind:     by_value
      - .actual_access:  read_only
        .address_space:  global
        .offset:         64
        .size:           8
        .value_kind:     global_buffer
      - .offset:         72
        .size:           4
        .value_kind:     by_value
      - .offset:         76
        .size:           4
        .value_kind:     by_value
      - .offset:         80
        .size:           4
        .value_kind:     by_value
      - .actual_access:  write_only
        .address_space:  global
        .offset:         88
        .size:           8
        .value_kind:     global_buffer
      - .actual_access:  write_only
        .address_space:  global
        .offset:         96
        .size:           8
        .value_kind:     global_buffer
      - .actual_access:  write_only
        .address_space:  global
        .offset:         104
        .size:           8
        .value_kind:     global_buffer
      - .actual_access:  read_only
        .address_space:  global
        .offset:         112
        .size:           8
        .value_kind:     global_buffer
      - .offset:         120
        .size:           4
        .value_kind:     by_value
      - .address_space:  global
        .offset:         128
        .size:           8
        .value_kind:     global_buffer
      - .address_space:  global
        .offset:         136
        .size:           8
        .value_kind:     global_buffer
      - .offset:         144
        .size:           4
        .value_kind:     hidden_block_count_x
      - .offset:         148
        .size:           4
        .value_kind:     hidden_block_count_y
      - .offset:         152
        .size:           4
        .value_kind:     hidden_block_count_z
      - .offset:         156
        .size:           2
        .value_kind:     hidden_group_size_x
      - .offset:         158
        .size:           2
        .value_kind:     hidden_group_size_y
      - .offset:         160
        .size:           2
        .value_kind:     hidden_group_size_z
      - .offset:         162
        .size:           2
        .value_kind:     hidden_remainder_x
      - .offset:         164
        .size:           2
        .value_kind:     hidden_remainder_y
      - .offset:         166
        .size:           2
        .value_kind:     hidden_remainder_z
      - .offset:         184
        .size:           8
        .value_kind:     hidden_global_offset_x
      - .offset:         192
        .size:           8
        .value_kind:     hidden_global_offset_y
      - .offset:         200
        .size:           8
        .value_kind:     hidden_global_offset_z
      - .offset:         208
        .size:           2
        .value_kind:     hidden_grid_dims
    .group_segment_fixed_size: 5280
    .kernarg_segment_align: 8
    .kernarg_segment_size: 400
    .language:       OpenCL C
    .language_version:
      - 2
      - 0
    .max_flat_workgroup_size: 256
    .name:           _Z38paged_attention_ll4mi_QKV_mfma4_kernelI14__hip_bfloat16hLN4vllm18Fp8KVCacheDataTypeE1ES0_Li32ELi128ELi256ELb0ELi2EEvPKT_PKT0_S8_ifPKiSA_SA_iPKfiiiPfSD_PS3_PT2_iSC_SC_
    .private_segment_fixed_size: 0
    .sgpr_count:     48
    .sgpr_spill_count: 0
    .symbol:         _Z38paged_attention_ll4mi_QKV_mfma4_kernelI14__hip_bfloat16hLN4vllm18Fp8KVCacheDataTypeE1ES0_Li32ELi128ELi256ELb0ELi2EEvPKT_PKT0_S8_ifPKiSA_SA_iPKfiiiPfSD_PS3_PT2_iSC_SC_.kd
    .uniform_work_group_size: 1
    .uses_dynamic_stack: false
    .vgpr_count:     88
    .vgpr_spill_count: 0
    .wavefront_size: 64
  - .agpr_count:     4
    .args:
      - .actual_access:  read_only
        .address_space:  global
        .offset:         0
        .size:           8
        .value_kind:     global_buffer
      - .actual_access:  read_only
        .address_space:  global
        .offset:         8
        .size:           8
        .value_kind:     global_buffer
      - .actual_access:  read_only
        .address_space:  global
        .offset:         16
        .size:           8
        .value_kind:     global_buffer
      - .offset:         24
        .size:           4
        .value_kind:     by_value
      - .offset:         28
        .size:           4
        .value_kind:     by_value
      - .actual_access:  read_only
        .address_space:  global
        .offset:         32
        .size:           8
        .value_kind:     global_buffer
      - .actual_access:  read_only
        .address_space:  global
        .offset:         40
        .size:           8
        .value_kind:     global_buffer
      - .actual_access:  read_only
        .address_space:  global
        .offset:         48
        .size:           8
        .value_kind:     global_buffer
      - .offset:         56
        .size:           4
        .value_kind:     by_value
      - .actual_access:  read_only
        .address_space:  global
        .offset:         64
        .size:           8
        .value_kind:     global_buffer
      - .offset:         72
        .size:           4
        .value_kind:     by_value
      - .offset:         76
        .size:           4
        .value_kind:     by_value
      - .offset:         80
        .size:           4
        .value_kind:     by_value
      - .actual_access:  write_only
        .address_space:  global
        .offset:         88
        .size:           8
        .value_kind:     global_buffer
      - .actual_access:  write_only
        .address_space:  global
        .offset:         96
        .size:           8
        .value_kind:     global_buffer
      - .actual_access:  write_only
        .address_space:  global
        .offset:         104
        .size:           8
        .value_kind:     global_buffer
      - .actual_access:  read_only
        .address_space:  global
        .offset:         112
        .size:           8
        .value_kind:     global_buffer
      - .offset:         120
        .size:           4
        .value_kind:     by_value
      - .address_space:  global
        .offset:         128
        .size:           8
        .value_kind:     global_buffer
      - .address_space:  global
        .offset:         136
        .size:           8
        .value_kind:     global_buffer
      - .offset:         144
        .size:           4
        .value_kind:     hidden_block_count_x
      - .offset:         148
        .size:           4
        .value_kind:     hidden_block_count_y
      - .offset:         152
        .size:           4
        .value_kind:     hidden_block_count_z
      - .offset:         156
        .size:           2
        .value_kind:     hidden_group_size_x
      - .offset:         158
        .size:           2
        .value_kind:     hidden_group_size_y
      - .offset:         160
        .size:           2
        .value_kind:     hidden_group_size_z
      - .offset:         162
        .size:           2
        .value_kind:     hidden_remainder_x
      - .offset:         164
        .size:           2
        .value_kind:     hidden_remainder_y
      - .offset:         166
        .size:           2
        .value_kind:     hidden_remainder_z
      - .offset:         184
        .size:           8
        .value_kind:     hidden_global_offset_x
      - .offset:         192
        .size:           8
        .value_kind:     hidden_global_offset_y
      - .offset:         200
        .size:           8
        .value_kind:     hidden_global_offset_z
      - .offset:         208
        .size:           2
        .value_kind:     hidden_grid_dims
    .group_segment_fixed_size: 5280
    .kernarg_segment_align: 8
    .kernarg_segment_size: 400
    .language:       OpenCL C
    .language_version:
      - 2
      - 0
    .max_flat_workgroup_size: 256
    .name:           _Z38paged_attention_ll4mi_QKV_mfma4_kernelI14__hip_bfloat16hLN4vllm18Fp8KVCacheDataTypeE1ES0_Li32ELi128ELi256ELb0ELi3EEvPKT_PKT0_S8_ifPKiSA_SA_iPKfiiiPfSD_PS3_PT2_iSC_SC_
    .private_segment_fixed_size: 0
    .sgpr_count:     48
    .sgpr_spill_count: 0
    .symbol:         _Z38paged_attention_ll4mi_QKV_mfma4_kernelI14__hip_bfloat16hLN4vllm18Fp8KVCacheDataTypeE1ES0_Li32ELi128ELi256ELb0ELi3EEvPKT_PKT0_S8_ifPKiSA_SA_iPKfiiiPfSD_PS3_PT2_iSC_SC_.kd
    .uniform_work_group_size: 1
    .uses_dynamic_stack: false
    .vgpr_count:     108
    .vgpr_spill_count: 0
    .wavefront_size: 64
  - .agpr_count:     4
    .args:
      - .actual_access:  read_only
        .address_space:  global
        .offset:         0
        .size:           8
        .value_kind:     global_buffer
      - .actual_access:  read_only
        .address_space:  global
        .offset:         8
        .size:           8
        .value_kind:     global_buffer
      - .actual_access:  read_only
        .address_space:  global
        .offset:         16
        .size:           8
        .value_kind:     global_buffer
      - .offset:         24
        .size:           4
        .value_kind:     by_value
      - .offset:         28
        .size:           4
        .value_kind:     by_value
      - .actual_access:  read_only
        .address_space:  global
        .offset:         32
        .size:           8
        .value_kind:     global_buffer
      - .actual_access:  read_only
        .address_space:  global
        .offset:         40
        .size:           8
        .value_kind:     global_buffer
      - .actual_access:  read_only
        .address_space:  global
        .offset:         48
        .size:           8
        .value_kind:     global_buffer
      - .offset:         56
        .size:           4
        .value_kind:     by_value
      - .actual_access:  read_only
        .address_space:  global
        .offset:         64
        .size:           8
        .value_kind:     global_buffer
      - .offset:         72
        .size:           4
        .value_kind:     by_value
      - .offset:         76
        .size:           4
        .value_kind:     by_value
      - .offset:         80
        .size:           4
        .value_kind:     by_value
      - .actual_access:  write_only
        .address_space:  global
        .offset:         88
        .size:           8
        .value_kind:     global_buffer
      - .actual_access:  write_only
        .address_space:  global
        .offset:         96
        .size:           8
        .value_kind:     global_buffer
      - .actual_access:  write_only
        .address_space:  global
        .offset:         104
        .size:           8
        .value_kind:     global_buffer
      - .actual_access:  read_only
        .address_space:  global
        .offset:         112
        .size:           8
        .value_kind:     global_buffer
      - .offset:         120
        .size:           4
        .value_kind:     by_value
      - .address_space:  global
        .offset:         128
        .size:           8
        .value_kind:     global_buffer
      - .address_space:  global
        .offset:         136
        .size:           8
        .value_kind:     global_buffer
      - .offset:         144
        .size:           4
        .value_kind:     hidden_block_count_x
      - .offset:         148
        .size:           4
        .value_kind:     hidden_block_count_y
      - .offset:         152
        .size:           4
        .value_kind:     hidden_block_count_z
      - .offset:         156
        .size:           2
        .value_kind:     hidden_group_size_x
      - .offset:         158
        .size:           2
        .value_kind:     hidden_group_size_y
      - .offset:         160
        .size:           2
        .value_kind:     hidden_group_size_z
      - .offset:         162
        .size:           2
        .value_kind:     hidden_remainder_x
      - .offset:         164
        .size:           2
        .value_kind:     hidden_remainder_y
      - .offset:         166
        .size:           2
        .value_kind:     hidden_remainder_z
      - .offset:         184
        .size:           8
        .value_kind:     hidden_global_offset_x
      - .offset:         192
        .size:           8
        .value_kind:     hidden_global_offset_y
      - .offset:         200
        .size:           8
        .value_kind:     hidden_global_offset_z
      - .offset:         208
        .size:           2
        .value_kind:     hidden_grid_dims
    .group_segment_fixed_size: 5280
    .kernarg_segment_align: 8
    .kernarg_segment_size: 400
    .language:       OpenCL C
    .language_version:
      - 2
      - 0
    .max_flat_workgroup_size: 256
    .name:           _Z38paged_attention_ll4mi_QKV_mfma4_kernelI14__hip_bfloat16hLN4vllm18Fp8KVCacheDataTypeE1ES0_Li32ELi128ELi256ELb0ELi4EEvPKT_PKT0_S8_ifPKiSA_SA_iPKfiiiPfSD_PS3_PT2_iSC_SC_
    .private_segment_fixed_size: 0
    .sgpr_count:     48
    .sgpr_spill_count: 0
    .symbol:         _Z38paged_attention_ll4mi_QKV_mfma4_kernelI14__hip_bfloat16hLN4vllm18Fp8KVCacheDataTypeE1ES0_Li32ELi128ELi256ELb0ELi4EEvPKT_PKT0_S8_ifPKiSA_SA_iPKfiiiPfSD_PS3_PT2_iSC_SC_.kd
    .uniform_work_group_size: 1
    .uses_dynamic_stack: false
    .vgpr_count:     96
    .vgpr_spill_count: 0
    .wavefront_size: 64
  - .agpr_count:     0
    .args:
      - .actual_access:  read_only
        .address_space:  global
        .offset:         0
        .size:           8
        .value_kind:     global_buffer
      - .actual_access:  read_only
        .address_space:  global
        .offset:         8
        .size:           8
        .value_kind:     global_buffer
      - .actual_access:  read_only
        .address_space:  global
        .offset:         16
        .size:           8
        .value_kind:     global_buffer
      - .offset:         24
        .size:           4
        .value_kind:     by_value
      - .offset:         28
        .size:           4
        .value_kind:     by_value
      - .actual_access:  read_only
        .address_space:  global
        .offset:         32
        .size:           8
        .value_kind:     global_buffer
      - .actual_access:  read_only
        .address_space:  global
        .offset:         40
        .size:           8
        .value_kind:     global_buffer
      - .actual_access:  read_only
        .address_space:  global
        .offset:         48
        .size:           8
        .value_kind:     global_buffer
      - .offset:         56
        .size:           4
        .value_kind:     by_value
      - .actual_access:  read_only
        .address_space:  global
        .offset:         64
        .size:           8
        .value_kind:     global_buffer
      - .offset:         72
        .size:           4
        .value_kind:     by_value
      - .offset:         76
        .size:           4
        .value_kind:     by_value
      - .offset:         80
        .size:           4
        .value_kind:     by_value
      - .actual_access:  write_only
        .address_space:  global
        .offset:         88
        .size:           8
        .value_kind:     global_buffer
      - .actual_access:  write_only
        .address_space:  global
        .offset:         96
        .size:           8
        .value_kind:     global_buffer
      - .actual_access:  write_only
        .address_space:  global
        .offset:         104
        .size:           8
        .value_kind:     global_buffer
      - .actual_access:  read_only
        .address_space:  global
        .offset:         112
        .size:           8
        .value_kind:     global_buffer
      - .offset:         120
        .size:           4
        .value_kind:     by_value
      - .address_space:  global
        .offset:         128
        .size:           8
        .value_kind:     global_buffer
      - .address_space:  global
        .offset:         136
        .size:           8
        .value_kind:     global_buffer
      - .offset:         144
        .size:           4
        .value_kind:     hidden_block_count_x
      - .offset:         148
        .size:           4
        .value_kind:     hidden_block_count_y
      - .offset:         152
        .size:           4
        .value_kind:     hidden_block_count_z
      - .offset:         156
        .size:           2
        .value_kind:     hidden_group_size_x
      - .offset:         158
        .size:           2
        .value_kind:     hidden_group_size_y
      - .offset:         160
        .size:           2
        .value_kind:     hidden_group_size_z
      - .offset:         162
        .size:           2
        .value_kind:     hidden_remainder_x
      - .offset:         164
        .size:           2
        .value_kind:     hidden_remainder_y
      - .offset:         166
        .size:           2
        .value_kind:     hidden_remainder_z
      - .offset:         184
        .size:           8
        .value_kind:     hidden_global_offset_x
      - .offset:         192
        .size:           8
        .value_kind:     hidden_global_offset_y
      - .offset:         200
        .size:           8
        .value_kind:     hidden_global_offset_z
      - .offset:         208
        .size:           2
        .value_kind:     hidden_grid_dims
    .group_segment_fixed_size: 8192
    .kernarg_segment_align: 8
    .kernarg_segment_size: 400
    .language:       OpenCL C
    .language_version:
      - 2
      - 0
    .max_flat_workgroup_size: 256
    .name:           _Z39paged_attention_ll4mi_QKV_mfma16_kernelI14__hip_bfloat16hLN4vllm18Fp8KVCacheDataTypeE1ES0_Li32ELi128ELi256ELb0ELi5EEvPKT_PKT0_S8_ifPKiSA_SA_iPKfiiiPfSD_PS3_PT2_iSC_SC_
    .private_segment_fixed_size: 0
    .sgpr_count:     56
    .sgpr_spill_count: 0
    .symbol:         _Z39paged_attention_ll4mi_QKV_mfma16_kernelI14__hip_bfloat16hLN4vllm18Fp8KVCacheDataTypeE1ES0_Li32ELi128ELi256ELb0ELi5EEvPKT_PKT0_S8_ifPKiSA_SA_iPKfiiiPfSD_PS3_PT2_iSC_SC_.kd
    .uniform_work_group_size: 1
    .uses_dynamic_stack: false
    .vgpr_count:     80
    .vgpr_spill_count: 0
    .wavefront_size: 64
  - .agpr_count:     0
    .args:
      - .actual_access:  read_only
        .address_space:  global
        .offset:         0
        .size:           8
        .value_kind:     global_buffer
      - .actual_access:  read_only
        .address_space:  global
        .offset:         8
        .size:           8
        .value_kind:     global_buffer
      - .actual_access:  read_only
        .address_space:  global
        .offset:         16
        .size:           8
        .value_kind:     global_buffer
      - .offset:         24
        .size:           4
        .value_kind:     by_value
      - .offset:         28
        .size:           4
        .value_kind:     by_value
      - .actual_access:  read_only
        .address_space:  global
        .offset:         32
        .size:           8
        .value_kind:     global_buffer
      - .actual_access:  read_only
        .address_space:  global
        .offset:         40
        .size:           8
        .value_kind:     global_buffer
      - .actual_access:  read_only
        .address_space:  global
        .offset:         48
        .size:           8
        .value_kind:     global_buffer
      - .offset:         56
        .size:           4
        .value_kind:     by_value
      - .actual_access:  read_only
        .address_space:  global
        .offset:         64
        .size:           8
        .value_kind:     global_buffer
      - .offset:         72
        .size:           4
        .value_kind:     by_value
      - .offset:         76
        .size:           4
        .value_kind:     by_value
      - .offset:         80
        .size:           4
        .value_kind:     by_value
      - .actual_access:  write_only
        .address_space:  global
        .offset:         88
        .size:           8
        .value_kind:     global_buffer
      - .actual_access:  write_only
        .address_space:  global
        .offset:         96
        .size:           8
        .value_kind:     global_buffer
      - .actual_access:  write_only
        .address_space:  global
        .offset:         104
        .size:           8
        .value_kind:     global_buffer
      - .actual_access:  read_only
        .address_space:  global
        .offset:         112
        .size:           8
        .value_kind:     global_buffer
      - .offset:         120
        .size:           4
        .value_kind:     by_value
      - .address_space:  global
        .offset:         128
        .size:           8
        .value_kind:     global_buffer
      - .address_space:  global
        .offset:         136
        .size:           8
        .value_kind:     global_buffer
      - .offset:         144
        .size:           4
        .value_kind:     hidden_block_count_x
      - .offset:         148
        .size:           4
        .value_kind:     hidden_block_count_y
      - .offset:         152
        .size:           4
        .value_kind:     hidden_block_count_z
      - .offset:         156
        .size:           2
        .value_kind:     hidden_group_size_x
      - .offset:         158
        .size:           2
        .value_kind:     hidden_group_size_y
      - .offset:         160
        .size:           2
        .value_kind:     hidden_group_size_z
      - .offset:         162
        .size:           2
        .value_kind:     hidden_remainder_x
      - .offset:         164
        .size:           2
        .value_kind:     hidden_remainder_y
      - .offset:         166
        .size:           2
        .value_kind:     hidden_remainder_z
      - .offset:         184
        .size:           8
        .value_kind:     hidden_global_offset_x
      - .offset:         192
        .size:           8
        .value_kind:     hidden_global_offset_y
      - .offset:         200
        .size:           8
        .value_kind:     hidden_global_offset_z
      - .offset:         208
        .size:           2
        .value_kind:     hidden_grid_dims
    .group_segment_fixed_size: 8192
    .kernarg_segment_align: 8
    .kernarg_segment_size: 400
    .language:       OpenCL C
    .language_version:
      - 2
      - 0
    .max_flat_workgroup_size: 256
    .name:           _Z39paged_attention_ll4mi_QKV_mfma16_kernelI14__hip_bfloat16hLN4vllm18Fp8KVCacheDataTypeE1ES0_Li32ELi128ELi256ELb0ELi6EEvPKT_PKT0_S8_ifPKiSA_SA_iPKfiiiPfSD_PS3_PT2_iSC_SC_
    .private_segment_fixed_size: 0
    .sgpr_count:     56
    .sgpr_spill_count: 0
    .symbol:         _Z39paged_attention_ll4mi_QKV_mfma16_kernelI14__hip_bfloat16hLN4vllm18Fp8KVCacheDataTypeE1ES0_Li32ELi128ELi256ELb0ELi6EEvPKT_PKT0_S8_ifPKiSA_SA_iPKfiiiPfSD_PS3_PT2_iSC_SC_.kd
    .uniform_work_group_size: 1
    .uses_dynamic_stack: false
    .vgpr_count:     80
    .vgpr_spill_count: 0
    .wavefront_size: 64
  - .agpr_count:     0
    .args:
      - .actual_access:  read_only
        .address_space:  global
        .offset:         0
        .size:           8
        .value_kind:     global_buffer
      - .actual_access:  read_only
        .address_space:  global
        .offset:         8
        .size:           8
        .value_kind:     global_buffer
      - .actual_access:  read_only
        .address_space:  global
        .offset:         16
        .size:           8
        .value_kind:     global_buffer
      - .offset:         24
        .size:           4
        .value_kind:     by_value
      - .offset:         28
        .size:           4
        .value_kind:     by_value
      - .actual_access:  read_only
        .address_space:  global
        .offset:         32
        .size:           8
        .value_kind:     global_buffer
      - .actual_access:  read_only
        .address_space:  global
        .offset:         40
        .size:           8
        .value_kind:     global_buffer
      - .actual_access:  read_only
        .address_space:  global
        .offset:         48
        .size:           8
        .value_kind:     global_buffer
      - .offset:         56
        .size:           4
        .value_kind:     by_value
      - .actual_access:  read_only
        .address_space:  global
        .offset:         64
        .size:           8
        .value_kind:     global_buffer
      - .offset:         72
        .size:           4
        .value_kind:     by_value
      - .offset:         76
        .size:           4
        .value_kind:     by_value
      - .offset:         80
        .size:           4
        .value_kind:     by_value
      - .actual_access:  write_only
        .address_space:  global
        .offset:         88
        .size:           8
        .value_kind:     global_buffer
      - .actual_access:  write_only
        .address_space:  global
        .offset:         96
        .size:           8
        .value_kind:     global_buffer
      - .actual_access:  write_only
        .address_space:  global
        .offset:         104
        .size:           8
        .value_kind:     global_buffer
      - .actual_access:  read_only
        .address_space:  global
        .offset:         112
        .size:           8
        .value_kind:     global_buffer
      - .offset:         120
        .size:           4
        .value_kind:     by_value
      - .address_space:  global
        .offset:         128
        .size:           8
        .value_kind:     global_buffer
      - .address_space:  global
        .offset:         136
        .size:           8
        .value_kind:     global_buffer
      - .offset:         144
        .size:           4
        .value_kind:     hidden_block_count_x
      - .offset:         148
        .size:           4
        .value_kind:     hidden_block_count_y
      - .offset:         152
        .size:           4
        .value_kind:     hidden_block_count_z
      - .offset:         156
        .size:           2
        .value_kind:     hidden_group_size_x
      - .offset:         158
        .size:           2
        .value_kind:     hidden_group_size_y
      - .offset:         160
        .size:           2
        .value_kind:     hidden_group_size_z
      - .offset:         162
        .size:           2
        .value_kind:     hidden_remainder_x
      - .offset:         164
        .size:           2
        .value_kind:     hidden_remainder_y
      - .offset:         166
        .size:           2
        .value_kind:     hidden_remainder_z
      - .offset:         184
        .size:           8
        .value_kind:     hidden_global_offset_x
      - .offset:         192
        .size:           8
        .value_kind:     hidden_global_offset_y
      - .offset:         200
        .size:           8
        .value_kind:     hidden_global_offset_z
      - .offset:         208
        .size:           2
        .value_kind:     hidden_grid_dims
    .group_segment_fixed_size: 8192
    .kernarg_segment_align: 8
    .kernarg_segment_size: 400
    .language:       OpenCL C
    .language_version:
      - 2
      - 0
    .max_flat_workgroup_size: 256
    .name:           _Z39paged_attention_ll4mi_QKV_mfma16_kernelI14__hip_bfloat16hLN4vllm18Fp8KVCacheDataTypeE1ES0_Li32ELi128ELi256ELb0ELi7EEvPKT_PKT0_S8_ifPKiSA_SA_iPKfiiiPfSD_PS3_PT2_iSC_SC_
    .private_segment_fixed_size: 0
    .sgpr_count:     56
    .sgpr_spill_count: 0
    .symbol:         _Z39paged_attention_ll4mi_QKV_mfma16_kernelI14__hip_bfloat16hLN4vllm18Fp8KVCacheDataTypeE1ES0_Li32ELi128ELi256ELb0ELi7EEvPKT_PKT0_S8_ifPKiSA_SA_iPKfiiiPfSD_PS3_PT2_iSC_SC_.kd
    .uniform_work_group_size: 1
    .uses_dynamic_stack: false
    .vgpr_count:     80
    .vgpr_spill_count: 0
    .wavefront_size: 64
  - .agpr_count:     0
    .args:
      - .actual_access:  read_only
        .address_space:  global
        .offset:         0
        .size:           8
        .value_kind:     global_buffer
      - .actual_access:  read_only
        .address_space:  global
        .offset:         8
        .size:           8
        .value_kind:     global_buffer
      - .actual_access:  read_only
        .address_space:  global
        .offset:         16
        .size:           8
        .value_kind:     global_buffer
      - .offset:         24
        .size:           4
        .value_kind:     by_value
      - .offset:         28
        .size:           4
        .value_kind:     by_value
      - .actual_access:  read_only
        .address_space:  global
        .offset:         32
        .size:           8
        .value_kind:     global_buffer
      - .actual_access:  read_only
        .address_space:  global
        .offset:         40
        .size:           8
        .value_kind:     global_buffer
      - .actual_access:  read_only
        .address_space:  global
        .offset:         48
        .size:           8
        .value_kind:     global_buffer
      - .offset:         56
        .size:           4
        .value_kind:     by_value
      - .actual_access:  read_only
        .address_space:  global
        .offset:         64
        .size:           8
        .value_kind:     global_buffer
      - .offset:         72
        .size:           4
        .value_kind:     by_value
      - .offset:         76
        .size:           4
        .value_kind:     by_value
      - .offset:         80
        .size:           4
        .value_kind:     by_value
      - .actual_access:  write_only
        .address_space:  global
        .offset:         88
        .size:           8
        .value_kind:     global_buffer
      - .actual_access:  write_only
        .address_space:  global
        .offset:         96
        .size:           8
        .value_kind:     global_buffer
      - .actual_access:  write_only
        .address_space:  global
        .offset:         104
        .size:           8
        .value_kind:     global_buffer
      - .actual_access:  read_only
        .address_space:  global
        .offset:         112
        .size:           8
        .value_kind:     global_buffer
      - .offset:         120
        .size:           4
        .value_kind:     by_value
      - .address_space:  global
        .offset:         128
        .size:           8
        .value_kind:     global_buffer
      - .address_space:  global
        .offset:         136
        .size:           8
        .value_kind:     global_buffer
      - .offset:         144
        .size:           4
        .value_kind:     hidden_block_count_x
      - .offset:         148
        .size:           4
        .value_kind:     hidden_block_count_y
      - .offset:         152
        .size:           4
        .value_kind:     hidden_block_count_z
      - .offset:         156
        .size:           2
        .value_kind:     hidden_group_size_x
      - .offset:         158
        .size:           2
        .value_kind:     hidden_group_size_y
      - .offset:         160
        .size:           2
        .value_kind:     hidden_group_size_z
      - .offset:         162
        .size:           2
        .value_kind:     hidden_remainder_x
      - .offset:         164
        .size:           2
        .value_kind:     hidden_remainder_y
      - .offset:         166
        .size:           2
        .value_kind:     hidden_remainder_z
      - .offset:         184
        .size:           8
        .value_kind:     hidden_global_offset_x
      - .offset:         192
        .size:           8
        .value_kind:     hidden_global_offset_y
      - .offset:         200
        .size:           8
        .value_kind:     hidden_global_offset_z
      - .offset:         208
        .size:           2
        .value_kind:     hidden_grid_dims
    .group_segment_fixed_size: 8192
    .kernarg_segment_align: 8
    .kernarg_segment_size: 400
    .language:       OpenCL C
    .language_version:
      - 2
      - 0
    .max_flat_workgroup_size: 256
    .name:           _Z39paged_attention_ll4mi_QKV_mfma16_kernelI14__hip_bfloat16hLN4vllm18Fp8KVCacheDataTypeE1ES0_Li32ELi128ELi256ELb0ELi8EEvPKT_PKT0_S8_ifPKiSA_SA_iPKfiiiPfSD_PS3_PT2_iSC_SC_
    .private_segment_fixed_size: 0
    .sgpr_count:     54
    .sgpr_spill_count: 0
    .symbol:         _Z39paged_attention_ll4mi_QKV_mfma16_kernelI14__hip_bfloat16hLN4vllm18Fp8KVCacheDataTypeE1ES0_Li32ELi128ELi256ELb0ELi8EEvPKT_PKT0_S8_ifPKiSA_SA_iPKfiiiPfSD_PS3_PT2_iSC_SC_.kd
    .uniform_work_group_size: 1
    .uses_dynamic_stack: false
    .vgpr_count:     80
    .vgpr_spill_count: 0
    .wavefront_size: 64
  - .agpr_count:     0
    .args:
      - .actual_access:  read_only
        .address_space:  global
        .offset:         0
        .size:           8
        .value_kind:     global_buffer
      - .actual_access:  read_only
        .address_space:  global
        .offset:         8
        .size:           8
        .value_kind:     global_buffer
      - .actual_access:  read_only
        .address_space:  global
        .offset:         16
        .size:           8
        .value_kind:     global_buffer
      - .offset:         24
        .size:           4
        .value_kind:     by_value
      - .offset:         28
        .size:           4
        .value_kind:     by_value
      - .actual_access:  read_only
        .address_space:  global
        .offset:         32
        .size:           8
        .value_kind:     global_buffer
      - .actual_access:  read_only
        .address_space:  global
        .offset:         40
        .size:           8
        .value_kind:     global_buffer
      - .actual_access:  read_only
        .address_space:  global
        .offset:         48
        .size:           8
        .value_kind:     global_buffer
      - .offset:         56
        .size:           4
        .value_kind:     by_value
      - .actual_access:  read_only
        .address_space:  global
        .offset:         64
        .size:           8
        .value_kind:     global_buffer
      - .offset:         72
        .size:           4
        .value_kind:     by_value
      - .offset:         76
        .size:           4
        .value_kind:     by_value
      - .offset:         80
        .size:           4
        .value_kind:     by_value
      - .actual_access:  write_only
        .address_space:  global
        .offset:         88
        .size:           8
        .value_kind:     global_buffer
      - .actual_access:  write_only
        .address_space:  global
        .offset:         96
        .size:           8
        .value_kind:     global_buffer
      - .actual_access:  write_only
        .address_space:  global
        .offset:         104
        .size:           8
        .value_kind:     global_buffer
      - .actual_access:  read_only
        .address_space:  global
        .offset:         112
        .size:           8
        .value_kind:     global_buffer
      - .offset:         120
        .size:           4
        .value_kind:     by_value
      - .address_space:  global
        .offset:         128
        .size:           8
        .value_kind:     global_buffer
      - .address_space:  global
        .offset:         136
        .size:           8
        .value_kind:     global_buffer
      - .offset:         144
        .size:           4
        .value_kind:     hidden_block_count_x
      - .offset:         148
        .size:           4
        .value_kind:     hidden_block_count_y
      - .offset:         152
        .size:           4
        .value_kind:     hidden_block_count_z
      - .offset:         156
        .size:           2
        .value_kind:     hidden_group_size_x
      - .offset:         158
        .size:           2
        .value_kind:     hidden_group_size_y
      - .offset:         160
        .size:           2
        .value_kind:     hidden_group_size_z
      - .offset:         162
        .size:           2
        .value_kind:     hidden_remainder_x
      - .offset:         164
        .size:           2
        .value_kind:     hidden_remainder_y
      - .offset:         166
        .size:           2
        .value_kind:     hidden_remainder_z
      - .offset:         184
        .size:           8
        .value_kind:     hidden_global_offset_x
      - .offset:         192
        .size:           8
        .value_kind:     hidden_global_offset_y
      - .offset:         200
        .size:           8
        .value_kind:     hidden_global_offset_z
      - .offset:         208
        .size:           2
        .value_kind:     hidden_grid_dims
    .group_segment_fixed_size: 8192
    .kernarg_segment_align: 8
    .kernarg_segment_size: 400
    .language:       OpenCL C
    .language_version:
      - 2
      - 0
    .max_flat_workgroup_size: 256
    .name:           _Z39paged_attention_ll4mi_QKV_mfma16_kernelI14__hip_bfloat16hLN4vllm18Fp8KVCacheDataTypeE1ES0_Li32ELi128ELi256ELb0ELi9EEvPKT_PKT0_S8_ifPKiSA_SA_iPKfiiiPfSD_PS3_PT2_iSC_SC_
    .private_segment_fixed_size: 0
    .sgpr_count:     56
    .sgpr_spill_count: 0
    .symbol:         _Z39paged_attention_ll4mi_QKV_mfma16_kernelI14__hip_bfloat16hLN4vllm18Fp8KVCacheDataTypeE1ES0_Li32ELi128ELi256ELb0ELi9EEvPKT_PKT0_S8_ifPKiSA_SA_iPKfiiiPfSD_PS3_PT2_iSC_SC_.kd
    .uniform_work_group_size: 1
    .uses_dynamic_stack: false
    .vgpr_count:     82
    .vgpr_spill_count: 0
    .wavefront_size: 64
  - .agpr_count:     0
    .args:
      - .actual_access:  read_only
        .address_space:  global
        .offset:         0
        .size:           8
        .value_kind:     global_buffer
      - .actual_access:  read_only
        .address_space:  global
        .offset:         8
        .size:           8
        .value_kind:     global_buffer
      - .actual_access:  read_only
        .address_space:  global
        .offset:         16
        .size:           8
        .value_kind:     global_buffer
      - .offset:         24
        .size:           4
        .value_kind:     by_value
      - .offset:         28
        .size:           4
        .value_kind:     by_value
      - .actual_access:  read_only
        .address_space:  global
        .offset:         32
        .size:           8
        .value_kind:     global_buffer
      - .actual_access:  read_only
        .address_space:  global
        .offset:         40
        .size:           8
        .value_kind:     global_buffer
      - .actual_access:  read_only
        .address_space:  global
        .offset:         48
        .size:           8
        .value_kind:     global_buffer
      - .offset:         56
        .size:           4
        .value_kind:     by_value
      - .actual_access:  read_only
        .address_space:  global
        .offset:         64
        .size:           8
        .value_kind:     global_buffer
      - .offset:         72
        .size:           4
        .value_kind:     by_value
      - .offset:         76
        .size:           4
        .value_kind:     by_value
      - .offset:         80
        .size:           4
        .value_kind:     by_value
      - .actual_access:  write_only
        .address_space:  global
        .offset:         88
        .size:           8
        .value_kind:     global_buffer
      - .actual_access:  write_only
        .address_space:  global
        .offset:         96
        .size:           8
        .value_kind:     global_buffer
      - .actual_access:  write_only
        .address_space:  global
        .offset:         104
        .size:           8
        .value_kind:     global_buffer
      - .actual_access:  read_only
        .address_space:  global
        .offset:         112
        .size:           8
        .value_kind:     global_buffer
      - .offset:         120
        .size:           4
        .value_kind:     by_value
      - .address_space:  global
        .offset:         128
        .size:           8
        .value_kind:     global_buffer
      - .address_space:  global
        .offset:         136
        .size:           8
        .value_kind:     global_buffer
      - .offset:         144
        .size:           4
        .value_kind:     hidden_block_count_x
      - .offset:         148
        .size:           4
        .value_kind:     hidden_block_count_y
      - .offset:         152
        .size:           4
        .value_kind:     hidden_block_count_z
      - .offset:         156
        .size:           2
        .value_kind:     hidden_group_size_x
      - .offset:         158
        .size:           2
        .value_kind:     hidden_group_size_y
      - .offset:         160
        .size:           2
        .value_kind:     hidden_group_size_z
      - .offset:         162
        .size:           2
        .value_kind:     hidden_remainder_x
      - .offset:         164
        .size:           2
        .value_kind:     hidden_remainder_y
      - .offset:         166
        .size:           2
        .value_kind:     hidden_remainder_z
      - .offset:         184
        .size:           8
        .value_kind:     hidden_global_offset_x
      - .offset:         192
        .size:           8
        .value_kind:     hidden_global_offset_y
      - .offset:         200
        .size:           8
        .value_kind:     hidden_global_offset_z
      - .offset:         208
        .size:           2
        .value_kind:     hidden_grid_dims
    .group_segment_fixed_size: 8192
    .kernarg_segment_align: 8
    .kernarg_segment_size: 400
    .language:       OpenCL C
    .language_version:
      - 2
      - 0
    .max_flat_workgroup_size: 256
    .name:           _Z39paged_attention_ll4mi_QKV_mfma16_kernelI14__hip_bfloat16hLN4vllm18Fp8KVCacheDataTypeE1ES0_Li32ELi128ELi256ELb0ELi10EEvPKT_PKT0_S8_ifPKiSA_SA_iPKfiiiPfSD_PS3_PT2_iSC_SC_
    .private_segment_fixed_size: 0
    .sgpr_count:     56
    .sgpr_spill_count: 0
    .symbol:         _Z39paged_attention_ll4mi_QKV_mfma16_kernelI14__hip_bfloat16hLN4vllm18Fp8KVCacheDataTypeE1ES0_Li32ELi128ELi256ELb0ELi10EEvPKT_PKT0_S8_ifPKiSA_SA_iPKfiiiPfSD_PS3_PT2_iSC_SC_.kd
    .uniform_work_group_size: 1
    .uses_dynamic_stack: false
    .vgpr_count:     82
    .vgpr_spill_count: 0
    .wavefront_size: 64
  - .agpr_count:     0
    .args:
      - .actual_access:  read_only
        .address_space:  global
        .offset:         0
        .size:           8
        .value_kind:     global_buffer
      - .actual_access:  read_only
        .address_space:  global
        .offset:         8
        .size:           8
        .value_kind:     global_buffer
      - .actual_access:  read_only
        .address_space:  global
        .offset:         16
        .size:           8
        .value_kind:     global_buffer
      - .offset:         24
        .size:           4
        .value_kind:     by_value
      - .offset:         28
        .size:           4
        .value_kind:     by_value
      - .actual_access:  read_only
        .address_space:  global
        .offset:         32
        .size:           8
        .value_kind:     global_buffer
      - .actual_access:  read_only
        .address_space:  global
        .offset:         40
        .size:           8
        .value_kind:     global_buffer
      - .actual_access:  read_only
        .address_space:  global
        .offset:         48
        .size:           8
        .value_kind:     global_buffer
      - .offset:         56
        .size:           4
        .value_kind:     by_value
      - .actual_access:  read_only
        .address_space:  global
        .offset:         64
        .size:           8
        .value_kind:     global_buffer
      - .offset:         72
        .size:           4
        .value_kind:     by_value
      - .offset:         76
        .size:           4
        .value_kind:     by_value
      - .offset:         80
        .size:           4
        .value_kind:     by_value
      - .actual_access:  write_only
        .address_space:  global
        .offset:         88
        .size:           8
        .value_kind:     global_buffer
      - .actual_access:  write_only
        .address_space:  global
        .offset:         96
        .size:           8
        .value_kind:     global_buffer
      - .actual_access:  write_only
        .address_space:  global
        .offset:         104
        .size:           8
        .value_kind:     global_buffer
      - .actual_access:  read_only
        .address_space:  global
        .offset:         112
        .size:           8
        .value_kind:     global_buffer
      - .offset:         120
        .size:           4
        .value_kind:     by_value
      - .address_space:  global
        .offset:         128
        .size:           8
        .value_kind:     global_buffer
      - .address_space:  global
        .offset:         136
        .size:           8
        .value_kind:     global_buffer
      - .offset:         144
        .size:           4
        .value_kind:     hidden_block_count_x
      - .offset:         148
        .size:           4
        .value_kind:     hidden_block_count_y
      - .offset:         152
        .size:           4
        .value_kind:     hidden_block_count_z
      - .offset:         156
        .size:           2
        .value_kind:     hidden_group_size_x
      - .offset:         158
        .size:           2
        .value_kind:     hidden_group_size_y
      - .offset:         160
        .size:           2
        .value_kind:     hidden_group_size_z
      - .offset:         162
        .size:           2
        .value_kind:     hidden_remainder_x
      - .offset:         164
        .size:           2
        .value_kind:     hidden_remainder_y
      - .offset:         166
        .size:           2
        .value_kind:     hidden_remainder_z
      - .offset:         184
        .size:           8
        .value_kind:     hidden_global_offset_x
      - .offset:         192
        .size:           8
        .value_kind:     hidden_global_offset_y
      - .offset:         200
        .size:           8
        .value_kind:     hidden_global_offset_z
      - .offset:         208
        .size:           2
        .value_kind:     hidden_grid_dims
    .group_segment_fixed_size: 8192
    .kernarg_segment_align: 8
    .kernarg_segment_size: 400
    .language:       OpenCL C
    .language_version:
      - 2
      - 0
    .max_flat_workgroup_size: 256
    .name:           _Z39paged_attention_ll4mi_QKV_mfma16_kernelI14__hip_bfloat16hLN4vllm18Fp8KVCacheDataTypeE1ES0_Li32ELi128ELi256ELb0ELi11EEvPKT_PKT0_S8_ifPKiSA_SA_iPKfiiiPfSD_PS3_PT2_iSC_SC_
    .private_segment_fixed_size: 0
    .sgpr_count:     56
    .sgpr_spill_count: 0
    .symbol:         _Z39paged_attention_ll4mi_QKV_mfma16_kernelI14__hip_bfloat16hLN4vllm18Fp8KVCacheDataTypeE1ES0_Li32ELi128ELi256ELb0ELi11EEvPKT_PKT0_S8_ifPKiSA_SA_iPKfiiiPfSD_PS3_PT2_iSC_SC_.kd
    .uniform_work_group_size: 1
    .uses_dynamic_stack: false
    .vgpr_count:     82
    .vgpr_spill_count: 0
    .wavefront_size: 64
  - .agpr_count:     0
    .args:
      - .actual_access:  read_only
        .address_space:  global
        .offset:         0
        .size:           8
        .value_kind:     global_buffer
      - .actual_access:  read_only
        .address_space:  global
        .offset:         8
        .size:           8
        .value_kind:     global_buffer
      - .actual_access:  read_only
        .address_space:  global
        .offset:         16
        .size:           8
        .value_kind:     global_buffer
      - .offset:         24
        .size:           4
        .value_kind:     by_value
      - .offset:         28
        .size:           4
        .value_kind:     by_value
      - .actual_access:  read_only
        .address_space:  global
        .offset:         32
        .size:           8
        .value_kind:     global_buffer
      - .actual_access:  read_only
        .address_space:  global
        .offset:         40
        .size:           8
        .value_kind:     global_buffer
      - .actual_access:  read_only
        .address_space:  global
        .offset:         48
        .size:           8
        .value_kind:     global_buffer
      - .offset:         56
        .size:           4
        .value_kind:     by_value
      - .actual_access:  read_only
        .address_space:  global
        .offset:         64
        .size:           8
        .value_kind:     global_buffer
      - .offset:         72
        .size:           4
        .value_kind:     by_value
      - .offset:         76
        .size:           4
        .value_kind:     by_value
      - .offset:         80
        .size:           4
        .value_kind:     by_value
      - .actual_access:  write_only
        .address_space:  global
        .offset:         88
        .size:           8
        .value_kind:     global_buffer
      - .actual_access:  write_only
        .address_space:  global
        .offset:         96
        .size:           8
        .value_kind:     global_buffer
      - .actual_access:  write_only
        .address_space:  global
        .offset:         104
        .size:           8
        .value_kind:     global_buffer
      - .actual_access:  read_only
        .address_space:  global
        .offset:         112
        .size:           8
        .value_kind:     global_buffer
      - .offset:         120
        .size:           4
        .value_kind:     by_value
      - .address_space:  global
        .offset:         128
        .size:           8
        .value_kind:     global_buffer
      - .address_space:  global
        .offset:         136
        .size:           8
        .value_kind:     global_buffer
      - .offset:         144
        .size:           4
        .value_kind:     hidden_block_count_x
      - .offset:         148
        .size:           4
        .value_kind:     hidden_block_count_y
      - .offset:         152
        .size:           4
        .value_kind:     hidden_block_count_z
      - .offset:         156
        .size:           2
        .value_kind:     hidden_group_size_x
      - .offset:         158
        .size:           2
        .value_kind:     hidden_group_size_y
      - .offset:         160
        .size:           2
        .value_kind:     hidden_group_size_z
      - .offset:         162
        .size:           2
        .value_kind:     hidden_remainder_x
      - .offset:         164
        .size:           2
        .value_kind:     hidden_remainder_y
      - .offset:         166
        .size:           2
        .value_kind:     hidden_remainder_z
      - .offset:         184
        .size:           8
        .value_kind:     hidden_global_offset_x
      - .offset:         192
        .size:           8
        .value_kind:     hidden_global_offset_y
      - .offset:         200
        .size:           8
        .value_kind:     hidden_global_offset_z
      - .offset:         208
        .size:           2
        .value_kind:     hidden_grid_dims
    .group_segment_fixed_size: 8192
    .kernarg_segment_align: 8
    .kernarg_segment_size: 400
    .language:       OpenCL C
    .language_version:
      - 2
      - 0
    .max_flat_workgroup_size: 256
    .name:           _Z39paged_attention_ll4mi_QKV_mfma16_kernelI14__hip_bfloat16hLN4vllm18Fp8KVCacheDataTypeE1ES0_Li32ELi128ELi256ELb0ELi12EEvPKT_PKT0_S8_ifPKiSA_SA_iPKfiiiPfSD_PS3_PT2_iSC_SC_
    .private_segment_fixed_size: 0
    .sgpr_count:     56
    .sgpr_spill_count: 0
    .symbol:         _Z39paged_attention_ll4mi_QKV_mfma16_kernelI14__hip_bfloat16hLN4vllm18Fp8KVCacheDataTypeE1ES0_Li32ELi128ELi256ELb0ELi12EEvPKT_PKT0_S8_ifPKiSA_SA_iPKfiiiPfSD_PS3_PT2_iSC_SC_.kd
    .uniform_work_group_size: 1
    .uses_dynamic_stack: false
    .vgpr_count:     82
    .vgpr_spill_count: 0
    .wavefront_size: 64
  - .agpr_count:     0
    .args:
      - .actual_access:  read_only
        .address_space:  global
        .offset:         0
        .size:           8
        .value_kind:     global_buffer
      - .actual_access:  read_only
        .address_space:  global
        .offset:         8
        .size:           8
        .value_kind:     global_buffer
      - .actual_access:  read_only
        .address_space:  global
        .offset:         16
        .size:           8
        .value_kind:     global_buffer
      - .offset:         24
        .size:           4
        .value_kind:     by_value
      - .offset:         28
        .size:           4
        .value_kind:     by_value
      - .actual_access:  read_only
        .address_space:  global
        .offset:         32
        .size:           8
        .value_kind:     global_buffer
      - .actual_access:  read_only
        .address_space:  global
        .offset:         40
        .size:           8
        .value_kind:     global_buffer
      - .actual_access:  read_only
        .address_space:  global
        .offset:         48
        .size:           8
        .value_kind:     global_buffer
      - .offset:         56
        .size:           4
        .value_kind:     by_value
      - .actual_access:  read_only
        .address_space:  global
        .offset:         64
        .size:           8
        .value_kind:     global_buffer
      - .offset:         72
        .size:           4
        .value_kind:     by_value
      - .offset:         76
        .size:           4
        .value_kind:     by_value
      - .offset:         80
        .size:           4
        .value_kind:     by_value
      - .actual_access:  write_only
        .address_space:  global
        .offset:         88
        .size:           8
        .value_kind:     global_buffer
      - .actual_access:  write_only
        .address_space:  global
        .offset:         96
        .size:           8
        .value_kind:     global_buffer
      - .actual_access:  write_only
        .address_space:  global
        .offset:         104
        .size:           8
        .value_kind:     global_buffer
      - .actual_access:  read_only
        .address_space:  global
        .offset:         112
        .size:           8
        .value_kind:     global_buffer
      - .offset:         120
        .size:           4
        .value_kind:     by_value
      - .address_space:  global
        .offset:         128
        .size:           8
        .value_kind:     global_buffer
      - .address_space:  global
        .offset:         136
        .size:           8
        .value_kind:     global_buffer
      - .offset:         144
        .size:           4
        .value_kind:     hidden_block_count_x
      - .offset:         148
        .size:           4
        .value_kind:     hidden_block_count_y
      - .offset:         152
        .size:           4
        .value_kind:     hidden_block_count_z
      - .offset:         156
        .size:           2
        .value_kind:     hidden_group_size_x
      - .offset:         158
        .size:           2
        .value_kind:     hidden_group_size_y
      - .offset:         160
        .size:           2
        .value_kind:     hidden_group_size_z
      - .offset:         162
        .size:           2
        .value_kind:     hidden_remainder_x
      - .offset:         164
        .size:           2
        .value_kind:     hidden_remainder_y
      - .offset:         166
        .size:           2
        .value_kind:     hidden_remainder_z
      - .offset:         184
        .size:           8
        .value_kind:     hidden_global_offset_x
      - .offset:         192
        .size:           8
        .value_kind:     hidden_global_offset_y
      - .offset:         200
        .size:           8
        .value_kind:     hidden_global_offset_z
      - .offset:         208
        .size:           2
        .value_kind:     hidden_grid_dims
    .group_segment_fixed_size: 8192
    .kernarg_segment_align: 8
    .kernarg_segment_size: 400
    .language:       OpenCL C
    .language_version:
      - 2
      - 0
    .max_flat_workgroup_size: 256
    .name:           _Z39paged_attention_ll4mi_QKV_mfma16_kernelI14__hip_bfloat16hLN4vllm18Fp8KVCacheDataTypeE1ES0_Li32ELi128ELi256ELb0ELi13EEvPKT_PKT0_S8_ifPKiSA_SA_iPKfiiiPfSD_PS3_PT2_iSC_SC_
    .private_segment_fixed_size: 0
    .sgpr_count:     56
    .sgpr_spill_count: 0
    .symbol:         _Z39paged_attention_ll4mi_QKV_mfma16_kernelI14__hip_bfloat16hLN4vllm18Fp8KVCacheDataTypeE1ES0_Li32ELi128ELi256ELb0ELi13EEvPKT_PKT0_S8_ifPKiSA_SA_iPKfiiiPfSD_PS3_PT2_iSC_SC_.kd
    .uniform_work_group_size: 1
    .uses_dynamic_stack: false
    .vgpr_count:     82
    .vgpr_spill_count: 0
    .wavefront_size: 64
  - .agpr_count:     0
    .args:
      - .actual_access:  read_only
        .address_space:  global
        .offset:         0
        .size:           8
        .value_kind:     global_buffer
      - .actual_access:  read_only
        .address_space:  global
        .offset:         8
        .size:           8
        .value_kind:     global_buffer
      - .actual_access:  read_only
        .address_space:  global
        .offset:         16
        .size:           8
        .value_kind:     global_buffer
      - .offset:         24
        .size:           4
        .value_kind:     by_value
      - .offset:         28
        .size:           4
        .value_kind:     by_value
      - .actual_access:  read_only
        .address_space:  global
        .offset:         32
        .size:           8
        .value_kind:     global_buffer
      - .actual_access:  read_only
        .address_space:  global
        .offset:         40
        .size:           8
        .value_kind:     global_buffer
      - .actual_access:  read_only
        .address_space:  global
        .offset:         48
        .size:           8
        .value_kind:     global_buffer
      - .offset:         56
        .size:           4
        .value_kind:     by_value
      - .actual_access:  read_only
        .address_space:  global
        .offset:         64
        .size:           8
        .value_kind:     global_buffer
      - .offset:         72
        .size:           4
        .value_kind:     by_value
      - .offset:         76
        .size:           4
        .value_kind:     by_value
      - .offset:         80
        .size:           4
        .value_kind:     by_value
      - .actual_access:  write_only
        .address_space:  global
        .offset:         88
        .size:           8
        .value_kind:     global_buffer
      - .actual_access:  write_only
        .address_space:  global
        .offset:         96
        .size:           8
        .value_kind:     global_buffer
      - .actual_access:  write_only
        .address_space:  global
        .offset:         104
        .size:           8
        .value_kind:     global_buffer
      - .actual_access:  read_only
        .address_space:  global
        .offset:         112
        .size:           8
        .value_kind:     global_buffer
      - .offset:         120
        .size:           4
        .value_kind:     by_value
      - .address_space:  global
        .offset:         128
        .size:           8
        .value_kind:     global_buffer
      - .address_space:  global
        .offset:         136
        .size:           8
        .value_kind:     global_buffer
      - .offset:         144
        .size:           4
        .value_kind:     hidden_block_count_x
      - .offset:         148
        .size:           4
        .value_kind:     hidden_block_count_y
      - .offset:         152
        .size:           4
        .value_kind:     hidden_block_count_z
      - .offset:         156
        .size:           2
        .value_kind:     hidden_group_size_x
      - .offset:         158
        .size:           2
        .value_kind:     hidden_group_size_y
      - .offset:         160
        .size:           2
        .value_kind:     hidden_group_size_z
      - .offset:         162
        .size:           2
        .value_kind:     hidden_remainder_x
      - .offset:         164
        .size:           2
        .value_kind:     hidden_remainder_y
      - .offset:         166
        .size:           2
        .value_kind:     hidden_remainder_z
      - .offset:         184
        .size:           8
        .value_kind:     hidden_global_offset_x
      - .offset:         192
        .size:           8
        .value_kind:     hidden_global_offset_y
      - .offset:         200
        .size:           8
        .value_kind:     hidden_global_offset_z
      - .offset:         208
        .size:           2
        .value_kind:     hidden_grid_dims
    .group_segment_fixed_size: 8192
    .kernarg_segment_align: 8
    .kernarg_segment_size: 400
    .language:       OpenCL C
    .language_version:
      - 2
      - 0
    .max_flat_workgroup_size: 256
    .name:           _Z39paged_attention_ll4mi_QKV_mfma16_kernelI14__hip_bfloat16hLN4vllm18Fp8KVCacheDataTypeE1ES0_Li32ELi128ELi256ELb0ELi14EEvPKT_PKT0_S8_ifPKiSA_SA_iPKfiiiPfSD_PS3_PT2_iSC_SC_
    .private_segment_fixed_size: 0
    .sgpr_count:     56
    .sgpr_spill_count: 0
    .symbol:         _Z39paged_attention_ll4mi_QKV_mfma16_kernelI14__hip_bfloat16hLN4vllm18Fp8KVCacheDataTypeE1ES0_Li32ELi128ELi256ELb0ELi14EEvPKT_PKT0_S8_ifPKiSA_SA_iPKfiiiPfSD_PS3_PT2_iSC_SC_.kd
    .uniform_work_group_size: 1
    .uses_dynamic_stack: false
    .vgpr_count:     82
    .vgpr_spill_count: 0
    .wavefront_size: 64
  - .agpr_count:     0
    .args:
      - .actual_access:  read_only
        .address_space:  global
        .offset:         0
        .size:           8
        .value_kind:     global_buffer
      - .actual_access:  read_only
        .address_space:  global
        .offset:         8
        .size:           8
        .value_kind:     global_buffer
      - .actual_access:  read_only
        .address_space:  global
        .offset:         16
        .size:           8
        .value_kind:     global_buffer
      - .offset:         24
        .size:           4
        .value_kind:     by_value
      - .offset:         28
        .size:           4
        .value_kind:     by_value
      - .actual_access:  read_only
        .address_space:  global
        .offset:         32
        .size:           8
        .value_kind:     global_buffer
      - .actual_access:  read_only
        .address_space:  global
        .offset:         40
        .size:           8
        .value_kind:     global_buffer
      - .actual_access:  read_only
        .address_space:  global
        .offset:         48
        .size:           8
        .value_kind:     global_buffer
      - .offset:         56
        .size:           4
        .value_kind:     by_value
      - .actual_access:  read_only
        .address_space:  global
        .offset:         64
        .size:           8
        .value_kind:     global_buffer
      - .offset:         72
        .size:           4
        .value_kind:     by_value
      - .offset:         76
        .size:           4
        .value_kind:     by_value
      - .offset:         80
        .size:           4
        .value_kind:     by_value
      - .actual_access:  write_only
        .address_space:  global
        .offset:         88
        .size:           8
        .value_kind:     global_buffer
      - .actual_access:  write_only
        .address_space:  global
        .offset:         96
        .size:           8
        .value_kind:     global_buffer
      - .actual_access:  write_only
        .address_space:  global
        .offset:         104
        .size:           8
        .value_kind:     global_buffer
      - .actual_access:  read_only
        .address_space:  global
        .offset:         112
        .size:           8
        .value_kind:     global_buffer
      - .offset:         120
        .size:           4
        .value_kind:     by_value
      - .address_space:  global
        .offset:         128
        .size:           8
        .value_kind:     global_buffer
      - .address_space:  global
        .offset:         136
        .size:           8
        .value_kind:     global_buffer
      - .offset:         144
        .size:           4
        .value_kind:     hidden_block_count_x
      - .offset:         148
        .size:           4
        .value_kind:     hidden_block_count_y
      - .offset:         152
        .size:           4
        .value_kind:     hidden_block_count_z
      - .offset:         156
        .size:           2
        .value_kind:     hidden_group_size_x
      - .offset:         158
        .size:           2
        .value_kind:     hidden_group_size_y
      - .offset:         160
        .size:           2
        .value_kind:     hidden_group_size_z
      - .offset:         162
        .size:           2
        .value_kind:     hidden_remainder_x
      - .offset:         164
        .size:           2
        .value_kind:     hidden_remainder_y
      - .offset:         166
        .size:           2
        .value_kind:     hidden_remainder_z
      - .offset:         184
        .size:           8
        .value_kind:     hidden_global_offset_x
      - .offset:         192
        .size:           8
        .value_kind:     hidden_global_offset_y
      - .offset:         200
        .size:           8
        .value_kind:     hidden_global_offset_z
      - .offset:         208
        .size:           2
        .value_kind:     hidden_grid_dims
    .group_segment_fixed_size: 8192
    .kernarg_segment_align: 8
    .kernarg_segment_size: 400
    .language:       OpenCL C
    .language_version:
      - 2
      - 0
    .max_flat_workgroup_size: 256
    .name:           _Z39paged_attention_ll4mi_QKV_mfma16_kernelI14__hip_bfloat16hLN4vllm18Fp8KVCacheDataTypeE1ES0_Li32ELi128ELi256ELb0ELi15EEvPKT_PKT0_S8_ifPKiSA_SA_iPKfiiiPfSD_PS3_PT2_iSC_SC_
    .private_segment_fixed_size: 0
    .sgpr_count:     56
    .sgpr_spill_count: 0
    .symbol:         _Z39paged_attention_ll4mi_QKV_mfma16_kernelI14__hip_bfloat16hLN4vllm18Fp8KVCacheDataTypeE1ES0_Li32ELi128ELi256ELb0ELi15EEvPKT_PKT0_S8_ifPKiSA_SA_iPKfiiiPfSD_PS3_PT2_iSC_SC_.kd
    .uniform_work_group_size: 1
    .uses_dynamic_stack: false
    .vgpr_count:     80
    .vgpr_spill_count: 0
    .wavefront_size: 64
  - .agpr_count:     0
    .args:
      - .actual_access:  read_only
        .address_space:  global
        .offset:         0
        .size:           8
        .value_kind:     global_buffer
      - .actual_access:  read_only
        .address_space:  global
        .offset:         8
        .size:           8
        .value_kind:     global_buffer
      - .actual_access:  read_only
        .address_space:  global
        .offset:         16
        .size:           8
        .value_kind:     global_buffer
      - .offset:         24
        .size:           4
        .value_kind:     by_value
      - .offset:         28
        .size:           4
        .value_kind:     by_value
      - .actual_access:  read_only
        .address_space:  global
        .offset:         32
        .size:           8
        .value_kind:     global_buffer
      - .actual_access:  read_only
        .address_space:  global
        .offset:         40
        .size:           8
        .value_kind:     global_buffer
      - .actual_access:  read_only
        .address_space:  global
        .offset:         48
        .size:           8
        .value_kind:     global_buffer
      - .offset:         56
        .size:           4
        .value_kind:     by_value
      - .actual_access:  read_only
        .address_space:  global
        .offset:         64
        .size:           8
        .value_kind:     global_buffer
      - .offset:         72
        .size:           4
        .value_kind:     by_value
      - .offset:         76
        .size:           4
        .value_kind:     by_value
      - .offset:         80
        .size:           4
        .value_kind:     by_value
      - .actual_access:  write_only
        .address_space:  global
        .offset:         88
        .size:           8
        .value_kind:     global_buffer
      - .actual_access:  write_only
        .address_space:  global
        .offset:         96
        .size:           8
        .value_kind:     global_buffer
      - .actual_access:  write_only
        .address_space:  global
        .offset:         104
        .size:           8
        .value_kind:     global_buffer
      - .actual_access:  read_only
        .address_space:  global
        .offset:         112
        .size:           8
        .value_kind:     global_buffer
      - .offset:         120
        .size:           4
        .value_kind:     by_value
      - .address_space:  global
        .offset:         128
        .size:           8
        .value_kind:     global_buffer
      - .address_space:  global
        .offset:         136
        .size:           8
        .value_kind:     global_buffer
      - .offset:         144
        .size:           4
        .value_kind:     hidden_block_count_x
      - .offset:         148
        .size:           4
        .value_kind:     hidden_block_count_y
      - .offset:         152
        .size:           4
        .value_kind:     hidden_block_count_z
      - .offset:         156
        .size:           2
        .value_kind:     hidden_group_size_x
      - .offset:         158
        .size:           2
        .value_kind:     hidden_group_size_y
      - .offset:         160
        .size:           2
        .value_kind:     hidden_group_size_z
      - .offset:         162
        .size:           2
        .value_kind:     hidden_remainder_x
      - .offset:         164
        .size:           2
        .value_kind:     hidden_remainder_y
      - .offset:         166
        .size:           2
        .value_kind:     hidden_remainder_z
      - .offset:         184
        .size:           8
        .value_kind:     hidden_global_offset_x
      - .offset:         192
        .size:           8
        .value_kind:     hidden_global_offset_y
      - .offset:         200
        .size:           8
        .value_kind:     hidden_global_offset_z
      - .offset:         208
        .size:           2
        .value_kind:     hidden_grid_dims
    .group_segment_fixed_size: 8192
    .kernarg_segment_align: 8
    .kernarg_segment_size: 400
    .language:       OpenCL C
    .language_version:
      - 2
      - 0
    .max_flat_workgroup_size: 256
    .name:           _Z39paged_attention_ll4mi_QKV_mfma16_kernelI14__hip_bfloat16hLN4vllm18Fp8KVCacheDataTypeE1ES0_Li32ELi128ELi256ELb0ELi16EEvPKT_PKT0_S8_ifPKiSA_SA_iPKfiiiPfSD_PS3_PT2_iSC_SC_
    .private_segment_fixed_size: 0
    .sgpr_count:     54
    .sgpr_spill_count: 0
    .symbol:         _Z39paged_attention_ll4mi_QKV_mfma16_kernelI14__hip_bfloat16hLN4vllm18Fp8KVCacheDataTypeE1ES0_Li32ELi128ELi256ELb0ELi16EEvPKT_PKT0_S8_ifPKiSA_SA_iPKfiiiPfSD_PS3_PT2_iSC_SC_.kd
    .uniform_work_group_size: 1
    .uses_dynamic_stack: false
    .vgpr_count:     84
    .vgpr_spill_count: 0
    .wavefront_size: 64
  - .agpr_count:     0
    .args:
      - .actual_access:  read_only
        .address_space:  global
        .offset:         0
        .size:           8
        .value_kind:     global_buffer
      - .actual_access:  read_only
        .address_space:  global
        .offset:         8
        .size:           8
        .value_kind:     global_buffer
      - .actual_access:  read_only
        .address_space:  global
        .offset:         16
        .size:           8
        .value_kind:     global_buffer
      - .offset:         24
        .size:           4
        .value_kind:     by_value
      - .offset:         28
        .size:           4
        .value_kind:     by_value
      - .actual_access:  read_only
        .address_space:  global
        .offset:         32
        .size:           8
        .value_kind:     global_buffer
      - .actual_access:  read_only
        .address_space:  global
        .offset:         40
        .size:           8
        .value_kind:     global_buffer
      - .actual_access:  read_only
        .address_space:  global
        .offset:         48
        .size:           8
        .value_kind:     global_buffer
      - .offset:         56
        .size:           4
        .value_kind:     by_value
      - .actual_access:  read_only
        .address_space:  global
        .offset:         64
        .size:           8
        .value_kind:     global_buffer
      - .offset:         72
        .size:           4
        .value_kind:     by_value
      - .offset:         76
        .size:           4
        .value_kind:     by_value
      - .offset:         80
        .size:           4
        .value_kind:     by_value
      - .actual_access:  write_only
        .address_space:  global
        .offset:         88
        .size:           8
        .value_kind:     global_buffer
      - .actual_access:  write_only
        .address_space:  global
        .offset:         96
        .size:           8
        .value_kind:     global_buffer
      - .actual_access:  write_only
        .address_space:  global
        .offset:         104
        .size:           8
        .value_kind:     global_buffer
      - .actual_access:  read_only
        .address_space:  global
        .offset:         112
        .size:           8
        .value_kind:     global_buffer
      - .offset:         120
        .size:           4
        .value_kind:     by_value
      - .address_space:  global
        .offset:         128
        .size:           8
        .value_kind:     global_buffer
      - .address_space:  global
        .offset:         136
        .size:           8
        .value_kind:     global_buffer
      - .offset:         144
        .size:           4
        .value_kind:     hidden_block_count_x
      - .offset:         148
        .size:           4
        .value_kind:     hidden_block_count_y
      - .offset:         152
        .size:           4
        .value_kind:     hidden_block_count_z
      - .offset:         156
        .size:           2
        .value_kind:     hidden_group_size_x
      - .offset:         158
        .size:           2
        .value_kind:     hidden_group_size_y
      - .offset:         160
        .size:           2
        .value_kind:     hidden_group_size_z
      - .offset:         162
        .size:           2
        .value_kind:     hidden_remainder_x
      - .offset:         164
        .size:           2
        .value_kind:     hidden_remainder_y
      - .offset:         166
        .size:           2
        .value_kind:     hidden_remainder_z
      - .offset:         184
        .size:           8
        .value_kind:     hidden_global_offset_x
      - .offset:         192
        .size:           8
        .value_kind:     hidden_global_offset_y
      - .offset:         200
        .size:           8
        .value_kind:     hidden_global_offset_z
      - .offset:         208
        .size:           2
        .value_kind:     hidden_grid_dims
    .group_segment_fixed_size: 8192
    .kernarg_segment_align: 8
    .kernarg_segment_size: 400
    .language:       OpenCL C
    .language_version:
      - 2
      - 0
    .max_flat_workgroup_size: 256
    .name:           _Z39paged_attention_ll4mi_QKV_mfma16_kernelI14__hip_bfloat16hLN4vllm18Fp8KVCacheDataTypeE1ES0_Li32ELi128ELi256ELb0ELi1EEvPKT_PKT0_S8_ifPKiSA_SA_iPKfiiiPfSD_PS3_PT2_iSC_SC_
    .private_segment_fixed_size: 0
    .sgpr_count:     54
    .sgpr_spill_count: 0
    .symbol:         _Z39paged_attention_ll4mi_QKV_mfma16_kernelI14__hip_bfloat16hLN4vllm18Fp8KVCacheDataTypeE1ES0_Li32ELi128ELi256ELb0ELi1EEvPKT_PKT0_S8_ifPKiSA_SA_iPKfiiiPfSD_PS3_PT2_iSC_SC_.kd
    .uniform_work_group_size: 1
    .uses_dynamic_stack: false
    .vgpr_count:     80
    .vgpr_spill_count: 0
    .wavefront_size: 64
  - .agpr_count:     0
    .args:
      - .actual_access:  read_only
        .address_space:  global
        .offset:         0
        .size:           8
        .value_kind:     global_buffer
      - .actual_access:  read_only
        .address_space:  global
        .offset:         8
        .size:           8
        .value_kind:     global_buffer
      - .actual_access:  read_only
        .address_space:  global
        .offset:         16
        .size:           8
        .value_kind:     global_buffer
      - .offset:         24
        .size:           4
        .value_kind:     by_value
      - .offset:         28
        .size:           4
        .value_kind:     by_value
      - .actual_access:  read_only
        .address_space:  global
        .offset:         32
        .size:           8
        .value_kind:     global_buffer
      - .actual_access:  read_only
        .address_space:  global
        .offset:         40
        .size:           8
        .value_kind:     global_buffer
      - .actual_access:  read_only
        .address_space:  global
        .offset:         48
        .size:           8
        .value_kind:     global_buffer
      - .offset:         56
        .size:           4
        .value_kind:     by_value
      - .actual_access:  read_only
        .address_space:  global
        .offset:         64
        .size:           8
        .value_kind:     global_buffer
      - .offset:         72
        .size:           4
        .value_kind:     by_value
      - .offset:         76
        .size:           4
        .value_kind:     by_value
      - .offset:         80
        .size:           4
        .value_kind:     by_value
      - .actual_access:  write_only
        .address_space:  global
        .offset:         88
        .size:           8
        .value_kind:     global_buffer
      - .actual_access:  write_only
        .address_space:  global
        .offset:         96
        .size:           8
        .value_kind:     global_buffer
      - .actual_access:  write_only
        .address_space:  global
        .offset:         104
        .size:           8
        .value_kind:     global_buffer
      - .actual_access:  read_only
        .address_space:  global
        .offset:         112
        .size:           8
        .value_kind:     global_buffer
      - .offset:         120
        .size:           4
        .value_kind:     by_value
      - .address_space:  global
        .offset:         128
        .size:           8
        .value_kind:     global_buffer
      - .address_space:  global
        .offset:         136
        .size:           8
        .value_kind:     global_buffer
      - .offset:         144
        .size:           4
        .value_kind:     hidden_block_count_x
      - .offset:         148
        .size:           4
        .value_kind:     hidden_block_count_y
      - .offset:         152
        .size:           4
        .value_kind:     hidden_block_count_z
      - .offset:         156
        .size:           2
        .value_kind:     hidden_group_size_x
      - .offset:         158
        .size:           2
        .value_kind:     hidden_group_size_y
      - .offset:         160
        .size:           2
        .value_kind:     hidden_group_size_z
      - .offset:         162
        .size:           2
        .value_kind:     hidden_remainder_x
      - .offset:         164
        .size:           2
        .value_kind:     hidden_remainder_y
      - .offset:         166
        .size:           2
        .value_kind:     hidden_remainder_z
      - .offset:         184
        .size:           8
        .value_kind:     hidden_global_offset_x
      - .offset:         192
        .size:           8
        .value_kind:     hidden_global_offset_y
      - .offset:         200
        .size:           8
        .value_kind:     hidden_global_offset_z
      - .offset:         208
        .size:           2
        .value_kind:     hidden_grid_dims
    .group_segment_fixed_size: 8192
    .kernarg_segment_align: 8
    .kernarg_segment_size: 400
    .language:       OpenCL C
    .language_version:
      - 2
      - 0
    .max_flat_workgroup_size: 256
    .name:           _Z39paged_attention_ll4mi_QKV_mfma16_kernelI14__hip_bfloat16hLN4vllm18Fp8KVCacheDataTypeE1ES0_Li32ELi128ELi256ELb0ELi2EEvPKT_PKT0_S8_ifPKiSA_SA_iPKfiiiPfSD_PS3_PT2_iSC_SC_
    .private_segment_fixed_size: 0
    .sgpr_count:     54
    .sgpr_spill_count: 0
    .symbol:         _Z39paged_attention_ll4mi_QKV_mfma16_kernelI14__hip_bfloat16hLN4vllm18Fp8KVCacheDataTypeE1ES0_Li32ELi128ELi256ELb0ELi2EEvPKT_PKT0_S8_ifPKiSA_SA_iPKfiiiPfSD_PS3_PT2_iSC_SC_.kd
    .uniform_work_group_size: 1
    .uses_dynamic_stack: false
    .vgpr_count:     80
    .vgpr_spill_count: 0
    .wavefront_size: 64
  - .agpr_count:     0
    .args:
      - .actual_access:  read_only
        .address_space:  global
        .offset:         0
        .size:           8
        .value_kind:     global_buffer
      - .actual_access:  read_only
        .address_space:  global
        .offset:         8
        .size:           8
        .value_kind:     global_buffer
      - .actual_access:  read_only
        .address_space:  global
        .offset:         16
        .size:           8
        .value_kind:     global_buffer
      - .offset:         24
        .size:           4
        .value_kind:     by_value
      - .offset:         28
        .size:           4
        .value_kind:     by_value
      - .actual_access:  read_only
        .address_space:  global
        .offset:         32
        .size:           8
        .value_kind:     global_buffer
      - .actual_access:  read_only
        .address_space:  global
        .offset:         40
        .size:           8
        .value_kind:     global_buffer
      - .actual_access:  read_only
        .address_space:  global
        .offset:         48
        .size:           8
        .value_kind:     global_buffer
      - .offset:         56
        .size:           4
        .value_kind:     by_value
      - .actual_access:  read_only
        .address_space:  global
        .offset:         64
        .size:           8
        .value_kind:     global_buffer
      - .offset:         72
        .size:           4
        .value_kind:     by_value
      - .offset:         76
        .size:           4
        .value_kind:     by_value
      - .offset:         80
        .size:           4
        .value_kind:     by_value
      - .actual_access:  write_only
        .address_space:  global
        .offset:         88
        .size:           8
        .value_kind:     global_buffer
      - .actual_access:  write_only
        .address_space:  global
        .offset:         96
        .size:           8
        .value_kind:     global_buffer
      - .actual_access:  write_only
        .address_space:  global
        .offset:         104
        .size:           8
        .value_kind:     global_buffer
      - .actual_access:  read_only
        .address_space:  global
        .offset:         112
        .size:           8
        .value_kind:     global_buffer
      - .offset:         120
        .size:           4
        .value_kind:     by_value
      - .address_space:  global
        .offset:         128
        .size:           8
        .value_kind:     global_buffer
      - .address_space:  global
        .offset:         136
        .size:           8
        .value_kind:     global_buffer
      - .offset:         144
        .size:           4
        .value_kind:     hidden_block_count_x
      - .offset:         148
        .size:           4
        .value_kind:     hidden_block_count_y
      - .offset:         152
        .size:           4
        .value_kind:     hidden_block_count_z
      - .offset:         156
        .size:           2
        .value_kind:     hidden_group_size_x
      - .offset:         158
        .size:           2
        .value_kind:     hidden_group_size_y
      - .offset:         160
        .size:           2
        .value_kind:     hidden_group_size_z
      - .offset:         162
        .size:           2
        .value_kind:     hidden_remainder_x
      - .offset:         164
        .size:           2
        .value_kind:     hidden_remainder_y
      - .offset:         166
        .size:           2
        .value_kind:     hidden_remainder_z
      - .offset:         184
        .size:           8
        .value_kind:     hidden_global_offset_x
      - .offset:         192
        .size:           8
        .value_kind:     hidden_global_offset_y
      - .offset:         200
        .size:           8
        .value_kind:     hidden_global_offset_z
      - .offset:         208
        .size:           2
        .value_kind:     hidden_grid_dims
    .group_segment_fixed_size: 8192
    .kernarg_segment_align: 8
    .kernarg_segment_size: 400
    .language:       OpenCL C
    .language_version:
      - 2
      - 0
    .max_flat_workgroup_size: 256
    .name:           _Z39paged_attention_ll4mi_QKV_mfma16_kernelI14__hip_bfloat16hLN4vllm18Fp8KVCacheDataTypeE1ES0_Li32ELi128ELi256ELb0ELi3EEvPKT_PKT0_S8_ifPKiSA_SA_iPKfiiiPfSD_PS3_PT2_iSC_SC_
    .private_segment_fixed_size: 0
    .sgpr_count:     56
    .sgpr_spill_count: 0
    .symbol:         _Z39paged_attention_ll4mi_QKV_mfma16_kernelI14__hip_bfloat16hLN4vllm18Fp8KVCacheDataTypeE1ES0_Li32ELi128ELi256ELb0ELi3EEvPKT_PKT0_S8_ifPKiSA_SA_iPKfiiiPfSD_PS3_PT2_iSC_SC_.kd
    .uniform_work_group_size: 1
    .uses_dynamic_stack: false
    .vgpr_count:     82
    .vgpr_spill_count: 0
    .wavefront_size: 64
  - .agpr_count:     0
    .args:
      - .actual_access:  read_only
        .address_space:  global
        .offset:         0
        .size:           8
        .value_kind:     global_buffer
      - .actual_access:  read_only
        .address_space:  global
        .offset:         8
        .size:           8
        .value_kind:     global_buffer
      - .actual_access:  read_only
        .address_space:  global
        .offset:         16
        .size:           8
        .value_kind:     global_buffer
      - .offset:         24
        .size:           4
        .value_kind:     by_value
      - .offset:         28
        .size:           4
        .value_kind:     by_value
      - .actual_access:  read_only
        .address_space:  global
        .offset:         32
        .size:           8
        .value_kind:     global_buffer
      - .actual_access:  read_only
        .address_space:  global
        .offset:         40
        .size:           8
        .value_kind:     global_buffer
      - .actual_access:  read_only
        .address_space:  global
        .offset:         48
        .size:           8
        .value_kind:     global_buffer
      - .offset:         56
        .size:           4
        .value_kind:     by_value
      - .actual_access:  read_only
        .address_space:  global
        .offset:         64
        .size:           8
        .value_kind:     global_buffer
      - .offset:         72
        .size:           4
        .value_kind:     by_value
      - .offset:         76
        .size:           4
        .value_kind:     by_value
      - .offset:         80
        .size:           4
        .value_kind:     by_value
      - .actual_access:  write_only
        .address_space:  global
        .offset:         88
        .size:           8
        .value_kind:     global_buffer
      - .actual_access:  write_only
        .address_space:  global
        .offset:         96
        .size:           8
        .value_kind:     global_buffer
      - .actual_access:  write_only
        .address_space:  global
        .offset:         104
        .size:           8
        .value_kind:     global_buffer
      - .actual_access:  read_only
        .address_space:  global
        .offset:         112
        .size:           8
        .value_kind:     global_buffer
      - .offset:         120
        .size:           4
        .value_kind:     by_value
      - .address_space:  global
        .offset:         128
        .size:           8
        .value_kind:     global_buffer
      - .address_space:  global
        .offset:         136
        .size:           8
        .value_kind:     global_buffer
      - .offset:         144
        .size:           4
        .value_kind:     hidden_block_count_x
      - .offset:         148
        .size:           4
        .value_kind:     hidden_block_count_y
      - .offset:         152
        .size:           4
        .value_kind:     hidden_block_count_z
      - .offset:         156
        .size:           2
        .value_kind:     hidden_group_size_x
      - .offset:         158
        .size:           2
        .value_kind:     hidden_group_size_y
      - .offset:         160
        .size:           2
        .value_kind:     hidden_group_size_z
      - .offset:         162
        .size:           2
        .value_kind:     hidden_remainder_x
      - .offset:         164
        .size:           2
        .value_kind:     hidden_remainder_y
      - .offset:         166
        .size:           2
        .value_kind:     hidden_remainder_z
      - .offset:         184
        .size:           8
        .value_kind:     hidden_global_offset_x
      - .offset:         192
        .size:           8
        .value_kind:     hidden_global_offset_y
      - .offset:         200
        .size:           8
        .value_kind:     hidden_global_offset_z
      - .offset:         208
        .size:           2
        .value_kind:     hidden_grid_dims
    .group_segment_fixed_size: 8192
    .kernarg_segment_align: 8
    .kernarg_segment_size: 400
    .language:       OpenCL C
    .language_version:
      - 2
      - 0
    .max_flat_workgroup_size: 256
    .name:           _Z39paged_attention_ll4mi_QKV_mfma16_kernelI14__hip_bfloat16hLN4vllm18Fp8KVCacheDataTypeE1ES0_Li32ELi128ELi256ELb0ELi4EEvPKT_PKT0_S8_ifPKiSA_SA_iPKfiiiPfSD_PS3_PT2_iSC_SC_
    .private_segment_fixed_size: 0
    .sgpr_count:     55
    .sgpr_spill_count: 0
    .symbol:         _Z39paged_attention_ll4mi_QKV_mfma16_kernelI14__hip_bfloat16hLN4vllm18Fp8KVCacheDataTypeE1ES0_Li32ELi128ELi256ELb0ELi4EEvPKT_PKT0_S8_ifPKiSA_SA_iPKfiiiPfSD_PS3_PT2_iSC_SC_.kd
    .uniform_work_group_size: 1
    .uses_dynamic_stack: false
    .vgpr_count:     82
    .vgpr_spill_count: 0
    .wavefront_size: 64
amdhsa.target:   amdgcn-amd-amdhsa--gfx942
amdhsa.version:
  - 1
  - 2
...

	.end_amdgpu_metadata
